;; amdgpu-corpus repo=ROCm/rocThrust kind=compiled arch=gfx90a opt=O3
	.text
	.amdgcn_target "amdgcn-amd-amdhsa--gfx90a"
	.amdhsa_code_object_version 6
	.protected	_Z15PartitionKerneliPi  ; -- Begin function _Z15PartitionKerneliPi
	.globl	_Z15PartitionKerneliPi
	.p2align	8
	.type	_Z15PartitionKerneliPi,@function
_Z15PartitionKerneliPi:                 ; @_Z15PartitionKerneliPi
; %bb.0:
	v_cmp_eq_u32_e32 vcc, 0, v0
	s_and_saveexec_b64 s[0:1], vcc
	s_cbranch_execz .LBB0_12
; %bb.1:
	s_load_dword s0, s[4:5], 0x0
	s_waitcnt lgkmcnt(0)
	s_ashr_i32 s1, s0, 31
	s_lshl_b64 s[2:3], s[0:1], 2
	s_cmp_eq_u64 s[2:3], 0
	s_cbranch_scc1 .LBB0_12
; %bb.2:
	s_load_dwordx2 s[0:1], s[4:5], 0x8
	s_add_u32 s6, s2, -4
	s_addc_u32 s7, s3, -1
	s_branch .LBB0_4
.LBB0_3:                                ;   in Loop: Header=BB0_4 Depth=1
	s_andn2_b64 vcc, exec, s[10:11]
	s_cbranch_vccz .LBB0_6
.LBB0_4:                                ; =>This Inner Loop Header: Depth=1
	s_waitcnt lgkmcnt(0)
	s_mov_b64 s[4:5], s[0:1]
	s_load_dword s0, s[0:1], 0x0
	s_mov_b64 s[2:3], s[6:7]
	s_mov_b64 s[8:9], -1
	s_mov_b64 s[10:11], -1
	s_waitcnt lgkmcnt(0)
	s_and_b32 s6, s0, 1
	s_add_u32 s0, s4, 4
	s_addc_u32 s1, s5, 0
	s_cmp_eq_u32 s6, 0
                                        ; implicit-def: $sgpr6_sgpr7
	s_cbranch_scc0 .LBB0_3
; %bb.5:                                ;   in Loop: Header=BB0_4 Depth=1
	s_add_u32 s6, s2, -4
	s_addc_u32 s7, s3, -1
	s_cmp_eq_u64 s[6:7], -4
	s_mov_b64 s[8:9], 0
	s_cselect_b64 s[10:11], -1, 0
	s_branch .LBB0_3
.LBB0_6:
	s_and_b64 vcc, exec, s[8:9]
	s_cbranch_vccz .LBB0_12
; %bb.7:
	s_cmp_eq_u64 s[2:3], 0
	s_cbranch_scc1 .LBB0_12
; %bb.8:
	v_mov_b32_e32 v0, 0
	s_branch .LBB0_10
.LBB0_9:                                ;   in Loop: Header=BB0_10 Depth=1
	s_add_u32 s0, s0, 4
	s_addc_u32 s1, s1, 0
	s_add_u32 s2, s2, -4
	s_addc_u32 s3, s3, -1
	s_cmp_lg_u64 s[2:3], 0
	s_cbranch_scc0 .LBB0_12
.LBB0_10:                               ; =>This Inner Loop Header: Depth=1
	global_load_dword v1, v0, s[0:1]
	s_waitcnt vmcnt(0)
	v_readfirstlane_b32 s6, v1
	s_bitcmp1_b32 s6, 0
	s_cselect_b64 s[6:7], -1, 0
	s_and_b64 vcc, exec, s[6:7]
	s_cbranch_vccnz .LBB0_9
; %bb.11:                               ;   in Loop: Header=BB0_10 Depth=1
	global_load_dword v2, v0, s[4:5]
	s_add_u32 s6, s4, 4
	s_addc_u32 s7, s5, 0
	global_store_dword v0, v1, s[4:5]
	s_mov_b64 s[4:5], s[6:7]
	s_waitcnt vmcnt(1)
	global_store_dword v0, v2, s[0:1]
	s_branch .LBB0_9
.LBB0_12:
	s_endpgm
	.section	.rodata,"a",@progbits
	.p2align	6, 0x0
	.amdhsa_kernel _Z15PartitionKerneliPi
		.amdhsa_group_segment_fixed_size 0
		.amdhsa_private_segment_fixed_size 0
		.amdhsa_kernarg_size 16
		.amdhsa_user_sgpr_count 6
		.amdhsa_user_sgpr_private_segment_buffer 1
		.amdhsa_user_sgpr_dispatch_ptr 0
		.amdhsa_user_sgpr_queue_ptr 0
		.amdhsa_user_sgpr_kernarg_segment_ptr 1
		.amdhsa_user_sgpr_dispatch_id 0
		.amdhsa_user_sgpr_flat_scratch_init 0
		.amdhsa_user_sgpr_kernarg_preload_length 0
		.amdhsa_user_sgpr_kernarg_preload_offset 0
		.amdhsa_user_sgpr_private_segment_size 0
		.amdhsa_uses_dynamic_stack 0
		.amdhsa_system_sgpr_private_segment_wavefront_offset 0
		.amdhsa_system_sgpr_workgroup_id_x 1
		.amdhsa_system_sgpr_workgroup_id_y 0
		.amdhsa_system_sgpr_workgroup_id_z 0
		.amdhsa_system_sgpr_workgroup_info 0
		.amdhsa_system_vgpr_workitem_id 0
		.amdhsa_next_free_vgpr 3
		.amdhsa_next_free_sgpr 12
		.amdhsa_accum_offset 4
		.amdhsa_reserve_vcc 1
		.amdhsa_reserve_flat_scratch 0
		.amdhsa_float_round_mode_32 0
		.amdhsa_float_round_mode_16_64 0
		.amdhsa_float_denorm_mode_32 3
		.amdhsa_float_denorm_mode_16_64 3
		.amdhsa_dx10_clamp 1
		.amdhsa_ieee_mode 1
		.amdhsa_fp16_overflow 0
		.amdhsa_tg_split 0
		.amdhsa_exception_fp_ieee_invalid_op 0
		.amdhsa_exception_fp_denorm_src 0
		.amdhsa_exception_fp_ieee_div_zero 0
		.amdhsa_exception_fp_ieee_overflow 0
		.amdhsa_exception_fp_ieee_underflow 0
		.amdhsa_exception_fp_ieee_inexact 0
		.amdhsa_exception_int_div_zero 0
	.end_amdhsa_kernel
	.text
.Lfunc_end0:
	.size	_Z15PartitionKerneliPi, .Lfunc_end0-_Z15PartitionKerneliPi
                                        ; -- End function
	.section	.AMDGPU.csdata,"",@progbits
; Kernel info:
; codeLenInByte = 272
; NumSgprs: 16
; NumVgprs: 3
; NumAgprs: 0
; TotalNumVgprs: 3
; ScratchSize: 0
; MemoryBound: 0
; FloatMode: 240
; IeeeMode: 1
; LDSByteSize: 0 bytes/workgroup (compile time only)
; SGPRBlocks: 1
; VGPRBlocks: 0
; NumSGPRsForWavesPerEU: 16
; NumVGPRsForWavesPerEU: 3
; AccumOffset: 4
; Occupancy: 8
; WaveLimiterHint : 0
; COMPUTE_PGM_RSRC2:SCRATCH_EN: 0
; COMPUTE_PGM_RSRC2:USER_SGPR: 6
; COMPUTE_PGM_RSRC2:TRAP_HANDLER: 0
; COMPUTE_PGM_RSRC2:TGID_X_EN: 1
; COMPUTE_PGM_RSRC2:TGID_Y_EN: 0
; COMPUTE_PGM_RSRC2:TGID_Z_EN: 0
; COMPUTE_PGM_RSRC2:TIDIG_COMP_CNT: 0
; COMPUTE_PGM_RSRC3_GFX90A:ACCUM_OFFSET: 0
; COMPUTE_PGM_RSRC3_GFX90A:TG_SPLIT: 0
	.text
	.protected	_Z19PartitionCopyKerneliPiS_S_S_ ; -- Begin function _Z19PartitionCopyKerneliPiS_S_S_
	.globl	_Z19PartitionCopyKerneliPiS_S_S_
	.p2align	8
	.type	_Z19PartitionCopyKerneliPiS_S_S_,@function
_Z19PartitionCopyKerneliPiS_S_S_:       ; @_Z19PartitionCopyKerneliPiS_S_S_
; %bb.0:
	v_cmp_eq_u32_e32 vcc, 0, v0
	s_and_saveexec_b64 s[0:1], vcc
	s_cbranch_execz .LBB1_9
; %bb.1:
	s_load_dword s0, s[4:5], 0x0
	s_load_dwordx8 s[8:15], s[4:5], 0x8
	s_waitcnt lgkmcnt(0)
	s_ashr_i32 s1, s0, 31
	s_lshl_b64 s[20:21], s[0:1], 2
	s_mov_b32 s4, s10
	s_mov_b32 s5, s11
	s_cmp_eq_u64 s[20:21], 0
	s_mov_b32 s6, s12
	s_mov_b32 s7, s13
	s_cbranch_scc1 .LBB1_8
; %bb.2:
	v_mov_b32_e32 v0, 0
	s_mov_b64 s[0:1], s[10:11]
	s_mov_b64 s[2:3], s[12:13]
	s_branch .LBB1_4
.LBB1_3:                                ;   in Loop: Header=BB1_4 Depth=1
	s_add_u32 s8, s8, 4
	s_addc_u32 s9, s9, 0
	s_add_u32 s20, s20, -4
	s_addc_u32 s21, s21, -1
	s_cmp_lg_u64 s[20:21], 0
	s_mov_b64 s[2:3], s[18:19]
	s_cbranch_scc0 .LBB1_8
.LBB1_4:                                ; =>This Inner Loop Header: Depth=1
	global_load_dword v1, v0, s[8:9]
	s_mov_b64 s[22:23], -1
                                        ; implicit-def: $sgpr18_sgpr19
	s_waitcnt vmcnt(0)
	v_readfirstlane_b32 s4, v1
	s_bitcmp1_b32 s4, 0
	s_cselect_b64 s[4:5], -1, 0
	s_and_b64 vcc, exec, s[4:5]
                                        ; implicit-def: $sgpr4_sgpr5_sgpr6_sgpr7
	s_cbranch_vccz .LBB1_6
; %bb.5:                                ;   in Loop: Header=BB1_4 Depth=1
	s_add_u32 s18, s2, 4
	s_mov_b32 s16, s0
	s_mov_b32 s17, s1
	v_pk_mov_b32 v[2:3], s[2:3], s[2:3] op_sel:[0,1]
	s_addc_u32 s19, s3, 0
	s_mov_b64 s[4:5], s[16:17]
	flat_store_dword v[2:3], v1
	s_mov_b64 s[22:23], 0
	s_mov_b64 s[6:7], s[18:19]
.LBB1_6:                                ;   in Loop: Header=BB1_4 Depth=1
	s_andn2_b64 vcc, exec, s[22:23]
	s_cbranch_vccnz .LBB1_3
; %bb.7:                                ;   in Loop: Header=BB1_4 Depth=1
	v_pk_mov_b32 v[2:3], s[0:1], s[0:1] op_sel:[0,1]
	s_add_u32 s0, s0, 4
	s_addc_u32 s1, s1, 0
	s_mov_b64 s[6:7], s[2:3]
	s_mov_b64 s[4:5], s[0:1]
	;; [unrolled: 1-line block ×3, first 2 shown]
	flat_store_dword v[2:3], v1
	s_branch .LBB1_3
.LBB1_8:
	s_sub_u32 s0, s4, s10
	s_subb_u32 s1, s5, s11
	s_sub_u32 s2, s6, s12
	s_subb_u32 s3, s7, s13
	v_mov_b32_e32 v0, s2
	v_alignbit_b32 v1, s3, v0, 2
	v_mov_b32_e32 v0, s0
	v_mov_b32_e32 v2, 0
	v_alignbit_b32 v0, s1, v0, 2
	global_store_dwordx2 v2, v[0:1], s[14:15]
.LBB1_9:
	s_endpgm
	.section	.rodata,"a",@progbits
	.p2align	6, 0x0
	.amdhsa_kernel _Z19PartitionCopyKerneliPiS_S_S_
		.amdhsa_group_segment_fixed_size 0
		.amdhsa_private_segment_fixed_size 0
		.amdhsa_kernarg_size 40
		.amdhsa_user_sgpr_count 6
		.amdhsa_user_sgpr_private_segment_buffer 1
		.amdhsa_user_sgpr_dispatch_ptr 0
		.amdhsa_user_sgpr_queue_ptr 0
		.amdhsa_user_sgpr_kernarg_segment_ptr 1
		.amdhsa_user_sgpr_dispatch_id 0
		.amdhsa_user_sgpr_flat_scratch_init 0
		.amdhsa_user_sgpr_kernarg_preload_length 0
		.amdhsa_user_sgpr_kernarg_preload_offset 0
		.amdhsa_user_sgpr_private_segment_size 0
		.amdhsa_uses_dynamic_stack 0
		.amdhsa_system_sgpr_private_segment_wavefront_offset 0
		.amdhsa_system_sgpr_workgroup_id_x 1
		.amdhsa_system_sgpr_workgroup_id_y 0
		.amdhsa_system_sgpr_workgroup_id_z 0
		.amdhsa_system_sgpr_workgroup_info 0
		.amdhsa_system_vgpr_workitem_id 0
		.amdhsa_next_free_vgpr 4
		.amdhsa_next_free_sgpr 24
		.amdhsa_accum_offset 4
		.amdhsa_reserve_vcc 1
		.amdhsa_reserve_flat_scratch 0
		.amdhsa_float_round_mode_32 0
		.amdhsa_float_round_mode_16_64 0
		.amdhsa_float_denorm_mode_32 3
		.amdhsa_float_denorm_mode_16_64 3
		.amdhsa_dx10_clamp 1
		.amdhsa_ieee_mode 1
		.amdhsa_fp16_overflow 0
		.amdhsa_tg_split 0
		.amdhsa_exception_fp_ieee_invalid_op 0
		.amdhsa_exception_fp_denorm_src 0
		.amdhsa_exception_fp_ieee_div_zero 0
		.amdhsa_exception_fp_ieee_overflow 0
		.amdhsa_exception_fp_ieee_underflow 0
		.amdhsa_exception_fp_ieee_inexact 0
		.amdhsa_exception_int_div_zero 0
	.end_amdhsa_kernel
	.text
.Lfunc_end1:
	.size	_Z19PartitionCopyKerneliPiS_S_S_, .Lfunc_end1-_Z19PartitionCopyKerneliPiS_S_S_
                                        ; -- End function
	.section	.AMDGPU.csdata,"",@progbits
; Kernel info:
; codeLenInByte = 292
; NumSgprs: 28
; NumVgprs: 4
; NumAgprs: 0
; TotalNumVgprs: 4
; ScratchSize: 0
; MemoryBound: 0
; FloatMode: 240
; IeeeMode: 1
; LDSByteSize: 0 bytes/workgroup (compile time only)
; SGPRBlocks: 3
; VGPRBlocks: 0
; NumSGPRsForWavesPerEU: 28
; NumVGPRsForWavesPerEU: 4
; AccumOffset: 4
; Occupancy: 8
; WaveLimiterHint : 0
; COMPUTE_PGM_RSRC2:SCRATCH_EN: 0
; COMPUTE_PGM_RSRC2:USER_SGPR: 6
; COMPUTE_PGM_RSRC2:TRAP_HANDLER: 0
; COMPUTE_PGM_RSRC2:TGID_X_EN: 1
; COMPUTE_PGM_RSRC2:TGID_Y_EN: 0
; COMPUTE_PGM_RSRC2:TGID_Z_EN: 0
; COMPUTE_PGM_RSRC2:TIDIG_COMP_CNT: 0
; COMPUTE_PGM_RSRC3_GFX90A:ACCUM_OFFSET: 0
; COMPUTE_PGM_RSRC3_GFX90A:TG_SPLIT: 0
	.section	.text._ZN6thrust23THRUST_200600_302600_NS11hip_rocprim14__parallel_for6kernelILj256ENS1_20__uninitialized_fill7functorINS0_10device_ptrIxEExEEmLj1EEEvT0_T1_SA_,"axG",@progbits,_ZN6thrust23THRUST_200600_302600_NS11hip_rocprim14__parallel_for6kernelILj256ENS1_20__uninitialized_fill7functorINS0_10device_ptrIxEExEEmLj1EEEvT0_T1_SA_,comdat
	.protected	_ZN6thrust23THRUST_200600_302600_NS11hip_rocprim14__parallel_for6kernelILj256ENS1_20__uninitialized_fill7functorINS0_10device_ptrIxEExEEmLj1EEEvT0_T1_SA_ ; -- Begin function _ZN6thrust23THRUST_200600_302600_NS11hip_rocprim14__parallel_for6kernelILj256ENS1_20__uninitialized_fill7functorINS0_10device_ptrIxEExEEmLj1EEEvT0_T1_SA_
	.globl	_ZN6thrust23THRUST_200600_302600_NS11hip_rocprim14__parallel_for6kernelILj256ENS1_20__uninitialized_fill7functorINS0_10device_ptrIxEExEEmLj1EEEvT0_T1_SA_
	.p2align	8
	.type	_ZN6thrust23THRUST_200600_302600_NS11hip_rocprim14__parallel_for6kernelILj256ENS1_20__uninitialized_fill7functorINS0_10device_ptrIxEExEEmLj1EEEvT0_T1_SA_,@function
_ZN6thrust23THRUST_200600_302600_NS11hip_rocprim14__parallel_for6kernelILj256ENS1_20__uninitialized_fill7functorINS0_10device_ptrIxEExEEmLj1EEEvT0_T1_SA_: ; @_ZN6thrust23THRUST_200600_302600_NS11hip_rocprim14__parallel_for6kernelILj256ENS1_20__uninitialized_fill7functorINS0_10device_ptrIxEExEEmLj1EEEvT0_T1_SA_
; %bb.0:
	s_load_dwordx8 s[8:15], s[4:5], 0x0
	s_lshl_b32 s0, s6, 8
	v_mov_b32_e32 v2, 0x100
	v_mov_b32_e32 v3, 0
	s_waitcnt lgkmcnt(0)
	s_add_u32 s0, s0, s14
	s_addc_u32 s1, 0, s15
	s_sub_u32 s2, s12, s0
	s_subb_u32 s3, s13, s1
	v_cmp_lt_u64_e32 vcc, s[2:3], v[2:3]
	s_cbranch_vccz .LBB2_2
; %bb.1:
	v_cmp_gt_u32_e32 vcc, s2, v0
	s_and_b64 s[2:3], vcc, exec
	s_cbranch_execz .LBB2_3
	s_branch .LBB2_4
.LBB2_2:
	s_mov_b64 s[2:3], 0
.LBB2_3:
	s_or_b64 s[2:3], s[2:3], exec
.LBB2_4:
	s_and_saveexec_b64 s[4:5], s[2:3]
	s_cbranch_execnz .LBB2_6
; %bb.5:
	s_endpgm
.LBB2_6:
	s_lshl_b64 s[0:1], s[0:1], 3
	v_mov_b32_e32 v1, 0
	s_add_u32 s0, s8, s0
	s_addc_u32 s1, s9, s1
	v_lshlrev_b64 v[0:1], 3, v[0:1]
	v_mov_b32_e32 v4, s1
	v_add_co_u32_e32 v0, vcc, s0, v0
	v_mov_b32_e32 v2, s10
	v_mov_b32_e32 v3, s11
	v_addc_co_u32_e32 v1, vcc, v4, v1, vcc
	flat_store_dwordx2 v[0:1], v[2:3]
	s_endpgm
	.section	.rodata,"a",@progbits
	.p2align	6, 0x0
	.amdhsa_kernel _ZN6thrust23THRUST_200600_302600_NS11hip_rocprim14__parallel_for6kernelILj256ENS1_20__uninitialized_fill7functorINS0_10device_ptrIxEExEEmLj1EEEvT0_T1_SA_
		.amdhsa_group_segment_fixed_size 0
		.amdhsa_private_segment_fixed_size 0
		.amdhsa_kernarg_size 32
		.amdhsa_user_sgpr_count 6
		.amdhsa_user_sgpr_private_segment_buffer 1
		.amdhsa_user_sgpr_dispatch_ptr 0
		.amdhsa_user_sgpr_queue_ptr 0
		.amdhsa_user_sgpr_kernarg_segment_ptr 1
		.amdhsa_user_sgpr_dispatch_id 0
		.amdhsa_user_sgpr_flat_scratch_init 0
		.amdhsa_user_sgpr_kernarg_preload_length 0
		.amdhsa_user_sgpr_kernarg_preload_offset 0
		.amdhsa_user_sgpr_private_segment_size 0
		.amdhsa_uses_dynamic_stack 0
		.amdhsa_system_sgpr_private_segment_wavefront_offset 0
		.amdhsa_system_sgpr_workgroup_id_x 1
		.amdhsa_system_sgpr_workgroup_id_y 0
		.amdhsa_system_sgpr_workgroup_id_z 0
		.amdhsa_system_sgpr_workgroup_info 0
		.amdhsa_system_vgpr_workitem_id 0
		.amdhsa_next_free_vgpr 5
		.amdhsa_next_free_sgpr 16
		.amdhsa_accum_offset 8
		.amdhsa_reserve_vcc 1
		.amdhsa_reserve_flat_scratch 0
		.amdhsa_float_round_mode_32 0
		.amdhsa_float_round_mode_16_64 0
		.amdhsa_float_denorm_mode_32 3
		.amdhsa_float_denorm_mode_16_64 3
		.amdhsa_dx10_clamp 1
		.amdhsa_ieee_mode 1
		.amdhsa_fp16_overflow 0
		.amdhsa_tg_split 0
		.amdhsa_exception_fp_ieee_invalid_op 0
		.amdhsa_exception_fp_denorm_src 0
		.amdhsa_exception_fp_ieee_div_zero 0
		.amdhsa_exception_fp_ieee_overflow 0
		.amdhsa_exception_fp_ieee_underflow 0
		.amdhsa_exception_fp_ieee_inexact 0
		.amdhsa_exception_int_div_zero 0
	.end_amdhsa_kernel
	.section	.text._ZN6thrust23THRUST_200600_302600_NS11hip_rocprim14__parallel_for6kernelILj256ENS1_20__uninitialized_fill7functorINS0_10device_ptrIxEExEEmLj1EEEvT0_T1_SA_,"axG",@progbits,_ZN6thrust23THRUST_200600_302600_NS11hip_rocprim14__parallel_for6kernelILj256ENS1_20__uninitialized_fill7functorINS0_10device_ptrIxEExEEmLj1EEEvT0_T1_SA_,comdat
.Lfunc_end2:
	.size	_ZN6thrust23THRUST_200600_302600_NS11hip_rocprim14__parallel_for6kernelILj256ENS1_20__uninitialized_fill7functorINS0_10device_ptrIxEExEEmLj1EEEvT0_T1_SA_, .Lfunc_end2-_ZN6thrust23THRUST_200600_302600_NS11hip_rocprim14__parallel_for6kernelILj256ENS1_20__uninitialized_fill7functorINS0_10device_ptrIxEExEEmLj1EEEvT0_T1_SA_
                                        ; -- End function
	.section	.AMDGPU.csdata,"",@progbits
; Kernel info:
; codeLenInByte = 144
; NumSgprs: 20
; NumVgprs: 5
; NumAgprs: 0
; TotalNumVgprs: 5
; ScratchSize: 0
; MemoryBound: 0
; FloatMode: 240
; IeeeMode: 1
; LDSByteSize: 0 bytes/workgroup (compile time only)
; SGPRBlocks: 2
; VGPRBlocks: 0
; NumSGPRsForWavesPerEU: 20
; NumVGPRsForWavesPerEU: 5
; AccumOffset: 8
; Occupancy: 8
; WaveLimiterHint : 0
; COMPUTE_PGM_RSRC2:SCRATCH_EN: 0
; COMPUTE_PGM_RSRC2:USER_SGPR: 6
; COMPUTE_PGM_RSRC2:TRAP_HANDLER: 0
; COMPUTE_PGM_RSRC2:TGID_X_EN: 1
; COMPUTE_PGM_RSRC2:TGID_Y_EN: 0
; COMPUTE_PGM_RSRC2:TGID_Z_EN: 0
; COMPUTE_PGM_RSRC2:TIDIG_COMP_CNT: 0
; COMPUTE_PGM_RSRC3_GFX90A:ACCUM_OFFSET: 1
; COMPUTE_PGM_RSRC3_GFX90A:TG_SPLIT: 0
	.section	.text._ZN6thrust23THRUST_200600_302600_NS11hip_rocprim14__parallel_for6kernelILj256ENS1_20__uninitialized_copy7functorINS0_6detail15normal_iteratorINS0_10device_ptrIxEEEENS7_INS0_7pointerIxNS1_3tagENS0_11use_defaultESD_EEEEEElLj1EEEvT0_T1_SI_,"axG",@progbits,_ZN6thrust23THRUST_200600_302600_NS11hip_rocprim14__parallel_for6kernelILj256ENS1_20__uninitialized_copy7functorINS0_6detail15normal_iteratorINS0_10device_ptrIxEEEENS7_INS0_7pointerIxNS1_3tagENS0_11use_defaultESD_EEEEEElLj1EEEvT0_T1_SI_,comdat
	.protected	_ZN6thrust23THRUST_200600_302600_NS11hip_rocprim14__parallel_for6kernelILj256ENS1_20__uninitialized_copy7functorINS0_6detail15normal_iteratorINS0_10device_ptrIxEEEENS7_INS0_7pointerIxNS1_3tagENS0_11use_defaultESD_EEEEEElLj1EEEvT0_T1_SI_ ; -- Begin function _ZN6thrust23THRUST_200600_302600_NS11hip_rocprim14__parallel_for6kernelILj256ENS1_20__uninitialized_copy7functorINS0_6detail15normal_iteratorINS0_10device_ptrIxEEEENS7_INS0_7pointerIxNS1_3tagENS0_11use_defaultESD_EEEEEElLj1EEEvT0_T1_SI_
	.globl	_ZN6thrust23THRUST_200600_302600_NS11hip_rocprim14__parallel_for6kernelILj256ENS1_20__uninitialized_copy7functorINS0_6detail15normal_iteratorINS0_10device_ptrIxEEEENS7_INS0_7pointerIxNS1_3tagENS0_11use_defaultESD_EEEEEElLj1EEEvT0_T1_SI_
	.p2align	8
	.type	_ZN6thrust23THRUST_200600_302600_NS11hip_rocprim14__parallel_for6kernelILj256ENS1_20__uninitialized_copy7functorINS0_6detail15normal_iteratorINS0_10device_ptrIxEEEENS7_INS0_7pointerIxNS1_3tagENS0_11use_defaultESD_EEEEEElLj1EEEvT0_T1_SI_,@function
_ZN6thrust23THRUST_200600_302600_NS11hip_rocprim14__parallel_for6kernelILj256ENS1_20__uninitialized_copy7functorINS0_6detail15normal_iteratorINS0_10device_ptrIxEEEENS7_INS0_7pointerIxNS1_3tagENS0_11use_defaultESD_EEEEEElLj1EEEvT0_T1_SI_: ; @_ZN6thrust23THRUST_200600_302600_NS11hip_rocprim14__parallel_for6kernelILj256ENS1_20__uninitialized_copy7functorINS0_6detail15normal_iteratorINS0_10device_ptrIxEEEENS7_INS0_7pointerIxNS1_3tagENS0_11use_defaultESD_EEEEEElLj1EEEvT0_T1_SI_
; %bb.0:
	s_load_dwordx8 s[8:15], s[4:5], 0x0
	s_lshl_b32 s0, s6, 8
	v_mov_b32_e32 v2, 0x100
	v_mov_b32_e32 v3, 0
	s_waitcnt lgkmcnt(0)
	s_add_u32 s6, s0, s14
	s_addc_u32 s7, 0, s15
	s_sub_u32 s0, s12, s6
	s_subb_u32 s1, s13, s7
	v_cmp_lt_i64_e32 vcc, s[0:1], v[2:3]
	s_and_b64 s[2:3], vcc, exec
	s_cselect_b32 s0, s0, 0x100
	s_cmpk_lg_i32 s0, 0x100
	s_cbranch_scc0 .LBB3_4
; %bb.1:
	v_cmp_gt_u32_e32 vcc, s0, v0
	s_mov_b64 s[2:3], 0
	s_mov_b64 s[0:1], 0
                                        ; implicit-def: $vgpr2_vgpr3
                                        ; implicit-def: $vgpr4_vgpr5
	s_and_saveexec_b64 s[4:5], vcc
	s_xor_b64 s[4:5], exec, s[4:5]
; %bb.2:
	v_mov_b32_e32 v1, s7
	v_add_co_u32_e32 v2, vcc, s6, v0
	v_addc_co_u32_e32 v3, vcc, 0, v1, vcc
	v_lshlrev_b64 v[4:5], 3, v[2:3]
	v_mov_b32_e32 v1, s11
	v_add_co_u32_e32 v2, vcc, s10, v4
	v_addc_co_u32_e32 v3, vcc, v1, v5, vcc
	v_mov_b32_e32 v1, s9
	v_add_co_u32_e32 v4, vcc, s8, v4
	s_mov_b64 s[0:1], exec
	v_addc_co_u32_e32 v5, vcc, v1, v5, vcc
; %bb.3:
	s_or_b64 exec, exec, s[4:5]
	s_and_b64 vcc, exec, s[2:3]
	s_cbranch_vccnz .LBB3_5
	s_branch .LBB3_6
.LBB3_4:
	s_mov_b64 s[0:1], 0
                                        ; implicit-def: $vgpr2_vgpr3
                                        ; implicit-def: $vgpr4_vgpr5
	s_cbranch_execz .LBB3_6
.LBB3_5:
	v_mov_b32_e32 v1, s7
	v_add_co_u32_e32 v0, vcc, s6, v0
	v_addc_co_u32_e32 v1, vcc, 0, v1, vcc
	v_lshlrev_b64 v[0:1], 3, v[0:1]
	v_mov_b32_e32 v2, s9
	v_add_co_u32_e32 v4, vcc, s8, v0
	v_addc_co_u32_e32 v5, vcc, v2, v1, vcc
	v_mov_b32_e32 v3, s11
	v_add_co_u32_e32 v2, vcc, s10, v0
	v_addc_co_u32_e32 v3, vcc, v3, v1, vcc
	s_or_b64 s[0:1], s[0:1], exec
.LBB3_6:
	s_and_saveexec_b64 s[2:3], s[0:1]
	s_cbranch_execnz .LBB3_8
; %bb.7:
	s_endpgm
.LBB3_8:
	flat_load_dwordx2 v[0:1], v[4:5]
	s_waitcnt vmcnt(0) lgkmcnt(0)
	flat_store_dwordx2 v[2:3], v[0:1]
	s_endpgm
	.section	.rodata,"a",@progbits
	.p2align	6, 0x0
	.amdhsa_kernel _ZN6thrust23THRUST_200600_302600_NS11hip_rocprim14__parallel_for6kernelILj256ENS1_20__uninitialized_copy7functorINS0_6detail15normal_iteratorINS0_10device_ptrIxEEEENS7_INS0_7pointerIxNS1_3tagENS0_11use_defaultESD_EEEEEElLj1EEEvT0_T1_SI_
		.amdhsa_group_segment_fixed_size 0
		.amdhsa_private_segment_fixed_size 0
		.amdhsa_kernarg_size 32
		.amdhsa_user_sgpr_count 6
		.amdhsa_user_sgpr_private_segment_buffer 1
		.amdhsa_user_sgpr_dispatch_ptr 0
		.amdhsa_user_sgpr_queue_ptr 0
		.amdhsa_user_sgpr_kernarg_segment_ptr 1
		.amdhsa_user_sgpr_dispatch_id 0
		.amdhsa_user_sgpr_flat_scratch_init 0
		.amdhsa_user_sgpr_kernarg_preload_length 0
		.amdhsa_user_sgpr_kernarg_preload_offset 0
		.amdhsa_user_sgpr_private_segment_size 0
		.amdhsa_uses_dynamic_stack 0
		.amdhsa_system_sgpr_private_segment_wavefront_offset 0
		.amdhsa_system_sgpr_workgroup_id_x 1
		.amdhsa_system_sgpr_workgroup_id_y 0
		.amdhsa_system_sgpr_workgroup_id_z 0
		.amdhsa_system_sgpr_workgroup_info 0
		.amdhsa_system_vgpr_workitem_id 0
		.amdhsa_next_free_vgpr 6
		.amdhsa_next_free_sgpr 16
		.amdhsa_accum_offset 8
		.amdhsa_reserve_vcc 1
		.amdhsa_reserve_flat_scratch 0
		.amdhsa_float_round_mode_32 0
		.amdhsa_float_round_mode_16_64 0
		.amdhsa_float_denorm_mode_32 3
		.amdhsa_float_denorm_mode_16_64 3
		.amdhsa_dx10_clamp 1
		.amdhsa_ieee_mode 1
		.amdhsa_fp16_overflow 0
		.amdhsa_tg_split 0
		.amdhsa_exception_fp_ieee_invalid_op 0
		.amdhsa_exception_fp_denorm_src 0
		.amdhsa_exception_fp_ieee_div_zero 0
		.amdhsa_exception_fp_ieee_overflow 0
		.amdhsa_exception_fp_ieee_underflow 0
		.amdhsa_exception_fp_ieee_inexact 0
		.amdhsa_exception_int_div_zero 0
	.end_amdhsa_kernel
	.section	.text._ZN6thrust23THRUST_200600_302600_NS11hip_rocprim14__parallel_for6kernelILj256ENS1_20__uninitialized_copy7functorINS0_6detail15normal_iteratorINS0_10device_ptrIxEEEENS7_INS0_7pointerIxNS1_3tagENS0_11use_defaultESD_EEEEEElLj1EEEvT0_T1_SI_,"axG",@progbits,_ZN6thrust23THRUST_200600_302600_NS11hip_rocprim14__parallel_for6kernelILj256ENS1_20__uninitialized_copy7functorINS0_6detail15normal_iteratorINS0_10device_ptrIxEEEENS7_INS0_7pointerIxNS1_3tagENS0_11use_defaultESD_EEEEEElLj1EEEvT0_T1_SI_,comdat
.Lfunc_end3:
	.size	_ZN6thrust23THRUST_200600_302600_NS11hip_rocprim14__parallel_for6kernelILj256ENS1_20__uninitialized_copy7functorINS0_6detail15normal_iteratorINS0_10device_ptrIxEEEENS7_INS0_7pointerIxNS1_3tagENS0_11use_defaultESD_EEEEEElLj1EEEvT0_T1_SI_, .Lfunc_end3-_ZN6thrust23THRUST_200600_302600_NS11hip_rocprim14__parallel_for6kernelILj256ENS1_20__uninitialized_copy7functorINS0_6detail15normal_iteratorINS0_10device_ptrIxEEEENS7_INS0_7pointerIxNS1_3tagENS0_11use_defaultESD_EEEEEElLj1EEEvT0_T1_SI_
                                        ; -- End function
	.section	.AMDGPU.csdata,"",@progbits
; Kernel info:
; codeLenInByte = 244
; NumSgprs: 20
; NumVgprs: 6
; NumAgprs: 0
; TotalNumVgprs: 6
; ScratchSize: 0
; MemoryBound: 1
; FloatMode: 240
; IeeeMode: 1
; LDSByteSize: 0 bytes/workgroup (compile time only)
; SGPRBlocks: 2
; VGPRBlocks: 0
; NumSGPRsForWavesPerEU: 20
; NumVGPRsForWavesPerEU: 6
; AccumOffset: 8
; Occupancy: 8
; WaveLimiterHint : 0
; COMPUTE_PGM_RSRC2:SCRATCH_EN: 0
; COMPUTE_PGM_RSRC2:USER_SGPR: 6
; COMPUTE_PGM_RSRC2:TRAP_HANDLER: 0
; COMPUTE_PGM_RSRC2:TGID_X_EN: 1
; COMPUTE_PGM_RSRC2:TGID_Y_EN: 0
; COMPUTE_PGM_RSRC2:TGID_Z_EN: 0
; COMPUTE_PGM_RSRC2:TIDIG_COMP_CNT: 0
; COMPUTE_PGM_RSRC3_GFX90A:ACCUM_OFFSET: 1
; COMPUTE_PGM_RSRC3_GFX90A:TG_SPLIT: 0
	.section	.text._ZN7rocprim17ROCPRIM_400000_NS6detail31init_lookback_scan_state_kernelINS1_19lookback_scan_stateIjLb0ELb1EEENS1_16block_id_wrapperIjLb0EEEEEvT_jT0_jPNS7_10value_typeE,"axG",@progbits,_ZN7rocprim17ROCPRIM_400000_NS6detail31init_lookback_scan_state_kernelINS1_19lookback_scan_stateIjLb0ELb1EEENS1_16block_id_wrapperIjLb0EEEEEvT_jT0_jPNS7_10value_typeE,comdat
	.protected	_ZN7rocprim17ROCPRIM_400000_NS6detail31init_lookback_scan_state_kernelINS1_19lookback_scan_stateIjLb0ELb1EEENS1_16block_id_wrapperIjLb0EEEEEvT_jT0_jPNS7_10value_typeE ; -- Begin function _ZN7rocprim17ROCPRIM_400000_NS6detail31init_lookback_scan_state_kernelINS1_19lookback_scan_stateIjLb0ELb1EEENS1_16block_id_wrapperIjLb0EEEEEvT_jT0_jPNS7_10value_typeE
	.globl	_ZN7rocprim17ROCPRIM_400000_NS6detail31init_lookback_scan_state_kernelINS1_19lookback_scan_stateIjLb0ELb1EEENS1_16block_id_wrapperIjLb0EEEEEvT_jT0_jPNS7_10value_typeE
	.p2align	8
	.type	_ZN7rocprim17ROCPRIM_400000_NS6detail31init_lookback_scan_state_kernelINS1_19lookback_scan_stateIjLb0ELb1EEENS1_16block_id_wrapperIjLb0EEEEEvT_jT0_jPNS7_10value_typeE,@function
_ZN7rocprim17ROCPRIM_400000_NS6detail31init_lookback_scan_state_kernelINS1_19lookback_scan_stateIjLb0ELb1EEENS1_16block_id_wrapperIjLb0EEEEEvT_jT0_jPNS7_10value_typeE: ; @_ZN7rocprim17ROCPRIM_400000_NS6detail31init_lookback_scan_state_kernelINS1_19lookback_scan_stateIjLb0ELb1EEENS1_16block_id_wrapperIjLb0EEEEEvT_jT0_jPNS7_10value_typeE
; %bb.0:
	s_load_dword s7, s[4:5], 0x2c
	s_load_dwordx2 s[2:3], s[4:5], 0x18
	s_load_dwordx2 s[0:1], s[4:5], 0x0
	s_load_dword s8, s[4:5], 0x8
	s_waitcnt lgkmcnt(0)
	s_and_b32 s7, s7, 0xffff
	s_mul_i32 s6, s6, s7
	s_cmp_eq_u64 s[2:3], 0
	v_add_u32_e32 v0, s6, v0
	s_cbranch_scc1 .LBB4_6
; %bb.1:
	s_load_dword s6, s[4:5], 0x10
	s_mov_b32 s7, 0
	s_waitcnt lgkmcnt(0)
	s_cmp_lt_u32 s6, s8
	s_cselect_b32 s4, s6, 0
	v_cmp_eq_u32_e32 vcc, s4, v0
	s_and_saveexec_b64 s[4:5], vcc
	s_cbranch_execz .LBB4_5
; %bb.2:
	s_add_i32 s6, s6, 64
	s_lshl_b64 s[6:7], s[6:7], 3
	s_add_u32 s6, s0, s6
	s_addc_u32 s7, s1, s7
	v_mov_b32_e32 v4, 0
	global_load_dwordx2 v[2:3], v4, s[6:7] glc
	s_waitcnt vmcnt(0)
	v_and_b32_e32 v5, 0xff, v3
	v_cmp_ne_u64_e32 vcc, 0, v[4:5]
	s_cbranch_vccnz .LBB4_4
.LBB4_3:                                ; =>This Inner Loop Header: Depth=1
	global_load_dwordx2 v[2:3], v4, s[6:7] glc
	s_waitcnt vmcnt(0)
	v_and_b32_e32 v5, 0xff, v3
	v_cmp_eq_u64_e32 vcc, 0, v[4:5]
	s_cbranch_vccnz .LBB4_3
.LBB4_4:
	v_mov_b32_e32 v1, 0
	global_store_dword v1, v2, s[2:3]
.LBB4_5:
	s_or_b64 exec, exec, s[4:5]
.LBB4_6:
	v_cmp_gt_u32_e32 vcc, s8, v0
	s_and_saveexec_b64 s[2:3], vcc
	s_cbranch_execnz .LBB4_9
; %bb.7:
	s_or_b64 exec, exec, s[2:3]
	v_cmp_gt_u32_e32 vcc, 64, v0
	s_and_saveexec_b64 s[2:3], vcc
	s_cbranch_execnz .LBB4_10
.LBB4_8:
	s_endpgm
.LBB4_9:
	v_add_u32_e32 v2, 64, v0
	v_mov_b32_e32 v3, 0
	v_lshlrev_b64 v[4:5], 3, v[2:3]
	v_mov_b32_e32 v1, s1
	v_add_co_u32_e32 v4, vcc, s0, v4
	v_addc_co_u32_e32 v5, vcc, v1, v5, vcc
	v_mov_b32_e32 v2, v3
	global_store_dwordx2 v[4:5], v[2:3], off
	s_or_b64 exec, exec, s[2:3]
	v_cmp_gt_u32_e32 vcc, 64, v0
	s_and_saveexec_b64 s[2:3], vcc
	s_cbranch_execz .LBB4_8
.LBB4_10:
	v_mov_b32_e32 v1, 0
	v_lshlrev_b64 v[2:3], 3, v[0:1]
	v_mov_b32_e32 v0, s1
	v_add_co_u32_e32 v2, vcc, s0, v2
	v_addc_co_u32_e32 v3, vcc, v0, v3, vcc
	v_mov_b32_e32 v5, 0xff
	v_mov_b32_e32 v4, v1
	global_store_dwordx2 v[2:3], v[4:5], off
	s_endpgm
	.section	.rodata,"a",@progbits
	.p2align	6, 0x0
	.amdhsa_kernel _ZN7rocprim17ROCPRIM_400000_NS6detail31init_lookback_scan_state_kernelINS1_19lookback_scan_stateIjLb0ELb1EEENS1_16block_id_wrapperIjLb0EEEEEvT_jT0_jPNS7_10value_typeE
		.amdhsa_group_segment_fixed_size 0
		.amdhsa_private_segment_fixed_size 0
		.amdhsa_kernarg_size 288
		.amdhsa_user_sgpr_count 6
		.amdhsa_user_sgpr_private_segment_buffer 1
		.amdhsa_user_sgpr_dispatch_ptr 0
		.amdhsa_user_sgpr_queue_ptr 0
		.amdhsa_user_sgpr_kernarg_segment_ptr 1
		.amdhsa_user_sgpr_dispatch_id 0
		.amdhsa_user_sgpr_flat_scratch_init 0
		.amdhsa_user_sgpr_kernarg_preload_length 0
		.amdhsa_user_sgpr_kernarg_preload_offset 0
		.amdhsa_user_sgpr_private_segment_size 0
		.amdhsa_uses_dynamic_stack 0
		.amdhsa_system_sgpr_private_segment_wavefront_offset 0
		.amdhsa_system_sgpr_workgroup_id_x 1
		.amdhsa_system_sgpr_workgroup_id_y 0
		.amdhsa_system_sgpr_workgroup_id_z 0
		.amdhsa_system_sgpr_workgroup_info 0
		.amdhsa_system_vgpr_workitem_id 0
		.amdhsa_next_free_vgpr 6
		.amdhsa_next_free_sgpr 9
		.amdhsa_accum_offset 8
		.amdhsa_reserve_vcc 1
		.amdhsa_reserve_flat_scratch 0
		.amdhsa_float_round_mode_32 0
		.amdhsa_float_round_mode_16_64 0
		.amdhsa_float_denorm_mode_32 3
		.amdhsa_float_denorm_mode_16_64 3
		.amdhsa_dx10_clamp 1
		.amdhsa_ieee_mode 1
		.amdhsa_fp16_overflow 0
		.amdhsa_tg_split 0
		.amdhsa_exception_fp_ieee_invalid_op 0
		.amdhsa_exception_fp_denorm_src 0
		.amdhsa_exception_fp_ieee_div_zero 0
		.amdhsa_exception_fp_ieee_overflow 0
		.amdhsa_exception_fp_ieee_underflow 0
		.amdhsa_exception_fp_ieee_inexact 0
		.amdhsa_exception_int_div_zero 0
	.end_amdhsa_kernel
	.section	.text._ZN7rocprim17ROCPRIM_400000_NS6detail31init_lookback_scan_state_kernelINS1_19lookback_scan_stateIjLb0ELb1EEENS1_16block_id_wrapperIjLb0EEEEEvT_jT0_jPNS7_10value_typeE,"axG",@progbits,_ZN7rocprim17ROCPRIM_400000_NS6detail31init_lookback_scan_state_kernelINS1_19lookback_scan_stateIjLb0ELb1EEENS1_16block_id_wrapperIjLb0EEEEEvT_jT0_jPNS7_10value_typeE,comdat
.Lfunc_end4:
	.size	_ZN7rocprim17ROCPRIM_400000_NS6detail31init_lookback_scan_state_kernelINS1_19lookback_scan_stateIjLb0ELb1EEENS1_16block_id_wrapperIjLb0EEEEEvT_jT0_jPNS7_10value_typeE, .Lfunc_end4-_ZN7rocprim17ROCPRIM_400000_NS6detail31init_lookback_scan_state_kernelINS1_19lookback_scan_stateIjLb0ELb1EEENS1_16block_id_wrapperIjLb0EEEEEvT_jT0_jPNS7_10value_typeE
                                        ; -- End function
	.section	.AMDGPU.csdata,"",@progbits
; Kernel info:
; codeLenInByte = 324
; NumSgprs: 13
; NumVgprs: 6
; NumAgprs: 0
; TotalNumVgprs: 6
; ScratchSize: 0
; MemoryBound: 0
; FloatMode: 240
; IeeeMode: 1
; LDSByteSize: 0 bytes/workgroup (compile time only)
; SGPRBlocks: 1
; VGPRBlocks: 0
; NumSGPRsForWavesPerEU: 13
; NumVGPRsForWavesPerEU: 6
; AccumOffset: 8
; Occupancy: 8
; WaveLimiterHint : 0
; COMPUTE_PGM_RSRC2:SCRATCH_EN: 0
; COMPUTE_PGM_RSRC2:USER_SGPR: 6
; COMPUTE_PGM_RSRC2:TRAP_HANDLER: 0
; COMPUTE_PGM_RSRC2:TGID_X_EN: 1
; COMPUTE_PGM_RSRC2:TGID_Y_EN: 0
; COMPUTE_PGM_RSRC2:TGID_Z_EN: 0
; COMPUTE_PGM_RSRC2:TIDIG_COMP_CNT: 0
; COMPUTE_PGM_RSRC3_GFX90A:ACCUM_OFFSET: 1
; COMPUTE_PGM_RSRC3_GFX90A:TG_SPLIT: 0
	.section	.text._ZN7rocprim17ROCPRIM_400000_NS6detail17trampoline_kernelINS0_14default_configENS1_25partition_config_selectorILNS1_17partition_subalgoE3ExNS0_10empty_typeEbEEZZNS1_14partition_implILS5_3ELb0ES3_jN6thrust23THRUST_200600_302600_NS6detail15normal_iteratorINSA_7pointerIxNSA_11hip_rocprim3tagENSA_11use_defaultESG_EEEEPS6_SJ_NS0_5tupleIJPxSJ_EEENSK_IJSJ_SJ_EEES6_PlJ7is_evenIxEEEE10hipError_tPvRmT3_T4_T5_T6_T7_T9_mT8_P12ihipStream_tbDpT10_ENKUlT_T0_E_clISt17integral_constantIbLb0EES1A_EEDaS15_S16_EUlS15_E_NS1_11comp_targetILNS1_3genE0ELNS1_11target_archE4294967295ELNS1_3gpuE0ELNS1_3repE0EEENS1_30default_config_static_selectorELNS0_4arch9wavefront6targetE1EEEvT1_,"axG",@progbits,_ZN7rocprim17ROCPRIM_400000_NS6detail17trampoline_kernelINS0_14default_configENS1_25partition_config_selectorILNS1_17partition_subalgoE3ExNS0_10empty_typeEbEEZZNS1_14partition_implILS5_3ELb0ES3_jN6thrust23THRUST_200600_302600_NS6detail15normal_iteratorINSA_7pointerIxNSA_11hip_rocprim3tagENSA_11use_defaultESG_EEEEPS6_SJ_NS0_5tupleIJPxSJ_EEENSK_IJSJ_SJ_EEES6_PlJ7is_evenIxEEEE10hipError_tPvRmT3_T4_T5_T6_T7_T9_mT8_P12ihipStream_tbDpT10_ENKUlT_T0_E_clISt17integral_constantIbLb0EES1A_EEDaS15_S16_EUlS15_E_NS1_11comp_targetILNS1_3genE0ELNS1_11target_archE4294967295ELNS1_3gpuE0ELNS1_3repE0EEENS1_30default_config_static_selectorELNS0_4arch9wavefront6targetE1EEEvT1_,comdat
	.protected	_ZN7rocprim17ROCPRIM_400000_NS6detail17trampoline_kernelINS0_14default_configENS1_25partition_config_selectorILNS1_17partition_subalgoE3ExNS0_10empty_typeEbEEZZNS1_14partition_implILS5_3ELb0ES3_jN6thrust23THRUST_200600_302600_NS6detail15normal_iteratorINSA_7pointerIxNSA_11hip_rocprim3tagENSA_11use_defaultESG_EEEEPS6_SJ_NS0_5tupleIJPxSJ_EEENSK_IJSJ_SJ_EEES6_PlJ7is_evenIxEEEE10hipError_tPvRmT3_T4_T5_T6_T7_T9_mT8_P12ihipStream_tbDpT10_ENKUlT_T0_E_clISt17integral_constantIbLb0EES1A_EEDaS15_S16_EUlS15_E_NS1_11comp_targetILNS1_3genE0ELNS1_11target_archE4294967295ELNS1_3gpuE0ELNS1_3repE0EEENS1_30default_config_static_selectorELNS0_4arch9wavefront6targetE1EEEvT1_ ; -- Begin function _ZN7rocprim17ROCPRIM_400000_NS6detail17trampoline_kernelINS0_14default_configENS1_25partition_config_selectorILNS1_17partition_subalgoE3ExNS0_10empty_typeEbEEZZNS1_14partition_implILS5_3ELb0ES3_jN6thrust23THRUST_200600_302600_NS6detail15normal_iteratorINSA_7pointerIxNSA_11hip_rocprim3tagENSA_11use_defaultESG_EEEEPS6_SJ_NS0_5tupleIJPxSJ_EEENSK_IJSJ_SJ_EEES6_PlJ7is_evenIxEEEE10hipError_tPvRmT3_T4_T5_T6_T7_T9_mT8_P12ihipStream_tbDpT10_ENKUlT_T0_E_clISt17integral_constantIbLb0EES1A_EEDaS15_S16_EUlS15_E_NS1_11comp_targetILNS1_3genE0ELNS1_11target_archE4294967295ELNS1_3gpuE0ELNS1_3repE0EEENS1_30default_config_static_selectorELNS0_4arch9wavefront6targetE1EEEvT1_
	.globl	_ZN7rocprim17ROCPRIM_400000_NS6detail17trampoline_kernelINS0_14default_configENS1_25partition_config_selectorILNS1_17partition_subalgoE3ExNS0_10empty_typeEbEEZZNS1_14partition_implILS5_3ELb0ES3_jN6thrust23THRUST_200600_302600_NS6detail15normal_iteratorINSA_7pointerIxNSA_11hip_rocprim3tagENSA_11use_defaultESG_EEEEPS6_SJ_NS0_5tupleIJPxSJ_EEENSK_IJSJ_SJ_EEES6_PlJ7is_evenIxEEEE10hipError_tPvRmT3_T4_T5_T6_T7_T9_mT8_P12ihipStream_tbDpT10_ENKUlT_T0_E_clISt17integral_constantIbLb0EES1A_EEDaS15_S16_EUlS15_E_NS1_11comp_targetILNS1_3genE0ELNS1_11target_archE4294967295ELNS1_3gpuE0ELNS1_3repE0EEENS1_30default_config_static_selectorELNS0_4arch9wavefront6targetE1EEEvT1_
	.p2align	8
	.type	_ZN7rocprim17ROCPRIM_400000_NS6detail17trampoline_kernelINS0_14default_configENS1_25partition_config_selectorILNS1_17partition_subalgoE3ExNS0_10empty_typeEbEEZZNS1_14partition_implILS5_3ELb0ES3_jN6thrust23THRUST_200600_302600_NS6detail15normal_iteratorINSA_7pointerIxNSA_11hip_rocprim3tagENSA_11use_defaultESG_EEEEPS6_SJ_NS0_5tupleIJPxSJ_EEENSK_IJSJ_SJ_EEES6_PlJ7is_evenIxEEEE10hipError_tPvRmT3_T4_T5_T6_T7_T9_mT8_P12ihipStream_tbDpT10_ENKUlT_T0_E_clISt17integral_constantIbLb0EES1A_EEDaS15_S16_EUlS15_E_NS1_11comp_targetILNS1_3genE0ELNS1_11target_archE4294967295ELNS1_3gpuE0ELNS1_3repE0EEENS1_30default_config_static_selectorELNS0_4arch9wavefront6targetE1EEEvT1_,@function
_ZN7rocprim17ROCPRIM_400000_NS6detail17trampoline_kernelINS0_14default_configENS1_25partition_config_selectorILNS1_17partition_subalgoE3ExNS0_10empty_typeEbEEZZNS1_14partition_implILS5_3ELb0ES3_jN6thrust23THRUST_200600_302600_NS6detail15normal_iteratorINSA_7pointerIxNSA_11hip_rocprim3tagENSA_11use_defaultESG_EEEEPS6_SJ_NS0_5tupleIJPxSJ_EEENSK_IJSJ_SJ_EEES6_PlJ7is_evenIxEEEE10hipError_tPvRmT3_T4_T5_T6_T7_T9_mT8_P12ihipStream_tbDpT10_ENKUlT_T0_E_clISt17integral_constantIbLb0EES1A_EEDaS15_S16_EUlS15_E_NS1_11comp_targetILNS1_3genE0ELNS1_11target_archE4294967295ELNS1_3gpuE0ELNS1_3repE0EEENS1_30default_config_static_selectorELNS0_4arch9wavefront6targetE1EEEvT1_: ; @_ZN7rocprim17ROCPRIM_400000_NS6detail17trampoline_kernelINS0_14default_configENS1_25partition_config_selectorILNS1_17partition_subalgoE3ExNS0_10empty_typeEbEEZZNS1_14partition_implILS5_3ELb0ES3_jN6thrust23THRUST_200600_302600_NS6detail15normal_iteratorINSA_7pointerIxNSA_11hip_rocprim3tagENSA_11use_defaultESG_EEEEPS6_SJ_NS0_5tupleIJPxSJ_EEENSK_IJSJ_SJ_EEES6_PlJ7is_evenIxEEEE10hipError_tPvRmT3_T4_T5_T6_T7_T9_mT8_P12ihipStream_tbDpT10_ENKUlT_T0_E_clISt17integral_constantIbLb0EES1A_EEDaS15_S16_EUlS15_E_NS1_11comp_targetILNS1_3genE0ELNS1_11target_archE4294967295ELNS1_3gpuE0ELNS1_3repE0EEENS1_30default_config_static_selectorELNS0_4arch9wavefront6targetE1EEEvT1_
; %bb.0:
	.section	.rodata,"a",@progbits
	.p2align	6, 0x0
	.amdhsa_kernel _ZN7rocprim17ROCPRIM_400000_NS6detail17trampoline_kernelINS0_14default_configENS1_25partition_config_selectorILNS1_17partition_subalgoE3ExNS0_10empty_typeEbEEZZNS1_14partition_implILS5_3ELb0ES3_jN6thrust23THRUST_200600_302600_NS6detail15normal_iteratorINSA_7pointerIxNSA_11hip_rocprim3tagENSA_11use_defaultESG_EEEEPS6_SJ_NS0_5tupleIJPxSJ_EEENSK_IJSJ_SJ_EEES6_PlJ7is_evenIxEEEE10hipError_tPvRmT3_T4_T5_T6_T7_T9_mT8_P12ihipStream_tbDpT10_ENKUlT_T0_E_clISt17integral_constantIbLb0EES1A_EEDaS15_S16_EUlS15_E_NS1_11comp_targetILNS1_3genE0ELNS1_11target_archE4294967295ELNS1_3gpuE0ELNS1_3repE0EEENS1_30default_config_static_selectorELNS0_4arch9wavefront6targetE1EEEvT1_
		.amdhsa_group_segment_fixed_size 0
		.amdhsa_private_segment_fixed_size 0
		.amdhsa_kernarg_size 120
		.amdhsa_user_sgpr_count 6
		.amdhsa_user_sgpr_private_segment_buffer 1
		.amdhsa_user_sgpr_dispatch_ptr 0
		.amdhsa_user_sgpr_queue_ptr 0
		.amdhsa_user_sgpr_kernarg_segment_ptr 1
		.amdhsa_user_sgpr_dispatch_id 0
		.amdhsa_user_sgpr_flat_scratch_init 0
		.amdhsa_user_sgpr_kernarg_preload_length 0
		.amdhsa_user_sgpr_kernarg_preload_offset 0
		.amdhsa_user_sgpr_private_segment_size 0
		.amdhsa_uses_dynamic_stack 0
		.amdhsa_system_sgpr_private_segment_wavefront_offset 0
		.amdhsa_system_sgpr_workgroup_id_x 1
		.amdhsa_system_sgpr_workgroup_id_y 0
		.amdhsa_system_sgpr_workgroup_id_z 0
		.amdhsa_system_sgpr_workgroup_info 0
		.amdhsa_system_vgpr_workitem_id 0
		.amdhsa_next_free_vgpr 1
		.amdhsa_next_free_sgpr 0
		.amdhsa_accum_offset 4
		.amdhsa_reserve_vcc 0
		.amdhsa_reserve_flat_scratch 0
		.amdhsa_float_round_mode_32 0
		.amdhsa_float_round_mode_16_64 0
		.amdhsa_float_denorm_mode_32 3
		.amdhsa_float_denorm_mode_16_64 3
		.amdhsa_dx10_clamp 1
		.amdhsa_ieee_mode 1
		.amdhsa_fp16_overflow 0
		.amdhsa_tg_split 0
		.amdhsa_exception_fp_ieee_invalid_op 0
		.amdhsa_exception_fp_denorm_src 0
		.amdhsa_exception_fp_ieee_div_zero 0
		.amdhsa_exception_fp_ieee_overflow 0
		.amdhsa_exception_fp_ieee_underflow 0
		.amdhsa_exception_fp_ieee_inexact 0
		.amdhsa_exception_int_div_zero 0
	.end_amdhsa_kernel
	.section	.text._ZN7rocprim17ROCPRIM_400000_NS6detail17trampoline_kernelINS0_14default_configENS1_25partition_config_selectorILNS1_17partition_subalgoE3ExNS0_10empty_typeEbEEZZNS1_14partition_implILS5_3ELb0ES3_jN6thrust23THRUST_200600_302600_NS6detail15normal_iteratorINSA_7pointerIxNSA_11hip_rocprim3tagENSA_11use_defaultESG_EEEEPS6_SJ_NS0_5tupleIJPxSJ_EEENSK_IJSJ_SJ_EEES6_PlJ7is_evenIxEEEE10hipError_tPvRmT3_T4_T5_T6_T7_T9_mT8_P12ihipStream_tbDpT10_ENKUlT_T0_E_clISt17integral_constantIbLb0EES1A_EEDaS15_S16_EUlS15_E_NS1_11comp_targetILNS1_3genE0ELNS1_11target_archE4294967295ELNS1_3gpuE0ELNS1_3repE0EEENS1_30default_config_static_selectorELNS0_4arch9wavefront6targetE1EEEvT1_,"axG",@progbits,_ZN7rocprim17ROCPRIM_400000_NS6detail17trampoline_kernelINS0_14default_configENS1_25partition_config_selectorILNS1_17partition_subalgoE3ExNS0_10empty_typeEbEEZZNS1_14partition_implILS5_3ELb0ES3_jN6thrust23THRUST_200600_302600_NS6detail15normal_iteratorINSA_7pointerIxNSA_11hip_rocprim3tagENSA_11use_defaultESG_EEEEPS6_SJ_NS0_5tupleIJPxSJ_EEENSK_IJSJ_SJ_EEES6_PlJ7is_evenIxEEEE10hipError_tPvRmT3_T4_T5_T6_T7_T9_mT8_P12ihipStream_tbDpT10_ENKUlT_T0_E_clISt17integral_constantIbLb0EES1A_EEDaS15_S16_EUlS15_E_NS1_11comp_targetILNS1_3genE0ELNS1_11target_archE4294967295ELNS1_3gpuE0ELNS1_3repE0EEENS1_30default_config_static_selectorELNS0_4arch9wavefront6targetE1EEEvT1_,comdat
.Lfunc_end5:
	.size	_ZN7rocprim17ROCPRIM_400000_NS6detail17trampoline_kernelINS0_14default_configENS1_25partition_config_selectorILNS1_17partition_subalgoE3ExNS0_10empty_typeEbEEZZNS1_14partition_implILS5_3ELb0ES3_jN6thrust23THRUST_200600_302600_NS6detail15normal_iteratorINSA_7pointerIxNSA_11hip_rocprim3tagENSA_11use_defaultESG_EEEEPS6_SJ_NS0_5tupleIJPxSJ_EEENSK_IJSJ_SJ_EEES6_PlJ7is_evenIxEEEE10hipError_tPvRmT3_T4_T5_T6_T7_T9_mT8_P12ihipStream_tbDpT10_ENKUlT_T0_E_clISt17integral_constantIbLb0EES1A_EEDaS15_S16_EUlS15_E_NS1_11comp_targetILNS1_3genE0ELNS1_11target_archE4294967295ELNS1_3gpuE0ELNS1_3repE0EEENS1_30default_config_static_selectorELNS0_4arch9wavefront6targetE1EEEvT1_, .Lfunc_end5-_ZN7rocprim17ROCPRIM_400000_NS6detail17trampoline_kernelINS0_14default_configENS1_25partition_config_selectorILNS1_17partition_subalgoE3ExNS0_10empty_typeEbEEZZNS1_14partition_implILS5_3ELb0ES3_jN6thrust23THRUST_200600_302600_NS6detail15normal_iteratorINSA_7pointerIxNSA_11hip_rocprim3tagENSA_11use_defaultESG_EEEEPS6_SJ_NS0_5tupleIJPxSJ_EEENSK_IJSJ_SJ_EEES6_PlJ7is_evenIxEEEE10hipError_tPvRmT3_T4_T5_T6_T7_T9_mT8_P12ihipStream_tbDpT10_ENKUlT_T0_E_clISt17integral_constantIbLb0EES1A_EEDaS15_S16_EUlS15_E_NS1_11comp_targetILNS1_3genE0ELNS1_11target_archE4294967295ELNS1_3gpuE0ELNS1_3repE0EEENS1_30default_config_static_selectorELNS0_4arch9wavefront6targetE1EEEvT1_
                                        ; -- End function
	.section	.AMDGPU.csdata,"",@progbits
; Kernel info:
; codeLenInByte = 0
; NumSgprs: 4
; NumVgprs: 0
; NumAgprs: 0
; TotalNumVgprs: 0
; ScratchSize: 0
; MemoryBound: 0
; FloatMode: 240
; IeeeMode: 1
; LDSByteSize: 0 bytes/workgroup (compile time only)
; SGPRBlocks: 0
; VGPRBlocks: 0
; NumSGPRsForWavesPerEU: 4
; NumVGPRsForWavesPerEU: 1
; AccumOffset: 4
; Occupancy: 8
; WaveLimiterHint : 0
; COMPUTE_PGM_RSRC2:SCRATCH_EN: 0
; COMPUTE_PGM_RSRC2:USER_SGPR: 6
; COMPUTE_PGM_RSRC2:TRAP_HANDLER: 0
; COMPUTE_PGM_RSRC2:TGID_X_EN: 1
; COMPUTE_PGM_RSRC2:TGID_Y_EN: 0
; COMPUTE_PGM_RSRC2:TGID_Z_EN: 0
; COMPUTE_PGM_RSRC2:TIDIG_COMP_CNT: 0
; COMPUTE_PGM_RSRC3_GFX90A:ACCUM_OFFSET: 0
; COMPUTE_PGM_RSRC3_GFX90A:TG_SPLIT: 0
	.section	.text._ZN7rocprim17ROCPRIM_400000_NS6detail17trampoline_kernelINS0_14default_configENS1_25partition_config_selectorILNS1_17partition_subalgoE3ExNS0_10empty_typeEbEEZZNS1_14partition_implILS5_3ELb0ES3_jN6thrust23THRUST_200600_302600_NS6detail15normal_iteratorINSA_7pointerIxNSA_11hip_rocprim3tagENSA_11use_defaultESG_EEEEPS6_SJ_NS0_5tupleIJPxSJ_EEENSK_IJSJ_SJ_EEES6_PlJ7is_evenIxEEEE10hipError_tPvRmT3_T4_T5_T6_T7_T9_mT8_P12ihipStream_tbDpT10_ENKUlT_T0_E_clISt17integral_constantIbLb0EES1A_EEDaS15_S16_EUlS15_E_NS1_11comp_targetILNS1_3genE5ELNS1_11target_archE942ELNS1_3gpuE9ELNS1_3repE0EEENS1_30default_config_static_selectorELNS0_4arch9wavefront6targetE1EEEvT1_,"axG",@progbits,_ZN7rocprim17ROCPRIM_400000_NS6detail17trampoline_kernelINS0_14default_configENS1_25partition_config_selectorILNS1_17partition_subalgoE3ExNS0_10empty_typeEbEEZZNS1_14partition_implILS5_3ELb0ES3_jN6thrust23THRUST_200600_302600_NS6detail15normal_iteratorINSA_7pointerIxNSA_11hip_rocprim3tagENSA_11use_defaultESG_EEEEPS6_SJ_NS0_5tupleIJPxSJ_EEENSK_IJSJ_SJ_EEES6_PlJ7is_evenIxEEEE10hipError_tPvRmT3_T4_T5_T6_T7_T9_mT8_P12ihipStream_tbDpT10_ENKUlT_T0_E_clISt17integral_constantIbLb0EES1A_EEDaS15_S16_EUlS15_E_NS1_11comp_targetILNS1_3genE5ELNS1_11target_archE942ELNS1_3gpuE9ELNS1_3repE0EEENS1_30default_config_static_selectorELNS0_4arch9wavefront6targetE1EEEvT1_,comdat
	.protected	_ZN7rocprim17ROCPRIM_400000_NS6detail17trampoline_kernelINS0_14default_configENS1_25partition_config_selectorILNS1_17partition_subalgoE3ExNS0_10empty_typeEbEEZZNS1_14partition_implILS5_3ELb0ES3_jN6thrust23THRUST_200600_302600_NS6detail15normal_iteratorINSA_7pointerIxNSA_11hip_rocprim3tagENSA_11use_defaultESG_EEEEPS6_SJ_NS0_5tupleIJPxSJ_EEENSK_IJSJ_SJ_EEES6_PlJ7is_evenIxEEEE10hipError_tPvRmT3_T4_T5_T6_T7_T9_mT8_P12ihipStream_tbDpT10_ENKUlT_T0_E_clISt17integral_constantIbLb0EES1A_EEDaS15_S16_EUlS15_E_NS1_11comp_targetILNS1_3genE5ELNS1_11target_archE942ELNS1_3gpuE9ELNS1_3repE0EEENS1_30default_config_static_selectorELNS0_4arch9wavefront6targetE1EEEvT1_ ; -- Begin function _ZN7rocprim17ROCPRIM_400000_NS6detail17trampoline_kernelINS0_14default_configENS1_25partition_config_selectorILNS1_17partition_subalgoE3ExNS0_10empty_typeEbEEZZNS1_14partition_implILS5_3ELb0ES3_jN6thrust23THRUST_200600_302600_NS6detail15normal_iteratorINSA_7pointerIxNSA_11hip_rocprim3tagENSA_11use_defaultESG_EEEEPS6_SJ_NS0_5tupleIJPxSJ_EEENSK_IJSJ_SJ_EEES6_PlJ7is_evenIxEEEE10hipError_tPvRmT3_T4_T5_T6_T7_T9_mT8_P12ihipStream_tbDpT10_ENKUlT_T0_E_clISt17integral_constantIbLb0EES1A_EEDaS15_S16_EUlS15_E_NS1_11comp_targetILNS1_3genE5ELNS1_11target_archE942ELNS1_3gpuE9ELNS1_3repE0EEENS1_30default_config_static_selectorELNS0_4arch9wavefront6targetE1EEEvT1_
	.globl	_ZN7rocprim17ROCPRIM_400000_NS6detail17trampoline_kernelINS0_14default_configENS1_25partition_config_selectorILNS1_17partition_subalgoE3ExNS0_10empty_typeEbEEZZNS1_14partition_implILS5_3ELb0ES3_jN6thrust23THRUST_200600_302600_NS6detail15normal_iteratorINSA_7pointerIxNSA_11hip_rocprim3tagENSA_11use_defaultESG_EEEEPS6_SJ_NS0_5tupleIJPxSJ_EEENSK_IJSJ_SJ_EEES6_PlJ7is_evenIxEEEE10hipError_tPvRmT3_T4_T5_T6_T7_T9_mT8_P12ihipStream_tbDpT10_ENKUlT_T0_E_clISt17integral_constantIbLb0EES1A_EEDaS15_S16_EUlS15_E_NS1_11comp_targetILNS1_3genE5ELNS1_11target_archE942ELNS1_3gpuE9ELNS1_3repE0EEENS1_30default_config_static_selectorELNS0_4arch9wavefront6targetE1EEEvT1_
	.p2align	8
	.type	_ZN7rocprim17ROCPRIM_400000_NS6detail17trampoline_kernelINS0_14default_configENS1_25partition_config_selectorILNS1_17partition_subalgoE3ExNS0_10empty_typeEbEEZZNS1_14partition_implILS5_3ELb0ES3_jN6thrust23THRUST_200600_302600_NS6detail15normal_iteratorINSA_7pointerIxNSA_11hip_rocprim3tagENSA_11use_defaultESG_EEEEPS6_SJ_NS0_5tupleIJPxSJ_EEENSK_IJSJ_SJ_EEES6_PlJ7is_evenIxEEEE10hipError_tPvRmT3_T4_T5_T6_T7_T9_mT8_P12ihipStream_tbDpT10_ENKUlT_T0_E_clISt17integral_constantIbLb0EES1A_EEDaS15_S16_EUlS15_E_NS1_11comp_targetILNS1_3genE5ELNS1_11target_archE942ELNS1_3gpuE9ELNS1_3repE0EEENS1_30default_config_static_selectorELNS0_4arch9wavefront6targetE1EEEvT1_,@function
_ZN7rocprim17ROCPRIM_400000_NS6detail17trampoline_kernelINS0_14default_configENS1_25partition_config_selectorILNS1_17partition_subalgoE3ExNS0_10empty_typeEbEEZZNS1_14partition_implILS5_3ELb0ES3_jN6thrust23THRUST_200600_302600_NS6detail15normal_iteratorINSA_7pointerIxNSA_11hip_rocprim3tagENSA_11use_defaultESG_EEEEPS6_SJ_NS0_5tupleIJPxSJ_EEENSK_IJSJ_SJ_EEES6_PlJ7is_evenIxEEEE10hipError_tPvRmT3_T4_T5_T6_T7_T9_mT8_P12ihipStream_tbDpT10_ENKUlT_T0_E_clISt17integral_constantIbLb0EES1A_EEDaS15_S16_EUlS15_E_NS1_11comp_targetILNS1_3genE5ELNS1_11target_archE942ELNS1_3gpuE9ELNS1_3repE0EEENS1_30default_config_static_selectorELNS0_4arch9wavefront6targetE1EEEvT1_: ; @_ZN7rocprim17ROCPRIM_400000_NS6detail17trampoline_kernelINS0_14default_configENS1_25partition_config_selectorILNS1_17partition_subalgoE3ExNS0_10empty_typeEbEEZZNS1_14partition_implILS5_3ELb0ES3_jN6thrust23THRUST_200600_302600_NS6detail15normal_iteratorINSA_7pointerIxNSA_11hip_rocprim3tagENSA_11use_defaultESG_EEEEPS6_SJ_NS0_5tupleIJPxSJ_EEENSK_IJSJ_SJ_EEES6_PlJ7is_evenIxEEEE10hipError_tPvRmT3_T4_T5_T6_T7_T9_mT8_P12ihipStream_tbDpT10_ENKUlT_T0_E_clISt17integral_constantIbLb0EES1A_EEDaS15_S16_EUlS15_E_NS1_11comp_targetILNS1_3genE5ELNS1_11target_archE942ELNS1_3gpuE9ELNS1_3repE0EEENS1_30default_config_static_selectorELNS0_4arch9wavefront6targetE1EEEvT1_
; %bb.0:
	.section	.rodata,"a",@progbits
	.p2align	6, 0x0
	.amdhsa_kernel _ZN7rocprim17ROCPRIM_400000_NS6detail17trampoline_kernelINS0_14default_configENS1_25partition_config_selectorILNS1_17partition_subalgoE3ExNS0_10empty_typeEbEEZZNS1_14partition_implILS5_3ELb0ES3_jN6thrust23THRUST_200600_302600_NS6detail15normal_iteratorINSA_7pointerIxNSA_11hip_rocprim3tagENSA_11use_defaultESG_EEEEPS6_SJ_NS0_5tupleIJPxSJ_EEENSK_IJSJ_SJ_EEES6_PlJ7is_evenIxEEEE10hipError_tPvRmT3_T4_T5_T6_T7_T9_mT8_P12ihipStream_tbDpT10_ENKUlT_T0_E_clISt17integral_constantIbLb0EES1A_EEDaS15_S16_EUlS15_E_NS1_11comp_targetILNS1_3genE5ELNS1_11target_archE942ELNS1_3gpuE9ELNS1_3repE0EEENS1_30default_config_static_selectorELNS0_4arch9wavefront6targetE1EEEvT1_
		.amdhsa_group_segment_fixed_size 0
		.amdhsa_private_segment_fixed_size 0
		.amdhsa_kernarg_size 120
		.amdhsa_user_sgpr_count 6
		.amdhsa_user_sgpr_private_segment_buffer 1
		.amdhsa_user_sgpr_dispatch_ptr 0
		.amdhsa_user_sgpr_queue_ptr 0
		.amdhsa_user_sgpr_kernarg_segment_ptr 1
		.amdhsa_user_sgpr_dispatch_id 0
		.amdhsa_user_sgpr_flat_scratch_init 0
		.amdhsa_user_sgpr_kernarg_preload_length 0
		.amdhsa_user_sgpr_kernarg_preload_offset 0
		.amdhsa_user_sgpr_private_segment_size 0
		.amdhsa_uses_dynamic_stack 0
		.amdhsa_system_sgpr_private_segment_wavefront_offset 0
		.amdhsa_system_sgpr_workgroup_id_x 1
		.amdhsa_system_sgpr_workgroup_id_y 0
		.amdhsa_system_sgpr_workgroup_id_z 0
		.amdhsa_system_sgpr_workgroup_info 0
		.amdhsa_system_vgpr_workitem_id 0
		.amdhsa_next_free_vgpr 1
		.amdhsa_next_free_sgpr 0
		.amdhsa_accum_offset 4
		.amdhsa_reserve_vcc 0
		.amdhsa_reserve_flat_scratch 0
		.amdhsa_float_round_mode_32 0
		.amdhsa_float_round_mode_16_64 0
		.amdhsa_float_denorm_mode_32 3
		.amdhsa_float_denorm_mode_16_64 3
		.amdhsa_dx10_clamp 1
		.amdhsa_ieee_mode 1
		.amdhsa_fp16_overflow 0
		.amdhsa_tg_split 0
		.amdhsa_exception_fp_ieee_invalid_op 0
		.amdhsa_exception_fp_denorm_src 0
		.amdhsa_exception_fp_ieee_div_zero 0
		.amdhsa_exception_fp_ieee_overflow 0
		.amdhsa_exception_fp_ieee_underflow 0
		.amdhsa_exception_fp_ieee_inexact 0
		.amdhsa_exception_int_div_zero 0
	.end_amdhsa_kernel
	.section	.text._ZN7rocprim17ROCPRIM_400000_NS6detail17trampoline_kernelINS0_14default_configENS1_25partition_config_selectorILNS1_17partition_subalgoE3ExNS0_10empty_typeEbEEZZNS1_14partition_implILS5_3ELb0ES3_jN6thrust23THRUST_200600_302600_NS6detail15normal_iteratorINSA_7pointerIxNSA_11hip_rocprim3tagENSA_11use_defaultESG_EEEEPS6_SJ_NS0_5tupleIJPxSJ_EEENSK_IJSJ_SJ_EEES6_PlJ7is_evenIxEEEE10hipError_tPvRmT3_T4_T5_T6_T7_T9_mT8_P12ihipStream_tbDpT10_ENKUlT_T0_E_clISt17integral_constantIbLb0EES1A_EEDaS15_S16_EUlS15_E_NS1_11comp_targetILNS1_3genE5ELNS1_11target_archE942ELNS1_3gpuE9ELNS1_3repE0EEENS1_30default_config_static_selectorELNS0_4arch9wavefront6targetE1EEEvT1_,"axG",@progbits,_ZN7rocprim17ROCPRIM_400000_NS6detail17trampoline_kernelINS0_14default_configENS1_25partition_config_selectorILNS1_17partition_subalgoE3ExNS0_10empty_typeEbEEZZNS1_14partition_implILS5_3ELb0ES3_jN6thrust23THRUST_200600_302600_NS6detail15normal_iteratorINSA_7pointerIxNSA_11hip_rocprim3tagENSA_11use_defaultESG_EEEEPS6_SJ_NS0_5tupleIJPxSJ_EEENSK_IJSJ_SJ_EEES6_PlJ7is_evenIxEEEE10hipError_tPvRmT3_T4_T5_T6_T7_T9_mT8_P12ihipStream_tbDpT10_ENKUlT_T0_E_clISt17integral_constantIbLb0EES1A_EEDaS15_S16_EUlS15_E_NS1_11comp_targetILNS1_3genE5ELNS1_11target_archE942ELNS1_3gpuE9ELNS1_3repE0EEENS1_30default_config_static_selectorELNS0_4arch9wavefront6targetE1EEEvT1_,comdat
.Lfunc_end6:
	.size	_ZN7rocprim17ROCPRIM_400000_NS6detail17trampoline_kernelINS0_14default_configENS1_25partition_config_selectorILNS1_17partition_subalgoE3ExNS0_10empty_typeEbEEZZNS1_14partition_implILS5_3ELb0ES3_jN6thrust23THRUST_200600_302600_NS6detail15normal_iteratorINSA_7pointerIxNSA_11hip_rocprim3tagENSA_11use_defaultESG_EEEEPS6_SJ_NS0_5tupleIJPxSJ_EEENSK_IJSJ_SJ_EEES6_PlJ7is_evenIxEEEE10hipError_tPvRmT3_T4_T5_T6_T7_T9_mT8_P12ihipStream_tbDpT10_ENKUlT_T0_E_clISt17integral_constantIbLb0EES1A_EEDaS15_S16_EUlS15_E_NS1_11comp_targetILNS1_3genE5ELNS1_11target_archE942ELNS1_3gpuE9ELNS1_3repE0EEENS1_30default_config_static_selectorELNS0_4arch9wavefront6targetE1EEEvT1_, .Lfunc_end6-_ZN7rocprim17ROCPRIM_400000_NS6detail17trampoline_kernelINS0_14default_configENS1_25partition_config_selectorILNS1_17partition_subalgoE3ExNS0_10empty_typeEbEEZZNS1_14partition_implILS5_3ELb0ES3_jN6thrust23THRUST_200600_302600_NS6detail15normal_iteratorINSA_7pointerIxNSA_11hip_rocprim3tagENSA_11use_defaultESG_EEEEPS6_SJ_NS0_5tupleIJPxSJ_EEENSK_IJSJ_SJ_EEES6_PlJ7is_evenIxEEEE10hipError_tPvRmT3_T4_T5_T6_T7_T9_mT8_P12ihipStream_tbDpT10_ENKUlT_T0_E_clISt17integral_constantIbLb0EES1A_EEDaS15_S16_EUlS15_E_NS1_11comp_targetILNS1_3genE5ELNS1_11target_archE942ELNS1_3gpuE9ELNS1_3repE0EEENS1_30default_config_static_selectorELNS0_4arch9wavefront6targetE1EEEvT1_
                                        ; -- End function
	.section	.AMDGPU.csdata,"",@progbits
; Kernel info:
; codeLenInByte = 0
; NumSgprs: 4
; NumVgprs: 0
; NumAgprs: 0
; TotalNumVgprs: 0
; ScratchSize: 0
; MemoryBound: 0
; FloatMode: 240
; IeeeMode: 1
; LDSByteSize: 0 bytes/workgroup (compile time only)
; SGPRBlocks: 0
; VGPRBlocks: 0
; NumSGPRsForWavesPerEU: 4
; NumVGPRsForWavesPerEU: 1
; AccumOffset: 4
; Occupancy: 8
; WaveLimiterHint : 0
; COMPUTE_PGM_RSRC2:SCRATCH_EN: 0
; COMPUTE_PGM_RSRC2:USER_SGPR: 6
; COMPUTE_PGM_RSRC2:TRAP_HANDLER: 0
; COMPUTE_PGM_RSRC2:TGID_X_EN: 1
; COMPUTE_PGM_RSRC2:TGID_Y_EN: 0
; COMPUTE_PGM_RSRC2:TGID_Z_EN: 0
; COMPUTE_PGM_RSRC2:TIDIG_COMP_CNT: 0
; COMPUTE_PGM_RSRC3_GFX90A:ACCUM_OFFSET: 0
; COMPUTE_PGM_RSRC3_GFX90A:TG_SPLIT: 0
	.section	.text._ZN7rocprim17ROCPRIM_400000_NS6detail17trampoline_kernelINS0_14default_configENS1_25partition_config_selectorILNS1_17partition_subalgoE3ExNS0_10empty_typeEbEEZZNS1_14partition_implILS5_3ELb0ES3_jN6thrust23THRUST_200600_302600_NS6detail15normal_iteratorINSA_7pointerIxNSA_11hip_rocprim3tagENSA_11use_defaultESG_EEEEPS6_SJ_NS0_5tupleIJPxSJ_EEENSK_IJSJ_SJ_EEES6_PlJ7is_evenIxEEEE10hipError_tPvRmT3_T4_T5_T6_T7_T9_mT8_P12ihipStream_tbDpT10_ENKUlT_T0_E_clISt17integral_constantIbLb0EES1A_EEDaS15_S16_EUlS15_E_NS1_11comp_targetILNS1_3genE4ELNS1_11target_archE910ELNS1_3gpuE8ELNS1_3repE0EEENS1_30default_config_static_selectorELNS0_4arch9wavefront6targetE1EEEvT1_,"axG",@progbits,_ZN7rocprim17ROCPRIM_400000_NS6detail17trampoline_kernelINS0_14default_configENS1_25partition_config_selectorILNS1_17partition_subalgoE3ExNS0_10empty_typeEbEEZZNS1_14partition_implILS5_3ELb0ES3_jN6thrust23THRUST_200600_302600_NS6detail15normal_iteratorINSA_7pointerIxNSA_11hip_rocprim3tagENSA_11use_defaultESG_EEEEPS6_SJ_NS0_5tupleIJPxSJ_EEENSK_IJSJ_SJ_EEES6_PlJ7is_evenIxEEEE10hipError_tPvRmT3_T4_T5_T6_T7_T9_mT8_P12ihipStream_tbDpT10_ENKUlT_T0_E_clISt17integral_constantIbLb0EES1A_EEDaS15_S16_EUlS15_E_NS1_11comp_targetILNS1_3genE4ELNS1_11target_archE910ELNS1_3gpuE8ELNS1_3repE0EEENS1_30default_config_static_selectorELNS0_4arch9wavefront6targetE1EEEvT1_,comdat
	.protected	_ZN7rocprim17ROCPRIM_400000_NS6detail17trampoline_kernelINS0_14default_configENS1_25partition_config_selectorILNS1_17partition_subalgoE3ExNS0_10empty_typeEbEEZZNS1_14partition_implILS5_3ELb0ES3_jN6thrust23THRUST_200600_302600_NS6detail15normal_iteratorINSA_7pointerIxNSA_11hip_rocprim3tagENSA_11use_defaultESG_EEEEPS6_SJ_NS0_5tupleIJPxSJ_EEENSK_IJSJ_SJ_EEES6_PlJ7is_evenIxEEEE10hipError_tPvRmT3_T4_T5_T6_T7_T9_mT8_P12ihipStream_tbDpT10_ENKUlT_T0_E_clISt17integral_constantIbLb0EES1A_EEDaS15_S16_EUlS15_E_NS1_11comp_targetILNS1_3genE4ELNS1_11target_archE910ELNS1_3gpuE8ELNS1_3repE0EEENS1_30default_config_static_selectorELNS0_4arch9wavefront6targetE1EEEvT1_ ; -- Begin function _ZN7rocprim17ROCPRIM_400000_NS6detail17trampoline_kernelINS0_14default_configENS1_25partition_config_selectorILNS1_17partition_subalgoE3ExNS0_10empty_typeEbEEZZNS1_14partition_implILS5_3ELb0ES3_jN6thrust23THRUST_200600_302600_NS6detail15normal_iteratorINSA_7pointerIxNSA_11hip_rocprim3tagENSA_11use_defaultESG_EEEEPS6_SJ_NS0_5tupleIJPxSJ_EEENSK_IJSJ_SJ_EEES6_PlJ7is_evenIxEEEE10hipError_tPvRmT3_T4_T5_T6_T7_T9_mT8_P12ihipStream_tbDpT10_ENKUlT_T0_E_clISt17integral_constantIbLb0EES1A_EEDaS15_S16_EUlS15_E_NS1_11comp_targetILNS1_3genE4ELNS1_11target_archE910ELNS1_3gpuE8ELNS1_3repE0EEENS1_30default_config_static_selectorELNS0_4arch9wavefront6targetE1EEEvT1_
	.globl	_ZN7rocprim17ROCPRIM_400000_NS6detail17trampoline_kernelINS0_14default_configENS1_25partition_config_selectorILNS1_17partition_subalgoE3ExNS0_10empty_typeEbEEZZNS1_14partition_implILS5_3ELb0ES3_jN6thrust23THRUST_200600_302600_NS6detail15normal_iteratorINSA_7pointerIxNSA_11hip_rocprim3tagENSA_11use_defaultESG_EEEEPS6_SJ_NS0_5tupleIJPxSJ_EEENSK_IJSJ_SJ_EEES6_PlJ7is_evenIxEEEE10hipError_tPvRmT3_T4_T5_T6_T7_T9_mT8_P12ihipStream_tbDpT10_ENKUlT_T0_E_clISt17integral_constantIbLb0EES1A_EEDaS15_S16_EUlS15_E_NS1_11comp_targetILNS1_3genE4ELNS1_11target_archE910ELNS1_3gpuE8ELNS1_3repE0EEENS1_30default_config_static_selectorELNS0_4arch9wavefront6targetE1EEEvT1_
	.p2align	8
	.type	_ZN7rocprim17ROCPRIM_400000_NS6detail17trampoline_kernelINS0_14default_configENS1_25partition_config_selectorILNS1_17partition_subalgoE3ExNS0_10empty_typeEbEEZZNS1_14partition_implILS5_3ELb0ES3_jN6thrust23THRUST_200600_302600_NS6detail15normal_iteratorINSA_7pointerIxNSA_11hip_rocprim3tagENSA_11use_defaultESG_EEEEPS6_SJ_NS0_5tupleIJPxSJ_EEENSK_IJSJ_SJ_EEES6_PlJ7is_evenIxEEEE10hipError_tPvRmT3_T4_T5_T6_T7_T9_mT8_P12ihipStream_tbDpT10_ENKUlT_T0_E_clISt17integral_constantIbLb0EES1A_EEDaS15_S16_EUlS15_E_NS1_11comp_targetILNS1_3genE4ELNS1_11target_archE910ELNS1_3gpuE8ELNS1_3repE0EEENS1_30default_config_static_selectorELNS0_4arch9wavefront6targetE1EEEvT1_,@function
_ZN7rocprim17ROCPRIM_400000_NS6detail17trampoline_kernelINS0_14default_configENS1_25partition_config_selectorILNS1_17partition_subalgoE3ExNS0_10empty_typeEbEEZZNS1_14partition_implILS5_3ELb0ES3_jN6thrust23THRUST_200600_302600_NS6detail15normal_iteratorINSA_7pointerIxNSA_11hip_rocprim3tagENSA_11use_defaultESG_EEEEPS6_SJ_NS0_5tupleIJPxSJ_EEENSK_IJSJ_SJ_EEES6_PlJ7is_evenIxEEEE10hipError_tPvRmT3_T4_T5_T6_T7_T9_mT8_P12ihipStream_tbDpT10_ENKUlT_T0_E_clISt17integral_constantIbLb0EES1A_EEDaS15_S16_EUlS15_E_NS1_11comp_targetILNS1_3genE4ELNS1_11target_archE910ELNS1_3gpuE8ELNS1_3repE0EEENS1_30default_config_static_selectorELNS0_4arch9wavefront6targetE1EEEvT1_: ; @_ZN7rocprim17ROCPRIM_400000_NS6detail17trampoline_kernelINS0_14default_configENS1_25partition_config_selectorILNS1_17partition_subalgoE3ExNS0_10empty_typeEbEEZZNS1_14partition_implILS5_3ELb0ES3_jN6thrust23THRUST_200600_302600_NS6detail15normal_iteratorINSA_7pointerIxNSA_11hip_rocprim3tagENSA_11use_defaultESG_EEEEPS6_SJ_NS0_5tupleIJPxSJ_EEENSK_IJSJ_SJ_EEES6_PlJ7is_evenIxEEEE10hipError_tPvRmT3_T4_T5_T6_T7_T9_mT8_P12ihipStream_tbDpT10_ENKUlT_T0_E_clISt17integral_constantIbLb0EES1A_EEDaS15_S16_EUlS15_E_NS1_11comp_targetILNS1_3genE4ELNS1_11target_archE910ELNS1_3gpuE8ELNS1_3repE0EEENS1_30default_config_static_selectorELNS0_4arch9wavefront6targetE1EEEvT1_
; %bb.0:
	s_load_dwordx4 s[20:23], s[4:5], 0x8
	s_load_dwordx4 s[24:27], s[4:5], 0x48
	s_load_dwordx2 s[28:29], s[4:5], 0x58
	s_load_dword s2, s[4:5], 0x70
	s_mul_i32 s30, s6, 0x300
	s_waitcnt lgkmcnt(0)
	s_lshl_b64 s[0:1], s[22:23], 3
	s_add_u32 s7, s20, s0
	s_addc_u32 s8, s21, s1
	s_mul_i32 s0, s2, 0x300
	s_add_i32 s1, s0, s22
	s_sub_i32 s33, s28, s1
	s_add_i32 s3, s2, -1
	s_addk_i32 s33, 0x300
	s_add_u32 s0, s22, s0
	s_addc_u32 s1, s23, 0
	s_cmp_eq_u32 s6, s3
	s_load_dwordx2 s[34:35], s[26:27], 0x0
	v_pk_mov_b32 v[2:3], s[28:29], s[28:29] op_sel:[0,1]
	s_cselect_b64 s[26:27], -1, 0
	s_cmp_lg_u32 s6, s3
	s_mov_b32 s31, 0
	v_cmp_lt_u64_e32 vcc, s[0:1], v[2:3]
	s_cselect_b64 s[0:1], -1, 0
	s_or_b64 s[2:3], s[0:1], vcc
	s_lshl_b64 s[0:1], s[30:31], 3
	s_add_u32 s7, s7, s0
	s_addc_u32 s10, s8, s1
	s_mov_b64 s[0:1], -1
	s_and_b64 vcc, exec, s[2:3]
	v_lshlrev_b32_e32 v1, 3, v0
	v_lshrrev_b32_e32 v10, 2, v0
	s_cbranch_vccz .LBB7_2
; %bb.1:
	v_mov_b32_e32 v3, s10
	v_add_co_u32_e32 v2, vcc, s7, v1
	v_addc_co_u32_e32 v3, vcc, 0, v3, vcc
	v_add_co_u32_e32 v4, vcc, 0x1000, v2
	v_addc_co_u32_e32 v5, vcc, 0, v3, vcc
	flat_load_dwordx2 v[6:7], v[2:3]
	flat_load_dwordx2 v[8:9], v[2:3] offset:1536
	flat_load_dwordx2 v[12:13], v[2:3] offset:3072
	;; [unrolled: 1-line block ×3, first 2 shown]
	v_add_u32_e32 v3, 0xc0, v0
	v_add_u32_e32 v4, 0x180, v0
	;; [unrolled: 1-line block ×3, first 2 shown]
	v_and_b32_e32 v2, 56, v10
	v_lshrrev_b32_e32 v3, 2, v3
	v_lshrrev_b32_e32 v4, 2, v4
	;; [unrolled: 1-line block ×3, first 2 shown]
	v_add_u32_e32 v2, v2, v1
	v_and_b32_e32 v3, 0x78, v3
	v_and_b32_e32 v4, 0xf8, v4
	;; [unrolled: 1-line block ×3, first 2 shown]
	v_add_u32_e32 v3, v3, v1
	v_add_u32_e32 v4, v4, v1
	;; [unrolled: 1-line block ×3, first 2 shown]
	s_mov_b64 s[0:1], 0
	s_waitcnt vmcnt(0) lgkmcnt(0)
	ds_write_b64 v2, v[6:7]
	ds_write_b64 v3, v[8:9] offset:1536
	ds_write_b64 v4, v[12:13] offset:3072
	;; [unrolled: 1-line block ×3, first 2 shown]
	s_waitcnt lgkmcnt(0)
	s_barrier
.LBB7_2:
	s_andn2_b64 vcc, exec, s[0:1]
	v_cmp_gt_u32_e64 s[0:1], s33, v0
	s_cbranch_vccnz .LBB7_12
; %bb.3:
                                        ; implicit-def: $vgpr2_vgpr3_vgpr4_vgpr5_vgpr6_vgpr7_vgpr8_vgpr9
	s_and_saveexec_b64 s[8:9], s[0:1]
	s_cbranch_execz .LBB7_5
; %bb.4:
	v_mov_b32_e32 v3, s10
	v_add_co_u32_e32 v2, vcc, s7, v1
	v_addc_co_u32_e32 v3, vcc, 0, v3, vcc
	flat_load_dwordx2 v[2:3], v[2:3]
.LBB7_5:
	s_or_b64 exec, exec, s[8:9]
	v_add_u32_e32 v11, 0xc0, v0
	v_cmp_gt_u32_e32 vcc, s33, v11
	s_and_saveexec_b64 s[0:1], vcc
	s_cbranch_execz .LBB7_7
; %bb.6:
	v_mov_b32_e32 v5, s10
	v_add_co_u32_e32 v4, vcc, s7, v1
	v_addc_co_u32_e32 v5, vcc, 0, v5, vcc
	flat_load_dwordx2 v[4:5], v[4:5] offset:1536
.LBB7_7:
	s_or_b64 exec, exec, s[0:1]
	v_add_u32_e32 v12, 0x180, v0
	v_cmp_gt_u32_e32 vcc, s33, v12
	s_and_saveexec_b64 s[0:1], vcc
	s_cbranch_execz .LBB7_9
; %bb.8:
	v_mov_b32_e32 v7, s10
	v_add_co_u32_e32 v6, vcc, s7, v1
	v_addc_co_u32_e32 v7, vcc, 0, v7, vcc
	flat_load_dwordx2 v[6:7], v[6:7] offset:3072
.LBB7_9:
	s_or_b64 exec, exec, s[0:1]
	v_add_u32_e32 v13, 0x240, v0
	v_cmp_gt_u32_e32 vcc, s33, v13
	s_and_saveexec_b64 s[0:1], vcc
	s_cbranch_execz .LBB7_11
; %bb.10:
	v_lshlrev_b32_e32 v8, 3, v13
	v_mov_b32_e32 v9, s10
	v_add_co_u32_e32 v8, vcc, s7, v8
	v_addc_co_u32_e32 v9, vcc, 0, v9, vcc
	flat_load_dwordx2 v[8:9], v[8:9]
.LBB7_11:
	s_or_b64 exec, exec, s[0:1]
	v_and_b32_e32 v10, 56, v10
	v_add_u32_e32 v10, v10, v1
	s_waitcnt vmcnt(0) lgkmcnt(0)
	ds_write_b64 v10, v[2:3]
	v_lshrrev_b32_e32 v2, 2, v11
	v_and_b32_e32 v2, 0x78, v2
	v_add_u32_e32 v2, v2, v1
	ds_write_b64 v2, v[4:5] offset:1536
	v_lshrrev_b32_e32 v2, 2, v12
	v_and_b32_e32 v2, 0xf8, v2
	v_add_u32_e32 v2, v2, v1
	ds_write_b64 v2, v[6:7] offset:3072
	;; [unrolled: 4-line block ×3, first 2 shown]
	s_waitcnt lgkmcnt(0)
	s_barrier
.LBB7_12:
	v_lshlrev_b32_e32 v20, 2, v0
	v_lshrrev_b32_e32 v2, 3, v0
	v_add_lshl_u32 v2, v2, v20, 3
	s_waitcnt lgkmcnt(0)
	ds_read2_b64 v[6:9], v2 offset1:1
	ds_read2_b64 v[2:5], v2 offset0:2 offset1:3
	v_cndmask_b32_e64 v10, 0, 1, s[2:3]
	v_cmp_ne_u32_e64 s[0:1], 1, v10
	s_andn2_b64 vcc, exec, s[2:3]
	s_waitcnt lgkmcnt(1)
	v_xor_b32_e32 v13, -1, v6
	v_xor_b32_e32 v12, -1, v8
	s_waitcnt lgkmcnt(0)
	v_xor_b32_e32 v11, -1, v2
	v_xor_b32_e32 v10, -1, v4
	s_barrier
	s_cbranch_vccnz .LBB7_14
; %bb.13:
	v_mov_b32_e32 v15, 1
	v_and_b32_e32 v14, 1, v13
	v_and_b32_sdwa v16, v12, v15 dst_sel:BYTE_1 dst_unused:UNUSED_PAD src0_sel:DWORD src1_sel:DWORD
	v_and_b32_e32 v17, 1, v11
	v_and_b32_sdwa v15, v10, v15 dst_sel:BYTE_1 dst_unused:UNUSED_PAD src0_sel:DWORD src1_sel:DWORD
	v_or_b32_e32 v14, v14, v16
	v_or_b32_sdwa v15, v17, v15 dst_sel:WORD_1 dst_unused:UNUSED_PAD src0_sel:DWORD src1_sel:DWORD
	v_or_b32_sdwa v21, v14, v15 dst_sel:DWORD dst_unused:UNUSED_PAD src0_sel:WORD_0 src1_sel:DWORD
	s_load_dwordx2 s[36:37], s[4:5], 0x68
	s_cbranch_execz .LBB7_15
	s_branch .LBB7_16
.LBB7_14:
                                        ; implicit-def: $vgpr21
	s_load_dwordx2 s[36:37], s[4:5], 0x68
.LBB7_15:
	v_cmp_gt_u32_e32 vcc, s33, v20
	v_cndmask_b32_e64 v14, 0, 1, vcc
	v_and_b32_e32 v13, v14, v13
	v_or_b32_e32 v14, 1, v20
	v_cmp_gt_u32_e32 vcc, s33, v14
	v_cndmask_b32_e64 v14, 0, 1, vcc
	v_and_b32_sdwa v12, v14, v12 dst_sel:BYTE_1 dst_unused:UNUSED_PAD src0_sel:DWORD src1_sel:DWORD
	v_or_b32_e32 v14, 2, v20
	v_cmp_gt_u32_e32 vcc, s33, v14
	v_cndmask_b32_e64 v14, 0, 1, vcc
	v_and_b32_e32 v11, v14, v11
	v_or_b32_e32 v14, 3, v20
	v_cmp_gt_u32_e32 vcc, s33, v14
	v_cndmask_b32_e64 v14, 0, 1, vcc
	v_and_b32_sdwa v10, v14, v10 dst_sel:BYTE_1 dst_unused:UNUSED_PAD src0_sel:DWORD src1_sel:DWORD
	v_or_b32_e32 v12, v13, v12
	v_or_b32_sdwa v10, v11, v10 dst_sel:WORD_1 dst_unused:UNUSED_PAD src0_sel:DWORD src1_sel:DWORD
	v_or_b32_sdwa v21, v12, v10 dst_sel:DWORD dst_unused:UNUSED_PAD src0_sel:WORD_0 src1_sel:DWORD
.LBB7_16:
	v_bfe_u32 v23, v21, 16, 8
	v_lshrrev_b32_e32 v22, 24, v21
	v_add_u32_sdwa v10, v21, v21 dst_sel:DWORD dst_unused:UNUSED_PAD src0_sel:BYTE_1 src1_sel:BYTE_0
	v_add3_u32 v26, v10, v23, v22
	v_mbcnt_lo_u32_b32 v10, -1, 0
	v_mbcnt_hi_u32_b32 v24, -1, v10
	v_and_b32_e32 v10, 15, v24
	v_cmp_eq_u32_e64 s[16:17], 0, v10
	v_cmp_lt_u32_e64 s[14:15], 1, v10
	v_cmp_lt_u32_e64 s[12:13], 3, v10
	;; [unrolled: 1-line block ×3, first 2 shown]
	v_and_b32_e32 v10, 16, v24
	v_cmp_eq_u32_e64 s[20:21], 0, v10
	v_and_b32_e32 v10, 0xc0, v0
	v_min_u32_e32 v10, 0x80, v10
	v_or_b32_e32 v10, 63, v10
	s_cmp_lg_u32 s6, 0
	v_cmp_lt_u32_e64 s[2:3], 31, v24
	v_lshrrev_b32_e32 v25, 6, v0
	v_cmp_eq_u32_e64 s[8:9], v10, v0
	s_cbranch_scc0 .LBB7_43
; %bb.17:
	v_mov_b32_dpp v10, v26 row_shr:1 row_mask:0xf bank_mask:0xf
	v_cndmask_b32_e64 v10, v10, 0, s[16:17]
	v_add_u32_e32 v10, v10, v26
	s_nop 1
	v_mov_b32_dpp v11, v10 row_shr:2 row_mask:0xf bank_mask:0xf
	v_cndmask_b32_e64 v11, 0, v11, s[14:15]
	v_add_u32_e32 v10, v10, v11
	s_nop 1
	;; [unrolled: 4-line block ×4, first 2 shown]
	v_mov_b32_dpp v11, v10 row_bcast:15 row_mask:0xf bank_mask:0xf
	v_cndmask_b32_e64 v11, v11, 0, s[20:21]
	v_add_u32_e32 v10, v10, v11
	s_nop 1
	v_mov_b32_dpp v11, v10 row_bcast:31 row_mask:0xf bank_mask:0xf
	v_cndmask_b32_e64 v11, 0, v11, s[2:3]
	v_add_u32_e32 v10, v10, v11
	s_and_saveexec_b64 s[18:19], s[8:9]
	s_cbranch_execz .LBB7_19
; %bb.18:
	v_lshlrev_b32_e32 v11, 2, v25
	ds_write_b32 v11, v10
.LBB7_19:
	s_or_b64 exec, exec, s[18:19]
	v_cmp_gt_u32_e32 vcc, 3, v0
	s_waitcnt lgkmcnt(0)
	s_barrier
	s_and_saveexec_b64 s[18:19], vcc
	s_cbranch_execz .LBB7_21
; %bb.20:
	ds_read_b32 v11, v20
	v_and_b32_e32 v12, 3, v24
	v_cmp_ne_u32_e32 vcc, 0, v12
	s_waitcnt lgkmcnt(0)
	v_mov_b32_dpp v13, v11 row_shr:1 row_mask:0xf bank_mask:0xf
	v_cndmask_b32_e32 v13, 0, v13, vcc
	v_add_u32_e32 v11, v13, v11
	v_cmp_lt_u32_e32 vcc, 1, v12
	s_nop 0
	v_mov_b32_dpp v13, v11 row_shr:2 row_mask:0xf bank_mask:0xf
	v_cndmask_b32_e32 v12, 0, v13, vcc
	v_add_u32_e32 v11, v11, v12
	ds_write_b32 v20, v11
.LBB7_21:
	s_or_b64 exec, exec, s[18:19]
	v_cmp_gt_u32_e32 vcc, 64, v0
	v_cmp_lt_u32_e64 s[18:19], 63, v0
	s_waitcnt lgkmcnt(0)
	s_barrier
	s_waitcnt lgkmcnt(0)
                                        ; implicit-def: $vgpr27
	s_and_saveexec_b64 s[38:39], s[18:19]
	s_cbranch_execz .LBB7_23
; %bb.22:
	v_lshl_add_u32 v11, v25, 2, -4
	ds_read_b32 v27, v11
	s_waitcnt lgkmcnt(0)
	v_add_u32_e32 v10, v27, v10
.LBB7_23:
	s_or_b64 exec, exec, s[38:39]
	v_add_u32_e32 v11, -1, v24
	v_and_b32_e32 v12, 64, v24
	v_cmp_lt_i32_e64 s[18:19], v11, v12
	v_cndmask_b32_e64 v11, v11, v24, s[18:19]
	v_lshlrev_b32_e32 v11, 2, v11
	ds_bpermute_b32 v28, v11, v10
	v_cmp_eq_u32_e64 s[18:19], 0, v24
	s_and_saveexec_b64 s[38:39], vcc
	s_cbranch_execz .LBB7_42
; %bb.24:
	v_mov_b32_e32 v17, 0
	ds_read_b32 v10, v17 offset:8
	s_and_saveexec_b64 s[40:41], s[18:19]
	s_cbranch_execz .LBB7_26
; %bb.25:
	s_add_i32 s42, s6, 64
	s_mov_b32 s43, 0
	s_lshl_b64 s[42:43], s[42:43], 3
	s_add_u32 s42, s36, s42
	v_mov_b32_e32 v11, 1
	s_addc_u32 s43, s37, s43
	s_waitcnt lgkmcnt(0)
	global_store_dwordx2 v17, v[10:11], s[42:43]
.LBB7_26:
	s_or_b64 exec, exec, s[40:41]
	v_xad_u32 v12, v24, -1, s6
	v_add_u32_e32 v16, 64, v12
	v_lshlrev_b64 v[14:15], 3, v[16:17]
	v_mov_b32_e32 v11, s37
	v_add_co_u32_e32 v18, vcc, s36, v14
	v_addc_co_u32_e32 v19, vcc, v11, v15, vcc
	global_load_dwordx2 v[14:15], v[18:19], off glc
	s_waitcnt vmcnt(0)
	v_cmp_eq_u16_sdwa s[42:43], v15, v17 src0_sel:BYTE_0 src1_sel:DWORD
	s_and_saveexec_b64 s[40:41], s[42:43]
	s_cbranch_execz .LBB7_30
; %bb.27:
	s_mov_b64 s[42:43], 0
	v_mov_b32_e32 v11, 0
.LBB7_28:                               ; =>This Inner Loop Header: Depth=1
	global_load_dwordx2 v[14:15], v[18:19], off glc
	s_waitcnt vmcnt(0)
	v_cmp_ne_u16_sdwa s[44:45], v15, v11 src0_sel:BYTE_0 src1_sel:DWORD
	s_or_b64 s[42:43], s[44:45], s[42:43]
	s_andn2_b64 exec, exec, s[42:43]
	s_cbranch_execnz .LBB7_28
; %bb.29:
	s_or_b64 exec, exec, s[42:43]
.LBB7_30:
	s_or_b64 exec, exec, s[40:41]
	v_and_b32_e32 v30, 63, v24
	v_mov_b32_e32 v29, 2
	v_cmp_ne_u32_e32 vcc, 63, v30
	v_cmp_eq_u16_sdwa s[40:41], v15, v29 src0_sel:BYTE_0 src1_sel:DWORD
	v_lshlrev_b64 v[16:17], v24, -1
	v_addc_co_u32_e32 v18, vcc, 0, v24, vcc
	v_and_b32_e32 v11, s41, v17
	v_lshlrev_b32_e32 v31, 2, v18
	v_or_b32_e32 v11, 0x80000000, v11
	ds_bpermute_b32 v18, v31, v14
	v_and_b32_e32 v13, s40, v16
	v_ffbl_b32_e32 v11, v11
	v_add_u32_e32 v11, 32, v11
	v_ffbl_b32_e32 v13, v13
	v_min_u32_e32 v11, v13, v11
	v_cmp_lt_u32_e32 vcc, v30, v11
	s_waitcnt lgkmcnt(0)
	v_cndmask_b32_e32 v13, 0, v18, vcc
	v_cmp_gt_u32_e32 vcc, 62, v30
	v_add_u32_e32 v13, v13, v14
	v_cndmask_b32_e64 v14, 0, 1, vcc
	v_lshlrev_b32_e32 v14, 1, v14
	v_add_lshl_u32 v32, v14, v24, 2
	ds_bpermute_b32 v14, v32, v13
	v_add_u32_e32 v33, 2, v30
	v_cmp_le_u32_e32 vcc, v33, v11
	v_add_u32_e32 v35, 4, v30
	v_add_u32_e32 v37, 8, v30
	s_waitcnt lgkmcnt(0)
	v_cndmask_b32_e32 v14, 0, v14, vcc
	v_cmp_gt_u32_e32 vcc, 60, v30
	v_add_u32_e32 v13, v13, v14
	v_cndmask_b32_e64 v14, 0, 1, vcc
	v_lshlrev_b32_e32 v14, 2, v14
	v_add_lshl_u32 v34, v14, v24, 2
	ds_bpermute_b32 v14, v34, v13
	v_cmp_le_u32_e32 vcc, v35, v11
	v_add_u32_e32 v39, 16, v30
	v_add_u32_e32 v41, 32, v30
	s_waitcnt lgkmcnt(0)
	v_cndmask_b32_e32 v14, 0, v14, vcc
	v_cmp_gt_u32_e32 vcc, 56, v30
	v_add_u32_e32 v13, v13, v14
	v_cndmask_b32_e64 v14, 0, 1, vcc
	v_lshlrev_b32_e32 v14, 3, v14
	v_add_lshl_u32 v36, v14, v24, 2
	ds_bpermute_b32 v14, v36, v13
	v_cmp_le_u32_e32 vcc, v37, v11
	s_waitcnt lgkmcnt(0)
	v_cndmask_b32_e32 v14, 0, v14, vcc
	v_cmp_gt_u32_e32 vcc, 48, v30
	v_add_u32_e32 v13, v13, v14
	v_cndmask_b32_e64 v14, 0, 1, vcc
	v_lshlrev_b32_e32 v14, 4, v14
	v_add_lshl_u32 v38, v14, v24, 2
	ds_bpermute_b32 v14, v38, v13
	v_cmp_le_u32_e32 vcc, v39, v11
	;; [unrolled: 9-line block ×3, first 2 shown]
	s_waitcnt lgkmcnt(0)
	v_cndmask_b32_e32 v11, 0, v14, vcc
	v_add_u32_e32 v14, v13, v11
	v_mov_b32_e32 v13, 0
	s_branch .LBB7_32
.LBB7_31:                               ;   in Loop: Header=BB7_32 Depth=1
	s_or_b64 exec, exec, s[40:41]
	v_cmp_eq_u16_sdwa s[40:41], v15, v29 src0_sel:BYTE_0 src1_sel:DWORD
	v_and_b32_e32 v18, s41, v17
	v_or_b32_e32 v18, 0x80000000, v18
	ds_bpermute_b32 v42, v31, v14
	v_and_b32_e32 v19, s40, v16
	v_ffbl_b32_e32 v18, v18
	v_add_u32_e32 v18, 32, v18
	v_ffbl_b32_e32 v19, v19
	v_min_u32_e32 v18, v19, v18
	v_cmp_lt_u32_e32 vcc, v30, v18
	s_waitcnt lgkmcnt(0)
	v_cndmask_b32_e32 v19, 0, v42, vcc
	v_add_u32_e32 v14, v19, v14
	ds_bpermute_b32 v19, v32, v14
	v_cmp_le_u32_e32 vcc, v33, v18
	v_subrev_u32_e32 v12, 64, v12
	s_waitcnt lgkmcnt(0)
	v_cndmask_b32_e32 v19, 0, v19, vcc
	v_add_u32_e32 v14, v14, v19
	ds_bpermute_b32 v19, v34, v14
	v_cmp_le_u32_e32 vcc, v35, v18
	s_waitcnt lgkmcnt(0)
	v_cndmask_b32_e32 v19, 0, v19, vcc
	v_add_u32_e32 v14, v14, v19
	ds_bpermute_b32 v19, v36, v14
	v_cmp_le_u32_e32 vcc, v37, v18
	;; [unrolled: 5-line block ×4, first 2 shown]
	s_waitcnt lgkmcnt(0)
	v_cndmask_b32_e32 v18, 0, v19, vcc
	v_add3_u32 v14, v18, v11, v14
.LBB7_32:                               ; =>This Loop Header: Depth=1
                                        ;     Child Loop BB7_35 Depth 2
	v_cmp_ne_u16_sdwa s[40:41], v15, v29 src0_sel:BYTE_0 src1_sel:DWORD
	v_cndmask_b32_e64 v11, 0, 1, s[40:41]
	;;#ASMSTART
	;;#ASMEND
	v_cmp_ne_u32_e32 vcc, 0, v11
	s_cmp_lg_u64 vcc, exec
	v_mov_b32_e32 v11, v14
	s_cbranch_scc1 .LBB7_37
; %bb.33:                               ;   in Loop: Header=BB7_32 Depth=1
	v_lshlrev_b64 v[14:15], 3, v[12:13]
	v_mov_b32_e32 v19, s37
	v_add_co_u32_e32 v18, vcc, s36, v14
	v_addc_co_u32_e32 v19, vcc, v19, v15, vcc
	global_load_dwordx2 v[14:15], v[18:19], off glc
	s_waitcnt vmcnt(0)
	v_cmp_eq_u16_sdwa s[42:43], v15, v13 src0_sel:BYTE_0 src1_sel:DWORD
	s_and_saveexec_b64 s[40:41], s[42:43]
	s_cbranch_execz .LBB7_31
; %bb.34:                               ;   in Loop: Header=BB7_32 Depth=1
	s_mov_b64 s[42:43], 0
.LBB7_35:                               ;   Parent Loop BB7_32 Depth=1
                                        ; =>  This Inner Loop Header: Depth=2
	global_load_dwordx2 v[14:15], v[18:19], off glc
	s_waitcnt vmcnt(0)
	v_cmp_ne_u16_sdwa s[44:45], v15, v13 src0_sel:BYTE_0 src1_sel:DWORD
	s_or_b64 s[42:43], s[44:45], s[42:43]
	s_andn2_b64 exec, exec, s[42:43]
	s_cbranch_execnz .LBB7_35
; %bb.36:                               ;   in Loop: Header=BB7_32 Depth=1
	s_or_b64 exec, exec, s[42:43]
	s_branch .LBB7_31
.LBB7_37:                               ;   in Loop: Header=BB7_32 Depth=1
                                        ; implicit-def: $vgpr14
                                        ; implicit-def: $vgpr15
	s_cbranch_execz .LBB7_32
; %bb.38:
	s_and_saveexec_b64 s[40:41], s[18:19]
	s_cbranch_execz .LBB7_40
; %bb.39:
	s_add_i32 s6, s6, 64
	s_mov_b32 s7, 0
	s_lshl_b64 s[6:7], s[6:7], 3
	s_add_u32 s6, s36, s6
	v_add_u32_e32 v12, v11, v10
	v_mov_b32_e32 v13, 2
	s_addc_u32 s7, s37, s7
	v_mov_b32_e32 v14, 0
	global_store_dwordx2 v14, v[12:13], s[6:7]
	ds_write_b64 v14, v[10:11] offset:6336
.LBB7_40:
	s_or_b64 exec, exec, s[40:41]
	v_cmp_eq_u32_e32 vcc, 0, v0
	s_and_b64 exec, exec, vcc
	s_cbranch_execz .LBB7_42
; %bb.41:
	v_mov_b32_e32 v10, 0
	ds_write_b32 v10, v11 offset:8
.LBB7_42:
	s_or_b64 exec, exec, s[38:39]
	v_mov_b32_e32 v10, 0
	s_waitcnt lgkmcnt(0)
	s_barrier
	ds_read_b32 v11, v10 offset:8
	v_cndmask_b32_e64 v12, v28, v27, s[18:19]
	v_cmp_ne_u32_e32 vcc, 0, v0
	v_cndmask_b32_e32 v12, 0, v12, vcc
	s_waitcnt lgkmcnt(0)
	v_add_u32_e32 v14, v11, v12
	s_barrier
	ds_read_b64 v[10:11], v10 offset:6336
	v_add_u32_sdwa v15, v14, v21 dst_sel:DWORD dst_unused:UNUSED_PAD src0_sel:DWORD src1_sel:BYTE_0
	v_add_u32_sdwa v13, v15, v21 dst_sel:DWORD dst_unused:UNUSED_PAD src0_sel:DWORD src1_sel:BYTE_1
	v_add_u32_e32 v12, v13, v23
	s_load_dwordx2 s[4:5], s[4:5], 0x28
	s_branch .LBB7_53
.LBB7_43:
                                        ; implicit-def: $vgpr11
                                        ; implicit-def: $vgpr12
                                        ; implicit-def: $vgpr13
                                        ; implicit-def: $vgpr15
                                        ; implicit-def: $vgpr14
	s_load_dwordx2 s[4:5], s[4:5], 0x28
	s_cbranch_execz .LBB7_53
; %bb.44:
	s_waitcnt lgkmcnt(0)
	v_mov_b32_dpp v10, v26 row_shr:1 row_mask:0xf bank_mask:0xf
	v_cndmask_b32_e64 v10, v10, 0, s[16:17]
	v_add_u32_e32 v10, v10, v26
	s_nop 1
	v_mov_b32_dpp v11, v10 row_shr:2 row_mask:0xf bank_mask:0xf
	v_cndmask_b32_e64 v11, 0, v11, s[14:15]
	v_add_u32_e32 v10, v10, v11
	s_nop 1
	;; [unrolled: 4-line block ×4, first 2 shown]
	v_mov_b32_dpp v11, v10 row_bcast:15 row_mask:0xf bank_mask:0xf
	v_cndmask_b32_e64 v11, v11, 0, s[20:21]
	v_add_u32_e32 v10, v10, v11
	s_nop 1
	v_mov_b32_dpp v11, v10 row_bcast:31 row_mask:0xf bank_mask:0xf
	v_cndmask_b32_e64 v11, 0, v11, s[2:3]
	v_add_u32_e32 v10, v10, v11
	s_and_saveexec_b64 s[2:3], s[8:9]
	s_cbranch_execz .LBB7_46
; %bb.45:
	v_lshlrev_b32_e32 v11, 2, v25
	ds_write_b32 v11, v10
.LBB7_46:
	s_or_b64 exec, exec, s[2:3]
	v_cmp_gt_u32_e32 vcc, 3, v0
	s_waitcnt lgkmcnt(0)
	s_barrier
	s_and_saveexec_b64 s[2:3], vcc
	s_cbranch_execz .LBB7_48
; %bb.47:
	ds_read_b32 v11, v20
	v_and_b32_e32 v12, 3, v24
	v_cmp_ne_u32_e32 vcc, 0, v12
	s_waitcnt lgkmcnt(0)
	v_mov_b32_dpp v13, v11 row_shr:1 row_mask:0xf bank_mask:0xf
	v_cndmask_b32_e32 v13, 0, v13, vcc
	v_add_u32_e32 v11, v13, v11
	v_cmp_lt_u32_e32 vcc, 1, v12
	s_nop 0
	v_mov_b32_dpp v13, v11 row_shr:2 row_mask:0xf bank_mask:0xf
	v_cndmask_b32_e32 v12, 0, v13, vcc
	v_add_u32_e32 v11, v11, v12
	ds_write_b32 v20, v11
.LBB7_48:
	s_or_b64 exec, exec, s[2:3]
	v_cmp_lt_u32_e32 vcc, 63, v0
	v_mov_b32_e32 v11, 0
	v_mov_b32_e32 v12, 0
	s_waitcnt lgkmcnt(0)
	s_barrier
	s_and_saveexec_b64 s[2:3], vcc
	s_cbranch_execz .LBB7_50
; %bb.49:
	v_lshl_add_u32 v12, v25, 2, -4
	ds_read_b32 v12, v12
.LBB7_50:
	s_or_b64 exec, exec, s[2:3]
	v_add_u32_e32 v13, -1, v24
	v_and_b32_e32 v14, 64, v24
	v_cmp_lt_i32_e32 vcc, v13, v14
	v_cndmask_b32_e32 v13, v13, v24, vcc
	s_waitcnt lgkmcnt(0)
	v_add_u32_e32 v10, v12, v10
	v_lshlrev_b32_e32 v13, 2, v13
	ds_bpermute_b32 v13, v13, v10
	ds_read_b32 v10, v11 offset:8
	v_cmp_eq_u32_e32 vcc, 0, v0
	s_and_saveexec_b64 s[2:3], vcc
	s_cbranch_execz .LBB7_52
; %bb.51:
	v_mov_b32_e32 v14, 0
	v_mov_b32_e32 v11, 2
	s_waitcnt lgkmcnt(0)
	global_store_dwordx2 v14, v[10:11], s[36:37] offset:512
.LBB7_52:
	s_or_b64 exec, exec, s[2:3]
	v_cmp_eq_u32_e64 s[2:3], 0, v24
	s_waitcnt lgkmcnt(1)
	v_cndmask_b32_e64 v12, v13, v12, s[2:3]
	v_cndmask_b32_e64 v14, v12, 0, vcc
	v_add_u32_sdwa v15, v14, v21 dst_sel:DWORD dst_unused:UNUSED_PAD src0_sel:DWORD src1_sel:BYTE_0
	v_add_u32_sdwa v13, v15, v21 dst_sel:DWORD dst_unused:UNUSED_PAD src0_sel:DWORD src1_sel:BYTE_1
	v_mov_b32_e32 v11, 0
	v_add_u32_e32 v12, v13, v23
	s_waitcnt lgkmcnt(0)
	s_barrier
.LBB7_53:
	s_waitcnt lgkmcnt(0)
	v_add_u32_e32 v17, v10, v20
	v_sub_u32_e32 v14, v14, v11
	v_and_b32_e32 v19, 1, v21
	v_sub_u32_e32 v18, v17, v14
	v_cmp_eq_u32_e32 vcc, 1, v19
	v_cndmask_b32_e32 v14, v18, v14, vcc
	v_lshlrev_b32_e32 v14, 3, v14
	v_lshrrev_b32_e32 v16, 8, v21
	ds_write_b64 v14, v[6:7]
	v_sub_u32_e32 v6, v15, v11
	v_sub_u32_e32 v7, v17, v6
	v_and_b32_e32 v14, 1, v16
	v_add_u32_e32 v7, 1, v7
	v_cmp_eq_u32_e32 vcc, 1, v14
	v_cndmask_b32_e32 v6, v7, v6, vcc
	v_lshlrev_b32_e32 v6, 3, v6
	ds_write_b64 v6, v[8:9]
	v_sub_u32_e32 v6, v13, v11
	v_mov_b32_e32 v8, 1
	v_sub_u32_e32 v7, v17, v6
	v_and_b32_sdwa v8, v8, v21 dst_sel:DWORD dst_unused:UNUSED_PAD src0_sel:DWORD src1_sel:WORD_1
	v_add_u32_e32 v7, 2, v7
	v_cmp_eq_u32_e32 vcc, 1, v8
	v_cndmask_b32_e32 v6, v7, v6, vcc
	v_lshlrev_b32_e32 v6, 3, v6
	ds_write_b64 v6, v[2:3]
	v_sub_u32_e32 v2, v12, v11
	v_sub_u32_e32 v3, v17, v2
	v_and_b32_e32 v6, 1, v22
	v_add_u32_e32 v3, 3, v3
	v_cmp_eq_u32_e32 vcc, 1, v6
	v_cndmask_b32_e32 v2, v3, v2, vcc
	s_add_u32 s2, s22, s30
	v_lshlrev_b32_e32 v2, 3, v2
	s_addc_u32 s3, s23, 0
	ds_write_b64 v2, v[4:5]
	s_waitcnt lgkmcnt(0)
	s_barrier
	ds_read2st64_b64 v[6:9], v1 offset1:3
	ds_read2st64_b64 v[2:5], v1 offset0:6 offset1:9
	v_mov_b32_e32 v12, s35
	v_add_co_u32_e32 v1, vcc, s34, v11
	s_sub_u32 s2, s28, s2
	v_addc_co_u32_e32 v11, vcc, 0, v12, vcc
	s_subb_u32 s3, s29, s3
	v_mov_b32_e32 v12, s3
	v_add_co_u32_e32 v13, vcc, s2, v10
	v_addc_co_u32_e32 v12, vcc, 0, v12, vcc
	s_and_b64 vcc, exec, s[0:1]
	v_add_co_u32_e64 v15, s[0:1], v13, v1
	v_add_u32_e32 v18, 0xc0, v0
	v_add_u32_e32 v17, 0x180, v0
	;; [unrolled: 1-line block ×3, first 2 shown]
	v_addc_co_u32_e64 v16, s[0:1], v12, v11, s[0:1]
	s_cbranch_vccnz .LBB7_71
; %bb.54:
	v_cmp_ge_u32_e32 vcc, v0, v10
                                        ; implicit-def: $vgpr12_vgpr13
	s_and_saveexec_b64 s[0:1], vcc
	s_xor_b64 s[0:1], exec, s[0:1]
; %bb.55:
	v_not_b32_e32 v12, v0
	v_ashrrev_i32_e32 v13, 31, v12
	v_add_co_u32_e32 v12, vcc, v15, v12
	v_addc_co_u32_e32 v13, vcc, v16, v13, vcc
; %bb.56:
	s_andn2_saveexec_b64 s[0:1], s[0:1]
; %bb.57:
	v_add_co_u32_e32 v12, vcc, v1, v0
	v_addc_co_u32_e32 v13, vcc, 0, v11, vcc
; %bb.58:
	s_or_b64 exec, exec, s[0:1]
	v_lshlrev_b64 v[12:13], 3, v[12:13]
	v_mov_b32_e32 v19, s5
	v_add_co_u32_e32 v12, vcc, s4, v12
	v_addc_co_u32_e32 v13, vcc, v19, v13, vcc
	v_cmp_ge_u32_e32 vcc, v18, v10
	s_waitcnt lgkmcnt(1)
	global_store_dwordx2 v[12:13], v[6:7], off
                                        ; implicit-def: $vgpr12_vgpr13
	s_and_saveexec_b64 s[0:1], vcc
	s_xor_b64 s[0:1], exec, s[0:1]
; %bb.59:
	v_sub_u32_e32 v12, 0xffffff3f, v0
	v_ashrrev_i32_e32 v13, 31, v12
	v_add_co_u32_e32 v12, vcc, v15, v12
	v_addc_co_u32_e32 v13, vcc, v16, v13, vcc
; %bb.60:
	s_andn2_saveexec_b64 s[0:1], s[0:1]
; %bb.61:
	v_add_co_u32_e32 v12, vcc, v1, v18
	v_addc_co_u32_e32 v13, vcc, 0, v11, vcc
; %bb.62:
	s_or_b64 exec, exec, s[0:1]
	v_lshlrev_b64 v[12:13], 3, v[12:13]
	v_mov_b32_e32 v19, s5
	v_add_co_u32_e32 v12, vcc, s4, v12
	v_addc_co_u32_e32 v13, vcc, v19, v13, vcc
	v_cmp_ge_u32_e32 vcc, v17, v10
	global_store_dwordx2 v[12:13], v[8:9], off
                                        ; implicit-def: $vgpr12_vgpr13
	s_and_saveexec_b64 s[0:1], vcc
	s_xor_b64 s[0:1], exec, s[0:1]
; %bb.63:
	v_sub_u32_e32 v12, 0xfffffe7f, v0
	v_ashrrev_i32_e32 v13, 31, v12
	v_add_co_u32_e32 v12, vcc, v15, v12
	v_addc_co_u32_e32 v13, vcc, v16, v13, vcc
; %bb.64:
	s_andn2_saveexec_b64 s[0:1], s[0:1]
; %bb.65:
	v_add_co_u32_e32 v12, vcc, v1, v17
	v_addc_co_u32_e32 v13, vcc, 0, v11, vcc
; %bb.66:
	s_or_b64 exec, exec, s[0:1]
	v_lshlrev_b64 v[12:13], 3, v[12:13]
	v_mov_b32_e32 v19, s5
	v_add_co_u32_e32 v12, vcc, s4, v12
	v_addc_co_u32_e32 v13, vcc, v19, v13, vcc
	v_cmp_ge_u32_e32 vcc, v14, v10
	s_waitcnt lgkmcnt(0)
	global_store_dwordx2 v[12:13], v[2:3], off
                                        ; implicit-def: $vgpr12_vgpr13
	s_and_saveexec_b64 s[0:1], vcc
	s_xor_b64 s[0:1], exec, s[0:1]
; %bb.67:
	v_sub_u32_e32 v12, 0xfffffdbf, v0
	v_ashrrev_i32_e32 v13, 31, v12
	v_add_co_u32_e32 v12, vcc, v15, v12
	v_addc_co_u32_e32 v13, vcc, v16, v13, vcc
; %bb.68:
	s_andn2_saveexec_b64 s[0:1], s[0:1]
; %bb.69:
	v_add_co_u32_e32 v12, vcc, v1, v14
	v_addc_co_u32_e32 v13, vcc, 0, v11, vcc
; %bb.70:
	s_or_b64 exec, exec, s[0:1]
	s_mov_b64 s[0:1], -1
	s_branch .LBB7_97
.LBB7_71:
	s_mov_b64 s[0:1], 0
                                        ; implicit-def: $vgpr12_vgpr13
	s_cbranch_execz .LBB7_97
; %bb.72:
	v_cmp_gt_u32_e32 vcc, s33, v0
	s_and_saveexec_b64 s[2:3], vcc
	s_cbranch_execz .LBB7_80
; %bb.73:
	v_cmp_ge_u32_e32 vcc, v0, v10
                                        ; implicit-def: $vgpr12_vgpr13
	s_and_saveexec_b64 s[6:7], vcc
	s_xor_b64 s[6:7], exec, s[6:7]
; %bb.74:
	v_not_b32_e32 v12, v0
	v_ashrrev_i32_e32 v13, 31, v12
	v_add_co_u32_e32 v12, vcc, v15, v12
	v_addc_co_u32_e32 v13, vcc, v16, v13, vcc
; %bb.75:
	s_andn2_saveexec_b64 s[6:7], s[6:7]
; %bb.76:
	v_add_co_u32_e32 v12, vcc, v1, v0
	v_addc_co_u32_e32 v13, vcc, 0, v11, vcc
; %bb.77:
	s_or_b64 exec, exec, s[6:7]
	v_lshlrev_b64 v[12:13], 3, v[12:13]
	v_mov_b32_e32 v19, s5
	v_add_co_u32_e32 v12, vcc, s4, v12
	v_addc_co_u32_e32 v13, vcc, v19, v13, vcc
	s_waitcnt lgkmcnt(1)
	global_store_dwordx2 v[12:13], v[6:7], off
	s_or_b64 exec, exec, s[2:3]
	v_cmp_gt_u32_e32 vcc, s33, v18
	s_and_saveexec_b64 s[2:3], vcc
	s_cbranch_execnz .LBB7_81
.LBB7_78:
	s_or_b64 exec, exec, s[2:3]
	v_cmp_gt_u32_e32 vcc, s33, v17
	s_and_saveexec_b64 s[2:3], vcc
	s_cbranch_execnz .LBB7_86
.LBB7_79:
	s_or_b64 exec, exec, s[2:3]
	v_cmp_gt_u32_e32 vcc, s33, v14
                                        ; implicit-def: $vgpr12_vgpr13
	s_and_saveexec_b64 s[2:3], vcc
	s_cbranch_execz .LBB7_96
	s_branch .LBB7_91
.LBB7_80:
	s_or_b64 exec, exec, s[2:3]
	v_cmp_gt_u32_e32 vcc, s33, v18
	s_and_saveexec_b64 s[2:3], vcc
	s_cbranch_execz .LBB7_78
.LBB7_81:
	v_cmp_ge_u32_e32 vcc, v18, v10
                                        ; implicit-def: $vgpr6_vgpr7
	s_and_saveexec_b64 s[6:7], vcc
	s_xor_b64 s[6:7], exec, s[6:7]
	s_cbranch_execz .LBB7_83
; %bb.82:
	s_waitcnt lgkmcnt(1)
	v_sub_u32_e32 v6, 0xffffff3f, v0
	v_ashrrev_i32_e32 v7, 31, v6
	v_add_co_u32_e32 v6, vcc, v15, v6
	v_addc_co_u32_e32 v7, vcc, v16, v7, vcc
                                        ; implicit-def: $vgpr18
.LBB7_83:
	s_andn2_saveexec_b64 s[6:7], s[6:7]
	s_cbranch_execz .LBB7_85
; %bb.84:
	s_waitcnt lgkmcnt(1)
	v_add_co_u32_e32 v6, vcc, v1, v18
	v_addc_co_u32_e32 v7, vcc, 0, v11, vcc
.LBB7_85:
	s_or_b64 exec, exec, s[6:7]
	s_waitcnt lgkmcnt(1)
	v_lshlrev_b64 v[6:7], 3, v[6:7]
	v_mov_b32_e32 v12, s5
	v_add_co_u32_e32 v6, vcc, s4, v6
	v_addc_co_u32_e32 v7, vcc, v12, v7, vcc
	global_store_dwordx2 v[6:7], v[8:9], off
	s_or_b64 exec, exec, s[2:3]
	v_cmp_gt_u32_e32 vcc, s33, v17
	s_and_saveexec_b64 s[2:3], vcc
	s_cbranch_execz .LBB7_79
.LBB7_86:
	v_cmp_ge_u32_e32 vcc, v17, v10
                                        ; implicit-def: $vgpr6_vgpr7
	s_and_saveexec_b64 s[6:7], vcc
	s_xor_b64 s[6:7], exec, s[6:7]
	s_cbranch_execz .LBB7_88
; %bb.87:
	s_waitcnt lgkmcnt(1)
	v_sub_u32_e32 v6, 0xfffffe7f, v0
	v_ashrrev_i32_e32 v7, 31, v6
	v_add_co_u32_e32 v6, vcc, v15, v6
	v_addc_co_u32_e32 v7, vcc, v16, v7, vcc
                                        ; implicit-def: $vgpr17
.LBB7_88:
	s_andn2_saveexec_b64 s[6:7], s[6:7]
	s_cbranch_execz .LBB7_90
; %bb.89:
	s_waitcnt lgkmcnt(1)
	v_add_co_u32_e32 v6, vcc, v1, v17
	v_addc_co_u32_e32 v7, vcc, 0, v11, vcc
.LBB7_90:
	s_or_b64 exec, exec, s[6:7]
	s_waitcnt lgkmcnt(1)
	v_lshlrev_b64 v[6:7], 3, v[6:7]
	v_mov_b32_e32 v8, s5
	v_add_co_u32_e32 v6, vcc, s4, v6
	v_addc_co_u32_e32 v7, vcc, v8, v7, vcc
	s_waitcnt lgkmcnt(0)
	global_store_dwordx2 v[6:7], v[2:3], off
	s_or_b64 exec, exec, s[2:3]
	v_cmp_gt_u32_e32 vcc, s33, v14
                                        ; implicit-def: $vgpr12_vgpr13
	s_and_saveexec_b64 s[2:3], vcc
	s_cbranch_execz .LBB7_96
.LBB7_91:
	v_cmp_ge_u32_e32 vcc, v14, v10
                                        ; implicit-def: $vgpr12_vgpr13
	s_and_saveexec_b64 s[6:7], vcc
	s_xor_b64 s[6:7], exec, s[6:7]
	s_cbranch_execz .LBB7_93
; %bb.92:
	s_waitcnt lgkmcnt(0)
	v_sub_u32_e32 v2, 0xfffffdbf, v0
	v_ashrrev_i32_e32 v3, 31, v2
	v_add_co_u32_e32 v12, vcc, v15, v2
	v_addc_co_u32_e32 v13, vcc, v16, v3, vcc
                                        ; implicit-def: $vgpr14
.LBB7_93:
	s_andn2_saveexec_b64 s[6:7], s[6:7]
; %bb.94:
	v_add_co_u32_e32 v12, vcc, v1, v14
	v_addc_co_u32_e32 v13, vcc, 0, v11, vcc
; %bb.95:
	s_or_b64 exec, exec, s[6:7]
	s_or_b64 s[0:1], s[0:1], exec
.LBB7_96:
	s_or_b64 exec, exec, s[2:3]
.LBB7_97:
	s_and_saveexec_b64 s[2:3], s[0:1]
	s_cbranch_execz .LBB7_99
; %bb.98:
	s_waitcnt lgkmcnt(0)
	v_lshlrev_b64 v[2:3], 3, v[12:13]
	v_mov_b32_e32 v6, s5
	v_add_co_u32_e32 v2, vcc, s4, v2
	v_addc_co_u32_e32 v3, vcc, v6, v3, vcc
	global_store_dwordx2 v[2:3], v[4:5], off
.LBB7_99:
	s_or_b64 exec, exec, s[2:3]
	v_cmp_eq_u32_e32 vcc, 0, v0
	s_and_b64 s[0:1], vcc, s[26:27]
	s_and_saveexec_b64 s[2:3], s[0:1]
	s_cbranch_execz .LBB7_101
; %bb.100:
	v_add_co_u32_e32 v0, vcc, v1, v10
	s_waitcnt lgkmcnt(0)
	v_mov_b32_e32 v2, 0
	v_addc_co_u32_e32 v1, vcc, 0, v11, vcc
	global_store_dwordx2 v2, v[0:1], s[24:25]
.LBB7_101:
	s_endpgm
	.section	.rodata,"a",@progbits
	.p2align	6, 0x0
	.amdhsa_kernel _ZN7rocprim17ROCPRIM_400000_NS6detail17trampoline_kernelINS0_14default_configENS1_25partition_config_selectorILNS1_17partition_subalgoE3ExNS0_10empty_typeEbEEZZNS1_14partition_implILS5_3ELb0ES3_jN6thrust23THRUST_200600_302600_NS6detail15normal_iteratorINSA_7pointerIxNSA_11hip_rocprim3tagENSA_11use_defaultESG_EEEEPS6_SJ_NS0_5tupleIJPxSJ_EEENSK_IJSJ_SJ_EEES6_PlJ7is_evenIxEEEE10hipError_tPvRmT3_T4_T5_T6_T7_T9_mT8_P12ihipStream_tbDpT10_ENKUlT_T0_E_clISt17integral_constantIbLb0EES1A_EEDaS15_S16_EUlS15_E_NS1_11comp_targetILNS1_3genE4ELNS1_11target_archE910ELNS1_3gpuE8ELNS1_3repE0EEENS1_30default_config_static_selectorELNS0_4arch9wavefront6targetE1EEEvT1_
		.amdhsa_group_segment_fixed_size 6344
		.amdhsa_private_segment_fixed_size 0
		.amdhsa_kernarg_size 120
		.amdhsa_user_sgpr_count 6
		.amdhsa_user_sgpr_private_segment_buffer 1
		.amdhsa_user_sgpr_dispatch_ptr 0
		.amdhsa_user_sgpr_queue_ptr 0
		.amdhsa_user_sgpr_kernarg_segment_ptr 1
		.amdhsa_user_sgpr_dispatch_id 0
		.amdhsa_user_sgpr_flat_scratch_init 0
		.amdhsa_user_sgpr_kernarg_preload_length 0
		.amdhsa_user_sgpr_kernarg_preload_offset 0
		.amdhsa_user_sgpr_private_segment_size 0
		.amdhsa_uses_dynamic_stack 0
		.amdhsa_system_sgpr_private_segment_wavefront_offset 0
		.amdhsa_system_sgpr_workgroup_id_x 1
		.amdhsa_system_sgpr_workgroup_id_y 0
		.amdhsa_system_sgpr_workgroup_id_z 0
		.amdhsa_system_sgpr_workgroup_info 0
		.amdhsa_system_vgpr_workitem_id 0
		.amdhsa_next_free_vgpr 43
		.amdhsa_next_free_sgpr 46
		.amdhsa_accum_offset 44
		.amdhsa_reserve_vcc 1
		.amdhsa_reserve_flat_scratch 0
		.amdhsa_float_round_mode_32 0
		.amdhsa_float_round_mode_16_64 0
		.amdhsa_float_denorm_mode_32 3
		.amdhsa_float_denorm_mode_16_64 3
		.amdhsa_dx10_clamp 1
		.amdhsa_ieee_mode 1
		.amdhsa_fp16_overflow 0
		.amdhsa_tg_split 0
		.amdhsa_exception_fp_ieee_invalid_op 0
		.amdhsa_exception_fp_denorm_src 0
		.amdhsa_exception_fp_ieee_div_zero 0
		.amdhsa_exception_fp_ieee_overflow 0
		.amdhsa_exception_fp_ieee_underflow 0
		.amdhsa_exception_fp_ieee_inexact 0
		.amdhsa_exception_int_div_zero 0
	.end_amdhsa_kernel
	.section	.text._ZN7rocprim17ROCPRIM_400000_NS6detail17trampoline_kernelINS0_14default_configENS1_25partition_config_selectorILNS1_17partition_subalgoE3ExNS0_10empty_typeEbEEZZNS1_14partition_implILS5_3ELb0ES3_jN6thrust23THRUST_200600_302600_NS6detail15normal_iteratorINSA_7pointerIxNSA_11hip_rocprim3tagENSA_11use_defaultESG_EEEEPS6_SJ_NS0_5tupleIJPxSJ_EEENSK_IJSJ_SJ_EEES6_PlJ7is_evenIxEEEE10hipError_tPvRmT3_T4_T5_T6_T7_T9_mT8_P12ihipStream_tbDpT10_ENKUlT_T0_E_clISt17integral_constantIbLb0EES1A_EEDaS15_S16_EUlS15_E_NS1_11comp_targetILNS1_3genE4ELNS1_11target_archE910ELNS1_3gpuE8ELNS1_3repE0EEENS1_30default_config_static_selectorELNS0_4arch9wavefront6targetE1EEEvT1_,"axG",@progbits,_ZN7rocprim17ROCPRIM_400000_NS6detail17trampoline_kernelINS0_14default_configENS1_25partition_config_selectorILNS1_17partition_subalgoE3ExNS0_10empty_typeEbEEZZNS1_14partition_implILS5_3ELb0ES3_jN6thrust23THRUST_200600_302600_NS6detail15normal_iteratorINSA_7pointerIxNSA_11hip_rocprim3tagENSA_11use_defaultESG_EEEEPS6_SJ_NS0_5tupleIJPxSJ_EEENSK_IJSJ_SJ_EEES6_PlJ7is_evenIxEEEE10hipError_tPvRmT3_T4_T5_T6_T7_T9_mT8_P12ihipStream_tbDpT10_ENKUlT_T0_E_clISt17integral_constantIbLb0EES1A_EEDaS15_S16_EUlS15_E_NS1_11comp_targetILNS1_3genE4ELNS1_11target_archE910ELNS1_3gpuE8ELNS1_3repE0EEENS1_30default_config_static_selectorELNS0_4arch9wavefront6targetE1EEEvT1_,comdat
.Lfunc_end7:
	.size	_ZN7rocprim17ROCPRIM_400000_NS6detail17trampoline_kernelINS0_14default_configENS1_25partition_config_selectorILNS1_17partition_subalgoE3ExNS0_10empty_typeEbEEZZNS1_14partition_implILS5_3ELb0ES3_jN6thrust23THRUST_200600_302600_NS6detail15normal_iteratorINSA_7pointerIxNSA_11hip_rocprim3tagENSA_11use_defaultESG_EEEEPS6_SJ_NS0_5tupleIJPxSJ_EEENSK_IJSJ_SJ_EEES6_PlJ7is_evenIxEEEE10hipError_tPvRmT3_T4_T5_T6_T7_T9_mT8_P12ihipStream_tbDpT10_ENKUlT_T0_E_clISt17integral_constantIbLb0EES1A_EEDaS15_S16_EUlS15_E_NS1_11comp_targetILNS1_3genE4ELNS1_11target_archE910ELNS1_3gpuE8ELNS1_3repE0EEENS1_30default_config_static_selectorELNS0_4arch9wavefront6targetE1EEEvT1_, .Lfunc_end7-_ZN7rocprim17ROCPRIM_400000_NS6detail17trampoline_kernelINS0_14default_configENS1_25partition_config_selectorILNS1_17partition_subalgoE3ExNS0_10empty_typeEbEEZZNS1_14partition_implILS5_3ELb0ES3_jN6thrust23THRUST_200600_302600_NS6detail15normal_iteratorINSA_7pointerIxNSA_11hip_rocprim3tagENSA_11use_defaultESG_EEEEPS6_SJ_NS0_5tupleIJPxSJ_EEENSK_IJSJ_SJ_EEES6_PlJ7is_evenIxEEEE10hipError_tPvRmT3_T4_T5_T6_T7_T9_mT8_P12ihipStream_tbDpT10_ENKUlT_T0_E_clISt17integral_constantIbLb0EES1A_EEDaS15_S16_EUlS15_E_NS1_11comp_targetILNS1_3genE4ELNS1_11target_archE910ELNS1_3gpuE8ELNS1_3repE0EEENS1_30default_config_static_selectorELNS0_4arch9wavefront6targetE1EEEvT1_
                                        ; -- End function
	.section	.AMDGPU.csdata,"",@progbits
; Kernel info:
; codeLenInByte = 3996
; NumSgprs: 50
; NumVgprs: 43
; NumAgprs: 0
; TotalNumVgprs: 43
; ScratchSize: 0
; MemoryBound: 0
; FloatMode: 240
; IeeeMode: 1
; LDSByteSize: 6344 bytes/workgroup (compile time only)
; SGPRBlocks: 6
; VGPRBlocks: 5
; NumSGPRsForWavesPerEU: 50
; NumVGPRsForWavesPerEU: 43
; AccumOffset: 44
; Occupancy: 8
; WaveLimiterHint : 1
; COMPUTE_PGM_RSRC2:SCRATCH_EN: 0
; COMPUTE_PGM_RSRC2:USER_SGPR: 6
; COMPUTE_PGM_RSRC2:TRAP_HANDLER: 0
; COMPUTE_PGM_RSRC2:TGID_X_EN: 1
; COMPUTE_PGM_RSRC2:TGID_Y_EN: 0
; COMPUTE_PGM_RSRC2:TGID_Z_EN: 0
; COMPUTE_PGM_RSRC2:TIDIG_COMP_CNT: 0
; COMPUTE_PGM_RSRC3_GFX90A:ACCUM_OFFSET: 10
; COMPUTE_PGM_RSRC3_GFX90A:TG_SPLIT: 0
	.section	.text._ZN7rocprim17ROCPRIM_400000_NS6detail17trampoline_kernelINS0_14default_configENS1_25partition_config_selectorILNS1_17partition_subalgoE3ExNS0_10empty_typeEbEEZZNS1_14partition_implILS5_3ELb0ES3_jN6thrust23THRUST_200600_302600_NS6detail15normal_iteratorINSA_7pointerIxNSA_11hip_rocprim3tagENSA_11use_defaultESG_EEEEPS6_SJ_NS0_5tupleIJPxSJ_EEENSK_IJSJ_SJ_EEES6_PlJ7is_evenIxEEEE10hipError_tPvRmT3_T4_T5_T6_T7_T9_mT8_P12ihipStream_tbDpT10_ENKUlT_T0_E_clISt17integral_constantIbLb0EES1A_EEDaS15_S16_EUlS15_E_NS1_11comp_targetILNS1_3genE3ELNS1_11target_archE908ELNS1_3gpuE7ELNS1_3repE0EEENS1_30default_config_static_selectorELNS0_4arch9wavefront6targetE1EEEvT1_,"axG",@progbits,_ZN7rocprim17ROCPRIM_400000_NS6detail17trampoline_kernelINS0_14default_configENS1_25partition_config_selectorILNS1_17partition_subalgoE3ExNS0_10empty_typeEbEEZZNS1_14partition_implILS5_3ELb0ES3_jN6thrust23THRUST_200600_302600_NS6detail15normal_iteratorINSA_7pointerIxNSA_11hip_rocprim3tagENSA_11use_defaultESG_EEEEPS6_SJ_NS0_5tupleIJPxSJ_EEENSK_IJSJ_SJ_EEES6_PlJ7is_evenIxEEEE10hipError_tPvRmT3_T4_T5_T6_T7_T9_mT8_P12ihipStream_tbDpT10_ENKUlT_T0_E_clISt17integral_constantIbLb0EES1A_EEDaS15_S16_EUlS15_E_NS1_11comp_targetILNS1_3genE3ELNS1_11target_archE908ELNS1_3gpuE7ELNS1_3repE0EEENS1_30default_config_static_selectorELNS0_4arch9wavefront6targetE1EEEvT1_,comdat
	.protected	_ZN7rocprim17ROCPRIM_400000_NS6detail17trampoline_kernelINS0_14default_configENS1_25partition_config_selectorILNS1_17partition_subalgoE3ExNS0_10empty_typeEbEEZZNS1_14partition_implILS5_3ELb0ES3_jN6thrust23THRUST_200600_302600_NS6detail15normal_iteratorINSA_7pointerIxNSA_11hip_rocprim3tagENSA_11use_defaultESG_EEEEPS6_SJ_NS0_5tupleIJPxSJ_EEENSK_IJSJ_SJ_EEES6_PlJ7is_evenIxEEEE10hipError_tPvRmT3_T4_T5_T6_T7_T9_mT8_P12ihipStream_tbDpT10_ENKUlT_T0_E_clISt17integral_constantIbLb0EES1A_EEDaS15_S16_EUlS15_E_NS1_11comp_targetILNS1_3genE3ELNS1_11target_archE908ELNS1_3gpuE7ELNS1_3repE0EEENS1_30default_config_static_selectorELNS0_4arch9wavefront6targetE1EEEvT1_ ; -- Begin function _ZN7rocprim17ROCPRIM_400000_NS6detail17trampoline_kernelINS0_14default_configENS1_25partition_config_selectorILNS1_17partition_subalgoE3ExNS0_10empty_typeEbEEZZNS1_14partition_implILS5_3ELb0ES3_jN6thrust23THRUST_200600_302600_NS6detail15normal_iteratorINSA_7pointerIxNSA_11hip_rocprim3tagENSA_11use_defaultESG_EEEEPS6_SJ_NS0_5tupleIJPxSJ_EEENSK_IJSJ_SJ_EEES6_PlJ7is_evenIxEEEE10hipError_tPvRmT3_T4_T5_T6_T7_T9_mT8_P12ihipStream_tbDpT10_ENKUlT_T0_E_clISt17integral_constantIbLb0EES1A_EEDaS15_S16_EUlS15_E_NS1_11comp_targetILNS1_3genE3ELNS1_11target_archE908ELNS1_3gpuE7ELNS1_3repE0EEENS1_30default_config_static_selectorELNS0_4arch9wavefront6targetE1EEEvT1_
	.globl	_ZN7rocprim17ROCPRIM_400000_NS6detail17trampoline_kernelINS0_14default_configENS1_25partition_config_selectorILNS1_17partition_subalgoE3ExNS0_10empty_typeEbEEZZNS1_14partition_implILS5_3ELb0ES3_jN6thrust23THRUST_200600_302600_NS6detail15normal_iteratorINSA_7pointerIxNSA_11hip_rocprim3tagENSA_11use_defaultESG_EEEEPS6_SJ_NS0_5tupleIJPxSJ_EEENSK_IJSJ_SJ_EEES6_PlJ7is_evenIxEEEE10hipError_tPvRmT3_T4_T5_T6_T7_T9_mT8_P12ihipStream_tbDpT10_ENKUlT_T0_E_clISt17integral_constantIbLb0EES1A_EEDaS15_S16_EUlS15_E_NS1_11comp_targetILNS1_3genE3ELNS1_11target_archE908ELNS1_3gpuE7ELNS1_3repE0EEENS1_30default_config_static_selectorELNS0_4arch9wavefront6targetE1EEEvT1_
	.p2align	8
	.type	_ZN7rocprim17ROCPRIM_400000_NS6detail17trampoline_kernelINS0_14default_configENS1_25partition_config_selectorILNS1_17partition_subalgoE3ExNS0_10empty_typeEbEEZZNS1_14partition_implILS5_3ELb0ES3_jN6thrust23THRUST_200600_302600_NS6detail15normal_iteratorINSA_7pointerIxNSA_11hip_rocprim3tagENSA_11use_defaultESG_EEEEPS6_SJ_NS0_5tupleIJPxSJ_EEENSK_IJSJ_SJ_EEES6_PlJ7is_evenIxEEEE10hipError_tPvRmT3_T4_T5_T6_T7_T9_mT8_P12ihipStream_tbDpT10_ENKUlT_T0_E_clISt17integral_constantIbLb0EES1A_EEDaS15_S16_EUlS15_E_NS1_11comp_targetILNS1_3genE3ELNS1_11target_archE908ELNS1_3gpuE7ELNS1_3repE0EEENS1_30default_config_static_selectorELNS0_4arch9wavefront6targetE1EEEvT1_,@function
_ZN7rocprim17ROCPRIM_400000_NS6detail17trampoline_kernelINS0_14default_configENS1_25partition_config_selectorILNS1_17partition_subalgoE3ExNS0_10empty_typeEbEEZZNS1_14partition_implILS5_3ELb0ES3_jN6thrust23THRUST_200600_302600_NS6detail15normal_iteratorINSA_7pointerIxNSA_11hip_rocprim3tagENSA_11use_defaultESG_EEEEPS6_SJ_NS0_5tupleIJPxSJ_EEENSK_IJSJ_SJ_EEES6_PlJ7is_evenIxEEEE10hipError_tPvRmT3_T4_T5_T6_T7_T9_mT8_P12ihipStream_tbDpT10_ENKUlT_T0_E_clISt17integral_constantIbLb0EES1A_EEDaS15_S16_EUlS15_E_NS1_11comp_targetILNS1_3genE3ELNS1_11target_archE908ELNS1_3gpuE7ELNS1_3repE0EEENS1_30default_config_static_selectorELNS0_4arch9wavefront6targetE1EEEvT1_: ; @_ZN7rocprim17ROCPRIM_400000_NS6detail17trampoline_kernelINS0_14default_configENS1_25partition_config_selectorILNS1_17partition_subalgoE3ExNS0_10empty_typeEbEEZZNS1_14partition_implILS5_3ELb0ES3_jN6thrust23THRUST_200600_302600_NS6detail15normal_iteratorINSA_7pointerIxNSA_11hip_rocprim3tagENSA_11use_defaultESG_EEEEPS6_SJ_NS0_5tupleIJPxSJ_EEENSK_IJSJ_SJ_EEES6_PlJ7is_evenIxEEEE10hipError_tPvRmT3_T4_T5_T6_T7_T9_mT8_P12ihipStream_tbDpT10_ENKUlT_T0_E_clISt17integral_constantIbLb0EES1A_EEDaS15_S16_EUlS15_E_NS1_11comp_targetILNS1_3genE3ELNS1_11target_archE908ELNS1_3gpuE7ELNS1_3repE0EEENS1_30default_config_static_selectorELNS0_4arch9wavefront6targetE1EEEvT1_
; %bb.0:
	.section	.rodata,"a",@progbits
	.p2align	6, 0x0
	.amdhsa_kernel _ZN7rocprim17ROCPRIM_400000_NS6detail17trampoline_kernelINS0_14default_configENS1_25partition_config_selectorILNS1_17partition_subalgoE3ExNS0_10empty_typeEbEEZZNS1_14partition_implILS5_3ELb0ES3_jN6thrust23THRUST_200600_302600_NS6detail15normal_iteratorINSA_7pointerIxNSA_11hip_rocprim3tagENSA_11use_defaultESG_EEEEPS6_SJ_NS0_5tupleIJPxSJ_EEENSK_IJSJ_SJ_EEES6_PlJ7is_evenIxEEEE10hipError_tPvRmT3_T4_T5_T6_T7_T9_mT8_P12ihipStream_tbDpT10_ENKUlT_T0_E_clISt17integral_constantIbLb0EES1A_EEDaS15_S16_EUlS15_E_NS1_11comp_targetILNS1_3genE3ELNS1_11target_archE908ELNS1_3gpuE7ELNS1_3repE0EEENS1_30default_config_static_selectorELNS0_4arch9wavefront6targetE1EEEvT1_
		.amdhsa_group_segment_fixed_size 0
		.amdhsa_private_segment_fixed_size 0
		.amdhsa_kernarg_size 120
		.amdhsa_user_sgpr_count 6
		.amdhsa_user_sgpr_private_segment_buffer 1
		.amdhsa_user_sgpr_dispatch_ptr 0
		.amdhsa_user_sgpr_queue_ptr 0
		.amdhsa_user_sgpr_kernarg_segment_ptr 1
		.amdhsa_user_sgpr_dispatch_id 0
		.amdhsa_user_sgpr_flat_scratch_init 0
		.amdhsa_user_sgpr_kernarg_preload_length 0
		.amdhsa_user_sgpr_kernarg_preload_offset 0
		.amdhsa_user_sgpr_private_segment_size 0
		.amdhsa_uses_dynamic_stack 0
		.amdhsa_system_sgpr_private_segment_wavefront_offset 0
		.amdhsa_system_sgpr_workgroup_id_x 1
		.amdhsa_system_sgpr_workgroup_id_y 0
		.amdhsa_system_sgpr_workgroup_id_z 0
		.amdhsa_system_sgpr_workgroup_info 0
		.amdhsa_system_vgpr_workitem_id 0
		.amdhsa_next_free_vgpr 1
		.amdhsa_next_free_sgpr 0
		.amdhsa_accum_offset 4
		.amdhsa_reserve_vcc 0
		.amdhsa_reserve_flat_scratch 0
		.amdhsa_float_round_mode_32 0
		.amdhsa_float_round_mode_16_64 0
		.amdhsa_float_denorm_mode_32 3
		.amdhsa_float_denorm_mode_16_64 3
		.amdhsa_dx10_clamp 1
		.amdhsa_ieee_mode 1
		.amdhsa_fp16_overflow 0
		.amdhsa_tg_split 0
		.amdhsa_exception_fp_ieee_invalid_op 0
		.amdhsa_exception_fp_denorm_src 0
		.amdhsa_exception_fp_ieee_div_zero 0
		.amdhsa_exception_fp_ieee_overflow 0
		.amdhsa_exception_fp_ieee_underflow 0
		.amdhsa_exception_fp_ieee_inexact 0
		.amdhsa_exception_int_div_zero 0
	.end_amdhsa_kernel
	.section	.text._ZN7rocprim17ROCPRIM_400000_NS6detail17trampoline_kernelINS0_14default_configENS1_25partition_config_selectorILNS1_17partition_subalgoE3ExNS0_10empty_typeEbEEZZNS1_14partition_implILS5_3ELb0ES3_jN6thrust23THRUST_200600_302600_NS6detail15normal_iteratorINSA_7pointerIxNSA_11hip_rocprim3tagENSA_11use_defaultESG_EEEEPS6_SJ_NS0_5tupleIJPxSJ_EEENSK_IJSJ_SJ_EEES6_PlJ7is_evenIxEEEE10hipError_tPvRmT3_T4_T5_T6_T7_T9_mT8_P12ihipStream_tbDpT10_ENKUlT_T0_E_clISt17integral_constantIbLb0EES1A_EEDaS15_S16_EUlS15_E_NS1_11comp_targetILNS1_3genE3ELNS1_11target_archE908ELNS1_3gpuE7ELNS1_3repE0EEENS1_30default_config_static_selectorELNS0_4arch9wavefront6targetE1EEEvT1_,"axG",@progbits,_ZN7rocprim17ROCPRIM_400000_NS6detail17trampoline_kernelINS0_14default_configENS1_25partition_config_selectorILNS1_17partition_subalgoE3ExNS0_10empty_typeEbEEZZNS1_14partition_implILS5_3ELb0ES3_jN6thrust23THRUST_200600_302600_NS6detail15normal_iteratorINSA_7pointerIxNSA_11hip_rocprim3tagENSA_11use_defaultESG_EEEEPS6_SJ_NS0_5tupleIJPxSJ_EEENSK_IJSJ_SJ_EEES6_PlJ7is_evenIxEEEE10hipError_tPvRmT3_T4_T5_T6_T7_T9_mT8_P12ihipStream_tbDpT10_ENKUlT_T0_E_clISt17integral_constantIbLb0EES1A_EEDaS15_S16_EUlS15_E_NS1_11comp_targetILNS1_3genE3ELNS1_11target_archE908ELNS1_3gpuE7ELNS1_3repE0EEENS1_30default_config_static_selectorELNS0_4arch9wavefront6targetE1EEEvT1_,comdat
.Lfunc_end8:
	.size	_ZN7rocprim17ROCPRIM_400000_NS6detail17trampoline_kernelINS0_14default_configENS1_25partition_config_selectorILNS1_17partition_subalgoE3ExNS0_10empty_typeEbEEZZNS1_14partition_implILS5_3ELb0ES3_jN6thrust23THRUST_200600_302600_NS6detail15normal_iteratorINSA_7pointerIxNSA_11hip_rocprim3tagENSA_11use_defaultESG_EEEEPS6_SJ_NS0_5tupleIJPxSJ_EEENSK_IJSJ_SJ_EEES6_PlJ7is_evenIxEEEE10hipError_tPvRmT3_T4_T5_T6_T7_T9_mT8_P12ihipStream_tbDpT10_ENKUlT_T0_E_clISt17integral_constantIbLb0EES1A_EEDaS15_S16_EUlS15_E_NS1_11comp_targetILNS1_3genE3ELNS1_11target_archE908ELNS1_3gpuE7ELNS1_3repE0EEENS1_30default_config_static_selectorELNS0_4arch9wavefront6targetE1EEEvT1_, .Lfunc_end8-_ZN7rocprim17ROCPRIM_400000_NS6detail17trampoline_kernelINS0_14default_configENS1_25partition_config_selectorILNS1_17partition_subalgoE3ExNS0_10empty_typeEbEEZZNS1_14partition_implILS5_3ELb0ES3_jN6thrust23THRUST_200600_302600_NS6detail15normal_iteratorINSA_7pointerIxNSA_11hip_rocprim3tagENSA_11use_defaultESG_EEEEPS6_SJ_NS0_5tupleIJPxSJ_EEENSK_IJSJ_SJ_EEES6_PlJ7is_evenIxEEEE10hipError_tPvRmT3_T4_T5_T6_T7_T9_mT8_P12ihipStream_tbDpT10_ENKUlT_T0_E_clISt17integral_constantIbLb0EES1A_EEDaS15_S16_EUlS15_E_NS1_11comp_targetILNS1_3genE3ELNS1_11target_archE908ELNS1_3gpuE7ELNS1_3repE0EEENS1_30default_config_static_selectorELNS0_4arch9wavefront6targetE1EEEvT1_
                                        ; -- End function
	.section	.AMDGPU.csdata,"",@progbits
; Kernel info:
; codeLenInByte = 0
; NumSgprs: 4
; NumVgprs: 0
; NumAgprs: 0
; TotalNumVgprs: 0
; ScratchSize: 0
; MemoryBound: 0
; FloatMode: 240
; IeeeMode: 1
; LDSByteSize: 0 bytes/workgroup (compile time only)
; SGPRBlocks: 0
; VGPRBlocks: 0
; NumSGPRsForWavesPerEU: 4
; NumVGPRsForWavesPerEU: 1
; AccumOffset: 4
; Occupancy: 8
; WaveLimiterHint : 0
; COMPUTE_PGM_RSRC2:SCRATCH_EN: 0
; COMPUTE_PGM_RSRC2:USER_SGPR: 6
; COMPUTE_PGM_RSRC2:TRAP_HANDLER: 0
; COMPUTE_PGM_RSRC2:TGID_X_EN: 1
; COMPUTE_PGM_RSRC2:TGID_Y_EN: 0
; COMPUTE_PGM_RSRC2:TGID_Z_EN: 0
; COMPUTE_PGM_RSRC2:TIDIG_COMP_CNT: 0
; COMPUTE_PGM_RSRC3_GFX90A:ACCUM_OFFSET: 0
; COMPUTE_PGM_RSRC3_GFX90A:TG_SPLIT: 0
	.section	.text._ZN7rocprim17ROCPRIM_400000_NS6detail17trampoline_kernelINS0_14default_configENS1_25partition_config_selectorILNS1_17partition_subalgoE3ExNS0_10empty_typeEbEEZZNS1_14partition_implILS5_3ELb0ES3_jN6thrust23THRUST_200600_302600_NS6detail15normal_iteratorINSA_7pointerIxNSA_11hip_rocprim3tagENSA_11use_defaultESG_EEEEPS6_SJ_NS0_5tupleIJPxSJ_EEENSK_IJSJ_SJ_EEES6_PlJ7is_evenIxEEEE10hipError_tPvRmT3_T4_T5_T6_T7_T9_mT8_P12ihipStream_tbDpT10_ENKUlT_T0_E_clISt17integral_constantIbLb0EES1A_EEDaS15_S16_EUlS15_E_NS1_11comp_targetILNS1_3genE2ELNS1_11target_archE906ELNS1_3gpuE6ELNS1_3repE0EEENS1_30default_config_static_selectorELNS0_4arch9wavefront6targetE1EEEvT1_,"axG",@progbits,_ZN7rocprim17ROCPRIM_400000_NS6detail17trampoline_kernelINS0_14default_configENS1_25partition_config_selectorILNS1_17partition_subalgoE3ExNS0_10empty_typeEbEEZZNS1_14partition_implILS5_3ELb0ES3_jN6thrust23THRUST_200600_302600_NS6detail15normal_iteratorINSA_7pointerIxNSA_11hip_rocprim3tagENSA_11use_defaultESG_EEEEPS6_SJ_NS0_5tupleIJPxSJ_EEENSK_IJSJ_SJ_EEES6_PlJ7is_evenIxEEEE10hipError_tPvRmT3_T4_T5_T6_T7_T9_mT8_P12ihipStream_tbDpT10_ENKUlT_T0_E_clISt17integral_constantIbLb0EES1A_EEDaS15_S16_EUlS15_E_NS1_11comp_targetILNS1_3genE2ELNS1_11target_archE906ELNS1_3gpuE6ELNS1_3repE0EEENS1_30default_config_static_selectorELNS0_4arch9wavefront6targetE1EEEvT1_,comdat
	.protected	_ZN7rocprim17ROCPRIM_400000_NS6detail17trampoline_kernelINS0_14default_configENS1_25partition_config_selectorILNS1_17partition_subalgoE3ExNS0_10empty_typeEbEEZZNS1_14partition_implILS5_3ELb0ES3_jN6thrust23THRUST_200600_302600_NS6detail15normal_iteratorINSA_7pointerIxNSA_11hip_rocprim3tagENSA_11use_defaultESG_EEEEPS6_SJ_NS0_5tupleIJPxSJ_EEENSK_IJSJ_SJ_EEES6_PlJ7is_evenIxEEEE10hipError_tPvRmT3_T4_T5_T6_T7_T9_mT8_P12ihipStream_tbDpT10_ENKUlT_T0_E_clISt17integral_constantIbLb0EES1A_EEDaS15_S16_EUlS15_E_NS1_11comp_targetILNS1_3genE2ELNS1_11target_archE906ELNS1_3gpuE6ELNS1_3repE0EEENS1_30default_config_static_selectorELNS0_4arch9wavefront6targetE1EEEvT1_ ; -- Begin function _ZN7rocprim17ROCPRIM_400000_NS6detail17trampoline_kernelINS0_14default_configENS1_25partition_config_selectorILNS1_17partition_subalgoE3ExNS0_10empty_typeEbEEZZNS1_14partition_implILS5_3ELb0ES3_jN6thrust23THRUST_200600_302600_NS6detail15normal_iteratorINSA_7pointerIxNSA_11hip_rocprim3tagENSA_11use_defaultESG_EEEEPS6_SJ_NS0_5tupleIJPxSJ_EEENSK_IJSJ_SJ_EEES6_PlJ7is_evenIxEEEE10hipError_tPvRmT3_T4_T5_T6_T7_T9_mT8_P12ihipStream_tbDpT10_ENKUlT_T0_E_clISt17integral_constantIbLb0EES1A_EEDaS15_S16_EUlS15_E_NS1_11comp_targetILNS1_3genE2ELNS1_11target_archE906ELNS1_3gpuE6ELNS1_3repE0EEENS1_30default_config_static_selectorELNS0_4arch9wavefront6targetE1EEEvT1_
	.globl	_ZN7rocprim17ROCPRIM_400000_NS6detail17trampoline_kernelINS0_14default_configENS1_25partition_config_selectorILNS1_17partition_subalgoE3ExNS0_10empty_typeEbEEZZNS1_14partition_implILS5_3ELb0ES3_jN6thrust23THRUST_200600_302600_NS6detail15normal_iteratorINSA_7pointerIxNSA_11hip_rocprim3tagENSA_11use_defaultESG_EEEEPS6_SJ_NS0_5tupleIJPxSJ_EEENSK_IJSJ_SJ_EEES6_PlJ7is_evenIxEEEE10hipError_tPvRmT3_T4_T5_T6_T7_T9_mT8_P12ihipStream_tbDpT10_ENKUlT_T0_E_clISt17integral_constantIbLb0EES1A_EEDaS15_S16_EUlS15_E_NS1_11comp_targetILNS1_3genE2ELNS1_11target_archE906ELNS1_3gpuE6ELNS1_3repE0EEENS1_30default_config_static_selectorELNS0_4arch9wavefront6targetE1EEEvT1_
	.p2align	8
	.type	_ZN7rocprim17ROCPRIM_400000_NS6detail17trampoline_kernelINS0_14default_configENS1_25partition_config_selectorILNS1_17partition_subalgoE3ExNS0_10empty_typeEbEEZZNS1_14partition_implILS5_3ELb0ES3_jN6thrust23THRUST_200600_302600_NS6detail15normal_iteratorINSA_7pointerIxNSA_11hip_rocprim3tagENSA_11use_defaultESG_EEEEPS6_SJ_NS0_5tupleIJPxSJ_EEENSK_IJSJ_SJ_EEES6_PlJ7is_evenIxEEEE10hipError_tPvRmT3_T4_T5_T6_T7_T9_mT8_P12ihipStream_tbDpT10_ENKUlT_T0_E_clISt17integral_constantIbLb0EES1A_EEDaS15_S16_EUlS15_E_NS1_11comp_targetILNS1_3genE2ELNS1_11target_archE906ELNS1_3gpuE6ELNS1_3repE0EEENS1_30default_config_static_selectorELNS0_4arch9wavefront6targetE1EEEvT1_,@function
_ZN7rocprim17ROCPRIM_400000_NS6detail17trampoline_kernelINS0_14default_configENS1_25partition_config_selectorILNS1_17partition_subalgoE3ExNS0_10empty_typeEbEEZZNS1_14partition_implILS5_3ELb0ES3_jN6thrust23THRUST_200600_302600_NS6detail15normal_iteratorINSA_7pointerIxNSA_11hip_rocprim3tagENSA_11use_defaultESG_EEEEPS6_SJ_NS0_5tupleIJPxSJ_EEENSK_IJSJ_SJ_EEES6_PlJ7is_evenIxEEEE10hipError_tPvRmT3_T4_T5_T6_T7_T9_mT8_P12ihipStream_tbDpT10_ENKUlT_T0_E_clISt17integral_constantIbLb0EES1A_EEDaS15_S16_EUlS15_E_NS1_11comp_targetILNS1_3genE2ELNS1_11target_archE906ELNS1_3gpuE6ELNS1_3repE0EEENS1_30default_config_static_selectorELNS0_4arch9wavefront6targetE1EEEvT1_: ; @_ZN7rocprim17ROCPRIM_400000_NS6detail17trampoline_kernelINS0_14default_configENS1_25partition_config_selectorILNS1_17partition_subalgoE3ExNS0_10empty_typeEbEEZZNS1_14partition_implILS5_3ELb0ES3_jN6thrust23THRUST_200600_302600_NS6detail15normal_iteratorINSA_7pointerIxNSA_11hip_rocprim3tagENSA_11use_defaultESG_EEEEPS6_SJ_NS0_5tupleIJPxSJ_EEENSK_IJSJ_SJ_EEES6_PlJ7is_evenIxEEEE10hipError_tPvRmT3_T4_T5_T6_T7_T9_mT8_P12ihipStream_tbDpT10_ENKUlT_T0_E_clISt17integral_constantIbLb0EES1A_EEDaS15_S16_EUlS15_E_NS1_11comp_targetILNS1_3genE2ELNS1_11target_archE906ELNS1_3gpuE6ELNS1_3repE0EEENS1_30default_config_static_selectorELNS0_4arch9wavefront6targetE1EEEvT1_
; %bb.0:
	.section	.rodata,"a",@progbits
	.p2align	6, 0x0
	.amdhsa_kernel _ZN7rocprim17ROCPRIM_400000_NS6detail17trampoline_kernelINS0_14default_configENS1_25partition_config_selectorILNS1_17partition_subalgoE3ExNS0_10empty_typeEbEEZZNS1_14partition_implILS5_3ELb0ES3_jN6thrust23THRUST_200600_302600_NS6detail15normal_iteratorINSA_7pointerIxNSA_11hip_rocprim3tagENSA_11use_defaultESG_EEEEPS6_SJ_NS0_5tupleIJPxSJ_EEENSK_IJSJ_SJ_EEES6_PlJ7is_evenIxEEEE10hipError_tPvRmT3_T4_T5_T6_T7_T9_mT8_P12ihipStream_tbDpT10_ENKUlT_T0_E_clISt17integral_constantIbLb0EES1A_EEDaS15_S16_EUlS15_E_NS1_11comp_targetILNS1_3genE2ELNS1_11target_archE906ELNS1_3gpuE6ELNS1_3repE0EEENS1_30default_config_static_selectorELNS0_4arch9wavefront6targetE1EEEvT1_
		.amdhsa_group_segment_fixed_size 0
		.amdhsa_private_segment_fixed_size 0
		.amdhsa_kernarg_size 120
		.amdhsa_user_sgpr_count 6
		.amdhsa_user_sgpr_private_segment_buffer 1
		.amdhsa_user_sgpr_dispatch_ptr 0
		.amdhsa_user_sgpr_queue_ptr 0
		.amdhsa_user_sgpr_kernarg_segment_ptr 1
		.amdhsa_user_sgpr_dispatch_id 0
		.amdhsa_user_sgpr_flat_scratch_init 0
		.amdhsa_user_sgpr_kernarg_preload_length 0
		.amdhsa_user_sgpr_kernarg_preload_offset 0
		.amdhsa_user_sgpr_private_segment_size 0
		.amdhsa_uses_dynamic_stack 0
		.amdhsa_system_sgpr_private_segment_wavefront_offset 0
		.amdhsa_system_sgpr_workgroup_id_x 1
		.amdhsa_system_sgpr_workgroup_id_y 0
		.amdhsa_system_sgpr_workgroup_id_z 0
		.amdhsa_system_sgpr_workgroup_info 0
		.amdhsa_system_vgpr_workitem_id 0
		.amdhsa_next_free_vgpr 1
		.amdhsa_next_free_sgpr 0
		.amdhsa_accum_offset 4
		.amdhsa_reserve_vcc 0
		.amdhsa_reserve_flat_scratch 0
		.amdhsa_float_round_mode_32 0
		.amdhsa_float_round_mode_16_64 0
		.amdhsa_float_denorm_mode_32 3
		.amdhsa_float_denorm_mode_16_64 3
		.amdhsa_dx10_clamp 1
		.amdhsa_ieee_mode 1
		.amdhsa_fp16_overflow 0
		.amdhsa_tg_split 0
		.amdhsa_exception_fp_ieee_invalid_op 0
		.amdhsa_exception_fp_denorm_src 0
		.amdhsa_exception_fp_ieee_div_zero 0
		.amdhsa_exception_fp_ieee_overflow 0
		.amdhsa_exception_fp_ieee_underflow 0
		.amdhsa_exception_fp_ieee_inexact 0
		.amdhsa_exception_int_div_zero 0
	.end_amdhsa_kernel
	.section	.text._ZN7rocprim17ROCPRIM_400000_NS6detail17trampoline_kernelINS0_14default_configENS1_25partition_config_selectorILNS1_17partition_subalgoE3ExNS0_10empty_typeEbEEZZNS1_14partition_implILS5_3ELb0ES3_jN6thrust23THRUST_200600_302600_NS6detail15normal_iteratorINSA_7pointerIxNSA_11hip_rocprim3tagENSA_11use_defaultESG_EEEEPS6_SJ_NS0_5tupleIJPxSJ_EEENSK_IJSJ_SJ_EEES6_PlJ7is_evenIxEEEE10hipError_tPvRmT3_T4_T5_T6_T7_T9_mT8_P12ihipStream_tbDpT10_ENKUlT_T0_E_clISt17integral_constantIbLb0EES1A_EEDaS15_S16_EUlS15_E_NS1_11comp_targetILNS1_3genE2ELNS1_11target_archE906ELNS1_3gpuE6ELNS1_3repE0EEENS1_30default_config_static_selectorELNS0_4arch9wavefront6targetE1EEEvT1_,"axG",@progbits,_ZN7rocprim17ROCPRIM_400000_NS6detail17trampoline_kernelINS0_14default_configENS1_25partition_config_selectorILNS1_17partition_subalgoE3ExNS0_10empty_typeEbEEZZNS1_14partition_implILS5_3ELb0ES3_jN6thrust23THRUST_200600_302600_NS6detail15normal_iteratorINSA_7pointerIxNSA_11hip_rocprim3tagENSA_11use_defaultESG_EEEEPS6_SJ_NS0_5tupleIJPxSJ_EEENSK_IJSJ_SJ_EEES6_PlJ7is_evenIxEEEE10hipError_tPvRmT3_T4_T5_T6_T7_T9_mT8_P12ihipStream_tbDpT10_ENKUlT_T0_E_clISt17integral_constantIbLb0EES1A_EEDaS15_S16_EUlS15_E_NS1_11comp_targetILNS1_3genE2ELNS1_11target_archE906ELNS1_3gpuE6ELNS1_3repE0EEENS1_30default_config_static_selectorELNS0_4arch9wavefront6targetE1EEEvT1_,comdat
.Lfunc_end9:
	.size	_ZN7rocprim17ROCPRIM_400000_NS6detail17trampoline_kernelINS0_14default_configENS1_25partition_config_selectorILNS1_17partition_subalgoE3ExNS0_10empty_typeEbEEZZNS1_14partition_implILS5_3ELb0ES3_jN6thrust23THRUST_200600_302600_NS6detail15normal_iteratorINSA_7pointerIxNSA_11hip_rocprim3tagENSA_11use_defaultESG_EEEEPS6_SJ_NS0_5tupleIJPxSJ_EEENSK_IJSJ_SJ_EEES6_PlJ7is_evenIxEEEE10hipError_tPvRmT3_T4_T5_T6_T7_T9_mT8_P12ihipStream_tbDpT10_ENKUlT_T0_E_clISt17integral_constantIbLb0EES1A_EEDaS15_S16_EUlS15_E_NS1_11comp_targetILNS1_3genE2ELNS1_11target_archE906ELNS1_3gpuE6ELNS1_3repE0EEENS1_30default_config_static_selectorELNS0_4arch9wavefront6targetE1EEEvT1_, .Lfunc_end9-_ZN7rocprim17ROCPRIM_400000_NS6detail17trampoline_kernelINS0_14default_configENS1_25partition_config_selectorILNS1_17partition_subalgoE3ExNS0_10empty_typeEbEEZZNS1_14partition_implILS5_3ELb0ES3_jN6thrust23THRUST_200600_302600_NS6detail15normal_iteratorINSA_7pointerIxNSA_11hip_rocprim3tagENSA_11use_defaultESG_EEEEPS6_SJ_NS0_5tupleIJPxSJ_EEENSK_IJSJ_SJ_EEES6_PlJ7is_evenIxEEEE10hipError_tPvRmT3_T4_T5_T6_T7_T9_mT8_P12ihipStream_tbDpT10_ENKUlT_T0_E_clISt17integral_constantIbLb0EES1A_EEDaS15_S16_EUlS15_E_NS1_11comp_targetILNS1_3genE2ELNS1_11target_archE906ELNS1_3gpuE6ELNS1_3repE0EEENS1_30default_config_static_selectorELNS0_4arch9wavefront6targetE1EEEvT1_
                                        ; -- End function
	.section	.AMDGPU.csdata,"",@progbits
; Kernel info:
; codeLenInByte = 0
; NumSgprs: 4
; NumVgprs: 0
; NumAgprs: 0
; TotalNumVgprs: 0
; ScratchSize: 0
; MemoryBound: 0
; FloatMode: 240
; IeeeMode: 1
; LDSByteSize: 0 bytes/workgroup (compile time only)
; SGPRBlocks: 0
; VGPRBlocks: 0
; NumSGPRsForWavesPerEU: 4
; NumVGPRsForWavesPerEU: 1
; AccumOffset: 4
; Occupancy: 8
; WaveLimiterHint : 0
; COMPUTE_PGM_RSRC2:SCRATCH_EN: 0
; COMPUTE_PGM_RSRC2:USER_SGPR: 6
; COMPUTE_PGM_RSRC2:TRAP_HANDLER: 0
; COMPUTE_PGM_RSRC2:TGID_X_EN: 1
; COMPUTE_PGM_RSRC2:TGID_Y_EN: 0
; COMPUTE_PGM_RSRC2:TGID_Z_EN: 0
; COMPUTE_PGM_RSRC2:TIDIG_COMP_CNT: 0
; COMPUTE_PGM_RSRC3_GFX90A:ACCUM_OFFSET: 0
; COMPUTE_PGM_RSRC3_GFX90A:TG_SPLIT: 0
	.section	.text._ZN7rocprim17ROCPRIM_400000_NS6detail17trampoline_kernelINS0_14default_configENS1_25partition_config_selectorILNS1_17partition_subalgoE3ExNS0_10empty_typeEbEEZZNS1_14partition_implILS5_3ELb0ES3_jN6thrust23THRUST_200600_302600_NS6detail15normal_iteratorINSA_7pointerIxNSA_11hip_rocprim3tagENSA_11use_defaultESG_EEEEPS6_SJ_NS0_5tupleIJPxSJ_EEENSK_IJSJ_SJ_EEES6_PlJ7is_evenIxEEEE10hipError_tPvRmT3_T4_T5_T6_T7_T9_mT8_P12ihipStream_tbDpT10_ENKUlT_T0_E_clISt17integral_constantIbLb0EES1A_EEDaS15_S16_EUlS15_E_NS1_11comp_targetILNS1_3genE10ELNS1_11target_archE1200ELNS1_3gpuE4ELNS1_3repE0EEENS1_30default_config_static_selectorELNS0_4arch9wavefront6targetE1EEEvT1_,"axG",@progbits,_ZN7rocprim17ROCPRIM_400000_NS6detail17trampoline_kernelINS0_14default_configENS1_25partition_config_selectorILNS1_17partition_subalgoE3ExNS0_10empty_typeEbEEZZNS1_14partition_implILS5_3ELb0ES3_jN6thrust23THRUST_200600_302600_NS6detail15normal_iteratorINSA_7pointerIxNSA_11hip_rocprim3tagENSA_11use_defaultESG_EEEEPS6_SJ_NS0_5tupleIJPxSJ_EEENSK_IJSJ_SJ_EEES6_PlJ7is_evenIxEEEE10hipError_tPvRmT3_T4_T5_T6_T7_T9_mT8_P12ihipStream_tbDpT10_ENKUlT_T0_E_clISt17integral_constantIbLb0EES1A_EEDaS15_S16_EUlS15_E_NS1_11comp_targetILNS1_3genE10ELNS1_11target_archE1200ELNS1_3gpuE4ELNS1_3repE0EEENS1_30default_config_static_selectorELNS0_4arch9wavefront6targetE1EEEvT1_,comdat
	.protected	_ZN7rocprim17ROCPRIM_400000_NS6detail17trampoline_kernelINS0_14default_configENS1_25partition_config_selectorILNS1_17partition_subalgoE3ExNS0_10empty_typeEbEEZZNS1_14partition_implILS5_3ELb0ES3_jN6thrust23THRUST_200600_302600_NS6detail15normal_iteratorINSA_7pointerIxNSA_11hip_rocprim3tagENSA_11use_defaultESG_EEEEPS6_SJ_NS0_5tupleIJPxSJ_EEENSK_IJSJ_SJ_EEES6_PlJ7is_evenIxEEEE10hipError_tPvRmT3_T4_T5_T6_T7_T9_mT8_P12ihipStream_tbDpT10_ENKUlT_T0_E_clISt17integral_constantIbLb0EES1A_EEDaS15_S16_EUlS15_E_NS1_11comp_targetILNS1_3genE10ELNS1_11target_archE1200ELNS1_3gpuE4ELNS1_3repE0EEENS1_30default_config_static_selectorELNS0_4arch9wavefront6targetE1EEEvT1_ ; -- Begin function _ZN7rocprim17ROCPRIM_400000_NS6detail17trampoline_kernelINS0_14default_configENS1_25partition_config_selectorILNS1_17partition_subalgoE3ExNS0_10empty_typeEbEEZZNS1_14partition_implILS5_3ELb0ES3_jN6thrust23THRUST_200600_302600_NS6detail15normal_iteratorINSA_7pointerIxNSA_11hip_rocprim3tagENSA_11use_defaultESG_EEEEPS6_SJ_NS0_5tupleIJPxSJ_EEENSK_IJSJ_SJ_EEES6_PlJ7is_evenIxEEEE10hipError_tPvRmT3_T4_T5_T6_T7_T9_mT8_P12ihipStream_tbDpT10_ENKUlT_T0_E_clISt17integral_constantIbLb0EES1A_EEDaS15_S16_EUlS15_E_NS1_11comp_targetILNS1_3genE10ELNS1_11target_archE1200ELNS1_3gpuE4ELNS1_3repE0EEENS1_30default_config_static_selectorELNS0_4arch9wavefront6targetE1EEEvT1_
	.globl	_ZN7rocprim17ROCPRIM_400000_NS6detail17trampoline_kernelINS0_14default_configENS1_25partition_config_selectorILNS1_17partition_subalgoE3ExNS0_10empty_typeEbEEZZNS1_14partition_implILS5_3ELb0ES3_jN6thrust23THRUST_200600_302600_NS6detail15normal_iteratorINSA_7pointerIxNSA_11hip_rocprim3tagENSA_11use_defaultESG_EEEEPS6_SJ_NS0_5tupleIJPxSJ_EEENSK_IJSJ_SJ_EEES6_PlJ7is_evenIxEEEE10hipError_tPvRmT3_T4_T5_T6_T7_T9_mT8_P12ihipStream_tbDpT10_ENKUlT_T0_E_clISt17integral_constantIbLb0EES1A_EEDaS15_S16_EUlS15_E_NS1_11comp_targetILNS1_3genE10ELNS1_11target_archE1200ELNS1_3gpuE4ELNS1_3repE0EEENS1_30default_config_static_selectorELNS0_4arch9wavefront6targetE1EEEvT1_
	.p2align	8
	.type	_ZN7rocprim17ROCPRIM_400000_NS6detail17trampoline_kernelINS0_14default_configENS1_25partition_config_selectorILNS1_17partition_subalgoE3ExNS0_10empty_typeEbEEZZNS1_14partition_implILS5_3ELb0ES3_jN6thrust23THRUST_200600_302600_NS6detail15normal_iteratorINSA_7pointerIxNSA_11hip_rocprim3tagENSA_11use_defaultESG_EEEEPS6_SJ_NS0_5tupleIJPxSJ_EEENSK_IJSJ_SJ_EEES6_PlJ7is_evenIxEEEE10hipError_tPvRmT3_T4_T5_T6_T7_T9_mT8_P12ihipStream_tbDpT10_ENKUlT_T0_E_clISt17integral_constantIbLb0EES1A_EEDaS15_S16_EUlS15_E_NS1_11comp_targetILNS1_3genE10ELNS1_11target_archE1200ELNS1_3gpuE4ELNS1_3repE0EEENS1_30default_config_static_selectorELNS0_4arch9wavefront6targetE1EEEvT1_,@function
_ZN7rocprim17ROCPRIM_400000_NS6detail17trampoline_kernelINS0_14default_configENS1_25partition_config_selectorILNS1_17partition_subalgoE3ExNS0_10empty_typeEbEEZZNS1_14partition_implILS5_3ELb0ES3_jN6thrust23THRUST_200600_302600_NS6detail15normal_iteratorINSA_7pointerIxNSA_11hip_rocprim3tagENSA_11use_defaultESG_EEEEPS6_SJ_NS0_5tupleIJPxSJ_EEENSK_IJSJ_SJ_EEES6_PlJ7is_evenIxEEEE10hipError_tPvRmT3_T4_T5_T6_T7_T9_mT8_P12ihipStream_tbDpT10_ENKUlT_T0_E_clISt17integral_constantIbLb0EES1A_EEDaS15_S16_EUlS15_E_NS1_11comp_targetILNS1_3genE10ELNS1_11target_archE1200ELNS1_3gpuE4ELNS1_3repE0EEENS1_30default_config_static_selectorELNS0_4arch9wavefront6targetE1EEEvT1_: ; @_ZN7rocprim17ROCPRIM_400000_NS6detail17trampoline_kernelINS0_14default_configENS1_25partition_config_selectorILNS1_17partition_subalgoE3ExNS0_10empty_typeEbEEZZNS1_14partition_implILS5_3ELb0ES3_jN6thrust23THRUST_200600_302600_NS6detail15normal_iteratorINSA_7pointerIxNSA_11hip_rocprim3tagENSA_11use_defaultESG_EEEEPS6_SJ_NS0_5tupleIJPxSJ_EEENSK_IJSJ_SJ_EEES6_PlJ7is_evenIxEEEE10hipError_tPvRmT3_T4_T5_T6_T7_T9_mT8_P12ihipStream_tbDpT10_ENKUlT_T0_E_clISt17integral_constantIbLb0EES1A_EEDaS15_S16_EUlS15_E_NS1_11comp_targetILNS1_3genE10ELNS1_11target_archE1200ELNS1_3gpuE4ELNS1_3repE0EEENS1_30default_config_static_selectorELNS0_4arch9wavefront6targetE1EEEvT1_
; %bb.0:
	.section	.rodata,"a",@progbits
	.p2align	6, 0x0
	.amdhsa_kernel _ZN7rocprim17ROCPRIM_400000_NS6detail17trampoline_kernelINS0_14default_configENS1_25partition_config_selectorILNS1_17partition_subalgoE3ExNS0_10empty_typeEbEEZZNS1_14partition_implILS5_3ELb0ES3_jN6thrust23THRUST_200600_302600_NS6detail15normal_iteratorINSA_7pointerIxNSA_11hip_rocprim3tagENSA_11use_defaultESG_EEEEPS6_SJ_NS0_5tupleIJPxSJ_EEENSK_IJSJ_SJ_EEES6_PlJ7is_evenIxEEEE10hipError_tPvRmT3_T4_T5_T6_T7_T9_mT8_P12ihipStream_tbDpT10_ENKUlT_T0_E_clISt17integral_constantIbLb0EES1A_EEDaS15_S16_EUlS15_E_NS1_11comp_targetILNS1_3genE10ELNS1_11target_archE1200ELNS1_3gpuE4ELNS1_3repE0EEENS1_30default_config_static_selectorELNS0_4arch9wavefront6targetE1EEEvT1_
		.amdhsa_group_segment_fixed_size 0
		.amdhsa_private_segment_fixed_size 0
		.amdhsa_kernarg_size 120
		.amdhsa_user_sgpr_count 6
		.amdhsa_user_sgpr_private_segment_buffer 1
		.amdhsa_user_sgpr_dispatch_ptr 0
		.amdhsa_user_sgpr_queue_ptr 0
		.amdhsa_user_sgpr_kernarg_segment_ptr 1
		.amdhsa_user_sgpr_dispatch_id 0
		.amdhsa_user_sgpr_flat_scratch_init 0
		.amdhsa_user_sgpr_kernarg_preload_length 0
		.amdhsa_user_sgpr_kernarg_preload_offset 0
		.amdhsa_user_sgpr_private_segment_size 0
		.amdhsa_uses_dynamic_stack 0
		.amdhsa_system_sgpr_private_segment_wavefront_offset 0
		.amdhsa_system_sgpr_workgroup_id_x 1
		.amdhsa_system_sgpr_workgroup_id_y 0
		.amdhsa_system_sgpr_workgroup_id_z 0
		.amdhsa_system_sgpr_workgroup_info 0
		.amdhsa_system_vgpr_workitem_id 0
		.amdhsa_next_free_vgpr 1
		.amdhsa_next_free_sgpr 0
		.amdhsa_accum_offset 4
		.amdhsa_reserve_vcc 0
		.amdhsa_reserve_flat_scratch 0
		.amdhsa_float_round_mode_32 0
		.amdhsa_float_round_mode_16_64 0
		.amdhsa_float_denorm_mode_32 3
		.amdhsa_float_denorm_mode_16_64 3
		.amdhsa_dx10_clamp 1
		.amdhsa_ieee_mode 1
		.amdhsa_fp16_overflow 0
		.amdhsa_tg_split 0
		.amdhsa_exception_fp_ieee_invalid_op 0
		.amdhsa_exception_fp_denorm_src 0
		.amdhsa_exception_fp_ieee_div_zero 0
		.amdhsa_exception_fp_ieee_overflow 0
		.amdhsa_exception_fp_ieee_underflow 0
		.amdhsa_exception_fp_ieee_inexact 0
		.amdhsa_exception_int_div_zero 0
	.end_amdhsa_kernel
	.section	.text._ZN7rocprim17ROCPRIM_400000_NS6detail17trampoline_kernelINS0_14default_configENS1_25partition_config_selectorILNS1_17partition_subalgoE3ExNS0_10empty_typeEbEEZZNS1_14partition_implILS5_3ELb0ES3_jN6thrust23THRUST_200600_302600_NS6detail15normal_iteratorINSA_7pointerIxNSA_11hip_rocprim3tagENSA_11use_defaultESG_EEEEPS6_SJ_NS0_5tupleIJPxSJ_EEENSK_IJSJ_SJ_EEES6_PlJ7is_evenIxEEEE10hipError_tPvRmT3_T4_T5_T6_T7_T9_mT8_P12ihipStream_tbDpT10_ENKUlT_T0_E_clISt17integral_constantIbLb0EES1A_EEDaS15_S16_EUlS15_E_NS1_11comp_targetILNS1_3genE10ELNS1_11target_archE1200ELNS1_3gpuE4ELNS1_3repE0EEENS1_30default_config_static_selectorELNS0_4arch9wavefront6targetE1EEEvT1_,"axG",@progbits,_ZN7rocprim17ROCPRIM_400000_NS6detail17trampoline_kernelINS0_14default_configENS1_25partition_config_selectorILNS1_17partition_subalgoE3ExNS0_10empty_typeEbEEZZNS1_14partition_implILS5_3ELb0ES3_jN6thrust23THRUST_200600_302600_NS6detail15normal_iteratorINSA_7pointerIxNSA_11hip_rocprim3tagENSA_11use_defaultESG_EEEEPS6_SJ_NS0_5tupleIJPxSJ_EEENSK_IJSJ_SJ_EEES6_PlJ7is_evenIxEEEE10hipError_tPvRmT3_T4_T5_T6_T7_T9_mT8_P12ihipStream_tbDpT10_ENKUlT_T0_E_clISt17integral_constantIbLb0EES1A_EEDaS15_S16_EUlS15_E_NS1_11comp_targetILNS1_3genE10ELNS1_11target_archE1200ELNS1_3gpuE4ELNS1_3repE0EEENS1_30default_config_static_selectorELNS0_4arch9wavefront6targetE1EEEvT1_,comdat
.Lfunc_end10:
	.size	_ZN7rocprim17ROCPRIM_400000_NS6detail17trampoline_kernelINS0_14default_configENS1_25partition_config_selectorILNS1_17partition_subalgoE3ExNS0_10empty_typeEbEEZZNS1_14partition_implILS5_3ELb0ES3_jN6thrust23THRUST_200600_302600_NS6detail15normal_iteratorINSA_7pointerIxNSA_11hip_rocprim3tagENSA_11use_defaultESG_EEEEPS6_SJ_NS0_5tupleIJPxSJ_EEENSK_IJSJ_SJ_EEES6_PlJ7is_evenIxEEEE10hipError_tPvRmT3_T4_T5_T6_T7_T9_mT8_P12ihipStream_tbDpT10_ENKUlT_T0_E_clISt17integral_constantIbLb0EES1A_EEDaS15_S16_EUlS15_E_NS1_11comp_targetILNS1_3genE10ELNS1_11target_archE1200ELNS1_3gpuE4ELNS1_3repE0EEENS1_30default_config_static_selectorELNS0_4arch9wavefront6targetE1EEEvT1_, .Lfunc_end10-_ZN7rocprim17ROCPRIM_400000_NS6detail17trampoline_kernelINS0_14default_configENS1_25partition_config_selectorILNS1_17partition_subalgoE3ExNS0_10empty_typeEbEEZZNS1_14partition_implILS5_3ELb0ES3_jN6thrust23THRUST_200600_302600_NS6detail15normal_iteratorINSA_7pointerIxNSA_11hip_rocprim3tagENSA_11use_defaultESG_EEEEPS6_SJ_NS0_5tupleIJPxSJ_EEENSK_IJSJ_SJ_EEES6_PlJ7is_evenIxEEEE10hipError_tPvRmT3_T4_T5_T6_T7_T9_mT8_P12ihipStream_tbDpT10_ENKUlT_T0_E_clISt17integral_constantIbLb0EES1A_EEDaS15_S16_EUlS15_E_NS1_11comp_targetILNS1_3genE10ELNS1_11target_archE1200ELNS1_3gpuE4ELNS1_3repE0EEENS1_30default_config_static_selectorELNS0_4arch9wavefront6targetE1EEEvT1_
                                        ; -- End function
	.section	.AMDGPU.csdata,"",@progbits
; Kernel info:
; codeLenInByte = 0
; NumSgprs: 4
; NumVgprs: 0
; NumAgprs: 0
; TotalNumVgprs: 0
; ScratchSize: 0
; MemoryBound: 0
; FloatMode: 240
; IeeeMode: 1
; LDSByteSize: 0 bytes/workgroup (compile time only)
; SGPRBlocks: 0
; VGPRBlocks: 0
; NumSGPRsForWavesPerEU: 4
; NumVGPRsForWavesPerEU: 1
; AccumOffset: 4
; Occupancy: 8
; WaveLimiterHint : 0
; COMPUTE_PGM_RSRC2:SCRATCH_EN: 0
; COMPUTE_PGM_RSRC2:USER_SGPR: 6
; COMPUTE_PGM_RSRC2:TRAP_HANDLER: 0
; COMPUTE_PGM_RSRC2:TGID_X_EN: 1
; COMPUTE_PGM_RSRC2:TGID_Y_EN: 0
; COMPUTE_PGM_RSRC2:TGID_Z_EN: 0
; COMPUTE_PGM_RSRC2:TIDIG_COMP_CNT: 0
; COMPUTE_PGM_RSRC3_GFX90A:ACCUM_OFFSET: 0
; COMPUTE_PGM_RSRC3_GFX90A:TG_SPLIT: 0
	.section	.text._ZN7rocprim17ROCPRIM_400000_NS6detail17trampoline_kernelINS0_14default_configENS1_25partition_config_selectorILNS1_17partition_subalgoE3ExNS0_10empty_typeEbEEZZNS1_14partition_implILS5_3ELb0ES3_jN6thrust23THRUST_200600_302600_NS6detail15normal_iteratorINSA_7pointerIxNSA_11hip_rocprim3tagENSA_11use_defaultESG_EEEEPS6_SJ_NS0_5tupleIJPxSJ_EEENSK_IJSJ_SJ_EEES6_PlJ7is_evenIxEEEE10hipError_tPvRmT3_T4_T5_T6_T7_T9_mT8_P12ihipStream_tbDpT10_ENKUlT_T0_E_clISt17integral_constantIbLb0EES1A_EEDaS15_S16_EUlS15_E_NS1_11comp_targetILNS1_3genE9ELNS1_11target_archE1100ELNS1_3gpuE3ELNS1_3repE0EEENS1_30default_config_static_selectorELNS0_4arch9wavefront6targetE1EEEvT1_,"axG",@progbits,_ZN7rocprim17ROCPRIM_400000_NS6detail17trampoline_kernelINS0_14default_configENS1_25partition_config_selectorILNS1_17partition_subalgoE3ExNS0_10empty_typeEbEEZZNS1_14partition_implILS5_3ELb0ES3_jN6thrust23THRUST_200600_302600_NS6detail15normal_iteratorINSA_7pointerIxNSA_11hip_rocprim3tagENSA_11use_defaultESG_EEEEPS6_SJ_NS0_5tupleIJPxSJ_EEENSK_IJSJ_SJ_EEES6_PlJ7is_evenIxEEEE10hipError_tPvRmT3_T4_T5_T6_T7_T9_mT8_P12ihipStream_tbDpT10_ENKUlT_T0_E_clISt17integral_constantIbLb0EES1A_EEDaS15_S16_EUlS15_E_NS1_11comp_targetILNS1_3genE9ELNS1_11target_archE1100ELNS1_3gpuE3ELNS1_3repE0EEENS1_30default_config_static_selectorELNS0_4arch9wavefront6targetE1EEEvT1_,comdat
	.protected	_ZN7rocprim17ROCPRIM_400000_NS6detail17trampoline_kernelINS0_14default_configENS1_25partition_config_selectorILNS1_17partition_subalgoE3ExNS0_10empty_typeEbEEZZNS1_14partition_implILS5_3ELb0ES3_jN6thrust23THRUST_200600_302600_NS6detail15normal_iteratorINSA_7pointerIxNSA_11hip_rocprim3tagENSA_11use_defaultESG_EEEEPS6_SJ_NS0_5tupleIJPxSJ_EEENSK_IJSJ_SJ_EEES6_PlJ7is_evenIxEEEE10hipError_tPvRmT3_T4_T5_T6_T7_T9_mT8_P12ihipStream_tbDpT10_ENKUlT_T0_E_clISt17integral_constantIbLb0EES1A_EEDaS15_S16_EUlS15_E_NS1_11comp_targetILNS1_3genE9ELNS1_11target_archE1100ELNS1_3gpuE3ELNS1_3repE0EEENS1_30default_config_static_selectorELNS0_4arch9wavefront6targetE1EEEvT1_ ; -- Begin function _ZN7rocprim17ROCPRIM_400000_NS6detail17trampoline_kernelINS0_14default_configENS1_25partition_config_selectorILNS1_17partition_subalgoE3ExNS0_10empty_typeEbEEZZNS1_14partition_implILS5_3ELb0ES3_jN6thrust23THRUST_200600_302600_NS6detail15normal_iteratorINSA_7pointerIxNSA_11hip_rocprim3tagENSA_11use_defaultESG_EEEEPS6_SJ_NS0_5tupleIJPxSJ_EEENSK_IJSJ_SJ_EEES6_PlJ7is_evenIxEEEE10hipError_tPvRmT3_T4_T5_T6_T7_T9_mT8_P12ihipStream_tbDpT10_ENKUlT_T0_E_clISt17integral_constantIbLb0EES1A_EEDaS15_S16_EUlS15_E_NS1_11comp_targetILNS1_3genE9ELNS1_11target_archE1100ELNS1_3gpuE3ELNS1_3repE0EEENS1_30default_config_static_selectorELNS0_4arch9wavefront6targetE1EEEvT1_
	.globl	_ZN7rocprim17ROCPRIM_400000_NS6detail17trampoline_kernelINS0_14default_configENS1_25partition_config_selectorILNS1_17partition_subalgoE3ExNS0_10empty_typeEbEEZZNS1_14partition_implILS5_3ELb0ES3_jN6thrust23THRUST_200600_302600_NS6detail15normal_iteratorINSA_7pointerIxNSA_11hip_rocprim3tagENSA_11use_defaultESG_EEEEPS6_SJ_NS0_5tupleIJPxSJ_EEENSK_IJSJ_SJ_EEES6_PlJ7is_evenIxEEEE10hipError_tPvRmT3_T4_T5_T6_T7_T9_mT8_P12ihipStream_tbDpT10_ENKUlT_T0_E_clISt17integral_constantIbLb0EES1A_EEDaS15_S16_EUlS15_E_NS1_11comp_targetILNS1_3genE9ELNS1_11target_archE1100ELNS1_3gpuE3ELNS1_3repE0EEENS1_30default_config_static_selectorELNS0_4arch9wavefront6targetE1EEEvT1_
	.p2align	8
	.type	_ZN7rocprim17ROCPRIM_400000_NS6detail17trampoline_kernelINS0_14default_configENS1_25partition_config_selectorILNS1_17partition_subalgoE3ExNS0_10empty_typeEbEEZZNS1_14partition_implILS5_3ELb0ES3_jN6thrust23THRUST_200600_302600_NS6detail15normal_iteratorINSA_7pointerIxNSA_11hip_rocprim3tagENSA_11use_defaultESG_EEEEPS6_SJ_NS0_5tupleIJPxSJ_EEENSK_IJSJ_SJ_EEES6_PlJ7is_evenIxEEEE10hipError_tPvRmT3_T4_T5_T6_T7_T9_mT8_P12ihipStream_tbDpT10_ENKUlT_T0_E_clISt17integral_constantIbLb0EES1A_EEDaS15_S16_EUlS15_E_NS1_11comp_targetILNS1_3genE9ELNS1_11target_archE1100ELNS1_3gpuE3ELNS1_3repE0EEENS1_30default_config_static_selectorELNS0_4arch9wavefront6targetE1EEEvT1_,@function
_ZN7rocprim17ROCPRIM_400000_NS6detail17trampoline_kernelINS0_14default_configENS1_25partition_config_selectorILNS1_17partition_subalgoE3ExNS0_10empty_typeEbEEZZNS1_14partition_implILS5_3ELb0ES3_jN6thrust23THRUST_200600_302600_NS6detail15normal_iteratorINSA_7pointerIxNSA_11hip_rocprim3tagENSA_11use_defaultESG_EEEEPS6_SJ_NS0_5tupleIJPxSJ_EEENSK_IJSJ_SJ_EEES6_PlJ7is_evenIxEEEE10hipError_tPvRmT3_T4_T5_T6_T7_T9_mT8_P12ihipStream_tbDpT10_ENKUlT_T0_E_clISt17integral_constantIbLb0EES1A_EEDaS15_S16_EUlS15_E_NS1_11comp_targetILNS1_3genE9ELNS1_11target_archE1100ELNS1_3gpuE3ELNS1_3repE0EEENS1_30default_config_static_selectorELNS0_4arch9wavefront6targetE1EEEvT1_: ; @_ZN7rocprim17ROCPRIM_400000_NS6detail17trampoline_kernelINS0_14default_configENS1_25partition_config_selectorILNS1_17partition_subalgoE3ExNS0_10empty_typeEbEEZZNS1_14partition_implILS5_3ELb0ES3_jN6thrust23THRUST_200600_302600_NS6detail15normal_iteratorINSA_7pointerIxNSA_11hip_rocprim3tagENSA_11use_defaultESG_EEEEPS6_SJ_NS0_5tupleIJPxSJ_EEENSK_IJSJ_SJ_EEES6_PlJ7is_evenIxEEEE10hipError_tPvRmT3_T4_T5_T6_T7_T9_mT8_P12ihipStream_tbDpT10_ENKUlT_T0_E_clISt17integral_constantIbLb0EES1A_EEDaS15_S16_EUlS15_E_NS1_11comp_targetILNS1_3genE9ELNS1_11target_archE1100ELNS1_3gpuE3ELNS1_3repE0EEENS1_30default_config_static_selectorELNS0_4arch9wavefront6targetE1EEEvT1_
; %bb.0:
	.section	.rodata,"a",@progbits
	.p2align	6, 0x0
	.amdhsa_kernel _ZN7rocprim17ROCPRIM_400000_NS6detail17trampoline_kernelINS0_14default_configENS1_25partition_config_selectorILNS1_17partition_subalgoE3ExNS0_10empty_typeEbEEZZNS1_14partition_implILS5_3ELb0ES3_jN6thrust23THRUST_200600_302600_NS6detail15normal_iteratorINSA_7pointerIxNSA_11hip_rocprim3tagENSA_11use_defaultESG_EEEEPS6_SJ_NS0_5tupleIJPxSJ_EEENSK_IJSJ_SJ_EEES6_PlJ7is_evenIxEEEE10hipError_tPvRmT3_T4_T5_T6_T7_T9_mT8_P12ihipStream_tbDpT10_ENKUlT_T0_E_clISt17integral_constantIbLb0EES1A_EEDaS15_S16_EUlS15_E_NS1_11comp_targetILNS1_3genE9ELNS1_11target_archE1100ELNS1_3gpuE3ELNS1_3repE0EEENS1_30default_config_static_selectorELNS0_4arch9wavefront6targetE1EEEvT1_
		.amdhsa_group_segment_fixed_size 0
		.amdhsa_private_segment_fixed_size 0
		.amdhsa_kernarg_size 120
		.amdhsa_user_sgpr_count 6
		.amdhsa_user_sgpr_private_segment_buffer 1
		.amdhsa_user_sgpr_dispatch_ptr 0
		.amdhsa_user_sgpr_queue_ptr 0
		.amdhsa_user_sgpr_kernarg_segment_ptr 1
		.amdhsa_user_sgpr_dispatch_id 0
		.amdhsa_user_sgpr_flat_scratch_init 0
		.amdhsa_user_sgpr_kernarg_preload_length 0
		.amdhsa_user_sgpr_kernarg_preload_offset 0
		.amdhsa_user_sgpr_private_segment_size 0
		.amdhsa_uses_dynamic_stack 0
		.amdhsa_system_sgpr_private_segment_wavefront_offset 0
		.amdhsa_system_sgpr_workgroup_id_x 1
		.amdhsa_system_sgpr_workgroup_id_y 0
		.amdhsa_system_sgpr_workgroup_id_z 0
		.amdhsa_system_sgpr_workgroup_info 0
		.amdhsa_system_vgpr_workitem_id 0
		.amdhsa_next_free_vgpr 1
		.amdhsa_next_free_sgpr 0
		.amdhsa_accum_offset 4
		.amdhsa_reserve_vcc 0
		.amdhsa_reserve_flat_scratch 0
		.amdhsa_float_round_mode_32 0
		.amdhsa_float_round_mode_16_64 0
		.amdhsa_float_denorm_mode_32 3
		.amdhsa_float_denorm_mode_16_64 3
		.amdhsa_dx10_clamp 1
		.amdhsa_ieee_mode 1
		.amdhsa_fp16_overflow 0
		.amdhsa_tg_split 0
		.amdhsa_exception_fp_ieee_invalid_op 0
		.amdhsa_exception_fp_denorm_src 0
		.amdhsa_exception_fp_ieee_div_zero 0
		.amdhsa_exception_fp_ieee_overflow 0
		.amdhsa_exception_fp_ieee_underflow 0
		.amdhsa_exception_fp_ieee_inexact 0
		.amdhsa_exception_int_div_zero 0
	.end_amdhsa_kernel
	.section	.text._ZN7rocprim17ROCPRIM_400000_NS6detail17trampoline_kernelINS0_14default_configENS1_25partition_config_selectorILNS1_17partition_subalgoE3ExNS0_10empty_typeEbEEZZNS1_14partition_implILS5_3ELb0ES3_jN6thrust23THRUST_200600_302600_NS6detail15normal_iteratorINSA_7pointerIxNSA_11hip_rocprim3tagENSA_11use_defaultESG_EEEEPS6_SJ_NS0_5tupleIJPxSJ_EEENSK_IJSJ_SJ_EEES6_PlJ7is_evenIxEEEE10hipError_tPvRmT3_T4_T5_T6_T7_T9_mT8_P12ihipStream_tbDpT10_ENKUlT_T0_E_clISt17integral_constantIbLb0EES1A_EEDaS15_S16_EUlS15_E_NS1_11comp_targetILNS1_3genE9ELNS1_11target_archE1100ELNS1_3gpuE3ELNS1_3repE0EEENS1_30default_config_static_selectorELNS0_4arch9wavefront6targetE1EEEvT1_,"axG",@progbits,_ZN7rocprim17ROCPRIM_400000_NS6detail17trampoline_kernelINS0_14default_configENS1_25partition_config_selectorILNS1_17partition_subalgoE3ExNS0_10empty_typeEbEEZZNS1_14partition_implILS5_3ELb0ES3_jN6thrust23THRUST_200600_302600_NS6detail15normal_iteratorINSA_7pointerIxNSA_11hip_rocprim3tagENSA_11use_defaultESG_EEEEPS6_SJ_NS0_5tupleIJPxSJ_EEENSK_IJSJ_SJ_EEES6_PlJ7is_evenIxEEEE10hipError_tPvRmT3_T4_T5_T6_T7_T9_mT8_P12ihipStream_tbDpT10_ENKUlT_T0_E_clISt17integral_constantIbLb0EES1A_EEDaS15_S16_EUlS15_E_NS1_11comp_targetILNS1_3genE9ELNS1_11target_archE1100ELNS1_3gpuE3ELNS1_3repE0EEENS1_30default_config_static_selectorELNS0_4arch9wavefront6targetE1EEEvT1_,comdat
.Lfunc_end11:
	.size	_ZN7rocprim17ROCPRIM_400000_NS6detail17trampoline_kernelINS0_14default_configENS1_25partition_config_selectorILNS1_17partition_subalgoE3ExNS0_10empty_typeEbEEZZNS1_14partition_implILS5_3ELb0ES3_jN6thrust23THRUST_200600_302600_NS6detail15normal_iteratorINSA_7pointerIxNSA_11hip_rocprim3tagENSA_11use_defaultESG_EEEEPS6_SJ_NS0_5tupleIJPxSJ_EEENSK_IJSJ_SJ_EEES6_PlJ7is_evenIxEEEE10hipError_tPvRmT3_T4_T5_T6_T7_T9_mT8_P12ihipStream_tbDpT10_ENKUlT_T0_E_clISt17integral_constantIbLb0EES1A_EEDaS15_S16_EUlS15_E_NS1_11comp_targetILNS1_3genE9ELNS1_11target_archE1100ELNS1_3gpuE3ELNS1_3repE0EEENS1_30default_config_static_selectorELNS0_4arch9wavefront6targetE1EEEvT1_, .Lfunc_end11-_ZN7rocprim17ROCPRIM_400000_NS6detail17trampoline_kernelINS0_14default_configENS1_25partition_config_selectorILNS1_17partition_subalgoE3ExNS0_10empty_typeEbEEZZNS1_14partition_implILS5_3ELb0ES3_jN6thrust23THRUST_200600_302600_NS6detail15normal_iteratorINSA_7pointerIxNSA_11hip_rocprim3tagENSA_11use_defaultESG_EEEEPS6_SJ_NS0_5tupleIJPxSJ_EEENSK_IJSJ_SJ_EEES6_PlJ7is_evenIxEEEE10hipError_tPvRmT3_T4_T5_T6_T7_T9_mT8_P12ihipStream_tbDpT10_ENKUlT_T0_E_clISt17integral_constantIbLb0EES1A_EEDaS15_S16_EUlS15_E_NS1_11comp_targetILNS1_3genE9ELNS1_11target_archE1100ELNS1_3gpuE3ELNS1_3repE0EEENS1_30default_config_static_selectorELNS0_4arch9wavefront6targetE1EEEvT1_
                                        ; -- End function
	.section	.AMDGPU.csdata,"",@progbits
; Kernel info:
; codeLenInByte = 0
; NumSgprs: 4
; NumVgprs: 0
; NumAgprs: 0
; TotalNumVgprs: 0
; ScratchSize: 0
; MemoryBound: 0
; FloatMode: 240
; IeeeMode: 1
; LDSByteSize: 0 bytes/workgroup (compile time only)
; SGPRBlocks: 0
; VGPRBlocks: 0
; NumSGPRsForWavesPerEU: 4
; NumVGPRsForWavesPerEU: 1
; AccumOffset: 4
; Occupancy: 8
; WaveLimiterHint : 0
; COMPUTE_PGM_RSRC2:SCRATCH_EN: 0
; COMPUTE_PGM_RSRC2:USER_SGPR: 6
; COMPUTE_PGM_RSRC2:TRAP_HANDLER: 0
; COMPUTE_PGM_RSRC2:TGID_X_EN: 1
; COMPUTE_PGM_RSRC2:TGID_Y_EN: 0
; COMPUTE_PGM_RSRC2:TGID_Z_EN: 0
; COMPUTE_PGM_RSRC2:TIDIG_COMP_CNT: 0
; COMPUTE_PGM_RSRC3_GFX90A:ACCUM_OFFSET: 0
; COMPUTE_PGM_RSRC3_GFX90A:TG_SPLIT: 0
	.section	.text._ZN7rocprim17ROCPRIM_400000_NS6detail17trampoline_kernelINS0_14default_configENS1_25partition_config_selectorILNS1_17partition_subalgoE3ExNS0_10empty_typeEbEEZZNS1_14partition_implILS5_3ELb0ES3_jN6thrust23THRUST_200600_302600_NS6detail15normal_iteratorINSA_7pointerIxNSA_11hip_rocprim3tagENSA_11use_defaultESG_EEEEPS6_SJ_NS0_5tupleIJPxSJ_EEENSK_IJSJ_SJ_EEES6_PlJ7is_evenIxEEEE10hipError_tPvRmT3_T4_T5_T6_T7_T9_mT8_P12ihipStream_tbDpT10_ENKUlT_T0_E_clISt17integral_constantIbLb0EES1A_EEDaS15_S16_EUlS15_E_NS1_11comp_targetILNS1_3genE8ELNS1_11target_archE1030ELNS1_3gpuE2ELNS1_3repE0EEENS1_30default_config_static_selectorELNS0_4arch9wavefront6targetE1EEEvT1_,"axG",@progbits,_ZN7rocprim17ROCPRIM_400000_NS6detail17trampoline_kernelINS0_14default_configENS1_25partition_config_selectorILNS1_17partition_subalgoE3ExNS0_10empty_typeEbEEZZNS1_14partition_implILS5_3ELb0ES3_jN6thrust23THRUST_200600_302600_NS6detail15normal_iteratorINSA_7pointerIxNSA_11hip_rocprim3tagENSA_11use_defaultESG_EEEEPS6_SJ_NS0_5tupleIJPxSJ_EEENSK_IJSJ_SJ_EEES6_PlJ7is_evenIxEEEE10hipError_tPvRmT3_T4_T5_T6_T7_T9_mT8_P12ihipStream_tbDpT10_ENKUlT_T0_E_clISt17integral_constantIbLb0EES1A_EEDaS15_S16_EUlS15_E_NS1_11comp_targetILNS1_3genE8ELNS1_11target_archE1030ELNS1_3gpuE2ELNS1_3repE0EEENS1_30default_config_static_selectorELNS0_4arch9wavefront6targetE1EEEvT1_,comdat
	.protected	_ZN7rocprim17ROCPRIM_400000_NS6detail17trampoline_kernelINS0_14default_configENS1_25partition_config_selectorILNS1_17partition_subalgoE3ExNS0_10empty_typeEbEEZZNS1_14partition_implILS5_3ELb0ES3_jN6thrust23THRUST_200600_302600_NS6detail15normal_iteratorINSA_7pointerIxNSA_11hip_rocprim3tagENSA_11use_defaultESG_EEEEPS6_SJ_NS0_5tupleIJPxSJ_EEENSK_IJSJ_SJ_EEES6_PlJ7is_evenIxEEEE10hipError_tPvRmT3_T4_T5_T6_T7_T9_mT8_P12ihipStream_tbDpT10_ENKUlT_T0_E_clISt17integral_constantIbLb0EES1A_EEDaS15_S16_EUlS15_E_NS1_11comp_targetILNS1_3genE8ELNS1_11target_archE1030ELNS1_3gpuE2ELNS1_3repE0EEENS1_30default_config_static_selectorELNS0_4arch9wavefront6targetE1EEEvT1_ ; -- Begin function _ZN7rocprim17ROCPRIM_400000_NS6detail17trampoline_kernelINS0_14default_configENS1_25partition_config_selectorILNS1_17partition_subalgoE3ExNS0_10empty_typeEbEEZZNS1_14partition_implILS5_3ELb0ES3_jN6thrust23THRUST_200600_302600_NS6detail15normal_iteratorINSA_7pointerIxNSA_11hip_rocprim3tagENSA_11use_defaultESG_EEEEPS6_SJ_NS0_5tupleIJPxSJ_EEENSK_IJSJ_SJ_EEES6_PlJ7is_evenIxEEEE10hipError_tPvRmT3_T4_T5_T6_T7_T9_mT8_P12ihipStream_tbDpT10_ENKUlT_T0_E_clISt17integral_constantIbLb0EES1A_EEDaS15_S16_EUlS15_E_NS1_11comp_targetILNS1_3genE8ELNS1_11target_archE1030ELNS1_3gpuE2ELNS1_3repE0EEENS1_30default_config_static_selectorELNS0_4arch9wavefront6targetE1EEEvT1_
	.globl	_ZN7rocprim17ROCPRIM_400000_NS6detail17trampoline_kernelINS0_14default_configENS1_25partition_config_selectorILNS1_17partition_subalgoE3ExNS0_10empty_typeEbEEZZNS1_14partition_implILS5_3ELb0ES3_jN6thrust23THRUST_200600_302600_NS6detail15normal_iteratorINSA_7pointerIxNSA_11hip_rocprim3tagENSA_11use_defaultESG_EEEEPS6_SJ_NS0_5tupleIJPxSJ_EEENSK_IJSJ_SJ_EEES6_PlJ7is_evenIxEEEE10hipError_tPvRmT3_T4_T5_T6_T7_T9_mT8_P12ihipStream_tbDpT10_ENKUlT_T0_E_clISt17integral_constantIbLb0EES1A_EEDaS15_S16_EUlS15_E_NS1_11comp_targetILNS1_3genE8ELNS1_11target_archE1030ELNS1_3gpuE2ELNS1_3repE0EEENS1_30default_config_static_selectorELNS0_4arch9wavefront6targetE1EEEvT1_
	.p2align	8
	.type	_ZN7rocprim17ROCPRIM_400000_NS6detail17trampoline_kernelINS0_14default_configENS1_25partition_config_selectorILNS1_17partition_subalgoE3ExNS0_10empty_typeEbEEZZNS1_14partition_implILS5_3ELb0ES3_jN6thrust23THRUST_200600_302600_NS6detail15normal_iteratorINSA_7pointerIxNSA_11hip_rocprim3tagENSA_11use_defaultESG_EEEEPS6_SJ_NS0_5tupleIJPxSJ_EEENSK_IJSJ_SJ_EEES6_PlJ7is_evenIxEEEE10hipError_tPvRmT3_T4_T5_T6_T7_T9_mT8_P12ihipStream_tbDpT10_ENKUlT_T0_E_clISt17integral_constantIbLb0EES1A_EEDaS15_S16_EUlS15_E_NS1_11comp_targetILNS1_3genE8ELNS1_11target_archE1030ELNS1_3gpuE2ELNS1_3repE0EEENS1_30default_config_static_selectorELNS0_4arch9wavefront6targetE1EEEvT1_,@function
_ZN7rocprim17ROCPRIM_400000_NS6detail17trampoline_kernelINS0_14default_configENS1_25partition_config_selectorILNS1_17partition_subalgoE3ExNS0_10empty_typeEbEEZZNS1_14partition_implILS5_3ELb0ES3_jN6thrust23THRUST_200600_302600_NS6detail15normal_iteratorINSA_7pointerIxNSA_11hip_rocprim3tagENSA_11use_defaultESG_EEEEPS6_SJ_NS0_5tupleIJPxSJ_EEENSK_IJSJ_SJ_EEES6_PlJ7is_evenIxEEEE10hipError_tPvRmT3_T4_T5_T6_T7_T9_mT8_P12ihipStream_tbDpT10_ENKUlT_T0_E_clISt17integral_constantIbLb0EES1A_EEDaS15_S16_EUlS15_E_NS1_11comp_targetILNS1_3genE8ELNS1_11target_archE1030ELNS1_3gpuE2ELNS1_3repE0EEENS1_30default_config_static_selectorELNS0_4arch9wavefront6targetE1EEEvT1_: ; @_ZN7rocprim17ROCPRIM_400000_NS6detail17trampoline_kernelINS0_14default_configENS1_25partition_config_selectorILNS1_17partition_subalgoE3ExNS0_10empty_typeEbEEZZNS1_14partition_implILS5_3ELb0ES3_jN6thrust23THRUST_200600_302600_NS6detail15normal_iteratorINSA_7pointerIxNSA_11hip_rocprim3tagENSA_11use_defaultESG_EEEEPS6_SJ_NS0_5tupleIJPxSJ_EEENSK_IJSJ_SJ_EEES6_PlJ7is_evenIxEEEE10hipError_tPvRmT3_T4_T5_T6_T7_T9_mT8_P12ihipStream_tbDpT10_ENKUlT_T0_E_clISt17integral_constantIbLb0EES1A_EEDaS15_S16_EUlS15_E_NS1_11comp_targetILNS1_3genE8ELNS1_11target_archE1030ELNS1_3gpuE2ELNS1_3repE0EEENS1_30default_config_static_selectorELNS0_4arch9wavefront6targetE1EEEvT1_
; %bb.0:
	.section	.rodata,"a",@progbits
	.p2align	6, 0x0
	.amdhsa_kernel _ZN7rocprim17ROCPRIM_400000_NS6detail17trampoline_kernelINS0_14default_configENS1_25partition_config_selectorILNS1_17partition_subalgoE3ExNS0_10empty_typeEbEEZZNS1_14partition_implILS5_3ELb0ES3_jN6thrust23THRUST_200600_302600_NS6detail15normal_iteratorINSA_7pointerIxNSA_11hip_rocprim3tagENSA_11use_defaultESG_EEEEPS6_SJ_NS0_5tupleIJPxSJ_EEENSK_IJSJ_SJ_EEES6_PlJ7is_evenIxEEEE10hipError_tPvRmT3_T4_T5_T6_T7_T9_mT8_P12ihipStream_tbDpT10_ENKUlT_T0_E_clISt17integral_constantIbLb0EES1A_EEDaS15_S16_EUlS15_E_NS1_11comp_targetILNS1_3genE8ELNS1_11target_archE1030ELNS1_3gpuE2ELNS1_3repE0EEENS1_30default_config_static_selectorELNS0_4arch9wavefront6targetE1EEEvT1_
		.amdhsa_group_segment_fixed_size 0
		.amdhsa_private_segment_fixed_size 0
		.amdhsa_kernarg_size 120
		.amdhsa_user_sgpr_count 6
		.amdhsa_user_sgpr_private_segment_buffer 1
		.amdhsa_user_sgpr_dispatch_ptr 0
		.amdhsa_user_sgpr_queue_ptr 0
		.amdhsa_user_sgpr_kernarg_segment_ptr 1
		.amdhsa_user_sgpr_dispatch_id 0
		.amdhsa_user_sgpr_flat_scratch_init 0
		.amdhsa_user_sgpr_kernarg_preload_length 0
		.amdhsa_user_sgpr_kernarg_preload_offset 0
		.amdhsa_user_sgpr_private_segment_size 0
		.amdhsa_uses_dynamic_stack 0
		.amdhsa_system_sgpr_private_segment_wavefront_offset 0
		.amdhsa_system_sgpr_workgroup_id_x 1
		.amdhsa_system_sgpr_workgroup_id_y 0
		.amdhsa_system_sgpr_workgroup_id_z 0
		.amdhsa_system_sgpr_workgroup_info 0
		.amdhsa_system_vgpr_workitem_id 0
		.amdhsa_next_free_vgpr 1
		.amdhsa_next_free_sgpr 0
		.amdhsa_accum_offset 4
		.amdhsa_reserve_vcc 0
		.amdhsa_reserve_flat_scratch 0
		.amdhsa_float_round_mode_32 0
		.amdhsa_float_round_mode_16_64 0
		.amdhsa_float_denorm_mode_32 3
		.amdhsa_float_denorm_mode_16_64 3
		.amdhsa_dx10_clamp 1
		.amdhsa_ieee_mode 1
		.amdhsa_fp16_overflow 0
		.amdhsa_tg_split 0
		.amdhsa_exception_fp_ieee_invalid_op 0
		.amdhsa_exception_fp_denorm_src 0
		.amdhsa_exception_fp_ieee_div_zero 0
		.amdhsa_exception_fp_ieee_overflow 0
		.amdhsa_exception_fp_ieee_underflow 0
		.amdhsa_exception_fp_ieee_inexact 0
		.amdhsa_exception_int_div_zero 0
	.end_amdhsa_kernel
	.section	.text._ZN7rocprim17ROCPRIM_400000_NS6detail17trampoline_kernelINS0_14default_configENS1_25partition_config_selectorILNS1_17partition_subalgoE3ExNS0_10empty_typeEbEEZZNS1_14partition_implILS5_3ELb0ES3_jN6thrust23THRUST_200600_302600_NS6detail15normal_iteratorINSA_7pointerIxNSA_11hip_rocprim3tagENSA_11use_defaultESG_EEEEPS6_SJ_NS0_5tupleIJPxSJ_EEENSK_IJSJ_SJ_EEES6_PlJ7is_evenIxEEEE10hipError_tPvRmT3_T4_T5_T6_T7_T9_mT8_P12ihipStream_tbDpT10_ENKUlT_T0_E_clISt17integral_constantIbLb0EES1A_EEDaS15_S16_EUlS15_E_NS1_11comp_targetILNS1_3genE8ELNS1_11target_archE1030ELNS1_3gpuE2ELNS1_3repE0EEENS1_30default_config_static_selectorELNS0_4arch9wavefront6targetE1EEEvT1_,"axG",@progbits,_ZN7rocprim17ROCPRIM_400000_NS6detail17trampoline_kernelINS0_14default_configENS1_25partition_config_selectorILNS1_17partition_subalgoE3ExNS0_10empty_typeEbEEZZNS1_14partition_implILS5_3ELb0ES3_jN6thrust23THRUST_200600_302600_NS6detail15normal_iteratorINSA_7pointerIxNSA_11hip_rocprim3tagENSA_11use_defaultESG_EEEEPS6_SJ_NS0_5tupleIJPxSJ_EEENSK_IJSJ_SJ_EEES6_PlJ7is_evenIxEEEE10hipError_tPvRmT3_T4_T5_T6_T7_T9_mT8_P12ihipStream_tbDpT10_ENKUlT_T0_E_clISt17integral_constantIbLb0EES1A_EEDaS15_S16_EUlS15_E_NS1_11comp_targetILNS1_3genE8ELNS1_11target_archE1030ELNS1_3gpuE2ELNS1_3repE0EEENS1_30default_config_static_selectorELNS0_4arch9wavefront6targetE1EEEvT1_,comdat
.Lfunc_end12:
	.size	_ZN7rocprim17ROCPRIM_400000_NS6detail17trampoline_kernelINS0_14default_configENS1_25partition_config_selectorILNS1_17partition_subalgoE3ExNS0_10empty_typeEbEEZZNS1_14partition_implILS5_3ELb0ES3_jN6thrust23THRUST_200600_302600_NS6detail15normal_iteratorINSA_7pointerIxNSA_11hip_rocprim3tagENSA_11use_defaultESG_EEEEPS6_SJ_NS0_5tupleIJPxSJ_EEENSK_IJSJ_SJ_EEES6_PlJ7is_evenIxEEEE10hipError_tPvRmT3_T4_T5_T6_T7_T9_mT8_P12ihipStream_tbDpT10_ENKUlT_T0_E_clISt17integral_constantIbLb0EES1A_EEDaS15_S16_EUlS15_E_NS1_11comp_targetILNS1_3genE8ELNS1_11target_archE1030ELNS1_3gpuE2ELNS1_3repE0EEENS1_30default_config_static_selectorELNS0_4arch9wavefront6targetE1EEEvT1_, .Lfunc_end12-_ZN7rocprim17ROCPRIM_400000_NS6detail17trampoline_kernelINS0_14default_configENS1_25partition_config_selectorILNS1_17partition_subalgoE3ExNS0_10empty_typeEbEEZZNS1_14partition_implILS5_3ELb0ES3_jN6thrust23THRUST_200600_302600_NS6detail15normal_iteratorINSA_7pointerIxNSA_11hip_rocprim3tagENSA_11use_defaultESG_EEEEPS6_SJ_NS0_5tupleIJPxSJ_EEENSK_IJSJ_SJ_EEES6_PlJ7is_evenIxEEEE10hipError_tPvRmT3_T4_T5_T6_T7_T9_mT8_P12ihipStream_tbDpT10_ENKUlT_T0_E_clISt17integral_constantIbLb0EES1A_EEDaS15_S16_EUlS15_E_NS1_11comp_targetILNS1_3genE8ELNS1_11target_archE1030ELNS1_3gpuE2ELNS1_3repE0EEENS1_30default_config_static_selectorELNS0_4arch9wavefront6targetE1EEEvT1_
                                        ; -- End function
	.section	.AMDGPU.csdata,"",@progbits
; Kernel info:
; codeLenInByte = 0
; NumSgprs: 4
; NumVgprs: 0
; NumAgprs: 0
; TotalNumVgprs: 0
; ScratchSize: 0
; MemoryBound: 0
; FloatMode: 240
; IeeeMode: 1
; LDSByteSize: 0 bytes/workgroup (compile time only)
; SGPRBlocks: 0
; VGPRBlocks: 0
; NumSGPRsForWavesPerEU: 4
; NumVGPRsForWavesPerEU: 1
; AccumOffset: 4
; Occupancy: 8
; WaveLimiterHint : 0
; COMPUTE_PGM_RSRC2:SCRATCH_EN: 0
; COMPUTE_PGM_RSRC2:USER_SGPR: 6
; COMPUTE_PGM_RSRC2:TRAP_HANDLER: 0
; COMPUTE_PGM_RSRC2:TGID_X_EN: 1
; COMPUTE_PGM_RSRC2:TGID_Y_EN: 0
; COMPUTE_PGM_RSRC2:TGID_Z_EN: 0
; COMPUTE_PGM_RSRC2:TIDIG_COMP_CNT: 0
; COMPUTE_PGM_RSRC3_GFX90A:ACCUM_OFFSET: 0
; COMPUTE_PGM_RSRC3_GFX90A:TG_SPLIT: 0
	.section	.text._ZN7rocprim17ROCPRIM_400000_NS6detail17trampoline_kernelINS0_14default_configENS1_25transform_config_selectorImLb1EEEZNS1_14transform_implILb1ES3_S5_PmPlNS0_8identityIvEEEE10hipError_tT2_T3_mT4_P12ihipStream_tbEUlT_E_NS1_11comp_targetILNS1_3genE0ELNS1_11target_archE4294967295ELNS1_3gpuE0ELNS1_3repE0EEENS1_30default_config_static_selectorELNS0_4arch9wavefront6targetE1EEEvT1_,"axG",@progbits,_ZN7rocprim17ROCPRIM_400000_NS6detail17trampoline_kernelINS0_14default_configENS1_25transform_config_selectorImLb1EEEZNS1_14transform_implILb1ES3_S5_PmPlNS0_8identityIvEEEE10hipError_tT2_T3_mT4_P12ihipStream_tbEUlT_E_NS1_11comp_targetILNS1_3genE0ELNS1_11target_archE4294967295ELNS1_3gpuE0ELNS1_3repE0EEENS1_30default_config_static_selectorELNS0_4arch9wavefront6targetE1EEEvT1_,comdat
	.protected	_ZN7rocprim17ROCPRIM_400000_NS6detail17trampoline_kernelINS0_14default_configENS1_25transform_config_selectorImLb1EEEZNS1_14transform_implILb1ES3_S5_PmPlNS0_8identityIvEEEE10hipError_tT2_T3_mT4_P12ihipStream_tbEUlT_E_NS1_11comp_targetILNS1_3genE0ELNS1_11target_archE4294967295ELNS1_3gpuE0ELNS1_3repE0EEENS1_30default_config_static_selectorELNS0_4arch9wavefront6targetE1EEEvT1_ ; -- Begin function _ZN7rocprim17ROCPRIM_400000_NS6detail17trampoline_kernelINS0_14default_configENS1_25transform_config_selectorImLb1EEEZNS1_14transform_implILb1ES3_S5_PmPlNS0_8identityIvEEEE10hipError_tT2_T3_mT4_P12ihipStream_tbEUlT_E_NS1_11comp_targetILNS1_3genE0ELNS1_11target_archE4294967295ELNS1_3gpuE0ELNS1_3repE0EEENS1_30default_config_static_selectorELNS0_4arch9wavefront6targetE1EEEvT1_
	.globl	_ZN7rocprim17ROCPRIM_400000_NS6detail17trampoline_kernelINS0_14default_configENS1_25transform_config_selectorImLb1EEEZNS1_14transform_implILb1ES3_S5_PmPlNS0_8identityIvEEEE10hipError_tT2_T3_mT4_P12ihipStream_tbEUlT_E_NS1_11comp_targetILNS1_3genE0ELNS1_11target_archE4294967295ELNS1_3gpuE0ELNS1_3repE0EEENS1_30default_config_static_selectorELNS0_4arch9wavefront6targetE1EEEvT1_
	.p2align	8
	.type	_ZN7rocprim17ROCPRIM_400000_NS6detail17trampoline_kernelINS0_14default_configENS1_25transform_config_selectorImLb1EEEZNS1_14transform_implILb1ES3_S5_PmPlNS0_8identityIvEEEE10hipError_tT2_T3_mT4_P12ihipStream_tbEUlT_E_NS1_11comp_targetILNS1_3genE0ELNS1_11target_archE4294967295ELNS1_3gpuE0ELNS1_3repE0EEENS1_30default_config_static_selectorELNS0_4arch9wavefront6targetE1EEEvT1_,@function
_ZN7rocprim17ROCPRIM_400000_NS6detail17trampoline_kernelINS0_14default_configENS1_25transform_config_selectorImLb1EEEZNS1_14transform_implILb1ES3_S5_PmPlNS0_8identityIvEEEE10hipError_tT2_T3_mT4_P12ihipStream_tbEUlT_E_NS1_11comp_targetILNS1_3genE0ELNS1_11target_archE4294967295ELNS1_3gpuE0ELNS1_3repE0EEENS1_30default_config_static_selectorELNS0_4arch9wavefront6targetE1EEEvT1_: ; @_ZN7rocprim17ROCPRIM_400000_NS6detail17trampoline_kernelINS0_14default_configENS1_25transform_config_selectorImLb1EEEZNS1_14transform_implILb1ES3_S5_PmPlNS0_8identityIvEEEE10hipError_tT2_T3_mT4_P12ihipStream_tbEUlT_E_NS1_11comp_targetILNS1_3genE0ELNS1_11target_archE4294967295ELNS1_3gpuE0ELNS1_3repE0EEENS1_30default_config_static_selectorELNS0_4arch9wavefront6targetE1EEEvT1_
; %bb.0:
	.section	.rodata,"a",@progbits
	.p2align	6, 0x0
	.amdhsa_kernel _ZN7rocprim17ROCPRIM_400000_NS6detail17trampoline_kernelINS0_14default_configENS1_25transform_config_selectorImLb1EEEZNS1_14transform_implILb1ES3_S5_PmPlNS0_8identityIvEEEE10hipError_tT2_T3_mT4_P12ihipStream_tbEUlT_E_NS1_11comp_targetILNS1_3genE0ELNS1_11target_archE4294967295ELNS1_3gpuE0ELNS1_3repE0EEENS1_30default_config_static_selectorELNS0_4arch9wavefront6targetE1EEEvT1_
		.amdhsa_group_segment_fixed_size 0
		.amdhsa_private_segment_fixed_size 0
		.amdhsa_kernarg_size 40
		.amdhsa_user_sgpr_count 6
		.amdhsa_user_sgpr_private_segment_buffer 1
		.amdhsa_user_sgpr_dispatch_ptr 0
		.amdhsa_user_sgpr_queue_ptr 0
		.amdhsa_user_sgpr_kernarg_segment_ptr 1
		.amdhsa_user_sgpr_dispatch_id 0
		.amdhsa_user_sgpr_flat_scratch_init 0
		.amdhsa_user_sgpr_kernarg_preload_length 0
		.amdhsa_user_sgpr_kernarg_preload_offset 0
		.amdhsa_user_sgpr_private_segment_size 0
		.amdhsa_uses_dynamic_stack 0
		.amdhsa_system_sgpr_private_segment_wavefront_offset 0
		.amdhsa_system_sgpr_workgroup_id_x 1
		.amdhsa_system_sgpr_workgroup_id_y 0
		.amdhsa_system_sgpr_workgroup_id_z 0
		.amdhsa_system_sgpr_workgroup_info 0
		.amdhsa_system_vgpr_workitem_id 0
		.amdhsa_next_free_vgpr 1
		.amdhsa_next_free_sgpr 0
		.amdhsa_accum_offset 4
		.amdhsa_reserve_vcc 0
		.amdhsa_reserve_flat_scratch 0
		.amdhsa_float_round_mode_32 0
		.amdhsa_float_round_mode_16_64 0
		.amdhsa_float_denorm_mode_32 3
		.amdhsa_float_denorm_mode_16_64 3
		.amdhsa_dx10_clamp 1
		.amdhsa_ieee_mode 1
		.amdhsa_fp16_overflow 0
		.amdhsa_tg_split 0
		.amdhsa_exception_fp_ieee_invalid_op 0
		.amdhsa_exception_fp_denorm_src 0
		.amdhsa_exception_fp_ieee_div_zero 0
		.amdhsa_exception_fp_ieee_overflow 0
		.amdhsa_exception_fp_ieee_underflow 0
		.amdhsa_exception_fp_ieee_inexact 0
		.amdhsa_exception_int_div_zero 0
	.end_amdhsa_kernel
	.section	.text._ZN7rocprim17ROCPRIM_400000_NS6detail17trampoline_kernelINS0_14default_configENS1_25transform_config_selectorImLb1EEEZNS1_14transform_implILb1ES3_S5_PmPlNS0_8identityIvEEEE10hipError_tT2_T3_mT4_P12ihipStream_tbEUlT_E_NS1_11comp_targetILNS1_3genE0ELNS1_11target_archE4294967295ELNS1_3gpuE0ELNS1_3repE0EEENS1_30default_config_static_selectorELNS0_4arch9wavefront6targetE1EEEvT1_,"axG",@progbits,_ZN7rocprim17ROCPRIM_400000_NS6detail17trampoline_kernelINS0_14default_configENS1_25transform_config_selectorImLb1EEEZNS1_14transform_implILb1ES3_S5_PmPlNS0_8identityIvEEEE10hipError_tT2_T3_mT4_P12ihipStream_tbEUlT_E_NS1_11comp_targetILNS1_3genE0ELNS1_11target_archE4294967295ELNS1_3gpuE0ELNS1_3repE0EEENS1_30default_config_static_selectorELNS0_4arch9wavefront6targetE1EEEvT1_,comdat
.Lfunc_end13:
	.size	_ZN7rocprim17ROCPRIM_400000_NS6detail17trampoline_kernelINS0_14default_configENS1_25transform_config_selectorImLb1EEEZNS1_14transform_implILb1ES3_S5_PmPlNS0_8identityIvEEEE10hipError_tT2_T3_mT4_P12ihipStream_tbEUlT_E_NS1_11comp_targetILNS1_3genE0ELNS1_11target_archE4294967295ELNS1_3gpuE0ELNS1_3repE0EEENS1_30default_config_static_selectorELNS0_4arch9wavefront6targetE1EEEvT1_, .Lfunc_end13-_ZN7rocprim17ROCPRIM_400000_NS6detail17trampoline_kernelINS0_14default_configENS1_25transform_config_selectorImLb1EEEZNS1_14transform_implILb1ES3_S5_PmPlNS0_8identityIvEEEE10hipError_tT2_T3_mT4_P12ihipStream_tbEUlT_E_NS1_11comp_targetILNS1_3genE0ELNS1_11target_archE4294967295ELNS1_3gpuE0ELNS1_3repE0EEENS1_30default_config_static_selectorELNS0_4arch9wavefront6targetE1EEEvT1_
                                        ; -- End function
	.section	.AMDGPU.csdata,"",@progbits
; Kernel info:
; codeLenInByte = 0
; NumSgprs: 4
; NumVgprs: 0
; NumAgprs: 0
; TotalNumVgprs: 0
; ScratchSize: 0
; MemoryBound: 0
; FloatMode: 240
; IeeeMode: 1
; LDSByteSize: 0 bytes/workgroup (compile time only)
; SGPRBlocks: 0
; VGPRBlocks: 0
; NumSGPRsForWavesPerEU: 4
; NumVGPRsForWavesPerEU: 1
; AccumOffset: 4
; Occupancy: 8
; WaveLimiterHint : 0
; COMPUTE_PGM_RSRC2:SCRATCH_EN: 0
; COMPUTE_PGM_RSRC2:USER_SGPR: 6
; COMPUTE_PGM_RSRC2:TRAP_HANDLER: 0
; COMPUTE_PGM_RSRC2:TGID_X_EN: 1
; COMPUTE_PGM_RSRC2:TGID_Y_EN: 0
; COMPUTE_PGM_RSRC2:TGID_Z_EN: 0
; COMPUTE_PGM_RSRC2:TIDIG_COMP_CNT: 0
; COMPUTE_PGM_RSRC3_GFX90A:ACCUM_OFFSET: 0
; COMPUTE_PGM_RSRC3_GFX90A:TG_SPLIT: 0
	.section	.text._ZN7rocprim17ROCPRIM_400000_NS6detail17trampoline_kernelINS0_14default_configENS1_25transform_config_selectorImLb1EEEZNS1_14transform_implILb1ES3_S5_PmPlNS0_8identityIvEEEE10hipError_tT2_T3_mT4_P12ihipStream_tbEUlT_E_NS1_11comp_targetILNS1_3genE10ELNS1_11target_archE1201ELNS1_3gpuE5ELNS1_3repE0EEENS1_30default_config_static_selectorELNS0_4arch9wavefront6targetE1EEEvT1_,"axG",@progbits,_ZN7rocprim17ROCPRIM_400000_NS6detail17trampoline_kernelINS0_14default_configENS1_25transform_config_selectorImLb1EEEZNS1_14transform_implILb1ES3_S5_PmPlNS0_8identityIvEEEE10hipError_tT2_T3_mT4_P12ihipStream_tbEUlT_E_NS1_11comp_targetILNS1_3genE10ELNS1_11target_archE1201ELNS1_3gpuE5ELNS1_3repE0EEENS1_30default_config_static_selectorELNS0_4arch9wavefront6targetE1EEEvT1_,comdat
	.protected	_ZN7rocprim17ROCPRIM_400000_NS6detail17trampoline_kernelINS0_14default_configENS1_25transform_config_selectorImLb1EEEZNS1_14transform_implILb1ES3_S5_PmPlNS0_8identityIvEEEE10hipError_tT2_T3_mT4_P12ihipStream_tbEUlT_E_NS1_11comp_targetILNS1_3genE10ELNS1_11target_archE1201ELNS1_3gpuE5ELNS1_3repE0EEENS1_30default_config_static_selectorELNS0_4arch9wavefront6targetE1EEEvT1_ ; -- Begin function _ZN7rocprim17ROCPRIM_400000_NS6detail17trampoline_kernelINS0_14default_configENS1_25transform_config_selectorImLb1EEEZNS1_14transform_implILb1ES3_S5_PmPlNS0_8identityIvEEEE10hipError_tT2_T3_mT4_P12ihipStream_tbEUlT_E_NS1_11comp_targetILNS1_3genE10ELNS1_11target_archE1201ELNS1_3gpuE5ELNS1_3repE0EEENS1_30default_config_static_selectorELNS0_4arch9wavefront6targetE1EEEvT1_
	.globl	_ZN7rocprim17ROCPRIM_400000_NS6detail17trampoline_kernelINS0_14default_configENS1_25transform_config_selectorImLb1EEEZNS1_14transform_implILb1ES3_S5_PmPlNS0_8identityIvEEEE10hipError_tT2_T3_mT4_P12ihipStream_tbEUlT_E_NS1_11comp_targetILNS1_3genE10ELNS1_11target_archE1201ELNS1_3gpuE5ELNS1_3repE0EEENS1_30default_config_static_selectorELNS0_4arch9wavefront6targetE1EEEvT1_
	.p2align	8
	.type	_ZN7rocprim17ROCPRIM_400000_NS6detail17trampoline_kernelINS0_14default_configENS1_25transform_config_selectorImLb1EEEZNS1_14transform_implILb1ES3_S5_PmPlNS0_8identityIvEEEE10hipError_tT2_T3_mT4_P12ihipStream_tbEUlT_E_NS1_11comp_targetILNS1_3genE10ELNS1_11target_archE1201ELNS1_3gpuE5ELNS1_3repE0EEENS1_30default_config_static_selectorELNS0_4arch9wavefront6targetE1EEEvT1_,@function
_ZN7rocprim17ROCPRIM_400000_NS6detail17trampoline_kernelINS0_14default_configENS1_25transform_config_selectorImLb1EEEZNS1_14transform_implILb1ES3_S5_PmPlNS0_8identityIvEEEE10hipError_tT2_T3_mT4_P12ihipStream_tbEUlT_E_NS1_11comp_targetILNS1_3genE10ELNS1_11target_archE1201ELNS1_3gpuE5ELNS1_3repE0EEENS1_30default_config_static_selectorELNS0_4arch9wavefront6targetE1EEEvT1_: ; @_ZN7rocprim17ROCPRIM_400000_NS6detail17trampoline_kernelINS0_14default_configENS1_25transform_config_selectorImLb1EEEZNS1_14transform_implILb1ES3_S5_PmPlNS0_8identityIvEEEE10hipError_tT2_T3_mT4_P12ihipStream_tbEUlT_E_NS1_11comp_targetILNS1_3genE10ELNS1_11target_archE1201ELNS1_3gpuE5ELNS1_3repE0EEENS1_30default_config_static_selectorELNS0_4arch9wavefront6targetE1EEEvT1_
; %bb.0:
	.section	.rodata,"a",@progbits
	.p2align	6, 0x0
	.amdhsa_kernel _ZN7rocprim17ROCPRIM_400000_NS6detail17trampoline_kernelINS0_14default_configENS1_25transform_config_selectorImLb1EEEZNS1_14transform_implILb1ES3_S5_PmPlNS0_8identityIvEEEE10hipError_tT2_T3_mT4_P12ihipStream_tbEUlT_E_NS1_11comp_targetILNS1_3genE10ELNS1_11target_archE1201ELNS1_3gpuE5ELNS1_3repE0EEENS1_30default_config_static_selectorELNS0_4arch9wavefront6targetE1EEEvT1_
		.amdhsa_group_segment_fixed_size 0
		.amdhsa_private_segment_fixed_size 0
		.amdhsa_kernarg_size 40
		.amdhsa_user_sgpr_count 6
		.amdhsa_user_sgpr_private_segment_buffer 1
		.amdhsa_user_sgpr_dispatch_ptr 0
		.amdhsa_user_sgpr_queue_ptr 0
		.amdhsa_user_sgpr_kernarg_segment_ptr 1
		.amdhsa_user_sgpr_dispatch_id 0
		.amdhsa_user_sgpr_flat_scratch_init 0
		.amdhsa_user_sgpr_kernarg_preload_length 0
		.amdhsa_user_sgpr_kernarg_preload_offset 0
		.amdhsa_user_sgpr_private_segment_size 0
		.amdhsa_uses_dynamic_stack 0
		.amdhsa_system_sgpr_private_segment_wavefront_offset 0
		.amdhsa_system_sgpr_workgroup_id_x 1
		.amdhsa_system_sgpr_workgroup_id_y 0
		.amdhsa_system_sgpr_workgroup_id_z 0
		.amdhsa_system_sgpr_workgroup_info 0
		.amdhsa_system_vgpr_workitem_id 0
		.amdhsa_next_free_vgpr 1
		.amdhsa_next_free_sgpr 0
		.amdhsa_accum_offset 4
		.amdhsa_reserve_vcc 0
		.amdhsa_reserve_flat_scratch 0
		.amdhsa_float_round_mode_32 0
		.amdhsa_float_round_mode_16_64 0
		.amdhsa_float_denorm_mode_32 3
		.amdhsa_float_denorm_mode_16_64 3
		.amdhsa_dx10_clamp 1
		.amdhsa_ieee_mode 1
		.amdhsa_fp16_overflow 0
		.amdhsa_tg_split 0
		.amdhsa_exception_fp_ieee_invalid_op 0
		.amdhsa_exception_fp_denorm_src 0
		.amdhsa_exception_fp_ieee_div_zero 0
		.amdhsa_exception_fp_ieee_overflow 0
		.amdhsa_exception_fp_ieee_underflow 0
		.amdhsa_exception_fp_ieee_inexact 0
		.amdhsa_exception_int_div_zero 0
	.end_amdhsa_kernel
	.section	.text._ZN7rocprim17ROCPRIM_400000_NS6detail17trampoline_kernelINS0_14default_configENS1_25transform_config_selectorImLb1EEEZNS1_14transform_implILb1ES3_S5_PmPlNS0_8identityIvEEEE10hipError_tT2_T3_mT4_P12ihipStream_tbEUlT_E_NS1_11comp_targetILNS1_3genE10ELNS1_11target_archE1201ELNS1_3gpuE5ELNS1_3repE0EEENS1_30default_config_static_selectorELNS0_4arch9wavefront6targetE1EEEvT1_,"axG",@progbits,_ZN7rocprim17ROCPRIM_400000_NS6detail17trampoline_kernelINS0_14default_configENS1_25transform_config_selectorImLb1EEEZNS1_14transform_implILb1ES3_S5_PmPlNS0_8identityIvEEEE10hipError_tT2_T3_mT4_P12ihipStream_tbEUlT_E_NS1_11comp_targetILNS1_3genE10ELNS1_11target_archE1201ELNS1_3gpuE5ELNS1_3repE0EEENS1_30default_config_static_selectorELNS0_4arch9wavefront6targetE1EEEvT1_,comdat
.Lfunc_end14:
	.size	_ZN7rocprim17ROCPRIM_400000_NS6detail17trampoline_kernelINS0_14default_configENS1_25transform_config_selectorImLb1EEEZNS1_14transform_implILb1ES3_S5_PmPlNS0_8identityIvEEEE10hipError_tT2_T3_mT4_P12ihipStream_tbEUlT_E_NS1_11comp_targetILNS1_3genE10ELNS1_11target_archE1201ELNS1_3gpuE5ELNS1_3repE0EEENS1_30default_config_static_selectorELNS0_4arch9wavefront6targetE1EEEvT1_, .Lfunc_end14-_ZN7rocprim17ROCPRIM_400000_NS6detail17trampoline_kernelINS0_14default_configENS1_25transform_config_selectorImLb1EEEZNS1_14transform_implILb1ES3_S5_PmPlNS0_8identityIvEEEE10hipError_tT2_T3_mT4_P12ihipStream_tbEUlT_E_NS1_11comp_targetILNS1_3genE10ELNS1_11target_archE1201ELNS1_3gpuE5ELNS1_3repE0EEENS1_30default_config_static_selectorELNS0_4arch9wavefront6targetE1EEEvT1_
                                        ; -- End function
	.section	.AMDGPU.csdata,"",@progbits
; Kernel info:
; codeLenInByte = 0
; NumSgprs: 4
; NumVgprs: 0
; NumAgprs: 0
; TotalNumVgprs: 0
; ScratchSize: 0
; MemoryBound: 0
; FloatMode: 240
; IeeeMode: 1
; LDSByteSize: 0 bytes/workgroup (compile time only)
; SGPRBlocks: 0
; VGPRBlocks: 0
; NumSGPRsForWavesPerEU: 4
; NumVGPRsForWavesPerEU: 1
; AccumOffset: 4
; Occupancy: 8
; WaveLimiterHint : 0
; COMPUTE_PGM_RSRC2:SCRATCH_EN: 0
; COMPUTE_PGM_RSRC2:USER_SGPR: 6
; COMPUTE_PGM_RSRC2:TRAP_HANDLER: 0
; COMPUTE_PGM_RSRC2:TGID_X_EN: 1
; COMPUTE_PGM_RSRC2:TGID_Y_EN: 0
; COMPUTE_PGM_RSRC2:TGID_Z_EN: 0
; COMPUTE_PGM_RSRC2:TIDIG_COMP_CNT: 0
; COMPUTE_PGM_RSRC3_GFX90A:ACCUM_OFFSET: 0
; COMPUTE_PGM_RSRC3_GFX90A:TG_SPLIT: 0
	.section	.text._ZN7rocprim17ROCPRIM_400000_NS6detail17trampoline_kernelINS0_14default_configENS1_25transform_config_selectorImLb1EEEZNS1_14transform_implILb1ES3_S5_PmPlNS0_8identityIvEEEE10hipError_tT2_T3_mT4_P12ihipStream_tbEUlT_E_NS1_11comp_targetILNS1_3genE5ELNS1_11target_archE942ELNS1_3gpuE9ELNS1_3repE0EEENS1_30default_config_static_selectorELNS0_4arch9wavefront6targetE1EEEvT1_,"axG",@progbits,_ZN7rocprim17ROCPRIM_400000_NS6detail17trampoline_kernelINS0_14default_configENS1_25transform_config_selectorImLb1EEEZNS1_14transform_implILb1ES3_S5_PmPlNS0_8identityIvEEEE10hipError_tT2_T3_mT4_P12ihipStream_tbEUlT_E_NS1_11comp_targetILNS1_3genE5ELNS1_11target_archE942ELNS1_3gpuE9ELNS1_3repE0EEENS1_30default_config_static_selectorELNS0_4arch9wavefront6targetE1EEEvT1_,comdat
	.protected	_ZN7rocprim17ROCPRIM_400000_NS6detail17trampoline_kernelINS0_14default_configENS1_25transform_config_selectorImLb1EEEZNS1_14transform_implILb1ES3_S5_PmPlNS0_8identityIvEEEE10hipError_tT2_T3_mT4_P12ihipStream_tbEUlT_E_NS1_11comp_targetILNS1_3genE5ELNS1_11target_archE942ELNS1_3gpuE9ELNS1_3repE0EEENS1_30default_config_static_selectorELNS0_4arch9wavefront6targetE1EEEvT1_ ; -- Begin function _ZN7rocprim17ROCPRIM_400000_NS6detail17trampoline_kernelINS0_14default_configENS1_25transform_config_selectorImLb1EEEZNS1_14transform_implILb1ES3_S5_PmPlNS0_8identityIvEEEE10hipError_tT2_T3_mT4_P12ihipStream_tbEUlT_E_NS1_11comp_targetILNS1_3genE5ELNS1_11target_archE942ELNS1_3gpuE9ELNS1_3repE0EEENS1_30default_config_static_selectorELNS0_4arch9wavefront6targetE1EEEvT1_
	.globl	_ZN7rocprim17ROCPRIM_400000_NS6detail17trampoline_kernelINS0_14default_configENS1_25transform_config_selectorImLb1EEEZNS1_14transform_implILb1ES3_S5_PmPlNS0_8identityIvEEEE10hipError_tT2_T3_mT4_P12ihipStream_tbEUlT_E_NS1_11comp_targetILNS1_3genE5ELNS1_11target_archE942ELNS1_3gpuE9ELNS1_3repE0EEENS1_30default_config_static_selectorELNS0_4arch9wavefront6targetE1EEEvT1_
	.p2align	8
	.type	_ZN7rocprim17ROCPRIM_400000_NS6detail17trampoline_kernelINS0_14default_configENS1_25transform_config_selectorImLb1EEEZNS1_14transform_implILb1ES3_S5_PmPlNS0_8identityIvEEEE10hipError_tT2_T3_mT4_P12ihipStream_tbEUlT_E_NS1_11comp_targetILNS1_3genE5ELNS1_11target_archE942ELNS1_3gpuE9ELNS1_3repE0EEENS1_30default_config_static_selectorELNS0_4arch9wavefront6targetE1EEEvT1_,@function
_ZN7rocprim17ROCPRIM_400000_NS6detail17trampoline_kernelINS0_14default_configENS1_25transform_config_selectorImLb1EEEZNS1_14transform_implILb1ES3_S5_PmPlNS0_8identityIvEEEE10hipError_tT2_T3_mT4_P12ihipStream_tbEUlT_E_NS1_11comp_targetILNS1_3genE5ELNS1_11target_archE942ELNS1_3gpuE9ELNS1_3repE0EEENS1_30default_config_static_selectorELNS0_4arch9wavefront6targetE1EEEvT1_: ; @_ZN7rocprim17ROCPRIM_400000_NS6detail17trampoline_kernelINS0_14default_configENS1_25transform_config_selectorImLb1EEEZNS1_14transform_implILb1ES3_S5_PmPlNS0_8identityIvEEEE10hipError_tT2_T3_mT4_P12ihipStream_tbEUlT_E_NS1_11comp_targetILNS1_3genE5ELNS1_11target_archE942ELNS1_3gpuE9ELNS1_3repE0EEENS1_30default_config_static_selectorELNS0_4arch9wavefront6targetE1EEEvT1_
; %bb.0:
	.section	.rodata,"a",@progbits
	.p2align	6, 0x0
	.amdhsa_kernel _ZN7rocprim17ROCPRIM_400000_NS6detail17trampoline_kernelINS0_14default_configENS1_25transform_config_selectorImLb1EEEZNS1_14transform_implILb1ES3_S5_PmPlNS0_8identityIvEEEE10hipError_tT2_T3_mT4_P12ihipStream_tbEUlT_E_NS1_11comp_targetILNS1_3genE5ELNS1_11target_archE942ELNS1_3gpuE9ELNS1_3repE0EEENS1_30default_config_static_selectorELNS0_4arch9wavefront6targetE1EEEvT1_
		.amdhsa_group_segment_fixed_size 0
		.amdhsa_private_segment_fixed_size 0
		.amdhsa_kernarg_size 40
		.amdhsa_user_sgpr_count 6
		.amdhsa_user_sgpr_private_segment_buffer 1
		.amdhsa_user_sgpr_dispatch_ptr 0
		.amdhsa_user_sgpr_queue_ptr 0
		.amdhsa_user_sgpr_kernarg_segment_ptr 1
		.amdhsa_user_sgpr_dispatch_id 0
		.amdhsa_user_sgpr_flat_scratch_init 0
		.amdhsa_user_sgpr_kernarg_preload_length 0
		.amdhsa_user_sgpr_kernarg_preload_offset 0
		.amdhsa_user_sgpr_private_segment_size 0
		.amdhsa_uses_dynamic_stack 0
		.amdhsa_system_sgpr_private_segment_wavefront_offset 0
		.amdhsa_system_sgpr_workgroup_id_x 1
		.amdhsa_system_sgpr_workgroup_id_y 0
		.amdhsa_system_sgpr_workgroup_id_z 0
		.amdhsa_system_sgpr_workgroup_info 0
		.amdhsa_system_vgpr_workitem_id 0
		.amdhsa_next_free_vgpr 1
		.amdhsa_next_free_sgpr 0
		.amdhsa_accum_offset 4
		.amdhsa_reserve_vcc 0
		.amdhsa_reserve_flat_scratch 0
		.amdhsa_float_round_mode_32 0
		.amdhsa_float_round_mode_16_64 0
		.amdhsa_float_denorm_mode_32 3
		.amdhsa_float_denorm_mode_16_64 3
		.amdhsa_dx10_clamp 1
		.amdhsa_ieee_mode 1
		.amdhsa_fp16_overflow 0
		.amdhsa_tg_split 0
		.amdhsa_exception_fp_ieee_invalid_op 0
		.amdhsa_exception_fp_denorm_src 0
		.amdhsa_exception_fp_ieee_div_zero 0
		.amdhsa_exception_fp_ieee_overflow 0
		.amdhsa_exception_fp_ieee_underflow 0
		.amdhsa_exception_fp_ieee_inexact 0
		.amdhsa_exception_int_div_zero 0
	.end_amdhsa_kernel
	.section	.text._ZN7rocprim17ROCPRIM_400000_NS6detail17trampoline_kernelINS0_14default_configENS1_25transform_config_selectorImLb1EEEZNS1_14transform_implILb1ES3_S5_PmPlNS0_8identityIvEEEE10hipError_tT2_T3_mT4_P12ihipStream_tbEUlT_E_NS1_11comp_targetILNS1_3genE5ELNS1_11target_archE942ELNS1_3gpuE9ELNS1_3repE0EEENS1_30default_config_static_selectorELNS0_4arch9wavefront6targetE1EEEvT1_,"axG",@progbits,_ZN7rocprim17ROCPRIM_400000_NS6detail17trampoline_kernelINS0_14default_configENS1_25transform_config_selectorImLb1EEEZNS1_14transform_implILb1ES3_S5_PmPlNS0_8identityIvEEEE10hipError_tT2_T3_mT4_P12ihipStream_tbEUlT_E_NS1_11comp_targetILNS1_3genE5ELNS1_11target_archE942ELNS1_3gpuE9ELNS1_3repE0EEENS1_30default_config_static_selectorELNS0_4arch9wavefront6targetE1EEEvT1_,comdat
.Lfunc_end15:
	.size	_ZN7rocprim17ROCPRIM_400000_NS6detail17trampoline_kernelINS0_14default_configENS1_25transform_config_selectorImLb1EEEZNS1_14transform_implILb1ES3_S5_PmPlNS0_8identityIvEEEE10hipError_tT2_T3_mT4_P12ihipStream_tbEUlT_E_NS1_11comp_targetILNS1_3genE5ELNS1_11target_archE942ELNS1_3gpuE9ELNS1_3repE0EEENS1_30default_config_static_selectorELNS0_4arch9wavefront6targetE1EEEvT1_, .Lfunc_end15-_ZN7rocprim17ROCPRIM_400000_NS6detail17trampoline_kernelINS0_14default_configENS1_25transform_config_selectorImLb1EEEZNS1_14transform_implILb1ES3_S5_PmPlNS0_8identityIvEEEE10hipError_tT2_T3_mT4_P12ihipStream_tbEUlT_E_NS1_11comp_targetILNS1_3genE5ELNS1_11target_archE942ELNS1_3gpuE9ELNS1_3repE0EEENS1_30default_config_static_selectorELNS0_4arch9wavefront6targetE1EEEvT1_
                                        ; -- End function
	.section	.AMDGPU.csdata,"",@progbits
; Kernel info:
; codeLenInByte = 0
; NumSgprs: 4
; NumVgprs: 0
; NumAgprs: 0
; TotalNumVgprs: 0
; ScratchSize: 0
; MemoryBound: 0
; FloatMode: 240
; IeeeMode: 1
; LDSByteSize: 0 bytes/workgroup (compile time only)
; SGPRBlocks: 0
; VGPRBlocks: 0
; NumSGPRsForWavesPerEU: 4
; NumVGPRsForWavesPerEU: 1
; AccumOffset: 4
; Occupancy: 8
; WaveLimiterHint : 0
; COMPUTE_PGM_RSRC2:SCRATCH_EN: 0
; COMPUTE_PGM_RSRC2:USER_SGPR: 6
; COMPUTE_PGM_RSRC2:TRAP_HANDLER: 0
; COMPUTE_PGM_RSRC2:TGID_X_EN: 1
; COMPUTE_PGM_RSRC2:TGID_Y_EN: 0
; COMPUTE_PGM_RSRC2:TGID_Z_EN: 0
; COMPUTE_PGM_RSRC2:TIDIG_COMP_CNT: 0
; COMPUTE_PGM_RSRC3_GFX90A:ACCUM_OFFSET: 0
; COMPUTE_PGM_RSRC3_GFX90A:TG_SPLIT: 0
	.section	.text._ZN7rocprim17ROCPRIM_400000_NS6detail17trampoline_kernelINS0_14default_configENS1_25transform_config_selectorImLb1EEEZNS1_14transform_implILb1ES3_S5_PmPlNS0_8identityIvEEEE10hipError_tT2_T3_mT4_P12ihipStream_tbEUlT_E_NS1_11comp_targetILNS1_3genE4ELNS1_11target_archE910ELNS1_3gpuE8ELNS1_3repE0EEENS1_30default_config_static_selectorELNS0_4arch9wavefront6targetE1EEEvT1_,"axG",@progbits,_ZN7rocprim17ROCPRIM_400000_NS6detail17trampoline_kernelINS0_14default_configENS1_25transform_config_selectorImLb1EEEZNS1_14transform_implILb1ES3_S5_PmPlNS0_8identityIvEEEE10hipError_tT2_T3_mT4_P12ihipStream_tbEUlT_E_NS1_11comp_targetILNS1_3genE4ELNS1_11target_archE910ELNS1_3gpuE8ELNS1_3repE0EEENS1_30default_config_static_selectorELNS0_4arch9wavefront6targetE1EEEvT1_,comdat
	.protected	_ZN7rocprim17ROCPRIM_400000_NS6detail17trampoline_kernelINS0_14default_configENS1_25transform_config_selectorImLb1EEEZNS1_14transform_implILb1ES3_S5_PmPlNS0_8identityIvEEEE10hipError_tT2_T3_mT4_P12ihipStream_tbEUlT_E_NS1_11comp_targetILNS1_3genE4ELNS1_11target_archE910ELNS1_3gpuE8ELNS1_3repE0EEENS1_30default_config_static_selectorELNS0_4arch9wavefront6targetE1EEEvT1_ ; -- Begin function _ZN7rocprim17ROCPRIM_400000_NS6detail17trampoline_kernelINS0_14default_configENS1_25transform_config_selectorImLb1EEEZNS1_14transform_implILb1ES3_S5_PmPlNS0_8identityIvEEEE10hipError_tT2_T3_mT4_P12ihipStream_tbEUlT_E_NS1_11comp_targetILNS1_3genE4ELNS1_11target_archE910ELNS1_3gpuE8ELNS1_3repE0EEENS1_30default_config_static_selectorELNS0_4arch9wavefront6targetE1EEEvT1_
	.globl	_ZN7rocprim17ROCPRIM_400000_NS6detail17trampoline_kernelINS0_14default_configENS1_25transform_config_selectorImLb1EEEZNS1_14transform_implILb1ES3_S5_PmPlNS0_8identityIvEEEE10hipError_tT2_T3_mT4_P12ihipStream_tbEUlT_E_NS1_11comp_targetILNS1_3genE4ELNS1_11target_archE910ELNS1_3gpuE8ELNS1_3repE0EEENS1_30default_config_static_selectorELNS0_4arch9wavefront6targetE1EEEvT1_
	.p2align	8
	.type	_ZN7rocprim17ROCPRIM_400000_NS6detail17trampoline_kernelINS0_14default_configENS1_25transform_config_selectorImLb1EEEZNS1_14transform_implILb1ES3_S5_PmPlNS0_8identityIvEEEE10hipError_tT2_T3_mT4_P12ihipStream_tbEUlT_E_NS1_11comp_targetILNS1_3genE4ELNS1_11target_archE910ELNS1_3gpuE8ELNS1_3repE0EEENS1_30default_config_static_selectorELNS0_4arch9wavefront6targetE1EEEvT1_,@function
_ZN7rocprim17ROCPRIM_400000_NS6detail17trampoline_kernelINS0_14default_configENS1_25transform_config_selectorImLb1EEEZNS1_14transform_implILb1ES3_S5_PmPlNS0_8identityIvEEEE10hipError_tT2_T3_mT4_P12ihipStream_tbEUlT_E_NS1_11comp_targetILNS1_3genE4ELNS1_11target_archE910ELNS1_3gpuE8ELNS1_3repE0EEENS1_30default_config_static_selectorELNS0_4arch9wavefront6targetE1EEEvT1_: ; @_ZN7rocprim17ROCPRIM_400000_NS6detail17trampoline_kernelINS0_14default_configENS1_25transform_config_selectorImLb1EEEZNS1_14transform_implILb1ES3_S5_PmPlNS0_8identityIvEEEE10hipError_tT2_T3_mT4_P12ihipStream_tbEUlT_E_NS1_11comp_targetILNS1_3genE4ELNS1_11target_archE910ELNS1_3gpuE8ELNS1_3repE0EEENS1_30default_config_static_selectorELNS0_4arch9wavefront6targetE1EEEvT1_
; %bb.0:
	s_load_dwordx8 s[8:15], s[4:5], 0x0
	s_load_dword s2, s[4:5], 0x28
	s_waitcnt lgkmcnt(0)
	s_lshl_b64 s[0:1], s[10:11], 3
	s_add_u32 s4, s8, s0
	s_addc_u32 s5, s9, s1
	s_add_u32 s8, s14, s0
	s_addc_u32 s9, s15, s1
	s_lshl_b32 s0, s6, 11
	s_mov_b32 s1, 0
	s_add_i32 s7, s2, -1
	s_lshl_b64 s[2:3], s[0:1], 3
	s_add_u32 s4, s4, s2
	s_addc_u32 s5, s5, s3
	s_cmp_lg_u32 s6, s7
	s_mov_b64 s[6:7], -1
	s_cbranch_scc0 .LBB16_2
; %bb.1:
	v_lshlrev_b32_e32 v1, 4, v0
	global_load_dwordx4 v[2:5], v1, s[4:5]
	s_add_u32 s6, s8, s2
	s_addc_u32 s7, s9, s3
	s_waitcnt vmcnt(0)
	global_store_dwordx4 v1, v[2:5], s[6:7]
	s_mov_b64 s[6:7], 0
.LBB16_2:
	s_andn2_b64 vcc, exec, s[6:7]
	s_cbranch_vccnz .LBB16_11
; %bb.3:
	s_sub_i32 s6, s12, s0
	v_cmp_gt_u32_e32 vcc, s6, v0
	v_lshlrev_b32_e32 v1, 3, v0
                                        ; implicit-def: $vgpr2_vgpr3_vgpr4_vgpr5
	s_and_saveexec_b64 s[0:1], vcc
	s_cbranch_execz .LBB16_5
; %bb.4:
	global_load_dwordx2 v[2:3], v1, s[4:5]
.LBB16_5:
	s_or_b64 exec, exec, s[0:1]
	v_or_b32_e32 v0, 0x400, v0
	v_cmp_gt_u32_e64 s[0:1], s6, v0
	s_and_saveexec_b64 s[6:7], s[0:1]
	s_cbranch_execz .LBB16_7
; %bb.6:
	v_lshlrev_b32_e32 v0, 3, v0
	global_load_dwordx2 v[4:5], v0, s[4:5]
.LBB16_7:
	s_or_b64 exec, exec, s[6:7]
	s_add_u32 s2, s8, s2
	s_addc_u32 s3, s9, s3
	v_mov_b32_e32 v6, s3
	v_add_co_u32_e64 v0, s[2:3], s2, v1
	v_addc_co_u32_e64 v1, s[2:3], 0, v6, s[2:3]
	s_and_saveexec_b64 s[2:3], vcc
	s_cbranch_execz .LBB16_9
; %bb.8:
	s_waitcnt vmcnt(0)
	global_store_dwordx2 v[0:1], v[2:3], off
.LBB16_9:
	s_or_b64 exec, exec, s[2:3]
	s_and_saveexec_b64 s[2:3], s[0:1]
	s_cbranch_execz .LBB16_11
; %bb.10:
	v_add_co_u32_e32 v0, vcc, 0x2000, v0
	v_addc_co_u32_e32 v1, vcc, 0, v1, vcc
	s_waitcnt vmcnt(0)
	global_store_dwordx2 v[0:1], v[4:5], off
.LBB16_11:
	s_endpgm
	.section	.rodata,"a",@progbits
	.p2align	6, 0x0
	.amdhsa_kernel _ZN7rocprim17ROCPRIM_400000_NS6detail17trampoline_kernelINS0_14default_configENS1_25transform_config_selectorImLb1EEEZNS1_14transform_implILb1ES3_S5_PmPlNS0_8identityIvEEEE10hipError_tT2_T3_mT4_P12ihipStream_tbEUlT_E_NS1_11comp_targetILNS1_3genE4ELNS1_11target_archE910ELNS1_3gpuE8ELNS1_3repE0EEENS1_30default_config_static_selectorELNS0_4arch9wavefront6targetE1EEEvT1_
		.amdhsa_group_segment_fixed_size 0
		.amdhsa_private_segment_fixed_size 0
		.amdhsa_kernarg_size 296
		.amdhsa_user_sgpr_count 6
		.amdhsa_user_sgpr_private_segment_buffer 1
		.amdhsa_user_sgpr_dispatch_ptr 0
		.amdhsa_user_sgpr_queue_ptr 0
		.amdhsa_user_sgpr_kernarg_segment_ptr 1
		.amdhsa_user_sgpr_dispatch_id 0
		.amdhsa_user_sgpr_flat_scratch_init 0
		.amdhsa_user_sgpr_kernarg_preload_length 0
		.amdhsa_user_sgpr_kernarg_preload_offset 0
		.amdhsa_user_sgpr_private_segment_size 0
		.amdhsa_uses_dynamic_stack 0
		.amdhsa_system_sgpr_private_segment_wavefront_offset 0
		.amdhsa_system_sgpr_workgroup_id_x 1
		.amdhsa_system_sgpr_workgroup_id_y 0
		.amdhsa_system_sgpr_workgroup_id_z 0
		.amdhsa_system_sgpr_workgroup_info 0
		.amdhsa_system_vgpr_workitem_id 0
		.amdhsa_next_free_vgpr 7
		.amdhsa_next_free_sgpr 16
		.amdhsa_accum_offset 8
		.amdhsa_reserve_vcc 1
		.amdhsa_reserve_flat_scratch 0
		.amdhsa_float_round_mode_32 0
		.amdhsa_float_round_mode_16_64 0
		.amdhsa_float_denorm_mode_32 3
		.amdhsa_float_denorm_mode_16_64 3
		.amdhsa_dx10_clamp 1
		.amdhsa_ieee_mode 1
		.amdhsa_fp16_overflow 0
		.amdhsa_tg_split 0
		.amdhsa_exception_fp_ieee_invalid_op 0
		.amdhsa_exception_fp_denorm_src 0
		.amdhsa_exception_fp_ieee_div_zero 0
		.amdhsa_exception_fp_ieee_overflow 0
		.amdhsa_exception_fp_ieee_underflow 0
		.amdhsa_exception_fp_ieee_inexact 0
		.amdhsa_exception_int_div_zero 0
	.end_amdhsa_kernel
	.section	.text._ZN7rocprim17ROCPRIM_400000_NS6detail17trampoline_kernelINS0_14default_configENS1_25transform_config_selectorImLb1EEEZNS1_14transform_implILb1ES3_S5_PmPlNS0_8identityIvEEEE10hipError_tT2_T3_mT4_P12ihipStream_tbEUlT_E_NS1_11comp_targetILNS1_3genE4ELNS1_11target_archE910ELNS1_3gpuE8ELNS1_3repE0EEENS1_30default_config_static_selectorELNS0_4arch9wavefront6targetE1EEEvT1_,"axG",@progbits,_ZN7rocprim17ROCPRIM_400000_NS6detail17trampoline_kernelINS0_14default_configENS1_25transform_config_selectorImLb1EEEZNS1_14transform_implILb1ES3_S5_PmPlNS0_8identityIvEEEE10hipError_tT2_T3_mT4_P12ihipStream_tbEUlT_E_NS1_11comp_targetILNS1_3genE4ELNS1_11target_archE910ELNS1_3gpuE8ELNS1_3repE0EEENS1_30default_config_static_selectorELNS0_4arch9wavefront6targetE1EEEvT1_,comdat
.Lfunc_end16:
	.size	_ZN7rocprim17ROCPRIM_400000_NS6detail17trampoline_kernelINS0_14default_configENS1_25transform_config_selectorImLb1EEEZNS1_14transform_implILb1ES3_S5_PmPlNS0_8identityIvEEEE10hipError_tT2_T3_mT4_P12ihipStream_tbEUlT_E_NS1_11comp_targetILNS1_3genE4ELNS1_11target_archE910ELNS1_3gpuE8ELNS1_3repE0EEENS1_30default_config_static_selectorELNS0_4arch9wavefront6targetE1EEEvT1_, .Lfunc_end16-_ZN7rocprim17ROCPRIM_400000_NS6detail17trampoline_kernelINS0_14default_configENS1_25transform_config_selectorImLb1EEEZNS1_14transform_implILb1ES3_S5_PmPlNS0_8identityIvEEEE10hipError_tT2_T3_mT4_P12ihipStream_tbEUlT_E_NS1_11comp_targetILNS1_3genE4ELNS1_11target_archE910ELNS1_3gpuE8ELNS1_3repE0EEENS1_30default_config_static_selectorELNS0_4arch9wavefront6targetE1EEEvT1_
                                        ; -- End function
	.section	.AMDGPU.csdata,"",@progbits
; Kernel info:
; codeLenInByte = 280
; NumSgprs: 20
; NumVgprs: 7
; NumAgprs: 0
; TotalNumVgprs: 7
; ScratchSize: 0
; MemoryBound: 1
; FloatMode: 240
; IeeeMode: 1
; LDSByteSize: 0 bytes/workgroup (compile time only)
; SGPRBlocks: 2
; VGPRBlocks: 0
; NumSGPRsForWavesPerEU: 20
; NumVGPRsForWavesPerEU: 7
; AccumOffset: 8
; Occupancy: 8
; WaveLimiterHint : 0
; COMPUTE_PGM_RSRC2:SCRATCH_EN: 0
; COMPUTE_PGM_RSRC2:USER_SGPR: 6
; COMPUTE_PGM_RSRC2:TRAP_HANDLER: 0
; COMPUTE_PGM_RSRC2:TGID_X_EN: 1
; COMPUTE_PGM_RSRC2:TGID_Y_EN: 0
; COMPUTE_PGM_RSRC2:TGID_Z_EN: 0
; COMPUTE_PGM_RSRC2:TIDIG_COMP_CNT: 0
; COMPUTE_PGM_RSRC3_GFX90A:ACCUM_OFFSET: 1
; COMPUTE_PGM_RSRC3_GFX90A:TG_SPLIT: 0
	.section	.text._ZN7rocprim17ROCPRIM_400000_NS6detail17trampoline_kernelINS0_14default_configENS1_25transform_config_selectorImLb1EEEZNS1_14transform_implILb1ES3_S5_PmPlNS0_8identityIvEEEE10hipError_tT2_T3_mT4_P12ihipStream_tbEUlT_E_NS1_11comp_targetILNS1_3genE3ELNS1_11target_archE908ELNS1_3gpuE7ELNS1_3repE0EEENS1_30default_config_static_selectorELNS0_4arch9wavefront6targetE1EEEvT1_,"axG",@progbits,_ZN7rocprim17ROCPRIM_400000_NS6detail17trampoline_kernelINS0_14default_configENS1_25transform_config_selectorImLb1EEEZNS1_14transform_implILb1ES3_S5_PmPlNS0_8identityIvEEEE10hipError_tT2_T3_mT4_P12ihipStream_tbEUlT_E_NS1_11comp_targetILNS1_3genE3ELNS1_11target_archE908ELNS1_3gpuE7ELNS1_3repE0EEENS1_30default_config_static_selectorELNS0_4arch9wavefront6targetE1EEEvT1_,comdat
	.protected	_ZN7rocprim17ROCPRIM_400000_NS6detail17trampoline_kernelINS0_14default_configENS1_25transform_config_selectorImLb1EEEZNS1_14transform_implILb1ES3_S5_PmPlNS0_8identityIvEEEE10hipError_tT2_T3_mT4_P12ihipStream_tbEUlT_E_NS1_11comp_targetILNS1_3genE3ELNS1_11target_archE908ELNS1_3gpuE7ELNS1_3repE0EEENS1_30default_config_static_selectorELNS0_4arch9wavefront6targetE1EEEvT1_ ; -- Begin function _ZN7rocprim17ROCPRIM_400000_NS6detail17trampoline_kernelINS0_14default_configENS1_25transform_config_selectorImLb1EEEZNS1_14transform_implILb1ES3_S5_PmPlNS0_8identityIvEEEE10hipError_tT2_T3_mT4_P12ihipStream_tbEUlT_E_NS1_11comp_targetILNS1_3genE3ELNS1_11target_archE908ELNS1_3gpuE7ELNS1_3repE0EEENS1_30default_config_static_selectorELNS0_4arch9wavefront6targetE1EEEvT1_
	.globl	_ZN7rocprim17ROCPRIM_400000_NS6detail17trampoline_kernelINS0_14default_configENS1_25transform_config_selectorImLb1EEEZNS1_14transform_implILb1ES3_S5_PmPlNS0_8identityIvEEEE10hipError_tT2_T3_mT4_P12ihipStream_tbEUlT_E_NS1_11comp_targetILNS1_3genE3ELNS1_11target_archE908ELNS1_3gpuE7ELNS1_3repE0EEENS1_30default_config_static_selectorELNS0_4arch9wavefront6targetE1EEEvT1_
	.p2align	8
	.type	_ZN7rocprim17ROCPRIM_400000_NS6detail17trampoline_kernelINS0_14default_configENS1_25transform_config_selectorImLb1EEEZNS1_14transform_implILb1ES3_S5_PmPlNS0_8identityIvEEEE10hipError_tT2_T3_mT4_P12ihipStream_tbEUlT_E_NS1_11comp_targetILNS1_3genE3ELNS1_11target_archE908ELNS1_3gpuE7ELNS1_3repE0EEENS1_30default_config_static_selectorELNS0_4arch9wavefront6targetE1EEEvT1_,@function
_ZN7rocprim17ROCPRIM_400000_NS6detail17trampoline_kernelINS0_14default_configENS1_25transform_config_selectorImLb1EEEZNS1_14transform_implILb1ES3_S5_PmPlNS0_8identityIvEEEE10hipError_tT2_T3_mT4_P12ihipStream_tbEUlT_E_NS1_11comp_targetILNS1_3genE3ELNS1_11target_archE908ELNS1_3gpuE7ELNS1_3repE0EEENS1_30default_config_static_selectorELNS0_4arch9wavefront6targetE1EEEvT1_: ; @_ZN7rocprim17ROCPRIM_400000_NS6detail17trampoline_kernelINS0_14default_configENS1_25transform_config_selectorImLb1EEEZNS1_14transform_implILb1ES3_S5_PmPlNS0_8identityIvEEEE10hipError_tT2_T3_mT4_P12ihipStream_tbEUlT_E_NS1_11comp_targetILNS1_3genE3ELNS1_11target_archE908ELNS1_3gpuE7ELNS1_3repE0EEENS1_30default_config_static_selectorELNS0_4arch9wavefront6targetE1EEEvT1_
; %bb.0:
	.section	.rodata,"a",@progbits
	.p2align	6, 0x0
	.amdhsa_kernel _ZN7rocprim17ROCPRIM_400000_NS6detail17trampoline_kernelINS0_14default_configENS1_25transform_config_selectorImLb1EEEZNS1_14transform_implILb1ES3_S5_PmPlNS0_8identityIvEEEE10hipError_tT2_T3_mT4_P12ihipStream_tbEUlT_E_NS1_11comp_targetILNS1_3genE3ELNS1_11target_archE908ELNS1_3gpuE7ELNS1_3repE0EEENS1_30default_config_static_selectorELNS0_4arch9wavefront6targetE1EEEvT1_
		.amdhsa_group_segment_fixed_size 0
		.amdhsa_private_segment_fixed_size 0
		.amdhsa_kernarg_size 40
		.amdhsa_user_sgpr_count 6
		.amdhsa_user_sgpr_private_segment_buffer 1
		.amdhsa_user_sgpr_dispatch_ptr 0
		.amdhsa_user_sgpr_queue_ptr 0
		.amdhsa_user_sgpr_kernarg_segment_ptr 1
		.amdhsa_user_sgpr_dispatch_id 0
		.amdhsa_user_sgpr_flat_scratch_init 0
		.amdhsa_user_sgpr_kernarg_preload_length 0
		.amdhsa_user_sgpr_kernarg_preload_offset 0
		.amdhsa_user_sgpr_private_segment_size 0
		.amdhsa_uses_dynamic_stack 0
		.amdhsa_system_sgpr_private_segment_wavefront_offset 0
		.amdhsa_system_sgpr_workgroup_id_x 1
		.amdhsa_system_sgpr_workgroup_id_y 0
		.amdhsa_system_sgpr_workgroup_id_z 0
		.amdhsa_system_sgpr_workgroup_info 0
		.amdhsa_system_vgpr_workitem_id 0
		.amdhsa_next_free_vgpr 1
		.amdhsa_next_free_sgpr 0
		.amdhsa_accum_offset 4
		.amdhsa_reserve_vcc 0
		.amdhsa_reserve_flat_scratch 0
		.amdhsa_float_round_mode_32 0
		.amdhsa_float_round_mode_16_64 0
		.amdhsa_float_denorm_mode_32 3
		.amdhsa_float_denorm_mode_16_64 3
		.amdhsa_dx10_clamp 1
		.amdhsa_ieee_mode 1
		.amdhsa_fp16_overflow 0
		.amdhsa_tg_split 0
		.amdhsa_exception_fp_ieee_invalid_op 0
		.amdhsa_exception_fp_denorm_src 0
		.amdhsa_exception_fp_ieee_div_zero 0
		.amdhsa_exception_fp_ieee_overflow 0
		.amdhsa_exception_fp_ieee_underflow 0
		.amdhsa_exception_fp_ieee_inexact 0
		.amdhsa_exception_int_div_zero 0
	.end_amdhsa_kernel
	.section	.text._ZN7rocprim17ROCPRIM_400000_NS6detail17trampoline_kernelINS0_14default_configENS1_25transform_config_selectorImLb1EEEZNS1_14transform_implILb1ES3_S5_PmPlNS0_8identityIvEEEE10hipError_tT2_T3_mT4_P12ihipStream_tbEUlT_E_NS1_11comp_targetILNS1_3genE3ELNS1_11target_archE908ELNS1_3gpuE7ELNS1_3repE0EEENS1_30default_config_static_selectorELNS0_4arch9wavefront6targetE1EEEvT1_,"axG",@progbits,_ZN7rocprim17ROCPRIM_400000_NS6detail17trampoline_kernelINS0_14default_configENS1_25transform_config_selectorImLb1EEEZNS1_14transform_implILb1ES3_S5_PmPlNS0_8identityIvEEEE10hipError_tT2_T3_mT4_P12ihipStream_tbEUlT_E_NS1_11comp_targetILNS1_3genE3ELNS1_11target_archE908ELNS1_3gpuE7ELNS1_3repE0EEENS1_30default_config_static_selectorELNS0_4arch9wavefront6targetE1EEEvT1_,comdat
.Lfunc_end17:
	.size	_ZN7rocprim17ROCPRIM_400000_NS6detail17trampoline_kernelINS0_14default_configENS1_25transform_config_selectorImLb1EEEZNS1_14transform_implILb1ES3_S5_PmPlNS0_8identityIvEEEE10hipError_tT2_T3_mT4_P12ihipStream_tbEUlT_E_NS1_11comp_targetILNS1_3genE3ELNS1_11target_archE908ELNS1_3gpuE7ELNS1_3repE0EEENS1_30default_config_static_selectorELNS0_4arch9wavefront6targetE1EEEvT1_, .Lfunc_end17-_ZN7rocprim17ROCPRIM_400000_NS6detail17trampoline_kernelINS0_14default_configENS1_25transform_config_selectorImLb1EEEZNS1_14transform_implILb1ES3_S5_PmPlNS0_8identityIvEEEE10hipError_tT2_T3_mT4_P12ihipStream_tbEUlT_E_NS1_11comp_targetILNS1_3genE3ELNS1_11target_archE908ELNS1_3gpuE7ELNS1_3repE0EEENS1_30default_config_static_selectorELNS0_4arch9wavefront6targetE1EEEvT1_
                                        ; -- End function
	.section	.AMDGPU.csdata,"",@progbits
; Kernel info:
; codeLenInByte = 0
; NumSgprs: 4
; NumVgprs: 0
; NumAgprs: 0
; TotalNumVgprs: 0
; ScratchSize: 0
; MemoryBound: 0
; FloatMode: 240
; IeeeMode: 1
; LDSByteSize: 0 bytes/workgroup (compile time only)
; SGPRBlocks: 0
; VGPRBlocks: 0
; NumSGPRsForWavesPerEU: 4
; NumVGPRsForWavesPerEU: 1
; AccumOffset: 4
; Occupancy: 8
; WaveLimiterHint : 0
; COMPUTE_PGM_RSRC2:SCRATCH_EN: 0
; COMPUTE_PGM_RSRC2:USER_SGPR: 6
; COMPUTE_PGM_RSRC2:TRAP_HANDLER: 0
; COMPUTE_PGM_RSRC2:TGID_X_EN: 1
; COMPUTE_PGM_RSRC2:TGID_Y_EN: 0
; COMPUTE_PGM_RSRC2:TGID_Z_EN: 0
; COMPUTE_PGM_RSRC2:TIDIG_COMP_CNT: 0
; COMPUTE_PGM_RSRC3_GFX90A:ACCUM_OFFSET: 0
; COMPUTE_PGM_RSRC3_GFX90A:TG_SPLIT: 0
	.section	.text._ZN7rocprim17ROCPRIM_400000_NS6detail17trampoline_kernelINS0_14default_configENS1_25transform_config_selectorImLb1EEEZNS1_14transform_implILb1ES3_S5_PmPlNS0_8identityIvEEEE10hipError_tT2_T3_mT4_P12ihipStream_tbEUlT_E_NS1_11comp_targetILNS1_3genE2ELNS1_11target_archE906ELNS1_3gpuE6ELNS1_3repE0EEENS1_30default_config_static_selectorELNS0_4arch9wavefront6targetE1EEEvT1_,"axG",@progbits,_ZN7rocprim17ROCPRIM_400000_NS6detail17trampoline_kernelINS0_14default_configENS1_25transform_config_selectorImLb1EEEZNS1_14transform_implILb1ES3_S5_PmPlNS0_8identityIvEEEE10hipError_tT2_T3_mT4_P12ihipStream_tbEUlT_E_NS1_11comp_targetILNS1_3genE2ELNS1_11target_archE906ELNS1_3gpuE6ELNS1_3repE0EEENS1_30default_config_static_selectorELNS0_4arch9wavefront6targetE1EEEvT1_,comdat
	.protected	_ZN7rocprim17ROCPRIM_400000_NS6detail17trampoline_kernelINS0_14default_configENS1_25transform_config_selectorImLb1EEEZNS1_14transform_implILb1ES3_S5_PmPlNS0_8identityIvEEEE10hipError_tT2_T3_mT4_P12ihipStream_tbEUlT_E_NS1_11comp_targetILNS1_3genE2ELNS1_11target_archE906ELNS1_3gpuE6ELNS1_3repE0EEENS1_30default_config_static_selectorELNS0_4arch9wavefront6targetE1EEEvT1_ ; -- Begin function _ZN7rocprim17ROCPRIM_400000_NS6detail17trampoline_kernelINS0_14default_configENS1_25transform_config_selectorImLb1EEEZNS1_14transform_implILb1ES3_S5_PmPlNS0_8identityIvEEEE10hipError_tT2_T3_mT4_P12ihipStream_tbEUlT_E_NS1_11comp_targetILNS1_3genE2ELNS1_11target_archE906ELNS1_3gpuE6ELNS1_3repE0EEENS1_30default_config_static_selectorELNS0_4arch9wavefront6targetE1EEEvT1_
	.globl	_ZN7rocprim17ROCPRIM_400000_NS6detail17trampoline_kernelINS0_14default_configENS1_25transform_config_selectorImLb1EEEZNS1_14transform_implILb1ES3_S5_PmPlNS0_8identityIvEEEE10hipError_tT2_T3_mT4_P12ihipStream_tbEUlT_E_NS1_11comp_targetILNS1_3genE2ELNS1_11target_archE906ELNS1_3gpuE6ELNS1_3repE0EEENS1_30default_config_static_selectorELNS0_4arch9wavefront6targetE1EEEvT1_
	.p2align	8
	.type	_ZN7rocprim17ROCPRIM_400000_NS6detail17trampoline_kernelINS0_14default_configENS1_25transform_config_selectorImLb1EEEZNS1_14transform_implILb1ES3_S5_PmPlNS0_8identityIvEEEE10hipError_tT2_T3_mT4_P12ihipStream_tbEUlT_E_NS1_11comp_targetILNS1_3genE2ELNS1_11target_archE906ELNS1_3gpuE6ELNS1_3repE0EEENS1_30default_config_static_selectorELNS0_4arch9wavefront6targetE1EEEvT1_,@function
_ZN7rocprim17ROCPRIM_400000_NS6detail17trampoline_kernelINS0_14default_configENS1_25transform_config_selectorImLb1EEEZNS1_14transform_implILb1ES3_S5_PmPlNS0_8identityIvEEEE10hipError_tT2_T3_mT4_P12ihipStream_tbEUlT_E_NS1_11comp_targetILNS1_3genE2ELNS1_11target_archE906ELNS1_3gpuE6ELNS1_3repE0EEENS1_30default_config_static_selectorELNS0_4arch9wavefront6targetE1EEEvT1_: ; @_ZN7rocprim17ROCPRIM_400000_NS6detail17trampoline_kernelINS0_14default_configENS1_25transform_config_selectorImLb1EEEZNS1_14transform_implILb1ES3_S5_PmPlNS0_8identityIvEEEE10hipError_tT2_T3_mT4_P12ihipStream_tbEUlT_E_NS1_11comp_targetILNS1_3genE2ELNS1_11target_archE906ELNS1_3gpuE6ELNS1_3repE0EEENS1_30default_config_static_selectorELNS0_4arch9wavefront6targetE1EEEvT1_
; %bb.0:
	.section	.rodata,"a",@progbits
	.p2align	6, 0x0
	.amdhsa_kernel _ZN7rocprim17ROCPRIM_400000_NS6detail17trampoline_kernelINS0_14default_configENS1_25transform_config_selectorImLb1EEEZNS1_14transform_implILb1ES3_S5_PmPlNS0_8identityIvEEEE10hipError_tT2_T3_mT4_P12ihipStream_tbEUlT_E_NS1_11comp_targetILNS1_3genE2ELNS1_11target_archE906ELNS1_3gpuE6ELNS1_3repE0EEENS1_30default_config_static_selectorELNS0_4arch9wavefront6targetE1EEEvT1_
		.amdhsa_group_segment_fixed_size 0
		.amdhsa_private_segment_fixed_size 0
		.amdhsa_kernarg_size 40
		.amdhsa_user_sgpr_count 6
		.amdhsa_user_sgpr_private_segment_buffer 1
		.amdhsa_user_sgpr_dispatch_ptr 0
		.amdhsa_user_sgpr_queue_ptr 0
		.amdhsa_user_sgpr_kernarg_segment_ptr 1
		.amdhsa_user_sgpr_dispatch_id 0
		.amdhsa_user_sgpr_flat_scratch_init 0
		.amdhsa_user_sgpr_kernarg_preload_length 0
		.amdhsa_user_sgpr_kernarg_preload_offset 0
		.amdhsa_user_sgpr_private_segment_size 0
		.amdhsa_uses_dynamic_stack 0
		.amdhsa_system_sgpr_private_segment_wavefront_offset 0
		.amdhsa_system_sgpr_workgroup_id_x 1
		.amdhsa_system_sgpr_workgroup_id_y 0
		.amdhsa_system_sgpr_workgroup_id_z 0
		.amdhsa_system_sgpr_workgroup_info 0
		.amdhsa_system_vgpr_workitem_id 0
		.amdhsa_next_free_vgpr 1
		.amdhsa_next_free_sgpr 0
		.amdhsa_accum_offset 4
		.amdhsa_reserve_vcc 0
		.amdhsa_reserve_flat_scratch 0
		.amdhsa_float_round_mode_32 0
		.amdhsa_float_round_mode_16_64 0
		.amdhsa_float_denorm_mode_32 3
		.amdhsa_float_denorm_mode_16_64 3
		.amdhsa_dx10_clamp 1
		.amdhsa_ieee_mode 1
		.amdhsa_fp16_overflow 0
		.amdhsa_tg_split 0
		.amdhsa_exception_fp_ieee_invalid_op 0
		.amdhsa_exception_fp_denorm_src 0
		.amdhsa_exception_fp_ieee_div_zero 0
		.amdhsa_exception_fp_ieee_overflow 0
		.amdhsa_exception_fp_ieee_underflow 0
		.amdhsa_exception_fp_ieee_inexact 0
		.amdhsa_exception_int_div_zero 0
	.end_amdhsa_kernel
	.section	.text._ZN7rocprim17ROCPRIM_400000_NS6detail17trampoline_kernelINS0_14default_configENS1_25transform_config_selectorImLb1EEEZNS1_14transform_implILb1ES3_S5_PmPlNS0_8identityIvEEEE10hipError_tT2_T3_mT4_P12ihipStream_tbEUlT_E_NS1_11comp_targetILNS1_3genE2ELNS1_11target_archE906ELNS1_3gpuE6ELNS1_3repE0EEENS1_30default_config_static_selectorELNS0_4arch9wavefront6targetE1EEEvT1_,"axG",@progbits,_ZN7rocprim17ROCPRIM_400000_NS6detail17trampoline_kernelINS0_14default_configENS1_25transform_config_selectorImLb1EEEZNS1_14transform_implILb1ES3_S5_PmPlNS0_8identityIvEEEE10hipError_tT2_T3_mT4_P12ihipStream_tbEUlT_E_NS1_11comp_targetILNS1_3genE2ELNS1_11target_archE906ELNS1_3gpuE6ELNS1_3repE0EEENS1_30default_config_static_selectorELNS0_4arch9wavefront6targetE1EEEvT1_,comdat
.Lfunc_end18:
	.size	_ZN7rocprim17ROCPRIM_400000_NS6detail17trampoline_kernelINS0_14default_configENS1_25transform_config_selectorImLb1EEEZNS1_14transform_implILb1ES3_S5_PmPlNS0_8identityIvEEEE10hipError_tT2_T3_mT4_P12ihipStream_tbEUlT_E_NS1_11comp_targetILNS1_3genE2ELNS1_11target_archE906ELNS1_3gpuE6ELNS1_3repE0EEENS1_30default_config_static_selectorELNS0_4arch9wavefront6targetE1EEEvT1_, .Lfunc_end18-_ZN7rocprim17ROCPRIM_400000_NS6detail17trampoline_kernelINS0_14default_configENS1_25transform_config_selectorImLb1EEEZNS1_14transform_implILb1ES3_S5_PmPlNS0_8identityIvEEEE10hipError_tT2_T3_mT4_P12ihipStream_tbEUlT_E_NS1_11comp_targetILNS1_3genE2ELNS1_11target_archE906ELNS1_3gpuE6ELNS1_3repE0EEENS1_30default_config_static_selectorELNS0_4arch9wavefront6targetE1EEEvT1_
                                        ; -- End function
	.section	.AMDGPU.csdata,"",@progbits
; Kernel info:
; codeLenInByte = 0
; NumSgprs: 4
; NumVgprs: 0
; NumAgprs: 0
; TotalNumVgprs: 0
; ScratchSize: 0
; MemoryBound: 0
; FloatMode: 240
; IeeeMode: 1
; LDSByteSize: 0 bytes/workgroup (compile time only)
; SGPRBlocks: 0
; VGPRBlocks: 0
; NumSGPRsForWavesPerEU: 4
; NumVGPRsForWavesPerEU: 1
; AccumOffset: 4
; Occupancy: 8
; WaveLimiterHint : 0
; COMPUTE_PGM_RSRC2:SCRATCH_EN: 0
; COMPUTE_PGM_RSRC2:USER_SGPR: 6
; COMPUTE_PGM_RSRC2:TRAP_HANDLER: 0
; COMPUTE_PGM_RSRC2:TGID_X_EN: 1
; COMPUTE_PGM_RSRC2:TGID_Y_EN: 0
; COMPUTE_PGM_RSRC2:TGID_Z_EN: 0
; COMPUTE_PGM_RSRC2:TIDIG_COMP_CNT: 0
; COMPUTE_PGM_RSRC3_GFX90A:ACCUM_OFFSET: 0
; COMPUTE_PGM_RSRC3_GFX90A:TG_SPLIT: 0
	.section	.text._ZN7rocprim17ROCPRIM_400000_NS6detail17trampoline_kernelINS0_14default_configENS1_25transform_config_selectorImLb1EEEZNS1_14transform_implILb1ES3_S5_PmPlNS0_8identityIvEEEE10hipError_tT2_T3_mT4_P12ihipStream_tbEUlT_E_NS1_11comp_targetILNS1_3genE9ELNS1_11target_archE1100ELNS1_3gpuE3ELNS1_3repE0EEENS1_30default_config_static_selectorELNS0_4arch9wavefront6targetE1EEEvT1_,"axG",@progbits,_ZN7rocprim17ROCPRIM_400000_NS6detail17trampoline_kernelINS0_14default_configENS1_25transform_config_selectorImLb1EEEZNS1_14transform_implILb1ES3_S5_PmPlNS0_8identityIvEEEE10hipError_tT2_T3_mT4_P12ihipStream_tbEUlT_E_NS1_11comp_targetILNS1_3genE9ELNS1_11target_archE1100ELNS1_3gpuE3ELNS1_3repE0EEENS1_30default_config_static_selectorELNS0_4arch9wavefront6targetE1EEEvT1_,comdat
	.protected	_ZN7rocprim17ROCPRIM_400000_NS6detail17trampoline_kernelINS0_14default_configENS1_25transform_config_selectorImLb1EEEZNS1_14transform_implILb1ES3_S5_PmPlNS0_8identityIvEEEE10hipError_tT2_T3_mT4_P12ihipStream_tbEUlT_E_NS1_11comp_targetILNS1_3genE9ELNS1_11target_archE1100ELNS1_3gpuE3ELNS1_3repE0EEENS1_30default_config_static_selectorELNS0_4arch9wavefront6targetE1EEEvT1_ ; -- Begin function _ZN7rocprim17ROCPRIM_400000_NS6detail17trampoline_kernelINS0_14default_configENS1_25transform_config_selectorImLb1EEEZNS1_14transform_implILb1ES3_S5_PmPlNS0_8identityIvEEEE10hipError_tT2_T3_mT4_P12ihipStream_tbEUlT_E_NS1_11comp_targetILNS1_3genE9ELNS1_11target_archE1100ELNS1_3gpuE3ELNS1_3repE0EEENS1_30default_config_static_selectorELNS0_4arch9wavefront6targetE1EEEvT1_
	.globl	_ZN7rocprim17ROCPRIM_400000_NS6detail17trampoline_kernelINS0_14default_configENS1_25transform_config_selectorImLb1EEEZNS1_14transform_implILb1ES3_S5_PmPlNS0_8identityIvEEEE10hipError_tT2_T3_mT4_P12ihipStream_tbEUlT_E_NS1_11comp_targetILNS1_3genE9ELNS1_11target_archE1100ELNS1_3gpuE3ELNS1_3repE0EEENS1_30default_config_static_selectorELNS0_4arch9wavefront6targetE1EEEvT1_
	.p2align	8
	.type	_ZN7rocprim17ROCPRIM_400000_NS6detail17trampoline_kernelINS0_14default_configENS1_25transform_config_selectorImLb1EEEZNS1_14transform_implILb1ES3_S5_PmPlNS0_8identityIvEEEE10hipError_tT2_T3_mT4_P12ihipStream_tbEUlT_E_NS1_11comp_targetILNS1_3genE9ELNS1_11target_archE1100ELNS1_3gpuE3ELNS1_3repE0EEENS1_30default_config_static_selectorELNS0_4arch9wavefront6targetE1EEEvT1_,@function
_ZN7rocprim17ROCPRIM_400000_NS6detail17trampoline_kernelINS0_14default_configENS1_25transform_config_selectorImLb1EEEZNS1_14transform_implILb1ES3_S5_PmPlNS0_8identityIvEEEE10hipError_tT2_T3_mT4_P12ihipStream_tbEUlT_E_NS1_11comp_targetILNS1_3genE9ELNS1_11target_archE1100ELNS1_3gpuE3ELNS1_3repE0EEENS1_30default_config_static_selectorELNS0_4arch9wavefront6targetE1EEEvT1_: ; @_ZN7rocprim17ROCPRIM_400000_NS6detail17trampoline_kernelINS0_14default_configENS1_25transform_config_selectorImLb1EEEZNS1_14transform_implILb1ES3_S5_PmPlNS0_8identityIvEEEE10hipError_tT2_T3_mT4_P12ihipStream_tbEUlT_E_NS1_11comp_targetILNS1_3genE9ELNS1_11target_archE1100ELNS1_3gpuE3ELNS1_3repE0EEENS1_30default_config_static_selectorELNS0_4arch9wavefront6targetE1EEEvT1_
; %bb.0:
	.section	.rodata,"a",@progbits
	.p2align	6, 0x0
	.amdhsa_kernel _ZN7rocprim17ROCPRIM_400000_NS6detail17trampoline_kernelINS0_14default_configENS1_25transform_config_selectorImLb1EEEZNS1_14transform_implILb1ES3_S5_PmPlNS0_8identityIvEEEE10hipError_tT2_T3_mT4_P12ihipStream_tbEUlT_E_NS1_11comp_targetILNS1_3genE9ELNS1_11target_archE1100ELNS1_3gpuE3ELNS1_3repE0EEENS1_30default_config_static_selectorELNS0_4arch9wavefront6targetE1EEEvT1_
		.amdhsa_group_segment_fixed_size 0
		.amdhsa_private_segment_fixed_size 0
		.amdhsa_kernarg_size 40
		.amdhsa_user_sgpr_count 6
		.amdhsa_user_sgpr_private_segment_buffer 1
		.amdhsa_user_sgpr_dispatch_ptr 0
		.amdhsa_user_sgpr_queue_ptr 0
		.amdhsa_user_sgpr_kernarg_segment_ptr 1
		.amdhsa_user_sgpr_dispatch_id 0
		.amdhsa_user_sgpr_flat_scratch_init 0
		.amdhsa_user_sgpr_kernarg_preload_length 0
		.amdhsa_user_sgpr_kernarg_preload_offset 0
		.amdhsa_user_sgpr_private_segment_size 0
		.amdhsa_uses_dynamic_stack 0
		.amdhsa_system_sgpr_private_segment_wavefront_offset 0
		.amdhsa_system_sgpr_workgroup_id_x 1
		.amdhsa_system_sgpr_workgroup_id_y 0
		.amdhsa_system_sgpr_workgroup_id_z 0
		.amdhsa_system_sgpr_workgroup_info 0
		.amdhsa_system_vgpr_workitem_id 0
		.amdhsa_next_free_vgpr 1
		.amdhsa_next_free_sgpr 0
		.amdhsa_accum_offset 4
		.amdhsa_reserve_vcc 0
		.amdhsa_reserve_flat_scratch 0
		.amdhsa_float_round_mode_32 0
		.amdhsa_float_round_mode_16_64 0
		.amdhsa_float_denorm_mode_32 3
		.amdhsa_float_denorm_mode_16_64 3
		.amdhsa_dx10_clamp 1
		.amdhsa_ieee_mode 1
		.amdhsa_fp16_overflow 0
		.amdhsa_tg_split 0
		.amdhsa_exception_fp_ieee_invalid_op 0
		.amdhsa_exception_fp_denorm_src 0
		.amdhsa_exception_fp_ieee_div_zero 0
		.amdhsa_exception_fp_ieee_overflow 0
		.amdhsa_exception_fp_ieee_underflow 0
		.amdhsa_exception_fp_ieee_inexact 0
		.amdhsa_exception_int_div_zero 0
	.end_amdhsa_kernel
	.section	.text._ZN7rocprim17ROCPRIM_400000_NS6detail17trampoline_kernelINS0_14default_configENS1_25transform_config_selectorImLb1EEEZNS1_14transform_implILb1ES3_S5_PmPlNS0_8identityIvEEEE10hipError_tT2_T3_mT4_P12ihipStream_tbEUlT_E_NS1_11comp_targetILNS1_3genE9ELNS1_11target_archE1100ELNS1_3gpuE3ELNS1_3repE0EEENS1_30default_config_static_selectorELNS0_4arch9wavefront6targetE1EEEvT1_,"axG",@progbits,_ZN7rocprim17ROCPRIM_400000_NS6detail17trampoline_kernelINS0_14default_configENS1_25transform_config_selectorImLb1EEEZNS1_14transform_implILb1ES3_S5_PmPlNS0_8identityIvEEEE10hipError_tT2_T3_mT4_P12ihipStream_tbEUlT_E_NS1_11comp_targetILNS1_3genE9ELNS1_11target_archE1100ELNS1_3gpuE3ELNS1_3repE0EEENS1_30default_config_static_selectorELNS0_4arch9wavefront6targetE1EEEvT1_,comdat
.Lfunc_end19:
	.size	_ZN7rocprim17ROCPRIM_400000_NS6detail17trampoline_kernelINS0_14default_configENS1_25transform_config_selectorImLb1EEEZNS1_14transform_implILb1ES3_S5_PmPlNS0_8identityIvEEEE10hipError_tT2_T3_mT4_P12ihipStream_tbEUlT_E_NS1_11comp_targetILNS1_3genE9ELNS1_11target_archE1100ELNS1_3gpuE3ELNS1_3repE0EEENS1_30default_config_static_selectorELNS0_4arch9wavefront6targetE1EEEvT1_, .Lfunc_end19-_ZN7rocprim17ROCPRIM_400000_NS6detail17trampoline_kernelINS0_14default_configENS1_25transform_config_selectorImLb1EEEZNS1_14transform_implILb1ES3_S5_PmPlNS0_8identityIvEEEE10hipError_tT2_T3_mT4_P12ihipStream_tbEUlT_E_NS1_11comp_targetILNS1_3genE9ELNS1_11target_archE1100ELNS1_3gpuE3ELNS1_3repE0EEENS1_30default_config_static_selectorELNS0_4arch9wavefront6targetE1EEEvT1_
                                        ; -- End function
	.section	.AMDGPU.csdata,"",@progbits
; Kernel info:
; codeLenInByte = 0
; NumSgprs: 4
; NumVgprs: 0
; NumAgprs: 0
; TotalNumVgprs: 0
; ScratchSize: 0
; MemoryBound: 0
; FloatMode: 240
; IeeeMode: 1
; LDSByteSize: 0 bytes/workgroup (compile time only)
; SGPRBlocks: 0
; VGPRBlocks: 0
; NumSGPRsForWavesPerEU: 4
; NumVGPRsForWavesPerEU: 1
; AccumOffset: 4
; Occupancy: 8
; WaveLimiterHint : 0
; COMPUTE_PGM_RSRC2:SCRATCH_EN: 0
; COMPUTE_PGM_RSRC2:USER_SGPR: 6
; COMPUTE_PGM_RSRC2:TRAP_HANDLER: 0
; COMPUTE_PGM_RSRC2:TGID_X_EN: 1
; COMPUTE_PGM_RSRC2:TGID_Y_EN: 0
; COMPUTE_PGM_RSRC2:TGID_Z_EN: 0
; COMPUTE_PGM_RSRC2:TIDIG_COMP_CNT: 0
; COMPUTE_PGM_RSRC3_GFX90A:ACCUM_OFFSET: 0
; COMPUTE_PGM_RSRC3_GFX90A:TG_SPLIT: 0
	.section	.text._ZN7rocprim17ROCPRIM_400000_NS6detail17trampoline_kernelINS0_14default_configENS1_25transform_config_selectorImLb1EEEZNS1_14transform_implILb1ES3_S5_PmPlNS0_8identityIvEEEE10hipError_tT2_T3_mT4_P12ihipStream_tbEUlT_E_NS1_11comp_targetILNS1_3genE8ELNS1_11target_archE1030ELNS1_3gpuE2ELNS1_3repE0EEENS1_30default_config_static_selectorELNS0_4arch9wavefront6targetE1EEEvT1_,"axG",@progbits,_ZN7rocprim17ROCPRIM_400000_NS6detail17trampoline_kernelINS0_14default_configENS1_25transform_config_selectorImLb1EEEZNS1_14transform_implILb1ES3_S5_PmPlNS0_8identityIvEEEE10hipError_tT2_T3_mT4_P12ihipStream_tbEUlT_E_NS1_11comp_targetILNS1_3genE8ELNS1_11target_archE1030ELNS1_3gpuE2ELNS1_3repE0EEENS1_30default_config_static_selectorELNS0_4arch9wavefront6targetE1EEEvT1_,comdat
	.protected	_ZN7rocprim17ROCPRIM_400000_NS6detail17trampoline_kernelINS0_14default_configENS1_25transform_config_selectorImLb1EEEZNS1_14transform_implILb1ES3_S5_PmPlNS0_8identityIvEEEE10hipError_tT2_T3_mT4_P12ihipStream_tbEUlT_E_NS1_11comp_targetILNS1_3genE8ELNS1_11target_archE1030ELNS1_3gpuE2ELNS1_3repE0EEENS1_30default_config_static_selectorELNS0_4arch9wavefront6targetE1EEEvT1_ ; -- Begin function _ZN7rocprim17ROCPRIM_400000_NS6detail17trampoline_kernelINS0_14default_configENS1_25transform_config_selectorImLb1EEEZNS1_14transform_implILb1ES3_S5_PmPlNS0_8identityIvEEEE10hipError_tT2_T3_mT4_P12ihipStream_tbEUlT_E_NS1_11comp_targetILNS1_3genE8ELNS1_11target_archE1030ELNS1_3gpuE2ELNS1_3repE0EEENS1_30default_config_static_selectorELNS0_4arch9wavefront6targetE1EEEvT1_
	.globl	_ZN7rocprim17ROCPRIM_400000_NS6detail17trampoline_kernelINS0_14default_configENS1_25transform_config_selectorImLb1EEEZNS1_14transform_implILb1ES3_S5_PmPlNS0_8identityIvEEEE10hipError_tT2_T3_mT4_P12ihipStream_tbEUlT_E_NS1_11comp_targetILNS1_3genE8ELNS1_11target_archE1030ELNS1_3gpuE2ELNS1_3repE0EEENS1_30default_config_static_selectorELNS0_4arch9wavefront6targetE1EEEvT1_
	.p2align	8
	.type	_ZN7rocprim17ROCPRIM_400000_NS6detail17trampoline_kernelINS0_14default_configENS1_25transform_config_selectorImLb1EEEZNS1_14transform_implILb1ES3_S5_PmPlNS0_8identityIvEEEE10hipError_tT2_T3_mT4_P12ihipStream_tbEUlT_E_NS1_11comp_targetILNS1_3genE8ELNS1_11target_archE1030ELNS1_3gpuE2ELNS1_3repE0EEENS1_30default_config_static_selectorELNS0_4arch9wavefront6targetE1EEEvT1_,@function
_ZN7rocprim17ROCPRIM_400000_NS6detail17trampoline_kernelINS0_14default_configENS1_25transform_config_selectorImLb1EEEZNS1_14transform_implILb1ES3_S5_PmPlNS0_8identityIvEEEE10hipError_tT2_T3_mT4_P12ihipStream_tbEUlT_E_NS1_11comp_targetILNS1_3genE8ELNS1_11target_archE1030ELNS1_3gpuE2ELNS1_3repE0EEENS1_30default_config_static_selectorELNS0_4arch9wavefront6targetE1EEEvT1_: ; @_ZN7rocprim17ROCPRIM_400000_NS6detail17trampoline_kernelINS0_14default_configENS1_25transform_config_selectorImLb1EEEZNS1_14transform_implILb1ES3_S5_PmPlNS0_8identityIvEEEE10hipError_tT2_T3_mT4_P12ihipStream_tbEUlT_E_NS1_11comp_targetILNS1_3genE8ELNS1_11target_archE1030ELNS1_3gpuE2ELNS1_3repE0EEENS1_30default_config_static_selectorELNS0_4arch9wavefront6targetE1EEEvT1_
; %bb.0:
	.section	.rodata,"a",@progbits
	.p2align	6, 0x0
	.amdhsa_kernel _ZN7rocprim17ROCPRIM_400000_NS6detail17trampoline_kernelINS0_14default_configENS1_25transform_config_selectorImLb1EEEZNS1_14transform_implILb1ES3_S5_PmPlNS0_8identityIvEEEE10hipError_tT2_T3_mT4_P12ihipStream_tbEUlT_E_NS1_11comp_targetILNS1_3genE8ELNS1_11target_archE1030ELNS1_3gpuE2ELNS1_3repE0EEENS1_30default_config_static_selectorELNS0_4arch9wavefront6targetE1EEEvT1_
		.amdhsa_group_segment_fixed_size 0
		.amdhsa_private_segment_fixed_size 0
		.amdhsa_kernarg_size 40
		.amdhsa_user_sgpr_count 6
		.amdhsa_user_sgpr_private_segment_buffer 1
		.amdhsa_user_sgpr_dispatch_ptr 0
		.amdhsa_user_sgpr_queue_ptr 0
		.amdhsa_user_sgpr_kernarg_segment_ptr 1
		.amdhsa_user_sgpr_dispatch_id 0
		.amdhsa_user_sgpr_flat_scratch_init 0
		.amdhsa_user_sgpr_kernarg_preload_length 0
		.amdhsa_user_sgpr_kernarg_preload_offset 0
		.amdhsa_user_sgpr_private_segment_size 0
		.amdhsa_uses_dynamic_stack 0
		.amdhsa_system_sgpr_private_segment_wavefront_offset 0
		.amdhsa_system_sgpr_workgroup_id_x 1
		.amdhsa_system_sgpr_workgroup_id_y 0
		.amdhsa_system_sgpr_workgroup_id_z 0
		.amdhsa_system_sgpr_workgroup_info 0
		.amdhsa_system_vgpr_workitem_id 0
		.amdhsa_next_free_vgpr 1
		.amdhsa_next_free_sgpr 0
		.amdhsa_accum_offset 4
		.amdhsa_reserve_vcc 0
		.amdhsa_reserve_flat_scratch 0
		.amdhsa_float_round_mode_32 0
		.amdhsa_float_round_mode_16_64 0
		.amdhsa_float_denorm_mode_32 3
		.amdhsa_float_denorm_mode_16_64 3
		.amdhsa_dx10_clamp 1
		.amdhsa_ieee_mode 1
		.amdhsa_fp16_overflow 0
		.amdhsa_tg_split 0
		.amdhsa_exception_fp_ieee_invalid_op 0
		.amdhsa_exception_fp_denorm_src 0
		.amdhsa_exception_fp_ieee_div_zero 0
		.amdhsa_exception_fp_ieee_overflow 0
		.amdhsa_exception_fp_ieee_underflow 0
		.amdhsa_exception_fp_ieee_inexact 0
		.amdhsa_exception_int_div_zero 0
	.end_amdhsa_kernel
	.section	.text._ZN7rocprim17ROCPRIM_400000_NS6detail17trampoline_kernelINS0_14default_configENS1_25transform_config_selectorImLb1EEEZNS1_14transform_implILb1ES3_S5_PmPlNS0_8identityIvEEEE10hipError_tT2_T3_mT4_P12ihipStream_tbEUlT_E_NS1_11comp_targetILNS1_3genE8ELNS1_11target_archE1030ELNS1_3gpuE2ELNS1_3repE0EEENS1_30default_config_static_selectorELNS0_4arch9wavefront6targetE1EEEvT1_,"axG",@progbits,_ZN7rocprim17ROCPRIM_400000_NS6detail17trampoline_kernelINS0_14default_configENS1_25transform_config_selectorImLb1EEEZNS1_14transform_implILb1ES3_S5_PmPlNS0_8identityIvEEEE10hipError_tT2_T3_mT4_P12ihipStream_tbEUlT_E_NS1_11comp_targetILNS1_3genE8ELNS1_11target_archE1030ELNS1_3gpuE2ELNS1_3repE0EEENS1_30default_config_static_selectorELNS0_4arch9wavefront6targetE1EEEvT1_,comdat
.Lfunc_end20:
	.size	_ZN7rocprim17ROCPRIM_400000_NS6detail17trampoline_kernelINS0_14default_configENS1_25transform_config_selectorImLb1EEEZNS1_14transform_implILb1ES3_S5_PmPlNS0_8identityIvEEEE10hipError_tT2_T3_mT4_P12ihipStream_tbEUlT_E_NS1_11comp_targetILNS1_3genE8ELNS1_11target_archE1030ELNS1_3gpuE2ELNS1_3repE0EEENS1_30default_config_static_selectorELNS0_4arch9wavefront6targetE1EEEvT1_, .Lfunc_end20-_ZN7rocprim17ROCPRIM_400000_NS6detail17trampoline_kernelINS0_14default_configENS1_25transform_config_selectorImLb1EEEZNS1_14transform_implILb1ES3_S5_PmPlNS0_8identityIvEEEE10hipError_tT2_T3_mT4_P12ihipStream_tbEUlT_E_NS1_11comp_targetILNS1_3genE8ELNS1_11target_archE1030ELNS1_3gpuE2ELNS1_3repE0EEENS1_30default_config_static_selectorELNS0_4arch9wavefront6targetE1EEEvT1_
                                        ; -- End function
	.section	.AMDGPU.csdata,"",@progbits
; Kernel info:
; codeLenInByte = 0
; NumSgprs: 4
; NumVgprs: 0
; NumAgprs: 0
; TotalNumVgprs: 0
; ScratchSize: 0
; MemoryBound: 0
; FloatMode: 240
; IeeeMode: 1
; LDSByteSize: 0 bytes/workgroup (compile time only)
; SGPRBlocks: 0
; VGPRBlocks: 0
; NumSGPRsForWavesPerEU: 4
; NumVGPRsForWavesPerEU: 1
; AccumOffset: 4
; Occupancy: 8
; WaveLimiterHint : 0
; COMPUTE_PGM_RSRC2:SCRATCH_EN: 0
; COMPUTE_PGM_RSRC2:USER_SGPR: 6
; COMPUTE_PGM_RSRC2:TRAP_HANDLER: 0
; COMPUTE_PGM_RSRC2:TGID_X_EN: 1
; COMPUTE_PGM_RSRC2:TGID_Y_EN: 0
; COMPUTE_PGM_RSRC2:TGID_Z_EN: 0
; COMPUTE_PGM_RSRC2:TIDIG_COMP_CNT: 0
; COMPUTE_PGM_RSRC3_GFX90A:ACCUM_OFFSET: 0
; COMPUTE_PGM_RSRC3_GFX90A:TG_SPLIT: 0
	.section	.text._ZN7rocprim17ROCPRIM_400000_NS6detail31init_lookback_scan_state_kernelINS1_19lookback_scan_stateIjLb1ELb1EEENS1_16block_id_wrapperIjLb1EEEEEvT_jT0_jPNS7_10value_typeE,"axG",@progbits,_ZN7rocprim17ROCPRIM_400000_NS6detail31init_lookback_scan_state_kernelINS1_19lookback_scan_stateIjLb1ELb1EEENS1_16block_id_wrapperIjLb1EEEEEvT_jT0_jPNS7_10value_typeE,comdat
	.protected	_ZN7rocprim17ROCPRIM_400000_NS6detail31init_lookback_scan_state_kernelINS1_19lookback_scan_stateIjLb1ELb1EEENS1_16block_id_wrapperIjLb1EEEEEvT_jT0_jPNS7_10value_typeE ; -- Begin function _ZN7rocprim17ROCPRIM_400000_NS6detail31init_lookback_scan_state_kernelINS1_19lookback_scan_stateIjLb1ELb1EEENS1_16block_id_wrapperIjLb1EEEEEvT_jT0_jPNS7_10value_typeE
	.globl	_ZN7rocprim17ROCPRIM_400000_NS6detail31init_lookback_scan_state_kernelINS1_19lookback_scan_stateIjLb1ELb1EEENS1_16block_id_wrapperIjLb1EEEEEvT_jT0_jPNS7_10value_typeE
	.p2align	8
	.type	_ZN7rocprim17ROCPRIM_400000_NS6detail31init_lookback_scan_state_kernelINS1_19lookback_scan_stateIjLb1ELb1EEENS1_16block_id_wrapperIjLb1EEEEEvT_jT0_jPNS7_10value_typeE,@function
_ZN7rocprim17ROCPRIM_400000_NS6detail31init_lookback_scan_state_kernelINS1_19lookback_scan_stateIjLb1ELb1EEENS1_16block_id_wrapperIjLb1EEEEEvT_jT0_jPNS7_10value_typeE: ; @_ZN7rocprim17ROCPRIM_400000_NS6detail31init_lookback_scan_state_kernelINS1_19lookback_scan_stateIjLb1ELb1EEENS1_16block_id_wrapperIjLb1EEEEEvT_jT0_jPNS7_10value_typeE
; %bb.0:
	s_load_dword s7, s[4:5], 0x34
	s_load_dwordx2 s[2:3], s[4:5], 0x20
	s_load_dwordx2 s[0:1], s[4:5], 0x0
	s_load_dword s10, s[4:5], 0x8
	s_waitcnt lgkmcnt(0)
	s_and_b32 s7, s7, 0xffff
	s_mul_i32 s6, s6, s7
	s_cmp_eq_u64 s[2:3], 0
	v_add_u32_e32 v0, s6, v0
	s_cbranch_scc1 .LBB21_9
; %bb.1:
	s_load_dword s8, s[4:5], 0x18
	s_mov_b32 s9, 0
	s_waitcnt lgkmcnt(0)
	s_cmp_lt_u32 s8, s10
	s_cselect_b32 s6, s8, 0
	v_cmp_eq_u32_e32 vcc, s6, v0
	s_and_saveexec_b64 s[6:7], vcc
	s_cbranch_execz .LBB21_8
; %bb.2:
	s_add_i32 s8, s8, 64
	s_lshl_b64 s[8:9], s[8:9], 3
	s_add_u32 s8, s0, s8
	s_addc_u32 s9, s1, s9
	v_mov_b32_e32 v2, 0
	global_load_dwordx2 v[4:5], v2, s[8:9] glc
	s_waitcnt vmcnt(0)
	v_and_b32_e32 v3, 0xff, v5
	v_cmp_ne_u64_e32 vcc, 0, v[2:3]
	s_cbranch_vccnz .LBB21_7
; %bb.3:
	s_mov_b32 s11, 1
.LBB21_4:                               ; =>This Loop Header: Depth=1
                                        ;     Child Loop BB21_5 Depth 2
	s_max_u32 s12, s11, 1
.LBB21_5:                               ;   Parent Loop BB21_4 Depth=1
                                        ; =>  This Inner Loop Header: Depth=2
	s_add_i32 s12, s12, -1
	s_cmp_eq_u32 s12, 0
	s_sleep 1
	s_cbranch_scc0 .LBB21_5
; %bb.6:                                ;   in Loop: Header=BB21_4 Depth=1
	global_load_dwordx2 v[4:5], v2, s[8:9] glc
	s_cmp_lt_u32 s11, 32
	s_cselect_b64 s[12:13], -1, 0
	s_cmp_lg_u64 s[12:13], 0
	s_addc_u32 s11, s11, 0
	s_waitcnt vmcnt(0)
	v_and_b32_e32 v3, 0xff, v5
	v_cmp_ne_u64_e32 vcc, 0, v[2:3]
	s_cbranch_vccz .LBB21_4
.LBB21_7:
	v_mov_b32_e32 v1, 0
	global_store_dword v1, v4, s[2:3]
.LBB21_8:
	s_or_b64 exec, exec, s[6:7]
.LBB21_9:
	v_cmp_eq_u32_e32 vcc, 0, v0
	s_and_saveexec_b64 s[2:3], vcc
	s_cbranch_execnz .LBB21_13
; %bb.10:
	s_or_b64 exec, exec, s[2:3]
	v_cmp_gt_u32_e32 vcc, s10, v0
	s_and_saveexec_b64 s[2:3], vcc
	s_cbranch_execnz .LBB21_14
.LBB21_11:
	s_or_b64 exec, exec, s[2:3]
	v_cmp_gt_u32_e32 vcc, 64, v0
	s_and_saveexec_b64 s[2:3], vcc
	s_cbranch_execnz .LBB21_15
.LBB21_12:
	s_endpgm
.LBB21_13:
	s_load_dwordx2 s[4:5], s[4:5], 0x10
	v_mov_b32_e32 v1, 0
	s_waitcnt lgkmcnt(0)
	global_store_dword v1, v1, s[4:5]
	s_or_b64 exec, exec, s[2:3]
	v_cmp_gt_u32_e32 vcc, s10, v0
	s_and_saveexec_b64 s[2:3], vcc
	s_cbranch_execz .LBB21_11
.LBB21_14:
	v_add_u32_e32 v2, 64, v0
	v_mov_b32_e32 v3, 0
	v_lshlrev_b64 v[4:5], 3, v[2:3]
	v_mov_b32_e32 v1, s1
	v_add_co_u32_e32 v4, vcc, s0, v4
	v_addc_co_u32_e32 v5, vcc, v1, v5, vcc
	v_mov_b32_e32 v2, v3
	global_store_dwordx2 v[4:5], v[2:3], off
	s_or_b64 exec, exec, s[2:3]
	v_cmp_gt_u32_e32 vcc, 64, v0
	s_and_saveexec_b64 s[2:3], vcc
	s_cbranch_execz .LBB21_12
.LBB21_15:
	v_mov_b32_e32 v1, 0
	v_lshlrev_b64 v[2:3], 3, v[0:1]
	v_mov_b32_e32 v0, s1
	v_add_co_u32_e32 v2, vcc, s0, v2
	v_addc_co_u32_e32 v3, vcc, v0, v3, vcc
	v_mov_b32_e32 v5, 0xff
	v_mov_b32_e32 v4, v1
	global_store_dwordx2 v[2:3], v[4:5], off
	s_endpgm
	.section	.rodata,"a",@progbits
	.p2align	6, 0x0
	.amdhsa_kernel _ZN7rocprim17ROCPRIM_400000_NS6detail31init_lookback_scan_state_kernelINS1_19lookback_scan_stateIjLb1ELb1EEENS1_16block_id_wrapperIjLb1EEEEEvT_jT0_jPNS7_10value_typeE
		.amdhsa_group_segment_fixed_size 0
		.amdhsa_private_segment_fixed_size 0
		.amdhsa_kernarg_size 296
		.amdhsa_user_sgpr_count 6
		.amdhsa_user_sgpr_private_segment_buffer 1
		.amdhsa_user_sgpr_dispatch_ptr 0
		.amdhsa_user_sgpr_queue_ptr 0
		.amdhsa_user_sgpr_kernarg_segment_ptr 1
		.amdhsa_user_sgpr_dispatch_id 0
		.amdhsa_user_sgpr_flat_scratch_init 0
		.amdhsa_user_sgpr_kernarg_preload_length 0
		.amdhsa_user_sgpr_kernarg_preload_offset 0
		.amdhsa_user_sgpr_private_segment_size 0
		.amdhsa_uses_dynamic_stack 0
		.amdhsa_system_sgpr_private_segment_wavefront_offset 0
		.amdhsa_system_sgpr_workgroup_id_x 1
		.amdhsa_system_sgpr_workgroup_id_y 0
		.amdhsa_system_sgpr_workgroup_id_z 0
		.amdhsa_system_sgpr_workgroup_info 0
		.amdhsa_system_vgpr_workitem_id 0
		.amdhsa_next_free_vgpr 6
		.amdhsa_next_free_sgpr 14
		.amdhsa_accum_offset 8
		.amdhsa_reserve_vcc 1
		.amdhsa_reserve_flat_scratch 0
		.amdhsa_float_round_mode_32 0
		.amdhsa_float_round_mode_16_64 0
		.amdhsa_float_denorm_mode_32 3
		.amdhsa_float_denorm_mode_16_64 3
		.amdhsa_dx10_clamp 1
		.amdhsa_ieee_mode 1
		.amdhsa_fp16_overflow 0
		.amdhsa_tg_split 0
		.amdhsa_exception_fp_ieee_invalid_op 0
		.amdhsa_exception_fp_denorm_src 0
		.amdhsa_exception_fp_ieee_div_zero 0
		.amdhsa_exception_fp_ieee_overflow 0
		.amdhsa_exception_fp_ieee_underflow 0
		.amdhsa_exception_fp_ieee_inexact 0
		.amdhsa_exception_int_div_zero 0
	.end_amdhsa_kernel
	.section	.text._ZN7rocprim17ROCPRIM_400000_NS6detail31init_lookback_scan_state_kernelINS1_19lookback_scan_stateIjLb1ELb1EEENS1_16block_id_wrapperIjLb1EEEEEvT_jT0_jPNS7_10value_typeE,"axG",@progbits,_ZN7rocprim17ROCPRIM_400000_NS6detail31init_lookback_scan_state_kernelINS1_19lookback_scan_stateIjLb1ELb1EEENS1_16block_id_wrapperIjLb1EEEEEvT_jT0_jPNS7_10value_typeE,comdat
.Lfunc_end21:
	.size	_ZN7rocprim17ROCPRIM_400000_NS6detail31init_lookback_scan_state_kernelINS1_19lookback_scan_stateIjLb1ELb1EEENS1_16block_id_wrapperIjLb1EEEEEvT_jT0_jPNS7_10value_typeE, .Lfunc_end21-_ZN7rocprim17ROCPRIM_400000_NS6detail31init_lookback_scan_state_kernelINS1_19lookback_scan_stateIjLb1ELb1EEENS1_16block_id_wrapperIjLb1EEEEEvT_jT0_jPNS7_10value_typeE
                                        ; -- End function
	.section	.AMDGPU.csdata,"",@progbits
; Kernel info:
; codeLenInByte = 420
; NumSgprs: 18
; NumVgprs: 6
; NumAgprs: 0
; TotalNumVgprs: 6
; ScratchSize: 0
; MemoryBound: 0
; FloatMode: 240
; IeeeMode: 1
; LDSByteSize: 0 bytes/workgroup (compile time only)
; SGPRBlocks: 2
; VGPRBlocks: 0
; NumSGPRsForWavesPerEU: 18
; NumVGPRsForWavesPerEU: 6
; AccumOffset: 8
; Occupancy: 8
; WaveLimiterHint : 0
; COMPUTE_PGM_RSRC2:SCRATCH_EN: 0
; COMPUTE_PGM_RSRC2:USER_SGPR: 6
; COMPUTE_PGM_RSRC2:TRAP_HANDLER: 0
; COMPUTE_PGM_RSRC2:TGID_X_EN: 1
; COMPUTE_PGM_RSRC2:TGID_Y_EN: 0
; COMPUTE_PGM_RSRC2:TGID_Z_EN: 0
; COMPUTE_PGM_RSRC2:TIDIG_COMP_CNT: 0
; COMPUTE_PGM_RSRC3_GFX90A:ACCUM_OFFSET: 1
; COMPUTE_PGM_RSRC3_GFX90A:TG_SPLIT: 0
	.section	.text._ZN7rocprim17ROCPRIM_400000_NS6detail17trampoline_kernelINS0_14default_configENS1_25partition_config_selectorILNS1_17partition_subalgoE3ExNS0_10empty_typeEbEEZZNS1_14partition_implILS5_3ELb0ES3_jN6thrust23THRUST_200600_302600_NS6detail15normal_iteratorINSA_7pointerIxNSA_11hip_rocprim3tagENSA_11use_defaultESG_EEEEPS6_SJ_NS0_5tupleIJPxSJ_EEENSK_IJSJ_SJ_EEES6_PlJ7is_evenIxEEEE10hipError_tPvRmT3_T4_T5_T6_T7_T9_mT8_P12ihipStream_tbDpT10_ENKUlT_T0_E_clISt17integral_constantIbLb1EES1A_EEDaS15_S16_EUlS15_E_NS1_11comp_targetILNS1_3genE0ELNS1_11target_archE4294967295ELNS1_3gpuE0ELNS1_3repE0EEENS1_30default_config_static_selectorELNS0_4arch9wavefront6targetE1EEEvT1_,"axG",@progbits,_ZN7rocprim17ROCPRIM_400000_NS6detail17trampoline_kernelINS0_14default_configENS1_25partition_config_selectorILNS1_17partition_subalgoE3ExNS0_10empty_typeEbEEZZNS1_14partition_implILS5_3ELb0ES3_jN6thrust23THRUST_200600_302600_NS6detail15normal_iteratorINSA_7pointerIxNSA_11hip_rocprim3tagENSA_11use_defaultESG_EEEEPS6_SJ_NS0_5tupleIJPxSJ_EEENSK_IJSJ_SJ_EEES6_PlJ7is_evenIxEEEE10hipError_tPvRmT3_T4_T5_T6_T7_T9_mT8_P12ihipStream_tbDpT10_ENKUlT_T0_E_clISt17integral_constantIbLb1EES1A_EEDaS15_S16_EUlS15_E_NS1_11comp_targetILNS1_3genE0ELNS1_11target_archE4294967295ELNS1_3gpuE0ELNS1_3repE0EEENS1_30default_config_static_selectorELNS0_4arch9wavefront6targetE1EEEvT1_,comdat
	.protected	_ZN7rocprim17ROCPRIM_400000_NS6detail17trampoline_kernelINS0_14default_configENS1_25partition_config_selectorILNS1_17partition_subalgoE3ExNS0_10empty_typeEbEEZZNS1_14partition_implILS5_3ELb0ES3_jN6thrust23THRUST_200600_302600_NS6detail15normal_iteratorINSA_7pointerIxNSA_11hip_rocprim3tagENSA_11use_defaultESG_EEEEPS6_SJ_NS0_5tupleIJPxSJ_EEENSK_IJSJ_SJ_EEES6_PlJ7is_evenIxEEEE10hipError_tPvRmT3_T4_T5_T6_T7_T9_mT8_P12ihipStream_tbDpT10_ENKUlT_T0_E_clISt17integral_constantIbLb1EES1A_EEDaS15_S16_EUlS15_E_NS1_11comp_targetILNS1_3genE0ELNS1_11target_archE4294967295ELNS1_3gpuE0ELNS1_3repE0EEENS1_30default_config_static_selectorELNS0_4arch9wavefront6targetE1EEEvT1_ ; -- Begin function _ZN7rocprim17ROCPRIM_400000_NS6detail17trampoline_kernelINS0_14default_configENS1_25partition_config_selectorILNS1_17partition_subalgoE3ExNS0_10empty_typeEbEEZZNS1_14partition_implILS5_3ELb0ES3_jN6thrust23THRUST_200600_302600_NS6detail15normal_iteratorINSA_7pointerIxNSA_11hip_rocprim3tagENSA_11use_defaultESG_EEEEPS6_SJ_NS0_5tupleIJPxSJ_EEENSK_IJSJ_SJ_EEES6_PlJ7is_evenIxEEEE10hipError_tPvRmT3_T4_T5_T6_T7_T9_mT8_P12ihipStream_tbDpT10_ENKUlT_T0_E_clISt17integral_constantIbLb1EES1A_EEDaS15_S16_EUlS15_E_NS1_11comp_targetILNS1_3genE0ELNS1_11target_archE4294967295ELNS1_3gpuE0ELNS1_3repE0EEENS1_30default_config_static_selectorELNS0_4arch9wavefront6targetE1EEEvT1_
	.globl	_ZN7rocprim17ROCPRIM_400000_NS6detail17trampoline_kernelINS0_14default_configENS1_25partition_config_selectorILNS1_17partition_subalgoE3ExNS0_10empty_typeEbEEZZNS1_14partition_implILS5_3ELb0ES3_jN6thrust23THRUST_200600_302600_NS6detail15normal_iteratorINSA_7pointerIxNSA_11hip_rocprim3tagENSA_11use_defaultESG_EEEEPS6_SJ_NS0_5tupleIJPxSJ_EEENSK_IJSJ_SJ_EEES6_PlJ7is_evenIxEEEE10hipError_tPvRmT3_T4_T5_T6_T7_T9_mT8_P12ihipStream_tbDpT10_ENKUlT_T0_E_clISt17integral_constantIbLb1EES1A_EEDaS15_S16_EUlS15_E_NS1_11comp_targetILNS1_3genE0ELNS1_11target_archE4294967295ELNS1_3gpuE0ELNS1_3repE0EEENS1_30default_config_static_selectorELNS0_4arch9wavefront6targetE1EEEvT1_
	.p2align	8
	.type	_ZN7rocprim17ROCPRIM_400000_NS6detail17trampoline_kernelINS0_14default_configENS1_25partition_config_selectorILNS1_17partition_subalgoE3ExNS0_10empty_typeEbEEZZNS1_14partition_implILS5_3ELb0ES3_jN6thrust23THRUST_200600_302600_NS6detail15normal_iteratorINSA_7pointerIxNSA_11hip_rocprim3tagENSA_11use_defaultESG_EEEEPS6_SJ_NS0_5tupleIJPxSJ_EEENSK_IJSJ_SJ_EEES6_PlJ7is_evenIxEEEE10hipError_tPvRmT3_T4_T5_T6_T7_T9_mT8_P12ihipStream_tbDpT10_ENKUlT_T0_E_clISt17integral_constantIbLb1EES1A_EEDaS15_S16_EUlS15_E_NS1_11comp_targetILNS1_3genE0ELNS1_11target_archE4294967295ELNS1_3gpuE0ELNS1_3repE0EEENS1_30default_config_static_selectorELNS0_4arch9wavefront6targetE1EEEvT1_,@function
_ZN7rocprim17ROCPRIM_400000_NS6detail17trampoline_kernelINS0_14default_configENS1_25partition_config_selectorILNS1_17partition_subalgoE3ExNS0_10empty_typeEbEEZZNS1_14partition_implILS5_3ELb0ES3_jN6thrust23THRUST_200600_302600_NS6detail15normal_iteratorINSA_7pointerIxNSA_11hip_rocprim3tagENSA_11use_defaultESG_EEEEPS6_SJ_NS0_5tupleIJPxSJ_EEENSK_IJSJ_SJ_EEES6_PlJ7is_evenIxEEEE10hipError_tPvRmT3_T4_T5_T6_T7_T9_mT8_P12ihipStream_tbDpT10_ENKUlT_T0_E_clISt17integral_constantIbLb1EES1A_EEDaS15_S16_EUlS15_E_NS1_11comp_targetILNS1_3genE0ELNS1_11target_archE4294967295ELNS1_3gpuE0ELNS1_3repE0EEENS1_30default_config_static_selectorELNS0_4arch9wavefront6targetE1EEEvT1_: ; @_ZN7rocprim17ROCPRIM_400000_NS6detail17trampoline_kernelINS0_14default_configENS1_25partition_config_selectorILNS1_17partition_subalgoE3ExNS0_10empty_typeEbEEZZNS1_14partition_implILS5_3ELb0ES3_jN6thrust23THRUST_200600_302600_NS6detail15normal_iteratorINSA_7pointerIxNSA_11hip_rocprim3tagENSA_11use_defaultESG_EEEEPS6_SJ_NS0_5tupleIJPxSJ_EEENSK_IJSJ_SJ_EEES6_PlJ7is_evenIxEEEE10hipError_tPvRmT3_T4_T5_T6_T7_T9_mT8_P12ihipStream_tbDpT10_ENKUlT_T0_E_clISt17integral_constantIbLb1EES1A_EEDaS15_S16_EUlS15_E_NS1_11comp_targetILNS1_3genE0ELNS1_11target_archE4294967295ELNS1_3gpuE0ELNS1_3repE0EEENS1_30default_config_static_selectorELNS0_4arch9wavefront6targetE1EEEvT1_
; %bb.0:
	.section	.rodata,"a",@progbits
	.p2align	6, 0x0
	.amdhsa_kernel _ZN7rocprim17ROCPRIM_400000_NS6detail17trampoline_kernelINS0_14default_configENS1_25partition_config_selectorILNS1_17partition_subalgoE3ExNS0_10empty_typeEbEEZZNS1_14partition_implILS5_3ELb0ES3_jN6thrust23THRUST_200600_302600_NS6detail15normal_iteratorINSA_7pointerIxNSA_11hip_rocprim3tagENSA_11use_defaultESG_EEEEPS6_SJ_NS0_5tupleIJPxSJ_EEENSK_IJSJ_SJ_EEES6_PlJ7is_evenIxEEEE10hipError_tPvRmT3_T4_T5_T6_T7_T9_mT8_P12ihipStream_tbDpT10_ENKUlT_T0_E_clISt17integral_constantIbLb1EES1A_EEDaS15_S16_EUlS15_E_NS1_11comp_targetILNS1_3genE0ELNS1_11target_archE4294967295ELNS1_3gpuE0ELNS1_3repE0EEENS1_30default_config_static_selectorELNS0_4arch9wavefront6targetE1EEEvT1_
		.amdhsa_group_segment_fixed_size 0
		.amdhsa_private_segment_fixed_size 0
		.amdhsa_kernarg_size 136
		.amdhsa_user_sgpr_count 6
		.amdhsa_user_sgpr_private_segment_buffer 1
		.amdhsa_user_sgpr_dispatch_ptr 0
		.amdhsa_user_sgpr_queue_ptr 0
		.amdhsa_user_sgpr_kernarg_segment_ptr 1
		.amdhsa_user_sgpr_dispatch_id 0
		.amdhsa_user_sgpr_flat_scratch_init 0
		.amdhsa_user_sgpr_kernarg_preload_length 0
		.amdhsa_user_sgpr_kernarg_preload_offset 0
		.amdhsa_user_sgpr_private_segment_size 0
		.amdhsa_uses_dynamic_stack 0
		.amdhsa_system_sgpr_private_segment_wavefront_offset 0
		.amdhsa_system_sgpr_workgroup_id_x 1
		.amdhsa_system_sgpr_workgroup_id_y 0
		.amdhsa_system_sgpr_workgroup_id_z 0
		.amdhsa_system_sgpr_workgroup_info 0
		.amdhsa_system_vgpr_workitem_id 0
		.amdhsa_next_free_vgpr 1
		.amdhsa_next_free_sgpr 0
		.amdhsa_accum_offset 4
		.amdhsa_reserve_vcc 0
		.amdhsa_reserve_flat_scratch 0
		.amdhsa_float_round_mode_32 0
		.amdhsa_float_round_mode_16_64 0
		.amdhsa_float_denorm_mode_32 3
		.amdhsa_float_denorm_mode_16_64 3
		.amdhsa_dx10_clamp 1
		.amdhsa_ieee_mode 1
		.amdhsa_fp16_overflow 0
		.amdhsa_tg_split 0
		.amdhsa_exception_fp_ieee_invalid_op 0
		.amdhsa_exception_fp_denorm_src 0
		.amdhsa_exception_fp_ieee_div_zero 0
		.amdhsa_exception_fp_ieee_overflow 0
		.amdhsa_exception_fp_ieee_underflow 0
		.amdhsa_exception_fp_ieee_inexact 0
		.amdhsa_exception_int_div_zero 0
	.end_amdhsa_kernel
	.section	.text._ZN7rocprim17ROCPRIM_400000_NS6detail17trampoline_kernelINS0_14default_configENS1_25partition_config_selectorILNS1_17partition_subalgoE3ExNS0_10empty_typeEbEEZZNS1_14partition_implILS5_3ELb0ES3_jN6thrust23THRUST_200600_302600_NS6detail15normal_iteratorINSA_7pointerIxNSA_11hip_rocprim3tagENSA_11use_defaultESG_EEEEPS6_SJ_NS0_5tupleIJPxSJ_EEENSK_IJSJ_SJ_EEES6_PlJ7is_evenIxEEEE10hipError_tPvRmT3_T4_T5_T6_T7_T9_mT8_P12ihipStream_tbDpT10_ENKUlT_T0_E_clISt17integral_constantIbLb1EES1A_EEDaS15_S16_EUlS15_E_NS1_11comp_targetILNS1_3genE0ELNS1_11target_archE4294967295ELNS1_3gpuE0ELNS1_3repE0EEENS1_30default_config_static_selectorELNS0_4arch9wavefront6targetE1EEEvT1_,"axG",@progbits,_ZN7rocprim17ROCPRIM_400000_NS6detail17trampoline_kernelINS0_14default_configENS1_25partition_config_selectorILNS1_17partition_subalgoE3ExNS0_10empty_typeEbEEZZNS1_14partition_implILS5_3ELb0ES3_jN6thrust23THRUST_200600_302600_NS6detail15normal_iteratorINSA_7pointerIxNSA_11hip_rocprim3tagENSA_11use_defaultESG_EEEEPS6_SJ_NS0_5tupleIJPxSJ_EEENSK_IJSJ_SJ_EEES6_PlJ7is_evenIxEEEE10hipError_tPvRmT3_T4_T5_T6_T7_T9_mT8_P12ihipStream_tbDpT10_ENKUlT_T0_E_clISt17integral_constantIbLb1EES1A_EEDaS15_S16_EUlS15_E_NS1_11comp_targetILNS1_3genE0ELNS1_11target_archE4294967295ELNS1_3gpuE0ELNS1_3repE0EEENS1_30default_config_static_selectorELNS0_4arch9wavefront6targetE1EEEvT1_,comdat
.Lfunc_end22:
	.size	_ZN7rocprim17ROCPRIM_400000_NS6detail17trampoline_kernelINS0_14default_configENS1_25partition_config_selectorILNS1_17partition_subalgoE3ExNS0_10empty_typeEbEEZZNS1_14partition_implILS5_3ELb0ES3_jN6thrust23THRUST_200600_302600_NS6detail15normal_iteratorINSA_7pointerIxNSA_11hip_rocprim3tagENSA_11use_defaultESG_EEEEPS6_SJ_NS0_5tupleIJPxSJ_EEENSK_IJSJ_SJ_EEES6_PlJ7is_evenIxEEEE10hipError_tPvRmT3_T4_T5_T6_T7_T9_mT8_P12ihipStream_tbDpT10_ENKUlT_T0_E_clISt17integral_constantIbLb1EES1A_EEDaS15_S16_EUlS15_E_NS1_11comp_targetILNS1_3genE0ELNS1_11target_archE4294967295ELNS1_3gpuE0ELNS1_3repE0EEENS1_30default_config_static_selectorELNS0_4arch9wavefront6targetE1EEEvT1_, .Lfunc_end22-_ZN7rocprim17ROCPRIM_400000_NS6detail17trampoline_kernelINS0_14default_configENS1_25partition_config_selectorILNS1_17partition_subalgoE3ExNS0_10empty_typeEbEEZZNS1_14partition_implILS5_3ELb0ES3_jN6thrust23THRUST_200600_302600_NS6detail15normal_iteratorINSA_7pointerIxNSA_11hip_rocprim3tagENSA_11use_defaultESG_EEEEPS6_SJ_NS0_5tupleIJPxSJ_EEENSK_IJSJ_SJ_EEES6_PlJ7is_evenIxEEEE10hipError_tPvRmT3_T4_T5_T6_T7_T9_mT8_P12ihipStream_tbDpT10_ENKUlT_T0_E_clISt17integral_constantIbLb1EES1A_EEDaS15_S16_EUlS15_E_NS1_11comp_targetILNS1_3genE0ELNS1_11target_archE4294967295ELNS1_3gpuE0ELNS1_3repE0EEENS1_30default_config_static_selectorELNS0_4arch9wavefront6targetE1EEEvT1_
                                        ; -- End function
	.section	.AMDGPU.csdata,"",@progbits
; Kernel info:
; codeLenInByte = 0
; NumSgprs: 4
; NumVgprs: 0
; NumAgprs: 0
; TotalNumVgprs: 0
; ScratchSize: 0
; MemoryBound: 0
; FloatMode: 240
; IeeeMode: 1
; LDSByteSize: 0 bytes/workgroup (compile time only)
; SGPRBlocks: 0
; VGPRBlocks: 0
; NumSGPRsForWavesPerEU: 4
; NumVGPRsForWavesPerEU: 1
; AccumOffset: 4
; Occupancy: 8
; WaveLimiterHint : 0
; COMPUTE_PGM_RSRC2:SCRATCH_EN: 0
; COMPUTE_PGM_RSRC2:USER_SGPR: 6
; COMPUTE_PGM_RSRC2:TRAP_HANDLER: 0
; COMPUTE_PGM_RSRC2:TGID_X_EN: 1
; COMPUTE_PGM_RSRC2:TGID_Y_EN: 0
; COMPUTE_PGM_RSRC2:TGID_Z_EN: 0
; COMPUTE_PGM_RSRC2:TIDIG_COMP_CNT: 0
; COMPUTE_PGM_RSRC3_GFX90A:ACCUM_OFFSET: 0
; COMPUTE_PGM_RSRC3_GFX90A:TG_SPLIT: 0
	.section	.text._ZN7rocprim17ROCPRIM_400000_NS6detail17trampoline_kernelINS0_14default_configENS1_25partition_config_selectorILNS1_17partition_subalgoE3ExNS0_10empty_typeEbEEZZNS1_14partition_implILS5_3ELb0ES3_jN6thrust23THRUST_200600_302600_NS6detail15normal_iteratorINSA_7pointerIxNSA_11hip_rocprim3tagENSA_11use_defaultESG_EEEEPS6_SJ_NS0_5tupleIJPxSJ_EEENSK_IJSJ_SJ_EEES6_PlJ7is_evenIxEEEE10hipError_tPvRmT3_T4_T5_T6_T7_T9_mT8_P12ihipStream_tbDpT10_ENKUlT_T0_E_clISt17integral_constantIbLb1EES1A_EEDaS15_S16_EUlS15_E_NS1_11comp_targetILNS1_3genE5ELNS1_11target_archE942ELNS1_3gpuE9ELNS1_3repE0EEENS1_30default_config_static_selectorELNS0_4arch9wavefront6targetE1EEEvT1_,"axG",@progbits,_ZN7rocprim17ROCPRIM_400000_NS6detail17trampoline_kernelINS0_14default_configENS1_25partition_config_selectorILNS1_17partition_subalgoE3ExNS0_10empty_typeEbEEZZNS1_14partition_implILS5_3ELb0ES3_jN6thrust23THRUST_200600_302600_NS6detail15normal_iteratorINSA_7pointerIxNSA_11hip_rocprim3tagENSA_11use_defaultESG_EEEEPS6_SJ_NS0_5tupleIJPxSJ_EEENSK_IJSJ_SJ_EEES6_PlJ7is_evenIxEEEE10hipError_tPvRmT3_T4_T5_T6_T7_T9_mT8_P12ihipStream_tbDpT10_ENKUlT_T0_E_clISt17integral_constantIbLb1EES1A_EEDaS15_S16_EUlS15_E_NS1_11comp_targetILNS1_3genE5ELNS1_11target_archE942ELNS1_3gpuE9ELNS1_3repE0EEENS1_30default_config_static_selectorELNS0_4arch9wavefront6targetE1EEEvT1_,comdat
	.protected	_ZN7rocprim17ROCPRIM_400000_NS6detail17trampoline_kernelINS0_14default_configENS1_25partition_config_selectorILNS1_17partition_subalgoE3ExNS0_10empty_typeEbEEZZNS1_14partition_implILS5_3ELb0ES3_jN6thrust23THRUST_200600_302600_NS6detail15normal_iteratorINSA_7pointerIxNSA_11hip_rocprim3tagENSA_11use_defaultESG_EEEEPS6_SJ_NS0_5tupleIJPxSJ_EEENSK_IJSJ_SJ_EEES6_PlJ7is_evenIxEEEE10hipError_tPvRmT3_T4_T5_T6_T7_T9_mT8_P12ihipStream_tbDpT10_ENKUlT_T0_E_clISt17integral_constantIbLb1EES1A_EEDaS15_S16_EUlS15_E_NS1_11comp_targetILNS1_3genE5ELNS1_11target_archE942ELNS1_3gpuE9ELNS1_3repE0EEENS1_30default_config_static_selectorELNS0_4arch9wavefront6targetE1EEEvT1_ ; -- Begin function _ZN7rocprim17ROCPRIM_400000_NS6detail17trampoline_kernelINS0_14default_configENS1_25partition_config_selectorILNS1_17partition_subalgoE3ExNS0_10empty_typeEbEEZZNS1_14partition_implILS5_3ELb0ES3_jN6thrust23THRUST_200600_302600_NS6detail15normal_iteratorINSA_7pointerIxNSA_11hip_rocprim3tagENSA_11use_defaultESG_EEEEPS6_SJ_NS0_5tupleIJPxSJ_EEENSK_IJSJ_SJ_EEES6_PlJ7is_evenIxEEEE10hipError_tPvRmT3_T4_T5_T6_T7_T9_mT8_P12ihipStream_tbDpT10_ENKUlT_T0_E_clISt17integral_constantIbLb1EES1A_EEDaS15_S16_EUlS15_E_NS1_11comp_targetILNS1_3genE5ELNS1_11target_archE942ELNS1_3gpuE9ELNS1_3repE0EEENS1_30default_config_static_selectorELNS0_4arch9wavefront6targetE1EEEvT1_
	.globl	_ZN7rocprim17ROCPRIM_400000_NS6detail17trampoline_kernelINS0_14default_configENS1_25partition_config_selectorILNS1_17partition_subalgoE3ExNS0_10empty_typeEbEEZZNS1_14partition_implILS5_3ELb0ES3_jN6thrust23THRUST_200600_302600_NS6detail15normal_iteratorINSA_7pointerIxNSA_11hip_rocprim3tagENSA_11use_defaultESG_EEEEPS6_SJ_NS0_5tupleIJPxSJ_EEENSK_IJSJ_SJ_EEES6_PlJ7is_evenIxEEEE10hipError_tPvRmT3_T4_T5_T6_T7_T9_mT8_P12ihipStream_tbDpT10_ENKUlT_T0_E_clISt17integral_constantIbLb1EES1A_EEDaS15_S16_EUlS15_E_NS1_11comp_targetILNS1_3genE5ELNS1_11target_archE942ELNS1_3gpuE9ELNS1_3repE0EEENS1_30default_config_static_selectorELNS0_4arch9wavefront6targetE1EEEvT1_
	.p2align	8
	.type	_ZN7rocprim17ROCPRIM_400000_NS6detail17trampoline_kernelINS0_14default_configENS1_25partition_config_selectorILNS1_17partition_subalgoE3ExNS0_10empty_typeEbEEZZNS1_14partition_implILS5_3ELb0ES3_jN6thrust23THRUST_200600_302600_NS6detail15normal_iteratorINSA_7pointerIxNSA_11hip_rocprim3tagENSA_11use_defaultESG_EEEEPS6_SJ_NS0_5tupleIJPxSJ_EEENSK_IJSJ_SJ_EEES6_PlJ7is_evenIxEEEE10hipError_tPvRmT3_T4_T5_T6_T7_T9_mT8_P12ihipStream_tbDpT10_ENKUlT_T0_E_clISt17integral_constantIbLb1EES1A_EEDaS15_S16_EUlS15_E_NS1_11comp_targetILNS1_3genE5ELNS1_11target_archE942ELNS1_3gpuE9ELNS1_3repE0EEENS1_30default_config_static_selectorELNS0_4arch9wavefront6targetE1EEEvT1_,@function
_ZN7rocprim17ROCPRIM_400000_NS6detail17trampoline_kernelINS0_14default_configENS1_25partition_config_selectorILNS1_17partition_subalgoE3ExNS0_10empty_typeEbEEZZNS1_14partition_implILS5_3ELb0ES3_jN6thrust23THRUST_200600_302600_NS6detail15normal_iteratorINSA_7pointerIxNSA_11hip_rocprim3tagENSA_11use_defaultESG_EEEEPS6_SJ_NS0_5tupleIJPxSJ_EEENSK_IJSJ_SJ_EEES6_PlJ7is_evenIxEEEE10hipError_tPvRmT3_T4_T5_T6_T7_T9_mT8_P12ihipStream_tbDpT10_ENKUlT_T0_E_clISt17integral_constantIbLb1EES1A_EEDaS15_S16_EUlS15_E_NS1_11comp_targetILNS1_3genE5ELNS1_11target_archE942ELNS1_3gpuE9ELNS1_3repE0EEENS1_30default_config_static_selectorELNS0_4arch9wavefront6targetE1EEEvT1_: ; @_ZN7rocprim17ROCPRIM_400000_NS6detail17trampoline_kernelINS0_14default_configENS1_25partition_config_selectorILNS1_17partition_subalgoE3ExNS0_10empty_typeEbEEZZNS1_14partition_implILS5_3ELb0ES3_jN6thrust23THRUST_200600_302600_NS6detail15normal_iteratorINSA_7pointerIxNSA_11hip_rocprim3tagENSA_11use_defaultESG_EEEEPS6_SJ_NS0_5tupleIJPxSJ_EEENSK_IJSJ_SJ_EEES6_PlJ7is_evenIxEEEE10hipError_tPvRmT3_T4_T5_T6_T7_T9_mT8_P12ihipStream_tbDpT10_ENKUlT_T0_E_clISt17integral_constantIbLb1EES1A_EEDaS15_S16_EUlS15_E_NS1_11comp_targetILNS1_3genE5ELNS1_11target_archE942ELNS1_3gpuE9ELNS1_3repE0EEENS1_30default_config_static_selectorELNS0_4arch9wavefront6targetE1EEEvT1_
; %bb.0:
	.section	.rodata,"a",@progbits
	.p2align	6, 0x0
	.amdhsa_kernel _ZN7rocprim17ROCPRIM_400000_NS6detail17trampoline_kernelINS0_14default_configENS1_25partition_config_selectorILNS1_17partition_subalgoE3ExNS0_10empty_typeEbEEZZNS1_14partition_implILS5_3ELb0ES3_jN6thrust23THRUST_200600_302600_NS6detail15normal_iteratorINSA_7pointerIxNSA_11hip_rocprim3tagENSA_11use_defaultESG_EEEEPS6_SJ_NS0_5tupleIJPxSJ_EEENSK_IJSJ_SJ_EEES6_PlJ7is_evenIxEEEE10hipError_tPvRmT3_T4_T5_T6_T7_T9_mT8_P12ihipStream_tbDpT10_ENKUlT_T0_E_clISt17integral_constantIbLb1EES1A_EEDaS15_S16_EUlS15_E_NS1_11comp_targetILNS1_3genE5ELNS1_11target_archE942ELNS1_3gpuE9ELNS1_3repE0EEENS1_30default_config_static_selectorELNS0_4arch9wavefront6targetE1EEEvT1_
		.amdhsa_group_segment_fixed_size 0
		.amdhsa_private_segment_fixed_size 0
		.amdhsa_kernarg_size 136
		.amdhsa_user_sgpr_count 6
		.amdhsa_user_sgpr_private_segment_buffer 1
		.amdhsa_user_sgpr_dispatch_ptr 0
		.amdhsa_user_sgpr_queue_ptr 0
		.amdhsa_user_sgpr_kernarg_segment_ptr 1
		.amdhsa_user_sgpr_dispatch_id 0
		.amdhsa_user_sgpr_flat_scratch_init 0
		.amdhsa_user_sgpr_kernarg_preload_length 0
		.amdhsa_user_sgpr_kernarg_preload_offset 0
		.amdhsa_user_sgpr_private_segment_size 0
		.amdhsa_uses_dynamic_stack 0
		.amdhsa_system_sgpr_private_segment_wavefront_offset 0
		.amdhsa_system_sgpr_workgroup_id_x 1
		.amdhsa_system_sgpr_workgroup_id_y 0
		.amdhsa_system_sgpr_workgroup_id_z 0
		.amdhsa_system_sgpr_workgroup_info 0
		.amdhsa_system_vgpr_workitem_id 0
		.amdhsa_next_free_vgpr 1
		.amdhsa_next_free_sgpr 0
		.amdhsa_accum_offset 4
		.amdhsa_reserve_vcc 0
		.amdhsa_reserve_flat_scratch 0
		.amdhsa_float_round_mode_32 0
		.amdhsa_float_round_mode_16_64 0
		.amdhsa_float_denorm_mode_32 3
		.amdhsa_float_denorm_mode_16_64 3
		.amdhsa_dx10_clamp 1
		.amdhsa_ieee_mode 1
		.amdhsa_fp16_overflow 0
		.amdhsa_tg_split 0
		.amdhsa_exception_fp_ieee_invalid_op 0
		.amdhsa_exception_fp_denorm_src 0
		.amdhsa_exception_fp_ieee_div_zero 0
		.amdhsa_exception_fp_ieee_overflow 0
		.amdhsa_exception_fp_ieee_underflow 0
		.amdhsa_exception_fp_ieee_inexact 0
		.amdhsa_exception_int_div_zero 0
	.end_amdhsa_kernel
	.section	.text._ZN7rocprim17ROCPRIM_400000_NS6detail17trampoline_kernelINS0_14default_configENS1_25partition_config_selectorILNS1_17partition_subalgoE3ExNS0_10empty_typeEbEEZZNS1_14partition_implILS5_3ELb0ES3_jN6thrust23THRUST_200600_302600_NS6detail15normal_iteratorINSA_7pointerIxNSA_11hip_rocprim3tagENSA_11use_defaultESG_EEEEPS6_SJ_NS0_5tupleIJPxSJ_EEENSK_IJSJ_SJ_EEES6_PlJ7is_evenIxEEEE10hipError_tPvRmT3_T4_T5_T6_T7_T9_mT8_P12ihipStream_tbDpT10_ENKUlT_T0_E_clISt17integral_constantIbLb1EES1A_EEDaS15_S16_EUlS15_E_NS1_11comp_targetILNS1_3genE5ELNS1_11target_archE942ELNS1_3gpuE9ELNS1_3repE0EEENS1_30default_config_static_selectorELNS0_4arch9wavefront6targetE1EEEvT1_,"axG",@progbits,_ZN7rocprim17ROCPRIM_400000_NS6detail17trampoline_kernelINS0_14default_configENS1_25partition_config_selectorILNS1_17partition_subalgoE3ExNS0_10empty_typeEbEEZZNS1_14partition_implILS5_3ELb0ES3_jN6thrust23THRUST_200600_302600_NS6detail15normal_iteratorINSA_7pointerIxNSA_11hip_rocprim3tagENSA_11use_defaultESG_EEEEPS6_SJ_NS0_5tupleIJPxSJ_EEENSK_IJSJ_SJ_EEES6_PlJ7is_evenIxEEEE10hipError_tPvRmT3_T4_T5_T6_T7_T9_mT8_P12ihipStream_tbDpT10_ENKUlT_T0_E_clISt17integral_constantIbLb1EES1A_EEDaS15_S16_EUlS15_E_NS1_11comp_targetILNS1_3genE5ELNS1_11target_archE942ELNS1_3gpuE9ELNS1_3repE0EEENS1_30default_config_static_selectorELNS0_4arch9wavefront6targetE1EEEvT1_,comdat
.Lfunc_end23:
	.size	_ZN7rocprim17ROCPRIM_400000_NS6detail17trampoline_kernelINS0_14default_configENS1_25partition_config_selectorILNS1_17partition_subalgoE3ExNS0_10empty_typeEbEEZZNS1_14partition_implILS5_3ELb0ES3_jN6thrust23THRUST_200600_302600_NS6detail15normal_iteratorINSA_7pointerIxNSA_11hip_rocprim3tagENSA_11use_defaultESG_EEEEPS6_SJ_NS0_5tupleIJPxSJ_EEENSK_IJSJ_SJ_EEES6_PlJ7is_evenIxEEEE10hipError_tPvRmT3_T4_T5_T6_T7_T9_mT8_P12ihipStream_tbDpT10_ENKUlT_T0_E_clISt17integral_constantIbLb1EES1A_EEDaS15_S16_EUlS15_E_NS1_11comp_targetILNS1_3genE5ELNS1_11target_archE942ELNS1_3gpuE9ELNS1_3repE0EEENS1_30default_config_static_selectorELNS0_4arch9wavefront6targetE1EEEvT1_, .Lfunc_end23-_ZN7rocprim17ROCPRIM_400000_NS6detail17trampoline_kernelINS0_14default_configENS1_25partition_config_selectorILNS1_17partition_subalgoE3ExNS0_10empty_typeEbEEZZNS1_14partition_implILS5_3ELb0ES3_jN6thrust23THRUST_200600_302600_NS6detail15normal_iteratorINSA_7pointerIxNSA_11hip_rocprim3tagENSA_11use_defaultESG_EEEEPS6_SJ_NS0_5tupleIJPxSJ_EEENSK_IJSJ_SJ_EEES6_PlJ7is_evenIxEEEE10hipError_tPvRmT3_T4_T5_T6_T7_T9_mT8_P12ihipStream_tbDpT10_ENKUlT_T0_E_clISt17integral_constantIbLb1EES1A_EEDaS15_S16_EUlS15_E_NS1_11comp_targetILNS1_3genE5ELNS1_11target_archE942ELNS1_3gpuE9ELNS1_3repE0EEENS1_30default_config_static_selectorELNS0_4arch9wavefront6targetE1EEEvT1_
                                        ; -- End function
	.section	.AMDGPU.csdata,"",@progbits
; Kernel info:
; codeLenInByte = 0
; NumSgprs: 4
; NumVgprs: 0
; NumAgprs: 0
; TotalNumVgprs: 0
; ScratchSize: 0
; MemoryBound: 0
; FloatMode: 240
; IeeeMode: 1
; LDSByteSize: 0 bytes/workgroup (compile time only)
; SGPRBlocks: 0
; VGPRBlocks: 0
; NumSGPRsForWavesPerEU: 4
; NumVGPRsForWavesPerEU: 1
; AccumOffset: 4
; Occupancy: 8
; WaveLimiterHint : 0
; COMPUTE_PGM_RSRC2:SCRATCH_EN: 0
; COMPUTE_PGM_RSRC2:USER_SGPR: 6
; COMPUTE_PGM_RSRC2:TRAP_HANDLER: 0
; COMPUTE_PGM_RSRC2:TGID_X_EN: 1
; COMPUTE_PGM_RSRC2:TGID_Y_EN: 0
; COMPUTE_PGM_RSRC2:TGID_Z_EN: 0
; COMPUTE_PGM_RSRC2:TIDIG_COMP_CNT: 0
; COMPUTE_PGM_RSRC3_GFX90A:ACCUM_OFFSET: 0
; COMPUTE_PGM_RSRC3_GFX90A:TG_SPLIT: 0
	.section	.text._ZN7rocprim17ROCPRIM_400000_NS6detail17trampoline_kernelINS0_14default_configENS1_25partition_config_selectorILNS1_17partition_subalgoE3ExNS0_10empty_typeEbEEZZNS1_14partition_implILS5_3ELb0ES3_jN6thrust23THRUST_200600_302600_NS6detail15normal_iteratorINSA_7pointerIxNSA_11hip_rocprim3tagENSA_11use_defaultESG_EEEEPS6_SJ_NS0_5tupleIJPxSJ_EEENSK_IJSJ_SJ_EEES6_PlJ7is_evenIxEEEE10hipError_tPvRmT3_T4_T5_T6_T7_T9_mT8_P12ihipStream_tbDpT10_ENKUlT_T0_E_clISt17integral_constantIbLb1EES1A_EEDaS15_S16_EUlS15_E_NS1_11comp_targetILNS1_3genE4ELNS1_11target_archE910ELNS1_3gpuE8ELNS1_3repE0EEENS1_30default_config_static_selectorELNS0_4arch9wavefront6targetE1EEEvT1_,"axG",@progbits,_ZN7rocprim17ROCPRIM_400000_NS6detail17trampoline_kernelINS0_14default_configENS1_25partition_config_selectorILNS1_17partition_subalgoE3ExNS0_10empty_typeEbEEZZNS1_14partition_implILS5_3ELb0ES3_jN6thrust23THRUST_200600_302600_NS6detail15normal_iteratorINSA_7pointerIxNSA_11hip_rocprim3tagENSA_11use_defaultESG_EEEEPS6_SJ_NS0_5tupleIJPxSJ_EEENSK_IJSJ_SJ_EEES6_PlJ7is_evenIxEEEE10hipError_tPvRmT3_T4_T5_T6_T7_T9_mT8_P12ihipStream_tbDpT10_ENKUlT_T0_E_clISt17integral_constantIbLb1EES1A_EEDaS15_S16_EUlS15_E_NS1_11comp_targetILNS1_3genE4ELNS1_11target_archE910ELNS1_3gpuE8ELNS1_3repE0EEENS1_30default_config_static_selectorELNS0_4arch9wavefront6targetE1EEEvT1_,comdat
	.protected	_ZN7rocprim17ROCPRIM_400000_NS6detail17trampoline_kernelINS0_14default_configENS1_25partition_config_selectorILNS1_17partition_subalgoE3ExNS0_10empty_typeEbEEZZNS1_14partition_implILS5_3ELb0ES3_jN6thrust23THRUST_200600_302600_NS6detail15normal_iteratorINSA_7pointerIxNSA_11hip_rocprim3tagENSA_11use_defaultESG_EEEEPS6_SJ_NS0_5tupleIJPxSJ_EEENSK_IJSJ_SJ_EEES6_PlJ7is_evenIxEEEE10hipError_tPvRmT3_T4_T5_T6_T7_T9_mT8_P12ihipStream_tbDpT10_ENKUlT_T0_E_clISt17integral_constantIbLb1EES1A_EEDaS15_S16_EUlS15_E_NS1_11comp_targetILNS1_3genE4ELNS1_11target_archE910ELNS1_3gpuE8ELNS1_3repE0EEENS1_30default_config_static_selectorELNS0_4arch9wavefront6targetE1EEEvT1_ ; -- Begin function _ZN7rocprim17ROCPRIM_400000_NS6detail17trampoline_kernelINS0_14default_configENS1_25partition_config_selectorILNS1_17partition_subalgoE3ExNS0_10empty_typeEbEEZZNS1_14partition_implILS5_3ELb0ES3_jN6thrust23THRUST_200600_302600_NS6detail15normal_iteratorINSA_7pointerIxNSA_11hip_rocprim3tagENSA_11use_defaultESG_EEEEPS6_SJ_NS0_5tupleIJPxSJ_EEENSK_IJSJ_SJ_EEES6_PlJ7is_evenIxEEEE10hipError_tPvRmT3_T4_T5_T6_T7_T9_mT8_P12ihipStream_tbDpT10_ENKUlT_T0_E_clISt17integral_constantIbLb1EES1A_EEDaS15_S16_EUlS15_E_NS1_11comp_targetILNS1_3genE4ELNS1_11target_archE910ELNS1_3gpuE8ELNS1_3repE0EEENS1_30default_config_static_selectorELNS0_4arch9wavefront6targetE1EEEvT1_
	.globl	_ZN7rocprim17ROCPRIM_400000_NS6detail17trampoline_kernelINS0_14default_configENS1_25partition_config_selectorILNS1_17partition_subalgoE3ExNS0_10empty_typeEbEEZZNS1_14partition_implILS5_3ELb0ES3_jN6thrust23THRUST_200600_302600_NS6detail15normal_iteratorINSA_7pointerIxNSA_11hip_rocprim3tagENSA_11use_defaultESG_EEEEPS6_SJ_NS0_5tupleIJPxSJ_EEENSK_IJSJ_SJ_EEES6_PlJ7is_evenIxEEEE10hipError_tPvRmT3_T4_T5_T6_T7_T9_mT8_P12ihipStream_tbDpT10_ENKUlT_T0_E_clISt17integral_constantIbLb1EES1A_EEDaS15_S16_EUlS15_E_NS1_11comp_targetILNS1_3genE4ELNS1_11target_archE910ELNS1_3gpuE8ELNS1_3repE0EEENS1_30default_config_static_selectorELNS0_4arch9wavefront6targetE1EEEvT1_
	.p2align	8
	.type	_ZN7rocprim17ROCPRIM_400000_NS6detail17trampoline_kernelINS0_14default_configENS1_25partition_config_selectorILNS1_17partition_subalgoE3ExNS0_10empty_typeEbEEZZNS1_14partition_implILS5_3ELb0ES3_jN6thrust23THRUST_200600_302600_NS6detail15normal_iteratorINSA_7pointerIxNSA_11hip_rocprim3tagENSA_11use_defaultESG_EEEEPS6_SJ_NS0_5tupleIJPxSJ_EEENSK_IJSJ_SJ_EEES6_PlJ7is_evenIxEEEE10hipError_tPvRmT3_T4_T5_T6_T7_T9_mT8_P12ihipStream_tbDpT10_ENKUlT_T0_E_clISt17integral_constantIbLb1EES1A_EEDaS15_S16_EUlS15_E_NS1_11comp_targetILNS1_3genE4ELNS1_11target_archE910ELNS1_3gpuE8ELNS1_3repE0EEENS1_30default_config_static_selectorELNS0_4arch9wavefront6targetE1EEEvT1_,@function
_ZN7rocprim17ROCPRIM_400000_NS6detail17trampoline_kernelINS0_14default_configENS1_25partition_config_selectorILNS1_17partition_subalgoE3ExNS0_10empty_typeEbEEZZNS1_14partition_implILS5_3ELb0ES3_jN6thrust23THRUST_200600_302600_NS6detail15normal_iteratorINSA_7pointerIxNSA_11hip_rocprim3tagENSA_11use_defaultESG_EEEEPS6_SJ_NS0_5tupleIJPxSJ_EEENSK_IJSJ_SJ_EEES6_PlJ7is_evenIxEEEE10hipError_tPvRmT3_T4_T5_T6_T7_T9_mT8_P12ihipStream_tbDpT10_ENKUlT_T0_E_clISt17integral_constantIbLb1EES1A_EEDaS15_S16_EUlS15_E_NS1_11comp_targetILNS1_3genE4ELNS1_11target_archE910ELNS1_3gpuE8ELNS1_3repE0EEENS1_30default_config_static_selectorELNS0_4arch9wavefront6targetE1EEEvT1_: ; @_ZN7rocprim17ROCPRIM_400000_NS6detail17trampoline_kernelINS0_14default_configENS1_25partition_config_selectorILNS1_17partition_subalgoE3ExNS0_10empty_typeEbEEZZNS1_14partition_implILS5_3ELb0ES3_jN6thrust23THRUST_200600_302600_NS6detail15normal_iteratorINSA_7pointerIxNSA_11hip_rocprim3tagENSA_11use_defaultESG_EEEEPS6_SJ_NS0_5tupleIJPxSJ_EEENSK_IJSJ_SJ_EEES6_PlJ7is_evenIxEEEE10hipError_tPvRmT3_T4_T5_T6_T7_T9_mT8_P12ihipStream_tbDpT10_ENKUlT_T0_E_clISt17integral_constantIbLb1EES1A_EEDaS15_S16_EUlS15_E_NS1_11comp_targetILNS1_3genE4ELNS1_11target_archE910ELNS1_3gpuE8ELNS1_3repE0EEENS1_30default_config_static_selectorELNS0_4arch9wavefront6targetE1EEEvT1_
; %bb.0:
	s_load_dwordx2 s[28:29], s[4:5], 0x28
	s_load_dwordx4 s[20:23], s[4:5], 0x48
	s_load_dwordx2 s[30:31], s[4:5], 0x58
	s_load_dwordx2 s[34:35], s[4:5], 0x68
	v_cmp_eq_u32_e64 s[0:1], 0, v0
	s_and_saveexec_b64 s[2:3], s[0:1]
	s_cbranch_execz .LBB24_4
; %bb.1:
	s_mov_b64 s[8:9], exec
	v_mbcnt_lo_u32_b32 v1, s8, 0
	v_mbcnt_hi_u32_b32 v1, s9, v1
	v_cmp_eq_u32_e32 vcc, 0, v1
                                        ; implicit-def: $vgpr2
	s_and_saveexec_b64 s[6:7], vcc
	s_cbranch_execz .LBB24_3
; %bb.2:
	s_load_dwordx2 s[10:11], s[4:5], 0x78
	s_bcnt1_i32_b64 s8, s[8:9]
	v_mov_b32_e32 v2, 0
	v_mov_b32_e32 v3, s8
	s_waitcnt lgkmcnt(0)
	global_atomic_add v2, v2, v3, s[10:11] glc
.LBB24_3:
	s_or_b64 exec, exec, s[6:7]
	s_waitcnt vmcnt(0)
	v_readfirstlane_b32 s6, v2
	v_add_u32_e32 v1, s6, v1
	v_mov_b32_e32 v2, 0
	ds_write_b32 v2, v1
.LBB24_4:
	s_or_b64 exec, exec, s[2:3]
	v_mov_b32_e32 v11, 0
	s_load_dwordx4 s[24:27], s[4:5], 0x8
	s_load_dword s2, s[4:5], 0x70
	s_waitcnt lgkmcnt(0)
	s_barrier
	ds_read_b32 v1, v11
	s_waitcnt lgkmcnt(0)
	s_barrier
	global_load_dwordx2 v[12:13], v11, s[22:23]
	s_lshl_b64 s[4:5], s[26:27], 3
	s_add_u32 s6, s24, s4
	s_addc_u32 s7, s25, s5
	s_movk_i32 s3, 0x300
	s_add_i32 s4, s2, -1
	s_mulk_i32 s2, 0x300
	v_mul_lo_u32 v10, v1, s3
	s_add_i32 s3, s2, s26
	s_sub_i32 s33, s30, s3
	s_addk_i32 s33, 0x300
	s_add_u32 s2, s26, s2
	v_readfirstlane_b32 s40, v1
	s_addc_u32 s3, s27, 0
	s_cmp_eq_u32 s40, s4
	v_pk_mov_b32 v[2:3], s[30:31], s[30:31] op_sel:[0,1]
	s_cselect_b64 s[22:23], -1, 0
	s_cmp_lg_u32 s40, s4
	v_cmp_lt_u64_e32 vcc, s[2:3], v[2:3]
	s_cselect_b64 s[2:3], -1, 0
	v_lshlrev_b64 v[2:3], 3, v[10:11]
	s_or_b64 s[4:5], vcc, s[2:3]
	v_mov_b32_e32 v1, s7
	v_add_co_u32_e32 v14, vcc, s6, v2
	v_addc_co_u32_e32 v15, vcc, v1, v3, vcc
	s_mov_b64 s[2:3], -1
	s_and_b64 vcc, exec, s[4:5]
	v_lshlrev_b32_e32 v1, 3, v0
	v_lshrrev_b32_e32 v11, 2, v0
	s_cbranch_vccz .LBB24_6
; %bb.5:
	v_add_co_u32_e32 v2, vcc, v14, v1
	v_addc_co_u32_e32 v3, vcc, 0, v15, vcc
	v_add_co_u32_e32 v4, vcc, 0x1000, v2
	v_addc_co_u32_e32 v5, vcc, 0, v3, vcc
	flat_load_dwordx2 v[6:7], v[2:3]
	flat_load_dwordx2 v[8:9], v[2:3] offset:1536
	flat_load_dwordx2 v[16:17], v[2:3] offset:3072
	;; [unrolled: 1-line block ×3, first 2 shown]
	v_add_u32_e32 v3, 0xc0, v0
	v_add_u32_e32 v4, 0x180, v0
	;; [unrolled: 1-line block ×3, first 2 shown]
	v_and_b32_e32 v2, 56, v11
	v_lshrrev_b32_e32 v3, 2, v3
	v_lshrrev_b32_e32 v4, 2, v4
	;; [unrolled: 1-line block ×3, first 2 shown]
	v_add_u32_e32 v2, v2, v1
	v_and_b32_e32 v3, 0x78, v3
	v_and_b32_e32 v4, 0xf8, v4
	v_and_b32_e32 v5, 0xf8, v5
	v_add_u32_e32 v3, v3, v1
	v_add_u32_e32 v4, v4, v1
	;; [unrolled: 1-line block ×3, first 2 shown]
	s_mov_b64 s[2:3], 0
	s_waitcnt vmcnt(0) lgkmcnt(0)
	ds_write_b64 v2, v[6:7]
	ds_write_b64 v3, v[8:9] offset:1536
	ds_write_b64 v4, v[16:17] offset:3072
	;; [unrolled: 1-line block ×3, first 2 shown]
	s_waitcnt lgkmcnt(0)
	s_barrier
.LBB24_6:
	s_andn2_b64 vcc, exec, s[2:3]
	v_cmp_gt_u32_e64 s[2:3], s33, v0
	s_cbranch_vccnz .LBB24_16
; %bb.7:
                                        ; implicit-def: $vgpr2_vgpr3_vgpr4_vgpr5_vgpr6_vgpr7_vgpr8_vgpr9
	s_and_saveexec_b64 s[6:7], s[2:3]
	s_cbranch_execz .LBB24_9
; %bb.8:
	v_add_co_u32_e32 v2, vcc, v14, v1
	v_addc_co_u32_e32 v3, vcc, 0, v15, vcc
	flat_load_dwordx2 v[2:3], v[2:3]
.LBB24_9:
	s_or_b64 exec, exec, s[6:7]
	v_add_u32_e32 v16, 0xc0, v0
	v_cmp_gt_u32_e32 vcc, s33, v16
	s_and_saveexec_b64 s[2:3], vcc
	s_cbranch_execz .LBB24_11
; %bb.10:
	v_add_co_u32_e32 v4, vcc, v14, v1
	v_addc_co_u32_e32 v5, vcc, 0, v15, vcc
	flat_load_dwordx2 v[4:5], v[4:5] offset:1536
.LBB24_11:
	s_or_b64 exec, exec, s[2:3]
	v_add_u32_e32 v17, 0x180, v0
	v_cmp_gt_u32_e32 vcc, s33, v17
	s_and_saveexec_b64 s[2:3], vcc
	s_cbranch_execz .LBB24_13
; %bb.12:
	v_add_co_u32_e32 v6, vcc, v14, v1
	v_addc_co_u32_e32 v7, vcc, 0, v15, vcc
	flat_load_dwordx2 v[6:7], v[6:7] offset:3072
.LBB24_13:
	s_or_b64 exec, exec, s[2:3]
	v_add_u32_e32 v18, 0x240, v0
	v_cmp_gt_u32_e32 vcc, s33, v18
	s_and_saveexec_b64 s[2:3], vcc
	s_cbranch_execz .LBB24_15
; %bb.14:
	v_lshlrev_b32_e32 v8, 3, v18
	v_add_co_u32_e32 v8, vcc, v14, v8
	v_addc_co_u32_e32 v9, vcc, 0, v15, vcc
	flat_load_dwordx2 v[8:9], v[8:9]
.LBB24_15:
	s_or_b64 exec, exec, s[2:3]
	v_and_b32_e32 v11, 56, v11
	v_add_u32_e32 v11, v11, v1
	s_waitcnt vmcnt(0) lgkmcnt(0)
	ds_write_b64 v11, v[2:3]
	v_lshrrev_b32_e32 v2, 2, v16
	v_and_b32_e32 v2, 0x78, v2
	v_add_u32_e32 v2, v2, v1
	ds_write_b64 v2, v[4:5] offset:1536
	v_lshrrev_b32_e32 v2, 2, v17
	v_and_b32_e32 v2, 0xf8, v2
	v_add_u32_e32 v2, v2, v1
	ds_write_b64 v2, v[6:7] offset:3072
	;; [unrolled: 4-line block ×3, first 2 shown]
	s_waitcnt lgkmcnt(0)
	s_barrier
.LBB24_16:
	v_lshlrev_b32_e32 v11, 2, v0
	v_lshrrev_b32_e32 v2, 3, v0
	v_add_lshl_u32 v2, v2, v11, 3
	ds_read2_b64 v[6:9], v2 offset1:1
	ds_read2_b64 v[2:5], v2 offset0:2 offset1:3
	v_cndmask_b32_e64 v14, 0, 1, s[4:5]
	v_cmp_ne_u32_e64 s[2:3], 1, v14
	s_andn2_b64 vcc, exec, s[4:5]
	s_waitcnt lgkmcnt(1)
	v_xor_b32_e32 v17, -1, v6
	v_xor_b32_e32 v16, -1, v8
	s_waitcnt lgkmcnt(0)
	v_xor_b32_e32 v15, -1, v2
	v_xor_b32_e32 v14, -1, v4
	s_barrier
	s_cbranch_vccnz .LBB24_18
; %bb.17:
	v_mov_b32_e32 v19, 1
	v_and_b32_e32 v18, 1, v17
	v_and_b32_sdwa v20, v16, v19 dst_sel:BYTE_1 dst_unused:UNUSED_PAD src0_sel:DWORD src1_sel:DWORD
	v_and_b32_e32 v21, 1, v15
	v_and_b32_sdwa v19, v14, v19 dst_sel:BYTE_1 dst_unused:UNUSED_PAD src0_sel:DWORD src1_sel:DWORD
	v_or_b32_e32 v18, v18, v20
	v_or_b32_sdwa v19, v21, v19 dst_sel:WORD_1 dst_unused:UNUSED_PAD src0_sel:DWORD src1_sel:DWORD
	v_or_b32_sdwa v24, v18, v19 dst_sel:DWORD dst_unused:UNUSED_PAD src0_sel:WORD_0 src1_sel:DWORD
	s_cbranch_execz .LBB24_19
	s_branch .LBB24_20
.LBB24_18:
                                        ; implicit-def: $vgpr24
.LBB24_19:
	v_cmp_gt_u32_e32 vcc, s33, v11
	v_cndmask_b32_e64 v18, 0, 1, vcc
	v_and_b32_e32 v17, v18, v17
	v_or_b32_e32 v18, 1, v11
	v_cmp_gt_u32_e32 vcc, s33, v18
	v_cndmask_b32_e64 v18, 0, 1, vcc
	v_and_b32_sdwa v16, v18, v16 dst_sel:BYTE_1 dst_unused:UNUSED_PAD src0_sel:DWORD src1_sel:DWORD
	v_or_b32_e32 v18, 2, v11
	v_cmp_gt_u32_e32 vcc, s33, v18
	v_cndmask_b32_e64 v18, 0, 1, vcc
	v_and_b32_e32 v15, v18, v15
	v_or_b32_e32 v18, 3, v11
	v_cmp_gt_u32_e32 vcc, s33, v18
	v_cndmask_b32_e64 v18, 0, 1, vcc
	v_and_b32_sdwa v14, v18, v14 dst_sel:BYTE_1 dst_unused:UNUSED_PAD src0_sel:DWORD src1_sel:DWORD
	v_or_b32_e32 v16, v17, v16
	v_or_b32_sdwa v14, v15, v14 dst_sel:WORD_1 dst_unused:UNUSED_PAD src0_sel:DWORD src1_sel:DWORD
	v_or_b32_sdwa v24, v16, v14 dst_sel:DWORD dst_unused:UNUSED_PAD src0_sel:WORD_0 src1_sel:DWORD
.LBB24_20:
	v_bfe_u32 v26, v24, 16, 8
	v_lshrrev_b32_e32 v25, 24, v24
	v_add_u32_sdwa v14, v24, v24 dst_sel:DWORD dst_unused:UNUSED_PAD src0_sel:BYTE_1 src1_sel:BYTE_0
	v_add3_u32 v29, v14, v26, v25
	v_mbcnt_lo_u32_b32 v14, -1, 0
	v_mbcnt_hi_u32_b32 v27, -1, v14
	v_and_b32_e32 v14, 15, v27
	v_cmp_eq_u32_e64 s[16:17], 0, v14
	v_cmp_lt_u32_e64 s[14:15], 1, v14
	v_cmp_lt_u32_e64 s[12:13], 3, v14
	;; [unrolled: 1-line block ×3, first 2 shown]
	v_and_b32_e32 v14, 16, v27
	v_cmp_eq_u32_e64 s[6:7], 0, v14
	v_and_b32_e32 v14, 0xc0, v0
	v_min_u32_e32 v14, 0x80, v14
	v_or_b32_e32 v14, 63, v14
	s_cmp_lg_u32 s40, 0
	v_cmp_lt_u32_e64 s[4:5], 31, v27
	v_lshrrev_b32_e32 v28, 6, v0
	v_cmp_eq_u32_e64 s[8:9], v14, v0
	s_cbranch_scc0 .LBB24_51
; %bb.21:
	v_mov_b32_dpp v14, v29 row_shr:1 row_mask:0xf bank_mask:0xf
	v_cndmask_b32_e64 v14, v14, 0, s[16:17]
	v_add_u32_e32 v14, v14, v29
	s_nop 1
	v_mov_b32_dpp v15, v14 row_shr:2 row_mask:0xf bank_mask:0xf
	v_cndmask_b32_e64 v15, 0, v15, s[14:15]
	v_add_u32_e32 v14, v14, v15
	s_nop 1
	;; [unrolled: 4-line block ×4, first 2 shown]
	v_mov_b32_dpp v15, v14 row_bcast:15 row_mask:0xf bank_mask:0xf
	v_cndmask_b32_e64 v15, v15, 0, s[6:7]
	v_add_u32_e32 v14, v14, v15
	s_nop 1
	v_mov_b32_dpp v15, v14 row_bcast:31 row_mask:0xf bank_mask:0xf
	v_cndmask_b32_e64 v15, 0, v15, s[4:5]
	v_add_u32_e32 v14, v14, v15
	s_and_saveexec_b64 s[18:19], s[8:9]
	s_cbranch_execz .LBB24_23
; %bb.22:
	v_lshlrev_b32_e32 v15, 2, v28
	ds_write_b32 v15, v14
.LBB24_23:
	s_or_b64 exec, exec, s[18:19]
	v_cmp_gt_u32_e32 vcc, 3, v0
	s_waitcnt lgkmcnt(0)
	s_barrier
	s_and_saveexec_b64 s[18:19], vcc
	s_cbranch_execz .LBB24_25
; %bb.24:
	ds_read_b32 v15, v11
	v_and_b32_e32 v16, 3, v27
	v_cmp_ne_u32_e32 vcc, 0, v16
	s_waitcnt lgkmcnt(0)
	v_mov_b32_dpp v17, v15 row_shr:1 row_mask:0xf bank_mask:0xf
	v_cndmask_b32_e32 v17, 0, v17, vcc
	v_add_u32_e32 v15, v17, v15
	v_cmp_lt_u32_e32 vcc, 1, v16
	s_nop 0
	v_mov_b32_dpp v17, v15 row_shr:2 row_mask:0xf bank_mask:0xf
	v_cndmask_b32_e32 v16, 0, v17, vcc
	v_add_u32_e32 v15, v15, v16
	ds_write_b32 v11, v15
.LBB24_25:
	s_or_b64 exec, exec, s[18:19]
	v_cmp_gt_u32_e32 vcc, 64, v0
	v_cmp_lt_u32_e64 s[18:19], 63, v0
	s_waitcnt lgkmcnt(0)
	s_barrier
	s_waitcnt lgkmcnt(0)
                                        ; implicit-def: $vgpr30
	s_and_saveexec_b64 s[24:25], s[18:19]
	s_cbranch_execz .LBB24_27
; %bb.26:
	v_lshl_add_u32 v15, v28, 2, -4
	ds_read_b32 v30, v15
	s_waitcnt lgkmcnt(0)
	v_add_u32_e32 v14, v30, v14
.LBB24_27:
	s_or_b64 exec, exec, s[24:25]
	v_add_u32_e32 v15, -1, v27
	v_and_b32_e32 v16, 64, v27
	v_cmp_lt_i32_e64 s[18:19], v15, v16
	v_cndmask_b32_e64 v15, v15, v27, s[18:19]
	v_lshlrev_b32_e32 v15, 2, v15
	ds_bpermute_b32 v31, v15, v14
	v_cmp_eq_u32_e64 s[18:19], 0, v27
	s_and_saveexec_b64 s[24:25], vcc
	s_cbranch_execz .LBB24_50
; %bb.28:
	v_mov_b32_e32 v23, 0
	ds_read_b32 v14, v23 offset:8
	s_and_saveexec_b64 s[36:37], s[18:19]
	s_cbranch_execz .LBB24_30
; %bb.29:
	s_add_i32 s38, s40, 64
	s_mov_b32 s39, 0
	s_lshl_b64 s[38:39], s[38:39], 3
	s_add_u32 s38, s34, s38
	v_mov_b32_e32 v15, 1
	s_addc_u32 s39, s35, s39
	s_waitcnt lgkmcnt(0)
	global_store_dwordx2 v23, v[14:15], s[38:39]
.LBB24_30:
	s_or_b64 exec, exec, s[36:37]
	v_xad_u32 v16, v27, -1, s40
	v_add_u32_e32 v22, 64, v16
	v_lshlrev_b64 v[18:19], 3, v[22:23]
	v_mov_b32_e32 v15, s35
	v_add_co_u32_e32 v18, vcc, s34, v18
	v_addc_co_u32_e32 v19, vcc, v15, v19, vcc
	global_load_dwordx2 v[20:21], v[18:19], off glc
	s_waitcnt vmcnt(0)
	v_cmp_eq_u16_sdwa s[38:39], v21, v23 src0_sel:BYTE_0 src1_sel:DWORD
	s_and_saveexec_b64 s[36:37], s[38:39]
	s_cbranch_execz .LBB24_36
; %bb.31:
	s_mov_b32 s41, 1
	s_mov_b64 s[38:39], 0
	v_mov_b32_e32 v15, 0
.LBB24_32:                              ; =>This Loop Header: Depth=1
                                        ;     Child Loop BB24_33 Depth 2
	s_max_u32 s42, s41, 1
.LBB24_33:                              ;   Parent Loop BB24_32 Depth=1
                                        ; =>  This Inner Loop Header: Depth=2
	s_add_i32 s42, s42, -1
	s_cmp_eq_u32 s42, 0
	s_sleep 1
	s_cbranch_scc0 .LBB24_33
; %bb.34:                               ;   in Loop: Header=BB24_32 Depth=1
	global_load_dwordx2 v[20:21], v[18:19], off glc
	s_cmp_lt_u32 s41, 32
	s_cselect_b64 s[42:43], -1, 0
	s_cmp_lg_u64 s[42:43], 0
	s_addc_u32 s41, s41, 0
	s_waitcnt vmcnt(0)
	v_cmp_ne_u16_sdwa s[42:43], v21, v15 src0_sel:BYTE_0 src1_sel:DWORD
	s_or_b64 s[38:39], s[42:43], s[38:39]
	s_andn2_b64 exec, exec, s[38:39]
	s_cbranch_execnz .LBB24_32
; %bb.35:
	s_or_b64 exec, exec, s[38:39]
.LBB24_36:
	s_or_b64 exec, exec, s[36:37]
	v_and_b32_e32 v33, 63, v27
	v_mov_b32_e32 v32, 2
	v_cmp_ne_u32_e32 vcc, 63, v33
	v_cmp_eq_u16_sdwa s[36:37], v21, v32 src0_sel:BYTE_0 src1_sel:DWORD
	v_lshlrev_b64 v[18:19], v27, -1
	v_addc_co_u32_e32 v22, vcc, 0, v27, vcc
	v_and_b32_e32 v15, s37, v19
	v_lshlrev_b32_e32 v34, 2, v22
	v_or_b32_e32 v15, 0x80000000, v15
	ds_bpermute_b32 v22, v34, v20
	v_and_b32_e32 v17, s36, v18
	v_ffbl_b32_e32 v15, v15
	v_add_u32_e32 v15, 32, v15
	v_ffbl_b32_e32 v17, v17
	v_min_u32_e32 v15, v17, v15
	v_cmp_lt_u32_e32 vcc, v33, v15
	s_waitcnt lgkmcnt(0)
	v_cndmask_b32_e32 v17, 0, v22, vcc
	v_cmp_gt_u32_e32 vcc, 62, v33
	v_add_u32_e32 v17, v17, v20
	v_cndmask_b32_e64 v20, 0, 1, vcc
	v_lshlrev_b32_e32 v20, 1, v20
	v_add_lshl_u32 v35, v20, v27, 2
	ds_bpermute_b32 v20, v35, v17
	v_add_u32_e32 v36, 2, v33
	v_cmp_le_u32_e32 vcc, v36, v15
	v_add_u32_e32 v38, 4, v33
	v_add_u32_e32 v40, 8, v33
	s_waitcnt lgkmcnt(0)
	v_cndmask_b32_e32 v20, 0, v20, vcc
	v_cmp_gt_u32_e32 vcc, 60, v33
	v_add_u32_e32 v17, v17, v20
	v_cndmask_b32_e64 v20, 0, 1, vcc
	v_lshlrev_b32_e32 v20, 2, v20
	v_add_lshl_u32 v37, v20, v27, 2
	ds_bpermute_b32 v20, v37, v17
	v_cmp_le_u32_e32 vcc, v38, v15
	v_add_u32_e32 v42, 16, v33
	v_add_u32_e32 v44, 32, v33
	s_waitcnt lgkmcnt(0)
	v_cndmask_b32_e32 v20, 0, v20, vcc
	v_cmp_gt_u32_e32 vcc, 56, v33
	v_add_u32_e32 v17, v17, v20
	v_cndmask_b32_e64 v20, 0, 1, vcc
	v_lshlrev_b32_e32 v20, 3, v20
	v_add_lshl_u32 v39, v20, v27, 2
	ds_bpermute_b32 v20, v39, v17
	v_cmp_le_u32_e32 vcc, v40, v15
	s_waitcnt lgkmcnt(0)
	v_cndmask_b32_e32 v20, 0, v20, vcc
	v_cmp_gt_u32_e32 vcc, 48, v33
	v_add_u32_e32 v17, v17, v20
	v_cndmask_b32_e64 v20, 0, 1, vcc
	v_lshlrev_b32_e32 v20, 4, v20
	v_add_lshl_u32 v41, v20, v27, 2
	ds_bpermute_b32 v20, v41, v17
	v_cmp_le_u32_e32 vcc, v42, v15
	s_waitcnt lgkmcnt(0)
	v_cndmask_b32_e32 v20, 0, v20, vcc
	v_cmp_gt_u32_e32 vcc, 32, v33
	v_add_u32_e32 v17, v17, v20
	v_cndmask_b32_e64 v20, 0, 1, vcc
	v_lshlrev_b32_e32 v20, 5, v20
	v_add_lshl_u32 v43, v20, v27, 2
	ds_bpermute_b32 v20, v43, v17
	v_cmp_le_u32_e32 vcc, v44, v15
	s_waitcnt lgkmcnt(0)
	v_cndmask_b32_e32 v15, 0, v20, vcc
	v_add_u32_e32 v20, v17, v15
	v_mov_b32_e32 v17, 0
	s_branch .LBB24_38
.LBB24_37:                              ;   in Loop: Header=BB24_38 Depth=1
	s_or_b64 exec, exec, s[36:37]
	v_cmp_eq_u16_sdwa s[36:37], v21, v32 src0_sel:BYTE_0 src1_sel:DWORD
	v_and_b32_e32 v22, s37, v19
	v_or_b32_e32 v22, 0x80000000, v22
	ds_bpermute_b32 v45, v34, v20
	v_and_b32_e32 v23, s36, v18
	v_ffbl_b32_e32 v22, v22
	v_add_u32_e32 v22, 32, v22
	v_ffbl_b32_e32 v23, v23
	v_min_u32_e32 v22, v23, v22
	v_cmp_lt_u32_e32 vcc, v33, v22
	s_waitcnt lgkmcnt(0)
	v_cndmask_b32_e32 v23, 0, v45, vcc
	v_add_u32_e32 v20, v23, v20
	ds_bpermute_b32 v23, v35, v20
	v_cmp_le_u32_e32 vcc, v36, v22
	v_subrev_u32_e32 v16, 64, v16
	s_waitcnt lgkmcnt(0)
	v_cndmask_b32_e32 v23, 0, v23, vcc
	v_add_u32_e32 v20, v20, v23
	ds_bpermute_b32 v23, v37, v20
	v_cmp_le_u32_e32 vcc, v38, v22
	s_waitcnt lgkmcnt(0)
	v_cndmask_b32_e32 v23, 0, v23, vcc
	v_add_u32_e32 v20, v20, v23
	ds_bpermute_b32 v23, v39, v20
	v_cmp_le_u32_e32 vcc, v40, v22
	s_waitcnt lgkmcnt(0)
	v_cndmask_b32_e32 v23, 0, v23, vcc
	v_add_u32_e32 v20, v20, v23
	ds_bpermute_b32 v23, v41, v20
	v_cmp_le_u32_e32 vcc, v42, v22
	s_waitcnt lgkmcnt(0)
	v_cndmask_b32_e32 v23, 0, v23, vcc
	v_add_u32_e32 v20, v20, v23
	ds_bpermute_b32 v23, v43, v20
	v_cmp_le_u32_e32 vcc, v44, v22
	s_waitcnt lgkmcnt(0)
	v_cndmask_b32_e32 v22, 0, v23, vcc
	v_add3_u32 v20, v22, v15, v20
.LBB24_38:                              ; =>This Loop Header: Depth=1
                                        ;     Child Loop BB24_41 Depth 2
                                        ;       Child Loop BB24_42 Depth 3
	v_cmp_ne_u16_sdwa s[36:37], v21, v32 src0_sel:BYTE_0 src1_sel:DWORD
	v_cndmask_b32_e64 v15, 0, 1, s[36:37]
	;;#ASMSTART
	;;#ASMEND
	v_cmp_ne_u32_e32 vcc, 0, v15
	s_cmp_lg_u64 vcc, exec
	v_mov_b32_e32 v15, v20
	s_cbranch_scc1 .LBB24_45
; %bb.39:                               ;   in Loop: Header=BB24_38 Depth=1
	v_lshlrev_b64 v[20:21], 3, v[16:17]
	v_mov_b32_e32 v23, s35
	v_add_co_u32_e32 v22, vcc, s34, v20
	v_addc_co_u32_e32 v23, vcc, v23, v21, vcc
	global_load_dwordx2 v[20:21], v[22:23], off glc
	s_waitcnt vmcnt(0)
	v_cmp_eq_u16_sdwa s[38:39], v21, v17 src0_sel:BYTE_0 src1_sel:DWORD
	s_and_saveexec_b64 s[36:37], s[38:39]
	s_cbranch_execz .LBB24_37
; %bb.40:                               ;   in Loop: Header=BB24_38 Depth=1
	s_mov_b32 s41, 1
	s_mov_b64 s[38:39], 0
.LBB24_41:                              ;   Parent Loop BB24_38 Depth=1
                                        ; =>  This Loop Header: Depth=2
                                        ;       Child Loop BB24_42 Depth 3
	s_max_u32 s42, s41, 1
.LBB24_42:                              ;   Parent Loop BB24_38 Depth=1
                                        ;     Parent Loop BB24_41 Depth=2
                                        ; =>    This Inner Loop Header: Depth=3
	s_add_i32 s42, s42, -1
	s_cmp_eq_u32 s42, 0
	s_sleep 1
	s_cbranch_scc0 .LBB24_42
; %bb.43:                               ;   in Loop: Header=BB24_41 Depth=2
	global_load_dwordx2 v[20:21], v[22:23], off glc
	s_cmp_lt_u32 s41, 32
	s_cselect_b64 s[42:43], -1, 0
	s_cmp_lg_u64 s[42:43], 0
	s_addc_u32 s41, s41, 0
	s_waitcnt vmcnt(0)
	v_cmp_ne_u16_sdwa s[42:43], v21, v17 src0_sel:BYTE_0 src1_sel:DWORD
	s_or_b64 s[38:39], s[42:43], s[38:39]
	s_andn2_b64 exec, exec, s[38:39]
	s_cbranch_execnz .LBB24_41
; %bb.44:                               ;   in Loop: Header=BB24_38 Depth=1
	s_or_b64 exec, exec, s[38:39]
	s_branch .LBB24_37
.LBB24_45:                              ;   in Loop: Header=BB24_38 Depth=1
                                        ; implicit-def: $vgpr20
                                        ; implicit-def: $vgpr21
	s_cbranch_execz .LBB24_38
; %bb.46:
	s_and_saveexec_b64 s[36:37], s[18:19]
	s_cbranch_execz .LBB24_48
; %bb.47:
	s_add_i32 s38, s40, 64
	s_mov_b32 s39, 0
	s_lshl_b64 s[38:39], s[38:39], 3
	s_add_u32 s38, s34, s38
	v_add_u32_e32 v16, v15, v14
	v_mov_b32_e32 v17, 2
	s_addc_u32 s39, s35, s39
	v_mov_b32_e32 v18, 0
	global_store_dwordx2 v18, v[16:17], s[38:39]
	ds_write_b64 v18, v[14:15] offset:6336
.LBB24_48:
	s_or_b64 exec, exec, s[36:37]
	s_and_b64 exec, exec, s[0:1]
	s_cbranch_execz .LBB24_50
; %bb.49:
	v_mov_b32_e32 v14, 0
	ds_write_b32 v14, v15 offset:8
.LBB24_50:
	s_or_b64 exec, exec, s[24:25]
	v_mov_b32_e32 v14, 0
	s_waitcnt lgkmcnt(0)
	s_barrier
	ds_read_b32 v15, v14 offset:8
	v_cndmask_b32_e64 v16, v31, v30, s[18:19]
	v_cndmask_b32_e64 v16, v16, 0, s[0:1]
	s_waitcnt lgkmcnt(0)
	s_barrier
	v_add_u32_e32 v18, v15, v16
	ds_read_b64 v[14:15], v14 offset:6336
	v_add_u32_sdwa v19, v18, v24 dst_sel:DWORD dst_unused:UNUSED_PAD src0_sel:DWORD src1_sel:BYTE_0
	v_add_u32_sdwa v17, v19, v24 dst_sel:DWORD dst_unused:UNUSED_PAD src0_sel:DWORD src1_sel:BYTE_1
	v_add_u32_e32 v16, v17, v26
	s_branch .LBB24_61
.LBB24_51:
                                        ; implicit-def: $vgpr15
                                        ; implicit-def: $vgpr16
                                        ; implicit-def: $vgpr17
                                        ; implicit-def: $vgpr19
                                        ; implicit-def: $vgpr18
	s_cbranch_execz .LBB24_61
; %bb.52:
	s_waitcnt lgkmcnt(0)
	v_mov_b32_dpp v14, v29 row_shr:1 row_mask:0xf bank_mask:0xf
	v_cndmask_b32_e64 v14, v14, 0, s[16:17]
	v_add_u32_e32 v14, v14, v29
	s_nop 1
	v_mov_b32_dpp v15, v14 row_shr:2 row_mask:0xf bank_mask:0xf
	v_cndmask_b32_e64 v15, 0, v15, s[14:15]
	v_add_u32_e32 v14, v14, v15
	s_nop 1
	;; [unrolled: 4-line block ×4, first 2 shown]
	v_mov_b32_dpp v15, v14 row_bcast:15 row_mask:0xf bank_mask:0xf
	v_cndmask_b32_e64 v15, v15, 0, s[6:7]
	v_add_u32_e32 v14, v14, v15
	s_nop 1
	v_mov_b32_dpp v15, v14 row_bcast:31 row_mask:0xf bank_mask:0xf
	v_cndmask_b32_e64 v15, 0, v15, s[4:5]
	v_add_u32_e32 v14, v14, v15
	s_and_saveexec_b64 s[4:5], s[8:9]
	s_cbranch_execz .LBB24_54
; %bb.53:
	v_lshlrev_b32_e32 v15, 2, v28
	ds_write_b32 v15, v14
.LBB24_54:
	s_or_b64 exec, exec, s[4:5]
	v_cmp_gt_u32_e32 vcc, 3, v0
	s_waitcnt lgkmcnt(0)
	s_barrier
	s_and_saveexec_b64 s[4:5], vcc
	s_cbranch_execz .LBB24_56
; %bb.55:
	ds_read_b32 v15, v11
	v_and_b32_e32 v16, 3, v27
	v_cmp_ne_u32_e32 vcc, 0, v16
	s_waitcnt lgkmcnt(0)
	v_mov_b32_dpp v17, v15 row_shr:1 row_mask:0xf bank_mask:0xf
	v_cndmask_b32_e32 v17, 0, v17, vcc
	v_add_u32_e32 v15, v17, v15
	v_cmp_lt_u32_e32 vcc, 1, v16
	s_nop 0
	v_mov_b32_dpp v17, v15 row_shr:2 row_mask:0xf bank_mask:0xf
	v_cndmask_b32_e32 v16, 0, v17, vcc
	v_add_u32_e32 v15, v15, v16
	ds_write_b32 v11, v15
.LBB24_56:
	s_or_b64 exec, exec, s[4:5]
	v_cmp_lt_u32_e32 vcc, 63, v0
	v_mov_b32_e32 v15, 0
	v_mov_b32_e32 v16, 0
	s_waitcnt lgkmcnt(0)
	s_barrier
	s_and_saveexec_b64 s[4:5], vcc
	s_cbranch_execz .LBB24_58
; %bb.57:
	v_lshl_add_u32 v16, v28, 2, -4
	ds_read_b32 v16, v16
.LBB24_58:
	s_or_b64 exec, exec, s[4:5]
	v_add_u32_e32 v17, -1, v27
	v_and_b32_e32 v18, 64, v27
	v_cmp_lt_i32_e32 vcc, v17, v18
	v_cndmask_b32_e32 v17, v17, v27, vcc
	s_waitcnt lgkmcnt(0)
	v_add_u32_e32 v14, v16, v14
	v_lshlrev_b32_e32 v17, 2, v17
	ds_bpermute_b32 v17, v17, v14
	ds_read_b32 v14, v15 offset:8
	s_and_saveexec_b64 s[4:5], s[0:1]
	s_cbranch_execz .LBB24_60
; %bb.59:
	v_mov_b32_e32 v18, 0
	v_mov_b32_e32 v15, 2
	s_waitcnt lgkmcnt(0)
	global_store_dwordx2 v18, v[14:15], s[34:35] offset:512
.LBB24_60:
	s_or_b64 exec, exec, s[4:5]
	v_cmp_eq_u32_e32 vcc, 0, v27
	s_waitcnt lgkmcnt(1)
	v_cndmask_b32_e32 v16, v17, v16, vcc
	v_cndmask_b32_e64 v18, v16, 0, s[0:1]
	v_add_u32_sdwa v19, v18, v24 dst_sel:DWORD dst_unused:UNUSED_PAD src0_sel:DWORD src1_sel:BYTE_0
	v_add_u32_sdwa v17, v19, v24 dst_sel:DWORD dst_unused:UNUSED_PAD src0_sel:DWORD src1_sel:BYTE_1
	v_mov_b32_e32 v15, 0
	v_add_u32_e32 v16, v17, v26
	s_waitcnt lgkmcnt(0)
	s_barrier
.LBB24_61:
	s_waitcnt lgkmcnt(0)
	v_add_u32_e32 v11, v14, v11
	v_sub_u32_e32 v18, v18, v15
	v_and_b32_e32 v22, 1, v24
	v_sub_u32_e32 v21, v11, v18
	v_cmp_eq_u32_e32 vcc, 1, v22
	v_cndmask_b32_e32 v18, v21, v18, vcc
	v_lshlrev_b32_e32 v18, 3, v18
	v_lshrrev_b32_e32 v20, 8, v24
	ds_write_b64 v18, v[6:7]
	v_sub_u32_e32 v6, v19, v15
	v_sub_u32_e32 v7, v11, v6
	v_and_b32_e32 v18, 1, v20
	v_add_u32_e32 v7, 1, v7
	v_cmp_eq_u32_e32 vcc, 1, v18
	v_cndmask_b32_e32 v6, v7, v6, vcc
	v_lshlrev_b32_e32 v6, 3, v6
	ds_write_b64 v6, v[8:9]
	v_sub_u32_e32 v6, v17, v15
	v_mov_b32_e32 v8, 1
	v_sub_u32_e32 v7, v11, v6
	v_and_b32_sdwa v8, v8, v24 dst_sel:DWORD dst_unused:UNUSED_PAD src0_sel:DWORD src1_sel:WORD_1
	v_add_u32_e32 v7, 2, v7
	v_cmp_eq_u32_e32 vcc, 1, v8
	v_cndmask_b32_e32 v6, v7, v6, vcc
	v_lshlrev_b32_e32 v6, 3, v6
	ds_write_b64 v6, v[2:3]
	v_sub_u32_e32 v2, v16, v15
	v_sub_u32_e32 v3, v11, v2
	v_and_b32_e32 v6, 1, v25
	v_add_u32_e32 v3, 3, v3
	v_cmp_eq_u32_e32 vcc, 1, v6
	v_cndmask_b32_e32 v2, v3, v2, vcc
	v_lshlrev_b32_e32 v2, 3, v2
	ds_write_b64 v2, v[4:5]
	s_waitcnt lgkmcnt(0)
	s_barrier
	ds_read2st64_b64 v[6:9], v1 offset1:3
	ds_read2st64_b64 v[2:5], v1 offset0:6 offset1:9
	s_waitcnt vmcnt(0)
	v_add_co_u32_e32 v1, vcc, v12, v15
	v_addc_co_u32_e32 v12, vcc, 0, v13, vcc
	v_mov_b32_e32 v11, s27
	v_add_co_u32_e32 v10, vcc, s26, v10
	v_addc_co_u32_e32 v11, vcc, 0, v11, vcc
	v_mov_b32_e32 v13, s31
	v_sub_co_u32_e32 v10, vcc, s30, v10
	v_subb_co_u32_e32 v11, vcc, v13, v11, vcc
	v_add_co_u32_e32 v10, vcc, v10, v14
	v_addc_co_u32_e32 v11, vcc, 0, v11, vcc
	s_and_b64 vcc, exec, s[2:3]
	v_add_co_u32_e64 v13, s[2:3], v10, v1
	v_add_u32_e32 v18, 0xc0, v0
	v_add_u32_e32 v17, 0x180, v0
	;; [unrolled: 1-line block ×3, first 2 shown]
	v_addc_co_u32_e64 v15, s[2:3], v11, v12, s[2:3]
	s_cbranch_vccnz .LBB24_82
; %bb.62:
	v_cmp_ge_u32_e32 vcc, v0, v14
                                        ; implicit-def: $vgpr10_vgpr11
	s_and_saveexec_b64 s[2:3], vcc
	s_xor_b64 s[2:3], exec, s[2:3]
; %bb.63:
	v_not_b32_e32 v10, v0
	v_ashrrev_i32_e32 v11, 31, v10
	v_add_co_u32_e32 v10, vcc, v13, v10
	v_addc_co_u32_e32 v11, vcc, v15, v11, vcc
; %bb.64:
	s_andn2_saveexec_b64 s[2:3], s[2:3]
; %bb.65:
	v_add_co_u32_e32 v10, vcc, v1, v0
	v_addc_co_u32_e32 v11, vcc, 0, v12, vcc
; %bb.66:
	s_or_b64 exec, exec, s[2:3]
	v_lshlrev_b64 v[10:11], 3, v[10:11]
	v_mov_b32_e32 v19, s29
	v_add_co_u32_e32 v10, vcc, s28, v10
	v_addc_co_u32_e32 v11, vcc, v19, v11, vcc
	v_cmp_ge_u32_e32 vcc, v18, v14
	s_waitcnt lgkmcnt(1)
	global_store_dwordx2 v[10:11], v[6:7], off
                                        ; implicit-def: $vgpr10_vgpr11
	s_and_saveexec_b64 s[2:3], vcc
	s_xor_b64 s[2:3], exec, s[2:3]
; %bb.67:
	v_sub_u32_e32 v10, 0xffffff3f, v0
	v_ashrrev_i32_e32 v11, 31, v10
	v_add_co_u32_e32 v10, vcc, v13, v10
	v_addc_co_u32_e32 v11, vcc, v15, v11, vcc
; %bb.68:
	s_andn2_saveexec_b64 s[2:3], s[2:3]
; %bb.69:
	v_add_co_u32_e32 v10, vcc, v1, v18
	v_addc_co_u32_e32 v11, vcc, 0, v12, vcc
; %bb.70:
	s_or_b64 exec, exec, s[2:3]
	v_lshlrev_b64 v[10:11], 3, v[10:11]
	v_mov_b32_e32 v19, s29
	v_add_co_u32_e32 v10, vcc, s28, v10
	v_addc_co_u32_e32 v11, vcc, v19, v11, vcc
	v_cmp_ge_u32_e32 vcc, v17, v14
	global_store_dwordx2 v[10:11], v[8:9], off
                                        ; implicit-def: $vgpr10_vgpr11
	s_and_saveexec_b64 s[2:3], vcc
	s_xor_b64 s[2:3], exec, s[2:3]
; %bb.71:
	v_sub_u32_e32 v10, 0xfffffe7f, v0
	v_ashrrev_i32_e32 v11, 31, v10
	v_add_co_u32_e32 v10, vcc, v13, v10
	v_addc_co_u32_e32 v11, vcc, v15, v11, vcc
; %bb.72:
	s_andn2_saveexec_b64 s[2:3], s[2:3]
; %bb.73:
	v_add_co_u32_e32 v10, vcc, v1, v17
	v_addc_co_u32_e32 v11, vcc, 0, v12, vcc
; %bb.74:
	s_or_b64 exec, exec, s[2:3]
	v_lshlrev_b64 v[10:11], 3, v[10:11]
	v_mov_b32_e32 v19, s29
	v_add_co_u32_e32 v10, vcc, s28, v10
	v_addc_co_u32_e32 v11, vcc, v19, v11, vcc
	v_cmp_ge_u32_e32 vcc, v16, v14
	s_waitcnt lgkmcnt(0)
	global_store_dwordx2 v[10:11], v[2:3], off
                                        ; implicit-def: $vgpr10_vgpr11
	s_and_saveexec_b64 s[2:3], vcc
	s_xor_b64 s[2:3], exec, s[2:3]
; %bb.75:
	v_sub_u32_e32 v10, 0xfffffdbf, v0
	v_ashrrev_i32_e32 v11, 31, v10
	v_add_co_u32_e32 v10, vcc, v13, v10
	v_addc_co_u32_e32 v11, vcc, v15, v11, vcc
; %bb.76:
	s_andn2_saveexec_b64 s[2:3], s[2:3]
; %bb.77:
	v_add_co_u32_e32 v10, vcc, v1, v16
	v_addc_co_u32_e32 v11, vcc, 0, v12, vcc
; %bb.78:
	s_or_b64 exec, exec, s[2:3]
	s_mov_b64 s[2:3], -1
.LBB24_79:
	s_and_saveexec_b64 s[4:5], s[2:3]
	s_cbranch_execz .LBB24_92
.LBB24_80:
	s_waitcnt lgkmcnt(0)
	v_lshlrev_b64 v[2:3], 3, v[10:11]
	v_mov_b32_e32 v0, s29
	v_add_co_u32_e32 v2, vcc, s28, v2
	v_addc_co_u32_e32 v3, vcc, v0, v3, vcc
	global_store_dwordx2 v[2:3], v[4:5], off
	s_or_b64 exec, exec, s[4:5]
	s_and_b64 s[0:1], s[0:1], s[22:23]
	s_and_saveexec_b64 s[2:3], s[0:1]
	s_cbranch_execnz .LBB24_93
.LBB24_81:
	s_endpgm
.LBB24_82:
	s_mov_b64 s[2:3], 0
                                        ; implicit-def: $vgpr10_vgpr11
	s_cbranch_execz .LBB24_79
; %bb.83:
	v_cmp_gt_u32_e32 vcc, s33, v0
	s_and_saveexec_b64 s[4:5], vcc
	s_cbranch_execz .LBB24_94
; %bb.84:
	v_cmp_ge_u32_e32 vcc, v0, v14
                                        ; implicit-def: $vgpr10_vgpr11
	s_and_saveexec_b64 s[6:7], vcc
	s_xor_b64 s[6:7], exec, s[6:7]
; %bb.85:
	v_not_b32_e32 v10, v0
	v_ashrrev_i32_e32 v11, 31, v10
	v_add_co_u32_e32 v10, vcc, v13, v10
	v_addc_co_u32_e32 v11, vcc, v15, v11, vcc
; %bb.86:
	s_andn2_saveexec_b64 s[6:7], s[6:7]
; %bb.87:
	v_add_co_u32_e32 v10, vcc, v1, v0
	v_addc_co_u32_e32 v11, vcc, 0, v12, vcc
; %bb.88:
	s_or_b64 exec, exec, s[6:7]
	v_lshlrev_b64 v[10:11], 3, v[10:11]
	v_mov_b32_e32 v19, s29
	v_add_co_u32_e32 v10, vcc, s28, v10
	v_addc_co_u32_e32 v11, vcc, v19, v11, vcc
	s_waitcnt lgkmcnt(1)
	global_store_dwordx2 v[10:11], v[6:7], off
	s_or_b64 exec, exec, s[4:5]
	v_cmp_gt_u32_e32 vcc, s33, v18
	s_and_saveexec_b64 s[4:5], vcc
	s_cbranch_execnz .LBB24_95
.LBB24_89:
	s_or_b64 exec, exec, s[4:5]
	v_cmp_gt_u32_e32 vcc, s33, v17
	s_and_saveexec_b64 s[4:5], vcc
	s_cbranch_execnz .LBB24_100
.LBB24_90:
	s_or_b64 exec, exec, s[4:5]
	v_cmp_gt_u32_e32 vcc, s33, v16
                                        ; implicit-def: $vgpr10_vgpr11
	s_and_saveexec_b64 s[4:5], vcc
	s_cbranch_execnz .LBB24_105
.LBB24_91:
	s_or_b64 exec, exec, s[4:5]
	s_and_saveexec_b64 s[4:5], s[2:3]
	s_cbranch_execnz .LBB24_80
.LBB24_92:
	s_or_b64 exec, exec, s[4:5]
	s_and_b64 s[0:1], s[0:1], s[22:23]
	s_and_saveexec_b64 s[2:3], s[0:1]
	s_cbranch_execz .LBB24_81
.LBB24_93:
	v_add_co_u32_e32 v0, vcc, v1, v14
	s_waitcnt lgkmcnt(0)
	v_mov_b32_e32 v2, 0
	v_addc_co_u32_e32 v1, vcc, 0, v12, vcc
	global_store_dwordx2 v2, v[0:1], s[20:21]
	s_endpgm
.LBB24_94:
	s_or_b64 exec, exec, s[4:5]
	v_cmp_gt_u32_e32 vcc, s33, v18
	s_and_saveexec_b64 s[4:5], vcc
	s_cbranch_execz .LBB24_89
.LBB24_95:
	v_cmp_ge_u32_e32 vcc, v18, v14
                                        ; implicit-def: $vgpr6_vgpr7
	s_and_saveexec_b64 s[6:7], vcc
	s_xor_b64 s[6:7], exec, s[6:7]
	s_cbranch_execz .LBB24_97
; %bb.96:
	s_waitcnt lgkmcnt(1)
	v_sub_u32_e32 v6, 0xffffff3f, v0
	v_ashrrev_i32_e32 v7, 31, v6
	v_add_co_u32_e32 v6, vcc, v13, v6
	v_addc_co_u32_e32 v7, vcc, v15, v7, vcc
                                        ; implicit-def: $vgpr18
.LBB24_97:
	s_andn2_saveexec_b64 s[6:7], s[6:7]
	s_cbranch_execz .LBB24_99
; %bb.98:
	s_waitcnt lgkmcnt(1)
	v_add_co_u32_e32 v6, vcc, v1, v18
	v_addc_co_u32_e32 v7, vcc, 0, v12, vcc
.LBB24_99:
	s_or_b64 exec, exec, s[6:7]
	s_waitcnt lgkmcnt(1)
	v_lshlrev_b64 v[6:7], 3, v[6:7]
	v_mov_b32_e32 v10, s29
	v_add_co_u32_e32 v6, vcc, s28, v6
	v_addc_co_u32_e32 v7, vcc, v10, v7, vcc
	global_store_dwordx2 v[6:7], v[8:9], off
	s_or_b64 exec, exec, s[4:5]
	v_cmp_gt_u32_e32 vcc, s33, v17
	s_and_saveexec_b64 s[4:5], vcc
	s_cbranch_execz .LBB24_90
.LBB24_100:
	v_cmp_ge_u32_e32 vcc, v17, v14
                                        ; implicit-def: $vgpr6_vgpr7
	s_and_saveexec_b64 s[6:7], vcc
	s_xor_b64 s[6:7], exec, s[6:7]
	s_cbranch_execz .LBB24_102
; %bb.101:
	s_waitcnt lgkmcnt(1)
	v_sub_u32_e32 v6, 0xfffffe7f, v0
	v_ashrrev_i32_e32 v7, 31, v6
	v_add_co_u32_e32 v6, vcc, v13, v6
	v_addc_co_u32_e32 v7, vcc, v15, v7, vcc
                                        ; implicit-def: $vgpr17
.LBB24_102:
	s_andn2_saveexec_b64 s[6:7], s[6:7]
	s_cbranch_execz .LBB24_104
; %bb.103:
	s_waitcnt lgkmcnt(1)
	v_add_co_u32_e32 v6, vcc, v1, v17
	v_addc_co_u32_e32 v7, vcc, 0, v12, vcc
.LBB24_104:
	s_or_b64 exec, exec, s[6:7]
	s_waitcnt lgkmcnt(1)
	v_lshlrev_b64 v[6:7], 3, v[6:7]
	v_mov_b32_e32 v8, s29
	v_add_co_u32_e32 v6, vcc, s28, v6
	v_addc_co_u32_e32 v7, vcc, v8, v7, vcc
	s_waitcnt lgkmcnt(0)
	global_store_dwordx2 v[6:7], v[2:3], off
	s_or_b64 exec, exec, s[4:5]
	v_cmp_gt_u32_e32 vcc, s33, v16
                                        ; implicit-def: $vgpr10_vgpr11
	s_and_saveexec_b64 s[4:5], vcc
	s_cbranch_execz .LBB24_91
.LBB24_105:
	v_cmp_ge_u32_e32 vcc, v16, v14
                                        ; implicit-def: $vgpr10_vgpr11
	s_and_saveexec_b64 s[6:7], vcc
	s_xor_b64 s[6:7], exec, s[6:7]
	s_cbranch_execz .LBB24_107
; %bb.106:
	v_sub_u32_e32 v0, 0xfffffdbf, v0
	s_waitcnt lgkmcnt(0)
	v_ashrrev_i32_e32 v2, 31, v0
	v_add_co_u32_e32 v10, vcc, v13, v0
	v_addc_co_u32_e32 v11, vcc, v15, v2, vcc
                                        ; implicit-def: $vgpr16
.LBB24_107:
	s_andn2_saveexec_b64 s[6:7], s[6:7]
; %bb.108:
	v_add_co_u32_e32 v10, vcc, v1, v16
	v_addc_co_u32_e32 v11, vcc, 0, v12, vcc
; %bb.109:
	s_or_b64 exec, exec, s[6:7]
	s_or_b64 s[2:3], s[2:3], exec
	s_or_b64 exec, exec, s[4:5]
	s_and_saveexec_b64 s[4:5], s[2:3]
	s_cbranch_execnz .LBB24_80
	s_branch .LBB24_92
	.section	.rodata,"a",@progbits
	.p2align	6, 0x0
	.amdhsa_kernel _ZN7rocprim17ROCPRIM_400000_NS6detail17trampoline_kernelINS0_14default_configENS1_25partition_config_selectorILNS1_17partition_subalgoE3ExNS0_10empty_typeEbEEZZNS1_14partition_implILS5_3ELb0ES3_jN6thrust23THRUST_200600_302600_NS6detail15normal_iteratorINSA_7pointerIxNSA_11hip_rocprim3tagENSA_11use_defaultESG_EEEEPS6_SJ_NS0_5tupleIJPxSJ_EEENSK_IJSJ_SJ_EEES6_PlJ7is_evenIxEEEE10hipError_tPvRmT3_T4_T5_T6_T7_T9_mT8_P12ihipStream_tbDpT10_ENKUlT_T0_E_clISt17integral_constantIbLb1EES1A_EEDaS15_S16_EUlS15_E_NS1_11comp_targetILNS1_3genE4ELNS1_11target_archE910ELNS1_3gpuE8ELNS1_3repE0EEENS1_30default_config_static_selectorELNS0_4arch9wavefront6targetE1EEEvT1_
		.amdhsa_group_segment_fixed_size 6344
		.amdhsa_private_segment_fixed_size 0
		.amdhsa_kernarg_size 136
		.amdhsa_user_sgpr_count 6
		.amdhsa_user_sgpr_private_segment_buffer 1
		.amdhsa_user_sgpr_dispatch_ptr 0
		.amdhsa_user_sgpr_queue_ptr 0
		.amdhsa_user_sgpr_kernarg_segment_ptr 1
		.amdhsa_user_sgpr_dispatch_id 0
		.amdhsa_user_sgpr_flat_scratch_init 0
		.amdhsa_user_sgpr_kernarg_preload_length 0
		.amdhsa_user_sgpr_kernarg_preload_offset 0
		.amdhsa_user_sgpr_private_segment_size 0
		.amdhsa_uses_dynamic_stack 0
		.amdhsa_system_sgpr_private_segment_wavefront_offset 0
		.amdhsa_system_sgpr_workgroup_id_x 1
		.amdhsa_system_sgpr_workgroup_id_y 0
		.amdhsa_system_sgpr_workgroup_id_z 0
		.amdhsa_system_sgpr_workgroup_info 0
		.amdhsa_system_vgpr_workitem_id 0
		.amdhsa_next_free_vgpr 46
		.amdhsa_next_free_sgpr 44
		.amdhsa_accum_offset 48
		.amdhsa_reserve_vcc 1
		.amdhsa_reserve_flat_scratch 0
		.amdhsa_float_round_mode_32 0
		.amdhsa_float_round_mode_16_64 0
		.amdhsa_float_denorm_mode_32 3
		.amdhsa_float_denorm_mode_16_64 3
		.amdhsa_dx10_clamp 1
		.amdhsa_ieee_mode 1
		.amdhsa_fp16_overflow 0
		.amdhsa_tg_split 0
		.amdhsa_exception_fp_ieee_invalid_op 0
		.amdhsa_exception_fp_denorm_src 0
		.amdhsa_exception_fp_ieee_div_zero 0
		.amdhsa_exception_fp_ieee_overflow 0
		.amdhsa_exception_fp_ieee_underflow 0
		.amdhsa_exception_fp_ieee_inexact 0
		.amdhsa_exception_int_div_zero 0
	.end_amdhsa_kernel
	.section	.text._ZN7rocprim17ROCPRIM_400000_NS6detail17trampoline_kernelINS0_14default_configENS1_25partition_config_selectorILNS1_17partition_subalgoE3ExNS0_10empty_typeEbEEZZNS1_14partition_implILS5_3ELb0ES3_jN6thrust23THRUST_200600_302600_NS6detail15normal_iteratorINSA_7pointerIxNSA_11hip_rocprim3tagENSA_11use_defaultESG_EEEEPS6_SJ_NS0_5tupleIJPxSJ_EEENSK_IJSJ_SJ_EEES6_PlJ7is_evenIxEEEE10hipError_tPvRmT3_T4_T5_T6_T7_T9_mT8_P12ihipStream_tbDpT10_ENKUlT_T0_E_clISt17integral_constantIbLb1EES1A_EEDaS15_S16_EUlS15_E_NS1_11comp_targetILNS1_3genE4ELNS1_11target_archE910ELNS1_3gpuE8ELNS1_3repE0EEENS1_30default_config_static_selectorELNS0_4arch9wavefront6targetE1EEEvT1_,"axG",@progbits,_ZN7rocprim17ROCPRIM_400000_NS6detail17trampoline_kernelINS0_14default_configENS1_25partition_config_selectorILNS1_17partition_subalgoE3ExNS0_10empty_typeEbEEZZNS1_14partition_implILS5_3ELb0ES3_jN6thrust23THRUST_200600_302600_NS6detail15normal_iteratorINSA_7pointerIxNSA_11hip_rocprim3tagENSA_11use_defaultESG_EEEEPS6_SJ_NS0_5tupleIJPxSJ_EEENSK_IJSJ_SJ_EEES6_PlJ7is_evenIxEEEE10hipError_tPvRmT3_T4_T5_T6_T7_T9_mT8_P12ihipStream_tbDpT10_ENKUlT_T0_E_clISt17integral_constantIbLb1EES1A_EEDaS15_S16_EUlS15_E_NS1_11comp_targetILNS1_3genE4ELNS1_11target_archE910ELNS1_3gpuE8ELNS1_3repE0EEENS1_30default_config_static_selectorELNS0_4arch9wavefront6targetE1EEEvT1_,comdat
.Lfunc_end24:
	.size	_ZN7rocprim17ROCPRIM_400000_NS6detail17trampoline_kernelINS0_14default_configENS1_25partition_config_selectorILNS1_17partition_subalgoE3ExNS0_10empty_typeEbEEZZNS1_14partition_implILS5_3ELb0ES3_jN6thrust23THRUST_200600_302600_NS6detail15normal_iteratorINSA_7pointerIxNSA_11hip_rocprim3tagENSA_11use_defaultESG_EEEEPS6_SJ_NS0_5tupleIJPxSJ_EEENSK_IJSJ_SJ_EEES6_PlJ7is_evenIxEEEE10hipError_tPvRmT3_T4_T5_T6_T7_T9_mT8_P12ihipStream_tbDpT10_ENKUlT_T0_E_clISt17integral_constantIbLb1EES1A_EEDaS15_S16_EUlS15_E_NS1_11comp_targetILNS1_3genE4ELNS1_11target_archE910ELNS1_3gpuE8ELNS1_3repE0EEENS1_30default_config_static_selectorELNS0_4arch9wavefront6targetE1EEEvT1_, .Lfunc_end24-_ZN7rocprim17ROCPRIM_400000_NS6detail17trampoline_kernelINS0_14default_configENS1_25partition_config_selectorILNS1_17partition_subalgoE3ExNS0_10empty_typeEbEEZZNS1_14partition_implILS5_3ELb0ES3_jN6thrust23THRUST_200600_302600_NS6detail15normal_iteratorINSA_7pointerIxNSA_11hip_rocprim3tagENSA_11use_defaultESG_EEEEPS6_SJ_NS0_5tupleIJPxSJ_EEENSK_IJSJ_SJ_EEES6_PlJ7is_evenIxEEEE10hipError_tPvRmT3_T4_T5_T6_T7_T9_mT8_P12ihipStream_tbDpT10_ENKUlT_T0_E_clISt17integral_constantIbLb1EES1A_EEDaS15_S16_EUlS15_E_NS1_11comp_targetILNS1_3genE4ELNS1_11target_archE910ELNS1_3gpuE8ELNS1_3repE0EEENS1_30default_config_static_selectorELNS0_4arch9wavefront6targetE1EEEvT1_
                                        ; -- End function
	.section	.AMDGPU.csdata,"",@progbits
; Kernel info:
; codeLenInByte = 4200
; NumSgprs: 48
; NumVgprs: 46
; NumAgprs: 0
; TotalNumVgprs: 46
; ScratchSize: 0
; MemoryBound: 0
; FloatMode: 240
; IeeeMode: 1
; LDSByteSize: 6344 bytes/workgroup (compile time only)
; SGPRBlocks: 5
; VGPRBlocks: 5
; NumSGPRsForWavesPerEU: 48
; NumVGPRsForWavesPerEU: 46
; AccumOffset: 48
; Occupancy: 8
; WaveLimiterHint : 1
; COMPUTE_PGM_RSRC2:SCRATCH_EN: 0
; COMPUTE_PGM_RSRC2:USER_SGPR: 6
; COMPUTE_PGM_RSRC2:TRAP_HANDLER: 0
; COMPUTE_PGM_RSRC2:TGID_X_EN: 1
; COMPUTE_PGM_RSRC2:TGID_Y_EN: 0
; COMPUTE_PGM_RSRC2:TGID_Z_EN: 0
; COMPUTE_PGM_RSRC2:TIDIG_COMP_CNT: 0
; COMPUTE_PGM_RSRC3_GFX90A:ACCUM_OFFSET: 11
; COMPUTE_PGM_RSRC3_GFX90A:TG_SPLIT: 0
	.section	.text._ZN7rocprim17ROCPRIM_400000_NS6detail17trampoline_kernelINS0_14default_configENS1_25partition_config_selectorILNS1_17partition_subalgoE3ExNS0_10empty_typeEbEEZZNS1_14partition_implILS5_3ELb0ES3_jN6thrust23THRUST_200600_302600_NS6detail15normal_iteratorINSA_7pointerIxNSA_11hip_rocprim3tagENSA_11use_defaultESG_EEEEPS6_SJ_NS0_5tupleIJPxSJ_EEENSK_IJSJ_SJ_EEES6_PlJ7is_evenIxEEEE10hipError_tPvRmT3_T4_T5_T6_T7_T9_mT8_P12ihipStream_tbDpT10_ENKUlT_T0_E_clISt17integral_constantIbLb1EES1A_EEDaS15_S16_EUlS15_E_NS1_11comp_targetILNS1_3genE3ELNS1_11target_archE908ELNS1_3gpuE7ELNS1_3repE0EEENS1_30default_config_static_selectorELNS0_4arch9wavefront6targetE1EEEvT1_,"axG",@progbits,_ZN7rocprim17ROCPRIM_400000_NS6detail17trampoline_kernelINS0_14default_configENS1_25partition_config_selectorILNS1_17partition_subalgoE3ExNS0_10empty_typeEbEEZZNS1_14partition_implILS5_3ELb0ES3_jN6thrust23THRUST_200600_302600_NS6detail15normal_iteratorINSA_7pointerIxNSA_11hip_rocprim3tagENSA_11use_defaultESG_EEEEPS6_SJ_NS0_5tupleIJPxSJ_EEENSK_IJSJ_SJ_EEES6_PlJ7is_evenIxEEEE10hipError_tPvRmT3_T4_T5_T6_T7_T9_mT8_P12ihipStream_tbDpT10_ENKUlT_T0_E_clISt17integral_constantIbLb1EES1A_EEDaS15_S16_EUlS15_E_NS1_11comp_targetILNS1_3genE3ELNS1_11target_archE908ELNS1_3gpuE7ELNS1_3repE0EEENS1_30default_config_static_selectorELNS0_4arch9wavefront6targetE1EEEvT1_,comdat
	.protected	_ZN7rocprim17ROCPRIM_400000_NS6detail17trampoline_kernelINS0_14default_configENS1_25partition_config_selectorILNS1_17partition_subalgoE3ExNS0_10empty_typeEbEEZZNS1_14partition_implILS5_3ELb0ES3_jN6thrust23THRUST_200600_302600_NS6detail15normal_iteratorINSA_7pointerIxNSA_11hip_rocprim3tagENSA_11use_defaultESG_EEEEPS6_SJ_NS0_5tupleIJPxSJ_EEENSK_IJSJ_SJ_EEES6_PlJ7is_evenIxEEEE10hipError_tPvRmT3_T4_T5_T6_T7_T9_mT8_P12ihipStream_tbDpT10_ENKUlT_T0_E_clISt17integral_constantIbLb1EES1A_EEDaS15_S16_EUlS15_E_NS1_11comp_targetILNS1_3genE3ELNS1_11target_archE908ELNS1_3gpuE7ELNS1_3repE0EEENS1_30default_config_static_selectorELNS0_4arch9wavefront6targetE1EEEvT1_ ; -- Begin function _ZN7rocprim17ROCPRIM_400000_NS6detail17trampoline_kernelINS0_14default_configENS1_25partition_config_selectorILNS1_17partition_subalgoE3ExNS0_10empty_typeEbEEZZNS1_14partition_implILS5_3ELb0ES3_jN6thrust23THRUST_200600_302600_NS6detail15normal_iteratorINSA_7pointerIxNSA_11hip_rocprim3tagENSA_11use_defaultESG_EEEEPS6_SJ_NS0_5tupleIJPxSJ_EEENSK_IJSJ_SJ_EEES6_PlJ7is_evenIxEEEE10hipError_tPvRmT3_T4_T5_T6_T7_T9_mT8_P12ihipStream_tbDpT10_ENKUlT_T0_E_clISt17integral_constantIbLb1EES1A_EEDaS15_S16_EUlS15_E_NS1_11comp_targetILNS1_3genE3ELNS1_11target_archE908ELNS1_3gpuE7ELNS1_3repE0EEENS1_30default_config_static_selectorELNS0_4arch9wavefront6targetE1EEEvT1_
	.globl	_ZN7rocprim17ROCPRIM_400000_NS6detail17trampoline_kernelINS0_14default_configENS1_25partition_config_selectorILNS1_17partition_subalgoE3ExNS0_10empty_typeEbEEZZNS1_14partition_implILS5_3ELb0ES3_jN6thrust23THRUST_200600_302600_NS6detail15normal_iteratorINSA_7pointerIxNSA_11hip_rocprim3tagENSA_11use_defaultESG_EEEEPS6_SJ_NS0_5tupleIJPxSJ_EEENSK_IJSJ_SJ_EEES6_PlJ7is_evenIxEEEE10hipError_tPvRmT3_T4_T5_T6_T7_T9_mT8_P12ihipStream_tbDpT10_ENKUlT_T0_E_clISt17integral_constantIbLb1EES1A_EEDaS15_S16_EUlS15_E_NS1_11comp_targetILNS1_3genE3ELNS1_11target_archE908ELNS1_3gpuE7ELNS1_3repE0EEENS1_30default_config_static_selectorELNS0_4arch9wavefront6targetE1EEEvT1_
	.p2align	8
	.type	_ZN7rocprim17ROCPRIM_400000_NS6detail17trampoline_kernelINS0_14default_configENS1_25partition_config_selectorILNS1_17partition_subalgoE3ExNS0_10empty_typeEbEEZZNS1_14partition_implILS5_3ELb0ES3_jN6thrust23THRUST_200600_302600_NS6detail15normal_iteratorINSA_7pointerIxNSA_11hip_rocprim3tagENSA_11use_defaultESG_EEEEPS6_SJ_NS0_5tupleIJPxSJ_EEENSK_IJSJ_SJ_EEES6_PlJ7is_evenIxEEEE10hipError_tPvRmT3_T4_T5_T6_T7_T9_mT8_P12ihipStream_tbDpT10_ENKUlT_T0_E_clISt17integral_constantIbLb1EES1A_EEDaS15_S16_EUlS15_E_NS1_11comp_targetILNS1_3genE3ELNS1_11target_archE908ELNS1_3gpuE7ELNS1_3repE0EEENS1_30default_config_static_selectorELNS0_4arch9wavefront6targetE1EEEvT1_,@function
_ZN7rocprim17ROCPRIM_400000_NS6detail17trampoline_kernelINS0_14default_configENS1_25partition_config_selectorILNS1_17partition_subalgoE3ExNS0_10empty_typeEbEEZZNS1_14partition_implILS5_3ELb0ES3_jN6thrust23THRUST_200600_302600_NS6detail15normal_iteratorINSA_7pointerIxNSA_11hip_rocprim3tagENSA_11use_defaultESG_EEEEPS6_SJ_NS0_5tupleIJPxSJ_EEENSK_IJSJ_SJ_EEES6_PlJ7is_evenIxEEEE10hipError_tPvRmT3_T4_T5_T6_T7_T9_mT8_P12ihipStream_tbDpT10_ENKUlT_T0_E_clISt17integral_constantIbLb1EES1A_EEDaS15_S16_EUlS15_E_NS1_11comp_targetILNS1_3genE3ELNS1_11target_archE908ELNS1_3gpuE7ELNS1_3repE0EEENS1_30default_config_static_selectorELNS0_4arch9wavefront6targetE1EEEvT1_: ; @_ZN7rocprim17ROCPRIM_400000_NS6detail17trampoline_kernelINS0_14default_configENS1_25partition_config_selectorILNS1_17partition_subalgoE3ExNS0_10empty_typeEbEEZZNS1_14partition_implILS5_3ELb0ES3_jN6thrust23THRUST_200600_302600_NS6detail15normal_iteratorINSA_7pointerIxNSA_11hip_rocprim3tagENSA_11use_defaultESG_EEEEPS6_SJ_NS0_5tupleIJPxSJ_EEENSK_IJSJ_SJ_EEES6_PlJ7is_evenIxEEEE10hipError_tPvRmT3_T4_T5_T6_T7_T9_mT8_P12ihipStream_tbDpT10_ENKUlT_T0_E_clISt17integral_constantIbLb1EES1A_EEDaS15_S16_EUlS15_E_NS1_11comp_targetILNS1_3genE3ELNS1_11target_archE908ELNS1_3gpuE7ELNS1_3repE0EEENS1_30default_config_static_selectorELNS0_4arch9wavefront6targetE1EEEvT1_
; %bb.0:
	.section	.rodata,"a",@progbits
	.p2align	6, 0x0
	.amdhsa_kernel _ZN7rocprim17ROCPRIM_400000_NS6detail17trampoline_kernelINS0_14default_configENS1_25partition_config_selectorILNS1_17partition_subalgoE3ExNS0_10empty_typeEbEEZZNS1_14partition_implILS5_3ELb0ES3_jN6thrust23THRUST_200600_302600_NS6detail15normal_iteratorINSA_7pointerIxNSA_11hip_rocprim3tagENSA_11use_defaultESG_EEEEPS6_SJ_NS0_5tupleIJPxSJ_EEENSK_IJSJ_SJ_EEES6_PlJ7is_evenIxEEEE10hipError_tPvRmT3_T4_T5_T6_T7_T9_mT8_P12ihipStream_tbDpT10_ENKUlT_T0_E_clISt17integral_constantIbLb1EES1A_EEDaS15_S16_EUlS15_E_NS1_11comp_targetILNS1_3genE3ELNS1_11target_archE908ELNS1_3gpuE7ELNS1_3repE0EEENS1_30default_config_static_selectorELNS0_4arch9wavefront6targetE1EEEvT1_
		.amdhsa_group_segment_fixed_size 0
		.amdhsa_private_segment_fixed_size 0
		.amdhsa_kernarg_size 136
		.amdhsa_user_sgpr_count 6
		.amdhsa_user_sgpr_private_segment_buffer 1
		.amdhsa_user_sgpr_dispatch_ptr 0
		.amdhsa_user_sgpr_queue_ptr 0
		.amdhsa_user_sgpr_kernarg_segment_ptr 1
		.amdhsa_user_sgpr_dispatch_id 0
		.amdhsa_user_sgpr_flat_scratch_init 0
		.amdhsa_user_sgpr_kernarg_preload_length 0
		.amdhsa_user_sgpr_kernarg_preload_offset 0
		.amdhsa_user_sgpr_private_segment_size 0
		.amdhsa_uses_dynamic_stack 0
		.amdhsa_system_sgpr_private_segment_wavefront_offset 0
		.amdhsa_system_sgpr_workgroup_id_x 1
		.amdhsa_system_sgpr_workgroup_id_y 0
		.amdhsa_system_sgpr_workgroup_id_z 0
		.amdhsa_system_sgpr_workgroup_info 0
		.amdhsa_system_vgpr_workitem_id 0
		.amdhsa_next_free_vgpr 1
		.amdhsa_next_free_sgpr 0
		.amdhsa_accum_offset 4
		.amdhsa_reserve_vcc 0
		.amdhsa_reserve_flat_scratch 0
		.amdhsa_float_round_mode_32 0
		.amdhsa_float_round_mode_16_64 0
		.amdhsa_float_denorm_mode_32 3
		.amdhsa_float_denorm_mode_16_64 3
		.amdhsa_dx10_clamp 1
		.amdhsa_ieee_mode 1
		.amdhsa_fp16_overflow 0
		.amdhsa_tg_split 0
		.amdhsa_exception_fp_ieee_invalid_op 0
		.amdhsa_exception_fp_denorm_src 0
		.amdhsa_exception_fp_ieee_div_zero 0
		.amdhsa_exception_fp_ieee_overflow 0
		.amdhsa_exception_fp_ieee_underflow 0
		.amdhsa_exception_fp_ieee_inexact 0
		.amdhsa_exception_int_div_zero 0
	.end_amdhsa_kernel
	.section	.text._ZN7rocprim17ROCPRIM_400000_NS6detail17trampoline_kernelINS0_14default_configENS1_25partition_config_selectorILNS1_17partition_subalgoE3ExNS0_10empty_typeEbEEZZNS1_14partition_implILS5_3ELb0ES3_jN6thrust23THRUST_200600_302600_NS6detail15normal_iteratorINSA_7pointerIxNSA_11hip_rocprim3tagENSA_11use_defaultESG_EEEEPS6_SJ_NS0_5tupleIJPxSJ_EEENSK_IJSJ_SJ_EEES6_PlJ7is_evenIxEEEE10hipError_tPvRmT3_T4_T5_T6_T7_T9_mT8_P12ihipStream_tbDpT10_ENKUlT_T0_E_clISt17integral_constantIbLb1EES1A_EEDaS15_S16_EUlS15_E_NS1_11comp_targetILNS1_3genE3ELNS1_11target_archE908ELNS1_3gpuE7ELNS1_3repE0EEENS1_30default_config_static_selectorELNS0_4arch9wavefront6targetE1EEEvT1_,"axG",@progbits,_ZN7rocprim17ROCPRIM_400000_NS6detail17trampoline_kernelINS0_14default_configENS1_25partition_config_selectorILNS1_17partition_subalgoE3ExNS0_10empty_typeEbEEZZNS1_14partition_implILS5_3ELb0ES3_jN6thrust23THRUST_200600_302600_NS6detail15normal_iteratorINSA_7pointerIxNSA_11hip_rocprim3tagENSA_11use_defaultESG_EEEEPS6_SJ_NS0_5tupleIJPxSJ_EEENSK_IJSJ_SJ_EEES6_PlJ7is_evenIxEEEE10hipError_tPvRmT3_T4_T5_T6_T7_T9_mT8_P12ihipStream_tbDpT10_ENKUlT_T0_E_clISt17integral_constantIbLb1EES1A_EEDaS15_S16_EUlS15_E_NS1_11comp_targetILNS1_3genE3ELNS1_11target_archE908ELNS1_3gpuE7ELNS1_3repE0EEENS1_30default_config_static_selectorELNS0_4arch9wavefront6targetE1EEEvT1_,comdat
.Lfunc_end25:
	.size	_ZN7rocprim17ROCPRIM_400000_NS6detail17trampoline_kernelINS0_14default_configENS1_25partition_config_selectorILNS1_17partition_subalgoE3ExNS0_10empty_typeEbEEZZNS1_14partition_implILS5_3ELb0ES3_jN6thrust23THRUST_200600_302600_NS6detail15normal_iteratorINSA_7pointerIxNSA_11hip_rocprim3tagENSA_11use_defaultESG_EEEEPS6_SJ_NS0_5tupleIJPxSJ_EEENSK_IJSJ_SJ_EEES6_PlJ7is_evenIxEEEE10hipError_tPvRmT3_T4_T5_T6_T7_T9_mT8_P12ihipStream_tbDpT10_ENKUlT_T0_E_clISt17integral_constantIbLb1EES1A_EEDaS15_S16_EUlS15_E_NS1_11comp_targetILNS1_3genE3ELNS1_11target_archE908ELNS1_3gpuE7ELNS1_3repE0EEENS1_30default_config_static_selectorELNS0_4arch9wavefront6targetE1EEEvT1_, .Lfunc_end25-_ZN7rocprim17ROCPRIM_400000_NS6detail17trampoline_kernelINS0_14default_configENS1_25partition_config_selectorILNS1_17partition_subalgoE3ExNS0_10empty_typeEbEEZZNS1_14partition_implILS5_3ELb0ES3_jN6thrust23THRUST_200600_302600_NS6detail15normal_iteratorINSA_7pointerIxNSA_11hip_rocprim3tagENSA_11use_defaultESG_EEEEPS6_SJ_NS0_5tupleIJPxSJ_EEENSK_IJSJ_SJ_EEES6_PlJ7is_evenIxEEEE10hipError_tPvRmT3_T4_T5_T6_T7_T9_mT8_P12ihipStream_tbDpT10_ENKUlT_T0_E_clISt17integral_constantIbLb1EES1A_EEDaS15_S16_EUlS15_E_NS1_11comp_targetILNS1_3genE3ELNS1_11target_archE908ELNS1_3gpuE7ELNS1_3repE0EEENS1_30default_config_static_selectorELNS0_4arch9wavefront6targetE1EEEvT1_
                                        ; -- End function
	.section	.AMDGPU.csdata,"",@progbits
; Kernel info:
; codeLenInByte = 0
; NumSgprs: 4
; NumVgprs: 0
; NumAgprs: 0
; TotalNumVgprs: 0
; ScratchSize: 0
; MemoryBound: 0
; FloatMode: 240
; IeeeMode: 1
; LDSByteSize: 0 bytes/workgroup (compile time only)
; SGPRBlocks: 0
; VGPRBlocks: 0
; NumSGPRsForWavesPerEU: 4
; NumVGPRsForWavesPerEU: 1
; AccumOffset: 4
; Occupancy: 8
; WaveLimiterHint : 0
; COMPUTE_PGM_RSRC2:SCRATCH_EN: 0
; COMPUTE_PGM_RSRC2:USER_SGPR: 6
; COMPUTE_PGM_RSRC2:TRAP_HANDLER: 0
; COMPUTE_PGM_RSRC2:TGID_X_EN: 1
; COMPUTE_PGM_RSRC2:TGID_Y_EN: 0
; COMPUTE_PGM_RSRC2:TGID_Z_EN: 0
; COMPUTE_PGM_RSRC2:TIDIG_COMP_CNT: 0
; COMPUTE_PGM_RSRC3_GFX90A:ACCUM_OFFSET: 0
; COMPUTE_PGM_RSRC3_GFX90A:TG_SPLIT: 0
	.section	.text._ZN7rocprim17ROCPRIM_400000_NS6detail17trampoline_kernelINS0_14default_configENS1_25partition_config_selectorILNS1_17partition_subalgoE3ExNS0_10empty_typeEbEEZZNS1_14partition_implILS5_3ELb0ES3_jN6thrust23THRUST_200600_302600_NS6detail15normal_iteratorINSA_7pointerIxNSA_11hip_rocprim3tagENSA_11use_defaultESG_EEEEPS6_SJ_NS0_5tupleIJPxSJ_EEENSK_IJSJ_SJ_EEES6_PlJ7is_evenIxEEEE10hipError_tPvRmT3_T4_T5_T6_T7_T9_mT8_P12ihipStream_tbDpT10_ENKUlT_T0_E_clISt17integral_constantIbLb1EES1A_EEDaS15_S16_EUlS15_E_NS1_11comp_targetILNS1_3genE2ELNS1_11target_archE906ELNS1_3gpuE6ELNS1_3repE0EEENS1_30default_config_static_selectorELNS0_4arch9wavefront6targetE1EEEvT1_,"axG",@progbits,_ZN7rocprim17ROCPRIM_400000_NS6detail17trampoline_kernelINS0_14default_configENS1_25partition_config_selectorILNS1_17partition_subalgoE3ExNS0_10empty_typeEbEEZZNS1_14partition_implILS5_3ELb0ES3_jN6thrust23THRUST_200600_302600_NS6detail15normal_iteratorINSA_7pointerIxNSA_11hip_rocprim3tagENSA_11use_defaultESG_EEEEPS6_SJ_NS0_5tupleIJPxSJ_EEENSK_IJSJ_SJ_EEES6_PlJ7is_evenIxEEEE10hipError_tPvRmT3_T4_T5_T6_T7_T9_mT8_P12ihipStream_tbDpT10_ENKUlT_T0_E_clISt17integral_constantIbLb1EES1A_EEDaS15_S16_EUlS15_E_NS1_11comp_targetILNS1_3genE2ELNS1_11target_archE906ELNS1_3gpuE6ELNS1_3repE0EEENS1_30default_config_static_selectorELNS0_4arch9wavefront6targetE1EEEvT1_,comdat
	.protected	_ZN7rocprim17ROCPRIM_400000_NS6detail17trampoline_kernelINS0_14default_configENS1_25partition_config_selectorILNS1_17partition_subalgoE3ExNS0_10empty_typeEbEEZZNS1_14partition_implILS5_3ELb0ES3_jN6thrust23THRUST_200600_302600_NS6detail15normal_iteratorINSA_7pointerIxNSA_11hip_rocprim3tagENSA_11use_defaultESG_EEEEPS6_SJ_NS0_5tupleIJPxSJ_EEENSK_IJSJ_SJ_EEES6_PlJ7is_evenIxEEEE10hipError_tPvRmT3_T4_T5_T6_T7_T9_mT8_P12ihipStream_tbDpT10_ENKUlT_T0_E_clISt17integral_constantIbLb1EES1A_EEDaS15_S16_EUlS15_E_NS1_11comp_targetILNS1_3genE2ELNS1_11target_archE906ELNS1_3gpuE6ELNS1_3repE0EEENS1_30default_config_static_selectorELNS0_4arch9wavefront6targetE1EEEvT1_ ; -- Begin function _ZN7rocprim17ROCPRIM_400000_NS6detail17trampoline_kernelINS0_14default_configENS1_25partition_config_selectorILNS1_17partition_subalgoE3ExNS0_10empty_typeEbEEZZNS1_14partition_implILS5_3ELb0ES3_jN6thrust23THRUST_200600_302600_NS6detail15normal_iteratorINSA_7pointerIxNSA_11hip_rocprim3tagENSA_11use_defaultESG_EEEEPS6_SJ_NS0_5tupleIJPxSJ_EEENSK_IJSJ_SJ_EEES6_PlJ7is_evenIxEEEE10hipError_tPvRmT3_T4_T5_T6_T7_T9_mT8_P12ihipStream_tbDpT10_ENKUlT_T0_E_clISt17integral_constantIbLb1EES1A_EEDaS15_S16_EUlS15_E_NS1_11comp_targetILNS1_3genE2ELNS1_11target_archE906ELNS1_3gpuE6ELNS1_3repE0EEENS1_30default_config_static_selectorELNS0_4arch9wavefront6targetE1EEEvT1_
	.globl	_ZN7rocprim17ROCPRIM_400000_NS6detail17trampoline_kernelINS0_14default_configENS1_25partition_config_selectorILNS1_17partition_subalgoE3ExNS0_10empty_typeEbEEZZNS1_14partition_implILS5_3ELb0ES3_jN6thrust23THRUST_200600_302600_NS6detail15normal_iteratorINSA_7pointerIxNSA_11hip_rocprim3tagENSA_11use_defaultESG_EEEEPS6_SJ_NS0_5tupleIJPxSJ_EEENSK_IJSJ_SJ_EEES6_PlJ7is_evenIxEEEE10hipError_tPvRmT3_T4_T5_T6_T7_T9_mT8_P12ihipStream_tbDpT10_ENKUlT_T0_E_clISt17integral_constantIbLb1EES1A_EEDaS15_S16_EUlS15_E_NS1_11comp_targetILNS1_3genE2ELNS1_11target_archE906ELNS1_3gpuE6ELNS1_3repE0EEENS1_30default_config_static_selectorELNS0_4arch9wavefront6targetE1EEEvT1_
	.p2align	8
	.type	_ZN7rocprim17ROCPRIM_400000_NS6detail17trampoline_kernelINS0_14default_configENS1_25partition_config_selectorILNS1_17partition_subalgoE3ExNS0_10empty_typeEbEEZZNS1_14partition_implILS5_3ELb0ES3_jN6thrust23THRUST_200600_302600_NS6detail15normal_iteratorINSA_7pointerIxNSA_11hip_rocprim3tagENSA_11use_defaultESG_EEEEPS6_SJ_NS0_5tupleIJPxSJ_EEENSK_IJSJ_SJ_EEES6_PlJ7is_evenIxEEEE10hipError_tPvRmT3_T4_T5_T6_T7_T9_mT8_P12ihipStream_tbDpT10_ENKUlT_T0_E_clISt17integral_constantIbLb1EES1A_EEDaS15_S16_EUlS15_E_NS1_11comp_targetILNS1_3genE2ELNS1_11target_archE906ELNS1_3gpuE6ELNS1_3repE0EEENS1_30default_config_static_selectorELNS0_4arch9wavefront6targetE1EEEvT1_,@function
_ZN7rocprim17ROCPRIM_400000_NS6detail17trampoline_kernelINS0_14default_configENS1_25partition_config_selectorILNS1_17partition_subalgoE3ExNS0_10empty_typeEbEEZZNS1_14partition_implILS5_3ELb0ES3_jN6thrust23THRUST_200600_302600_NS6detail15normal_iteratorINSA_7pointerIxNSA_11hip_rocprim3tagENSA_11use_defaultESG_EEEEPS6_SJ_NS0_5tupleIJPxSJ_EEENSK_IJSJ_SJ_EEES6_PlJ7is_evenIxEEEE10hipError_tPvRmT3_T4_T5_T6_T7_T9_mT8_P12ihipStream_tbDpT10_ENKUlT_T0_E_clISt17integral_constantIbLb1EES1A_EEDaS15_S16_EUlS15_E_NS1_11comp_targetILNS1_3genE2ELNS1_11target_archE906ELNS1_3gpuE6ELNS1_3repE0EEENS1_30default_config_static_selectorELNS0_4arch9wavefront6targetE1EEEvT1_: ; @_ZN7rocprim17ROCPRIM_400000_NS6detail17trampoline_kernelINS0_14default_configENS1_25partition_config_selectorILNS1_17partition_subalgoE3ExNS0_10empty_typeEbEEZZNS1_14partition_implILS5_3ELb0ES3_jN6thrust23THRUST_200600_302600_NS6detail15normal_iteratorINSA_7pointerIxNSA_11hip_rocprim3tagENSA_11use_defaultESG_EEEEPS6_SJ_NS0_5tupleIJPxSJ_EEENSK_IJSJ_SJ_EEES6_PlJ7is_evenIxEEEE10hipError_tPvRmT3_T4_T5_T6_T7_T9_mT8_P12ihipStream_tbDpT10_ENKUlT_T0_E_clISt17integral_constantIbLb1EES1A_EEDaS15_S16_EUlS15_E_NS1_11comp_targetILNS1_3genE2ELNS1_11target_archE906ELNS1_3gpuE6ELNS1_3repE0EEENS1_30default_config_static_selectorELNS0_4arch9wavefront6targetE1EEEvT1_
; %bb.0:
	.section	.rodata,"a",@progbits
	.p2align	6, 0x0
	.amdhsa_kernel _ZN7rocprim17ROCPRIM_400000_NS6detail17trampoline_kernelINS0_14default_configENS1_25partition_config_selectorILNS1_17partition_subalgoE3ExNS0_10empty_typeEbEEZZNS1_14partition_implILS5_3ELb0ES3_jN6thrust23THRUST_200600_302600_NS6detail15normal_iteratorINSA_7pointerIxNSA_11hip_rocprim3tagENSA_11use_defaultESG_EEEEPS6_SJ_NS0_5tupleIJPxSJ_EEENSK_IJSJ_SJ_EEES6_PlJ7is_evenIxEEEE10hipError_tPvRmT3_T4_T5_T6_T7_T9_mT8_P12ihipStream_tbDpT10_ENKUlT_T0_E_clISt17integral_constantIbLb1EES1A_EEDaS15_S16_EUlS15_E_NS1_11comp_targetILNS1_3genE2ELNS1_11target_archE906ELNS1_3gpuE6ELNS1_3repE0EEENS1_30default_config_static_selectorELNS0_4arch9wavefront6targetE1EEEvT1_
		.amdhsa_group_segment_fixed_size 0
		.amdhsa_private_segment_fixed_size 0
		.amdhsa_kernarg_size 136
		.amdhsa_user_sgpr_count 6
		.amdhsa_user_sgpr_private_segment_buffer 1
		.amdhsa_user_sgpr_dispatch_ptr 0
		.amdhsa_user_sgpr_queue_ptr 0
		.amdhsa_user_sgpr_kernarg_segment_ptr 1
		.amdhsa_user_sgpr_dispatch_id 0
		.amdhsa_user_sgpr_flat_scratch_init 0
		.amdhsa_user_sgpr_kernarg_preload_length 0
		.amdhsa_user_sgpr_kernarg_preload_offset 0
		.amdhsa_user_sgpr_private_segment_size 0
		.amdhsa_uses_dynamic_stack 0
		.amdhsa_system_sgpr_private_segment_wavefront_offset 0
		.amdhsa_system_sgpr_workgroup_id_x 1
		.amdhsa_system_sgpr_workgroup_id_y 0
		.amdhsa_system_sgpr_workgroup_id_z 0
		.amdhsa_system_sgpr_workgroup_info 0
		.amdhsa_system_vgpr_workitem_id 0
		.amdhsa_next_free_vgpr 1
		.amdhsa_next_free_sgpr 0
		.amdhsa_accum_offset 4
		.amdhsa_reserve_vcc 0
		.amdhsa_reserve_flat_scratch 0
		.amdhsa_float_round_mode_32 0
		.amdhsa_float_round_mode_16_64 0
		.amdhsa_float_denorm_mode_32 3
		.amdhsa_float_denorm_mode_16_64 3
		.amdhsa_dx10_clamp 1
		.amdhsa_ieee_mode 1
		.amdhsa_fp16_overflow 0
		.amdhsa_tg_split 0
		.amdhsa_exception_fp_ieee_invalid_op 0
		.amdhsa_exception_fp_denorm_src 0
		.amdhsa_exception_fp_ieee_div_zero 0
		.amdhsa_exception_fp_ieee_overflow 0
		.amdhsa_exception_fp_ieee_underflow 0
		.amdhsa_exception_fp_ieee_inexact 0
		.amdhsa_exception_int_div_zero 0
	.end_amdhsa_kernel
	.section	.text._ZN7rocprim17ROCPRIM_400000_NS6detail17trampoline_kernelINS0_14default_configENS1_25partition_config_selectorILNS1_17partition_subalgoE3ExNS0_10empty_typeEbEEZZNS1_14partition_implILS5_3ELb0ES3_jN6thrust23THRUST_200600_302600_NS6detail15normal_iteratorINSA_7pointerIxNSA_11hip_rocprim3tagENSA_11use_defaultESG_EEEEPS6_SJ_NS0_5tupleIJPxSJ_EEENSK_IJSJ_SJ_EEES6_PlJ7is_evenIxEEEE10hipError_tPvRmT3_T4_T5_T6_T7_T9_mT8_P12ihipStream_tbDpT10_ENKUlT_T0_E_clISt17integral_constantIbLb1EES1A_EEDaS15_S16_EUlS15_E_NS1_11comp_targetILNS1_3genE2ELNS1_11target_archE906ELNS1_3gpuE6ELNS1_3repE0EEENS1_30default_config_static_selectorELNS0_4arch9wavefront6targetE1EEEvT1_,"axG",@progbits,_ZN7rocprim17ROCPRIM_400000_NS6detail17trampoline_kernelINS0_14default_configENS1_25partition_config_selectorILNS1_17partition_subalgoE3ExNS0_10empty_typeEbEEZZNS1_14partition_implILS5_3ELb0ES3_jN6thrust23THRUST_200600_302600_NS6detail15normal_iteratorINSA_7pointerIxNSA_11hip_rocprim3tagENSA_11use_defaultESG_EEEEPS6_SJ_NS0_5tupleIJPxSJ_EEENSK_IJSJ_SJ_EEES6_PlJ7is_evenIxEEEE10hipError_tPvRmT3_T4_T5_T6_T7_T9_mT8_P12ihipStream_tbDpT10_ENKUlT_T0_E_clISt17integral_constantIbLb1EES1A_EEDaS15_S16_EUlS15_E_NS1_11comp_targetILNS1_3genE2ELNS1_11target_archE906ELNS1_3gpuE6ELNS1_3repE0EEENS1_30default_config_static_selectorELNS0_4arch9wavefront6targetE1EEEvT1_,comdat
.Lfunc_end26:
	.size	_ZN7rocprim17ROCPRIM_400000_NS6detail17trampoline_kernelINS0_14default_configENS1_25partition_config_selectorILNS1_17partition_subalgoE3ExNS0_10empty_typeEbEEZZNS1_14partition_implILS5_3ELb0ES3_jN6thrust23THRUST_200600_302600_NS6detail15normal_iteratorINSA_7pointerIxNSA_11hip_rocprim3tagENSA_11use_defaultESG_EEEEPS6_SJ_NS0_5tupleIJPxSJ_EEENSK_IJSJ_SJ_EEES6_PlJ7is_evenIxEEEE10hipError_tPvRmT3_T4_T5_T6_T7_T9_mT8_P12ihipStream_tbDpT10_ENKUlT_T0_E_clISt17integral_constantIbLb1EES1A_EEDaS15_S16_EUlS15_E_NS1_11comp_targetILNS1_3genE2ELNS1_11target_archE906ELNS1_3gpuE6ELNS1_3repE0EEENS1_30default_config_static_selectorELNS0_4arch9wavefront6targetE1EEEvT1_, .Lfunc_end26-_ZN7rocprim17ROCPRIM_400000_NS6detail17trampoline_kernelINS0_14default_configENS1_25partition_config_selectorILNS1_17partition_subalgoE3ExNS0_10empty_typeEbEEZZNS1_14partition_implILS5_3ELb0ES3_jN6thrust23THRUST_200600_302600_NS6detail15normal_iteratorINSA_7pointerIxNSA_11hip_rocprim3tagENSA_11use_defaultESG_EEEEPS6_SJ_NS0_5tupleIJPxSJ_EEENSK_IJSJ_SJ_EEES6_PlJ7is_evenIxEEEE10hipError_tPvRmT3_T4_T5_T6_T7_T9_mT8_P12ihipStream_tbDpT10_ENKUlT_T0_E_clISt17integral_constantIbLb1EES1A_EEDaS15_S16_EUlS15_E_NS1_11comp_targetILNS1_3genE2ELNS1_11target_archE906ELNS1_3gpuE6ELNS1_3repE0EEENS1_30default_config_static_selectorELNS0_4arch9wavefront6targetE1EEEvT1_
                                        ; -- End function
	.section	.AMDGPU.csdata,"",@progbits
; Kernel info:
; codeLenInByte = 0
; NumSgprs: 4
; NumVgprs: 0
; NumAgprs: 0
; TotalNumVgprs: 0
; ScratchSize: 0
; MemoryBound: 0
; FloatMode: 240
; IeeeMode: 1
; LDSByteSize: 0 bytes/workgroup (compile time only)
; SGPRBlocks: 0
; VGPRBlocks: 0
; NumSGPRsForWavesPerEU: 4
; NumVGPRsForWavesPerEU: 1
; AccumOffset: 4
; Occupancy: 8
; WaveLimiterHint : 0
; COMPUTE_PGM_RSRC2:SCRATCH_EN: 0
; COMPUTE_PGM_RSRC2:USER_SGPR: 6
; COMPUTE_PGM_RSRC2:TRAP_HANDLER: 0
; COMPUTE_PGM_RSRC2:TGID_X_EN: 1
; COMPUTE_PGM_RSRC2:TGID_Y_EN: 0
; COMPUTE_PGM_RSRC2:TGID_Z_EN: 0
; COMPUTE_PGM_RSRC2:TIDIG_COMP_CNT: 0
; COMPUTE_PGM_RSRC3_GFX90A:ACCUM_OFFSET: 0
; COMPUTE_PGM_RSRC3_GFX90A:TG_SPLIT: 0
	.section	.text._ZN7rocprim17ROCPRIM_400000_NS6detail17trampoline_kernelINS0_14default_configENS1_25partition_config_selectorILNS1_17partition_subalgoE3ExNS0_10empty_typeEbEEZZNS1_14partition_implILS5_3ELb0ES3_jN6thrust23THRUST_200600_302600_NS6detail15normal_iteratorINSA_7pointerIxNSA_11hip_rocprim3tagENSA_11use_defaultESG_EEEEPS6_SJ_NS0_5tupleIJPxSJ_EEENSK_IJSJ_SJ_EEES6_PlJ7is_evenIxEEEE10hipError_tPvRmT3_T4_T5_T6_T7_T9_mT8_P12ihipStream_tbDpT10_ENKUlT_T0_E_clISt17integral_constantIbLb1EES1A_EEDaS15_S16_EUlS15_E_NS1_11comp_targetILNS1_3genE10ELNS1_11target_archE1200ELNS1_3gpuE4ELNS1_3repE0EEENS1_30default_config_static_selectorELNS0_4arch9wavefront6targetE1EEEvT1_,"axG",@progbits,_ZN7rocprim17ROCPRIM_400000_NS6detail17trampoline_kernelINS0_14default_configENS1_25partition_config_selectorILNS1_17partition_subalgoE3ExNS0_10empty_typeEbEEZZNS1_14partition_implILS5_3ELb0ES3_jN6thrust23THRUST_200600_302600_NS6detail15normal_iteratorINSA_7pointerIxNSA_11hip_rocprim3tagENSA_11use_defaultESG_EEEEPS6_SJ_NS0_5tupleIJPxSJ_EEENSK_IJSJ_SJ_EEES6_PlJ7is_evenIxEEEE10hipError_tPvRmT3_T4_T5_T6_T7_T9_mT8_P12ihipStream_tbDpT10_ENKUlT_T0_E_clISt17integral_constantIbLb1EES1A_EEDaS15_S16_EUlS15_E_NS1_11comp_targetILNS1_3genE10ELNS1_11target_archE1200ELNS1_3gpuE4ELNS1_3repE0EEENS1_30default_config_static_selectorELNS0_4arch9wavefront6targetE1EEEvT1_,comdat
	.protected	_ZN7rocprim17ROCPRIM_400000_NS6detail17trampoline_kernelINS0_14default_configENS1_25partition_config_selectorILNS1_17partition_subalgoE3ExNS0_10empty_typeEbEEZZNS1_14partition_implILS5_3ELb0ES3_jN6thrust23THRUST_200600_302600_NS6detail15normal_iteratorINSA_7pointerIxNSA_11hip_rocprim3tagENSA_11use_defaultESG_EEEEPS6_SJ_NS0_5tupleIJPxSJ_EEENSK_IJSJ_SJ_EEES6_PlJ7is_evenIxEEEE10hipError_tPvRmT3_T4_T5_T6_T7_T9_mT8_P12ihipStream_tbDpT10_ENKUlT_T0_E_clISt17integral_constantIbLb1EES1A_EEDaS15_S16_EUlS15_E_NS1_11comp_targetILNS1_3genE10ELNS1_11target_archE1200ELNS1_3gpuE4ELNS1_3repE0EEENS1_30default_config_static_selectorELNS0_4arch9wavefront6targetE1EEEvT1_ ; -- Begin function _ZN7rocprim17ROCPRIM_400000_NS6detail17trampoline_kernelINS0_14default_configENS1_25partition_config_selectorILNS1_17partition_subalgoE3ExNS0_10empty_typeEbEEZZNS1_14partition_implILS5_3ELb0ES3_jN6thrust23THRUST_200600_302600_NS6detail15normal_iteratorINSA_7pointerIxNSA_11hip_rocprim3tagENSA_11use_defaultESG_EEEEPS6_SJ_NS0_5tupleIJPxSJ_EEENSK_IJSJ_SJ_EEES6_PlJ7is_evenIxEEEE10hipError_tPvRmT3_T4_T5_T6_T7_T9_mT8_P12ihipStream_tbDpT10_ENKUlT_T0_E_clISt17integral_constantIbLb1EES1A_EEDaS15_S16_EUlS15_E_NS1_11comp_targetILNS1_3genE10ELNS1_11target_archE1200ELNS1_3gpuE4ELNS1_3repE0EEENS1_30default_config_static_selectorELNS0_4arch9wavefront6targetE1EEEvT1_
	.globl	_ZN7rocprim17ROCPRIM_400000_NS6detail17trampoline_kernelINS0_14default_configENS1_25partition_config_selectorILNS1_17partition_subalgoE3ExNS0_10empty_typeEbEEZZNS1_14partition_implILS5_3ELb0ES3_jN6thrust23THRUST_200600_302600_NS6detail15normal_iteratorINSA_7pointerIxNSA_11hip_rocprim3tagENSA_11use_defaultESG_EEEEPS6_SJ_NS0_5tupleIJPxSJ_EEENSK_IJSJ_SJ_EEES6_PlJ7is_evenIxEEEE10hipError_tPvRmT3_T4_T5_T6_T7_T9_mT8_P12ihipStream_tbDpT10_ENKUlT_T0_E_clISt17integral_constantIbLb1EES1A_EEDaS15_S16_EUlS15_E_NS1_11comp_targetILNS1_3genE10ELNS1_11target_archE1200ELNS1_3gpuE4ELNS1_3repE0EEENS1_30default_config_static_selectorELNS0_4arch9wavefront6targetE1EEEvT1_
	.p2align	8
	.type	_ZN7rocprim17ROCPRIM_400000_NS6detail17trampoline_kernelINS0_14default_configENS1_25partition_config_selectorILNS1_17partition_subalgoE3ExNS0_10empty_typeEbEEZZNS1_14partition_implILS5_3ELb0ES3_jN6thrust23THRUST_200600_302600_NS6detail15normal_iteratorINSA_7pointerIxNSA_11hip_rocprim3tagENSA_11use_defaultESG_EEEEPS6_SJ_NS0_5tupleIJPxSJ_EEENSK_IJSJ_SJ_EEES6_PlJ7is_evenIxEEEE10hipError_tPvRmT3_T4_T5_T6_T7_T9_mT8_P12ihipStream_tbDpT10_ENKUlT_T0_E_clISt17integral_constantIbLb1EES1A_EEDaS15_S16_EUlS15_E_NS1_11comp_targetILNS1_3genE10ELNS1_11target_archE1200ELNS1_3gpuE4ELNS1_3repE0EEENS1_30default_config_static_selectorELNS0_4arch9wavefront6targetE1EEEvT1_,@function
_ZN7rocprim17ROCPRIM_400000_NS6detail17trampoline_kernelINS0_14default_configENS1_25partition_config_selectorILNS1_17partition_subalgoE3ExNS0_10empty_typeEbEEZZNS1_14partition_implILS5_3ELb0ES3_jN6thrust23THRUST_200600_302600_NS6detail15normal_iteratorINSA_7pointerIxNSA_11hip_rocprim3tagENSA_11use_defaultESG_EEEEPS6_SJ_NS0_5tupleIJPxSJ_EEENSK_IJSJ_SJ_EEES6_PlJ7is_evenIxEEEE10hipError_tPvRmT3_T4_T5_T6_T7_T9_mT8_P12ihipStream_tbDpT10_ENKUlT_T0_E_clISt17integral_constantIbLb1EES1A_EEDaS15_S16_EUlS15_E_NS1_11comp_targetILNS1_3genE10ELNS1_11target_archE1200ELNS1_3gpuE4ELNS1_3repE0EEENS1_30default_config_static_selectorELNS0_4arch9wavefront6targetE1EEEvT1_: ; @_ZN7rocprim17ROCPRIM_400000_NS6detail17trampoline_kernelINS0_14default_configENS1_25partition_config_selectorILNS1_17partition_subalgoE3ExNS0_10empty_typeEbEEZZNS1_14partition_implILS5_3ELb0ES3_jN6thrust23THRUST_200600_302600_NS6detail15normal_iteratorINSA_7pointerIxNSA_11hip_rocprim3tagENSA_11use_defaultESG_EEEEPS6_SJ_NS0_5tupleIJPxSJ_EEENSK_IJSJ_SJ_EEES6_PlJ7is_evenIxEEEE10hipError_tPvRmT3_T4_T5_T6_T7_T9_mT8_P12ihipStream_tbDpT10_ENKUlT_T0_E_clISt17integral_constantIbLb1EES1A_EEDaS15_S16_EUlS15_E_NS1_11comp_targetILNS1_3genE10ELNS1_11target_archE1200ELNS1_3gpuE4ELNS1_3repE0EEENS1_30default_config_static_selectorELNS0_4arch9wavefront6targetE1EEEvT1_
; %bb.0:
	.section	.rodata,"a",@progbits
	.p2align	6, 0x0
	.amdhsa_kernel _ZN7rocprim17ROCPRIM_400000_NS6detail17trampoline_kernelINS0_14default_configENS1_25partition_config_selectorILNS1_17partition_subalgoE3ExNS0_10empty_typeEbEEZZNS1_14partition_implILS5_3ELb0ES3_jN6thrust23THRUST_200600_302600_NS6detail15normal_iteratorINSA_7pointerIxNSA_11hip_rocprim3tagENSA_11use_defaultESG_EEEEPS6_SJ_NS0_5tupleIJPxSJ_EEENSK_IJSJ_SJ_EEES6_PlJ7is_evenIxEEEE10hipError_tPvRmT3_T4_T5_T6_T7_T9_mT8_P12ihipStream_tbDpT10_ENKUlT_T0_E_clISt17integral_constantIbLb1EES1A_EEDaS15_S16_EUlS15_E_NS1_11comp_targetILNS1_3genE10ELNS1_11target_archE1200ELNS1_3gpuE4ELNS1_3repE0EEENS1_30default_config_static_selectorELNS0_4arch9wavefront6targetE1EEEvT1_
		.amdhsa_group_segment_fixed_size 0
		.amdhsa_private_segment_fixed_size 0
		.amdhsa_kernarg_size 136
		.amdhsa_user_sgpr_count 6
		.amdhsa_user_sgpr_private_segment_buffer 1
		.amdhsa_user_sgpr_dispatch_ptr 0
		.amdhsa_user_sgpr_queue_ptr 0
		.amdhsa_user_sgpr_kernarg_segment_ptr 1
		.amdhsa_user_sgpr_dispatch_id 0
		.amdhsa_user_sgpr_flat_scratch_init 0
		.amdhsa_user_sgpr_kernarg_preload_length 0
		.amdhsa_user_sgpr_kernarg_preload_offset 0
		.amdhsa_user_sgpr_private_segment_size 0
		.amdhsa_uses_dynamic_stack 0
		.amdhsa_system_sgpr_private_segment_wavefront_offset 0
		.amdhsa_system_sgpr_workgroup_id_x 1
		.amdhsa_system_sgpr_workgroup_id_y 0
		.amdhsa_system_sgpr_workgroup_id_z 0
		.amdhsa_system_sgpr_workgroup_info 0
		.amdhsa_system_vgpr_workitem_id 0
		.amdhsa_next_free_vgpr 1
		.amdhsa_next_free_sgpr 0
		.amdhsa_accum_offset 4
		.amdhsa_reserve_vcc 0
		.amdhsa_reserve_flat_scratch 0
		.amdhsa_float_round_mode_32 0
		.amdhsa_float_round_mode_16_64 0
		.amdhsa_float_denorm_mode_32 3
		.amdhsa_float_denorm_mode_16_64 3
		.amdhsa_dx10_clamp 1
		.amdhsa_ieee_mode 1
		.amdhsa_fp16_overflow 0
		.amdhsa_tg_split 0
		.amdhsa_exception_fp_ieee_invalid_op 0
		.amdhsa_exception_fp_denorm_src 0
		.amdhsa_exception_fp_ieee_div_zero 0
		.amdhsa_exception_fp_ieee_overflow 0
		.amdhsa_exception_fp_ieee_underflow 0
		.amdhsa_exception_fp_ieee_inexact 0
		.amdhsa_exception_int_div_zero 0
	.end_amdhsa_kernel
	.section	.text._ZN7rocprim17ROCPRIM_400000_NS6detail17trampoline_kernelINS0_14default_configENS1_25partition_config_selectorILNS1_17partition_subalgoE3ExNS0_10empty_typeEbEEZZNS1_14partition_implILS5_3ELb0ES3_jN6thrust23THRUST_200600_302600_NS6detail15normal_iteratorINSA_7pointerIxNSA_11hip_rocprim3tagENSA_11use_defaultESG_EEEEPS6_SJ_NS0_5tupleIJPxSJ_EEENSK_IJSJ_SJ_EEES6_PlJ7is_evenIxEEEE10hipError_tPvRmT3_T4_T5_T6_T7_T9_mT8_P12ihipStream_tbDpT10_ENKUlT_T0_E_clISt17integral_constantIbLb1EES1A_EEDaS15_S16_EUlS15_E_NS1_11comp_targetILNS1_3genE10ELNS1_11target_archE1200ELNS1_3gpuE4ELNS1_3repE0EEENS1_30default_config_static_selectorELNS0_4arch9wavefront6targetE1EEEvT1_,"axG",@progbits,_ZN7rocprim17ROCPRIM_400000_NS6detail17trampoline_kernelINS0_14default_configENS1_25partition_config_selectorILNS1_17partition_subalgoE3ExNS0_10empty_typeEbEEZZNS1_14partition_implILS5_3ELb0ES3_jN6thrust23THRUST_200600_302600_NS6detail15normal_iteratorINSA_7pointerIxNSA_11hip_rocprim3tagENSA_11use_defaultESG_EEEEPS6_SJ_NS0_5tupleIJPxSJ_EEENSK_IJSJ_SJ_EEES6_PlJ7is_evenIxEEEE10hipError_tPvRmT3_T4_T5_T6_T7_T9_mT8_P12ihipStream_tbDpT10_ENKUlT_T0_E_clISt17integral_constantIbLb1EES1A_EEDaS15_S16_EUlS15_E_NS1_11comp_targetILNS1_3genE10ELNS1_11target_archE1200ELNS1_3gpuE4ELNS1_3repE0EEENS1_30default_config_static_selectorELNS0_4arch9wavefront6targetE1EEEvT1_,comdat
.Lfunc_end27:
	.size	_ZN7rocprim17ROCPRIM_400000_NS6detail17trampoline_kernelINS0_14default_configENS1_25partition_config_selectorILNS1_17partition_subalgoE3ExNS0_10empty_typeEbEEZZNS1_14partition_implILS5_3ELb0ES3_jN6thrust23THRUST_200600_302600_NS6detail15normal_iteratorINSA_7pointerIxNSA_11hip_rocprim3tagENSA_11use_defaultESG_EEEEPS6_SJ_NS0_5tupleIJPxSJ_EEENSK_IJSJ_SJ_EEES6_PlJ7is_evenIxEEEE10hipError_tPvRmT3_T4_T5_T6_T7_T9_mT8_P12ihipStream_tbDpT10_ENKUlT_T0_E_clISt17integral_constantIbLb1EES1A_EEDaS15_S16_EUlS15_E_NS1_11comp_targetILNS1_3genE10ELNS1_11target_archE1200ELNS1_3gpuE4ELNS1_3repE0EEENS1_30default_config_static_selectorELNS0_4arch9wavefront6targetE1EEEvT1_, .Lfunc_end27-_ZN7rocprim17ROCPRIM_400000_NS6detail17trampoline_kernelINS0_14default_configENS1_25partition_config_selectorILNS1_17partition_subalgoE3ExNS0_10empty_typeEbEEZZNS1_14partition_implILS5_3ELb0ES3_jN6thrust23THRUST_200600_302600_NS6detail15normal_iteratorINSA_7pointerIxNSA_11hip_rocprim3tagENSA_11use_defaultESG_EEEEPS6_SJ_NS0_5tupleIJPxSJ_EEENSK_IJSJ_SJ_EEES6_PlJ7is_evenIxEEEE10hipError_tPvRmT3_T4_T5_T6_T7_T9_mT8_P12ihipStream_tbDpT10_ENKUlT_T0_E_clISt17integral_constantIbLb1EES1A_EEDaS15_S16_EUlS15_E_NS1_11comp_targetILNS1_3genE10ELNS1_11target_archE1200ELNS1_3gpuE4ELNS1_3repE0EEENS1_30default_config_static_selectorELNS0_4arch9wavefront6targetE1EEEvT1_
                                        ; -- End function
	.section	.AMDGPU.csdata,"",@progbits
; Kernel info:
; codeLenInByte = 0
; NumSgprs: 4
; NumVgprs: 0
; NumAgprs: 0
; TotalNumVgprs: 0
; ScratchSize: 0
; MemoryBound: 0
; FloatMode: 240
; IeeeMode: 1
; LDSByteSize: 0 bytes/workgroup (compile time only)
; SGPRBlocks: 0
; VGPRBlocks: 0
; NumSGPRsForWavesPerEU: 4
; NumVGPRsForWavesPerEU: 1
; AccumOffset: 4
; Occupancy: 8
; WaveLimiterHint : 0
; COMPUTE_PGM_RSRC2:SCRATCH_EN: 0
; COMPUTE_PGM_RSRC2:USER_SGPR: 6
; COMPUTE_PGM_RSRC2:TRAP_HANDLER: 0
; COMPUTE_PGM_RSRC2:TGID_X_EN: 1
; COMPUTE_PGM_RSRC2:TGID_Y_EN: 0
; COMPUTE_PGM_RSRC2:TGID_Z_EN: 0
; COMPUTE_PGM_RSRC2:TIDIG_COMP_CNT: 0
; COMPUTE_PGM_RSRC3_GFX90A:ACCUM_OFFSET: 0
; COMPUTE_PGM_RSRC3_GFX90A:TG_SPLIT: 0
	.section	.text._ZN7rocprim17ROCPRIM_400000_NS6detail17trampoline_kernelINS0_14default_configENS1_25partition_config_selectorILNS1_17partition_subalgoE3ExNS0_10empty_typeEbEEZZNS1_14partition_implILS5_3ELb0ES3_jN6thrust23THRUST_200600_302600_NS6detail15normal_iteratorINSA_7pointerIxNSA_11hip_rocprim3tagENSA_11use_defaultESG_EEEEPS6_SJ_NS0_5tupleIJPxSJ_EEENSK_IJSJ_SJ_EEES6_PlJ7is_evenIxEEEE10hipError_tPvRmT3_T4_T5_T6_T7_T9_mT8_P12ihipStream_tbDpT10_ENKUlT_T0_E_clISt17integral_constantIbLb1EES1A_EEDaS15_S16_EUlS15_E_NS1_11comp_targetILNS1_3genE9ELNS1_11target_archE1100ELNS1_3gpuE3ELNS1_3repE0EEENS1_30default_config_static_selectorELNS0_4arch9wavefront6targetE1EEEvT1_,"axG",@progbits,_ZN7rocprim17ROCPRIM_400000_NS6detail17trampoline_kernelINS0_14default_configENS1_25partition_config_selectorILNS1_17partition_subalgoE3ExNS0_10empty_typeEbEEZZNS1_14partition_implILS5_3ELb0ES3_jN6thrust23THRUST_200600_302600_NS6detail15normal_iteratorINSA_7pointerIxNSA_11hip_rocprim3tagENSA_11use_defaultESG_EEEEPS6_SJ_NS0_5tupleIJPxSJ_EEENSK_IJSJ_SJ_EEES6_PlJ7is_evenIxEEEE10hipError_tPvRmT3_T4_T5_T6_T7_T9_mT8_P12ihipStream_tbDpT10_ENKUlT_T0_E_clISt17integral_constantIbLb1EES1A_EEDaS15_S16_EUlS15_E_NS1_11comp_targetILNS1_3genE9ELNS1_11target_archE1100ELNS1_3gpuE3ELNS1_3repE0EEENS1_30default_config_static_selectorELNS0_4arch9wavefront6targetE1EEEvT1_,comdat
	.protected	_ZN7rocprim17ROCPRIM_400000_NS6detail17trampoline_kernelINS0_14default_configENS1_25partition_config_selectorILNS1_17partition_subalgoE3ExNS0_10empty_typeEbEEZZNS1_14partition_implILS5_3ELb0ES3_jN6thrust23THRUST_200600_302600_NS6detail15normal_iteratorINSA_7pointerIxNSA_11hip_rocprim3tagENSA_11use_defaultESG_EEEEPS6_SJ_NS0_5tupleIJPxSJ_EEENSK_IJSJ_SJ_EEES6_PlJ7is_evenIxEEEE10hipError_tPvRmT3_T4_T5_T6_T7_T9_mT8_P12ihipStream_tbDpT10_ENKUlT_T0_E_clISt17integral_constantIbLb1EES1A_EEDaS15_S16_EUlS15_E_NS1_11comp_targetILNS1_3genE9ELNS1_11target_archE1100ELNS1_3gpuE3ELNS1_3repE0EEENS1_30default_config_static_selectorELNS0_4arch9wavefront6targetE1EEEvT1_ ; -- Begin function _ZN7rocprim17ROCPRIM_400000_NS6detail17trampoline_kernelINS0_14default_configENS1_25partition_config_selectorILNS1_17partition_subalgoE3ExNS0_10empty_typeEbEEZZNS1_14partition_implILS5_3ELb0ES3_jN6thrust23THRUST_200600_302600_NS6detail15normal_iteratorINSA_7pointerIxNSA_11hip_rocprim3tagENSA_11use_defaultESG_EEEEPS6_SJ_NS0_5tupleIJPxSJ_EEENSK_IJSJ_SJ_EEES6_PlJ7is_evenIxEEEE10hipError_tPvRmT3_T4_T5_T6_T7_T9_mT8_P12ihipStream_tbDpT10_ENKUlT_T0_E_clISt17integral_constantIbLb1EES1A_EEDaS15_S16_EUlS15_E_NS1_11comp_targetILNS1_3genE9ELNS1_11target_archE1100ELNS1_3gpuE3ELNS1_3repE0EEENS1_30default_config_static_selectorELNS0_4arch9wavefront6targetE1EEEvT1_
	.globl	_ZN7rocprim17ROCPRIM_400000_NS6detail17trampoline_kernelINS0_14default_configENS1_25partition_config_selectorILNS1_17partition_subalgoE3ExNS0_10empty_typeEbEEZZNS1_14partition_implILS5_3ELb0ES3_jN6thrust23THRUST_200600_302600_NS6detail15normal_iteratorINSA_7pointerIxNSA_11hip_rocprim3tagENSA_11use_defaultESG_EEEEPS6_SJ_NS0_5tupleIJPxSJ_EEENSK_IJSJ_SJ_EEES6_PlJ7is_evenIxEEEE10hipError_tPvRmT3_T4_T5_T6_T7_T9_mT8_P12ihipStream_tbDpT10_ENKUlT_T0_E_clISt17integral_constantIbLb1EES1A_EEDaS15_S16_EUlS15_E_NS1_11comp_targetILNS1_3genE9ELNS1_11target_archE1100ELNS1_3gpuE3ELNS1_3repE0EEENS1_30default_config_static_selectorELNS0_4arch9wavefront6targetE1EEEvT1_
	.p2align	8
	.type	_ZN7rocprim17ROCPRIM_400000_NS6detail17trampoline_kernelINS0_14default_configENS1_25partition_config_selectorILNS1_17partition_subalgoE3ExNS0_10empty_typeEbEEZZNS1_14partition_implILS5_3ELb0ES3_jN6thrust23THRUST_200600_302600_NS6detail15normal_iteratorINSA_7pointerIxNSA_11hip_rocprim3tagENSA_11use_defaultESG_EEEEPS6_SJ_NS0_5tupleIJPxSJ_EEENSK_IJSJ_SJ_EEES6_PlJ7is_evenIxEEEE10hipError_tPvRmT3_T4_T5_T6_T7_T9_mT8_P12ihipStream_tbDpT10_ENKUlT_T0_E_clISt17integral_constantIbLb1EES1A_EEDaS15_S16_EUlS15_E_NS1_11comp_targetILNS1_3genE9ELNS1_11target_archE1100ELNS1_3gpuE3ELNS1_3repE0EEENS1_30default_config_static_selectorELNS0_4arch9wavefront6targetE1EEEvT1_,@function
_ZN7rocprim17ROCPRIM_400000_NS6detail17trampoline_kernelINS0_14default_configENS1_25partition_config_selectorILNS1_17partition_subalgoE3ExNS0_10empty_typeEbEEZZNS1_14partition_implILS5_3ELb0ES3_jN6thrust23THRUST_200600_302600_NS6detail15normal_iteratorINSA_7pointerIxNSA_11hip_rocprim3tagENSA_11use_defaultESG_EEEEPS6_SJ_NS0_5tupleIJPxSJ_EEENSK_IJSJ_SJ_EEES6_PlJ7is_evenIxEEEE10hipError_tPvRmT3_T4_T5_T6_T7_T9_mT8_P12ihipStream_tbDpT10_ENKUlT_T0_E_clISt17integral_constantIbLb1EES1A_EEDaS15_S16_EUlS15_E_NS1_11comp_targetILNS1_3genE9ELNS1_11target_archE1100ELNS1_3gpuE3ELNS1_3repE0EEENS1_30default_config_static_selectorELNS0_4arch9wavefront6targetE1EEEvT1_: ; @_ZN7rocprim17ROCPRIM_400000_NS6detail17trampoline_kernelINS0_14default_configENS1_25partition_config_selectorILNS1_17partition_subalgoE3ExNS0_10empty_typeEbEEZZNS1_14partition_implILS5_3ELb0ES3_jN6thrust23THRUST_200600_302600_NS6detail15normal_iteratorINSA_7pointerIxNSA_11hip_rocprim3tagENSA_11use_defaultESG_EEEEPS6_SJ_NS0_5tupleIJPxSJ_EEENSK_IJSJ_SJ_EEES6_PlJ7is_evenIxEEEE10hipError_tPvRmT3_T4_T5_T6_T7_T9_mT8_P12ihipStream_tbDpT10_ENKUlT_T0_E_clISt17integral_constantIbLb1EES1A_EEDaS15_S16_EUlS15_E_NS1_11comp_targetILNS1_3genE9ELNS1_11target_archE1100ELNS1_3gpuE3ELNS1_3repE0EEENS1_30default_config_static_selectorELNS0_4arch9wavefront6targetE1EEEvT1_
; %bb.0:
	.section	.rodata,"a",@progbits
	.p2align	6, 0x0
	.amdhsa_kernel _ZN7rocprim17ROCPRIM_400000_NS6detail17trampoline_kernelINS0_14default_configENS1_25partition_config_selectorILNS1_17partition_subalgoE3ExNS0_10empty_typeEbEEZZNS1_14partition_implILS5_3ELb0ES3_jN6thrust23THRUST_200600_302600_NS6detail15normal_iteratorINSA_7pointerIxNSA_11hip_rocprim3tagENSA_11use_defaultESG_EEEEPS6_SJ_NS0_5tupleIJPxSJ_EEENSK_IJSJ_SJ_EEES6_PlJ7is_evenIxEEEE10hipError_tPvRmT3_T4_T5_T6_T7_T9_mT8_P12ihipStream_tbDpT10_ENKUlT_T0_E_clISt17integral_constantIbLb1EES1A_EEDaS15_S16_EUlS15_E_NS1_11comp_targetILNS1_3genE9ELNS1_11target_archE1100ELNS1_3gpuE3ELNS1_3repE0EEENS1_30default_config_static_selectorELNS0_4arch9wavefront6targetE1EEEvT1_
		.amdhsa_group_segment_fixed_size 0
		.amdhsa_private_segment_fixed_size 0
		.amdhsa_kernarg_size 136
		.amdhsa_user_sgpr_count 6
		.amdhsa_user_sgpr_private_segment_buffer 1
		.amdhsa_user_sgpr_dispatch_ptr 0
		.amdhsa_user_sgpr_queue_ptr 0
		.amdhsa_user_sgpr_kernarg_segment_ptr 1
		.amdhsa_user_sgpr_dispatch_id 0
		.amdhsa_user_sgpr_flat_scratch_init 0
		.amdhsa_user_sgpr_kernarg_preload_length 0
		.amdhsa_user_sgpr_kernarg_preload_offset 0
		.amdhsa_user_sgpr_private_segment_size 0
		.amdhsa_uses_dynamic_stack 0
		.amdhsa_system_sgpr_private_segment_wavefront_offset 0
		.amdhsa_system_sgpr_workgroup_id_x 1
		.amdhsa_system_sgpr_workgroup_id_y 0
		.amdhsa_system_sgpr_workgroup_id_z 0
		.amdhsa_system_sgpr_workgroup_info 0
		.amdhsa_system_vgpr_workitem_id 0
		.amdhsa_next_free_vgpr 1
		.amdhsa_next_free_sgpr 0
		.amdhsa_accum_offset 4
		.amdhsa_reserve_vcc 0
		.amdhsa_reserve_flat_scratch 0
		.amdhsa_float_round_mode_32 0
		.amdhsa_float_round_mode_16_64 0
		.amdhsa_float_denorm_mode_32 3
		.amdhsa_float_denorm_mode_16_64 3
		.amdhsa_dx10_clamp 1
		.amdhsa_ieee_mode 1
		.amdhsa_fp16_overflow 0
		.amdhsa_tg_split 0
		.amdhsa_exception_fp_ieee_invalid_op 0
		.amdhsa_exception_fp_denorm_src 0
		.amdhsa_exception_fp_ieee_div_zero 0
		.amdhsa_exception_fp_ieee_overflow 0
		.amdhsa_exception_fp_ieee_underflow 0
		.amdhsa_exception_fp_ieee_inexact 0
		.amdhsa_exception_int_div_zero 0
	.end_amdhsa_kernel
	.section	.text._ZN7rocprim17ROCPRIM_400000_NS6detail17trampoline_kernelINS0_14default_configENS1_25partition_config_selectorILNS1_17partition_subalgoE3ExNS0_10empty_typeEbEEZZNS1_14partition_implILS5_3ELb0ES3_jN6thrust23THRUST_200600_302600_NS6detail15normal_iteratorINSA_7pointerIxNSA_11hip_rocprim3tagENSA_11use_defaultESG_EEEEPS6_SJ_NS0_5tupleIJPxSJ_EEENSK_IJSJ_SJ_EEES6_PlJ7is_evenIxEEEE10hipError_tPvRmT3_T4_T5_T6_T7_T9_mT8_P12ihipStream_tbDpT10_ENKUlT_T0_E_clISt17integral_constantIbLb1EES1A_EEDaS15_S16_EUlS15_E_NS1_11comp_targetILNS1_3genE9ELNS1_11target_archE1100ELNS1_3gpuE3ELNS1_3repE0EEENS1_30default_config_static_selectorELNS0_4arch9wavefront6targetE1EEEvT1_,"axG",@progbits,_ZN7rocprim17ROCPRIM_400000_NS6detail17trampoline_kernelINS0_14default_configENS1_25partition_config_selectorILNS1_17partition_subalgoE3ExNS0_10empty_typeEbEEZZNS1_14partition_implILS5_3ELb0ES3_jN6thrust23THRUST_200600_302600_NS6detail15normal_iteratorINSA_7pointerIxNSA_11hip_rocprim3tagENSA_11use_defaultESG_EEEEPS6_SJ_NS0_5tupleIJPxSJ_EEENSK_IJSJ_SJ_EEES6_PlJ7is_evenIxEEEE10hipError_tPvRmT3_T4_T5_T6_T7_T9_mT8_P12ihipStream_tbDpT10_ENKUlT_T0_E_clISt17integral_constantIbLb1EES1A_EEDaS15_S16_EUlS15_E_NS1_11comp_targetILNS1_3genE9ELNS1_11target_archE1100ELNS1_3gpuE3ELNS1_3repE0EEENS1_30default_config_static_selectorELNS0_4arch9wavefront6targetE1EEEvT1_,comdat
.Lfunc_end28:
	.size	_ZN7rocprim17ROCPRIM_400000_NS6detail17trampoline_kernelINS0_14default_configENS1_25partition_config_selectorILNS1_17partition_subalgoE3ExNS0_10empty_typeEbEEZZNS1_14partition_implILS5_3ELb0ES3_jN6thrust23THRUST_200600_302600_NS6detail15normal_iteratorINSA_7pointerIxNSA_11hip_rocprim3tagENSA_11use_defaultESG_EEEEPS6_SJ_NS0_5tupleIJPxSJ_EEENSK_IJSJ_SJ_EEES6_PlJ7is_evenIxEEEE10hipError_tPvRmT3_T4_T5_T6_T7_T9_mT8_P12ihipStream_tbDpT10_ENKUlT_T0_E_clISt17integral_constantIbLb1EES1A_EEDaS15_S16_EUlS15_E_NS1_11comp_targetILNS1_3genE9ELNS1_11target_archE1100ELNS1_3gpuE3ELNS1_3repE0EEENS1_30default_config_static_selectorELNS0_4arch9wavefront6targetE1EEEvT1_, .Lfunc_end28-_ZN7rocprim17ROCPRIM_400000_NS6detail17trampoline_kernelINS0_14default_configENS1_25partition_config_selectorILNS1_17partition_subalgoE3ExNS0_10empty_typeEbEEZZNS1_14partition_implILS5_3ELb0ES3_jN6thrust23THRUST_200600_302600_NS6detail15normal_iteratorINSA_7pointerIxNSA_11hip_rocprim3tagENSA_11use_defaultESG_EEEEPS6_SJ_NS0_5tupleIJPxSJ_EEENSK_IJSJ_SJ_EEES6_PlJ7is_evenIxEEEE10hipError_tPvRmT3_T4_T5_T6_T7_T9_mT8_P12ihipStream_tbDpT10_ENKUlT_T0_E_clISt17integral_constantIbLb1EES1A_EEDaS15_S16_EUlS15_E_NS1_11comp_targetILNS1_3genE9ELNS1_11target_archE1100ELNS1_3gpuE3ELNS1_3repE0EEENS1_30default_config_static_selectorELNS0_4arch9wavefront6targetE1EEEvT1_
                                        ; -- End function
	.section	.AMDGPU.csdata,"",@progbits
; Kernel info:
; codeLenInByte = 0
; NumSgprs: 4
; NumVgprs: 0
; NumAgprs: 0
; TotalNumVgprs: 0
; ScratchSize: 0
; MemoryBound: 0
; FloatMode: 240
; IeeeMode: 1
; LDSByteSize: 0 bytes/workgroup (compile time only)
; SGPRBlocks: 0
; VGPRBlocks: 0
; NumSGPRsForWavesPerEU: 4
; NumVGPRsForWavesPerEU: 1
; AccumOffset: 4
; Occupancy: 8
; WaveLimiterHint : 0
; COMPUTE_PGM_RSRC2:SCRATCH_EN: 0
; COMPUTE_PGM_RSRC2:USER_SGPR: 6
; COMPUTE_PGM_RSRC2:TRAP_HANDLER: 0
; COMPUTE_PGM_RSRC2:TGID_X_EN: 1
; COMPUTE_PGM_RSRC2:TGID_Y_EN: 0
; COMPUTE_PGM_RSRC2:TGID_Z_EN: 0
; COMPUTE_PGM_RSRC2:TIDIG_COMP_CNT: 0
; COMPUTE_PGM_RSRC3_GFX90A:ACCUM_OFFSET: 0
; COMPUTE_PGM_RSRC3_GFX90A:TG_SPLIT: 0
	.section	.text._ZN7rocprim17ROCPRIM_400000_NS6detail17trampoline_kernelINS0_14default_configENS1_25partition_config_selectorILNS1_17partition_subalgoE3ExNS0_10empty_typeEbEEZZNS1_14partition_implILS5_3ELb0ES3_jN6thrust23THRUST_200600_302600_NS6detail15normal_iteratorINSA_7pointerIxNSA_11hip_rocprim3tagENSA_11use_defaultESG_EEEEPS6_SJ_NS0_5tupleIJPxSJ_EEENSK_IJSJ_SJ_EEES6_PlJ7is_evenIxEEEE10hipError_tPvRmT3_T4_T5_T6_T7_T9_mT8_P12ihipStream_tbDpT10_ENKUlT_T0_E_clISt17integral_constantIbLb1EES1A_EEDaS15_S16_EUlS15_E_NS1_11comp_targetILNS1_3genE8ELNS1_11target_archE1030ELNS1_3gpuE2ELNS1_3repE0EEENS1_30default_config_static_selectorELNS0_4arch9wavefront6targetE1EEEvT1_,"axG",@progbits,_ZN7rocprim17ROCPRIM_400000_NS6detail17trampoline_kernelINS0_14default_configENS1_25partition_config_selectorILNS1_17partition_subalgoE3ExNS0_10empty_typeEbEEZZNS1_14partition_implILS5_3ELb0ES3_jN6thrust23THRUST_200600_302600_NS6detail15normal_iteratorINSA_7pointerIxNSA_11hip_rocprim3tagENSA_11use_defaultESG_EEEEPS6_SJ_NS0_5tupleIJPxSJ_EEENSK_IJSJ_SJ_EEES6_PlJ7is_evenIxEEEE10hipError_tPvRmT3_T4_T5_T6_T7_T9_mT8_P12ihipStream_tbDpT10_ENKUlT_T0_E_clISt17integral_constantIbLb1EES1A_EEDaS15_S16_EUlS15_E_NS1_11comp_targetILNS1_3genE8ELNS1_11target_archE1030ELNS1_3gpuE2ELNS1_3repE0EEENS1_30default_config_static_selectorELNS0_4arch9wavefront6targetE1EEEvT1_,comdat
	.protected	_ZN7rocprim17ROCPRIM_400000_NS6detail17trampoline_kernelINS0_14default_configENS1_25partition_config_selectorILNS1_17partition_subalgoE3ExNS0_10empty_typeEbEEZZNS1_14partition_implILS5_3ELb0ES3_jN6thrust23THRUST_200600_302600_NS6detail15normal_iteratorINSA_7pointerIxNSA_11hip_rocprim3tagENSA_11use_defaultESG_EEEEPS6_SJ_NS0_5tupleIJPxSJ_EEENSK_IJSJ_SJ_EEES6_PlJ7is_evenIxEEEE10hipError_tPvRmT3_T4_T5_T6_T7_T9_mT8_P12ihipStream_tbDpT10_ENKUlT_T0_E_clISt17integral_constantIbLb1EES1A_EEDaS15_S16_EUlS15_E_NS1_11comp_targetILNS1_3genE8ELNS1_11target_archE1030ELNS1_3gpuE2ELNS1_3repE0EEENS1_30default_config_static_selectorELNS0_4arch9wavefront6targetE1EEEvT1_ ; -- Begin function _ZN7rocprim17ROCPRIM_400000_NS6detail17trampoline_kernelINS0_14default_configENS1_25partition_config_selectorILNS1_17partition_subalgoE3ExNS0_10empty_typeEbEEZZNS1_14partition_implILS5_3ELb0ES3_jN6thrust23THRUST_200600_302600_NS6detail15normal_iteratorINSA_7pointerIxNSA_11hip_rocprim3tagENSA_11use_defaultESG_EEEEPS6_SJ_NS0_5tupleIJPxSJ_EEENSK_IJSJ_SJ_EEES6_PlJ7is_evenIxEEEE10hipError_tPvRmT3_T4_T5_T6_T7_T9_mT8_P12ihipStream_tbDpT10_ENKUlT_T0_E_clISt17integral_constantIbLb1EES1A_EEDaS15_S16_EUlS15_E_NS1_11comp_targetILNS1_3genE8ELNS1_11target_archE1030ELNS1_3gpuE2ELNS1_3repE0EEENS1_30default_config_static_selectorELNS0_4arch9wavefront6targetE1EEEvT1_
	.globl	_ZN7rocprim17ROCPRIM_400000_NS6detail17trampoline_kernelINS0_14default_configENS1_25partition_config_selectorILNS1_17partition_subalgoE3ExNS0_10empty_typeEbEEZZNS1_14partition_implILS5_3ELb0ES3_jN6thrust23THRUST_200600_302600_NS6detail15normal_iteratorINSA_7pointerIxNSA_11hip_rocprim3tagENSA_11use_defaultESG_EEEEPS6_SJ_NS0_5tupleIJPxSJ_EEENSK_IJSJ_SJ_EEES6_PlJ7is_evenIxEEEE10hipError_tPvRmT3_T4_T5_T6_T7_T9_mT8_P12ihipStream_tbDpT10_ENKUlT_T0_E_clISt17integral_constantIbLb1EES1A_EEDaS15_S16_EUlS15_E_NS1_11comp_targetILNS1_3genE8ELNS1_11target_archE1030ELNS1_3gpuE2ELNS1_3repE0EEENS1_30default_config_static_selectorELNS0_4arch9wavefront6targetE1EEEvT1_
	.p2align	8
	.type	_ZN7rocprim17ROCPRIM_400000_NS6detail17trampoline_kernelINS0_14default_configENS1_25partition_config_selectorILNS1_17partition_subalgoE3ExNS0_10empty_typeEbEEZZNS1_14partition_implILS5_3ELb0ES3_jN6thrust23THRUST_200600_302600_NS6detail15normal_iteratorINSA_7pointerIxNSA_11hip_rocprim3tagENSA_11use_defaultESG_EEEEPS6_SJ_NS0_5tupleIJPxSJ_EEENSK_IJSJ_SJ_EEES6_PlJ7is_evenIxEEEE10hipError_tPvRmT3_T4_T5_T6_T7_T9_mT8_P12ihipStream_tbDpT10_ENKUlT_T0_E_clISt17integral_constantIbLb1EES1A_EEDaS15_S16_EUlS15_E_NS1_11comp_targetILNS1_3genE8ELNS1_11target_archE1030ELNS1_3gpuE2ELNS1_3repE0EEENS1_30default_config_static_selectorELNS0_4arch9wavefront6targetE1EEEvT1_,@function
_ZN7rocprim17ROCPRIM_400000_NS6detail17trampoline_kernelINS0_14default_configENS1_25partition_config_selectorILNS1_17partition_subalgoE3ExNS0_10empty_typeEbEEZZNS1_14partition_implILS5_3ELb0ES3_jN6thrust23THRUST_200600_302600_NS6detail15normal_iteratorINSA_7pointerIxNSA_11hip_rocprim3tagENSA_11use_defaultESG_EEEEPS6_SJ_NS0_5tupleIJPxSJ_EEENSK_IJSJ_SJ_EEES6_PlJ7is_evenIxEEEE10hipError_tPvRmT3_T4_T5_T6_T7_T9_mT8_P12ihipStream_tbDpT10_ENKUlT_T0_E_clISt17integral_constantIbLb1EES1A_EEDaS15_S16_EUlS15_E_NS1_11comp_targetILNS1_3genE8ELNS1_11target_archE1030ELNS1_3gpuE2ELNS1_3repE0EEENS1_30default_config_static_selectorELNS0_4arch9wavefront6targetE1EEEvT1_: ; @_ZN7rocprim17ROCPRIM_400000_NS6detail17trampoline_kernelINS0_14default_configENS1_25partition_config_selectorILNS1_17partition_subalgoE3ExNS0_10empty_typeEbEEZZNS1_14partition_implILS5_3ELb0ES3_jN6thrust23THRUST_200600_302600_NS6detail15normal_iteratorINSA_7pointerIxNSA_11hip_rocprim3tagENSA_11use_defaultESG_EEEEPS6_SJ_NS0_5tupleIJPxSJ_EEENSK_IJSJ_SJ_EEES6_PlJ7is_evenIxEEEE10hipError_tPvRmT3_T4_T5_T6_T7_T9_mT8_P12ihipStream_tbDpT10_ENKUlT_T0_E_clISt17integral_constantIbLb1EES1A_EEDaS15_S16_EUlS15_E_NS1_11comp_targetILNS1_3genE8ELNS1_11target_archE1030ELNS1_3gpuE2ELNS1_3repE0EEENS1_30default_config_static_selectorELNS0_4arch9wavefront6targetE1EEEvT1_
; %bb.0:
	.section	.rodata,"a",@progbits
	.p2align	6, 0x0
	.amdhsa_kernel _ZN7rocprim17ROCPRIM_400000_NS6detail17trampoline_kernelINS0_14default_configENS1_25partition_config_selectorILNS1_17partition_subalgoE3ExNS0_10empty_typeEbEEZZNS1_14partition_implILS5_3ELb0ES3_jN6thrust23THRUST_200600_302600_NS6detail15normal_iteratorINSA_7pointerIxNSA_11hip_rocprim3tagENSA_11use_defaultESG_EEEEPS6_SJ_NS0_5tupleIJPxSJ_EEENSK_IJSJ_SJ_EEES6_PlJ7is_evenIxEEEE10hipError_tPvRmT3_T4_T5_T6_T7_T9_mT8_P12ihipStream_tbDpT10_ENKUlT_T0_E_clISt17integral_constantIbLb1EES1A_EEDaS15_S16_EUlS15_E_NS1_11comp_targetILNS1_3genE8ELNS1_11target_archE1030ELNS1_3gpuE2ELNS1_3repE0EEENS1_30default_config_static_selectorELNS0_4arch9wavefront6targetE1EEEvT1_
		.amdhsa_group_segment_fixed_size 0
		.amdhsa_private_segment_fixed_size 0
		.amdhsa_kernarg_size 136
		.amdhsa_user_sgpr_count 6
		.amdhsa_user_sgpr_private_segment_buffer 1
		.amdhsa_user_sgpr_dispatch_ptr 0
		.amdhsa_user_sgpr_queue_ptr 0
		.amdhsa_user_sgpr_kernarg_segment_ptr 1
		.amdhsa_user_sgpr_dispatch_id 0
		.amdhsa_user_sgpr_flat_scratch_init 0
		.amdhsa_user_sgpr_kernarg_preload_length 0
		.amdhsa_user_sgpr_kernarg_preload_offset 0
		.amdhsa_user_sgpr_private_segment_size 0
		.amdhsa_uses_dynamic_stack 0
		.amdhsa_system_sgpr_private_segment_wavefront_offset 0
		.amdhsa_system_sgpr_workgroup_id_x 1
		.amdhsa_system_sgpr_workgroup_id_y 0
		.amdhsa_system_sgpr_workgroup_id_z 0
		.amdhsa_system_sgpr_workgroup_info 0
		.amdhsa_system_vgpr_workitem_id 0
		.amdhsa_next_free_vgpr 1
		.amdhsa_next_free_sgpr 0
		.amdhsa_accum_offset 4
		.amdhsa_reserve_vcc 0
		.amdhsa_reserve_flat_scratch 0
		.amdhsa_float_round_mode_32 0
		.amdhsa_float_round_mode_16_64 0
		.amdhsa_float_denorm_mode_32 3
		.amdhsa_float_denorm_mode_16_64 3
		.amdhsa_dx10_clamp 1
		.amdhsa_ieee_mode 1
		.amdhsa_fp16_overflow 0
		.amdhsa_tg_split 0
		.amdhsa_exception_fp_ieee_invalid_op 0
		.amdhsa_exception_fp_denorm_src 0
		.amdhsa_exception_fp_ieee_div_zero 0
		.amdhsa_exception_fp_ieee_overflow 0
		.amdhsa_exception_fp_ieee_underflow 0
		.amdhsa_exception_fp_ieee_inexact 0
		.amdhsa_exception_int_div_zero 0
	.end_amdhsa_kernel
	.section	.text._ZN7rocprim17ROCPRIM_400000_NS6detail17trampoline_kernelINS0_14default_configENS1_25partition_config_selectorILNS1_17partition_subalgoE3ExNS0_10empty_typeEbEEZZNS1_14partition_implILS5_3ELb0ES3_jN6thrust23THRUST_200600_302600_NS6detail15normal_iteratorINSA_7pointerIxNSA_11hip_rocprim3tagENSA_11use_defaultESG_EEEEPS6_SJ_NS0_5tupleIJPxSJ_EEENSK_IJSJ_SJ_EEES6_PlJ7is_evenIxEEEE10hipError_tPvRmT3_T4_T5_T6_T7_T9_mT8_P12ihipStream_tbDpT10_ENKUlT_T0_E_clISt17integral_constantIbLb1EES1A_EEDaS15_S16_EUlS15_E_NS1_11comp_targetILNS1_3genE8ELNS1_11target_archE1030ELNS1_3gpuE2ELNS1_3repE0EEENS1_30default_config_static_selectorELNS0_4arch9wavefront6targetE1EEEvT1_,"axG",@progbits,_ZN7rocprim17ROCPRIM_400000_NS6detail17trampoline_kernelINS0_14default_configENS1_25partition_config_selectorILNS1_17partition_subalgoE3ExNS0_10empty_typeEbEEZZNS1_14partition_implILS5_3ELb0ES3_jN6thrust23THRUST_200600_302600_NS6detail15normal_iteratorINSA_7pointerIxNSA_11hip_rocprim3tagENSA_11use_defaultESG_EEEEPS6_SJ_NS0_5tupleIJPxSJ_EEENSK_IJSJ_SJ_EEES6_PlJ7is_evenIxEEEE10hipError_tPvRmT3_T4_T5_T6_T7_T9_mT8_P12ihipStream_tbDpT10_ENKUlT_T0_E_clISt17integral_constantIbLb1EES1A_EEDaS15_S16_EUlS15_E_NS1_11comp_targetILNS1_3genE8ELNS1_11target_archE1030ELNS1_3gpuE2ELNS1_3repE0EEENS1_30default_config_static_selectorELNS0_4arch9wavefront6targetE1EEEvT1_,comdat
.Lfunc_end29:
	.size	_ZN7rocprim17ROCPRIM_400000_NS6detail17trampoline_kernelINS0_14default_configENS1_25partition_config_selectorILNS1_17partition_subalgoE3ExNS0_10empty_typeEbEEZZNS1_14partition_implILS5_3ELb0ES3_jN6thrust23THRUST_200600_302600_NS6detail15normal_iteratorINSA_7pointerIxNSA_11hip_rocprim3tagENSA_11use_defaultESG_EEEEPS6_SJ_NS0_5tupleIJPxSJ_EEENSK_IJSJ_SJ_EEES6_PlJ7is_evenIxEEEE10hipError_tPvRmT3_T4_T5_T6_T7_T9_mT8_P12ihipStream_tbDpT10_ENKUlT_T0_E_clISt17integral_constantIbLb1EES1A_EEDaS15_S16_EUlS15_E_NS1_11comp_targetILNS1_3genE8ELNS1_11target_archE1030ELNS1_3gpuE2ELNS1_3repE0EEENS1_30default_config_static_selectorELNS0_4arch9wavefront6targetE1EEEvT1_, .Lfunc_end29-_ZN7rocprim17ROCPRIM_400000_NS6detail17trampoline_kernelINS0_14default_configENS1_25partition_config_selectorILNS1_17partition_subalgoE3ExNS0_10empty_typeEbEEZZNS1_14partition_implILS5_3ELb0ES3_jN6thrust23THRUST_200600_302600_NS6detail15normal_iteratorINSA_7pointerIxNSA_11hip_rocprim3tagENSA_11use_defaultESG_EEEEPS6_SJ_NS0_5tupleIJPxSJ_EEENSK_IJSJ_SJ_EEES6_PlJ7is_evenIxEEEE10hipError_tPvRmT3_T4_T5_T6_T7_T9_mT8_P12ihipStream_tbDpT10_ENKUlT_T0_E_clISt17integral_constantIbLb1EES1A_EEDaS15_S16_EUlS15_E_NS1_11comp_targetILNS1_3genE8ELNS1_11target_archE1030ELNS1_3gpuE2ELNS1_3repE0EEENS1_30default_config_static_selectorELNS0_4arch9wavefront6targetE1EEEvT1_
                                        ; -- End function
	.section	.AMDGPU.csdata,"",@progbits
; Kernel info:
; codeLenInByte = 0
; NumSgprs: 4
; NumVgprs: 0
; NumAgprs: 0
; TotalNumVgprs: 0
; ScratchSize: 0
; MemoryBound: 0
; FloatMode: 240
; IeeeMode: 1
; LDSByteSize: 0 bytes/workgroup (compile time only)
; SGPRBlocks: 0
; VGPRBlocks: 0
; NumSGPRsForWavesPerEU: 4
; NumVGPRsForWavesPerEU: 1
; AccumOffset: 4
; Occupancy: 8
; WaveLimiterHint : 0
; COMPUTE_PGM_RSRC2:SCRATCH_EN: 0
; COMPUTE_PGM_RSRC2:USER_SGPR: 6
; COMPUTE_PGM_RSRC2:TRAP_HANDLER: 0
; COMPUTE_PGM_RSRC2:TGID_X_EN: 1
; COMPUTE_PGM_RSRC2:TGID_Y_EN: 0
; COMPUTE_PGM_RSRC2:TGID_Z_EN: 0
; COMPUTE_PGM_RSRC2:TIDIG_COMP_CNT: 0
; COMPUTE_PGM_RSRC3_GFX90A:ACCUM_OFFSET: 0
; COMPUTE_PGM_RSRC3_GFX90A:TG_SPLIT: 0
	.section	.text._ZN7rocprim17ROCPRIM_400000_NS6detail31init_lookback_scan_state_kernelINS1_19lookback_scan_stateIjLb1ELb1EEENS1_16block_id_wrapperIjLb0EEEEEvT_jT0_jPNS7_10value_typeE,"axG",@progbits,_ZN7rocprim17ROCPRIM_400000_NS6detail31init_lookback_scan_state_kernelINS1_19lookback_scan_stateIjLb1ELb1EEENS1_16block_id_wrapperIjLb0EEEEEvT_jT0_jPNS7_10value_typeE,comdat
	.protected	_ZN7rocprim17ROCPRIM_400000_NS6detail31init_lookback_scan_state_kernelINS1_19lookback_scan_stateIjLb1ELb1EEENS1_16block_id_wrapperIjLb0EEEEEvT_jT0_jPNS7_10value_typeE ; -- Begin function _ZN7rocprim17ROCPRIM_400000_NS6detail31init_lookback_scan_state_kernelINS1_19lookback_scan_stateIjLb1ELb1EEENS1_16block_id_wrapperIjLb0EEEEEvT_jT0_jPNS7_10value_typeE
	.globl	_ZN7rocprim17ROCPRIM_400000_NS6detail31init_lookback_scan_state_kernelINS1_19lookback_scan_stateIjLb1ELb1EEENS1_16block_id_wrapperIjLb0EEEEEvT_jT0_jPNS7_10value_typeE
	.p2align	8
	.type	_ZN7rocprim17ROCPRIM_400000_NS6detail31init_lookback_scan_state_kernelINS1_19lookback_scan_stateIjLb1ELb1EEENS1_16block_id_wrapperIjLb0EEEEEvT_jT0_jPNS7_10value_typeE,@function
_ZN7rocprim17ROCPRIM_400000_NS6detail31init_lookback_scan_state_kernelINS1_19lookback_scan_stateIjLb1ELb1EEENS1_16block_id_wrapperIjLb0EEEEEvT_jT0_jPNS7_10value_typeE: ; @_ZN7rocprim17ROCPRIM_400000_NS6detail31init_lookback_scan_state_kernelINS1_19lookback_scan_stateIjLb1ELb1EEENS1_16block_id_wrapperIjLb0EEEEEvT_jT0_jPNS7_10value_typeE
; %bb.0:
	s_load_dword s7, s[4:5], 0x2c
	s_load_dwordx2 s[2:3], s[4:5], 0x18
	s_load_dwordx2 s[0:1], s[4:5], 0x0
	s_load_dword s8, s[4:5], 0x8
	s_waitcnt lgkmcnt(0)
	s_and_b32 s7, s7, 0xffff
	s_mul_i32 s6, s6, s7
	s_cmp_eq_u64 s[2:3], 0
	v_add_u32_e32 v0, s6, v0
	s_cbranch_scc1 .LBB30_9
; %bb.1:
	s_load_dword s6, s[4:5], 0x10
	s_mov_b32 s7, 0
	s_waitcnt lgkmcnt(0)
	s_cmp_lt_u32 s6, s8
	s_cselect_b32 s4, s6, 0
	v_cmp_eq_u32_e32 vcc, s4, v0
	s_and_saveexec_b64 s[4:5], vcc
	s_cbranch_execz .LBB30_8
; %bb.2:
	s_add_i32 s6, s6, 64
	s_lshl_b64 s[6:7], s[6:7], 3
	s_add_u32 s6, s0, s6
	s_addc_u32 s7, s1, s7
	v_mov_b32_e32 v2, 0
	global_load_dwordx2 v[4:5], v2, s[6:7] glc
	s_waitcnt vmcnt(0)
	v_and_b32_e32 v3, 0xff, v5
	v_cmp_ne_u64_e32 vcc, 0, v[2:3]
	s_cbranch_vccnz .LBB30_7
; %bb.3:
	s_mov_b32 s9, 1
.LBB30_4:                               ; =>This Loop Header: Depth=1
                                        ;     Child Loop BB30_5 Depth 2
	s_max_u32 s10, s9, 1
.LBB30_5:                               ;   Parent Loop BB30_4 Depth=1
                                        ; =>  This Inner Loop Header: Depth=2
	s_add_i32 s10, s10, -1
	s_cmp_eq_u32 s10, 0
	s_sleep 1
	s_cbranch_scc0 .LBB30_5
; %bb.6:                                ;   in Loop: Header=BB30_4 Depth=1
	global_load_dwordx2 v[4:5], v2, s[6:7] glc
	s_cmp_lt_u32 s9, 32
	s_cselect_b64 s[10:11], -1, 0
	s_cmp_lg_u64 s[10:11], 0
	s_addc_u32 s9, s9, 0
	s_waitcnt vmcnt(0)
	v_and_b32_e32 v3, 0xff, v5
	v_cmp_ne_u64_e32 vcc, 0, v[2:3]
	s_cbranch_vccz .LBB30_4
.LBB30_7:
	v_mov_b32_e32 v1, 0
	global_store_dword v1, v4, s[2:3]
.LBB30_8:
	s_or_b64 exec, exec, s[4:5]
.LBB30_9:
	v_cmp_gt_u32_e32 vcc, s8, v0
	s_and_saveexec_b64 s[2:3], vcc
	s_cbranch_execnz .LBB30_12
; %bb.10:
	s_or_b64 exec, exec, s[2:3]
	v_cmp_gt_u32_e32 vcc, 64, v0
	s_and_saveexec_b64 s[2:3], vcc
	s_cbranch_execnz .LBB30_13
.LBB30_11:
	s_endpgm
.LBB30_12:
	v_add_u32_e32 v2, 64, v0
	v_mov_b32_e32 v3, 0
	v_lshlrev_b64 v[4:5], 3, v[2:3]
	v_mov_b32_e32 v1, s1
	v_add_co_u32_e32 v4, vcc, s0, v4
	v_addc_co_u32_e32 v5, vcc, v1, v5, vcc
	v_mov_b32_e32 v2, v3
	global_store_dwordx2 v[4:5], v[2:3], off
	s_or_b64 exec, exec, s[2:3]
	v_cmp_gt_u32_e32 vcc, 64, v0
	s_and_saveexec_b64 s[2:3], vcc
	s_cbranch_execz .LBB30_11
.LBB30_13:
	v_mov_b32_e32 v1, 0
	v_lshlrev_b64 v[2:3], 3, v[0:1]
	v_mov_b32_e32 v0, s1
	v_add_co_u32_e32 v2, vcc, s0, v2
	v_addc_co_u32_e32 v3, vcc, v0, v3, vcc
	v_mov_b32_e32 v5, 0xff
	v_mov_b32_e32 v4, v1
	global_store_dwordx2 v[2:3], v[4:5], off
	s_endpgm
	.section	.rodata,"a",@progbits
	.p2align	6, 0x0
	.amdhsa_kernel _ZN7rocprim17ROCPRIM_400000_NS6detail31init_lookback_scan_state_kernelINS1_19lookback_scan_stateIjLb1ELb1EEENS1_16block_id_wrapperIjLb0EEEEEvT_jT0_jPNS7_10value_typeE
		.amdhsa_group_segment_fixed_size 0
		.amdhsa_private_segment_fixed_size 0
		.amdhsa_kernarg_size 288
		.amdhsa_user_sgpr_count 6
		.amdhsa_user_sgpr_private_segment_buffer 1
		.amdhsa_user_sgpr_dispatch_ptr 0
		.amdhsa_user_sgpr_queue_ptr 0
		.amdhsa_user_sgpr_kernarg_segment_ptr 1
		.amdhsa_user_sgpr_dispatch_id 0
		.amdhsa_user_sgpr_flat_scratch_init 0
		.amdhsa_user_sgpr_kernarg_preload_length 0
		.amdhsa_user_sgpr_kernarg_preload_offset 0
		.amdhsa_user_sgpr_private_segment_size 0
		.amdhsa_uses_dynamic_stack 0
		.amdhsa_system_sgpr_private_segment_wavefront_offset 0
		.amdhsa_system_sgpr_workgroup_id_x 1
		.amdhsa_system_sgpr_workgroup_id_y 0
		.amdhsa_system_sgpr_workgroup_id_z 0
		.amdhsa_system_sgpr_workgroup_info 0
		.amdhsa_system_vgpr_workitem_id 0
		.amdhsa_next_free_vgpr 6
		.amdhsa_next_free_sgpr 12
		.amdhsa_accum_offset 8
		.amdhsa_reserve_vcc 1
		.amdhsa_reserve_flat_scratch 0
		.amdhsa_float_round_mode_32 0
		.amdhsa_float_round_mode_16_64 0
		.amdhsa_float_denorm_mode_32 3
		.amdhsa_float_denorm_mode_16_64 3
		.amdhsa_dx10_clamp 1
		.amdhsa_ieee_mode 1
		.amdhsa_fp16_overflow 0
		.amdhsa_tg_split 0
		.amdhsa_exception_fp_ieee_invalid_op 0
		.amdhsa_exception_fp_denorm_src 0
		.amdhsa_exception_fp_ieee_div_zero 0
		.amdhsa_exception_fp_ieee_overflow 0
		.amdhsa_exception_fp_ieee_underflow 0
		.amdhsa_exception_fp_ieee_inexact 0
		.amdhsa_exception_int_div_zero 0
	.end_amdhsa_kernel
	.section	.text._ZN7rocprim17ROCPRIM_400000_NS6detail31init_lookback_scan_state_kernelINS1_19lookback_scan_stateIjLb1ELb1EEENS1_16block_id_wrapperIjLb0EEEEEvT_jT0_jPNS7_10value_typeE,"axG",@progbits,_ZN7rocprim17ROCPRIM_400000_NS6detail31init_lookback_scan_state_kernelINS1_19lookback_scan_stateIjLb1ELb1EEENS1_16block_id_wrapperIjLb0EEEEEvT_jT0_jPNS7_10value_typeE,comdat
.Lfunc_end30:
	.size	_ZN7rocprim17ROCPRIM_400000_NS6detail31init_lookback_scan_state_kernelINS1_19lookback_scan_stateIjLb1ELb1EEENS1_16block_id_wrapperIjLb0EEEEEvT_jT0_jPNS7_10value_typeE, .Lfunc_end30-_ZN7rocprim17ROCPRIM_400000_NS6detail31init_lookback_scan_state_kernelINS1_19lookback_scan_stateIjLb1ELb1EEENS1_16block_id_wrapperIjLb0EEEEEvT_jT0_jPNS7_10value_typeE
                                        ; -- End function
	.section	.AMDGPU.csdata,"",@progbits
; Kernel info:
; codeLenInByte = 364
; NumSgprs: 16
; NumVgprs: 6
; NumAgprs: 0
; TotalNumVgprs: 6
; ScratchSize: 0
; MemoryBound: 0
; FloatMode: 240
; IeeeMode: 1
; LDSByteSize: 0 bytes/workgroup (compile time only)
; SGPRBlocks: 1
; VGPRBlocks: 0
; NumSGPRsForWavesPerEU: 16
; NumVGPRsForWavesPerEU: 6
; AccumOffset: 8
; Occupancy: 8
; WaveLimiterHint : 0
; COMPUTE_PGM_RSRC2:SCRATCH_EN: 0
; COMPUTE_PGM_RSRC2:USER_SGPR: 6
; COMPUTE_PGM_RSRC2:TRAP_HANDLER: 0
; COMPUTE_PGM_RSRC2:TGID_X_EN: 1
; COMPUTE_PGM_RSRC2:TGID_Y_EN: 0
; COMPUTE_PGM_RSRC2:TGID_Z_EN: 0
; COMPUTE_PGM_RSRC2:TIDIG_COMP_CNT: 0
; COMPUTE_PGM_RSRC3_GFX90A:ACCUM_OFFSET: 1
; COMPUTE_PGM_RSRC3_GFX90A:TG_SPLIT: 0
	.section	.text._ZN7rocprim17ROCPRIM_400000_NS6detail17trampoline_kernelINS0_14default_configENS1_25partition_config_selectorILNS1_17partition_subalgoE3ExNS0_10empty_typeEbEEZZNS1_14partition_implILS5_3ELb0ES3_jN6thrust23THRUST_200600_302600_NS6detail15normal_iteratorINSA_7pointerIxNSA_11hip_rocprim3tagENSA_11use_defaultESG_EEEEPS6_SJ_NS0_5tupleIJPxSJ_EEENSK_IJSJ_SJ_EEES6_PlJ7is_evenIxEEEE10hipError_tPvRmT3_T4_T5_T6_T7_T9_mT8_P12ihipStream_tbDpT10_ENKUlT_T0_E_clISt17integral_constantIbLb1EES19_IbLb0EEEEDaS15_S16_EUlS15_E_NS1_11comp_targetILNS1_3genE0ELNS1_11target_archE4294967295ELNS1_3gpuE0ELNS1_3repE0EEENS1_30default_config_static_selectorELNS0_4arch9wavefront6targetE1EEEvT1_,"axG",@progbits,_ZN7rocprim17ROCPRIM_400000_NS6detail17trampoline_kernelINS0_14default_configENS1_25partition_config_selectorILNS1_17partition_subalgoE3ExNS0_10empty_typeEbEEZZNS1_14partition_implILS5_3ELb0ES3_jN6thrust23THRUST_200600_302600_NS6detail15normal_iteratorINSA_7pointerIxNSA_11hip_rocprim3tagENSA_11use_defaultESG_EEEEPS6_SJ_NS0_5tupleIJPxSJ_EEENSK_IJSJ_SJ_EEES6_PlJ7is_evenIxEEEE10hipError_tPvRmT3_T4_T5_T6_T7_T9_mT8_P12ihipStream_tbDpT10_ENKUlT_T0_E_clISt17integral_constantIbLb1EES19_IbLb0EEEEDaS15_S16_EUlS15_E_NS1_11comp_targetILNS1_3genE0ELNS1_11target_archE4294967295ELNS1_3gpuE0ELNS1_3repE0EEENS1_30default_config_static_selectorELNS0_4arch9wavefront6targetE1EEEvT1_,comdat
	.protected	_ZN7rocprim17ROCPRIM_400000_NS6detail17trampoline_kernelINS0_14default_configENS1_25partition_config_selectorILNS1_17partition_subalgoE3ExNS0_10empty_typeEbEEZZNS1_14partition_implILS5_3ELb0ES3_jN6thrust23THRUST_200600_302600_NS6detail15normal_iteratorINSA_7pointerIxNSA_11hip_rocprim3tagENSA_11use_defaultESG_EEEEPS6_SJ_NS0_5tupleIJPxSJ_EEENSK_IJSJ_SJ_EEES6_PlJ7is_evenIxEEEE10hipError_tPvRmT3_T4_T5_T6_T7_T9_mT8_P12ihipStream_tbDpT10_ENKUlT_T0_E_clISt17integral_constantIbLb1EES19_IbLb0EEEEDaS15_S16_EUlS15_E_NS1_11comp_targetILNS1_3genE0ELNS1_11target_archE4294967295ELNS1_3gpuE0ELNS1_3repE0EEENS1_30default_config_static_selectorELNS0_4arch9wavefront6targetE1EEEvT1_ ; -- Begin function _ZN7rocprim17ROCPRIM_400000_NS6detail17trampoline_kernelINS0_14default_configENS1_25partition_config_selectorILNS1_17partition_subalgoE3ExNS0_10empty_typeEbEEZZNS1_14partition_implILS5_3ELb0ES3_jN6thrust23THRUST_200600_302600_NS6detail15normal_iteratorINSA_7pointerIxNSA_11hip_rocprim3tagENSA_11use_defaultESG_EEEEPS6_SJ_NS0_5tupleIJPxSJ_EEENSK_IJSJ_SJ_EEES6_PlJ7is_evenIxEEEE10hipError_tPvRmT3_T4_T5_T6_T7_T9_mT8_P12ihipStream_tbDpT10_ENKUlT_T0_E_clISt17integral_constantIbLb1EES19_IbLb0EEEEDaS15_S16_EUlS15_E_NS1_11comp_targetILNS1_3genE0ELNS1_11target_archE4294967295ELNS1_3gpuE0ELNS1_3repE0EEENS1_30default_config_static_selectorELNS0_4arch9wavefront6targetE1EEEvT1_
	.globl	_ZN7rocprim17ROCPRIM_400000_NS6detail17trampoline_kernelINS0_14default_configENS1_25partition_config_selectorILNS1_17partition_subalgoE3ExNS0_10empty_typeEbEEZZNS1_14partition_implILS5_3ELb0ES3_jN6thrust23THRUST_200600_302600_NS6detail15normal_iteratorINSA_7pointerIxNSA_11hip_rocprim3tagENSA_11use_defaultESG_EEEEPS6_SJ_NS0_5tupleIJPxSJ_EEENSK_IJSJ_SJ_EEES6_PlJ7is_evenIxEEEE10hipError_tPvRmT3_T4_T5_T6_T7_T9_mT8_P12ihipStream_tbDpT10_ENKUlT_T0_E_clISt17integral_constantIbLb1EES19_IbLb0EEEEDaS15_S16_EUlS15_E_NS1_11comp_targetILNS1_3genE0ELNS1_11target_archE4294967295ELNS1_3gpuE0ELNS1_3repE0EEENS1_30default_config_static_selectorELNS0_4arch9wavefront6targetE1EEEvT1_
	.p2align	8
	.type	_ZN7rocprim17ROCPRIM_400000_NS6detail17trampoline_kernelINS0_14default_configENS1_25partition_config_selectorILNS1_17partition_subalgoE3ExNS0_10empty_typeEbEEZZNS1_14partition_implILS5_3ELb0ES3_jN6thrust23THRUST_200600_302600_NS6detail15normal_iteratorINSA_7pointerIxNSA_11hip_rocprim3tagENSA_11use_defaultESG_EEEEPS6_SJ_NS0_5tupleIJPxSJ_EEENSK_IJSJ_SJ_EEES6_PlJ7is_evenIxEEEE10hipError_tPvRmT3_T4_T5_T6_T7_T9_mT8_P12ihipStream_tbDpT10_ENKUlT_T0_E_clISt17integral_constantIbLb1EES19_IbLb0EEEEDaS15_S16_EUlS15_E_NS1_11comp_targetILNS1_3genE0ELNS1_11target_archE4294967295ELNS1_3gpuE0ELNS1_3repE0EEENS1_30default_config_static_selectorELNS0_4arch9wavefront6targetE1EEEvT1_,@function
_ZN7rocprim17ROCPRIM_400000_NS6detail17trampoline_kernelINS0_14default_configENS1_25partition_config_selectorILNS1_17partition_subalgoE3ExNS0_10empty_typeEbEEZZNS1_14partition_implILS5_3ELb0ES3_jN6thrust23THRUST_200600_302600_NS6detail15normal_iteratorINSA_7pointerIxNSA_11hip_rocprim3tagENSA_11use_defaultESG_EEEEPS6_SJ_NS0_5tupleIJPxSJ_EEENSK_IJSJ_SJ_EEES6_PlJ7is_evenIxEEEE10hipError_tPvRmT3_T4_T5_T6_T7_T9_mT8_P12ihipStream_tbDpT10_ENKUlT_T0_E_clISt17integral_constantIbLb1EES19_IbLb0EEEEDaS15_S16_EUlS15_E_NS1_11comp_targetILNS1_3genE0ELNS1_11target_archE4294967295ELNS1_3gpuE0ELNS1_3repE0EEENS1_30default_config_static_selectorELNS0_4arch9wavefront6targetE1EEEvT1_: ; @_ZN7rocprim17ROCPRIM_400000_NS6detail17trampoline_kernelINS0_14default_configENS1_25partition_config_selectorILNS1_17partition_subalgoE3ExNS0_10empty_typeEbEEZZNS1_14partition_implILS5_3ELb0ES3_jN6thrust23THRUST_200600_302600_NS6detail15normal_iteratorINSA_7pointerIxNSA_11hip_rocprim3tagENSA_11use_defaultESG_EEEEPS6_SJ_NS0_5tupleIJPxSJ_EEENSK_IJSJ_SJ_EEES6_PlJ7is_evenIxEEEE10hipError_tPvRmT3_T4_T5_T6_T7_T9_mT8_P12ihipStream_tbDpT10_ENKUlT_T0_E_clISt17integral_constantIbLb1EES19_IbLb0EEEEDaS15_S16_EUlS15_E_NS1_11comp_targetILNS1_3genE0ELNS1_11target_archE4294967295ELNS1_3gpuE0ELNS1_3repE0EEENS1_30default_config_static_selectorELNS0_4arch9wavefront6targetE1EEEvT1_
; %bb.0:
	.section	.rodata,"a",@progbits
	.p2align	6, 0x0
	.amdhsa_kernel _ZN7rocprim17ROCPRIM_400000_NS6detail17trampoline_kernelINS0_14default_configENS1_25partition_config_selectorILNS1_17partition_subalgoE3ExNS0_10empty_typeEbEEZZNS1_14partition_implILS5_3ELb0ES3_jN6thrust23THRUST_200600_302600_NS6detail15normal_iteratorINSA_7pointerIxNSA_11hip_rocprim3tagENSA_11use_defaultESG_EEEEPS6_SJ_NS0_5tupleIJPxSJ_EEENSK_IJSJ_SJ_EEES6_PlJ7is_evenIxEEEE10hipError_tPvRmT3_T4_T5_T6_T7_T9_mT8_P12ihipStream_tbDpT10_ENKUlT_T0_E_clISt17integral_constantIbLb1EES19_IbLb0EEEEDaS15_S16_EUlS15_E_NS1_11comp_targetILNS1_3genE0ELNS1_11target_archE4294967295ELNS1_3gpuE0ELNS1_3repE0EEENS1_30default_config_static_selectorELNS0_4arch9wavefront6targetE1EEEvT1_
		.amdhsa_group_segment_fixed_size 0
		.amdhsa_private_segment_fixed_size 0
		.amdhsa_kernarg_size 120
		.amdhsa_user_sgpr_count 6
		.amdhsa_user_sgpr_private_segment_buffer 1
		.amdhsa_user_sgpr_dispatch_ptr 0
		.amdhsa_user_sgpr_queue_ptr 0
		.amdhsa_user_sgpr_kernarg_segment_ptr 1
		.amdhsa_user_sgpr_dispatch_id 0
		.amdhsa_user_sgpr_flat_scratch_init 0
		.amdhsa_user_sgpr_kernarg_preload_length 0
		.amdhsa_user_sgpr_kernarg_preload_offset 0
		.amdhsa_user_sgpr_private_segment_size 0
		.amdhsa_uses_dynamic_stack 0
		.amdhsa_system_sgpr_private_segment_wavefront_offset 0
		.amdhsa_system_sgpr_workgroup_id_x 1
		.amdhsa_system_sgpr_workgroup_id_y 0
		.amdhsa_system_sgpr_workgroup_id_z 0
		.amdhsa_system_sgpr_workgroup_info 0
		.amdhsa_system_vgpr_workitem_id 0
		.amdhsa_next_free_vgpr 1
		.amdhsa_next_free_sgpr 0
		.amdhsa_accum_offset 4
		.amdhsa_reserve_vcc 0
		.amdhsa_reserve_flat_scratch 0
		.amdhsa_float_round_mode_32 0
		.amdhsa_float_round_mode_16_64 0
		.amdhsa_float_denorm_mode_32 3
		.amdhsa_float_denorm_mode_16_64 3
		.amdhsa_dx10_clamp 1
		.amdhsa_ieee_mode 1
		.amdhsa_fp16_overflow 0
		.amdhsa_tg_split 0
		.amdhsa_exception_fp_ieee_invalid_op 0
		.amdhsa_exception_fp_denorm_src 0
		.amdhsa_exception_fp_ieee_div_zero 0
		.amdhsa_exception_fp_ieee_overflow 0
		.amdhsa_exception_fp_ieee_underflow 0
		.amdhsa_exception_fp_ieee_inexact 0
		.amdhsa_exception_int_div_zero 0
	.end_amdhsa_kernel
	.section	.text._ZN7rocprim17ROCPRIM_400000_NS6detail17trampoline_kernelINS0_14default_configENS1_25partition_config_selectorILNS1_17partition_subalgoE3ExNS0_10empty_typeEbEEZZNS1_14partition_implILS5_3ELb0ES3_jN6thrust23THRUST_200600_302600_NS6detail15normal_iteratorINSA_7pointerIxNSA_11hip_rocprim3tagENSA_11use_defaultESG_EEEEPS6_SJ_NS0_5tupleIJPxSJ_EEENSK_IJSJ_SJ_EEES6_PlJ7is_evenIxEEEE10hipError_tPvRmT3_T4_T5_T6_T7_T9_mT8_P12ihipStream_tbDpT10_ENKUlT_T0_E_clISt17integral_constantIbLb1EES19_IbLb0EEEEDaS15_S16_EUlS15_E_NS1_11comp_targetILNS1_3genE0ELNS1_11target_archE4294967295ELNS1_3gpuE0ELNS1_3repE0EEENS1_30default_config_static_selectorELNS0_4arch9wavefront6targetE1EEEvT1_,"axG",@progbits,_ZN7rocprim17ROCPRIM_400000_NS6detail17trampoline_kernelINS0_14default_configENS1_25partition_config_selectorILNS1_17partition_subalgoE3ExNS0_10empty_typeEbEEZZNS1_14partition_implILS5_3ELb0ES3_jN6thrust23THRUST_200600_302600_NS6detail15normal_iteratorINSA_7pointerIxNSA_11hip_rocprim3tagENSA_11use_defaultESG_EEEEPS6_SJ_NS0_5tupleIJPxSJ_EEENSK_IJSJ_SJ_EEES6_PlJ7is_evenIxEEEE10hipError_tPvRmT3_T4_T5_T6_T7_T9_mT8_P12ihipStream_tbDpT10_ENKUlT_T0_E_clISt17integral_constantIbLb1EES19_IbLb0EEEEDaS15_S16_EUlS15_E_NS1_11comp_targetILNS1_3genE0ELNS1_11target_archE4294967295ELNS1_3gpuE0ELNS1_3repE0EEENS1_30default_config_static_selectorELNS0_4arch9wavefront6targetE1EEEvT1_,comdat
.Lfunc_end31:
	.size	_ZN7rocprim17ROCPRIM_400000_NS6detail17trampoline_kernelINS0_14default_configENS1_25partition_config_selectorILNS1_17partition_subalgoE3ExNS0_10empty_typeEbEEZZNS1_14partition_implILS5_3ELb0ES3_jN6thrust23THRUST_200600_302600_NS6detail15normal_iteratorINSA_7pointerIxNSA_11hip_rocprim3tagENSA_11use_defaultESG_EEEEPS6_SJ_NS0_5tupleIJPxSJ_EEENSK_IJSJ_SJ_EEES6_PlJ7is_evenIxEEEE10hipError_tPvRmT3_T4_T5_T6_T7_T9_mT8_P12ihipStream_tbDpT10_ENKUlT_T0_E_clISt17integral_constantIbLb1EES19_IbLb0EEEEDaS15_S16_EUlS15_E_NS1_11comp_targetILNS1_3genE0ELNS1_11target_archE4294967295ELNS1_3gpuE0ELNS1_3repE0EEENS1_30default_config_static_selectorELNS0_4arch9wavefront6targetE1EEEvT1_, .Lfunc_end31-_ZN7rocprim17ROCPRIM_400000_NS6detail17trampoline_kernelINS0_14default_configENS1_25partition_config_selectorILNS1_17partition_subalgoE3ExNS0_10empty_typeEbEEZZNS1_14partition_implILS5_3ELb0ES3_jN6thrust23THRUST_200600_302600_NS6detail15normal_iteratorINSA_7pointerIxNSA_11hip_rocprim3tagENSA_11use_defaultESG_EEEEPS6_SJ_NS0_5tupleIJPxSJ_EEENSK_IJSJ_SJ_EEES6_PlJ7is_evenIxEEEE10hipError_tPvRmT3_T4_T5_T6_T7_T9_mT8_P12ihipStream_tbDpT10_ENKUlT_T0_E_clISt17integral_constantIbLb1EES19_IbLb0EEEEDaS15_S16_EUlS15_E_NS1_11comp_targetILNS1_3genE0ELNS1_11target_archE4294967295ELNS1_3gpuE0ELNS1_3repE0EEENS1_30default_config_static_selectorELNS0_4arch9wavefront6targetE1EEEvT1_
                                        ; -- End function
	.section	.AMDGPU.csdata,"",@progbits
; Kernel info:
; codeLenInByte = 0
; NumSgprs: 4
; NumVgprs: 0
; NumAgprs: 0
; TotalNumVgprs: 0
; ScratchSize: 0
; MemoryBound: 0
; FloatMode: 240
; IeeeMode: 1
; LDSByteSize: 0 bytes/workgroup (compile time only)
; SGPRBlocks: 0
; VGPRBlocks: 0
; NumSGPRsForWavesPerEU: 4
; NumVGPRsForWavesPerEU: 1
; AccumOffset: 4
; Occupancy: 8
; WaveLimiterHint : 0
; COMPUTE_PGM_RSRC2:SCRATCH_EN: 0
; COMPUTE_PGM_RSRC2:USER_SGPR: 6
; COMPUTE_PGM_RSRC2:TRAP_HANDLER: 0
; COMPUTE_PGM_RSRC2:TGID_X_EN: 1
; COMPUTE_PGM_RSRC2:TGID_Y_EN: 0
; COMPUTE_PGM_RSRC2:TGID_Z_EN: 0
; COMPUTE_PGM_RSRC2:TIDIG_COMP_CNT: 0
; COMPUTE_PGM_RSRC3_GFX90A:ACCUM_OFFSET: 0
; COMPUTE_PGM_RSRC3_GFX90A:TG_SPLIT: 0
	.section	.text._ZN7rocprim17ROCPRIM_400000_NS6detail17trampoline_kernelINS0_14default_configENS1_25partition_config_selectorILNS1_17partition_subalgoE3ExNS0_10empty_typeEbEEZZNS1_14partition_implILS5_3ELb0ES3_jN6thrust23THRUST_200600_302600_NS6detail15normal_iteratorINSA_7pointerIxNSA_11hip_rocprim3tagENSA_11use_defaultESG_EEEEPS6_SJ_NS0_5tupleIJPxSJ_EEENSK_IJSJ_SJ_EEES6_PlJ7is_evenIxEEEE10hipError_tPvRmT3_T4_T5_T6_T7_T9_mT8_P12ihipStream_tbDpT10_ENKUlT_T0_E_clISt17integral_constantIbLb1EES19_IbLb0EEEEDaS15_S16_EUlS15_E_NS1_11comp_targetILNS1_3genE5ELNS1_11target_archE942ELNS1_3gpuE9ELNS1_3repE0EEENS1_30default_config_static_selectorELNS0_4arch9wavefront6targetE1EEEvT1_,"axG",@progbits,_ZN7rocprim17ROCPRIM_400000_NS6detail17trampoline_kernelINS0_14default_configENS1_25partition_config_selectorILNS1_17partition_subalgoE3ExNS0_10empty_typeEbEEZZNS1_14partition_implILS5_3ELb0ES3_jN6thrust23THRUST_200600_302600_NS6detail15normal_iteratorINSA_7pointerIxNSA_11hip_rocprim3tagENSA_11use_defaultESG_EEEEPS6_SJ_NS0_5tupleIJPxSJ_EEENSK_IJSJ_SJ_EEES6_PlJ7is_evenIxEEEE10hipError_tPvRmT3_T4_T5_T6_T7_T9_mT8_P12ihipStream_tbDpT10_ENKUlT_T0_E_clISt17integral_constantIbLb1EES19_IbLb0EEEEDaS15_S16_EUlS15_E_NS1_11comp_targetILNS1_3genE5ELNS1_11target_archE942ELNS1_3gpuE9ELNS1_3repE0EEENS1_30default_config_static_selectorELNS0_4arch9wavefront6targetE1EEEvT1_,comdat
	.protected	_ZN7rocprim17ROCPRIM_400000_NS6detail17trampoline_kernelINS0_14default_configENS1_25partition_config_selectorILNS1_17partition_subalgoE3ExNS0_10empty_typeEbEEZZNS1_14partition_implILS5_3ELb0ES3_jN6thrust23THRUST_200600_302600_NS6detail15normal_iteratorINSA_7pointerIxNSA_11hip_rocprim3tagENSA_11use_defaultESG_EEEEPS6_SJ_NS0_5tupleIJPxSJ_EEENSK_IJSJ_SJ_EEES6_PlJ7is_evenIxEEEE10hipError_tPvRmT3_T4_T5_T6_T7_T9_mT8_P12ihipStream_tbDpT10_ENKUlT_T0_E_clISt17integral_constantIbLb1EES19_IbLb0EEEEDaS15_S16_EUlS15_E_NS1_11comp_targetILNS1_3genE5ELNS1_11target_archE942ELNS1_3gpuE9ELNS1_3repE0EEENS1_30default_config_static_selectorELNS0_4arch9wavefront6targetE1EEEvT1_ ; -- Begin function _ZN7rocprim17ROCPRIM_400000_NS6detail17trampoline_kernelINS0_14default_configENS1_25partition_config_selectorILNS1_17partition_subalgoE3ExNS0_10empty_typeEbEEZZNS1_14partition_implILS5_3ELb0ES3_jN6thrust23THRUST_200600_302600_NS6detail15normal_iteratorINSA_7pointerIxNSA_11hip_rocprim3tagENSA_11use_defaultESG_EEEEPS6_SJ_NS0_5tupleIJPxSJ_EEENSK_IJSJ_SJ_EEES6_PlJ7is_evenIxEEEE10hipError_tPvRmT3_T4_T5_T6_T7_T9_mT8_P12ihipStream_tbDpT10_ENKUlT_T0_E_clISt17integral_constantIbLb1EES19_IbLb0EEEEDaS15_S16_EUlS15_E_NS1_11comp_targetILNS1_3genE5ELNS1_11target_archE942ELNS1_3gpuE9ELNS1_3repE0EEENS1_30default_config_static_selectorELNS0_4arch9wavefront6targetE1EEEvT1_
	.globl	_ZN7rocprim17ROCPRIM_400000_NS6detail17trampoline_kernelINS0_14default_configENS1_25partition_config_selectorILNS1_17partition_subalgoE3ExNS0_10empty_typeEbEEZZNS1_14partition_implILS5_3ELb0ES3_jN6thrust23THRUST_200600_302600_NS6detail15normal_iteratorINSA_7pointerIxNSA_11hip_rocprim3tagENSA_11use_defaultESG_EEEEPS6_SJ_NS0_5tupleIJPxSJ_EEENSK_IJSJ_SJ_EEES6_PlJ7is_evenIxEEEE10hipError_tPvRmT3_T4_T5_T6_T7_T9_mT8_P12ihipStream_tbDpT10_ENKUlT_T0_E_clISt17integral_constantIbLb1EES19_IbLb0EEEEDaS15_S16_EUlS15_E_NS1_11comp_targetILNS1_3genE5ELNS1_11target_archE942ELNS1_3gpuE9ELNS1_3repE0EEENS1_30default_config_static_selectorELNS0_4arch9wavefront6targetE1EEEvT1_
	.p2align	8
	.type	_ZN7rocprim17ROCPRIM_400000_NS6detail17trampoline_kernelINS0_14default_configENS1_25partition_config_selectorILNS1_17partition_subalgoE3ExNS0_10empty_typeEbEEZZNS1_14partition_implILS5_3ELb0ES3_jN6thrust23THRUST_200600_302600_NS6detail15normal_iteratorINSA_7pointerIxNSA_11hip_rocprim3tagENSA_11use_defaultESG_EEEEPS6_SJ_NS0_5tupleIJPxSJ_EEENSK_IJSJ_SJ_EEES6_PlJ7is_evenIxEEEE10hipError_tPvRmT3_T4_T5_T6_T7_T9_mT8_P12ihipStream_tbDpT10_ENKUlT_T0_E_clISt17integral_constantIbLb1EES19_IbLb0EEEEDaS15_S16_EUlS15_E_NS1_11comp_targetILNS1_3genE5ELNS1_11target_archE942ELNS1_3gpuE9ELNS1_3repE0EEENS1_30default_config_static_selectorELNS0_4arch9wavefront6targetE1EEEvT1_,@function
_ZN7rocprim17ROCPRIM_400000_NS6detail17trampoline_kernelINS0_14default_configENS1_25partition_config_selectorILNS1_17partition_subalgoE3ExNS0_10empty_typeEbEEZZNS1_14partition_implILS5_3ELb0ES3_jN6thrust23THRUST_200600_302600_NS6detail15normal_iteratorINSA_7pointerIxNSA_11hip_rocprim3tagENSA_11use_defaultESG_EEEEPS6_SJ_NS0_5tupleIJPxSJ_EEENSK_IJSJ_SJ_EEES6_PlJ7is_evenIxEEEE10hipError_tPvRmT3_T4_T5_T6_T7_T9_mT8_P12ihipStream_tbDpT10_ENKUlT_T0_E_clISt17integral_constantIbLb1EES19_IbLb0EEEEDaS15_S16_EUlS15_E_NS1_11comp_targetILNS1_3genE5ELNS1_11target_archE942ELNS1_3gpuE9ELNS1_3repE0EEENS1_30default_config_static_selectorELNS0_4arch9wavefront6targetE1EEEvT1_: ; @_ZN7rocprim17ROCPRIM_400000_NS6detail17trampoline_kernelINS0_14default_configENS1_25partition_config_selectorILNS1_17partition_subalgoE3ExNS0_10empty_typeEbEEZZNS1_14partition_implILS5_3ELb0ES3_jN6thrust23THRUST_200600_302600_NS6detail15normal_iteratorINSA_7pointerIxNSA_11hip_rocprim3tagENSA_11use_defaultESG_EEEEPS6_SJ_NS0_5tupleIJPxSJ_EEENSK_IJSJ_SJ_EEES6_PlJ7is_evenIxEEEE10hipError_tPvRmT3_T4_T5_T6_T7_T9_mT8_P12ihipStream_tbDpT10_ENKUlT_T0_E_clISt17integral_constantIbLb1EES19_IbLb0EEEEDaS15_S16_EUlS15_E_NS1_11comp_targetILNS1_3genE5ELNS1_11target_archE942ELNS1_3gpuE9ELNS1_3repE0EEENS1_30default_config_static_selectorELNS0_4arch9wavefront6targetE1EEEvT1_
; %bb.0:
	.section	.rodata,"a",@progbits
	.p2align	6, 0x0
	.amdhsa_kernel _ZN7rocprim17ROCPRIM_400000_NS6detail17trampoline_kernelINS0_14default_configENS1_25partition_config_selectorILNS1_17partition_subalgoE3ExNS0_10empty_typeEbEEZZNS1_14partition_implILS5_3ELb0ES3_jN6thrust23THRUST_200600_302600_NS6detail15normal_iteratorINSA_7pointerIxNSA_11hip_rocprim3tagENSA_11use_defaultESG_EEEEPS6_SJ_NS0_5tupleIJPxSJ_EEENSK_IJSJ_SJ_EEES6_PlJ7is_evenIxEEEE10hipError_tPvRmT3_T4_T5_T6_T7_T9_mT8_P12ihipStream_tbDpT10_ENKUlT_T0_E_clISt17integral_constantIbLb1EES19_IbLb0EEEEDaS15_S16_EUlS15_E_NS1_11comp_targetILNS1_3genE5ELNS1_11target_archE942ELNS1_3gpuE9ELNS1_3repE0EEENS1_30default_config_static_selectorELNS0_4arch9wavefront6targetE1EEEvT1_
		.amdhsa_group_segment_fixed_size 0
		.amdhsa_private_segment_fixed_size 0
		.amdhsa_kernarg_size 120
		.amdhsa_user_sgpr_count 6
		.amdhsa_user_sgpr_private_segment_buffer 1
		.amdhsa_user_sgpr_dispatch_ptr 0
		.amdhsa_user_sgpr_queue_ptr 0
		.amdhsa_user_sgpr_kernarg_segment_ptr 1
		.amdhsa_user_sgpr_dispatch_id 0
		.amdhsa_user_sgpr_flat_scratch_init 0
		.amdhsa_user_sgpr_kernarg_preload_length 0
		.amdhsa_user_sgpr_kernarg_preload_offset 0
		.amdhsa_user_sgpr_private_segment_size 0
		.amdhsa_uses_dynamic_stack 0
		.amdhsa_system_sgpr_private_segment_wavefront_offset 0
		.amdhsa_system_sgpr_workgroup_id_x 1
		.amdhsa_system_sgpr_workgroup_id_y 0
		.amdhsa_system_sgpr_workgroup_id_z 0
		.amdhsa_system_sgpr_workgroup_info 0
		.amdhsa_system_vgpr_workitem_id 0
		.amdhsa_next_free_vgpr 1
		.amdhsa_next_free_sgpr 0
		.amdhsa_accum_offset 4
		.amdhsa_reserve_vcc 0
		.amdhsa_reserve_flat_scratch 0
		.amdhsa_float_round_mode_32 0
		.amdhsa_float_round_mode_16_64 0
		.amdhsa_float_denorm_mode_32 3
		.amdhsa_float_denorm_mode_16_64 3
		.amdhsa_dx10_clamp 1
		.amdhsa_ieee_mode 1
		.amdhsa_fp16_overflow 0
		.amdhsa_tg_split 0
		.amdhsa_exception_fp_ieee_invalid_op 0
		.amdhsa_exception_fp_denorm_src 0
		.amdhsa_exception_fp_ieee_div_zero 0
		.amdhsa_exception_fp_ieee_overflow 0
		.amdhsa_exception_fp_ieee_underflow 0
		.amdhsa_exception_fp_ieee_inexact 0
		.amdhsa_exception_int_div_zero 0
	.end_amdhsa_kernel
	.section	.text._ZN7rocprim17ROCPRIM_400000_NS6detail17trampoline_kernelINS0_14default_configENS1_25partition_config_selectorILNS1_17partition_subalgoE3ExNS0_10empty_typeEbEEZZNS1_14partition_implILS5_3ELb0ES3_jN6thrust23THRUST_200600_302600_NS6detail15normal_iteratorINSA_7pointerIxNSA_11hip_rocprim3tagENSA_11use_defaultESG_EEEEPS6_SJ_NS0_5tupleIJPxSJ_EEENSK_IJSJ_SJ_EEES6_PlJ7is_evenIxEEEE10hipError_tPvRmT3_T4_T5_T6_T7_T9_mT8_P12ihipStream_tbDpT10_ENKUlT_T0_E_clISt17integral_constantIbLb1EES19_IbLb0EEEEDaS15_S16_EUlS15_E_NS1_11comp_targetILNS1_3genE5ELNS1_11target_archE942ELNS1_3gpuE9ELNS1_3repE0EEENS1_30default_config_static_selectorELNS0_4arch9wavefront6targetE1EEEvT1_,"axG",@progbits,_ZN7rocprim17ROCPRIM_400000_NS6detail17trampoline_kernelINS0_14default_configENS1_25partition_config_selectorILNS1_17partition_subalgoE3ExNS0_10empty_typeEbEEZZNS1_14partition_implILS5_3ELb0ES3_jN6thrust23THRUST_200600_302600_NS6detail15normal_iteratorINSA_7pointerIxNSA_11hip_rocprim3tagENSA_11use_defaultESG_EEEEPS6_SJ_NS0_5tupleIJPxSJ_EEENSK_IJSJ_SJ_EEES6_PlJ7is_evenIxEEEE10hipError_tPvRmT3_T4_T5_T6_T7_T9_mT8_P12ihipStream_tbDpT10_ENKUlT_T0_E_clISt17integral_constantIbLb1EES19_IbLb0EEEEDaS15_S16_EUlS15_E_NS1_11comp_targetILNS1_3genE5ELNS1_11target_archE942ELNS1_3gpuE9ELNS1_3repE0EEENS1_30default_config_static_selectorELNS0_4arch9wavefront6targetE1EEEvT1_,comdat
.Lfunc_end32:
	.size	_ZN7rocprim17ROCPRIM_400000_NS6detail17trampoline_kernelINS0_14default_configENS1_25partition_config_selectorILNS1_17partition_subalgoE3ExNS0_10empty_typeEbEEZZNS1_14partition_implILS5_3ELb0ES3_jN6thrust23THRUST_200600_302600_NS6detail15normal_iteratorINSA_7pointerIxNSA_11hip_rocprim3tagENSA_11use_defaultESG_EEEEPS6_SJ_NS0_5tupleIJPxSJ_EEENSK_IJSJ_SJ_EEES6_PlJ7is_evenIxEEEE10hipError_tPvRmT3_T4_T5_T6_T7_T9_mT8_P12ihipStream_tbDpT10_ENKUlT_T0_E_clISt17integral_constantIbLb1EES19_IbLb0EEEEDaS15_S16_EUlS15_E_NS1_11comp_targetILNS1_3genE5ELNS1_11target_archE942ELNS1_3gpuE9ELNS1_3repE0EEENS1_30default_config_static_selectorELNS0_4arch9wavefront6targetE1EEEvT1_, .Lfunc_end32-_ZN7rocprim17ROCPRIM_400000_NS6detail17trampoline_kernelINS0_14default_configENS1_25partition_config_selectorILNS1_17partition_subalgoE3ExNS0_10empty_typeEbEEZZNS1_14partition_implILS5_3ELb0ES3_jN6thrust23THRUST_200600_302600_NS6detail15normal_iteratorINSA_7pointerIxNSA_11hip_rocprim3tagENSA_11use_defaultESG_EEEEPS6_SJ_NS0_5tupleIJPxSJ_EEENSK_IJSJ_SJ_EEES6_PlJ7is_evenIxEEEE10hipError_tPvRmT3_T4_T5_T6_T7_T9_mT8_P12ihipStream_tbDpT10_ENKUlT_T0_E_clISt17integral_constantIbLb1EES19_IbLb0EEEEDaS15_S16_EUlS15_E_NS1_11comp_targetILNS1_3genE5ELNS1_11target_archE942ELNS1_3gpuE9ELNS1_3repE0EEENS1_30default_config_static_selectorELNS0_4arch9wavefront6targetE1EEEvT1_
                                        ; -- End function
	.section	.AMDGPU.csdata,"",@progbits
; Kernel info:
; codeLenInByte = 0
; NumSgprs: 4
; NumVgprs: 0
; NumAgprs: 0
; TotalNumVgprs: 0
; ScratchSize: 0
; MemoryBound: 0
; FloatMode: 240
; IeeeMode: 1
; LDSByteSize: 0 bytes/workgroup (compile time only)
; SGPRBlocks: 0
; VGPRBlocks: 0
; NumSGPRsForWavesPerEU: 4
; NumVGPRsForWavesPerEU: 1
; AccumOffset: 4
; Occupancy: 8
; WaveLimiterHint : 0
; COMPUTE_PGM_RSRC2:SCRATCH_EN: 0
; COMPUTE_PGM_RSRC2:USER_SGPR: 6
; COMPUTE_PGM_RSRC2:TRAP_HANDLER: 0
; COMPUTE_PGM_RSRC2:TGID_X_EN: 1
; COMPUTE_PGM_RSRC2:TGID_Y_EN: 0
; COMPUTE_PGM_RSRC2:TGID_Z_EN: 0
; COMPUTE_PGM_RSRC2:TIDIG_COMP_CNT: 0
; COMPUTE_PGM_RSRC3_GFX90A:ACCUM_OFFSET: 0
; COMPUTE_PGM_RSRC3_GFX90A:TG_SPLIT: 0
	.section	.text._ZN7rocprim17ROCPRIM_400000_NS6detail17trampoline_kernelINS0_14default_configENS1_25partition_config_selectorILNS1_17partition_subalgoE3ExNS0_10empty_typeEbEEZZNS1_14partition_implILS5_3ELb0ES3_jN6thrust23THRUST_200600_302600_NS6detail15normal_iteratorINSA_7pointerIxNSA_11hip_rocprim3tagENSA_11use_defaultESG_EEEEPS6_SJ_NS0_5tupleIJPxSJ_EEENSK_IJSJ_SJ_EEES6_PlJ7is_evenIxEEEE10hipError_tPvRmT3_T4_T5_T6_T7_T9_mT8_P12ihipStream_tbDpT10_ENKUlT_T0_E_clISt17integral_constantIbLb1EES19_IbLb0EEEEDaS15_S16_EUlS15_E_NS1_11comp_targetILNS1_3genE4ELNS1_11target_archE910ELNS1_3gpuE8ELNS1_3repE0EEENS1_30default_config_static_selectorELNS0_4arch9wavefront6targetE1EEEvT1_,"axG",@progbits,_ZN7rocprim17ROCPRIM_400000_NS6detail17trampoline_kernelINS0_14default_configENS1_25partition_config_selectorILNS1_17partition_subalgoE3ExNS0_10empty_typeEbEEZZNS1_14partition_implILS5_3ELb0ES3_jN6thrust23THRUST_200600_302600_NS6detail15normal_iteratorINSA_7pointerIxNSA_11hip_rocprim3tagENSA_11use_defaultESG_EEEEPS6_SJ_NS0_5tupleIJPxSJ_EEENSK_IJSJ_SJ_EEES6_PlJ7is_evenIxEEEE10hipError_tPvRmT3_T4_T5_T6_T7_T9_mT8_P12ihipStream_tbDpT10_ENKUlT_T0_E_clISt17integral_constantIbLb1EES19_IbLb0EEEEDaS15_S16_EUlS15_E_NS1_11comp_targetILNS1_3genE4ELNS1_11target_archE910ELNS1_3gpuE8ELNS1_3repE0EEENS1_30default_config_static_selectorELNS0_4arch9wavefront6targetE1EEEvT1_,comdat
	.protected	_ZN7rocprim17ROCPRIM_400000_NS6detail17trampoline_kernelINS0_14default_configENS1_25partition_config_selectorILNS1_17partition_subalgoE3ExNS0_10empty_typeEbEEZZNS1_14partition_implILS5_3ELb0ES3_jN6thrust23THRUST_200600_302600_NS6detail15normal_iteratorINSA_7pointerIxNSA_11hip_rocprim3tagENSA_11use_defaultESG_EEEEPS6_SJ_NS0_5tupleIJPxSJ_EEENSK_IJSJ_SJ_EEES6_PlJ7is_evenIxEEEE10hipError_tPvRmT3_T4_T5_T6_T7_T9_mT8_P12ihipStream_tbDpT10_ENKUlT_T0_E_clISt17integral_constantIbLb1EES19_IbLb0EEEEDaS15_S16_EUlS15_E_NS1_11comp_targetILNS1_3genE4ELNS1_11target_archE910ELNS1_3gpuE8ELNS1_3repE0EEENS1_30default_config_static_selectorELNS0_4arch9wavefront6targetE1EEEvT1_ ; -- Begin function _ZN7rocprim17ROCPRIM_400000_NS6detail17trampoline_kernelINS0_14default_configENS1_25partition_config_selectorILNS1_17partition_subalgoE3ExNS0_10empty_typeEbEEZZNS1_14partition_implILS5_3ELb0ES3_jN6thrust23THRUST_200600_302600_NS6detail15normal_iteratorINSA_7pointerIxNSA_11hip_rocprim3tagENSA_11use_defaultESG_EEEEPS6_SJ_NS0_5tupleIJPxSJ_EEENSK_IJSJ_SJ_EEES6_PlJ7is_evenIxEEEE10hipError_tPvRmT3_T4_T5_T6_T7_T9_mT8_P12ihipStream_tbDpT10_ENKUlT_T0_E_clISt17integral_constantIbLb1EES19_IbLb0EEEEDaS15_S16_EUlS15_E_NS1_11comp_targetILNS1_3genE4ELNS1_11target_archE910ELNS1_3gpuE8ELNS1_3repE0EEENS1_30default_config_static_selectorELNS0_4arch9wavefront6targetE1EEEvT1_
	.globl	_ZN7rocprim17ROCPRIM_400000_NS6detail17trampoline_kernelINS0_14default_configENS1_25partition_config_selectorILNS1_17partition_subalgoE3ExNS0_10empty_typeEbEEZZNS1_14partition_implILS5_3ELb0ES3_jN6thrust23THRUST_200600_302600_NS6detail15normal_iteratorINSA_7pointerIxNSA_11hip_rocprim3tagENSA_11use_defaultESG_EEEEPS6_SJ_NS0_5tupleIJPxSJ_EEENSK_IJSJ_SJ_EEES6_PlJ7is_evenIxEEEE10hipError_tPvRmT3_T4_T5_T6_T7_T9_mT8_P12ihipStream_tbDpT10_ENKUlT_T0_E_clISt17integral_constantIbLb1EES19_IbLb0EEEEDaS15_S16_EUlS15_E_NS1_11comp_targetILNS1_3genE4ELNS1_11target_archE910ELNS1_3gpuE8ELNS1_3repE0EEENS1_30default_config_static_selectorELNS0_4arch9wavefront6targetE1EEEvT1_
	.p2align	8
	.type	_ZN7rocprim17ROCPRIM_400000_NS6detail17trampoline_kernelINS0_14default_configENS1_25partition_config_selectorILNS1_17partition_subalgoE3ExNS0_10empty_typeEbEEZZNS1_14partition_implILS5_3ELb0ES3_jN6thrust23THRUST_200600_302600_NS6detail15normal_iteratorINSA_7pointerIxNSA_11hip_rocprim3tagENSA_11use_defaultESG_EEEEPS6_SJ_NS0_5tupleIJPxSJ_EEENSK_IJSJ_SJ_EEES6_PlJ7is_evenIxEEEE10hipError_tPvRmT3_T4_T5_T6_T7_T9_mT8_P12ihipStream_tbDpT10_ENKUlT_T0_E_clISt17integral_constantIbLb1EES19_IbLb0EEEEDaS15_S16_EUlS15_E_NS1_11comp_targetILNS1_3genE4ELNS1_11target_archE910ELNS1_3gpuE8ELNS1_3repE0EEENS1_30default_config_static_selectorELNS0_4arch9wavefront6targetE1EEEvT1_,@function
_ZN7rocprim17ROCPRIM_400000_NS6detail17trampoline_kernelINS0_14default_configENS1_25partition_config_selectorILNS1_17partition_subalgoE3ExNS0_10empty_typeEbEEZZNS1_14partition_implILS5_3ELb0ES3_jN6thrust23THRUST_200600_302600_NS6detail15normal_iteratorINSA_7pointerIxNSA_11hip_rocprim3tagENSA_11use_defaultESG_EEEEPS6_SJ_NS0_5tupleIJPxSJ_EEENSK_IJSJ_SJ_EEES6_PlJ7is_evenIxEEEE10hipError_tPvRmT3_T4_T5_T6_T7_T9_mT8_P12ihipStream_tbDpT10_ENKUlT_T0_E_clISt17integral_constantIbLb1EES19_IbLb0EEEEDaS15_S16_EUlS15_E_NS1_11comp_targetILNS1_3genE4ELNS1_11target_archE910ELNS1_3gpuE8ELNS1_3repE0EEENS1_30default_config_static_selectorELNS0_4arch9wavefront6targetE1EEEvT1_: ; @_ZN7rocprim17ROCPRIM_400000_NS6detail17trampoline_kernelINS0_14default_configENS1_25partition_config_selectorILNS1_17partition_subalgoE3ExNS0_10empty_typeEbEEZZNS1_14partition_implILS5_3ELb0ES3_jN6thrust23THRUST_200600_302600_NS6detail15normal_iteratorINSA_7pointerIxNSA_11hip_rocprim3tagENSA_11use_defaultESG_EEEEPS6_SJ_NS0_5tupleIJPxSJ_EEENSK_IJSJ_SJ_EEES6_PlJ7is_evenIxEEEE10hipError_tPvRmT3_T4_T5_T6_T7_T9_mT8_P12ihipStream_tbDpT10_ENKUlT_T0_E_clISt17integral_constantIbLb1EES19_IbLb0EEEEDaS15_S16_EUlS15_E_NS1_11comp_targetILNS1_3genE4ELNS1_11target_archE910ELNS1_3gpuE8ELNS1_3repE0EEENS1_30default_config_static_selectorELNS0_4arch9wavefront6targetE1EEEvT1_
; %bb.0:
	s_load_dwordx4 s[20:23], s[4:5], 0x8
	s_load_dwordx4 s[24:27], s[4:5], 0x48
	s_load_dwordx2 s[28:29], s[4:5], 0x58
	s_load_dword s2, s[4:5], 0x70
	s_mul_i32 s30, s6, 0x300
	s_waitcnt lgkmcnt(0)
	s_lshl_b64 s[0:1], s[22:23], 3
	s_add_u32 s7, s20, s0
	s_addc_u32 s8, s21, s1
	s_mul_i32 s0, s2, 0x300
	s_add_i32 s1, s0, s22
	s_sub_i32 s33, s28, s1
	s_add_i32 s3, s2, -1
	s_addk_i32 s33, 0x300
	s_add_u32 s0, s22, s0
	s_addc_u32 s1, s23, 0
	s_cmp_eq_u32 s6, s3
	s_load_dwordx2 s[34:35], s[26:27], 0x0
	v_pk_mov_b32 v[2:3], s[28:29], s[28:29] op_sel:[0,1]
	s_cselect_b64 s[26:27], -1, 0
	s_cmp_lg_u32 s6, s3
	s_mov_b32 s31, 0
	v_cmp_lt_u64_e32 vcc, s[0:1], v[2:3]
	s_cselect_b64 s[0:1], -1, 0
	s_or_b64 s[2:3], s[0:1], vcc
	s_lshl_b64 s[0:1], s[30:31], 3
	s_add_u32 s7, s7, s0
	s_addc_u32 s10, s8, s1
	s_mov_b64 s[0:1], -1
	s_and_b64 vcc, exec, s[2:3]
	v_lshlrev_b32_e32 v1, 3, v0
	v_lshrrev_b32_e32 v10, 2, v0
	s_cbranch_vccz .LBB33_2
; %bb.1:
	v_mov_b32_e32 v3, s10
	v_add_co_u32_e32 v2, vcc, s7, v1
	v_addc_co_u32_e32 v3, vcc, 0, v3, vcc
	v_add_co_u32_e32 v4, vcc, 0x1000, v2
	v_addc_co_u32_e32 v5, vcc, 0, v3, vcc
	flat_load_dwordx2 v[6:7], v[2:3]
	flat_load_dwordx2 v[8:9], v[2:3] offset:1536
	flat_load_dwordx2 v[12:13], v[2:3] offset:3072
	;; [unrolled: 1-line block ×3, first 2 shown]
	v_add_u32_e32 v3, 0xc0, v0
	v_add_u32_e32 v4, 0x180, v0
	;; [unrolled: 1-line block ×3, first 2 shown]
	v_and_b32_e32 v2, 56, v10
	v_lshrrev_b32_e32 v3, 2, v3
	v_lshrrev_b32_e32 v4, 2, v4
	;; [unrolled: 1-line block ×3, first 2 shown]
	v_add_u32_e32 v2, v2, v1
	v_and_b32_e32 v3, 0x78, v3
	v_and_b32_e32 v4, 0xf8, v4
	;; [unrolled: 1-line block ×3, first 2 shown]
	v_add_u32_e32 v3, v3, v1
	v_add_u32_e32 v4, v4, v1
	;; [unrolled: 1-line block ×3, first 2 shown]
	s_mov_b64 s[0:1], 0
	s_waitcnt vmcnt(0) lgkmcnt(0)
	ds_write_b64 v2, v[6:7]
	ds_write_b64 v3, v[8:9] offset:1536
	ds_write_b64 v4, v[12:13] offset:3072
	;; [unrolled: 1-line block ×3, first 2 shown]
	s_waitcnt lgkmcnt(0)
	s_barrier
.LBB33_2:
	s_andn2_b64 vcc, exec, s[0:1]
	v_cmp_gt_u32_e64 s[0:1], s33, v0
	s_cbranch_vccnz .LBB33_12
; %bb.3:
                                        ; implicit-def: $vgpr2_vgpr3_vgpr4_vgpr5_vgpr6_vgpr7_vgpr8_vgpr9
	s_and_saveexec_b64 s[8:9], s[0:1]
	s_cbranch_execz .LBB33_5
; %bb.4:
	v_mov_b32_e32 v3, s10
	v_add_co_u32_e32 v2, vcc, s7, v1
	v_addc_co_u32_e32 v3, vcc, 0, v3, vcc
	flat_load_dwordx2 v[2:3], v[2:3]
.LBB33_5:
	s_or_b64 exec, exec, s[8:9]
	v_add_u32_e32 v11, 0xc0, v0
	v_cmp_gt_u32_e32 vcc, s33, v11
	s_and_saveexec_b64 s[0:1], vcc
	s_cbranch_execz .LBB33_7
; %bb.6:
	v_mov_b32_e32 v5, s10
	v_add_co_u32_e32 v4, vcc, s7, v1
	v_addc_co_u32_e32 v5, vcc, 0, v5, vcc
	flat_load_dwordx2 v[4:5], v[4:5] offset:1536
.LBB33_7:
	s_or_b64 exec, exec, s[0:1]
	v_add_u32_e32 v12, 0x180, v0
	v_cmp_gt_u32_e32 vcc, s33, v12
	s_and_saveexec_b64 s[0:1], vcc
	s_cbranch_execz .LBB33_9
; %bb.8:
	v_mov_b32_e32 v7, s10
	v_add_co_u32_e32 v6, vcc, s7, v1
	v_addc_co_u32_e32 v7, vcc, 0, v7, vcc
	flat_load_dwordx2 v[6:7], v[6:7] offset:3072
.LBB33_9:
	s_or_b64 exec, exec, s[0:1]
	v_add_u32_e32 v13, 0x240, v0
	v_cmp_gt_u32_e32 vcc, s33, v13
	s_and_saveexec_b64 s[0:1], vcc
	s_cbranch_execz .LBB33_11
; %bb.10:
	v_lshlrev_b32_e32 v8, 3, v13
	v_mov_b32_e32 v9, s10
	v_add_co_u32_e32 v8, vcc, s7, v8
	v_addc_co_u32_e32 v9, vcc, 0, v9, vcc
	flat_load_dwordx2 v[8:9], v[8:9]
.LBB33_11:
	s_or_b64 exec, exec, s[0:1]
	v_and_b32_e32 v10, 56, v10
	v_add_u32_e32 v10, v10, v1
	s_waitcnt vmcnt(0) lgkmcnt(0)
	ds_write_b64 v10, v[2:3]
	v_lshrrev_b32_e32 v2, 2, v11
	v_and_b32_e32 v2, 0x78, v2
	v_add_u32_e32 v2, v2, v1
	ds_write_b64 v2, v[4:5] offset:1536
	v_lshrrev_b32_e32 v2, 2, v12
	v_and_b32_e32 v2, 0xf8, v2
	v_add_u32_e32 v2, v2, v1
	ds_write_b64 v2, v[6:7] offset:3072
	;; [unrolled: 4-line block ×3, first 2 shown]
	s_waitcnt lgkmcnt(0)
	s_barrier
.LBB33_12:
	v_lshlrev_b32_e32 v20, 2, v0
	v_lshrrev_b32_e32 v2, 3, v0
	v_add_lshl_u32 v2, v2, v20, 3
	s_waitcnt lgkmcnt(0)
	ds_read2_b64 v[6:9], v2 offset1:1
	ds_read2_b64 v[2:5], v2 offset0:2 offset1:3
	v_cndmask_b32_e64 v10, 0, 1, s[2:3]
	v_cmp_ne_u32_e64 s[0:1], 1, v10
	s_andn2_b64 vcc, exec, s[2:3]
	s_waitcnt lgkmcnt(1)
	v_xor_b32_e32 v13, -1, v6
	v_xor_b32_e32 v12, -1, v8
	s_waitcnt lgkmcnt(0)
	v_xor_b32_e32 v11, -1, v2
	v_xor_b32_e32 v10, -1, v4
	s_barrier
	s_cbranch_vccnz .LBB33_14
; %bb.13:
	v_mov_b32_e32 v15, 1
	v_and_b32_e32 v14, 1, v13
	v_and_b32_sdwa v16, v12, v15 dst_sel:BYTE_1 dst_unused:UNUSED_PAD src0_sel:DWORD src1_sel:DWORD
	v_and_b32_e32 v17, 1, v11
	v_and_b32_sdwa v15, v10, v15 dst_sel:BYTE_1 dst_unused:UNUSED_PAD src0_sel:DWORD src1_sel:DWORD
	v_or_b32_e32 v14, v14, v16
	v_or_b32_sdwa v15, v17, v15 dst_sel:WORD_1 dst_unused:UNUSED_PAD src0_sel:DWORD src1_sel:DWORD
	v_or_b32_sdwa v21, v14, v15 dst_sel:DWORD dst_unused:UNUSED_PAD src0_sel:WORD_0 src1_sel:DWORD
	s_load_dwordx2 s[36:37], s[4:5], 0x68
	s_cbranch_execz .LBB33_15
	s_branch .LBB33_16
.LBB33_14:
                                        ; implicit-def: $vgpr21
	s_load_dwordx2 s[36:37], s[4:5], 0x68
.LBB33_15:
	v_cmp_gt_u32_e32 vcc, s33, v20
	v_cndmask_b32_e64 v14, 0, 1, vcc
	v_and_b32_e32 v13, v14, v13
	v_or_b32_e32 v14, 1, v20
	v_cmp_gt_u32_e32 vcc, s33, v14
	v_cndmask_b32_e64 v14, 0, 1, vcc
	v_and_b32_sdwa v12, v14, v12 dst_sel:BYTE_1 dst_unused:UNUSED_PAD src0_sel:DWORD src1_sel:DWORD
	v_or_b32_e32 v14, 2, v20
	v_cmp_gt_u32_e32 vcc, s33, v14
	v_cndmask_b32_e64 v14, 0, 1, vcc
	v_and_b32_e32 v11, v14, v11
	v_or_b32_e32 v14, 3, v20
	v_cmp_gt_u32_e32 vcc, s33, v14
	v_cndmask_b32_e64 v14, 0, 1, vcc
	v_and_b32_sdwa v10, v14, v10 dst_sel:BYTE_1 dst_unused:UNUSED_PAD src0_sel:DWORD src1_sel:DWORD
	v_or_b32_e32 v12, v13, v12
	v_or_b32_sdwa v10, v11, v10 dst_sel:WORD_1 dst_unused:UNUSED_PAD src0_sel:DWORD src1_sel:DWORD
	v_or_b32_sdwa v21, v12, v10 dst_sel:DWORD dst_unused:UNUSED_PAD src0_sel:WORD_0 src1_sel:DWORD
.LBB33_16:
	v_bfe_u32 v23, v21, 16, 8
	v_lshrrev_b32_e32 v22, 24, v21
	v_add_u32_sdwa v10, v21, v21 dst_sel:DWORD dst_unused:UNUSED_PAD src0_sel:BYTE_1 src1_sel:BYTE_0
	v_add3_u32 v26, v10, v23, v22
	v_mbcnt_lo_u32_b32 v10, -1, 0
	v_mbcnt_hi_u32_b32 v24, -1, v10
	v_and_b32_e32 v10, 15, v24
	v_cmp_eq_u32_e64 s[16:17], 0, v10
	v_cmp_lt_u32_e64 s[14:15], 1, v10
	v_cmp_lt_u32_e64 s[12:13], 3, v10
	;; [unrolled: 1-line block ×3, first 2 shown]
	v_and_b32_e32 v10, 16, v24
	v_cmp_eq_u32_e64 s[20:21], 0, v10
	v_and_b32_e32 v10, 0xc0, v0
	v_min_u32_e32 v10, 0x80, v10
	v_or_b32_e32 v10, 63, v10
	s_cmp_lg_u32 s6, 0
	v_cmp_lt_u32_e64 s[2:3], 31, v24
	v_lshrrev_b32_e32 v25, 6, v0
	v_cmp_eq_u32_e64 s[8:9], v10, v0
	s_cbranch_scc0 .LBB33_47
; %bb.17:
	v_mov_b32_dpp v10, v26 row_shr:1 row_mask:0xf bank_mask:0xf
	v_cndmask_b32_e64 v10, v10, 0, s[16:17]
	v_add_u32_e32 v10, v10, v26
	s_nop 1
	v_mov_b32_dpp v11, v10 row_shr:2 row_mask:0xf bank_mask:0xf
	v_cndmask_b32_e64 v11, 0, v11, s[14:15]
	v_add_u32_e32 v10, v10, v11
	s_nop 1
	;; [unrolled: 4-line block ×4, first 2 shown]
	v_mov_b32_dpp v11, v10 row_bcast:15 row_mask:0xf bank_mask:0xf
	v_cndmask_b32_e64 v11, v11, 0, s[20:21]
	v_add_u32_e32 v10, v10, v11
	s_nop 1
	v_mov_b32_dpp v11, v10 row_bcast:31 row_mask:0xf bank_mask:0xf
	v_cndmask_b32_e64 v11, 0, v11, s[2:3]
	v_add_u32_e32 v10, v10, v11
	s_and_saveexec_b64 s[18:19], s[8:9]
	s_cbranch_execz .LBB33_19
; %bb.18:
	v_lshlrev_b32_e32 v11, 2, v25
	ds_write_b32 v11, v10
.LBB33_19:
	s_or_b64 exec, exec, s[18:19]
	v_cmp_gt_u32_e32 vcc, 3, v0
	s_waitcnt lgkmcnt(0)
	s_barrier
	s_and_saveexec_b64 s[18:19], vcc
	s_cbranch_execz .LBB33_21
; %bb.20:
	ds_read_b32 v11, v20
	v_and_b32_e32 v12, 3, v24
	v_cmp_ne_u32_e32 vcc, 0, v12
	s_waitcnt lgkmcnt(0)
	v_mov_b32_dpp v13, v11 row_shr:1 row_mask:0xf bank_mask:0xf
	v_cndmask_b32_e32 v13, 0, v13, vcc
	v_add_u32_e32 v11, v13, v11
	v_cmp_lt_u32_e32 vcc, 1, v12
	s_nop 0
	v_mov_b32_dpp v13, v11 row_shr:2 row_mask:0xf bank_mask:0xf
	v_cndmask_b32_e32 v12, 0, v13, vcc
	v_add_u32_e32 v11, v11, v12
	ds_write_b32 v20, v11
.LBB33_21:
	s_or_b64 exec, exec, s[18:19]
	v_cmp_gt_u32_e32 vcc, 64, v0
	v_cmp_lt_u32_e64 s[18:19], 63, v0
	s_waitcnt lgkmcnt(0)
	s_barrier
	s_waitcnt lgkmcnt(0)
                                        ; implicit-def: $vgpr27
	s_and_saveexec_b64 s[38:39], s[18:19]
	s_cbranch_execz .LBB33_23
; %bb.22:
	v_lshl_add_u32 v11, v25, 2, -4
	ds_read_b32 v27, v11
	s_waitcnt lgkmcnt(0)
	v_add_u32_e32 v10, v27, v10
.LBB33_23:
	s_or_b64 exec, exec, s[38:39]
	v_add_u32_e32 v11, -1, v24
	v_and_b32_e32 v12, 64, v24
	v_cmp_lt_i32_e64 s[18:19], v11, v12
	v_cndmask_b32_e64 v11, v11, v24, s[18:19]
	v_lshlrev_b32_e32 v11, 2, v11
	ds_bpermute_b32 v28, v11, v10
	v_cmp_eq_u32_e64 s[18:19], 0, v24
	s_and_saveexec_b64 s[38:39], vcc
	s_cbranch_execz .LBB33_46
; %bb.24:
	v_mov_b32_e32 v19, 0
	ds_read_b32 v10, v19 offset:8
	s_and_saveexec_b64 s[40:41], s[18:19]
	s_cbranch_execz .LBB33_26
; %bb.25:
	s_add_i32 s42, s6, 64
	s_mov_b32 s43, 0
	s_lshl_b64 s[42:43], s[42:43], 3
	s_add_u32 s42, s36, s42
	v_mov_b32_e32 v11, 1
	s_addc_u32 s43, s37, s43
	s_waitcnt lgkmcnt(0)
	global_store_dwordx2 v19, v[10:11], s[42:43]
.LBB33_26:
	s_or_b64 exec, exec, s[40:41]
	v_xad_u32 v12, v24, -1, s6
	v_add_u32_e32 v18, 64, v12
	v_lshlrev_b64 v[14:15], 3, v[18:19]
	v_mov_b32_e32 v11, s37
	v_add_co_u32_e32 v14, vcc, s36, v14
	v_addc_co_u32_e32 v15, vcc, v11, v15, vcc
	global_load_dwordx2 v[16:17], v[14:15], off glc
	s_waitcnt vmcnt(0)
	v_cmp_eq_u16_sdwa s[42:43], v17, v19 src0_sel:BYTE_0 src1_sel:DWORD
	s_and_saveexec_b64 s[40:41], s[42:43]
	s_cbranch_execz .LBB33_32
; %bb.27:
	s_mov_b32 s7, 1
	s_mov_b64 s[42:43], 0
	v_mov_b32_e32 v11, 0
.LBB33_28:                              ; =>This Loop Header: Depth=1
                                        ;     Child Loop BB33_29 Depth 2
	s_max_u32 s31, s7, 1
.LBB33_29:                              ;   Parent Loop BB33_28 Depth=1
                                        ; =>  This Inner Loop Header: Depth=2
	s_add_i32 s31, s31, -1
	s_cmp_eq_u32 s31, 0
	s_sleep 1
	s_cbranch_scc0 .LBB33_29
; %bb.30:                               ;   in Loop: Header=BB33_28 Depth=1
	global_load_dwordx2 v[16:17], v[14:15], off glc
	s_cmp_lt_u32 s7, 32
	s_cselect_b64 s[44:45], -1, 0
	s_cmp_lg_u64 s[44:45], 0
	s_addc_u32 s7, s7, 0
	s_waitcnt vmcnt(0)
	v_cmp_ne_u16_sdwa s[44:45], v17, v11 src0_sel:BYTE_0 src1_sel:DWORD
	s_or_b64 s[42:43], s[44:45], s[42:43]
	s_andn2_b64 exec, exec, s[42:43]
	s_cbranch_execnz .LBB33_28
; %bb.31:
	s_or_b64 exec, exec, s[42:43]
.LBB33_32:
	s_or_b64 exec, exec, s[40:41]
	v_and_b32_e32 v30, 63, v24
	v_mov_b32_e32 v29, 2
	v_cmp_ne_u32_e32 vcc, 63, v30
	v_cmp_eq_u16_sdwa s[40:41], v17, v29 src0_sel:BYTE_0 src1_sel:DWORD
	v_lshlrev_b64 v[14:15], v24, -1
	v_addc_co_u32_e32 v18, vcc, 0, v24, vcc
	v_and_b32_e32 v11, s41, v15
	v_lshlrev_b32_e32 v31, 2, v18
	v_or_b32_e32 v11, 0x80000000, v11
	ds_bpermute_b32 v18, v31, v16
	v_and_b32_e32 v13, s40, v14
	v_ffbl_b32_e32 v11, v11
	v_add_u32_e32 v11, 32, v11
	v_ffbl_b32_e32 v13, v13
	v_min_u32_e32 v11, v13, v11
	v_cmp_lt_u32_e32 vcc, v30, v11
	s_waitcnt lgkmcnt(0)
	v_cndmask_b32_e32 v13, 0, v18, vcc
	v_cmp_gt_u32_e32 vcc, 62, v30
	v_add_u32_e32 v13, v13, v16
	v_cndmask_b32_e64 v16, 0, 1, vcc
	v_lshlrev_b32_e32 v16, 1, v16
	v_add_lshl_u32 v32, v16, v24, 2
	ds_bpermute_b32 v16, v32, v13
	v_add_u32_e32 v33, 2, v30
	v_cmp_le_u32_e32 vcc, v33, v11
	v_add_u32_e32 v35, 4, v30
	v_add_u32_e32 v37, 8, v30
	s_waitcnt lgkmcnt(0)
	v_cndmask_b32_e32 v16, 0, v16, vcc
	v_cmp_gt_u32_e32 vcc, 60, v30
	v_add_u32_e32 v13, v13, v16
	v_cndmask_b32_e64 v16, 0, 1, vcc
	v_lshlrev_b32_e32 v16, 2, v16
	v_add_lshl_u32 v34, v16, v24, 2
	ds_bpermute_b32 v16, v34, v13
	v_cmp_le_u32_e32 vcc, v35, v11
	v_add_u32_e32 v39, 16, v30
	v_add_u32_e32 v41, 32, v30
	s_waitcnt lgkmcnt(0)
	v_cndmask_b32_e32 v16, 0, v16, vcc
	v_cmp_gt_u32_e32 vcc, 56, v30
	v_add_u32_e32 v13, v13, v16
	v_cndmask_b32_e64 v16, 0, 1, vcc
	v_lshlrev_b32_e32 v16, 3, v16
	v_add_lshl_u32 v36, v16, v24, 2
	ds_bpermute_b32 v16, v36, v13
	v_cmp_le_u32_e32 vcc, v37, v11
	s_waitcnt lgkmcnt(0)
	v_cndmask_b32_e32 v16, 0, v16, vcc
	v_cmp_gt_u32_e32 vcc, 48, v30
	v_add_u32_e32 v13, v13, v16
	v_cndmask_b32_e64 v16, 0, 1, vcc
	v_lshlrev_b32_e32 v16, 4, v16
	v_add_lshl_u32 v38, v16, v24, 2
	ds_bpermute_b32 v16, v38, v13
	v_cmp_le_u32_e32 vcc, v39, v11
	;; [unrolled: 9-line block ×3, first 2 shown]
	s_waitcnt lgkmcnt(0)
	v_cndmask_b32_e32 v11, 0, v16, vcc
	v_add_u32_e32 v16, v13, v11
	v_mov_b32_e32 v13, 0
	s_branch .LBB33_34
.LBB33_33:                              ;   in Loop: Header=BB33_34 Depth=1
	s_or_b64 exec, exec, s[40:41]
	v_cmp_eq_u16_sdwa s[40:41], v17, v29 src0_sel:BYTE_0 src1_sel:DWORD
	v_and_b32_e32 v18, s41, v15
	v_or_b32_e32 v18, 0x80000000, v18
	ds_bpermute_b32 v42, v31, v16
	v_and_b32_e32 v19, s40, v14
	v_ffbl_b32_e32 v18, v18
	v_add_u32_e32 v18, 32, v18
	v_ffbl_b32_e32 v19, v19
	v_min_u32_e32 v18, v19, v18
	v_cmp_lt_u32_e32 vcc, v30, v18
	s_waitcnt lgkmcnt(0)
	v_cndmask_b32_e32 v19, 0, v42, vcc
	v_add_u32_e32 v16, v19, v16
	ds_bpermute_b32 v19, v32, v16
	v_cmp_le_u32_e32 vcc, v33, v18
	v_subrev_u32_e32 v12, 64, v12
	s_waitcnt lgkmcnt(0)
	v_cndmask_b32_e32 v19, 0, v19, vcc
	v_add_u32_e32 v16, v16, v19
	ds_bpermute_b32 v19, v34, v16
	v_cmp_le_u32_e32 vcc, v35, v18
	s_waitcnt lgkmcnt(0)
	v_cndmask_b32_e32 v19, 0, v19, vcc
	v_add_u32_e32 v16, v16, v19
	ds_bpermute_b32 v19, v36, v16
	v_cmp_le_u32_e32 vcc, v37, v18
	s_waitcnt lgkmcnt(0)
	v_cndmask_b32_e32 v19, 0, v19, vcc
	v_add_u32_e32 v16, v16, v19
	ds_bpermute_b32 v19, v38, v16
	v_cmp_le_u32_e32 vcc, v39, v18
	s_waitcnt lgkmcnt(0)
	v_cndmask_b32_e32 v19, 0, v19, vcc
	v_add_u32_e32 v16, v16, v19
	ds_bpermute_b32 v19, v40, v16
	v_cmp_le_u32_e32 vcc, v41, v18
	s_waitcnt lgkmcnt(0)
	v_cndmask_b32_e32 v18, 0, v19, vcc
	v_add3_u32 v16, v18, v11, v16
.LBB33_34:                              ; =>This Loop Header: Depth=1
                                        ;     Child Loop BB33_37 Depth 2
                                        ;       Child Loop BB33_38 Depth 3
	v_cmp_ne_u16_sdwa s[40:41], v17, v29 src0_sel:BYTE_0 src1_sel:DWORD
	v_cndmask_b32_e64 v11, 0, 1, s[40:41]
	;;#ASMSTART
	;;#ASMEND
	v_cmp_ne_u32_e32 vcc, 0, v11
	s_cmp_lg_u64 vcc, exec
	v_mov_b32_e32 v11, v16
	s_cbranch_scc1 .LBB33_41
; %bb.35:                               ;   in Loop: Header=BB33_34 Depth=1
	v_lshlrev_b64 v[16:17], 3, v[12:13]
	v_mov_b32_e32 v19, s37
	v_add_co_u32_e32 v18, vcc, s36, v16
	v_addc_co_u32_e32 v19, vcc, v19, v17, vcc
	global_load_dwordx2 v[16:17], v[18:19], off glc
	s_waitcnt vmcnt(0)
	v_cmp_eq_u16_sdwa s[42:43], v17, v13 src0_sel:BYTE_0 src1_sel:DWORD
	s_and_saveexec_b64 s[40:41], s[42:43]
	s_cbranch_execz .LBB33_33
; %bb.36:                               ;   in Loop: Header=BB33_34 Depth=1
	s_mov_b32 s7, 1
	s_mov_b64 s[42:43], 0
.LBB33_37:                              ;   Parent Loop BB33_34 Depth=1
                                        ; =>  This Loop Header: Depth=2
                                        ;       Child Loop BB33_38 Depth 3
	s_max_u32 s31, s7, 1
.LBB33_38:                              ;   Parent Loop BB33_34 Depth=1
                                        ;     Parent Loop BB33_37 Depth=2
                                        ; =>    This Inner Loop Header: Depth=3
	s_add_i32 s31, s31, -1
	s_cmp_eq_u32 s31, 0
	s_sleep 1
	s_cbranch_scc0 .LBB33_38
; %bb.39:                               ;   in Loop: Header=BB33_37 Depth=2
	global_load_dwordx2 v[16:17], v[18:19], off glc
	s_cmp_lt_u32 s7, 32
	s_cselect_b64 s[44:45], -1, 0
	s_cmp_lg_u64 s[44:45], 0
	s_addc_u32 s7, s7, 0
	s_waitcnt vmcnt(0)
	v_cmp_ne_u16_sdwa s[44:45], v17, v13 src0_sel:BYTE_0 src1_sel:DWORD
	s_or_b64 s[42:43], s[44:45], s[42:43]
	s_andn2_b64 exec, exec, s[42:43]
	s_cbranch_execnz .LBB33_37
; %bb.40:                               ;   in Loop: Header=BB33_34 Depth=1
	s_or_b64 exec, exec, s[42:43]
	s_branch .LBB33_33
.LBB33_41:                              ;   in Loop: Header=BB33_34 Depth=1
                                        ; implicit-def: $vgpr16
                                        ; implicit-def: $vgpr17
	s_cbranch_execz .LBB33_34
; %bb.42:
	s_and_saveexec_b64 s[40:41], s[18:19]
	s_cbranch_execz .LBB33_44
; %bb.43:
	s_add_i32 s6, s6, 64
	s_mov_b32 s7, 0
	s_lshl_b64 s[6:7], s[6:7], 3
	s_add_u32 s6, s36, s6
	v_add_u32_e32 v12, v11, v10
	v_mov_b32_e32 v13, 2
	s_addc_u32 s7, s37, s7
	v_mov_b32_e32 v14, 0
	global_store_dwordx2 v14, v[12:13], s[6:7]
	ds_write_b64 v14, v[10:11] offset:6336
.LBB33_44:
	s_or_b64 exec, exec, s[40:41]
	v_cmp_eq_u32_e32 vcc, 0, v0
	s_and_b64 exec, exec, vcc
	s_cbranch_execz .LBB33_46
; %bb.45:
	v_mov_b32_e32 v10, 0
	ds_write_b32 v10, v11 offset:8
.LBB33_46:
	s_or_b64 exec, exec, s[38:39]
	v_mov_b32_e32 v10, 0
	s_waitcnt lgkmcnt(0)
	s_barrier
	ds_read_b32 v11, v10 offset:8
	v_cndmask_b32_e64 v12, v28, v27, s[18:19]
	v_cmp_ne_u32_e32 vcc, 0, v0
	v_cndmask_b32_e32 v12, 0, v12, vcc
	s_waitcnt lgkmcnt(0)
	v_add_u32_e32 v14, v11, v12
	s_barrier
	ds_read_b64 v[10:11], v10 offset:6336
	v_add_u32_sdwa v15, v14, v21 dst_sel:DWORD dst_unused:UNUSED_PAD src0_sel:DWORD src1_sel:BYTE_0
	v_add_u32_sdwa v13, v15, v21 dst_sel:DWORD dst_unused:UNUSED_PAD src0_sel:DWORD src1_sel:BYTE_1
	v_add_u32_e32 v12, v13, v23
	s_load_dwordx2 s[4:5], s[4:5], 0x28
	s_branch .LBB33_57
.LBB33_47:
                                        ; implicit-def: $vgpr11
                                        ; implicit-def: $vgpr12
                                        ; implicit-def: $vgpr13
                                        ; implicit-def: $vgpr15
                                        ; implicit-def: $vgpr14
	s_load_dwordx2 s[4:5], s[4:5], 0x28
	s_cbranch_execz .LBB33_57
; %bb.48:
	s_waitcnt lgkmcnt(0)
	v_mov_b32_dpp v10, v26 row_shr:1 row_mask:0xf bank_mask:0xf
	v_cndmask_b32_e64 v10, v10, 0, s[16:17]
	v_add_u32_e32 v10, v10, v26
	s_nop 1
	v_mov_b32_dpp v11, v10 row_shr:2 row_mask:0xf bank_mask:0xf
	v_cndmask_b32_e64 v11, 0, v11, s[14:15]
	v_add_u32_e32 v10, v10, v11
	s_nop 1
	;; [unrolled: 4-line block ×4, first 2 shown]
	v_mov_b32_dpp v11, v10 row_bcast:15 row_mask:0xf bank_mask:0xf
	v_cndmask_b32_e64 v11, v11, 0, s[20:21]
	v_add_u32_e32 v10, v10, v11
	s_nop 1
	v_mov_b32_dpp v11, v10 row_bcast:31 row_mask:0xf bank_mask:0xf
	v_cndmask_b32_e64 v11, 0, v11, s[2:3]
	v_add_u32_e32 v10, v10, v11
	s_and_saveexec_b64 s[2:3], s[8:9]
	s_cbranch_execz .LBB33_50
; %bb.49:
	v_lshlrev_b32_e32 v11, 2, v25
	ds_write_b32 v11, v10
.LBB33_50:
	s_or_b64 exec, exec, s[2:3]
	v_cmp_gt_u32_e32 vcc, 3, v0
	s_waitcnt lgkmcnt(0)
	s_barrier
	s_and_saveexec_b64 s[2:3], vcc
	s_cbranch_execz .LBB33_52
; %bb.51:
	ds_read_b32 v11, v20
	v_and_b32_e32 v12, 3, v24
	v_cmp_ne_u32_e32 vcc, 0, v12
	s_waitcnt lgkmcnt(0)
	v_mov_b32_dpp v13, v11 row_shr:1 row_mask:0xf bank_mask:0xf
	v_cndmask_b32_e32 v13, 0, v13, vcc
	v_add_u32_e32 v11, v13, v11
	v_cmp_lt_u32_e32 vcc, 1, v12
	s_nop 0
	v_mov_b32_dpp v13, v11 row_shr:2 row_mask:0xf bank_mask:0xf
	v_cndmask_b32_e32 v12, 0, v13, vcc
	v_add_u32_e32 v11, v11, v12
	ds_write_b32 v20, v11
.LBB33_52:
	s_or_b64 exec, exec, s[2:3]
	v_cmp_lt_u32_e32 vcc, 63, v0
	v_mov_b32_e32 v11, 0
	v_mov_b32_e32 v12, 0
	s_waitcnt lgkmcnt(0)
	s_barrier
	s_and_saveexec_b64 s[2:3], vcc
	s_cbranch_execz .LBB33_54
; %bb.53:
	v_lshl_add_u32 v12, v25, 2, -4
	ds_read_b32 v12, v12
.LBB33_54:
	s_or_b64 exec, exec, s[2:3]
	v_add_u32_e32 v13, -1, v24
	v_and_b32_e32 v14, 64, v24
	v_cmp_lt_i32_e32 vcc, v13, v14
	v_cndmask_b32_e32 v13, v13, v24, vcc
	s_waitcnt lgkmcnt(0)
	v_add_u32_e32 v10, v12, v10
	v_lshlrev_b32_e32 v13, 2, v13
	ds_bpermute_b32 v13, v13, v10
	ds_read_b32 v10, v11 offset:8
	v_cmp_eq_u32_e32 vcc, 0, v0
	s_and_saveexec_b64 s[2:3], vcc
	s_cbranch_execz .LBB33_56
; %bb.55:
	v_mov_b32_e32 v14, 0
	v_mov_b32_e32 v11, 2
	s_waitcnt lgkmcnt(0)
	global_store_dwordx2 v14, v[10:11], s[36:37] offset:512
.LBB33_56:
	s_or_b64 exec, exec, s[2:3]
	v_cmp_eq_u32_e64 s[2:3], 0, v24
	s_waitcnt lgkmcnt(1)
	v_cndmask_b32_e64 v12, v13, v12, s[2:3]
	v_cndmask_b32_e64 v14, v12, 0, vcc
	v_add_u32_sdwa v15, v14, v21 dst_sel:DWORD dst_unused:UNUSED_PAD src0_sel:DWORD src1_sel:BYTE_0
	v_add_u32_sdwa v13, v15, v21 dst_sel:DWORD dst_unused:UNUSED_PAD src0_sel:DWORD src1_sel:BYTE_1
	v_mov_b32_e32 v11, 0
	v_add_u32_e32 v12, v13, v23
	s_waitcnt lgkmcnt(0)
	s_barrier
.LBB33_57:
	s_waitcnt lgkmcnt(0)
	v_add_u32_e32 v17, v10, v20
	v_sub_u32_e32 v14, v14, v11
	v_and_b32_e32 v19, 1, v21
	v_sub_u32_e32 v18, v17, v14
	v_cmp_eq_u32_e32 vcc, 1, v19
	v_cndmask_b32_e32 v14, v18, v14, vcc
	v_lshlrev_b32_e32 v14, 3, v14
	v_lshrrev_b32_e32 v16, 8, v21
	ds_write_b64 v14, v[6:7]
	v_sub_u32_e32 v6, v15, v11
	v_sub_u32_e32 v7, v17, v6
	v_and_b32_e32 v14, 1, v16
	v_add_u32_e32 v7, 1, v7
	v_cmp_eq_u32_e32 vcc, 1, v14
	v_cndmask_b32_e32 v6, v7, v6, vcc
	v_lshlrev_b32_e32 v6, 3, v6
	ds_write_b64 v6, v[8:9]
	v_sub_u32_e32 v6, v13, v11
	v_mov_b32_e32 v8, 1
	v_sub_u32_e32 v7, v17, v6
	v_and_b32_sdwa v8, v8, v21 dst_sel:DWORD dst_unused:UNUSED_PAD src0_sel:DWORD src1_sel:WORD_1
	v_add_u32_e32 v7, 2, v7
	v_cmp_eq_u32_e32 vcc, 1, v8
	v_cndmask_b32_e32 v6, v7, v6, vcc
	v_lshlrev_b32_e32 v6, 3, v6
	ds_write_b64 v6, v[2:3]
	v_sub_u32_e32 v2, v12, v11
	v_sub_u32_e32 v3, v17, v2
	v_and_b32_e32 v6, 1, v22
	v_add_u32_e32 v3, 3, v3
	v_cmp_eq_u32_e32 vcc, 1, v6
	v_cndmask_b32_e32 v2, v3, v2, vcc
	s_add_u32 s2, s22, s30
	v_lshlrev_b32_e32 v2, 3, v2
	s_addc_u32 s3, s23, 0
	ds_write_b64 v2, v[4:5]
	s_waitcnt lgkmcnt(0)
	s_barrier
	ds_read2st64_b64 v[6:9], v1 offset1:3
	ds_read2st64_b64 v[2:5], v1 offset0:6 offset1:9
	v_mov_b32_e32 v12, s35
	v_add_co_u32_e32 v1, vcc, s34, v11
	s_sub_u32 s2, s28, s2
	v_addc_co_u32_e32 v11, vcc, 0, v12, vcc
	s_subb_u32 s3, s29, s3
	v_mov_b32_e32 v12, s3
	v_add_co_u32_e32 v13, vcc, s2, v10
	v_addc_co_u32_e32 v12, vcc, 0, v12, vcc
	s_and_b64 vcc, exec, s[0:1]
	v_add_co_u32_e64 v15, s[0:1], v13, v1
	v_add_u32_e32 v18, 0xc0, v0
	v_add_u32_e32 v17, 0x180, v0
	v_add_u32_e32 v14, 0x240, v0
	v_addc_co_u32_e64 v16, s[0:1], v12, v11, s[0:1]
	s_cbranch_vccnz .LBB33_75
; %bb.58:
	v_cmp_ge_u32_e32 vcc, v0, v10
                                        ; implicit-def: $vgpr12_vgpr13
	s_and_saveexec_b64 s[0:1], vcc
	s_xor_b64 s[0:1], exec, s[0:1]
; %bb.59:
	v_not_b32_e32 v12, v0
	v_ashrrev_i32_e32 v13, 31, v12
	v_add_co_u32_e32 v12, vcc, v15, v12
	v_addc_co_u32_e32 v13, vcc, v16, v13, vcc
; %bb.60:
	s_andn2_saveexec_b64 s[0:1], s[0:1]
; %bb.61:
	v_add_co_u32_e32 v12, vcc, v1, v0
	v_addc_co_u32_e32 v13, vcc, 0, v11, vcc
; %bb.62:
	s_or_b64 exec, exec, s[0:1]
	v_lshlrev_b64 v[12:13], 3, v[12:13]
	v_mov_b32_e32 v19, s5
	v_add_co_u32_e32 v12, vcc, s4, v12
	v_addc_co_u32_e32 v13, vcc, v19, v13, vcc
	v_cmp_ge_u32_e32 vcc, v18, v10
	s_waitcnt lgkmcnt(1)
	global_store_dwordx2 v[12:13], v[6:7], off
                                        ; implicit-def: $vgpr12_vgpr13
	s_and_saveexec_b64 s[0:1], vcc
	s_xor_b64 s[0:1], exec, s[0:1]
; %bb.63:
	v_sub_u32_e32 v12, 0xffffff3f, v0
	v_ashrrev_i32_e32 v13, 31, v12
	v_add_co_u32_e32 v12, vcc, v15, v12
	v_addc_co_u32_e32 v13, vcc, v16, v13, vcc
; %bb.64:
	s_andn2_saveexec_b64 s[0:1], s[0:1]
; %bb.65:
	v_add_co_u32_e32 v12, vcc, v1, v18
	v_addc_co_u32_e32 v13, vcc, 0, v11, vcc
; %bb.66:
	s_or_b64 exec, exec, s[0:1]
	v_lshlrev_b64 v[12:13], 3, v[12:13]
	v_mov_b32_e32 v19, s5
	v_add_co_u32_e32 v12, vcc, s4, v12
	v_addc_co_u32_e32 v13, vcc, v19, v13, vcc
	v_cmp_ge_u32_e32 vcc, v17, v10
	global_store_dwordx2 v[12:13], v[8:9], off
                                        ; implicit-def: $vgpr12_vgpr13
	s_and_saveexec_b64 s[0:1], vcc
	s_xor_b64 s[0:1], exec, s[0:1]
; %bb.67:
	v_sub_u32_e32 v12, 0xfffffe7f, v0
	v_ashrrev_i32_e32 v13, 31, v12
	v_add_co_u32_e32 v12, vcc, v15, v12
	v_addc_co_u32_e32 v13, vcc, v16, v13, vcc
; %bb.68:
	s_andn2_saveexec_b64 s[0:1], s[0:1]
; %bb.69:
	v_add_co_u32_e32 v12, vcc, v1, v17
	v_addc_co_u32_e32 v13, vcc, 0, v11, vcc
; %bb.70:
	s_or_b64 exec, exec, s[0:1]
	v_lshlrev_b64 v[12:13], 3, v[12:13]
	v_mov_b32_e32 v19, s5
	v_add_co_u32_e32 v12, vcc, s4, v12
	v_addc_co_u32_e32 v13, vcc, v19, v13, vcc
	v_cmp_ge_u32_e32 vcc, v14, v10
	s_waitcnt lgkmcnt(0)
	global_store_dwordx2 v[12:13], v[2:3], off
                                        ; implicit-def: $vgpr12_vgpr13
	s_and_saveexec_b64 s[0:1], vcc
	s_xor_b64 s[0:1], exec, s[0:1]
; %bb.71:
	v_sub_u32_e32 v12, 0xfffffdbf, v0
	v_ashrrev_i32_e32 v13, 31, v12
	v_add_co_u32_e32 v12, vcc, v15, v12
	v_addc_co_u32_e32 v13, vcc, v16, v13, vcc
; %bb.72:
	s_andn2_saveexec_b64 s[0:1], s[0:1]
; %bb.73:
	v_add_co_u32_e32 v12, vcc, v1, v14
	v_addc_co_u32_e32 v13, vcc, 0, v11, vcc
; %bb.74:
	s_or_b64 exec, exec, s[0:1]
	s_mov_b64 s[0:1], -1
	s_branch .LBB33_101
.LBB33_75:
	s_mov_b64 s[0:1], 0
                                        ; implicit-def: $vgpr12_vgpr13
	s_cbranch_execz .LBB33_101
; %bb.76:
	v_cmp_gt_u32_e32 vcc, s33, v0
	s_and_saveexec_b64 s[2:3], vcc
	s_cbranch_execz .LBB33_84
; %bb.77:
	v_cmp_ge_u32_e32 vcc, v0, v10
                                        ; implicit-def: $vgpr12_vgpr13
	s_and_saveexec_b64 s[6:7], vcc
	s_xor_b64 s[6:7], exec, s[6:7]
; %bb.78:
	v_not_b32_e32 v12, v0
	v_ashrrev_i32_e32 v13, 31, v12
	v_add_co_u32_e32 v12, vcc, v15, v12
	v_addc_co_u32_e32 v13, vcc, v16, v13, vcc
; %bb.79:
	s_andn2_saveexec_b64 s[6:7], s[6:7]
; %bb.80:
	v_add_co_u32_e32 v12, vcc, v1, v0
	v_addc_co_u32_e32 v13, vcc, 0, v11, vcc
; %bb.81:
	s_or_b64 exec, exec, s[6:7]
	v_lshlrev_b64 v[12:13], 3, v[12:13]
	v_mov_b32_e32 v19, s5
	v_add_co_u32_e32 v12, vcc, s4, v12
	v_addc_co_u32_e32 v13, vcc, v19, v13, vcc
	s_waitcnt lgkmcnt(1)
	global_store_dwordx2 v[12:13], v[6:7], off
	s_or_b64 exec, exec, s[2:3]
	v_cmp_gt_u32_e32 vcc, s33, v18
	s_and_saveexec_b64 s[2:3], vcc
	s_cbranch_execnz .LBB33_85
.LBB33_82:
	s_or_b64 exec, exec, s[2:3]
	v_cmp_gt_u32_e32 vcc, s33, v17
	s_and_saveexec_b64 s[2:3], vcc
	s_cbranch_execnz .LBB33_90
.LBB33_83:
	s_or_b64 exec, exec, s[2:3]
	v_cmp_gt_u32_e32 vcc, s33, v14
                                        ; implicit-def: $vgpr12_vgpr13
	s_and_saveexec_b64 s[2:3], vcc
	s_cbranch_execz .LBB33_100
	s_branch .LBB33_95
.LBB33_84:
	s_or_b64 exec, exec, s[2:3]
	v_cmp_gt_u32_e32 vcc, s33, v18
	s_and_saveexec_b64 s[2:3], vcc
	s_cbranch_execz .LBB33_82
.LBB33_85:
	v_cmp_ge_u32_e32 vcc, v18, v10
                                        ; implicit-def: $vgpr6_vgpr7
	s_and_saveexec_b64 s[6:7], vcc
	s_xor_b64 s[6:7], exec, s[6:7]
	s_cbranch_execz .LBB33_87
; %bb.86:
	s_waitcnt lgkmcnt(1)
	v_sub_u32_e32 v6, 0xffffff3f, v0
	v_ashrrev_i32_e32 v7, 31, v6
	v_add_co_u32_e32 v6, vcc, v15, v6
	v_addc_co_u32_e32 v7, vcc, v16, v7, vcc
                                        ; implicit-def: $vgpr18
.LBB33_87:
	s_andn2_saveexec_b64 s[6:7], s[6:7]
	s_cbranch_execz .LBB33_89
; %bb.88:
	s_waitcnt lgkmcnt(1)
	v_add_co_u32_e32 v6, vcc, v1, v18
	v_addc_co_u32_e32 v7, vcc, 0, v11, vcc
.LBB33_89:
	s_or_b64 exec, exec, s[6:7]
	s_waitcnt lgkmcnt(1)
	v_lshlrev_b64 v[6:7], 3, v[6:7]
	v_mov_b32_e32 v12, s5
	v_add_co_u32_e32 v6, vcc, s4, v6
	v_addc_co_u32_e32 v7, vcc, v12, v7, vcc
	global_store_dwordx2 v[6:7], v[8:9], off
	s_or_b64 exec, exec, s[2:3]
	v_cmp_gt_u32_e32 vcc, s33, v17
	s_and_saveexec_b64 s[2:3], vcc
	s_cbranch_execz .LBB33_83
.LBB33_90:
	v_cmp_ge_u32_e32 vcc, v17, v10
                                        ; implicit-def: $vgpr6_vgpr7
	s_and_saveexec_b64 s[6:7], vcc
	s_xor_b64 s[6:7], exec, s[6:7]
	s_cbranch_execz .LBB33_92
; %bb.91:
	s_waitcnt lgkmcnt(1)
	v_sub_u32_e32 v6, 0xfffffe7f, v0
	v_ashrrev_i32_e32 v7, 31, v6
	v_add_co_u32_e32 v6, vcc, v15, v6
	v_addc_co_u32_e32 v7, vcc, v16, v7, vcc
                                        ; implicit-def: $vgpr17
.LBB33_92:
	s_andn2_saveexec_b64 s[6:7], s[6:7]
	s_cbranch_execz .LBB33_94
; %bb.93:
	s_waitcnt lgkmcnt(1)
	v_add_co_u32_e32 v6, vcc, v1, v17
	v_addc_co_u32_e32 v7, vcc, 0, v11, vcc
.LBB33_94:
	s_or_b64 exec, exec, s[6:7]
	s_waitcnt lgkmcnt(1)
	v_lshlrev_b64 v[6:7], 3, v[6:7]
	v_mov_b32_e32 v8, s5
	v_add_co_u32_e32 v6, vcc, s4, v6
	v_addc_co_u32_e32 v7, vcc, v8, v7, vcc
	s_waitcnt lgkmcnt(0)
	global_store_dwordx2 v[6:7], v[2:3], off
	s_or_b64 exec, exec, s[2:3]
	v_cmp_gt_u32_e32 vcc, s33, v14
                                        ; implicit-def: $vgpr12_vgpr13
	s_and_saveexec_b64 s[2:3], vcc
	s_cbranch_execz .LBB33_100
.LBB33_95:
	v_cmp_ge_u32_e32 vcc, v14, v10
                                        ; implicit-def: $vgpr12_vgpr13
	s_and_saveexec_b64 s[6:7], vcc
	s_xor_b64 s[6:7], exec, s[6:7]
	s_cbranch_execz .LBB33_97
; %bb.96:
	s_waitcnt lgkmcnt(0)
	v_sub_u32_e32 v2, 0xfffffdbf, v0
	v_ashrrev_i32_e32 v3, 31, v2
	v_add_co_u32_e32 v12, vcc, v15, v2
	v_addc_co_u32_e32 v13, vcc, v16, v3, vcc
                                        ; implicit-def: $vgpr14
.LBB33_97:
	s_andn2_saveexec_b64 s[6:7], s[6:7]
; %bb.98:
	v_add_co_u32_e32 v12, vcc, v1, v14
	v_addc_co_u32_e32 v13, vcc, 0, v11, vcc
; %bb.99:
	s_or_b64 exec, exec, s[6:7]
	s_or_b64 s[0:1], s[0:1], exec
.LBB33_100:
	s_or_b64 exec, exec, s[2:3]
.LBB33_101:
	s_and_saveexec_b64 s[2:3], s[0:1]
	s_cbranch_execz .LBB33_103
; %bb.102:
	s_waitcnt lgkmcnt(0)
	v_lshlrev_b64 v[2:3], 3, v[12:13]
	v_mov_b32_e32 v6, s5
	v_add_co_u32_e32 v2, vcc, s4, v2
	v_addc_co_u32_e32 v3, vcc, v6, v3, vcc
	global_store_dwordx2 v[2:3], v[4:5], off
.LBB33_103:
	s_or_b64 exec, exec, s[2:3]
	v_cmp_eq_u32_e32 vcc, 0, v0
	s_and_b64 s[0:1], vcc, s[26:27]
	s_and_saveexec_b64 s[2:3], s[0:1]
	s_cbranch_execz .LBB33_105
; %bb.104:
	v_add_co_u32_e32 v0, vcc, v1, v10
	s_waitcnt lgkmcnt(0)
	v_mov_b32_e32 v2, 0
	v_addc_co_u32_e32 v1, vcc, 0, v11, vcc
	global_store_dwordx2 v2, v[0:1], s[24:25]
.LBB33_105:
	s_endpgm
	.section	.rodata,"a",@progbits
	.p2align	6, 0x0
	.amdhsa_kernel _ZN7rocprim17ROCPRIM_400000_NS6detail17trampoline_kernelINS0_14default_configENS1_25partition_config_selectorILNS1_17partition_subalgoE3ExNS0_10empty_typeEbEEZZNS1_14partition_implILS5_3ELb0ES3_jN6thrust23THRUST_200600_302600_NS6detail15normal_iteratorINSA_7pointerIxNSA_11hip_rocprim3tagENSA_11use_defaultESG_EEEEPS6_SJ_NS0_5tupleIJPxSJ_EEENSK_IJSJ_SJ_EEES6_PlJ7is_evenIxEEEE10hipError_tPvRmT3_T4_T5_T6_T7_T9_mT8_P12ihipStream_tbDpT10_ENKUlT_T0_E_clISt17integral_constantIbLb1EES19_IbLb0EEEEDaS15_S16_EUlS15_E_NS1_11comp_targetILNS1_3genE4ELNS1_11target_archE910ELNS1_3gpuE8ELNS1_3repE0EEENS1_30default_config_static_selectorELNS0_4arch9wavefront6targetE1EEEvT1_
		.amdhsa_group_segment_fixed_size 6344
		.amdhsa_private_segment_fixed_size 0
		.amdhsa_kernarg_size 120
		.amdhsa_user_sgpr_count 6
		.amdhsa_user_sgpr_private_segment_buffer 1
		.amdhsa_user_sgpr_dispatch_ptr 0
		.amdhsa_user_sgpr_queue_ptr 0
		.amdhsa_user_sgpr_kernarg_segment_ptr 1
		.amdhsa_user_sgpr_dispatch_id 0
		.amdhsa_user_sgpr_flat_scratch_init 0
		.amdhsa_user_sgpr_kernarg_preload_length 0
		.amdhsa_user_sgpr_kernarg_preload_offset 0
		.amdhsa_user_sgpr_private_segment_size 0
		.amdhsa_uses_dynamic_stack 0
		.amdhsa_system_sgpr_private_segment_wavefront_offset 0
		.amdhsa_system_sgpr_workgroup_id_x 1
		.amdhsa_system_sgpr_workgroup_id_y 0
		.amdhsa_system_sgpr_workgroup_id_z 0
		.amdhsa_system_sgpr_workgroup_info 0
		.amdhsa_system_vgpr_workitem_id 0
		.amdhsa_next_free_vgpr 43
		.amdhsa_next_free_sgpr 46
		.amdhsa_accum_offset 44
		.amdhsa_reserve_vcc 1
		.amdhsa_reserve_flat_scratch 0
		.amdhsa_float_round_mode_32 0
		.amdhsa_float_round_mode_16_64 0
		.amdhsa_float_denorm_mode_32 3
		.amdhsa_float_denorm_mode_16_64 3
		.amdhsa_dx10_clamp 1
		.amdhsa_ieee_mode 1
		.amdhsa_fp16_overflow 0
		.amdhsa_tg_split 0
		.amdhsa_exception_fp_ieee_invalid_op 0
		.amdhsa_exception_fp_denorm_src 0
		.amdhsa_exception_fp_ieee_div_zero 0
		.amdhsa_exception_fp_ieee_overflow 0
		.amdhsa_exception_fp_ieee_underflow 0
		.amdhsa_exception_fp_ieee_inexact 0
		.amdhsa_exception_int_div_zero 0
	.end_amdhsa_kernel
	.section	.text._ZN7rocprim17ROCPRIM_400000_NS6detail17trampoline_kernelINS0_14default_configENS1_25partition_config_selectorILNS1_17partition_subalgoE3ExNS0_10empty_typeEbEEZZNS1_14partition_implILS5_3ELb0ES3_jN6thrust23THRUST_200600_302600_NS6detail15normal_iteratorINSA_7pointerIxNSA_11hip_rocprim3tagENSA_11use_defaultESG_EEEEPS6_SJ_NS0_5tupleIJPxSJ_EEENSK_IJSJ_SJ_EEES6_PlJ7is_evenIxEEEE10hipError_tPvRmT3_T4_T5_T6_T7_T9_mT8_P12ihipStream_tbDpT10_ENKUlT_T0_E_clISt17integral_constantIbLb1EES19_IbLb0EEEEDaS15_S16_EUlS15_E_NS1_11comp_targetILNS1_3genE4ELNS1_11target_archE910ELNS1_3gpuE8ELNS1_3repE0EEENS1_30default_config_static_selectorELNS0_4arch9wavefront6targetE1EEEvT1_,"axG",@progbits,_ZN7rocprim17ROCPRIM_400000_NS6detail17trampoline_kernelINS0_14default_configENS1_25partition_config_selectorILNS1_17partition_subalgoE3ExNS0_10empty_typeEbEEZZNS1_14partition_implILS5_3ELb0ES3_jN6thrust23THRUST_200600_302600_NS6detail15normal_iteratorINSA_7pointerIxNSA_11hip_rocprim3tagENSA_11use_defaultESG_EEEEPS6_SJ_NS0_5tupleIJPxSJ_EEENSK_IJSJ_SJ_EEES6_PlJ7is_evenIxEEEE10hipError_tPvRmT3_T4_T5_T6_T7_T9_mT8_P12ihipStream_tbDpT10_ENKUlT_T0_E_clISt17integral_constantIbLb1EES19_IbLb0EEEEDaS15_S16_EUlS15_E_NS1_11comp_targetILNS1_3genE4ELNS1_11target_archE910ELNS1_3gpuE8ELNS1_3repE0EEENS1_30default_config_static_selectorELNS0_4arch9wavefront6targetE1EEEvT1_,comdat
.Lfunc_end33:
	.size	_ZN7rocprim17ROCPRIM_400000_NS6detail17trampoline_kernelINS0_14default_configENS1_25partition_config_selectorILNS1_17partition_subalgoE3ExNS0_10empty_typeEbEEZZNS1_14partition_implILS5_3ELb0ES3_jN6thrust23THRUST_200600_302600_NS6detail15normal_iteratorINSA_7pointerIxNSA_11hip_rocprim3tagENSA_11use_defaultESG_EEEEPS6_SJ_NS0_5tupleIJPxSJ_EEENSK_IJSJ_SJ_EEES6_PlJ7is_evenIxEEEE10hipError_tPvRmT3_T4_T5_T6_T7_T9_mT8_P12ihipStream_tbDpT10_ENKUlT_T0_E_clISt17integral_constantIbLb1EES19_IbLb0EEEEDaS15_S16_EUlS15_E_NS1_11comp_targetILNS1_3genE4ELNS1_11target_archE910ELNS1_3gpuE8ELNS1_3repE0EEENS1_30default_config_static_selectorELNS0_4arch9wavefront6targetE1EEEvT1_, .Lfunc_end33-_ZN7rocprim17ROCPRIM_400000_NS6detail17trampoline_kernelINS0_14default_configENS1_25partition_config_selectorILNS1_17partition_subalgoE3ExNS0_10empty_typeEbEEZZNS1_14partition_implILS5_3ELb0ES3_jN6thrust23THRUST_200600_302600_NS6detail15normal_iteratorINSA_7pointerIxNSA_11hip_rocprim3tagENSA_11use_defaultESG_EEEEPS6_SJ_NS0_5tupleIJPxSJ_EEENSK_IJSJ_SJ_EEES6_PlJ7is_evenIxEEEE10hipError_tPvRmT3_T4_T5_T6_T7_T9_mT8_P12ihipStream_tbDpT10_ENKUlT_T0_E_clISt17integral_constantIbLb1EES19_IbLb0EEEEDaS15_S16_EUlS15_E_NS1_11comp_targetILNS1_3genE4ELNS1_11target_archE910ELNS1_3gpuE8ELNS1_3repE0EEENS1_30default_config_static_selectorELNS0_4arch9wavefront6targetE1EEEvT1_
                                        ; -- End function
	.section	.AMDGPU.csdata,"",@progbits
; Kernel info:
; codeLenInByte = 4076
; NumSgprs: 50
; NumVgprs: 43
; NumAgprs: 0
; TotalNumVgprs: 43
; ScratchSize: 0
; MemoryBound: 0
; FloatMode: 240
; IeeeMode: 1
; LDSByteSize: 6344 bytes/workgroup (compile time only)
; SGPRBlocks: 6
; VGPRBlocks: 5
; NumSGPRsForWavesPerEU: 50
; NumVGPRsForWavesPerEU: 43
; AccumOffset: 44
; Occupancy: 8
; WaveLimiterHint : 1
; COMPUTE_PGM_RSRC2:SCRATCH_EN: 0
; COMPUTE_PGM_RSRC2:USER_SGPR: 6
; COMPUTE_PGM_RSRC2:TRAP_HANDLER: 0
; COMPUTE_PGM_RSRC2:TGID_X_EN: 1
; COMPUTE_PGM_RSRC2:TGID_Y_EN: 0
; COMPUTE_PGM_RSRC2:TGID_Z_EN: 0
; COMPUTE_PGM_RSRC2:TIDIG_COMP_CNT: 0
; COMPUTE_PGM_RSRC3_GFX90A:ACCUM_OFFSET: 10
; COMPUTE_PGM_RSRC3_GFX90A:TG_SPLIT: 0
	.section	.text._ZN7rocprim17ROCPRIM_400000_NS6detail17trampoline_kernelINS0_14default_configENS1_25partition_config_selectorILNS1_17partition_subalgoE3ExNS0_10empty_typeEbEEZZNS1_14partition_implILS5_3ELb0ES3_jN6thrust23THRUST_200600_302600_NS6detail15normal_iteratorINSA_7pointerIxNSA_11hip_rocprim3tagENSA_11use_defaultESG_EEEEPS6_SJ_NS0_5tupleIJPxSJ_EEENSK_IJSJ_SJ_EEES6_PlJ7is_evenIxEEEE10hipError_tPvRmT3_T4_T5_T6_T7_T9_mT8_P12ihipStream_tbDpT10_ENKUlT_T0_E_clISt17integral_constantIbLb1EES19_IbLb0EEEEDaS15_S16_EUlS15_E_NS1_11comp_targetILNS1_3genE3ELNS1_11target_archE908ELNS1_3gpuE7ELNS1_3repE0EEENS1_30default_config_static_selectorELNS0_4arch9wavefront6targetE1EEEvT1_,"axG",@progbits,_ZN7rocprim17ROCPRIM_400000_NS6detail17trampoline_kernelINS0_14default_configENS1_25partition_config_selectorILNS1_17partition_subalgoE3ExNS0_10empty_typeEbEEZZNS1_14partition_implILS5_3ELb0ES3_jN6thrust23THRUST_200600_302600_NS6detail15normal_iteratorINSA_7pointerIxNSA_11hip_rocprim3tagENSA_11use_defaultESG_EEEEPS6_SJ_NS0_5tupleIJPxSJ_EEENSK_IJSJ_SJ_EEES6_PlJ7is_evenIxEEEE10hipError_tPvRmT3_T4_T5_T6_T7_T9_mT8_P12ihipStream_tbDpT10_ENKUlT_T0_E_clISt17integral_constantIbLb1EES19_IbLb0EEEEDaS15_S16_EUlS15_E_NS1_11comp_targetILNS1_3genE3ELNS1_11target_archE908ELNS1_3gpuE7ELNS1_3repE0EEENS1_30default_config_static_selectorELNS0_4arch9wavefront6targetE1EEEvT1_,comdat
	.protected	_ZN7rocprim17ROCPRIM_400000_NS6detail17trampoline_kernelINS0_14default_configENS1_25partition_config_selectorILNS1_17partition_subalgoE3ExNS0_10empty_typeEbEEZZNS1_14partition_implILS5_3ELb0ES3_jN6thrust23THRUST_200600_302600_NS6detail15normal_iteratorINSA_7pointerIxNSA_11hip_rocprim3tagENSA_11use_defaultESG_EEEEPS6_SJ_NS0_5tupleIJPxSJ_EEENSK_IJSJ_SJ_EEES6_PlJ7is_evenIxEEEE10hipError_tPvRmT3_T4_T5_T6_T7_T9_mT8_P12ihipStream_tbDpT10_ENKUlT_T0_E_clISt17integral_constantIbLb1EES19_IbLb0EEEEDaS15_S16_EUlS15_E_NS1_11comp_targetILNS1_3genE3ELNS1_11target_archE908ELNS1_3gpuE7ELNS1_3repE0EEENS1_30default_config_static_selectorELNS0_4arch9wavefront6targetE1EEEvT1_ ; -- Begin function _ZN7rocprim17ROCPRIM_400000_NS6detail17trampoline_kernelINS0_14default_configENS1_25partition_config_selectorILNS1_17partition_subalgoE3ExNS0_10empty_typeEbEEZZNS1_14partition_implILS5_3ELb0ES3_jN6thrust23THRUST_200600_302600_NS6detail15normal_iteratorINSA_7pointerIxNSA_11hip_rocprim3tagENSA_11use_defaultESG_EEEEPS6_SJ_NS0_5tupleIJPxSJ_EEENSK_IJSJ_SJ_EEES6_PlJ7is_evenIxEEEE10hipError_tPvRmT3_T4_T5_T6_T7_T9_mT8_P12ihipStream_tbDpT10_ENKUlT_T0_E_clISt17integral_constantIbLb1EES19_IbLb0EEEEDaS15_S16_EUlS15_E_NS1_11comp_targetILNS1_3genE3ELNS1_11target_archE908ELNS1_3gpuE7ELNS1_3repE0EEENS1_30default_config_static_selectorELNS0_4arch9wavefront6targetE1EEEvT1_
	.globl	_ZN7rocprim17ROCPRIM_400000_NS6detail17trampoline_kernelINS0_14default_configENS1_25partition_config_selectorILNS1_17partition_subalgoE3ExNS0_10empty_typeEbEEZZNS1_14partition_implILS5_3ELb0ES3_jN6thrust23THRUST_200600_302600_NS6detail15normal_iteratorINSA_7pointerIxNSA_11hip_rocprim3tagENSA_11use_defaultESG_EEEEPS6_SJ_NS0_5tupleIJPxSJ_EEENSK_IJSJ_SJ_EEES6_PlJ7is_evenIxEEEE10hipError_tPvRmT3_T4_T5_T6_T7_T9_mT8_P12ihipStream_tbDpT10_ENKUlT_T0_E_clISt17integral_constantIbLb1EES19_IbLb0EEEEDaS15_S16_EUlS15_E_NS1_11comp_targetILNS1_3genE3ELNS1_11target_archE908ELNS1_3gpuE7ELNS1_3repE0EEENS1_30default_config_static_selectorELNS0_4arch9wavefront6targetE1EEEvT1_
	.p2align	8
	.type	_ZN7rocprim17ROCPRIM_400000_NS6detail17trampoline_kernelINS0_14default_configENS1_25partition_config_selectorILNS1_17partition_subalgoE3ExNS0_10empty_typeEbEEZZNS1_14partition_implILS5_3ELb0ES3_jN6thrust23THRUST_200600_302600_NS6detail15normal_iteratorINSA_7pointerIxNSA_11hip_rocprim3tagENSA_11use_defaultESG_EEEEPS6_SJ_NS0_5tupleIJPxSJ_EEENSK_IJSJ_SJ_EEES6_PlJ7is_evenIxEEEE10hipError_tPvRmT3_T4_T5_T6_T7_T9_mT8_P12ihipStream_tbDpT10_ENKUlT_T0_E_clISt17integral_constantIbLb1EES19_IbLb0EEEEDaS15_S16_EUlS15_E_NS1_11comp_targetILNS1_3genE3ELNS1_11target_archE908ELNS1_3gpuE7ELNS1_3repE0EEENS1_30default_config_static_selectorELNS0_4arch9wavefront6targetE1EEEvT1_,@function
_ZN7rocprim17ROCPRIM_400000_NS6detail17trampoline_kernelINS0_14default_configENS1_25partition_config_selectorILNS1_17partition_subalgoE3ExNS0_10empty_typeEbEEZZNS1_14partition_implILS5_3ELb0ES3_jN6thrust23THRUST_200600_302600_NS6detail15normal_iteratorINSA_7pointerIxNSA_11hip_rocprim3tagENSA_11use_defaultESG_EEEEPS6_SJ_NS0_5tupleIJPxSJ_EEENSK_IJSJ_SJ_EEES6_PlJ7is_evenIxEEEE10hipError_tPvRmT3_T4_T5_T6_T7_T9_mT8_P12ihipStream_tbDpT10_ENKUlT_T0_E_clISt17integral_constantIbLb1EES19_IbLb0EEEEDaS15_S16_EUlS15_E_NS1_11comp_targetILNS1_3genE3ELNS1_11target_archE908ELNS1_3gpuE7ELNS1_3repE0EEENS1_30default_config_static_selectorELNS0_4arch9wavefront6targetE1EEEvT1_: ; @_ZN7rocprim17ROCPRIM_400000_NS6detail17trampoline_kernelINS0_14default_configENS1_25partition_config_selectorILNS1_17partition_subalgoE3ExNS0_10empty_typeEbEEZZNS1_14partition_implILS5_3ELb0ES3_jN6thrust23THRUST_200600_302600_NS6detail15normal_iteratorINSA_7pointerIxNSA_11hip_rocprim3tagENSA_11use_defaultESG_EEEEPS6_SJ_NS0_5tupleIJPxSJ_EEENSK_IJSJ_SJ_EEES6_PlJ7is_evenIxEEEE10hipError_tPvRmT3_T4_T5_T6_T7_T9_mT8_P12ihipStream_tbDpT10_ENKUlT_T0_E_clISt17integral_constantIbLb1EES19_IbLb0EEEEDaS15_S16_EUlS15_E_NS1_11comp_targetILNS1_3genE3ELNS1_11target_archE908ELNS1_3gpuE7ELNS1_3repE0EEENS1_30default_config_static_selectorELNS0_4arch9wavefront6targetE1EEEvT1_
; %bb.0:
	.section	.rodata,"a",@progbits
	.p2align	6, 0x0
	.amdhsa_kernel _ZN7rocprim17ROCPRIM_400000_NS6detail17trampoline_kernelINS0_14default_configENS1_25partition_config_selectorILNS1_17partition_subalgoE3ExNS0_10empty_typeEbEEZZNS1_14partition_implILS5_3ELb0ES3_jN6thrust23THRUST_200600_302600_NS6detail15normal_iteratorINSA_7pointerIxNSA_11hip_rocprim3tagENSA_11use_defaultESG_EEEEPS6_SJ_NS0_5tupleIJPxSJ_EEENSK_IJSJ_SJ_EEES6_PlJ7is_evenIxEEEE10hipError_tPvRmT3_T4_T5_T6_T7_T9_mT8_P12ihipStream_tbDpT10_ENKUlT_T0_E_clISt17integral_constantIbLb1EES19_IbLb0EEEEDaS15_S16_EUlS15_E_NS1_11comp_targetILNS1_3genE3ELNS1_11target_archE908ELNS1_3gpuE7ELNS1_3repE0EEENS1_30default_config_static_selectorELNS0_4arch9wavefront6targetE1EEEvT1_
		.amdhsa_group_segment_fixed_size 0
		.amdhsa_private_segment_fixed_size 0
		.amdhsa_kernarg_size 120
		.amdhsa_user_sgpr_count 6
		.amdhsa_user_sgpr_private_segment_buffer 1
		.amdhsa_user_sgpr_dispatch_ptr 0
		.amdhsa_user_sgpr_queue_ptr 0
		.amdhsa_user_sgpr_kernarg_segment_ptr 1
		.amdhsa_user_sgpr_dispatch_id 0
		.amdhsa_user_sgpr_flat_scratch_init 0
		.amdhsa_user_sgpr_kernarg_preload_length 0
		.amdhsa_user_sgpr_kernarg_preload_offset 0
		.amdhsa_user_sgpr_private_segment_size 0
		.amdhsa_uses_dynamic_stack 0
		.amdhsa_system_sgpr_private_segment_wavefront_offset 0
		.amdhsa_system_sgpr_workgroup_id_x 1
		.amdhsa_system_sgpr_workgroup_id_y 0
		.amdhsa_system_sgpr_workgroup_id_z 0
		.amdhsa_system_sgpr_workgroup_info 0
		.amdhsa_system_vgpr_workitem_id 0
		.amdhsa_next_free_vgpr 1
		.amdhsa_next_free_sgpr 0
		.amdhsa_accum_offset 4
		.amdhsa_reserve_vcc 0
		.amdhsa_reserve_flat_scratch 0
		.amdhsa_float_round_mode_32 0
		.amdhsa_float_round_mode_16_64 0
		.amdhsa_float_denorm_mode_32 3
		.amdhsa_float_denorm_mode_16_64 3
		.amdhsa_dx10_clamp 1
		.amdhsa_ieee_mode 1
		.amdhsa_fp16_overflow 0
		.amdhsa_tg_split 0
		.amdhsa_exception_fp_ieee_invalid_op 0
		.amdhsa_exception_fp_denorm_src 0
		.amdhsa_exception_fp_ieee_div_zero 0
		.amdhsa_exception_fp_ieee_overflow 0
		.amdhsa_exception_fp_ieee_underflow 0
		.amdhsa_exception_fp_ieee_inexact 0
		.amdhsa_exception_int_div_zero 0
	.end_amdhsa_kernel
	.section	.text._ZN7rocprim17ROCPRIM_400000_NS6detail17trampoline_kernelINS0_14default_configENS1_25partition_config_selectorILNS1_17partition_subalgoE3ExNS0_10empty_typeEbEEZZNS1_14partition_implILS5_3ELb0ES3_jN6thrust23THRUST_200600_302600_NS6detail15normal_iteratorINSA_7pointerIxNSA_11hip_rocprim3tagENSA_11use_defaultESG_EEEEPS6_SJ_NS0_5tupleIJPxSJ_EEENSK_IJSJ_SJ_EEES6_PlJ7is_evenIxEEEE10hipError_tPvRmT3_T4_T5_T6_T7_T9_mT8_P12ihipStream_tbDpT10_ENKUlT_T0_E_clISt17integral_constantIbLb1EES19_IbLb0EEEEDaS15_S16_EUlS15_E_NS1_11comp_targetILNS1_3genE3ELNS1_11target_archE908ELNS1_3gpuE7ELNS1_3repE0EEENS1_30default_config_static_selectorELNS0_4arch9wavefront6targetE1EEEvT1_,"axG",@progbits,_ZN7rocprim17ROCPRIM_400000_NS6detail17trampoline_kernelINS0_14default_configENS1_25partition_config_selectorILNS1_17partition_subalgoE3ExNS0_10empty_typeEbEEZZNS1_14partition_implILS5_3ELb0ES3_jN6thrust23THRUST_200600_302600_NS6detail15normal_iteratorINSA_7pointerIxNSA_11hip_rocprim3tagENSA_11use_defaultESG_EEEEPS6_SJ_NS0_5tupleIJPxSJ_EEENSK_IJSJ_SJ_EEES6_PlJ7is_evenIxEEEE10hipError_tPvRmT3_T4_T5_T6_T7_T9_mT8_P12ihipStream_tbDpT10_ENKUlT_T0_E_clISt17integral_constantIbLb1EES19_IbLb0EEEEDaS15_S16_EUlS15_E_NS1_11comp_targetILNS1_3genE3ELNS1_11target_archE908ELNS1_3gpuE7ELNS1_3repE0EEENS1_30default_config_static_selectorELNS0_4arch9wavefront6targetE1EEEvT1_,comdat
.Lfunc_end34:
	.size	_ZN7rocprim17ROCPRIM_400000_NS6detail17trampoline_kernelINS0_14default_configENS1_25partition_config_selectorILNS1_17partition_subalgoE3ExNS0_10empty_typeEbEEZZNS1_14partition_implILS5_3ELb0ES3_jN6thrust23THRUST_200600_302600_NS6detail15normal_iteratorINSA_7pointerIxNSA_11hip_rocprim3tagENSA_11use_defaultESG_EEEEPS6_SJ_NS0_5tupleIJPxSJ_EEENSK_IJSJ_SJ_EEES6_PlJ7is_evenIxEEEE10hipError_tPvRmT3_T4_T5_T6_T7_T9_mT8_P12ihipStream_tbDpT10_ENKUlT_T0_E_clISt17integral_constantIbLb1EES19_IbLb0EEEEDaS15_S16_EUlS15_E_NS1_11comp_targetILNS1_3genE3ELNS1_11target_archE908ELNS1_3gpuE7ELNS1_3repE0EEENS1_30default_config_static_selectorELNS0_4arch9wavefront6targetE1EEEvT1_, .Lfunc_end34-_ZN7rocprim17ROCPRIM_400000_NS6detail17trampoline_kernelINS0_14default_configENS1_25partition_config_selectorILNS1_17partition_subalgoE3ExNS0_10empty_typeEbEEZZNS1_14partition_implILS5_3ELb0ES3_jN6thrust23THRUST_200600_302600_NS6detail15normal_iteratorINSA_7pointerIxNSA_11hip_rocprim3tagENSA_11use_defaultESG_EEEEPS6_SJ_NS0_5tupleIJPxSJ_EEENSK_IJSJ_SJ_EEES6_PlJ7is_evenIxEEEE10hipError_tPvRmT3_T4_T5_T6_T7_T9_mT8_P12ihipStream_tbDpT10_ENKUlT_T0_E_clISt17integral_constantIbLb1EES19_IbLb0EEEEDaS15_S16_EUlS15_E_NS1_11comp_targetILNS1_3genE3ELNS1_11target_archE908ELNS1_3gpuE7ELNS1_3repE0EEENS1_30default_config_static_selectorELNS0_4arch9wavefront6targetE1EEEvT1_
                                        ; -- End function
	.section	.AMDGPU.csdata,"",@progbits
; Kernel info:
; codeLenInByte = 0
; NumSgprs: 4
; NumVgprs: 0
; NumAgprs: 0
; TotalNumVgprs: 0
; ScratchSize: 0
; MemoryBound: 0
; FloatMode: 240
; IeeeMode: 1
; LDSByteSize: 0 bytes/workgroup (compile time only)
; SGPRBlocks: 0
; VGPRBlocks: 0
; NumSGPRsForWavesPerEU: 4
; NumVGPRsForWavesPerEU: 1
; AccumOffset: 4
; Occupancy: 8
; WaveLimiterHint : 0
; COMPUTE_PGM_RSRC2:SCRATCH_EN: 0
; COMPUTE_PGM_RSRC2:USER_SGPR: 6
; COMPUTE_PGM_RSRC2:TRAP_HANDLER: 0
; COMPUTE_PGM_RSRC2:TGID_X_EN: 1
; COMPUTE_PGM_RSRC2:TGID_Y_EN: 0
; COMPUTE_PGM_RSRC2:TGID_Z_EN: 0
; COMPUTE_PGM_RSRC2:TIDIG_COMP_CNT: 0
; COMPUTE_PGM_RSRC3_GFX90A:ACCUM_OFFSET: 0
; COMPUTE_PGM_RSRC3_GFX90A:TG_SPLIT: 0
	.section	.text._ZN7rocprim17ROCPRIM_400000_NS6detail17trampoline_kernelINS0_14default_configENS1_25partition_config_selectorILNS1_17partition_subalgoE3ExNS0_10empty_typeEbEEZZNS1_14partition_implILS5_3ELb0ES3_jN6thrust23THRUST_200600_302600_NS6detail15normal_iteratorINSA_7pointerIxNSA_11hip_rocprim3tagENSA_11use_defaultESG_EEEEPS6_SJ_NS0_5tupleIJPxSJ_EEENSK_IJSJ_SJ_EEES6_PlJ7is_evenIxEEEE10hipError_tPvRmT3_T4_T5_T6_T7_T9_mT8_P12ihipStream_tbDpT10_ENKUlT_T0_E_clISt17integral_constantIbLb1EES19_IbLb0EEEEDaS15_S16_EUlS15_E_NS1_11comp_targetILNS1_3genE2ELNS1_11target_archE906ELNS1_3gpuE6ELNS1_3repE0EEENS1_30default_config_static_selectorELNS0_4arch9wavefront6targetE1EEEvT1_,"axG",@progbits,_ZN7rocprim17ROCPRIM_400000_NS6detail17trampoline_kernelINS0_14default_configENS1_25partition_config_selectorILNS1_17partition_subalgoE3ExNS0_10empty_typeEbEEZZNS1_14partition_implILS5_3ELb0ES3_jN6thrust23THRUST_200600_302600_NS6detail15normal_iteratorINSA_7pointerIxNSA_11hip_rocprim3tagENSA_11use_defaultESG_EEEEPS6_SJ_NS0_5tupleIJPxSJ_EEENSK_IJSJ_SJ_EEES6_PlJ7is_evenIxEEEE10hipError_tPvRmT3_T4_T5_T6_T7_T9_mT8_P12ihipStream_tbDpT10_ENKUlT_T0_E_clISt17integral_constantIbLb1EES19_IbLb0EEEEDaS15_S16_EUlS15_E_NS1_11comp_targetILNS1_3genE2ELNS1_11target_archE906ELNS1_3gpuE6ELNS1_3repE0EEENS1_30default_config_static_selectorELNS0_4arch9wavefront6targetE1EEEvT1_,comdat
	.protected	_ZN7rocprim17ROCPRIM_400000_NS6detail17trampoline_kernelINS0_14default_configENS1_25partition_config_selectorILNS1_17partition_subalgoE3ExNS0_10empty_typeEbEEZZNS1_14partition_implILS5_3ELb0ES3_jN6thrust23THRUST_200600_302600_NS6detail15normal_iteratorINSA_7pointerIxNSA_11hip_rocprim3tagENSA_11use_defaultESG_EEEEPS6_SJ_NS0_5tupleIJPxSJ_EEENSK_IJSJ_SJ_EEES6_PlJ7is_evenIxEEEE10hipError_tPvRmT3_T4_T5_T6_T7_T9_mT8_P12ihipStream_tbDpT10_ENKUlT_T0_E_clISt17integral_constantIbLb1EES19_IbLb0EEEEDaS15_S16_EUlS15_E_NS1_11comp_targetILNS1_3genE2ELNS1_11target_archE906ELNS1_3gpuE6ELNS1_3repE0EEENS1_30default_config_static_selectorELNS0_4arch9wavefront6targetE1EEEvT1_ ; -- Begin function _ZN7rocprim17ROCPRIM_400000_NS6detail17trampoline_kernelINS0_14default_configENS1_25partition_config_selectorILNS1_17partition_subalgoE3ExNS0_10empty_typeEbEEZZNS1_14partition_implILS5_3ELb0ES3_jN6thrust23THRUST_200600_302600_NS6detail15normal_iteratorINSA_7pointerIxNSA_11hip_rocprim3tagENSA_11use_defaultESG_EEEEPS6_SJ_NS0_5tupleIJPxSJ_EEENSK_IJSJ_SJ_EEES6_PlJ7is_evenIxEEEE10hipError_tPvRmT3_T4_T5_T6_T7_T9_mT8_P12ihipStream_tbDpT10_ENKUlT_T0_E_clISt17integral_constantIbLb1EES19_IbLb0EEEEDaS15_S16_EUlS15_E_NS1_11comp_targetILNS1_3genE2ELNS1_11target_archE906ELNS1_3gpuE6ELNS1_3repE0EEENS1_30default_config_static_selectorELNS0_4arch9wavefront6targetE1EEEvT1_
	.globl	_ZN7rocprim17ROCPRIM_400000_NS6detail17trampoline_kernelINS0_14default_configENS1_25partition_config_selectorILNS1_17partition_subalgoE3ExNS0_10empty_typeEbEEZZNS1_14partition_implILS5_3ELb0ES3_jN6thrust23THRUST_200600_302600_NS6detail15normal_iteratorINSA_7pointerIxNSA_11hip_rocprim3tagENSA_11use_defaultESG_EEEEPS6_SJ_NS0_5tupleIJPxSJ_EEENSK_IJSJ_SJ_EEES6_PlJ7is_evenIxEEEE10hipError_tPvRmT3_T4_T5_T6_T7_T9_mT8_P12ihipStream_tbDpT10_ENKUlT_T0_E_clISt17integral_constantIbLb1EES19_IbLb0EEEEDaS15_S16_EUlS15_E_NS1_11comp_targetILNS1_3genE2ELNS1_11target_archE906ELNS1_3gpuE6ELNS1_3repE0EEENS1_30default_config_static_selectorELNS0_4arch9wavefront6targetE1EEEvT1_
	.p2align	8
	.type	_ZN7rocprim17ROCPRIM_400000_NS6detail17trampoline_kernelINS0_14default_configENS1_25partition_config_selectorILNS1_17partition_subalgoE3ExNS0_10empty_typeEbEEZZNS1_14partition_implILS5_3ELb0ES3_jN6thrust23THRUST_200600_302600_NS6detail15normal_iteratorINSA_7pointerIxNSA_11hip_rocprim3tagENSA_11use_defaultESG_EEEEPS6_SJ_NS0_5tupleIJPxSJ_EEENSK_IJSJ_SJ_EEES6_PlJ7is_evenIxEEEE10hipError_tPvRmT3_T4_T5_T6_T7_T9_mT8_P12ihipStream_tbDpT10_ENKUlT_T0_E_clISt17integral_constantIbLb1EES19_IbLb0EEEEDaS15_S16_EUlS15_E_NS1_11comp_targetILNS1_3genE2ELNS1_11target_archE906ELNS1_3gpuE6ELNS1_3repE0EEENS1_30default_config_static_selectorELNS0_4arch9wavefront6targetE1EEEvT1_,@function
_ZN7rocprim17ROCPRIM_400000_NS6detail17trampoline_kernelINS0_14default_configENS1_25partition_config_selectorILNS1_17partition_subalgoE3ExNS0_10empty_typeEbEEZZNS1_14partition_implILS5_3ELb0ES3_jN6thrust23THRUST_200600_302600_NS6detail15normal_iteratorINSA_7pointerIxNSA_11hip_rocprim3tagENSA_11use_defaultESG_EEEEPS6_SJ_NS0_5tupleIJPxSJ_EEENSK_IJSJ_SJ_EEES6_PlJ7is_evenIxEEEE10hipError_tPvRmT3_T4_T5_T6_T7_T9_mT8_P12ihipStream_tbDpT10_ENKUlT_T0_E_clISt17integral_constantIbLb1EES19_IbLb0EEEEDaS15_S16_EUlS15_E_NS1_11comp_targetILNS1_3genE2ELNS1_11target_archE906ELNS1_3gpuE6ELNS1_3repE0EEENS1_30default_config_static_selectorELNS0_4arch9wavefront6targetE1EEEvT1_: ; @_ZN7rocprim17ROCPRIM_400000_NS6detail17trampoline_kernelINS0_14default_configENS1_25partition_config_selectorILNS1_17partition_subalgoE3ExNS0_10empty_typeEbEEZZNS1_14partition_implILS5_3ELb0ES3_jN6thrust23THRUST_200600_302600_NS6detail15normal_iteratorINSA_7pointerIxNSA_11hip_rocprim3tagENSA_11use_defaultESG_EEEEPS6_SJ_NS0_5tupleIJPxSJ_EEENSK_IJSJ_SJ_EEES6_PlJ7is_evenIxEEEE10hipError_tPvRmT3_T4_T5_T6_T7_T9_mT8_P12ihipStream_tbDpT10_ENKUlT_T0_E_clISt17integral_constantIbLb1EES19_IbLb0EEEEDaS15_S16_EUlS15_E_NS1_11comp_targetILNS1_3genE2ELNS1_11target_archE906ELNS1_3gpuE6ELNS1_3repE0EEENS1_30default_config_static_selectorELNS0_4arch9wavefront6targetE1EEEvT1_
; %bb.0:
	.section	.rodata,"a",@progbits
	.p2align	6, 0x0
	.amdhsa_kernel _ZN7rocprim17ROCPRIM_400000_NS6detail17trampoline_kernelINS0_14default_configENS1_25partition_config_selectorILNS1_17partition_subalgoE3ExNS0_10empty_typeEbEEZZNS1_14partition_implILS5_3ELb0ES3_jN6thrust23THRUST_200600_302600_NS6detail15normal_iteratorINSA_7pointerIxNSA_11hip_rocprim3tagENSA_11use_defaultESG_EEEEPS6_SJ_NS0_5tupleIJPxSJ_EEENSK_IJSJ_SJ_EEES6_PlJ7is_evenIxEEEE10hipError_tPvRmT3_T4_T5_T6_T7_T9_mT8_P12ihipStream_tbDpT10_ENKUlT_T0_E_clISt17integral_constantIbLb1EES19_IbLb0EEEEDaS15_S16_EUlS15_E_NS1_11comp_targetILNS1_3genE2ELNS1_11target_archE906ELNS1_3gpuE6ELNS1_3repE0EEENS1_30default_config_static_selectorELNS0_4arch9wavefront6targetE1EEEvT1_
		.amdhsa_group_segment_fixed_size 0
		.amdhsa_private_segment_fixed_size 0
		.amdhsa_kernarg_size 120
		.amdhsa_user_sgpr_count 6
		.amdhsa_user_sgpr_private_segment_buffer 1
		.amdhsa_user_sgpr_dispatch_ptr 0
		.amdhsa_user_sgpr_queue_ptr 0
		.amdhsa_user_sgpr_kernarg_segment_ptr 1
		.amdhsa_user_sgpr_dispatch_id 0
		.amdhsa_user_sgpr_flat_scratch_init 0
		.amdhsa_user_sgpr_kernarg_preload_length 0
		.amdhsa_user_sgpr_kernarg_preload_offset 0
		.amdhsa_user_sgpr_private_segment_size 0
		.amdhsa_uses_dynamic_stack 0
		.amdhsa_system_sgpr_private_segment_wavefront_offset 0
		.amdhsa_system_sgpr_workgroup_id_x 1
		.amdhsa_system_sgpr_workgroup_id_y 0
		.amdhsa_system_sgpr_workgroup_id_z 0
		.amdhsa_system_sgpr_workgroup_info 0
		.amdhsa_system_vgpr_workitem_id 0
		.amdhsa_next_free_vgpr 1
		.amdhsa_next_free_sgpr 0
		.amdhsa_accum_offset 4
		.amdhsa_reserve_vcc 0
		.amdhsa_reserve_flat_scratch 0
		.amdhsa_float_round_mode_32 0
		.amdhsa_float_round_mode_16_64 0
		.amdhsa_float_denorm_mode_32 3
		.amdhsa_float_denorm_mode_16_64 3
		.amdhsa_dx10_clamp 1
		.amdhsa_ieee_mode 1
		.amdhsa_fp16_overflow 0
		.amdhsa_tg_split 0
		.amdhsa_exception_fp_ieee_invalid_op 0
		.amdhsa_exception_fp_denorm_src 0
		.amdhsa_exception_fp_ieee_div_zero 0
		.amdhsa_exception_fp_ieee_overflow 0
		.amdhsa_exception_fp_ieee_underflow 0
		.amdhsa_exception_fp_ieee_inexact 0
		.amdhsa_exception_int_div_zero 0
	.end_amdhsa_kernel
	.section	.text._ZN7rocprim17ROCPRIM_400000_NS6detail17trampoline_kernelINS0_14default_configENS1_25partition_config_selectorILNS1_17partition_subalgoE3ExNS0_10empty_typeEbEEZZNS1_14partition_implILS5_3ELb0ES3_jN6thrust23THRUST_200600_302600_NS6detail15normal_iteratorINSA_7pointerIxNSA_11hip_rocprim3tagENSA_11use_defaultESG_EEEEPS6_SJ_NS0_5tupleIJPxSJ_EEENSK_IJSJ_SJ_EEES6_PlJ7is_evenIxEEEE10hipError_tPvRmT3_T4_T5_T6_T7_T9_mT8_P12ihipStream_tbDpT10_ENKUlT_T0_E_clISt17integral_constantIbLb1EES19_IbLb0EEEEDaS15_S16_EUlS15_E_NS1_11comp_targetILNS1_3genE2ELNS1_11target_archE906ELNS1_3gpuE6ELNS1_3repE0EEENS1_30default_config_static_selectorELNS0_4arch9wavefront6targetE1EEEvT1_,"axG",@progbits,_ZN7rocprim17ROCPRIM_400000_NS6detail17trampoline_kernelINS0_14default_configENS1_25partition_config_selectorILNS1_17partition_subalgoE3ExNS0_10empty_typeEbEEZZNS1_14partition_implILS5_3ELb0ES3_jN6thrust23THRUST_200600_302600_NS6detail15normal_iteratorINSA_7pointerIxNSA_11hip_rocprim3tagENSA_11use_defaultESG_EEEEPS6_SJ_NS0_5tupleIJPxSJ_EEENSK_IJSJ_SJ_EEES6_PlJ7is_evenIxEEEE10hipError_tPvRmT3_T4_T5_T6_T7_T9_mT8_P12ihipStream_tbDpT10_ENKUlT_T0_E_clISt17integral_constantIbLb1EES19_IbLb0EEEEDaS15_S16_EUlS15_E_NS1_11comp_targetILNS1_3genE2ELNS1_11target_archE906ELNS1_3gpuE6ELNS1_3repE0EEENS1_30default_config_static_selectorELNS0_4arch9wavefront6targetE1EEEvT1_,comdat
.Lfunc_end35:
	.size	_ZN7rocprim17ROCPRIM_400000_NS6detail17trampoline_kernelINS0_14default_configENS1_25partition_config_selectorILNS1_17partition_subalgoE3ExNS0_10empty_typeEbEEZZNS1_14partition_implILS5_3ELb0ES3_jN6thrust23THRUST_200600_302600_NS6detail15normal_iteratorINSA_7pointerIxNSA_11hip_rocprim3tagENSA_11use_defaultESG_EEEEPS6_SJ_NS0_5tupleIJPxSJ_EEENSK_IJSJ_SJ_EEES6_PlJ7is_evenIxEEEE10hipError_tPvRmT3_T4_T5_T6_T7_T9_mT8_P12ihipStream_tbDpT10_ENKUlT_T0_E_clISt17integral_constantIbLb1EES19_IbLb0EEEEDaS15_S16_EUlS15_E_NS1_11comp_targetILNS1_3genE2ELNS1_11target_archE906ELNS1_3gpuE6ELNS1_3repE0EEENS1_30default_config_static_selectorELNS0_4arch9wavefront6targetE1EEEvT1_, .Lfunc_end35-_ZN7rocprim17ROCPRIM_400000_NS6detail17trampoline_kernelINS0_14default_configENS1_25partition_config_selectorILNS1_17partition_subalgoE3ExNS0_10empty_typeEbEEZZNS1_14partition_implILS5_3ELb0ES3_jN6thrust23THRUST_200600_302600_NS6detail15normal_iteratorINSA_7pointerIxNSA_11hip_rocprim3tagENSA_11use_defaultESG_EEEEPS6_SJ_NS0_5tupleIJPxSJ_EEENSK_IJSJ_SJ_EEES6_PlJ7is_evenIxEEEE10hipError_tPvRmT3_T4_T5_T6_T7_T9_mT8_P12ihipStream_tbDpT10_ENKUlT_T0_E_clISt17integral_constantIbLb1EES19_IbLb0EEEEDaS15_S16_EUlS15_E_NS1_11comp_targetILNS1_3genE2ELNS1_11target_archE906ELNS1_3gpuE6ELNS1_3repE0EEENS1_30default_config_static_selectorELNS0_4arch9wavefront6targetE1EEEvT1_
                                        ; -- End function
	.section	.AMDGPU.csdata,"",@progbits
; Kernel info:
; codeLenInByte = 0
; NumSgprs: 4
; NumVgprs: 0
; NumAgprs: 0
; TotalNumVgprs: 0
; ScratchSize: 0
; MemoryBound: 0
; FloatMode: 240
; IeeeMode: 1
; LDSByteSize: 0 bytes/workgroup (compile time only)
; SGPRBlocks: 0
; VGPRBlocks: 0
; NumSGPRsForWavesPerEU: 4
; NumVGPRsForWavesPerEU: 1
; AccumOffset: 4
; Occupancy: 8
; WaveLimiterHint : 0
; COMPUTE_PGM_RSRC2:SCRATCH_EN: 0
; COMPUTE_PGM_RSRC2:USER_SGPR: 6
; COMPUTE_PGM_RSRC2:TRAP_HANDLER: 0
; COMPUTE_PGM_RSRC2:TGID_X_EN: 1
; COMPUTE_PGM_RSRC2:TGID_Y_EN: 0
; COMPUTE_PGM_RSRC2:TGID_Z_EN: 0
; COMPUTE_PGM_RSRC2:TIDIG_COMP_CNT: 0
; COMPUTE_PGM_RSRC3_GFX90A:ACCUM_OFFSET: 0
; COMPUTE_PGM_RSRC3_GFX90A:TG_SPLIT: 0
	.section	.text._ZN7rocprim17ROCPRIM_400000_NS6detail17trampoline_kernelINS0_14default_configENS1_25partition_config_selectorILNS1_17partition_subalgoE3ExNS0_10empty_typeEbEEZZNS1_14partition_implILS5_3ELb0ES3_jN6thrust23THRUST_200600_302600_NS6detail15normal_iteratorINSA_7pointerIxNSA_11hip_rocprim3tagENSA_11use_defaultESG_EEEEPS6_SJ_NS0_5tupleIJPxSJ_EEENSK_IJSJ_SJ_EEES6_PlJ7is_evenIxEEEE10hipError_tPvRmT3_T4_T5_T6_T7_T9_mT8_P12ihipStream_tbDpT10_ENKUlT_T0_E_clISt17integral_constantIbLb1EES19_IbLb0EEEEDaS15_S16_EUlS15_E_NS1_11comp_targetILNS1_3genE10ELNS1_11target_archE1200ELNS1_3gpuE4ELNS1_3repE0EEENS1_30default_config_static_selectorELNS0_4arch9wavefront6targetE1EEEvT1_,"axG",@progbits,_ZN7rocprim17ROCPRIM_400000_NS6detail17trampoline_kernelINS0_14default_configENS1_25partition_config_selectorILNS1_17partition_subalgoE3ExNS0_10empty_typeEbEEZZNS1_14partition_implILS5_3ELb0ES3_jN6thrust23THRUST_200600_302600_NS6detail15normal_iteratorINSA_7pointerIxNSA_11hip_rocprim3tagENSA_11use_defaultESG_EEEEPS6_SJ_NS0_5tupleIJPxSJ_EEENSK_IJSJ_SJ_EEES6_PlJ7is_evenIxEEEE10hipError_tPvRmT3_T4_T5_T6_T7_T9_mT8_P12ihipStream_tbDpT10_ENKUlT_T0_E_clISt17integral_constantIbLb1EES19_IbLb0EEEEDaS15_S16_EUlS15_E_NS1_11comp_targetILNS1_3genE10ELNS1_11target_archE1200ELNS1_3gpuE4ELNS1_3repE0EEENS1_30default_config_static_selectorELNS0_4arch9wavefront6targetE1EEEvT1_,comdat
	.protected	_ZN7rocprim17ROCPRIM_400000_NS6detail17trampoline_kernelINS0_14default_configENS1_25partition_config_selectorILNS1_17partition_subalgoE3ExNS0_10empty_typeEbEEZZNS1_14partition_implILS5_3ELb0ES3_jN6thrust23THRUST_200600_302600_NS6detail15normal_iteratorINSA_7pointerIxNSA_11hip_rocprim3tagENSA_11use_defaultESG_EEEEPS6_SJ_NS0_5tupleIJPxSJ_EEENSK_IJSJ_SJ_EEES6_PlJ7is_evenIxEEEE10hipError_tPvRmT3_T4_T5_T6_T7_T9_mT8_P12ihipStream_tbDpT10_ENKUlT_T0_E_clISt17integral_constantIbLb1EES19_IbLb0EEEEDaS15_S16_EUlS15_E_NS1_11comp_targetILNS1_3genE10ELNS1_11target_archE1200ELNS1_3gpuE4ELNS1_3repE0EEENS1_30default_config_static_selectorELNS0_4arch9wavefront6targetE1EEEvT1_ ; -- Begin function _ZN7rocprim17ROCPRIM_400000_NS6detail17trampoline_kernelINS0_14default_configENS1_25partition_config_selectorILNS1_17partition_subalgoE3ExNS0_10empty_typeEbEEZZNS1_14partition_implILS5_3ELb0ES3_jN6thrust23THRUST_200600_302600_NS6detail15normal_iteratorINSA_7pointerIxNSA_11hip_rocprim3tagENSA_11use_defaultESG_EEEEPS6_SJ_NS0_5tupleIJPxSJ_EEENSK_IJSJ_SJ_EEES6_PlJ7is_evenIxEEEE10hipError_tPvRmT3_T4_T5_T6_T7_T9_mT8_P12ihipStream_tbDpT10_ENKUlT_T0_E_clISt17integral_constantIbLb1EES19_IbLb0EEEEDaS15_S16_EUlS15_E_NS1_11comp_targetILNS1_3genE10ELNS1_11target_archE1200ELNS1_3gpuE4ELNS1_3repE0EEENS1_30default_config_static_selectorELNS0_4arch9wavefront6targetE1EEEvT1_
	.globl	_ZN7rocprim17ROCPRIM_400000_NS6detail17trampoline_kernelINS0_14default_configENS1_25partition_config_selectorILNS1_17partition_subalgoE3ExNS0_10empty_typeEbEEZZNS1_14partition_implILS5_3ELb0ES3_jN6thrust23THRUST_200600_302600_NS6detail15normal_iteratorINSA_7pointerIxNSA_11hip_rocprim3tagENSA_11use_defaultESG_EEEEPS6_SJ_NS0_5tupleIJPxSJ_EEENSK_IJSJ_SJ_EEES6_PlJ7is_evenIxEEEE10hipError_tPvRmT3_T4_T5_T6_T7_T9_mT8_P12ihipStream_tbDpT10_ENKUlT_T0_E_clISt17integral_constantIbLb1EES19_IbLb0EEEEDaS15_S16_EUlS15_E_NS1_11comp_targetILNS1_3genE10ELNS1_11target_archE1200ELNS1_3gpuE4ELNS1_3repE0EEENS1_30default_config_static_selectorELNS0_4arch9wavefront6targetE1EEEvT1_
	.p2align	8
	.type	_ZN7rocprim17ROCPRIM_400000_NS6detail17trampoline_kernelINS0_14default_configENS1_25partition_config_selectorILNS1_17partition_subalgoE3ExNS0_10empty_typeEbEEZZNS1_14partition_implILS5_3ELb0ES3_jN6thrust23THRUST_200600_302600_NS6detail15normal_iteratorINSA_7pointerIxNSA_11hip_rocprim3tagENSA_11use_defaultESG_EEEEPS6_SJ_NS0_5tupleIJPxSJ_EEENSK_IJSJ_SJ_EEES6_PlJ7is_evenIxEEEE10hipError_tPvRmT3_T4_T5_T6_T7_T9_mT8_P12ihipStream_tbDpT10_ENKUlT_T0_E_clISt17integral_constantIbLb1EES19_IbLb0EEEEDaS15_S16_EUlS15_E_NS1_11comp_targetILNS1_3genE10ELNS1_11target_archE1200ELNS1_3gpuE4ELNS1_3repE0EEENS1_30default_config_static_selectorELNS0_4arch9wavefront6targetE1EEEvT1_,@function
_ZN7rocprim17ROCPRIM_400000_NS6detail17trampoline_kernelINS0_14default_configENS1_25partition_config_selectorILNS1_17partition_subalgoE3ExNS0_10empty_typeEbEEZZNS1_14partition_implILS5_3ELb0ES3_jN6thrust23THRUST_200600_302600_NS6detail15normal_iteratorINSA_7pointerIxNSA_11hip_rocprim3tagENSA_11use_defaultESG_EEEEPS6_SJ_NS0_5tupleIJPxSJ_EEENSK_IJSJ_SJ_EEES6_PlJ7is_evenIxEEEE10hipError_tPvRmT3_T4_T5_T6_T7_T9_mT8_P12ihipStream_tbDpT10_ENKUlT_T0_E_clISt17integral_constantIbLb1EES19_IbLb0EEEEDaS15_S16_EUlS15_E_NS1_11comp_targetILNS1_3genE10ELNS1_11target_archE1200ELNS1_3gpuE4ELNS1_3repE0EEENS1_30default_config_static_selectorELNS0_4arch9wavefront6targetE1EEEvT1_: ; @_ZN7rocprim17ROCPRIM_400000_NS6detail17trampoline_kernelINS0_14default_configENS1_25partition_config_selectorILNS1_17partition_subalgoE3ExNS0_10empty_typeEbEEZZNS1_14partition_implILS5_3ELb0ES3_jN6thrust23THRUST_200600_302600_NS6detail15normal_iteratorINSA_7pointerIxNSA_11hip_rocprim3tagENSA_11use_defaultESG_EEEEPS6_SJ_NS0_5tupleIJPxSJ_EEENSK_IJSJ_SJ_EEES6_PlJ7is_evenIxEEEE10hipError_tPvRmT3_T4_T5_T6_T7_T9_mT8_P12ihipStream_tbDpT10_ENKUlT_T0_E_clISt17integral_constantIbLb1EES19_IbLb0EEEEDaS15_S16_EUlS15_E_NS1_11comp_targetILNS1_3genE10ELNS1_11target_archE1200ELNS1_3gpuE4ELNS1_3repE0EEENS1_30default_config_static_selectorELNS0_4arch9wavefront6targetE1EEEvT1_
; %bb.0:
	.section	.rodata,"a",@progbits
	.p2align	6, 0x0
	.amdhsa_kernel _ZN7rocprim17ROCPRIM_400000_NS6detail17trampoline_kernelINS0_14default_configENS1_25partition_config_selectorILNS1_17partition_subalgoE3ExNS0_10empty_typeEbEEZZNS1_14partition_implILS5_3ELb0ES3_jN6thrust23THRUST_200600_302600_NS6detail15normal_iteratorINSA_7pointerIxNSA_11hip_rocprim3tagENSA_11use_defaultESG_EEEEPS6_SJ_NS0_5tupleIJPxSJ_EEENSK_IJSJ_SJ_EEES6_PlJ7is_evenIxEEEE10hipError_tPvRmT3_T4_T5_T6_T7_T9_mT8_P12ihipStream_tbDpT10_ENKUlT_T0_E_clISt17integral_constantIbLb1EES19_IbLb0EEEEDaS15_S16_EUlS15_E_NS1_11comp_targetILNS1_3genE10ELNS1_11target_archE1200ELNS1_3gpuE4ELNS1_3repE0EEENS1_30default_config_static_selectorELNS0_4arch9wavefront6targetE1EEEvT1_
		.amdhsa_group_segment_fixed_size 0
		.amdhsa_private_segment_fixed_size 0
		.amdhsa_kernarg_size 120
		.amdhsa_user_sgpr_count 6
		.amdhsa_user_sgpr_private_segment_buffer 1
		.amdhsa_user_sgpr_dispatch_ptr 0
		.amdhsa_user_sgpr_queue_ptr 0
		.amdhsa_user_sgpr_kernarg_segment_ptr 1
		.amdhsa_user_sgpr_dispatch_id 0
		.amdhsa_user_sgpr_flat_scratch_init 0
		.amdhsa_user_sgpr_kernarg_preload_length 0
		.amdhsa_user_sgpr_kernarg_preload_offset 0
		.amdhsa_user_sgpr_private_segment_size 0
		.amdhsa_uses_dynamic_stack 0
		.amdhsa_system_sgpr_private_segment_wavefront_offset 0
		.amdhsa_system_sgpr_workgroup_id_x 1
		.amdhsa_system_sgpr_workgroup_id_y 0
		.amdhsa_system_sgpr_workgroup_id_z 0
		.amdhsa_system_sgpr_workgroup_info 0
		.amdhsa_system_vgpr_workitem_id 0
		.amdhsa_next_free_vgpr 1
		.amdhsa_next_free_sgpr 0
		.amdhsa_accum_offset 4
		.amdhsa_reserve_vcc 0
		.amdhsa_reserve_flat_scratch 0
		.amdhsa_float_round_mode_32 0
		.amdhsa_float_round_mode_16_64 0
		.amdhsa_float_denorm_mode_32 3
		.amdhsa_float_denorm_mode_16_64 3
		.amdhsa_dx10_clamp 1
		.amdhsa_ieee_mode 1
		.amdhsa_fp16_overflow 0
		.amdhsa_tg_split 0
		.amdhsa_exception_fp_ieee_invalid_op 0
		.amdhsa_exception_fp_denorm_src 0
		.amdhsa_exception_fp_ieee_div_zero 0
		.amdhsa_exception_fp_ieee_overflow 0
		.amdhsa_exception_fp_ieee_underflow 0
		.amdhsa_exception_fp_ieee_inexact 0
		.amdhsa_exception_int_div_zero 0
	.end_amdhsa_kernel
	.section	.text._ZN7rocprim17ROCPRIM_400000_NS6detail17trampoline_kernelINS0_14default_configENS1_25partition_config_selectorILNS1_17partition_subalgoE3ExNS0_10empty_typeEbEEZZNS1_14partition_implILS5_3ELb0ES3_jN6thrust23THRUST_200600_302600_NS6detail15normal_iteratorINSA_7pointerIxNSA_11hip_rocprim3tagENSA_11use_defaultESG_EEEEPS6_SJ_NS0_5tupleIJPxSJ_EEENSK_IJSJ_SJ_EEES6_PlJ7is_evenIxEEEE10hipError_tPvRmT3_T4_T5_T6_T7_T9_mT8_P12ihipStream_tbDpT10_ENKUlT_T0_E_clISt17integral_constantIbLb1EES19_IbLb0EEEEDaS15_S16_EUlS15_E_NS1_11comp_targetILNS1_3genE10ELNS1_11target_archE1200ELNS1_3gpuE4ELNS1_3repE0EEENS1_30default_config_static_selectorELNS0_4arch9wavefront6targetE1EEEvT1_,"axG",@progbits,_ZN7rocprim17ROCPRIM_400000_NS6detail17trampoline_kernelINS0_14default_configENS1_25partition_config_selectorILNS1_17partition_subalgoE3ExNS0_10empty_typeEbEEZZNS1_14partition_implILS5_3ELb0ES3_jN6thrust23THRUST_200600_302600_NS6detail15normal_iteratorINSA_7pointerIxNSA_11hip_rocprim3tagENSA_11use_defaultESG_EEEEPS6_SJ_NS0_5tupleIJPxSJ_EEENSK_IJSJ_SJ_EEES6_PlJ7is_evenIxEEEE10hipError_tPvRmT3_T4_T5_T6_T7_T9_mT8_P12ihipStream_tbDpT10_ENKUlT_T0_E_clISt17integral_constantIbLb1EES19_IbLb0EEEEDaS15_S16_EUlS15_E_NS1_11comp_targetILNS1_3genE10ELNS1_11target_archE1200ELNS1_3gpuE4ELNS1_3repE0EEENS1_30default_config_static_selectorELNS0_4arch9wavefront6targetE1EEEvT1_,comdat
.Lfunc_end36:
	.size	_ZN7rocprim17ROCPRIM_400000_NS6detail17trampoline_kernelINS0_14default_configENS1_25partition_config_selectorILNS1_17partition_subalgoE3ExNS0_10empty_typeEbEEZZNS1_14partition_implILS5_3ELb0ES3_jN6thrust23THRUST_200600_302600_NS6detail15normal_iteratorINSA_7pointerIxNSA_11hip_rocprim3tagENSA_11use_defaultESG_EEEEPS6_SJ_NS0_5tupleIJPxSJ_EEENSK_IJSJ_SJ_EEES6_PlJ7is_evenIxEEEE10hipError_tPvRmT3_T4_T5_T6_T7_T9_mT8_P12ihipStream_tbDpT10_ENKUlT_T0_E_clISt17integral_constantIbLb1EES19_IbLb0EEEEDaS15_S16_EUlS15_E_NS1_11comp_targetILNS1_3genE10ELNS1_11target_archE1200ELNS1_3gpuE4ELNS1_3repE0EEENS1_30default_config_static_selectorELNS0_4arch9wavefront6targetE1EEEvT1_, .Lfunc_end36-_ZN7rocprim17ROCPRIM_400000_NS6detail17trampoline_kernelINS0_14default_configENS1_25partition_config_selectorILNS1_17partition_subalgoE3ExNS0_10empty_typeEbEEZZNS1_14partition_implILS5_3ELb0ES3_jN6thrust23THRUST_200600_302600_NS6detail15normal_iteratorINSA_7pointerIxNSA_11hip_rocprim3tagENSA_11use_defaultESG_EEEEPS6_SJ_NS0_5tupleIJPxSJ_EEENSK_IJSJ_SJ_EEES6_PlJ7is_evenIxEEEE10hipError_tPvRmT3_T4_T5_T6_T7_T9_mT8_P12ihipStream_tbDpT10_ENKUlT_T0_E_clISt17integral_constantIbLb1EES19_IbLb0EEEEDaS15_S16_EUlS15_E_NS1_11comp_targetILNS1_3genE10ELNS1_11target_archE1200ELNS1_3gpuE4ELNS1_3repE0EEENS1_30default_config_static_selectorELNS0_4arch9wavefront6targetE1EEEvT1_
                                        ; -- End function
	.section	.AMDGPU.csdata,"",@progbits
; Kernel info:
; codeLenInByte = 0
; NumSgprs: 4
; NumVgprs: 0
; NumAgprs: 0
; TotalNumVgprs: 0
; ScratchSize: 0
; MemoryBound: 0
; FloatMode: 240
; IeeeMode: 1
; LDSByteSize: 0 bytes/workgroup (compile time only)
; SGPRBlocks: 0
; VGPRBlocks: 0
; NumSGPRsForWavesPerEU: 4
; NumVGPRsForWavesPerEU: 1
; AccumOffset: 4
; Occupancy: 8
; WaveLimiterHint : 0
; COMPUTE_PGM_RSRC2:SCRATCH_EN: 0
; COMPUTE_PGM_RSRC2:USER_SGPR: 6
; COMPUTE_PGM_RSRC2:TRAP_HANDLER: 0
; COMPUTE_PGM_RSRC2:TGID_X_EN: 1
; COMPUTE_PGM_RSRC2:TGID_Y_EN: 0
; COMPUTE_PGM_RSRC2:TGID_Z_EN: 0
; COMPUTE_PGM_RSRC2:TIDIG_COMP_CNT: 0
; COMPUTE_PGM_RSRC3_GFX90A:ACCUM_OFFSET: 0
; COMPUTE_PGM_RSRC3_GFX90A:TG_SPLIT: 0
	.section	.text._ZN7rocprim17ROCPRIM_400000_NS6detail17trampoline_kernelINS0_14default_configENS1_25partition_config_selectorILNS1_17partition_subalgoE3ExNS0_10empty_typeEbEEZZNS1_14partition_implILS5_3ELb0ES3_jN6thrust23THRUST_200600_302600_NS6detail15normal_iteratorINSA_7pointerIxNSA_11hip_rocprim3tagENSA_11use_defaultESG_EEEEPS6_SJ_NS0_5tupleIJPxSJ_EEENSK_IJSJ_SJ_EEES6_PlJ7is_evenIxEEEE10hipError_tPvRmT3_T4_T5_T6_T7_T9_mT8_P12ihipStream_tbDpT10_ENKUlT_T0_E_clISt17integral_constantIbLb1EES19_IbLb0EEEEDaS15_S16_EUlS15_E_NS1_11comp_targetILNS1_3genE9ELNS1_11target_archE1100ELNS1_3gpuE3ELNS1_3repE0EEENS1_30default_config_static_selectorELNS0_4arch9wavefront6targetE1EEEvT1_,"axG",@progbits,_ZN7rocprim17ROCPRIM_400000_NS6detail17trampoline_kernelINS0_14default_configENS1_25partition_config_selectorILNS1_17partition_subalgoE3ExNS0_10empty_typeEbEEZZNS1_14partition_implILS5_3ELb0ES3_jN6thrust23THRUST_200600_302600_NS6detail15normal_iteratorINSA_7pointerIxNSA_11hip_rocprim3tagENSA_11use_defaultESG_EEEEPS6_SJ_NS0_5tupleIJPxSJ_EEENSK_IJSJ_SJ_EEES6_PlJ7is_evenIxEEEE10hipError_tPvRmT3_T4_T5_T6_T7_T9_mT8_P12ihipStream_tbDpT10_ENKUlT_T0_E_clISt17integral_constantIbLb1EES19_IbLb0EEEEDaS15_S16_EUlS15_E_NS1_11comp_targetILNS1_3genE9ELNS1_11target_archE1100ELNS1_3gpuE3ELNS1_3repE0EEENS1_30default_config_static_selectorELNS0_4arch9wavefront6targetE1EEEvT1_,comdat
	.protected	_ZN7rocprim17ROCPRIM_400000_NS6detail17trampoline_kernelINS0_14default_configENS1_25partition_config_selectorILNS1_17partition_subalgoE3ExNS0_10empty_typeEbEEZZNS1_14partition_implILS5_3ELb0ES3_jN6thrust23THRUST_200600_302600_NS6detail15normal_iteratorINSA_7pointerIxNSA_11hip_rocprim3tagENSA_11use_defaultESG_EEEEPS6_SJ_NS0_5tupleIJPxSJ_EEENSK_IJSJ_SJ_EEES6_PlJ7is_evenIxEEEE10hipError_tPvRmT3_T4_T5_T6_T7_T9_mT8_P12ihipStream_tbDpT10_ENKUlT_T0_E_clISt17integral_constantIbLb1EES19_IbLb0EEEEDaS15_S16_EUlS15_E_NS1_11comp_targetILNS1_3genE9ELNS1_11target_archE1100ELNS1_3gpuE3ELNS1_3repE0EEENS1_30default_config_static_selectorELNS0_4arch9wavefront6targetE1EEEvT1_ ; -- Begin function _ZN7rocprim17ROCPRIM_400000_NS6detail17trampoline_kernelINS0_14default_configENS1_25partition_config_selectorILNS1_17partition_subalgoE3ExNS0_10empty_typeEbEEZZNS1_14partition_implILS5_3ELb0ES3_jN6thrust23THRUST_200600_302600_NS6detail15normal_iteratorINSA_7pointerIxNSA_11hip_rocprim3tagENSA_11use_defaultESG_EEEEPS6_SJ_NS0_5tupleIJPxSJ_EEENSK_IJSJ_SJ_EEES6_PlJ7is_evenIxEEEE10hipError_tPvRmT3_T4_T5_T6_T7_T9_mT8_P12ihipStream_tbDpT10_ENKUlT_T0_E_clISt17integral_constantIbLb1EES19_IbLb0EEEEDaS15_S16_EUlS15_E_NS1_11comp_targetILNS1_3genE9ELNS1_11target_archE1100ELNS1_3gpuE3ELNS1_3repE0EEENS1_30default_config_static_selectorELNS0_4arch9wavefront6targetE1EEEvT1_
	.globl	_ZN7rocprim17ROCPRIM_400000_NS6detail17trampoline_kernelINS0_14default_configENS1_25partition_config_selectorILNS1_17partition_subalgoE3ExNS0_10empty_typeEbEEZZNS1_14partition_implILS5_3ELb0ES3_jN6thrust23THRUST_200600_302600_NS6detail15normal_iteratorINSA_7pointerIxNSA_11hip_rocprim3tagENSA_11use_defaultESG_EEEEPS6_SJ_NS0_5tupleIJPxSJ_EEENSK_IJSJ_SJ_EEES6_PlJ7is_evenIxEEEE10hipError_tPvRmT3_T4_T5_T6_T7_T9_mT8_P12ihipStream_tbDpT10_ENKUlT_T0_E_clISt17integral_constantIbLb1EES19_IbLb0EEEEDaS15_S16_EUlS15_E_NS1_11comp_targetILNS1_3genE9ELNS1_11target_archE1100ELNS1_3gpuE3ELNS1_3repE0EEENS1_30default_config_static_selectorELNS0_4arch9wavefront6targetE1EEEvT1_
	.p2align	8
	.type	_ZN7rocprim17ROCPRIM_400000_NS6detail17trampoline_kernelINS0_14default_configENS1_25partition_config_selectorILNS1_17partition_subalgoE3ExNS0_10empty_typeEbEEZZNS1_14partition_implILS5_3ELb0ES3_jN6thrust23THRUST_200600_302600_NS6detail15normal_iteratorINSA_7pointerIxNSA_11hip_rocprim3tagENSA_11use_defaultESG_EEEEPS6_SJ_NS0_5tupleIJPxSJ_EEENSK_IJSJ_SJ_EEES6_PlJ7is_evenIxEEEE10hipError_tPvRmT3_T4_T5_T6_T7_T9_mT8_P12ihipStream_tbDpT10_ENKUlT_T0_E_clISt17integral_constantIbLb1EES19_IbLb0EEEEDaS15_S16_EUlS15_E_NS1_11comp_targetILNS1_3genE9ELNS1_11target_archE1100ELNS1_3gpuE3ELNS1_3repE0EEENS1_30default_config_static_selectorELNS0_4arch9wavefront6targetE1EEEvT1_,@function
_ZN7rocprim17ROCPRIM_400000_NS6detail17trampoline_kernelINS0_14default_configENS1_25partition_config_selectorILNS1_17partition_subalgoE3ExNS0_10empty_typeEbEEZZNS1_14partition_implILS5_3ELb0ES3_jN6thrust23THRUST_200600_302600_NS6detail15normal_iteratorINSA_7pointerIxNSA_11hip_rocprim3tagENSA_11use_defaultESG_EEEEPS6_SJ_NS0_5tupleIJPxSJ_EEENSK_IJSJ_SJ_EEES6_PlJ7is_evenIxEEEE10hipError_tPvRmT3_T4_T5_T6_T7_T9_mT8_P12ihipStream_tbDpT10_ENKUlT_T0_E_clISt17integral_constantIbLb1EES19_IbLb0EEEEDaS15_S16_EUlS15_E_NS1_11comp_targetILNS1_3genE9ELNS1_11target_archE1100ELNS1_3gpuE3ELNS1_3repE0EEENS1_30default_config_static_selectorELNS0_4arch9wavefront6targetE1EEEvT1_: ; @_ZN7rocprim17ROCPRIM_400000_NS6detail17trampoline_kernelINS0_14default_configENS1_25partition_config_selectorILNS1_17partition_subalgoE3ExNS0_10empty_typeEbEEZZNS1_14partition_implILS5_3ELb0ES3_jN6thrust23THRUST_200600_302600_NS6detail15normal_iteratorINSA_7pointerIxNSA_11hip_rocprim3tagENSA_11use_defaultESG_EEEEPS6_SJ_NS0_5tupleIJPxSJ_EEENSK_IJSJ_SJ_EEES6_PlJ7is_evenIxEEEE10hipError_tPvRmT3_T4_T5_T6_T7_T9_mT8_P12ihipStream_tbDpT10_ENKUlT_T0_E_clISt17integral_constantIbLb1EES19_IbLb0EEEEDaS15_S16_EUlS15_E_NS1_11comp_targetILNS1_3genE9ELNS1_11target_archE1100ELNS1_3gpuE3ELNS1_3repE0EEENS1_30default_config_static_selectorELNS0_4arch9wavefront6targetE1EEEvT1_
; %bb.0:
	.section	.rodata,"a",@progbits
	.p2align	6, 0x0
	.amdhsa_kernel _ZN7rocprim17ROCPRIM_400000_NS6detail17trampoline_kernelINS0_14default_configENS1_25partition_config_selectorILNS1_17partition_subalgoE3ExNS0_10empty_typeEbEEZZNS1_14partition_implILS5_3ELb0ES3_jN6thrust23THRUST_200600_302600_NS6detail15normal_iteratorINSA_7pointerIxNSA_11hip_rocprim3tagENSA_11use_defaultESG_EEEEPS6_SJ_NS0_5tupleIJPxSJ_EEENSK_IJSJ_SJ_EEES6_PlJ7is_evenIxEEEE10hipError_tPvRmT3_T4_T5_T6_T7_T9_mT8_P12ihipStream_tbDpT10_ENKUlT_T0_E_clISt17integral_constantIbLb1EES19_IbLb0EEEEDaS15_S16_EUlS15_E_NS1_11comp_targetILNS1_3genE9ELNS1_11target_archE1100ELNS1_3gpuE3ELNS1_3repE0EEENS1_30default_config_static_selectorELNS0_4arch9wavefront6targetE1EEEvT1_
		.amdhsa_group_segment_fixed_size 0
		.amdhsa_private_segment_fixed_size 0
		.amdhsa_kernarg_size 120
		.amdhsa_user_sgpr_count 6
		.amdhsa_user_sgpr_private_segment_buffer 1
		.amdhsa_user_sgpr_dispatch_ptr 0
		.amdhsa_user_sgpr_queue_ptr 0
		.amdhsa_user_sgpr_kernarg_segment_ptr 1
		.amdhsa_user_sgpr_dispatch_id 0
		.amdhsa_user_sgpr_flat_scratch_init 0
		.amdhsa_user_sgpr_kernarg_preload_length 0
		.amdhsa_user_sgpr_kernarg_preload_offset 0
		.amdhsa_user_sgpr_private_segment_size 0
		.amdhsa_uses_dynamic_stack 0
		.amdhsa_system_sgpr_private_segment_wavefront_offset 0
		.amdhsa_system_sgpr_workgroup_id_x 1
		.amdhsa_system_sgpr_workgroup_id_y 0
		.amdhsa_system_sgpr_workgroup_id_z 0
		.amdhsa_system_sgpr_workgroup_info 0
		.amdhsa_system_vgpr_workitem_id 0
		.amdhsa_next_free_vgpr 1
		.amdhsa_next_free_sgpr 0
		.amdhsa_accum_offset 4
		.amdhsa_reserve_vcc 0
		.amdhsa_reserve_flat_scratch 0
		.amdhsa_float_round_mode_32 0
		.amdhsa_float_round_mode_16_64 0
		.amdhsa_float_denorm_mode_32 3
		.amdhsa_float_denorm_mode_16_64 3
		.amdhsa_dx10_clamp 1
		.amdhsa_ieee_mode 1
		.amdhsa_fp16_overflow 0
		.amdhsa_tg_split 0
		.amdhsa_exception_fp_ieee_invalid_op 0
		.amdhsa_exception_fp_denorm_src 0
		.amdhsa_exception_fp_ieee_div_zero 0
		.amdhsa_exception_fp_ieee_overflow 0
		.amdhsa_exception_fp_ieee_underflow 0
		.amdhsa_exception_fp_ieee_inexact 0
		.amdhsa_exception_int_div_zero 0
	.end_amdhsa_kernel
	.section	.text._ZN7rocprim17ROCPRIM_400000_NS6detail17trampoline_kernelINS0_14default_configENS1_25partition_config_selectorILNS1_17partition_subalgoE3ExNS0_10empty_typeEbEEZZNS1_14partition_implILS5_3ELb0ES3_jN6thrust23THRUST_200600_302600_NS6detail15normal_iteratorINSA_7pointerIxNSA_11hip_rocprim3tagENSA_11use_defaultESG_EEEEPS6_SJ_NS0_5tupleIJPxSJ_EEENSK_IJSJ_SJ_EEES6_PlJ7is_evenIxEEEE10hipError_tPvRmT3_T4_T5_T6_T7_T9_mT8_P12ihipStream_tbDpT10_ENKUlT_T0_E_clISt17integral_constantIbLb1EES19_IbLb0EEEEDaS15_S16_EUlS15_E_NS1_11comp_targetILNS1_3genE9ELNS1_11target_archE1100ELNS1_3gpuE3ELNS1_3repE0EEENS1_30default_config_static_selectorELNS0_4arch9wavefront6targetE1EEEvT1_,"axG",@progbits,_ZN7rocprim17ROCPRIM_400000_NS6detail17trampoline_kernelINS0_14default_configENS1_25partition_config_selectorILNS1_17partition_subalgoE3ExNS0_10empty_typeEbEEZZNS1_14partition_implILS5_3ELb0ES3_jN6thrust23THRUST_200600_302600_NS6detail15normal_iteratorINSA_7pointerIxNSA_11hip_rocprim3tagENSA_11use_defaultESG_EEEEPS6_SJ_NS0_5tupleIJPxSJ_EEENSK_IJSJ_SJ_EEES6_PlJ7is_evenIxEEEE10hipError_tPvRmT3_T4_T5_T6_T7_T9_mT8_P12ihipStream_tbDpT10_ENKUlT_T0_E_clISt17integral_constantIbLb1EES19_IbLb0EEEEDaS15_S16_EUlS15_E_NS1_11comp_targetILNS1_3genE9ELNS1_11target_archE1100ELNS1_3gpuE3ELNS1_3repE0EEENS1_30default_config_static_selectorELNS0_4arch9wavefront6targetE1EEEvT1_,comdat
.Lfunc_end37:
	.size	_ZN7rocprim17ROCPRIM_400000_NS6detail17trampoline_kernelINS0_14default_configENS1_25partition_config_selectorILNS1_17partition_subalgoE3ExNS0_10empty_typeEbEEZZNS1_14partition_implILS5_3ELb0ES3_jN6thrust23THRUST_200600_302600_NS6detail15normal_iteratorINSA_7pointerIxNSA_11hip_rocprim3tagENSA_11use_defaultESG_EEEEPS6_SJ_NS0_5tupleIJPxSJ_EEENSK_IJSJ_SJ_EEES6_PlJ7is_evenIxEEEE10hipError_tPvRmT3_T4_T5_T6_T7_T9_mT8_P12ihipStream_tbDpT10_ENKUlT_T0_E_clISt17integral_constantIbLb1EES19_IbLb0EEEEDaS15_S16_EUlS15_E_NS1_11comp_targetILNS1_3genE9ELNS1_11target_archE1100ELNS1_3gpuE3ELNS1_3repE0EEENS1_30default_config_static_selectorELNS0_4arch9wavefront6targetE1EEEvT1_, .Lfunc_end37-_ZN7rocprim17ROCPRIM_400000_NS6detail17trampoline_kernelINS0_14default_configENS1_25partition_config_selectorILNS1_17partition_subalgoE3ExNS0_10empty_typeEbEEZZNS1_14partition_implILS5_3ELb0ES3_jN6thrust23THRUST_200600_302600_NS6detail15normal_iteratorINSA_7pointerIxNSA_11hip_rocprim3tagENSA_11use_defaultESG_EEEEPS6_SJ_NS0_5tupleIJPxSJ_EEENSK_IJSJ_SJ_EEES6_PlJ7is_evenIxEEEE10hipError_tPvRmT3_T4_T5_T6_T7_T9_mT8_P12ihipStream_tbDpT10_ENKUlT_T0_E_clISt17integral_constantIbLb1EES19_IbLb0EEEEDaS15_S16_EUlS15_E_NS1_11comp_targetILNS1_3genE9ELNS1_11target_archE1100ELNS1_3gpuE3ELNS1_3repE0EEENS1_30default_config_static_selectorELNS0_4arch9wavefront6targetE1EEEvT1_
                                        ; -- End function
	.section	.AMDGPU.csdata,"",@progbits
; Kernel info:
; codeLenInByte = 0
; NumSgprs: 4
; NumVgprs: 0
; NumAgprs: 0
; TotalNumVgprs: 0
; ScratchSize: 0
; MemoryBound: 0
; FloatMode: 240
; IeeeMode: 1
; LDSByteSize: 0 bytes/workgroup (compile time only)
; SGPRBlocks: 0
; VGPRBlocks: 0
; NumSGPRsForWavesPerEU: 4
; NumVGPRsForWavesPerEU: 1
; AccumOffset: 4
; Occupancy: 8
; WaveLimiterHint : 0
; COMPUTE_PGM_RSRC2:SCRATCH_EN: 0
; COMPUTE_PGM_RSRC2:USER_SGPR: 6
; COMPUTE_PGM_RSRC2:TRAP_HANDLER: 0
; COMPUTE_PGM_RSRC2:TGID_X_EN: 1
; COMPUTE_PGM_RSRC2:TGID_Y_EN: 0
; COMPUTE_PGM_RSRC2:TGID_Z_EN: 0
; COMPUTE_PGM_RSRC2:TIDIG_COMP_CNT: 0
; COMPUTE_PGM_RSRC3_GFX90A:ACCUM_OFFSET: 0
; COMPUTE_PGM_RSRC3_GFX90A:TG_SPLIT: 0
	.section	.text._ZN7rocprim17ROCPRIM_400000_NS6detail17trampoline_kernelINS0_14default_configENS1_25partition_config_selectorILNS1_17partition_subalgoE3ExNS0_10empty_typeEbEEZZNS1_14partition_implILS5_3ELb0ES3_jN6thrust23THRUST_200600_302600_NS6detail15normal_iteratorINSA_7pointerIxNSA_11hip_rocprim3tagENSA_11use_defaultESG_EEEEPS6_SJ_NS0_5tupleIJPxSJ_EEENSK_IJSJ_SJ_EEES6_PlJ7is_evenIxEEEE10hipError_tPvRmT3_T4_T5_T6_T7_T9_mT8_P12ihipStream_tbDpT10_ENKUlT_T0_E_clISt17integral_constantIbLb1EES19_IbLb0EEEEDaS15_S16_EUlS15_E_NS1_11comp_targetILNS1_3genE8ELNS1_11target_archE1030ELNS1_3gpuE2ELNS1_3repE0EEENS1_30default_config_static_selectorELNS0_4arch9wavefront6targetE1EEEvT1_,"axG",@progbits,_ZN7rocprim17ROCPRIM_400000_NS6detail17trampoline_kernelINS0_14default_configENS1_25partition_config_selectorILNS1_17partition_subalgoE3ExNS0_10empty_typeEbEEZZNS1_14partition_implILS5_3ELb0ES3_jN6thrust23THRUST_200600_302600_NS6detail15normal_iteratorINSA_7pointerIxNSA_11hip_rocprim3tagENSA_11use_defaultESG_EEEEPS6_SJ_NS0_5tupleIJPxSJ_EEENSK_IJSJ_SJ_EEES6_PlJ7is_evenIxEEEE10hipError_tPvRmT3_T4_T5_T6_T7_T9_mT8_P12ihipStream_tbDpT10_ENKUlT_T0_E_clISt17integral_constantIbLb1EES19_IbLb0EEEEDaS15_S16_EUlS15_E_NS1_11comp_targetILNS1_3genE8ELNS1_11target_archE1030ELNS1_3gpuE2ELNS1_3repE0EEENS1_30default_config_static_selectorELNS0_4arch9wavefront6targetE1EEEvT1_,comdat
	.protected	_ZN7rocprim17ROCPRIM_400000_NS6detail17trampoline_kernelINS0_14default_configENS1_25partition_config_selectorILNS1_17partition_subalgoE3ExNS0_10empty_typeEbEEZZNS1_14partition_implILS5_3ELb0ES3_jN6thrust23THRUST_200600_302600_NS6detail15normal_iteratorINSA_7pointerIxNSA_11hip_rocprim3tagENSA_11use_defaultESG_EEEEPS6_SJ_NS0_5tupleIJPxSJ_EEENSK_IJSJ_SJ_EEES6_PlJ7is_evenIxEEEE10hipError_tPvRmT3_T4_T5_T6_T7_T9_mT8_P12ihipStream_tbDpT10_ENKUlT_T0_E_clISt17integral_constantIbLb1EES19_IbLb0EEEEDaS15_S16_EUlS15_E_NS1_11comp_targetILNS1_3genE8ELNS1_11target_archE1030ELNS1_3gpuE2ELNS1_3repE0EEENS1_30default_config_static_selectorELNS0_4arch9wavefront6targetE1EEEvT1_ ; -- Begin function _ZN7rocprim17ROCPRIM_400000_NS6detail17trampoline_kernelINS0_14default_configENS1_25partition_config_selectorILNS1_17partition_subalgoE3ExNS0_10empty_typeEbEEZZNS1_14partition_implILS5_3ELb0ES3_jN6thrust23THRUST_200600_302600_NS6detail15normal_iteratorINSA_7pointerIxNSA_11hip_rocprim3tagENSA_11use_defaultESG_EEEEPS6_SJ_NS0_5tupleIJPxSJ_EEENSK_IJSJ_SJ_EEES6_PlJ7is_evenIxEEEE10hipError_tPvRmT3_T4_T5_T6_T7_T9_mT8_P12ihipStream_tbDpT10_ENKUlT_T0_E_clISt17integral_constantIbLb1EES19_IbLb0EEEEDaS15_S16_EUlS15_E_NS1_11comp_targetILNS1_3genE8ELNS1_11target_archE1030ELNS1_3gpuE2ELNS1_3repE0EEENS1_30default_config_static_selectorELNS0_4arch9wavefront6targetE1EEEvT1_
	.globl	_ZN7rocprim17ROCPRIM_400000_NS6detail17trampoline_kernelINS0_14default_configENS1_25partition_config_selectorILNS1_17partition_subalgoE3ExNS0_10empty_typeEbEEZZNS1_14partition_implILS5_3ELb0ES3_jN6thrust23THRUST_200600_302600_NS6detail15normal_iteratorINSA_7pointerIxNSA_11hip_rocprim3tagENSA_11use_defaultESG_EEEEPS6_SJ_NS0_5tupleIJPxSJ_EEENSK_IJSJ_SJ_EEES6_PlJ7is_evenIxEEEE10hipError_tPvRmT3_T4_T5_T6_T7_T9_mT8_P12ihipStream_tbDpT10_ENKUlT_T0_E_clISt17integral_constantIbLb1EES19_IbLb0EEEEDaS15_S16_EUlS15_E_NS1_11comp_targetILNS1_3genE8ELNS1_11target_archE1030ELNS1_3gpuE2ELNS1_3repE0EEENS1_30default_config_static_selectorELNS0_4arch9wavefront6targetE1EEEvT1_
	.p2align	8
	.type	_ZN7rocprim17ROCPRIM_400000_NS6detail17trampoline_kernelINS0_14default_configENS1_25partition_config_selectorILNS1_17partition_subalgoE3ExNS0_10empty_typeEbEEZZNS1_14partition_implILS5_3ELb0ES3_jN6thrust23THRUST_200600_302600_NS6detail15normal_iteratorINSA_7pointerIxNSA_11hip_rocprim3tagENSA_11use_defaultESG_EEEEPS6_SJ_NS0_5tupleIJPxSJ_EEENSK_IJSJ_SJ_EEES6_PlJ7is_evenIxEEEE10hipError_tPvRmT3_T4_T5_T6_T7_T9_mT8_P12ihipStream_tbDpT10_ENKUlT_T0_E_clISt17integral_constantIbLb1EES19_IbLb0EEEEDaS15_S16_EUlS15_E_NS1_11comp_targetILNS1_3genE8ELNS1_11target_archE1030ELNS1_3gpuE2ELNS1_3repE0EEENS1_30default_config_static_selectorELNS0_4arch9wavefront6targetE1EEEvT1_,@function
_ZN7rocprim17ROCPRIM_400000_NS6detail17trampoline_kernelINS0_14default_configENS1_25partition_config_selectorILNS1_17partition_subalgoE3ExNS0_10empty_typeEbEEZZNS1_14partition_implILS5_3ELb0ES3_jN6thrust23THRUST_200600_302600_NS6detail15normal_iteratorINSA_7pointerIxNSA_11hip_rocprim3tagENSA_11use_defaultESG_EEEEPS6_SJ_NS0_5tupleIJPxSJ_EEENSK_IJSJ_SJ_EEES6_PlJ7is_evenIxEEEE10hipError_tPvRmT3_T4_T5_T6_T7_T9_mT8_P12ihipStream_tbDpT10_ENKUlT_T0_E_clISt17integral_constantIbLb1EES19_IbLb0EEEEDaS15_S16_EUlS15_E_NS1_11comp_targetILNS1_3genE8ELNS1_11target_archE1030ELNS1_3gpuE2ELNS1_3repE0EEENS1_30default_config_static_selectorELNS0_4arch9wavefront6targetE1EEEvT1_: ; @_ZN7rocprim17ROCPRIM_400000_NS6detail17trampoline_kernelINS0_14default_configENS1_25partition_config_selectorILNS1_17partition_subalgoE3ExNS0_10empty_typeEbEEZZNS1_14partition_implILS5_3ELb0ES3_jN6thrust23THRUST_200600_302600_NS6detail15normal_iteratorINSA_7pointerIxNSA_11hip_rocprim3tagENSA_11use_defaultESG_EEEEPS6_SJ_NS0_5tupleIJPxSJ_EEENSK_IJSJ_SJ_EEES6_PlJ7is_evenIxEEEE10hipError_tPvRmT3_T4_T5_T6_T7_T9_mT8_P12ihipStream_tbDpT10_ENKUlT_T0_E_clISt17integral_constantIbLb1EES19_IbLb0EEEEDaS15_S16_EUlS15_E_NS1_11comp_targetILNS1_3genE8ELNS1_11target_archE1030ELNS1_3gpuE2ELNS1_3repE0EEENS1_30default_config_static_selectorELNS0_4arch9wavefront6targetE1EEEvT1_
; %bb.0:
	.section	.rodata,"a",@progbits
	.p2align	6, 0x0
	.amdhsa_kernel _ZN7rocprim17ROCPRIM_400000_NS6detail17trampoline_kernelINS0_14default_configENS1_25partition_config_selectorILNS1_17partition_subalgoE3ExNS0_10empty_typeEbEEZZNS1_14partition_implILS5_3ELb0ES3_jN6thrust23THRUST_200600_302600_NS6detail15normal_iteratorINSA_7pointerIxNSA_11hip_rocprim3tagENSA_11use_defaultESG_EEEEPS6_SJ_NS0_5tupleIJPxSJ_EEENSK_IJSJ_SJ_EEES6_PlJ7is_evenIxEEEE10hipError_tPvRmT3_T4_T5_T6_T7_T9_mT8_P12ihipStream_tbDpT10_ENKUlT_T0_E_clISt17integral_constantIbLb1EES19_IbLb0EEEEDaS15_S16_EUlS15_E_NS1_11comp_targetILNS1_3genE8ELNS1_11target_archE1030ELNS1_3gpuE2ELNS1_3repE0EEENS1_30default_config_static_selectorELNS0_4arch9wavefront6targetE1EEEvT1_
		.amdhsa_group_segment_fixed_size 0
		.amdhsa_private_segment_fixed_size 0
		.amdhsa_kernarg_size 120
		.amdhsa_user_sgpr_count 6
		.amdhsa_user_sgpr_private_segment_buffer 1
		.amdhsa_user_sgpr_dispatch_ptr 0
		.amdhsa_user_sgpr_queue_ptr 0
		.amdhsa_user_sgpr_kernarg_segment_ptr 1
		.amdhsa_user_sgpr_dispatch_id 0
		.amdhsa_user_sgpr_flat_scratch_init 0
		.amdhsa_user_sgpr_kernarg_preload_length 0
		.amdhsa_user_sgpr_kernarg_preload_offset 0
		.amdhsa_user_sgpr_private_segment_size 0
		.amdhsa_uses_dynamic_stack 0
		.amdhsa_system_sgpr_private_segment_wavefront_offset 0
		.amdhsa_system_sgpr_workgroup_id_x 1
		.amdhsa_system_sgpr_workgroup_id_y 0
		.amdhsa_system_sgpr_workgroup_id_z 0
		.amdhsa_system_sgpr_workgroup_info 0
		.amdhsa_system_vgpr_workitem_id 0
		.amdhsa_next_free_vgpr 1
		.amdhsa_next_free_sgpr 0
		.amdhsa_accum_offset 4
		.amdhsa_reserve_vcc 0
		.amdhsa_reserve_flat_scratch 0
		.amdhsa_float_round_mode_32 0
		.amdhsa_float_round_mode_16_64 0
		.amdhsa_float_denorm_mode_32 3
		.amdhsa_float_denorm_mode_16_64 3
		.amdhsa_dx10_clamp 1
		.amdhsa_ieee_mode 1
		.amdhsa_fp16_overflow 0
		.amdhsa_tg_split 0
		.amdhsa_exception_fp_ieee_invalid_op 0
		.amdhsa_exception_fp_denorm_src 0
		.amdhsa_exception_fp_ieee_div_zero 0
		.amdhsa_exception_fp_ieee_overflow 0
		.amdhsa_exception_fp_ieee_underflow 0
		.amdhsa_exception_fp_ieee_inexact 0
		.amdhsa_exception_int_div_zero 0
	.end_amdhsa_kernel
	.section	.text._ZN7rocprim17ROCPRIM_400000_NS6detail17trampoline_kernelINS0_14default_configENS1_25partition_config_selectorILNS1_17partition_subalgoE3ExNS0_10empty_typeEbEEZZNS1_14partition_implILS5_3ELb0ES3_jN6thrust23THRUST_200600_302600_NS6detail15normal_iteratorINSA_7pointerIxNSA_11hip_rocprim3tagENSA_11use_defaultESG_EEEEPS6_SJ_NS0_5tupleIJPxSJ_EEENSK_IJSJ_SJ_EEES6_PlJ7is_evenIxEEEE10hipError_tPvRmT3_T4_T5_T6_T7_T9_mT8_P12ihipStream_tbDpT10_ENKUlT_T0_E_clISt17integral_constantIbLb1EES19_IbLb0EEEEDaS15_S16_EUlS15_E_NS1_11comp_targetILNS1_3genE8ELNS1_11target_archE1030ELNS1_3gpuE2ELNS1_3repE0EEENS1_30default_config_static_selectorELNS0_4arch9wavefront6targetE1EEEvT1_,"axG",@progbits,_ZN7rocprim17ROCPRIM_400000_NS6detail17trampoline_kernelINS0_14default_configENS1_25partition_config_selectorILNS1_17partition_subalgoE3ExNS0_10empty_typeEbEEZZNS1_14partition_implILS5_3ELb0ES3_jN6thrust23THRUST_200600_302600_NS6detail15normal_iteratorINSA_7pointerIxNSA_11hip_rocprim3tagENSA_11use_defaultESG_EEEEPS6_SJ_NS0_5tupleIJPxSJ_EEENSK_IJSJ_SJ_EEES6_PlJ7is_evenIxEEEE10hipError_tPvRmT3_T4_T5_T6_T7_T9_mT8_P12ihipStream_tbDpT10_ENKUlT_T0_E_clISt17integral_constantIbLb1EES19_IbLb0EEEEDaS15_S16_EUlS15_E_NS1_11comp_targetILNS1_3genE8ELNS1_11target_archE1030ELNS1_3gpuE2ELNS1_3repE0EEENS1_30default_config_static_selectorELNS0_4arch9wavefront6targetE1EEEvT1_,comdat
.Lfunc_end38:
	.size	_ZN7rocprim17ROCPRIM_400000_NS6detail17trampoline_kernelINS0_14default_configENS1_25partition_config_selectorILNS1_17partition_subalgoE3ExNS0_10empty_typeEbEEZZNS1_14partition_implILS5_3ELb0ES3_jN6thrust23THRUST_200600_302600_NS6detail15normal_iteratorINSA_7pointerIxNSA_11hip_rocprim3tagENSA_11use_defaultESG_EEEEPS6_SJ_NS0_5tupleIJPxSJ_EEENSK_IJSJ_SJ_EEES6_PlJ7is_evenIxEEEE10hipError_tPvRmT3_T4_T5_T6_T7_T9_mT8_P12ihipStream_tbDpT10_ENKUlT_T0_E_clISt17integral_constantIbLb1EES19_IbLb0EEEEDaS15_S16_EUlS15_E_NS1_11comp_targetILNS1_3genE8ELNS1_11target_archE1030ELNS1_3gpuE2ELNS1_3repE0EEENS1_30default_config_static_selectorELNS0_4arch9wavefront6targetE1EEEvT1_, .Lfunc_end38-_ZN7rocprim17ROCPRIM_400000_NS6detail17trampoline_kernelINS0_14default_configENS1_25partition_config_selectorILNS1_17partition_subalgoE3ExNS0_10empty_typeEbEEZZNS1_14partition_implILS5_3ELb0ES3_jN6thrust23THRUST_200600_302600_NS6detail15normal_iteratorINSA_7pointerIxNSA_11hip_rocprim3tagENSA_11use_defaultESG_EEEEPS6_SJ_NS0_5tupleIJPxSJ_EEENSK_IJSJ_SJ_EEES6_PlJ7is_evenIxEEEE10hipError_tPvRmT3_T4_T5_T6_T7_T9_mT8_P12ihipStream_tbDpT10_ENKUlT_T0_E_clISt17integral_constantIbLb1EES19_IbLb0EEEEDaS15_S16_EUlS15_E_NS1_11comp_targetILNS1_3genE8ELNS1_11target_archE1030ELNS1_3gpuE2ELNS1_3repE0EEENS1_30default_config_static_selectorELNS0_4arch9wavefront6targetE1EEEvT1_
                                        ; -- End function
	.section	.AMDGPU.csdata,"",@progbits
; Kernel info:
; codeLenInByte = 0
; NumSgprs: 4
; NumVgprs: 0
; NumAgprs: 0
; TotalNumVgprs: 0
; ScratchSize: 0
; MemoryBound: 0
; FloatMode: 240
; IeeeMode: 1
; LDSByteSize: 0 bytes/workgroup (compile time only)
; SGPRBlocks: 0
; VGPRBlocks: 0
; NumSGPRsForWavesPerEU: 4
; NumVGPRsForWavesPerEU: 1
; AccumOffset: 4
; Occupancy: 8
; WaveLimiterHint : 0
; COMPUTE_PGM_RSRC2:SCRATCH_EN: 0
; COMPUTE_PGM_RSRC2:USER_SGPR: 6
; COMPUTE_PGM_RSRC2:TRAP_HANDLER: 0
; COMPUTE_PGM_RSRC2:TGID_X_EN: 1
; COMPUTE_PGM_RSRC2:TGID_Y_EN: 0
; COMPUTE_PGM_RSRC2:TGID_Z_EN: 0
; COMPUTE_PGM_RSRC2:TIDIG_COMP_CNT: 0
; COMPUTE_PGM_RSRC3_GFX90A:ACCUM_OFFSET: 0
; COMPUTE_PGM_RSRC3_GFX90A:TG_SPLIT: 0
	.section	.text._ZN7rocprim17ROCPRIM_400000_NS6detail31init_lookback_scan_state_kernelINS1_19lookback_scan_stateIjLb0ELb1EEENS1_16block_id_wrapperIjLb1EEEEEvT_jT0_jPNS7_10value_typeE,"axG",@progbits,_ZN7rocprim17ROCPRIM_400000_NS6detail31init_lookback_scan_state_kernelINS1_19lookback_scan_stateIjLb0ELb1EEENS1_16block_id_wrapperIjLb1EEEEEvT_jT0_jPNS7_10value_typeE,comdat
	.protected	_ZN7rocprim17ROCPRIM_400000_NS6detail31init_lookback_scan_state_kernelINS1_19lookback_scan_stateIjLb0ELb1EEENS1_16block_id_wrapperIjLb1EEEEEvT_jT0_jPNS7_10value_typeE ; -- Begin function _ZN7rocprim17ROCPRIM_400000_NS6detail31init_lookback_scan_state_kernelINS1_19lookback_scan_stateIjLb0ELb1EEENS1_16block_id_wrapperIjLb1EEEEEvT_jT0_jPNS7_10value_typeE
	.globl	_ZN7rocprim17ROCPRIM_400000_NS6detail31init_lookback_scan_state_kernelINS1_19lookback_scan_stateIjLb0ELb1EEENS1_16block_id_wrapperIjLb1EEEEEvT_jT0_jPNS7_10value_typeE
	.p2align	8
	.type	_ZN7rocprim17ROCPRIM_400000_NS6detail31init_lookback_scan_state_kernelINS1_19lookback_scan_stateIjLb0ELb1EEENS1_16block_id_wrapperIjLb1EEEEEvT_jT0_jPNS7_10value_typeE,@function
_ZN7rocprim17ROCPRIM_400000_NS6detail31init_lookback_scan_state_kernelINS1_19lookback_scan_stateIjLb0ELb1EEENS1_16block_id_wrapperIjLb1EEEEEvT_jT0_jPNS7_10value_typeE: ; @_ZN7rocprim17ROCPRIM_400000_NS6detail31init_lookback_scan_state_kernelINS1_19lookback_scan_stateIjLb0ELb1EEENS1_16block_id_wrapperIjLb1EEEEEvT_jT0_jPNS7_10value_typeE
; %bb.0:
	s_load_dword s7, s[4:5], 0x34
	s_load_dwordx2 s[2:3], s[4:5], 0x20
	s_load_dwordx2 s[0:1], s[4:5], 0x0
	s_load_dword s10, s[4:5], 0x8
	s_waitcnt lgkmcnt(0)
	s_and_b32 s7, s7, 0xffff
	s_mul_i32 s6, s6, s7
	s_cmp_eq_u64 s[2:3], 0
	v_add_u32_e32 v0, s6, v0
	s_cbranch_scc1 .LBB39_6
; %bb.1:
	s_load_dword s8, s[4:5], 0x18
	s_mov_b32 s9, 0
	s_waitcnt lgkmcnt(0)
	s_cmp_lt_u32 s8, s10
	s_cselect_b32 s6, s8, 0
	v_cmp_eq_u32_e32 vcc, s6, v0
	s_and_saveexec_b64 s[6:7], vcc
	s_cbranch_execz .LBB39_5
; %bb.2:
	s_add_i32 s8, s8, 64
	s_lshl_b64 s[8:9], s[8:9], 3
	s_add_u32 s8, s0, s8
	s_addc_u32 s9, s1, s9
	v_mov_b32_e32 v4, 0
	global_load_dwordx2 v[2:3], v4, s[8:9] glc
	s_waitcnt vmcnt(0)
	v_and_b32_e32 v5, 0xff, v3
	v_cmp_ne_u64_e32 vcc, 0, v[4:5]
	s_cbranch_vccnz .LBB39_4
.LBB39_3:                               ; =>This Inner Loop Header: Depth=1
	global_load_dwordx2 v[2:3], v4, s[8:9] glc
	s_waitcnt vmcnt(0)
	v_and_b32_e32 v5, 0xff, v3
	v_cmp_eq_u64_e32 vcc, 0, v[4:5]
	s_cbranch_vccnz .LBB39_3
.LBB39_4:
	v_mov_b32_e32 v1, 0
	global_store_dword v1, v2, s[2:3]
.LBB39_5:
	s_or_b64 exec, exec, s[6:7]
.LBB39_6:
	v_cmp_eq_u32_e32 vcc, 0, v0
	s_and_saveexec_b64 s[2:3], vcc
	s_cbranch_execnz .LBB39_10
; %bb.7:
	s_or_b64 exec, exec, s[2:3]
	v_cmp_gt_u32_e32 vcc, s10, v0
	s_and_saveexec_b64 s[2:3], vcc
	s_cbranch_execnz .LBB39_11
.LBB39_8:
	s_or_b64 exec, exec, s[2:3]
	v_cmp_gt_u32_e32 vcc, 64, v0
	s_and_saveexec_b64 s[2:3], vcc
	s_cbranch_execnz .LBB39_12
.LBB39_9:
	s_endpgm
.LBB39_10:
	s_load_dwordx2 s[4:5], s[4:5], 0x10
	v_mov_b32_e32 v1, 0
	s_waitcnt lgkmcnt(0)
	global_store_dword v1, v1, s[4:5]
	s_or_b64 exec, exec, s[2:3]
	v_cmp_gt_u32_e32 vcc, s10, v0
	s_and_saveexec_b64 s[2:3], vcc
	s_cbranch_execz .LBB39_8
.LBB39_11:
	v_add_u32_e32 v2, 64, v0
	v_mov_b32_e32 v3, 0
	v_lshlrev_b64 v[4:5], 3, v[2:3]
	v_mov_b32_e32 v1, s1
	v_add_co_u32_e32 v4, vcc, s0, v4
	v_addc_co_u32_e32 v5, vcc, v1, v5, vcc
	v_mov_b32_e32 v2, v3
	global_store_dwordx2 v[4:5], v[2:3], off
	s_or_b64 exec, exec, s[2:3]
	v_cmp_gt_u32_e32 vcc, 64, v0
	s_and_saveexec_b64 s[2:3], vcc
	s_cbranch_execz .LBB39_9
.LBB39_12:
	v_mov_b32_e32 v1, 0
	v_lshlrev_b64 v[2:3], 3, v[0:1]
	v_mov_b32_e32 v0, s1
	v_add_co_u32_e32 v2, vcc, s0, v2
	v_addc_co_u32_e32 v3, vcc, v0, v3, vcc
	v_mov_b32_e32 v5, 0xff
	v_mov_b32_e32 v4, v1
	global_store_dwordx2 v[2:3], v[4:5], off
	s_endpgm
	.section	.rodata,"a",@progbits
	.p2align	6, 0x0
	.amdhsa_kernel _ZN7rocprim17ROCPRIM_400000_NS6detail31init_lookback_scan_state_kernelINS1_19lookback_scan_stateIjLb0ELb1EEENS1_16block_id_wrapperIjLb1EEEEEvT_jT0_jPNS7_10value_typeE
		.amdhsa_group_segment_fixed_size 0
		.amdhsa_private_segment_fixed_size 0
		.amdhsa_kernarg_size 296
		.amdhsa_user_sgpr_count 6
		.amdhsa_user_sgpr_private_segment_buffer 1
		.amdhsa_user_sgpr_dispatch_ptr 0
		.amdhsa_user_sgpr_queue_ptr 0
		.amdhsa_user_sgpr_kernarg_segment_ptr 1
		.amdhsa_user_sgpr_dispatch_id 0
		.amdhsa_user_sgpr_flat_scratch_init 0
		.amdhsa_user_sgpr_kernarg_preload_length 0
		.amdhsa_user_sgpr_kernarg_preload_offset 0
		.amdhsa_user_sgpr_private_segment_size 0
		.amdhsa_uses_dynamic_stack 0
		.amdhsa_system_sgpr_private_segment_wavefront_offset 0
		.amdhsa_system_sgpr_workgroup_id_x 1
		.amdhsa_system_sgpr_workgroup_id_y 0
		.amdhsa_system_sgpr_workgroup_id_z 0
		.amdhsa_system_sgpr_workgroup_info 0
		.amdhsa_system_vgpr_workitem_id 0
		.amdhsa_next_free_vgpr 6
		.amdhsa_next_free_sgpr 11
		.amdhsa_accum_offset 8
		.amdhsa_reserve_vcc 1
		.amdhsa_reserve_flat_scratch 0
		.amdhsa_float_round_mode_32 0
		.amdhsa_float_round_mode_16_64 0
		.amdhsa_float_denorm_mode_32 3
		.amdhsa_float_denorm_mode_16_64 3
		.amdhsa_dx10_clamp 1
		.amdhsa_ieee_mode 1
		.amdhsa_fp16_overflow 0
		.amdhsa_tg_split 0
		.amdhsa_exception_fp_ieee_invalid_op 0
		.amdhsa_exception_fp_denorm_src 0
		.amdhsa_exception_fp_ieee_div_zero 0
		.amdhsa_exception_fp_ieee_overflow 0
		.amdhsa_exception_fp_ieee_underflow 0
		.amdhsa_exception_fp_ieee_inexact 0
		.amdhsa_exception_int_div_zero 0
	.end_amdhsa_kernel
	.section	.text._ZN7rocprim17ROCPRIM_400000_NS6detail31init_lookback_scan_state_kernelINS1_19lookback_scan_stateIjLb0ELb1EEENS1_16block_id_wrapperIjLb1EEEEEvT_jT0_jPNS7_10value_typeE,"axG",@progbits,_ZN7rocprim17ROCPRIM_400000_NS6detail31init_lookback_scan_state_kernelINS1_19lookback_scan_stateIjLb0ELb1EEENS1_16block_id_wrapperIjLb1EEEEEvT_jT0_jPNS7_10value_typeE,comdat
.Lfunc_end39:
	.size	_ZN7rocprim17ROCPRIM_400000_NS6detail31init_lookback_scan_state_kernelINS1_19lookback_scan_stateIjLb0ELb1EEENS1_16block_id_wrapperIjLb1EEEEEvT_jT0_jPNS7_10value_typeE, .Lfunc_end39-_ZN7rocprim17ROCPRIM_400000_NS6detail31init_lookback_scan_state_kernelINS1_19lookback_scan_stateIjLb0ELb1EEENS1_16block_id_wrapperIjLb1EEEEEvT_jT0_jPNS7_10value_typeE
                                        ; -- End function
	.section	.AMDGPU.csdata,"",@progbits
; Kernel info:
; codeLenInByte = 380
; NumSgprs: 15
; NumVgprs: 6
; NumAgprs: 0
; TotalNumVgprs: 6
; ScratchSize: 0
; MemoryBound: 0
; FloatMode: 240
; IeeeMode: 1
; LDSByteSize: 0 bytes/workgroup (compile time only)
; SGPRBlocks: 1
; VGPRBlocks: 0
; NumSGPRsForWavesPerEU: 15
; NumVGPRsForWavesPerEU: 6
; AccumOffset: 8
; Occupancy: 8
; WaveLimiterHint : 0
; COMPUTE_PGM_RSRC2:SCRATCH_EN: 0
; COMPUTE_PGM_RSRC2:USER_SGPR: 6
; COMPUTE_PGM_RSRC2:TRAP_HANDLER: 0
; COMPUTE_PGM_RSRC2:TGID_X_EN: 1
; COMPUTE_PGM_RSRC2:TGID_Y_EN: 0
; COMPUTE_PGM_RSRC2:TGID_Z_EN: 0
; COMPUTE_PGM_RSRC2:TIDIG_COMP_CNT: 0
; COMPUTE_PGM_RSRC3_GFX90A:ACCUM_OFFSET: 1
; COMPUTE_PGM_RSRC3_GFX90A:TG_SPLIT: 0
	.section	.text._ZN7rocprim17ROCPRIM_400000_NS6detail17trampoline_kernelINS0_14default_configENS1_25partition_config_selectorILNS1_17partition_subalgoE3ExNS0_10empty_typeEbEEZZNS1_14partition_implILS5_3ELb0ES3_jN6thrust23THRUST_200600_302600_NS6detail15normal_iteratorINSA_7pointerIxNSA_11hip_rocprim3tagENSA_11use_defaultESG_EEEEPS6_SJ_NS0_5tupleIJPxSJ_EEENSK_IJSJ_SJ_EEES6_PlJ7is_evenIxEEEE10hipError_tPvRmT3_T4_T5_T6_T7_T9_mT8_P12ihipStream_tbDpT10_ENKUlT_T0_E_clISt17integral_constantIbLb0EES19_IbLb1EEEEDaS15_S16_EUlS15_E_NS1_11comp_targetILNS1_3genE0ELNS1_11target_archE4294967295ELNS1_3gpuE0ELNS1_3repE0EEENS1_30default_config_static_selectorELNS0_4arch9wavefront6targetE1EEEvT1_,"axG",@progbits,_ZN7rocprim17ROCPRIM_400000_NS6detail17trampoline_kernelINS0_14default_configENS1_25partition_config_selectorILNS1_17partition_subalgoE3ExNS0_10empty_typeEbEEZZNS1_14partition_implILS5_3ELb0ES3_jN6thrust23THRUST_200600_302600_NS6detail15normal_iteratorINSA_7pointerIxNSA_11hip_rocprim3tagENSA_11use_defaultESG_EEEEPS6_SJ_NS0_5tupleIJPxSJ_EEENSK_IJSJ_SJ_EEES6_PlJ7is_evenIxEEEE10hipError_tPvRmT3_T4_T5_T6_T7_T9_mT8_P12ihipStream_tbDpT10_ENKUlT_T0_E_clISt17integral_constantIbLb0EES19_IbLb1EEEEDaS15_S16_EUlS15_E_NS1_11comp_targetILNS1_3genE0ELNS1_11target_archE4294967295ELNS1_3gpuE0ELNS1_3repE0EEENS1_30default_config_static_selectorELNS0_4arch9wavefront6targetE1EEEvT1_,comdat
	.protected	_ZN7rocprim17ROCPRIM_400000_NS6detail17trampoline_kernelINS0_14default_configENS1_25partition_config_selectorILNS1_17partition_subalgoE3ExNS0_10empty_typeEbEEZZNS1_14partition_implILS5_3ELb0ES3_jN6thrust23THRUST_200600_302600_NS6detail15normal_iteratorINSA_7pointerIxNSA_11hip_rocprim3tagENSA_11use_defaultESG_EEEEPS6_SJ_NS0_5tupleIJPxSJ_EEENSK_IJSJ_SJ_EEES6_PlJ7is_evenIxEEEE10hipError_tPvRmT3_T4_T5_T6_T7_T9_mT8_P12ihipStream_tbDpT10_ENKUlT_T0_E_clISt17integral_constantIbLb0EES19_IbLb1EEEEDaS15_S16_EUlS15_E_NS1_11comp_targetILNS1_3genE0ELNS1_11target_archE4294967295ELNS1_3gpuE0ELNS1_3repE0EEENS1_30default_config_static_selectorELNS0_4arch9wavefront6targetE1EEEvT1_ ; -- Begin function _ZN7rocprim17ROCPRIM_400000_NS6detail17trampoline_kernelINS0_14default_configENS1_25partition_config_selectorILNS1_17partition_subalgoE3ExNS0_10empty_typeEbEEZZNS1_14partition_implILS5_3ELb0ES3_jN6thrust23THRUST_200600_302600_NS6detail15normal_iteratorINSA_7pointerIxNSA_11hip_rocprim3tagENSA_11use_defaultESG_EEEEPS6_SJ_NS0_5tupleIJPxSJ_EEENSK_IJSJ_SJ_EEES6_PlJ7is_evenIxEEEE10hipError_tPvRmT3_T4_T5_T6_T7_T9_mT8_P12ihipStream_tbDpT10_ENKUlT_T0_E_clISt17integral_constantIbLb0EES19_IbLb1EEEEDaS15_S16_EUlS15_E_NS1_11comp_targetILNS1_3genE0ELNS1_11target_archE4294967295ELNS1_3gpuE0ELNS1_3repE0EEENS1_30default_config_static_selectorELNS0_4arch9wavefront6targetE1EEEvT1_
	.globl	_ZN7rocprim17ROCPRIM_400000_NS6detail17trampoline_kernelINS0_14default_configENS1_25partition_config_selectorILNS1_17partition_subalgoE3ExNS0_10empty_typeEbEEZZNS1_14partition_implILS5_3ELb0ES3_jN6thrust23THRUST_200600_302600_NS6detail15normal_iteratorINSA_7pointerIxNSA_11hip_rocprim3tagENSA_11use_defaultESG_EEEEPS6_SJ_NS0_5tupleIJPxSJ_EEENSK_IJSJ_SJ_EEES6_PlJ7is_evenIxEEEE10hipError_tPvRmT3_T4_T5_T6_T7_T9_mT8_P12ihipStream_tbDpT10_ENKUlT_T0_E_clISt17integral_constantIbLb0EES19_IbLb1EEEEDaS15_S16_EUlS15_E_NS1_11comp_targetILNS1_3genE0ELNS1_11target_archE4294967295ELNS1_3gpuE0ELNS1_3repE0EEENS1_30default_config_static_selectorELNS0_4arch9wavefront6targetE1EEEvT1_
	.p2align	8
	.type	_ZN7rocprim17ROCPRIM_400000_NS6detail17trampoline_kernelINS0_14default_configENS1_25partition_config_selectorILNS1_17partition_subalgoE3ExNS0_10empty_typeEbEEZZNS1_14partition_implILS5_3ELb0ES3_jN6thrust23THRUST_200600_302600_NS6detail15normal_iteratorINSA_7pointerIxNSA_11hip_rocprim3tagENSA_11use_defaultESG_EEEEPS6_SJ_NS0_5tupleIJPxSJ_EEENSK_IJSJ_SJ_EEES6_PlJ7is_evenIxEEEE10hipError_tPvRmT3_T4_T5_T6_T7_T9_mT8_P12ihipStream_tbDpT10_ENKUlT_T0_E_clISt17integral_constantIbLb0EES19_IbLb1EEEEDaS15_S16_EUlS15_E_NS1_11comp_targetILNS1_3genE0ELNS1_11target_archE4294967295ELNS1_3gpuE0ELNS1_3repE0EEENS1_30default_config_static_selectorELNS0_4arch9wavefront6targetE1EEEvT1_,@function
_ZN7rocprim17ROCPRIM_400000_NS6detail17trampoline_kernelINS0_14default_configENS1_25partition_config_selectorILNS1_17partition_subalgoE3ExNS0_10empty_typeEbEEZZNS1_14partition_implILS5_3ELb0ES3_jN6thrust23THRUST_200600_302600_NS6detail15normal_iteratorINSA_7pointerIxNSA_11hip_rocprim3tagENSA_11use_defaultESG_EEEEPS6_SJ_NS0_5tupleIJPxSJ_EEENSK_IJSJ_SJ_EEES6_PlJ7is_evenIxEEEE10hipError_tPvRmT3_T4_T5_T6_T7_T9_mT8_P12ihipStream_tbDpT10_ENKUlT_T0_E_clISt17integral_constantIbLb0EES19_IbLb1EEEEDaS15_S16_EUlS15_E_NS1_11comp_targetILNS1_3genE0ELNS1_11target_archE4294967295ELNS1_3gpuE0ELNS1_3repE0EEENS1_30default_config_static_selectorELNS0_4arch9wavefront6targetE1EEEvT1_: ; @_ZN7rocprim17ROCPRIM_400000_NS6detail17trampoline_kernelINS0_14default_configENS1_25partition_config_selectorILNS1_17partition_subalgoE3ExNS0_10empty_typeEbEEZZNS1_14partition_implILS5_3ELb0ES3_jN6thrust23THRUST_200600_302600_NS6detail15normal_iteratorINSA_7pointerIxNSA_11hip_rocprim3tagENSA_11use_defaultESG_EEEEPS6_SJ_NS0_5tupleIJPxSJ_EEENSK_IJSJ_SJ_EEES6_PlJ7is_evenIxEEEE10hipError_tPvRmT3_T4_T5_T6_T7_T9_mT8_P12ihipStream_tbDpT10_ENKUlT_T0_E_clISt17integral_constantIbLb0EES19_IbLb1EEEEDaS15_S16_EUlS15_E_NS1_11comp_targetILNS1_3genE0ELNS1_11target_archE4294967295ELNS1_3gpuE0ELNS1_3repE0EEENS1_30default_config_static_selectorELNS0_4arch9wavefront6targetE1EEEvT1_
; %bb.0:
	.section	.rodata,"a",@progbits
	.p2align	6, 0x0
	.amdhsa_kernel _ZN7rocprim17ROCPRIM_400000_NS6detail17trampoline_kernelINS0_14default_configENS1_25partition_config_selectorILNS1_17partition_subalgoE3ExNS0_10empty_typeEbEEZZNS1_14partition_implILS5_3ELb0ES3_jN6thrust23THRUST_200600_302600_NS6detail15normal_iteratorINSA_7pointerIxNSA_11hip_rocprim3tagENSA_11use_defaultESG_EEEEPS6_SJ_NS0_5tupleIJPxSJ_EEENSK_IJSJ_SJ_EEES6_PlJ7is_evenIxEEEE10hipError_tPvRmT3_T4_T5_T6_T7_T9_mT8_P12ihipStream_tbDpT10_ENKUlT_T0_E_clISt17integral_constantIbLb0EES19_IbLb1EEEEDaS15_S16_EUlS15_E_NS1_11comp_targetILNS1_3genE0ELNS1_11target_archE4294967295ELNS1_3gpuE0ELNS1_3repE0EEENS1_30default_config_static_selectorELNS0_4arch9wavefront6targetE1EEEvT1_
		.amdhsa_group_segment_fixed_size 0
		.amdhsa_private_segment_fixed_size 0
		.amdhsa_kernarg_size 136
		.amdhsa_user_sgpr_count 6
		.amdhsa_user_sgpr_private_segment_buffer 1
		.amdhsa_user_sgpr_dispatch_ptr 0
		.amdhsa_user_sgpr_queue_ptr 0
		.amdhsa_user_sgpr_kernarg_segment_ptr 1
		.amdhsa_user_sgpr_dispatch_id 0
		.amdhsa_user_sgpr_flat_scratch_init 0
		.amdhsa_user_sgpr_kernarg_preload_length 0
		.amdhsa_user_sgpr_kernarg_preload_offset 0
		.amdhsa_user_sgpr_private_segment_size 0
		.amdhsa_uses_dynamic_stack 0
		.amdhsa_system_sgpr_private_segment_wavefront_offset 0
		.amdhsa_system_sgpr_workgroup_id_x 1
		.amdhsa_system_sgpr_workgroup_id_y 0
		.amdhsa_system_sgpr_workgroup_id_z 0
		.amdhsa_system_sgpr_workgroup_info 0
		.amdhsa_system_vgpr_workitem_id 0
		.amdhsa_next_free_vgpr 1
		.amdhsa_next_free_sgpr 0
		.amdhsa_accum_offset 4
		.amdhsa_reserve_vcc 0
		.amdhsa_reserve_flat_scratch 0
		.amdhsa_float_round_mode_32 0
		.amdhsa_float_round_mode_16_64 0
		.amdhsa_float_denorm_mode_32 3
		.amdhsa_float_denorm_mode_16_64 3
		.amdhsa_dx10_clamp 1
		.amdhsa_ieee_mode 1
		.amdhsa_fp16_overflow 0
		.amdhsa_tg_split 0
		.amdhsa_exception_fp_ieee_invalid_op 0
		.amdhsa_exception_fp_denorm_src 0
		.amdhsa_exception_fp_ieee_div_zero 0
		.amdhsa_exception_fp_ieee_overflow 0
		.amdhsa_exception_fp_ieee_underflow 0
		.amdhsa_exception_fp_ieee_inexact 0
		.amdhsa_exception_int_div_zero 0
	.end_amdhsa_kernel
	.section	.text._ZN7rocprim17ROCPRIM_400000_NS6detail17trampoline_kernelINS0_14default_configENS1_25partition_config_selectorILNS1_17partition_subalgoE3ExNS0_10empty_typeEbEEZZNS1_14partition_implILS5_3ELb0ES3_jN6thrust23THRUST_200600_302600_NS6detail15normal_iteratorINSA_7pointerIxNSA_11hip_rocprim3tagENSA_11use_defaultESG_EEEEPS6_SJ_NS0_5tupleIJPxSJ_EEENSK_IJSJ_SJ_EEES6_PlJ7is_evenIxEEEE10hipError_tPvRmT3_T4_T5_T6_T7_T9_mT8_P12ihipStream_tbDpT10_ENKUlT_T0_E_clISt17integral_constantIbLb0EES19_IbLb1EEEEDaS15_S16_EUlS15_E_NS1_11comp_targetILNS1_3genE0ELNS1_11target_archE4294967295ELNS1_3gpuE0ELNS1_3repE0EEENS1_30default_config_static_selectorELNS0_4arch9wavefront6targetE1EEEvT1_,"axG",@progbits,_ZN7rocprim17ROCPRIM_400000_NS6detail17trampoline_kernelINS0_14default_configENS1_25partition_config_selectorILNS1_17partition_subalgoE3ExNS0_10empty_typeEbEEZZNS1_14partition_implILS5_3ELb0ES3_jN6thrust23THRUST_200600_302600_NS6detail15normal_iteratorINSA_7pointerIxNSA_11hip_rocprim3tagENSA_11use_defaultESG_EEEEPS6_SJ_NS0_5tupleIJPxSJ_EEENSK_IJSJ_SJ_EEES6_PlJ7is_evenIxEEEE10hipError_tPvRmT3_T4_T5_T6_T7_T9_mT8_P12ihipStream_tbDpT10_ENKUlT_T0_E_clISt17integral_constantIbLb0EES19_IbLb1EEEEDaS15_S16_EUlS15_E_NS1_11comp_targetILNS1_3genE0ELNS1_11target_archE4294967295ELNS1_3gpuE0ELNS1_3repE0EEENS1_30default_config_static_selectorELNS0_4arch9wavefront6targetE1EEEvT1_,comdat
.Lfunc_end40:
	.size	_ZN7rocprim17ROCPRIM_400000_NS6detail17trampoline_kernelINS0_14default_configENS1_25partition_config_selectorILNS1_17partition_subalgoE3ExNS0_10empty_typeEbEEZZNS1_14partition_implILS5_3ELb0ES3_jN6thrust23THRUST_200600_302600_NS6detail15normal_iteratorINSA_7pointerIxNSA_11hip_rocprim3tagENSA_11use_defaultESG_EEEEPS6_SJ_NS0_5tupleIJPxSJ_EEENSK_IJSJ_SJ_EEES6_PlJ7is_evenIxEEEE10hipError_tPvRmT3_T4_T5_T6_T7_T9_mT8_P12ihipStream_tbDpT10_ENKUlT_T0_E_clISt17integral_constantIbLb0EES19_IbLb1EEEEDaS15_S16_EUlS15_E_NS1_11comp_targetILNS1_3genE0ELNS1_11target_archE4294967295ELNS1_3gpuE0ELNS1_3repE0EEENS1_30default_config_static_selectorELNS0_4arch9wavefront6targetE1EEEvT1_, .Lfunc_end40-_ZN7rocprim17ROCPRIM_400000_NS6detail17trampoline_kernelINS0_14default_configENS1_25partition_config_selectorILNS1_17partition_subalgoE3ExNS0_10empty_typeEbEEZZNS1_14partition_implILS5_3ELb0ES3_jN6thrust23THRUST_200600_302600_NS6detail15normal_iteratorINSA_7pointerIxNSA_11hip_rocprim3tagENSA_11use_defaultESG_EEEEPS6_SJ_NS0_5tupleIJPxSJ_EEENSK_IJSJ_SJ_EEES6_PlJ7is_evenIxEEEE10hipError_tPvRmT3_T4_T5_T6_T7_T9_mT8_P12ihipStream_tbDpT10_ENKUlT_T0_E_clISt17integral_constantIbLb0EES19_IbLb1EEEEDaS15_S16_EUlS15_E_NS1_11comp_targetILNS1_3genE0ELNS1_11target_archE4294967295ELNS1_3gpuE0ELNS1_3repE0EEENS1_30default_config_static_selectorELNS0_4arch9wavefront6targetE1EEEvT1_
                                        ; -- End function
	.section	.AMDGPU.csdata,"",@progbits
; Kernel info:
; codeLenInByte = 0
; NumSgprs: 4
; NumVgprs: 0
; NumAgprs: 0
; TotalNumVgprs: 0
; ScratchSize: 0
; MemoryBound: 0
; FloatMode: 240
; IeeeMode: 1
; LDSByteSize: 0 bytes/workgroup (compile time only)
; SGPRBlocks: 0
; VGPRBlocks: 0
; NumSGPRsForWavesPerEU: 4
; NumVGPRsForWavesPerEU: 1
; AccumOffset: 4
; Occupancy: 8
; WaveLimiterHint : 0
; COMPUTE_PGM_RSRC2:SCRATCH_EN: 0
; COMPUTE_PGM_RSRC2:USER_SGPR: 6
; COMPUTE_PGM_RSRC2:TRAP_HANDLER: 0
; COMPUTE_PGM_RSRC2:TGID_X_EN: 1
; COMPUTE_PGM_RSRC2:TGID_Y_EN: 0
; COMPUTE_PGM_RSRC2:TGID_Z_EN: 0
; COMPUTE_PGM_RSRC2:TIDIG_COMP_CNT: 0
; COMPUTE_PGM_RSRC3_GFX90A:ACCUM_OFFSET: 0
; COMPUTE_PGM_RSRC3_GFX90A:TG_SPLIT: 0
	.section	.text._ZN7rocprim17ROCPRIM_400000_NS6detail17trampoline_kernelINS0_14default_configENS1_25partition_config_selectorILNS1_17partition_subalgoE3ExNS0_10empty_typeEbEEZZNS1_14partition_implILS5_3ELb0ES3_jN6thrust23THRUST_200600_302600_NS6detail15normal_iteratorINSA_7pointerIxNSA_11hip_rocprim3tagENSA_11use_defaultESG_EEEEPS6_SJ_NS0_5tupleIJPxSJ_EEENSK_IJSJ_SJ_EEES6_PlJ7is_evenIxEEEE10hipError_tPvRmT3_T4_T5_T6_T7_T9_mT8_P12ihipStream_tbDpT10_ENKUlT_T0_E_clISt17integral_constantIbLb0EES19_IbLb1EEEEDaS15_S16_EUlS15_E_NS1_11comp_targetILNS1_3genE5ELNS1_11target_archE942ELNS1_3gpuE9ELNS1_3repE0EEENS1_30default_config_static_selectorELNS0_4arch9wavefront6targetE1EEEvT1_,"axG",@progbits,_ZN7rocprim17ROCPRIM_400000_NS6detail17trampoline_kernelINS0_14default_configENS1_25partition_config_selectorILNS1_17partition_subalgoE3ExNS0_10empty_typeEbEEZZNS1_14partition_implILS5_3ELb0ES3_jN6thrust23THRUST_200600_302600_NS6detail15normal_iteratorINSA_7pointerIxNSA_11hip_rocprim3tagENSA_11use_defaultESG_EEEEPS6_SJ_NS0_5tupleIJPxSJ_EEENSK_IJSJ_SJ_EEES6_PlJ7is_evenIxEEEE10hipError_tPvRmT3_T4_T5_T6_T7_T9_mT8_P12ihipStream_tbDpT10_ENKUlT_T0_E_clISt17integral_constantIbLb0EES19_IbLb1EEEEDaS15_S16_EUlS15_E_NS1_11comp_targetILNS1_3genE5ELNS1_11target_archE942ELNS1_3gpuE9ELNS1_3repE0EEENS1_30default_config_static_selectorELNS0_4arch9wavefront6targetE1EEEvT1_,comdat
	.protected	_ZN7rocprim17ROCPRIM_400000_NS6detail17trampoline_kernelINS0_14default_configENS1_25partition_config_selectorILNS1_17partition_subalgoE3ExNS0_10empty_typeEbEEZZNS1_14partition_implILS5_3ELb0ES3_jN6thrust23THRUST_200600_302600_NS6detail15normal_iteratorINSA_7pointerIxNSA_11hip_rocprim3tagENSA_11use_defaultESG_EEEEPS6_SJ_NS0_5tupleIJPxSJ_EEENSK_IJSJ_SJ_EEES6_PlJ7is_evenIxEEEE10hipError_tPvRmT3_T4_T5_T6_T7_T9_mT8_P12ihipStream_tbDpT10_ENKUlT_T0_E_clISt17integral_constantIbLb0EES19_IbLb1EEEEDaS15_S16_EUlS15_E_NS1_11comp_targetILNS1_3genE5ELNS1_11target_archE942ELNS1_3gpuE9ELNS1_3repE0EEENS1_30default_config_static_selectorELNS0_4arch9wavefront6targetE1EEEvT1_ ; -- Begin function _ZN7rocprim17ROCPRIM_400000_NS6detail17trampoline_kernelINS0_14default_configENS1_25partition_config_selectorILNS1_17partition_subalgoE3ExNS0_10empty_typeEbEEZZNS1_14partition_implILS5_3ELb0ES3_jN6thrust23THRUST_200600_302600_NS6detail15normal_iteratorINSA_7pointerIxNSA_11hip_rocprim3tagENSA_11use_defaultESG_EEEEPS6_SJ_NS0_5tupleIJPxSJ_EEENSK_IJSJ_SJ_EEES6_PlJ7is_evenIxEEEE10hipError_tPvRmT3_T4_T5_T6_T7_T9_mT8_P12ihipStream_tbDpT10_ENKUlT_T0_E_clISt17integral_constantIbLb0EES19_IbLb1EEEEDaS15_S16_EUlS15_E_NS1_11comp_targetILNS1_3genE5ELNS1_11target_archE942ELNS1_3gpuE9ELNS1_3repE0EEENS1_30default_config_static_selectorELNS0_4arch9wavefront6targetE1EEEvT1_
	.globl	_ZN7rocprim17ROCPRIM_400000_NS6detail17trampoline_kernelINS0_14default_configENS1_25partition_config_selectorILNS1_17partition_subalgoE3ExNS0_10empty_typeEbEEZZNS1_14partition_implILS5_3ELb0ES3_jN6thrust23THRUST_200600_302600_NS6detail15normal_iteratorINSA_7pointerIxNSA_11hip_rocprim3tagENSA_11use_defaultESG_EEEEPS6_SJ_NS0_5tupleIJPxSJ_EEENSK_IJSJ_SJ_EEES6_PlJ7is_evenIxEEEE10hipError_tPvRmT3_T4_T5_T6_T7_T9_mT8_P12ihipStream_tbDpT10_ENKUlT_T0_E_clISt17integral_constantIbLb0EES19_IbLb1EEEEDaS15_S16_EUlS15_E_NS1_11comp_targetILNS1_3genE5ELNS1_11target_archE942ELNS1_3gpuE9ELNS1_3repE0EEENS1_30default_config_static_selectorELNS0_4arch9wavefront6targetE1EEEvT1_
	.p2align	8
	.type	_ZN7rocprim17ROCPRIM_400000_NS6detail17trampoline_kernelINS0_14default_configENS1_25partition_config_selectorILNS1_17partition_subalgoE3ExNS0_10empty_typeEbEEZZNS1_14partition_implILS5_3ELb0ES3_jN6thrust23THRUST_200600_302600_NS6detail15normal_iteratorINSA_7pointerIxNSA_11hip_rocprim3tagENSA_11use_defaultESG_EEEEPS6_SJ_NS0_5tupleIJPxSJ_EEENSK_IJSJ_SJ_EEES6_PlJ7is_evenIxEEEE10hipError_tPvRmT3_T4_T5_T6_T7_T9_mT8_P12ihipStream_tbDpT10_ENKUlT_T0_E_clISt17integral_constantIbLb0EES19_IbLb1EEEEDaS15_S16_EUlS15_E_NS1_11comp_targetILNS1_3genE5ELNS1_11target_archE942ELNS1_3gpuE9ELNS1_3repE0EEENS1_30default_config_static_selectorELNS0_4arch9wavefront6targetE1EEEvT1_,@function
_ZN7rocprim17ROCPRIM_400000_NS6detail17trampoline_kernelINS0_14default_configENS1_25partition_config_selectorILNS1_17partition_subalgoE3ExNS0_10empty_typeEbEEZZNS1_14partition_implILS5_3ELb0ES3_jN6thrust23THRUST_200600_302600_NS6detail15normal_iteratorINSA_7pointerIxNSA_11hip_rocprim3tagENSA_11use_defaultESG_EEEEPS6_SJ_NS0_5tupleIJPxSJ_EEENSK_IJSJ_SJ_EEES6_PlJ7is_evenIxEEEE10hipError_tPvRmT3_T4_T5_T6_T7_T9_mT8_P12ihipStream_tbDpT10_ENKUlT_T0_E_clISt17integral_constantIbLb0EES19_IbLb1EEEEDaS15_S16_EUlS15_E_NS1_11comp_targetILNS1_3genE5ELNS1_11target_archE942ELNS1_3gpuE9ELNS1_3repE0EEENS1_30default_config_static_selectorELNS0_4arch9wavefront6targetE1EEEvT1_: ; @_ZN7rocprim17ROCPRIM_400000_NS6detail17trampoline_kernelINS0_14default_configENS1_25partition_config_selectorILNS1_17partition_subalgoE3ExNS0_10empty_typeEbEEZZNS1_14partition_implILS5_3ELb0ES3_jN6thrust23THRUST_200600_302600_NS6detail15normal_iteratorINSA_7pointerIxNSA_11hip_rocprim3tagENSA_11use_defaultESG_EEEEPS6_SJ_NS0_5tupleIJPxSJ_EEENSK_IJSJ_SJ_EEES6_PlJ7is_evenIxEEEE10hipError_tPvRmT3_T4_T5_T6_T7_T9_mT8_P12ihipStream_tbDpT10_ENKUlT_T0_E_clISt17integral_constantIbLb0EES19_IbLb1EEEEDaS15_S16_EUlS15_E_NS1_11comp_targetILNS1_3genE5ELNS1_11target_archE942ELNS1_3gpuE9ELNS1_3repE0EEENS1_30default_config_static_selectorELNS0_4arch9wavefront6targetE1EEEvT1_
; %bb.0:
	.section	.rodata,"a",@progbits
	.p2align	6, 0x0
	.amdhsa_kernel _ZN7rocprim17ROCPRIM_400000_NS6detail17trampoline_kernelINS0_14default_configENS1_25partition_config_selectorILNS1_17partition_subalgoE3ExNS0_10empty_typeEbEEZZNS1_14partition_implILS5_3ELb0ES3_jN6thrust23THRUST_200600_302600_NS6detail15normal_iteratorINSA_7pointerIxNSA_11hip_rocprim3tagENSA_11use_defaultESG_EEEEPS6_SJ_NS0_5tupleIJPxSJ_EEENSK_IJSJ_SJ_EEES6_PlJ7is_evenIxEEEE10hipError_tPvRmT3_T4_T5_T6_T7_T9_mT8_P12ihipStream_tbDpT10_ENKUlT_T0_E_clISt17integral_constantIbLb0EES19_IbLb1EEEEDaS15_S16_EUlS15_E_NS1_11comp_targetILNS1_3genE5ELNS1_11target_archE942ELNS1_3gpuE9ELNS1_3repE0EEENS1_30default_config_static_selectorELNS0_4arch9wavefront6targetE1EEEvT1_
		.amdhsa_group_segment_fixed_size 0
		.amdhsa_private_segment_fixed_size 0
		.amdhsa_kernarg_size 136
		.amdhsa_user_sgpr_count 6
		.amdhsa_user_sgpr_private_segment_buffer 1
		.amdhsa_user_sgpr_dispatch_ptr 0
		.amdhsa_user_sgpr_queue_ptr 0
		.amdhsa_user_sgpr_kernarg_segment_ptr 1
		.amdhsa_user_sgpr_dispatch_id 0
		.amdhsa_user_sgpr_flat_scratch_init 0
		.amdhsa_user_sgpr_kernarg_preload_length 0
		.amdhsa_user_sgpr_kernarg_preload_offset 0
		.amdhsa_user_sgpr_private_segment_size 0
		.amdhsa_uses_dynamic_stack 0
		.amdhsa_system_sgpr_private_segment_wavefront_offset 0
		.amdhsa_system_sgpr_workgroup_id_x 1
		.amdhsa_system_sgpr_workgroup_id_y 0
		.amdhsa_system_sgpr_workgroup_id_z 0
		.amdhsa_system_sgpr_workgroup_info 0
		.amdhsa_system_vgpr_workitem_id 0
		.amdhsa_next_free_vgpr 1
		.amdhsa_next_free_sgpr 0
		.amdhsa_accum_offset 4
		.amdhsa_reserve_vcc 0
		.amdhsa_reserve_flat_scratch 0
		.amdhsa_float_round_mode_32 0
		.amdhsa_float_round_mode_16_64 0
		.amdhsa_float_denorm_mode_32 3
		.amdhsa_float_denorm_mode_16_64 3
		.amdhsa_dx10_clamp 1
		.amdhsa_ieee_mode 1
		.amdhsa_fp16_overflow 0
		.amdhsa_tg_split 0
		.amdhsa_exception_fp_ieee_invalid_op 0
		.amdhsa_exception_fp_denorm_src 0
		.amdhsa_exception_fp_ieee_div_zero 0
		.amdhsa_exception_fp_ieee_overflow 0
		.amdhsa_exception_fp_ieee_underflow 0
		.amdhsa_exception_fp_ieee_inexact 0
		.amdhsa_exception_int_div_zero 0
	.end_amdhsa_kernel
	.section	.text._ZN7rocprim17ROCPRIM_400000_NS6detail17trampoline_kernelINS0_14default_configENS1_25partition_config_selectorILNS1_17partition_subalgoE3ExNS0_10empty_typeEbEEZZNS1_14partition_implILS5_3ELb0ES3_jN6thrust23THRUST_200600_302600_NS6detail15normal_iteratorINSA_7pointerIxNSA_11hip_rocprim3tagENSA_11use_defaultESG_EEEEPS6_SJ_NS0_5tupleIJPxSJ_EEENSK_IJSJ_SJ_EEES6_PlJ7is_evenIxEEEE10hipError_tPvRmT3_T4_T5_T6_T7_T9_mT8_P12ihipStream_tbDpT10_ENKUlT_T0_E_clISt17integral_constantIbLb0EES19_IbLb1EEEEDaS15_S16_EUlS15_E_NS1_11comp_targetILNS1_3genE5ELNS1_11target_archE942ELNS1_3gpuE9ELNS1_3repE0EEENS1_30default_config_static_selectorELNS0_4arch9wavefront6targetE1EEEvT1_,"axG",@progbits,_ZN7rocprim17ROCPRIM_400000_NS6detail17trampoline_kernelINS0_14default_configENS1_25partition_config_selectorILNS1_17partition_subalgoE3ExNS0_10empty_typeEbEEZZNS1_14partition_implILS5_3ELb0ES3_jN6thrust23THRUST_200600_302600_NS6detail15normal_iteratorINSA_7pointerIxNSA_11hip_rocprim3tagENSA_11use_defaultESG_EEEEPS6_SJ_NS0_5tupleIJPxSJ_EEENSK_IJSJ_SJ_EEES6_PlJ7is_evenIxEEEE10hipError_tPvRmT3_T4_T5_T6_T7_T9_mT8_P12ihipStream_tbDpT10_ENKUlT_T0_E_clISt17integral_constantIbLb0EES19_IbLb1EEEEDaS15_S16_EUlS15_E_NS1_11comp_targetILNS1_3genE5ELNS1_11target_archE942ELNS1_3gpuE9ELNS1_3repE0EEENS1_30default_config_static_selectorELNS0_4arch9wavefront6targetE1EEEvT1_,comdat
.Lfunc_end41:
	.size	_ZN7rocprim17ROCPRIM_400000_NS6detail17trampoline_kernelINS0_14default_configENS1_25partition_config_selectorILNS1_17partition_subalgoE3ExNS0_10empty_typeEbEEZZNS1_14partition_implILS5_3ELb0ES3_jN6thrust23THRUST_200600_302600_NS6detail15normal_iteratorINSA_7pointerIxNSA_11hip_rocprim3tagENSA_11use_defaultESG_EEEEPS6_SJ_NS0_5tupleIJPxSJ_EEENSK_IJSJ_SJ_EEES6_PlJ7is_evenIxEEEE10hipError_tPvRmT3_T4_T5_T6_T7_T9_mT8_P12ihipStream_tbDpT10_ENKUlT_T0_E_clISt17integral_constantIbLb0EES19_IbLb1EEEEDaS15_S16_EUlS15_E_NS1_11comp_targetILNS1_3genE5ELNS1_11target_archE942ELNS1_3gpuE9ELNS1_3repE0EEENS1_30default_config_static_selectorELNS0_4arch9wavefront6targetE1EEEvT1_, .Lfunc_end41-_ZN7rocprim17ROCPRIM_400000_NS6detail17trampoline_kernelINS0_14default_configENS1_25partition_config_selectorILNS1_17partition_subalgoE3ExNS0_10empty_typeEbEEZZNS1_14partition_implILS5_3ELb0ES3_jN6thrust23THRUST_200600_302600_NS6detail15normal_iteratorINSA_7pointerIxNSA_11hip_rocprim3tagENSA_11use_defaultESG_EEEEPS6_SJ_NS0_5tupleIJPxSJ_EEENSK_IJSJ_SJ_EEES6_PlJ7is_evenIxEEEE10hipError_tPvRmT3_T4_T5_T6_T7_T9_mT8_P12ihipStream_tbDpT10_ENKUlT_T0_E_clISt17integral_constantIbLb0EES19_IbLb1EEEEDaS15_S16_EUlS15_E_NS1_11comp_targetILNS1_3genE5ELNS1_11target_archE942ELNS1_3gpuE9ELNS1_3repE0EEENS1_30default_config_static_selectorELNS0_4arch9wavefront6targetE1EEEvT1_
                                        ; -- End function
	.section	.AMDGPU.csdata,"",@progbits
; Kernel info:
; codeLenInByte = 0
; NumSgprs: 4
; NumVgprs: 0
; NumAgprs: 0
; TotalNumVgprs: 0
; ScratchSize: 0
; MemoryBound: 0
; FloatMode: 240
; IeeeMode: 1
; LDSByteSize: 0 bytes/workgroup (compile time only)
; SGPRBlocks: 0
; VGPRBlocks: 0
; NumSGPRsForWavesPerEU: 4
; NumVGPRsForWavesPerEU: 1
; AccumOffset: 4
; Occupancy: 8
; WaveLimiterHint : 0
; COMPUTE_PGM_RSRC2:SCRATCH_EN: 0
; COMPUTE_PGM_RSRC2:USER_SGPR: 6
; COMPUTE_PGM_RSRC2:TRAP_HANDLER: 0
; COMPUTE_PGM_RSRC2:TGID_X_EN: 1
; COMPUTE_PGM_RSRC2:TGID_Y_EN: 0
; COMPUTE_PGM_RSRC2:TGID_Z_EN: 0
; COMPUTE_PGM_RSRC2:TIDIG_COMP_CNT: 0
; COMPUTE_PGM_RSRC3_GFX90A:ACCUM_OFFSET: 0
; COMPUTE_PGM_RSRC3_GFX90A:TG_SPLIT: 0
	.section	.text._ZN7rocprim17ROCPRIM_400000_NS6detail17trampoline_kernelINS0_14default_configENS1_25partition_config_selectorILNS1_17partition_subalgoE3ExNS0_10empty_typeEbEEZZNS1_14partition_implILS5_3ELb0ES3_jN6thrust23THRUST_200600_302600_NS6detail15normal_iteratorINSA_7pointerIxNSA_11hip_rocprim3tagENSA_11use_defaultESG_EEEEPS6_SJ_NS0_5tupleIJPxSJ_EEENSK_IJSJ_SJ_EEES6_PlJ7is_evenIxEEEE10hipError_tPvRmT3_T4_T5_T6_T7_T9_mT8_P12ihipStream_tbDpT10_ENKUlT_T0_E_clISt17integral_constantIbLb0EES19_IbLb1EEEEDaS15_S16_EUlS15_E_NS1_11comp_targetILNS1_3genE4ELNS1_11target_archE910ELNS1_3gpuE8ELNS1_3repE0EEENS1_30default_config_static_selectorELNS0_4arch9wavefront6targetE1EEEvT1_,"axG",@progbits,_ZN7rocprim17ROCPRIM_400000_NS6detail17trampoline_kernelINS0_14default_configENS1_25partition_config_selectorILNS1_17partition_subalgoE3ExNS0_10empty_typeEbEEZZNS1_14partition_implILS5_3ELb0ES3_jN6thrust23THRUST_200600_302600_NS6detail15normal_iteratorINSA_7pointerIxNSA_11hip_rocprim3tagENSA_11use_defaultESG_EEEEPS6_SJ_NS0_5tupleIJPxSJ_EEENSK_IJSJ_SJ_EEES6_PlJ7is_evenIxEEEE10hipError_tPvRmT3_T4_T5_T6_T7_T9_mT8_P12ihipStream_tbDpT10_ENKUlT_T0_E_clISt17integral_constantIbLb0EES19_IbLb1EEEEDaS15_S16_EUlS15_E_NS1_11comp_targetILNS1_3genE4ELNS1_11target_archE910ELNS1_3gpuE8ELNS1_3repE0EEENS1_30default_config_static_selectorELNS0_4arch9wavefront6targetE1EEEvT1_,comdat
	.protected	_ZN7rocprim17ROCPRIM_400000_NS6detail17trampoline_kernelINS0_14default_configENS1_25partition_config_selectorILNS1_17partition_subalgoE3ExNS0_10empty_typeEbEEZZNS1_14partition_implILS5_3ELb0ES3_jN6thrust23THRUST_200600_302600_NS6detail15normal_iteratorINSA_7pointerIxNSA_11hip_rocprim3tagENSA_11use_defaultESG_EEEEPS6_SJ_NS0_5tupleIJPxSJ_EEENSK_IJSJ_SJ_EEES6_PlJ7is_evenIxEEEE10hipError_tPvRmT3_T4_T5_T6_T7_T9_mT8_P12ihipStream_tbDpT10_ENKUlT_T0_E_clISt17integral_constantIbLb0EES19_IbLb1EEEEDaS15_S16_EUlS15_E_NS1_11comp_targetILNS1_3genE4ELNS1_11target_archE910ELNS1_3gpuE8ELNS1_3repE0EEENS1_30default_config_static_selectorELNS0_4arch9wavefront6targetE1EEEvT1_ ; -- Begin function _ZN7rocprim17ROCPRIM_400000_NS6detail17trampoline_kernelINS0_14default_configENS1_25partition_config_selectorILNS1_17partition_subalgoE3ExNS0_10empty_typeEbEEZZNS1_14partition_implILS5_3ELb0ES3_jN6thrust23THRUST_200600_302600_NS6detail15normal_iteratorINSA_7pointerIxNSA_11hip_rocprim3tagENSA_11use_defaultESG_EEEEPS6_SJ_NS0_5tupleIJPxSJ_EEENSK_IJSJ_SJ_EEES6_PlJ7is_evenIxEEEE10hipError_tPvRmT3_T4_T5_T6_T7_T9_mT8_P12ihipStream_tbDpT10_ENKUlT_T0_E_clISt17integral_constantIbLb0EES19_IbLb1EEEEDaS15_S16_EUlS15_E_NS1_11comp_targetILNS1_3genE4ELNS1_11target_archE910ELNS1_3gpuE8ELNS1_3repE0EEENS1_30default_config_static_selectorELNS0_4arch9wavefront6targetE1EEEvT1_
	.globl	_ZN7rocprim17ROCPRIM_400000_NS6detail17trampoline_kernelINS0_14default_configENS1_25partition_config_selectorILNS1_17partition_subalgoE3ExNS0_10empty_typeEbEEZZNS1_14partition_implILS5_3ELb0ES3_jN6thrust23THRUST_200600_302600_NS6detail15normal_iteratorINSA_7pointerIxNSA_11hip_rocprim3tagENSA_11use_defaultESG_EEEEPS6_SJ_NS0_5tupleIJPxSJ_EEENSK_IJSJ_SJ_EEES6_PlJ7is_evenIxEEEE10hipError_tPvRmT3_T4_T5_T6_T7_T9_mT8_P12ihipStream_tbDpT10_ENKUlT_T0_E_clISt17integral_constantIbLb0EES19_IbLb1EEEEDaS15_S16_EUlS15_E_NS1_11comp_targetILNS1_3genE4ELNS1_11target_archE910ELNS1_3gpuE8ELNS1_3repE0EEENS1_30default_config_static_selectorELNS0_4arch9wavefront6targetE1EEEvT1_
	.p2align	8
	.type	_ZN7rocprim17ROCPRIM_400000_NS6detail17trampoline_kernelINS0_14default_configENS1_25partition_config_selectorILNS1_17partition_subalgoE3ExNS0_10empty_typeEbEEZZNS1_14partition_implILS5_3ELb0ES3_jN6thrust23THRUST_200600_302600_NS6detail15normal_iteratorINSA_7pointerIxNSA_11hip_rocprim3tagENSA_11use_defaultESG_EEEEPS6_SJ_NS0_5tupleIJPxSJ_EEENSK_IJSJ_SJ_EEES6_PlJ7is_evenIxEEEE10hipError_tPvRmT3_T4_T5_T6_T7_T9_mT8_P12ihipStream_tbDpT10_ENKUlT_T0_E_clISt17integral_constantIbLb0EES19_IbLb1EEEEDaS15_S16_EUlS15_E_NS1_11comp_targetILNS1_3genE4ELNS1_11target_archE910ELNS1_3gpuE8ELNS1_3repE0EEENS1_30default_config_static_selectorELNS0_4arch9wavefront6targetE1EEEvT1_,@function
_ZN7rocprim17ROCPRIM_400000_NS6detail17trampoline_kernelINS0_14default_configENS1_25partition_config_selectorILNS1_17partition_subalgoE3ExNS0_10empty_typeEbEEZZNS1_14partition_implILS5_3ELb0ES3_jN6thrust23THRUST_200600_302600_NS6detail15normal_iteratorINSA_7pointerIxNSA_11hip_rocprim3tagENSA_11use_defaultESG_EEEEPS6_SJ_NS0_5tupleIJPxSJ_EEENSK_IJSJ_SJ_EEES6_PlJ7is_evenIxEEEE10hipError_tPvRmT3_T4_T5_T6_T7_T9_mT8_P12ihipStream_tbDpT10_ENKUlT_T0_E_clISt17integral_constantIbLb0EES19_IbLb1EEEEDaS15_S16_EUlS15_E_NS1_11comp_targetILNS1_3genE4ELNS1_11target_archE910ELNS1_3gpuE8ELNS1_3repE0EEENS1_30default_config_static_selectorELNS0_4arch9wavefront6targetE1EEEvT1_: ; @_ZN7rocprim17ROCPRIM_400000_NS6detail17trampoline_kernelINS0_14default_configENS1_25partition_config_selectorILNS1_17partition_subalgoE3ExNS0_10empty_typeEbEEZZNS1_14partition_implILS5_3ELb0ES3_jN6thrust23THRUST_200600_302600_NS6detail15normal_iteratorINSA_7pointerIxNSA_11hip_rocprim3tagENSA_11use_defaultESG_EEEEPS6_SJ_NS0_5tupleIJPxSJ_EEENSK_IJSJ_SJ_EEES6_PlJ7is_evenIxEEEE10hipError_tPvRmT3_T4_T5_T6_T7_T9_mT8_P12ihipStream_tbDpT10_ENKUlT_T0_E_clISt17integral_constantIbLb0EES19_IbLb1EEEEDaS15_S16_EUlS15_E_NS1_11comp_targetILNS1_3genE4ELNS1_11target_archE910ELNS1_3gpuE8ELNS1_3repE0EEENS1_30default_config_static_selectorELNS0_4arch9wavefront6targetE1EEEvT1_
; %bb.0:
	s_load_dwordx2 s[28:29], s[4:5], 0x28
	s_load_dwordx4 s[20:23], s[4:5], 0x48
	s_load_dwordx2 s[30:31], s[4:5], 0x58
	s_load_dwordx2 s[34:35], s[4:5], 0x68
	v_cmp_eq_u32_e64 s[0:1], 0, v0
	s_and_saveexec_b64 s[2:3], s[0:1]
	s_cbranch_execz .LBB42_4
; %bb.1:
	s_mov_b64 s[8:9], exec
	v_mbcnt_lo_u32_b32 v1, s8, 0
	v_mbcnt_hi_u32_b32 v1, s9, v1
	v_cmp_eq_u32_e32 vcc, 0, v1
                                        ; implicit-def: $vgpr2
	s_and_saveexec_b64 s[6:7], vcc
	s_cbranch_execz .LBB42_3
; %bb.2:
	s_load_dwordx2 s[10:11], s[4:5], 0x78
	s_bcnt1_i32_b64 s8, s[8:9]
	v_mov_b32_e32 v2, 0
	v_mov_b32_e32 v3, s8
	s_waitcnt lgkmcnt(0)
	global_atomic_add v2, v2, v3, s[10:11] glc
.LBB42_3:
	s_or_b64 exec, exec, s[6:7]
	s_waitcnt vmcnt(0)
	v_readfirstlane_b32 s6, v2
	v_add_u32_e32 v1, s6, v1
	v_mov_b32_e32 v2, 0
	ds_write_b32 v2, v1
.LBB42_4:
	s_or_b64 exec, exec, s[2:3]
	v_mov_b32_e32 v11, 0
	s_load_dwordx4 s[24:27], s[4:5], 0x8
	s_load_dword s2, s[4:5], 0x70
	s_waitcnt lgkmcnt(0)
	s_barrier
	ds_read_b32 v1, v11
	s_waitcnt lgkmcnt(0)
	s_barrier
	global_load_dwordx2 v[12:13], v11, s[22:23]
	s_lshl_b64 s[4:5], s[26:27], 3
	s_add_u32 s6, s24, s4
	s_addc_u32 s7, s25, s5
	s_movk_i32 s3, 0x300
	s_add_i32 s4, s2, -1
	s_mulk_i32 s2, 0x300
	v_mul_lo_u32 v10, v1, s3
	s_add_i32 s3, s2, s26
	s_sub_i32 s33, s30, s3
	s_addk_i32 s33, 0x300
	s_add_u32 s2, s26, s2
	v_readfirstlane_b32 s40, v1
	s_addc_u32 s3, s27, 0
	s_cmp_eq_u32 s40, s4
	v_pk_mov_b32 v[2:3], s[30:31], s[30:31] op_sel:[0,1]
	s_cselect_b64 s[22:23], -1, 0
	s_cmp_lg_u32 s40, s4
	v_cmp_lt_u64_e32 vcc, s[2:3], v[2:3]
	s_cselect_b64 s[2:3], -1, 0
	v_lshlrev_b64 v[2:3], 3, v[10:11]
	s_or_b64 s[4:5], vcc, s[2:3]
	v_mov_b32_e32 v1, s7
	v_add_co_u32_e32 v14, vcc, s6, v2
	v_addc_co_u32_e32 v15, vcc, v1, v3, vcc
	s_mov_b64 s[2:3], -1
	s_and_b64 vcc, exec, s[4:5]
	v_lshlrev_b32_e32 v1, 3, v0
	v_lshrrev_b32_e32 v11, 2, v0
	s_cbranch_vccz .LBB42_6
; %bb.5:
	v_add_co_u32_e32 v2, vcc, v14, v1
	v_addc_co_u32_e32 v3, vcc, 0, v15, vcc
	v_add_co_u32_e32 v4, vcc, 0x1000, v2
	v_addc_co_u32_e32 v5, vcc, 0, v3, vcc
	flat_load_dwordx2 v[6:7], v[2:3]
	flat_load_dwordx2 v[8:9], v[2:3] offset:1536
	flat_load_dwordx2 v[16:17], v[2:3] offset:3072
	;; [unrolled: 1-line block ×3, first 2 shown]
	v_add_u32_e32 v3, 0xc0, v0
	v_add_u32_e32 v4, 0x180, v0
	;; [unrolled: 1-line block ×3, first 2 shown]
	v_and_b32_e32 v2, 56, v11
	v_lshrrev_b32_e32 v3, 2, v3
	v_lshrrev_b32_e32 v4, 2, v4
	;; [unrolled: 1-line block ×3, first 2 shown]
	v_add_u32_e32 v2, v2, v1
	v_and_b32_e32 v3, 0x78, v3
	v_and_b32_e32 v4, 0xf8, v4
	;; [unrolled: 1-line block ×3, first 2 shown]
	v_add_u32_e32 v3, v3, v1
	v_add_u32_e32 v4, v4, v1
	;; [unrolled: 1-line block ×3, first 2 shown]
	s_mov_b64 s[2:3], 0
	s_waitcnt vmcnt(0) lgkmcnt(0)
	ds_write_b64 v2, v[6:7]
	ds_write_b64 v3, v[8:9] offset:1536
	ds_write_b64 v4, v[16:17] offset:3072
	;; [unrolled: 1-line block ×3, first 2 shown]
	s_waitcnt lgkmcnt(0)
	s_barrier
.LBB42_6:
	s_andn2_b64 vcc, exec, s[2:3]
	v_cmp_gt_u32_e64 s[2:3], s33, v0
	s_cbranch_vccnz .LBB42_16
; %bb.7:
                                        ; implicit-def: $vgpr2_vgpr3_vgpr4_vgpr5_vgpr6_vgpr7_vgpr8_vgpr9
	s_and_saveexec_b64 s[6:7], s[2:3]
	s_cbranch_execz .LBB42_9
; %bb.8:
	v_add_co_u32_e32 v2, vcc, v14, v1
	v_addc_co_u32_e32 v3, vcc, 0, v15, vcc
	flat_load_dwordx2 v[2:3], v[2:3]
.LBB42_9:
	s_or_b64 exec, exec, s[6:7]
	v_add_u32_e32 v16, 0xc0, v0
	v_cmp_gt_u32_e32 vcc, s33, v16
	s_and_saveexec_b64 s[2:3], vcc
	s_cbranch_execz .LBB42_11
; %bb.10:
	v_add_co_u32_e32 v4, vcc, v14, v1
	v_addc_co_u32_e32 v5, vcc, 0, v15, vcc
	flat_load_dwordx2 v[4:5], v[4:5] offset:1536
.LBB42_11:
	s_or_b64 exec, exec, s[2:3]
	v_add_u32_e32 v17, 0x180, v0
	v_cmp_gt_u32_e32 vcc, s33, v17
	s_and_saveexec_b64 s[2:3], vcc
	s_cbranch_execz .LBB42_13
; %bb.12:
	v_add_co_u32_e32 v6, vcc, v14, v1
	v_addc_co_u32_e32 v7, vcc, 0, v15, vcc
	flat_load_dwordx2 v[6:7], v[6:7] offset:3072
.LBB42_13:
	s_or_b64 exec, exec, s[2:3]
	v_add_u32_e32 v18, 0x240, v0
	v_cmp_gt_u32_e32 vcc, s33, v18
	s_and_saveexec_b64 s[2:3], vcc
	s_cbranch_execz .LBB42_15
; %bb.14:
	v_lshlrev_b32_e32 v8, 3, v18
	v_add_co_u32_e32 v8, vcc, v14, v8
	v_addc_co_u32_e32 v9, vcc, 0, v15, vcc
	flat_load_dwordx2 v[8:9], v[8:9]
.LBB42_15:
	s_or_b64 exec, exec, s[2:3]
	v_and_b32_e32 v11, 56, v11
	v_add_u32_e32 v11, v11, v1
	s_waitcnt vmcnt(0) lgkmcnt(0)
	ds_write_b64 v11, v[2:3]
	v_lshrrev_b32_e32 v2, 2, v16
	v_and_b32_e32 v2, 0x78, v2
	v_add_u32_e32 v2, v2, v1
	ds_write_b64 v2, v[4:5] offset:1536
	v_lshrrev_b32_e32 v2, 2, v17
	v_and_b32_e32 v2, 0xf8, v2
	v_add_u32_e32 v2, v2, v1
	ds_write_b64 v2, v[6:7] offset:3072
	;; [unrolled: 4-line block ×3, first 2 shown]
	s_waitcnt lgkmcnt(0)
	s_barrier
.LBB42_16:
	v_lshlrev_b32_e32 v11, 2, v0
	v_lshrrev_b32_e32 v2, 3, v0
	v_add_lshl_u32 v2, v2, v11, 3
	ds_read2_b64 v[6:9], v2 offset1:1
	ds_read2_b64 v[2:5], v2 offset0:2 offset1:3
	v_cndmask_b32_e64 v14, 0, 1, s[4:5]
	v_cmp_ne_u32_e64 s[2:3], 1, v14
	s_andn2_b64 vcc, exec, s[4:5]
	s_waitcnt lgkmcnt(1)
	v_xor_b32_e32 v17, -1, v6
	v_xor_b32_e32 v16, -1, v8
	s_waitcnt lgkmcnt(0)
	v_xor_b32_e32 v15, -1, v2
	v_xor_b32_e32 v14, -1, v4
	s_barrier
	s_cbranch_vccnz .LBB42_18
; %bb.17:
	v_mov_b32_e32 v19, 1
	v_and_b32_e32 v18, 1, v17
	v_and_b32_sdwa v20, v16, v19 dst_sel:BYTE_1 dst_unused:UNUSED_PAD src0_sel:DWORD src1_sel:DWORD
	v_and_b32_e32 v21, 1, v15
	v_and_b32_sdwa v19, v14, v19 dst_sel:BYTE_1 dst_unused:UNUSED_PAD src0_sel:DWORD src1_sel:DWORD
	v_or_b32_e32 v18, v18, v20
	v_or_b32_sdwa v19, v21, v19 dst_sel:WORD_1 dst_unused:UNUSED_PAD src0_sel:DWORD src1_sel:DWORD
	v_or_b32_sdwa v24, v18, v19 dst_sel:DWORD dst_unused:UNUSED_PAD src0_sel:WORD_0 src1_sel:DWORD
	s_cbranch_execz .LBB42_19
	s_branch .LBB42_20
.LBB42_18:
                                        ; implicit-def: $vgpr24
.LBB42_19:
	v_cmp_gt_u32_e32 vcc, s33, v11
	v_cndmask_b32_e64 v18, 0, 1, vcc
	v_and_b32_e32 v17, v18, v17
	v_or_b32_e32 v18, 1, v11
	v_cmp_gt_u32_e32 vcc, s33, v18
	v_cndmask_b32_e64 v18, 0, 1, vcc
	v_and_b32_sdwa v16, v18, v16 dst_sel:BYTE_1 dst_unused:UNUSED_PAD src0_sel:DWORD src1_sel:DWORD
	v_or_b32_e32 v18, 2, v11
	v_cmp_gt_u32_e32 vcc, s33, v18
	v_cndmask_b32_e64 v18, 0, 1, vcc
	v_and_b32_e32 v15, v18, v15
	v_or_b32_e32 v18, 3, v11
	v_cmp_gt_u32_e32 vcc, s33, v18
	v_cndmask_b32_e64 v18, 0, 1, vcc
	v_and_b32_sdwa v14, v18, v14 dst_sel:BYTE_1 dst_unused:UNUSED_PAD src0_sel:DWORD src1_sel:DWORD
	v_or_b32_e32 v16, v17, v16
	v_or_b32_sdwa v14, v15, v14 dst_sel:WORD_1 dst_unused:UNUSED_PAD src0_sel:DWORD src1_sel:DWORD
	v_or_b32_sdwa v24, v16, v14 dst_sel:DWORD dst_unused:UNUSED_PAD src0_sel:WORD_0 src1_sel:DWORD
.LBB42_20:
	v_bfe_u32 v26, v24, 16, 8
	v_lshrrev_b32_e32 v25, 24, v24
	v_add_u32_sdwa v14, v24, v24 dst_sel:DWORD dst_unused:UNUSED_PAD src0_sel:BYTE_1 src1_sel:BYTE_0
	v_add3_u32 v29, v14, v26, v25
	v_mbcnt_lo_u32_b32 v14, -1, 0
	v_mbcnt_hi_u32_b32 v27, -1, v14
	v_and_b32_e32 v14, 15, v27
	v_cmp_eq_u32_e64 s[16:17], 0, v14
	v_cmp_lt_u32_e64 s[14:15], 1, v14
	v_cmp_lt_u32_e64 s[12:13], 3, v14
	;; [unrolled: 1-line block ×3, first 2 shown]
	v_and_b32_e32 v14, 16, v27
	v_cmp_eq_u32_e64 s[6:7], 0, v14
	v_and_b32_e32 v14, 0xc0, v0
	v_min_u32_e32 v14, 0x80, v14
	v_or_b32_e32 v14, 63, v14
	s_cmp_lg_u32 s40, 0
	v_cmp_lt_u32_e64 s[4:5], 31, v27
	v_lshrrev_b32_e32 v28, 6, v0
	v_cmp_eq_u32_e64 s[8:9], v14, v0
	s_cbranch_scc0 .LBB42_47
; %bb.21:
	v_mov_b32_dpp v14, v29 row_shr:1 row_mask:0xf bank_mask:0xf
	v_cndmask_b32_e64 v14, v14, 0, s[16:17]
	v_add_u32_e32 v14, v14, v29
	s_nop 1
	v_mov_b32_dpp v15, v14 row_shr:2 row_mask:0xf bank_mask:0xf
	v_cndmask_b32_e64 v15, 0, v15, s[14:15]
	v_add_u32_e32 v14, v14, v15
	s_nop 1
	;; [unrolled: 4-line block ×4, first 2 shown]
	v_mov_b32_dpp v15, v14 row_bcast:15 row_mask:0xf bank_mask:0xf
	v_cndmask_b32_e64 v15, v15, 0, s[6:7]
	v_add_u32_e32 v14, v14, v15
	s_nop 1
	v_mov_b32_dpp v15, v14 row_bcast:31 row_mask:0xf bank_mask:0xf
	v_cndmask_b32_e64 v15, 0, v15, s[4:5]
	v_add_u32_e32 v14, v14, v15
	s_and_saveexec_b64 s[18:19], s[8:9]
	s_cbranch_execz .LBB42_23
; %bb.22:
	v_lshlrev_b32_e32 v15, 2, v28
	ds_write_b32 v15, v14
.LBB42_23:
	s_or_b64 exec, exec, s[18:19]
	v_cmp_gt_u32_e32 vcc, 3, v0
	s_waitcnt lgkmcnt(0)
	s_barrier
	s_and_saveexec_b64 s[18:19], vcc
	s_cbranch_execz .LBB42_25
; %bb.24:
	ds_read_b32 v15, v11
	v_and_b32_e32 v16, 3, v27
	v_cmp_ne_u32_e32 vcc, 0, v16
	s_waitcnt lgkmcnt(0)
	v_mov_b32_dpp v17, v15 row_shr:1 row_mask:0xf bank_mask:0xf
	v_cndmask_b32_e32 v17, 0, v17, vcc
	v_add_u32_e32 v15, v17, v15
	v_cmp_lt_u32_e32 vcc, 1, v16
	s_nop 0
	v_mov_b32_dpp v17, v15 row_shr:2 row_mask:0xf bank_mask:0xf
	v_cndmask_b32_e32 v16, 0, v17, vcc
	v_add_u32_e32 v15, v15, v16
	ds_write_b32 v11, v15
.LBB42_25:
	s_or_b64 exec, exec, s[18:19]
	v_cmp_gt_u32_e32 vcc, 64, v0
	v_cmp_lt_u32_e64 s[18:19], 63, v0
	s_waitcnt lgkmcnt(0)
	s_barrier
	s_waitcnt lgkmcnt(0)
                                        ; implicit-def: $vgpr30
	s_and_saveexec_b64 s[24:25], s[18:19]
	s_cbranch_execz .LBB42_27
; %bb.26:
	v_lshl_add_u32 v15, v28, 2, -4
	ds_read_b32 v30, v15
	s_waitcnt lgkmcnt(0)
	v_add_u32_e32 v14, v30, v14
.LBB42_27:
	s_or_b64 exec, exec, s[24:25]
	v_add_u32_e32 v15, -1, v27
	v_and_b32_e32 v16, 64, v27
	v_cmp_lt_i32_e64 s[18:19], v15, v16
	v_cndmask_b32_e64 v15, v15, v27, s[18:19]
	v_lshlrev_b32_e32 v15, 2, v15
	ds_bpermute_b32 v31, v15, v14
	v_cmp_eq_u32_e64 s[18:19], 0, v27
	s_and_saveexec_b64 s[24:25], vcc
	s_cbranch_execz .LBB42_46
; %bb.28:
	v_mov_b32_e32 v21, 0
	ds_read_b32 v14, v21 offset:8
	s_and_saveexec_b64 s[36:37], s[18:19]
	s_cbranch_execz .LBB42_30
; %bb.29:
	s_add_i32 s38, s40, 64
	s_mov_b32 s39, 0
	s_lshl_b64 s[38:39], s[38:39], 3
	s_add_u32 s38, s34, s38
	v_mov_b32_e32 v15, 1
	s_addc_u32 s39, s35, s39
	s_waitcnt lgkmcnt(0)
	global_store_dwordx2 v21, v[14:15], s[38:39]
.LBB42_30:
	s_or_b64 exec, exec, s[36:37]
	v_xad_u32 v16, v27, -1, s40
	v_add_u32_e32 v20, 64, v16
	v_lshlrev_b64 v[18:19], 3, v[20:21]
	v_mov_b32_e32 v15, s35
	v_add_co_u32_e32 v22, vcc, s34, v18
	v_addc_co_u32_e32 v23, vcc, v15, v19, vcc
	global_load_dwordx2 v[18:19], v[22:23], off glc
	s_waitcnt vmcnt(0)
	v_cmp_eq_u16_sdwa s[38:39], v19, v21 src0_sel:BYTE_0 src1_sel:DWORD
	s_and_saveexec_b64 s[36:37], s[38:39]
	s_cbranch_execz .LBB42_34
; %bb.31:
	s_mov_b64 s[38:39], 0
	v_mov_b32_e32 v15, 0
.LBB42_32:                              ; =>This Inner Loop Header: Depth=1
	global_load_dwordx2 v[18:19], v[22:23], off glc
	s_waitcnt vmcnt(0)
	v_cmp_ne_u16_sdwa s[42:43], v19, v15 src0_sel:BYTE_0 src1_sel:DWORD
	s_or_b64 s[38:39], s[42:43], s[38:39]
	s_andn2_b64 exec, exec, s[38:39]
	s_cbranch_execnz .LBB42_32
; %bb.33:
	s_or_b64 exec, exec, s[38:39]
.LBB42_34:
	s_or_b64 exec, exec, s[36:37]
	v_and_b32_e32 v33, 63, v27
	v_mov_b32_e32 v32, 2
	v_cmp_ne_u32_e32 vcc, 63, v33
	v_cmp_eq_u16_sdwa s[36:37], v19, v32 src0_sel:BYTE_0 src1_sel:DWORD
	v_lshlrev_b64 v[20:21], v27, -1
	v_addc_co_u32_e32 v22, vcc, 0, v27, vcc
	v_and_b32_e32 v15, s37, v21
	v_lshlrev_b32_e32 v34, 2, v22
	v_or_b32_e32 v15, 0x80000000, v15
	ds_bpermute_b32 v22, v34, v18
	v_and_b32_e32 v17, s36, v20
	v_ffbl_b32_e32 v15, v15
	v_add_u32_e32 v15, 32, v15
	v_ffbl_b32_e32 v17, v17
	v_min_u32_e32 v15, v17, v15
	v_cmp_lt_u32_e32 vcc, v33, v15
	s_waitcnt lgkmcnt(0)
	v_cndmask_b32_e32 v17, 0, v22, vcc
	v_cmp_gt_u32_e32 vcc, 62, v33
	v_add_u32_e32 v17, v17, v18
	v_cndmask_b32_e64 v18, 0, 1, vcc
	v_lshlrev_b32_e32 v18, 1, v18
	v_add_lshl_u32 v35, v18, v27, 2
	ds_bpermute_b32 v18, v35, v17
	v_add_u32_e32 v36, 2, v33
	v_cmp_le_u32_e32 vcc, v36, v15
	v_add_u32_e32 v38, 4, v33
	v_add_u32_e32 v40, 8, v33
	s_waitcnt lgkmcnt(0)
	v_cndmask_b32_e32 v18, 0, v18, vcc
	v_cmp_gt_u32_e32 vcc, 60, v33
	v_add_u32_e32 v17, v17, v18
	v_cndmask_b32_e64 v18, 0, 1, vcc
	v_lshlrev_b32_e32 v18, 2, v18
	v_add_lshl_u32 v37, v18, v27, 2
	ds_bpermute_b32 v18, v37, v17
	v_cmp_le_u32_e32 vcc, v38, v15
	v_add_u32_e32 v42, 16, v33
	v_add_u32_e32 v44, 32, v33
	s_waitcnt lgkmcnt(0)
	v_cndmask_b32_e32 v18, 0, v18, vcc
	v_cmp_gt_u32_e32 vcc, 56, v33
	v_add_u32_e32 v17, v17, v18
	v_cndmask_b32_e64 v18, 0, 1, vcc
	v_lshlrev_b32_e32 v18, 3, v18
	v_add_lshl_u32 v39, v18, v27, 2
	ds_bpermute_b32 v18, v39, v17
	v_cmp_le_u32_e32 vcc, v40, v15
	s_waitcnt lgkmcnt(0)
	v_cndmask_b32_e32 v18, 0, v18, vcc
	v_cmp_gt_u32_e32 vcc, 48, v33
	v_add_u32_e32 v17, v17, v18
	v_cndmask_b32_e64 v18, 0, 1, vcc
	v_lshlrev_b32_e32 v18, 4, v18
	v_add_lshl_u32 v41, v18, v27, 2
	ds_bpermute_b32 v18, v41, v17
	v_cmp_le_u32_e32 vcc, v42, v15
	;; [unrolled: 9-line block ×3, first 2 shown]
	s_waitcnt lgkmcnt(0)
	v_cndmask_b32_e32 v15, 0, v18, vcc
	v_add_u32_e32 v18, v17, v15
	v_mov_b32_e32 v17, 0
	s_branch .LBB42_36
.LBB42_35:                              ;   in Loop: Header=BB42_36 Depth=1
	s_or_b64 exec, exec, s[36:37]
	v_cmp_eq_u16_sdwa s[36:37], v19, v32 src0_sel:BYTE_0 src1_sel:DWORD
	v_and_b32_e32 v22, s37, v21
	v_or_b32_e32 v22, 0x80000000, v22
	ds_bpermute_b32 v45, v34, v18
	v_and_b32_e32 v23, s36, v20
	v_ffbl_b32_e32 v22, v22
	v_add_u32_e32 v22, 32, v22
	v_ffbl_b32_e32 v23, v23
	v_min_u32_e32 v22, v23, v22
	v_cmp_lt_u32_e32 vcc, v33, v22
	s_waitcnt lgkmcnt(0)
	v_cndmask_b32_e32 v23, 0, v45, vcc
	v_add_u32_e32 v18, v23, v18
	ds_bpermute_b32 v23, v35, v18
	v_cmp_le_u32_e32 vcc, v36, v22
	v_subrev_u32_e32 v16, 64, v16
	s_waitcnt lgkmcnt(0)
	v_cndmask_b32_e32 v23, 0, v23, vcc
	v_add_u32_e32 v18, v18, v23
	ds_bpermute_b32 v23, v37, v18
	v_cmp_le_u32_e32 vcc, v38, v22
	s_waitcnt lgkmcnt(0)
	v_cndmask_b32_e32 v23, 0, v23, vcc
	v_add_u32_e32 v18, v18, v23
	ds_bpermute_b32 v23, v39, v18
	v_cmp_le_u32_e32 vcc, v40, v22
	;; [unrolled: 5-line block ×4, first 2 shown]
	s_waitcnt lgkmcnt(0)
	v_cndmask_b32_e32 v22, 0, v23, vcc
	v_add3_u32 v18, v22, v15, v18
.LBB42_36:                              ; =>This Loop Header: Depth=1
                                        ;     Child Loop BB42_39 Depth 2
	v_cmp_ne_u16_sdwa s[36:37], v19, v32 src0_sel:BYTE_0 src1_sel:DWORD
	v_cndmask_b32_e64 v15, 0, 1, s[36:37]
	;;#ASMSTART
	;;#ASMEND
	v_cmp_ne_u32_e32 vcc, 0, v15
	s_cmp_lg_u64 vcc, exec
	v_mov_b32_e32 v15, v18
	s_cbranch_scc1 .LBB42_41
; %bb.37:                               ;   in Loop: Header=BB42_36 Depth=1
	v_lshlrev_b64 v[18:19], 3, v[16:17]
	v_mov_b32_e32 v23, s35
	v_add_co_u32_e32 v22, vcc, s34, v18
	v_addc_co_u32_e32 v23, vcc, v23, v19, vcc
	global_load_dwordx2 v[18:19], v[22:23], off glc
	s_waitcnt vmcnt(0)
	v_cmp_eq_u16_sdwa s[38:39], v19, v17 src0_sel:BYTE_0 src1_sel:DWORD
	s_and_saveexec_b64 s[36:37], s[38:39]
	s_cbranch_execz .LBB42_35
; %bb.38:                               ;   in Loop: Header=BB42_36 Depth=1
	s_mov_b64 s[38:39], 0
.LBB42_39:                              ;   Parent Loop BB42_36 Depth=1
                                        ; =>  This Inner Loop Header: Depth=2
	global_load_dwordx2 v[18:19], v[22:23], off glc
	s_waitcnt vmcnt(0)
	v_cmp_ne_u16_sdwa s[42:43], v19, v17 src0_sel:BYTE_0 src1_sel:DWORD
	s_or_b64 s[38:39], s[42:43], s[38:39]
	s_andn2_b64 exec, exec, s[38:39]
	s_cbranch_execnz .LBB42_39
; %bb.40:                               ;   in Loop: Header=BB42_36 Depth=1
	s_or_b64 exec, exec, s[38:39]
	s_branch .LBB42_35
.LBB42_41:                              ;   in Loop: Header=BB42_36 Depth=1
                                        ; implicit-def: $vgpr18
                                        ; implicit-def: $vgpr19
	s_cbranch_execz .LBB42_36
; %bb.42:
	s_and_saveexec_b64 s[36:37], s[18:19]
	s_cbranch_execz .LBB42_44
; %bb.43:
	s_add_i32 s38, s40, 64
	s_mov_b32 s39, 0
	s_lshl_b64 s[38:39], s[38:39], 3
	s_add_u32 s38, s34, s38
	v_add_u32_e32 v16, v15, v14
	v_mov_b32_e32 v17, 2
	s_addc_u32 s39, s35, s39
	v_mov_b32_e32 v18, 0
	global_store_dwordx2 v18, v[16:17], s[38:39]
	ds_write_b64 v18, v[14:15] offset:6336
.LBB42_44:
	s_or_b64 exec, exec, s[36:37]
	s_and_b64 exec, exec, s[0:1]
	s_cbranch_execz .LBB42_46
; %bb.45:
	v_mov_b32_e32 v14, 0
	ds_write_b32 v14, v15 offset:8
.LBB42_46:
	s_or_b64 exec, exec, s[24:25]
	v_mov_b32_e32 v14, 0
	s_waitcnt lgkmcnt(0)
	s_barrier
	ds_read_b32 v15, v14 offset:8
	v_cndmask_b32_e64 v16, v31, v30, s[18:19]
	v_cndmask_b32_e64 v16, v16, 0, s[0:1]
	s_waitcnt lgkmcnt(0)
	s_barrier
	v_add_u32_e32 v18, v15, v16
	ds_read_b64 v[14:15], v14 offset:6336
	v_add_u32_sdwa v19, v18, v24 dst_sel:DWORD dst_unused:UNUSED_PAD src0_sel:DWORD src1_sel:BYTE_0
	v_add_u32_sdwa v17, v19, v24 dst_sel:DWORD dst_unused:UNUSED_PAD src0_sel:DWORD src1_sel:BYTE_1
	v_add_u32_e32 v16, v17, v26
	s_branch .LBB42_57
.LBB42_47:
                                        ; implicit-def: $vgpr15
                                        ; implicit-def: $vgpr16
                                        ; implicit-def: $vgpr17
                                        ; implicit-def: $vgpr19
                                        ; implicit-def: $vgpr18
	s_cbranch_execz .LBB42_57
; %bb.48:
	s_waitcnt lgkmcnt(0)
	v_mov_b32_dpp v14, v29 row_shr:1 row_mask:0xf bank_mask:0xf
	v_cndmask_b32_e64 v14, v14, 0, s[16:17]
	v_add_u32_e32 v14, v14, v29
	s_nop 1
	v_mov_b32_dpp v15, v14 row_shr:2 row_mask:0xf bank_mask:0xf
	v_cndmask_b32_e64 v15, 0, v15, s[14:15]
	v_add_u32_e32 v14, v14, v15
	s_nop 1
	;; [unrolled: 4-line block ×4, first 2 shown]
	v_mov_b32_dpp v15, v14 row_bcast:15 row_mask:0xf bank_mask:0xf
	v_cndmask_b32_e64 v15, v15, 0, s[6:7]
	v_add_u32_e32 v14, v14, v15
	s_nop 1
	v_mov_b32_dpp v15, v14 row_bcast:31 row_mask:0xf bank_mask:0xf
	v_cndmask_b32_e64 v15, 0, v15, s[4:5]
	v_add_u32_e32 v14, v14, v15
	s_and_saveexec_b64 s[4:5], s[8:9]
	s_cbranch_execz .LBB42_50
; %bb.49:
	v_lshlrev_b32_e32 v15, 2, v28
	ds_write_b32 v15, v14
.LBB42_50:
	s_or_b64 exec, exec, s[4:5]
	v_cmp_gt_u32_e32 vcc, 3, v0
	s_waitcnt lgkmcnt(0)
	s_barrier
	s_and_saveexec_b64 s[4:5], vcc
	s_cbranch_execz .LBB42_52
; %bb.51:
	ds_read_b32 v15, v11
	v_and_b32_e32 v16, 3, v27
	v_cmp_ne_u32_e32 vcc, 0, v16
	s_waitcnt lgkmcnt(0)
	v_mov_b32_dpp v17, v15 row_shr:1 row_mask:0xf bank_mask:0xf
	v_cndmask_b32_e32 v17, 0, v17, vcc
	v_add_u32_e32 v15, v17, v15
	v_cmp_lt_u32_e32 vcc, 1, v16
	s_nop 0
	v_mov_b32_dpp v17, v15 row_shr:2 row_mask:0xf bank_mask:0xf
	v_cndmask_b32_e32 v16, 0, v17, vcc
	v_add_u32_e32 v15, v15, v16
	ds_write_b32 v11, v15
.LBB42_52:
	s_or_b64 exec, exec, s[4:5]
	v_cmp_lt_u32_e32 vcc, 63, v0
	v_mov_b32_e32 v15, 0
	v_mov_b32_e32 v16, 0
	s_waitcnt lgkmcnt(0)
	s_barrier
	s_and_saveexec_b64 s[4:5], vcc
	s_cbranch_execz .LBB42_54
; %bb.53:
	v_lshl_add_u32 v16, v28, 2, -4
	ds_read_b32 v16, v16
.LBB42_54:
	s_or_b64 exec, exec, s[4:5]
	v_add_u32_e32 v17, -1, v27
	v_and_b32_e32 v18, 64, v27
	v_cmp_lt_i32_e32 vcc, v17, v18
	v_cndmask_b32_e32 v17, v17, v27, vcc
	s_waitcnt lgkmcnt(0)
	v_add_u32_e32 v14, v16, v14
	v_lshlrev_b32_e32 v17, 2, v17
	ds_bpermute_b32 v17, v17, v14
	ds_read_b32 v14, v15 offset:8
	s_and_saveexec_b64 s[4:5], s[0:1]
	s_cbranch_execz .LBB42_56
; %bb.55:
	v_mov_b32_e32 v18, 0
	v_mov_b32_e32 v15, 2
	s_waitcnt lgkmcnt(0)
	global_store_dwordx2 v18, v[14:15], s[34:35] offset:512
.LBB42_56:
	s_or_b64 exec, exec, s[4:5]
	v_cmp_eq_u32_e32 vcc, 0, v27
	s_waitcnt lgkmcnt(1)
	v_cndmask_b32_e32 v16, v17, v16, vcc
	v_cndmask_b32_e64 v18, v16, 0, s[0:1]
	v_add_u32_sdwa v19, v18, v24 dst_sel:DWORD dst_unused:UNUSED_PAD src0_sel:DWORD src1_sel:BYTE_0
	v_add_u32_sdwa v17, v19, v24 dst_sel:DWORD dst_unused:UNUSED_PAD src0_sel:DWORD src1_sel:BYTE_1
	v_mov_b32_e32 v15, 0
	v_add_u32_e32 v16, v17, v26
	s_waitcnt lgkmcnt(0)
	s_barrier
.LBB42_57:
	s_waitcnt lgkmcnt(0)
	v_add_u32_e32 v11, v14, v11
	v_sub_u32_e32 v18, v18, v15
	v_and_b32_e32 v22, 1, v24
	v_sub_u32_e32 v21, v11, v18
	v_cmp_eq_u32_e32 vcc, 1, v22
	v_cndmask_b32_e32 v18, v21, v18, vcc
	v_lshlrev_b32_e32 v18, 3, v18
	v_lshrrev_b32_e32 v20, 8, v24
	ds_write_b64 v18, v[6:7]
	v_sub_u32_e32 v6, v19, v15
	v_sub_u32_e32 v7, v11, v6
	v_and_b32_e32 v18, 1, v20
	v_add_u32_e32 v7, 1, v7
	v_cmp_eq_u32_e32 vcc, 1, v18
	v_cndmask_b32_e32 v6, v7, v6, vcc
	v_lshlrev_b32_e32 v6, 3, v6
	ds_write_b64 v6, v[8:9]
	v_sub_u32_e32 v6, v17, v15
	v_mov_b32_e32 v8, 1
	v_sub_u32_e32 v7, v11, v6
	v_and_b32_sdwa v8, v8, v24 dst_sel:DWORD dst_unused:UNUSED_PAD src0_sel:DWORD src1_sel:WORD_1
	v_add_u32_e32 v7, 2, v7
	v_cmp_eq_u32_e32 vcc, 1, v8
	v_cndmask_b32_e32 v6, v7, v6, vcc
	v_lshlrev_b32_e32 v6, 3, v6
	ds_write_b64 v6, v[2:3]
	v_sub_u32_e32 v2, v16, v15
	v_sub_u32_e32 v3, v11, v2
	v_and_b32_e32 v6, 1, v25
	v_add_u32_e32 v3, 3, v3
	v_cmp_eq_u32_e32 vcc, 1, v6
	v_cndmask_b32_e32 v2, v3, v2, vcc
	v_lshlrev_b32_e32 v2, 3, v2
	ds_write_b64 v2, v[4:5]
	s_waitcnt lgkmcnt(0)
	s_barrier
	ds_read2st64_b64 v[6:9], v1 offset1:3
	ds_read2st64_b64 v[2:5], v1 offset0:6 offset1:9
	s_waitcnt vmcnt(0)
	v_add_co_u32_e32 v1, vcc, v12, v15
	v_addc_co_u32_e32 v12, vcc, 0, v13, vcc
	v_mov_b32_e32 v11, s27
	v_add_co_u32_e32 v10, vcc, s26, v10
	v_addc_co_u32_e32 v11, vcc, 0, v11, vcc
	v_mov_b32_e32 v13, s31
	v_sub_co_u32_e32 v10, vcc, s30, v10
	v_subb_co_u32_e32 v11, vcc, v13, v11, vcc
	v_add_co_u32_e32 v10, vcc, v10, v14
	v_addc_co_u32_e32 v11, vcc, 0, v11, vcc
	s_and_b64 vcc, exec, s[2:3]
	v_add_co_u32_e64 v13, s[2:3], v10, v1
	v_add_u32_e32 v18, 0xc0, v0
	v_add_u32_e32 v17, 0x180, v0
	;; [unrolled: 1-line block ×3, first 2 shown]
	v_addc_co_u32_e64 v15, s[2:3], v11, v12, s[2:3]
	s_cbranch_vccnz .LBB42_78
; %bb.58:
	v_cmp_ge_u32_e32 vcc, v0, v14
                                        ; implicit-def: $vgpr10_vgpr11
	s_and_saveexec_b64 s[2:3], vcc
	s_xor_b64 s[2:3], exec, s[2:3]
; %bb.59:
	v_not_b32_e32 v10, v0
	v_ashrrev_i32_e32 v11, 31, v10
	v_add_co_u32_e32 v10, vcc, v13, v10
	v_addc_co_u32_e32 v11, vcc, v15, v11, vcc
; %bb.60:
	s_andn2_saveexec_b64 s[2:3], s[2:3]
; %bb.61:
	v_add_co_u32_e32 v10, vcc, v1, v0
	v_addc_co_u32_e32 v11, vcc, 0, v12, vcc
; %bb.62:
	s_or_b64 exec, exec, s[2:3]
	v_lshlrev_b64 v[10:11], 3, v[10:11]
	v_mov_b32_e32 v19, s29
	v_add_co_u32_e32 v10, vcc, s28, v10
	v_addc_co_u32_e32 v11, vcc, v19, v11, vcc
	v_cmp_ge_u32_e32 vcc, v18, v14
	s_waitcnt lgkmcnt(1)
	global_store_dwordx2 v[10:11], v[6:7], off
                                        ; implicit-def: $vgpr10_vgpr11
	s_and_saveexec_b64 s[2:3], vcc
	s_xor_b64 s[2:3], exec, s[2:3]
; %bb.63:
	v_sub_u32_e32 v10, 0xffffff3f, v0
	v_ashrrev_i32_e32 v11, 31, v10
	v_add_co_u32_e32 v10, vcc, v13, v10
	v_addc_co_u32_e32 v11, vcc, v15, v11, vcc
; %bb.64:
	s_andn2_saveexec_b64 s[2:3], s[2:3]
; %bb.65:
	v_add_co_u32_e32 v10, vcc, v1, v18
	v_addc_co_u32_e32 v11, vcc, 0, v12, vcc
; %bb.66:
	s_or_b64 exec, exec, s[2:3]
	v_lshlrev_b64 v[10:11], 3, v[10:11]
	v_mov_b32_e32 v19, s29
	v_add_co_u32_e32 v10, vcc, s28, v10
	v_addc_co_u32_e32 v11, vcc, v19, v11, vcc
	v_cmp_ge_u32_e32 vcc, v17, v14
	global_store_dwordx2 v[10:11], v[8:9], off
                                        ; implicit-def: $vgpr10_vgpr11
	s_and_saveexec_b64 s[2:3], vcc
	s_xor_b64 s[2:3], exec, s[2:3]
; %bb.67:
	v_sub_u32_e32 v10, 0xfffffe7f, v0
	v_ashrrev_i32_e32 v11, 31, v10
	v_add_co_u32_e32 v10, vcc, v13, v10
	v_addc_co_u32_e32 v11, vcc, v15, v11, vcc
; %bb.68:
	s_andn2_saveexec_b64 s[2:3], s[2:3]
; %bb.69:
	v_add_co_u32_e32 v10, vcc, v1, v17
	v_addc_co_u32_e32 v11, vcc, 0, v12, vcc
; %bb.70:
	s_or_b64 exec, exec, s[2:3]
	v_lshlrev_b64 v[10:11], 3, v[10:11]
	v_mov_b32_e32 v19, s29
	v_add_co_u32_e32 v10, vcc, s28, v10
	v_addc_co_u32_e32 v11, vcc, v19, v11, vcc
	v_cmp_ge_u32_e32 vcc, v16, v14
	s_waitcnt lgkmcnt(0)
	global_store_dwordx2 v[10:11], v[2:3], off
                                        ; implicit-def: $vgpr10_vgpr11
	s_and_saveexec_b64 s[2:3], vcc
	s_xor_b64 s[2:3], exec, s[2:3]
; %bb.71:
	v_sub_u32_e32 v10, 0xfffffdbf, v0
	v_ashrrev_i32_e32 v11, 31, v10
	v_add_co_u32_e32 v10, vcc, v13, v10
	v_addc_co_u32_e32 v11, vcc, v15, v11, vcc
; %bb.72:
	s_andn2_saveexec_b64 s[2:3], s[2:3]
; %bb.73:
	v_add_co_u32_e32 v10, vcc, v1, v16
	v_addc_co_u32_e32 v11, vcc, 0, v12, vcc
; %bb.74:
	s_or_b64 exec, exec, s[2:3]
	s_mov_b64 s[2:3], -1
.LBB42_75:
	s_and_saveexec_b64 s[4:5], s[2:3]
	s_cbranch_execz .LBB42_88
.LBB42_76:
	s_waitcnt lgkmcnt(0)
	v_lshlrev_b64 v[2:3], 3, v[10:11]
	v_mov_b32_e32 v0, s29
	v_add_co_u32_e32 v2, vcc, s28, v2
	v_addc_co_u32_e32 v3, vcc, v0, v3, vcc
	global_store_dwordx2 v[2:3], v[4:5], off
	s_or_b64 exec, exec, s[4:5]
	s_and_b64 s[0:1], s[0:1], s[22:23]
	s_and_saveexec_b64 s[2:3], s[0:1]
	s_cbranch_execnz .LBB42_89
.LBB42_77:
	s_endpgm
.LBB42_78:
	s_mov_b64 s[2:3], 0
                                        ; implicit-def: $vgpr10_vgpr11
	s_cbranch_execz .LBB42_75
; %bb.79:
	v_cmp_gt_u32_e32 vcc, s33, v0
	s_and_saveexec_b64 s[4:5], vcc
	s_cbranch_execz .LBB42_90
; %bb.80:
	v_cmp_ge_u32_e32 vcc, v0, v14
                                        ; implicit-def: $vgpr10_vgpr11
	s_and_saveexec_b64 s[6:7], vcc
	s_xor_b64 s[6:7], exec, s[6:7]
; %bb.81:
	v_not_b32_e32 v10, v0
	v_ashrrev_i32_e32 v11, 31, v10
	v_add_co_u32_e32 v10, vcc, v13, v10
	v_addc_co_u32_e32 v11, vcc, v15, v11, vcc
; %bb.82:
	s_andn2_saveexec_b64 s[6:7], s[6:7]
; %bb.83:
	v_add_co_u32_e32 v10, vcc, v1, v0
	v_addc_co_u32_e32 v11, vcc, 0, v12, vcc
; %bb.84:
	s_or_b64 exec, exec, s[6:7]
	v_lshlrev_b64 v[10:11], 3, v[10:11]
	v_mov_b32_e32 v19, s29
	v_add_co_u32_e32 v10, vcc, s28, v10
	v_addc_co_u32_e32 v11, vcc, v19, v11, vcc
	s_waitcnt lgkmcnt(1)
	global_store_dwordx2 v[10:11], v[6:7], off
	s_or_b64 exec, exec, s[4:5]
	v_cmp_gt_u32_e32 vcc, s33, v18
	s_and_saveexec_b64 s[4:5], vcc
	s_cbranch_execnz .LBB42_91
.LBB42_85:
	s_or_b64 exec, exec, s[4:5]
	v_cmp_gt_u32_e32 vcc, s33, v17
	s_and_saveexec_b64 s[4:5], vcc
	s_cbranch_execnz .LBB42_96
.LBB42_86:
	s_or_b64 exec, exec, s[4:5]
	v_cmp_gt_u32_e32 vcc, s33, v16
                                        ; implicit-def: $vgpr10_vgpr11
	s_and_saveexec_b64 s[4:5], vcc
	s_cbranch_execnz .LBB42_101
.LBB42_87:
	s_or_b64 exec, exec, s[4:5]
	s_and_saveexec_b64 s[4:5], s[2:3]
	s_cbranch_execnz .LBB42_76
.LBB42_88:
	s_or_b64 exec, exec, s[4:5]
	s_and_b64 s[0:1], s[0:1], s[22:23]
	s_and_saveexec_b64 s[2:3], s[0:1]
	s_cbranch_execz .LBB42_77
.LBB42_89:
	v_add_co_u32_e32 v0, vcc, v1, v14
	s_waitcnt lgkmcnt(0)
	v_mov_b32_e32 v2, 0
	v_addc_co_u32_e32 v1, vcc, 0, v12, vcc
	global_store_dwordx2 v2, v[0:1], s[20:21]
	s_endpgm
.LBB42_90:
	s_or_b64 exec, exec, s[4:5]
	v_cmp_gt_u32_e32 vcc, s33, v18
	s_and_saveexec_b64 s[4:5], vcc
	s_cbranch_execz .LBB42_85
.LBB42_91:
	v_cmp_ge_u32_e32 vcc, v18, v14
                                        ; implicit-def: $vgpr6_vgpr7
	s_and_saveexec_b64 s[6:7], vcc
	s_xor_b64 s[6:7], exec, s[6:7]
	s_cbranch_execz .LBB42_93
; %bb.92:
	s_waitcnt lgkmcnt(1)
	v_sub_u32_e32 v6, 0xffffff3f, v0
	v_ashrrev_i32_e32 v7, 31, v6
	v_add_co_u32_e32 v6, vcc, v13, v6
	v_addc_co_u32_e32 v7, vcc, v15, v7, vcc
                                        ; implicit-def: $vgpr18
.LBB42_93:
	s_andn2_saveexec_b64 s[6:7], s[6:7]
	s_cbranch_execz .LBB42_95
; %bb.94:
	s_waitcnt lgkmcnt(1)
	v_add_co_u32_e32 v6, vcc, v1, v18
	v_addc_co_u32_e32 v7, vcc, 0, v12, vcc
.LBB42_95:
	s_or_b64 exec, exec, s[6:7]
	s_waitcnt lgkmcnt(1)
	v_lshlrev_b64 v[6:7], 3, v[6:7]
	v_mov_b32_e32 v10, s29
	v_add_co_u32_e32 v6, vcc, s28, v6
	v_addc_co_u32_e32 v7, vcc, v10, v7, vcc
	global_store_dwordx2 v[6:7], v[8:9], off
	s_or_b64 exec, exec, s[4:5]
	v_cmp_gt_u32_e32 vcc, s33, v17
	s_and_saveexec_b64 s[4:5], vcc
	s_cbranch_execz .LBB42_86
.LBB42_96:
	v_cmp_ge_u32_e32 vcc, v17, v14
                                        ; implicit-def: $vgpr6_vgpr7
	s_and_saveexec_b64 s[6:7], vcc
	s_xor_b64 s[6:7], exec, s[6:7]
	s_cbranch_execz .LBB42_98
; %bb.97:
	s_waitcnt lgkmcnt(1)
	v_sub_u32_e32 v6, 0xfffffe7f, v0
	v_ashrrev_i32_e32 v7, 31, v6
	v_add_co_u32_e32 v6, vcc, v13, v6
	v_addc_co_u32_e32 v7, vcc, v15, v7, vcc
                                        ; implicit-def: $vgpr17
.LBB42_98:
	s_andn2_saveexec_b64 s[6:7], s[6:7]
	s_cbranch_execz .LBB42_100
; %bb.99:
	s_waitcnt lgkmcnt(1)
	v_add_co_u32_e32 v6, vcc, v1, v17
	v_addc_co_u32_e32 v7, vcc, 0, v12, vcc
.LBB42_100:
	s_or_b64 exec, exec, s[6:7]
	s_waitcnt lgkmcnt(1)
	v_lshlrev_b64 v[6:7], 3, v[6:7]
	v_mov_b32_e32 v8, s29
	v_add_co_u32_e32 v6, vcc, s28, v6
	v_addc_co_u32_e32 v7, vcc, v8, v7, vcc
	s_waitcnt lgkmcnt(0)
	global_store_dwordx2 v[6:7], v[2:3], off
	s_or_b64 exec, exec, s[4:5]
	v_cmp_gt_u32_e32 vcc, s33, v16
                                        ; implicit-def: $vgpr10_vgpr11
	s_and_saveexec_b64 s[4:5], vcc
	s_cbranch_execz .LBB42_87
.LBB42_101:
	v_cmp_ge_u32_e32 vcc, v16, v14
                                        ; implicit-def: $vgpr10_vgpr11
	s_and_saveexec_b64 s[6:7], vcc
	s_xor_b64 s[6:7], exec, s[6:7]
	s_cbranch_execz .LBB42_103
; %bb.102:
	v_sub_u32_e32 v0, 0xfffffdbf, v0
	s_waitcnt lgkmcnt(0)
	v_ashrrev_i32_e32 v2, 31, v0
	v_add_co_u32_e32 v10, vcc, v13, v0
	v_addc_co_u32_e32 v11, vcc, v15, v2, vcc
                                        ; implicit-def: $vgpr16
.LBB42_103:
	s_andn2_saveexec_b64 s[6:7], s[6:7]
; %bb.104:
	v_add_co_u32_e32 v10, vcc, v1, v16
	v_addc_co_u32_e32 v11, vcc, 0, v12, vcc
; %bb.105:
	s_or_b64 exec, exec, s[6:7]
	s_or_b64 s[2:3], s[2:3], exec
	s_or_b64 exec, exec, s[4:5]
	s_and_saveexec_b64 s[4:5], s[2:3]
	s_cbranch_execnz .LBB42_76
	s_branch .LBB42_88
	.section	.rodata,"a",@progbits
	.p2align	6, 0x0
	.amdhsa_kernel _ZN7rocprim17ROCPRIM_400000_NS6detail17trampoline_kernelINS0_14default_configENS1_25partition_config_selectorILNS1_17partition_subalgoE3ExNS0_10empty_typeEbEEZZNS1_14partition_implILS5_3ELb0ES3_jN6thrust23THRUST_200600_302600_NS6detail15normal_iteratorINSA_7pointerIxNSA_11hip_rocprim3tagENSA_11use_defaultESG_EEEEPS6_SJ_NS0_5tupleIJPxSJ_EEENSK_IJSJ_SJ_EEES6_PlJ7is_evenIxEEEE10hipError_tPvRmT3_T4_T5_T6_T7_T9_mT8_P12ihipStream_tbDpT10_ENKUlT_T0_E_clISt17integral_constantIbLb0EES19_IbLb1EEEEDaS15_S16_EUlS15_E_NS1_11comp_targetILNS1_3genE4ELNS1_11target_archE910ELNS1_3gpuE8ELNS1_3repE0EEENS1_30default_config_static_selectorELNS0_4arch9wavefront6targetE1EEEvT1_
		.amdhsa_group_segment_fixed_size 6344
		.amdhsa_private_segment_fixed_size 0
		.amdhsa_kernarg_size 136
		.amdhsa_user_sgpr_count 6
		.amdhsa_user_sgpr_private_segment_buffer 1
		.amdhsa_user_sgpr_dispatch_ptr 0
		.amdhsa_user_sgpr_queue_ptr 0
		.amdhsa_user_sgpr_kernarg_segment_ptr 1
		.amdhsa_user_sgpr_dispatch_id 0
		.amdhsa_user_sgpr_flat_scratch_init 0
		.amdhsa_user_sgpr_kernarg_preload_length 0
		.amdhsa_user_sgpr_kernarg_preload_offset 0
		.amdhsa_user_sgpr_private_segment_size 0
		.amdhsa_uses_dynamic_stack 0
		.amdhsa_system_sgpr_private_segment_wavefront_offset 0
		.amdhsa_system_sgpr_workgroup_id_x 1
		.amdhsa_system_sgpr_workgroup_id_y 0
		.amdhsa_system_sgpr_workgroup_id_z 0
		.amdhsa_system_sgpr_workgroup_info 0
		.amdhsa_system_vgpr_workitem_id 0
		.amdhsa_next_free_vgpr 46
		.amdhsa_next_free_sgpr 44
		.amdhsa_accum_offset 48
		.amdhsa_reserve_vcc 1
		.amdhsa_reserve_flat_scratch 0
		.amdhsa_float_round_mode_32 0
		.amdhsa_float_round_mode_16_64 0
		.amdhsa_float_denorm_mode_32 3
		.amdhsa_float_denorm_mode_16_64 3
		.amdhsa_dx10_clamp 1
		.amdhsa_ieee_mode 1
		.amdhsa_fp16_overflow 0
		.amdhsa_tg_split 0
		.amdhsa_exception_fp_ieee_invalid_op 0
		.amdhsa_exception_fp_denorm_src 0
		.amdhsa_exception_fp_ieee_div_zero 0
		.amdhsa_exception_fp_ieee_overflow 0
		.amdhsa_exception_fp_ieee_underflow 0
		.amdhsa_exception_fp_ieee_inexact 0
		.amdhsa_exception_int_div_zero 0
	.end_amdhsa_kernel
	.section	.text._ZN7rocprim17ROCPRIM_400000_NS6detail17trampoline_kernelINS0_14default_configENS1_25partition_config_selectorILNS1_17partition_subalgoE3ExNS0_10empty_typeEbEEZZNS1_14partition_implILS5_3ELb0ES3_jN6thrust23THRUST_200600_302600_NS6detail15normal_iteratorINSA_7pointerIxNSA_11hip_rocprim3tagENSA_11use_defaultESG_EEEEPS6_SJ_NS0_5tupleIJPxSJ_EEENSK_IJSJ_SJ_EEES6_PlJ7is_evenIxEEEE10hipError_tPvRmT3_T4_T5_T6_T7_T9_mT8_P12ihipStream_tbDpT10_ENKUlT_T0_E_clISt17integral_constantIbLb0EES19_IbLb1EEEEDaS15_S16_EUlS15_E_NS1_11comp_targetILNS1_3genE4ELNS1_11target_archE910ELNS1_3gpuE8ELNS1_3repE0EEENS1_30default_config_static_selectorELNS0_4arch9wavefront6targetE1EEEvT1_,"axG",@progbits,_ZN7rocprim17ROCPRIM_400000_NS6detail17trampoline_kernelINS0_14default_configENS1_25partition_config_selectorILNS1_17partition_subalgoE3ExNS0_10empty_typeEbEEZZNS1_14partition_implILS5_3ELb0ES3_jN6thrust23THRUST_200600_302600_NS6detail15normal_iteratorINSA_7pointerIxNSA_11hip_rocprim3tagENSA_11use_defaultESG_EEEEPS6_SJ_NS0_5tupleIJPxSJ_EEENSK_IJSJ_SJ_EEES6_PlJ7is_evenIxEEEE10hipError_tPvRmT3_T4_T5_T6_T7_T9_mT8_P12ihipStream_tbDpT10_ENKUlT_T0_E_clISt17integral_constantIbLb0EES19_IbLb1EEEEDaS15_S16_EUlS15_E_NS1_11comp_targetILNS1_3genE4ELNS1_11target_archE910ELNS1_3gpuE8ELNS1_3repE0EEENS1_30default_config_static_selectorELNS0_4arch9wavefront6targetE1EEEvT1_,comdat
.Lfunc_end42:
	.size	_ZN7rocprim17ROCPRIM_400000_NS6detail17trampoline_kernelINS0_14default_configENS1_25partition_config_selectorILNS1_17partition_subalgoE3ExNS0_10empty_typeEbEEZZNS1_14partition_implILS5_3ELb0ES3_jN6thrust23THRUST_200600_302600_NS6detail15normal_iteratorINSA_7pointerIxNSA_11hip_rocprim3tagENSA_11use_defaultESG_EEEEPS6_SJ_NS0_5tupleIJPxSJ_EEENSK_IJSJ_SJ_EEES6_PlJ7is_evenIxEEEE10hipError_tPvRmT3_T4_T5_T6_T7_T9_mT8_P12ihipStream_tbDpT10_ENKUlT_T0_E_clISt17integral_constantIbLb0EES19_IbLb1EEEEDaS15_S16_EUlS15_E_NS1_11comp_targetILNS1_3genE4ELNS1_11target_archE910ELNS1_3gpuE8ELNS1_3repE0EEENS1_30default_config_static_selectorELNS0_4arch9wavefront6targetE1EEEvT1_, .Lfunc_end42-_ZN7rocprim17ROCPRIM_400000_NS6detail17trampoline_kernelINS0_14default_configENS1_25partition_config_selectorILNS1_17partition_subalgoE3ExNS0_10empty_typeEbEEZZNS1_14partition_implILS5_3ELb0ES3_jN6thrust23THRUST_200600_302600_NS6detail15normal_iteratorINSA_7pointerIxNSA_11hip_rocprim3tagENSA_11use_defaultESG_EEEEPS6_SJ_NS0_5tupleIJPxSJ_EEENSK_IJSJ_SJ_EEES6_PlJ7is_evenIxEEEE10hipError_tPvRmT3_T4_T5_T6_T7_T9_mT8_P12ihipStream_tbDpT10_ENKUlT_T0_E_clISt17integral_constantIbLb0EES19_IbLb1EEEEDaS15_S16_EUlS15_E_NS1_11comp_targetILNS1_3genE4ELNS1_11target_archE910ELNS1_3gpuE8ELNS1_3repE0EEENS1_30default_config_static_selectorELNS0_4arch9wavefront6targetE1EEEvT1_
                                        ; -- End function
	.section	.AMDGPU.csdata,"",@progbits
; Kernel info:
; codeLenInByte = 4120
; NumSgprs: 48
; NumVgprs: 46
; NumAgprs: 0
; TotalNumVgprs: 46
; ScratchSize: 0
; MemoryBound: 0
; FloatMode: 240
; IeeeMode: 1
; LDSByteSize: 6344 bytes/workgroup (compile time only)
; SGPRBlocks: 5
; VGPRBlocks: 5
; NumSGPRsForWavesPerEU: 48
; NumVGPRsForWavesPerEU: 46
; AccumOffset: 48
; Occupancy: 8
; WaveLimiterHint : 1
; COMPUTE_PGM_RSRC2:SCRATCH_EN: 0
; COMPUTE_PGM_RSRC2:USER_SGPR: 6
; COMPUTE_PGM_RSRC2:TRAP_HANDLER: 0
; COMPUTE_PGM_RSRC2:TGID_X_EN: 1
; COMPUTE_PGM_RSRC2:TGID_Y_EN: 0
; COMPUTE_PGM_RSRC2:TGID_Z_EN: 0
; COMPUTE_PGM_RSRC2:TIDIG_COMP_CNT: 0
; COMPUTE_PGM_RSRC3_GFX90A:ACCUM_OFFSET: 11
; COMPUTE_PGM_RSRC3_GFX90A:TG_SPLIT: 0
	.section	.text._ZN7rocprim17ROCPRIM_400000_NS6detail17trampoline_kernelINS0_14default_configENS1_25partition_config_selectorILNS1_17partition_subalgoE3ExNS0_10empty_typeEbEEZZNS1_14partition_implILS5_3ELb0ES3_jN6thrust23THRUST_200600_302600_NS6detail15normal_iteratorINSA_7pointerIxNSA_11hip_rocprim3tagENSA_11use_defaultESG_EEEEPS6_SJ_NS0_5tupleIJPxSJ_EEENSK_IJSJ_SJ_EEES6_PlJ7is_evenIxEEEE10hipError_tPvRmT3_T4_T5_T6_T7_T9_mT8_P12ihipStream_tbDpT10_ENKUlT_T0_E_clISt17integral_constantIbLb0EES19_IbLb1EEEEDaS15_S16_EUlS15_E_NS1_11comp_targetILNS1_3genE3ELNS1_11target_archE908ELNS1_3gpuE7ELNS1_3repE0EEENS1_30default_config_static_selectorELNS0_4arch9wavefront6targetE1EEEvT1_,"axG",@progbits,_ZN7rocprim17ROCPRIM_400000_NS6detail17trampoline_kernelINS0_14default_configENS1_25partition_config_selectorILNS1_17partition_subalgoE3ExNS0_10empty_typeEbEEZZNS1_14partition_implILS5_3ELb0ES3_jN6thrust23THRUST_200600_302600_NS6detail15normal_iteratorINSA_7pointerIxNSA_11hip_rocprim3tagENSA_11use_defaultESG_EEEEPS6_SJ_NS0_5tupleIJPxSJ_EEENSK_IJSJ_SJ_EEES6_PlJ7is_evenIxEEEE10hipError_tPvRmT3_T4_T5_T6_T7_T9_mT8_P12ihipStream_tbDpT10_ENKUlT_T0_E_clISt17integral_constantIbLb0EES19_IbLb1EEEEDaS15_S16_EUlS15_E_NS1_11comp_targetILNS1_3genE3ELNS1_11target_archE908ELNS1_3gpuE7ELNS1_3repE0EEENS1_30default_config_static_selectorELNS0_4arch9wavefront6targetE1EEEvT1_,comdat
	.protected	_ZN7rocprim17ROCPRIM_400000_NS6detail17trampoline_kernelINS0_14default_configENS1_25partition_config_selectorILNS1_17partition_subalgoE3ExNS0_10empty_typeEbEEZZNS1_14partition_implILS5_3ELb0ES3_jN6thrust23THRUST_200600_302600_NS6detail15normal_iteratorINSA_7pointerIxNSA_11hip_rocprim3tagENSA_11use_defaultESG_EEEEPS6_SJ_NS0_5tupleIJPxSJ_EEENSK_IJSJ_SJ_EEES6_PlJ7is_evenIxEEEE10hipError_tPvRmT3_T4_T5_T6_T7_T9_mT8_P12ihipStream_tbDpT10_ENKUlT_T0_E_clISt17integral_constantIbLb0EES19_IbLb1EEEEDaS15_S16_EUlS15_E_NS1_11comp_targetILNS1_3genE3ELNS1_11target_archE908ELNS1_3gpuE7ELNS1_3repE0EEENS1_30default_config_static_selectorELNS0_4arch9wavefront6targetE1EEEvT1_ ; -- Begin function _ZN7rocprim17ROCPRIM_400000_NS6detail17trampoline_kernelINS0_14default_configENS1_25partition_config_selectorILNS1_17partition_subalgoE3ExNS0_10empty_typeEbEEZZNS1_14partition_implILS5_3ELb0ES3_jN6thrust23THRUST_200600_302600_NS6detail15normal_iteratorINSA_7pointerIxNSA_11hip_rocprim3tagENSA_11use_defaultESG_EEEEPS6_SJ_NS0_5tupleIJPxSJ_EEENSK_IJSJ_SJ_EEES6_PlJ7is_evenIxEEEE10hipError_tPvRmT3_T4_T5_T6_T7_T9_mT8_P12ihipStream_tbDpT10_ENKUlT_T0_E_clISt17integral_constantIbLb0EES19_IbLb1EEEEDaS15_S16_EUlS15_E_NS1_11comp_targetILNS1_3genE3ELNS1_11target_archE908ELNS1_3gpuE7ELNS1_3repE0EEENS1_30default_config_static_selectorELNS0_4arch9wavefront6targetE1EEEvT1_
	.globl	_ZN7rocprim17ROCPRIM_400000_NS6detail17trampoline_kernelINS0_14default_configENS1_25partition_config_selectorILNS1_17partition_subalgoE3ExNS0_10empty_typeEbEEZZNS1_14partition_implILS5_3ELb0ES3_jN6thrust23THRUST_200600_302600_NS6detail15normal_iteratorINSA_7pointerIxNSA_11hip_rocprim3tagENSA_11use_defaultESG_EEEEPS6_SJ_NS0_5tupleIJPxSJ_EEENSK_IJSJ_SJ_EEES6_PlJ7is_evenIxEEEE10hipError_tPvRmT3_T4_T5_T6_T7_T9_mT8_P12ihipStream_tbDpT10_ENKUlT_T0_E_clISt17integral_constantIbLb0EES19_IbLb1EEEEDaS15_S16_EUlS15_E_NS1_11comp_targetILNS1_3genE3ELNS1_11target_archE908ELNS1_3gpuE7ELNS1_3repE0EEENS1_30default_config_static_selectorELNS0_4arch9wavefront6targetE1EEEvT1_
	.p2align	8
	.type	_ZN7rocprim17ROCPRIM_400000_NS6detail17trampoline_kernelINS0_14default_configENS1_25partition_config_selectorILNS1_17partition_subalgoE3ExNS0_10empty_typeEbEEZZNS1_14partition_implILS5_3ELb0ES3_jN6thrust23THRUST_200600_302600_NS6detail15normal_iteratorINSA_7pointerIxNSA_11hip_rocprim3tagENSA_11use_defaultESG_EEEEPS6_SJ_NS0_5tupleIJPxSJ_EEENSK_IJSJ_SJ_EEES6_PlJ7is_evenIxEEEE10hipError_tPvRmT3_T4_T5_T6_T7_T9_mT8_P12ihipStream_tbDpT10_ENKUlT_T0_E_clISt17integral_constantIbLb0EES19_IbLb1EEEEDaS15_S16_EUlS15_E_NS1_11comp_targetILNS1_3genE3ELNS1_11target_archE908ELNS1_3gpuE7ELNS1_3repE0EEENS1_30default_config_static_selectorELNS0_4arch9wavefront6targetE1EEEvT1_,@function
_ZN7rocprim17ROCPRIM_400000_NS6detail17trampoline_kernelINS0_14default_configENS1_25partition_config_selectorILNS1_17partition_subalgoE3ExNS0_10empty_typeEbEEZZNS1_14partition_implILS5_3ELb0ES3_jN6thrust23THRUST_200600_302600_NS6detail15normal_iteratorINSA_7pointerIxNSA_11hip_rocprim3tagENSA_11use_defaultESG_EEEEPS6_SJ_NS0_5tupleIJPxSJ_EEENSK_IJSJ_SJ_EEES6_PlJ7is_evenIxEEEE10hipError_tPvRmT3_T4_T5_T6_T7_T9_mT8_P12ihipStream_tbDpT10_ENKUlT_T0_E_clISt17integral_constantIbLb0EES19_IbLb1EEEEDaS15_S16_EUlS15_E_NS1_11comp_targetILNS1_3genE3ELNS1_11target_archE908ELNS1_3gpuE7ELNS1_3repE0EEENS1_30default_config_static_selectorELNS0_4arch9wavefront6targetE1EEEvT1_: ; @_ZN7rocprim17ROCPRIM_400000_NS6detail17trampoline_kernelINS0_14default_configENS1_25partition_config_selectorILNS1_17partition_subalgoE3ExNS0_10empty_typeEbEEZZNS1_14partition_implILS5_3ELb0ES3_jN6thrust23THRUST_200600_302600_NS6detail15normal_iteratorINSA_7pointerIxNSA_11hip_rocprim3tagENSA_11use_defaultESG_EEEEPS6_SJ_NS0_5tupleIJPxSJ_EEENSK_IJSJ_SJ_EEES6_PlJ7is_evenIxEEEE10hipError_tPvRmT3_T4_T5_T6_T7_T9_mT8_P12ihipStream_tbDpT10_ENKUlT_T0_E_clISt17integral_constantIbLb0EES19_IbLb1EEEEDaS15_S16_EUlS15_E_NS1_11comp_targetILNS1_3genE3ELNS1_11target_archE908ELNS1_3gpuE7ELNS1_3repE0EEENS1_30default_config_static_selectorELNS0_4arch9wavefront6targetE1EEEvT1_
; %bb.0:
	.section	.rodata,"a",@progbits
	.p2align	6, 0x0
	.amdhsa_kernel _ZN7rocprim17ROCPRIM_400000_NS6detail17trampoline_kernelINS0_14default_configENS1_25partition_config_selectorILNS1_17partition_subalgoE3ExNS0_10empty_typeEbEEZZNS1_14partition_implILS5_3ELb0ES3_jN6thrust23THRUST_200600_302600_NS6detail15normal_iteratorINSA_7pointerIxNSA_11hip_rocprim3tagENSA_11use_defaultESG_EEEEPS6_SJ_NS0_5tupleIJPxSJ_EEENSK_IJSJ_SJ_EEES6_PlJ7is_evenIxEEEE10hipError_tPvRmT3_T4_T5_T6_T7_T9_mT8_P12ihipStream_tbDpT10_ENKUlT_T0_E_clISt17integral_constantIbLb0EES19_IbLb1EEEEDaS15_S16_EUlS15_E_NS1_11comp_targetILNS1_3genE3ELNS1_11target_archE908ELNS1_3gpuE7ELNS1_3repE0EEENS1_30default_config_static_selectorELNS0_4arch9wavefront6targetE1EEEvT1_
		.amdhsa_group_segment_fixed_size 0
		.amdhsa_private_segment_fixed_size 0
		.amdhsa_kernarg_size 136
		.amdhsa_user_sgpr_count 6
		.amdhsa_user_sgpr_private_segment_buffer 1
		.amdhsa_user_sgpr_dispatch_ptr 0
		.amdhsa_user_sgpr_queue_ptr 0
		.amdhsa_user_sgpr_kernarg_segment_ptr 1
		.amdhsa_user_sgpr_dispatch_id 0
		.amdhsa_user_sgpr_flat_scratch_init 0
		.amdhsa_user_sgpr_kernarg_preload_length 0
		.amdhsa_user_sgpr_kernarg_preload_offset 0
		.amdhsa_user_sgpr_private_segment_size 0
		.amdhsa_uses_dynamic_stack 0
		.amdhsa_system_sgpr_private_segment_wavefront_offset 0
		.amdhsa_system_sgpr_workgroup_id_x 1
		.amdhsa_system_sgpr_workgroup_id_y 0
		.amdhsa_system_sgpr_workgroup_id_z 0
		.amdhsa_system_sgpr_workgroup_info 0
		.amdhsa_system_vgpr_workitem_id 0
		.amdhsa_next_free_vgpr 1
		.amdhsa_next_free_sgpr 0
		.amdhsa_accum_offset 4
		.amdhsa_reserve_vcc 0
		.amdhsa_reserve_flat_scratch 0
		.amdhsa_float_round_mode_32 0
		.amdhsa_float_round_mode_16_64 0
		.amdhsa_float_denorm_mode_32 3
		.amdhsa_float_denorm_mode_16_64 3
		.amdhsa_dx10_clamp 1
		.amdhsa_ieee_mode 1
		.amdhsa_fp16_overflow 0
		.amdhsa_tg_split 0
		.amdhsa_exception_fp_ieee_invalid_op 0
		.amdhsa_exception_fp_denorm_src 0
		.amdhsa_exception_fp_ieee_div_zero 0
		.amdhsa_exception_fp_ieee_overflow 0
		.amdhsa_exception_fp_ieee_underflow 0
		.amdhsa_exception_fp_ieee_inexact 0
		.amdhsa_exception_int_div_zero 0
	.end_amdhsa_kernel
	.section	.text._ZN7rocprim17ROCPRIM_400000_NS6detail17trampoline_kernelINS0_14default_configENS1_25partition_config_selectorILNS1_17partition_subalgoE3ExNS0_10empty_typeEbEEZZNS1_14partition_implILS5_3ELb0ES3_jN6thrust23THRUST_200600_302600_NS6detail15normal_iteratorINSA_7pointerIxNSA_11hip_rocprim3tagENSA_11use_defaultESG_EEEEPS6_SJ_NS0_5tupleIJPxSJ_EEENSK_IJSJ_SJ_EEES6_PlJ7is_evenIxEEEE10hipError_tPvRmT3_T4_T5_T6_T7_T9_mT8_P12ihipStream_tbDpT10_ENKUlT_T0_E_clISt17integral_constantIbLb0EES19_IbLb1EEEEDaS15_S16_EUlS15_E_NS1_11comp_targetILNS1_3genE3ELNS1_11target_archE908ELNS1_3gpuE7ELNS1_3repE0EEENS1_30default_config_static_selectorELNS0_4arch9wavefront6targetE1EEEvT1_,"axG",@progbits,_ZN7rocprim17ROCPRIM_400000_NS6detail17trampoline_kernelINS0_14default_configENS1_25partition_config_selectorILNS1_17partition_subalgoE3ExNS0_10empty_typeEbEEZZNS1_14partition_implILS5_3ELb0ES3_jN6thrust23THRUST_200600_302600_NS6detail15normal_iteratorINSA_7pointerIxNSA_11hip_rocprim3tagENSA_11use_defaultESG_EEEEPS6_SJ_NS0_5tupleIJPxSJ_EEENSK_IJSJ_SJ_EEES6_PlJ7is_evenIxEEEE10hipError_tPvRmT3_T4_T5_T6_T7_T9_mT8_P12ihipStream_tbDpT10_ENKUlT_T0_E_clISt17integral_constantIbLb0EES19_IbLb1EEEEDaS15_S16_EUlS15_E_NS1_11comp_targetILNS1_3genE3ELNS1_11target_archE908ELNS1_3gpuE7ELNS1_3repE0EEENS1_30default_config_static_selectorELNS0_4arch9wavefront6targetE1EEEvT1_,comdat
.Lfunc_end43:
	.size	_ZN7rocprim17ROCPRIM_400000_NS6detail17trampoline_kernelINS0_14default_configENS1_25partition_config_selectorILNS1_17partition_subalgoE3ExNS0_10empty_typeEbEEZZNS1_14partition_implILS5_3ELb0ES3_jN6thrust23THRUST_200600_302600_NS6detail15normal_iteratorINSA_7pointerIxNSA_11hip_rocprim3tagENSA_11use_defaultESG_EEEEPS6_SJ_NS0_5tupleIJPxSJ_EEENSK_IJSJ_SJ_EEES6_PlJ7is_evenIxEEEE10hipError_tPvRmT3_T4_T5_T6_T7_T9_mT8_P12ihipStream_tbDpT10_ENKUlT_T0_E_clISt17integral_constantIbLb0EES19_IbLb1EEEEDaS15_S16_EUlS15_E_NS1_11comp_targetILNS1_3genE3ELNS1_11target_archE908ELNS1_3gpuE7ELNS1_3repE0EEENS1_30default_config_static_selectorELNS0_4arch9wavefront6targetE1EEEvT1_, .Lfunc_end43-_ZN7rocprim17ROCPRIM_400000_NS6detail17trampoline_kernelINS0_14default_configENS1_25partition_config_selectorILNS1_17partition_subalgoE3ExNS0_10empty_typeEbEEZZNS1_14partition_implILS5_3ELb0ES3_jN6thrust23THRUST_200600_302600_NS6detail15normal_iteratorINSA_7pointerIxNSA_11hip_rocprim3tagENSA_11use_defaultESG_EEEEPS6_SJ_NS0_5tupleIJPxSJ_EEENSK_IJSJ_SJ_EEES6_PlJ7is_evenIxEEEE10hipError_tPvRmT3_T4_T5_T6_T7_T9_mT8_P12ihipStream_tbDpT10_ENKUlT_T0_E_clISt17integral_constantIbLb0EES19_IbLb1EEEEDaS15_S16_EUlS15_E_NS1_11comp_targetILNS1_3genE3ELNS1_11target_archE908ELNS1_3gpuE7ELNS1_3repE0EEENS1_30default_config_static_selectorELNS0_4arch9wavefront6targetE1EEEvT1_
                                        ; -- End function
	.section	.AMDGPU.csdata,"",@progbits
; Kernel info:
; codeLenInByte = 0
; NumSgprs: 4
; NumVgprs: 0
; NumAgprs: 0
; TotalNumVgprs: 0
; ScratchSize: 0
; MemoryBound: 0
; FloatMode: 240
; IeeeMode: 1
; LDSByteSize: 0 bytes/workgroup (compile time only)
; SGPRBlocks: 0
; VGPRBlocks: 0
; NumSGPRsForWavesPerEU: 4
; NumVGPRsForWavesPerEU: 1
; AccumOffset: 4
; Occupancy: 8
; WaveLimiterHint : 0
; COMPUTE_PGM_RSRC2:SCRATCH_EN: 0
; COMPUTE_PGM_RSRC2:USER_SGPR: 6
; COMPUTE_PGM_RSRC2:TRAP_HANDLER: 0
; COMPUTE_PGM_RSRC2:TGID_X_EN: 1
; COMPUTE_PGM_RSRC2:TGID_Y_EN: 0
; COMPUTE_PGM_RSRC2:TGID_Z_EN: 0
; COMPUTE_PGM_RSRC2:TIDIG_COMP_CNT: 0
; COMPUTE_PGM_RSRC3_GFX90A:ACCUM_OFFSET: 0
; COMPUTE_PGM_RSRC3_GFX90A:TG_SPLIT: 0
	.section	.text._ZN7rocprim17ROCPRIM_400000_NS6detail17trampoline_kernelINS0_14default_configENS1_25partition_config_selectorILNS1_17partition_subalgoE3ExNS0_10empty_typeEbEEZZNS1_14partition_implILS5_3ELb0ES3_jN6thrust23THRUST_200600_302600_NS6detail15normal_iteratorINSA_7pointerIxNSA_11hip_rocprim3tagENSA_11use_defaultESG_EEEEPS6_SJ_NS0_5tupleIJPxSJ_EEENSK_IJSJ_SJ_EEES6_PlJ7is_evenIxEEEE10hipError_tPvRmT3_T4_T5_T6_T7_T9_mT8_P12ihipStream_tbDpT10_ENKUlT_T0_E_clISt17integral_constantIbLb0EES19_IbLb1EEEEDaS15_S16_EUlS15_E_NS1_11comp_targetILNS1_3genE2ELNS1_11target_archE906ELNS1_3gpuE6ELNS1_3repE0EEENS1_30default_config_static_selectorELNS0_4arch9wavefront6targetE1EEEvT1_,"axG",@progbits,_ZN7rocprim17ROCPRIM_400000_NS6detail17trampoline_kernelINS0_14default_configENS1_25partition_config_selectorILNS1_17partition_subalgoE3ExNS0_10empty_typeEbEEZZNS1_14partition_implILS5_3ELb0ES3_jN6thrust23THRUST_200600_302600_NS6detail15normal_iteratorINSA_7pointerIxNSA_11hip_rocprim3tagENSA_11use_defaultESG_EEEEPS6_SJ_NS0_5tupleIJPxSJ_EEENSK_IJSJ_SJ_EEES6_PlJ7is_evenIxEEEE10hipError_tPvRmT3_T4_T5_T6_T7_T9_mT8_P12ihipStream_tbDpT10_ENKUlT_T0_E_clISt17integral_constantIbLb0EES19_IbLb1EEEEDaS15_S16_EUlS15_E_NS1_11comp_targetILNS1_3genE2ELNS1_11target_archE906ELNS1_3gpuE6ELNS1_3repE0EEENS1_30default_config_static_selectorELNS0_4arch9wavefront6targetE1EEEvT1_,comdat
	.protected	_ZN7rocprim17ROCPRIM_400000_NS6detail17trampoline_kernelINS0_14default_configENS1_25partition_config_selectorILNS1_17partition_subalgoE3ExNS0_10empty_typeEbEEZZNS1_14partition_implILS5_3ELb0ES3_jN6thrust23THRUST_200600_302600_NS6detail15normal_iteratorINSA_7pointerIxNSA_11hip_rocprim3tagENSA_11use_defaultESG_EEEEPS6_SJ_NS0_5tupleIJPxSJ_EEENSK_IJSJ_SJ_EEES6_PlJ7is_evenIxEEEE10hipError_tPvRmT3_T4_T5_T6_T7_T9_mT8_P12ihipStream_tbDpT10_ENKUlT_T0_E_clISt17integral_constantIbLb0EES19_IbLb1EEEEDaS15_S16_EUlS15_E_NS1_11comp_targetILNS1_3genE2ELNS1_11target_archE906ELNS1_3gpuE6ELNS1_3repE0EEENS1_30default_config_static_selectorELNS0_4arch9wavefront6targetE1EEEvT1_ ; -- Begin function _ZN7rocprim17ROCPRIM_400000_NS6detail17trampoline_kernelINS0_14default_configENS1_25partition_config_selectorILNS1_17partition_subalgoE3ExNS0_10empty_typeEbEEZZNS1_14partition_implILS5_3ELb0ES3_jN6thrust23THRUST_200600_302600_NS6detail15normal_iteratorINSA_7pointerIxNSA_11hip_rocprim3tagENSA_11use_defaultESG_EEEEPS6_SJ_NS0_5tupleIJPxSJ_EEENSK_IJSJ_SJ_EEES6_PlJ7is_evenIxEEEE10hipError_tPvRmT3_T4_T5_T6_T7_T9_mT8_P12ihipStream_tbDpT10_ENKUlT_T0_E_clISt17integral_constantIbLb0EES19_IbLb1EEEEDaS15_S16_EUlS15_E_NS1_11comp_targetILNS1_3genE2ELNS1_11target_archE906ELNS1_3gpuE6ELNS1_3repE0EEENS1_30default_config_static_selectorELNS0_4arch9wavefront6targetE1EEEvT1_
	.globl	_ZN7rocprim17ROCPRIM_400000_NS6detail17trampoline_kernelINS0_14default_configENS1_25partition_config_selectorILNS1_17partition_subalgoE3ExNS0_10empty_typeEbEEZZNS1_14partition_implILS5_3ELb0ES3_jN6thrust23THRUST_200600_302600_NS6detail15normal_iteratorINSA_7pointerIxNSA_11hip_rocprim3tagENSA_11use_defaultESG_EEEEPS6_SJ_NS0_5tupleIJPxSJ_EEENSK_IJSJ_SJ_EEES6_PlJ7is_evenIxEEEE10hipError_tPvRmT3_T4_T5_T6_T7_T9_mT8_P12ihipStream_tbDpT10_ENKUlT_T0_E_clISt17integral_constantIbLb0EES19_IbLb1EEEEDaS15_S16_EUlS15_E_NS1_11comp_targetILNS1_3genE2ELNS1_11target_archE906ELNS1_3gpuE6ELNS1_3repE0EEENS1_30default_config_static_selectorELNS0_4arch9wavefront6targetE1EEEvT1_
	.p2align	8
	.type	_ZN7rocprim17ROCPRIM_400000_NS6detail17trampoline_kernelINS0_14default_configENS1_25partition_config_selectorILNS1_17partition_subalgoE3ExNS0_10empty_typeEbEEZZNS1_14partition_implILS5_3ELb0ES3_jN6thrust23THRUST_200600_302600_NS6detail15normal_iteratorINSA_7pointerIxNSA_11hip_rocprim3tagENSA_11use_defaultESG_EEEEPS6_SJ_NS0_5tupleIJPxSJ_EEENSK_IJSJ_SJ_EEES6_PlJ7is_evenIxEEEE10hipError_tPvRmT3_T4_T5_T6_T7_T9_mT8_P12ihipStream_tbDpT10_ENKUlT_T0_E_clISt17integral_constantIbLb0EES19_IbLb1EEEEDaS15_S16_EUlS15_E_NS1_11comp_targetILNS1_3genE2ELNS1_11target_archE906ELNS1_3gpuE6ELNS1_3repE0EEENS1_30default_config_static_selectorELNS0_4arch9wavefront6targetE1EEEvT1_,@function
_ZN7rocprim17ROCPRIM_400000_NS6detail17trampoline_kernelINS0_14default_configENS1_25partition_config_selectorILNS1_17partition_subalgoE3ExNS0_10empty_typeEbEEZZNS1_14partition_implILS5_3ELb0ES3_jN6thrust23THRUST_200600_302600_NS6detail15normal_iteratorINSA_7pointerIxNSA_11hip_rocprim3tagENSA_11use_defaultESG_EEEEPS6_SJ_NS0_5tupleIJPxSJ_EEENSK_IJSJ_SJ_EEES6_PlJ7is_evenIxEEEE10hipError_tPvRmT3_T4_T5_T6_T7_T9_mT8_P12ihipStream_tbDpT10_ENKUlT_T0_E_clISt17integral_constantIbLb0EES19_IbLb1EEEEDaS15_S16_EUlS15_E_NS1_11comp_targetILNS1_3genE2ELNS1_11target_archE906ELNS1_3gpuE6ELNS1_3repE0EEENS1_30default_config_static_selectorELNS0_4arch9wavefront6targetE1EEEvT1_: ; @_ZN7rocprim17ROCPRIM_400000_NS6detail17trampoline_kernelINS0_14default_configENS1_25partition_config_selectorILNS1_17partition_subalgoE3ExNS0_10empty_typeEbEEZZNS1_14partition_implILS5_3ELb0ES3_jN6thrust23THRUST_200600_302600_NS6detail15normal_iteratorINSA_7pointerIxNSA_11hip_rocprim3tagENSA_11use_defaultESG_EEEEPS6_SJ_NS0_5tupleIJPxSJ_EEENSK_IJSJ_SJ_EEES6_PlJ7is_evenIxEEEE10hipError_tPvRmT3_T4_T5_T6_T7_T9_mT8_P12ihipStream_tbDpT10_ENKUlT_T0_E_clISt17integral_constantIbLb0EES19_IbLb1EEEEDaS15_S16_EUlS15_E_NS1_11comp_targetILNS1_3genE2ELNS1_11target_archE906ELNS1_3gpuE6ELNS1_3repE0EEENS1_30default_config_static_selectorELNS0_4arch9wavefront6targetE1EEEvT1_
; %bb.0:
	.section	.rodata,"a",@progbits
	.p2align	6, 0x0
	.amdhsa_kernel _ZN7rocprim17ROCPRIM_400000_NS6detail17trampoline_kernelINS0_14default_configENS1_25partition_config_selectorILNS1_17partition_subalgoE3ExNS0_10empty_typeEbEEZZNS1_14partition_implILS5_3ELb0ES3_jN6thrust23THRUST_200600_302600_NS6detail15normal_iteratorINSA_7pointerIxNSA_11hip_rocprim3tagENSA_11use_defaultESG_EEEEPS6_SJ_NS0_5tupleIJPxSJ_EEENSK_IJSJ_SJ_EEES6_PlJ7is_evenIxEEEE10hipError_tPvRmT3_T4_T5_T6_T7_T9_mT8_P12ihipStream_tbDpT10_ENKUlT_T0_E_clISt17integral_constantIbLb0EES19_IbLb1EEEEDaS15_S16_EUlS15_E_NS1_11comp_targetILNS1_3genE2ELNS1_11target_archE906ELNS1_3gpuE6ELNS1_3repE0EEENS1_30default_config_static_selectorELNS0_4arch9wavefront6targetE1EEEvT1_
		.amdhsa_group_segment_fixed_size 0
		.amdhsa_private_segment_fixed_size 0
		.amdhsa_kernarg_size 136
		.amdhsa_user_sgpr_count 6
		.amdhsa_user_sgpr_private_segment_buffer 1
		.amdhsa_user_sgpr_dispatch_ptr 0
		.amdhsa_user_sgpr_queue_ptr 0
		.amdhsa_user_sgpr_kernarg_segment_ptr 1
		.amdhsa_user_sgpr_dispatch_id 0
		.amdhsa_user_sgpr_flat_scratch_init 0
		.amdhsa_user_sgpr_kernarg_preload_length 0
		.amdhsa_user_sgpr_kernarg_preload_offset 0
		.amdhsa_user_sgpr_private_segment_size 0
		.amdhsa_uses_dynamic_stack 0
		.amdhsa_system_sgpr_private_segment_wavefront_offset 0
		.amdhsa_system_sgpr_workgroup_id_x 1
		.amdhsa_system_sgpr_workgroup_id_y 0
		.amdhsa_system_sgpr_workgroup_id_z 0
		.amdhsa_system_sgpr_workgroup_info 0
		.amdhsa_system_vgpr_workitem_id 0
		.amdhsa_next_free_vgpr 1
		.amdhsa_next_free_sgpr 0
		.amdhsa_accum_offset 4
		.amdhsa_reserve_vcc 0
		.amdhsa_reserve_flat_scratch 0
		.amdhsa_float_round_mode_32 0
		.amdhsa_float_round_mode_16_64 0
		.amdhsa_float_denorm_mode_32 3
		.amdhsa_float_denorm_mode_16_64 3
		.amdhsa_dx10_clamp 1
		.amdhsa_ieee_mode 1
		.amdhsa_fp16_overflow 0
		.amdhsa_tg_split 0
		.amdhsa_exception_fp_ieee_invalid_op 0
		.amdhsa_exception_fp_denorm_src 0
		.amdhsa_exception_fp_ieee_div_zero 0
		.amdhsa_exception_fp_ieee_overflow 0
		.amdhsa_exception_fp_ieee_underflow 0
		.amdhsa_exception_fp_ieee_inexact 0
		.amdhsa_exception_int_div_zero 0
	.end_amdhsa_kernel
	.section	.text._ZN7rocprim17ROCPRIM_400000_NS6detail17trampoline_kernelINS0_14default_configENS1_25partition_config_selectorILNS1_17partition_subalgoE3ExNS0_10empty_typeEbEEZZNS1_14partition_implILS5_3ELb0ES3_jN6thrust23THRUST_200600_302600_NS6detail15normal_iteratorINSA_7pointerIxNSA_11hip_rocprim3tagENSA_11use_defaultESG_EEEEPS6_SJ_NS0_5tupleIJPxSJ_EEENSK_IJSJ_SJ_EEES6_PlJ7is_evenIxEEEE10hipError_tPvRmT3_T4_T5_T6_T7_T9_mT8_P12ihipStream_tbDpT10_ENKUlT_T0_E_clISt17integral_constantIbLb0EES19_IbLb1EEEEDaS15_S16_EUlS15_E_NS1_11comp_targetILNS1_3genE2ELNS1_11target_archE906ELNS1_3gpuE6ELNS1_3repE0EEENS1_30default_config_static_selectorELNS0_4arch9wavefront6targetE1EEEvT1_,"axG",@progbits,_ZN7rocprim17ROCPRIM_400000_NS6detail17trampoline_kernelINS0_14default_configENS1_25partition_config_selectorILNS1_17partition_subalgoE3ExNS0_10empty_typeEbEEZZNS1_14partition_implILS5_3ELb0ES3_jN6thrust23THRUST_200600_302600_NS6detail15normal_iteratorINSA_7pointerIxNSA_11hip_rocprim3tagENSA_11use_defaultESG_EEEEPS6_SJ_NS0_5tupleIJPxSJ_EEENSK_IJSJ_SJ_EEES6_PlJ7is_evenIxEEEE10hipError_tPvRmT3_T4_T5_T6_T7_T9_mT8_P12ihipStream_tbDpT10_ENKUlT_T0_E_clISt17integral_constantIbLb0EES19_IbLb1EEEEDaS15_S16_EUlS15_E_NS1_11comp_targetILNS1_3genE2ELNS1_11target_archE906ELNS1_3gpuE6ELNS1_3repE0EEENS1_30default_config_static_selectorELNS0_4arch9wavefront6targetE1EEEvT1_,comdat
.Lfunc_end44:
	.size	_ZN7rocprim17ROCPRIM_400000_NS6detail17trampoline_kernelINS0_14default_configENS1_25partition_config_selectorILNS1_17partition_subalgoE3ExNS0_10empty_typeEbEEZZNS1_14partition_implILS5_3ELb0ES3_jN6thrust23THRUST_200600_302600_NS6detail15normal_iteratorINSA_7pointerIxNSA_11hip_rocprim3tagENSA_11use_defaultESG_EEEEPS6_SJ_NS0_5tupleIJPxSJ_EEENSK_IJSJ_SJ_EEES6_PlJ7is_evenIxEEEE10hipError_tPvRmT3_T4_T5_T6_T7_T9_mT8_P12ihipStream_tbDpT10_ENKUlT_T0_E_clISt17integral_constantIbLb0EES19_IbLb1EEEEDaS15_S16_EUlS15_E_NS1_11comp_targetILNS1_3genE2ELNS1_11target_archE906ELNS1_3gpuE6ELNS1_3repE0EEENS1_30default_config_static_selectorELNS0_4arch9wavefront6targetE1EEEvT1_, .Lfunc_end44-_ZN7rocprim17ROCPRIM_400000_NS6detail17trampoline_kernelINS0_14default_configENS1_25partition_config_selectorILNS1_17partition_subalgoE3ExNS0_10empty_typeEbEEZZNS1_14partition_implILS5_3ELb0ES3_jN6thrust23THRUST_200600_302600_NS6detail15normal_iteratorINSA_7pointerIxNSA_11hip_rocprim3tagENSA_11use_defaultESG_EEEEPS6_SJ_NS0_5tupleIJPxSJ_EEENSK_IJSJ_SJ_EEES6_PlJ7is_evenIxEEEE10hipError_tPvRmT3_T4_T5_T6_T7_T9_mT8_P12ihipStream_tbDpT10_ENKUlT_T0_E_clISt17integral_constantIbLb0EES19_IbLb1EEEEDaS15_S16_EUlS15_E_NS1_11comp_targetILNS1_3genE2ELNS1_11target_archE906ELNS1_3gpuE6ELNS1_3repE0EEENS1_30default_config_static_selectorELNS0_4arch9wavefront6targetE1EEEvT1_
                                        ; -- End function
	.section	.AMDGPU.csdata,"",@progbits
; Kernel info:
; codeLenInByte = 0
; NumSgprs: 4
; NumVgprs: 0
; NumAgprs: 0
; TotalNumVgprs: 0
; ScratchSize: 0
; MemoryBound: 0
; FloatMode: 240
; IeeeMode: 1
; LDSByteSize: 0 bytes/workgroup (compile time only)
; SGPRBlocks: 0
; VGPRBlocks: 0
; NumSGPRsForWavesPerEU: 4
; NumVGPRsForWavesPerEU: 1
; AccumOffset: 4
; Occupancy: 8
; WaveLimiterHint : 0
; COMPUTE_PGM_RSRC2:SCRATCH_EN: 0
; COMPUTE_PGM_RSRC2:USER_SGPR: 6
; COMPUTE_PGM_RSRC2:TRAP_HANDLER: 0
; COMPUTE_PGM_RSRC2:TGID_X_EN: 1
; COMPUTE_PGM_RSRC2:TGID_Y_EN: 0
; COMPUTE_PGM_RSRC2:TGID_Z_EN: 0
; COMPUTE_PGM_RSRC2:TIDIG_COMP_CNT: 0
; COMPUTE_PGM_RSRC3_GFX90A:ACCUM_OFFSET: 0
; COMPUTE_PGM_RSRC3_GFX90A:TG_SPLIT: 0
	.section	.text._ZN7rocprim17ROCPRIM_400000_NS6detail17trampoline_kernelINS0_14default_configENS1_25partition_config_selectorILNS1_17partition_subalgoE3ExNS0_10empty_typeEbEEZZNS1_14partition_implILS5_3ELb0ES3_jN6thrust23THRUST_200600_302600_NS6detail15normal_iteratorINSA_7pointerIxNSA_11hip_rocprim3tagENSA_11use_defaultESG_EEEEPS6_SJ_NS0_5tupleIJPxSJ_EEENSK_IJSJ_SJ_EEES6_PlJ7is_evenIxEEEE10hipError_tPvRmT3_T4_T5_T6_T7_T9_mT8_P12ihipStream_tbDpT10_ENKUlT_T0_E_clISt17integral_constantIbLb0EES19_IbLb1EEEEDaS15_S16_EUlS15_E_NS1_11comp_targetILNS1_3genE10ELNS1_11target_archE1200ELNS1_3gpuE4ELNS1_3repE0EEENS1_30default_config_static_selectorELNS0_4arch9wavefront6targetE1EEEvT1_,"axG",@progbits,_ZN7rocprim17ROCPRIM_400000_NS6detail17trampoline_kernelINS0_14default_configENS1_25partition_config_selectorILNS1_17partition_subalgoE3ExNS0_10empty_typeEbEEZZNS1_14partition_implILS5_3ELb0ES3_jN6thrust23THRUST_200600_302600_NS6detail15normal_iteratorINSA_7pointerIxNSA_11hip_rocprim3tagENSA_11use_defaultESG_EEEEPS6_SJ_NS0_5tupleIJPxSJ_EEENSK_IJSJ_SJ_EEES6_PlJ7is_evenIxEEEE10hipError_tPvRmT3_T4_T5_T6_T7_T9_mT8_P12ihipStream_tbDpT10_ENKUlT_T0_E_clISt17integral_constantIbLb0EES19_IbLb1EEEEDaS15_S16_EUlS15_E_NS1_11comp_targetILNS1_3genE10ELNS1_11target_archE1200ELNS1_3gpuE4ELNS1_3repE0EEENS1_30default_config_static_selectorELNS0_4arch9wavefront6targetE1EEEvT1_,comdat
	.protected	_ZN7rocprim17ROCPRIM_400000_NS6detail17trampoline_kernelINS0_14default_configENS1_25partition_config_selectorILNS1_17partition_subalgoE3ExNS0_10empty_typeEbEEZZNS1_14partition_implILS5_3ELb0ES3_jN6thrust23THRUST_200600_302600_NS6detail15normal_iteratorINSA_7pointerIxNSA_11hip_rocprim3tagENSA_11use_defaultESG_EEEEPS6_SJ_NS0_5tupleIJPxSJ_EEENSK_IJSJ_SJ_EEES6_PlJ7is_evenIxEEEE10hipError_tPvRmT3_T4_T5_T6_T7_T9_mT8_P12ihipStream_tbDpT10_ENKUlT_T0_E_clISt17integral_constantIbLb0EES19_IbLb1EEEEDaS15_S16_EUlS15_E_NS1_11comp_targetILNS1_3genE10ELNS1_11target_archE1200ELNS1_3gpuE4ELNS1_3repE0EEENS1_30default_config_static_selectorELNS0_4arch9wavefront6targetE1EEEvT1_ ; -- Begin function _ZN7rocprim17ROCPRIM_400000_NS6detail17trampoline_kernelINS0_14default_configENS1_25partition_config_selectorILNS1_17partition_subalgoE3ExNS0_10empty_typeEbEEZZNS1_14partition_implILS5_3ELb0ES3_jN6thrust23THRUST_200600_302600_NS6detail15normal_iteratorINSA_7pointerIxNSA_11hip_rocprim3tagENSA_11use_defaultESG_EEEEPS6_SJ_NS0_5tupleIJPxSJ_EEENSK_IJSJ_SJ_EEES6_PlJ7is_evenIxEEEE10hipError_tPvRmT3_T4_T5_T6_T7_T9_mT8_P12ihipStream_tbDpT10_ENKUlT_T0_E_clISt17integral_constantIbLb0EES19_IbLb1EEEEDaS15_S16_EUlS15_E_NS1_11comp_targetILNS1_3genE10ELNS1_11target_archE1200ELNS1_3gpuE4ELNS1_3repE0EEENS1_30default_config_static_selectorELNS0_4arch9wavefront6targetE1EEEvT1_
	.globl	_ZN7rocprim17ROCPRIM_400000_NS6detail17trampoline_kernelINS0_14default_configENS1_25partition_config_selectorILNS1_17partition_subalgoE3ExNS0_10empty_typeEbEEZZNS1_14partition_implILS5_3ELb0ES3_jN6thrust23THRUST_200600_302600_NS6detail15normal_iteratorINSA_7pointerIxNSA_11hip_rocprim3tagENSA_11use_defaultESG_EEEEPS6_SJ_NS0_5tupleIJPxSJ_EEENSK_IJSJ_SJ_EEES6_PlJ7is_evenIxEEEE10hipError_tPvRmT3_T4_T5_T6_T7_T9_mT8_P12ihipStream_tbDpT10_ENKUlT_T0_E_clISt17integral_constantIbLb0EES19_IbLb1EEEEDaS15_S16_EUlS15_E_NS1_11comp_targetILNS1_3genE10ELNS1_11target_archE1200ELNS1_3gpuE4ELNS1_3repE0EEENS1_30default_config_static_selectorELNS0_4arch9wavefront6targetE1EEEvT1_
	.p2align	8
	.type	_ZN7rocprim17ROCPRIM_400000_NS6detail17trampoline_kernelINS0_14default_configENS1_25partition_config_selectorILNS1_17partition_subalgoE3ExNS0_10empty_typeEbEEZZNS1_14partition_implILS5_3ELb0ES3_jN6thrust23THRUST_200600_302600_NS6detail15normal_iteratorINSA_7pointerIxNSA_11hip_rocprim3tagENSA_11use_defaultESG_EEEEPS6_SJ_NS0_5tupleIJPxSJ_EEENSK_IJSJ_SJ_EEES6_PlJ7is_evenIxEEEE10hipError_tPvRmT3_T4_T5_T6_T7_T9_mT8_P12ihipStream_tbDpT10_ENKUlT_T0_E_clISt17integral_constantIbLb0EES19_IbLb1EEEEDaS15_S16_EUlS15_E_NS1_11comp_targetILNS1_3genE10ELNS1_11target_archE1200ELNS1_3gpuE4ELNS1_3repE0EEENS1_30default_config_static_selectorELNS0_4arch9wavefront6targetE1EEEvT1_,@function
_ZN7rocprim17ROCPRIM_400000_NS6detail17trampoline_kernelINS0_14default_configENS1_25partition_config_selectorILNS1_17partition_subalgoE3ExNS0_10empty_typeEbEEZZNS1_14partition_implILS5_3ELb0ES3_jN6thrust23THRUST_200600_302600_NS6detail15normal_iteratorINSA_7pointerIxNSA_11hip_rocprim3tagENSA_11use_defaultESG_EEEEPS6_SJ_NS0_5tupleIJPxSJ_EEENSK_IJSJ_SJ_EEES6_PlJ7is_evenIxEEEE10hipError_tPvRmT3_T4_T5_T6_T7_T9_mT8_P12ihipStream_tbDpT10_ENKUlT_T0_E_clISt17integral_constantIbLb0EES19_IbLb1EEEEDaS15_S16_EUlS15_E_NS1_11comp_targetILNS1_3genE10ELNS1_11target_archE1200ELNS1_3gpuE4ELNS1_3repE0EEENS1_30default_config_static_selectorELNS0_4arch9wavefront6targetE1EEEvT1_: ; @_ZN7rocprim17ROCPRIM_400000_NS6detail17trampoline_kernelINS0_14default_configENS1_25partition_config_selectorILNS1_17partition_subalgoE3ExNS0_10empty_typeEbEEZZNS1_14partition_implILS5_3ELb0ES3_jN6thrust23THRUST_200600_302600_NS6detail15normal_iteratorINSA_7pointerIxNSA_11hip_rocprim3tagENSA_11use_defaultESG_EEEEPS6_SJ_NS0_5tupleIJPxSJ_EEENSK_IJSJ_SJ_EEES6_PlJ7is_evenIxEEEE10hipError_tPvRmT3_T4_T5_T6_T7_T9_mT8_P12ihipStream_tbDpT10_ENKUlT_T0_E_clISt17integral_constantIbLb0EES19_IbLb1EEEEDaS15_S16_EUlS15_E_NS1_11comp_targetILNS1_3genE10ELNS1_11target_archE1200ELNS1_3gpuE4ELNS1_3repE0EEENS1_30default_config_static_selectorELNS0_4arch9wavefront6targetE1EEEvT1_
; %bb.0:
	.section	.rodata,"a",@progbits
	.p2align	6, 0x0
	.amdhsa_kernel _ZN7rocprim17ROCPRIM_400000_NS6detail17trampoline_kernelINS0_14default_configENS1_25partition_config_selectorILNS1_17partition_subalgoE3ExNS0_10empty_typeEbEEZZNS1_14partition_implILS5_3ELb0ES3_jN6thrust23THRUST_200600_302600_NS6detail15normal_iteratorINSA_7pointerIxNSA_11hip_rocprim3tagENSA_11use_defaultESG_EEEEPS6_SJ_NS0_5tupleIJPxSJ_EEENSK_IJSJ_SJ_EEES6_PlJ7is_evenIxEEEE10hipError_tPvRmT3_T4_T5_T6_T7_T9_mT8_P12ihipStream_tbDpT10_ENKUlT_T0_E_clISt17integral_constantIbLb0EES19_IbLb1EEEEDaS15_S16_EUlS15_E_NS1_11comp_targetILNS1_3genE10ELNS1_11target_archE1200ELNS1_3gpuE4ELNS1_3repE0EEENS1_30default_config_static_selectorELNS0_4arch9wavefront6targetE1EEEvT1_
		.amdhsa_group_segment_fixed_size 0
		.amdhsa_private_segment_fixed_size 0
		.amdhsa_kernarg_size 136
		.amdhsa_user_sgpr_count 6
		.amdhsa_user_sgpr_private_segment_buffer 1
		.amdhsa_user_sgpr_dispatch_ptr 0
		.amdhsa_user_sgpr_queue_ptr 0
		.amdhsa_user_sgpr_kernarg_segment_ptr 1
		.amdhsa_user_sgpr_dispatch_id 0
		.amdhsa_user_sgpr_flat_scratch_init 0
		.amdhsa_user_sgpr_kernarg_preload_length 0
		.amdhsa_user_sgpr_kernarg_preload_offset 0
		.amdhsa_user_sgpr_private_segment_size 0
		.amdhsa_uses_dynamic_stack 0
		.amdhsa_system_sgpr_private_segment_wavefront_offset 0
		.amdhsa_system_sgpr_workgroup_id_x 1
		.amdhsa_system_sgpr_workgroup_id_y 0
		.amdhsa_system_sgpr_workgroup_id_z 0
		.amdhsa_system_sgpr_workgroup_info 0
		.amdhsa_system_vgpr_workitem_id 0
		.amdhsa_next_free_vgpr 1
		.amdhsa_next_free_sgpr 0
		.amdhsa_accum_offset 4
		.amdhsa_reserve_vcc 0
		.amdhsa_reserve_flat_scratch 0
		.amdhsa_float_round_mode_32 0
		.amdhsa_float_round_mode_16_64 0
		.amdhsa_float_denorm_mode_32 3
		.amdhsa_float_denorm_mode_16_64 3
		.amdhsa_dx10_clamp 1
		.amdhsa_ieee_mode 1
		.amdhsa_fp16_overflow 0
		.amdhsa_tg_split 0
		.amdhsa_exception_fp_ieee_invalid_op 0
		.amdhsa_exception_fp_denorm_src 0
		.amdhsa_exception_fp_ieee_div_zero 0
		.amdhsa_exception_fp_ieee_overflow 0
		.amdhsa_exception_fp_ieee_underflow 0
		.amdhsa_exception_fp_ieee_inexact 0
		.amdhsa_exception_int_div_zero 0
	.end_amdhsa_kernel
	.section	.text._ZN7rocprim17ROCPRIM_400000_NS6detail17trampoline_kernelINS0_14default_configENS1_25partition_config_selectorILNS1_17partition_subalgoE3ExNS0_10empty_typeEbEEZZNS1_14partition_implILS5_3ELb0ES3_jN6thrust23THRUST_200600_302600_NS6detail15normal_iteratorINSA_7pointerIxNSA_11hip_rocprim3tagENSA_11use_defaultESG_EEEEPS6_SJ_NS0_5tupleIJPxSJ_EEENSK_IJSJ_SJ_EEES6_PlJ7is_evenIxEEEE10hipError_tPvRmT3_T4_T5_T6_T7_T9_mT8_P12ihipStream_tbDpT10_ENKUlT_T0_E_clISt17integral_constantIbLb0EES19_IbLb1EEEEDaS15_S16_EUlS15_E_NS1_11comp_targetILNS1_3genE10ELNS1_11target_archE1200ELNS1_3gpuE4ELNS1_3repE0EEENS1_30default_config_static_selectorELNS0_4arch9wavefront6targetE1EEEvT1_,"axG",@progbits,_ZN7rocprim17ROCPRIM_400000_NS6detail17trampoline_kernelINS0_14default_configENS1_25partition_config_selectorILNS1_17partition_subalgoE3ExNS0_10empty_typeEbEEZZNS1_14partition_implILS5_3ELb0ES3_jN6thrust23THRUST_200600_302600_NS6detail15normal_iteratorINSA_7pointerIxNSA_11hip_rocprim3tagENSA_11use_defaultESG_EEEEPS6_SJ_NS0_5tupleIJPxSJ_EEENSK_IJSJ_SJ_EEES6_PlJ7is_evenIxEEEE10hipError_tPvRmT3_T4_T5_T6_T7_T9_mT8_P12ihipStream_tbDpT10_ENKUlT_T0_E_clISt17integral_constantIbLb0EES19_IbLb1EEEEDaS15_S16_EUlS15_E_NS1_11comp_targetILNS1_3genE10ELNS1_11target_archE1200ELNS1_3gpuE4ELNS1_3repE0EEENS1_30default_config_static_selectorELNS0_4arch9wavefront6targetE1EEEvT1_,comdat
.Lfunc_end45:
	.size	_ZN7rocprim17ROCPRIM_400000_NS6detail17trampoline_kernelINS0_14default_configENS1_25partition_config_selectorILNS1_17partition_subalgoE3ExNS0_10empty_typeEbEEZZNS1_14partition_implILS5_3ELb0ES3_jN6thrust23THRUST_200600_302600_NS6detail15normal_iteratorINSA_7pointerIxNSA_11hip_rocprim3tagENSA_11use_defaultESG_EEEEPS6_SJ_NS0_5tupleIJPxSJ_EEENSK_IJSJ_SJ_EEES6_PlJ7is_evenIxEEEE10hipError_tPvRmT3_T4_T5_T6_T7_T9_mT8_P12ihipStream_tbDpT10_ENKUlT_T0_E_clISt17integral_constantIbLb0EES19_IbLb1EEEEDaS15_S16_EUlS15_E_NS1_11comp_targetILNS1_3genE10ELNS1_11target_archE1200ELNS1_3gpuE4ELNS1_3repE0EEENS1_30default_config_static_selectorELNS0_4arch9wavefront6targetE1EEEvT1_, .Lfunc_end45-_ZN7rocprim17ROCPRIM_400000_NS6detail17trampoline_kernelINS0_14default_configENS1_25partition_config_selectorILNS1_17partition_subalgoE3ExNS0_10empty_typeEbEEZZNS1_14partition_implILS5_3ELb0ES3_jN6thrust23THRUST_200600_302600_NS6detail15normal_iteratorINSA_7pointerIxNSA_11hip_rocprim3tagENSA_11use_defaultESG_EEEEPS6_SJ_NS0_5tupleIJPxSJ_EEENSK_IJSJ_SJ_EEES6_PlJ7is_evenIxEEEE10hipError_tPvRmT3_T4_T5_T6_T7_T9_mT8_P12ihipStream_tbDpT10_ENKUlT_T0_E_clISt17integral_constantIbLb0EES19_IbLb1EEEEDaS15_S16_EUlS15_E_NS1_11comp_targetILNS1_3genE10ELNS1_11target_archE1200ELNS1_3gpuE4ELNS1_3repE0EEENS1_30default_config_static_selectorELNS0_4arch9wavefront6targetE1EEEvT1_
                                        ; -- End function
	.section	.AMDGPU.csdata,"",@progbits
; Kernel info:
; codeLenInByte = 0
; NumSgprs: 4
; NumVgprs: 0
; NumAgprs: 0
; TotalNumVgprs: 0
; ScratchSize: 0
; MemoryBound: 0
; FloatMode: 240
; IeeeMode: 1
; LDSByteSize: 0 bytes/workgroup (compile time only)
; SGPRBlocks: 0
; VGPRBlocks: 0
; NumSGPRsForWavesPerEU: 4
; NumVGPRsForWavesPerEU: 1
; AccumOffset: 4
; Occupancy: 8
; WaveLimiterHint : 0
; COMPUTE_PGM_RSRC2:SCRATCH_EN: 0
; COMPUTE_PGM_RSRC2:USER_SGPR: 6
; COMPUTE_PGM_RSRC2:TRAP_HANDLER: 0
; COMPUTE_PGM_RSRC2:TGID_X_EN: 1
; COMPUTE_PGM_RSRC2:TGID_Y_EN: 0
; COMPUTE_PGM_RSRC2:TGID_Z_EN: 0
; COMPUTE_PGM_RSRC2:TIDIG_COMP_CNT: 0
; COMPUTE_PGM_RSRC3_GFX90A:ACCUM_OFFSET: 0
; COMPUTE_PGM_RSRC3_GFX90A:TG_SPLIT: 0
	.section	.text._ZN7rocprim17ROCPRIM_400000_NS6detail17trampoline_kernelINS0_14default_configENS1_25partition_config_selectorILNS1_17partition_subalgoE3ExNS0_10empty_typeEbEEZZNS1_14partition_implILS5_3ELb0ES3_jN6thrust23THRUST_200600_302600_NS6detail15normal_iteratorINSA_7pointerIxNSA_11hip_rocprim3tagENSA_11use_defaultESG_EEEEPS6_SJ_NS0_5tupleIJPxSJ_EEENSK_IJSJ_SJ_EEES6_PlJ7is_evenIxEEEE10hipError_tPvRmT3_T4_T5_T6_T7_T9_mT8_P12ihipStream_tbDpT10_ENKUlT_T0_E_clISt17integral_constantIbLb0EES19_IbLb1EEEEDaS15_S16_EUlS15_E_NS1_11comp_targetILNS1_3genE9ELNS1_11target_archE1100ELNS1_3gpuE3ELNS1_3repE0EEENS1_30default_config_static_selectorELNS0_4arch9wavefront6targetE1EEEvT1_,"axG",@progbits,_ZN7rocprim17ROCPRIM_400000_NS6detail17trampoline_kernelINS0_14default_configENS1_25partition_config_selectorILNS1_17partition_subalgoE3ExNS0_10empty_typeEbEEZZNS1_14partition_implILS5_3ELb0ES3_jN6thrust23THRUST_200600_302600_NS6detail15normal_iteratorINSA_7pointerIxNSA_11hip_rocprim3tagENSA_11use_defaultESG_EEEEPS6_SJ_NS0_5tupleIJPxSJ_EEENSK_IJSJ_SJ_EEES6_PlJ7is_evenIxEEEE10hipError_tPvRmT3_T4_T5_T6_T7_T9_mT8_P12ihipStream_tbDpT10_ENKUlT_T0_E_clISt17integral_constantIbLb0EES19_IbLb1EEEEDaS15_S16_EUlS15_E_NS1_11comp_targetILNS1_3genE9ELNS1_11target_archE1100ELNS1_3gpuE3ELNS1_3repE0EEENS1_30default_config_static_selectorELNS0_4arch9wavefront6targetE1EEEvT1_,comdat
	.protected	_ZN7rocprim17ROCPRIM_400000_NS6detail17trampoline_kernelINS0_14default_configENS1_25partition_config_selectorILNS1_17partition_subalgoE3ExNS0_10empty_typeEbEEZZNS1_14partition_implILS5_3ELb0ES3_jN6thrust23THRUST_200600_302600_NS6detail15normal_iteratorINSA_7pointerIxNSA_11hip_rocprim3tagENSA_11use_defaultESG_EEEEPS6_SJ_NS0_5tupleIJPxSJ_EEENSK_IJSJ_SJ_EEES6_PlJ7is_evenIxEEEE10hipError_tPvRmT3_T4_T5_T6_T7_T9_mT8_P12ihipStream_tbDpT10_ENKUlT_T0_E_clISt17integral_constantIbLb0EES19_IbLb1EEEEDaS15_S16_EUlS15_E_NS1_11comp_targetILNS1_3genE9ELNS1_11target_archE1100ELNS1_3gpuE3ELNS1_3repE0EEENS1_30default_config_static_selectorELNS0_4arch9wavefront6targetE1EEEvT1_ ; -- Begin function _ZN7rocprim17ROCPRIM_400000_NS6detail17trampoline_kernelINS0_14default_configENS1_25partition_config_selectorILNS1_17partition_subalgoE3ExNS0_10empty_typeEbEEZZNS1_14partition_implILS5_3ELb0ES3_jN6thrust23THRUST_200600_302600_NS6detail15normal_iteratorINSA_7pointerIxNSA_11hip_rocprim3tagENSA_11use_defaultESG_EEEEPS6_SJ_NS0_5tupleIJPxSJ_EEENSK_IJSJ_SJ_EEES6_PlJ7is_evenIxEEEE10hipError_tPvRmT3_T4_T5_T6_T7_T9_mT8_P12ihipStream_tbDpT10_ENKUlT_T0_E_clISt17integral_constantIbLb0EES19_IbLb1EEEEDaS15_S16_EUlS15_E_NS1_11comp_targetILNS1_3genE9ELNS1_11target_archE1100ELNS1_3gpuE3ELNS1_3repE0EEENS1_30default_config_static_selectorELNS0_4arch9wavefront6targetE1EEEvT1_
	.globl	_ZN7rocprim17ROCPRIM_400000_NS6detail17trampoline_kernelINS0_14default_configENS1_25partition_config_selectorILNS1_17partition_subalgoE3ExNS0_10empty_typeEbEEZZNS1_14partition_implILS5_3ELb0ES3_jN6thrust23THRUST_200600_302600_NS6detail15normal_iteratorINSA_7pointerIxNSA_11hip_rocprim3tagENSA_11use_defaultESG_EEEEPS6_SJ_NS0_5tupleIJPxSJ_EEENSK_IJSJ_SJ_EEES6_PlJ7is_evenIxEEEE10hipError_tPvRmT3_T4_T5_T6_T7_T9_mT8_P12ihipStream_tbDpT10_ENKUlT_T0_E_clISt17integral_constantIbLb0EES19_IbLb1EEEEDaS15_S16_EUlS15_E_NS1_11comp_targetILNS1_3genE9ELNS1_11target_archE1100ELNS1_3gpuE3ELNS1_3repE0EEENS1_30default_config_static_selectorELNS0_4arch9wavefront6targetE1EEEvT1_
	.p2align	8
	.type	_ZN7rocprim17ROCPRIM_400000_NS6detail17trampoline_kernelINS0_14default_configENS1_25partition_config_selectorILNS1_17partition_subalgoE3ExNS0_10empty_typeEbEEZZNS1_14partition_implILS5_3ELb0ES3_jN6thrust23THRUST_200600_302600_NS6detail15normal_iteratorINSA_7pointerIxNSA_11hip_rocprim3tagENSA_11use_defaultESG_EEEEPS6_SJ_NS0_5tupleIJPxSJ_EEENSK_IJSJ_SJ_EEES6_PlJ7is_evenIxEEEE10hipError_tPvRmT3_T4_T5_T6_T7_T9_mT8_P12ihipStream_tbDpT10_ENKUlT_T0_E_clISt17integral_constantIbLb0EES19_IbLb1EEEEDaS15_S16_EUlS15_E_NS1_11comp_targetILNS1_3genE9ELNS1_11target_archE1100ELNS1_3gpuE3ELNS1_3repE0EEENS1_30default_config_static_selectorELNS0_4arch9wavefront6targetE1EEEvT1_,@function
_ZN7rocprim17ROCPRIM_400000_NS6detail17trampoline_kernelINS0_14default_configENS1_25partition_config_selectorILNS1_17partition_subalgoE3ExNS0_10empty_typeEbEEZZNS1_14partition_implILS5_3ELb0ES3_jN6thrust23THRUST_200600_302600_NS6detail15normal_iteratorINSA_7pointerIxNSA_11hip_rocprim3tagENSA_11use_defaultESG_EEEEPS6_SJ_NS0_5tupleIJPxSJ_EEENSK_IJSJ_SJ_EEES6_PlJ7is_evenIxEEEE10hipError_tPvRmT3_T4_T5_T6_T7_T9_mT8_P12ihipStream_tbDpT10_ENKUlT_T0_E_clISt17integral_constantIbLb0EES19_IbLb1EEEEDaS15_S16_EUlS15_E_NS1_11comp_targetILNS1_3genE9ELNS1_11target_archE1100ELNS1_3gpuE3ELNS1_3repE0EEENS1_30default_config_static_selectorELNS0_4arch9wavefront6targetE1EEEvT1_: ; @_ZN7rocprim17ROCPRIM_400000_NS6detail17trampoline_kernelINS0_14default_configENS1_25partition_config_selectorILNS1_17partition_subalgoE3ExNS0_10empty_typeEbEEZZNS1_14partition_implILS5_3ELb0ES3_jN6thrust23THRUST_200600_302600_NS6detail15normal_iteratorINSA_7pointerIxNSA_11hip_rocprim3tagENSA_11use_defaultESG_EEEEPS6_SJ_NS0_5tupleIJPxSJ_EEENSK_IJSJ_SJ_EEES6_PlJ7is_evenIxEEEE10hipError_tPvRmT3_T4_T5_T6_T7_T9_mT8_P12ihipStream_tbDpT10_ENKUlT_T0_E_clISt17integral_constantIbLb0EES19_IbLb1EEEEDaS15_S16_EUlS15_E_NS1_11comp_targetILNS1_3genE9ELNS1_11target_archE1100ELNS1_3gpuE3ELNS1_3repE0EEENS1_30default_config_static_selectorELNS0_4arch9wavefront6targetE1EEEvT1_
; %bb.0:
	.section	.rodata,"a",@progbits
	.p2align	6, 0x0
	.amdhsa_kernel _ZN7rocprim17ROCPRIM_400000_NS6detail17trampoline_kernelINS0_14default_configENS1_25partition_config_selectorILNS1_17partition_subalgoE3ExNS0_10empty_typeEbEEZZNS1_14partition_implILS5_3ELb0ES3_jN6thrust23THRUST_200600_302600_NS6detail15normal_iteratorINSA_7pointerIxNSA_11hip_rocprim3tagENSA_11use_defaultESG_EEEEPS6_SJ_NS0_5tupleIJPxSJ_EEENSK_IJSJ_SJ_EEES6_PlJ7is_evenIxEEEE10hipError_tPvRmT3_T4_T5_T6_T7_T9_mT8_P12ihipStream_tbDpT10_ENKUlT_T0_E_clISt17integral_constantIbLb0EES19_IbLb1EEEEDaS15_S16_EUlS15_E_NS1_11comp_targetILNS1_3genE9ELNS1_11target_archE1100ELNS1_3gpuE3ELNS1_3repE0EEENS1_30default_config_static_selectorELNS0_4arch9wavefront6targetE1EEEvT1_
		.amdhsa_group_segment_fixed_size 0
		.amdhsa_private_segment_fixed_size 0
		.amdhsa_kernarg_size 136
		.amdhsa_user_sgpr_count 6
		.amdhsa_user_sgpr_private_segment_buffer 1
		.amdhsa_user_sgpr_dispatch_ptr 0
		.amdhsa_user_sgpr_queue_ptr 0
		.amdhsa_user_sgpr_kernarg_segment_ptr 1
		.amdhsa_user_sgpr_dispatch_id 0
		.amdhsa_user_sgpr_flat_scratch_init 0
		.amdhsa_user_sgpr_kernarg_preload_length 0
		.amdhsa_user_sgpr_kernarg_preload_offset 0
		.amdhsa_user_sgpr_private_segment_size 0
		.amdhsa_uses_dynamic_stack 0
		.amdhsa_system_sgpr_private_segment_wavefront_offset 0
		.amdhsa_system_sgpr_workgroup_id_x 1
		.amdhsa_system_sgpr_workgroup_id_y 0
		.amdhsa_system_sgpr_workgroup_id_z 0
		.amdhsa_system_sgpr_workgroup_info 0
		.amdhsa_system_vgpr_workitem_id 0
		.amdhsa_next_free_vgpr 1
		.amdhsa_next_free_sgpr 0
		.amdhsa_accum_offset 4
		.amdhsa_reserve_vcc 0
		.amdhsa_reserve_flat_scratch 0
		.amdhsa_float_round_mode_32 0
		.amdhsa_float_round_mode_16_64 0
		.amdhsa_float_denorm_mode_32 3
		.amdhsa_float_denorm_mode_16_64 3
		.amdhsa_dx10_clamp 1
		.amdhsa_ieee_mode 1
		.amdhsa_fp16_overflow 0
		.amdhsa_tg_split 0
		.amdhsa_exception_fp_ieee_invalid_op 0
		.amdhsa_exception_fp_denorm_src 0
		.amdhsa_exception_fp_ieee_div_zero 0
		.amdhsa_exception_fp_ieee_overflow 0
		.amdhsa_exception_fp_ieee_underflow 0
		.amdhsa_exception_fp_ieee_inexact 0
		.amdhsa_exception_int_div_zero 0
	.end_amdhsa_kernel
	.section	.text._ZN7rocprim17ROCPRIM_400000_NS6detail17trampoline_kernelINS0_14default_configENS1_25partition_config_selectorILNS1_17partition_subalgoE3ExNS0_10empty_typeEbEEZZNS1_14partition_implILS5_3ELb0ES3_jN6thrust23THRUST_200600_302600_NS6detail15normal_iteratorINSA_7pointerIxNSA_11hip_rocprim3tagENSA_11use_defaultESG_EEEEPS6_SJ_NS0_5tupleIJPxSJ_EEENSK_IJSJ_SJ_EEES6_PlJ7is_evenIxEEEE10hipError_tPvRmT3_T4_T5_T6_T7_T9_mT8_P12ihipStream_tbDpT10_ENKUlT_T0_E_clISt17integral_constantIbLb0EES19_IbLb1EEEEDaS15_S16_EUlS15_E_NS1_11comp_targetILNS1_3genE9ELNS1_11target_archE1100ELNS1_3gpuE3ELNS1_3repE0EEENS1_30default_config_static_selectorELNS0_4arch9wavefront6targetE1EEEvT1_,"axG",@progbits,_ZN7rocprim17ROCPRIM_400000_NS6detail17trampoline_kernelINS0_14default_configENS1_25partition_config_selectorILNS1_17partition_subalgoE3ExNS0_10empty_typeEbEEZZNS1_14partition_implILS5_3ELb0ES3_jN6thrust23THRUST_200600_302600_NS6detail15normal_iteratorINSA_7pointerIxNSA_11hip_rocprim3tagENSA_11use_defaultESG_EEEEPS6_SJ_NS0_5tupleIJPxSJ_EEENSK_IJSJ_SJ_EEES6_PlJ7is_evenIxEEEE10hipError_tPvRmT3_T4_T5_T6_T7_T9_mT8_P12ihipStream_tbDpT10_ENKUlT_T0_E_clISt17integral_constantIbLb0EES19_IbLb1EEEEDaS15_S16_EUlS15_E_NS1_11comp_targetILNS1_3genE9ELNS1_11target_archE1100ELNS1_3gpuE3ELNS1_3repE0EEENS1_30default_config_static_selectorELNS0_4arch9wavefront6targetE1EEEvT1_,comdat
.Lfunc_end46:
	.size	_ZN7rocprim17ROCPRIM_400000_NS6detail17trampoline_kernelINS0_14default_configENS1_25partition_config_selectorILNS1_17partition_subalgoE3ExNS0_10empty_typeEbEEZZNS1_14partition_implILS5_3ELb0ES3_jN6thrust23THRUST_200600_302600_NS6detail15normal_iteratorINSA_7pointerIxNSA_11hip_rocprim3tagENSA_11use_defaultESG_EEEEPS6_SJ_NS0_5tupleIJPxSJ_EEENSK_IJSJ_SJ_EEES6_PlJ7is_evenIxEEEE10hipError_tPvRmT3_T4_T5_T6_T7_T9_mT8_P12ihipStream_tbDpT10_ENKUlT_T0_E_clISt17integral_constantIbLb0EES19_IbLb1EEEEDaS15_S16_EUlS15_E_NS1_11comp_targetILNS1_3genE9ELNS1_11target_archE1100ELNS1_3gpuE3ELNS1_3repE0EEENS1_30default_config_static_selectorELNS0_4arch9wavefront6targetE1EEEvT1_, .Lfunc_end46-_ZN7rocprim17ROCPRIM_400000_NS6detail17trampoline_kernelINS0_14default_configENS1_25partition_config_selectorILNS1_17partition_subalgoE3ExNS0_10empty_typeEbEEZZNS1_14partition_implILS5_3ELb0ES3_jN6thrust23THRUST_200600_302600_NS6detail15normal_iteratorINSA_7pointerIxNSA_11hip_rocprim3tagENSA_11use_defaultESG_EEEEPS6_SJ_NS0_5tupleIJPxSJ_EEENSK_IJSJ_SJ_EEES6_PlJ7is_evenIxEEEE10hipError_tPvRmT3_T4_T5_T6_T7_T9_mT8_P12ihipStream_tbDpT10_ENKUlT_T0_E_clISt17integral_constantIbLb0EES19_IbLb1EEEEDaS15_S16_EUlS15_E_NS1_11comp_targetILNS1_3genE9ELNS1_11target_archE1100ELNS1_3gpuE3ELNS1_3repE0EEENS1_30default_config_static_selectorELNS0_4arch9wavefront6targetE1EEEvT1_
                                        ; -- End function
	.section	.AMDGPU.csdata,"",@progbits
; Kernel info:
; codeLenInByte = 0
; NumSgprs: 4
; NumVgprs: 0
; NumAgprs: 0
; TotalNumVgprs: 0
; ScratchSize: 0
; MemoryBound: 0
; FloatMode: 240
; IeeeMode: 1
; LDSByteSize: 0 bytes/workgroup (compile time only)
; SGPRBlocks: 0
; VGPRBlocks: 0
; NumSGPRsForWavesPerEU: 4
; NumVGPRsForWavesPerEU: 1
; AccumOffset: 4
; Occupancy: 8
; WaveLimiterHint : 0
; COMPUTE_PGM_RSRC2:SCRATCH_EN: 0
; COMPUTE_PGM_RSRC2:USER_SGPR: 6
; COMPUTE_PGM_RSRC2:TRAP_HANDLER: 0
; COMPUTE_PGM_RSRC2:TGID_X_EN: 1
; COMPUTE_PGM_RSRC2:TGID_Y_EN: 0
; COMPUTE_PGM_RSRC2:TGID_Z_EN: 0
; COMPUTE_PGM_RSRC2:TIDIG_COMP_CNT: 0
; COMPUTE_PGM_RSRC3_GFX90A:ACCUM_OFFSET: 0
; COMPUTE_PGM_RSRC3_GFX90A:TG_SPLIT: 0
	.section	.text._ZN7rocprim17ROCPRIM_400000_NS6detail17trampoline_kernelINS0_14default_configENS1_25partition_config_selectorILNS1_17partition_subalgoE3ExNS0_10empty_typeEbEEZZNS1_14partition_implILS5_3ELb0ES3_jN6thrust23THRUST_200600_302600_NS6detail15normal_iteratorINSA_7pointerIxNSA_11hip_rocprim3tagENSA_11use_defaultESG_EEEEPS6_SJ_NS0_5tupleIJPxSJ_EEENSK_IJSJ_SJ_EEES6_PlJ7is_evenIxEEEE10hipError_tPvRmT3_T4_T5_T6_T7_T9_mT8_P12ihipStream_tbDpT10_ENKUlT_T0_E_clISt17integral_constantIbLb0EES19_IbLb1EEEEDaS15_S16_EUlS15_E_NS1_11comp_targetILNS1_3genE8ELNS1_11target_archE1030ELNS1_3gpuE2ELNS1_3repE0EEENS1_30default_config_static_selectorELNS0_4arch9wavefront6targetE1EEEvT1_,"axG",@progbits,_ZN7rocprim17ROCPRIM_400000_NS6detail17trampoline_kernelINS0_14default_configENS1_25partition_config_selectorILNS1_17partition_subalgoE3ExNS0_10empty_typeEbEEZZNS1_14partition_implILS5_3ELb0ES3_jN6thrust23THRUST_200600_302600_NS6detail15normal_iteratorINSA_7pointerIxNSA_11hip_rocprim3tagENSA_11use_defaultESG_EEEEPS6_SJ_NS0_5tupleIJPxSJ_EEENSK_IJSJ_SJ_EEES6_PlJ7is_evenIxEEEE10hipError_tPvRmT3_T4_T5_T6_T7_T9_mT8_P12ihipStream_tbDpT10_ENKUlT_T0_E_clISt17integral_constantIbLb0EES19_IbLb1EEEEDaS15_S16_EUlS15_E_NS1_11comp_targetILNS1_3genE8ELNS1_11target_archE1030ELNS1_3gpuE2ELNS1_3repE0EEENS1_30default_config_static_selectorELNS0_4arch9wavefront6targetE1EEEvT1_,comdat
	.protected	_ZN7rocprim17ROCPRIM_400000_NS6detail17trampoline_kernelINS0_14default_configENS1_25partition_config_selectorILNS1_17partition_subalgoE3ExNS0_10empty_typeEbEEZZNS1_14partition_implILS5_3ELb0ES3_jN6thrust23THRUST_200600_302600_NS6detail15normal_iteratorINSA_7pointerIxNSA_11hip_rocprim3tagENSA_11use_defaultESG_EEEEPS6_SJ_NS0_5tupleIJPxSJ_EEENSK_IJSJ_SJ_EEES6_PlJ7is_evenIxEEEE10hipError_tPvRmT3_T4_T5_T6_T7_T9_mT8_P12ihipStream_tbDpT10_ENKUlT_T0_E_clISt17integral_constantIbLb0EES19_IbLb1EEEEDaS15_S16_EUlS15_E_NS1_11comp_targetILNS1_3genE8ELNS1_11target_archE1030ELNS1_3gpuE2ELNS1_3repE0EEENS1_30default_config_static_selectorELNS0_4arch9wavefront6targetE1EEEvT1_ ; -- Begin function _ZN7rocprim17ROCPRIM_400000_NS6detail17trampoline_kernelINS0_14default_configENS1_25partition_config_selectorILNS1_17partition_subalgoE3ExNS0_10empty_typeEbEEZZNS1_14partition_implILS5_3ELb0ES3_jN6thrust23THRUST_200600_302600_NS6detail15normal_iteratorINSA_7pointerIxNSA_11hip_rocprim3tagENSA_11use_defaultESG_EEEEPS6_SJ_NS0_5tupleIJPxSJ_EEENSK_IJSJ_SJ_EEES6_PlJ7is_evenIxEEEE10hipError_tPvRmT3_T4_T5_T6_T7_T9_mT8_P12ihipStream_tbDpT10_ENKUlT_T0_E_clISt17integral_constantIbLb0EES19_IbLb1EEEEDaS15_S16_EUlS15_E_NS1_11comp_targetILNS1_3genE8ELNS1_11target_archE1030ELNS1_3gpuE2ELNS1_3repE0EEENS1_30default_config_static_selectorELNS0_4arch9wavefront6targetE1EEEvT1_
	.globl	_ZN7rocprim17ROCPRIM_400000_NS6detail17trampoline_kernelINS0_14default_configENS1_25partition_config_selectorILNS1_17partition_subalgoE3ExNS0_10empty_typeEbEEZZNS1_14partition_implILS5_3ELb0ES3_jN6thrust23THRUST_200600_302600_NS6detail15normal_iteratorINSA_7pointerIxNSA_11hip_rocprim3tagENSA_11use_defaultESG_EEEEPS6_SJ_NS0_5tupleIJPxSJ_EEENSK_IJSJ_SJ_EEES6_PlJ7is_evenIxEEEE10hipError_tPvRmT3_T4_T5_T6_T7_T9_mT8_P12ihipStream_tbDpT10_ENKUlT_T0_E_clISt17integral_constantIbLb0EES19_IbLb1EEEEDaS15_S16_EUlS15_E_NS1_11comp_targetILNS1_3genE8ELNS1_11target_archE1030ELNS1_3gpuE2ELNS1_3repE0EEENS1_30default_config_static_selectorELNS0_4arch9wavefront6targetE1EEEvT1_
	.p2align	8
	.type	_ZN7rocprim17ROCPRIM_400000_NS6detail17trampoline_kernelINS0_14default_configENS1_25partition_config_selectorILNS1_17partition_subalgoE3ExNS0_10empty_typeEbEEZZNS1_14partition_implILS5_3ELb0ES3_jN6thrust23THRUST_200600_302600_NS6detail15normal_iteratorINSA_7pointerIxNSA_11hip_rocprim3tagENSA_11use_defaultESG_EEEEPS6_SJ_NS0_5tupleIJPxSJ_EEENSK_IJSJ_SJ_EEES6_PlJ7is_evenIxEEEE10hipError_tPvRmT3_T4_T5_T6_T7_T9_mT8_P12ihipStream_tbDpT10_ENKUlT_T0_E_clISt17integral_constantIbLb0EES19_IbLb1EEEEDaS15_S16_EUlS15_E_NS1_11comp_targetILNS1_3genE8ELNS1_11target_archE1030ELNS1_3gpuE2ELNS1_3repE0EEENS1_30default_config_static_selectorELNS0_4arch9wavefront6targetE1EEEvT1_,@function
_ZN7rocprim17ROCPRIM_400000_NS6detail17trampoline_kernelINS0_14default_configENS1_25partition_config_selectorILNS1_17partition_subalgoE3ExNS0_10empty_typeEbEEZZNS1_14partition_implILS5_3ELb0ES3_jN6thrust23THRUST_200600_302600_NS6detail15normal_iteratorINSA_7pointerIxNSA_11hip_rocprim3tagENSA_11use_defaultESG_EEEEPS6_SJ_NS0_5tupleIJPxSJ_EEENSK_IJSJ_SJ_EEES6_PlJ7is_evenIxEEEE10hipError_tPvRmT3_T4_T5_T6_T7_T9_mT8_P12ihipStream_tbDpT10_ENKUlT_T0_E_clISt17integral_constantIbLb0EES19_IbLb1EEEEDaS15_S16_EUlS15_E_NS1_11comp_targetILNS1_3genE8ELNS1_11target_archE1030ELNS1_3gpuE2ELNS1_3repE0EEENS1_30default_config_static_selectorELNS0_4arch9wavefront6targetE1EEEvT1_: ; @_ZN7rocprim17ROCPRIM_400000_NS6detail17trampoline_kernelINS0_14default_configENS1_25partition_config_selectorILNS1_17partition_subalgoE3ExNS0_10empty_typeEbEEZZNS1_14partition_implILS5_3ELb0ES3_jN6thrust23THRUST_200600_302600_NS6detail15normal_iteratorINSA_7pointerIxNSA_11hip_rocprim3tagENSA_11use_defaultESG_EEEEPS6_SJ_NS0_5tupleIJPxSJ_EEENSK_IJSJ_SJ_EEES6_PlJ7is_evenIxEEEE10hipError_tPvRmT3_T4_T5_T6_T7_T9_mT8_P12ihipStream_tbDpT10_ENKUlT_T0_E_clISt17integral_constantIbLb0EES19_IbLb1EEEEDaS15_S16_EUlS15_E_NS1_11comp_targetILNS1_3genE8ELNS1_11target_archE1030ELNS1_3gpuE2ELNS1_3repE0EEENS1_30default_config_static_selectorELNS0_4arch9wavefront6targetE1EEEvT1_
; %bb.0:
	.section	.rodata,"a",@progbits
	.p2align	6, 0x0
	.amdhsa_kernel _ZN7rocprim17ROCPRIM_400000_NS6detail17trampoline_kernelINS0_14default_configENS1_25partition_config_selectorILNS1_17partition_subalgoE3ExNS0_10empty_typeEbEEZZNS1_14partition_implILS5_3ELb0ES3_jN6thrust23THRUST_200600_302600_NS6detail15normal_iteratorINSA_7pointerIxNSA_11hip_rocprim3tagENSA_11use_defaultESG_EEEEPS6_SJ_NS0_5tupleIJPxSJ_EEENSK_IJSJ_SJ_EEES6_PlJ7is_evenIxEEEE10hipError_tPvRmT3_T4_T5_T6_T7_T9_mT8_P12ihipStream_tbDpT10_ENKUlT_T0_E_clISt17integral_constantIbLb0EES19_IbLb1EEEEDaS15_S16_EUlS15_E_NS1_11comp_targetILNS1_3genE8ELNS1_11target_archE1030ELNS1_3gpuE2ELNS1_3repE0EEENS1_30default_config_static_selectorELNS0_4arch9wavefront6targetE1EEEvT1_
		.amdhsa_group_segment_fixed_size 0
		.amdhsa_private_segment_fixed_size 0
		.amdhsa_kernarg_size 136
		.amdhsa_user_sgpr_count 6
		.amdhsa_user_sgpr_private_segment_buffer 1
		.amdhsa_user_sgpr_dispatch_ptr 0
		.amdhsa_user_sgpr_queue_ptr 0
		.amdhsa_user_sgpr_kernarg_segment_ptr 1
		.amdhsa_user_sgpr_dispatch_id 0
		.amdhsa_user_sgpr_flat_scratch_init 0
		.amdhsa_user_sgpr_kernarg_preload_length 0
		.amdhsa_user_sgpr_kernarg_preload_offset 0
		.amdhsa_user_sgpr_private_segment_size 0
		.amdhsa_uses_dynamic_stack 0
		.amdhsa_system_sgpr_private_segment_wavefront_offset 0
		.amdhsa_system_sgpr_workgroup_id_x 1
		.amdhsa_system_sgpr_workgroup_id_y 0
		.amdhsa_system_sgpr_workgroup_id_z 0
		.amdhsa_system_sgpr_workgroup_info 0
		.amdhsa_system_vgpr_workitem_id 0
		.amdhsa_next_free_vgpr 1
		.amdhsa_next_free_sgpr 0
		.amdhsa_accum_offset 4
		.amdhsa_reserve_vcc 0
		.amdhsa_reserve_flat_scratch 0
		.amdhsa_float_round_mode_32 0
		.amdhsa_float_round_mode_16_64 0
		.amdhsa_float_denorm_mode_32 3
		.amdhsa_float_denorm_mode_16_64 3
		.amdhsa_dx10_clamp 1
		.amdhsa_ieee_mode 1
		.amdhsa_fp16_overflow 0
		.amdhsa_tg_split 0
		.amdhsa_exception_fp_ieee_invalid_op 0
		.amdhsa_exception_fp_denorm_src 0
		.amdhsa_exception_fp_ieee_div_zero 0
		.amdhsa_exception_fp_ieee_overflow 0
		.amdhsa_exception_fp_ieee_underflow 0
		.amdhsa_exception_fp_ieee_inexact 0
		.amdhsa_exception_int_div_zero 0
	.end_amdhsa_kernel
	.section	.text._ZN7rocprim17ROCPRIM_400000_NS6detail17trampoline_kernelINS0_14default_configENS1_25partition_config_selectorILNS1_17partition_subalgoE3ExNS0_10empty_typeEbEEZZNS1_14partition_implILS5_3ELb0ES3_jN6thrust23THRUST_200600_302600_NS6detail15normal_iteratorINSA_7pointerIxNSA_11hip_rocprim3tagENSA_11use_defaultESG_EEEEPS6_SJ_NS0_5tupleIJPxSJ_EEENSK_IJSJ_SJ_EEES6_PlJ7is_evenIxEEEE10hipError_tPvRmT3_T4_T5_T6_T7_T9_mT8_P12ihipStream_tbDpT10_ENKUlT_T0_E_clISt17integral_constantIbLb0EES19_IbLb1EEEEDaS15_S16_EUlS15_E_NS1_11comp_targetILNS1_3genE8ELNS1_11target_archE1030ELNS1_3gpuE2ELNS1_3repE0EEENS1_30default_config_static_selectorELNS0_4arch9wavefront6targetE1EEEvT1_,"axG",@progbits,_ZN7rocprim17ROCPRIM_400000_NS6detail17trampoline_kernelINS0_14default_configENS1_25partition_config_selectorILNS1_17partition_subalgoE3ExNS0_10empty_typeEbEEZZNS1_14partition_implILS5_3ELb0ES3_jN6thrust23THRUST_200600_302600_NS6detail15normal_iteratorINSA_7pointerIxNSA_11hip_rocprim3tagENSA_11use_defaultESG_EEEEPS6_SJ_NS0_5tupleIJPxSJ_EEENSK_IJSJ_SJ_EEES6_PlJ7is_evenIxEEEE10hipError_tPvRmT3_T4_T5_T6_T7_T9_mT8_P12ihipStream_tbDpT10_ENKUlT_T0_E_clISt17integral_constantIbLb0EES19_IbLb1EEEEDaS15_S16_EUlS15_E_NS1_11comp_targetILNS1_3genE8ELNS1_11target_archE1030ELNS1_3gpuE2ELNS1_3repE0EEENS1_30default_config_static_selectorELNS0_4arch9wavefront6targetE1EEEvT1_,comdat
.Lfunc_end47:
	.size	_ZN7rocprim17ROCPRIM_400000_NS6detail17trampoline_kernelINS0_14default_configENS1_25partition_config_selectorILNS1_17partition_subalgoE3ExNS0_10empty_typeEbEEZZNS1_14partition_implILS5_3ELb0ES3_jN6thrust23THRUST_200600_302600_NS6detail15normal_iteratorINSA_7pointerIxNSA_11hip_rocprim3tagENSA_11use_defaultESG_EEEEPS6_SJ_NS0_5tupleIJPxSJ_EEENSK_IJSJ_SJ_EEES6_PlJ7is_evenIxEEEE10hipError_tPvRmT3_T4_T5_T6_T7_T9_mT8_P12ihipStream_tbDpT10_ENKUlT_T0_E_clISt17integral_constantIbLb0EES19_IbLb1EEEEDaS15_S16_EUlS15_E_NS1_11comp_targetILNS1_3genE8ELNS1_11target_archE1030ELNS1_3gpuE2ELNS1_3repE0EEENS1_30default_config_static_selectorELNS0_4arch9wavefront6targetE1EEEvT1_, .Lfunc_end47-_ZN7rocprim17ROCPRIM_400000_NS6detail17trampoline_kernelINS0_14default_configENS1_25partition_config_selectorILNS1_17partition_subalgoE3ExNS0_10empty_typeEbEEZZNS1_14partition_implILS5_3ELb0ES3_jN6thrust23THRUST_200600_302600_NS6detail15normal_iteratorINSA_7pointerIxNSA_11hip_rocprim3tagENSA_11use_defaultESG_EEEEPS6_SJ_NS0_5tupleIJPxSJ_EEENSK_IJSJ_SJ_EEES6_PlJ7is_evenIxEEEE10hipError_tPvRmT3_T4_T5_T6_T7_T9_mT8_P12ihipStream_tbDpT10_ENKUlT_T0_E_clISt17integral_constantIbLb0EES19_IbLb1EEEEDaS15_S16_EUlS15_E_NS1_11comp_targetILNS1_3genE8ELNS1_11target_archE1030ELNS1_3gpuE2ELNS1_3repE0EEENS1_30default_config_static_selectorELNS0_4arch9wavefront6targetE1EEEvT1_
                                        ; -- End function
	.section	.AMDGPU.csdata,"",@progbits
; Kernel info:
; codeLenInByte = 0
; NumSgprs: 4
; NumVgprs: 0
; NumAgprs: 0
; TotalNumVgprs: 0
; ScratchSize: 0
; MemoryBound: 0
; FloatMode: 240
; IeeeMode: 1
; LDSByteSize: 0 bytes/workgroup (compile time only)
; SGPRBlocks: 0
; VGPRBlocks: 0
; NumSGPRsForWavesPerEU: 4
; NumVGPRsForWavesPerEU: 1
; AccumOffset: 4
; Occupancy: 8
; WaveLimiterHint : 0
; COMPUTE_PGM_RSRC2:SCRATCH_EN: 0
; COMPUTE_PGM_RSRC2:USER_SGPR: 6
; COMPUTE_PGM_RSRC2:TRAP_HANDLER: 0
; COMPUTE_PGM_RSRC2:TGID_X_EN: 1
; COMPUTE_PGM_RSRC2:TGID_Y_EN: 0
; COMPUTE_PGM_RSRC2:TGID_Z_EN: 0
; COMPUTE_PGM_RSRC2:TIDIG_COMP_CNT: 0
; COMPUTE_PGM_RSRC3_GFX90A:ACCUM_OFFSET: 0
; COMPUTE_PGM_RSRC3_GFX90A:TG_SPLIT: 0
	.section	.text._ZN7rocprim17ROCPRIM_400000_NS6detail17trampoline_kernelINS0_14default_configENS1_22reduce_config_selectorIN6thrust23THRUST_200600_302600_NS5tupleIblNS6_9null_typeES8_S8_S8_S8_S8_S8_S8_EEEEZNS1_11reduce_implILb1ES3_PS9_SC_S9_NS6_11hip_rocprim9__find_if7functorIS9_EEEE10hipError_tPvRmT1_T2_T3_mT4_P12ihipStream_tbEUlT_E0_NS1_11comp_targetILNS1_3genE0ELNS1_11target_archE4294967295ELNS1_3gpuE0ELNS1_3repE0EEENS1_30default_config_static_selectorELNS0_4arch9wavefront6targetE1EEEvSK_,"axG",@progbits,_ZN7rocprim17ROCPRIM_400000_NS6detail17trampoline_kernelINS0_14default_configENS1_22reduce_config_selectorIN6thrust23THRUST_200600_302600_NS5tupleIblNS6_9null_typeES8_S8_S8_S8_S8_S8_S8_EEEEZNS1_11reduce_implILb1ES3_PS9_SC_S9_NS6_11hip_rocprim9__find_if7functorIS9_EEEE10hipError_tPvRmT1_T2_T3_mT4_P12ihipStream_tbEUlT_E0_NS1_11comp_targetILNS1_3genE0ELNS1_11target_archE4294967295ELNS1_3gpuE0ELNS1_3repE0EEENS1_30default_config_static_selectorELNS0_4arch9wavefront6targetE1EEEvSK_,comdat
	.protected	_ZN7rocprim17ROCPRIM_400000_NS6detail17trampoline_kernelINS0_14default_configENS1_22reduce_config_selectorIN6thrust23THRUST_200600_302600_NS5tupleIblNS6_9null_typeES8_S8_S8_S8_S8_S8_S8_EEEEZNS1_11reduce_implILb1ES3_PS9_SC_S9_NS6_11hip_rocprim9__find_if7functorIS9_EEEE10hipError_tPvRmT1_T2_T3_mT4_P12ihipStream_tbEUlT_E0_NS1_11comp_targetILNS1_3genE0ELNS1_11target_archE4294967295ELNS1_3gpuE0ELNS1_3repE0EEENS1_30default_config_static_selectorELNS0_4arch9wavefront6targetE1EEEvSK_ ; -- Begin function _ZN7rocprim17ROCPRIM_400000_NS6detail17trampoline_kernelINS0_14default_configENS1_22reduce_config_selectorIN6thrust23THRUST_200600_302600_NS5tupleIblNS6_9null_typeES8_S8_S8_S8_S8_S8_S8_EEEEZNS1_11reduce_implILb1ES3_PS9_SC_S9_NS6_11hip_rocprim9__find_if7functorIS9_EEEE10hipError_tPvRmT1_T2_T3_mT4_P12ihipStream_tbEUlT_E0_NS1_11comp_targetILNS1_3genE0ELNS1_11target_archE4294967295ELNS1_3gpuE0ELNS1_3repE0EEENS1_30default_config_static_selectorELNS0_4arch9wavefront6targetE1EEEvSK_
	.globl	_ZN7rocprim17ROCPRIM_400000_NS6detail17trampoline_kernelINS0_14default_configENS1_22reduce_config_selectorIN6thrust23THRUST_200600_302600_NS5tupleIblNS6_9null_typeES8_S8_S8_S8_S8_S8_S8_EEEEZNS1_11reduce_implILb1ES3_PS9_SC_S9_NS6_11hip_rocprim9__find_if7functorIS9_EEEE10hipError_tPvRmT1_T2_T3_mT4_P12ihipStream_tbEUlT_E0_NS1_11comp_targetILNS1_3genE0ELNS1_11target_archE4294967295ELNS1_3gpuE0ELNS1_3repE0EEENS1_30default_config_static_selectorELNS0_4arch9wavefront6targetE1EEEvSK_
	.p2align	8
	.type	_ZN7rocprim17ROCPRIM_400000_NS6detail17trampoline_kernelINS0_14default_configENS1_22reduce_config_selectorIN6thrust23THRUST_200600_302600_NS5tupleIblNS6_9null_typeES8_S8_S8_S8_S8_S8_S8_EEEEZNS1_11reduce_implILb1ES3_PS9_SC_S9_NS6_11hip_rocprim9__find_if7functorIS9_EEEE10hipError_tPvRmT1_T2_T3_mT4_P12ihipStream_tbEUlT_E0_NS1_11comp_targetILNS1_3genE0ELNS1_11target_archE4294967295ELNS1_3gpuE0ELNS1_3repE0EEENS1_30default_config_static_selectorELNS0_4arch9wavefront6targetE1EEEvSK_,@function
_ZN7rocprim17ROCPRIM_400000_NS6detail17trampoline_kernelINS0_14default_configENS1_22reduce_config_selectorIN6thrust23THRUST_200600_302600_NS5tupleIblNS6_9null_typeES8_S8_S8_S8_S8_S8_S8_EEEEZNS1_11reduce_implILb1ES3_PS9_SC_S9_NS6_11hip_rocprim9__find_if7functorIS9_EEEE10hipError_tPvRmT1_T2_T3_mT4_P12ihipStream_tbEUlT_E0_NS1_11comp_targetILNS1_3genE0ELNS1_11target_archE4294967295ELNS1_3gpuE0ELNS1_3repE0EEENS1_30default_config_static_selectorELNS0_4arch9wavefront6targetE1EEEvSK_: ; @_ZN7rocprim17ROCPRIM_400000_NS6detail17trampoline_kernelINS0_14default_configENS1_22reduce_config_selectorIN6thrust23THRUST_200600_302600_NS5tupleIblNS6_9null_typeES8_S8_S8_S8_S8_S8_S8_EEEEZNS1_11reduce_implILb1ES3_PS9_SC_S9_NS6_11hip_rocprim9__find_if7functorIS9_EEEE10hipError_tPvRmT1_T2_T3_mT4_P12ihipStream_tbEUlT_E0_NS1_11comp_targetILNS1_3genE0ELNS1_11target_archE4294967295ELNS1_3gpuE0ELNS1_3repE0EEENS1_30default_config_static_selectorELNS0_4arch9wavefront6targetE1EEEvSK_
; %bb.0:
	.section	.rodata,"a",@progbits
	.p2align	6, 0x0
	.amdhsa_kernel _ZN7rocprim17ROCPRIM_400000_NS6detail17trampoline_kernelINS0_14default_configENS1_22reduce_config_selectorIN6thrust23THRUST_200600_302600_NS5tupleIblNS6_9null_typeES8_S8_S8_S8_S8_S8_S8_EEEEZNS1_11reduce_implILb1ES3_PS9_SC_S9_NS6_11hip_rocprim9__find_if7functorIS9_EEEE10hipError_tPvRmT1_T2_T3_mT4_P12ihipStream_tbEUlT_E0_NS1_11comp_targetILNS1_3genE0ELNS1_11target_archE4294967295ELNS1_3gpuE0ELNS1_3repE0EEENS1_30default_config_static_selectorELNS0_4arch9wavefront6targetE1EEEvSK_
		.amdhsa_group_segment_fixed_size 0
		.amdhsa_private_segment_fixed_size 0
		.amdhsa_kernarg_size 72
		.amdhsa_user_sgpr_count 6
		.amdhsa_user_sgpr_private_segment_buffer 1
		.amdhsa_user_sgpr_dispatch_ptr 0
		.amdhsa_user_sgpr_queue_ptr 0
		.amdhsa_user_sgpr_kernarg_segment_ptr 1
		.amdhsa_user_sgpr_dispatch_id 0
		.amdhsa_user_sgpr_flat_scratch_init 0
		.amdhsa_user_sgpr_kernarg_preload_length 0
		.amdhsa_user_sgpr_kernarg_preload_offset 0
		.amdhsa_user_sgpr_private_segment_size 0
		.amdhsa_uses_dynamic_stack 0
		.amdhsa_system_sgpr_private_segment_wavefront_offset 0
		.amdhsa_system_sgpr_workgroup_id_x 1
		.amdhsa_system_sgpr_workgroup_id_y 0
		.amdhsa_system_sgpr_workgroup_id_z 0
		.amdhsa_system_sgpr_workgroup_info 0
		.amdhsa_system_vgpr_workitem_id 0
		.amdhsa_next_free_vgpr 1
		.amdhsa_next_free_sgpr 0
		.amdhsa_accum_offset 4
		.amdhsa_reserve_vcc 0
		.amdhsa_reserve_flat_scratch 0
		.amdhsa_float_round_mode_32 0
		.amdhsa_float_round_mode_16_64 0
		.amdhsa_float_denorm_mode_32 3
		.amdhsa_float_denorm_mode_16_64 3
		.amdhsa_dx10_clamp 1
		.amdhsa_ieee_mode 1
		.amdhsa_fp16_overflow 0
		.amdhsa_tg_split 0
		.amdhsa_exception_fp_ieee_invalid_op 0
		.amdhsa_exception_fp_denorm_src 0
		.amdhsa_exception_fp_ieee_div_zero 0
		.amdhsa_exception_fp_ieee_overflow 0
		.amdhsa_exception_fp_ieee_underflow 0
		.amdhsa_exception_fp_ieee_inexact 0
		.amdhsa_exception_int_div_zero 0
	.end_amdhsa_kernel
	.section	.text._ZN7rocprim17ROCPRIM_400000_NS6detail17trampoline_kernelINS0_14default_configENS1_22reduce_config_selectorIN6thrust23THRUST_200600_302600_NS5tupleIblNS6_9null_typeES8_S8_S8_S8_S8_S8_S8_EEEEZNS1_11reduce_implILb1ES3_PS9_SC_S9_NS6_11hip_rocprim9__find_if7functorIS9_EEEE10hipError_tPvRmT1_T2_T3_mT4_P12ihipStream_tbEUlT_E0_NS1_11comp_targetILNS1_3genE0ELNS1_11target_archE4294967295ELNS1_3gpuE0ELNS1_3repE0EEENS1_30default_config_static_selectorELNS0_4arch9wavefront6targetE1EEEvSK_,"axG",@progbits,_ZN7rocprim17ROCPRIM_400000_NS6detail17trampoline_kernelINS0_14default_configENS1_22reduce_config_selectorIN6thrust23THRUST_200600_302600_NS5tupleIblNS6_9null_typeES8_S8_S8_S8_S8_S8_S8_EEEEZNS1_11reduce_implILb1ES3_PS9_SC_S9_NS6_11hip_rocprim9__find_if7functorIS9_EEEE10hipError_tPvRmT1_T2_T3_mT4_P12ihipStream_tbEUlT_E0_NS1_11comp_targetILNS1_3genE0ELNS1_11target_archE4294967295ELNS1_3gpuE0ELNS1_3repE0EEENS1_30default_config_static_selectorELNS0_4arch9wavefront6targetE1EEEvSK_,comdat
.Lfunc_end48:
	.size	_ZN7rocprim17ROCPRIM_400000_NS6detail17trampoline_kernelINS0_14default_configENS1_22reduce_config_selectorIN6thrust23THRUST_200600_302600_NS5tupleIblNS6_9null_typeES8_S8_S8_S8_S8_S8_S8_EEEEZNS1_11reduce_implILb1ES3_PS9_SC_S9_NS6_11hip_rocprim9__find_if7functorIS9_EEEE10hipError_tPvRmT1_T2_T3_mT4_P12ihipStream_tbEUlT_E0_NS1_11comp_targetILNS1_3genE0ELNS1_11target_archE4294967295ELNS1_3gpuE0ELNS1_3repE0EEENS1_30default_config_static_selectorELNS0_4arch9wavefront6targetE1EEEvSK_, .Lfunc_end48-_ZN7rocprim17ROCPRIM_400000_NS6detail17trampoline_kernelINS0_14default_configENS1_22reduce_config_selectorIN6thrust23THRUST_200600_302600_NS5tupleIblNS6_9null_typeES8_S8_S8_S8_S8_S8_S8_EEEEZNS1_11reduce_implILb1ES3_PS9_SC_S9_NS6_11hip_rocprim9__find_if7functorIS9_EEEE10hipError_tPvRmT1_T2_T3_mT4_P12ihipStream_tbEUlT_E0_NS1_11comp_targetILNS1_3genE0ELNS1_11target_archE4294967295ELNS1_3gpuE0ELNS1_3repE0EEENS1_30default_config_static_selectorELNS0_4arch9wavefront6targetE1EEEvSK_
                                        ; -- End function
	.section	.AMDGPU.csdata,"",@progbits
; Kernel info:
; codeLenInByte = 0
; NumSgprs: 4
; NumVgprs: 0
; NumAgprs: 0
; TotalNumVgprs: 0
; ScratchSize: 0
; MemoryBound: 0
; FloatMode: 240
; IeeeMode: 1
; LDSByteSize: 0 bytes/workgroup (compile time only)
; SGPRBlocks: 0
; VGPRBlocks: 0
; NumSGPRsForWavesPerEU: 4
; NumVGPRsForWavesPerEU: 1
; AccumOffset: 4
; Occupancy: 8
; WaveLimiterHint : 0
; COMPUTE_PGM_RSRC2:SCRATCH_EN: 0
; COMPUTE_PGM_RSRC2:USER_SGPR: 6
; COMPUTE_PGM_RSRC2:TRAP_HANDLER: 0
; COMPUTE_PGM_RSRC2:TGID_X_EN: 1
; COMPUTE_PGM_RSRC2:TGID_Y_EN: 0
; COMPUTE_PGM_RSRC2:TGID_Z_EN: 0
; COMPUTE_PGM_RSRC2:TIDIG_COMP_CNT: 0
; COMPUTE_PGM_RSRC3_GFX90A:ACCUM_OFFSET: 0
; COMPUTE_PGM_RSRC3_GFX90A:TG_SPLIT: 0
	.section	.text._ZN7rocprim17ROCPRIM_400000_NS6detail17trampoline_kernelINS0_14default_configENS1_22reduce_config_selectorIN6thrust23THRUST_200600_302600_NS5tupleIblNS6_9null_typeES8_S8_S8_S8_S8_S8_S8_EEEEZNS1_11reduce_implILb1ES3_PS9_SC_S9_NS6_11hip_rocprim9__find_if7functorIS9_EEEE10hipError_tPvRmT1_T2_T3_mT4_P12ihipStream_tbEUlT_E0_NS1_11comp_targetILNS1_3genE5ELNS1_11target_archE942ELNS1_3gpuE9ELNS1_3repE0EEENS1_30default_config_static_selectorELNS0_4arch9wavefront6targetE1EEEvSK_,"axG",@progbits,_ZN7rocprim17ROCPRIM_400000_NS6detail17trampoline_kernelINS0_14default_configENS1_22reduce_config_selectorIN6thrust23THRUST_200600_302600_NS5tupleIblNS6_9null_typeES8_S8_S8_S8_S8_S8_S8_EEEEZNS1_11reduce_implILb1ES3_PS9_SC_S9_NS6_11hip_rocprim9__find_if7functorIS9_EEEE10hipError_tPvRmT1_T2_T3_mT4_P12ihipStream_tbEUlT_E0_NS1_11comp_targetILNS1_3genE5ELNS1_11target_archE942ELNS1_3gpuE9ELNS1_3repE0EEENS1_30default_config_static_selectorELNS0_4arch9wavefront6targetE1EEEvSK_,comdat
	.protected	_ZN7rocprim17ROCPRIM_400000_NS6detail17trampoline_kernelINS0_14default_configENS1_22reduce_config_selectorIN6thrust23THRUST_200600_302600_NS5tupleIblNS6_9null_typeES8_S8_S8_S8_S8_S8_S8_EEEEZNS1_11reduce_implILb1ES3_PS9_SC_S9_NS6_11hip_rocprim9__find_if7functorIS9_EEEE10hipError_tPvRmT1_T2_T3_mT4_P12ihipStream_tbEUlT_E0_NS1_11comp_targetILNS1_3genE5ELNS1_11target_archE942ELNS1_3gpuE9ELNS1_3repE0EEENS1_30default_config_static_selectorELNS0_4arch9wavefront6targetE1EEEvSK_ ; -- Begin function _ZN7rocprim17ROCPRIM_400000_NS6detail17trampoline_kernelINS0_14default_configENS1_22reduce_config_selectorIN6thrust23THRUST_200600_302600_NS5tupleIblNS6_9null_typeES8_S8_S8_S8_S8_S8_S8_EEEEZNS1_11reduce_implILb1ES3_PS9_SC_S9_NS6_11hip_rocprim9__find_if7functorIS9_EEEE10hipError_tPvRmT1_T2_T3_mT4_P12ihipStream_tbEUlT_E0_NS1_11comp_targetILNS1_3genE5ELNS1_11target_archE942ELNS1_3gpuE9ELNS1_3repE0EEENS1_30default_config_static_selectorELNS0_4arch9wavefront6targetE1EEEvSK_
	.globl	_ZN7rocprim17ROCPRIM_400000_NS6detail17trampoline_kernelINS0_14default_configENS1_22reduce_config_selectorIN6thrust23THRUST_200600_302600_NS5tupleIblNS6_9null_typeES8_S8_S8_S8_S8_S8_S8_EEEEZNS1_11reduce_implILb1ES3_PS9_SC_S9_NS6_11hip_rocprim9__find_if7functorIS9_EEEE10hipError_tPvRmT1_T2_T3_mT4_P12ihipStream_tbEUlT_E0_NS1_11comp_targetILNS1_3genE5ELNS1_11target_archE942ELNS1_3gpuE9ELNS1_3repE0EEENS1_30default_config_static_selectorELNS0_4arch9wavefront6targetE1EEEvSK_
	.p2align	8
	.type	_ZN7rocprim17ROCPRIM_400000_NS6detail17trampoline_kernelINS0_14default_configENS1_22reduce_config_selectorIN6thrust23THRUST_200600_302600_NS5tupleIblNS6_9null_typeES8_S8_S8_S8_S8_S8_S8_EEEEZNS1_11reduce_implILb1ES3_PS9_SC_S9_NS6_11hip_rocprim9__find_if7functorIS9_EEEE10hipError_tPvRmT1_T2_T3_mT4_P12ihipStream_tbEUlT_E0_NS1_11comp_targetILNS1_3genE5ELNS1_11target_archE942ELNS1_3gpuE9ELNS1_3repE0EEENS1_30default_config_static_selectorELNS0_4arch9wavefront6targetE1EEEvSK_,@function
_ZN7rocprim17ROCPRIM_400000_NS6detail17trampoline_kernelINS0_14default_configENS1_22reduce_config_selectorIN6thrust23THRUST_200600_302600_NS5tupleIblNS6_9null_typeES8_S8_S8_S8_S8_S8_S8_EEEEZNS1_11reduce_implILb1ES3_PS9_SC_S9_NS6_11hip_rocprim9__find_if7functorIS9_EEEE10hipError_tPvRmT1_T2_T3_mT4_P12ihipStream_tbEUlT_E0_NS1_11comp_targetILNS1_3genE5ELNS1_11target_archE942ELNS1_3gpuE9ELNS1_3repE0EEENS1_30default_config_static_selectorELNS0_4arch9wavefront6targetE1EEEvSK_: ; @_ZN7rocprim17ROCPRIM_400000_NS6detail17trampoline_kernelINS0_14default_configENS1_22reduce_config_selectorIN6thrust23THRUST_200600_302600_NS5tupleIblNS6_9null_typeES8_S8_S8_S8_S8_S8_S8_EEEEZNS1_11reduce_implILb1ES3_PS9_SC_S9_NS6_11hip_rocprim9__find_if7functorIS9_EEEE10hipError_tPvRmT1_T2_T3_mT4_P12ihipStream_tbEUlT_E0_NS1_11comp_targetILNS1_3genE5ELNS1_11target_archE942ELNS1_3gpuE9ELNS1_3repE0EEENS1_30default_config_static_selectorELNS0_4arch9wavefront6targetE1EEEvSK_
; %bb.0:
	.section	.rodata,"a",@progbits
	.p2align	6, 0x0
	.amdhsa_kernel _ZN7rocprim17ROCPRIM_400000_NS6detail17trampoline_kernelINS0_14default_configENS1_22reduce_config_selectorIN6thrust23THRUST_200600_302600_NS5tupleIblNS6_9null_typeES8_S8_S8_S8_S8_S8_S8_EEEEZNS1_11reduce_implILb1ES3_PS9_SC_S9_NS6_11hip_rocprim9__find_if7functorIS9_EEEE10hipError_tPvRmT1_T2_T3_mT4_P12ihipStream_tbEUlT_E0_NS1_11comp_targetILNS1_3genE5ELNS1_11target_archE942ELNS1_3gpuE9ELNS1_3repE0EEENS1_30default_config_static_selectorELNS0_4arch9wavefront6targetE1EEEvSK_
		.amdhsa_group_segment_fixed_size 0
		.amdhsa_private_segment_fixed_size 0
		.amdhsa_kernarg_size 72
		.amdhsa_user_sgpr_count 6
		.amdhsa_user_sgpr_private_segment_buffer 1
		.amdhsa_user_sgpr_dispatch_ptr 0
		.amdhsa_user_sgpr_queue_ptr 0
		.amdhsa_user_sgpr_kernarg_segment_ptr 1
		.amdhsa_user_sgpr_dispatch_id 0
		.amdhsa_user_sgpr_flat_scratch_init 0
		.amdhsa_user_sgpr_kernarg_preload_length 0
		.amdhsa_user_sgpr_kernarg_preload_offset 0
		.amdhsa_user_sgpr_private_segment_size 0
		.amdhsa_uses_dynamic_stack 0
		.amdhsa_system_sgpr_private_segment_wavefront_offset 0
		.amdhsa_system_sgpr_workgroup_id_x 1
		.amdhsa_system_sgpr_workgroup_id_y 0
		.amdhsa_system_sgpr_workgroup_id_z 0
		.amdhsa_system_sgpr_workgroup_info 0
		.amdhsa_system_vgpr_workitem_id 0
		.amdhsa_next_free_vgpr 1
		.amdhsa_next_free_sgpr 0
		.amdhsa_accum_offset 4
		.amdhsa_reserve_vcc 0
		.amdhsa_reserve_flat_scratch 0
		.amdhsa_float_round_mode_32 0
		.amdhsa_float_round_mode_16_64 0
		.amdhsa_float_denorm_mode_32 3
		.amdhsa_float_denorm_mode_16_64 3
		.amdhsa_dx10_clamp 1
		.amdhsa_ieee_mode 1
		.amdhsa_fp16_overflow 0
		.amdhsa_tg_split 0
		.amdhsa_exception_fp_ieee_invalid_op 0
		.amdhsa_exception_fp_denorm_src 0
		.amdhsa_exception_fp_ieee_div_zero 0
		.amdhsa_exception_fp_ieee_overflow 0
		.amdhsa_exception_fp_ieee_underflow 0
		.amdhsa_exception_fp_ieee_inexact 0
		.amdhsa_exception_int_div_zero 0
	.end_amdhsa_kernel
	.section	.text._ZN7rocprim17ROCPRIM_400000_NS6detail17trampoline_kernelINS0_14default_configENS1_22reduce_config_selectorIN6thrust23THRUST_200600_302600_NS5tupleIblNS6_9null_typeES8_S8_S8_S8_S8_S8_S8_EEEEZNS1_11reduce_implILb1ES3_PS9_SC_S9_NS6_11hip_rocprim9__find_if7functorIS9_EEEE10hipError_tPvRmT1_T2_T3_mT4_P12ihipStream_tbEUlT_E0_NS1_11comp_targetILNS1_3genE5ELNS1_11target_archE942ELNS1_3gpuE9ELNS1_3repE0EEENS1_30default_config_static_selectorELNS0_4arch9wavefront6targetE1EEEvSK_,"axG",@progbits,_ZN7rocprim17ROCPRIM_400000_NS6detail17trampoline_kernelINS0_14default_configENS1_22reduce_config_selectorIN6thrust23THRUST_200600_302600_NS5tupleIblNS6_9null_typeES8_S8_S8_S8_S8_S8_S8_EEEEZNS1_11reduce_implILb1ES3_PS9_SC_S9_NS6_11hip_rocprim9__find_if7functorIS9_EEEE10hipError_tPvRmT1_T2_T3_mT4_P12ihipStream_tbEUlT_E0_NS1_11comp_targetILNS1_3genE5ELNS1_11target_archE942ELNS1_3gpuE9ELNS1_3repE0EEENS1_30default_config_static_selectorELNS0_4arch9wavefront6targetE1EEEvSK_,comdat
.Lfunc_end49:
	.size	_ZN7rocprim17ROCPRIM_400000_NS6detail17trampoline_kernelINS0_14default_configENS1_22reduce_config_selectorIN6thrust23THRUST_200600_302600_NS5tupleIblNS6_9null_typeES8_S8_S8_S8_S8_S8_S8_EEEEZNS1_11reduce_implILb1ES3_PS9_SC_S9_NS6_11hip_rocprim9__find_if7functorIS9_EEEE10hipError_tPvRmT1_T2_T3_mT4_P12ihipStream_tbEUlT_E0_NS1_11comp_targetILNS1_3genE5ELNS1_11target_archE942ELNS1_3gpuE9ELNS1_3repE0EEENS1_30default_config_static_selectorELNS0_4arch9wavefront6targetE1EEEvSK_, .Lfunc_end49-_ZN7rocprim17ROCPRIM_400000_NS6detail17trampoline_kernelINS0_14default_configENS1_22reduce_config_selectorIN6thrust23THRUST_200600_302600_NS5tupleIblNS6_9null_typeES8_S8_S8_S8_S8_S8_S8_EEEEZNS1_11reduce_implILb1ES3_PS9_SC_S9_NS6_11hip_rocprim9__find_if7functorIS9_EEEE10hipError_tPvRmT1_T2_T3_mT4_P12ihipStream_tbEUlT_E0_NS1_11comp_targetILNS1_3genE5ELNS1_11target_archE942ELNS1_3gpuE9ELNS1_3repE0EEENS1_30default_config_static_selectorELNS0_4arch9wavefront6targetE1EEEvSK_
                                        ; -- End function
	.section	.AMDGPU.csdata,"",@progbits
; Kernel info:
; codeLenInByte = 0
; NumSgprs: 4
; NumVgprs: 0
; NumAgprs: 0
; TotalNumVgprs: 0
; ScratchSize: 0
; MemoryBound: 0
; FloatMode: 240
; IeeeMode: 1
; LDSByteSize: 0 bytes/workgroup (compile time only)
; SGPRBlocks: 0
; VGPRBlocks: 0
; NumSGPRsForWavesPerEU: 4
; NumVGPRsForWavesPerEU: 1
; AccumOffset: 4
; Occupancy: 8
; WaveLimiterHint : 0
; COMPUTE_PGM_RSRC2:SCRATCH_EN: 0
; COMPUTE_PGM_RSRC2:USER_SGPR: 6
; COMPUTE_PGM_RSRC2:TRAP_HANDLER: 0
; COMPUTE_PGM_RSRC2:TGID_X_EN: 1
; COMPUTE_PGM_RSRC2:TGID_Y_EN: 0
; COMPUTE_PGM_RSRC2:TGID_Z_EN: 0
; COMPUTE_PGM_RSRC2:TIDIG_COMP_CNT: 0
; COMPUTE_PGM_RSRC3_GFX90A:ACCUM_OFFSET: 0
; COMPUTE_PGM_RSRC3_GFX90A:TG_SPLIT: 0
	.section	.text._ZN7rocprim17ROCPRIM_400000_NS6detail17trampoline_kernelINS0_14default_configENS1_22reduce_config_selectorIN6thrust23THRUST_200600_302600_NS5tupleIblNS6_9null_typeES8_S8_S8_S8_S8_S8_S8_EEEEZNS1_11reduce_implILb1ES3_PS9_SC_S9_NS6_11hip_rocprim9__find_if7functorIS9_EEEE10hipError_tPvRmT1_T2_T3_mT4_P12ihipStream_tbEUlT_E0_NS1_11comp_targetILNS1_3genE4ELNS1_11target_archE910ELNS1_3gpuE8ELNS1_3repE0EEENS1_30default_config_static_selectorELNS0_4arch9wavefront6targetE1EEEvSK_,"axG",@progbits,_ZN7rocprim17ROCPRIM_400000_NS6detail17trampoline_kernelINS0_14default_configENS1_22reduce_config_selectorIN6thrust23THRUST_200600_302600_NS5tupleIblNS6_9null_typeES8_S8_S8_S8_S8_S8_S8_EEEEZNS1_11reduce_implILb1ES3_PS9_SC_S9_NS6_11hip_rocprim9__find_if7functorIS9_EEEE10hipError_tPvRmT1_T2_T3_mT4_P12ihipStream_tbEUlT_E0_NS1_11comp_targetILNS1_3genE4ELNS1_11target_archE910ELNS1_3gpuE8ELNS1_3repE0EEENS1_30default_config_static_selectorELNS0_4arch9wavefront6targetE1EEEvSK_,comdat
	.protected	_ZN7rocprim17ROCPRIM_400000_NS6detail17trampoline_kernelINS0_14default_configENS1_22reduce_config_selectorIN6thrust23THRUST_200600_302600_NS5tupleIblNS6_9null_typeES8_S8_S8_S8_S8_S8_S8_EEEEZNS1_11reduce_implILb1ES3_PS9_SC_S9_NS6_11hip_rocprim9__find_if7functorIS9_EEEE10hipError_tPvRmT1_T2_T3_mT4_P12ihipStream_tbEUlT_E0_NS1_11comp_targetILNS1_3genE4ELNS1_11target_archE910ELNS1_3gpuE8ELNS1_3repE0EEENS1_30default_config_static_selectorELNS0_4arch9wavefront6targetE1EEEvSK_ ; -- Begin function _ZN7rocprim17ROCPRIM_400000_NS6detail17trampoline_kernelINS0_14default_configENS1_22reduce_config_selectorIN6thrust23THRUST_200600_302600_NS5tupleIblNS6_9null_typeES8_S8_S8_S8_S8_S8_S8_EEEEZNS1_11reduce_implILb1ES3_PS9_SC_S9_NS6_11hip_rocprim9__find_if7functorIS9_EEEE10hipError_tPvRmT1_T2_T3_mT4_P12ihipStream_tbEUlT_E0_NS1_11comp_targetILNS1_3genE4ELNS1_11target_archE910ELNS1_3gpuE8ELNS1_3repE0EEENS1_30default_config_static_selectorELNS0_4arch9wavefront6targetE1EEEvSK_
	.globl	_ZN7rocprim17ROCPRIM_400000_NS6detail17trampoline_kernelINS0_14default_configENS1_22reduce_config_selectorIN6thrust23THRUST_200600_302600_NS5tupleIblNS6_9null_typeES8_S8_S8_S8_S8_S8_S8_EEEEZNS1_11reduce_implILb1ES3_PS9_SC_S9_NS6_11hip_rocprim9__find_if7functorIS9_EEEE10hipError_tPvRmT1_T2_T3_mT4_P12ihipStream_tbEUlT_E0_NS1_11comp_targetILNS1_3genE4ELNS1_11target_archE910ELNS1_3gpuE8ELNS1_3repE0EEENS1_30default_config_static_selectorELNS0_4arch9wavefront6targetE1EEEvSK_
	.p2align	8
	.type	_ZN7rocprim17ROCPRIM_400000_NS6detail17trampoline_kernelINS0_14default_configENS1_22reduce_config_selectorIN6thrust23THRUST_200600_302600_NS5tupleIblNS6_9null_typeES8_S8_S8_S8_S8_S8_S8_EEEEZNS1_11reduce_implILb1ES3_PS9_SC_S9_NS6_11hip_rocprim9__find_if7functorIS9_EEEE10hipError_tPvRmT1_T2_T3_mT4_P12ihipStream_tbEUlT_E0_NS1_11comp_targetILNS1_3genE4ELNS1_11target_archE910ELNS1_3gpuE8ELNS1_3repE0EEENS1_30default_config_static_selectorELNS0_4arch9wavefront6targetE1EEEvSK_,@function
_ZN7rocprim17ROCPRIM_400000_NS6detail17trampoline_kernelINS0_14default_configENS1_22reduce_config_selectorIN6thrust23THRUST_200600_302600_NS5tupleIblNS6_9null_typeES8_S8_S8_S8_S8_S8_S8_EEEEZNS1_11reduce_implILb1ES3_PS9_SC_S9_NS6_11hip_rocprim9__find_if7functorIS9_EEEE10hipError_tPvRmT1_T2_T3_mT4_P12ihipStream_tbEUlT_E0_NS1_11comp_targetILNS1_3genE4ELNS1_11target_archE910ELNS1_3gpuE8ELNS1_3repE0EEENS1_30default_config_static_selectorELNS0_4arch9wavefront6targetE1EEEvSK_: ; @_ZN7rocprim17ROCPRIM_400000_NS6detail17trampoline_kernelINS0_14default_configENS1_22reduce_config_selectorIN6thrust23THRUST_200600_302600_NS5tupleIblNS6_9null_typeES8_S8_S8_S8_S8_S8_S8_EEEEZNS1_11reduce_implILb1ES3_PS9_SC_S9_NS6_11hip_rocprim9__find_if7functorIS9_EEEE10hipError_tPvRmT1_T2_T3_mT4_P12ihipStream_tbEUlT_E0_NS1_11comp_targetILNS1_3genE4ELNS1_11target_archE910ELNS1_3gpuE8ELNS1_3repE0EEENS1_30default_config_static_selectorELNS0_4arch9wavefront6targetE1EEEvSK_
; %bb.0:
	s_load_dwordx8 s[8:15], s[4:5], 0x0
	s_load_dwordx4 s[16:19], s[4:5], 0x20
	s_waitcnt lgkmcnt(0)
	s_lshl_b64 s[0:1], s[10:11], 4
	s_add_u32 s8, s8, s0
	s_addc_u32 s9, s9, s1
	s_lshl_b32 s10, s6, 9
	s_mov_b32 s11, 0
	s_lshr_b64 s[0:1], s[12:13], 9
	s_lshl_b64 s[2:3], s[10:11], 4
	s_add_u32 s8, s8, s2
	s_mov_b32 s7, s11
	s_addc_u32 s9, s9, s3
	s_cmp_lg_u64 s[0:1], s[6:7]
	s_cbranch_scc0 .LBB50_20
; %bb.1:
	v_lshlrev_b32_e32 v7, 4, v0
	v_mov_b32_e32 v1, s9
	v_add_co_u32_e32 v4, vcc, s8, v7
	v_addc_co_u32_e32 v5, vcc, 0, v1, vcc
	v_add_co_u32_e32 v8, vcc, 0x1000, v4
	v_addc_co_u32_e32 v9, vcc, 0, v5, vcc
	global_load_ubyte v1, v7, s[8:9]
	global_load_ubyte v6, v[8:9], off
	global_load_dwordx2 v[2:3], v[8:9], off offset:8
	s_waitcnt vmcnt(2)
	v_and_b32_e32 v7, 1, v1
	v_cmp_eq_u32_e32 vcc, 1, v7
	s_and_saveexec_b64 s[2:3], vcc
	s_cbranch_execz .LBB50_3
; %bb.2:
	global_load_dwordx2 v[4:5], v[4:5], off offset:8
	s_waitcnt vmcnt(2)
	v_and_b32_e32 v6, 1, v6
	v_cmp_eq_u32_e32 vcc, 1, v6
	v_cndmask_b32_e64 v6, v1, 1, vcc
	s_waitcnt vmcnt(0)
	v_cmp_lt_i64_e64 s[0:1], v[2:3], v[4:5]
	v_cndmask_b32_e64 v1, v5, v3, s[0:1]
	v_cndmask_b32_e32 v3, v5, v1, vcc
	s_and_b64 vcc, vcc, s[0:1]
	v_cndmask_b32_e32 v2, v4, v2, vcc
.LBB50_3:
	s_or_b64 exec, exec, s[2:3]
	s_waitcnt vmcnt(1)
	v_and_b32_e32 v1, 0xff, v6
	v_and_b32_e32 v6, 1, v6
	s_waitcnt vmcnt(0)
	v_mov_b32_dpp v4, v2 quad_perm:[1,0,3,2] row_mask:0xf bank_mask:0xf bound_ctrl:1
	v_mov_b32_dpp v7, v1 quad_perm:[1,0,3,2] row_mask:0xf bank_mask:0xf bound_ctrl:1
	v_and_b32_e32 v8, 1, v7
	v_mov_b32_dpp v5, v3 quad_perm:[1,0,3,2] row_mask:0xf bank_mask:0xf bound_ctrl:1
	v_cmp_eq_u32_e32 vcc, 1, v8
	v_cmp_eq_u32_e64 s[0:1], 1, v6
	s_and_saveexec_b64 s[2:3], vcc
; %bb.4:
	v_cmp_lt_i64_e32 vcc, v[2:3], v[4:5]
	v_cndmask_b32_e64 v6, v7, 1, s[0:1]
	s_and_b64 vcc, s[0:1], vcc
	v_cndmask_b32_e32 v2, v4, v2, vcc
	v_and_b32_e32 v4, 1, v6
	v_cndmask_b32_e32 v3, v5, v3, vcc
	v_cmp_eq_u32_e32 vcc, 1, v4
	s_andn2_b64 s[0:1], s[0:1], exec
	s_and_b64 s[20:21], vcc, exec
	v_and_b32_e32 v1, 0xff, v6
	s_or_b64 s[0:1], s[0:1], s[20:21]
; %bb.5:
	s_or_b64 exec, exec, s[2:3]
	v_mov_b32_dpp v6, v1 quad_perm:[2,3,0,1] row_mask:0xf bank_mask:0xf bound_ctrl:1
	v_and_b32_e32 v7, 1, v6
	v_mov_b32_dpp v4, v2 quad_perm:[2,3,0,1] row_mask:0xf bank_mask:0xf bound_ctrl:1
	v_mov_b32_dpp v5, v3 quad_perm:[2,3,0,1] row_mask:0xf bank_mask:0xf bound_ctrl:1
	v_cmp_eq_u32_e32 vcc, 1, v7
	s_and_saveexec_b64 s[2:3], vcc
; %bb.6:
	v_cmp_lt_i64_e32 vcc, v[2:3], v[4:5]
	v_cndmask_b32_e64 v6, v6, 1, s[0:1]
	s_and_b64 vcc, s[0:1], vcc
	v_cndmask_b32_e32 v2, v4, v2, vcc
	v_and_b32_e32 v4, 1, v6
	v_cndmask_b32_e32 v3, v5, v3, vcc
	v_cmp_eq_u32_e32 vcc, 1, v4
	s_andn2_b64 s[0:1], s[0:1], exec
	s_and_b64 s[20:21], vcc, exec
	v_and_b32_e32 v1, 0xff, v6
	s_or_b64 s[0:1], s[0:1], s[20:21]
; %bb.7:
	s_or_b64 exec, exec, s[2:3]
	v_mov_b32_dpp v6, v1 row_ror:4 row_mask:0xf bank_mask:0xf bound_ctrl:1
	v_and_b32_e32 v7, 1, v6
	v_mov_b32_dpp v4, v2 row_ror:4 row_mask:0xf bank_mask:0xf bound_ctrl:1
	v_mov_b32_dpp v5, v3 row_ror:4 row_mask:0xf bank_mask:0xf bound_ctrl:1
	v_cmp_eq_u32_e32 vcc, 1, v7
	s_and_saveexec_b64 s[2:3], vcc
; %bb.8:
	v_cmp_lt_i64_e32 vcc, v[2:3], v[4:5]
	v_cndmask_b32_e64 v6, v6, 1, s[0:1]
	s_and_b64 vcc, s[0:1], vcc
	v_cndmask_b32_e32 v2, v4, v2, vcc
	v_and_b32_e32 v4, 1, v6
	v_cndmask_b32_e32 v3, v5, v3, vcc
	v_cmp_eq_u32_e32 vcc, 1, v4
	s_andn2_b64 s[0:1], s[0:1], exec
	s_and_b64 s[20:21], vcc, exec
	v_and_b32_e32 v1, 0xff, v6
	s_or_b64 s[0:1], s[0:1], s[20:21]
; %bb.9:
	s_or_b64 exec, exec, s[2:3]
	v_mov_b32_dpp v6, v1 row_ror:8 row_mask:0xf bank_mask:0xf bound_ctrl:1
	v_and_b32_e32 v7, 1, v6
	v_mov_b32_dpp v4, v2 row_ror:8 row_mask:0xf bank_mask:0xf bound_ctrl:1
	v_mov_b32_dpp v5, v3 row_ror:8 row_mask:0xf bank_mask:0xf bound_ctrl:1
	v_cmp_eq_u32_e32 vcc, 1, v7
	s_and_saveexec_b64 s[2:3], vcc
; %bb.10:
	v_cmp_lt_i64_e32 vcc, v[2:3], v[4:5]
	v_cndmask_b32_e64 v6, v6, 1, s[0:1]
	s_and_b64 vcc, s[0:1], vcc
	v_cndmask_b32_e32 v2, v4, v2, vcc
	v_and_b32_e32 v4, 1, v6
	v_cndmask_b32_e32 v3, v5, v3, vcc
	v_cmp_eq_u32_e32 vcc, 1, v4
	s_andn2_b64 s[0:1], s[0:1], exec
	s_and_b64 s[20:21], vcc, exec
	v_and_b32_e32 v1, 0xff, v6
	s_or_b64 s[0:1], s[0:1], s[20:21]
; %bb.11:
	s_or_b64 exec, exec, s[2:3]
	v_mov_b32_dpp v6, v1 row_bcast:15 row_mask:0xf bank_mask:0xf bound_ctrl:1
	v_and_b32_e32 v7, 1, v6
	v_mov_b32_dpp v4, v2 row_bcast:15 row_mask:0xf bank_mask:0xf bound_ctrl:1
	v_mov_b32_dpp v5, v3 row_bcast:15 row_mask:0xf bank_mask:0xf bound_ctrl:1
	v_cmp_eq_u32_e32 vcc, 1, v7
	s_and_saveexec_b64 s[2:3], vcc
; %bb.12:
	v_cmp_lt_i64_e32 vcc, v[2:3], v[4:5]
	v_cndmask_b32_e64 v6, v6, 1, s[0:1]
	s_and_b64 vcc, s[0:1], vcc
	v_cndmask_b32_e32 v2, v4, v2, vcc
	v_and_b32_e32 v4, 1, v6
	v_cndmask_b32_e32 v3, v5, v3, vcc
	v_cmp_eq_u32_e32 vcc, 1, v4
	s_andn2_b64 s[0:1], s[0:1], exec
	s_and_b64 s[20:21], vcc, exec
	v_and_b32_e32 v1, 0xff, v6
	s_or_b64 s[0:1], s[0:1], s[20:21]
; %bb.13:
	s_or_b64 exec, exec, s[2:3]
	v_mov_b32_dpp v6, v1 row_bcast:31 row_mask:0xf bank_mask:0xf bound_ctrl:1
	v_and_b32_e32 v7, 1, v6
	v_mov_b32_dpp v4, v2 row_bcast:31 row_mask:0xf bank_mask:0xf bound_ctrl:1
	v_mov_b32_dpp v5, v3 row_bcast:31 row_mask:0xf bank_mask:0xf bound_ctrl:1
	v_cmp_eq_u32_e32 vcc, 1, v7
	s_and_saveexec_b64 s[2:3], vcc
; %bb.14:
	v_cmp_lt_i64_e32 vcc, v[2:3], v[4:5]
	v_and_b32_e32 v1, 0xff, v6
	s_and_b64 vcc, s[0:1], vcc
	v_cndmask_b32_e32 v2, v4, v2, vcc
	v_cndmask_b32_e32 v3, v5, v3, vcc
	v_cndmask_b32_e64 v1, v1, 1, s[0:1]
; %bb.15:
	s_or_b64 exec, exec, s[2:3]
	v_mbcnt_lo_u32_b32 v4, -1, 0
	v_mbcnt_hi_u32_b32 v4, -1, v4
	v_bfrev_b32_e32 v5, 0.5
	v_lshl_or_b32 v5, v4, 2, v5
	ds_bpermute_b32 v6, v5, v1
	ds_bpermute_b32 v2, v5, v2
	;; [unrolled: 1-line block ×3, first 2 shown]
	v_cmp_eq_u32_e32 vcc, 0, v4
	s_and_saveexec_b64 s[0:1], vcc
	s_cbranch_execz .LBB50_17
; %bb.16:
	v_lshrrev_b32_e32 v1, 2, v0
	v_and_b32_e32 v1, 48, v1
	s_waitcnt lgkmcnt(2)
	ds_write_b8 v1, v6
	s_waitcnt lgkmcnt(1)
	ds_write_b64 v1, v[2:3] offset:8
.LBB50_17:
	s_or_b64 exec, exec, s[0:1]
	v_cmp_gt_u32_e32 vcc, 64, v0
	s_waitcnt lgkmcnt(0)
	s_barrier
	s_and_saveexec_b64 s[2:3], vcc
	s_cbranch_execz .LBB50_19
; %bb.18:
	v_and_b32_e32 v1, 3, v4
	v_lshlrev_b32_e32 v2, 4, v1
	ds_read_u8 v5, v2
	ds_read_b64 v[2:3], v2 offset:8
	v_cmp_ne_u32_e32 vcc, 3, v1
	v_addc_co_u32_e32 v6, vcc, 0, v4, vcc
	s_waitcnt lgkmcnt(1)
	v_and_b32_e32 v7, 0xff, v5
	v_lshlrev_b32_e32 v8, 2, v6
	ds_bpermute_b32 v9, v8, v7
	s_waitcnt lgkmcnt(1)
	ds_bpermute_b32 v6, v8, v2
	ds_bpermute_b32 v7, v8, v3
	v_and_b32_e32 v8, 1, v5
	s_waitcnt lgkmcnt(2)
	v_and_b32_e32 v10, 1, v9
	v_cmp_eq_u32_e64 s[0:1], 1, v10
	s_waitcnt lgkmcnt(0)
	v_cmp_lt_i64_e32 vcc, v[6:7], v[2:3]
	s_and_b64 vcc, s[0:1], vcc
	v_cndmask_b32_e64 v5, v5, 1, s[0:1]
	v_cndmask_b32_e32 v2, v2, v6, vcc
	v_cndmask_b32_e32 v3, v3, v7, vcc
	v_cmp_eq_u32_e32 vcc, 1, v8
	v_cndmask_b32_e32 v8, v9, v5, vcc
	v_cndmask_b32_e32 v3, v7, v3, vcc
	;; [unrolled: 1-line block ×3, first 2 shown]
	v_cmp_gt_u32_e32 vcc, 2, v1
	v_cndmask_b32_e64 v1, 0, 1, vcc
	v_lshlrev_b32_e32 v1, 1, v1
	v_and_b32_e32 v5, 0xff, v8
	v_add_lshl_u32 v1, v1, v4, 2
	ds_bpermute_b32 v6, v1, v5
	ds_bpermute_b32 v4, v1, v2
	;; [unrolled: 1-line block ×3, first 2 shown]
	v_and_b32_e32 v1, 1, v8
	s_waitcnt lgkmcnt(2)
	v_and_b32_e32 v7, 1, v6
	v_cmp_eq_u32_e64 s[0:1], 1, v7
	s_waitcnt lgkmcnt(0)
	v_cmp_lt_i64_e32 vcc, v[4:5], v[2:3]
	s_and_b64 vcc, s[0:1], vcc
	v_cndmask_b32_e64 v7, v8, 1, s[0:1]
	v_cndmask_b32_e32 v2, v2, v4, vcc
	v_cndmask_b32_e32 v3, v3, v5, vcc
	v_cmp_eq_u32_e32 vcc, 1, v1
	v_cndmask_b32_e32 v1, v6, v7, vcc
	v_cndmask_b32_e32 v3, v5, v3, vcc
	;; [unrolled: 1-line block ×3, first 2 shown]
	v_and_b32_e32 v6, 0xff, v1
.LBB50_19:
	s_or_b64 exec, exec, s[2:3]
	s_load_dword s11, s[4:5], 0x30
	s_load_dwordx2 s[2:3], s[4:5], 0x38
	s_branch .LBB50_48
.LBB50_20:
                                        ; implicit-def: $vgpr2_vgpr3
                                        ; implicit-def: $vgpr6
	s_load_dword s11, s[4:5], 0x30
	s_load_dwordx2 s[2:3], s[4:5], 0x38
	s_cbranch_execz .LBB50_48
; %bb.21:
	s_sub_i32 s10, s12, s10
	v_pk_mov_b32 v[4:5], 0, 0
	v_cmp_gt_u32_e32 vcc, s10, v0
	v_mov_b32_e32 v1, 0
	v_pk_mov_b32 v[2:3], v[4:5], v[4:5] op_sel:[0,1]
	v_mov_b32_e32 v7, 0
	s_and_saveexec_b64 s[0:1], vcc
	s_cbranch_execz .LBB50_23
; %bb.22:
	v_lshlrev_b32_e32 v6, 4, v0
	global_load_ubyte v7, v6, s[8:9]
	global_load_dwordx2 v[2:3], v6, s[8:9] offset:8
.LBB50_23:
	s_or_b64 exec, exec, s[0:1]
	v_or_b32_e32 v6, 0x100, v0
	v_cmp_gt_u32_e32 vcc, s10, v6
	s_and_saveexec_b64 s[0:1], vcc
	s_cbranch_execz .LBB50_25
; %bb.24:
	v_lshlrev_b32_e32 v6, 4, v6
	global_load_ubyte v1, v6, s[8:9]
	global_load_dwordx2 v[4:5], v6, s[8:9] offset:8
.LBB50_25:
	s_or_b64 exec, exec, s[0:1]
	s_and_saveexec_b64 s[4:5], vcc
	s_cbranch_execz .LBB50_27
; %bb.26:
	s_waitcnt vmcnt(1)
	v_and_b32_e32 v8, 1, v1
	s_waitcnt vmcnt(0)
	v_cmp_lt_i64_e32 vcc, v[4:5], v[2:3]
	v_cmp_eq_u32_e64 s[0:1], 1, v8
	v_and_b32_e32 v6, 1, v7
	s_and_b64 vcc, s[0:1], vcc
	v_cndmask_b32_e64 v7, v7, 1, s[0:1]
	v_cndmask_b32_e32 v2, v2, v4, vcc
	v_cndmask_b32_e32 v3, v3, v5, vcc
	v_cmp_eq_u32_e32 vcc, 1, v6
	v_cndmask_b32_e32 v7, v1, v7, vcc
	v_cndmask_b32_e32 v3, v5, v3, vcc
	;; [unrolled: 1-line block ×3, first 2 shown]
.LBB50_27:
	s_or_b64 exec, exec, s[4:5]
	s_waitcnt vmcnt(1)
	v_mbcnt_lo_u32_b32 v1, -1, 0
	v_mbcnt_hi_u32_b32 v1, -1, v1
	v_and_b32_e32 v8, 63, v1
	v_cmp_ne_u32_e32 vcc, 63, v8
	s_waitcnt vmcnt(0)
	v_addc_co_u32_e32 v4, vcc, 0, v1, vcc
	v_and_b32_e32 v6, 0xff, v7
	v_lshlrev_b32_e32 v5, 2, v4
	ds_bpermute_b32 v10, v5, v6
	ds_bpermute_b32 v4, v5, v2
	ds_bpermute_b32 v5, v5, v3
	s_min_u32 s8, s10, 0x100
	v_and_b32_e32 v9, 0xc0, v0
	v_sub_u32_e64 v9, s8, v9 clamp
	v_add_u32_e32 v11, 1, v8
	v_cmp_lt_u32_e32 vcc, v11, v9
	s_and_saveexec_b64 s[4:5], vcc
	s_cbranch_execz .LBB50_29
; %bb.28:
	s_waitcnt lgkmcnt(0)
	v_and_b32_e32 v11, 1, v10
	v_cmp_lt_i64_e32 vcc, v[4:5], v[2:3]
	v_cmp_eq_u32_e64 s[0:1], 1, v11
	v_and_b32_e32 v6, 1, v7
	s_and_b64 vcc, s[0:1], vcc
	v_cndmask_b32_e64 v7, v7, 1, s[0:1]
	v_cndmask_b32_e32 v2, v2, v4, vcc
	v_cndmask_b32_e32 v3, v3, v5, vcc
	v_cmp_eq_u32_e32 vcc, 1, v6
	v_cndmask_b32_e32 v7, v10, v7, vcc
	v_cndmask_b32_e32 v3, v5, v3, vcc
	;; [unrolled: 1-line block ×3, first 2 shown]
	v_and_b32_e32 v6, 0xff, v7
.LBB50_29:
	s_or_b64 exec, exec, s[4:5]
	v_cmp_gt_u32_e32 vcc, 62, v8
	s_waitcnt lgkmcnt(0)
	v_cndmask_b32_e64 v4, 0, 1, vcc
	v_lshlrev_b32_e32 v4, 1, v4
	v_add_lshl_u32 v5, v4, v1, 2
	ds_bpermute_b32 v10, v5, v6
	ds_bpermute_b32 v4, v5, v2
	ds_bpermute_b32 v5, v5, v3
	v_add_u32_e32 v11, 2, v8
	v_cmp_lt_u32_e32 vcc, v11, v9
	s_and_saveexec_b64 s[4:5], vcc
	s_cbranch_execz .LBB50_31
; %bb.30:
	s_waitcnt lgkmcnt(2)
	v_and_b32_e32 v11, 1, v10
	s_waitcnt lgkmcnt(0)
	v_cmp_lt_i64_e32 vcc, v[4:5], v[2:3]
	v_cmp_eq_u32_e64 s[0:1], 1, v11
	v_and_b32_e32 v6, 1, v7
	s_and_b64 vcc, s[0:1], vcc
	v_cndmask_b32_e64 v7, v7, 1, s[0:1]
	v_cndmask_b32_e32 v2, v2, v4, vcc
	v_cndmask_b32_e32 v3, v3, v5, vcc
	v_cmp_eq_u32_e32 vcc, 1, v6
	v_cndmask_b32_e32 v7, v10, v7, vcc
	v_cndmask_b32_e32 v3, v5, v3, vcc
	v_cndmask_b32_e32 v2, v4, v2, vcc
	v_and_b32_e32 v6, 0xff, v7
.LBB50_31:
	s_or_b64 exec, exec, s[4:5]
	v_cmp_gt_u32_e32 vcc, 60, v8
	s_waitcnt lgkmcnt(1)
	v_cndmask_b32_e64 v4, 0, 1, vcc
	v_lshlrev_b32_e32 v4, 2, v4
	s_waitcnt lgkmcnt(0)
	v_add_lshl_u32 v5, v4, v1, 2
	ds_bpermute_b32 v10, v5, v6
	ds_bpermute_b32 v4, v5, v2
	ds_bpermute_b32 v5, v5, v3
	v_add_u32_e32 v11, 4, v8
	v_cmp_lt_u32_e32 vcc, v11, v9
	s_and_saveexec_b64 s[4:5], vcc
	s_cbranch_execz .LBB50_33
; %bb.32:
	s_waitcnt lgkmcnt(2)
	v_and_b32_e32 v11, 1, v10
	s_waitcnt lgkmcnt(0)
	v_cmp_lt_i64_e32 vcc, v[4:5], v[2:3]
	v_cmp_eq_u32_e64 s[0:1], 1, v11
	v_and_b32_e32 v6, 1, v7
	s_and_b64 vcc, s[0:1], vcc
	v_cndmask_b32_e64 v7, v7, 1, s[0:1]
	v_cndmask_b32_e32 v2, v2, v4, vcc
	v_cndmask_b32_e32 v3, v3, v5, vcc
	v_cmp_eq_u32_e32 vcc, 1, v6
	v_cndmask_b32_e32 v7, v10, v7, vcc
	v_cndmask_b32_e32 v3, v5, v3, vcc
	v_cndmask_b32_e32 v2, v4, v2, vcc
	v_and_b32_e32 v6, 0xff, v7
.LBB50_33:
	s_or_b64 exec, exec, s[4:5]
	v_cmp_gt_u32_e32 vcc, 56, v8
	s_waitcnt lgkmcnt(1)
	v_cndmask_b32_e64 v4, 0, 1, vcc
	v_lshlrev_b32_e32 v4, 3, v4
	s_waitcnt lgkmcnt(0)
	;; [unrolled: 31-line block ×4, first 2 shown]
	v_add_lshl_u32 v5, v4, v1, 2
	ds_bpermute_b32 v10, v5, v6
	ds_bpermute_b32 v4, v5, v2
	;; [unrolled: 1-line block ×3, first 2 shown]
	v_add_u32_e32 v8, 32, v8
	v_cmp_lt_u32_e32 vcc, v8, v9
	s_and_saveexec_b64 s[4:5], vcc
	s_cbranch_execz .LBB50_39
; %bb.38:
	s_waitcnt lgkmcnt(2)
	v_and_b32_e32 v8, 1, v10
	s_waitcnt lgkmcnt(0)
	v_cmp_lt_i64_e32 vcc, v[4:5], v[2:3]
	v_cmp_eq_u32_e64 s[0:1], 1, v8
	v_and_b32_e32 v6, 1, v7
	s_and_b64 vcc, s[0:1], vcc
	v_cndmask_b32_e64 v7, v7, 1, s[0:1]
	v_cndmask_b32_e32 v2, v2, v4, vcc
	v_cndmask_b32_e32 v3, v3, v5, vcc
	v_cmp_eq_u32_e32 vcc, 1, v6
	v_cndmask_b32_e32 v7, v10, v7, vcc
	v_cndmask_b32_e32 v3, v5, v3, vcc
	;; [unrolled: 1-line block ×3, first 2 shown]
	v_and_b32_e32 v6, 0xff, v7
.LBB50_39:
	s_or_b64 exec, exec, s[4:5]
	v_cmp_eq_u32_e32 vcc, 0, v1
	s_and_saveexec_b64 s[0:1], vcc
	s_cbranch_execz .LBB50_41
; %bb.40:
	s_waitcnt lgkmcnt(1)
	v_lshrrev_b32_e32 v4, 2, v0
	v_and_b32_e32 v4, 48, v4
	ds_write_b8 v4, v7 offset:64
	ds_write_b64 v4, v[2:3] offset:72
.LBB50_41:
	s_or_b64 exec, exec, s[0:1]
	v_cmp_gt_u32_e32 vcc, 4, v0
	s_waitcnt lgkmcnt(0)
	s_barrier
	s_and_saveexec_b64 s[4:5], vcc
	s_cbranch_execz .LBB50_47
; %bb.42:
	v_lshlrev_b32_e32 v2, 4, v1
	ds_read_u8 v7, v2 offset:64
	ds_read_b64 v[2:3], v2 offset:72
	v_and_b32_e32 v8, 3, v1
	v_cmp_ne_u32_e32 vcc, 3, v8
	v_addc_co_u32_e32 v4, vcc, 0, v1, vcc
	s_waitcnt lgkmcnt(1)
	v_and_b32_e32 v6, 0xff, v7
	v_lshlrev_b32_e32 v5, 2, v4
	ds_bpermute_b32 v9, v5, v6
	s_waitcnt lgkmcnt(1)
	ds_bpermute_b32 v4, v5, v2
	ds_bpermute_b32 v5, v5, v3
	s_add_i32 s8, s8, 63
	s_lshr_b32 s10, s8, 6
	v_add_u32_e32 v10, 1, v8
	v_cmp_gt_u32_e32 vcc, s10, v10
	s_and_saveexec_b64 s[8:9], vcc
	s_cbranch_execz .LBB50_44
; %bb.43:
	s_waitcnt lgkmcnt(2)
	v_and_b32_e32 v10, 1, v9
	s_waitcnt lgkmcnt(0)
	v_cmp_lt_i64_e32 vcc, v[4:5], v[2:3]
	v_cmp_eq_u32_e64 s[0:1], 1, v10
	v_and_b32_e32 v6, 1, v7
	s_and_b64 vcc, s[0:1], vcc
	v_cndmask_b32_e64 v7, v7, 1, s[0:1]
	v_cndmask_b32_e32 v2, v2, v4, vcc
	v_cndmask_b32_e32 v3, v3, v5, vcc
	v_cmp_eq_u32_e32 vcc, 1, v6
	v_cndmask_b32_e32 v7, v9, v7, vcc
	v_cndmask_b32_e32 v3, v5, v3, vcc
	;; [unrolled: 1-line block ×3, first 2 shown]
	v_and_b32_e32 v6, 0xff, v7
.LBB50_44:
	s_or_b64 exec, exec, s[8:9]
	v_cmp_gt_u32_e32 vcc, 2, v8
	s_waitcnt lgkmcnt(1)
	v_cndmask_b32_e64 v4, 0, 1, vcc
	v_lshlrev_b32_e32 v4, 1, v4
	s_waitcnt lgkmcnt(0)
	v_add_lshl_u32 v5, v4, v1, 2
	ds_bpermute_b32 v1, v5, v6
	ds_bpermute_b32 v4, v5, v2
	;; [unrolled: 1-line block ×3, first 2 shown]
	v_add_u32_e32 v8, 2, v8
	v_cmp_gt_u32_e32 vcc, s10, v8
	s_and_saveexec_b64 s[8:9], vcc
	s_cbranch_execz .LBB50_46
; %bb.45:
	s_waitcnt lgkmcnt(2)
	v_and_b32_e32 v8, 1, v1
	s_waitcnt lgkmcnt(0)
	v_cmp_lt_i64_e32 vcc, v[4:5], v[2:3]
	v_cmp_eq_u32_e64 s[0:1], 1, v8
	v_and_b32_e32 v6, 1, v7
	s_and_b64 vcc, s[0:1], vcc
	v_cndmask_b32_e64 v7, v7, 1, s[0:1]
	v_cndmask_b32_e32 v2, v2, v4, vcc
	v_cndmask_b32_e32 v3, v3, v5, vcc
	v_cmp_eq_u32_e32 vcc, 1, v6
	v_cndmask_b32_e32 v1, v1, v7, vcc
	v_cndmask_b32_e32 v3, v5, v3, vcc
	;; [unrolled: 1-line block ×3, first 2 shown]
	v_and_b32_e32 v6, 0xff, v1
.LBB50_46:
	s_or_b64 exec, exec, s[8:9]
.LBB50_47:
	s_or_b64 exec, exec, s[4:5]
.LBB50_48:
	v_cmp_eq_u32_e32 vcc, 0, v0
	s_and_saveexec_b64 s[0:1], vcc
	s_cbranch_execnz .LBB50_50
; %bb.49:
	s_endpgm
.LBB50_50:
	s_mul_i32 s0, s18, s17
	s_mul_hi_u32 s1, s18, s16
	s_add_i32 s0, s1, s0
	s_mul_i32 s1, s19, s16
	s_add_i32 s1, s0, s1
	s_mul_i32 s0, s18, s16
	s_lshl_b64 s[0:1], s[0:1], 4
	s_add_u32 s4, s14, s0
	s_addc_u32 s5, s15, s1
	s_cmp_eq_u64 s[12:13], 0
	s_waitcnt lgkmcnt(0)
	v_mov_b32_e32 v0, s3
	s_cselect_b64 vcc, -1, 0
	v_cndmask_b32_e32 v1, v3, v0, vcc
	v_mov_b32_e32 v0, s2
	s_lshl_b64 s[0:1], s[6:7], 4
	v_cndmask_b32_e32 v0, v2, v0, vcc
	v_mov_b32_e32 v2, s11
	s_add_u32 s0, s4, s0
	v_cndmask_b32_e32 v2, v6, v2, vcc
	s_addc_u32 s1, s5, s1
	v_mov_b32_e32 v3, 0
	global_store_byte v3, v2, s[0:1]
	global_store_dwordx2 v3, v[0:1], s[0:1] offset:8
	s_endpgm
	.section	.rodata,"a",@progbits
	.p2align	6, 0x0
	.amdhsa_kernel _ZN7rocprim17ROCPRIM_400000_NS6detail17trampoline_kernelINS0_14default_configENS1_22reduce_config_selectorIN6thrust23THRUST_200600_302600_NS5tupleIblNS6_9null_typeES8_S8_S8_S8_S8_S8_S8_EEEEZNS1_11reduce_implILb1ES3_PS9_SC_S9_NS6_11hip_rocprim9__find_if7functorIS9_EEEE10hipError_tPvRmT1_T2_T3_mT4_P12ihipStream_tbEUlT_E0_NS1_11comp_targetILNS1_3genE4ELNS1_11target_archE910ELNS1_3gpuE8ELNS1_3repE0EEENS1_30default_config_static_selectorELNS0_4arch9wavefront6targetE1EEEvSK_
		.amdhsa_group_segment_fixed_size 128
		.amdhsa_private_segment_fixed_size 0
		.amdhsa_kernarg_size 72
		.amdhsa_user_sgpr_count 6
		.amdhsa_user_sgpr_private_segment_buffer 1
		.amdhsa_user_sgpr_dispatch_ptr 0
		.amdhsa_user_sgpr_queue_ptr 0
		.amdhsa_user_sgpr_kernarg_segment_ptr 1
		.amdhsa_user_sgpr_dispatch_id 0
		.amdhsa_user_sgpr_flat_scratch_init 0
		.amdhsa_user_sgpr_kernarg_preload_length 0
		.amdhsa_user_sgpr_kernarg_preload_offset 0
		.amdhsa_user_sgpr_private_segment_size 0
		.amdhsa_uses_dynamic_stack 0
		.amdhsa_system_sgpr_private_segment_wavefront_offset 0
		.amdhsa_system_sgpr_workgroup_id_x 1
		.amdhsa_system_sgpr_workgroup_id_y 0
		.amdhsa_system_sgpr_workgroup_id_z 0
		.amdhsa_system_sgpr_workgroup_info 0
		.amdhsa_system_vgpr_workitem_id 0
		.amdhsa_next_free_vgpr 12
		.amdhsa_next_free_sgpr 22
		.amdhsa_accum_offset 12
		.amdhsa_reserve_vcc 1
		.amdhsa_reserve_flat_scratch 0
		.amdhsa_float_round_mode_32 0
		.amdhsa_float_round_mode_16_64 0
		.amdhsa_float_denorm_mode_32 3
		.amdhsa_float_denorm_mode_16_64 3
		.amdhsa_dx10_clamp 1
		.amdhsa_ieee_mode 1
		.amdhsa_fp16_overflow 0
		.amdhsa_tg_split 0
		.amdhsa_exception_fp_ieee_invalid_op 0
		.amdhsa_exception_fp_denorm_src 0
		.amdhsa_exception_fp_ieee_div_zero 0
		.amdhsa_exception_fp_ieee_overflow 0
		.amdhsa_exception_fp_ieee_underflow 0
		.amdhsa_exception_fp_ieee_inexact 0
		.amdhsa_exception_int_div_zero 0
	.end_amdhsa_kernel
	.section	.text._ZN7rocprim17ROCPRIM_400000_NS6detail17trampoline_kernelINS0_14default_configENS1_22reduce_config_selectorIN6thrust23THRUST_200600_302600_NS5tupleIblNS6_9null_typeES8_S8_S8_S8_S8_S8_S8_EEEEZNS1_11reduce_implILb1ES3_PS9_SC_S9_NS6_11hip_rocprim9__find_if7functorIS9_EEEE10hipError_tPvRmT1_T2_T3_mT4_P12ihipStream_tbEUlT_E0_NS1_11comp_targetILNS1_3genE4ELNS1_11target_archE910ELNS1_3gpuE8ELNS1_3repE0EEENS1_30default_config_static_selectorELNS0_4arch9wavefront6targetE1EEEvSK_,"axG",@progbits,_ZN7rocprim17ROCPRIM_400000_NS6detail17trampoline_kernelINS0_14default_configENS1_22reduce_config_selectorIN6thrust23THRUST_200600_302600_NS5tupleIblNS6_9null_typeES8_S8_S8_S8_S8_S8_S8_EEEEZNS1_11reduce_implILb1ES3_PS9_SC_S9_NS6_11hip_rocprim9__find_if7functorIS9_EEEE10hipError_tPvRmT1_T2_T3_mT4_P12ihipStream_tbEUlT_E0_NS1_11comp_targetILNS1_3genE4ELNS1_11target_archE910ELNS1_3gpuE8ELNS1_3repE0EEENS1_30default_config_static_selectorELNS0_4arch9wavefront6targetE1EEEvSK_,comdat
.Lfunc_end50:
	.size	_ZN7rocprim17ROCPRIM_400000_NS6detail17trampoline_kernelINS0_14default_configENS1_22reduce_config_selectorIN6thrust23THRUST_200600_302600_NS5tupleIblNS6_9null_typeES8_S8_S8_S8_S8_S8_S8_EEEEZNS1_11reduce_implILb1ES3_PS9_SC_S9_NS6_11hip_rocprim9__find_if7functorIS9_EEEE10hipError_tPvRmT1_T2_T3_mT4_P12ihipStream_tbEUlT_E0_NS1_11comp_targetILNS1_3genE4ELNS1_11target_archE910ELNS1_3gpuE8ELNS1_3repE0EEENS1_30default_config_static_selectorELNS0_4arch9wavefront6targetE1EEEvSK_, .Lfunc_end50-_ZN7rocprim17ROCPRIM_400000_NS6detail17trampoline_kernelINS0_14default_configENS1_22reduce_config_selectorIN6thrust23THRUST_200600_302600_NS5tupleIblNS6_9null_typeES8_S8_S8_S8_S8_S8_S8_EEEEZNS1_11reduce_implILb1ES3_PS9_SC_S9_NS6_11hip_rocprim9__find_if7functorIS9_EEEE10hipError_tPvRmT1_T2_T3_mT4_P12ihipStream_tbEUlT_E0_NS1_11comp_targetILNS1_3genE4ELNS1_11target_archE910ELNS1_3gpuE8ELNS1_3repE0EEENS1_30default_config_static_selectorELNS0_4arch9wavefront6targetE1EEEvSK_
                                        ; -- End function
	.section	.AMDGPU.csdata,"",@progbits
; Kernel info:
; codeLenInByte = 2816
; NumSgprs: 26
; NumVgprs: 12
; NumAgprs: 0
; TotalNumVgprs: 12
; ScratchSize: 0
; MemoryBound: 0
; FloatMode: 240
; IeeeMode: 1
; LDSByteSize: 128 bytes/workgroup (compile time only)
; SGPRBlocks: 3
; VGPRBlocks: 1
; NumSGPRsForWavesPerEU: 26
; NumVGPRsForWavesPerEU: 12
; AccumOffset: 12
; Occupancy: 8
; WaveLimiterHint : 1
; COMPUTE_PGM_RSRC2:SCRATCH_EN: 0
; COMPUTE_PGM_RSRC2:USER_SGPR: 6
; COMPUTE_PGM_RSRC2:TRAP_HANDLER: 0
; COMPUTE_PGM_RSRC2:TGID_X_EN: 1
; COMPUTE_PGM_RSRC2:TGID_Y_EN: 0
; COMPUTE_PGM_RSRC2:TGID_Z_EN: 0
; COMPUTE_PGM_RSRC2:TIDIG_COMP_CNT: 0
; COMPUTE_PGM_RSRC3_GFX90A:ACCUM_OFFSET: 2
; COMPUTE_PGM_RSRC3_GFX90A:TG_SPLIT: 0
	.section	.text._ZN7rocprim17ROCPRIM_400000_NS6detail17trampoline_kernelINS0_14default_configENS1_22reduce_config_selectorIN6thrust23THRUST_200600_302600_NS5tupleIblNS6_9null_typeES8_S8_S8_S8_S8_S8_S8_EEEEZNS1_11reduce_implILb1ES3_PS9_SC_S9_NS6_11hip_rocprim9__find_if7functorIS9_EEEE10hipError_tPvRmT1_T2_T3_mT4_P12ihipStream_tbEUlT_E0_NS1_11comp_targetILNS1_3genE3ELNS1_11target_archE908ELNS1_3gpuE7ELNS1_3repE0EEENS1_30default_config_static_selectorELNS0_4arch9wavefront6targetE1EEEvSK_,"axG",@progbits,_ZN7rocprim17ROCPRIM_400000_NS6detail17trampoline_kernelINS0_14default_configENS1_22reduce_config_selectorIN6thrust23THRUST_200600_302600_NS5tupleIblNS6_9null_typeES8_S8_S8_S8_S8_S8_S8_EEEEZNS1_11reduce_implILb1ES3_PS9_SC_S9_NS6_11hip_rocprim9__find_if7functorIS9_EEEE10hipError_tPvRmT1_T2_T3_mT4_P12ihipStream_tbEUlT_E0_NS1_11comp_targetILNS1_3genE3ELNS1_11target_archE908ELNS1_3gpuE7ELNS1_3repE0EEENS1_30default_config_static_selectorELNS0_4arch9wavefront6targetE1EEEvSK_,comdat
	.protected	_ZN7rocprim17ROCPRIM_400000_NS6detail17trampoline_kernelINS0_14default_configENS1_22reduce_config_selectorIN6thrust23THRUST_200600_302600_NS5tupleIblNS6_9null_typeES8_S8_S8_S8_S8_S8_S8_EEEEZNS1_11reduce_implILb1ES3_PS9_SC_S9_NS6_11hip_rocprim9__find_if7functorIS9_EEEE10hipError_tPvRmT1_T2_T3_mT4_P12ihipStream_tbEUlT_E0_NS1_11comp_targetILNS1_3genE3ELNS1_11target_archE908ELNS1_3gpuE7ELNS1_3repE0EEENS1_30default_config_static_selectorELNS0_4arch9wavefront6targetE1EEEvSK_ ; -- Begin function _ZN7rocprim17ROCPRIM_400000_NS6detail17trampoline_kernelINS0_14default_configENS1_22reduce_config_selectorIN6thrust23THRUST_200600_302600_NS5tupleIblNS6_9null_typeES8_S8_S8_S8_S8_S8_S8_EEEEZNS1_11reduce_implILb1ES3_PS9_SC_S9_NS6_11hip_rocprim9__find_if7functorIS9_EEEE10hipError_tPvRmT1_T2_T3_mT4_P12ihipStream_tbEUlT_E0_NS1_11comp_targetILNS1_3genE3ELNS1_11target_archE908ELNS1_3gpuE7ELNS1_3repE0EEENS1_30default_config_static_selectorELNS0_4arch9wavefront6targetE1EEEvSK_
	.globl	_ZN7rocprim17ROCPRIM_400000_NS6detail17trampoline_kernelINS0_14default_configENS1_22reduce_config_selectorIN6thrust23THRUST_200600_302600_NS5tupleIblNS6_9null_typeES8_S8_S8_S8_S8_S8_S8_EEEEZNS1_11reduce_implILb1ES3_PS9_SC_S9_NS6_11hip_rocprim9__find_if7functorIS9_EEEE10hipError_tPvRmT1_T2_T3_mT4_P12ihipStream_tbEUlT_E0_NS1_11comp_targetILNS1_3genE3ELNS1_11target_archE908ELNS1_3gpuE7ELNS1_3repE0EEENS1_30default_config_static_selectorELNS0_4arch9wavefront6targetE1EEEvSK_
	.p2align	8
	.type	_ZN7rocprim17ROCPRIM_400000_NS6detail17trampoline_kernelINS0_14default_configENS1_22reduce_config_selectorIN6thrust23THRUST_200600_302600_NS5tupleIblNS6_9null_typeES8_S8_S8_S8_S8_S8_S8_EEEEZNS1_11reduce_implILb1ES3_PS9_SC_S9_NS6_11hip_rocprim9__find_if7functorIS9_EEEE10hipError_tPvRmT1_T2_T3_mT4_P12ihipStream_tbEUlT_E0_NS1_11comp_targetILNS1_3genE3ELNS1_11target_archE908ELNS1_3gpuE7ELNS1_3repE0EEENS1_30default_config_static_selectorELNS0_4arch9wavefront6targetE1EEEvSK_,@function
_ZN7rocprim17ROCPRIM_400000_NS6detail17trampoline_kernelINS0_14default_configENS1_22reduce_config_selectorIN6thrust23THRUST_200600_302600_NS5tupleIblNS6_9null_typeES8_S8_S8_S8_S8_S8_S8_EEEEZNS1_11reduce_implILb1ES3_PS9_SC_S9_NS6_11hip_rocprim9__find_if7functorIS9_EEEE10hipError_tPvRmT1_T2_T3_mT4_P12ihipStream_tbEUlT_E0_NS1_11comp_targetILNS1_3genE3ELNS1_11target_archE908ELNS1_3gpuE7ELNS1_3repE0EEENS1_30default_config_static_selectorELNS0_4arch9wavefront6targetE1EEEvSK_: ; @_ZN7rocprim17ROCPRIM_400000_NS6detail17trampoline_kernelINS0_14default_configENS1_22reduce_config_selectorIN6thrust23THRUST_200600_302600_NS5tupleIblNS6_9null_typeES8_S8_S8_S8_S8_S8_S8_EEEEZNS1_11reduce_implILb1ES3_PS9_SC_S9_NS6_11hip_rocprim9__find_if7functorIS9_EEEE10hipError_tPvRmT1_T2_T3_mT4_P12ihipStream_tbEUlT_E0_NS1_11comp_targetILNS1_3genE3ELNS1_11target_archE908ELNS1_3gpuE7ELNS1_3repE0EEENS1_30default_config_static_selectorELNS0_4arch9wavefront6targetE1EEEvSK_
; %bb.0:
	.section	.rodata,"a",@progbits
	.p2align	6, 0x0
	.amdhsa_kernel _ZN7rocprim17ROCPRIM_400000_NS6detail17trampoline_kernelINS0_14default_configENS1_22reduce_config_selectorIN6thrust23THRUST_200600_302600_NS5tupleIblNS6_9null_typeES8_S8_S8_S8_S8_S8_S8_EEEEZNS1_11reduce_implILb1ES3_PS9_SC_S9_NS6_11hip_rocprim9__find_if7functorIS9_EEEE10hipError_tPvRmT1_T2_T3_mT4_P12ihipStream_tbEUlT_E0_NS1_11comp_targetILNS1_3genE3ELNS1_11target_archE908ELNS1_3gpuE7ELNS1_3repE0EEENS1_30default_config_static_selectorELNS0_4arch9wavefront6targetE1EEEvSK_
		.amdhsa_group_segment_fixed_size 0
		.amdhsa_private_segment_fixed_size 0
		.amdhsa_kernarg_size 72
		.amdhsa_user_sgpr_count 6
		.amdhsa_user_sgpr_private_segment_buffer 1
		.amdhsa_user_sgpr_dispatch_ptr 0
		.amdhsa_user_sgpr_queue_ptr 0
		.amdhsa_user_sgpr_kernarg_segment_ptr 1
		.amdhsa_user_sgpr_dispatch_id 0
		.amdhsa_user_sgpr_flat_scratch_init 0
		.amdhsa_user_sgpr_kernarg_preload_length 0
		.amdhsa_user_sgpr_kernarg_preload_offset 0
		.amdhsa_user_sgpr_private_segment_size 0
		.amdhsa_uses_dynamic_stack 0
		.amdhsa_system_sgpr_private_segment_wavefront_offset 0
		.amdhsa_system_sgpr_workgroup_id_x 1
		.amdhsa_system_sgpr_workgroup_id_y 0
		.amdhsa_system_sgpr_workgroup_id_z 0
		.amdhsa_system_sgpr_workgroup_info 0
		.amdhsa_system_vgpr_workitem_id 0
		.amdhsa_next_free_vgpr 1
		.amdhsa_next_free_sgpr 0
		.amdhsa_accum_offset 4
		.amdhsa_reserve_vcc 0
		.amdhsa_reserve_flat_scratch 0
		.amdhsa_float_round_mode_32 0
		.amdhsa_float_round_mode_16_64 0
		.amdhsa_float_denorm_mode_32 3
		.amdhsa_float_denorm_mode_16_64 3
		.amdhsa_dx10_clamp 1
		.amdhsa_ieee_mode 1
		.amdhsa_fp16_overflow 0
		.amdhsa_tg_split 0
		.amdhsa_exception_fp_ieee_invalid_op 0
		.amdhsa_exception_fp_denorm_src 0
		.amdhsa_exception_fp_ieee_div_zero 0
		.amdhsa_exception_fp_ieee_overflow 0
		.amdhsa_exception_fp_ieee_underflow 0
		.amdhsa_exception_fp_ieee_inexact 0
		.amdhsa_exception_int_div_zero 0
	.end_amdhsa_kernel
	.section	.text._ZN7rocprim17ROCPRIM_400000_NS6detail17trampoline_kernelINS0_14default_configENS1_22reduce_config_selectorIN6thrust23THRUST_200600_302600_NS5tupleIblNS6_9null_typeES8_S8_S8_S8_S8_S8_S8_EEEEZNS1_11reduce_implILb1ES3_PS9_SC_S9_NS6_11hip_rocprim9__find_if7functorIS9_EEEE10hipError_tPvRmT1_T2_T3_mT4_P12ihipStream_tbEUlT_E0_NS1_11comp_targetILNS1_3genE3ELNS1_11target_archE908ELNS1_3gpuE7ELNS1_3repE0EEENS1_30default_config_static_selectorELNS0_4arch9wavefront6targetE1EEEvSK_,"axG",@progbits,_ZN7rocprim17ROCPRIM_400000_NS6detail17trampoline_kernelINS0_14default_configENS1_22reduce_config_selectorIN6thrust23THRUST_200600_302600_NS5tupleIblNS6_9null_typeES8_S8_S8_S8_S8_S8_S8_EEEEZNS1_11reduce_implILb1ES3_PS9_SC_S9_NS6_11hip_rocprim9__find_if7functorIS9_EEEE10hipError_tPvRmT1_T2_T3_mT4_P12ihipStream_tbEUlT_E0_NS1_11comp_targetILNS1_3genE3ELNS1_11target_archE908ELNS1_3gpuE7ELNS1_3repE0EEENS1_30default_config_static_selectorELNS0_4arch9wavefront6targetE1EEEvSK_,comdat
.Lfunc_end51:
	.size	_ZN7rocprim17ROCPRIM_400000_NS6detail17trampoline_kernelINS0_14default_configENS1_22reduce_config_selectorIN6thrust23THRUST_200600_302600_NS5tupleIblNS6_9null_typeES8_S8_S8_S8_S8_S8_S8_EEEEZNS1_11reduce_implILb1ES3_PS9_SC_S9_NS6_11hip_rocprim9__find_if7functorIS9_EEEE10hipError_tPvRmT1_T2_T3_mT4_P12ihipStream_tbEUlT_E0_NS1_11comp_targetILNS1_3genE3ELNS1_11target_archE908ELNS1_3gpuE7ELNS1_3repE0EEENS1_30default_config_static_selectorELNS0_4arch9wavefront6targetE1EEEvSK_, .Lfunc_end51-_ZN7rocprim17ROCPRIM_400000_NS6detail17trampoline_kernelINS0_14default_configENS1_22reduce_config_selectorIN6thrust23THRUST_200600_302600_NS5tupleIblNS6_9null_typeES8_S8_S8_S8_S8_S8_S8_EEEEZNS1_11reduce_implILb1ES3_PS9_SC_S9_NS6_11hip_rocprim9__find_if7functorIS9_EEEE10hipError_tPvRmT1_T2_T3_mT4_P12ihipStream_tbEUlT_E0_NS1_11comp_targetILNS1_3genE3ELNS1_11target_archE908ELNS1_3gpuE7ELNS1_3repE0EEENS1_30default_config_static_selectorELNS0_4arch9wavefront6targetE1EEEvSK_
                                        ; -- End function
	.section	.AMDGPU.csdata,"",@progbits
; Kernel info:
; codeLenInByte = 0
; NumSgprs: 4
; NumVgprs: 0
; NumAgprs: 0
; TotalNumVgprs: 0
; ScratchSize: 0
; MemoryBound: 0
; FloatMode: 240
; IeeeMode: 1
; LDSByteSize: 0 bytes/workgroup (compile time only)
; SGPRBlocks: 0
; VGPRBlocks: 0
; NumSGPRsForWavesPerEU: 4
; NumVGPRsForWavesPerEU: 1
; AccumOffset: 4
; Occupancy: 8
; WaveLimiterHint : 0
; COMPUTE_PGM_RSRC2:SCRATCH_EN: 0
; COMPUTE_PGM_RSRC2:USER_SGPR: 6
; COMPUTE_PGM_RSRC2:TRAP_HANDLER: 0
; COMPUTE_PGM_RSRC2:TGID_X_EN: 1
; COMPUTE_PGM_RSRC2:TGID_Y_EN: 0
; COMPUTE_PGM_RSRC2:TGID_Z_EN: 0
; COMPUTE_PGM_RSRC2:TIDIG_COMP_CNT: 0
; COMPUTE_PGM_RSRC3_GFX90A:ACCUM_OFFSET: 0
; COMPUTE_PGM_RSRC3_GFX90A:TG_SPLIT: 0
	.section	.text._ZN7rocprim17ROCPRIM_400000_NS6detail17trampoline_kernelINS0_14default_configENS1_22reduce_config_selectorIN6thrust23THRUST_200600_302600_NS5tupleIblNS6_9null_typeES8_S8_S8_S8_S8_S8_S8_EEEEZNS1_11reduce_implILb1ES3_PS9_SC_S9_NS6_11hip_rocprim9__find_if7functorIS9_EEEE10hipError_tPvRmT1_T2_T3_mT4_P12ihipStream_tbEUlT_E0_NS1_11comp_targetILNS1_3genE2ELNS1_11target_archE906ELNS1_3gpuE6ELNS1_3repE0EEENS1_30default_config_static_selectorELNS0_4arch9wavefront6targetE1EEEvSK_,"axG",@progbits,_ZN7rocprim17ROCPRIM_400000_NS6detail17trampoline_kernelINS0_14default_configENS1_22reduce_config_selectorIN6thrust23THRUST_200600_302600_NS5tupleIblNS6_9null_typeES8_S8_S8_S8_S8_S8_S8_EEEEZNS1_11reduce_implILb1ES3_PS9_SC_S9_NS6_11hip_rocprim9__find_if7functorIS9_EEEE10hipError_tPvRmT1_T2_T3_mT4_P12ihipStream_tbEUlT_E0_NS1_11comp_targetILNS1_3genE2ELNS1_11target_archE906ELNS1_3gpuE6ELNS1_3repE0EEENS1_30default_config_static_selectorELNS0_4arch9wavefront6targetE1EEEvSK_,comdat
	.protected	_ZN7rocprim17ROCPRIM_400000_NS6detail17trampoline_kernelINS0_14default_configENS1_22reduce_config_selectorIN6thrust23THRUST_200600_302600_NS5tupleIblNS6_9null_typeES8_S8_S8_S8_S8_S8_S8_EEEEZNS1_11reduce_implILb1ES3_PS9_SC_S9_NS6_11hip_rocprim9__find_if7functorIS9_EEEE10hipError_tPvRmT1_T2_T3_mT4_P12ihipStream_tbEUlT_E0_NS1_11comp_targetILNS1_3genE2ELNS1_11target_archE906ELNS1_3gpuE6ELNS1_3repE0EEENS1_30default_config_static_selectorELNS0_4arch9wavefront6targetE1EEEvSK_ ; -- Begin function _ZN7rocprim17ROCPRIM_400000_NS6detail17trampoline_kernelINS0_14default_configENS1_22reduce_config_selectorIN6thrust23THRUST_200600_302600_NS5tupleIblNS6_9null_typeES8_S8_S8_S8_S8_S8_S8_EEEEZNS1_11reduce_implILb1ES3_PS9_SC_S9_NS6_11hip_rocprim9__find_if7functorIS9_EEEE10hipError_tPvRmT1_T2_T3_mT4_P12ihipStream_tbEUlT_E0_NS1_11comp_targetILNS1_3genE2ELNS1_11target_archE906ELNS1_3gpuE6ELNS1_3repE0EEENS1_30default_config_static_selectorELNS0_4arch9wavefront6targetE1EEEvSK_
	.globl	_ZN7rocprim17ROCPRIM_400000_NS6detail17trampoline_kernelINS0_14default_configENS1_22reduce_config_selectorIN6thrust23THRUST_200600_302600_NS5tupleIblNS6_9null_typeES8_S8_S8_S8_S8_S8_S8_EEEEZNS1_11reduce_implILb1ES3_PS9_SC_S9_NS6_11hip_rocprim9__find_if7functorIS9_EEEE10hipError_tPvRmT1_T2_T3_mT4_P12ihipStream_tbEUlT_E0_NS1_11comp_targetILNS1_3genE2ELNS1_11target_archE906ELNS1_3gpuE6ELNS1_3repE0EEENS1_30default_config_static_selectorELNS0_4arch9wavefront6targetE1EEEvSK_
	.p2align	8
	.type	_ZN7rocprim17ROCPRIM_400000_NS6detail17trampoline_kernelINS0_14default_configENS1_22reduce_config_selectorIN6thrust23THRUST_200600_302600_NS5tupleIblNS6_9null_typeES8_S8_S8_S8_S8_S8_S8_EEEEZNS1_11reduce_implILb1ES3_PS9_SC_S9_NS6_11hip_rocprim9__find_if7functorIS9_EEEE10hipError_tPvRmT1_T2_T3_mT4_P12ihipStream_tbEUlT_E0_NS1_11comp_targetILNS1_3genE2ELNS1_11target_archE906ELNS1_3gpuE6ELNS1_3repE0EEENS1_30default_config_static_selectorELNS0_4arch9wavefront6targetE1EEEvSK_,@function
_ZN7rocprim17ROCPRIM_400000_NS6detail17trampoline_kernelINS0_14default_configENS1_22reduce_config_selectorIN6thrust23THRUST_200600_302600_NS5tupleIblNS6_9null_typeES8_S8_S8_S8_S8_S8_S8_EEEEZNS1_11reduce_implILb1ES3_PS9_SC_S9_NS6_11hip_rocprim9__find_if7functorIS9_EEEE10hipError_tPvRmT1_T2_T3_mT4_P12ihipStream_tbEUlT_E0_NS1_11comp_targetILNS1_3genE2ELNS1_11target_archE906ELNS1_3gpuE6ELNS1_3repE0EEENS1_30default_config_static_selectorELNS0_4arch9wavefront6targetE1EEEvSK_: ; @_ZN7rocprim17ROCPRIM_400000_NS6detail17trampoline_kernelINS0_14default_configENS1_22reduce_config_selectorIN6thrust23THRUST_200600_302600_NS5tupleIblNS6_9null_typeES8_S8_S8_S8_S8_S8_S8_EEEEZNS1_11reduce_implILb1ES3_PS9_SC_S9_NS6_11hip_rocprim9__find_if7functorIS9_EEEE10hipError_tPvRmT1_T2_T3_mT4_P12ihipStream_tbEUlT_E0_NS1_11comp_targetILNS1_3genE2ELNS1_11target_archE906ELNS1_3gpuE6ELNS1_3repE0EEENS1_30default_config_static_selectorELNS0_4arch9wavefront6targetE1EEEvSK_
; %bb.0:
	.section	.rodata,"a",@progbits
	.p2align	6, 0x0
	.amdhsa_kernel _ZN7rocprim17ROCPRIM_400000_NS6detail17trampoline_kernelINS0_14default_configENS1_22reduce_config_selectorIN6thrust23THRUST_200600_302600_NS5tupleIblNS6_9null_typeES8_S8_S8_S8_S8_S8_S8_EEEEZNS1_11reduce_implILb1ES3_PS9_SC_S9_NS6_11hip_rocprim9__find_if7functorIS9_EEEE10hipError_tPvRmT1_T2_T3_mT4_P12ihipStream_tbEUlT_E0_NS1_11comp_targetILNS1_3genE2ELNS1_11target_archE906ELNS1_3gpuE6ELNS1_3repE0EEENS1_30default_config_static_selectorELNS0_4arch9wavefront6targetE1EEEvSK_
		.amdhsa_group_segment_fixed_size 0
		.amdhsa_private_segment_fixed_size 0
		.amdhsa_kernarg_size 72
		.amdhsa_user_sgpr_count 6
		.amdhsa_user_sgpr_private_segment_buffer 1
		.amdhsa_user_sgpr_dispatch_ptr 0
		.amdhsa_user_sgpr_queue_ptr 0
		.amdhsa_user_sgpr_kernarg_segment_ptr 1
		.amdhsa_user_sgpr_dispatch_id 0
		.amdhsa_user_sgpr_flat_scratch_init 0
		.amdhsa_user_sgpr_kernarg_preload_length 0
		.amdhsa_user_sgpr_kernarg_preload_offset 0
		.amdhsa_user_sgpr_private_segment_size 0
		.amdhsa_uses_dynamic_stack 0
		.amdhsa_system_sgpr_private_segment_wavefront_offset 0
		.amdhsa_system_sgpr_workgroup_id_x 1
		.amdhsa_system_sgpr_workgroup_id_y 0
		.amdhsa_system_sgpr_workgroup_id_z 0
		.amdhsa_system_sgpr_workgroup_info 0
		.amdhsa_system_vgpr_workitem_id 0
		.amdhsa_next_free_vgpr 1
		.amdhsa_next_free_sgpr 0
		.amdhsa_accum_offset 4
		.amdhsa_reserve_vcc 0
		.amdhsa_reserve_flat_scratch 0
		.amdhsa_float_round_mode_32 0
		.amdhsa_float_round_mode_16_64 0
		.amdhsa_float_denorm_mode_32 3
		.amdhsa_float_denorm_mode_16_64 3
		.amdhsa_dx10_clamp 1
		.amdhsa_ieee_mode 1
		.amdhsa_fp16_overflow 0
		.amdhsa_tg_split 0
		.amdhsa_exception_fp_ieee_invalid_op 0
		.amdhsa_exception_fp_denorm_src 0
		.amdhsa_exception_fp_ieee_div_zero 0
		.amdhsa_exception_fp_ieee_overflow 0
		.amdhsa_exception_fp_ieee_underflow 0
		.amdhsa_exception_fp_ieee_inexact 0
		.amdhsa_exception_int_div_zero 0
	.end_amdhsa_kernel
	.section	.text._ZN7rocprim17ROCPRIM_400000_NS6detail17trampoline_kernelINS0_14default_configENS1_22reduce_config_selectorIN6thrust23THRUST_200600_302600_NS5tupleIblNS6_9null_typeES8_S8_S8_S8_S8_S8_S8_EEEEZNS1_11reduce_implILb1ES3_PS9_SC_S9_NS6_11hip_rocprim9__find_if7functorIS9_EEEE10hipError_tPvRmT1_T2_T3_mT4_P12ihipStream_tbEUlT_E0_NS1_11comp_targetILNS1_3genE2ELNS1_11target_archE906ELNS1_3gpuE6ELNS1_3repE0EEENS1_30default_config_static_selectorELNS0_4arch9wavefront6targetE1EEEvSK_,"axG",@progbits,_ZN7rocprim17ROCPRIM_400000_NS6detail17trampoline_kernelINS0_14default_configENS1_22reduce_config_selectorIN6thrust23THRUST_200600_302600_NS5tupleIblNS6_9null_typeES8_S8_S8_S8_S8_S8_S8_EEEEZNS1_11reduce_implILb1ES3_PS9_SC_S9_NS6_11hip_rocprim9__find_if7functorIS9_EEEE10hipError_tPvRmT1_T2_T3_mT4_P12ihipStream_tbEUlT_E0_NS1_11comp_targetILNS1_3genE2ELNS1_11target_archE906ELNS1_3gpuE6ELNS1_3repE0EEENS1_30default_config_static_selectorELNS0_4arch9wavefront6targetE1EEEvSK_,comdat
.Lfunc_end52:
	.size	_ZN7rocprim17ROCPRIM_400000_NS6detail17trampoline_kernelINS0_14default_configENS1_22reduce_config_selectorIN6thrust23THRUST_200600_302600_NS5tupleIblNS6_9null_typeES8_S8_S8_S8_S8_S8_S8_EEEEZNS1_11reduce_implILb1ES3_PS9_SC_S9_NS6_11hip_rocprim9__find_if7functorIS9_EEEE10hipError_tPvRmT1_T2_T3_mT4_P12ihipStream_tbEUlT_E0_NS1_11comp_targetILNS1_3genE2ELNS1_11target_archE906ELNS1_3gpuE6ELNS1_3repE0EEENS1_30default_config_static_selectorELNS0_4arch9wavefront6targetE1EEEvSK_, .Lfunc_end52-_ZN7rocprim17ROCPRIM_400000_NS6detail17trampoline_kernelINS0_14default_configENS1_22reduce_config_selectorIN6thrust23THRUST_200600_302600_NS5tupleIblNS6_9null_typeES8_S8_S8_S8_S8_S8_S8_EEEEZNS1_11reduce_implILb1ES3_PS9_SC_S9_NS6_11hip_rocprim9__find_if7functorIS9_EEEE10hipError_tPvRmT1_T2_T3_mT4_P12ihipStream_tbEUlT_E0_NS1_11comp_targetILNS1_3genE2ELNS1_11target_archE906ELNS1_3gpuE6ELNS1_3repE0EEENS1_30default_config_static_selectorELNS0_4arch9wavefront6targetE1EEEvSK_
                                        ; -- End function
	.section	.AMDGPU.csdata,"",@progbits
; Kernel info:
; codeLenInByte = 0
; NumSgprs: 4
; NumVgprs: 0
; NumAgprs: 0
; TotalNumVgprs: 0
; ScratchSize: 0
; MemoryBound: 0
; FloatMode: 240
; IeeeMode: 1
; LDSByteSize: 0 bytes/workgroup (compile time only)
; SGPRBlocks: 0
; VGPRBlocks: 0
; NumSGPRsForWavesPerEU: 4
; NumVGPRsForWavesPerEU: 1
; AccumOffset: 4
; Occupancy: 8
; WaveLimiterHint : 0
; COMPUTE_PGM_RSRC2:SCRATCH_EN: 0
; COMPUTE_PGM_RSRC2:USER_SGPR: 6
; COMPUTE_PGM_RSRC2:TRAP_HANDLER: 0
; COMPUTE_PGM_RSRC2:TGID_X_EN: 1
; COMPUTE_PGM_RSRC2:TGID_Y_EN: 0
; COMPUTE_PGM_RSRC2:TGID_Z_EN: 0
; COMPUTE_PGM_RSRC2:TIDIG_COMP_CNT: 0
; COMPUTE_PGM_RSRC3_GFX90A:ACCUM_OFFSET: 0
; COMPUTE_PGM_RSRC3_GFX90A:TG_SPLIT: 0
	.section	.text._ZN7rocprim17ROCPRIM_400000_NS6detail17trampoline_kernelINS0_14default_configENS1_22reduce_config_selectorIN6thrust23THRUST_200600_302600_NS5tupleIblNS6_9null_typeES8_S8_S8_S8_S8_S8_S8_EEEEZNS1_11reduce_implILb1ES3_PS9_SC_S9_NS6_11hip_rocprim9__find_if7functorIS9_EEEE10hipError_tPvRmT1_T2_T3_mT4_P12ihipStream_tbEUlT_E0_NS1_11comp_targetILNS1_3genE10ELNS1_11target_archE1201ELNS1_3gpuE5ELNS1_3repE0EEENS1_30default_config_static_selectorELNS0_4arch9wavefront6targetE1EEEvSK_,"axG",@progbits,_ZN7rocprim17ROCPRIM_400000_NS6detail17trampoline_kernelINS0_14default_configENS1_22reduce_config_selectorIN6thrust23THRUST_200600_302600_NS5tupleIblNS6_9null_typeES8_S8_S8_S8_S8_S8_S8_EEEEZNS1_11reduce_implILb1ES3_PS9_SC_S9_NS6_11hip_rocprim9__find_if7functorIS9_EEEE10hipError_tPvRmT1_T2_T3_mT4_P12ihipStream_tbEUlT_E0_NS1_11comp_targetILNS1_3genE10ELNS1_11target_archE1201ELNS1_3gpuE5ELNS1_3repE0EEENS1_30default_config_static_selectorELNS0_4arch9wavefront6targetE1EEEvSK_,comdat
	.protected	_ZN7rocprim17ROCPRIM_400000_NS6detail17trampoline_kernelINS0_14default_configENS1_22reduce_config_selectorIN6thrust23THRUST_200600_302600_NS5tupleIblNS6_9null_typeES8_S8_S8_S8_S8_S8_S8_EEEEZNS1_11reduce_implILb1ES3_PS9_SC_S9_NS6_11hip_rocprim9__find_if7functorIS9_EEEE10hipError_tPvRmT1_T2_T3_mT4_P12ihipStream_tbEUlT_E0_NS1_11comp_targetILNS1_3genE10ELNS1_11target_archE1201ELNS1_3gpuE5ELNS1_3repE0EEENS1_30default_config_static_selectorELNS0_4arch9wavefront6targetE1EEEvSK_ ; -- Begin function _ZN7rocprim17ROCPRIM_400000_NS6detail17trampoline_kernelINS0_14default_configENS1_22reduce_config_selectorIN6thrust23THRUST_200600_302600_NS5tupleIblNS6_9null_typeES8_S8_S8_S8_S8_S8_S8_EEEEZNS1_11reduce_implILb1ES3_PS9_SC_S9_NS6_11hip_rocprim9__find_if7functorIS9_EEEE10hipError_tPvRmT1_T2_T3_mT4_P12ihipStream_tbEUlT_E0_NS1_11comp_targetILNS1_3genE10ELNS1_11target_archE1201ELNS1_3gpuE5ELNS1_3repE0EEENS1_30default_config_static_selectorELNS0_4arch9wavefront6targetE1EEEvSK_
	.globl	_ZN7rocprim17ROCPRIM_400000_NS6detail17trampoline_kernelINS0_14default_configENS1_22reduce_config_selectorIN6thrust23THRUST_200600_302600_NS5tupleIblNS6_9null_typeES8_S8_S8_S8_S8_S8_S8_EEEEZNS1_11reduce_implILb1ES3_PS9_SC_S9_NS6_11hip_rocprim9__find_if7functorIS9_EEEE10hipError_tPvRmT1_T2_T3_mT4_P12ihipStream_tbEUlT_E0_NS1_11comp_targetILNS1_3genE10ELNS1_11target_archE1201ELNS1_3gpuE5ELNS1_3repE0EEENS1_30default_config_static_selectorELNS0_4arch9wavefront6targetE1EEEvSK_
	.p2align	8
	.type	_ZN7rocprim17ROCPRIM_400000_NS6detail17trampoline_kernelINS0_14default_configENS1_22reduce_config_selectorIN6thrust23THRUST_200600_302600_NS5tupleIblNS6_9null_typeES8_S8_S8_S8_S8_S8_S8_EEEEZNS1_11reduce_implILb1ES3_PS9_SC_S9_NS6_11hip_rocprim9__find_if7functorIS9_EEEE10hipError_tPvRmT1_T2_T3_mT4_P12ihipStream_tbEUlT_E0_NS1_11comp_targetILNS1_3genE10ELNS1_11target_archE1201ELNS1_3gpuE5ELNS1_3repE0EEENS1_30default_config_static_selectorELNS0_4arch9wavefront6targetE1EEEvSK_,@function
_ZN7rocprim17ROCPRIM_400000_NS6detail17trampoline_kernelINS0_14default_configENS1_22reduce_config_selectorIN6thrust23THRUST_200600_302600_NS5tupleIblNS6_9null_typeES8_S8_S8_S8_S8_S8_S8_EEEEZNS1_11reduce_implILb1ES3_PS9_SC_S9_NS6_11hip_rocprim9__find_if7functorIS9_EEEE10hipError_tPvRmT1_T2_T3_mT4_P12ihipStream_tbEUlT_E0_NS1_11comp_targetILNS1_3genE10ELNS1_11target_archE1201ELNS1_3gpuE5ELNS1_3repE0EEENS1_30default_config_static_selectorELNS0_4arch9wavefront6targetE1EEEvSK_: ; @_ZN7rocprim17ROCPRIM_400000_NS6detail17trampoline_kernelINS0_14default_configENS1_22reduce_config_selectorIN6thrust23THRUST_200600_302600_NS5tupleIblNS6_9null_typeES8_S8_S8_S8_S8_S8_S8_EEEEZNS1_11reduce_implILb1ES3_PS9_SC_S9_NS6_11hip_rocprim9__find_if7functorIS9_EEEE10hipError_tPvRmT1_T2_T3_mT4_P12ihipStream_tbEUlT_E0_NS1_11comp_targetILNS1_3genE10ELNS1_11target_archE1201ELNS1_3gpuE5ELNS1_3repE0EEENS1_30default_config_static_selectorELNS0_4arch9wavefront6targetE1EEEvSK_
; %bb.0:
	.section	.rodata,"a",@progbits
	.p2align	6, 0x0
	.amdhsa_kernel _ZN7rocprim17ROCPRIM_400000_NS6detail17trampoline_kernelINS0_14default_configENS1_22reduce_config_selectorIN6thrust23THRUST_200600_302600_NS5tupleIblNS6_9null_typeES8_S8_S8_S8_S8_S8_S8_EEEEZNS1_11reduce_implILb1ES3_PS9_SC_S9_NS6_11hip_rocprim9__find_if7functorIS9_EEEE10hipError_tPvRmT1_T2_T3_mT4_P12ihipStream_tbEUlT_E0_NS1_11comp_targetILNS1_3genE10ELNS1_11target_archE1201ELNS1_3gpuE5ELNS1_3repE0EEENS1_30default_config_static_selectorELNS0_4arch9wavefront6targetE1EEEvSK_
		.amdhsa_group_segment_fixed_size 0
		.amdhsa_private_segment_fixed_size 0
		.amdhsa_kernarg_size 72
		.amdhsa_user_sgpr_count 6
		.amdhsa_user_sgpr_private_segment_buffer 1
		.amdhsa_user_sgpr_dispatch_ptr 0
		.amdhsa_user_sgpr_queue_ptr 0
		.amdhsa_user_sgpr_kernarg_segment_ptr 1
		.amdhsa_user_sgpr_dispatch_id 0
		.amdhsa_user_sgpr_flat_scratch_init 0
		.amdhsa_user_sgpr_kernarg_preload_length 0
		.amdhsa_user_sgpr_kernarg_preload_offset 0
		.amdhsa_user_sgpr_private_segment_size 0
		.amdhsa_uses_dynamic_stack 0
		.amdhsa_system_sgpr_private_segment_wavefront_offset 0
		.amdhsa_system_sgpr_workgroup_id_x 1
		.amdhsa_system_sgpr_workgroup_id_y 0
		.amdhsa_system_sgpr_workgroup_id_z 0
		.amdhsa_system_sgpr_workgroup_info 0
		.amdhsa_system_vgpr_workitem_id 0
		.amdhsa_next_free_vgpr 1
		.amdhsa_next_free_sgpr 0
		.amdhsa_accum_offset 4
		.amdhsa_reserve_vcc 0
		.amdhsa_reserve_flat_scratch 0
		.amdhsa_float_round_mode_32 0
		.amdhsa_float_round_mode_16_64 0
		.amdhsa_float_denorm_mode_32 3
		.amdhsa_float_denorm_mode_16_64 3
		.amdhsa_dx10_clamp 1
		.amdhsa_ieee_mode 1
		.amdhsa_fp16_overflow 0
		.amdhsa_tg_split 0
		.amdhsa_exception_fp_ieee_invalid_op 0
		.amdhsa_exception_fp_denorm_src 0
		.amdhsa_exception_fp_ieee_div_zero 0
		.amdhsa_exception_fp_ieee_overflow 0
		.amdhsa_exception_fp_ieee_underflow 0
		.amdhsa_exception_fp_ieee_inexact 0
		.amdhsa_exception_int_div_zero 0
	.end_amdhsa_kernel
	.section	.text._ZN7rocprim17ROCPRIM_400000_NS6detail17trampoline_kernelINS0_14default_configENS1_22reduce_config_selectorIN6thrust23THRUST_200600_302600_NS5tupleIblNS6_9null_typeES8_S8_S8_S8_S8_S8_S8_EEEEZNS1_11reduce_implILb1ES3_PS9_SC_S9_NS6_11hip_rocprim9__find_if7functorIS9_EEEE10hipError_tPvRmT1_T2_T3_mT4_P12ihipStream_tbEUlT_E0_NS1_11comp_targetILNS1_3genE10ELNS1_11target_archE1201ELNS1_3gpuE5ELNS1_3repE0EEENS1_30default_config_static_selectorELNS0_4arch9wavefront6targetE1EEEvSK_,"axG",@progbits,_ZN7rocprim17ROCPRIM_400000_NS6detail17trampoline_kernelINS0_14default_configENS1_22reduce_config_selectorIN6thrust23THRUST_200600_302600_NS5tupleIblNS6_9null_typeES8_S8_S8_S8_S8_S8_S8_EEEEZNS1_11reduce_implILb1ES3_PS9_SC_S9_NS6_11hip_rocprim9__find_if7functorIS9_EEEE10hipError_tPvRmT1_T2_T3_mT4_P12ihipStream_tbEUlT_E0_NS1_11comp_targetILNS1_3genE10ELNS1_11target_archE1201ELNS1_3gpuE5ELNS1_3repE0EEENS1_30default_config_static_selectorELNS0_4arch9wavefront6targetE1EEEvSK_,comdat
.Lfunc_end53:
	.size	_ZN7rocprim17ROCPRIM_400000_NS6detail17trampoline_kernelINS0_14default_configENS1_22reduce_config_selectorIN6thrust23THRUST_200600_302600_NS5tupleIblNS6_9null_typeES8_S8_S8_S8_S8_S8_S8_EEEEZNS1_11reduce_implILb1ES3_PS9_SC_S9_NS6_11hip_rocprim9__find_if7functorIS9_EEEE10hipError_tPvRmT1_T2_T3_mT4_P12ihipStream_tbEUlT_E0_NS1_11comp_targetILNS1_3genE10ELNS1_11target_archE1201ELNS1_3gpuE5ELNS1_3repE0EEENS1_30default_config_static_selectorELNS0_4arch9wavefront6targetE1EEEvSK_, .Lfunc_end53-_ZN7rocprim17ROCPRIM_400000_NS6detail17trampoline_kernelINS0_14default_configENS1_22reduce_config_selectorIN6thrust23THRUST_200600_302600_NS5tupleIblNS6_9null_typeES8_S8_S8_S8_S8_S8_S8_EEEEZNS1_11reduce_implILb1ES3_PS9_SC_S9_NS6_11hip_rocprim9__find_if7functorIS9_EEEE10hipError_tPvRmT1_T2_T3_mT4_P12ihipStream_tbEUlT_E0_NS1_11comp_targetILNS1_3genE10ELNS1_11target_archE1201ELNS1_3gpuE5ELNS1_3repE0EEENS1_30default_config_static_selectorELNS0_4arch9wavefront6targetE1EEEvSK_
                                        ; -- End function
	.section	.AMDGPU.csdata,"",@progbits
; Kernel info:
; codeLenInByte = 0
; NumSgprs: 4
; NumVgprs: 0
; NumAgprs: 0
; TotalNumVgprs: 0
; ScratchSize: 0
; MemoryBound: 0
; FloatMode: 240
; IeeeMode: 1
; LDSByteSize: 0 bytes/workgroup (compile time only)
; SGPRBlocks: 0
; VGPRBlocks: 0
; NumSGPRsForWavesPerEU: 4
; NumVGPRsForWavesPerEU: 1
; AccumOffset: 4
; Occupancy: 8
; WaveLimiterHint : 0
; COMPUTE_PGM_RSRC2:SCRATCH_EN: 0
; COMPUTE_PGM_RSRC2:USER_SGPR: 6
; COMPUTE_PGM_RSRC2:TRAP_HANDLER: 0
; COMPUTE_PGM_RSRC2:TGID_X_EN: 1
; COMPUTE_PGM_RSRC2:TGID_Y_EN: 0
; COMPUTE_PGM_RSRC2:TGID_Z_EN: 0
; COMPUTE_PGM_RSRC2:TIDIG_COMP_CNT: 0
; COMPUTE_PGM_RSRC3_GFX90A:ACCUM_OFFSET: 0
; COMPUTE_PGM_RSRC3_GFX90A:TG_SPLIT: 0
	.section	.text._ZN7rocprim17ROCPRIM_400000_NS6detail17trampoline_kernelINS0_14default_configENS1_22reduce_config_selectorIN6thrust23THRUST_200600_302600_NS5tupleIblNS6_9null_typeES8_S8_S8_S8_S8_S8_S8_EEEEZNS1_11reduce_implILb1ES3_PS9_SC_S9_NS6_11hip_rocprim9__find_if7functorIS9_EEEE10hipError_tPvRmT1_T2_T3_mT4_P12ihipStream_tbEUlT_E0_NS1_11comp_targetILNS1_3genE10ELNS1_11target_archE1200ELNS1_3gpuE4ELNS1_3repE0EEENS1_30default_config_static_selectorELNS0_4arch9wavefront6targetE1EEEvSK_,"axG",@progbits,_ZN7rocprim17ROCPRIM_400000_NS6detail17trampoline_kernelINS0_14default_configENS1_22reduce_config_selectorIN6thrust23THRUST_200600_302600_NS5tupleIblNS6_9null_typeES8_S8_S8_S8_S8_S8_S8_EEEEZNS1_11reduce_implILb1ES3_PS9_SC_S9_NS6_11hip_rocprim9__find_if7functorIS9_EEEE10hipError_tPvRmT1_T2_T3_mT4_P12ihipStream_tbEUlT_E0_NS1_11comp_targetILNS1_3genE10ELNS1_11target_archE1200ELNS1_3gpuE4ELNS1_3repE0EEENS1_30default_config_static_selectorELNS0_4arch9wavefront6targetE1EEEvSK_,comdat
	.protected	_ZN7rocprim17ROCPRIM_400000_NS6detail17trampoline_kernelINS0_14default_configENS1_22reduce_config_selectorIN6thrust23THRUST_200600_302600_NS5tupleIblNS6_9null_typeES8_S8_S8_S8_S8_S8_S8_EEEEZNS1_11reduce_implILb1ES3_PS9_SC_S9_NS6_11hip_rocprim9__find_if7functorIS9_EEEE10hipError_tPvRmT1_T2_T3_mT4_P12ihipStream_tbEUlT_E0_NS1_11comp_targetILNS1_3genE10ELNS1_11target_archE1200ELNS1_3gpuE4ELNS1_3repE0EEENS1_30default_config_static_selectorELNS0_4arch9wavefront6targetE1EEEvSK_ ; -- Begin function _ZN7rocprim17ROCPRIM_400000_NS6detail17trampoline_kernelINS0_14default_configENS1_22reduce_config_selectorIN6thrust23THRUST_200600_302600_NS5tupleIblNS6_9null_typeES8_S8_S8_S8_S8_S8_S8_EEEEZNS1_11reduce_implILb1ES3_PS9_SC_S9_NS6_11hip_rocprim9__find_if7functorIS9_EEEE10hipError_tPvRmT1_T2_T3_mT4_P12ihipStream_tbEUlT_E0_NS1_11comp_targetILNS1_3genE10ELNS1_11target_archE1200ELNS1_3gpuE4ELNS1_3repE0EEENS1_30default_config_static_selectorELNS0_4arch9wavefront6targetE1EEEvSK_
	.globl	_ZN7rocprim17ROCPRIM_400000_NS6detail17trampoline_kernelINS0_14default_configENS1_22reduce_config_selectorIN6thrust23THRUST_200600_302600_NS5tupleIblNS6_9null_typeES8_S8_S8_S8_S8_S8_S8_EEEEZNS1_11reduce_implILb1ES3_PS9_SC_S9_NS6_11hip_rocprim9__find_if7functorIS9_EEEE10hipError_tPvRmT1_T2_T3_mT4_P12ihipStream_tbEUlT_E0_NS1_11comp_targetILNS1_3genE10ELNS1_11target_archE1200ELNS1_3gpuE4ELNS1_3repE0EEENS1_30default_config_static_selectorELNS0_4arch9wavefront6targetE1EEEvSK_
	.p2align	8
	.type	_ZN7rocprim17ROCPRIM_400000_NS6detail17trampoline_kernelINS0_14default_configENS1_22reduce_config_selectorIN6thrust23THRUST_200600_302600_NS5tupleIblNS6_9null_typeES8_S8_S8_S8_S8_S8_S8_EEEEZNS1_11reduce_implILb1ES3_PS9_SC_S9_NS6_11hip_rocprim9__find_if7functorIS9_EEEE10hipError_tPvRmT1_T2_T3_mT4_P12ihipStream_tbEUlT_E0_NS1_11comp_targetILNS1_3genE10ELNS1_11target_archE1200ELNS1_3gpuE4ELNS1_3repE0EEENS1_30default_config_static_selectorELNS0_4arch9wavefront6targetE1EEEvSK_,@function
_ZN7rocprim17ROCPRIM_400000_NS6detail17trampoline_kernelINS0_14default_configENS1_22reduce_config_selectorIN6thrust23THRUST_200600_302600_NS5tupleIblNS6_9null_typeES8_S8_S8_S8_S8_S8_S8_EEEEZNS1_11reduce_implILb1ES3_PS9_SC_S9_NS6_11hip_rocprim9__find_if7functorIS9_EEEE10hipError_tPvRmT1_T2_T3_mT4_P12ihipStream_tbEUlT_E0_NS1_11comp_targetILNS1_3genE10ELNS1_11target_archE1200ELNS1_3gpuE4ELNS1_3repE0EEENS1_30default_config_static_selectorELNS0_4arch9wavefront6targetE1EEEvSK_: ; @_ZN7rocprim17ROCPRIM_400000_NS6detail17trampoline_kernelINS0_14default_configENS1_22reduce_config_selectorIN6thrust23THRUST_200600_302600_NS5tupleIblNS6_9null_typeES8_S8_S8_S8_S8_S8_S8_EEEEZNS1_11reduce_implILb1ES3_PS9_SC_S9_NS6_11hip_rocprim9__find_if7functorIS9_EEEE10hipError_tPvRmT1_T2_T3_mT4_P12ihipStream_tbEUlT_E0_NS1_11comp_targetILNS1_3genE10ELNS1_11target_archE1200ELNS1_3gpuE4ELNS1_3repE0EEENS1_30default_config_static_selectorELNS0_4arch9wavefront6targetE1EEEvSK_
; %bb.0:
	.section	.rodata,"a",@progbits
	.p2align	6, 0x0
	.amdhsa_kernel _ZN7rocprim17ROCPRIM_400000_NS6detail17trampoline_kernelINS0_14default_configENS1_22reduce_config_selectorIN6thrust23THRUST_200600_302600_NS5tupleIblNS6_9null_typeES8_S8_S8_S8_S8_S8_S8_EEEEZNS1_11reduce_implILb1ES3_PS9_SC_S9_NS6_11hip_rocprim9__find_if7functorIS9_EEEE10hipError_tPvRmT1_T2_T3_mT4_P12ihipStream_tbEUlT_E0_NS1_11comp_targetILNS1_3genE10ELNS1_11target_archE1200ELNS1_3gpuE4ELNS1_3repE0EEENS1_30default_config_static_selectorELNS0_4arch9wavefront6targetE1EEEvSK_
		.amdhsa_group_segment_fixed_size 0
		.amdhsa_private_segment_fixed_size 0
		.amdhsa_kernarg_size 72
		.amdhsa_user_sgpr_count 6
		.amdhsa_user_sgpr_private_segment_buffer 1
		.amdhsa_user_sgpr_dispatch_ptr 0
		.amdhsa_user_sgpr_queue_ptr 0
		.amdhsa_user_sgpr_kernarg_segment_ptr 1
		.amdhsa_user_sgpr_dispatch_id 0
		.amdhsa_user_sgpr_flat_scratch_init 0
		.amdhsa_user_sgpr_kernarg_preload_length 0
		.amdhsa_user_sgpr_kernarg_preload_offset 0
		.amdhsa_user_sgpr_private_segment_size 0
		.amdhsa_uses_dynamic_stack 0
		.amdhsa_system_sgpr_private_segment_wavefront_offset 0
		.amdhsa_system_sgpr_workgroup_id_x 1
		.amdhsa_system_sgpr_workgroup_id_y 0
		.amdhsa_system_sgpr_workgroup_id_z 0
		.amdhsa_system_sgpr_workgroup_info 0
		.amdhsa_system_vgpr_workitem_id 0
		.amdhsa_next_free_vgpr 1
		.amdhsa_next_free_sgpr 0
		.amdhsa_accum_offset 4
		.amdhsa_reserve_vcc 0
		.amdhsa_reserve_flat_scratch 0
		.amdhsa_float_round_mode_32 0
		.amdhsa_float_round_mode_16_64 0
		.amdhsa_float_denorm_mode_32 3
		.amdhsa_float_denorm_mode_16_64 3
		.amdhsa_dx10_clamp 1
		.amdhsa_ieee_mode 1
		.amdhsa_fp16_overflow 0
		.amdhsa_tg_split 0
		.amdhsa_exception_fp_ieee_invalid_op 0
		.amdhsa_exception_fp_denorm_src 0
		.amdhsa_exception_fp_ieee_div_zero 0
		.amdhsa_exception_fp_ieee_overflow 0
		.amdhsa_exception_fp_ieee_underflow 0
		.amdhsa_exception_fp_ieee_inexact 0
		.amdhsa_exception_int_div_zero 0
	.end_amdhsa_kernel
	.section	.text._ZN7rocprim17ROCPRIM_400000_NS6detail17trampoline_kernelINS0_14default_configENS1_22reduce_config_selectorIN6thrust23THRUST_200600_302600_NS5tupleIblNS6_9null_typeES8_S8_S8_S8_S8_S8_S8_EEEEZNS1_11reduce_implILb1ES3_PS9_SC_S9_NS6_11hip_rocprim9__find_if7functorIS9_EEEE10hipError_tPvRmT1_T2_T3_mT4_P12ihipStream_tbEUlT_E0_NS1_11comp_targetILNS1_3genE10ELNS1_11target_archE1200ELNS1_3gpuE4ELNS1_3repE0EEENS1_30default_config_static_selectorELNS0_4arch9wavefront6targetE1EEEvSK_,"axG",@progbits,_ZN7rocprim17ROCPRIM_400000_NS6detail17trampoline_kernelINS0_14default_configENS1_22reduce_config_selectorIN6thrust23THRUST_200600_302600_NS5tupleIblNS6_9null_typeES8_S8_S8_S8_S8_S8_S8_EEEEZNS1_11reduce_implILb1ES3_PS9_SC_S9_NS6_11hip_rocprim9__find_if7functorIS9_EEEE10hipError_tPvRmT1_T2_T3_mT4_P12ihipStream_tbEUlT_E0_NS1_11comp_targetILNS1_3genE10ELNS1_11target_archE1200ELNS1_3gpuE4ELNS1_3repE0EEENS1_30default_config_static_selectorELNS0_4arch9wavefront6targetE1EEEvSK_,comdat
.Lfunc_end54:
	.size	_ZN7rocprim17ROCPRIM_400000_NS6detail17trampoline_kernelINS0_14default_configENS1_22reduce_config_selectorIN6thrust23THRUST_200600_302600_NS5tupleIblNS6_9null_typeES8_S8_S8_S8_S8_S8_S8_EEEEZNS1_11reduce_implILb1ES3_PS9_SC_S9_NS6_11hip_rocprim9__find_if7functorIS9_EEEE10hipError_tPvRmT1_T2_T3_mT4_P12ihipStream_tbEUlT_E0_NS1_11comp_targetILNS1_3genE10ELNS1_11target_archE1200ELNS1_3gpuE4ELNS1_3repE0EEENS1_30default_config_static_selectorELNS0_4arch9wavefront6targetE1EEEvSK_, .Lfunc_end54-_ZN7rocprim17ROCPRIM_400000_NS6detail17trampoline_kernelINS0_14default_configENS1_22reduce_config_selectorIN6thrust23THRUST_200600_302600_NS5tupleIblNS6_9null_typeES8_S8_S8_S8_S8_S8_S8_EEEEZNS1_11reduce_implILb1ES3_PS9_SC_S9_NS6_11hip_rocprim9__find_if7functorIS9_EEEE10hipError_tPvRmT1_T2_T3_mT4_P12ihipStream_tbEUlT_E0_NS1_11comp_targetILNS1_3genE10ELNS1_11target_archE1200ELNS1_3gpuE4ELNS1_3repE0EEENS1_30default_config_static_selectorELNS0_4arch9wavefront6targetE1EEEvSK_
                                        ; -- End function
	.section	.AMDGPU.csdata,"",@progbits
; Kernel info:
; codeLenInByte = 0
; NumSgprs: 4
; NumVgprs: 0
; NumAgprs: 0
; TotalNumVgprs: 0
; ScratchSize: 0
; MemoryBound: 0
; FloatMode: 240
; IeeeMode: 1
; LDSByteSize: 0 bytes/workgroup (compile time only)
; SGPRBlocks: 0
; VGPRBlocks: 0
; NumSGPRsForWavesPerEU: 4
; NumVGPRsForWavesPerEU: 1
; AccumOffset: 4
; Occupancy: 8
; WaveLimiterHint : 0
; COMPUTE_PGM_RSRC2:SCRATCH_EN: 0
; COMPUTE_PGM_RSRC2:USER_SGPR: 6
; COMPUTE_PGM_RSRC2:TRAP_HANDLER: 0
; COMPUTE_PGM_RSRC2:TGID_X_EN: 1
; COMPUTE_PGM_RSRC2:TGID_Y_EN: 0
; COMPUTE_PGM_RSRC2:TGID_Z_EN: 0
; COMPUTE_PGM_RSRC2:TIDIG_COMP_CNT: 0
; COMPUTE_PGM_RSRC3_GFX90A:ACCUM_OFFSET: 0
; COMPUTE_PGM_RSRC3_GFX90A:TG_SPLIT: 0
	.section	.text._ZN7rocprim17ROCPRIM_400000_NS6detail17trampoline_kernelINS0_14default_configENS1_22reduce_config_selectorIN6thrust23THRUST_200600_302600_NS5tupleIblNS6_9null_typeES8_S8_S8_S8_S8_S8_S8_EEEEZNS1_11reduce_implILb1ES3_PS9_SC_S9_NS6_11hip_rocprim9__find_if7functorIS9_EEEE10hipError_tPvRmT1_T2_T3_mT4_P12ihipStream_tbEUlT_E0_NS1_11comp_targetILNS1_3genE9ELNS1_11target_archE1100ELNS1_3gpuE3ELNS1_3repE0EEENS1_30default_config_static_selectorELNS0_4arch9wavefront6targetE1EEEvSK_,"axG",@progbits,_ZN7rocprim17ROCPRIM_400000_NS6detail17trampoline_kernelINS0_14default_configENS1_22reduce_config_selectorIN6thrust23THRUST_200600_302600_NS5tupleIblNS6_9null_typeES8_S8_S8_S8_S8_S8_S8_EEEEZNS1_11reduce_implILb1ES3_PS9_SC_S9_NS6_11hip_rocprim9__find_if7functorIS9_EEEE10hipError_tPvRmT1_T2_T3_mT4_P12ihipStream_tbEUlT_E0_NS1_11comp_targetILNS1_3genE9ELNS1_11target_archE1100ELNS1_3gpuE3ELNS1_3repE0EEENS1_30default_config_static_selectorELNS0_4arch9wavefront6targetE1EEEvSK_,comdat
	.protected	_ZN7rocprim17ROCPRIM_400000_NS6detail17trampoline_kernelINS0_14default_configENS1_22reduce_config_selectorIN6thrust23THRUST_200600_302600_NS5tupleIblNS6_9null_typeES8_S8_S8_S8_S8_S8_S8_EEEEZNS1_11reduce_implILb1ES3_PS9_SC_S9_NS6_11hip_rocprim9__find_if7functorIS9_EEEE10hipError_tPvRmT1_T2_T3_mT4_P12ihipStream_tbEUlT_E0_NS1_11comp_targetILNS1_3genE9ELNS1_11target_archE1100ELNS1_3gpuE3ELNS1_3repE0EEENS1_30default_config_static_selectorELNS0_4arch9wavefront6targetE1EEEvSK_ ; -- Begin function _ZN7rocprim17ROCPRIM_400000_NS6detail17trampoline_kernelINS0_14default_configENS1_22reduce_config_selectorIN6thrust23THRUST_200600_302600_NS5tupleIblNS6_9null_typeES8_S8_S8_S8_S8_S8_S8_EEEEZNS1_11reduce_implILb1ES3_PS9_SC_S9_NS6_11hip_rocprim9__find_if7functorIS9_EEEE10hipError_tPvRmT1_T2_T3_mT4_P12ihipStream_tbEUlT_E0_NS1_11comp_targetILNS1_3genE9ELNS1_11target_archE1100ELNS1_3gpuE3ELNS1_3repE0EEENS1_30default_config_static_selectorELNS0_4arch9wavefront6targetE1EEEvSK_
	.globl	_ZN7rocprim17ROCPRIM_400000_NS6detail17trampoline_kernelINS0_14default_configENS1_22reduce_config_selectorIN6thrust23THRUST_200600_302600_NS5tupleIblNS6_9null_typeES8_S8_S8_S8_S8_S8_S8_EEEEZNS1_11reduce_implILb1ES3_PS9_SC_S9_NS6_11hip_rocprim9__find_if7functorIS9_EEEE10hipError_tPvRmT1_T2_T3_mT4_P12ihipStream_tbEUlT_E0_NS1_11comp_targetILNS1_3genE9ELNS1_11target_archE1100ELNS1_3gpuE3ELNS1_3repE0EEENS1_30default_config_static_selectorELNS0_4arch9wavefront6targetE1EEEvSK_
	.p2align	8
	.type	_ZN7rocprim17ROCPRIM_400000_NS6detail17trampoline_kernelINS0_14default_configENS1_22reduce_config_selectorIN6thrust23THRUST_200600_302600_NS5tupleIblNS6_9null_typeES8_S8_S8_S8_S8_S8_S8_EEEEZNS1_11reduce_implILb1ES3_PS9_SC_S9_NS6_11hip_rocprim9__find_if7functorIS9_EEEE10hipError_tPvRmT1_T2_T3_mT4_P12ihipStream_tbEUlT_E0_NS1_11comp_targetILNS1_3genE9ELNS1_11target_archE1100ELNS1_3gpuE3ELNS1_3repE0EEENS1_30default_config_static_selectorELNS0_4arch9wavefront6targetE1EEEvSK_,@function
_ZN7rocprim17ROCPRIM_400000_NS6detail17trampoline_kernelINS0_14default_configENS1_22reduce_config_selectorIN6thrust23THRUST_200600_302600_NS5tupleIblNS6_9null_typeES8_S8_S8_S8_S8_S8_S8_EEEEZNS1_11reduce_implILb1ES3_PS9_SC_S9_NS6_11hip_rocprim9__find_if7functorIS9_EEEE10hipError_tPvRmT1_T2_T3_mT4_P12ihipStream_tbEUlT_E0_NS1_11comp_targetILNS1_3genE9ELNS1_11target_archE1100ELNS1_3gpuE3ELNS1_3repE0EEENS1_30default_config_static_selectorELNS0_4arch9wavefront6targetE1EEEvSK_: ; @_ZN7rocprim17ROCPRIM_400000_NS6detail17trampoline_kernelINS0_14default_configENS1_22reduce_config_selectorIN6thrust23THRUST_200600_302600_NS5tupleIblNS6_9null_typeES8_S8_S8_S8_S8_S8_S8_EEEEZNS1_11reduce_implILb1ES3_PS9_SC_S9_NS6_11hip_rocprim9__find_if7functorIS9_EEEE10hipError_tPvRmT1_T2_T3_mT4_P12ihipStream_tbEUlT_E0_NS1_11comp_targetILNS1_3genE9ELNS1_11target_archE1100ELNS1_3gpuE3ELNS1_3repE0EEENS1_30default_config_static_selectorELNS0_4arch9wavefront6targetE1EEEvSK_
; %bb.0:
	.section	.rodata,"a",@progbits
	.p2align	6, 0x0
	.amdhsa_kernel _ZN7rocprim17ROCPRIM_400000_NS6detail17trampoline_kernelINS0_14default_configENS1_22reduce_config_selectorIN6thrust23THRUST_200600_302600_NS5tupleIblNS6_9null_typeES8_S8_S8_S8_S8_S8_S8_EEEEZNS1_11reduce_implILb1ES3_PS9_SC_S9_NS6_11hip_rocprim9__find_if7functorIS9_EEEE10hipError_tPvRmT1_T2_T3_mT4_P12ihipStream_tbEUlT_E0_NS1_11comp_targetILNS1_3genE9ELNS1_11target_archE1100ELNS1_3gpuE3ELNS1_3repE0EEENS1_30default_config_static_selectorELNS0_4arch9wavefront6targetE1EEEvSK_
		.amdhsa_group_segment_fixed_size 0
		.amdhsa_private_segment_fixed_size 0
		.amdhsa_kernarg_size 72
		.amdhsa_user_sgpr_count 6
		.amdhsa_user_sgpr_private_segment_buffer 1
		.amdhsa_user_sgpr_dispatch_ptr 0
		.amdhsa_user_sgpr_queue_ptr 0
		.amdhsa_user_sgpr_kernarg_segment_ptr 1
		.amdhsa_user_sgpr_dispatch_id 0
		.amdhsa_user_sgpr_flat_scratch_init 0
		.amdhsa_user_sgpr_kernarg_preload_length 0
		.amdhsa_user_sgpr_kernarg_preload_offset 0
		.amdhsa_user_sgpr_private_segment_size 0
		.amdhsa_uses_dynamic_stack 0
		.amdhsa_system_sgpr_private_segment_wavefront_offset 0
		.amdhsa_system_sgpr_workgroup_id_x 1
		.amdhsa_system_sgpr_workgroup_id_y 0
		.amdhsa_system_sgpr_workgroup_id_z 0
		.amdhsa_system_sgpr_workgroup_info 0
		.amdhsa_system_vgpr_workitem_id 0
		.amdhsa_next_free_vgpr 1
		.amdhsa_next_free_sgpr 0
		.amdhsa_accum_offset 4
		.amdhsa_reserve_vcc 0
		.amdhsa_reserve_flat_scratch 0
		.amdhsa_float_round_mode_32 0
		.amdhsa_float_round_mode_16_64 0
		.amdhsa_float_denorm_mode_32 3
		.amdhsa_float_denorm_mode_16_64 3
		.amdhsa_dx10_clamp 1
		.amdhsa_ieee_mode 1
		.amdhsa_fp16_overflow 0
		.amdhsa_tg_split 0
		.amdhsa_exception_fp_ieee_invalid_op 0
		.amdhsa_exception_fp_denorm_src 0
		.amdhsa_exception_fp_ieee_div_zero 0
		.amdhsa_exception_fp_ieee_overflow 0
		.amdhsa_exception_fp_ieee_underflow 0
		.amdhsa_exception_fp_ieee_inexact 0
		.amdhsa_exception_int_div_zero 0
	.end_amdhsa_kernel
	.section	.text._ZN7rocprim17ROCPRIM_400000_NS6detail17trampoline_kernelINS0_14default_configENS1_22reduce_config_selectorIN6thrust23THRUST_200600_302600_NS5tupleIblNS6_9null_typeES8_S8_S8_S8_S8_S8_S8_EEEEZNS1_11reduce_implILb1ES3_PS9_SC_S9_NS6_11hip_rocprim9__find_if7functorIS9_EEEE10hipError_tPvRmT1_T2_T3_mT4_P12ihipStream_tbEUlT_E0_NS1_11comp_targetILNS1_3genE9ELNS1_11target_archE1100ELNS1_3gpuE3ELNS1_3repE0EEENS1_30default_config_static_selectorELNS0_4arch9wavefront6targetE1EEEvSK_,"axG",@progbits,_ZN7rocprim17ROCPRIM_400000_NS6detail17trampoline_kernelINS0_14default_configENS1_22reduce_config_selectorIN6thrust23THRUST_200600_302600_NS5tupleIblNS6_9null_typeES8_S8_S8_S8_S8_S8_S8_EEEEZNS1_11reduce_implILb1ES3_PS9_SC_S9_NS6_11hip_rocprim9__find_if7functorIS9_EEEE10hipError_tPvRmT1_T2_T3_mT4_P12ihipStream_tbEUlT_E0_NS1_11comp_targetILNS1_3genE9ELNS1_11target_archE1100ELNS1_3gpuE3ELNS1_3repE0EEENS1_30default_config_static_selectorELNS0_4arch9wavefront6targetE1EEEvSK_,comdat
.Lfunc_end55:
	.size	_ZN7rocprim17ROCPRIM_400000_NS6detail17trampoline_kernelINS0_14default_configENS1_22reduce_config_selectorIN6thrust23THRUST_200600_302600_NS5tupleIblNS6_9null_typeES8_S8_S8_S8_S8_S8_S8_EEEEZNS1_11reduce_implILb1ES3_PS9_SC_S9_NS6_11hip_rocprim9__find_if7functorIS9_EEEE10hipError_tPvRmT1_T2_T3_mT4_P12ihipStream_tbEUlT_E0_NS1_11comp_targetILNS1_3genE9ELNS1_11target_archE1100ELNS1_3gpuE3ELNS1_3repE0EEENS1_30default_config_static_selectorELNS0_4arch9wavefront6targetE1EEEvSK_, .Lfunc_end55-_ZN7rocprim17ROCPRIM_400000_NS6detail17trampoline_kernelINS0_14default_configENS1_22reduce_config_selectorIN6thrust23THRUST_200600_302600_NS5tupleIblNS6_9null_typeES8_S8_S8_S8_S8_S8_S8_EEEEZNS1_11reduce_implILb1ES3_PS9_SC_S9_NS6_11hip_rocprim9__find_if7functorIS9_EEEE10hipError_tPvRmT1_T2_T3_mT4_P12ihipStream_tbEUlT_E0_NS1_11comp_targetILNS1_3genE9ELNS1_11target_archE1100ELNS1_3gpuE3ELNS1_3repE0EEENS1_30default_config_static_selectorELNS0_4arch9wavefront6targetE1EEEvSK_
                                        ; -- End function
	.section	.AMDGPU.csdata,"",@progbits
; Kernel info:
; codeLenInByte = 0
; NumSgprs: 4
; NumVgprs: 0
; NumAgprs: 0
; TotalNumVgprs: 0
; ScratchSize: 0
; MemoryBound: 0
; FloatMode: 240
; IeeeMode: 1
; LDSByteSize: 0 bytes/workgroup (compile time only)
; SGPRBlocks: 0
; VGPRBlocks: 0
; NumSGPRsForWavesPerEU: 4
; NumVGPRsForWavesPerEU: 1
; AccumOffset: 4
; Occupancy: 8
; WaveLimiterHint : 0
; COMPUTE_PGM_RSRC2:SCRATCH_EN: 0
; COMPUTE_PGM_RSRC2:USER_SGPR: 6
; COMPUTE_PGM_RSRC2:TRAP_HANDLER: 0
; COMPUTE_PGM_RSRC2:TGID_X_EN: 1
; COMPUTE_PGM_RSRC2:TGID_Y_EN: 0
; COMPUTE_PGM_RSRC2:TGID_Z_EN: 0
; COMPUTE_PGM_RSRC2:TIDIG_COMP_CNT: 0
; COMPUTE_PGM_RSRC3_GFX90A:ACCUM_OFFSET: 0
; COMPUTE_PGM_RSRC3_GFX90A:TG_SPLIT: 0
	.section	.text._ZN7rocprim17ROCPRIM_400000_NS6detail17trampoline_kernelINS0_14default_configENS1_22reduce_config_selectorIN6thrust23THRUST_200600_302600_NS5tupleIblNS6_9null_typeES8_S8_S8_S8_S8_S8_S8_EEEEZNS1_11reduce_implILb1ES3_PS9_SC_S9_NS6_11hip_rocprim9__find_if7functorIS9_EEEE10hipError_tPvRmT1_T2_T3_mT4_P12ihipStream_tbEUlT_E0_NS1_11comp_targetILNS1_3genE8ELNS1_11target_archE1030ELNS1_3gpuE2ELNS1_3repE0EEENS1_30default_config_static_selectorELNS0_4arch9wavefront6targetE1EEEvSK_,"axG",@progbits,_ZN7rocprim17ROCPRIM_400000_NS6detail17trampoline_kernelINS0_14default_configENS1_22reduce_config_selectorIN6thrust23THRUST_200600_302600_NS5tupleIblNS6_9null_typeES8_S8_S8_S8_S8_S8_S8_EEEEZNS1_11reduce_implILb1ES3_PS9_SC_S9_NS6_11hip_rocprim9__find_if7functorIS9_EEEE10hipError_tPvRmT1_T2_T3_mT4_P12ihipStream_tbEUlT_E0_NS1_11comp_targetILNS1_3genE8ELNS1_11target_archE1030ELNS1_3gpuE2ELNS1_3repE0EEENS1_30default_config_static_selectorELNS0_4arch9wavefront6targetE1EEEvSK_,comdat
	.protected	_ZN7rocprim17ROCPRIM_400000_NS6detail17trampoline_kernelINS0_14default_configENS1_22reduce_config_selectorIN6thrust23THRUST_200600_302600_NS5tupleIblNS6_9null_typeES8_S8_S8_S8_S8_S8_S8_EEEEZNS1_11reduce_implILb1ES3_PS9_SC_S9_NS6_11hip_rocprim9__find_if7functorIS9_EEEE10hipError_tPvRmT1_T2_T3_mT4_P12ihipStream_tbEUlT_E0_NS1_11comp_targetILNS1_3genE8ELNS1_11target_archE1030ELNS1_3gpuE2ELNS1_3repE0EEENS1_30default_config_static_selectorELNS0_4arch9wavefront6targetE1EEEvSK_ ; -- Begin function _ZN7rocprim17ROCPRIM_400000_NS6detail17trampoline_kernelINS0_14default_configENS1_22reduce_config_selectorIN6thrust23THRUST_200600_302600_NS5tupleIblNS6_9null_typeES8_S8_S8_S8_S8_S8_S8_EEEEZNS1_11reduce_implILb1ES3_PS9_SC_S9_NS6_11hip_rocprim9__find_if7functorIS9_EEEE10hipError_tPvRmT1_T2_T3_mT4_P12ihipStream_tbEUlT_E0_NS1_11comp_targetILNS1_3genE8ELNS1_11target_archE1030ELNS1_3gpuE2ELNS1_3repE0EEENS1_30default_config_static_selectorELNS0_4arch9wavefront6targetE1EEEvSK_
	.globl	_ZN7rocprim17ROCPRIM_400000_NS6detail17trampoline_kernelINS0_14default_configENS1_22reduce_config_selectorIN6thrust23THRUST_200600_302600_NS5tupleIblNS6_9null_typeES8_S8_S8_S8_S8_S8_S8_EEEEZNS1_11reduce_implILb1ES3_PS9_SC_S9_NS6_11hip_rocprim9__find_if7functorIS9_EEEE10hipError_tPvRmT1_T2_T3_mT4_P12ihipStream_tbEUlT_E0_NS1_11comp_targetILNS1_3genE8ELNS1_11target_archE1030ELNS1_3gpuE2ELNS1_3repE0EEENS1_30default_config_static_selectorELNS0_4arch9wavefront6targetE1EEEvSK_
	.p2align	8
	.type	_ZN7rocprim17ROCPRIM_400000_NS6detail17trampoline_kernelINS0_14default_configENS1_22reduce_config_selectorIN6thrust23THRUST_200600_302600_NS5tupleIblNS6_9null_typeES8_S8_S8_S8_S8_S8_S8_EEEEZNS1_11reduce_implILb1ES3_PS9_SC_S9_NS6_11hip_rocprim9__find_if7functorIS9_EEEE10hipError_tPvRmT1_T2_T3_mT4_P12ihipStream_tbEUlT_E0_NS1_11comp_targetILNS1_3genE8ELNS1_11target_archE1030ELNS1_3gpuE2ELNS1_3repE0EEENS1_30default_config_static_selectorELNS0_4arch9wavefront6targetE1EEEvSK_,@function
_ZN7rocprim17ROCPRIM_400000_NS6detail17trampoline_kernelINS0_14default_configENS1_22reduce_config_selectorIN6thrust23THRUST_200600_302600_NS5tupleIblNS6_9null_typeES8_S8_S8_S8_S8_S8_S8_EEEEZNS1_11reduce_implILb1ES3_PS9_SC_S9_NS6_11hip_rocprim9__find_if7functorIS9_EEEE10hipError_tPvRmT1_T2_T3_mT4_P12ihipStream_tbEUlT_E0_NS1_11comp_targetILNS1_3genE8ELNS1_11target_archE1030ELNS1_3gpuE2ELNS1_3repE0EEENS1_30default_config_static_selectorELNS0_4arch9wavefront6targetE1EEEvSK_: ; @_ZN7rocprim17ROCPRIM_400000_NS6detail17trampoline_kernelINS0_14default_configENS1_22reduce_config_selectorIN6thrust23THRUST_200600_302600_NS5tupleIblNS6_9null_typeES8_S8_S8_S8_S8_S8_S8_EEEEZNS1_11reduce_implILb1ES3_PS9_SC_S9_NS6_11hip_rocprim9__find_if7functorIS9_EEEE10hipError_tPvRmT1_T2_T3_mT4_P12ihipStream_tbEUlT_E0_NS1_11comp_targetILNS1_3genE8ELNS1_11target_archE1030ELNS1_3gpuE2ELNS1_3repE0EEENS1_30default_config_static_selectorELNS0_4arch9wavefront6targetE1EEEvSK_
; %bb.0:
	.section	.rodata,"a",@progbits
	.p2align	6, 0x0
	.amdhsa_kernel _ZN7rocprim17ROCPRIM_400000_NS6detail17trampoline_kernelINS0_14default_configENS1_22reduce_config_selectorIN6thrust23THRUST_200600_302600_NS5tupleIblNS6_9null_typeES8_S8_S8_S8_S8_S8_S8_EEEEZNS1_11reduce_implILb1ES3_PS9_SC_S9_NS6_11hip_rocprim9__find_if7functorIS9_EEEE10hipError_tPvRmT1_T2_T3_mT4_P12ihipStream_tbEUlT_E0_NS1_11comp_targetILNS1_3genE8ELNS1_11target_archE1030ELNS1_3gpuE2ELNS1_3repE0EEENS1_30default_config_static_selectorELNS0_4arch9wavefront6targetE1EEEvSK_
		.amdhsa_group_segment_fixed_size 0
		.amdhsa_private_segment_fixed_size 0
		.amdhsa_kernarg_size 72
		.amdhsa_user_sgpr_count 6
		.amdhsa_user_sgpr_private_segment_buffer 1
		.amdhsa_user_sgpr_dispatch_ptr 0
		.amdhsa_user_sgpr_queue_ptr 0
		.amdhsa_user_sgpr_kernarg_segment_ptr 1
		.amdhsa_user_sgpr_dispatch_id 0
		.amdhsa_user_sgpr_flat_scratch_init 0
		.amdhsa_user_sgpr_kernarg_preload_length 0
		.amdhsa_user_sgpr_kernarg_preload_offset 0
		.amdhsa_user_sgpr_private_segment_size 0
		.amdhsa_uses_dynamic_stack 0
		.amdhsa_system_sgpr_private_segment_wavefront_offset 0
		.amdhsa_system_sgpr_workgroup_id_x 1
		.amdhsa_system_sgpr_workgroup_id_y 0
		.amdhsa_system_sgpr_workgroup_id_z 0
		.amdhsa_system_sgpr_workgroup_info 0
		.amdhsa_system_vgpr_workitem_id 0
		.amdhsa_next_free_vgpr 1
		.amdhsa_next_free_sgpr 0
		.amdhsa_accum_offset 4
		.amdhsa_reserve_vcc 0
		.amdhsa_reserve_flat_scratch 0
		.amdhsa_float_round_mode_32 0
		.amdhsa_float_round_mode_16_64 0
		.amdhsa_float_denorm_mode_32 3
		.amdhsa_float_denorm_mode_16_64 3
		.amdhsa_dx10_clamp 1
		.amdhsa_ieee_mode 1
		.amdhsa_fp16_overflow 0
		.amdhsa_tg_split 0
		.amdhsa_exception_fp_ieee_invalid_op 0
		.amdhsa_exception_fp_denorm_src 0
		.amdhsa_exception_fp_ieee_div_zero 0
		.amdhsa_exception_fp_ieee_overflow 0
		.amdhsa_exception_fp_ieee_underflow 0
		.amdhsa_exception_fp_ieee_inexact 0
		.amdhsa_exception_int_div_zero 0
	.end_amdhsa_kernel
	.section	.text._ZN7rocprim17ROCPRIM_400000_NS6detail17trampoline_kernelINS0_14default_configENS1_22reduce_config_selectorIN6thrust23THRUST_200600_302600_NS5tupleIblNS6_9null_typeES8_S8_S8_S8_S8_S8_S8_EEEEZNS1_11reduce_implILb1ES3_PS9_SC_S9_NS6_11hip_rocprim9__find_if7functorIS9_EEEE10hipError_tPvRmT1_T2_T3_mT4_P12ihipStream_tbEUlT_E0_NS1_11comp_targetILNS1_3genE8ELNS1_11target_archE1030ELNS1_3gpuE2ELNS1_3repE0EEENS1_30default_config_static_selectorELNS0_4arch9wavefront6targetE1EEEvSK_,"axG",@progbits,_ZN7rocprim17ROCPRIM_400000_NS6detail17trampoline_kernelINS0_14default_configENS1_22reduce_config_selectorIN6thrust23THRUST_200600_302600_NS5tupleIblNS6_9null_typeES8_S8_S8_S8_S8_S8_S8_EEEEZNS1_11reduce_implILb1ES3_PS9_SC_S9_NS6_11hip_rocprim9__find_if7functorIS9_EEEE10hipError_tPvRmT1_T2_T3_mT4_P12ihipStream_tbEUlT_E0_NS1_11comp_targetILNS1_3genE8ELNS1_11target_archE1030ELNS1_3gpuE2ELNS1_3repE0EEENS1_30default_config_static_selectorELNS0_4arch9wavefront6targetE1EEEvSK_,comdat
.Lfunc_end56:
	.size	_ZN7rocprim17ROCPRIM_400000_NS6detail17trampoline_kernelINS0_14default_configENS1_22reduce_config_selectorIN6thrust23THRUST_200600_302600_NS5tupleIblNS6_9null_typeES8_S8_S8_S8_S8_S8_S8_EEEEZNS1_11reduce_implILb1ES3_PS9_SC_S9_NS6_11hip_rocprim9__find_if7functorIS9_EEEE10hipError_tPvRmT1_T2_T3_mT4_P12ihipStream_tbEUlT_E0_NS1_11comp_targetILNS1_3genE8ELNS1_11target_archE1030ELNS1_3gpuE2ELNS1_3repE0EEENS1_30default_config_static_selectorELNS0_4arch9wavefront6targetE1EEEvSK_, .Lfunc_end56-_ZN7rocprim17ROCPRIM_400000_NS6detail17trampoline_kernelINS0_14default_configENS1_22reduce_config_selectorIN6thrust23THRUST_200600_302600_NS5tupleIblNS6_9null_typeES8_S8_S8_S8_S8_S8_S8_EEEEZNS1_11reduce_implILb1ES3_PS9_SC_S9_NS6_11hip_rocprim9__find_if7functorIS9_EEEE10hipError_tPvRmT1_T2_T3_mT4_P12ihipStream_tbEUlT_E0_NS1_11comp_targetILNS1_3genE8ELNS1_11target_archE1030ELNS1_3gpuE2ELNS1_3repE0EEENS1_30default_config_static_selectorELNS0_4arch9wavefront6targetE1EEEvSK_
                                        ; -- End function
	.section	.AMDGPU.csdata,"",@progbits
; Kernel info:
; codeLenInByte = 0
; NumSgprs: 4
; NumVgprs: 0
; NumAgprs: 0
; TotalNumVgprs: 0
; ScratchSize: 0
; MemoryBound: 0
; FloatMode: 240
; IeeeMode: 1
; LDSByteSize: 0 bytes/workgroup (compile time only)
; SGPRBlocks: 0
; VGPRBlocks: 0
; NumSGPRsForWavesPerEU: 4
; NumVGPRsForWavesPerEU: 1
; AccumOffset: 4
; Occupancy: 8
; WaveLimiterHint : 0
; COMPUTE_PGM_RSRC2:SCRATCH_EN: 0
; COMPUTE_PGM_RSRC2:USER_SGPR: 6
; COMPUTE_PGM_RSRC2:TRAP_HANDLER: 0
; COMPUTE_PGM_RSRC2:TGID_X_EN: 1
; COMPUTE_PGM_RSRC2:TGID_Y_EN: 0
; COMPUTE_PGM_RSRC2:TGID_Z_EN: 0
; COMPUTE_PGM_RSRC2:TIDIG_COMP_CNT: 0
; COMPUTE_PGM_RSRC3_GFX90A:ACCUM_OFFSET: 0
; COMPUTE_PGM_RSRC3_GFX90A:TG_SPLIT: 0
	.section	.text._ZN7rocprim17ROCPRIM_400000_NS6detail17trampoline_kernelINS0_14default_configENS1_22reduce_config_selectorIN6thrust23THRUST_200600_302600_NS5tupleIblNS6_9null_typeES8_S8_S8_S8_S8_S8_S8_EEEEZNS1_11reduce_implILb1ES3_PS9_SC_S9_NS6_11hip_rocprim9__find_if7functorIS9_EEEE10hipError_tPvRmT1_T2_T3_mT4_P12ihipStream_tbEUlT_E1_NS1_11comp_targetILNS1_3genE0ELNS1_11target_archE4294967295ELNS1_3gpuE0ELNS1_3repE0EEENS1_30default_config_static_selectorELNS0_4arch9wavefront6targetE1EEEvSK_,"axG",@progbits,_ZN7rocprim17ROCPRIM_400000_NS6detail17trampoline_kernelINS0_14default_configENS1_22reduce_config_selectorIN6thrust23THRUST_200600_302600_NS5tupleIblNS6_9null_typeES8_S8_S8_S8_S8_S8_S8_EEEEZNS1_11reduce_implILb1ES3_PS9_SC_S9_NS6_11hip_rocprim9__find_if7functorIS9_EEEE10hipError_tPvRmT1_T2_T3_mT4_P12ihipStream_tbEUlT_E1_NS1_11comp_targetILNS1_3genE0ELNS1_11target_archE4294967295ELNS1_3gpuE0ELNS1_3repE0EEENS1_30default_config_static_selectorELNS0_4arch9wavefront6targetE1EEEvSK_,comdat
	.protected	_ZN7rocprim17ROCPRIM_400000_NS6detail17trampoline_kernelINS0_14default_configENS1_22reduce_config_selectorIN6thrust23THRUST_200600_302600_NS5tupleIblNS6_9null_typeES8_S8_S8_S8_S8_S8_S8_EEEEZNS1_11reduce_implILb1ES3_PS9_SC_S9_NS6_11hip_rocprim9__find_if7functorIS9_EEEE10hipError_tPvRmT1_T2_T3_mT4_P12ihipStream_tbEUlT_E1_NS1_11comp_targetILNS1_3genE0ELNS1_11target_archE4294967295ELNS1_3gpuE0ELNS1_3repE0EEENS1_30default_config_static_selectorELNS0_4arch9wavefront6targetE1EEEvSK_ ; -- Begin function _ZN7rocprim17ROCPRIM_400000_NS6detail17trampoline_kernelINS0_14default_configENS1_22reduce_config_selectorIN6thrust23THRUST_200600_302600_NS5tupleIblNS6_9null_typeES8_S8_S8_S8_S8_S8_S8_EEEEZNS1_11reduce_implILb1ES3_PS9_SC_S9_NS6_11hip_rocprim9__find_if7functorIS9_EEEE10hipError_tPvRmT1_T2_T3_mT4_P12ihipStream_tbEUlT_E1_NS1_11comp_targetILNS1_3genE0ELNS1_11target_archE4294967295ELNS1_3gpuE0ELNS1_3repE0EEENS1_30default_config_static_selectorELNS0_4arch9wavefront6targetE1EEEvSK_
	.globl	_ZN7rocprim17ROCPRIM_400000_NS6detail17trampoline_kernelINS0_14default_configENS1_22reduce_config_selectorIN6thrust23THRUST_200600_302600_NS5tupleIblNS6_9null_typeES8_S8_S8_S8_S8_S8_S8_EEEEZNS1_11reduce_implILb1ES3_PS9_SC_S9_NS6_11hip_rocprim9__find_if7functorIS9_EEEE10hipError_tPvRmT1_T2_T3_mT4_P12ihipStream_tbEUlT_E1_NS1_11comp_targetILNS1_3genE0ELNS1_11target_archE4294967295ELNS1_3gpuE0ELNS1_3repE0EEENS1_30default_config_static_selectorELNS0_4arch9wavefront6targetE1EEEvSK_
	.p2align	8
	.type	_ZN7rocprim17ROCPRIM_400000_NS6detail17trampoline_kernelINS0_14default_configENS1_22reduce_config_selectorIN6thrust23THRUST_200600_302600_NS5tupleIblNS6_9null_typeES8_S8_S8_S8_S8_S8_S8_EEEEZNS1_11reduce_implILb1ES3_PS9_SC_S9_NS6_11hip_rocprim9__find_if7functorIS9_EEEE10hipError_tPvRmT1_T2_T3_mT4_P12ihipStream_tbEUlT_E1_NS1_11comp_targetILNS1_3genE0ELNS1_11target_archE4294967295ELNS1_3gpuE0ELNS1_3repE0EEENS1_30default_config_static_selectorELNS0_4arch9wavefront6targetE1EEEvSK_,@function
_ZN7rocprim17ROCPRIM_400000_NS6detail17trampoline_kernelINS0_14default_configENS1_22reduce_config_selectorIN6thrust23THRUST_200600_302600_NS5tupleIblNS6_9null_typeES8_S8_S8_S8_S8_S8_S8_EEEEZNS1_11reduce_implILb1ES3_PS9_SC_S9_NS6_11hip_rocprim9__find_if7functorIS9_EEEE10hipError_tPvRmT1_T2_T3_mT4_P12ihipStream_tbEUlT_E1_NS1_11comp_targetILNS1_3genE0ELNS1_11target_archE4294967295ELNS1_3gpuE0ELNS1_3repE0EEENS1_30default_config_static_selectorELNS0_4arch9wavefront6targetE1EEEvSK_: ; @_ZN7rocprim17ROCPRIM_400000_NS6detail17trampoline_kernelINS0_14default_configENS1_22reduce_config_selectorIN6thrust23THRUST_200600_302600_NS5tupleIblNS6_9null_typeES8_S8_S8_S8_S8_S8_S8_EEEEZNS1_11reduce_implILb1ES3_PS9_SC_S9_NS6_11hip_rocprim9__find_if7functorIS9_EEEE10hipError_tPvRmT1_T2_T3_mT4_P12ihipStream_tbEUlT_E1_NS1_11comp_targetILNS1_3genE0ELNS1_11target_archE4294967295ELNS1_3gpuE0ELNS1_3repE0EEENS1_30default_config_static_selectorELNS0_4arch9wavefront6targetE1EEEvSK_
; %bb.0:
	.section	.rodata,"a",@progbits
	.p2align	6, 0x0
	.amdhsa_kernel _ZN7rocprim17ROCPRIM_400000_NS6detail17trampoline_kernelINS0_14default_configENS1_22reduce_config_selectorIN6thrust23THRUST_200600_302600_NS5tupleIblNS6_9null_typeES8_S8_S8_S8_S8_S8_S8_EEEEZNS1_11reduce_implILb1ES3_PS9_SC_S9_NS6_11hip_rocprim9__find_if7functorIS9_EEEE10hipError_tPvRmT1_T2_T3_mT4_P12ihipStream_tbEUlT_E1_NS1_11comp_targetILNS1_3genE0ELNS1_11target_archE4294967295ELNS1_3gpuE0ELNS1_3repE0EEENS1_30default_config_static_selectorELNS0_4arch9wavefront6targetE1EEEvSK_
		.amdhsa_group_segment_fixed_size 0
		.amdhsa_private_segment_fixed_size 0
		.amdhsa_kernarg_size 56
		.amdhsa_user_sgpr_count 6
		.amdhsa_user_sgpr_private_segment_buffer 1
		.amdhsa_user_sgpr_dispatch_ptr 0
		.amdhsa_user_sgpr_queue_ptr 0
		.amdhsa_user_sgpr_kernarg_segment_ptr 1
		.amdhsa_user_sgpr_dispatch_id 0
		.amdhsa_user_sgpr_flat_scratch_init 0
		.amdhsa_user_sgpr_kernarg_preload_length 0
		.amdhsa_user_sgpr_kernarg_preload_offset 0
		.amdhsa_user_sgpr_private_segment_size 0
		.amdhsa_uses_dynamic_stack 0
		.amdhsa_system_sgpr_private_segment_wavefront_offset 0
		.amdhsa_system_sgpr_workgroup_id_x 1
		.amdhsa_system_sgpr_workgroup_id_y 0
		.amdhsa_system_sgpr_workgroup_id_z 0
		.amdhsa_system_sgpr_workgroup_info 0
		.amdhsa_system_vgpr_workitem_id 0
		.amdhsa_next_free_vgpr 1
		.amdhsa_next_free_sgpr 0
		.amdhsa_accum_offset 4
		.amdhsa_reserve_vcc 0
		.amdhsa_reserve_flat_scratch 0
		.amdhsa_float_round_mode_32 0
		.amdhsa_float_round_mode_16_64 0
		.amdhsa_float_denorm_mode_32 3
		.amdhsa_float_denorm_mode_16_64 3
		.amdhsa_dx10_clamp 1
		.amdhsa_ieee_mode 1
		.amdhsa_fp16_overflow 0
		.amdhsa_tg_split 0
		.amdhsa_exception_fp_ieee_invalid_op 0
		.amdhsa_exception_fp_denorm_src 0
		.amdhsa_exception_fp_ieee_div_zero 0
		.amdhsa_exception_fp_ieee_overflow 0
		.amdhsa_exception_fp_ieee_underflow 0
		.amdhsa_exception_fp_ieee_inexact 0
		.amdhsa_exception_int_div_zero 0
	.end_amdhsa_kernel
	.section	.text._ZN7rocprim17ROCPRIM_400000_NS6detail17trampoline_kernelINS0_14default_configENS1_22reduce_config_selectorIN6thrust23THRUST_200600_302600_NS5tupleIblNS6_9null_typeES8_S8_S8_S8_S8_S8_S8_EEEEZNS1_11reduce_implILb1ES3_PS9_SC_S9_NS6_11hip_rocprim9__find_if7functorIS9_EEEE10hipError_tPvRmT1_T2_T3_mT4_P12ihipStream_tbEUlT_E1_NS1_11comp_targetILNS1_3genE0ELNS1_11target_archE4294967295ELNS1_3gpuE0ELNS1_3repE0EEENS1_30default_config_static_selectorELNS0_4arch9wavefront6targetE1EEEvSK_,"axG",@progbits,_ZN7rocprim17ROCPRIM_400000_NS6detail17trampoline_kernelINS0_14default_configENS1_22reduce_config_selectorIN6thrust23THRUST_200600_302600_NS5tupleIblNS6_9null_typeES8_S8_S8_S8_S8_S8_S8_EEEEZNS1_11reduce_implILb1ES3_PS9_SC_S9_NS6_11hip_rocprim9__find_if7functorIS9_EEEE10hipError_tPvRmT1_T2_T3_mT4_P12ihipStream_tbEUlT_E1_NS1_11comp_targetILNS1_3genE0ELNS1_11target_archE4294967295ELNS1_3gpuE0ELNS1_3repE0EEENS1_30default_config_static_selectorELNS0_4arch9wavefront6targetE1EEEvSK_,comdat
.Lfunc_end57:
	.size	_ZN7rocprim17ROCPRIM_400000_NS6detail17trampoline_kernelINS0_14default_configENS1_22reduce_config_selectorIN6thrust23THRUST_200600_302600_NS5tupleIblNS6_9null_typeES8_S8_S8_S8_S8_S8_S8_EEEEZNS1_11reduce_implILb1ES3_PS9_SC_S9_NS6_11hip_rocprim9__find_if7functorIS9_EEEE10hipError_tPvRmT1_T2_T3_mT4_P12ihipStream_tbEUlT_E1_NS1_11comp_targetILNS1_3genE0ELNS1_11target_archE4294967295ELNS1_3gpuE0ELNS1_3repE0EEENS1_30default_config_static_selectorELNS0_4arch9wavefront6targetE1EEEvSK_, .Lfunc_end57-_ZN7rocprim17ROCPRIM_400000_NS6detail17trampoline_kernelINS0_14default_configENS1_22reduce_config_selectorIN6thrust23THRUST_200600_302600_NS5tupleIblNS6_9null_typeES8_S8_S8_S8_S8_S8_S8_EEEEZNS1_11reduce_implILb1ES3_PS9_SC_S9_NS6_11hip_rocprim9__find_if7functorIS9_EEEE10hipError_tPvRmT1_T2_T3_mT4_P12ihipStream_tbEUlT_E1_NS1_11comp_targetILNS1_3genE0ELNS1_11target_archE4294967295ELNS1_3gpuE0ELNS1_3repE0EEENS1_30default_config_static_selectorELNS0_4arch9wavefront6targetE1EEEvSK_
                                        ; -- End function
	.section	.AMDGPU.csdata,"",@progbits
; Kernel info:
; codeLenInByte = 0
; NumSgprs: 4
; NumVgprs: 0
; NumAgprs: 0
; TotalNumVgprs: 0
; ScratchSize: 0
; MemoryBound: 0
; FloatMode: 240
; IeeeMode: 1
; LDSByteSize: 0 bytes/workgroup (compile time only)
; SGPRBlocks: 0
; VGPRBlocks: 0
; NumSGPRsForWavesPerEU: 4
; NumVGPRsForWavesPerEU: 1
; AccumOffset: 4
; Occupancy: 8
; WaveLimiterHint : 0
; COMPUTE_PGM_RSRC2:SCRATCH_EN: 0
; COMPUTE_PGM_RSRC2:USER_SGPR: 6
; COMPUTE_PGM_RSRC2:TRAP_HANDLER: 0
; COMPUTE_PGM_RSRC2:TGID_X_EN: 1
; COMPUTE_PGM_RSRC2:TGID_Y_EN: 0
; COMPUTE_PGM_RSRC2:TGID_Z_EN: 0
; COMPUTE_PGM_RSRC2:TIDIG_COMP_CNT: 0
; COMPUTE_PGM_RSRC3_GFX90A:ACCUM_OFFSET: 0
; COMPUTE_PGM_RSRC3_GFX90A:TG_SPLIT: 0
	.section	.text._ZN7rocprim17ROCPRIM_400000_NS6detail17trampoline_kernelINS0_14default_configENS1_22reduce_config_selectorIN6thrust23THRUST_200600_302600_NS5tupleIblNS6_9null_typeES8_S8_S8_S8_S8_S8_S8_EEEEZNS1_11reduce_implILb1ES3_PS9_SC_S9_NS6_11hip_rocprim9__find_if7functorIS9_EEEE10hipError_tPvRmT1_T2_T3_mT4_P12ihipStream_tbEUlT_E1_NS1_11comp_targetILNS1_3genE5ELNS1_11target_archE942ELNS1_3gpuE9ELNS1_3repE0EEENS1_30default_config_static_selectorELNS0_4arch9wavefront6targetE1EEEvSK_,"axG",@progbits,_ZN7rocprim17ROCPRIM_400000_NS6detail17trampoline_kernelINS0_14default_configENS1_22reduce_config_selectorIN6thrust23THRUST_200600_302600_NS5tupleIblNS6_9null_typeES8_S8_S8_S8_S8_S8_S8_EEEEZNS1_11reduce_implILb1ES3_PS9_SC_S9_NS6_11hip_rocprim9__find_if7functorIS9_EEEE10hipError_tPvRmT1_T2_T3_mT4_P12ihipStream_tbEUlT_E1_NS1_11comp_targetILNS1_3genE5ELNS1_11target_archE942ELNS1_3gpuE9ELNS1_3repE0EEENS1_30default_config_static_selectorELNS0_4arch9wavefront6targetE1EEEvSK_,comdat
	.protected	_ZN7rocprim17ROCPRIM_400000_NS6detail17trampoline_kernelINS0_14default_configENS1_22reduce_config_selectorIN6thrust23THRUST_200600_302600_NS5tupleIblNS6_9null_typeES8_S8_S8_S8_S8_S8_S8_EEEEZNS1_11reduce_implILb1ES3_PS9_SC_S9_NS6_11hip_rocprim9__find_if7functorIS9_EEEE10hipError_tPvRmT1_T2_T3_mT4_P12ihipStream_tbEUlT_E1_NS1_11comp_targetILNS1_3genE5ELNS1_11target_archE942ELNS1_3gpuE9ELNS1_3repE0EEENS1_30default_config_static_selectorELNS0_4arch9wavefront6targetE1EEEvSK_ ; -- Begin function _ZN7rocprim17ROCPRIM_400000_NS6detail17trampoline_kernelINS0_14default_configENS1_22reduce_config_selectorIN6thrust23THRUST_200600_302600_NS5tupleIblNS6_9null_typeES8_S8_S8_S8_S8_S8_S8_EEEEZNS1_11reduce_implILb1ES3_PS9_SC_S9_NS6_11hip_rocprim9__find_if7functorIS9_EEEE10hipError_tPvRmT1_T2_T3_mT4_P12ihipStream_tbEUlT_E1_NS1_11comp_targetILNS1_3genE5ELNS1_11target_archE942ELNS1_3gpuE9ELNS1_3repE0EEENS1_30default_config_static_selectorELNS0_4arch9wavefront6targetE1EEEvSK_
	.globl	_ZN7rocprim17ROCPRIM_400000_NS6detail17trampoline_kernelINS0_14default_configENS1_22reduce_config_selectorIN6thrust23THRUST_200600_302600_NS5tupleIblNS6_9null_typeES8_S8_S8_S8_S8_S8_S8_EEEEZNS1_11reduce_implILb1ES3_PS9_SC_S9_NS6_11hip_rocprim9__find_if7functorIS9_EEEE10hipError_tPvRmT1_T2_T3_mT4_P12ihipStream_tbEUlT_E1_NS1_11comp_targetILNS1_3genE5ELNS1_11target_archE942ELNS1_3gpuE9ELNS1_3repE0EEENS1_30default_config_static_selectorELNS0_4arch9wavefront6targetE1EEEvSK_
	.p2align	8
	.type	_ZN7rocprim17ROCPRIM_400000_NS6detail17trampoline_kernelINS0_14default_configENS1_22reduce_config_selectorIN6thrust23THRUST_200600_302600_NS5tupleIblNS6_9null_typeES8_S8_S8_S8_S8_S8_S8_EEEEZNS1_11reduce_implILb1ES3_PS9_SC_S9_NS6_11hip_rocprim9__find_if7functorIS9_EEEE10hipError_tPvRmT1_T2_T3_mT4_P12ihipStream_tbEUlT_E1_NS1_11comp_targetILNS1_3genE5ELNS1_11target_archE942ELNS1_3gpuE9ELNS1_3repE0EEENS1_30default_config_static_selectorELNS0_4arch9wavefront6targetE1EEEvSK_,@function
_ZN7rocprim17ROCPRIM_400000_NS6detail17trampoline_kernelINS0_14default_configENS1_22reduce_config_selectorIN6thrust23THRUST_200600_302600_NS5tupleIblNS6_9null_typeES8_S8_S8_S8_S8_S8_S8_EEEEZNS1_11reduce_implILb1ES3_PS9_SC_S9_NS6_11hip_rocprim9__find_if7functorIS9_EEEE10hipError_tPvRmT1_T2_T3_mT4_P12ihipStream_tbEUlT_E1_NS1_11comp_targetILNS1_3genE5ELNS1_11target_archE942ELNS1_3gpuE9ELNS1_3repE0EEENS1_30default_config_static_selectorELNS0_4arch9wavefront6targetE1EEEvSK_: ; @_ZN7rocprim17ROCPRIM_400000_NS6detail17trampoline_kernelINS0_14default_configENS1_22reduce_config_selectorIN6thrust23THRUST_200600_302600_NS5tupleIblNS6_9null_typeES8_S8_S8_S8_S8_S8_S8_EEEEZNS1_11reduce_implILb1ES3_PS9_SC_S9_NS6_11hip_rocprim9__find_if7functorIS9_EEEE10hipError_tPvRmT1_T2_T3_mT4_P12ihipStream_tbEUlT_E1_NS1_11comp_targetILNS1_3genE5ELNS1_11target_archE942ELNS1_3gpuE9ELNS1_3repE0EEENS1_30default_config_static_selectorELNS0_4arch9wavefront6targetE1EEEvSK_
; %bb.0:
	.section	.rodata,"a",@progbits
	.p2align	6, 0x0
	.amdhsa_kernel _ZN7rocprim17ROCPRIM_400000_NS6detail17trampoline_kernelINS0_14default_configENS1_22reduce_config_selectorIN6thrust23THRUST_200600_302600_NS5tupleIblNS6_9null_typeES8_S8_S8_S8_S8_S8_S8_EEEEZNS1_11reduce_implILb1ES3_PS9_SC_S9_NS6_11hip_rocprim9__find_if7functorIS9_EEEE10hipError_tPvRmT1_T2_T3_mT4_P12ihipStream_tbEUlT_E1_NS1_11comp_targetILNS1_3genE5ELNS1_11target_archE942ELNS1_3gpuE9ELNS1_3repE0EEENS1_30default_config_static_selectorELNS0_4arch9wavefront6targetE1EEEvSK_
		.amdhsa_group_segment_fixed_size 0
		.amdhsa_private_segment_fixed_size 0
		.amdhsa_kernarg_size 56
		.amdhsa_user_sgpr_count 6
		.amdhsa_user_sgpr_private_segment_buffer 1
		.amdhsa_user_sgpr_dispatch_ptr 0
		.amdhsa_user_sgpr_queue_ptr 0
		.amdhsa_user_sgpr_kernarg_segment_ptr 1
		.amdhsa_user_sgpr_dispatch_id 0
		.amdhsa_user_sgpr_flat_scratch_init 0
		.amdhsa_user_sgpr_kernarg_preload_length 0
		.amdhsa_user_sgpr_kernarg_preload_offset 0
		.amdhsa_user_sgpr_private_segment_size 0
		.amdhsa_uses_dynamic_stack 0
		.amdhsa_system_sgpr_private_segment_wavefront_offset 0
		.amdhsa_system_sgpr_workgroup_id_x 1
		.amdhsa_system_sgpr_workgroup_id_y 0
		.amdhsa_system_sgpr_workgroup_id_z 0
		.amdhsa_system_sgpr_workgroup_info 0
		.amdhsa_system_vgpr_workitem_id 0
		.amdhsa_next_free_vgpr 1
		.amdhsa_next_free_sgpr 0
		.amdhsa_accum_offset 4
		.amdhsa_reserve_vcc 0
		.amdhsa_reserve_flat_scratch 0
		.amdhsa_float_round_mode_32 0
		.amdhsa_float_round_mode_16_64 0
		.amdhsa_float_denorm_mode_32 3
		.amdhsa_float_denorm_mode_16_64 3
		.amdhsa_dx10_clamp 1
		.amdhsa_ieee_mode 1
		.amdhsa_fp16_overflow 0
		.amdhsa_tg_split 0
		.amdhsa_exception_fp_ieee_invalid_op 0
		.amdhsa_exception_fp_denorm_src 0
		.amdhsa_exception_fp_ieee_div_zero 0
		.amdhsa_exception_fp_ieee_overflow 0
		.amdhsa_exception_fp_ieee_underflow 0
		.amdhsa_exception_fp_ieee_inexact 0
		.amdhsa_exception_int_div_zero 0
	.end_amdhsa_kernel
	.section	.text._ZN7rocprim17ROCPRIM_400000_NS6detail17trampoline_kernelINS0_14default_configENS1_22reduce_config_selectorIN6thrust23THRUST_200600_302600_NS5tupleIblNS6_9null_typeES8_S8_S8_S8_S8_S8_S8_EEEEZNS1_11reduce_implILb1ES3_PS9_SC_S9_NS6_11hip_rocprim9__find_if7functorIS9_EEEE10hipError_tPvRmT1_T2_T3_mT4_P12ihipStream_tbEUlT_E1_NS1_11comp_targetILNS1_3genE5ELNS1_11target_archE942ELNS1_3gpuE9ELNS1_3repE0EEENS1_30default_config_static_selectorELNS0_4arch9wavefront6targetE1EEEvSK_,"axG",@progbits,_ZN7rocprim17ROCPRIM_400000_NS6detail17trampoline_kernelINS0_14default_configENS1_22reduce_config_selectorIN6thrust23THRUST_200600_302600_NS5tupleIblNS6_9null_typeES8_S8_S8_S8_S8_S8_S8_EEEEZNS1_11reduce_implILb1ES3_PS9_SC_S9_NS6_11hip_rocprim9__find_if7functorIS9_EEEE10hipError_tPvRmT1_T2_T3_mT4_P12ihipStream_tbEUlT_E1_NS1_11comp_targetILNS1_3genE5ELNS1_11target_archE942ELNS1_3gpuE9ELNS1_3repE0EEENS1_30default_config_static_selectorELNS0_4arch9wavefront6targetE1EEEvSK_,comdat
.Lfunc_end58:
	.size	_ZN7rocprim17ROCPRIM_400000_NS6detail17trampoline_kernelINS0_14default_configENS1_22reduce_config_selectorIN6thrust23THRUST_200600_302600_NS5tupleIblNS6_9null_typeES8_S8_S8_S8_S8_S8_S8_EEEEZNS1_11reduce_implILb1ES3_PS9_SC_S9_NS6_11hip_rocprim9__find_if7functorIS9_EEEE10hipError_tPvRmT1_T2_T3_mT4_P12ihipStream_tbEUlT_E1_NS1_11comp_targetILNS1_3genE5ELNS1_11target_archE942ELNS1_3gpuE9ELNS1_3repE0EEENS1_30default_config_static_selectorELNS0_4arch9wavefront6targetE1EEEvSK_, .Lfunc_end58-_ZN7rocprim17ROCPRIM_400000_NS6detail17trampoline_kernelINS0_14default_configENS1_22reduce_config_selectorIN6thrust23THRUST_200600_302600_NS5tupleIblNS6_9null_typeES8_S8_S8_S8_S8_S8_S8_EEEEZNS1_11reduce_implILb1ES3_PS9_SC_S9_NS6_11hip_rocprim9__find_if7functorIS9_EEEE10hipError_tPvRmT1_T2_T3_mT4_P12ihipStream_tbEUlT_E1_NS1_11comp_targetILNS1_3genE5ELNS1_11target_archE942ELNS1_3gpuE9ELNS1_3repE0EEENS1_30default_config_static_selectorELNS0_4arch9wavefront6targetE1EEEvSK_
                                        ; -- End function
	.section	.AMDGPU.csdata,"",@progbits
; Kernel info:
; codeLenInByte = 0
; NumSgprs: 4
; NumVgprs: 0
; NumAgprs: 0
; TotalNumVgprs: 0
; ScratchSize: 0
; MemoryBound: 0
; FloatMode: 240
; IeeeMode: 1
; LDSByteSize: 0 bytes/workgroup (compile time only)
; SGPRBlocks: 0
; VGPRBlocks: 0
; NumSGPRsForWavesPerEU: 4
; NumVGPRsForWavesPerEU: 1
; AccumOffset: 4
; Occupancy: 8
; WaveLimiterHint : 0
; COMPUTE_PGM_RSRC2:SCRATCH_EN: 0
; COMPUTE_PGM_RSRC2:USER_SGPR: 6
; COMPUTE_PGM_RSRC2:TRAP_HANDLER: 0
; COMPUTE_PGM_RSRC2:TGID_X_EN: 1
; COMPUTE_PGM_RSRC2:TGID_Y_EN: 0
; COMPUTE_PGM_RSRC2:TGID_Z_EN: 0
; COMPUTE_PGM_RSRC2:TIDIG_COMP_CNT: 0
; COMPUTE_PGM_RSRC3_GFX90A:ACCUM_OFFSET: 0
; COMPUTE_PGM_RSRC3_GFX90A:TG_SPLIT: 0
	.section	.text._ZN7rocprim17ROCPRIM_400000_NS6detail17trampoline_kernelINS0_14default_configENS1_22reduce_config_selectorIN6thrust23THRUST_200600_302600_NS5tupleIblNS6_9null_typeES8_S8_S8_S8_S8_S8_S8_EEEEZNS1_11reduce_implILb1ES3_PS9_SC_S9_NS6_11hip_rocprim9__find_if7functorIS9_EEEE10hipError_tPvRmT1_T2_T3_mT4_P12ihipStream_tbEUlT_E1_NS1_11comp_targetILNS1_3genE4ELNS1_11target_archE910ELNS1_3gpuE8ELNS1_3repE0EEENS1_30default_config_static_selectorELNS0_4arch9wavefront6targetE1EEEvSK_,"axG",@progbits,_ZN7rocprim17ROCPRIM_400000_NS6detail17trampoline_kernelINS0_14default_configENS1_22reduce_config_selectorIN6thrust23THRUST_200600_302600_NS5tupleIblNS6_9null_typeES8_S8_S8_S8_S8_S8_S8_EEEEZNS1_11reduce_implILb1ES3_PS9_SC_S9_NS6_11hip_rocprim9__find_if7functorIS9_EEEE10hipError_tPvRmT1_T2_T3_mT4_P12ihipStream_tbEUlT_E1_NS1_11comp_targetILNS1_3genE4ELNS1_11target_archE910ELNS1_3gpuE8ELNS1_3repE0EEENS1_30default_config_static_selectorELNS0_4arch9wavefront6targetE1EEEvSK_,comdat
	.protected	_ZN7rocprim17ROCPRIM_400000_NS6detail17trampoline_kernelINS0_14default_configENS1_22reduce_config_selectorIN6thrust23THRUST_200600_302600_NS5tupleIblNS6_9null_typeES8_S8_S8_S8_S8_S8_S8_EEEEZNS1_11reduce_implILb1ES3_PS9_SC_S9_NS6_11hip_rocprim9__find_if7functorIS9_EEEE10hipError_tPvRmT1_T2_T3_mT4_P12ihipStream_tbEUlT_E1_NS1_11comp_targetILNS1_3genE4ELNS1_11target_archE910ELNS1_3gpuE8ELNS1_3repE0EEENS1_30default_config_static_selectorELNS0_4arch9wavefront6targetE1EEEvSK_ ; -- Begin function _ZN7rocprim17ROCPRIM_400000_NS6detail17trampoline_kernelINS0_14default_configENS1_22reduce_config_selectorIN6thrust23THRUST_200600_302600_NS5tupleIblNS6_9null_typeES8_S8_S8_S8_S8_S8_S8_EEEEZNS1_11reduce_implILb1ES3_PS9_SC_S9_NS6_11hip_rocprim9__find_if7functorIS9_EEEE10hipError_tPvRmT1_T2_T3_mT4_P12ihipStream_tbEUlT_E1_NS1_11comp_targetILNS1_3genE4ELNS1_11target_archE910ELNS1_3gpuE8ELNS1_3repE0EEENS1_30default_config_static_selectorELNS0_4arch9wavefront6targetE1EEEvSK_
	.globl	_ZN7rocprim17ROCPRIM_400000_NS6detail17trampoline_kernelINS0_14default_configENS1_22reduce_config_selectorIN6thrust23THRUST_200600_302600_NS5tupleIblNS6_9null_typeES8_S8_S8_S8_S8_S8_S8_EEEEZNS1_11reduce_implILb1ES3_PS9_SC_S9_NS6_11hip_rocprim9__find_if7functorIS9_EEEE10hipError_tPvRmT1_T2_T3_mT4_P12ihipStream_tbEUlT_E1_NS1_11comp_targetILNS1_3genE4ELNS1_11target_archE910ELNS1_3gpuE8ELNS1_3repE0EEENS1_30default_config_static_selectorELNS0_4arch9wavefront6targetE1EEEvSK_
	.p2align	8
	.type	_ZN7rocprim17ROCPRIM_400000_NS6detail17trampoline_kernelINS0_14default_configENS1_22reduce_config_selectorIN6thrust23THRUST_200600_302600_NS5tupleIblNS6_9null_typeES8_S8_S8_S8_S8_S8_S8_EEEEZNS1_11reduce_implILb1ES3_PS9_SC_S9_NS6_11hip_rocprim9__find_if7functorIS9_EEEE10hipError_tPvRmT1_T2_T3_mT4_P12ihipStream_tbEUlT_E1_NS1_11comp_targetILNS1_3genE4ELNS1_11target_archE910ELNS1_3gpuE8ELNS1_3repE0EEENS1_30default_config_static_selectorELNS0_4arch9wavefront6targetE1EEEvSK_,@function
_ZN7rocprim17ROCPRIM_400000_NS6detail17trampoline_kernelINS0_14default_configENS1_22reduce_config_selectorIN6thrust23THRUST_200600_302600_NS5tupleIblNS6_9null_typeES8_S8_S8_S8_S8_S8_S8_EEEEZNS1_11reduce_implILb1ES3_PS9_SC_S9_NS6_11hip_rocprim9__find_if7functorIS9_EEEE10hipError_tPvRmT1_T2_T3_mT4_P12ihipStream_tbEUlT_E1_NS1_11comp_targetILNS1_3genE4ELNS1_11target_archE910ELNS1_3gpuE8ELNS1_3repE0EEENS1_30default_config_static_selectorELNS0_4arch9wavefront6targetE1EEEvSK_: ; @_ZN7rocprim17ROCPRIM_400000_NS6detail17trampoline_kernelINS0_14default_configENS1_22reduce_config_selectorIN6thrust23THRUST_200600_302600_NS5tupleIblNS6_9null_typeES8_S8_S8_S8_S8_S8_S8_EEEEZNS1_11reduce_implILb1ES3_PS9_SC_S9_NS6_11hip_rocprim9__find_if7functorIS9_EEEE10hipError_tPvRmT1_T2_T3_mT4_P12ihipStream_tbEUlT_E1_NS1_11comp_targetILNS1_3genE4ELNS1_11target_archE910ELNS1_3gpuE8ELNS1_3repE0EEENS1_30default_config_static_selectorELNS0_4arch9wavefront6targetE1EEEvSK_
; %bb.0:
	s_load_dword s29, s[4:5], 0x4
	s_load_dwordx4 s[20:23], s[4:5], 0x8
	s_load_dword s28, s[4:5], 0x20
	s_load_dwordx2 s[18:19], s[4:5], 0x28
	s_waitcnt lgkmcnt(0)
	s_cmp_lt_i32 s29, 4
	s_cbranch_scc1 .LBB59_23
; %bb.1:
	s_cmp_gt_i32 s29, 7
	s_cbranch_scc0 .LBB59_24
; %bb.2:
	s_cmp_eq_u32 s29, 8
	s_mov_b64 s[24:25], 0
	s_cbranch_scc0 .LBB59_25
; %bb.3:
	s_mov_b32 s7, 0
	s_lshl_b32 s2, s6, 11
	s_mov_b32 s3, s7
	s_lshr_b64 s[0:1], s[22:23], 11
	s_lshl_b64 s[8:9], s[2:3], 4
	s_add_u32 s16, s20, s8
	s_addc_u32 s17, s21, s9
	s_cmp_lg_u64 s[0:1], s[6:7]
	s_cbranch_scc0 .LBB59_48
; %bb.4:
	v_lshlrev_b32_e32 v1, 4, v0
	v_mov_b32_e32 v2, s17
	v_add_co_u32_e32 v14, vcc, s16, v1
	v_addc_co_u32_e32 v15, vcc, 0, v2, vcc
	v_add_co_u32_e32 v2, vcc, 0x1000, v14
	v_addc_co_u32_e32 v3, vcc, 0, v15, vcc
	;; [unrolled: 2-line block ×3, first 2 shown]
	global_load_ubyte v24, v1, s[16:17]
	global_load_ubyte v23, v[2:3], off
	global_load_dwordx2 v[12:13], v[2:3], off offset:8
	global_load_ubyte v22, v[4:5], off
	v_add_co_u32_e32 v2, vcc, 0x3000, v14
	v_addc_co_u32_e32 v3, vcc, 0, v15, vcc
	v_add_co_u32_e32 v26, vcc, 0x4000, v14
	v_addc_co_u32_e32 v27, vcc, 0, v15, vcc
	global_load_dwordx2 v[16:17], v[4:5], off offset:8
	global_load_ubyte v21, v[2:3], off
	global_load_dwordx2 v[8:9], v[2:3], off offset:8
	global_load_ubyte v20, v[26:27], off
	v_add_co_u32_e32 v2, vcc, 0x5000, v14
	v_addc_co_u32_e32 v3, vcc, 0, v15, vcc
	v_add_co_u32_e32 v28, vcc, 0x6000, v14
	v_addc_co_u32_e32 v29, vcc, 0, v15, vcc
	global_load_dwordx2 v[10:11], v[26:27], off offset:8
	global_load_ubyte v19, v[2:3], off
	global_load_dwordx2 v[6:7], v[2:3], off offset:8
	global_load_ubyte v18, v[28:29], off
	v_add_co_u32_e32 v26, vcc, 0x7000, v14
	v_addc_co_u32_e32 v27, vcc, 0, v15, vcc
	global_load_dwordx2 v[4:5], v[28:29], off offset:8
	global_load_ubyte v1, v[26:27], off
	global_load_dwordx2 v[2:3], v[26:27], off offset:8
	s_waitcnt vmcnt(14)
	v_and_b32_e32 v25, 1, v24
	v_cmp_eq_u32_e32 vcc, 1, v25
	s_and_saveexec_b64 s[8:9], vcc
	s_cbranch_execz .LBB59_6
; %bb.5:
	global_load_dwordx2 v[14:15], v[14:15], off offset:8
	s_waitcnt vmcnt(14)
	v_and_b32_e32 v23, 1, v23
	v_cmp_eq_u32_e32 vcc, 1, v23
	v_cndmask_b32_e64 v23, v24, 1, vcc
	s_waitcnt vmcnt(0)
	v_cmp_lt_i64_e64 s[0:1], v[12:13], v[14:15]
	v_cndmask_b32_e64 v13, v15, v13, s[0:1]
	v_cndmask_b32_e32 v13, v15, v13, vcc
	s_and_b64 vcc, vcc, s[0:1]
	v_cndmask_b32_e32 v12, v14, v12, vcc
.LBB59_6:
	s_or_b64 exec, exec, s[8:9]
	s_waitcnt vmcnt(11)
	v_and_b32_e32 v15, 1, v22
	s_waitcnt vmcnt(10)
	v_cmp_lt_i64_e32 vcc, v[16:17], v[12:13]
	v_cmp_eq_u32_e64 s[0:1], 1, v15
	v_and_b32_e32 v14, 1, v23
	s_and_b64 vcc, s[0:1], vcc
	v_cndmask_b32_e32 v12, v12, v16, vcc
	v_cndmask_b32_e32 v13, v13, v17, vcc
	v_cmp_eq_u32_e32 vcc, 1, v14
	v_cndmask_b32_e64 v15, v23, 1, s[0:1]
	v_cndmask_b32_e32 v13, v17, v13, vcc
	v_cndmask_b32_e32 v12, v16, v12, vcc
	s_waitcnt vmcnt(9)
	v_and_b32_e32 v16, 1, v21
	v_cndmask_b32_e32 v14, v22, v15, vcc
	s_waitcnt vmcnt(8)
	v_cmp_lt_i64_e32 vcc, v[8:9], v[12:13]
	v_cmp_eq_u32_e64 s[0:1], 1, v16
	v_and_b32_e32 v15, 1, v14
	s_and_b64 vcc, s[0:1], vcc
	v_cndmask_b32_e32 v12, v12, v8, vcc
	v_cndmask_b32_e32 v13, v13, v9, vcc
	v_cmp_eq_u32_e32 vcc, 1, v15
	v_cndmask_b32_e64 v14, v14, 1, s[0:1]
	v_cndmask_b32_e32 v9, v9, v13, vcc
	v_cndmask_b32_e32 v8, v8, v12, vcc
	s_waitcnt vmcnt(7)
	v_and_b32_e32 v13, 1, v20
	v_cndmask_b32_e32 v14, v21, v14, vcc
	;; [unrolled: 14-line block ×5, first 2 shown]
	s_waitcnt vmcnt(0)
	v_cmp_lt_i64_e32 vcc, v[2:3], v[4:5]
	v_cmp_eq_u32_e64 s[0:1], 1, v7
	v_and_b32_e32 v6, 1, v8
	s_and_b64 vcc, s[0:1], vcc
	v_cndmask_b32_e64 v7, v8, 1, s[0:1]
	v_cndmask_b32_e32 v4, v4, v2, vcc
	v_cndmask_b32_e32 v5, v5, v3, vcc
	v_cmp_eq_u32_e32 vcc, 1, v6
	v_cndmask_b32_e32 v7, v1, v7, vcc
	v_and_b32_e32 v1, 0xff, v7
	v_cndmask_b32_e32 v3, v3, v5, vcc
	v_cndmask_b32_e32 v2, v2, v4, vcc
	v_mov_b32_dpp v6, v1 quad_perm:[1,0,3,2] row_mask:0xf bank_mask:0xf bound_ctrl:1
	v_and_b32_e32 v8, 1, v6
	v_and_b32_e32 v7, 1, v7
	v_mov_b32_dpp v4, v2 quad_perm:[1,0,3,2] row_mask:0xf bank_mask:0xf bound_ctrl:1
	v_mov_b32_dpp v5, v3 quad_perm:[1,0,3,2] row_mask:0xf bank_mask:0xf bound_ctrl:1
	v_cmp_eq_u32_e32 vcc, 1, v8
	v_cmp_eq_u32_e64 s[0:1], 1, v7
	s_and_saveexec_b64 s[8:9], vcc
	s_xor_b64 s[8:9], exec, s[8:9]
; %bb.7:
	v_cmp_lt_i64_e32 vcc, v[2:3], v[4:5]
	v_cndmask_b32_e64 v6, v6, 1, s[0:1]
	s_and_b64 vcc, s[0:1], vcc
	v_cndmask_b32_e32 v2, v4, v2, vcc
	v_and_b32_e32 v4, 1, v6
	v_cndmask_b32_e32 v3, v5, v3, vcc
	v_cmp_eq_u32_e32 vcc, 1, v4
	s_andn2_b64 s[0:1], s[0:1], exec
	s_and_b64 s[10:11], vcc, exec
	v_and_b32_e32 v1, 0xff, v6
	s_or_b64 s[0:1], s[0:1], s[10:11]
; %bb.8:
	s_or_b64 exec, exec, s[8:9]
	v_mov_b32_dpp v6, v1 quad_perm:[2,3,0,1] row_mask:0xf bank_mask:0xf bound_ctrl:1
	v_and_b32_e32 v7, 1, v6
	v_mov_b32_dpp v4, v2 quad_perm:[2,3,0,1] row_mask:0xf bank_mask:0xf bound_ctrl:1
	v_mov_b32_dpp v5, v3 quad_perm:[2,3,0,1] row_mask:0xf bank_mask:0xf bound_ctrl:1
	v_cmp_eq_u32_e32 vcc, 1, v7
	s_and_saveexec_b64 s[8:9], vcc
; %bb.9:
	v_cmp_lt_i64_e32 vcc, v[2:3], v[4:5]
	v_cndmask_b32_e64 v6, v6, 1, s[0:1]
	s_and_b64 vcc, s[0:1], vcc
	v_cndmask_b32_e32 v2, v4, v2, vcc
	v_and_b32_e32 v4, 1, v6
	v_cndmask_b32_e32 v3, v5, v3, vcc
	v_cmp_eq_u32_e32 vcc, 1, v4
	s_andn2_b64 s[0:1], s[0:1], exec
	s_and_b64 s[10:11], vcc, exec
	v_and_b32_e32 v1, 0xff, v6
	s_or_b64 s[0:1], s[0:1], s[10:11]
; %bb.10:
	s_or_b64 exec, exec, s[8:9]
	v_mov_b32_dpp v6, v1 row_ror:4 row_mask:0xf bank_mask:0xf bound_ctrl:1
	v_and_b32_e32 v7, 1, v6
	v_mov_b32_dpp v4, v2 row_ror:4 row_mask:0xf bank_mask:0xf bound_ctrl:1
	v_mov_b32_dpp v5, v3 row_ror:4 row_mask:0xf bank_mask:0xf bound_ctrl:1
	v_cmp_eq_u32_e32 vcc, 1, v7
	s_and_saveexec_b64 s[8:9], vcc
; %bb.11:
	v_cmp_lt_i64_e32 vcc, v[2:3], v[4:5]
	v_cndmask_b32_e64 v6, v6, 1, s[0:1]
	s_and_b64 vcc, s[0:1], vcc
	v_cndmask_b32_e32 v2, v4, v2, vcc
	v_and_b32_e32 v4, 1, v6
	v_cndmask_b32_e32 v3, v5, v3, vcc
	v_cmp_eq_u32_e32 vcc, 1, v4
	s_andn2_b64 s[0:1], s[0:1], exec
	s_and_b64 s[10:11], vcc, exec
	v_and_b32_e32 v1, 0xff, v6
	s_or_b64 s[0:1], s[0:1], s[10:11]
; %bb.12:
	s_or_b64 exec, exec, s[8:9]
	v_mov_b32_dpp v6, v1 row_ror:8 row_mask:0xf bank_mask:0xf bound_ctrl:1
	v_and_b32_e32 v7, 1, v6
	v_mov_b32_dpp v4, v2 row_ror:8 row_mask:0xf bank_mask:0xf bound_ctrl:1
	v_mov_b32_dpp v5, v3 row_ror:8 row_mask:0xf bank_mask:0xf bound_ctrl:1
	v_cmp_eq_u32_e32 vcc, 1, v7
	s_and_saveexec_b64 s[8:9], vcc
; %bb.13:
	v_cmp_lt_i64_e32 vcc, v[2:3], v[4:5]
	v_cndmask_b32_e64 v6, v6, 1, s[0:1]
	s_and_b64 vcc, s[0:1], vcc
	v_cndmask_b32_e32 v2, v4, v2, vcc
	v_and_b32_e32 v4, 1, v6
	v_cndmask_b32_e32 v3, v5, v3, vcc
	v_cmp_eq_u32_e32 vcc, 1, v4
	s_andn2_b64 s[0:1], s[0:1], exec
	s_and_b64 s[10:11], vcc, exec
	v_and_b32_e32 v1, 0xff, v6
	s_or_b64 s[0:1], s[0:1], s[10:11]
; %bb.14:
	s_or_b64 exec, exec, s[8:9]
	v_mov_b32_dpp v6, v1 row_bcast:15 row_mask:0xf bank_mask:0xf bound_ctrl:1
	v_and_b32_e32 v7, 1, v6
	v_mov_b32_dpp v4, v2 row_bcast:15 row_mask:0xf bank_mask:0xf bound_ctrl:1
	v_mov_b32_dpp v5, v3 row_bcast:15 row_mask:0xf bank_mask:0xf bound_ctrl:1
	v_cmp_eq_u32_e32 vcc, 1, v7
	s_and_saveexec_b64 s[8:9], vcc
; %bb.15:
	v_cmp_lt_i64_e32 vcc, v[2:3], v[4:5]
	v_cndmask_b32_e64 v6, v6, 1, s[0:1]
	s_and_b64 vcc, s[0:1], vcc
	v_cndmask_b32_e32 v2, v4, v2, vcc
	v_and_b32_e32 v4, 1, v6
	v_cndmask_b32_e32 v3, v5, v3, vcc
	v_cmp_eq_u32_e32 vcc, 1, v4
	s_andn2_b64 s[0:1], s[0:1], exec
	s_and_b64 s[10:11], vcc, exec
	v_and_b32_e32 v1, 0xff, v6
	s_or_b64 s[0:1], s[0:1], s[10:11]
; %bb.16:
	s_or_b64 exec, exec, s[8:9]
	v_mov_b32_dpp v6, v1 row_bcast:31 row_mask:0xf bank_mask:0xf bound_ctrl:1
	v_and_b32_e32 v7, 1, v6
	v_mov_b32_dpp v4, v2 row_bcast:31 row_mask:0xf bank_mask:0xf bound_ctrl:1
	v_mov_b32_dpp v5, v3 row_bcast:31 row_mask:0xf bank_mask:0xf bound_ctrl:1
	v_cmp_eq_u32_e32 vcc, 1, v7
	s_and_saveexec_b64 s[8:9], vcc
; %bb.17:
	v_cmp_lt_i64_e32 vcc, v[2:3], v[4:5]
	v_and_b32_e32 v1, 0xff, v6
	s_and_b64 vcc, s[0:1], vcc
	v_cndmask_b32_e32 v2, v4, v2, vcc
	v_cndmask_b32_e32 v3, v5, v3, vcc
	v_cndmask_b32_e64 v1, v1, 1, s[0:1]
; %bb.18:
	s_or_b64 exec, exec, s[8:9]
	v_mbcnt_lo_u32_b32 v4, -1, 0
	v_mbcnt_hi_u32_b32 v4, -1, v4
	v_bfrev_b32_e32 v5, 0.5
	v_lshl_or_b32 v5, v4, 2, v5
	ds_bpermute_b32 v6, v5, v1
	ds_bpermute_b32 v2, v5, v2
	;; [unrolled: 1-line block ×3, first 2 shown]
	v_cmp_eq_u32_e32 vcc, 0, v4
	s_and_saveexec_b64 s[0:1], vcc
	s_cbranch_execz .LBB59_20
; %bb.19:
	v_lshrrev_b32_e32 v1, 2, v0
	v_and_b32_e32 v1, 48, v1
	s_waitcnt lgkmcnt(2)
	ds_write_b8 v1, v6 offset:192
	s_waitcnt lgkmcnt(1)
	ds_write_b64 v1, v[2:3] offset:200
.LBB59_20:
	s_or_b64 exec, exec, s[0:1]
	v_cmp_gt_u32_e32 vcc, 64, v0
	s_waitcnt lgkmcnt(0)
	s_barrier
	s_and_saveexec_b64 s[8:9], vcc
	s_cbranch_execz .LBB59_22
; %bb.21:
	v_and_b32_e32 v1, 3, v4
	v_lshlrev_b32_e32 v2, 4, v1
	ds_read_u8 v5, v2 offset:192
	ds_read_b64 v[2:3], v2 offset:200
	v_cmp_ne_u32_e32 vcc, 3, v1
	v_addc_co_u32_e32 v6, vcc, 0, v4, vcc
	s_waitcnt lgkmcnt(1)
	v_and_b32_e32 v7, 0xff, v5
	v_lshlrev_b32_e32 v8, 2, v6
	ds_bpermute_b32 v9, v8, v7
	s_waitcnt lgkmcnt(1)
	ds_bpermute_b32 v6, v8, v2
	ds_bpermute_b32 v7, v8, v3
	v_and_b32_e32 v8, 1, v5
	s_waitcnt lgkmcnt(2)
	v_and_b32_e32 v10, 1, v9
	v_cmp_eq_u32_e64 s[0:1], 1, v10
	s_waitcnt lgkmcnt(0)
	v_cmp_lt_i64_e32 vcc, v[6:7], v[2:3]
	s_and_b64 vcc, s[0:1], vcc
	v_cndmask_b32_e64 v5, v5, 1, s[0:1]
	v_cndmask_b32_e32 v2, v2, v6, vcc
	v_cndmask_b32_e32 v3, v3, v7, vcc
	v_cmp_eq_u32_e32 vcc, 1, v8
	v_cndmask_b32_e32 v8, v9, v5, vcc
	v_cndmask_b32_e32 v3, v7, v3, vcc
	;; [unrolled: 1-line block ×3, first 2 shown]
	v_cmp_gt_u32_e32 vcc, 2, v1
	v_cndmask_b32_e64 v1, 0, 1, vcc
	v_lshlrev_b32_e32 v1, 1, v1
	v_and_b32_e32 v5, 0xff, v8
	v_add_lshl_u32 v1, v1, v4, 2
	ds_bpermute_b32 v6, v1, v5
	ds_bpermute_b32 v4, v1, v2
	;; [unrolled: 1-line block ×3, first 2 shown]
	v_and_b32_e32 v1, 1, v8
	s_waitcnt lgkmcnt(2)
	v_and_b32_e32 v7, 1, v6
	v_cmp_eq_u32_e64 s[0:1], 1, v7
	s_waitcnt lgkmcnt(0)
	v_cmp_lt_i64_e32 vcc, v[4:5], v[2:3]
	s_and_b64 vcc, s[0:1], vcc
	v_cndmask_b32_e64 v7, v8, 1, s[0:1]
	v_cndmask_b32_e32 v2, v2, v4, vcc
	v_cndmask_b32_e32 v3, v3, v5, vcc
	v_cmp_eq_u32_e32 vcc, 1, v1
	v_cndmask_b32_e32 v1, v6, v7, vcc
	v_cndmask_b32_e32 v3, v5, v3, vcc
	;; [unrolled: 1-line block ×3, first 2 shown]
	v_and_b32_e32 v6, 0xff, v1
.LBB59_22:
	s_or_b64 exec, exec, s[8:9]
	s_branch .LBB59_93
.LBB59_23:
	s_mov_b64 s[10:11], 0
                                        ; implicit-def: $vgpr4_vgpr5
                                        ; implicit-def: $vgpr1
	s_cbranch_execnz .LBB59_137
	s_branch .LBB59_214
.LBB59_24:
	s_mov_b64 s[24:25], -1
.LBB59_25:
	s_mov_b64 s[10:11], 0
                                        ; implicit-def: $vgpr4_vgpr5
                                        ; implicit-def: $vgpr1
	s_and_b64 vcc, exec, s[24:25]
	s_cbranch_vccz .LBB59_98
.LBB59_26:
	s_cmp_eq_u32 s29, 4
	s_cbranch_scc0 .LBB59_47
; %bb.27:
	s_mov_b32 s7, 0
	s_lshl_b32 s2, s6, 10
	s_mov_b32 s3, s7
	s_lshr_b64 s[0:1], s[22:23], 10
	s_lshl_b64 s[8:9], s[2:3], 4
	s_add_u32 s8, s20, s8
	s_addc_u32 s9, s21, s9
	s_cmp_lg_u64 s[0:1], s[6:7]
	s_cbranch_scc0 .LBB59_99
; %bb.28:
	s_waitcnt lgkmcnt(2)
	v_lshlrev_b32_e32 v1, 4, v0
	v_mov_b32_e32 v2, s9
	v_add_co_u32_e32 v8, vcc, s8, v1
	v_addc_co_u32_e32 v9, vcc, 0, v2, vcc
	v_add_co_u32_e32 v2, vcc, 0x1000, v8
	v_addc_co_u32_e32 v3, vcc, 0, v9, vcc
	;; [unrolled: 2-line block ×3, first 2 shown]
	v_add_co_u32_e32 v16, vcc, 0x3000, v8
	global_load_ubyte v12, v1, s[8:9]
	global_load_ubyte v11, v[2:3], off
	s_waitcnt lgkmcnt(0)
	global_load_dwordx2 v[4:5], v[2:3], off offset:8
	global_load_ubyte v10, v[14:15], off
	v_addc_co_u32_e32 v17, vcc, 0, v9, vcc
	global_load_dwordx2 v[6:7], v[14:15], off offset:8
	global_load_ubyte v1, v[16:17], off
	global_load_dwordx2 v[2:3], v[16:17], off offset:8
	s_waitcnt vmcnt(6)
	v_and_b32_e32 v13, 1, v12
	v_cmp_eq_u32_e32 vcc, 1, v13
	s_and_saveexec_b64 s[12:13], vcc
	s_cbranch_execz .LBB59_30
; %bb.29:
	global_load_dwordx2 v[8:9], v[8:9], off offset:8
	s_waitcnt vmcnt(6)
	v_and_b32_e32 v11, 1, v11
	v_cmp_eq_u32_e32 vcc, 1, v11
	v_cndmask_b32_e64 v11, v12, 1, vcc
	s_waitcnt vmcnt(0)
	v_cmp_lt_i64_e64 s[0:1], v[4:5], v[8:9]
	v_cndmask_b32_e64 v5, v9, v5, s[0:1]
	v_cndmask_b32_e32 v5, v9, v5, vcc
	s_and_b64 vcc, vcc, s[0:1]
	v_cndmask_b32_e32 v4, v8, v4, vcc
.LBB59_30:
	s_or_b64 exec, exec, s[12:13]
	s_waitcnt vmcnt(3)
	v_and_b32_e32 v9, 1, v10
	s_waitcnt vmcnt(2)
	v_cmp_lt_i64_e32 vcc, v[6:7], v[4:5]
	v_cmp_eq_u32_e64 s[0:1], 1, v9
	v_and_b32_e32 v8, 1, v11
	s_and_b64 vcc, s[0:1], vcc
	v_cndmask_b32_e32 v4, v4, v6, vcc
	v_cndmask_b32_e32 v5, v5, v7, vcc
	v_cmp_eq_u32_e32 vcc, 1, v8
	v_cndmask_b32_e64 v9, v11, 1, s[0:1]
	v_cndmask_b32_e32 v5, v7, v5, vcc
	v_cndmask_b32_e32 v4, v6, v4, vcc
	s_waitcnt vmcnt(1)
	v_and_b32_e32 v7, 1, v1
	v_cndmask_b32_e32 v8, v10, v9, vcc
	s_waitcnt vmcnt(0)
	v_cmp_lt_i64_e32 vcc, v[2:3], v[4:5]
	v_cmp_eq_u32_e64 s[0:1], 1, v7
	v_and_b32_e32 v6, 1, v8
	s_and_b64 vcc, s[0:1], vcc
	v_cndmask_b32_e64 v7, v8, 1, s[0:1]
	v_cndmask_b32_e32 v4, v4, v2, vcc
	v_cndmask_b32_e32 v5, v5, v3, vcc
	v_cmp_eq_u32_e32 vcc, 1, v6
	v_cndmask_b32_e32 v7, v1, v7, vcc
	v_and_b32_e32 v1, 0xff, v7
	v_cndmask_b32_e32 v3, v3, v5, vcc
	v_cndmask_b32_e32 v2, v2, v4, vcc
	v_mov_b32_dpp v6, v1 quad_perm:[1,0,3,2] row_mask:0xf bank_mask:0xf bound_ctrl:1
	v_and_b32_e32 v8, 1, v6
	v_and_b32_e32 v7, 1, v7
	v_mov_b32_dpp v4, v2 quad_perm:[1,0,3,2] row_mask:0xf bank_mask:0xf bound_ctrl:1
	v_mov_b32_dpp v5, v3 quad_perm:[1,0,3,2] row_mask:0xf bank_mask:0xf bound_ctrl:1
	v_cmp_eq_u32_e32 vcc, 1, v8
	v_cmp_eq_u32_e64 s[0:1], 1, v7
	s_and_saveexec_b64 s[12:13], vcc
	s_xor_b64 s[12:13], exec, s[12:13]
; %bb.31:
	v_cmp_lt_i64_e32 vcc, v[2:3], v[4:5]
	v_cndmask_b32_e64 v6, v6, 1, s[0:1]
	s_and_b64 vcc, s[0:1], vcc
	v_cndmask_b32_e32 v2, v4, v2, vcc
	v_and_b32_e32 v4, 1, v6
	v_cndmask_b32_e32 v3, v5, v3, vcc
	v_cmp_eq_u32_e32 vcc, 1, v4
	s_andn2_b64 s[0:1], s[0:1], exec
	s_and_b64 s[14:15], vcc, exec
	v_and_b32_e32 v1, 0xff, v6
	s_or_b64 s[0:1], s[0:1], s[14:15]
; %bb.32:
	s_or_b64 exec, exec, s[12:13]
	v_mov_b32_dpp v6, v1 quad_perm:[2,3,0,1] row_mask:0xf bank_mask:0xf bound_ctrl:1
	v_and_b32_e32 v7, 1, v6
	v_mov_b32_dpp v4, v2 quad_perm:[2,3,0,1] row_mask:0xf bank_mask:0xf bound_ctrl:1
	v_mov_b32_dpp v5, v3 quad_perm:[2,3,0,1] row_mask:0xf bank_mask:0xf bound_ctrl:1
	v_cmp_eq_u32_e32 vcc, 1, v7
	s_and_saveexec_b64 s[12:13], vcc
; %bb.33:
	v_cmp_lt_i64_e32 vcc, v[2:3], v[4:5]
	v_cndmask_b32_e64 v6, v6, 1, s[0:1]
	s_and_b64 vcc, s[0:1], vcc
	v_cndmask_b32_e32 v2, v4, v2, vcc
	v_and_b32_e32 v4, 1, v6
	v_cndmask_b32_e32 v3, v5, v3, vcc
	v_cmp_eq_u32_e32 vcc, 1, v4
	s_andn2_b64 s[0:1], s[0:1], exec
	s_and_b64 s[14:15], vcc, exec
	v_and_b32_e32 v1, 0xff, v6
	s_or_b64 s[0:1], s[0:1], s[14:15]
; %bb.34:
	s_or_b64 exec, exec, s[12:13]
	v_mov_b32_dpp v6, v1 row_ror:4 row_mask:0xf bank_mask:0xf bound_ctrl:1
	v_and_b32_e32 v7, 1, v6
	v_mov_b32_dpp v4, v2 row_ror:4 row_mask:0xf bank_mask:0xf bound_ctrl:1
	v_mov_b32_dpp v5, v3 row_ror:4 row_mask:0xf bank_mask:0xf bound_ctrl:1
	v_cmp_eq_u32_e32 vcc, 1, v7
	s_and_saveexec_b64 s[12:13], vcc
; %bb.35:
	v_cmp_lt_i64_e32 vcc, v[2:3], v[4:5]
	v_cndmask_b32_e64 v6, v6, 1, s[0:1]
	s_and_b64 vcc, s[0:1], vcc
	v_cndmask_b32_e32 v2, v4, v2, vcc
	v_and_b32_e32 v4, 1, v6
	v_cndmask_b32_e32 v3, v5, v3, vcc
	v_cmp_eq_u32_e32 vcc, 1, v4
	s_andn2_b64 s[0:1], s[0:1], exec
	s_and_b64 s[14:15], vcc, exec
	v_and_b32_e32 v1, 0xff, v6
	s_or_b64 s[0:1], s[0:1], s[14:15]
; %bb.36:
	s_or_b64 exec, exec, s[12:13]
	v_mov_b32_dpp v6, v1 row_ror:8 row_mask:0xf bank_mask:0xf bound_ctrl:1
	v_and_b32_e32 v7, 1, v6
	v_mov_b32_dpp v4, v2 row_ror:8 row_mask:0xf bank_mask:0xf bound_ctrl:1
	v_mov_b32_dpp v5, v3 row_ror:8 row_mask:0xf bank_mask:0xf bound_ctrl:1
	v_cmp_eq_u32_e32 vcc, 1, v7
	s_and_saveexec_b64 s[12:13], vcc
; %bb.37:
	v_cmp_lt_i64_e32 vcc, v[2:3], v[4:5]
	v_cndmask_b32_e64 v6, v6, 1, s[0:1]
	s_and_b64 vcc, s[0:1], vcc
	v_cndmask_b32_e32 v2, v4, v2, vcc
	v_and_b32_e32 v4, 1, v6
	v_cndmask_b32_e32 v3, v5, v3, vcc
	v_cmp_eq_u32_e32 vcc, 1, v4
	s_andn2_b64 s[0:1], s[0:1], exec
	s_and_b64 s[14:15], vcc, exec
	v_and_b32_e32 v1, 0xff, v6
	s_or_b64 s[0:1], s[0:1], s[14:15]
; %bb.38:
	s_or_b64 exec, exec, s[12:13]
	v_mov_b32_dpp v6, v1 row_bcast:15 row_mask:0xf bank_mask:0xf bound_ctrl:1
	v_and_b32_e32 v7, 1, v6
	v_mov_b32_dpp v4, v2 row_bcast:15 row_mask:0xf bank_mask:0xf bound_ctrl:1
	v_mov_b32_dpp v5, v3 row_bcast:15 row_mask:0xf bank_mask:0xf bound_ctrl:1
	v_cmp_eq_u32_e32 vcc, 1, v7
	s_and_saveexec_b64 s[12:13], vcc
; %bb.39:
	v_cmp_lt_i64_e32 vcc, v[2:3], v[4:5]
	v_cndmask_b32_e64 v6, v6, 1, s[0:1]
	s_and_b64 vcc, s[0:1], vcc
	v_cndmask_b32_e32 v2, v4, v2, vcc
	v_and_b32_e32 v4, 1, v6
	v_cndmask_b32_e32 v3, v5, v3, vcc
	v_cmp_eq_u32_e32 vcc, 1, v4
	s_andn2_b64 s[0:1], s[0:1], exec
	s_and_b64 s[14:15], vcc, exec
	v_and_b32_e32 v1, 0xff, v6
	s_or_b64 s[0:1], s[0:1], s[14:15]
; %bb.40:
	s_or_b64 exec, exec, s[12:13]
	v_mov_b32_dpp v6, v1 row_bcast:31 row_mask:0xf bank_mask:0xf bound_ctrl:1
	v_and_b32_e32 v7, 1, v6
	v_mov_b32_dpp v4, v2 row_bcast:31 row_mask:0xf bank_mask:0xf bound_ctrl:1
	v_mov_b32_dpp v5, v3 row_bcast:31 row_mask:0xf bank_mask:0xf bound_ctrl:1
	v_cmp_eq_u32_e32 vcc, 1, v7
	s_and_saveexec_b64 s[12:13], vcc
; %bb.41:
	v_cmp_lt_i64_e32 vcc, v[2:3], v[4:5]
	v_and_b32_e32 v1, 0xff, v6
	s_and_b64 vcc, s[0:1], vcc
	v_cndmask_b32_e32 v2, v4, v2, vcc
	v_cndmask_b32_e32 v3, v5, v3, vcc
	v_cndmask_b32_e64 v1, v1, 1, s[0:1]
; %bb.42:
	s_or_b64 exec, exec, s[12:13]
	v_mbcnt_lo_u32_b32 v4, -1, 0
	v_mbcnt_hi_u32_b32 v4, -1, v4
	v_bfrev_b32_e32 v5, 0.5
	v_lshl_or_b32 v5, v4, 2, v5
	ds_bpermute_b32 v6, v5, v1
	ds_bpermute_b32 v2, v5, v2
	;; [unrolled: 1-line block ×3, first 2 shown]
	v_cmp_eq_u32_e32 vcc, 0, v4
	s_and_saveexec_b64 s[0:1], vcc
	s_cbranch_execz .LBB59_44
; %bb.43:
	v_lshrrev_b32_e32 v1, 2, v0
	v_and_b32_e32 v1, 48, v1
	s_waitcnt lgkmcnt(2)
	ds_write_b8 v1, v6 offset:128
	s_waitcnt lgkmcnt(1)
	ds_write_b64 v1, v[2:3] offset:136
.LBB59_44:
	s_or_b64 exec, exec, s[0:1]
	v_cmp_gt_u32_e32 vcc, 64, v0
	s_waitcnt lgkmcnt(0)
	s_barrier
	s_and_saveexec_b64 s[12:13], vcc
	s_cbranch_execz .LBB59_46
; %bb.45:
	v_and_b32_e32 v1, 3, v4
	v_lshlrev_b32_e32 v2, 4, v1
	ds_read_u8 v5, v2 offset:128
	ds_read_b64 v[2:3], v2 offset:136
	v_cmp_ne_u32_e32 vcc, 3, v1
	v_addc_co_u32_e32 v6, vcc, 0, v4, vcc
	s_waitcnt lgkmcnt(1)
	v_and_b32_e32 v7, 0xff, v5
	v_lshlrev_b32_e32 v8, 2, v6
	ds_bpermute_b32 v9, v8, v7
	s_waitcnt lgkmcnt(1)
	ds_bpermute_b32 v6, v8, v2
	ds_bpermute_b32 v7, v8, v3
	v_and_b32_e32 v8, 1, v5
	s_waitcnt lgkmcnt(2)
	v_and_b32_e32 v10, 1, v9
	v_cmp_eq_u32_e64 s[0:1], 1, v10
	s_waitcnt lgkmcnt(0)
	v_cmp_lt_i64_e32 vcc, v[6:7], v[2:3]
	s_and_b64 vcc, s[0:1], vcc
	v_cndmask_b32_e64 v5, v5, 1, s[0:1]
	v_cndmask_b32_e32 v2, v2, v6, vcc
	v_cndmask_b32_e32 v3, v3, v7, vcc
	v_cmp_eq_u32_e32 vcc, 1, v8
	v_cndmask_b32_e32 v8, v9, v5, vcc
	v_cndmask_b32_e32 v3, v7, v3, vcc
	;; [unrolled: 1-line block ×3, first 2 shown]
	v_cmp_gt_u32_e32 vcc, 2, v1
	v_cndmask_b32_e64 v1, 0, 1, vcc
	v_lshlrev_b32_e32 v1, 1, v1
	v_and_b32_e32 v5, 0xff, v8
	v_add_lshl_u32 v1, v1, v4, 2
	ds_bpermute_b32 v6, v1, v5
	ds_bpermute_b32 v4, v1, v2
	;; [unrolled: 1-line block ×3, first 2 shown]
	v_and_b32_e32 v1, 1, v8
	s_waitcnt lgkmcnt(2)
	v_and_b32_e32 v7, 1, v6
	v_cmp_eq_u32_e64 s[0:1], 1, v7
	s_waitcnt lgkmcnt(0)
	v_cmp_lt_i64_e32 vcc, v[4:5], v[2:3]
	s_and_b64 vcc, s[0:1], vcc
	v_cndmask_b32_e64 v7, v8, 1, s[0:1]
	v_cndmask_b32_e32 v2, v2, v4, vcc
	v_cndmask_b32_e32 v3, v3, v5, vcc
	v_cmp_eq_u32_e32 vcc, 1, v1
	v_cndmask_b32_e32 v1, v6, v7, vcc
	v_cndmask_b32_e32 v3, v5, v3, vcc
	;; [unrolled: 1-line block ×3, first 2 shown]
	v_and_b32_e32 v6, 0xff, v1
.LBB59_46:
	s_or_b64 exec, exec, s[12:13]
	s_branch .LBB59_132
.LBB59_47:
                                        ; implicit-def: $vgpr4_vgpr5
                                        ; implicit-def: $vgpr1
	s_branch .LBB59_214
.LBB59_48:
                                        ; implicit-def: $vgpr2_vgpr3
                                        ; implicit-def: $vgpr6
	s_cbranch_execz .LBB59_93
; %bb.49:
	s_sub_i32 s30, s22, s2
	v_pk_mov_b32 v[14:15], 0, 0
	v_cmp_gt_u32_e32 vcc, s30, v0
	v_mov_b32_e32 v23, 0
	v_pk_mov_b32 v[2:3], v[14:15], v[14:15] op_sel:[0,1]
	v_mov_b32_e32 v18, 0
	s_and_saveexec_b64 s[0:1], vcc
	s_cbranch_execz .LBB59_51
; %bb.50:
	v_lshlrev_b32_e32 v1, 4, v0
	global_load_ubyte v18, v1, s[16:17]
	global_load_dwordx2 v[2:3], v1, s[16:17] offset:8
.LBB59_51:
	s_or_b64 exec, exec, s[0:1]
	v_or_b32_e32 v1, 0x100, v0
	v_cmp_gt_u32_e64 s[14:15], s30, v1
	s_and_saveexec_b64 s[0:1], s[14:15]
	s_cbranch_execz .LBB59_53
; %bb.52:
	v_lshlrev_b32_e32 v1, 4, v1
	global_load_ubyte v23, v1, s[16:17]
	global_load_dwordx2 v[14:15], v1, s[16:17] offset:8
.LBB59_53:
	s_or_b64 exec, exec, s[0:1]
	v_or_b32_e32 v1, 0x200, v0
	v_pk_mov_b32 v[10:11], 0, 0
	v_cmp_gt_u32_e64 s[12:13], s30, v1
	v_mov_b32_e32 v21, 0
	v_pk_mov_b32 v[16:17], v[10:11], v[10:11] op_sel:[0,1]
	v_mov_b32_e32 v24, 0
	s_and_saveexec_b64 s[0:1], s[12:13]
	s_cbranch_execz .LBB59_55
; %bb.54:
	v_lshlrev_b32_e32 v1, 4, v1
	global_load_ubyte v24, v1, s[16:17]
	global_load_dwordx2 v[16:17], v1, s[16:17] offset:8
.LBB59_55:
	s_or_b64 exec, exec, s[0:1]
	v_or_b32_e32 v1, 0x300, v0
	v_cmp_gt_u32_e64 s[10:11], s30, v1
	s_and_saveexec_b64 s[0:1], s[10:11]
	s_cbranch_execz .LBB59_57
; %bb.56:
	v_lshlrev_b32_e32 v1, 4, v1
	global_load_ubyte v21, v1, s[16:17]
	global_load_dwordx2 v[10:11], v1, s[16:17] offset:8
.LBB59_57:
	s_or_b64 exec, exec, s[0:1]
	v_or_b32_e32 v1, 0x400, v0
	v_pk_mov_b32 v[6:7], 0, 0
	v_cmp_gt_u32_e64 s[8:9], s30, v1
	v_mov_b32_e32 v19, 0
	v_pk_mov_b32 v[12:13], v[6:7], v[6:7] op_sel:[0,1]
	v_mov_b32_e32 v22, 0
	s_and_saveexec_b64 s[0:1], s[8:9]
	s_cbranch_execz .LBB59_59
; %bb.58:
	v_lshlrev_b32_e32 v1, 4, v1
	global_load_ubyte v22, v1, s[16:17]
	global_load_dwordx2 v[12:13], v1, s[16:17] offset:8
.LBB59_59:
	s_or_b64 exec, exec, s[0:1]
	v_or_b32_e32 v1, 0x500, v0
	v_cmp_gt_u32_e64 s[2:3], s30, v1
	s_and_saveexec_b64 s[0:1], s[2:3]
	s_cbranch_execz .LBB59_61
; %bb.60:
	v_lshlrev_b32_e32 v1, 4, v1
	global_load_ubyte v19, v1, s[16:17]
	global_load_dwordx2 v[6:7], v1, s[16:17] offset:8
.LBB59_61:
	s_or_b64 exec, exec, s[0:1]
	v_or_b32_e32 v25, 0x600, v0
	v_pk_mov_b32 v[4:5], 0, 0
	v_cmp_gt_u32_e64 s[0:1], s30, v25
	v_mov_b32_e32 v1, 0
	v_mov_b32_e32 v20, 0
	v_pk_mov_b32 v[8:9], v[4:5], v[4:5] op_sel:[0,1]
	s_and_saveexec_b64 s[26:27], s[0:1]
	s_cbranch_execz .LBB59_63
; %bb.62:
	v_lshlrev_b32_e32 v25, 4, v25
	global_load_ubyte v20, v25, s[16:17]
	global_load_dwordx2 v[8:9], v25, s[16:17] offset:8
.LBB59_63:
	s_or_b64 exec, exec, s[26:27]
	v_or_b32_e32 v25, 0x700, v0
	v_cmp_gt_u32_e32 vcc, s30, v25
	s_and_saveexec_b64 s[26:27], vcc
	s_cbranch_execnz .LBB59_246
; %bb.64:
	s_or_b64 exec, exec, s[26:27]
	s_and_saveexec_b64 s[26:27], s[14:15]
	s_cbranch_execnz .LBB59_247
.LBB59_65:
	s_or_b64 exec, exec, s[26:27]
	s_and_saveexec_b64 s[16:17], s[12:13]
	s_cbranch_execnz .LBB59_248
.LBB59_66:
	s_or_b64 exec, exec, s[16:17]
	s_and_saveexec_b64 s[14:15], s[10:11]
	s_cbranch_execnz .LBB59_249
.LBB59_67:
	s_or_b64 exec, exec, s[14:15]
	s_and_saveexec_b64 s[12:13], s[8:9]
	s_cbranch_execnz .LBB59_250
.LBB59_68:
	s_or_b64 exec, exec, s[12:13]
	s_and_saveexec_b64 s[10:11], s[2:3]
	s_cbranch_execnz .LBB59_251
.LBB59_69:
	s_or_b64 exec, exec, s[10:11]
	s_and_saveexec_b64 s[8:9], s[0:1]
	s_cbranch_execnz .LBB59_252
.LBB59_70:
	s_or_b64 exec, exec, s[8:9]
	s_and_saveexec_b64 s[2:3], vcc
	s_cbranch_execz .LBB59_72
.LBB59_71:
	s_waitcnt vmcnt(0)
	v_and_b32_e32 v7, 1, v1
	v_cmp_lt_i64_e32 vcc, v[4:5], v[2:3]
	v_cmp_eq_u32_e64 s[0:1], 1, v7
	v_and_b32_e32 v6, 1, v18
	s_and_b64 vcc, s[0:1], vcc
	v_cndmask_b32_e64 v7, v18, 1, s[0:1]
	v_cndmask_b32_e32 v2, v2, v4, vcc
	v_cndmask_b32_e32 v3, v3, v5, vcc
	v_cmp_eq_u32_e32 vcc, 1, v6
	v_cndmask_b32_e32 v18, v1, v7, vcc
	v_cndmask_b32_e32 v3, v5, v3, vcc
	;; [unrolled: 1-line block ×3, first 2 shown]
.LBB59_72:
	s_or_b64 exec, exec, s[2:3]
	s_waitcnt vmcnt(1)
	v_mbcnt_lo_u32_b32 v1, -1, 0
	v_mbcnt_hi_u32_b32 v1, -1, v1
	s_waitcnt vmcnt(0)
	v_and_b32_e32 v7, 63, v1
	v_cmp_ne_u32_e32 vcc, 63, v7
	v_addc_co_u32_e32 v4, vcc, 0, v1, vcc
	v_and_b32_e32 v6, 0xff, v18
	v_lshlrev_b32_e32 v5, 2, v4
	ds_bpermute_b32 v10, v5, v6
	ds_bpermute_b32 v4, v5, v2
	;; [unrolled: 1-line block ×3, first 2 shown]
	s_min_u32 s8, s30, 0x100
	v_and_b32_e32 v8, 0xc0, v0
	v_sub_u32_e64 v9, s8, v8 clamp
	v_add_u32_e32 v8, 1, v7
	v_cmp_lt_u32_e32 vcc, v8, v9
	v_mov_b32_e32 v8, v6
	s_and_saveexec_b64 s[0:1], vcc
	s_xor_b64 s[2:3], exec, s[0:1]
	s_cbranch_execz .LBB59_74
; %bb.73:
	s_waitcnt lgkmcnt(2)
	v_and_b32_e32 v11, 1, v10
	s_waitcnt lgkmcnt(0)
	v_cmp_lt_i64_e32 vcc, v[4:5], v[2:3]
	v_cmp_eq_u32_e64 s[0:1], 1, v11
	v_and_b32_e32 v8, 1, v18
	s_and_b64 vcc, s[0:1], vcc
	v_cndmask_b32_e64 v6, v6, 1, s[0:1]
	v_cndmask_b32_e32 v2, v2, v4, vcc
	v_cndmask_b32_e32 v3, v3, v5, vcc
	v_cmp_eq_u32_e32 vcc, 1, v8
	v_cndmask_b32_e32 v8, v10, v6, vcc
	v_cndmask_b32_e32 v3, v5, v3, vcc
	v_cndmask_b32_e32 v2, v4, v2, vcc
	v_and_b32_e32 v6, 0xff, v8
.LBB59_74:
	s_or_b64 exec, exec, s[2:3]
	v_cmp_gt_u32_e32 vcc, 62, v7
	s_waitcnt lgkmcnt(1)
	v_cndmask_b32_e64 v4, 0, 1, vcc
	v_lshlrev_b32_e32 v4, 1, v4
	s_waitcnt lgkmcnt(0)
	v_add_lshl_u32 v5, v4, v1, 2
	ds_bpermute_b32 v10, v5, v6
	ds_bpermute_b32 v4, v5, v2
	ds_bpermute_b32 v5, v5, v3
	v_add_u32_e32 v11, 2, v7
	v_cmp_lt_u32_e32 vcc, v11, v9
	s_and_saveexec_b64 s[2:3], vcc
	s_cbranch_execz .LBB59_76
; %bb.75:
	s_waitcnt lgkmcnt(2)
	v_and_b32_e32 v11, 1, v10
	s_waitcnt lgkmcnt(0)
	v_cmp_lt_i64_e32 vcc, v[4:5], v[2:3]
	v_cmp_eq_u32_e64 s[0:1], 1, v11
	v_and_b32_e32 v6, 1, v8
	s_and_b64 vcc, s[0:1], vcc
	v_cndmask_b32_e64 v8, v8, 1, s[0:1]
	v_cndmask_b32_e32 v2, v2, v4, vcc
	v_cndmask_b32_e32 v3, v3, v5, vcc
	v_cmp_eq_u32_e32 vcc, 1, v6
	v_cndmask_b32_e32 v8, v10, v8, vcc
	v_cndmask_b32_e32 v3, v5, v3, vcc
	v_cndmask_b32_e32 v2, v4, v2, vcc
	v_and_b32_e32 v6, 0xff, v8
.LBB59_76:
	s_or_b64 exec, exec, s[2:3]
	v_cmp_gt_u32_e32 vcc, 60, v7
	s_waitcnt lgkmcnt(1)
	v_cndmask_b32_e64 v4, 0, 1, vcc
	v_lshlrev_b32_e32 v4, 2, v4
	s_waitcnt lgkmcnt(0)
	v_add_lshl_u32 v5, v4, v1, 2
	ds_bpermute_b32 v10, v5, v6
	ds_bpermute_b32 v4, v5, v2
	ds_bpermute_b32 v5, v5, v3
	v_add_u32_e32 v11, 4, v7
	v_cmp_lt_u32_e32 vcc, v11, v9
	s_and_saveexec_b64 s[2:3], vcc
	;; [unrolled: 31-line block ×5, first 2 shown]
	s_cbranch_execz .LBB59_84
; %bb.83:
	s_waitcnt lgkmcnt(2)
	v_and_b32_e32 v7, 1, v10
	s_waitcnt lgkmcnt(0)
	v_cmp_lt_i64_e32 vcc, v[4:5], v[2:3]
	v_cmp_eq_u32_e64 s[0:1], 1, v7
	v_and_b32_e32 v6, 1, v8
	s_and_b64 vcc, s[0:1], vcc
	v_cndmask_b32_e64 v7, v8, 1, s[0:1]
	v_cndmask_b32_e32 v2, v2, v4, vcc
	v_cndmask_b32_e32 v3, v3, v5, vcc
	v_cmp_eq_u32_e32 vcc, 1, v6
	v_cndmask_b32_e32 v8, v10, v7, vcc
	v_cndmask_b32_e32 v3, v5, v3, vcc
	;; [unrolled: 1-line block ×3, first 2 shown]
	v_and_b32_e32 v6, 0xff, v8
.LBB59_84:
	s_or_b64 exec, exec, s[2:3]
	v_cmp_eq_u32_e32 vcc, 0, v1
	s_and_saveexec_b64 s[0:1], vcc
	s_cbranch_execz .LBB59_86
; %bb.85:
	s_waitcnt lgkmcnt(1)
	v_lshrrev_b32_e32 v4, 2, v0
	v_and_b32_e32 v4, 48, v4
	ds_write_b8 v4, v8 offset:256
	ds_write_b64 v4, v[2:3] offset:264
.LBB59_86:
	s_or_b64 exec, exec, s[0:1]
	v_cmp_gt_u32_e32 vcc, 4, v0
	s_waitcnt lgkmcnt(0)
	s_barrier
	s_and_saveexec_b64 s[2:3], vcc
	s_cbranch_execz .LBB59_92
; %bb.87:
	v_lshlrev_b32_e32 v2, 4, v1
	ds_read_u8 v7, v2 offset:256
	ds_read_b64 v[2:3], v2 offset:264
	v_and_b32_e32 v8, 3, v1
	v_cmp_ne_u32_e32 vcc, 3, v8
	v_addc_co_u32_e32 v4, vcc, 0, v1, vcc
	s_waitcnt lgkmcnt(1)
	v_and_b32_e32 v6, 0xff, v7
	v_lshlrev_b32_e32 v5, 2, v4
	ds_bpermute_b32 v9, v5, v6
	s_waitcnt lgkmcnt(1)
	ds_bpermute_b32 v4, v5, v2
	ds_bpermute_b32 v5, v5, v3
	s_add_i32 s8, s8, 63
	s_lshr_b32 s10, s8, 6
	v_add_u32_e32 v10, 1, v8
	v_cmp_gt_u32_e32 vcc, s10, v10
	s_and_saveexec_b64 s[8:9], vcc
	s_cbranch_execz .LBB59_89
; %bb.88:
	s_waitcnt lgkmcnt(2)
	v_and_b32_e32 v10, 1, v9
	s_waitcnt lgkmcnt(0)
	v_cmp_lt_i64_e32 vcc, v[4:5], v[2:3]
	v_cmp_eq_u32_e64 s[0:1], 1, v10
	v_and_b32_e32 v6, 1, v7
	s_and_b64 vcc, s[0:1], vcc
	v_cndmask_b32_e64 v7, v7, 1, s[0:1]
	v_cndmask_b32_e32 v2, v2, v4, vcc
	v_cndmask_b32_e32 v3, v3, v5, vcc
	v_cmp_eq_u32_e32 vcc, 1, v6
	v_cndmask_b32_e32 v7, v9, v7, vcc
	v_cndmask_b32_e32 v3, v5, v3, vcc
	;; [unrolled: 1-line block ×3, first 2 shown]
	v_and_b32_e32 v6, 0xff, v7
.LBB59_89:
	s_or_b64 exec, exec, s[8:9]
	v_cmp_gt_u32_e32 vcc, 2, v8
	s_waitcnt lgkmcnt(1)
	v_cndmask_b32_e64 v4, 0, 1, vcc
	v_lshlrev_b32_e32 v4, 1, v4
	s_waitcnt lgkmcnt(0)
	v_add_lshl_u32 v5, v4, v1, 2
	ds_bpermute_b32 v1, v5, v6
	ds_bpermute_b32 v4, v5, v2
	;; [unrolled: 1-line block ×3, first 2 shown]
	v_add_u32_e32 v8, 2, v8
	v_cmp_gt_u32_e32 vcc, s10, v8
	s_and_saveexec_b64 s[8:9], vcc
	s_cbranch_execz .LBB59_91
; %bb.90:
	s_waitcnt lgkmcnt(2)
	v_and_b32_e32 v8, 1, v1
	s_waitcnt lgkmcnt(0)
	v_cmp_lt_i64_e32 vcc, v[4:5], v[2:3]
	v_cmp_eq_u32_e64 s[0:1], 1, v8
	v_and_b32_e32 v6, 1, v7
	s_and_b64 vcc, s[0:1], vcc
	v_cndmask_b32_e64 v7, v7, 1, s[0:1]
	v_cndmask_b32_e32 v2, v2, v4, vcc
	v_cndmask_b32_e32 v3, v3, v5, vcc
	v_cmp_eq_u32_e32 vcc, 1, v6
	v_cndmask_b32_e32 v1, v1, v7, vcc
	v_cndmask_b32_e32 v3, v5, v3, vcc
	;; [unrolled: 1-line block ×3, first 2 shown]
	v_and_b32_e32 v6, 0xff, v1
.LBB59_91:
	s_or_b64 exec, exec, s[8:9]
.LBB59_92:
	s_or_b64 exec, exec, s[2:3]
.LBB59_93:
	v_cmp_eq_u32_e32 vcc, 0, v0
	s_mov_b64 s[10:11], 0
                                        ; implicit-def: $vgpr4_vgpr5
                                        ; implicit-def: $vgpr1
	s_and_saveexec_b64 s[0:1], vcc
	s_xor_b64 s[8:9], exec, s[0:1]
	s_cbranch_execz .LBB59_97
; %bb.94:
	s_cmp_eq_u64 s[22:23], 0
	s_waitcnt lgkmcnt(0)
	v_pk_mov_b32 v[4:5], s[18:19], s[18:19] op_sel:[0,1]
	v_mov_b32_e32 v1, s28
	s_cbranch_scc1 .LBB59_96
; %bb.95:
	v_and_b32_e32 v1, 1, v6
	s_bitcmp1_b32 s28, 0
	v_mov_b32_e32 v4, s28
	v_cmp_eq_u32_e32 vcc, 1, v1
	v_cmp_gt_i64_e64 s[2:3], s[18:19], v[2:3]
	v_cndmask_b32_e64 v1, v4, 1, vcc
	s_cselect_b64 s[0:1], -1, 0
	v_mov_b32_e32 v4, s18
	s_and_b64 vcc, vcc, s[2:3]
	v_mov_b32_e32 v5, s19
	v_cndmask_b32_e32 v4, v4, v2, vcc
	v_cndmask_b32_e32 v5, v5, v3, vcc
	v_cndmask_b32_e64 v1, v6, v1, s[0:1]
	v_cndmask_b32_e64 v5, v3, v5, s[0:1]
	;; [unrolled: 1-line block ×3, first 2 shown]
.LBB59_96:
	s_mov_b64 s[10:11], exec
.LBB59_97:
	s_or_b64 exec, exec, s[8:9]
	s_and_b64 vcc, exec, s[24:25]
	s_cbranch_vccnz .LBB59_26
.LBB59_98:
	s_branch .LBB59_214
.LBB59_99:
                                        ; implicit-def: $vgpr2_vgpr3
                                        ; implicit-def: $vgpr6
	s_cbranch_execz .LBB59_132
; %bb.100:
	s_sub_i32 s14, s22, s2
	v_pk_mov_b32 v[6:7], 0, 0
	v_cmp_gt_u32_e32 vcc, s14, v0
	v_mov_b32_e32 v11, 0
	v_pk_mov_b32 v[2:3], v[6:7], v[6:7] op_sel:[0,1]
	v_mov_b32_e32 v10, 0
	s_and_saveexec_b64 s[0:1], vcc
	s_cbranch_execz .LBB59_102
; %bb.101:
	s_waitcnt lgkmcnt(2)
	v_lshlrev_b32_e32 v1, 4, v0
	global_load_ubyte v10, v1, s[8:9]
	global_load_dwordx2 v[2:3], v1, s[8:9] offset:8
.LBB59_102:
	s_or_b64 exec, exec, s[0:1]
	s_waitcnt lgkmcnt(2)
	v_or_b32_e32 v1, 0x100, v0
	v_cmp_gt_u32_e64 s[2:3], s14, v1
	s_and_saveexec_b64 s[0:1], s[2:3]
	s_cbranch_execz .LBB59_104
; %bb.103:
	v_lshlrev_b32_e32 v1, 4, v1
	global_load_ubyte v11, v1, s[8:9]
	global_load_dwordx2 v[6:7], v1, s[8:9] offset:8
.LBB59_104:
	s_or_b64 exec, exec, s[0:1]
	v_or_b32_e32 v13, 0x200, v0
	s_waitcnt lgkmcnt(0)
	v_pk_mov_b32 v[4:5], 0, 0
	v_cmp_gt_u32_e64 s[0:1], s14, v13
	v_mov_b32_e32 v1, 0
	v_pk_mov_b32 v[8:9], v[4:5], v[4:5] op_sel:[0,1]
	v_mov_b32_e32 v12, 0
	s_and_saveexec_b64 s[12:13], s[0:1]
	s_cbranch_execz .LBB59_106
; %bb.105:
	v_lshlrev_b32_e32 v13, 4, v13
	global_load_ubyte v12, v13, s[8:9]
	global_load_dwordx2 v[8:9], v13, s[8:9] offset:8
.LBB59_106:
	s_or_b64 exec, exec, s[12:13]
	v_or_b32_e32 v13, 0x300, v0
	v_cmp_gt_u32_e32 vcc, s14, v13
	s_and_saveexec_b64 s[12:13], vcc
	s_cbranch_execnz .LBB59_253
; %bb.107:
	s_or_b64 exec, exec, s[12:13]
	s_and_saveexec_b64 s[12:13], s[2:3]
	s_cbranch_execnz .LBB59_254
.LBB59_108:
	s_or_b64 exec, exec, s[12:13]
	s_and_saveexec_b64 s[8:9], s[0:1]
	s_cbranch_execnz .LBB59_255
.LBB59_109:
	s_or_b64 exec, exec, s[8:9]
	s_and_saveexec_b64 s[2:3], vcc
	s_cbranch_execz .LBB59_111
.LBB59_110:
	s_waitcnt vmcnt(0)
	v_and_b32_e32 v7, 1, v1
	v_cmp_lt_i64_e32 vcc, v[4:5], v[2:3]
	v_cmp_eq_u32_e64 s[0:1], 1, v7
	v_and_b32_e32 v6, 1, v10
	s_and_b64 vcc, s[0:1], vcc
	v_cndmask_b32_e64 v7, v10, 1, s[0:1]
	v_cndmask_b32_e32 v2, v2, v4, vcc
	v_cndmask_b32_e32 v3, v3, v5, vcc
	v_cmp_eq_u32_e32 vcc, 1, v6
	v_cndmask_b32_e32 v10, v1, v7, vcc
	v_cndmask_b32_e32 v3, v5, v3, vcc
	;; [unrolled: 1-line block ×3, first 2 shown]
.LBB59_111:
	s_or_b64 exec, exec, s[2:3]
	s_waitcnt vmcnt(1)
	v_mbcnt_lo_u32_b32 v1, -1, 0
	v_mbcnt_hi_u32_b32 v1, -1, v1
	s_waitcnt vmcnt(0)
	v_and_b32_e32 v7, 63, v1
	v_cmp_ne_u32_e32 vcc, 63, v7
	v_addc_co_u32_e32 v4, vcc, 0, v1, vcc
	v_and_b32_e32 v6, 0xff, v10
	v_lshlrev_b32_e32 v5, 2, v4
	ds_bpermute_b32 v11, v5, v6
	ds_bpermute_b32 v4, v5, v2
	;; [unrolled: 1-line block ×3, first 2 shown]
	s_min_u32 s8, s14, 0x100
	v_and_b32_e32 v8, 0xc0, v0
	v_sub_u32_e64 v9, s8, v8 clamp
	v_add_u32_e32 v8, 1, v7
	v_cmp_lt_u32_e32 vcc, v8, v9
	v_mov_b32_e32 v8, v6
	s_and_saveexec_b64 s[0:1], vcc
	s_xor_b64 s[2:3], exec, s[0:1]
	s_cbranch_execz .LBB59_113
; %bb.112:
	v_and_b32_e32 v8, 1, v10
	s_waitcnt lgkmcnt(2)
	v_and_b32_e32 v10, 1, v11
	s_waitcnt lgkmcnt(0)
	v_cmp_lt_i64_e32 vcc, v[4:5], v[2:3]
	v_cmp_eq_u32_e64 s[0:1], 1, v10
	s_and_b64 vcc, s[0:1], vcc
	v_cndmask_b32_e64 v6, v6, 1, s[0:1]
	v_cndmask_b32_e32 v2, v2, v4, vcc
	v_cndmask_b32_e32 v3, v3, v5, vcc
	v_cmp_eq_u32_e32 vcc, 1, v8
	v_cndmask_b32_e32 v8, v11, v6, vcc
	v_cndmask_b32_e32 v3, v5, v3, vcc
	;; [unrolled: 1-line block ×3, first 2 shown]
	v_and_b32_e32 v6, 0xff, v8
.LBB59_113:
	s_or_b64 exec, exec, s[2:3]
	v_cmp_gt_u32_e32 vcc, 62, v7
	s_waitcnt lgkmcnt(1)
	v_cndmask_b32_e64 v4, 0, 1, vcc
	v_lshlrev_b32_e32 v4, 1, v4
	s_waitcnt lgkmcnt(0)
	v_add_lshl_u32 v5, v4, v1, 2
	ds_bpermute_b32 v10, v5, v6
	ds_bpermute_b32 v4, v5, v2
	ds_bpermute_b32 v5, v5, v3
	v_add_u32_e32 v11, 2, v7
	v_cmp_lt_u32_e32 vcc, v11, v9
	s_and_saveexec_b64 s[2:3], vcc
	s_cbranch_execz .LBB59_115
; %bb.114:
	s_waitcnt lgkmcnt(2)
	v_and_b32_e32 v11, 1, v10
	s_waitcnt lgkmcnt(0)
	v_cmp_lt_i64_e32 vcc, v[4:5], v[2:3]
	v_cmp_eq_u32_e64 s[0:1], 1, v11
	v_and_b32_e32 v6, 1, v8
	s_and_b64 vcc, s[0:1], vcc
	v_cndmask_b32_e64 v8, v8, 1, s[0:1]
	v_cndmask_b32_e32 v2, v2, v4, vcc
	v_cndmask_b32_e32 v3, v3, v5, vcc
	v_cmp_eq_u32_e32 vcc, 1, v6
	v_cndmask_b32_e32 v8, v10, v8, vcc
	v_cndmask_b32_e32 v3, v5, v3, vcc
	v_cndmask_b32_e32 v2, v4, v2, vcc
	v_and_b32_e32 v6, 0xff, v8
.LBB59_115:
	s_or_b64 exec, exec, s[2:3]
	v_cmp_gt_u32_e32 vcc, 60, v7
	s_waitcnt lgkmcnt(1)
	v_cndmask_b32_e64 v4, 0, 1, vcc
	v_lshlrev_b32_e32 v4, 2, v4
	s_waitcnt lgkmcnt(0)
	v_add_lshl_u32 v5, v4, v1, 2
	ds_bpermute_b32 v10, v5, v6
	ds_bpermute_b32 v4, v5, v2
	ds_bpermute_b32 v5, v5, v3
	v_add_u32_e32 v11, 4, v7
	v_cmp_lt_u32_e32 vcc, v11, v9
	s_and_saveexec_b64 s[2:3], vcc
	s_cbranch_execz .LBB59_117
; %bb.116:
	s_waitcnt lgkmcnt(2)
	v_and_b32_e32 v11, 1, v10
	s_waitcnt lgkmcnt(0)
	v_cmp_lt_i64_e32 vcc, v[4:5], v[2:3]
	v_cmp_eq_u32_e64 s[0:1], 1, v11
	v_and_b32_e32 v6, 1, v8
	s_and_b64 vcc, s[0:1], vcc
	v_cndmask_b32_e64 v8, v8, 1, s[0:1]
	v_cndmask_b32_e32 v2, v2, v4, vcc
	v_cndmask_b32_e32 v3, v3, v5, vcc
	v_cmp_eq_u32_e32 vcc, 1, v6
	v_cndmask_b32_e32 v8, v10, v8, vcc
	v_cndmask_b32_e32 v3, v5, v3, vcc
	v_cndmask_b32_e32 v2, v4, v2, vcc
	v_and_b32_e32 v6, 0xff, v8
.LBB59_117:
	;; [unrolled: 31-line block ×5, first 2 shown]
	s_or_b64 exec, exec, s[2:3]
	v_cmp_eq_u32_e32 vcc, 0, v1
	s_and_saveexec_b64 s[0:1], vcc
	s_cbranch_execz .LBB59_125
; %bb.124:
	s_waitcnt lgkmcnt(1)
	v_lshrrev_b32_e32 v4, 2, v0
	v_and_b32_e32 v4, 48, v4
	ds_write_b8 v4, v8 offset:256
	ds_write_b64 v4, v[2:3] offset:264
.LBB59_125:
	s_or_b64 exec, exec, s[0:1]
	v_cmp_gt_u32_e32 vcc, 4, v0
	s_waitcnt lgkmcnt(0)
	s_barrier
	s_and_saveexec_b64 s[2:3], vcc
	s_cbranch_execz .LBB59_131
; %bb.126:
	v_lshlrev_b32_e32 v2, 4, v1
	ds_read_u8 v7, v2 offset:256
	ds_read_b64 v[2:3], v2 offset:264
	v_and_b32_e32 v8, 3, v1
	v_cmp_ne_u32_e32 vcc, 3, v8
	v_addc_co_u32_e32 v4, vcc, 0, v1, vcc
	s_waitcnt lgkmcnt(1)
	v_and_b32_e32 v6, 0xff, v7
	v_lshlrev_b32_e32 v5, 2, v4
	ds_bpermute_b32 v9, v5, v6
	s_waitcnt lgkmcnt(1)
	ds_bpermute_b32 v4, v5, v2
	ds_bpermute_b32 v5, v5, v3
	s_add_i32 s8, s8, 63
	s_lshr_b32 s12, s8, 6
	v_add_u32_e32 v10, 1, v8
	v_cmp_gt_u32_e32 vcc, s12, v10
	s_and_saveexec_b64 s[8:9], vcc
	s_cbranch_execz .LBB59_128
; %bb.127:
	s_waitcnt lgkmcnt(2)
	v_and_b32_e32 v10, 1, v9
	s_waitcnt lgkmcnt(0)
	v_cmp_lt_i64_e32 vcc, v[4:5], v[2:3]
	v_cmp_eq_u32_e64 s[0:1], 1, v10
	v_and_b32_e32 v6, 1, v7
	s_and_b64 vcc, s[0:1], vcc
	v_cndmask_b32_e64 v7, v7, 1, s[0:1]
	v_cndmask_b32_e32 v2, v2, v4, vcc
	v_cndmask_b32_e32 v3, v3, v5, vcc
	v_cmp_eq_u32_e32 vcc, 1, v6
	v_cndmask_b32_e32 v7, v9, v7, vcc
	v_cndmask_b32_e32 v3, v5, v3, vcc
	;; [unrolled: 1-line block ×3, first 2 shown]
	v_and_b32_e32 v6, 0xff, v7
.LBB59_128:
	s_or_b64 exec, exec, s[8:9]
	v_cmp_gt_u32_e32 vcc, 2, v8
	s_waitcnt lgkmcnt(1)
	v_cndmask_b32_e64 v4, 0, 1, vcc
	v_lshlrev_b32_e32 v4, 1, v4
	s_waitcnt lgkmcnt(0)
	v_add_lshl_u32 v5, v4, v1, 2
	ds_bpermute_b32 v1, v5, v6
	ds_bpermute_b32 v4, v5, v2
	;; [unrolled: 1-line block ×3, first 2 shown]
	v_add_u32_e32 v8, 2, v8
	v_cmp_gt_u32_e32 vcc, s12, v8
	s_and_saveexec_b64 s[8:9], vcc
	s_cbranch_execz .LBB59_130
; %bb.129:
	s_waitcnt lgkmcnt(2)
	v_and_b32_e32 v8, 1, v1
	s_waitcnt lgkmcnt(0)
	v_cmp_lt_i64_e32 vcc, v[4:5], v[2:3]
	v_cmp_eq_u32_e64 s[0:1], 1, v8
	v_and_b32_e32 v6, 1, v7
	s_and_b64 vcc, s[0:1], vcc
	v_cndmask_b32_e64 v7, v7, 1, s[0:1]
	v_cndmask_b32_e32 v2, v2, v4, vcc
	v_cndmask_b32_e32 v3, v3, v5, vcc
	v_cmp_eq_u32_e32 vcc, 1, v6
	v_cndmask_b32_e32 v1, v1, v7, vcc
	v_cndmask_b32_e32 v3, v5, v3, vcc
	v_cndmask_b32_e32 v2, v4, v2, vcc
	v_and_b32_e32 v6, 0xff, v1
.LBB59_130:
	s_or_b64 exec, exec, s[8:9]
.LBB59_131:
	s_or_b64 exec, exec, s[2:3]
.LBB59_132:
	v_cmp_eq_u32_e32 vcc, 0, v0
                                        ; implicit-def: $vgpr4_vgpr5
                                        ; implicit-def: $vgpr1
	s_and_saveexec_b64 s[0:1], vcc
	s_xor_b64 s[8:9], exec, s[0:1]
	s_cbranch_execz .LBB59_136
; %bb.133:
	s_cmp_eq_u64 s[22:23], 0
	s_waitcnt lgkmcnt(0)
	v_pk_mov_b32 v[4:5], s[18:19], s[18:19] op_sel:[0,1]
	v_mov_b32_e32 v1, s28
	s_cbranch_scc1 .LBB59_135
; %bb.134:
	v_and_b32_e32 v1, 1, v6
	s_bitcmp1_b32 s28, 0
	v_mov_b32_e32 v4, s28
	v_cmp_eq_u32_e32 vcc, 1, v1
	v_cmp_gt_i64_e64 s[2:3], s[18:19], v[2:3]
	v_cndmask_b32_e64 v1, v4, 1, vcc
	s_cselect_b64 s[0:1], -1, 0
	v_mov_b32_e32 v4, s18
	s_and_b64 vcc, vcc, s[2:3]
	v_mov_b32_e32 v5, s19
	v_cndmask_b32_e32 v4, v4, v2, vcc
	v_cndmask_b32_e32 v5, v5, v3, vcc
	v_cndmask_b32_e64 v1, v6, v1, s[0:1]
	v_cndmask_b32_e64 v5, v3, v5, s[0:1]
	;; [unrolled: 1-line block ×3, first 2 shown]
.LBB59_135:
	s_or_b64 s[10:11], s[10:11], exec
.LBB59_136:
	s_or_b64 exec, exec, s[8:9]
	s_branch .LBB59_214
.LBB59_137:
	s_cmp_gt_i32 s29, 1
	s_cbranch_scc0 .LBB59_159
; %bb.138:
	s_cmp_eq_u32 s29, 2
	s_cbranch_scc0 .LBB59_160
; %bb.139:
	s_mov_b32 s7, 0
	s_lshl_b32 s8, s6, 9
	s_mov_b32 s9, s7
	s_lshr_b64 s[0:1], s[22:23], 9
	s_lshl_b64 s[2:3], s[8:9], 4
	s_add_u32 s2, s20, s2
	s_addc_u32 s3, s21, s3
	s_cmp_lg_u64 s[0:1], s[6:7]
	s_cbranch_scc0 .LBB59_161
; %bb.140:
	v_lshlrev_b32_e32 v7, 4, v0
	s_waitcnt lgkmcnt(2)
	v_mov_b32_e32 v1, s3
	s_waitcnt lgkmcnt(1)
	v_add_co_u32_e32 v4, vcc, s2, v7
	s_waitcnt lgkmcnt(0)
	v_addc_co_u32_e32 v5, vcc, 0, v1, vcc
	v_add_co_u32_e32 v8, vcc, 0x1000, v4
	v_addc_co_u32_e32 v9, vcc, 0, v5, vcc
	global_load_ubyte v1, v7, s[2:3]
	global_load_ubyte v6, v[8:9], off
	global_load_dwordx2 v[2:3], v[8:9], off offset:8
	s_waitcnt vmcnt(2)
	v_and_b32_e32 v7, 1, v1
	v_cmp_eq_u32_e32 vcc, 1, v7
	s_and_saveexec_b64 s[12:13], vcc
	s_cbranch_execz .LBB59_142
; %bb.141:
	global_load_dwordx2 v[4:5], v[4:5], off offset:8
	s_waitcnt vmcnt(2)
	v_and_b32_e32 v6, 1, v6
	v_cmp_eq_u32_e32 vcc, 1, v6
	v_cndmask_b32_e64 v6, v1, 1, vcc
	s_waitcnt vmcnt(0)
	v_cmp_lt_i64_e64 s[0:1], v[2:3], v[4:5]
	v_cndmask_b32_e64 v1, v5, v3, s[0:1]
	v_cndmask_b32_e32 v3, v5, v1, vcc
	s_and_b64 vcc, vcc, s[0:1]
	v_cndmask_b32_e32 v2, v4, v2, vcc
.LBB59_142:
	s_or_b64 exec, exec, s[12:13]
	s_waitcnt vmcnt(1)
	v_and_b32_e32 v1, 0xff, v6
	v_and_b32_e32 v6, 1, v6
	s_waitcnt vmcnt(0)
	v_mov_b32_dpp v4, v2 quad_perm:[1,0,3,2] row_mask:0xf bank_mask:0xf bound_ctrl:1
	v_mov_b32_dpp v7, v1 quad_perm:[1,0,3,2] row_mask:0xf bank_mask:0xf bound_ctrl:1
	v_and_b32_e32 v8, 1, v7
	v_mov_b32_dpp v5, v3 quad_perm:[1,0,3,2] row_mask:0xf bank_mask:0xf bound_ctrl:1
	v_cmp_eq_u32_e32 vcc, 1, v8
	v_cmp_eq_u32_e64 s[0:1], 1, v6
	s_and_saveexec_b64 s[12:13], vcc
; %bb.143:
	v_cmp_lt_i64_e32 vcc, v[2:3], v[4:5]
	v_cndmask_b32_e64 v6, v7, 1, s[0:1]
	s_and_b64 vcc, s[0:1], vcc
	v_cndmask_b32_e32 v2, v4, v2, vcc
	v_and_b32_e32 v4, 1, v6
	v_cndmask_b32_e32 v3, v5, v3, vcc
	v_cmp_eq_u32_e32 vcc, 1, v4
	s_andn2_b64 s[0:1], s[0:1], exec
	s_and_b64 s[14:15], vcc, exec
	v_and_b32_e32 v1, 0xff, v6
	s_or_b64 s[0:1], s[0:1], s[14:15]
; %bb.144:
	s_or_b64 exec, exec, s[12:13]
	v_mov_b32_dpp v6, v1 quad_perm:[2,3,0,1] row_mask:0xf bank_mask:0xf bound_ctrl:1
	v_and_b32_e32 v7, 1, v6
	v_mov_b32_dpp v4, v2 quad_perm:[2,3,0,1] row_mask:0xf bank_mask:0xf bound_ctrl:1
	v_mov_b32_dpp v5, v3 quad_perm:[2,3,0,1] row_mask:0xf bank_mask:0xf bound_ctrl:1
	v_cmp_eq_u32_e32 vcc, 1, v7
	s_and_saveexec_b64 s[12:13], vcc
; %bb.145:
	v_cmp_lt_i64_e32 vcc, v[2:3], v[4:5]
	v_cndmask_b32_e64 v6, v6, 1, s[0:1]
	s_and_b64 vcc, s[0:1], vcc
	v_cndmask_b32_e32 v2, v4, v2, vcc
	v_and_b32_e32 v4, 1, v6
	v_cndmask_b32_e32 v3, v5, v3, vcc
	v_cmp_eq_u32_e32 vcc, 1, v4
	s_andn2_b64 s[0:1], s[0:1], exec
	s_and_b64 s[14:15], vcc, exec
	v_and_b32_e32 v1, 0xff, v6
	s_or_b64 s[0:1], s[0:1], s[14:15]
; %bb.146:
	s_or_b64 exec, exec, s[12:13]
	v_mov_b32_dpp v6, v1 row_ror:4 row_mask:0xf bank_mask:0xf bound_ctrl:1
	v_and_b32_e32 v7, 1, v6
	v_mov_b32_dpp v4, v2 row_ror:4 row_mask:0xf bank_mask:0xf bound_ctrl:1
	v_mov_b32_dpp v5, v3 row_ror:4 row_mask:0xf bank_mask:0xf bound_ctrl:1
	v_cmp_eq_u32_e32 vcc, 1, v7
	s_and_saveexec_b64 s[12:13], vcc
; %bb.147:
	v_cmp_lt_i64_e32 vcc, v[2:3], v[4:5]
	v_cndmask_b32_e64 v6, v6, 1, s[0:1]
	s_and_b64 vcc, s[0:1], vcc
	v_cndmask_b32_e32 v2, v4, v2, vcc
	v_and_b32_e32 v4, 1, v6
	v_cndmask_b32_e32 v3, v5, v3, vcc
	v_cmp_eq_u32_e32 vcc, 1, v4
	s_andn2_b64 s[0:1], s[0:1], exec
	s_and_b64 s[14:15], vcc, exec
	v_and_b32_e32 v1, 0xff, v6
	s_or_b64 s[0:1], s[0:1], s[14:15]
; %bb.148:
	s_or_b64 exec, exec, s[12:13]
	v_mov_b32_dpp v6, v1 row_ror:8 row_mask:0xf bank_mask:0xf bound_ctrl:1
	v_and_b32_e32 v7, 1, v6
	v_mov_b32_dpp v4, v2 row_ror:8 row_mask:0xf bank_mask:0xf bound_ctrl:1
	v_mov_b32_dpp v5, v3 row_ror:8 row_mask:0xf bank_mask:0xf bound_ctrl:1
	v_cmp_eq_u32_e32 vcc, 1, v7
	s_and_saveexec_b64 s[12:13], vcc
; %bb.149:
	v_cmp_lt_i64_e32 vcc, v[2:3], v[4:5]
	v_cndmask_b32_e64 v6, v6, 1, s[0:1]
	s_and_b64 vcc, s[0:1], vcc
	v_cndmask_b32_e32 v2, v4, v2, vcc
	v_and_b32_e32 v4, 1, v6
	v_cndmask_b32_e32 v3, v5, v3, vcc
	v_cmp_eq_u32_e32 vcc, 1, v4
	s_andn2_b64 s[0:1], s[0:1], exec
	s_and_b64 s[14:15], vcc, exec
	v_and_b32_e32 v1, 0xff, v6
	s_or_b64 s[0:1], s[0:1], s[14:15]
; %bb.150:
	s_or_b64 exec, exec, s[12:13]
	v_mov_b32_dpp v6, v1 row_bcast:15 row_mask:0xf bank_mask:0xf bound_ctrl:1
	v_and_b32_e32 v7, 1, v6
	v_mov_b32_dpp v4, v2 row_bcast:15 row_mask:0xf bank_mask:0xf bound_ctrl:1
	v_mov_b32_dpp v5, v3 row_bcast:15 row_mask:0xf bank_mask:0xf bound_ctrl:1
	v_cmp_eq_u32_e32 vcc, 1, v7
	s_and_saveexec_b64 s[12:13], vcc
; %bb.151:
	v_cmp_lt_i64_e32 vcc, v[2:3], v[4:5]
	v_cndmask_b32_e64 v6, v6, 1, s[0:1]
	s_and_b64 vcc, s[0:1], vcc
	v_cndmask_b32_e32 v2, v4, v2, vcc
	v_and_b32_e32 v4, 1, v6
	v_cndmask_b32_e32 v3, v5, v3, vcc
	v_cmp_eq_u32_e32 vcc, 1, v4
	s_andn2_b64 s[0:1], s[0:1], exec
	s_and_b64 s[14:15], vcc, exec
	v_and_b32_e32 v1, 0xff, v6
	s_or_b64 s[0:1], s[0:1], s[14:15]
; %bb.152:
	s_or_b64 exec, exec, s[12:13]
	v_mov_b32_dpp v6, v1 row_bcast:31 row_mask:0xf bank_mask:0xf bound_ctrl:1
	v_and_b32_e32 v7, 1, v6
	v_mov_b32_dpp v4, v2 row_bcast:31 row_mask:0xf bank_mask:0xf bound_ctrl:1
	v_mov_b32_dpp v5, v3 row_bcast:31 row_mask:0xf bank_mask:0xf bound_ctrl:1
	v_cmp_eq_u32_e32 vcc, 1, v7
	s_and_saveexec_b64 s[12:13], vcc
; %bb.153:
	v_cmp_lt_i64_e32 vcc, v[2:3], v[4:5]
	v_and_b32_e32 v1, 0xff, v6
	s_and_b64 vcc, s[0:1], vcc
	v_cndmask_b32_e32 v2, v4, v2, vcc
	v_cndmask_b32_e32 v3, v5, v3, vcc
	v_cndmask_b32_e64 v1, v1, 1, s[0:1]
; %bb.154:
	s_or_b64 exec, exec, s[12:13]
	v_mbcnt_lo_u32_b32 v4, -1, 0
	v_mbcnt_hi_u32_b32 v4, -1, v4
	v_bfrev_b32_e32 v5, 0.5
	v_lshl_or_b32 v5, v4, 2, v5
	ds_bpermute_b32 v6, v5, v1
	ds_bpermute_b32 v2, v5, v2
	ds_bpermute_b32 v3, v5, v3
	v_cmp_eq_u32_e32 vcc, 0, v4
	s_and_saveexec_b64 s[0:1], vcc
	s_cbranch_execz .LBB59_156
; %bb.155:
	v_lshrrev_b32_e32 v1, 2, v0
	v_and_b32_e32 v1, 48, v1
	s_waitcnt lgkmcnt(2)
	ds_write_b8 v1, v6 offset:64
	s_waitcnt lgkmcnt(1)
	ds_write_b64 v1, v[2:3] offset:72
.LBB59_156:
	s_or_b64 exec, exec, s[0:1]
	v_cmp_gt_u32_e32 vcc, 64, v0
	s_waitcnt lgkmcnt(0)
	s_barrier
	s_and_saveexec_b64 s[12:13], vcc
	s_cbranch_execz .LBB59_158
; %bb.157:
	v_and_b32_e32 v1, 3, v4
	v_lshlrev_b32_e32 v2, 4, v1
	ds_read_u8 v5, v2 offset:64
	ds_read_b64 v[2:3], v2 offset:72
	v_cmp_ne_u32_e32 vcc, 3, v1
	v_addc_co_u32_e32 v6, vcc, 0, v4, vcc
	s_waitcnt lgkmcnt(1)
	v_and_b32_e32 v7, 0xff, v5
	v_lshlrev_b32_e32 v8, 2, v6
	ds_bpermute_b32 v9, v8, v7
	s_waitcnt lgkmcnt(1)
	ds_bpermute_b32 v6, v8, v2
	ds_bpermute_b32 v7, v8, v3
	v_and_b32_e32 v8, 1, v5
	s_waitcnt lgkmcnt(2)
	v_and_b32_e32 v10, 1, v9
	v_cmp_eq_u32_e64 s[0:1], 1, v10
	s_waitcnt lgkmcnt(0)
	v_cmp_lt_i64_e32 vcc, v[6:7], v[2:3]
	s_and_b64 vcc, s[0:1], vcc
	v_cndmask_b32_e64 v5, v5, 1, s[0:1]
	v_cndmask_b32_e32 v2, v2, v6, vcc
	v_cndmask_b32_e32 v3, v3, v7, vcc
	v_cmp_eq_u32_e32 vcc, 1, v8
	v_cndmask_b32_e32 v8, v9, v5, vcc
	v_cndmask_b32_e32 v3, v7, v3, vcc
	;; [unrolled: 1-line block ×3, first 2 shown]
	v_cmp_gt_u32_e32 vcc, 2, v1
	v_cndmask_b32_e64 v1, 0, 1, vcc
	v_lshlrev_b32_e32 v1, 1, v1
	v_and_b32_e32 v5, 0xff, v8
	v_add_lshl_u32 v1, v1, v4, 2
	ds_bpermute_b32 v6, v1, v5
	ds_bpermute_b32 v4, v1, v2
	;; [unrolled: 1-line block ×3, first 2 shown]
	v_and_b32_e32 v1, 1, v8
	s_waitcnt lgkmcnt(2)
	v_and_b32_e32 v7, 1, v6
	v_cmp_eq_u32_e64 s[0:1], 1, v7
	s_waitcnt lgkmcnt(0)
	v_cmp_lt_i64_e32 vcc, v[4:5], v[2:3]
	s_and_b64 vcc, s[0:1], vcc
	v_cndmask_b32_e64 v7, v8, 1, s[0:1]
	v_cndmask_b32_e32 v2, v2, v4, vcc
	v_cndmask_b32_e32 v3, v3, v5, vcc
	v_cmp_eq_u32_e32 vcc, 1, v1
	v_cndmask_b32_e32 v1, v6, v7, vcc
	v_cndmask_b32_e32 v3, v5, v3, vcc
	;; [unrolled: 1-line block ×3, first 2 shown]
	v_and_b32_e32 v6, 0xff, v1
.LBB59_158:
	s_or_b64 exec, exec, s[12:13]
	s_branch .LBB59_189
.LBB59_159:
                                        ; implicit-def: $vgpr4_vgpr5
                                        ; implicit-def: $vgpr1
	s_cbranch_execnz .LBB59_194
	s_branch .LBB59_214
.LBB59_160:
                                        ; implicit-def: $vgpr4_vgpr5
                                        ; implicit-def: $vgpr1
	s_branch .LBB59_214
.LBB59_161:
                                        ; implicit-def: $vgpr2_vgpr3
                                        ; implicit-def: $vgpr6
	s_cbranch_execz .LBB59_189
; %bb.162:
	s_sub_i32 s8, s22, s8
	s_waitcnt lgkmcnt(0)
	v_pk_mov_b32 v[4:5], 0, 0
	v_cmp_gt_u32_e32 vcc, s8, v0
	v_mov_b32_e32 v1, 0
	v_pk_mov_b32 v[2:3], v[4:5], v[4:5] op_sel:[0,1]
	v_mov_b32_e32 v7, 0
	s_and_saveexec_b64 s[0:1], vcc
	s_cbranch_execz .LBB59_164
; %bb.163:
	v_lshlrev_b32_e32 v6, 4, v0
	global_load_ubyte v7, v6, s[2:3]
	global_load_dwordx2 v[2:3], v6, s[2:3] offset:8
.LBB59_164:
	s_or_b64 exec, exec, s[0:1]
	v_or_b32_e32 v6, 0x100, v0
	v_cmp_gt_u32_e32 vcc, s8, v6
	s_and_saveexec_b64 s[0:1], vcc
	s_cbranch_execz .LBB59_166
; %bb.165:
	v_lshlrev_b32_e32 v6, 4, v6
	global_load_ubyte v1, v6, s[2:3]
	global_load_dwordx2 v[4:5], v6, s[2:3] offset:8
.LBB59_166:
	s_or_b64 exec, exec, s[0:1]
	s_and_saveexec_b64 s[2:3], vcc
	s_cbranch_execz .LBB59_168
; %bb.167:
	s_waitcnt vmcnt(1)
	v_and_b32_e32 v8, 1, v1
	s_waitcnt vmcnt(0)
	v_cmp_lt_i64_e32 vcc, v[4:5], v[2:3]
	v_cmp_eq_u32_e64 s[0:1], 1, v8
	v_and_b32_e32 v6, 1, v7
	s_and_b64 vcc, s[0:1], vcc
	v_cndmask_b32_e64 v7, v7, 1, s[0:1]
	v_cndmask_b32_e32 v2, v2, v4, vcc
	v_cndmask_b32_e32 v3, v3, v5, vcc
	v_cmp_eq_u32_e32 vcc, 1, v6
	v_cndmask_b32_e32 v7, v1, v7, vcc
	v_cndmask_b32_e32 v3, v5, v3, vcc
	;; [unrolled: 1-line block ×3, first 2 shown]
.LBB59_168:
	s_or_b64 exec, exec, s[2:3]
	s_waitcnt vmcnt(1)
	v_mbcnt_lo_u32_b32 v1, -1, 0
	v_mbcnt_hi_u32_b32 v1, -1, v1
	v_and_b32_e32 v8, 63, v1
	v_cmp_ne_u32_e32 vcc, 63, v8
	s_waitcnt vmcnt(0)
	v_addc_co_u32_e32 v4, vcc, 0, v1, vcc
	v_and_b32_e32 v6, 0xff, v7
	v_lshlrev_b32_e32 v5, 2, v4
	ds_bpermute_b32 v10, v5, v6
	ds_bpermute_b32 v4, v5, v2
	;; [unrolled: 1-line block ×3, first 2 shown]
	s_min_u32 s8, s8, 0x100
	v_and_b32_e32 v9, 0xc0, v0
	v_sub_u32_e64 v9, s8, v9 clamp
	v_add_u32_e32 v11, 1, v8
	v_cmp_lt_u32_e32 vcc, v11, v9
	s_and_saveexec_b64 s[2:3], vcc
	s_cbranch_execz .LBB59_170
; %bb.169:
	s_waitcnt lgkmcnt(2)
	v_and_b32_e32 v11, 1, v10
	s_waitcnt lgkmcnt(0)
	v_cmp_lt_i64_e32 vcc, v[4:5], v[2:3]
	v_cmp_eq_u32_e64 s[0:1], 1, v11
	v_and_b32_e32 v6, 1, v7
	s_and_b64 vcc, s[0:1], vcc
	v_cndmask_b32_e64 v7, v7, 1, s[0:1]
	v_cndmask_b32_e32 v2, v2, v4, vcc
	v_cndmask_b32_e32 v3, v3, v5, vcc
	v_cmp_eq_u32_e32 vcc, 1, v6
	v_cndmask_b32_e32 v7, v10, v7, vcc
	v_cndmask_b32_e32 v3, v5, v3, vcc
	v_cndmask_b32_e32 v2, v4, v2, vcc
	v_and_b32_e32 v6, 0xff, v7
.LBB59_170:
	s_or_b64 exec, exec, s[2:3]
	v_cmp_gt_u32_e32 vcc, 62, v8
	s_waitcnt lgkmcnt(1)
	v_cndmask_b32_e64 v4, 0, 1, vcc
	v_lshlrev_b32_e32 v4, 1, v4
	s_waitcnt lgkmcnt(0)
	v_add_lshl_u32 v5, v4, v1, 2
	ds_bpermute_b32 v10, v5, v6
	ds_bpermute_b32 v4, v5, v2
	ds_bpermute_b32 v5, v5, v3
	v_add_u32_e32 v11, 2, v8
	v_cmp_lt_u32_e32 vcc, v11, v9
	s_and_saveexec_b64 s[2:3], vcc
	s_cbranch_execz .LBB59_172
; %bb.171:
	s_waitcnt lgkmcnt(2)
	v_and_b32_e32 v11, 1, v10
	s_waitcnt lgkmcnt(0)
	v_cmp_lt_i64_e32 vcc, v[4:5], v[2:3]
	v_cmp_eq_u32_e64 s[0:1], 1, v11
	v_and_b32_e32 v6, 1, v7
	s_and_b64 vcc, s[0:1], vcc
	v_cndmask_b32_e64 v7, v7, 1, s[0:1]
	v_cndmask_b32_e32 v2, v2, v4, vcc
	v_cndmask_b32_e32 v3, v3, v5, vcc
	v_cmp_eq_u32_e32 vcc, 1, v6
	v_cndmask_b32_e32 v7, v10, v7, vcc
	v_cndmask_b32_e32 v3, v5, v3, vcc
	v_cndmask_b32_e32 v2, v4, v2, vcc
	v_and_b32_e32 v6, 0xff, v7
.LBB59_172:
	s_or_b64 exec, exec, s[2:3]
	v_cmp_gt_u32_e32 vcc, 60, v8
	s_waitcnt lgkmcnt(1)
	v_cndmask_b32_e64 v4, 0, 1, vcc
	v_lshlrev_b32_e32 v4, 2, v4
	s_waitcnt lgkmcnt(0)
	v_add_lshl_u32 v5, v4, v1, 2
	ds_bpermute_b32 v10, v5, v6
	ds_bpermute_b32 v4, v5, v2
	ds_bpermute_b32 v5, v5, v3
	;; [unrolled: 31-line block ×5, first 2 shown]
	v_add_u32_e32 v8, 32, v8
	v_cmp_lt_u32_e32 vcc, v8, v9
	s_and_saveexec_b64 s[2:3], vcc
	s_cbranch_execz .LBB59_180
; %bb.179:
	s_waitcnt lgkmcnt(2)
	v_and_b32_e32 v8, 1, v10
	s_waitcnt lgkmcnt(0)
	v_cmp_lt_i64_e32 vcc, v[4:5], v[2:3]
	v_cmp_eq_u32_e64 s[0:1], 1, v8
	v_and_b32_e32 v6, 1, v7
	s_and_b64 vcc, s[0:1], vcc
	v_cndmask_b32_e64 v7, v7, 1, s[0:1]
	v_cndmask_b32_e32 v2, v2, v4, vcc
	v_cndmask_b32_e32 v3, v3, v5, vcc
	v_cmp_eq_u32_e32 vcc, 1, v6
	v_cndmask_b32_e32 v7, v10, v7, vcc
	v_cndmask_b32_e32 v3, v5, v3, vcc
	v_cndmask_b32_e32 v2, v4, v2, vcc
	v_and_b32_e32 v6, 0xff, v7
.LBB59_180:
	s_or_b64 exec, exec, s[2:3]
	v_cmp_eq_u32_e32 vcc, 0, v1
	s_and_saveexec_b64 s[0:1], vcc
	s_cbranch_execz .LBB59_182
; %bb.181:
	s_waitcnt lgkmcnt(1)
	v_lshrrev_b32_e32 v4, 2, v0
	v_and_b32_e32 v4, 48, v4
	ds_write_b8 v4, v7 offset:256
	ds_write_b64 v4, v[2:3] offset:264
.LBB59_182:
	s_or_b64 exec, exec, s[0:1]
	v_cmp_gt_u32_e32 vcc, 4, v0
	s_waitcnt lgkmcnt(0)
	s_barrier
	s_and_saveexec_b64 s[2:3], vcc
	s_cbranch_execz .LBB59_188
; %bb.183:
	v_lshlrev_b32_e32 v2, 4, v1
	ds_read_u8 v7, v2 offset:256
	ds_read_b64 v[2:3], v2 offset:264
	v_and_b32_e32 v8, 3, v1
	v_cmp_ne_u32_e32 vcc, 3, v8
	v_addc_co_u32_e32 v4, vcc, 0, v1, vcc
	s_waitcnt lgkmcnt(1)
	v_and_b32_e32 v6, 0xff, v7
	v_lshlrev_b32_e32 v5, 2, v4
	ds_bpermute_b32 v9, v5, v6
	s_waitcnt lgkmcnt(1)
	ds_bpermute_b32 v4, v5, v2
	ds_bpermute_b32 v5, v5, v3
	s_add_i32 s8, s8, 63
	s_lshr_b32 s12, s8, 6
	v_add_u32_e32 v10, 1, v8
	v_cmp_gt_u32_e32 vcc, s12, v10
	s_and_saveexec_b64 s[8:9], vcc
	s_cbranch_execz .LBB59_185
; %bb.184:
	s_waitcnt lgkmcnt(2)
	v_and_b32_e32 v10, 1, v9
	s_waitcnt lgkmcnt(0)
	v_cmp_lt_i64_e32 vcc, v[4:5], v[2:3]
	v_cmp_eq_u32_e64 s[0:1], 1, v10
	v_and_b32_e32 v6, 1, v7
	s_and_b64 vcc, s[0:1], vcc
	v_cndmask_b32_e64 v7, v7, 1, s[0:1]
	v_cndmask_b32_e32 v2, v2, v4, vcc
	v_cndmask_b32_e32 v3, v3, v5, vcc
	v_cmp_eq_u32_e32 vcc, 1, v6
	v_cndmask_b32_e32 v7, v9, v7, vcc
	v_cndmask_b32_e32 v3, v5, v3, vcc
	v_cndmask_b32_e32 v2, v4, v2, vcc
	v_and_b32_e32 v6, 0xff, v7
.LBB59_185:
	s_or_b64 exec, exec, s[8:9]
	v_cmp_gt_u32_e32 vcc, 2, v8
	s_waitcnt lgkmcnt(1)
	v_cndmask_b32_e64 v4, 0, 1, vcc
	v_lshlrev_b32_e32 v4, 1, v4
	s_waitcnt lgkmcnt(0)
	v_add_lshl_u32 v5, v4, v1, 2
	ds_bpermute_b32 v1, v5, v6
	ds_bpermute_b32 v4, v5, v2
	;; [unrolled: 1-line block ×3, first 2 shown]
	v_add_u32_e32 v8, 2, v8
	v_cmp_gt_u32_e32 vcc, s12, v8
	s_and_saveexec_b64 s[8:9], vcc
	s_cbranch_execz .LBB59_187
; %bb.186:
	s_waitcnt lgkmcnt(2)
	v_and_b32_e32 v8, 1, v1
	s_waitcnt lgkmcnt(0)
	v_cmp_lt_i64_e32 vcc, v[4:5], v[2:3]
	v_cmp_eq_u32_e64 s[0:1], 1, v8
	v_and_b32_e32 v6, 1, v7
	s_and_b64 vcc, s[0:1], vcc
	v_cndmask_b32_e64 v7, v7, 1, s[0:1]
	v_cndmask_b32_e32 v2, v2, v4, vcc
	v_cndmask_b32_e32 v3, v3, v5, vcc
	v_cmp_eq_u32_e32 vcc, 1, v6
	v_cndmask_b32_e32 v1, v1, v7, vcc
	v_cndmask_b32_e32 v3, v5, v3, vcc
	;; [unrolled: 1-line block ×3, first 2 shown]
	v_and_b32_e32 v6, 0xff, v1
.LBB59_187:
	s_or_b64 exec, exec, s[8:9]
.LBB59_188:
	s_or_b64 exec, exec, s[2:3]
.LBB59_189:
	v_cmp_eq_u32_e32 vcc, 0, v0
                                        ; implicit-def: $vgpr4_vgpr5
                                        ; implicit-def: $vgpr1
	s_and_saveexec_b64 s[0:1], vcc
	s_xor_b64 s[8:9], exec, s[0:1]
	s_cbranch_execz .LBB59_193
; %bb.190:
	s_cmp_eq_u64 s[22:23], 0
	s_waitcnt lgkmcnt(0)
	v_pk_mov_b32 v[4:5], s[18:19], s[18:19] op_sel:[0,1]
	v_mov_b32_e32 v1, s28
	s_cbranch_scc1 .LBB59_192
; %bb.191:
	v_and_b32_e32 v1, 1, v6
	s_bitcmp1_b32 s28, 0
	v_mov_b32_e32 v4, s28
	v_cmp_eq_u32_e32 vcc, 1, v1
	v_cmp_gt_i64_e64 s[2:3], s[18:19], v[2:3]
	v_cndmask_b32_e64 v1, v4, 1, vcc
	s_cselect_b64 s[0:1], -1, 0
	v_mov_b32_e32 v4, s18
	s_and_b64 vcc, vcc, s[2:3]
	v_mov_b32_e32 v5, s19
	v_cndmask_b32_e32 v4, v4, v2, vcc
	v_cndmask_b32_e32 v5, v5, v3, vcc
	v_cndmask_b32_e64 v1, v6, v1, s[0:1]
	v_cndmask_b32_e64 v5, v3, v5, s[0:1]
	;; [unrolled: 1-line block ×3, first 2 shown]
.LBB59_192:
	s_or_b64 s[10:11], s[10:11], exec
.LBB59_193:
	s_or_b64 exec, exec, s[8:9]
	s_branch .LBB59_214
.LBB59_194:
	s_cmp_eq_u32 s29, 1
	s_cbranch_scc0 .LBB59_213
; %bb.195:
	s_mov_b32 s3, 0
	s_lshl_b32 s2, s6, 8
	s_mov_b32 s7, s3
	s_lshr_b64 s[0:1], s[22:23], 8
	s_cmp_lg_u64 s[0:1], s[6:7]
	s_cbranch_scc0 .LBB59_217
; %bb.196:
	s_lshl_b64 s[0:1], s[2:3], 4
	s_add_u32 s0, s20, s0
	s_addc_u32 s1, s21, s1
	s_waitcnt lgkmcnt(2)
	v_lshlrev_b32_e32 v1, 4, v0
	s_waitcnt lgkmcnt(1)
	global_load_ubyte v4, v1, s[0:1]
	global_load_dwordx2 v[2:3], v1, s[0:1] offset:8
	s_waitcnt vmcnt(1)
	v_and_b32_e32 v1, 1, v4
	s_nop 1
	v_mov_b32_dpp v6, v1 quad_perm:[1,0,3,2] row_mask:0xf bank_mask:0xf bound_ctrl:1
	v_and_b32_e32 v7, 1, v6
	s_waitcnt vmcnt(0)
	v_mov_b32_dpp v4, v2 quad_perm:[1,0,3,2] row_mask:0xf bank_mask:0xf bound_ctrl:1
	s_waitcnt lgkmcnt(0)
	v_mov_b32_dpp v5, v3 quad_perm:[1,0,3,2] row_mask:0xf bank_mask:0xf bound_ctrl:1
	v_cmp_eq_u32_e32 vcc, 1, v7
	v_cmp_eq_u32_e64 s[0:1], 1, v1
	s_and_saveexec_b64 s[8:9], vcc
; %bb.197:
	v_cmp_lt_i64_e32 vcc, v[2:3], v[4:5]
	v_cndmask_b32_e64 v6, v6, 1, s[0:1]
	s_and_b64 vcc, s[0:1], vcc
	v_cndmask_b32_e32 v2, v4, v2, vcc
	v_and_b32_e32 v4, 1, v6
	v_cndmask_b32_e32 v3, v5, v3, vcc
	v_cmp_eq_u32_e32 vcc, 1, v4
	s_andn2_b64 s[0:1], s[0:1], exec
	s_and_b64 s[12:13], vcc, exec
	v_and_b32_e32 v1, 0xff, v6
	s_or_b64 s[0:1], s[0:1], s[12:13]
; %bb.198:
	s_or_b64 exec, exec, s[8:9]
	v_mov_b32_dpp v6, v1 quad_perm:[2,3,0,1] row_mask:0xf bank_mask:0xf bound_ctrl:1
	v_and_b32_e32 v7, 1, v6
	v_mov_b32_dpp v4, v2 quad_perm:[2,3,0,1] row_mask:0xf bank_mask:0xf bound_ctrl:1
	v_mov_b32_dpp v5, v3 quad_perm:[2,3,0,1] row_mask:0xf bank_mask:0xf bound_ctrl:1
	v_cmp_eq_u32_e32 vcc, 1, v7
	s_and_saveexec_b64 s[8:9], vcc
; %bb.199:
	v_cmp_lt_i64_e32 vcc, v[2:3], v[4:5]
	v_cndmask_b32_e64 v6, v6, 1, s[0:1]
	s_and_b64 vcc, s[0:1], vcc
	v_cndmask_b32_e32 v2, v4, v2, vcc
	v_and_b32_e32 v4, 1, v6
	v_cndmask_b32_e32 v3, v5, v3, vcc
	v_cmp_eq_u32_e32 vcc, 1, v4
	s_andn2_b64 s[0:1], s[0:1], exec
	s_and_b64 s[12:13], vcc, exec
	v_and_b32_e32 v1, 0xff, v6
	s_or_b64 s[0:1], s[0:1], s[12:13]
; %bb.200:
	s_or_b64 exec, exec, s[8:9]
	v_mov_b32_dpp v6, v1 row_ror:4 row_mask:0xf bank_mask:0xf bound_ctrl:1
	v_and_b32_e32 v7, 1, v6
	v_mov_b32_dpp v4, v2 row_ror:4 row_mask:0xf bank_mask:0xf bound_ctrl:1
	v_mov_b32_dpp v5, v3 row_ror:4 row_mask:0xf bank_mask:0xf bound_ctrl:1
	v_cmp_eq_u32_e32 vcc, 1, v7
	s_and_saveexec_b64 s[8:9], vcc
; %bb.201:
	v_cmp_lt_i64_e32 vcc, v[2:3], v[4:5]
	v_cndmask_b32_e64 v6, v6, 1, s[0:1]
	s_and_b64 vcc, s[0:1], vcc
	v_cndmask_b32_e32 v2, v4, v2, vcc
	v_and_b32_e32 v4, 1, v6
	v_cndmask_b32_e32 v3, v5, v3, vcc
	v_cmp_eq_u32_e32 vcc, 1, v4
	s_andn2_b64 s[0:1], s[0:1], exec
	s_and_b64 s[12:13], vcc, exec
	v_and_b32_e32 v1, 0xff, v6
	s_or_b64 s[0:1], s[0:1], s[12:13]
; %bb.202:
	s_or_b64 exec, exec, s[8:9]
	v_mov_b32_dpp v6, v1 row_ror:8 row_mask:0xf bank_mask:0xf bound_ctrl:1
	v_and_b32_e32 v7, 1, v6
	v_mov_b32_dpp v4, v2 row_ror:8 row_mask:0xf bank_mask:0xf bound_ctrl:1
	v_mov_b32_dpp v5, v3 row_ror:8 row_mask:0xf bank_mask:0xf bound_ctrl:1
	v_cmp_eq_u32_e32 vcc, 1, v7
	s_and_saveexec_b64 s[8:9], vcc
; %bb.203:
	v_cmp_lt_i64_e32 vcc, v[2:3], v[4:5]
	v_cndmask_b32_e64 v6, v6, 1, s[0:1]
	s_and_b64 vcc, s[0:1], vcc
	v_cndmask_b32_e32 v2, v4, v2, vcc
	v_and_b32_e32 v4, 1, v6
	v_cndmask_b32_e32 v3, v5, v3, vcc
	v_cmp_eq_u32_e32 vcc, 1, v4
	s_andn2_b64 s[0:1], s[0:1], exec
	s_and_b64 s[12:13], vcc, exec
	v_and_b32_e32 v1, 0xff, v6
	s_or_b64 s[0:1], s[0:1], s[12:13]
; %bb.204:
	s_or_b64 exec, exec, s[8:9]
	v_mov_b32_dpp v6, v1 row_bcast:15 row_mask:0xf bank_mask:0xf bound_ctrl:1
	v_and_b32_e32 v7, 1, v6
	v_mov_b32_dpp v4, v2 row_bcast:15 row_mask:0xf bank_mask:0xf bound_ctrl:1
	v_mov_b32_dpp v5, v3 row_bcast:15 row_mask:0xf bank_mask:0xf bound_ctrl:1
	v_cmp_eq_u32_e32 vcc, 1, v7
	s_and_saveexec_b64 s[8:9], vcc
; %bb.205:
	v_cmp_lt_i64_e32 vcc, v[2:3], v[4:5]
	v_cndmask_b32_e64 v6, v6, 1, s[0:1]
	s_and_b64 vcc, s[0:1], vcc
	v_cndmask_b32_e32 v2, v4, v2, vcc
	v_and_b32_e32 v4, 1, v6
	v_cndmask_b32_e32 v3, v5, v3, vcc
	v_cmp_eq_u32_e32 vcc, 1, v4
	s_andn2_b64 s[0:1], s[0:1], exec
	s_and_b64 s[12:13], vcc, exec
	v_and_b32_e32 v1, 0xff, v6
	s_or_b64 s[0:1], s[0:1], s[12:13]
; %bb.206:
	s_or_b64 exec, exec, s[8:9]
	v_mov_b32_dpp v6, v1 row_bcast:31 row_mask:0xf bank_mask:0xf bound_ctrl:1
	v_and_b32_e32 v7, 1, v6
	v_mov_b32_dpp v4, v2 row_bcast:31 row_mask:0xf bank_mask:0xf bound_ctrl:1
	v_mov_b32_dpp v5, v3 row_bcast:31 row_mask:0xf bank_mask:0xf bound_ctrl:1
	v_cmp_eq_u32_e32 vcc, 1, v7
	s_and_saveexec_b64 s[8:9], vcc
; %bb.207:
	v_cmp_lt_i64_e32 vcc, v[2:3], v[4:5]
	v_and_b32_e32 v1, 0xff, v6
	s_and_b64 vcc, s[0:1], vcc
	v_cndmask_b32_e32 v2, v4, v2, vcc
	v_cndmask_b32_e32 v3, v5, v3, vcc
	v_cndmask_b32_e64 v1, v1, 1, s[0:1]
; %bb.208:
	s_or_b64 exec, exec, s[8:9]
	v_mbcnt_lo_u32_b32 v4, -1, 0
	v_mbcnt_hi_u32_b32 v4, -1, v4
	v_bfrev_b32_e32 v5, 0.5
	v_lshl_or_b32 v5, v4, 2, v5
	ds_bpermute_b32 v6, v5, v1
	ds_bpermute_b32 v2, v5, v2
	;; [unrolled: 1-line block ×3, first 2 shown]
	v_cmp_eq_u32_e32 vcc, 0, v4
	s_and_saveexec_b64 s[0:1], vcc
	s_cbranch_execz .LBB59_210
; %bb.209:
	v_lshrrev_b32_e32 v1, 2, v0
	v_and_b32_e32 v1, 48, v1
	s_waitcnt lgkmcnt(2)
	ds_write_b8 v1, v6
	s_waitcnt lgkmcnt(1)
	ds_write_b64 v1, v[2:3] offset:8
.LBB59_210:
	s_or_b64 exec, exec, s[0:1]
	v_cmp_gt_u32_e32 vcc, 64, v0
	s_waitcnt lgkmcnt(0)
	s_barrier
	s_and_saveexec_b64 s[8:9], vcc
	s_cbranch_execz .LBB59_212
; %bb.211:
	v_and_b32_e32 v1, 3, v4
	v_lshlrev_b32_e32 v2, 4, v1
	ds_read_u8 v5, v2
	ds_read_b64 v[2:3], v2 offset:8
	v_cmp_ne_u32_e32 vcc, 3, v1
	v_addc_co_u32_e32 v6, vcc, 0, v4, vcc
	s_waitcnt lgkmcnt(1)
	v_and_b32_e32 v7, 0xff, v5
	v_lshlrev_b32_e32 v8, 2, v6
	ds_bpermute_b32 v9, v8, v7
	s_waitcnt lgkmcnt(1)
	ds_bpermute_b32 v6, v8, v2
	ds_bpermute_b32 v7, v8, v3
	v_and_b32_e32 v8, 1, v5
	s_waitcnt lgkmcnt(2)
	v_and_b32_e32 v10, 1, v9
	v_cmp_eq_u32_e64 s[0:1], 1, v10
	s_waitcnt lgkmcnt(0)
	v_cmp_lt_i64_e32 vcc, v[6:7], v[2:3]
	s_and_b64 vcc, s[0:1], vcc
	v_cndmask_b32_e64 v5, v5, 1, s[0:1]
	v_cndmask_b32_e32 v2, v2, v6, vcc
	v_cndmask_b32_e32 v3, v3, v7, vcc
	v_cmp_eq_u32_e32 vcc, 1, v8
	v_cndmask_b32_e32 v8, v9, v5, vcc
	v_cndmask_b32_e32 v3, v7, v3, vcc
	;; [unrolled: 1-line block ×3, first 2 shown]
	v_cmp_gt_u32_e32 vcc, 2, v1
	v_cndmask_b32_e64 v1, 0, 1, vcc
	v_lshlrev_b32_e32 v1, 1, v1
	v_and_b32_e32 v5, 0xff, v8
	v_add_lshl_u32 v1, v1, v4, 2
	ds_bpermute_b32 v6, v1, v5
	ds_bpermute_b32 v4, v1, v2
	;; [unrolled: 1-line block ×3, first 2 shown]
	v_and_b32_e32 v1, 1, v8
	s_waitcnt lgkmcnt(2)
	v_and_b32_e32 v7, 1, v6
	v_cmp_eq_u32_e64 s[0:1], 1, v7
	s_waitcnt lgkmcnt(0)
	v_cmp_lt_i64_e32 vcc, v[4:5], v[2:3]
	s_and_b64 vcc, s[0:1], vcc
	v_cndmask_b32_e64 v7, v8, 1, s[0:1]
	v_cndmask_b32_e32 v2, v2, v4, vcc
	v_cndmask_b32_e32 v3, v3, v5, vcc
	v_cmp_eq_u32_e32 vcc, 1, v1
	v_cndmask_b32_e32 v1, v6, v7, vcc
	v_cndmask_b32_e32 v3, v5, v3, vcc
	;; [unrolled: 1-line block ×3, first 2 shown]
	v_and_b32_e32 v6, 0xff, v1
.LBB59_212:
	s_or_b64 exec, exec, s[8:9]
	s_branch .LBB59_241
.LBB59_213:
                                        ; implicit-def: $vgpr4_vgpr5
                                        ; implicit-def: $vgpr1
                                        ; implicit-def: $sgpr6_sgpr7
.LBB59_214:
	s_and_saveexec_b64 s[0:1], s[10:11]
	s_cbranch_execz .LBB59_216
.LBB59_215:
	s_load_dwordx2 s[0:1], s[4:5], 0x18
	s_lshl_b64 s[2:3], s[6:7], 4
	v_mov_b32_e32 v0, 0
	s_waitcnt lgkmcnt(0)
	s_add_u32 s0, s0, s2
	s_addc_u32 s1, s1, s3
	global_store_byte v0, v1, s[0:1]
	global_store_dwordx2 v0, v[4:5], s[0:1] offset:8
.LBB59_216:
	s_endpgm
.LBB59_217:
                                        ; implicit-def: $vgpr2_vgpr3
                                        ; implicit-def: $vgpr6
	s_cbranch_execz .LBB59_241
; %bb.218:
	s_sub_i32 s8, s22, s2
	v_cmp_gt_u32_e32 vcc, s8, v0
	v_pk_mov_b32 v[2:3], 0, 0
	v_mov_b32_e32 v7, 0
	s_and_saveexec_b64 s[0:1], vcc
	s_cbranch_execz .LBB59_220
; %bb.219:
	s_lshl_b64 s[2:3], s[2:3], 4
	s_add_u32 s2, s20, s2
	s_addc_u32 s3, s21, s3
	s_waitcnt lgkmcnt(2)
	v_lshlrev_b32_e32 v1, 4, v0
	global_load_ubyte v7, v1, s[2:3]
	global_load_dwordx2 v[2:3], v1, s[2:3] offset:8
.LBB59_220:
	s_or_b64 exec, exec, s[0:1]
	s_waitcnt lgkmcnt(2)
	v_mbcnt_lo_u32_b32 v1, -1, 0
	v_mbcnt_hi_u32_b32 v1, -1, v1
	v_and_b32_e32 v8, 63, v1
	v_cmp_ne_u32_e32 vcc, 63, v8
	s_waitcnt lgkmcnt(1)
	v_addc_co_u32_e32 v4, vcc, 0, v1, vcc
	s_waitcnt vmcnt(1)
	v_and_b32_e32 v6, 0xff, v7
	s_waitcnt lgkmcnt(0)
	v_lshlrev_b32_e32 v5, 2, v4
	ds_bpermute_b32 v10, v5, v6
	s_waitcnt vmcnt(0)
	ds_bpermute_b32 v4, v5, v2
	ds_bpermute_b32 v5, v5, v3
	s_min_u32 s8, s8, 0x100
	v_and_b32_e32 v9, 0xc0, v0
	v_sub_u32_e64 v9, s8, v9 clamp
	v_add_u32_e32 v11, 1, v8
	v_cmp_lt_u32_e32 vcc, v11, v9
	s_and_saveexec_b64 s[2:3], vcc
	s_cbranch_execz .LBB59_222
; %bb.221:
	s_waitcnt lgkmcnt(2)
	v_and_b32_e32 v11, 1, v10
	s_waitcnt lgkmcnt(0)
	v_cmp_lt_i64_e32 vcc, v[4:5], v[2:3]
	v_cmp_eq_u32_e64 s[0:1], 1, v11
	v_and_b32_e32 v6, 1, v7
	s_and_b64 vcc, s[0:1], vcc
	v_cndmask_b32_e64 v7, v7, 1, s[0:1]
	v_cndmask_b32_e32 v2, v2, v4, vcc
	v_cndmask_b32_e32 v3, v3, v5, vcc
	v_cmp_eq_u32_e32 vcc, 1, v6
	v_cndmask_b32_e32 v7, v10, v7, vcc
	v_cndmask_b32_e32 v3, v5, v3, vcc
	v_cndmask_b32_e32 v2, v4, v2, vcc
	v_and_b32_e32 v6, 0xff, v7
.LBB59_222:
	s_or_b64 exec, exec, s[2:3]
	v_cmp_gt_u32_e32 vcc, 62, v8
	s_waitcnt lgkmcnt(1)
	v_cndmask_b32_e64 v4, 0, 1, vcc
	v_lshlrev_b32_e32 v4, 1, v4
	s_waitcnt lgkmcnt(0)
	v_add_lshl_u32 v5, v4, v1, 2
	ds_bpermute_b32 v10, v5, v6
	ds_bpermute_b32 v4, v5, v2
	ds_bpermute_b32 v5, v5, v3
	v_add_u32_e32 v11, 2, v8
	v_cmp_lt_u32_e32 vcc, v11, v9
	s_and_saveexec_b64 s[2:3], vcc
	s_cbranch_execz .LBB59_224
; %bb.223:
	s_waitcnt lgkmcnt(2)
	v_and_b32_e32 v11, 1, v10
	s_waitcnt lgkmcnt(0)
	v_cmp_lt_i64_e32 vcc, v[4:5], v[2:3]
	v_cmp_eq_u32_e64 s[0:1], 1, v11
	v_and_b32_e32 v6, 1, v7
	s_and_b64 vcc, s[0:1], vcc
	v_cndmask_b32_e64 v7, v7, 1, s[0:1]
	v_cndmask_b32_e32 v2, v2, v4, vcc
	v_cndmask_b32_e32 v3, v3, v5, vcc
	v_cmp_eq_u32_e32 vcc, 1, v6
	v_cndmask_b32_e32 v7, v10, v7, vcc
	v_cndmask_b32_e32 v3, v5, v3, vcc
	v_cndmask_b32_e32 v2, v4, v2, vcc
	v_and_b32_e32 v6, 0xff, v7
.LBB59_224:
	s_or_b64 exec, exec, s[2:3]
	v_cmp_gt_u32_e32 vcc, 60, v8
	s_waitcnt lgkmcnt(1)
	v_cndmask_b32_e64 v4, 0, 1, vcc
	v_lshlrev_b32_e32 v4, 2, v4
	s_waitcnt lgkmcnt(0)
	v_add_lshl_u32 v5, v4, v1, 2
	ds_bpermute_b32 v10, v5, v6
	ds_bpermute_b32 v4, v5, v2
	ds_bpermute_b32 v5, v5, v3
	;; [unrolled: 31-line block ×5, first 2 shown]
	v_add_u32_e32 v8, 32, v8
	v_cmp_lt_u32_e32 vcc, v8, v9
	s_and_saveexec_b64 s[2:3], vcc
	s_cbranch_execz .LBB59_232
; %bb.231:
	s_waitcnt lgkmcnt(2)
	v_and_b32_e32 v8, 1, v10
	s_waitcnt lgkmcnt(0)
	v_cmp_lt_i64_e32 vcc, v[4:5], v[2:3]
	v_cmp_eq_u32_e64 s[0:1], 1, v8
	v_and_b32_e32 v6, 1, v7
	s_and_b64 vcc, s[0:1], vcc
	v_cndmask_b32_e64 v7, v7, 1, s[0:1]
	v_cndmask_b32_e32 v2, v2, v4, vcc
	v_cndmask_b32_e32 v3, v3, v5, vcc
	v_cmp_eq_u32_e32 vcc, 1, v6
	v_cndmask_b32_e32 v7, v10, v7, vcc
	v_cndmask_b32_e32 v3, v5, v3, vcc
	;; [unrolled: 1-line block ×3, first 2 shown]
	v_and_b32_e32 v6, 0xff, v7
.LBB59_232:
	s_or_b64 exec, exec, s[2:3]
	v_cmp_eq_u32_e32 vcc, 0, v1
	s_and_saveexec_b64 s[0:1], vcc
	s_cbranch_execz .LBB59_234
; %bb.233:
	s_waitcnt lgkmcnt(1)
	v_lshrrev_b32_e32 v4, 2, v0
	v_and_b32_e32 v4, 48, v4
	ds_write_b8 v4, v7 offset:256
	ds_write_b64 v4, v[2:3] offset:264
.LBB59_234:
	s_or_b64 exec, exec, s[0:1]
	v_cmp_gt_u32_e32 vcc, 4, v0
	s_waitcnt lgkmcnt(0)
	s_barrier
	s_and_saveexec_b64 s[2:3], vcc
	s_cbranch_execz .LBB59_240
; %bb.235:
	v_lshlrev_b32_e32 v2, 4, v1
	ds_read_u8 v7, v2 offset:256
	ds_read_b64 v[2:3], v2 offset:264
	v_and_b32_e32 v8, 3, v1
	v_cmp_ne_u32_e32 vcc, 3, v8
	v_addc_co_u32_e32 v4, vcc, 0, v1, vcc
	s_waitcnt lgkmcnt(1)
	v_and_b32_e32 v6, 0xff, v7
	v_lshlrev_b32_e32 v5, 2, v4
	ds_bpermute_b32 v9, v5, v6
	s_waitcnt lgkmcnt(1)
	ds_bpermute_b32 v4, v5, v2
	ds_bpermute_b32 v5, v5, v3
	s_add_i32 s8, s8, 63
	s_lshr_b32 s12, s8, 6
	v_add_u32_e32 v10, 1, v8
	v_cmp_gt_u32_e32 vcc, s12, v10
	s_and_saveexec_b64 s[8:9], vcc
	s_cbranch_execz .LBB59_237
; %bb.236:
	s_waitcnt lgkmcnt(2)
	v_and_b32_e32 v10, 1, v9
	s_waitcnt lgkmcnt(0)
	v_cmp_lt_i64_e32 vcc, v[4:5], v[2:3]
	v_cmp_eq_u32_e64 s[0:1], 1, v10
	v_and_b32_e32 v6, 1, v7
	s_and_b64 vcc, s[0:1], vcc
	v_cndmask_b32_e64 v7, v7, 1, s[0:1]
	v_cndmask_b32_e32 v2, v2, v4, vcc
	v_cndmask_b32_e32 v3, v3, v5, vcc
	v_cmp_eq_u32_e32 vcc, 1, v6
	v_cndmask_b32_e32 v7, v9, v7, vcc
	v_cndmask_b32_e32 v3, v5, v3, vcc
	;; [unrolled: 1-line block ×3, first 2 shown]
	v_and_b32_e32 v6, 0xff, v7
.LBB59_237:
	s_or_b64 exec, exec, s[8:9]
	v_cmp_gt_u32_e32 vcc, 2, v8
	s_waitcnt lgkmcnt(1)
	v_cndmask_b32_e64 v4, 0, 1, vcc
	v_lshlrev_b32_e32 v4, 1, v4
	s_waitcnt lgkmcnt(0)
	v_add_lshl_u32 v5, v4, v1, 2
	ds_bpermute_b32 v1, v5, v6
	ds_bpermute_b32 v4, v5, v2
	;; [unrolled: 1-line block ×3, first 2 shown]
	v_add_u32_e32 v8, 2, v8
	v_cmp_gt_u32_e32 vcc, s12, v8
	s_and_saveexec_b64 s[8:9], vcc
	s_cbranch_execz .LBB59_239
; %bb.238:
	s_waitcnt lgkmcnt(2)
	v_and_b32_e32 v8, 1, v1
	s_waitcnt lgkmcnt(0)
	v_cmp_lt_i64_e32 vcc, v[4:5], v[2:3]
	v_cmp_eq_u32_e64 s[0:1], 1, v8
	v_and_b32_e32 v6, 1, v7
	s_and_b64 vcc, s[0:1], vcc
	v_cndmask_b32_e64 v7, v7, 1, s[0:1]
	v_cndmask_b32_e32 v2, v2, v4, vcc
	v_cndmask_b32_e32 v3, v3, v5, vcc
	v_cmp_eq_u32_e32 vcc, 1, v6
	v_cndmask_b32_e32 v1, v1, v7, vcc
	v_cndmask_b32_e32 v3, v5, v3, vcc
	;; [unrolled: 1-line block ×3, first 2 shown]
	v_and_b32_e32 v6, 0xff, v1
.LBB59_239:
	s_or_b64 exec, exec, s[8:9]
.LBB59_240:
	s_or_b64 exec, exec, s[2:3]
.LBB59_241:
	v_cmp_eq_u32_e32 vcc, 0, v0
                                        ; implicit-def: $vgpr4_vgpr5
                                        ; implicit-def: $vgpr1
	s_and_saveexec_b64 s[8:9], vcc
	s_cbranch_execz .LBB59_245
; %bb.242:
	s_cmp_eq_u64 s[22:23], 0
	s_waitcnt lgkmcnt(0)
	v_pk_mov_b32 v[4:5], s[18:19], s[18:19] op_sel:[0,1]
	v_mov_b32_e32 v1, s28
	s_cbranch_scc1 .LBB59_244
; %bb.243:
	v_and_b32_e32 v0, 1, v6
	s_bitcmp1_b32 s28, 0
	v_mov_b32_e32 v1, s28
	v_cmp_eq_u32_e32 vcc, 1, v0
	v_cmp_gt_i64_e64 s[2:3], s[18:19], v[2:3]
	v_cndmask_b32_e64 v0, v1, 1, vcc
	s_cselect_b64 s[0:1], -1, 0
	v_mov_b32_e32 v1, s18
	s_and_b64 vcc, vcc, s[2:3]
	v_cndmask_b32_e32 v4, v1, v2, vcc
	v_mov_b32_e32 v1, s19
	v_cndmask_b32_e32 v5, v1, v3, vcc
	v_cndmask_b32_e64 v1, v6, v0, s[0:1]
	v_cndmask_b32_e64 v5, v3, v5, s[0:1]
	;; [unrolled: 1-line block ×3, first 2 shown]
.LBB59_244:
	s_or_b64 s[10:11], s[10:11], exec
.LBB59_245:
	s_or_b64 exec, exec, s[8:9]
	s_and_saveexec_b64 s[0:1], s[10:11]
	s_cbranch_execnz .LBB59_215
	s_branch .LBB59_216
.LBB59_246:
	v_lshlrev_b32_e32 v25, 4, v25
	global_load_ubyte v1, v25, s[16:17]
	global_load_dwordx2 v[4:5], v25, s[16:17] offset:8
	s_or_b64 exec, exec, s[26:27]
	s_and_saveexec_b64 s[26:27], s[14:15]
	s_cbranch_execz .LBB59_65
.LBB59_247:
	s_waitcnt vmcnt(1)
	v_and_b32_e32 v26, 1, v23
	s_waitcnt vmcnt(0)
	v_cmp_lt_i64_e64 s[14:15], v[14:15], v[2:3]
	v_cmp_eq_u32_e64 s[16:17], 1, v26
	v_and_b32_e32 v25, 1, v18
	s_and_b64 s[14:15], s[16:17], s[14:15]
	v_cndmask_b32_e64 v18, v18, 1, s[16:17]
	v_cndmask_b32_e64 v2, v2, v14, s[14:15]
	;; [unrolled: 1-line block ×3, first 2 shown]
	v_cmp_eq_u32_e64 s[14:15], 1, v25
	v_cndmask_b32_e64 v18, v23, v18, s[14:15]
	v_cndmask_b32_e64 v3, v15, v3, s[14:15]
	;; [unrolled: 1-line block ×3, first 2 shown]
	s_or_b64 exec, exec, s[26:27]
	s_and_saveexec_b64 s[16:17], s[12:13]
	s_cbranch_execz .LBB59_66
.LBB59_248:
	s_waitcnt vmcnt(0)
	v_and_b32_e32 v15, 1, v24
	v_cmp_lt_i64_e64 s[12:13], v[16:17], v[2:3]
	v_cmp_eq_u32_e64 s[14:15], 1, v15
	v_and_b32_e32 v14, 1, v18
	s_and_b64 s[12:13], s[14:15], s[12:13]
	v_cndmask_b32_e64 v15, v18, 1, s[14:15]
	v_cndmask_b32_e64 v2, v2, v16, s[12:13]
	;; [unrolled: 1-line block ×3, first 2 shown]
	v_cmp_eq_u32_e64 s[12:13], 1, v14
	v_cndmask_b32_e64 v18, v24, v15, s[12:13]
	v_cndmask_b32_e64 v3, v17, v3, s[12:13]
	;; [unrolled: 1-line block ×3, first 2 shown]
	s_or_b64 exec, exec, s[16:17]
	s_and_saveexec_b64 s[14:15], s[10:11]
	s_cbranch_execz .LBB59_67
.LBB59_249:
	s_waitcnt vmcnt(0)
	v_and_b32_e32 v15, 1, v21
	v_cmp_lt_i64_e64 s[10:11], v[10:11], v[2:3]
	v_cmp_eq_u32_e64 s[12:13], 1, v15
	v_and_b32_e32 v14, 1, v18
	s_and_b64 s[10:11], s[12:13], s[10:11]
	v_cndmask_b32_e64 v15, v18, 1, s[12:13]
	v_cndmask_b32_e64 v2, v2, v10, s[10:11]
	v_cndmask_b32_e64 v3, v3, v11, s[10:11]
	v_cmp_eq_u32_e64 s[10:11], 1, v14
	v_cndmask_b32_e64 v18, v21, v15, s[10:11]
	v_cndmask_b32_e64 v3, v11, v3, s[10:11]
	;; [unrolled: 1-line block ×3, first 2 shown]
	s_or_b64 exec, exec, s[14:15]
	s_and_saveexec_b64 s[12:13], s[8:9]
	s_cbranch_execz .LBB59_68
.LBB59_250:
	s_waitcnt vmcnt(0)
	v_and_b32_e32 v11, 1, v22
	v_cmp_lt_i64_e64 s[8:9], v[12:13], v[2:3]
	v_cmp_eq_u32_e64 s[10:11], 1, v11
	v_and_b32_e32 v10, 1, v18
	s_and_b64 s[8:9], s[10:11], s[8:9]
	v_cndmask_b32_e64 v11, v18, 1, s[10:11]
	v_cndmask_b32_e64 v2, v2, v12, s[8:9]
	;; [unrolled: 1-line block ×3, first 2 shown]
	v_cmp_eq_u32_e64 s[8:9], 1, v10
	v_cndmask_b32_e64 v18, v22, v11, s[8:9]
	v_cndmask_b32_e64 v3, v13, v3, s[8:9]
	;; [unrolled: 1-line block ×3, first 2 shown]
	s_or_b64 exec, exec, s[12:13]
	s_and_saveexec_b64 s[10:11], s[2:3]
	s_cbranch_execz .LBB59_69
.LBB59_251:
	s_waitcnt vmcnt(0)
	v_and_b32_e32 v11, 1, v19
	v_cmp_lt_i64_e64 s[2:3], v[6:7], v[2:3]
	v_cmp_eq_u32_e64 s[8:9], 1, v11
	v_and_b32_e32 v10, 1, v18
	s_and_b64 s[2:3], s[8:9], s[2:3]
	v_cndmask_b32_e64 v11, v18, 1, s[8:9]
	v_cndmask_b32_e64 v2, v2, v6, s[2:3]
	;; [unrolled: 1-line block ×3, first 2 shown]
	v_cmp_eq_u32_e64 s[2:3], 1, v10
	v_cndmask_b32_e64 v18, v19, v11, s[2:3]
	v_cndmask_b32_e64 v3, v7, v3, s[2:3]
	;; [unrolled: 1-line block ×3, first 2 shown]
	s_or_b64 exec, exec, s[10:11]
	s_and_saveexec_b64 s[8:9], s[0:1]
	s_cbranch_execz .LBB59_70
.LBB59_252:
	s_waitcnt vmcnt(0)
	v_and_b32_e32 v7, 1, v20
	v_cmp_lt_i64_e64 s[0:1], v[8:9], v[2:3]
	v_cmp_eq_u32_e64 s[2:3], 1, v7
	v_and_b32_e32 v6, 1, v18
	s_and_b64 s[0:1], s[2:3], s[0:1]
	v_cndmask_b32_e64 v7, v18, 1, s[2:3]
	v_cndmask_b32_e64 v2, v2, v8, s[0:1]
	;; [unrolled: 1-line block ×3, first 2 shown]
	v_cmp_eq_u32_e64 s[0:1], 1, v6
	v_cndmask_b32_e64 v18, v20, v7, s[0:1]
	v_cndmask_b32_e64 v3, v9, v3, s[0:1]
	;; [unrolled: 1-line block ×3, first 2 shown]
	s_or_b64 exec, exec, s[8:9]
	s_and_saveexec_b64 s[2:3], vcc
	s_cbranch_execnz .LBB59_71
	s_branch .LBB59_72
.LBB59_253:
	v_lshlrev_b32_e32 v13, 4, v13
	global_load_ubyte v1, v13, s[8:9]
	global_load_dwordx2 v[4:5], v13, s[8:9] offset:8
	s_or_b64 exec, exec, s[12:13]
	s_and_saveexec_b64 s[12:13], s[2:3]
	s_cbranch_execz .LBB59_108
.LBB59_254:
	s_waitcnt vmcnt(1)
	v_and_b32_e32 v14, 1, v11
	s_waitcnt vmcnt(0)
	v_cmp_lt_i64_e64 s[2:3], v[6:7], v[2:3]
	v_cmp_eq_u32_e64 s[8:9], 1, v14
	v_and_b32_e32 v13, 1, v10
	s_and_b64 s[2:3], s[8:9], s[2:3]
	v_cndmask_b32_e64 v10, v10, 1, s[8:9]
	v_cndmask_b32_e64 v2, v2, v6, s[2:3]
	;; [unrolled: 1-line block ×3, first 2 shown]
	v_cmp_eq_u32_e64 s[2:3], 1, v13
	v_cndmask_b32_e64 v10, v11, v10, s[2:3]
	v_cndmask_b32_e64 v3, v7, v3, s[2:3]
	;; [unrolled: 1-line block ×3, first 2 shown]
	s_or_b64 exec, exec, s[12:13]
	s_and_saveexec_b64 s[8:9], s[0:1]
	s_cbranch_execz .LBB59_109
.LBB59_255:
	s_waitcnt vmcnt(0)
	v_and_b32_e32 v7, 1, v12
	v_cmp_lt_i64_e64 s[0:1], v[8:9], v[2:3]
	v_cmp_eq_u32_e64 s[2:3], 1, v7
	v_and_b32_e32 v6, 1, v10
	s_and_b64 s[0:1], s[2:3], s[0:1]
	v_cndmask_b32_e64 v7, v10, 1, s[2:3]
	v_cndmask_b32_e64 v2, v2, v8, s[0:1]
	;; [unrolled: 1-line block ×3, first 2 shown]
	v_cmp_eq_u32_e64 s[0:1], 1, v6
	v_cndmask_b32_e64 v10, v12, v7, s[0:1]
	v_cndmask_b32_e64 v3, v9, v3, s[0:1]
	;; [unrolled: 1-line block ×3, first 2 shown]
	s_or_b64 exec, exec, s[8:9]
	s_and_saveexec_b64 s[2:3], vcc
	s_cbranch_execnz .LBB59_110
	s_branch .LBB59_111
	.section	.rodata,"a",@progbits
	.p2align	6, 0x0
	.amdhsa_kernel _ZN7rocprim17ROCPRIM_400000_NS6detail17trampoline_kernelINS0_14default_configENS1_22reduce_config_selectorIN6thrust23THRUST_200600_302600_NS5tupleIblNS6_9null_typeES8_S8_S8_S8_S8_S8_S8_EEEEZNS1_11reduce_implILb1ES3_PS9_SC_S9_NS6_11hip_rocprim9__find_if7functorIS9_EEEE10hipError_tPvRmT1_T2_T3_mT4_P12ihipStream_tbEUlT_E1_NS1_11comp_targetILNS1_3genE4ELNS1_11target_archE910ELNS1_3gpuE8ELNS1_3repE0EEENS1_30default_config_static_selectorELNS0_4arch9wavefront6targetE1EEEvSK_
		.amdhsa_group_segment_fixed_size 320
		.amdhsa_private_segment_fixed_size 0
		.amdhsa_kernarg_size 56
		.amdhsa_user_sgpr_count 6
		.amdhsa_user_sgpr_private_segment_buffer 1
		.amdhsa_user_sgpr_dispatch_ptr 0
		.amdhsa_user_sgpr_queue_ptr 0
		.amdhsa_user_sgpr_kernarg_segment_ptr 1
		.amdhsa_user_sgpr_dispatch_id 0
		.amdhsa_user_sgpr_flat_scratch_init 0
		.amdhsa_user_sgpr_kernarg_preload_length 0
		.amdhsa_user_sgpr_kernarg_preload_offset 0
		.amdhsa_user_sgpr_private_segment_size 0
		.amdhsa_uses_dynamic_stack 0
		.amdhsa_system_sgpr_private_segment_wavefront_offset 0
		.amdhsa_system_sgpr_workgroup_id_x 1
		.amdhsa_system_sgpr_workgroup_id_y 0
		.amdhsa_system_sgpr_workgroup_id_z 0
		.amdhsa_system_sgpr_workgroup_info 0
		.amdhsa_system_vgpr_workitem_id 0
		.amdhsa_next_free_vgpr 30
		.amdhsa_next_free_sgpr 31
		.amdhsa_accum_offset 32
		.amdhsa_reserve_vcc 1
		.amdhsa_reserve_flat_scratch 0
		.amdhsa_float_round_mode_32 0
		.amdhsa_float_round_mode_16_64 0
		.amdhsa_float_denorm_mode_32 3
		.amdhsa_float_denorm_mode_16_64 3
		.amdhsa_dx10_clamp 1
		.amdhsa_ieee_mode 1
		.amdhsa_fp16_overflow 0
		.amdhsa_tg_split 0
		.amdhsa_exception_fp_ieee_invalid_op 0
		.amdhsa_exception_fp_denorm_src 0
		.amdhsa_exception_fp_ieee_div_zero 0
		.amdhsa_exception_fp_ieee_overflow 0
		.amdhsa_exception_fp_ieee_underflow 0
		.amdhsa_exception_fp_ieee_inexact 0
		.amdhsa_exception_int_div_zero 0
	.end_amdhsa_kernel
	.section	.text._ZN7rocprim17ROCPRIM_400000_NS6detail17trampoline_kernelINS0_14default_configENS1_22reduce_config_selectorIN6thrust23THRUST_200600_302600_NS5tupleIblNS6_9null_typeES8_S8_S8_S8_S8_S8_S8_EEEEZNS1_11reduce_implILb1ES3_PS9_SC_S9_NS6_11hip_rocprim9__find_if7functorIS9_EEEE10hipError_tPvRmT1_T2_T3_mT4_P12ihipStream_tbEUlT_E1_NS1_11comp_targetILNS1_3genE4ELNS1_11target_archE910ELNS1_3gpuE8ELNS1_3repE0EEENS1_30default_config_static_selectorELNS0_4arch9wavefront6targetE1EEEvSK_,"axG",@progbits,_ZN7rocprim17ROCPRIM_400000_NS6detail17trampoline_kernelINS0_14default_configENS1_22reduce_config_selectorIN6thrust23THRUST_200600_302600_NS5tupleIblNS6_9null_typeES8_S8_S8_S8_S8_S8_S8_EEEEZNS1_11reduce_implILb1ES3_PS9_SC_S9_NS6_11hip_rocprim9__find_if7functorIS9_EEEE10hipError_tPvRmT1_T2_T3_mT4_P12ihipStream_tbEUlT_E1_NS1_11comp_targetILNS1_3genE4ELNS1_11target_archE910ELNS1_3gpuE8ELNS1_3repE0EEENS1_30default_config_static_selectorELNS0_4arch9wavefront6targetE1EEEvSK_,comdat
.Lfunc_end59:
	.size	_ZN7rocprim17ROCPRIM_400000_NS6detail17trampoline_kernelINS0_14default_configENS1_22reduce_config_selectorIN6thrust23THRUST_200600_302600_NS5tupleIblNS6_9null_typeES8_S8_S8_S8_S8_S8_S8_EEEEZNS1_11reduce_implILb1ES3_PS9_SC_S9_NS6_11hip_rocprim9__find_if7functorIS9_EEEE10hipError_tPvRmT1_T2_T3_mT4_P12ihipStream_tbEUlT_E1_NS1_11comp_targetILNS1_3genE4ELNS1_11target_archE910ELNS1_3gpuE8ELNS1_3repE0EEENS1_30default_config_static_selectorELNS0_4arch9wavefront6targetE1EEEvSK_, .Lfunc_end59-_ZN7rocprim17ROCPRIM_400000_NS6detail17trampoline_kernelINS0_14default_configENS1_22reduce_config_selectorIN6thrust23THRUST_200600_302600_NS5tupleIblNS6_9null_typeES8_S8_S8_S8_S8_S8_S8_EEEEZNS1_11reduce_implILb1ES3_PS9_SC_S9_NS6_11hip_rocprim9__find_if7functorIS9_EEEE10hipError_tPvRmT1_T2_T3_mT4_P12ihipStream_tbEUlT_E1_NS1_11comp_targetILNS1_3genE4ELNS1_11target_archE910ELNS1_3gpuE8ELNS1_3repE0EEENS1_30default_config_static_selectorELNS0_4arch9wavefront6targetE1EEEvSK_
                                        ; -- End function
	.section	.AMDGPU.csdata,"",@progbits
; Kernel info:
; codeLenInByte = 13260
; NumSgprs: 35
; NumVgprs: 30
; NumAgprs: 0
; TotalNumVgprs: 30
; ScratchSize: 0
; MemoryBound: 0
; FloatMode: 240
; IeeeMode: 1
; LDSByteSize: 320 bytes/workgroup (compile time only)
; SGPRBlocks: 4
; VGPRBlocks: 3
; NumSGPRsForWavesPerEU: 35
; NumVGPRsForWavesPerEU: 30
; AccumOffset: 32
; Occupancy: 8
; WaveLimiterHint : 1
; COMPUTE_PGM_RSRC2:SCRATCH_EN: 0
; COMPUTE_PGM_RSRC2:USER_SGPR: 6
; COMPUTE_PGM_RSRC2:TRAP_HANDLER: 0
; COMPUTE_PGM_RSRC2:TGID_X_EN: 1
; COMPUTE_PGM_RSRC2:TGID_Y_EN: 0
; COMPUTE_PGM_RSRC2:TGID_Z_EN: 0
; COMPUTE_PGM_RSRC2:TIDIG_COMP_CNT: 0
; COMPUTE_PGM_RSRC3_GFX90A:ACCUM_OFFSET: 7
; COMPUTE_PGM_RSRC3_GFX90A:TG_SPLIT: 0
	.section	.text._ZN7rocprim17ROCPRIM_400000_NS6detail17trampoline_kernelINS0_14default_configENS1_22reduce_config_selectorIN6thrust23THRUST_200600_302600_NS5tupleIblNS6_9null_typeES8_S8_S8_S8_S8_S8_S8_EEEEZNS1_11reduce_implILb1ES3_PS9_SC_S9_NS6_11hip_rocprim9__find_if7functorIS9_EEEE10hipError_tPvRmT1_T2_T3_mT4_P12ihipStream_tbEUlT_E1_NS1_11comp_targetILNS1_3genE3ELNS1_11target_archE908ELNS1_3gpuE7ELNS1_3repE0EEENS1_30default_config_static_selectorELNS0_4arch9wavefront6targetE1EEEvSK_,"axG",@progbits,_ZN7rocprim17ROCPRIM_400000_NS6detail17trampoline_kernelINS0_14default_configENS1_22reduce_config_selectorIN6thrust23THRUST_200600_302600_NS5tupleIblNS6_9null_typeES8_S8_S8_S8_S8_S8_S8_EEEEZNS1_11reduce_implILb1ES3_PS9_SC_S9_NS6_11hip_rocprim9__find_if7functorIS9_EEEE10hipError_tPvRmT1_T2_T3_mT4_P12ihipStream_tbEUlT_E1_NS1_11comp_targetILNS1_3genE3ELNS1_11target_archE908ELNS1_3gpuE7ELNS1_3repE0EEENS1_30default_config_static_selectorELNS0_4arch9wavefront6targetE1EEEvSK_,comdat
	.protected	_ZN7rocprim17ROCPRIM_400000_NS6detail17trampoline_kernelINS0_14default_configENS1_22reduce_config_selectorIN6thrust23THRUST_200600_302600_NS5tupleIblNS6_9null_typeES8_S8_S8_S8_S8_S8_S8_EEEEZNS1_11reduce_implILb1ES3_PS9_SC_S9_NS6_11hip_rocprim9__find_if7functorIS9_EEEE10hipError_tPvRmT1_T2_T3_mT4_P12ihipStream_tbEUlT_E1_NS1_11comp_targetILNS1_3genE3ELNS1_11target_archE908ELNS1_3gpuE7ELNS1_3repE0EEENS1_30default_config_static_selectorELNS0_4arch9wavefront6targetE1EEEvSK_ ; -- Begin function _ZN7rocprim17ROCPRIM_400000_NS6detail17trampoline_kernelINS0_14default_configENS1_22reduce_config_selectorIN6thrust23THRUST_200600_302600_NS5tupleIblNS6_9null_typeES8_S8_S8_S8_S8_S8_S8_EEEEZNS1_11reduce_implILb1ES3_PS9_SC_S9_NS6_11hip_rocprim9__find_if7functorIS9_EEEE10hipError_tPvRmT1_T2_T3_mT4_P12ihipStream_tbEUlT_E1_NS1_11comp_targetILNS1_3genE3ELNS1_11target_archE908ELNS1_3gpuE7ELNS1_3repE0EEENS1_30default_config_static_selectorELNS0_4arch9wavefront6targetE1EEEvSK_
	.globl	_ZN7rocprim17ROCPRIM_400000_NS6detail17trampoline_kernelINS0_14default_configENS1_22reduce_config_selectorIN6thrust23THRUST_200600_302600_NS5tupleIblNS6_9null_typeES8_S8_S8_S8_S8_S8_S8_EEEEZNS1_11reduce_implILb1ES3_PS9_SC_S9_NS6_11hip_rocprim9__find_if7functorIS9_EEEE10hipError_tPvRmT1_T2_T3_mT4_P12ihipStream_tbEUlT_E1_NS1_11comp_targetILNS1_3genE3ELNS1_11target_archE908ELNS1_3gpuE7ELNS1_3repE0EEENS1_30default_config_static_selectorELNS0_4arch9wavefront6targetE1EEEvSK_
	.p2align	8
	.type	_ZN7rocprim17ROCPRIM_400000_NS6detail17trampoline_kernelINS0_14default_configENS1_22reduce_config_selectorIN6thrust23THRUST_200600_302600_NS5tupleIblNS6_9null_typeES8_S8_S8_S8_S8_S8_S8_EEEEZNS1_11reduce_implILb1ES3_PS9_SC_S9_NS6_11hip_rocprim9__find_if7functorIS9_EEEE10hipError_tPvRmT1_T2_T3_mT4_P12ihipStream_tbEUlT_E1_NS1_11comp_targetILNS1_3genE3ELNS1_11target_archE908ELNS1_3gpuE7ELNS1_3repE0EEENS1_30default_config_static_selectorELNS0_4arch9wavefront6targetE1EEEvSK_,@function
_ZN7rocprim17ROCPRIM_400000_NS6detail17trampoline_kernelINS0_14default_configENS1_22reduce_config_selectorIN6thrust23THRUST_200600_302600_NS5tupleIblNS6_9null_typeES8_S8_S8_S8_S8_S8_S8_EEEEZNS1_11reduce_implILb1ES3_PS9_SC_S9_NS6_11hip_rocprim9__find_if7functorIS9_EEEE10hipError_tPvRmT1_T2_T3_mT4_P12ihipStream_tbEUlT_E1_NS1_11comp_targetILNS1_3genE3ELNS1_11target_archE908ELNS1_3gpuE7ELNS1_3repE0EEENS1_30default_config_static_selectorELNS0_4arch9wavefront6targetE1EEEvSK_: ; @_ZN7rocprim17ROCPRIM_400000_NS6detail17trampoline_kernelINS0_14default_configENS1_22reduce_config_selectorIN6thrust23THRUST_200600_302600_NS5tupleIblNS6_9null_typeES8_S8_S8_S8_S8_S8_S8_EEEEZNS1_11reduce_implILb1ES3_PS9_SC_S9_NS6_11hip_rocprim9__find_if7functorIS9_EEEE10hipError_tPvRmT1_T2_T3_mT4_P12ihipStream_tbEUlT_E1_NS1_11comp_targetILNS1_3genE3ELNS1_11target_archE908ELNS1_3gpuE7ELNS1_3repE0EEENS1_30default_config_static_selectorELNS0_4arch9wavefront6targetE1EEEvSK_
; %bb.0:
	.section	.rodata,"a",@progbits
	.p2align	6, 0x0
	.amdhsa_kernel _ZN7rocprim17ROCPRIM_400000_NS6detail17trampoline_kernelINS0_14default_configENS1_22reduce_config_selectorIN6thrust23THRUST_200600_302600_NS5tupleIblNS6_9null_typeES8_S8_S8_S8_S8_S8_S8_EEEEZNS1_11reduce_implILb1ES3_PS9_SC_S9_NS6_11hip_rocprim9__find_if7functorIS9_EEEE10hipError_tPvRmT1_T2_T3_mT4_P12ihipStream_tbEUlT_E1_NS1_11comp_targetILNS1_3genE3ELNS1_11target_archE908ELNS1_3gpuE7ELNS1_3repE0EEENS1_30default_config_static_selectorELNS0_4arch9wavefront6targetE1EEEvSK_
		.amdhsa_group_segment_fixed_size 0
		.amdhsa_private_segment_fixed_size 0
		.amdhsa_kernarg_size 56
		.amdhsa_user_sgpr_count 6
		.amdhsa_user_sgpr_private_segment_buffer 1
		.amdhsa_user_sgpr_dispatch_ptr 0
		.amdhsa_user_sgpr_queue_ptr 0
		.amdhsa_user_sgpr_kernarg_segment_ptr 1
		.amdhsa_user_sgpr_dispatch_id 0
		.amdhsa_user_sgpr_flat_scratch_init 0
		.amdhsa_user_sgpr_kernarg_preload_length 0
		.amdhsa_user_sgpr_kernarg_preload_offset 0
		.amdhsa_user_sgpr_private_segment_size 0
		.amdhsa_uses_dynamic_stack 0
		.amdhsa_system_sgpr_private_segment_wavefront_offset 0
		.amdhsa_system_sgpr_workgroup_id_x 1
		.amdhsa_system_sgpr_workgroup_id_y 0
		.amdhsa_system_sgpr_workgroup_id_z 0
		.amdhsa_system_sgpr_workgroup_info 0
		.amdhsa_system_vgpr_workitem_id 0
		.amdhsa_next_free_vgpr 1
		.amdhsa_next_free_sgpr 0
		.amdhsa_accum_offset 4
		.amdhsa_reserve_vcc 0
		.amdhsa_reserve_flat_scratch 0
		.amdhsa_float_round_mode_32 0
		.amdhsa_float_round_mode_16_64 0
		.amdhsa_float_denorm_mode_32 3
		.amdhsa_float_denorm_mode_16_64 3
		.amdhsa_dx10_clamp 1
		.amdhsa_ieee_mode 1
		.amdhsa_fp16_overflow 0
		.amdhsa_tg_split 0
		.amdhsa_exception_fp_ieee_invalid_op 0
		.amdhsa_exception_fp_denorm_src 0
		.amdhsa_exception_fp_ieee_div_zero 0
		.amdhsa_exception_fp_ieee_overflow 0
		.amdhsa_exception_fp_ieee_underflow 0
		.amdhsa_exception_fp_ieee_inexact 0
		.amdhsa_exception_int_div_zero 0
	.end_amdhsa_kernel
	.section	.text._ZN7rocprim17ROCPRIM_400000_NS6detail17trampoline_kernelINS0_14default_configENS1_22reduce_config_selectorIN6thrust23THRUST_200600_302600_NS5tupleIblNS6_9null_typeES8_S8_S8_S8_S8_S8_S8_EEEEZNS1_11reduce_implILb1ES3_PS9_SC_S9_NS6_11hip_rocprim9__find_if7functorIS9_EEEE10hipError_tPvRmT1_T2_T3_mT4_P12ihipStream_tbEUlT_E1_NS1_11comp_targetILNS1_3genE3ELNS1_11target_archE908ELNS1_3gpuE7ELNS1_3repE0EEENS1_30default_config_static_selectorELNS0_4arch9wavefront6targetE1EEEvSK_,"axG",@progbits,_ZN7rocprim17ROCPRIM_400000_NS6detail17trampoline_kernelINS0_14default_configENS1_22reduce_config_selectorIN6thrust23THRUST_200600_302600_NS5tupleIblNS6_9null_typeES8_S8_S8_S8_S8_S8_S8_EEEEZNS1_11reduce_implILb1ES3_PS9_SC_S9_NS6_11hip_rocprim9__find_if7functorIS9_EEEE10hipError_tPvRmT1_T2_T3_mT4_P12ihipStream_tbEUlT_E1_NS1_11comp_targetILNS1_3genE3ELNS1_11target_archE908ELNS1_3gpuE7ELNS1_3repE0EEENS1_30default_config_static_selectorELNS0_4arch9wavefront6targetE1EEEvSK_,comdat
.Lfunc_end60:
	.size	_ZN7rocprim17ROCPRIM_400000_NS6detail17trampoline_kernelINS0_14default_configENS1_22reduce_config_selectorIN6thrust23THRUST_200600_302600_NS5tupleIblNS6_9null_typeES8_S8_S8_S8_S8_S8_S8_EEEEZNS1_11reduce_implILb1ES3_PS9_SC_S9_NS6_11hip_rocprim9__find_if7functorIS9_EEEE10hipError_tPvRmT1_T2_T3_mT4_P12ihipStream_tbEUlT_E1_NS1_11comp_targetILNS1_3genE3ELNS1_11target_archE908ELNS1_3gpuE7ELNS1_3repE0EEENS1_30default_config_static_selectorELNS0_4arch9wavefront6targetE1EEEvSK_, .Lfunc_end60-_ZN7rocprim17ROCPRIM_400000_NS6detail17trampoline_kernelINS0_14default_configENS1_22reduce_config_selectorIN6thrust23THRUST_200600_302600_NS5tupleIblNS6_9null_typeES8_S8_S8_S8_S8_S8_S8_EEEEZNS1_11reduce_implILb1ES3_PS9_SC_S9_NS6_11hip_rocprim9__find_if7functorIS9_EEEE10hipError_tPvRmT1_T2_T3_mT4_P12ihipStream_tbEUlT_E1_NS1_11comp_targetILNS1_3genE3ELNS1_11target_archE908ELNS1_3gpuE7ELNS1_3repE0EEENS1_30default_config_static_selectorELNS0_4arch9wavefront6targetE1EEEvSK_
                                        ; -- End function
	.section	.AMDGPU.csdata,"",@progbits
; Kernel info:
; codeLenInByte = 0
; NumSgprs: 4
; NumVgprs: 0
; NumAgprs: 0
; TotalNumVgprs: 0
; ScratchSize: 0
; MemoryBound: 0
; FloatMode: 240
; IeeeMode: 1
; LDSByteSize: 0 bytes/workgroup (compile time only)
; SGPRBlocks: 0
; VGPRBlocks: 0
; NumSGPRsForWavesPerEU: 4
; NumVGPRsForWavesPerEU: 1
; AccumOffset: 4
; Occupancy: 8
; WaveLimiterHint : 0
; COMPUTE_PGM_RSRC2:SCRATCH_EN: 0
; COMPUTE_PGM_RSRC2:USER_SGPR: 6
; COMPUTE_PGM_RSRC2:TRAP_HANDLER: 0
; COMPUTE_PGM_RSRC2:TGID_X_EN: 1
; COMPUTE_PGM_RSRC2:TGID_Y_EN: 0
; COMPUTE_PGM_RSRC2:TGID_Z_EN: 0
; COMPUTE_PGM_RSRC2:TIDIG_COMP_CNT: 0
; COMPUTE_PGM_RSRC3_GFX90A:ACCUM_OFFSET: 0
; COMPUTE_PGM_RSRC3_GFX90A:TG_SPLIT: 0
	.section	.text._ZN7rocprim17ROCPRIM_400000_NS6detail17trampoline_kernelINS0_14default_configENS1_22reduce_config_selectorIN6thrust23THRUST_200600_302600_NS5tupleIblNS6_9null_typeES8_S8_S8_S8_S8_S8_S8_EEEEZNS1_11reduce_implILb1ES3_PS9_SC_S9_NS6_11hip_rocprim9__find_if7functorIS9_EEEE10hipError_tPvRmT1_T2_T3_mT4_P12ihipStream_tbEUlT_E1_NS1_11comp_targetILNS1_3genE2ELNS1_11target_archE906ELNS1_3gpuE6ELNS1_3repE0EEENS1_30default_config_static_selectorELNS0_4arch9wavefront6targetE1EEEvSK_,"axG",@progbits,_ZN7rocprim17ROCPRIM_400000_NS6detail17trampoline_kernelINS0_14default_configENS1_22reduce_config_selectorIN6thrust23THRUST_200600_302600_NS5tupleIblNS6_9null_typeES8_S8_S8_S8_S8_S8_S8_EEEEZNS1_11reduce_implILb1ES3_PS9_SC_S9_NS6_11hip_rocprim9__find_if7functorIS9_EEEE10hipError_tPvRmT1_T2_T3_mT4_P12ihipStream_tbEUlT_E1_NS1_11comp_targetILNS1_3genE2ELNS1_11target_archE906ELNS1_3gpuE6ELNS1_3repE0EEENS1_30default_config_static_selectorELNS0_4arch9wavefront6targetE1EEEvSK_,comdat
	.protected	_ZN7rocprim17ROCPRIM_400000_NS6detail17trampoline_kernelINS0_14default_configENS1_22reduce_config_selectorIN6thrust23THRUST_200600_302600_NS5tupleIblNS6_9null_typeES8_S8_S8_S8_S8_S8_S8_EEEEZNS1_11reduce_implILb1ES3_PS9_SC_S9_NS6_11hip_rocprim9__find_if7functorIS9_EEEE10hipError_tPvRmT1_T2_T3_mT4_P12ihipStream_tbEUlT_E1_NS1_11comp_targetILNS1_3genE2ELNS1_11target_archE906ELNS1_3gpuE6ELNS1_3repE0EEENS1_30default_config_static_selectorELNS0_4arch9wavefront6targetE1EEEvSK_ ; -- Begin function _ZN7rocprim17ROCPRIM_400000_NS6detail17trampoline_kernelINS0_14default_configENS1_22reduce_config_selectorIN6thrust23THRUST_200600_302600_NS5tupleIblNS6_9null_typeES8_S8_S8_S8_S8_S8_S8_EEEEZNS1_11reduce_implILb1ES3_PS9_SC_S9_NS6_11hip_rocprim9__find_if7functorIS9_EEEE10hipError_tPvRmT1_T2_T3_mT4_P12ihipStream_tbEUlT_E1_NS1_11comp_targetILNS1_3genE2ELNS1_11target_archE906ELNS1_3gpuE6ELNS1_3repE0EEENS1_30default_config_static_selectorELNS0_4arch9wavefront6targetE1EEEvSK_
	.globl	_ZN7rocprim17ROCPRIM_400000_NS6detail17trampoline_kernelINS0_14default_configENS1_22reduce_config_selectorIN6thrust23THRUST_200600_302600_NS5tupleIblNS6_9null_typeES8_S8_S8_S8_S8_S8_S8_EEEEZNS1_11reduce_implILb1ES3_PS9_SC_S9_NS6_11hip_rocprim9__find_if7functorIS9_EEEE10hipError_tPvRmT1_T2_T3_mT4_P12ihipStream_tbEUlT_E1_NS1_11comp_targetILNS1_3genE2ELNS1_11target_archE906ELNS1_3gpuE6ELNS1_3repE0EEENS1_30default_config_static_selectorELNS0_4arch9wavefront6targetE1EEEvSK_
	.p2align	8
	.type	_ZN7rocprim17ROCPRIM_400000_NS6detail17trampoline_kernelINS0_14default_configENS1_22reduce_config_selectorIN6thrust23THRUST_200600_302600_NS5tupleIblNS6_9null_typeES8_S8_S8_S8_S8_S8_S8_EEEEZNS1_11reduce_implILb1ES3_PS9_SC_S9_NS6_11hip_rocprim9__find_if7functorIS9_EEEE10hipError_tPvRmT1_T2_T3_mT4_P12ihipStream_tbEUlT_E1_NS1_11comp_targetILNS1_3genE2ELNS1_11target_archE906ELNS1_3gpuE6ELNS1_3repE0EEENS1_30default_config_static_selectorELNS0_4arch9wavefront6targetE1EEEvSK_,@function
_ZN7rocprim17ROCPRIM_400000_NS6detail17trampoline_kernelINS0_14default_configENS1_22reduce_config_selectorIN6thrust23THRUST_200600_302600_NS5tupleIblNS6_9null_typeES8_S8_S8_S8_S8_S8_S8_EEEEZNS1_11reduce_implILb1ES3_PS9_SC_S9_NS6_11hip_rocprim9__find_if7functorIS9_EEEE10hipError_tPvRmT1_T2_T3_mT4_P12ihipStream_tbEUlT_E1_NS1_11comp_targetILNS1_3genE2ELNS1_11target_archE906ELNS1_3gpuE6ELNS1_3repE0EEENS1_30default_config_static_selectorELNS0_4arch9wavefront6targetE1EEEvSK_: ; @_ZN7rocprim17ROCPRIM_400000_NS6detail17trampoline_kernelINS0_14default_configENS1_22reduce_config_selectorIN6thrust23THRUST_200600_302600_NS5tupleIblNS6_9null_typeES8_S8_S8_S8_S8_S8_S8_EEEEZNS1_11reduce_implILb1ES3_PS9_SC_S9_NS6_11hip_rocprim9__find_if7functorIS9_EEEE10hipError_tPvRmT1_T2_T3_mT4_P12ihipStream_tbEUlT_E1_NS1_11comp_targetILNS1_3genE2ELNS1_11target_archE906ELNS1_3gpuE6ELNS1_3repE0EEENS1_30default_config_static_selectorELNS0_4arch9wavefront6targetE1EEEvSK_
; %bb.0:
	.section	.rodata,"a",@progbits
	.p2align	6, 0x0
	.amdhsa_kernel _ZN7rocprim17ROCPRIM_400000_NS6detail17trampoline_kernelINS0_14default_configENS1_22reduce_config_selectorIN6thrust23THRUST_200600_302600_NS5tupleIblNS6_9null_typeES8_S8_S8_S8_S8_S8_S8_EEEEZNS1_11reduce_implILb1ES3_PS9_SC_S9_NS6_11hip_rocprim9__find_if7functorIS9_EEEE10hipError_tPvRmT1_T2_T3_mT4_P12ihipStream_tbEUlT_E1_NS1_11comp_targetILNS1_3genE2ELNS1_11target_archE906ELNS1_3gpuE6ELNS1_3repE0EEENS1_30default_config_static_selectorELNS0_4arch9wavefront6targetE1EEEvSK_
		.amdhsa_group_segment_fixed_size 0
		.amdhsa_private_segment_fixed_size 0
		.amdhsa_kernarg_size 56
		.amdhsa_user_sgpr_count 6
		.amdhsa_user_sgpr_private_segment_buffer 1
		.amdhsa_user_sgpr_dispatch_ptr 0
		.amdhsa_user_sgpr_queue_ptr 0
		.amdhsa_user_sgpr_kernarg_segment_ptr 1
		.amdhsa_user_sgpr_dispatch_id 0
		.amdhsa_user_sgpr_flat_scratch_init 0
		.amdhsa_user_sgpr_kernarg_preload_length 0
		.amdhsa_user_sgpr_kernarg_preload_offset 0
		.amdhsa_user_sgpr_private_segment_size 0
		.amdhsa_uses_dynamic_stack 0
		.amdhsa_system_sgpr_private_segment_wavefront_offset 0
		.amdhsa_system_sgpr_workgroup_id_x 1
		.amdhsa_system_sgpr_workgroup_id_y 0
		.amdhsa_system_sgpr_workgroup_id_z 0
		.amdhsa_system_sgpr_workgroup_info 0
		.amdhsa_system_vgpr_workitem_id 0
		.amdhsa_next_free_vgpr 1
		.amdhsa_next_free_sgpr 0
		.amdhsa_accum_offset 4
		.amdhsa_reserve_vcc 0
		.amdhsa_reserve_flat_scratch 0
		.amdhsa_float_round_mode_32 0
		.amdhsa_float_round_mode_16_64 0
		.amdhsa_float_denorm_mode_32 3
		.amdhsa_float_denorm_mode_16_64 3
		.amdhsa_dx10_clamp 1
		.amdhsa_ieee_mode 1
		.amdhsa_fp16_overflow 0
		.amdhsa_tg_split 0
		.amdhsa_exception_fp_ieee_invalid_op 0
		.amdhsa_exception_fp_denorm_src 0
		.amdhsa_exception_fp_ieee_div_zero 0
		.amdhsa_exception_fp_ieee_overflow 0
		.amdhsa_exception_fp_ieee_underflow 0
		.amdhsa_exception_fp_ieee_inexact 0
		.amdhsa_exception_int_div_zero 0
	.end_amdhsa_kernel
	.section	.text._ZN7rocprim17ROCPRIM_400000_NS6detail17trampoline_kernelINS0_14default_configENS1_22reduce_config_selectorIN6thrust23THRUST_200600_302600_NS5tupleIblNS6_9null_typeES8_S8_S8_S8_S8_S8_S8_EEEEZNS1_11reduce_implILb1ES3_PS9_SC_S9_NS6_11hip_rocprim9__find_if7functorIS9_EEEE10hipError_tPvRmT1_T2_T3_mT4_P12ihipStream_tbEUlT_E1_NS1_11comp_targetILNS1_3genE2ELNS1_11target_archE906ELNS1_3gpuE6ELNS1_3repE0EEENS1_30default_config_static_selectorELNS0_4arch9wavefront6targetE1EEEvSK_,"axG",@progbits,_ZN7rocprim17ROCPRIM_400000_NS6detail17trampoline_kernelINS0_14default_configENS1_22reduce_config_selectorIN6thrust23THRUST_200600_302600_NS5tupleIblNS6_9null_typeES8_S8_S8_S8_S8_S8_S8_EEEEZNS1_11reduce_implILb1ES3_PS9_SC_S9_NS6_11hip_rocprim9__find_if7functorIS9_EEEE10hipError_tPvRmT1_T2_T3_mT4_P12ihipStream_tbEUlT_E1_NS1_11comp_targetILNS1_3genE2ELNS1_11target_archE906ELNS1_3gpuE6ELNS1_3repE0EEENS1_30default_config_static_selectorELNS0_4arch9wavefront6targetE1EEEvSK_,comdat
.Lfunc_end61:
	.size	_ZN7rocprim17ROCPRIM_400000_NS6detail17trampoline_kernelINS0_14default_configENS1_22reduce_config_selectorIN6thrust23THRUST_200600_302600_NS5tupleIblNS6_9null_typeES8_S8_S8_S8_S8_S8_S8_EEEEZNS1_11reduce_implILb1ES3_PS9_SC_S9_NS6_11hip_rocprim9__find_if7functorIS9_EEEE10hipError_tPvRmT1_T2_T3_mT4_P12ihipStream_tbEUlT_E1_NS1_11comp_targetILNS1_3genE2ELNS1_11target_archE906ELNS1_3gpuE6ELNS1_3repE0EEENS1_30default_config_static_selectorELNS0_4arch9wavefront6targetE1EEEvSK_, .Lfunc_end61-_ZN7rocprim17ROCPRIM_400000_NS6detail17trampoline_kernelINS0_14default_configENS1_22reduce_config_selectorIN6thrust23THRUST_200600_302600_NS5tupleIblNS6_9null_typeES8_S8_S8_S8_S8_S8_S8_EEEEZNS1_11reduce_implILb1ES3_PS9_SC_S9_NS6_11hip_rocprim9__find_if7functorIS9_EEEE10hipError_tPvRmT1_T2_T3_mT4_P12ihipStream_tbEUlT_E1_NS1_11comp_targetILNS1_3genE2ELNS1_11target_archE906ELNS1_3gpuE6ELNS1_3repE0EEENS1_30default_config_static_selectorELNS0_4arch9wavefront6targetE1EEEvSK_
                                        ; -- End function
	.section	.AMDGPU.csdata,"",@progbits
; Kernel info:
; codeLenInByte = 0
; NumSgprs: 4
; NumVgprs: 0
; NumAgprs: 0
; TotalNumVgprs: 0
; ScratchSize: 0
; MemoryBound: 0
; FloatMode: 240
; IeeeMode: 1
; LDSByteSize: 0 bytes/workgroup (compile time only)
; SGPRBlocks: 0
; VGPRBlocks: 0
; NumSGPRsForWavesPerEU: 4
; NumVGPRsForWavesPerEU: 1
; AccumOffset: 4
; Occupancy: 8
; WaveLimiterHint : 0
; COMPUTE_PGM_RSRC2:SCRATCH_EN: 0
; COMPUTE_PGM_RSRC2:USER_SGPR: 6
; COMPUTE_PGM_RSRC2:TRAP_HANDLER: 0
; COMPUTE_PGM_RSRC2:TGID_X_EN: 1
; COMPUTE_PGM_RSRC2:TGID_Y_EN: 0
; COMPUTE_PGM_RSRC2:TGID_Z_EN: 0
; COMPUTE_PGM_RSRC2:TIDIG_COMP_CNT: 0
; COMPUTE_PGM_RSRC3_GFX90A:ACCUM_OFFSET: 0
; COMPUTE_PGM_RSRC3_GFX90A:TG_SPLIT: 0
	.section	.text._ZN7rocprim17ROCPRIM_400000_NS6detail17trampoline_kernelINS0_14default_configENS1_22reduce_config_selectorIN6thrust23THRUST_200600_302600_NS5tupleIblNS6_9null_typeES8_S8_S8_S8_S8_S8_S8_EEEEZNS1_11reduce_implILb1ES3_PS9_SC_S9_NS6_11hip_rocprim9__find_if7functorIS9_EEEE10hipError_tPvRmT1_T2_T3_mT4_P12ihipStream_tbEUlT_E1_NS1_11comp_targetILNS1_3genE10ELNS1_11target_archE1201ELNS1_3gpuE5ELNS1_3repE0EEENS1_30default_config_static_selectorELNS0_4arch9wavefront6targetE1EEEvSK_,"axG",@progbits,_ZN7rocprim17ROCPRIM_400000_NS6detail17trampoline_kernelINS0_14default_configENS1_22reduce_config_selectorIN6thrust23THRUST_200600_302600_NS5tupleIblNS6_9null_typeES8_S8_S8_S8_S8_S8_S8_EEEEZNS1_11reduce_implILb1ES3_PS9_SC_S9_NS6_11hip_rocprim9__find_if7functorIS9_EEEE10hipError_tPvRmT1_T2_T3_mT4_P12ihipStream_tbEUlT_E1_NS1_11comp_targetILNS1_3genE10ELNS1_11target_archE1201ELNS1_3gpuE5ELNS1_3repE0EEENS1_30default_config_static_selectorELNS0_4arch9wavefront6targetE1EEEvSK_,comdat
	.protected	_ZN7rocprim17ROCPRIM_400000_NS6detail17trampoline_kernelINS0_14default_configENS1_22reduce_config_selectorIN6thrust23THRUST_200600_302600_NS5tupleIblNS6_9null_typeES8_S8_S8_S8_S8_S8_S8_EEEEZNS1_11reduce_implILb1ES3_PS9_SC_S9_NS6_11hip_rocprim9__find_if7functorIS9_EEEE10hipError_tPvRmT1_T2_T3_mT4_P12ihipStream_tbEUlT_E1_NS1_11comp_targetILNS1_3genE10ELNS1_11target_archE1201ELNS1_3gpuE5ELNS1_3repE0EEENS1_30default_config_static_selectorELNS0_4arch9wavefront6targetE1EEEvSK_ ; -- Begin function _ZN7rocprim17ROCPRIM_400000_NS6detail17trampoline_kernelINS0_14default_configENS1_22reduce_config_selectorIN6thrust23THRUST_200600_302600_NS5tupleIblNS6_9null_typeES8_S8_S8_S8_S8_S8_S8_EEEEZNS1_11reduce_implILb1ES3_PS9_SC_S9_NS6_11hip_rocprim9__find_if7functorIS9_EEEE10hipError_tPvRmT1_T2_T3_mT4_P12ihipStream_tbEUlT_E1_NS1_11comp_targetILNS1_3genE10ELNS1_11target_archE1201ELNS1_3gpuE5ELNS1_3repE0EEENS1_30default_config_static_selectorELNS0_4arch9wavefront6targetE1EEEvSK_
	.globl	_ZN7rocprim17ROCPRIM_400000_NS6detail17trampoline_kernelINS0_14default_configENS1_22reduce_config_selectorIN6thrust23THRUST_200600_302600_NS5tupleIblNS6_9null_typeES8_S8_S8_S8_S8_S8_S8_EEEEZNS1_11reduce_implILb1ES3_PS9_SC_S9_NS6_11hip_rocprim9__find_if7functorIS9_EEEE10hipError_tPvRmT1_T2_T3_mT4_P12ihipStream_tbEUlT_E1_NS1_11comp_targetILNS1_3genE10ELNS1_11target_archE1201ELNS1_3gpuE5ELNS1_3repE0EEENS1_30default_config_static_selectorELNS0_4arch9wavefront6targetE1EEEvSK_
	.p2align	8
	.type	_ZN7rocprim17ROCPRIM_400000_NS6detail17trampoline_kernelINS0_14default_configENS1_22reduce_config_selectorIN6thrust23THRUST_200600_302600_NS5tupleIblNS6_9null_typeES8_S8_S8_S8_S8_S8_S8_EEEEZNS1_11reduce_implILb1ES3_PS9_SC_S9_NS6_11hip_rocprim9__find_if7functorIS9_EEEE10hipError_tPvRmT1_T2_T3_mT4_P12ihipStream_tbEUlT_E1_NS1_11comp_targetILNS1_3genE10ELNS1_11target_archE1201ELNS1_3gpuE5ELNS1_3repE0EEENS1_30default_config_static_selectorELNS0_4arch9wavefront6targetE1EEEvSK_,@function
_ZN7rocprim17ROCPRIM_400000_NS6detail17trampoline_kernelINS0_14default_configENS1_22reduce_config_selectorIN6thrust23THRUST_200600_302600_NS5tupleIblNS6_9null_typeES8_S8_S8_S8_S8_S8_S8_EEEEZNS1_11reduce_implILb1ES3_PS9_SC_S9_NS6_11hip_rocprim9__find_if7functorIS9_EEEE10hipError_tPvRmT1_T2_T3_mT4_P12ihipStream_tbEUlT_E1_NS1_11comp_targetILNS1_3genE10ELNS1_11target_archE1201ELNS1_3gpuE5ELNS1_3repE0EEENS1_30default_config_static_selectorELNS0_4arch9wavefront6targetE1EEEvSK_: ; @_ZN7rocprim17ROCPRIM_400000_NS6detail17trampoline_kernelINS0_14default_configENS1_22reduce_config_selectorIN6thrust23THRUST_200600_302600_NS5tupleIblNS6_9null_typeES8_S8_S8_S8_S8_S8_S8_EEEEZNS1_11reduce_implILb1ES3_PS9_SC_S9_NS6_11hip_rocprim9__find_if7functorIS9_EEEE10hipError_tPvRmT1_T2_T3_mT4_P12ihipStream_tbEUlT_E1_NS1_11comp_targetILNS1_3genE10ELNS1_11target_archE1201ELNS1_3gpuE5ELNS1_3repE0EEENS1_30default_config_static_selectorELNS0_4arch9wavefront6targetE1EEEvSK_
; %bb.0:
	.section	.rodata,"a",@progbits
	.p2align	6, 0x0
	.amdhsa_kernel _ZN7rocprim17ROCPRIM_400000_NS6detail17trampoline_kernelINS0_14default_configENS1_22reduce_config_selectorIN6thrust23THRUST_200600_302600_NS5tupleIblNS6_9null_typeES8_S8_S8_S8_S8_S8_S8_EEEEZNS1_11reduce_implILb1ES3_PS9_SC_S9_NS6_11hip_rocprim9__find_if7functorIS9_EEEE10hipError_tPvRmT1_T2_T3_mT4_P12ihipStream_tbEUlT_E1_NS1_11comp_targetILNS1_3genE10ELNS1_11target_archE1201ELNS1_3gpuE5ELNS1_3repE0EEENS1_30default_config_static_selectorELNS0_4arch9wavefront6targetE1EEEvSK_
		.amdhsa_group_segment_fixed_size 0
		.amdhsa_private_segment_fixed_size 0
		.amdhsa_kernarg_size 56
		.amdhsa_user_sgpr_count 6
		.amdhsa_user_sgpr_private_segment_buffer 1
		.amdhsa_user_sgpr_dispatch_ptr 0
		.amdhsa_user_sgpr_queue_ptr 0
		.amdhsa_user_sgpr_kernarg_segment_ptr 1
		.amdhsa_user_sgpr_dispatch_id 0
		.amdhsa_user_sgpr_flat_scratch_init 0
		.amdhsa_user_sgpr_kernarg_preload_length 0
		.amdhsa_user_sgpr_kernarg_preload_offset 0
		.amdhsa_user_sgpr_private_segment_size 0
		.amdhsa_uses_dynamic_stack 0
		.amdhsa_system_sgpr_private_segment_wavefront_offset 0
		.amdhsa_system_sgpr_workgroup_id_x 1
		.amdhsa_system_sgpr_workgroup_id_y 0
		.amdhsa_system_sgpr_workgroup_id_z 0
		.amdhsa_system_sgpr_workgroup_info 0
		.amdhsa_system_vgpr_workitem_id 0
		.amdhsa_next_free_vgpr 1
		.amdhsa_next_free_sgpr 0
		.amdhsa_accum_offset 4
		.amdhsa_reserve_vcc 0
		.amdhsa_reserve_flat_scratch 0
		.amdhsa_float_round_mode_32 0
		.amdhsa_float_round_mode_16_64 0
		.amdhsa_float_denorm_mode_32 3
		.amdhsa_float_denorm_mode_16_64 3
		.amdhsa_dx10_clamp 1
		.amdhsa_ieee_mode 1
		.amdhsa_fp16_overflow 0
		.amdhsa_tg_split 0
		.amdhsa_exception_fp_ieee_invalid_op 0
		.amdhsa_exception_fp_denorm_src 0
		.amdhsa_exception_fp_ieee_div_zero 0
		.amdhsa_exception_fp_ieee_overflow 0
		.amdhsa_exception_fp_ieee_underflow 0
		.amdhsa_exception_fp_ieee_inexact 0
		.amdhsa_exception_int_div_zero 0
	.end_amdhsa_kernel
	.section	.text._ZN7rocprim17ROCPRIM_400000_NS6detail17trampoline_kernelINS0_14default_configENS1_22reduce_config_selectorIN6thrust23THRUST_200600_302600_NS5tupleIblNS6_9null_typeES8_S8_S8_S8_S8_S8_S8_EEEEZNS1_11reduce_implILb1ES3_PS9_SC_S9_NS6_11hip_rocprim9__find_if7functorIS9_EEEE10hipError_tPvRmT1_T2_T3_mT4_P12ihipStream_tbEUlT_E1_NS1_11comp_targetILNS1_3genE10ELNS1_11target_archE1201ELNS1_3gpuE5ELNS1_3repE0EEENS1_30default_config_static_selectorELNS0_4arch9wavefront6targetE1EEEvSK_,"axG",@progbits,_ZN7rocprim17ROCPRIM_400000_NS6detail17trampoline_kernelINS0_14default_configENS1_22reduce_config_selectorIN6thrust23THRUST_200600_302600_NS5tupleIblNS6_9null_typeES8_S8_S8_S8_S8_S8_S8_EEEEZNS1_11reduce_implILb1ES3_PS9_SC_S9_NS6_11hip_rocprim9__find_if7functorIS9_EEEE10hipError_tPvRmT1_T2_T3_mT4_P12ihipStream_tbEUlT_E1_NS1_11comp_targetILNS1_3genE10ELNS1_11target_archE1201ELNS1_3gpuE5ELNS1_3repE0EEENS1_30default_config_static_selectorELNS0_4arch9wavefront6targetE1EEEvSK_,comdat
.Lfunc_end62:
	.size	_ZN7rocprim17ROCPRIM_400000_NS6detail17trampoline_kernelINS0_14default_configENS1_22reduce_config_selectorIN6thrust23THRUST_200600_302600_NS5tupleIblNS6_9null_typeES8_S8_S8_S8_S8_S8_S8_EEEEZNS1_11reduce_implILb1ES3_PS9_SC_S9_NS6_11hip_rocprim9__find_if7functorIS9_EEEE10hipError_tPvRmT1_T2_T3_mT4_P12ihipStream_tbEUlT_E1_NS1_11comp_targetILNS1_3genE10ELNS1_11target_archE1201ELNS1_3gpuE5ELNS1_3repE0EEENS1_30default_config_static_selectorELNS0_4arch9wavefront6targetE1EEEvSK_, .Lfunc_end62-_ZN7rocprim17ROCPRIM_400000_NS6detail17trampoline_kernelINS0_14default_configENS1_22reduce_config_selectorIN6thrust23THRUST_200600_302600_NS5tupleIblNS6_9null_typeES8_S8_S8_S8_S8_S8_S8_EEEEZNS1_11reduce_implILb1ES3_PS9_SC_S9_NS6_11hip_rocprim9__find_if7functorIS9_EEEE10hipError_tPvRmT1_T2_T3_mT4_P12ihipStream_tbEUlT_E1_NS1_11comp_targetILNS1_3genE10ELNS1_11target_archE1201ELNS1_3gpuE5ELNS1_3repE0EEENS1_30default_config_static_selectorELNS0_4arch9wavefront6targetE1EEEvSK_
                                        ; -- End function
	.section	.AMDGPU.csdata,"",@progbits
; Kernel info:
; codeLenInByte = 0
; NumSgprs: 4
; NumVgprs: 0
; NumAgprs: 0
; TotalNumVgprs: 0
; ScratchSize: 0
; MemoryBound: 0
; FloatMode: 240
; IeeeMode: 1
; LDSByteSize: 0 bytes/workgroup (compile time only)
; SGPRBlocks: 0
; VGPRBlocks: 0
; NumSGPRsForWavesPerEU: 4
; NumVGPRsForWavesPerEU: 1
; AccumOffset: 4
; Occupancy: 8
; WaveLimiterHint : 0
; COMPUTE_PGM_RSRC2:SCRATCH_EN: 0
; COMPUTE_PGM_RSRC2:USER_SGPR: 6
; COMPUTE_PGM_RSRC2:TRAP_HANDLER: 0
; COMPUTE_PGM_RSRC2:TGID_X_EN: 1
; COMPUTE_PGM_RSRC2:TGID_Y_EN: 0
; COMPUTE_PGM_RSRC2:TGID_Z_EN: 0
; COMPUTE_PGM_RSRC2:TIDIG_COMP_CNT: 0
; COMPUTE_PGM_RSRC3_GFX90A:ACCUM_OFFSET: 0
; COMPUTE_PGM_RSRC3_GFX90A:TG_SPLIT: 0
	.section	.text._ZN7rocprim17ROCPRIM_400000_NS6detail17trampoline_kernelINS0_14default_configENS1_22reduce_config_selectorIN6thrust23THRUST_200600_302600_NS5tupleIblNS6_9null_typeES8_S8_S8_S8_S8_S8_S8_EEEEZNS1_11reduce_implILb1ES3_PS9_SC_S9_NS6_11hip_rocprim9__find_if7functorIS9_EEEE10hipError_tPvRmT1_T2_T3_mT4_P12ihipStream_tbEUlT_E1_NS1_11comp_targetILNS1_3genE10ELNS1_11target_archE1200ELNS1_3gpuE4ELNS1_3repE0EEENS1_30default_config_static_selectorELNS0_4arch9wavefront6targetE1EEEvSK_,"axG",@progbits,_ZN7rocprim17ROCPRIM_400000_NS6detail17trampoline_kernelINS0_14default_configENS1_22reduce_config_selectorIN6thrust23THRUST_200600_302600_NS5tupleIblNS6_9null_typeES8_S8_S8_S8_S8_S8_S8_EEEEZNS1_11reduce_implILb1ES3_PS9_SC_S9_NS6_11hip_rocprim9__find_if7functorIS9_EEEE10hipError_tPvRmT1_T2_T3_mT4_P12ihipStream_tbEUlT_E1_NS1_11comp_targetILNS1_3genE10ELNS1_11target_archE1200ELNS1_3gpuE4ELNS1_3repE0EEENS1_30default_config_static_selectorELNS0_4arch9wavefront6targetE1EEEvSK_,comdat
	.protected	_ZN7rocprim17ROCPRIM_400000_NS6detail17trampoline_kernelINS0_14default_configENS1_22reduce_config_selectorIN6thrust23THRUST_200600_302600_NS5tupleIblNS6_9null_typeES8_S8_S8_S8_S8_S8_S8_EEEEZNS1_11reduce_implILb1ES3_PS9_SC_S9_NS6_11hip_rocprim9__find_if7functorIS9_EEEE10hipError_tPvRmT1_T2_T3_mT4_P12ihipStream_tbEUlT_E1_NS1_11comp_targetILNS1_3genE10ELNS1_11target_archE1200ELNS1_3gpuE4ELNS1_3repE0EEENS1_30default_config_static_selectorELNS0_4arch9wavefront6targetE1EEEvSK_ ; -- Begin function _ZN7rocprim17ROCPRIM_400000_NS6detail17trampoline_kernelINS0_14default_configENS1_22reduce_config_selectorIN6thrust23THRUST_200600_302600_NS5tupleIblNS6_9null_typeES8_S8_S8_S8_S8_S8_S8_EEEEZNS1_11reduce_implILb1ES3_PS9_SC_S9_NS6_11hip_rocprim9__find_if7functorIS9_EEEE10hipError_tPvRmT1_T2_T3_mT4_P12ihipStream_tbEUlT_E1_NS1_11comp_targetILNS1_3genE10ELNS1_11target_archE1200ELNS1_3gpuE4ELNS1_3repE0EEENS1_30default_config_static_selectorELNS0_4arch9wavefront6targetE1EEEvSK_
	.globl	_ZN7rocprim17ROCPRIM_400000_NS6detail17trampoline_kernelINS0_14default_configENS1_22reduce_config_selectorIN6thrust23THRUST_200600_302600_NS5tupleIblNS6_9null_typeES8_S8_S8_S8_S8_S8_S8_EEEEZNS1_11reduce_implILb1ES3_PS9_SC_S9_NS6_11hip_rocprim9__find_if7functorIS9_EEEE10hipError_tPvRmT1_T2_T3_mT4_P12ihipStream_tbEUlT_E1_NS1_11comp_targetILNS1_3genE10ELNS1_11target_archE1200ELNS1_3gpuE4ELNS1_3repE0EEENS1_30default_config_static_selectorELNS0_4arch9wavefront6targetE1EEEvSK_
	.p2align	8
	.type	_ZN7rocprim17ROCPRIM_400000_NS6detail17trampoline_kernelINS0_14default_configENS1_22reduce_config_selectorIN6thrust23THRUST_200600_302600_NS5tupleIblNS6_9null_typeES8_S8_S8_S8_S8_S8_S8_EEEEZNS1_11reduce_implILb1ES3_PS9_SC_S9_NS6_11hip_rocprim9__find_if7functorIS9_EEEE10hipError_tPvRmT1_T2_T3_mT4_P12ihipStream_tbEUlT_E1_NS1_11comp_targetILNS1_3genE10ELNS1_11target_archE1200ELNS1_3gpuE4ELNS1_3repE0EEENS1_30default_config_static_selectorELNS0_4arch9wavefront6targetE1EEEvSK_,@function
_ZN7rocprim17ROCPRIM_400000_NS6detail17trampoline_kernelINS0_14default_configENS1_22reduce_config_selectorIN6thrust23THRUST_200600_302600_NS5tupleIblNS6_9null_typeES8_S8_S8_S8_S8_S8_S8_EEEEZNS1_11reduce_implILb1ES3_PS9_SC_S9_NS6_11hip_rocprim9__find_if7functorIS9_EEEE10hipError_tPvRmT1_T2_T3_mT4_P12ihipStream_tbEUlT_E1_NS1_11comp_targetILNS1_3genE10ELNS1_11target_archE1200ELNS1_3gpuE4ELNS1_3repE0EEENS1_30default_config_static_selectorELNS0_4arch9wavefront6targetE1EEEvSK_: ; @_ZN7rocprim17ROCPRIM_400000_NS6detail17trampoline_kernelINS0_14default_configENS1_22reduce_config_selectorIN6thrust23THRUST_200600_302600_NS5tupleIblNS6_9null_typeES8_S8_S8_S8_S8_S8_S8_EEEEZNS1_11reduce_implILb1ES3_PS9_SC_S9_NS6_11hip_rocprim9__find_if7functorIS9_EEEE10hipError_tPvRmT1_T2_T3_mT4_P12ihipStream_tbEUlT_E1_NS1_11comp_targetILNS1_3genE10ELNS1_11target_archE1200ELNS1_3gpuE4ELNS1_3repE0EEENS1_30default_config_static_selectorELNS0_4arch9wavefront6targetE1EEEvSK_
; %bb.0:
	.section	.rodata,"a",@progbits
	.p2align	6, 0x0
	.amdhsa_kernel _ZN7rocprim17ROCPRIM_400000_NS6detail17trampoline_kernelINS0_14default_configENS1_22reduce_config_selectorIN6thrust23THRUST_200600_302600_NS5tupleIblNS6_9null_typeES8_S8_S8_S8_S8_S8_S8_EEEEZNS1_11reduce_implILb1ES3_PS9_SC_S9_NS6_11hip_rocprim9__find_if7functorIS9_EEEE10hipError_tPvRmT1_T2_T3_mT4_P12ihipStream_tbEUlT_E1_NS1_11comp_targetILNS1_3genE10ELNS1_11target_archE1200ELNS1_3gpuE4ELNS1_3repE0EEENS1_30default_config_static_selectorELNS0_4arch9wavefront6targetE1EEEvSK_
		.amdhsa_group_segment_fixed_size 0
		.amdhsa_private_segment_fixed_size 0
		.amdhsa_kernarg_size 56
		.amdhsa_user_sgpr_count 6
		.amdhsa_user_sgpr_private_segment_buffer 1
		.amdhsa_user_sgpr_dispatch_ptr 0
		.amdhsa_user_sgpr_queue_ptr 0
		.amdhsa_user_sgpr_kernarg_segment_ptr 1
		.amdhsa_user_sgpr_dispatch_id 0
		.amdhsa_user_sgpr_flat_scratch_init 0
		.amdhsa_user_sgpr_kernarg_preload_length 0
		.amdhsa_user_sgpr_kernarg_preload_offset 0
		.amdhsa_user_sgpr_private_segment_size 0
		.amdhsa_uses_dynamic_stack 0
		.amdhsa_system_sgpr_private_segment_wavefront_offset 0
		.amdhsa_system_sgpr_workgroup_id_x 1
		.amdhsa_system_sgpr_workgroup_id_y 0
		.amdhsa_system_sgpr_workgroup_id_z 0
		.amdhsa_system_sgpr_workgroup_info 0
		.amdhsa_system_vgpr_workitem_id 0
		.amdhsa_next_free_vgpr 1
		.amdhsa_next_free_sgpr 0
		.amdhsa_accum_offset 4
		.amdhsa_reserve_vcc 0
		.amdhsa_reserve_flat_scratch 0
		.amdhsa_float_round_mode_32 0
		.amdhsa_float_round_mode_16_64 0
		.amdhsa_float_denorm_mode_32 3
		.amdhsa_float_denorm_mode_16_64 3
		.amdhsa_dx10_clamp 1
		.amdhsa_ieee_mode 1
		.amdhsa_fp16_overflow 0
		.amdhsa_tg_split 0
		.amdhsa_exception_fp_ieee_invalid_op 0
		.amdhsa_exception_fp_denorm_src 0
		.amdhsa_exception_fp_ieee_div_zero 0
		.amdhsa_exception_fp_ieee_overflow 0
		.amdhsa_exception_fp_ieee_underflow 0
		.amdhsa_exception_fp_ieee_inexact 0
		.amdhsa_exception_int_div_zero 0
	.end_amdhsa_kernel
	.section	.text._ZN7rocprim17ROCPRIM_400000_NS6detail17trampoline_kernelINS0_14default_configENS1_22reduce_config_selectorIN6thrust23THRUST_200600_302600_NS5tupleIblNS6_9null_typeES8_S8_S8_S8_S8_S8_S8_EEEEZNS1_11reduce_implILb1ES3_PS9_SC_S9_NS6_11hip_rocprim9__find_if7functorIS9_EEEE10hipError_tPvRmT1_T2_T3_mT4_P12ihipStream_tbEUlT_E1_NS1_11comp_targetILNS1_3genE10ELNS1_11target_archE1200ELNS1_3gpuE4ELNS1_3repE0EEENS1_30default_config_static_selectorELNS0_4arch9wavefront6targetE1EEEvSK_,"axG",@progbits,_ZN7rocprim17ROCPRIM_400000_NS6detail17trampoline_kernelINS0_14default_configENS1_22reduce_config_selectorIN6thrust23THRUST_200600_302600_NS5tupleIblNS6_9null_typeES8_S8_S8_S8_S8_S8_S8_EEEEZNS1_11reduce_implILb1ES3_PS9_SC_S9_NS6_11hip_rocprim9__find_if7functorIS9_EEEE10hipError_tPvRmT1_T2_T3_mT4_P12ihipStream_tbEUlT_E1_NS1_11comp_targetILNS1_3genE10ELNS1_11target_archE1200ELNS1_3gpuE4ELNS1_3repE0EEENS1_30default_config_static_selectorELNS0_4arch9wavefront6targetE1EEEvSK_,comdat
.Lfunc_end63:
	.size	_ZN7rocprim17ROCPRIM_400000_NS6detail17trampoline_kernelINS0_14default_configENS1_22reduce_config_selectorIN6thrust23THRUST_200600_302600_NS5tupleIblNS6_9null_typeES8_S8_S8_S8_S8_S8_S8_EEEEZNS1_11reduce_implILb1ES3_PS9_SC_S9_NS6_11hip_rocprim9__find_if7functorIS9_EEEE10hipError_tPvRmT1_T2_T3_mT4_P12ihipStream_tbEUlT_E1_NS1_11comp_targetILNS1_3genE10ELNS1_11target_archE1200ELNS1_3gpuE4ELNS1_3repE0EEENS1_30default_config_static_selectorELNS0_4arch9wavefront6targetE1EEEvSK_, .Lfunc_end63-_ZN7rocprim17ROCPRIM_400000_NS6detail17trampoline_kernelINS0_14default_configENS1_22reduce_config_selectorIN6thrust23THRUST_200600_302600_NS5tupleIblNS6_9null_typeES8_S8_S8_S8_S8_S8_S8_EEEEZNS1_11reduce_implILb1ES3_PS9_SC_S9_NS6_11hip_rocprim9__find_if7functorIS9_EEEE10hipError_tPvRmT1_T2_T3_mT4_P12ihipStream_tbEUlT_E1_NS1_11comp_targetILNS1_3genE10ELNS1_11target_archE1200ELNS1_3gpuE4ELNS1_3repE0EEENS1_30default_config_static_selectorELNS0_4arch9wavefront6targetE1EEEvSK_
                                        ; -- End function
	.section	.AMDGPU.csdata,"",@progbits
; Kernel info:
; codeLenInByte = 0
; NumSgprs: 4
; NumVgprs: 0
; NumAgprs: 0
; TotalNumVgprs: 0
; ScratchSize: 0
; MemoryBound: 0
; FloatMode: 240
; IeeeMode: 1
; LDSByteSize: 0 bytes/workgroup (compile time only)
; SGPRBlocks: 0
; VGPRBlocks: 0
; NumSGPRsForWavesPerEU: 4
; NumVGPRsForWavesPerEU: 1
; AccumOffset: 4
; Occupancy: 8
; WaveLimiterHint : 0
; COMPUTE_PGM_RSRC2:SCRATCH_EN: 0
; COMPUTE_PGM_RSRC2:USER_SGPR: 6
; COMPUTE_PGM_RSRC2:TRAP_HANDLER: 0
; COMPUTE_PGM_RSRC2:TGID_X_EN: 1
; COMPUTE_PGM_RSRC2:TGID_Y_EN: 0
; COMPUTE_PGM_RSRC2:TGID_Z_EN: 0
; COMPUTE_PGM_RSRC2:TIDIG_COMP_CNT: 0
; COMPUTE_PGM_RSRC3_GFX90A:ACCUM_OFFSET: 0
; COMPUTE_PGM_RSRC3_GFX90A:TG_SPLIT: 0
	.section	.text._ZN7rocprim17ROCPRIM_400000_NS6detail17trampoline_kernelINS0_14default_configENS1_22reduce_config_selectorIN6thrust23THRUST_200600_302600_NS5tupleIblNS6_9null_typeES8_S8_S8_S8_S8_S8_S8_EEEEZNS1_11reduce_implILb1ES3_PS9_SC_S9_NS6_11hip_rocprim9__find_if7functorIS9_EEEE10hipError_tPvRmT1_T2_T3_mT4_P12ihipStream_tbEUlT_E1_NS1_11comp_targetILNS1_3genE9ELNS1_11target_archE1100ELNS1_3gpuE3ELNS1_3repE0EEENS1_30default_config_static_selectorELNS0_4arch9wavefront6targetE1EEEvSK_,"axG",@progbits,_ZN7rocprim17ROCPRIM_400000_NS6detail17trampoline_kernelINS0_14default_configENS1_22reduce_config_selectorIN6thrust23THRUST_200600_302600_NS5tupleIblNS6_9null_typeES8_S8_S8_S8_S8_S8_S8_EEEEZNS1_11reduce_implILb1ES3_PS9_SC_S9_NS6_11hip_rocprim9__find_if7functorIS9_EEEE10hipError_tPvRmT1_T2_T3_mT4_P12ihipStream_tbEUlT_E1_NS1_11comp_targetILNS1_3genE9ELNS1_11target_archE1100ELNS1_3gpuE3ELNS1_3repE0EEENS1_30default_config_static_selectorELNS0_4arch9wavefront6targetE1EEEvSK_,comdat
	.protected	_ZN7rocprim17ROCPRIM_400000_NS6detail17trampoline_kernelINS0_14default_configENS1_22reduce_config_selectorIN6thrust23THRUST_200600_302600_NS5tupleIblNS6_9null_typeES8_S8_S8_S8_S8_S8_S8_EEEEZNS1_11reduce_implILb1ES3_PS9_SC_S9_NS6_11hip_rocprim9__find_if7functorIS9_EEEE10hipError_tPvRmT1_T2_T3_mT4_P12ihipStream_tbEUlT_E1_NS1_11comp_targetILNS1_3genE9ELNS1_11target_archE1100ELNS1_3gpuE3ELNS1_3repE0EEENS1_30default_config_static_selectorELNS0_4arch9wavefront6targetE1EEEvSK_ ; -- Begin function _ZN7rocprim17ROCPRIM_400000_NS6detail17trampoline_kernelINS0_14default_configENS1_22reduce_config_selectorIN6thrust23THRUST_200600_302600_NS5tupleIblNS6_9null_typeES8_S8_S8_S8_S8_S8_S8_EEEEZNS1_11reduce_implILb1ES3_PS9_SC_S9_NS6_11hip_rocprim9__find_if7functorIS9_EEEE10hipError_tPvRmT1_T2_T3_mT4_P12ihipStream_tbEUlT_E1_NS1_11comp_targetILNS1_3genE9ELNS1_11target_archE1100ELNS1_3gpuE3ELNS1_3repE0EEENS1_30default_config_static_selectorELNS0_4arch9wavefront6targetE1EEEvSK_
	.globl	_ZN7rocprim17ROCPRIM_400000_NS6detail17trampoline_kernelINS0_14default_configENS1_22reduce_config_selectorIN6thrust23THRUST_200600_302600_NS5tupleIblNS6_9null_typeES8_S8_S8_S8_S8_S8_S8_EEEEZNS1_11reduce_implILb1ES3_PS9_SC_S9_NS6_11hip_rocprim9__find_if7functorIS9_EEEE10hipError_tPvRmT1_T2_T3_mT4_P12ihipStream_tbEUlT_E1_NS1_11comp_targetILNS1_3genE9ELNS1_11target_archE1100ELNS1_3gpuE3ELNS1_3repE0EEENS1_30default_config_static_selectorELNS0_4arch9wavefront6targetE1EEEvSK_
	.p2align	8
	.type	_ZN7rocprim17ROCPRIM_400000_NS6detail17trampoline_kernelINS0_14default_configENS1_22reduce_config_selectorIN6thrust23THRUST_200600_302600_NS5tupleIblNS6_9null_typeES8_S8_S8_S8_S8_S8_S8_EEEEZNS1_11reduce_implILb1ES3_PS9_SC_S9_NS6_11hip_rocprim9__find_if7functorIS9_EEEE10hipError_tPvRmT1_T2_T3_mT4_P12ihipStream_tbEUlT_E1_NS1_11comp_targetILNS1_3genE9ELNS1_11target_archE1100ELNS1_3gpuE3ELNS1_3repE0EEENS1_30default_config_static_selectorELNS0_4arch9wavefront6targetE1EEEvSK_,@function
_ZN7rocprim17ROCPRIM_400000_NS6detail17trampoline_kernelINS0_14default_configENS1_22reduce_config_selectorIN6thrust23THRUST_200600_302600_NS5tupleIblNS6_9null_typeES8_S8_S8_S8_S8_S8_S8_EEEEZNS1_11reduce_implILb1ES3_PS9_SC_S9_NS6_11hip_rocprim9__find_if7functorIS9_EEEE10hipError_tPvRmT1_T2_T3_mT4_P12ihipStream_tbEUlT_E1_NS1_11comp_targetILNS1_3genE9ELNS1_11target_archE1100ELNS1_3gpuE3ELNS1_3repE0EEENS1_30default_config_static_selectorELNS0_4arch9wavefront6targetE1EEEvSK_: ; @_ZN7rocprim17ROCPRIM_400000_NS6detail17trampoline_kernelINS0_14default_configENS1_22reduce_config_selectorIN6thrust23THRUST_200600_302600_NS5tupleIblNS6_9null_typeES8_S8_S8_S8_S8_S8_S8_EEEEZNS1_11reduce_implILb1ES3_PS9_SC_S9_NS6_11hip_rocprim9__find_if7functorIS9_EEEE10hipError_tPvRmT1_T2_T3_mT4_P12ihipStream_tbEUlT_E1_NS1_11comp_targetILNS1_3genE9ELNS1_11target_archE1100ELNS1_3gpuE3ELNS1_3repE0EEENS1_30default_config_static_selectorELNS0_4arch9wavefront6targetE1EEEvSK_
; %bb.0:
	.section	.rodata,"a",@progbits
	.p2align	6, 0x0
	.amdhsa_kernel _ZN7rocprim17ROCPRIM_400000_NS6detail17trampoline_kernelINS0_14default_configENS1_22reduce_config_selectorIN6thrust23THRUST_200600_302600_NS5tupleIblNS6_9null_typeES8_S8_S8_S8_S8_S8_S8_EEEEZNS1_11reduce_implILb1ES3_PS9_SC_S9_NS6_11hip_rocprim9__find_if7functorIS9_EEEE10hipError_tPvRmT1_T2_T3_mT4_P12ihipStream_tbEUlT_E1_NS1_11comp_targetILNS1_3genE9ELNS1_11target_archE1100ELNS1_3gpuE3ELNS1_3repE0EEENS1_30default_config_static_selectorELNS0_4arch9wavefront6targetE1EEEvSK_
		.amdhsa_group_segment_fixed_size 0
		.amdhsa_private_segment_fixed_size 0
		.amdhsa_kernarg_size 56
		.amdhsa_user_sgpr_count 6
		.amdhsa_user_sgpr_private_segment_buffer 1
		.amdhsa_user_sgpr_dispatch_ptr 0
		.amdhsa_user_sgpr_queue_ptr 0
		.amdhsa_user_sgpr_kernarg_segment_ptr 1
		.amdhsa_user_sgpr_dispatch_id 0
		.amdhsa_user_sgpr_flat_scratch_init 0
		.amdhsa_user_sgpr_kernarg_preload_length 0
		.amdhsa_user_sgpr_kernarg_preload_offset 0
		.amdhsa_user_sgpr_private_segment_size 0
		.amdhsa_uses_dynamic_stack 0
		.amdhsa_system_sgpr_private_segment_wavefront_offset 0
		.amdhsa_system_sgpr_workgroup_id_x 1
		.amdhsa_system_sgpr_workgroup_id_y 0
		.amdhsa_system_sgpr_workgroup_id_z 0
		.amdhsa_system_sgpr_workgroup_info 0
		.amdhsa_system_vgpr_workitem_id 0
		.amdhsa_next_free_vgpr 1
		.amdhsa_next_free_sgpr 0
		.amdhsa_accum_offset 4
		.amdhsa_reserve_vcc 0
		.amdhsa_reserve_flat_scratch 0
		.amdhsa_float_round_mode_32 0
		.amdhsa_float_round_mode_16_64 0
		.amdhsa_float_denorm_mode_32 3
		.amdhsa_float_denorm_mode_16_64 3
		.amdhsa_dx10_clamp 1
		.amdhsa_ieee_mode 1
		.amdhsa_fp16_overflow 0
		.amdhsa_tg_split 0
		.amdhsa_exception_fp_ieee_invalid_op 0
		.amdhsa_exception_fp_denorm_src 0
		.amdhsa_exception_fp_ieee_div_zero 0
		.amdhsa_exception_fp_ieee_overflow 0
		.amdhsa_exception_fp_ieee_underflow 0
		.amdhsa_exception_fp_ieee_inexact 0
		.amdhsa_exception_int_div_zero 0
	.end_amdhsa_kernel
	.section	.text._ZN7rocprim17ROCPRIM_400000_NS6detail17trampoline_kernelINS0_14default_configENS1_22reduce_config_selectorIN6thrust23THRUST_200600_302600_NS5tupleIblNS6_9null_typeES8_S8_S8_S8_S8_S8_S8_EEEEZNS1_11reduce_implILb1ES3_PS9_SC_S9_NS6_11hip_rocprim9__find_if7functorIS9_EEEE10hipError_tPvRmT1_T2_T3_mT4_P12ihipStream_tbEUlT_E1_NS1_11comp_targetILNS1_3genE9ELNS1_11target_archE1100ELNS1_3gpuE3ELNS1_3repE0EEENS1_30default_config_static_selectorELNS0_4arch9wavefront6targetE1EEEvSK_,"axG",@progbits,_ZN7rocprim17ROCPRIM_400000_NS6detail17trampoline_kernelINS0_14default_configENS1_22reduce_config_selectorIN6thrust23THRUST_200600_302600_NS5tupleIblNS6_9null_typeES8_S8_S8_S8_S8_S8_S8_EEEEZNS1_11reduce_implILb1ES3_PS9_SC_S9_NS6_11hip_rocprim9__find_if7functorIS9_EEEE10hipError_tPvRmT1_T2_T3_mT4_P12ihipStream_tbEUlT_E1_NS1_11comp_targetILNS1_3genE9ELNS1_11target_archE1100ELNS1_3gpuE3ELNS1_3repE0EEENS1_30default_config_static_selectorELNS0_4arch9wavefront6targetE1EEEvSK_,comdat
.Lfunc_end64:
	.size	_ZN7rocprim17ROCPRIM_400000_NS6detail17trampoline_kernelINS0_14default_configENS1_22reduce_config_selectorIN6thrust23THRUST_200600_302600_NS5tupleIblNS6_9null_typeES8_S8_S8_S8_S8_S8_S8_EEEEZNS1_11reduce_implILb1ES3_PS9_SC_S9_NS6_11hip_rocprim9__find_if7functorIS9_EEEE10hipError_tPvRmT1_T2_T3_mT4_P12ihipStream_tbEUlT_E1_NS1_11comp_targetILNS1_3genE9ELNS1_11target_archE1100ELNS1_3gpuE3ELNS1_3repE0EEENS1_30default_config_static_selectorELNS0_4arch9wavefront6targetE1EEEvSK_, .Lfunc_end64-_ZN7rocprim17ROCPRIM_400000_NS6detail17trampoline_kernelINS0_14default_configENS1_22reduce_config_selectorIN6thrust23THRUST_200600_302600_NS5tupleIblNS6_9null_typeES8_S8_S8_S8_S8_S8_S8_EEEEZNS1_11reduce_implILb1ES3_PS9_SC_S9_NS6_11hip_rocprim9__find_if7functorIS9_EEEE10hipError_tPvRmT1_T2_T3_mT4_P12ihipStream_tbEUlT_E1_NS1_11comp_targetILNS1_3genE9ELNS1_11target_archE1100ELNS1_3gpuE3ELNS1_3repE0EEENS1_30default_config_static_selectorELNS0_4arch9wavefront6targetE1EEEvSK_
                                        ; -- End function
	.section	.AMDGPU.csdata,"",@progbits
; Kernel info:
; codeLenInByte = 0
; NumSgprs: 4
; NumVgprs: 0
; NumAgprs: 0
; TotalNumVgprs: 0
; ScratchSize: 0
; MemoryBound: 0
; FloatMode: 240
; IeeeMode: 1
; LDSByteSize: 0 bytes/workgroup (compile time only)
; SGPRBlocks: 0
; VGPRBlocks: 0
; NumSGPRsForWavesPerEU: 4
; NumVGPRsForWavesPerEU: 1
; AccumOffset: 4
; Occupancy: 8
; WaveLimiterHint : 0
; COMPUTE_PGM_RSRC2:SCRATCH_EN: 0
; COMPUTE_PGM_RSRC2:USER_SGPR: 6
; COMPUTE_PGM_RSRC2:TRAP_HANDLER: 0
; COMPUTE_PGM_RSRC2:TGID_X_EN: 1
; COMPUTE_PGM_RSRC2:TGID_Y_EN: 0
; COMPUTE_PGM_RSRC2:TGID_Z_EN: 0
; COMPUTE_PGM_RSRC2:TIDIG_COMP_CNT: 0
; COMPUTE_PGM_RSRC3_GFX90A:ACCUM_OFFSET: 0
; COMPUTE_PGM_RSRC3_GFX90A:TG_SPLIT: 0
	.section	.text._ZN7rocprim17ROCPRIM_400000_NS6detail17trampoline_kernelINS0_14default_configENS1_22reduce_config_selectorIN6thrust23THRUST_200600_302600_NS5tupleIblNS6_9null_typeES8_S8_S8_S8_S8_S8_S8_EEEEZNS1_11reduce_implILb1ES3_PS9_SC_S9_NS6_11hip_rocprim9__find_if7functorIS9_EEEE10hipError_tPvRmT1_T2_T3_mT4_P12ihipStream_tbEUlT_E1_NS1_11comp_targetILNS1_3genE8ELNS1_11target_archE1030ELNS1_3gpuE2ELNS1_3repE0EEENS1_30default_config_static_selectorELNS0_4arch9wavefront6targetE1EEEvSK_,"axG",@progbits,_ZN7rocprim17ROCPRIM_400000_NS6detail17trampoline_kernelINS0_14default_configENS1_22reduce_config_selectorIN6thrust23THRUST_200600_302600_NS5tupleIblNS6_9null_typeES8_S8_S8_S8_S8_S8_S8_EEEEZNS1_11reduce_implILb1ES3_PS9_SC_S9_NS6_11hip_rocprim9__find_if7functorIS9_EEEE10hipError_tPvRmT1_T2_T3_mT4_P12ihipStream_tbEUlT_E1_NS1_11comp_targetILNS1_3genE8ELNS1_11target_archE1030ELNS1_3gpuE2ELNS1_3repE0EEENS1_30default_config_static_selectorELNS0_4arch9wavefront6targetE1EEEvSK_,comdat
	.protected	_ZN7rocprim17ROCPRIM_400000_NS6detail17trampoline_kernelINS0_14default_configENS1_22reduce_config_selectorIN6thrust23THRUST_200600_302600_NS5tupleIblNS6_9null_typeES8_S8_S8_S8_S8_S8_S8_EEEEZNS1_11reduce_implILb1ES3_PS9_SC_S9_NS6_11hip_rocprim9__find_if7functorIS9_EEEE10hipError_tPvRmT1_T2_T3_mT4_P12ihipStream_tbEUlT_E1_NS1_11comp_targetILNS1_3genE8ELNS1_11target_archE1030ELNS1_3gpuE2ELNS1_3repE0EEENS1_30default_config_static_selectorELNS0_4arch9wavefront6targetE1EEEvSK_ ; -- Begin function _ZN7rocprim17ROCPRIM_400000_NS6detail17trampoline_kernelINS0_14default_configENS1_22reduce_config_selectorIN6thrust23THRUST_200600_302600_NS5tupleIblNS6_9null_typeES8_S8_S8_S8_S8_S8_S8_EEEEZNS1_11reduce_implILb1ES3_PS9_SC_S9_NS6_11hip_rocprim9__find_if7functorIS9_EEEE10hipError_tPvRmT1_T2_T3_mT4_P12ihipStream_tbEUlT_E1_NS1_11comp_targetILNS1_3genE8ELNS1_11target_archE1030ELNS1_3gpuE2ELNS1_3repE0EEENS1_30default_config_static_selectorELNS0_4arch9wavefront6targetE1EEEvSK_
	.globl	_ZN7rocprim17ROCPRIM_400000_NS6detail17trampoline_kernelINS0_14default_configENS1_22reduce_config_selectorIN6thrust23THRUST_200600_302600_NS5tupleIblNS6_9null_typeES8_S8_S8_S8_S8_S8_S8_EEEEZNS1_11reduce_implILb1ES3_PS9_SC_S9_NS6_11hip_rocprim9__find_if7functorIS9_EEEE10hipError_tPvRmT1_T2_T3_mT4_P12ihipStream_tbEUlT_E1_NS1_11comp_targetILNS1_3genE8ELNS1_11target_archE1030ELNS1_3gpuE2ELNS1_3repE0EEENS1_30default_config_static_selectorELNS0_4arch9wavefront6targetE1EEEvSK_
	.p2align	8
	.type	_ZN7rocprim17ROCPRIM_400000_NS6detail17trampoline_kernelINS0_14default_configENS1_22reduce_config_selectorIN6thrust23THRUST_200600_302600_NS5tupleIblNS6_9null_typeES8_S8_S8_S8_S8_S8_S8_EEEEZNS1_11reduce_implILb1ES3_PS9_SC_S9_NS6_11hip_rocprim9__find_if7functorIS9_EEEE10hipError_tPvRmT1_T2_T3_mT4_P12ihipStream_tbEUlT_E1_NS1_11comp_targetILNS1_3genE8ELNS1_11target_archE1030ELNS1_3gpuE2ELNS1_3repE0EEENS1_30default_config_static_selectorELNS0_4arch9wavefront6targetE1EEEvSK_,@function
_ZN7rocprim17ROCPRIM_400000_NS6detail17trampoline_kernelINS0_14default_configENS1_22reduce_config_selectorIN6thrust23THRUST_200600_302600_NS5tupleIblNS6_9null_typeES8_S8_S8_S8_S8_S8_S8_EEEEZNS1_11reduce_implILb1ES3_PS9_SC_S9_NS6_11hip_rocprim9__find_if7functorIS9_EEEE10hipError_tPvRmT1_T2_T3_mT4_P12ihipStream_tbEUlT_E1_NS1_11comp_targetILNS1_3genE8ELNS1_11target_archE1030ELNS1_3gpuE2ELNS1_3repE0EEENS1_30default_config_static_selectorELNS0_4arch9wavefront6targetE1EEEvSK_: ; @_ZN7rocprim17ROCPRIM_400000_NS6detail17trampoline_kernelINS0_14default_configENS1_22reduce_config_selectorIN6thrust23THRUST_200600_302600_NS5tupleIblNS6_9null_typeES8_S8_S8_S8_S8_S8_S8_EEEEZNS1_11reduce_implILb1ES3_PS9_SC_S9_NS6_11hip_rocprim9__find_if7functorIS9_EEEE10hipError_tPvRmT1_T2_T3_mT4_P12ihipStream_tbEUlT_E1_NS1_11comp_targetILNS1_3genE8ELNS1_11target_archE1030ELNS1_3gpuE2ELNS1_3repE0EEENS1_30default_config_static_selectorELNS0_4arch9wavefront6targetE1EEEvSK_
; %bb.0:
	.section	.rodata,"a",@progbits
	.p2align	6, 0x0
	.amdhsa_kernel _ZN7rocprim17ROCPRIM_400000_NS6detail17trampoline_kernelINS0_14default_configENS1_22reduce_config_selectorIN6thrust23THRUST_200600_302600_NS5tupleIblNS6_9null_typeES8_S8_S8_S8_S8_S8_S8_EEEEZNS1_11reduce_implILb1ES3_PS9_SC_S9_NS6_11hip_rocprim9__find_if7functorIS9_EEEE10hipError_tPvRmT1_T2_T3_mT4_P12ihipStream_tbEUlT_E1_NS1_11comp_targetILNS1_3genE8ELNS1_11target_archE1030ELNS1_3gpuE2ELNS1_3repE0EEENS1_30default_config_static_selectorELNS0_4arch9wavefront6targetE1EEEvSK_
		.amdhsa_group_segment_fixed_size 0
		.amdhsa_private_segment_fixed_size 0
		.amdhsa_kernarg_size 56
		.amdhsa_user_sgpr_count 6
		.amdhsa_user_sgpr_private_segment_buffer 1
		.amdhsa_user_sgpr_dispatch_ptr 0
		.amdhsa_user_sgpr_queue_ptr 0
		.amdhsa_user_sgpr_kernarg_segment_ptr 1
		.amdhsa_user_sgpr_dispatch_id 0
		.amdhsa_user_sgpr_flat_scratch_init 0
		.amdhsa_user_sgpr_kernarg_preload_length 0
		.amdhsa_user_sgpr_kernarg_preload_offset 0
		.amdhsa_user_sgpr_private_segment_size 0
		.amdhsa_uses_dynamic_stack 0
		.amdhsa_system_sgpr_private_segment_wavefront_offset 0
		.amdhsa_system_sgpr_workgroup_id_x 1
		.amdhsa_system_sgpr_workgroup_id_y 0
		.amdhsa_system_sgpr_workgroup_id_z 0
		.amdhsa_system_sgpr_workgroup_info 0
		.amdhsa_system_vgpr_workitem_id 0
		.amdhsa_next_free_vgpr 1
		.amdhsa_next_free_sgpr 0
		.amdhsa_accum_offset 4
		.amdhsa_reserve_vcc 0
		.amdhsa_reserve_flat_scratch 0
		.amdhsa_float_round_mode_32 0
		.amdhsa_float_round_mode_16_64 0
		.amdhsa_float_denorm_mode_32 3
		.amdhsa_float_denorm_mode_16_64 3
		.amdhsa_dx10_clamp 1
		.amdhsa_ieee_mode 1
		.amdhsa_fp16_overflow 0
		.amdhsa_tg_split 0
		.amdhsa_exception_fp_ieee_invalid_op 0
		.amdhsa_exception_fp_denorm_src 0
		.amdhsa_exception_fp_ieee_div_zero 0
		.amdhsa_exception_fp_ieee_overflow 0
		.amdhsa_exception_fp_ieee_underflow 0
		.amdhsa_exception_fp_ieee_inexact 0
		.amdhsa_exception_int_div_zero 0
	.end_amdhsa_kernel
	.section	.text._ZN7rocprim17ROCPRIM_400000_NS6detail17trampoline_kernelINS0_14default_configENS1_22reduce_config_selectorIN6thrust23THRUST_200600_302600_NS5tupleIblNS6_9null_typeES8_S8_S8_S8_S8_S8_S8_EEEEZNS1_11reduce_implILb1ES3_PS9_SC_S9_NS6_11hip_rocprim9__find_if7functorIS9_EEEE10hipError_tPvRmT1_T2_T3_mT4_P12ihipStream_tbEUlT_E1_NS1_11comp_targetILNS1_3genE8ELNS1_11target_archE1030ELNS1_3gpuE2ELNS1_3repE0EEENS1_30default_config_static_selectorELNS0_4arch9wavefront6targetE1EEEvSK_,"axG",@progbits,_ZN7rocprim17ROCPRIM_400000_NS6detail17trampoline_kernelINS0_14default_configENS1_22reduce_config_selectorIN6thrust23THRUST_200600_302600_NS5tupleIblNS6_9null_typeES8_S8_S8_S8_S8_S8_S8_EEEEZNS1_11reduce_implILb1ES3_PS9_SC_S9_NS6_11hip_rocprim9__find_if7functorIS9_EEEE10hipError_tPvRmT1_T2_T3_mT4_P12ihipStream_tbEUlT_E1_NS1_11comp_targetILNS1_3genE8ELNS1_11target_archE1030ELNS1_3gpuE2ELNS1_3repE0EEENS1_30default_config_static_selectorELNS0_4arch9wavefront6targetE1EEEvSK_,comdat
.Lfunc_end65:
	.size	_ZN7rocprim17ROCPRIM_400000_NS6detail17trampoline_kernelINS0_14default_configENS1_22reduce_config_selectorIN6thrust23THRUST_200600_302600_NS5tupleIblNS6_9null_typeES8_S8_S8_S8_S8_S8_S8_EEEEZNS1_11reduce_implILb1ES3_PS9_SC_S9_NS6_11hip_rocprim9__find_if7functorIS9_EEEE10hipError_tPvRmT1_T2_T3_mT4_P12ihipStream_tbEUlT_E1_NS1_11comp_targetILNS1_3genE8ELNS1_11target_archE1030ELNS1_3gpuE2ELNS1_3repE0EEENS1_30default_config_static_selectorELNS0_4arch9wavefront6targetE1EEEvSK_, .Lfunc_end65-_ZN7rocprim17ROCPRIM_400000_NS6detail17trampoline_kernelINS0_14default_configENS1_22reduce_config_selectorIN6thrust23THRUST_200600_302600_NS5tupleIblNS6_9null_typeES8_S8_S8_S8_S8_S8_S8_EEEEZNS1_11reduce_implILb1ES3_PS9_SC_S9_NS6_11hip_rocprim9__find_if7functorIS9_EEEE10hipError_tPvRmT1_T2_T3_mT4_P12ihipStream_tbEUlT_E1_NS1_11comp_targetILNS1_3genE8ELNS1_11target_archE1030ELNS1_3gpuE2ELNS1_3repE0EEENS1_30default_config_static_selectorELNS0_4arch9wavefront6targetE1EEEvSK_
                                        ; -- End function
	.section	.AMDGPU.csdata,"",@progbits
; Kernel info:
; codeLenInByte = 0
; NumSgprs: 4
; NumVgprs: 0
; NumAgprs: 0
; TotalNumVgprs: 0
; ScratchSize: 0
; MemoryBound: 0
; FloatMode: 240
; IeeeMode: 1
; LDSByteSize: 0 bytes/workgroup (compile time only)
; SGPRBlocks: 0
; VGPRBlocks: 0
; NumSGPRsForWavesPerEU: 4
; NumVGPRsForWavesPerEU: 1
; AccumOffset: 4
; Occupancy: 8
; WaveLimiterHint : 0
; COMPUTE_PGM_RSRC2:SCRATCH_EN: 0
; COMPUTE_PGM_RSRC2:USER_SGPR: 6
; COMPUTE_PGM_RSRC2:TRAP_HANDLER: 0
; COMPUTE_PGM_RSRC2:TGID_X_EN: 1
; COMPUTE_PGM_RSRC2:TGID_Y_EN: 0
; COMPUTE_PGM_RSRC2:TGID_Z_EN: 0
; COMPUTE_PGM_RSRC2:TIDIG_COMP_CNT: 0
; COMPUTE_PGM_RSRC3_GFX90A:ACCUM_OFFSET: 0
; COMPUTE_PGM_RSRC3_GFX90A:TG_SPLIT: 0
	.section	.text._ZN7rocprim17ROCPRIM_400000_NS6detail17trampoline_kernelINS0_14default_configENS1_22reduce_config_selectorIN6thrust23THRUST_200600_302600_NS5tupleIblNS6_9null_typeES8_S8_S8_S8_S8_S8_S8_EEEEZNS1_11reduce_implILb1ES3_NS6_12zip_iteratorINS7_INS6_11hip_rocprim26transform_input_iterator_tIbNSD_35transform_pair_of_input_iterators_tIbNS6_6detail15normal_iteratorINS6_10device_ptrIKxEEEESL_NS6_8equal_toIxEEEENSG_9not_fun_tINSD_8identityEEEEENSD_19counting_iterator_tIlEES8_S8_S8_S8_S8_S8_S8_S8_EEEEPS9_S9_NSD_9__find_if7functorIS9_EEEE10hipError_tPvRmT1_T2_T3_mT4_P12ihipStream_tbEUlT_E0_NS1_11comp_targetILNS1_3genE0ELNS1_11target_archE4294967295ELNS1_3gpuE0ELNS1_3repE0EEENS1_30default_config_static_selectorELNS0_4arch9wavefront6targetE1EEEvS14_,"axG",@progbits,_ZN7rocprim17ROCPRIM_400000_NS6detail17trampoline_kernelINS0_14default_configENS1_22reduce_config_selectorIN6thrust23THRUST_200600_302600_NS5tupleIblNS6_9null_typeES8_S8_S8_S8_S8_S8_S8_EEEEZNS1_11reduce_implILb1ES3_NS6_12zip_iteratorINS7_INS6_11hip_rocprim26transform_input_iterator_tIbNSD_35transform_pair_of_input_iterators_tIbNS6_6detail15normal_iteratorINS6_10device_ptrIKxEEEESL_NS6_8equal_toIxEEEENSG_9not_fun_tINSD_8identityEEEEENSD_19counting_iterator_tIlEES8_S8_S8_S8_S8_S8_S8_S8_EEEEPS9_S9_NSD_9__find_if7functorIS9_EEEE10hipError_tPvRmT1_T2_T3_mT4_P12ihipStream_tbEUlT_E0_NS1_11comp_targetILNS1_3genE0ELNS1_11target_archE4294967295ELNS1_3gpuE0ELNS1_3repE0EEENS1_30default_config_static_selectorELNS0_4arch9wavefront6targetE1EEEvS14_,comdat
	.protected	_ZN7rocprim17ROCPRIM_400000_NS6detail17trampoline_kernelINS0_14default_configENS1_22reduce_config_selectorIN6thrust23THRUST_200600_302600_NS5tupleIblNS6_9null_typeES8_S8_S8_S8_S8_S8_S8_EEEEZNS1_11reduce_implILb1ES3_NS6_12zip_iteratorINS7_INS6_11hip_rocprim26transform_input_iterator_tIbNSD_35transform_pair_of_input_iterators_tIbNS6_6detail15normal_iteratorINS6_10device_ptrIKxEEEESL_NS6_8equal_toIxEEEENSG_9not_fun_tINSD_8identityEEEEENSD_19counting_iterator_tIlEES8_S8_S8_S8_S8_S8_S8_S8_EEEEPS9_S9_NSD_9__find_if7functorIS9_EEEE10hipError_tPvRmT1_T2_T3_mT4_P12ihipStream_tbEUlT_E0_NS1_11comp_targetILNS1_3genE0ELNS1_11target_archE4294967295ELNS1_3gpuE0ELNS1_3repE0EEENS1_30default_config_static_selectorELNS0_4arch9wavefront6targetE1EEEvS14_ ; -- Begin function _ZN7rocprim17ROCPRIM_400000_NS6detail17trampoline_kernelINS0_14default_configENS1_22reduce_config_selectorIN6thrust23THRUST_200600_302600_NS5tupleIblNS6_9null_typeES8_S8_S8_S8_S8_S8_S8_EEEEZNS1_11reduce_implILb1ES3_NS6_12zip_iteratorINS7_INS6_11hip_rocprim26transform_input_iterator_tIbNSD_35transform_pair_of_input_iterators_tIbNS6_6detail15normal_iteratorINS6_10device_ptrIKxEEEESL_NS6_8equal_toIxEEEENSG_9not_fun_tINSD_8identityEEEEENSD_19counting_iterator_tIlEES8_S8_S8_S8_S8_S8_S8_S8_EEEEPS9_S9_NSD_9__find_if7functorIS9_EEEE10hipError_tPvRmT1_T2_T3_mT4_P12ihipStream_tbEUlT_E0_NS1_11comp_targetILNS1_3genE0ELNS1_11target_archE4294967295ELNS1_3gpuE0ELNS1_3repE0EEENS1_30default_config_static_selectorELNS0_4arch9wavefront6targetE1EEEvS14_
	.globl	_ZN7rocprim17ROCPRIM_400000_NS6detail17trampoline_kernelINS0_14default_configENS1_22reduce_config_selectorIN6thrust23THRUST_200600_302600_NS5tupleIblNS6_9null_typeES8_S8_S8_S8_S8_S8_S8_EEEEZNS1_11reduce_implILb1ES3_NS6_12zip_iteratorINS7_INS6_11hip_rocprim26transform_input_iterator_tIbNSD_35transform_pair_of_input_iterators_tIbNS6_6detail15normal_iteratorINS6_10device_ptrIKxEEEESL_NS6_8equal_toIxEEEENSG_9not_fun_tINSD_8identityEEEEENSD_19counting_iterator_tIlEES8_S8_S8_S8_S8_S8_S8_S8_EEEEPS9_S9_NSD_9__find_if7functorIS9_EEEE10hipError_tPvRmT1_T2_T3_mT4_P12ihipStream_tbEUlT_E0_NS1_11comp_targetILNS1_3genE0ELNS1_11target_archE4294967295ELNS1_3gpuE0ELNS1_3repE0EEENS1_30default_config_static_selectorELNS0_4arch9wavefront6targetE1EEEvS14_
	.p2align	8
	.type	_ZN7rocprim17ROCPRIM_400000_NS6detail17trampoline_kernelINS0_14default_configENS1_22reduce_config_selectorIN6thrust23THRUST_200600_302600_NS5tupleIblNS6_9null_typeES8_S8_S8_S8_S8_S8_S8_EEEEZNS1_11reduce_implILb1ES3_NS6_12zip_iteratorINS7_INS6_11hip_rocprim26transform_input_iterator_tIbNSD_35transform_pair_of_input_iterators_tIbNS6_6detail15normal_iteratorINS6_10device_ptrIKxEEEESL_NS6_8equal_toIxEEEENSG_9not_fun_tINSD_8identityEEEEENSD_19counting_iterator_tIlEES8_S8_S8_S8_S8_S8_S8_S8_EEEEPS9_S9_NSD_9__find_if7functorIS9_EEEE10hipError_tPvRmT1_T2_T3_mT4_P12ihipStream_tbEUlT_E0_NS1_11comp_targetILNS1_3genE0ELNS1_11target_archE4294967295ELNS1_3gpuE0ELNS1_3repE0EEENS1_30default_config_static_selectorELNS0_4arch9wavefront6targetE1EEEvS14_,@function
_ZN7rocprim17ROCPRIM_400000_NS6detail17trampoline_kernelINS0_14default_configENS1_22reduce_config_selectorIN6thrust23THRUST_200600_302600_NS5tupleIblNS6_9null_typeES8_S8_S8_S8_S8_S8_S8_EEEEZNS1_11reduce_implILb1ES3_NS6_12zip_iteratorINS7_INS6_11hip_rocprim26transform_input_iterator_tIbNSD_35transform_pair_of_input_iterators_tIbNS6_6detail15normal_iteratorINS6_10device_ptrIKxEEEESL_NS6_8equal_toIxEEEENSG_9not_fun_tINSD_8identityEEEEENSD_19counting_iterator_tIlEES8_S8_S8_S8_S8_S8_S8_S8_EEEEPS9_S9_NSD_9__find_if7functorIS9_EEEE10hipError_tPvRmT1_T2_T3_mT4_P12ihipStream_tbEUlT_E0_NS1_11comp_targetILNS1_3genE0ELNS1_11target_archE4294967295ELNS1_3gpuE0ELNS1_3repE0EEENS1_30default_config_static_selectorELNS0_4arch9wavefront6targetE1EEEvS14_: ; @_ZN7rocprim17ROCPRIM_400000_NS6detail17trampoline_kernelINS0_14default_configENS1_22reduce_config_selectorIN6thrust23THRUST_200600_302600_NS5tupleIblNS6_9null_typeES8_S8_S8_S8_S8_S8_S8_EEEEZNS1_11reduce_implILb1ES3_NS6_12zip_iteratorINS7_INS6_11hip_rocprim26transform_input_iterator_tIbNSD_35transform_pair_of_input_iterators_tIbNS6_6detail15normal_iteratorINS6_10device_ptrIKxEEEESL_NS6_8equal_toIxEEEENSG_9not_fun_tINSD_8identityEEEEENSD_19counting_iterator_tIlEES8_S8_S8_S8_S8_S8_S8_S8_EEEEPS9_S9_NSD_9__find_if7functorIS9_EEEE10hipError_tPvRmT1_T2_T3_mT4_P12ihipStream_tbEUlT_E0_NS1_11comp_targetILNS1_3genE0ELNS1_11target_archE4294967295ELNS1_3gpuE0ELNS1_3repE0EEENS1_30default_config_static_selectorELNS0_4arch9wavefront6targetE1EEEvS14_
; %bb.0:
	.section	.rodata,"a",@progbits
	.p2align	6, 0x0
	.amdhsa_kernel _ZN7rocprim17ROCPRIM_400000_NS6detail17trampoline_kernelINS0_14default_configENS1_22reduce_config_selectorIN6thrust23THRUST_200600_302600_NS5tupleIblNS6_9null_typeES8_S8_S8_S8_S8_S8_S8_EEEEZNS1_11reduce_implILb1ES3_NS6_12zip_iteratorINS7_INS6_11hip_rocprim26transform_input_iterator_tIbNSD_35transform_pair_of_input_iterators_tIbNS6_6detail15normal_iteratorINS6_10device_ptrIKxEEEESL_NS6_8equal_toIxEEEENSG_9not_fun_tINSD_8identityEEEEENSD_19counting_iterator_tIlEES8_S8_S8_S8_S8_S8_S8_S8_EEEEPS9_S9_NSD_9__find_if7functorIS9_EEEE10hipError_tPvRmT1_T2_T3_mT4_P12ihipStream_tbEUlT_E0_NS1_11comp_targetILNS1_3genE0ELNS1_11target_archE4294967295ELNS1_3gpuE0ELNS1_3repE0EEENS1_30default_config_static_selectorELNS0_4arch9wavefront6targetE1EEEvS14_
		.amdhsa_group_segment_fixed_size 0
		.amdhsa_private_segment_fixed_size 0
		.amdhsa_kernarg_size 104
		.amdhsa_user_sgpr_count 6
		.amdhsa_user_sgpr_private_segment_buffer 1
		.amdhsa_user_sgpr_dispatch_ptr 0
		.amdhsa_user_sgpr_queue_ptr 0
		.amdhsa_user_sgpr_kernarg_segment_ptr 1
		.amdhsa_user_sgpr_dispatch_id 0
		.amdhsa_user_sgpr_flat_scratch_init 0
		.amdhsa_user_sgpr_kernarg_preload_length 0
		.amdhsa_user_sgpr_kernarg_preload_offset 0
		.amdhsa_user_sgpr_private_segment_size 0
		.amdhsa_uses_dynamic_stack 0
		.amdhsa_system_sgpr_private_segment_wavefront_offset 0
		.amdhsa_system_sgpr_workgroup_id_x 1
		.amdhsa_system_sgpr_workgroup_id_y 0
		.amdhsa_system_sgpr_workgroup_id_z 0
		.amdhsa_system_sgpr_workgroup_info 0
		.amdhsa_system_vgpr_workitem_id 0
		.amdhsa_next_free_vgpr 1
		.amdhsa_next_free_sgpr 0
		.amdhsa_accum_offset 4
		.amdhsa_reserve_vcc 0
		.amdhsa_reserve_flat_scratch 0
		.amdhsa_float_round_mode_32 0
		.amdhsa_float_round_mode_16_64 0
		.amdhsa_float_denorm_mode_32 3
		.amdhsa_float_denorm_mode_16_64 3
		.amdhsa_dx10_clamp 1
		.amdhsa_ieee_mode 1
		.amdhsa_fp16_overflow 0
		.amdhsa_tg_split 0
		.amdhsa_exception_fp_ieee_invalid_op 0
		.amdhsa_exception_fp_denorm_src 0
		.amdhsa_exception_fp_ieee_div_zero 0
		.amdhsa_exception_fp_ieee_overflow 0
		.amdhsa_exception_fp_ieee_underflow 0
		.amdhsa_exception_fp_ieee_inexact 0
		.amdhsa_exception_int_div_zero 0
	.end_amdhsa_kernel
	.section	.text._ZN7rocprim17ROCPRIM_400000_NS6detail17trampoline_kernelINS0_14default_configENS1_22reduce_config_selectorIN6thrust23THRUST_200600_302600_NS5tupleIblNS6_9null_typeES8_S8_S8_S8_S8_S8_S8_EEEEZNS1_11reduce_implILb1ES3_NS6_12zip_iteratorINS7_INS6_11hip_rocprim26transform_input_iterator_tIbNSD_35transform_pair_of_input_iterators_tIbNS6_6detail15normal_iteratorINS6_10device_ptrIKxEEEESL_NS6_8equal_toIxEEEENSG_9not_fun_tINSD_8identityEEEEENSD_19counting_iterator_tIlEES8_S8_S8_S8_S8_S8_S8_S8_EEEEPS9_S9_NSD_9__find_if7functorIS9_EEEE10hipError_tPvRmT1_T2_T3_mT4_P12ihipStream_tbEUlT_E0_NS1_11comp_targetILNS1_3genE0ELNS1_11target_archE4294967295ELNS1_3gpuE0ELNS1_3repE0EEENS1_30default_config_static_selectorELNS0_4arch9wavefront6targetE1EEEvS14_,"axG",@progbits,_ZN7rocprim17ROCPRIM_400000_NS6detail17trampoline_kernelINS0_14default_configENS1_22reduce_config_selectorIN6thrust23THRUST_200600_302600_NS5tupleIblNS6_9null_typeES8_S8_S8_S8_S8_S8_S8_EEEEZNS1_11reduce_implILb1ES3_NS6_12zip_iteratorINS7_INS6_11hip_rocprim26transform_input_iterator_tIbNSD_35transform_pair_of_input_iterators_tIbNS6_6detail15normal_iteratorINS6_10device_ptrIKxEEEESL_NS6_8equal_toIxEEEENSG_9not_fun_tINSD_8identityEEEEENSD_19counting_iterator_tIlEES8_S8_S8_S8_S8_S8_S8_S8_EEEEPS9_S9_NSD_9__find_if7functorIS9_EEEE10hipError_tPvRmT1_T2_T3_mT4_P12ihipStream_tbEUlT_E0_NS1_11comp_targetILNS1_3genE0ELNS1_11target_archE4294967295ELNS1_3gpuE0ELNS1_3repE0EEENS1_30default_config_static_selectorELNS0_4arch9wavefront6targetE1EEEvS14_,comdat
.Lfunc_end66:
	.size	_ZN7rocprim17ROCPRIM_400000_NS6detail17trampoline_kernelINS0_14default_configENS1_22reduce_config_selectorIN6thrust23THRUST_200600_302600_NS5tupleIblNS6_9null_typeES8_S8_S8_S8_S8_S8_S8_EEEEZNS1_11reduce_implILb1ES3_NS6_12zip_iteratorINS7_INS6_11hip_rocprim26transform_input_iterator_tIbNSD_35transform_pair_of_input_iterators_tIbNS6_6detail15normal_iteratorINS6_10device_ptrIKxEEEESL_NS6_8equal_toIxEEEENSG_9not_fun_tINSD_8identityEEEEENSD_19counting_iterator_tIlEES8_S8_S8_S8_S8_S8_S8_S8_EEEEPS9_S9_NSD_9__find_if7functorIS9_EEEE10hipError_tPvRmT1_T2_T3_mT4_P12ihipStream_tbEUlT_E0_NS1_11comp_targetILNS1_3genE0ELNS1_11target_archE4294967295ELNS1_3gpuE0ELNS1_3repE0EEENS1_30default_config_static_selectorELNS0_4arch9wavefront6targetE1EEEvS14_, .Lfunc_end66-_ZN7rocprim17ROCPRIM_400000_NS6detail17trampoline_kernelINS0_14default_configENS1_22reduce_config_selectorIN6thrust23THRUST_200600_302600_NS5tupleIblNS6_9null_typeES8_S8_S8_S8_S8_S8_S8_EEEEZNS1_11reduce_implILb1ES3_NS6_12zip_iteratorINS7_INS6_11hip_rocprim26transform_input_iterator_tIbNSD_35transform_pair_of_input_iterators_tIbNS6_6detail15normal_iteratorINS6_10device_ptrIKxEEEESL_NS6_8equal_toIxEEEENSG_9not_fun_tINSD_8identityEEEEENSD_19counting_iterator_tIlEES8_S8_S8_S8_S8_S8_S8_S8_EEEEPS9_S9_NSD_9__find_if7functorIS9_EEEE10hipError_tPvRmT1_T2_T3_mT4_P12ihipStream_tbEUlT_E0_NS1_11comp_targetILNS1_3genE0ELNS1_11target_archE4294967295ELNS1_3gpuE0ELNS1_3repE0EEENS1_30default_config_static_selectorELNS0_4arch9wavefront6targetE1EEEvS14_
                                        ; -- End function
	.section	.AMDGPU.csdata,"",@progbits
; Kernel info:
; codeLenInByte = 0
; NumSgprs: 4
; NumVgprs: 0
; NumAgprs: 0
; TotalNumVgprs: 0
; ScratchSize: 0
; MemoryBound: 0
; FloatMode: 240
; IeeeMode: 1
; LDSByteSize: 0 bytes/workgroup (compile time only)
; SGPRBlocks: 0
; VGPRBlocks: 0
; NumSGPRsForWavesPerEU: 4
; NumVGPRsForWavesPerEU: 1
; AccumOffset: 4
; Occupancy: 8
; WaveLimiterHint : 0
; COMPUTE_PGM_RSRC2:SCRATCH_EN: 0
; COMPUTE_PGM_RSRC2:USER_SGPR: 6
; COMPUTE_PGM_RSRC2:TRAP_HANDLER: 0
; COMPUTE_PGM_RSRC2:TGID_X_EN: 1
; COMPUTE_PGM_RSRC2:TGID_Y_EN: 0
; COMPUTE_PGM_RSRC2:TGID_Z_EN: 0
; COMPUTE_PGM_RSRC2:TIDIG_COMP_CNT: 0
; COMPUTE_PGM_RSRC3_GFX90A:ACCUM_OFFSET: 0
; COMPUTE_PGM_RSRC3_GFX90A:TG_SPLIT: 0
	.section	.text._ZN7rocprim17ROCPRIM_400000_NS6detail17trampoline_kernelINS0_14default_configENS1_22reduce_config_selectorIN6thrust23THRUST_200600_302600_NS5tupleIblNS6_9null_typeES8_S8_S8_S8_S8_S8_S8_EEEEZNS1_11reduce_implILb1ES3_NS6_12zip_iteratorINS7_INS6_11hip_rocprim26transform_input_iterator_tIbNSD_35transform_pair_of_input_iterators_tIbNS6_6detail15normal_iteratorINS6_10device_ptrIKxEEEESL_NS6_8equal_toIxEEEENSG_9not_fun_tINSD_8identityEEEEENSD_19counting_iterator_tIlEES8_S8_S8_S8_S8_S8_S8_S8_EEEEPS9_S9_NSD_9__find_if7functorIS9_EEEE10hipError_tPvRmT1_T2_T3_mT4_P12ihipStream_tbEUlT_E0_NS1_11comp_targetILNS1_3genE5ELNS1_11target_archE942ELNS1_3gpuE9ELNS1_3repE0EEENS1_30default_config_static_selectorELNS0_4arch9wavefront6targetE1EEEvS14_,"axG",@progbits,_ZN7rocprim17ROCPRIM_400000_NS6detail17trampoline_kernelINS0_14default_configENS1_22reduce_config_selectorIN6thrust23THRUST_200600_302600_NS5tupleIblNS6_9null_typeES8_S8_S8_S8_S8_S8_S8_EEEEZNS1_11reduce_implILb1ES3_NS6_12zip_iteratorINS7_INS6_11hip_rocprim26transform_input_iterator_tIbNSD_35transform_pair_of_input_iterators_tIbNS6_6detail15normal_iteratorINS6_10device_ptrIKxEEEESL_NS6_8equal_toIxEEEENSG_9not_fun_tINSD_8identityEEEEENSD_19counting_iterator_tIlEES8_S8_S8_S8_S8_S8_S8_S8_EEEEPS9_S9_NSD_9__find_if7functorIS9_EEEE10hipError_tPvRmT1_T2_T3_mT4_P12ihipStream_tbEUlT_E0_NS1_11comp_targetILNS1_3genE5ELNS1_11target_archE942ELNS1_3gpuE9ELNS1_3repE0EEENS1_30default_config_static_selectorELNS0_4arch9wavefront6targetE1EEEvS14_,comdat
	.protected	_ZN7rocprim17ROCPRIM_400000_NS6detail17trampoline_kernelINS0_14default_configENS1_22reduce_config_selectorIN6thrust23THRUST_200600_302600_NS5tupleIblNS6_9null_typeES8_S8_S8_S8_S8_S8_S8_EEEEZNS1_11reduce_implILb1ES3_NS6_12zip_iteratorINS7_INS6_11hip_rocprim26transform_input_iterator_tIbNSD_35transform_pair_of_input_iterators_tIbNS6_6detail15normal_iteratorINS6_10device_ptrIKxEEEESL_NS6_8equal_toIxEEEENSG_9not_fun_tINSD_8identityEEEEENSD_19counting_iterator_tIlEES8_S8_S8_S8_S8_S8_S8_S8_EEEEPS9_S9_NSD_9__find_if7functorIS9_EEEE10hipError_tPvRmT1_T2_T3_mT4_P12ihipStream_tbEUlT_E0_NS1_11comp_targetILNS1_3genE5ELNS1_11target_archE942ELNS1_3gpuE9ELNS1_3repE0EEENS1_30default_config_static_selectorELNS0_4arch9wavefront6targetE1EEEvS14_ ; -- Begin function _ZN7rocprim17ROCPRIM_400000_NS6detail17trampoline_kernelINS0_14default_configENS1_22reduce_config_selectorIN6thrust23THRUST_200600_302600_NS5tupleIblNS6_9null_typeES8_S8_S8_S8_S8_S8_S8_EEEEZNS1_11reduce_implILb1ES3_NS6_12zip_iteratorINS7_INS6_11hip_rocprim26transform_input_iterator_tIbNSD_35transform_pair_of_input_iterators_tIbNS6_6detail15normal_iteratorINS6_10device_ptrIKxEEEESL_NS6_8equal_toIxEEEENSG_9not_fun_tINSD_8identityEEEEENSD_19counting_iterator_tIlEES8_S8_S8_S8_S8_S8_S8_S8_EEEEPS9_S9_NSD_9__find_if7functorIS9_EEEE10hipError_tPvRmT1_T2_T3_mT4_P12ihipStream_tbEUlT_E0_NS1_11comp_targetILNS1_3genE5ELNS1_11target_archE942ELNS1_3gpuE9ELNS1_3repE0EEENS1_30default_config_static_selectorELNS0_4arch9wavefront6targetE1EEEvS14_
	.globl	_ZN7rocprim17ROCPRIM_400000_NS6detail17trampoline_kernelINS0_14default_configENS1_22reduce_config_selectorIN6thrust23THRUST_200600_302600_NS5tupleIblNS6_9null_typeES8_S8_S8_S8_S8_S8_S8_EEEEZNS1_11reduce_implILb1ES3_NS6_12zip_iteratorINS7_INS6_11hip_rocprim26transform_input_iterator_tIbNSD_35transform_pair_of_input_iterators_tIbNS6_6detail15normal_iteratorINS6_10device_ptrIKxEEEESL_NS6_8equal_toIxEEEENSG_9not_fun_tINSD_8identityEEEEENSD_19counting_iterator_tIlEES8_S8_S8_S8_S8_S8_S8_S8_EEEEPS9_S9_NSD_9__find_if7functorIS9_EEEE10hipError_tPvRmT1_T2_T3_mT4_P12ihipStream_tbEUlT_E0_NS1_11comp_targetILNS1_3genE5ELNS1_11target_archE942ELNS1_3gpuE9ELNS1_3repE0EEENS1_30default_config_static_selectorELNS0_4arch9wavefront6targetE1EEEvS14_
	.p2align	8
	.type	_ZN7rocprim17ROCPRIM_400000_NS6detail17trampoline_kernelINS0_14default_configENS1_22reduce_config_selectorIN6thrust23THRUST_200600_302600_NS5tupleIblNS6_9null_typeES8_S8_S8_S8_S8_S8_S8_EEEEZNS1_11reduce_implILb1ES3_NS6_12zip_iteratorINS7_INS6_11hip_rocprim26transform_input_iterator_tIbNSD_35transform_pair_of_input_iterators_tIbNS6_6detail15normal_iteratorINS6_10device_ptrIKxEEEESL_NS6_8equal_toIxEEEENSG_9not_fun_tINSD_8identityEEEEENSD_19counting_iterator_tIlEES8_S8_S8_S8_S8_S8_S8_S8_EEEEPS9_S9_NSD_9__find_if7functorIS9_EEEE10hipError_tPvRmT1_T2_T3_mT4_P12ihipStream_tbEUlT_E0_NS1_11comp_targetILNS1_3genE5ELNS1_11target_archE942ELNS1_3gpuE9ELNS1_3repE0EEENS1_30default_config_static_selectorELNS0_4arch9wavefront6targetE1EEEvS14_,@function
_ZN7rocprim17ROCPRIM_400000_NS6detail17trampoline_kernelINS0_14default_configENS1_22reduce_config_selectorIN6thrust23THRUST_200600_302600_NS5tupleIblNS6_9null_typeES8_S8_S8_S8_S8_S8_S8_EEEEZNS1_11reduce_implILb1ES3_NS6_12zip_iteratorINS7_INS6_11hip_rocprim26transform_input_iterator_tIbNSD_35transform_pair_of_input_iterators_tIbNS6_6detail15normal_iteratorINS6_10device_ptrIKxEEEESL_NS6_8equal_toIxEEEENSG_9not_fun_tINSD_8identityEEEEENSD_19counting_iterator_tIlEES8_S8_S8_S8_S8_S8_S8_S8_EEEEPS9_S9_NSD_9__find_if7functorIS9_EEEE10hipError_tPvRmT1_T2_T3_mT4_P12ihipStream_tbEUlT_E0_NS1_11comp_targetILNS1_3genE5ELNS1_11target_archE942ELNS1_3gpuE9ELNS1_3repE0EEENS1_30default_config_static_selectorELNS0_4arch9wavefront6targetE1EEEvS14_: ; @_ZN7rocprim17ROCPRIM_400000_NS6detail17trampoline_kernelINS0_14default_configENS1_22reduce_config_selectorIN6thrust23THRUST_200600_302600_NS5tupleIblNS6_9null_typeES8_S8_S8_S8_S8_S8_S8_EEEEZNS1_11reduce_implILb1ES3_NS6_12zip_iteratorINS7_INS6_11hip_rocprim26transform_input_iterator_tIbNSD_35transform_pair_of_input_iterators_tIbNS6_6detail15normal_iteratorINS6_10device_ptrIKxEEEESL_NS6_8equal_toIxEEEENSG_9not_fun_tINSD_8identityEEEEENSD_19counting_iterator_tIlEES8_S8_S8_S8_S8_S8_S8_S8_EEEEPS9_S9_NSD_9__find_if7functorIS9_EEEE10hipError_tPvRmT1_T2_T3_mT4_P12ihipStream_tbEUlT_E0_NS1_11comp_targetILNS1_3genE5ELNS1_11target_archE942ELNS1_3gpuE9ELNS1_3repE0EEENS1_30default_config_static_selectorELNS0_4arch9wavefront6targetE1EEEvS14_
; %bb.0:
	.section	.rodata,"a",@progbits
	.p2align	6, 0x0
	.amdhsa_kernel _ZN7rocprim17ROCPRIM_400000_NS6detail17trampoline_kernelINS0_14default_configENS1_22reduce_config_selectorIN6thrust23THRUST_200600_302600_NS5tupleIblNS6_9null_typeES8_S8_S8_S8_S8_S8_S8_EEEEZNS1_11reduce_implILb1ES3_NS6_12zip_iteratorINS7_INS6_11hip_rocprim26transform_input_iterator_tIbNSD_35transform_pair_of_input_iterators_tIbNS6_6detail15normal_iteratorINS6_10device_ptrIKxEEEESL_NS6_8equal_toIxEEEENSG_9not_fun_tINSD_8identityEEEEENSD_19counting_iterator_tIlEES8_S8_S8_S8_S8_S8_S8_S8_EEEEPS9_S9_NSD_9__find_if7functorIS9_EEEE10hipError_tPvRmT1_T2_T3_mT4_P12ihipStream_tbEUlT_E0_NS1_11comp_targetILNS1_3genE5ELNS1_11target_archE942ELNS1_3gpuE9ELNS1_3repE0EEENS1_30default_config_static_selectorELNS0_4arch9wavefront6targetE1EEEvS14_
		.amdhsa_group_segment_fixed_size 0
		.amdhsa_private_segment_fixed_size 0
		.amdhsa_kernarg_size 104
		.amdhsa_user_sgpr_count 6
		.amdhsa_user_sgpr_private_segment_buffer 1
		.amdhsa_user_sgpr_dispatch_ptr 0
		.amdhsa_user_sgpr_queue_ptr 0
		.amdhsa_user_sgpr_kernarg_segment_ptr 1
		.amdhsa_user_sgpr_dispatch_id 0
		.amdhsa_user_sgpr_flat_scratch_init 0
		.amdhsa_user_sgpr_kernarg_preload_length 0
		.amdhsa_user_sgpr_kernarg_preload_offset 0
		.amdhsa_user_sgpr_private_segment_size 0
		.amdhsa_uses_dynamic_stack 0
		.amdhsa_system_sgpr_private_segment_wavefront_offset 0
		.amdhsa_system_sgpr_workgroup_id_x 1
		.amdhsa_system_sgpr_workgroup_id_y 0
		.amdhsa_system_sgpr_workgroup_id_z 0
		.amdhsa_system_sgpr_workgroup_info 0
		.amdhsa_system_vgpr_workitem_id 0
		.amdhsa_next_free_vgpr 1
		.amdhsa_next_free_sgpr 0
		.amdhsa_accum_offset 4
		.amdhsa_reserve_vcc 0
		.amdhsa_reserve_flat_scratch 0
		.amdhsa_float_round_mode_32 0
		.amdhsa_float_round_mode_16_64 0
		.amdhsa_float_denorm_mode_32 3
		.amdhsa_float_denorm_mode_16_64 3
		.amdhsa_dx10_clamp 1
		.amdhsa_ieee_mode 1
		.amdhsa_fp16_overflow 0
		.amdhsa_tg_split 0
		.amdhsa_exception_fp_ieee_invalid_op 0
		.amdhsa_exception_fp_denorm_src 0
		.amdhsa_exception_fp_ieee_div_zero 0
		.amdhsa_exception_fp_ieee_overflow 0
		.amdhsa_exception_fp_ieee_underflow 0
		.amdhsa_exception_fp_ieee_inexact 0
		.amdhsa_exception_int_div_zero 0
	.end_amdhsa_kernel
	.section	.text._ZN7rocprim17ROCPRIM_400000_NS6detail17trampoline_kernelINS0_14default_configENS1_22reduce_config_selectorIN6thrust23THRUST_200600_302600_NS5tupleIblNS6_9null_typeES8_S8_S8_S8_S8_S8_S8_EEEEZNS1_11reduce_implILb1ES3_NS6_12zip_iteratorINS7_INS6_11hip_rocprim26transform_input_iterator_tIbNSD_35transform_pair_of_input_iterators_tIbNS6_6detail15normal_iteratorINS6_10device_ptrIKxEEEESL_NS6_8equal_toIxEEEENSG_9not_fun_tINSD_8identityEEEEENSD_19counting_iterator_tIlEES8_S8_S8_S8_S8_S8_S8_S8_EEEEPS9_S9_NSD_9__find_if7functorIS9_EEEE10hipError_tPvRmT1_T2_T3_mT4_P12ihipStream_tbEUlT_E0_NS1_11comp_targetILNS1_3genE5ELNS1_11target_archE942ELNS1_3gpuE9ELNS1_3repE0EEENS1_30default_config_static_selectorELNS0_4arch9wavefront6targetE1EEEvS14_,"axG",@progbits,_ZN7rocprim17ROCPRIM_400000_NS6detail17trampoline_kernelINS0_14default_configENS1_22reduce_config_selectorIN6thrust23THRUST_200600_302600_NS5tupleIblNS6_9null_typeES8_S8_S8_S8_S8_S8_S8_EEEEZNS1_11reduce_implILb1ES3_NS6_12zip_iteratorINS7_INS6_11hip_rocprim26transform_input_iterator_tIbNSD_35transform_pair_of_input_iterators_tIbNS6_6detail15normal_iteratorINS6_10device_ptrIKxEEEESL_NS6_8equal_toIxEEEENSG_9not_fun_tINSD_8identityEEEEENSD_19counting_iterator_tIlEES8_S8_S8_S8_S8_S8_S8_S8_EEEEPS9_S9_NSD_9__find_if7functorIS9_EEEE10hipError_tPvRmT1_T2_T3_mT4_P12ihipStream_tbEUlT_E0_NS1_11comp_targetILNS1_3genE5ELNS1_11target_archE942ELNS1_3gpuE9ELNS1_3repE0EEENS1_30default_config_static_selectorELNS0_4arch9wavefront6targetE1EEEvS14_,comdat
.Lfunc_end67:
	.size	_ZN7rocprim17ROCPRIM_400000_NS6detail17trampoline_kernelINS0_14default_configENS1_22reduce_config_selectorIN6thrust23THRUST_200600_302600_NS5tupleIblNS6_9null_typeES8_S8_S8_S8_S8_S8_S8_EEEEZNS1_11reduce_implILb1ES3_NS6_12zip_iteratorINS7_INS6_11hip_rocprim26transform_input_iterator_tIbNSD_35transform_pair_of_input_iterators_tIbNS6_6detail15normal_iteratorINS6_10device_ptrIKxEEEESL_NS6_8equal_toIxEEEENSG_9not_fun_tINSD_8identityEEEEENSD_19counting_iterator_tIlEES8_S8_S8_S8_S8_S8_S8_S8_EEEEPS9_S9_NSD_9__find_if7functorIS9_EEEE10hipError_tPvRmT1_T2_T3_mT4_P12ihipStream_tbEUlT_E0_NS1_11comp_targetILNS1_3genE5ELNS1_11target_archE942ELNS1_3gpuE9ELNS1_3repE0EEENS1_30default_config_static_selectorELNS0_4arch9wavefront6targetE1EEEvS14_, .Lfunc_end67-_ZN7rocprim17ROCPRIM_400000_NS6detail17trampoline_kernelINS0_14default_configENS1_22reduce_config_selectorIN6thrust23THRUST_200600_302600_NS5tupleIblNS6_9null_typeES8_S8_S8_S8_S8_S8_S8_EEEEZNS1_11reduce_implILb1ES3_NS6_12zip_iteratorINS7_INS6_11hip_rocprim26transform_input_iterator_tIbNSD_35transform_pair_of_input_iterators_tIbNS6_6detail15normal_iteratorINS6_10device_ptrIKxEEEESL_NS6_8equal_toIxEEEENSG_9not_fun_tINSD_8identityEEEEENSD_19counting_iterator_tIlEES8_S8_S8_S8_S8_S8_S8_S8_EEEEPS9_S9_NSD_9__find_if7functorIS9_EEEE10hipError_tPvRmT1_T2_T3_mT4_P12ihipStream_tbEUlT_E0_NS1_11comp_targetILNS1_3genE5ELNS1_11target_archE942ELNS1_3gpuE9ELNS1_3repE0EEENS1_30default_config_static_selectorELNS0_4arch9wavefront6targetE1EEEvS14_
                                        ; -- End function
	.section	.AMDGPU.csdata,"",@progbits
; Kernel info:
; codeLenInByte = 0
; NumSgprs: 4
; NumVgprs: 0
; NumAgprs: 0
; TotalNumVgprs: 0
; ScratchSize: 0
; MemoryBound: 0
; FloatMode: 240
; IeeeMode: 1
; LDSByteSize: 0 bytes/workgroup (compile time only)
; SGPRBlocks: 0
; VGPRBlocks: 0
; NumSGPRsForWavesPerEU: 4
; NumVGPRsForWavesPerEU: 1
; AccumOffset: 4
; Occupancy: 8
; WaveLimiterHint : 0
; COMPUTE_PGM_RSRC2:SCRATCH_EN: 0
; COMPUTE_PGM_RSRC2:USER_SGPR: 6
; COMPUTE_PGM_RSRC2:TRAP_HANDLER: 0
; COMPUTE_PGM_RSRC2:TGID_X_EN: 1
; COMPUTE_PGM_RSRC2:TGID_Y_EN: 0
; COMPUTE_PGM_RSRC2:TGID_Z_EN: 0
; COMPUTE_PGM_RSRC2:TIDIG_COMP_CNT: 0
; COMPUTE_PGM_RSRC3_GFX90A:ACCUM_OFFSET: 0
; COMPUTE_PGM_RSRC3_GFX90A:TG_SPLIT: 0
	.section	.text._ZN7rocprim17ROCPRIM_400000_NS6detail17trampoline_kernelINS0_14default_configENS1_22reduce_config_selectorIN6thrust23THRUST_200600_302600_NS5tupleIblNS6_9null_typeES8_S8_S8_S8_S8_S8_S8_EEEEZNS1_11reduce_implILb1ES3_NS6_12zip_iteratorINS7_INS6_11hip_rocprim26transform_input_iterator_tIbNSD_35transform_pair_of_input_iterators_tIbNS6_6detail15normal_iteratorINS6_10device_ptrIKxEEEESL_NS6_8equal_toIxEEEENSG_9not_fun_tINSD_8identityEEEEENSD_19counting_iterator_tIlEES8_S8_S8_S8_S8_S8_S8_S8_EEEEPS9_S9_NSD_9__find_if7functorIS9_EEEE10hipError_tPvRmT1_T2_T3_mT4_P12ihipStream_tbEUlT_E0_NS1_11comp_targetILNS1_3genE4ELNS1_11target_archE910ELNS1_3gpuE8ELNS1_3repE0EEENS1_30default_config_static_selectorELNS0_4arch9wavefront6targetE1EEEvS14_,"axG",@progbits,_ZN7rocprim17ROCPRIM_400000_NS6detail17trampoline_kernelINS0_14default_configENS1_22reduce_config_selectorIN6thrust23THRUST_200600_302600_NS5tupleIblNS6_9null_typeES8_S8_S8_S8_S8_S8_S8_EEEEZNS1_11reduce_implILb1ES3_NS6_12zip_iteratorINS7_INS6_11hip_rocprim26transform_input_iterator_tIbNSD_35transform_pair_of_input_iterators_tIbNS6_6detail15normal_iteratorINS6_10device_ptrIKxEEEESL_NS6_8equal_toIxEEEENSG_9not_fun_tINSD_8identityEEEEENSD_19counting_iterator_tIlEES8_S8_S8_S8_S8_S8_S8_S8_EEEEPS9_S9_NSD_9__find_if7functorIS9_EEEE10hipError_tPvRmT1_T2_T3_mT4_P12ihipStream_tbEUlT_E0_NS1_11comp_targetILNS1_3genE4ELNS1_11target_archE910ELNS1_3gpuE8ELNS1_3repE0EEENS1_30default_config_static_selectorELNS0_4arch9wavefront6targetE1EEEvS14_,comdat
	.protected	_ZN7rocprim17ROCPRIM_400000_NS6detail17trampoline_kernelINS0_14default_configENS1_22reduce_config_selectorIN6thrust23THRUST_200600_302600_NS5tupleIblNS6_9null_typeES8_S8_S8_S8_S8_S8_S8_EEEEZNS1_11reduce_implILb1ES3_NS6_12zip_iteratorINS7_INS6_11hip_rocprim26transform_input_iterator_tIbNSD_35transform_pair_of_input_iterators_tIbNS6_6detail15normal_iteratorINS6_10device_ptrIKxEEEESL_NS6_8equal_toIxEEEENSG_9not_fun_tINSD_8identityEEEEENSD_19counting_iterator_tIlEES8_S8_S8_S8_S8_S8_S8_S8_EEEEPS9_S9_NSD_9__find_if7functorIS9_EEEE10hipError_tPvRmT1_T2_T3_mT4_P12ihipStream_tbEUlT_E0_NS1_11comp_targetILNS1_3genE4ELNS1_11target_archE910ELNS1_3gpuE8ELNS1_3repE0EEENS1_30default_config_static_selectorELNS0_4arch9wavefront6targetE1EEEvS14_ ; -- Begin function _ZN7rocprim17ROCPRIM_400000_NS6detail17trampoline_kernelINS0_14default_configENS1_22reduce_config_selectorIN6thrust23THRUST_200600_302600_NS5tupleIblNS6_9null_typeES8_S8_S8_S8_S8_S8_S8_EEEEZNS1_11reduce_implILb1ES3_NS6_12zip_iteratorINS7_INS6_11hip_rocprim26transform_input_iterator_tIbNSD_35transform_pair_of_input_iterators_tIbNS6_6detail15normal_iteratorINS6_10device_ptrIKxEEEESL_NS6_8equal_toIxEEEENSG_9not_fun_tINSD_8identityEEEEENSD_19counting_iterator_tIlEES8_S8_S8_S8_S8_S8_S8_S8_EEEEPS9_S9_NSD_9__find_if7functorIS9_EEEE10hipError_tPvRmT1_T2_T3_mT4_P12ihipStream_tbEUlT_E0_NS1_11comp_targetILNS1_3genE4ELNS1_11target_archE910ELNS1_3gpuE8ELNS1_3repE0EEENS1_30default_config_static_selectorELNS0_4arch9wavefront6targetE1EEEvS14_
	.globl	_ZN7rocprim17ROCPRIM_400000_NS6detail17trampoline_kernelINS0_14default_configENS1_22reduce_config_selectorIN6thrust23THRUST_200600_302600_NS5tupleIblNS6_9null_typeES8_S8_S8_S8_S8_S8_S8_EEEEZNS1_11reduce_implILb1ES3_NS6_12zip_iteratorINS7_INS6_11hip_rocprim26transform_input_iterator_tIbNSD_35transform_pair_of_input_iterators_tIbNS6_6detail15normal_iteratorINS6_10device_ptrIKxEEEESL_NS6_8equal_toIxEEEENSG_9not_fun_tINSD_8identityEEEEENSD_19counting_iterator_tIlEES8_S8_S8_S8_S8_S8_S8_S8_EEEEPS9_S9_NSD_9__find_if7functorIS9_EEEE10hipError_tPvRmT1_T2_T3_mT4_P12ihipStream_tbEUlT_E0_NS1_11comp_targetILNS1_3genE4ELNS1_11target_archE910ELNS1_3gpuE8ELNS1_3repE0EEENS1_30default_config_static_selectorELNS0_4arch9wavefront6targetE1EEEvS14_
	.p2align	8
	.type	_ZN7rocprim17ROCPRIM_400000_NS6detail17trampoline_kernelINS0_14default_configENS1_22reduce_config_selectorIN6thrust23THRUST_200600_302600_NS5tupleIblNS6_9null_typeES8_S8_S8_S8_S8_S8_S8_EEEEZNS1_11reduce_implILb1ES3_NS6_12zip_iteratorINS7_INS6_11hip_rocprim26transform_input_iterator_tIbNSD_35transform_pair_of_input_iterators_tIbNS6_6detail15normal_iteratorINS6_10device_ptrIKxEEEESL_NS6_8equal_toIxEEEENSG_9not_fun_tINSD_8identityEEEEENSD_19counting_iterator_tIlEES8_S8_S8_S8_S8_S8_S8_S8_EEEEPS9_S9_NSD_9__find_if7functorIS9_EEEE10hipError_tPvRmT1_T2_T3_mT4_P12ihipStream_tbEUlT_E0_NS1_11comp_targetILNS1_3genE4ELNS1_11target_archE910ELNS1_3gpuE8ELNS1_3repE0EEENS1_30default_config_static_selectorELNS0_4arch9wavefront6targetE1EEEvS14_,@function
_ZN7rocprim17ROCPRIM_400000_NS6detail17trampoline_kernelINS0_14default_configENS1_22reduce_config_selectorIN6thrust23THRUST_200600_302600_NS5tupleIblNS6_9null_typeES8_S8_S8_S8_S8_S8_S8_EEEEZNS1_11reduce_implILb1ES3_NS6_12zip_iteratorINS7_INS6_11hip_rocprim26transform_input_iterator_tIbNSD_35transform_pair_of_input_iterators_tIbNS6_6detail15normal_iteratorINS6_10device_ptrIKxEEEESL_NS6_8equal_toIxEEEENSG_9not_fun_tINSD_8identityEEEEENSD_19counting_iterator_tIlEES8_S8_S8_S8_S8_S8_S8_S8_EEEEPS9_S9_NSD_9__find_if7functorIS9_EEEE10hipError_tPvRmT1_T2_T3_mT4_P12ihipStream_tbEUlT_E0_NS1_11comp_targetILNS1_3genE4ELNS1_11target_archE910ELNS1_3gpuE8ELNS1_3repE0EEENS1_30default_config_static_selectorELNS0_4arch9wavefront6targetE1EEEvS14_: ; @_ZN7rocprim17ROCPRIM_400000_NS6detail17trampoline_kernelINS0_14default_configENS1_22reduce_config_selectorIN6thrust23THRUST_200600_302600_NS5tupleIblNS6_9null_typeES8_S8_S8_S8_S8_S8_S8_EEEEZNS1_11reduce_implILb1ES3_NS6_12zip_iteratorINS7_INS6_11hip_rocprim26transform_input_iterator_tIbNSD_35transform_pair_of_input_iterators_tIbNS6_6detail15normal_iteratorINS6_10device_ptrIKxEEEESL_NS6_8equal_toIxEEEENSG_9not_fun_tINSD_8identityEEEEENSD_19counting_iterator_tIlEES8_S8_S8_S8_S8_S8_S8_S8_EEEEPS9_S9_NSD_9__find_if7functorIS9_EEEE10hipError_tPvRmT1_T2_T3_mT4_P12ihipStream_tbEUlT_E0_NS1_11comp_targetILNS1_3genE4ELNS1_11target_archE910ELNS1_3gpuE8ELNS1_3repE0EEENS1_30default_config_static_selectorELNS0_4arch9wavefront6targetE1EEEvS14_
; %bb.0:
	s_load_dwordx8 s[8:15], s[4:5], 0x20
	s_load_dwordx4 s[0:3], s[4:5], 0x0
	s_load_dwordx4 s[16:19], s[4:5], 0x40
	s_mov_b32 s25, 0
	s_mov_b32 s7, s25
	s_waitcnt lgkmcnt(0)
	s_lshl_b64 s[20:21], s[10:11], 3
	s_add_u32 s22, s0, s20
	s_addc_u32 s23, s1, s21
	s_add_u32 s26, s2, s20
	s_addc_u32 s27, s3, s21
	s_lshl_b32 s24, s6, 9
	s_lshr_b64 s[0:1], s[12:13], 9
	s_lshl_b64 s[2:3], s[24:25], 3
	s_add_u32 s20, s22, s2
	s_addc_u32 s21, s23, s3
	s_add_u32 s22, s26, s2
	s_addc_u32 s23, s27, s3
	;; [unrolled: 2-line block ×4, first 2 shown]
	s_cmp_lg_u64 s[0:1], s[6:7]
	v_lshlrev_b32_e32 v1, 3, v0
	s_cbranch_scc0 .LBB68_18
; %bb.1:
	global_load_dwordx2 v[2:3], v1, s[22:23] offset:2048
	global_load_dwordx2 v[4:5], v1, s[22:23]
	global_load_dwordx2 v[6:7], v1, s[20:21] offset:2048
	global_load_dwordx2 v[8:9], v1, s[20:21]
	v_mov_b32_e32 v10, s9
	v_add_co_u32_e32 v11, vcc, s8, v0
	v_addc_co_u32_e32 v10, vcc, 0, v10, vcc
	v_add_co_u32_e32 v12, vcc, 0x100, v11
	v_addc_co_u32_e32 v13, vcc, 0, v10, vcc
	s_waitcnt vmcnt(1)
	v_cmp_ne_u64_e32 vcc, v[6:7], v[2:3]
	s_waitcnt vmcnt(0)
	v_cmp_ne_u64_e64 s[0:1], v[8:9], v[4:5]
	v_cndmask_b32_e64 v3, v13, v10, s[0:1]
	v_cndmask_b32_e64 v2, v12, v11, s[0:1]
	s_or_b64 s[0:1], s[0:1], vcc
	v_cndmask_b32_e64 v6, 0, 1, s[0:1]
	v_mov_b32_dpp v4, v2 quad_perm:[1,0,3,2] row_mask:0xf bank_mask:0xf bound_ctrl:1
	v_mov_b32_dpp v5, v3 quad_perm:[1,0,3,2] row_mask:0xf bank_mask:0xf bound_ctrl:1
	;; [unrolled: 1-line block ×3, first 2 shown]
	v_and_b32_e32 v8, 1, v7
	v_cmp_eq_u32_e32 vcc, 1, v8
	s_and_saveexec_b64 s[2:3], vcc
; %bb.2:
	v_cmp_lt_i64_e32 vcc, v[2:3], v[4:5]
	v_cndmask_b32_e64 v7, v7, 1, s[0:1]
	s_and_b64 vcc, s[0:1], vcc
	v_cndmask_b32_e32 v2, v4, v2, vcc
	v_and_b32_e32 v4, 1, v7
	v_cndmask_b32_e32 v3, v5, v3, vcc
	v_cmp_eq_u32_e32 vcc, 1, v4
	s_andn2_b64 s[0:1], s[0:1], exec
	s_and_b64 s[10:11], vcc, exec
	v_and_b32_e32 v6, 0xff, v7
	s_or_b64 s[0:1], s[0:1], s[10:11]
; %bb.3:
	s_or_b64 exec, exec, s[2:3]
	v_mov_b32_dpp v7, v6 quad_perm:[2,3,0,1] row_mask:0xf bank_mask:0xf bound_ctrl:1
	v_and_b32_e32 v8, 1, v7
	v_mov_b32_dpp v4, v2 quad_perm:[2,3,0,1] row_mask:0xf bank_mask:0xf bound_ctrl:1
	v_mov_b32_dpp v5, v3 quad_perm:[2,3,0,1] row_mask:0xf bank_mask:0xf bound_ctrl:1
	v_cmp_eq_u32_e32 vcc, 1, v8
	s_and_saveexec_b64 s[2:3], vcc
; %bb.4:
	v_cmp_lt_i64_e32 vcc, v[2:3], v[4:5]
	v_cndmask_b32_e64 v7, v7, 1, s[0:1]
	s_and_b64 vcc, s[0:1], vcc
	v_cndmask_b32_e32 v2, v4, v2, vcc
	v_and_b32_e32 v4, 1, v7
	v_cndmask_b32_e32 v3, v5, v3, vcc
	v_cmp_eq_u32_e32 vcc, 1, v4
	s_andn2_b64 s[0:1], s[0:1], exec
	s_and_b64 s[10:11], vcc, exec
	v_and_b32_e32 v6, 0xff, v7
	s_or_b64 s[0:1], s[0:1], s[10:11]
; %bb.5:
	s_or_b64 exec, exec, s[2:3]
	v_mov_b32_dpp v7, v6 row_ror:4 row_mask:0xf bank_mask:0xf bound_ctrl:1
	v_and_b32_e32 v8, 1, v7
	v_mov_b32_dpp v4, v2 row_ror:4 row_mask:0xf bank_mask:0xf bound_ctrl:1
	v_mov_b32_dpp v5, v3 row_ror:4 row_mask:0xf bank_mask:0xf bound_ctrl:1
	v_cmp_eq_u32_e32 vcc, 1, v8
	s_and_saveexec_b64 s[2:3], vcc
; %bb.6:
	v_cmp_lt_i64_e32 vcc, v[2:3], v[4:5]
	v_cndmask_b32_e64 v7, v7, 1, s[0:1]
	s_and_b64 vcc, s[0:1], vcc
	v_cndmask_b32_e32 v2, v4, v2, vcc
	v_and_b32_e32 v4, 1, v7
	v_cndmask_b32_e32 v3, v5, v3, vcc
	v_cmp_eq_u32_e32 vcc, 1, v4
	s_andn2_b64 s[0:1], s[0:1], exec
	s_and_b64 s[10:11], vcc, exec
	v_and_b32_e32 v6, 0xff, v7
	s_or_b64 s[0:1], s[0:1], s[10:11]
; %bb.7:
	s_or_b64 exec, exec, s[2:3]
	v_mov_b32_dpp v7, v6 row_ror:8 row_mask:0xf bank_mask:0xf bound_ctrl:1
	v_and_b32_e32 v8, 1, v7
	v_mov_b32_dpp v4, v2 row_ror:8 row_mask:0xf bank_mask:0xf bound_ctrl:1
	v_mov_b32_dpp v5, v3 row_ror:8 row_mask:0xf bank_mask:0xf bound_ctrl:1
	v_cmp_eq_u32_e32 vcc, 1, v8
	s_and_saveexec_b64 s[2:3], vcc
; %bb.8:
	v_cmp_lt_i64_e32 vcc, v[2:3], v[4:5]
	v_cndmask_b32_e64 v7, v7, 1, s[0:1]
	s_and_b64 vcc, s[0:1], vcc
	v_cndmask_b32_e32 v2, v4, v2, vcc
	v_and_b32_e32 v4, 1, v7
	v_cndmask_b32_e32 v3, v5, v3, vcc
	v_cmp_eq_u32_e32 vcc, 1, v4
	s_andn2_b64 s[0:1], s[0:1], exec
	s_and_b64 s[10:11], vcc, exec
	v_and_b32_e32 v6, 0xff, v7
	s_or_b64 s[0:1], s[0:1], s[10:11]
; %bb.9:
	s_or_b64 exec, exec, s[2:3]
	v_mov_b32_dpp v7, v6 row_bcast:15 row_mask:0xf bank_mask:0xf bound_ctrl:1
	v_and_b32_e32 v8, 1, v7
	v_mov_b32_dpp v4, v2 row_bcast:15 row_mask:0xf bank_mask:0xf bound_ctrl:1
	v_mov_b32_dpp v5, v3 row_bcast:15 row_mask:0xf bank_mask:0xf bound_ctrl:1
	v_cmp_eq_u32_e32 vcc, 1, v8
	s_and_saveexec_b64 s[2:3], vcc
; %bb.10:
	v_cmp_lt_i64_e32 vcc, v[2:3], v[4:5]
	v_cndmask_b32_e64 v7, v7, 1, s[0:1]
	s_and_b64 vcc, s[0:1], vcc
	v_cndmask_b32_e32 v2, v4, v2, vcc
	v_and_b32_e32 v4, 1, v7
	v_cndmask_b32_e32 v3, v5, v3, vcc
	v_cmp_eq_u32_e32 vcc, 1, v4
	s_andn2_b64 s[0:1], s[0:1], exec
	s_and_b64 s[10:11], vcc, exec
	v_and_b32_e32 v6, 0xff, v7
	s_or_b64 s[0:1], s[0:1], s[10:11]
; %bb.11:
	s_or_b64 exec, exec, s[2:3]
	v_mov_b32_dpp v7, v6 row_bcast:31 row_mask:0xf bank_mask:0xf bound_ctrl:1
	v_and_b32_e32 v8, 1, v7
	v_mov_b32_dpp v4, v2 row_bcast:31 row_mask:0xf bank_mask:0xf bound_ctrl:1
	v_mov_b32_dpp v5, v3 row_bcast:31 row_mask:0xf bank_mask:0xf bound_ctrl:1
	v_cmp_eq_u32_e32 vcc, 1, v8
	s_and_saveexec_b64 s[2:3], vcc
; %bb.12:
	v_cmp_lt_i64_e32 vcc, v[2:3], v[4:5]
	v_and_b32_e32 v6, 0xff, v7
	s_and_b64 vcc, s[0:1], vcc
	v_cndmask_b32_e32 v2, v4, v2, vcc
	v_cndmask_b32_e32 v3, v5, v3, vcc
	v_cndmask_b32_e64 v6, v6, 1, s[0:1]
; %bb.13:
	s_or_b64 exec, exec, s[2:3]
	v_mbcnt_lo_u32_b32 v4, -1, 0
	v_mbcnt_hi_u32_b32 v4, -1, v4
	v_bfrev_b32_e32 v5, 0.5
	v_lshl_or_b32 v5, v4, 2, v5
	ds_bpermute_b32 v6, v5, v6
	ds_bpermute_b32 v2, v5, v2
	ds_bpermute_b32 v3, v5, v3
	v_cmp_eq_u32_e32 vcc, 0, v4
	s_and_saveexec_b64 s[0:1], vcc
	s_cbranch_execz .LBB68_15
; %bb.14:
	v_lshrrev_b32_e32 v5, 2, v0
	v_and_b32_e32 v5, 48, v5
	s_waitcnt lgkmcnt(2)
	ds_write_b8 v5, v6
	s_waitcnt lgkmcnt(1)
	ds_write_b64 v5, v[2:3] offset:8
.LBB68_15:
	s_or_b64 exec, exec, s[0:1]
	v_cmp_gt_u32_e32 vcc, 64, v0
	s_waitcnt lgkmcnt(0)
	s_barrier
	s_and_saveexec_b64 s[2:3], vcc
	s_cbranch_execz .LBB68_17
; %bb.16:
	v_and_b32_e32 v5, 3, v4
	v_lshlrev_b32_e32 v2, 4, v5
	ds_read_u8 v8, v2
	ds_read_b64 v[2:3], v2 offset:8
	v_cmp_ne_u32_e32 vcc, 3, v5
	v_addc_co_u32_e32 v6, vcc, 0, v4, vcc
	s_waitcnt lgkmcnt(1)
	v_and_b32_e32 v7, 0xff, v8
	v_lshlrev_b32_e32 v9, 2, v6
	ds_bpermute_b32 v10, v9, v7
	s_waitcnt lgkmcnt(1)
	ds_bpermute_b32 v6, v9, v2
	ds_bpermute_b32 v7, v9, v3
	v_and_b32_e32 v9, 1, v8
	s_waitcnt lgkmcnt(2)
	v_and_b32_e32 v11, 1, v10
	v_cmp_eq_u32_e64 s[0:1], 1, v11
	s_waitcnt lgkmcnt(0)
	v_cmp_lt_i64_e32 vcc, v[6:7], v[2:3]
	s_and_b64 vcc, s[0:1], vcc
	v_cndmask_b32_e64 v8, v8, 1, s[0:1]
	v_cndmask_b32_e32 v2, v2, v6, vcc
	v_cndmask_b32_e32 v3, v3, v7, vcc
	v_cmp_eq_u32_e32 vcc, 1, v9
	v_cndmask_b32_e32 v8, v10, v8, vcc
	v_cndmask_b32_e32 v3, v7, v3, vcc
	;; [unrolled: 1-line block ×3, first 2 shown]
	v_cmp_gt_u32_e32 vcc, 2, v5
	v_cndmask_b32_e64 v5, 0, 1, vcc
	v_lshlrev_b32_e32 v5, 1, v5
	v_and_b32_e32 v6, 0xff, v8
	v_add_lshl_u32 v5, v5, v4, 2
	ds_bpermute_b32 v6, v5, v6
	ds_bpermute_b32 v4, v5, v2
	ds_bpermute_b32 v5, v5, v3
	v_and_b32_e32 v7, 1, v8
	s_waitcnt lgkmcnt(2)
	v_and_b32_e32 v9, 1, v6
	v_cmp_eq_u32_e64 s[0:1], 1, v9
	s_waitcnt lgkmcnt(0)
	v_cmp_lt_i64_e32 vcc, v[4:5], v[2:3]
	s_and_b64 vcc, s[0:1], vcc
	v_cndmask_b32_e64 v8, v8, 1, s[0:1]
	v_cndmask_b32_e32 v2, v2, v4, vcc
	v_cndmask_b32_e32 v3, v3, v5, vcc
	v_cmp_eq_u32_e32 vcc, 1, v7
	v_cndmask_b32_e32 v6, v6, v8, vcc
	v_cndmask_b32_e32 v3, v5, v3, vcc
	;; [unrolled: 1-line block ×3, first 2 shown]
	v_and_b32_e32 v6, 0xff, v6
.LBB68_17:
	s_or_b64 exec, exec, s[2:3]
	s_load_dword s10, s[4:5], 0x50
	s_load_dwordx2 s[2:3], s[4:5], 0x58
	s_branch .LBB68_46
.LBB68_18:
                                        ; implicit-def: $vgpr2_vgpr3
                                        ; implicit-def: $vgpr6
	s_load_dword s10, s[4:5], 0x50
	s_load_dwordx2 s[2:3], s[4:5], 0x58
	s_cbranch_execz .LBB68_46
; %bb.19:
	s_sub_i32 s11, s12, s24
	v_pk_mov_b32 v[4:5], 0, 0
	v_cmp_gt_u32_e32 vcc, s11, v0
	v_mov_b32_e32 v6, 0
	v_pk_mov_b32 v[2:3], v[4:5], v[4:5] op_sel:[0,1]
	v_mov_b32_e32 v7, 0
	s_and_saveexec_b64 s[0:1], vcc
	s_cbranch_execz .LBB68_21
; %bb.20:
	global_load_dwordx2 v[8:9], v1, s[20:21]
	global_load_dwordx2 v[10:11], v1, s[22:23]
	v_mov_b32_e32 v3, s9
	v_add_co_u32_e32 v2, vcc, s8, v0
	v_addc_co_u32_e32 v3, vcc, 0, v3, vcc
	s_waitcnt vmcnt(0)
	v_cmp_ne_u64_e32 vcc, v[8:9], v[10:11]
	v_cndmask_b32_e64 v7, 0, 1, vcc
.LBB68_21:
	s_or_b64 exec, exec, s[0:1]
	v_or_b32_e32 v8, 0x100, v0
	v_cmp_gt_u32_e32 vcc, s11, v8
	s_and_saveexec_b64 s[4:5], vcc
	s_cbranch_execz .LBB68_23
; %bb.22:
	global_load_dwordx2 v[10:11], v1, s[20:21] offset:2048
	global_load_dwordx2 v[12:13], v1, s[22:23] offset:2048
	v_mov_b32_e32 v1, s9
	v_add_co_u32_e64 v4, s[0:1], s8, v8
	v_addc_co_u32_e64 v5, s[0:1], 0, v1, s[0:1]
	s_waitcnt vmcnt(0)
	v_cmp_ne_u64_e64 s[0:1], v[10:11], v[12:13]
	v_cndmask_b32_e64 v6, 0, 1, s[0:1]
.LBB68_23:
	s_or_b64 exec, exec, s[4:5]
	s_and_saveexec_b64 s[4:5], vcc
	s_cbranch_execz .LBB68_25
; %bb.24:
	v_and_b32_e32 v8, 1, v6
	v_cmp_lt_i64_e32 vcc, v[4:5], v[2:3]
	v_cmp_eq_u32_e64 s[0:1], 1, v8
	v_and_b32_e32 v1, 1, v7
	s_and_b64 vcc, s[0:1], vcc
	v_cndmask_b32_e64 v7, v7, 1, s[0:1]
	v_cndmask_b32_e32 v2, v2, v4, vcc
	v_cndmask_b32_e32 v3, v3, v5, vcc
	v_cmp_eq_u32_e32 vcc, 1, v1
	v_cndmask_b32_e32 v7, v6, v7, vcc
	v_cndmask_b32_e32 v3, v5, v3, vcc
	;; [unrolled: 1-line block ×3, first 2 shown]
.LBB68_25:
	s_or_b64 exec, exec, s[4:5]
	v_mbcnt_lo_u32_b32 v1, -1, 0
	v_mbcnt_hi_u32_b32 v1, -1, v1
	v_and_b32_e32 v8, 63, v1
	v_cmp_ne_u32_e32 vcc, 63, v8
	v_addc_co_u32_e32 v4, vcc, 0, v1, vcc
	v_and_b32_e32 v6, 0xffff, v7
	v_lshlrev_b32_e32 v5, 2, v4
	ds_bpermute_b32 v10, v5, v6
	ds_bpermute_b32 v4, v5, v2
	;; [unrolled: 1-line block ×3, first 2 shown]
	s_min_u32 s8, s11, 0x100
	v_and_b32_e32 v9, 0xc0, v0
	v_sub_u32_e64 v9, s8, v9 clamp
	v_add_u32_e32 v11, 1, v8
	v_cmp_lt_u32_e32 vcc, v11, v9
	s_and_saveexec_b64 s[4:5], vcc
	s_cbranch_execz .LBB68_27
; %bb.26:
	s_waitcnt lgkmcnt(0)
	v_and_b32_e32 v11, 1, v10
	v_cmp_lt_i64_e32 vcc, v[4:5], v[2:3]
	v_cmp_eq_u32_e64 s[0:1], 1, v11
	v_and_b32_e32 v6, 1, v7
	s_and_b64 vcc, s[0:1], vcc
	v_cndmask_b32_e64 v7, v7, 1, s[0:1]
	v_cndmask_b32_e32 v2, v2, v4, vcc
	v_cndmask_b32_e32 v3, v3, v5, vcc
	v_cmp_eq_u32_e32 vcc, 1, v6
	v_cndmask_b32_e32 v7, v10, v7, vcc
	v_cndmask_b32_e32 v3, v5, v3, vcc
	;; [unrolled: 1-line block ×3, first 2 shown]
	v_and_b32_e32 v6, 0xff, v7
.LBB68_27:
	s_or_b64 exec, exec, s[4:5]
	v_cmp_gt_u32_e32 vcc, 62, v8
	s_waitcnt lgkmcnt(0)
	v_cndmask_b32_e64 v4, 0, 1, vcc
	v_lshlrev_b32_e32 v4, 1, v4
	v_add_lshl_u32 v5, v4, v1, 2
	ds_bpermute_b32 v10, v5, v6
	ds_bpermute_b32 v4, v5, v2
	ds_bpermute_b32 v5, v5, v3
	v_add_u32_e32 v11, 2, v8
	v_cmp_lt_u32_e32 vcc, v11, v9
	s_and_saveexec_b64 s[4:5], vcc
	s_cbranch_execz .LBB68_29
; %bb.28:
	s_waitcnt lgkmcnt(2)
	v_and_b32_e32 v11, 1, v10
	s_waitcnt lgkmcnt(0)
	v_cmp_lt_i64_e32 vcc, v[4:5], v[2:3]
	v_cmp_eq_u32_e64 s[0:1], 1, v11
	v_and_b32_e32 v6, 1, v7
	s_and_b64 vcc, s[0:1], vcc
	v_cndmask_b32_e64 v7, v7, 1, s[0:1]
	v_cndmask_b32_e32 v2, v2, v4, vcc
	v_cndmask_b32_e32 v3, v3, v5, vcc
	v_cmp_eq_u32_e32 vcc, 1, v6
	v_cndmask_b32_e32 v7, v10, v7, vcc
	v_cndmask_b32_e32 v3, v5, v3, vcc
	v_cndmask_b32_e32 v2, v4, v2, vcc
	v_and_b32_e32 v6, 0xff, v7
.LBB68_29:
	s_or_b64 exec, exec, s[4:5]
	v_cmp_gt_u32_e32 vcc, 60, v8
	s_waitcnt lgkmcnt(1)
	v_cndmask_b32_e64 v4, 0, 1, vcc
	v_lshlrev_b32_e32 v4, 2, v4
	s_waitcnt lgkmcnt(0)
	v_add_lshl_u32 v5, v4, v1, 2
	ds_bpermute_b32 v10, v5, v6
	ds_bpermute_b32 v4, v5, v2
	ds_bpermute_b32 v5, v5, v3
	v_add_u32_e32 v11, 4, v8
	v_cmp_lt_u32_e32 vcc, v11, v9
	s_and_saveexec_b64 s[4:5], vcc
	s_cbranch_execz .LBB68_31
; %bb.30:
	s_waitcnt lgkmcnt(2)
	v_and_b32_e32 v11, 1, v10
	s_waitcnt lgkmcnt(0)
	v_cmp_lt_i64_e32 vcc, v[4:5], v[2:3]
	v_cmp_eq_u32_e64 s[0:1], 1, v11
	v_and_b32_e32 v6, 1, v7
	s_and_b64 vcc, s[0:1], vcc
	v_cndmask_b32_e64 v7, v7, 1, s[0:1]
	v_cndmask_b32_e32 v2, v2, v4, vcc
	v_cndmask_b32_e32 v3, v3, v5, vcc
	v_cmp_eq_u32_e32 vcc, 1, v6
	v_cndmask_b32_e32 v7, v10, v7, vcc
	v_cndmask_b32_e32 v3, v5, v3, vcc
	v_cndmask_b32_e32 v2, v4, v2, vcc
	v_and_b32_e32 v6, 0xff, v7
.LBB68_31:
	s_or_b64 exec, exec, s[4:5]
	v_cmp_gt_u32_e32 vcc, 56, v8
	s_waitcnt lgkmcnt(1)
	v_cndmask_b32_e64 v4, 0, 1, vcc
	v_lshlrev_b32_e32 v4, 3, v4
	s_waitcnt lgkmcnt(0)
	;; [unrolled: 31-line block ×4, first 2 shown]
	v_add_lshl_u32 v5, v4, v1, 2
	ds_bpermute_b32 v10, v5, v6
	ds_bpermute_b32 v4, v5, v2
	ds_bpermute_b32 v5, v5, v3
	v_add_u32_e32 v8, 32, v8
	v_cmp_lt_u32_e32 vcc, v8, v9
	s_and_saveexec_b64 s[4:5], vcc
	s_cbranch_execz .LBB68_37
; %bb.36:
	s_waitcnt lgkmcnt(2)
	v_and_b32_e32 v8, 1, v10
	s_waitcnt lgkmcnt(0)
	v_cmp_lt_i64_e32 vcc, v[4:5], v[2:3]
	v_cmp_eq_u32_e64 s[0:1], 1, v8
	v_and_b32_e32 v6, 1, v7
	s_and_b64 vcc, s[0:1], vcc
	v_cndmask_b32_e64 v7, v7, 1, s[0:1]
	v_cndmask_b32_e32 v2, v2, v4, vcc
	v_cndmask_b32_e32 v3, v3, v5, vcc
	v_cmp_eq_u32_e32 vcc, 1, v6
	v_cndmask_b32_e32 v7, v10, v7, vcc
	v_cndmask_b32_e32 v3, v5, v3, vcc
	;; [unrolled: 1-line block ×3, first 2 shown]
	v_and_b32_e32 v6, 0xff, v7
.LBB68_37:
	s_or_b64 exec, exec, s[4:5]
	v_cmp_eq_u32_e32 vcc, 0, v1
	s_and_saveexec_b64 s[0:1], vcc
	s_cbranch_execz .LBB68_39
; %bb.38:
	s_waitcnt lgkmcnt(1)
	v_lshrrev_b32_e32 v4, 2, v0
	v_and_b32_e32 v4, 48, v4
	ds_write_b8 v4, v7 offset:64
	ds_write_b64 v4, v[2:3] offset:72
.LBB68_39:
	s_or_b64 exec, exec, s[0:1]
	v_cmp_gt_u32_e32 vcc, 4, v0
	s_waitcnt lgkmcnt(0)
	s_barrier
	s_and_saveexec_b64 s[4:5], vcc
	s_cbranch_execz .LBB68_45
; %bb.40:
	v_lshlrev_b32_e32 v2, 4, v1
	ds_read_u8 v7, v2 offset:64
	ds_read_b64 v[2:3], v2 offset:72
	v_and_b32_e32 v8, 3, v1
	v_cmp_ne_u32_e32 vcc, 3, v8
	v_addc_co_u32_e32 v4, vcc, 0, v1, vcc
	s_waitcnt lgkmcnt(1)
	v_and_b32_e32 v6, 0xff, v7
	v_lshlrev_b32_e32 v5, 2, v4
	ds_bpermute_b32 v9, v5, v6
	s_waitcnt lgkmcnt(1)
	ds_bpermute_b32 v4, v5, v2
	ds_bpermute_b32 v5, v5, v3
	s_add_i32 s8, s8, 63
	s_lshr_b32 s11, s8, 6
	v_add_u32_e32 v10, 1, v8
	v_cmp_gt_u32_e32 vcc, s11, v10
	s_and_saveexec_b64 s[8:9], vcc
	s_cbranch_execz .LBB68_42
; %bb.41:
	s_waitcnt lgkmcnt(2)
	v_and_b32_e32 v10, 1, v9
	s_waitcnt lgkmcnt(0)
	v_cmp_lt_i64_e32 vcc, v[4:5], v[2:3]
	v_cmp_eq_u32_e64 s[0:1], 1, v10
	v_and_b32_e32 v6, 1, v7
	s_and_b64 vcc, s[0:1], vcc
	v_cndmask_b32_e64 v7, v7, 1, s[0:1]
	v_cndmask_b32_e32 v2, v2, v4, vcc
	v_cndmask_b32_e32 v3, v3, v5, vcc
	v_cmp_eq_u32_e32 vcc, 1, v6
	v_cndmask_b32_e32 v7, v9, v7, vcc
	v_cndmask_b32_e32 v3, v5, v3, vcc
	;; [unrolled: 1-line block ×3, first 2 shown]
	v_and_b32_e32 v6, 0xff, v7
.LBB68_42:
	s_or_b64 exec, exec, s[8:9]
	v_cmp_gt_u32_e32 vcc, 2, v8
	s_waitcnt lgkmcnt(1)
	v_cndmask_b32_e64 v4, 0, 1, vcc
	v_lshlrev_b32_e32 v4, 1, v4
	s_waitcnt lgkmcnt(0)
	v_add_lshl_u32 v5, v4, v1, 2
	ds_bpermute_b32 v1, v5, v6
	ds_bpermute_b32 v4, v5, v2
	;; [unrolled: 1-line block ×3, first 2 shown]
	v_add_u32_e32 v8, 2, v8
	v_cmp_gt_u32_e32 vcc, s11, v8
	s_and_saveexec_b64 s[8:9], vcc
	s_cbranch_execz .LBB68_44
; %bb.43:
	s_waitcnt lgkmcnt(2)
	v_and_b32_e32 v8, 1, v1
	s_waitcnt lgkmcnt(0)
	v_cmp_lt_i64_e32 vcc, v[4:5], v[2:3]
	v_cmp_eq_u32_e64 s[0:1], 1, v8
	v_and_b32_e32 v6, 1, v7
	s_and_b64 vcc, s[0:1], vcc
	v_cndmask_b32_e64 v7, v7, 1, s[0:1]
	v_cndmask_b32_e32 v2, v2, v4, vcc
	v_cndmask_b32_e32 v3, v3, v5, vcc
	v_cmp_eq_u32_e32 vcc, 1, v6
	v_cndmask_b32_e32 v1, v1, v7, vcc
	v_cndmask_b32_e32 v3, v5, v3, vcc
	;; [unrolled: 1-line block ×3, first 2 shown]
	v_and_b32_e32 v6, 0xff, v1
.LBB68_44:
	s_or_b64 exec, exec, s[8:9]
.LBB68_45:
	s_or_b64 exec, exec, s[4:5]
.LBB68_46:
	v_cmp_eq_u32_e32 vcc, 0, v0
	s_and_saveexec_b64 s[0:1], vcc
	s_cbranch_execnz .LBB68_48
; %bb.47:
	s_endpgm
.LBB68_48:
	s_mul_i32 s0, s18, s17
	s_mul_hi_u32 s1, s18, s16
	s_add_i32 s0, s1, s0
	s_mul_i32 s1, s19, s16
	s_add_i32 s1, s0, s1
	s_mul_i32 s0, s18, s16
	s_lshl_b64 s[0:1], s[0:1], 4
	s_add_u32 s4, s14, s0
	s_addc_u32 s5, s15, s1
	s_cmp_eq_u64 s[12:13], 0
	s_waitcnt lgkmcnt(0)
	v_mov_b32_e32 v0, s3
	s_cselect_b64 vcc, -1, 0
	v_cndmask_b32_e32 v1, v3, v0, vcc
	v_mov_b32_e32 v0, s2
	s_lshl_b64 s[0:1], s[6:7], 4
	v_cndmask_b32_e32 v0, v2, v0, vcc
	v_mov_b32_e32 v2, s10
	s_add_u32 s0, s4, s0
	v_cndmask_b32_e32 v2, v6, v2, vcc
	s_addc_u32 s1, s5, s1
	v_mov_b32_e32 v3, 0
	global_store_byte v3, v2, s[0:1]
	global_store_dwordx2 v3, v[0:1], s[0:1] offset:8
	s_endpgm
	.section	.rodata,"a",@progbits
	.p2align	6, 0x0
	.amdhsa_kernel _ZN7rocprim17ROCPRIM_400000_NS6detail17trampoline_kernelINS0_14default_configENS1_22reduce_config_selectorIN6thrust23THRUST_200600_302600_NS5tupleIblNS6_9null_typeES8_S8_S8_S8_S8_S8_S8_EEEEZNS1_11reduce_implILb1ES3_NS6_12zip_iteratorINS7_INS6_11hip_rocprim26transform_input_iterator_tIbNSD_35transform_pair_of_input_iterators_tIbNS6_6detail15normal_iteratorINS6_10device_ptrIKxEEEESL_NS6_8equal_toIxEEEENSG_9not_fun_tINSD_8identityEEEEENSD_19counting_iterator_tIlEES8_S8_S8_S8_S8_S8_S8_S8_EEEEPS9_S9_NSD_9__find_if7functorIS9_EEEE10hipError_tPvRmT1_T2_T3_mT4_P12ihipStream_tbEUlT_E0_NS1_11comp_targetILNS1_3genE4ELNS1_11target_archE910ELNS1_3gpuE8ELNS1_3repE0EEENS1_30default_config_static_selectorELNS0_4arch9wavefront6targetE1EEEvS14_
		.amdhsa_group_segment_fixed_size 128
		.amdhsa_private_segment_fixed_size 0
		.amdhsa_kernarg_size 104
		.amdhsa_user_sgpr_count 6
		.amdhsa_user_sgpr_private_segment_buffer 1
		.amdhsa_user_sgpr_dispatch_ptr 0
		.amdhsa_user_sgpr_queue_ptr 0
		.amdhsa_user_sgpr_kernarg_segment_ptr 1
		.amdhsa_user_sgpr_dispatch_id 0
		.amdhsa_user_sgpr_flat_scratch_init 0
		.amdhsa_user_sgpr_kernarg_preload_length 0
		.amdhsa_user_sgpr_kernarg_preload_offset 0
		.amdhsa_user_sgpr_private_segment_size 0
		.amdhsa_uses_dynamic_stack 0
		.amdhsa_system_sgpr_private_segment_wavefront_offset 0
		.amdhsa_system_sgpr_workgroup_id_x 1
		.amdhsa_system_sgpr_workgroup_id_y 0
		.amdhsa_system_sgpr_workgroup_id_z 0
		.amdhsa_system_sgpr_workgroup_info 0
		.amdhsa_system_vgpr_workitem_id 0
		.amdhsa_next_free_vgpr 14
		.amdhsa_next_free_sgpr 28
		.amdhsa_accum_offset 16
		.amdhsa_reserve_vcc 1
		.amdhsa_reserve_flat_scratch 0
		.amdhsa_float_round_mode_32 0
		.amdhsa_float_round_mode_16_64 0
		.amdhsa_float_denorm_mode_32 3
		.amdhsa_float_denorm_mode_16_64 3
		.amdhsa_dx10_clamp 1
		.amdhsa_ieee_mode 1
		.amdhsa_fp16_overflow 0
		.amdhsa_tg_split 0
		.amdhsa_exception_fp_ieee_invalid_op 0
		.amdhsa_exception_fp_denorm_src 0
		.amdhsa_exception_fp_ieee_div_zero 0
		.amdhsa_exception_fp_ieee_overflow 0
		.amdhsa_exception_fp_ieee_underflow 0
		.amdhsa_exception_fp_ieee_inexact 0
		.amdhsa_exception_int_div_zero 0
	.end_amdhsa_kernel
	.section	.text._ZN7rocprim17ROCPRIM_400000_NS6detail17trampoline_kernelINS0_14default_configENS1_22reduce_config_selectorIN6thrust23THRUST_200600_302600_NS5tupleIblNS6_9null_typeES8_S8_S8_S8_S8_S8_S8_EEEEZNS1_11reduce_implILb1ES3_NS6_12zip_iteratorINS7_INS6_11hip_rocprim26transform_input_iterator_tIbNSD_35transform_pair_of_input_iterators_tIbNS6_6detail15normal_iteratorINS6_10device_ptrIKxEEEESL_NS6_8equal_toIxEEEENSG_9not_fun_tINSD_8identityEEEEENSD_19counting_iterator_tIlEES8_S8_S8_S8_S8_S8_S8_S8_EEEEPS9_S9_NSD_9__find_if7functorIS9_EEEE10hipError_tPvRmT1_T2_T3_mT4_P12ihipStream_tbEUlT_E0_NS1_11comp_targetILNS1_3genE4ELNS1_11target_archE910ELNS1_3gpuE8ELNS1_3repE0EEENS1_30default_config_static_selectorELNS0_4arch9wavefront6targetE1EEEvS14_,"axG",@progbits,_ZN7rocprim17ROCPRIM_400000_NS6detail17trampoline_kernelINS0_14default_configENS1_22reduce_config_selectorIN6thrust23THRUST_200600_302600_NS5tupleIblNS6_9null_typeES8_S8_S8_S8_S8_S8_S8_EEEEZNS1_11reduce_implILb1ES3_NS6_12zip_iteratorINS7_INS6_11hip_rocprim26transform_input_iterator_tIbNSD_35transform_pair_of_input_iterators_tIbNS6_6detail15normal_iteratorINS6_10device_ptrIKxEEEESL_NS6_8equal_toIxEEEENSG_9not_fun_tINSD_8identityEEEEENSD_19counting_iterator_tIlEES8_S8_S8_S8_S8_S8_S8_S8_EEEEPS9_S9_NSD_9__find_if7functorIS9_EEEE10hipError_tPvRmT1_T2_T3_mT4_P12ihipStream_tbEUlT_E0_NS1_11comp_targetILNS1_3genE4ELNS1_11target_archE910ELNS1_3gpuE8ELNS1_3repE0EEENS1_30default_config_static_selectorELNS0_4arch9wavefront6targetE1EEEvS14_,comdat
.Lfunc_end68:
	.size	_ZN7rocprim17ROCPRIM_400000_NS6detail17trampoline_kernelINS0_14default_configENS1_22reduce_config_selectorIN6thrust23THRUST_200600_302600_NS5tupleIblNS6_9null_typeES8_S8_S8_S8_S8_S8_S8_EEEEZNS1_11reduce_implILb1ES3_NS6_12zip_iteratorINS7_INS6_11hip_rocprim26transform_input_iterator_tIbNSD_35transform_pair_of_input_iterators_tIbNS6_6detail15normal_iteratorINS6_10device_ptrIKxEEEESL_NS6_8equal_toIxEEEENSG_9not_fun_tINSD_8identityEEEEENSD_19counting_iterator_tIlEES8_S8_S8_S8_S8_S8_S8_S8_EEEEPS9_S9_NSD_9__find_if7functorIS9_EEEE10hipError_tPvRmT1_T2_T3_mT4_P12ihipStream_tbEUlT_E0_NS1_11comp_targetILNS1_3genE4ELNS1_11target_archE910ELNS1_3gpuE8ELNS1_3repE0EEENS1_30default_config_static_selectorELNS0_4arch9wavefront6targetE1EEEvS14_, .Lfunc_end68-_ZN7rocprim17ROCPRIM_400000_NS6detail17trampoline_kernelINS0_14default_configENS1_22reduce_config_selectorIN6thrust23THRUST_200600_302600_NS5tupleIblNS6_9null_typeES8_S8_S8_S8_S8_S8_S8_EEEEZNS1_11reduce_implILb1ES3_NS6_12zip_iteratorINS7_INS6_11hip_rocprim26transform_input_iterator_tIbNSD_35transform_pair_of_input_iterators_tIbNS6_6detail15normal_iteratorINS6_10device_ptrIKxEEEESL_NS6_8equal_toIxEEEENSG_9not_fun_tINSD_8identityEEEEENSD_19counting_iterator_tIlEES8_S8_S8_S8_S8_S8_S8_S8_EEEEPS9_S9_NSD_9__find_if7functorIS9_EEEE10hipError_tPvRmT1_T2_T3_mT4_P12ihipStream_tbEUlT_E0_NS1_11comp_targetILNS1_3genE4ELNS1_11target_archE910ELNS1_3gpuE8ELNS1_3repE0EEENS1_30default_config_static_selectorELNS0_4arch9wavefront6targetE1EEEvS14_
                                        ; -- End function
	.section	.AMDGPU.csdata,"",@progbits
; Kernel info:
; codeLenInByte = 2844
; NumSgprs: 32
; NumVgprs: 14
; NumAgprs: 0
; TotalNumVgprs: 14
; ScratchSize: 0
; MemoryBound: 0
; FloatMode: 240
; IeeeMode: 1
; LDSByteSize: 128 bytes/workgroup (compile time only)
; SGPRBlocks: 3
; VGPRBlocks: 1
; NumSGPRsForWavesPerEU: 32
; NumVGPRsForWavesPerEU: 14
; AccumOffset: 16
; Occupancy: 8
; WaveLimiterHint : 0
; COMPUTE_PGM_RSRC2:SCRATCH_EN: 0
; COMPUTE_PGM_RSRC2:USER_SGPR: 6
; COMPUTE_PGM_RSRC2:TRAP_HANDLER: 0
; COMPUTE_PGM_RSRC2:TGID_X_EN: 1
; COMPUTE_PGM_RSRC2:TGID_Y_EN: 0
; COMPUTE_PGM_RSRC2:TGID_Z_EN: 0
; COMPUTE_PGM_RSRC2:TIDIG_COMP_CNT: 0
; COMPUTE_PGM_RSRC3_GFX90A:ACCUM_OFFSET: 3
; COMPUTE_PGM_RSRC3_GFX90A:TG_SPLIT: 0
	.section	.text._ZN7rocprim17ROCPRIM_400000_NS6detail17trampoline_kernelINS0_14default_configENS1_22reduce_config_selectorIN6thrust23THRUST_200600_302600_NS5tupleIblNS6_9null_typeES8_S8_S8_S8_S8_S8_S8_EEEEZNS1_11reduce_implILb1ES3_NS6_12zip_iteratorINS7_INS6_11hip_rocprim26transform_input_iterator_tIbNSD_35transform_pair_of_input_iterators_tIbNS6_6detail15normal_iteratorINS6_10device_ptrIKxEEEESL_NS6_8equal_toIxEEEENSG_9not_fun_tINSD_8identityEEEEENSD_19counting_iterator_tIlEES8_S8_S8_S8_S8_S8_S8_S8_EEEEPS9_S9_NSD_9__find_if7functorIS9_EEEE10hipError_tPvRmT1_T2_T3_mT4_P12ihipStream_tbEUlT_E0_NS1_11comp_targetILNS1_3genE3ELNS1_11target_archE908ELNS1_3gpuE7ELNS1_3repE0EEENS1_30default_config_static_selectorELNS0_4arch9wavefront6targetE1EEEvS14_,"axG",@progbits,_ZN7rocprim17ROCPRIM_400000_NS6detail17trampoline_kernelINS0_14default_configENS1_22reduce_config_selectorIN6thrust23THRUST_200600_302600_NS5tupleIblNS6_9null_typeES8_S8_S8_S8_S8_S8_S8_EEEEZNS1_11reduce_implILb1ES3_NS6_12zip_iteratorINS7_INS6_11hip_rocprim26transform_input_iterator_tIbNSD_35transform_pair_of_input_iterators_tIbNS6_6detail15normal_iteratorINS6_10device_ptrIKxEEEESL_NS6_8equal_toIxEEEENSG_9not_fun_tINSD_8identityEEEEENSD_19counting_iterator_tIlEES8_S8_S8_S8_S8_S8_S8_S8_EEEEPS9_S9_NSD_9__find_if7functorIS9_EEEE10hipError_tPvRmT1_T2_T3_mT4_P12ihipStream_tbEUlT_E0_NS1_11comp_targetILNS1_3genE3ELNS1_11target_archE908ELNS1_3gpuE7ELNS1_3repE0EEENS1_30default_config_static_selectorELNS0_4arch9wavefront6targetE1EEEvS14_,comdat
	.protected	_ZN7rocprim17ROCPRIM_400000_NS6detail17trampoline_kernelINS0_14default_configENS1_22reduce_config_selectorIN6thrust23THRUST_200600_302600_NS5tupleIblNS6_9null_typeES8_S8_S8_S8_S8_S8_S8_EEEEZNS1_11reduce_implILb1ES3_NS6_12zip_iteratorINS7_INS6_11hip_rocprim26transform_input_iterator_tIbNSD_35transform_pair_of_input_iterators_tIbNS6_6detail15normal_iteratorINS6_10device_ptrIKxEEEESL_NS6_8equal_toIxEEEENSG_9not_fun_tINSD_8identityEEEEENSD_19counting_iterator_tIlEES8_S8_S8_S8_S8_S8_S8_S8_EEEEPS9_S9_NSD_9__find_if7functorIS9_EEEE10hipError_tPvRmT1_T2_T3_mT4_P12ihipStream_tbEUlT_E0_NS1_11comp_targetILNS1_3genE3ELNS1_11target_archE908ELNS1_3gpuE7ELNS1_3repE0EEENS1_30default_config_static_selectorELNS0_4arch9wavefront6targetE1EEEvS14_ ; -- Begin function _ZN7rocprim17ROCPRIM_400000_NS6detail17trampoline_kernelINS0_14default_configENS1_22reduce_config_selectorIN6thrust23THRUST_200600_302600_NS5tupleIblNS6_9null_typeES8_S8_S8_S8_S8_S8_S8_EEEEZNS1_11reduce_implILb1ES3_NS6_12zip_iteratorINS7_INS6_11hip_rocprim26transform_input_iterator_tIbNSD_35transform_pair_of_input_iterators_tIbNS6_6detail15normal_iteratorINS6_10device_ptrIKxEEEESL_NS6_8equal_toIxEEEENSG_9not_fun_tINSD_8identityEEEEENSD_19counting_iterator_tIlEES8_S8_S8_S8_S8_S8_S8_S8_EEEEPS9_S9_NSD_9__find_if7functorIS9_EEEE10hipError_tPvRmT1_T2_T3_mT4_P12ihipStream_tbEUlT_E0_NS1_11comp_targetILNS1_3genE3ELNS1_11target_archE908ELNS1_3gpuE7ELNS1_3repE0EEENS1_30default_config_static_selectorELNS0_4arch9wavefront6targetE1EEEvS14_
	.globl	_ZN7rocprim17ROCPRIM_400000_NS6detail17trampoline_kernelINS0_14default_configENS1_22reduce_config_selectorIN6thrust23THRUST_200600_302600_NS5tupleIblNS6_9null_typeES8_S8_S8_S8_S8_S8_S8_EEEEZNS1_11reduce_implILb1ES3_NS6_12zip_iteratorINS7_INS6_11hip_rocprim26transform_input_iterator_tIbNSD_35transform_pair_of_input_iterators_tIbNS6_6detail15normal_iteratorINS6_10device_ptrIKxEEEESL_NS6_8equal_toIxEEEENSG_9not_fun_tINSD_8identityEEEEENSD_19counting_iterator_tIlEES8_S8_S8_S8_S8_S8_S8_S8_EEEEPS9_S9_NSD_9__find_if7functorIS9_EEEE10hipError_tPvRmT1_T2_T3_mT4_P12ihipStream_tbEUlT_E0_NS1_11comp_targetILNS1_3genE3ELNS1_11target_archE908ELNS1_3gpuE7ELNS1_3repE0EEENS1_30default_config_static_selectorELNS0_4arch9wavefront6targetE1EEEvS14_
	.p2align	8
	.type	_ZN7rocprim17ROCPRIM_400000_NS6detail17trampoline_kernelINS0_14default_configENS1_22reduce_config_selectorIN6thrust23THRUST_200600_302600_NS5tupleIblNS6_9null_typeES8_S8_S8_S8_S8_S8_S8_EEEEZNS1_11reduce_implILb1ES3_NS6_12zip_iteratorINS7_INS6_11hip_rocprim26transform_input_iterator_tIbNSD_35transform_pair_of_input_iterators_tIbNS6_6detail15normal_iteratorINS6_10device_ptrIKxEEEESL_NS6_8equal_toIxEEEENSG_9not_fun_tINSD_8identityEEEEENSD_19counting_iterator_tIlEES8_S8_S8_S8_S8_S8_S8_S8_EEEEPS9_S9_NSD_9__find_if7functorIS9_EEEE10hipError_tPvRmT1_T2_T3_mT4_P12ihipStream_tbEUlT_E0_NS1_11comp_targetILNS1_3genE3ELNS1_11target_archE908ELNS1_3gpuE7ELNS1_3repE0EEENS1_30default_config_static_selectorELNS0_4arch9wavefront6targetE1EEEvS14_,@function
_ZN7rocprim17ROCPRIM_400000_NS6detail17trampoline_kernelINS0_14default_configENS1_22reduce_config_selectorIN6thrust23THRUST_200600_302600_NS5tupleIblNS6_9null_typeES8_S8_S8_S8_S8_S8_S8_EEEEZNS1_11reduce_implILb1ES3_NS6_12zip_iteratorINS7_INS6_11hip_rocprim26transform_input_iterator_tIbNSD_35transform_pair_of_input_iterators_tIbNS6_6detail15normal_iteratorINS6_10device_ptrIKxEEEESL_NS6_8equal_toIxEEEENSG_9not_fun_tINSD_8identityEEEEENSD_19counting_iterator_tIlEES8_S8_S8_S8_S8_S8_S8_S8_EEEEPS9_S9_NSD_9__find_if7functorIS9_EEEE10hipError_tPvRmT1_T2_T3_mT4_P12ihipStream_tbEUlT_E0_NS1_11comp_targetILNS1_3genE3ELNS1_11target_archE908ELNS1_3gpuE7ELNS1_3repE0EEENS1_30default_config_static_selectorELNS0_4arch9wavefront6targetE1EEEvS14_: ; @_ZN7rocprim17ROCPRIM_400000_NS6detail17trampoline_kernelINS0_14default_configENS1_22reduce_config_selectorIN6thrust23THRUST_200600_302600_NS5tupleIblNS6_9null_typeES8_S8_S8_S8_S8_S8_S8_EEEEZNS1_11reduce_implILb1ES3_NS6_12zip_iteratorINS7_INS6_11hip_rocprim26transform_input_iterator_tIbNSD_35transform_pair_of_input_iterators_tIbNS6_6detail15normal_iteratorINS6_10device_ptrIKxEEEESL_NS6_8equal_toIxEEEENSG_9not_fun_tINSD_8identityEEEEENSD_19counting_iterator_tIlEES8_S8_S8_S8_S8_S8_S8_S8_EEEEPS9_S9_NSD_9__find_if7functorIS9_EEEE10hipError_tPvRmT1_T2_T3_mT4_P12ihipStream_tbEUlT_E0_NS1_11comp_targetILNS1_3genE3ELNS1_11target_archE908ELNS1_3gpuE7ELNS1_3repE0EEENS1_30default_config_static_selectorELNS0_4arch9wavefront6targetE1EEEvS14_
; %bb.0:
	.section	.rodata,"a",@progbits
	.p2align	6, 0x0
	.amdhsa_kernel _ZN7rocprim17ROCPRIM_400000_NS6detail17trampoline_kernelINS0_14default_configENS1_22reduce_config_selectorIN6thrust23THRUST_200600_302600_NS5tupleIblNS6_9null_typeES8_S8_S8_S8_S8_S8_S8_EEEEZNS1_11reduce_implILb1ES3_NS6_12zip_iteratorINS7_INS6_11hip_rocprim26transform_input_iterator_tIbNSD_35transform_pair_of_input_iterators_tIbNS6_6detail15normal_iteratorINS6_10device_ptrIKxEEEESL_NS6_8equal_toIxEEEENSG_9not_fun_tINSD_8identityEEEEENSD_19counting_iterator_tIlEES8_S8_S8_S8_S8_S8_S8_S8_EEEEPS9_S9_NSD_9__find_if7functorIS9_EEEE10hipError_tPvRmT1_T2_T3_mT4_P12ihipStream_tbEUlT_E0_NS1_11comp_targetILNS1_3genE3ELNS1_11target_archE908ELNS1_3gpuE7ELNS1_3repE0EEENS1_30default_config_static_selectorELNS0_4arch9wavefront6targetE1EEEvS14_
		.amdhsa_group_segment_fixed_size 0
		.amdhsa_private_segment_fixed_size 0
		.amdhsa_kernarg_size 104
		.amdhsa_user_sgpr_count 6
		.amdhsa_user_sgpr_private_segment_buffer 1
		.amdhsa_user_sgpr_dispatch_ptr 0
		.amdhsa_user_sgpr_queue_ptr 0
		.amdhsa_user_sgpr_kernarg_segment_ptr 1
		.amdhsa_user_sgpr_dispatch_id 0
		.amdhsa_user_sgpr_flat_scratch_init 0
		.amdhsa_user_sgpr_kernarg_preload_length 0
		.amdhsa_user_sgpr_kernarg_preload_offset 0
		.amdhsa_user_sgpr_private_segment_size 0
		.amdhsa_uses_dynamic_stack 0
		.amdhsa_system_sgpr_private_segment_wavefront_offset 0
		.amdhsa_system_sgpr_workgroup_id_x 1
		.amdhsa_system_sgpr_workgroup_id_y 0
		.amdhsa_system_sgpr_workgroup_id_z 0
		.amdhsa_system_sgpr_workgroup_info 0
		.amdhsa_system_vgpr_workitem_id 0
		.amdhsa_next_free_vgpr 1
		.amdhsa_next_free_sgpr 0
		.amdhsa_accum_offset 4
		.amdhsa_reserve_vcc 0
		.amdhsa_reserve_flat_scratch 0
		.amdhsa_float_round_mode_32 0
		.amdhsa_float_round_mode_16_64 0
		.amdhsa_float_denorm_mode_32 3
		.amdhsa_float_denorm_mode_16_64 3
		.amdhsa_dx10_clamp 1
		.amdhsa_ieee_mode 1
		.amdhsa_fp16_overflow 0
		.amdhsa_tg_split 0
		.amdhsa_exception_fp_ieee_invalid_op 0
		.amdhsa_exception_fp_denorm_src 0
		.amdhsa_exception_fp_ieee_div_zero 0
		.amdhsa_exception_fp_ieee_overflow 0
		.amdhsa_exception_fp_ieee_underflow 0
		.amdhsa_exception_fp_ieee_inexact 0
		.amdhsa_exception_int_div_zero 0
	.end_amdhsa_kernel
	.section	.text._ZN7rocprim17ROCPRIM_400000_NS6detail17trampoline_kernelINS0_14default_configENS1_22reduce_config_selectorIN6thrust23THRUST_200600_302600_NS5tupleIblNS6_9null_typeES8_S8_S8_S8_S8_S8_S8_EEEEZNS1_11reduce_implILb1ES3_NS6_12zip_iteratorINS7_INS6_11hip_rocprim26transform_input_iterator_tIbNSD_35transform_pair_of_input_iterators_tIbNS6_6detail15normal_iteratorINS6_10device_ptrIKxEEEESL_NS6_8equal_toIxEEEENSG_9not_fun_tINSD_8identityEEEEENSD_19counting_iterator_tIlEES8_S8_S8_S8_S8_S8_S8_S8_EEEEPS9_S9_NSD_9__find_if7functorIS9_EEEE10hipError_tPvRmT1_T2_T3_mT4_P12ihipStream_tbEUlT_E0_NS1_11comp_targetILNS1_3genE3ELNS1_11target_archE908ELNS1_3gpuE7ELNS1_3repE0EEENS1_30default_config_static_selectorELNS0_4arch9wavefront6targetE1EEEvS14_,"axG",@progbits,_ZN7rocprim17ROCPRIM_400000_NS6detail17trampoline_kernelINS0_14default_configENS1_22reduce_config_selectorIN6thrust23THRUST_200600_302600_NS5tupleIblNS6_9null_typeES8_S8_S8_S8_S8_S8_S8_EEEEZNS1_11reduce_implILb1ES3_NS6_12zip_iteratorINS7_INS6_11hip_rocprim26transform_input_iterator_tIbNSD_35transform_pair_of_input_iterators_tIbNS6_6detail15normal_iteratorINS6_10device_ptrIKxEEEESL_NS6_8equal_toIxEEEENSG_9not_fun_tINSD_8identityEEEEENSD_19counting_iterator_tIlEES8_S8_S8_S8_S8_S8_S8_S8_EEEEPS9_S9_NSD_9__find_if7functorIS9_EEEE10hipError_tPvRmT1_T2_T3_mT4_P12ihipStream_tbEUlT_E0_NS1_11comp_targetILNS1_3genE3ELNS1_11target_archE908ELNS1_3gpuE7ELNS1_3repE0EEENS1_30default_config_static_selectorELNS0_4arch9wavefront6targetE1EEEvS14_,comdat
.Lfunc_end69:
	.size	_ZN7rocprim17ROCPRIM_400000_NS6detail17trampoline_kernelINS0_14default_configENS1_22reduce_config_selectorIN6thrust23THRUST_200600_302600_NS5tupleIblNS6_9null_typeES8_S8_S8_S8_S8_S8_S8_EEEEZNS1_11reduce_implILb1ES3_NS6_12zip_iteratorINS7_INS6_11hip_rocprim26transform_input_iterator_tIbNSD_35transform_pair_of_input_iterators_tIbNS6_6detail15normal_iteratorINS6_10device_ptrIKxEEEESL_NS6_8equal_toIxEEEENSG_9not_fun_tINSD_8identityEEEEENSD_19counting_iterator_tIlEES8_S8_S8_S8_S8_S8_S8_S8_EEEEPS9_S9_NSD_9__find_if7functorIS9_EEEE10hipError_tPvRmT1_T2_T3_mT4_P12ihipStream_tbEUlT_E0_NS1_11comp_targetILNS1_3genE3ELNS1_11target_archE908ELNS1_3gpuE7ELNS1_3repE0EEENS1_30default_config_static_selectorELNS0_4arch9wavefront6targetE1EEEvS14_, .Lfunc_end69-_ZN7rocprim17ROCPRIM_400000_NS6detail17trampoline_kernelINS0_14default_configENS1_22reduce_config_selectorIN6thrust23THRUST_200600_302600_NS5tupleIblNS6_9null_typeES8_S8_S8_S8_S8_S8_S8_EEEEZNS1_11reduce_implILb1ES3_NS6_12zip_iteratorINS7_INS6_11hip_rocprim26transform_input_iterator_tIbNSD_35transform_pair_of_input_iterators_tIbNS6_6detail15normal_iteratorINS6_10device_ptrIKxEEEESL_NS6_8equal_toIxEEEENSG_9not_fun_tINSD_8identityEEEEENSD_19counting_iterator_tIlEES8_S8_S8_S8_S8_S8_S8_S8_EEEEPS9_S9_NSD_9__find_if7functorIS9_EEEE10hipError_tPvRmT1_T2_T3_mT4_P12ihipStream_tbEUlT_E0_NS1_11comp_targetILNS1_3genE3ELNS1_11target_archE908ELNS1_3gpuE7ELNS1_3repE0EEENS1_30default_config_static_selectorELNS0_4arch9wavefront6targetE1EEEvS14_
                                        ; -- End function
	.section	.AMDGPU.csdata,"",@progbits
; Kernel info:
; codeLenInByte = 0
; NumSgprs: 4
; NumVgprs: 0
; NumAgprs: 0
; TotalNumVgprs: 0
; ScratchSize: 0
; MemoryBound: 0
; FloatMode: 240
; IeeeMode: 1
; LDSByteSize: 0 bytes/workgroup (compile time only)
; SGPRBlocks: 0
; VGPRBlocks: 0
; NumSGPRsForWavesPerEU: 4
; NumVGPRsForWavesPerEU: 1
; AccumOffset: 4
; Occupancy: 8
; WaveLimiterHint : 0
; COMPUTE_PGM_RSRC2:SCRATCH_EN: 0
; COMPUTE_PGM_RSRC2:USER_SGPR: 6
; COMPUTE_PGM_RSRC2:TRAP_HANDLER: 0
; COMPUTE_PGM_RSRC2:TGID_X_EN: 1
; COMPUTE_PGM_RSRC2:TGID_Y_EN: 0
; COMPUTE_PGM_RSRC2:TGID_Z_EN: 0
; COMPUTE_PGM_RSRC2:TIDIG_COMP_CNT: 0
; COMPUTE_PGM_RSRC3_GFX90A:ACCUM_OFFSET: 0
; COMPUTE_PGM_RSRC3_GFX90A:TG_SPLIT: 0
	.section	.text._ZN7rocprim17ROCPRIM_400000_NS6detail17trampoline_kernelINS0_14default_configENS1_22reduce_config_selectorIN6thrust23THRUST_200600_302600_NS5tupleIblNS6_9null_typeES8_S8_S8_S8_S8_S8_S8_EEEEZNS1_11reduce_implILb1ES3_NS6_12zip_iteratorINS7_INS6_11hip_rocprim26transform_input_iterator_tIbNSD_35transform_pair_of_input_iterators_tIbNS6_6detail15normal_iteratorINS6_10device_ptrIKxEEEESL_NS6_8equal_toIxEEEENSG_9not_fun_tINSD_8identityEEEEENSD_19counting_iterator_tIlEES8_S8_S8_S8_S8_S8_S8_S8_EEEEPS9_S9_NSD_9__find_if7functorIS9_EEEE10hipError_tPvRmT1_T2_T3_mT4_P12ihipStream_tbEUlT_E0_NS1_11comp_targetILNS1_3genE2ELNS1_11target_archE906ELNS1_3gpuE6ELNS1_3repE0EEENS1_30default_config_static_selectorELNS0_4arch9wavefront6targetE1EEEvS14_,"axG",@progbits,_ZN7rocprim17ROCPRIM_400000_NS6detail17trampoline_kernelINS0_14default_configENS1_22reduce_config_selectorIN6thrust23THRUST_200600_302600_NS5tupleIblNS6_9null_typeES8_S8_S8_S8_S8_S8_S8_EEEEZNS1_11reduce_implILb1ES3_NS6_12zip_iteratorINS7_INS6_11hip_rocprim26transform_input_iterator_tIbNSD_35transform_pair_of_input_iterators_tIbNS6_6detail15normal_iteratorINS6_10device_ptrIKxEEEESL_NS6_8equal_toIxEEEENSG_9not_fun_tINSD_8identityEEEEENSD_19counting_iterator_tIlEES8_S8_S8_S8_S8_S8_S8_S8_EEEEPS9_S9_NSD_9__find_if7functorIS9_EEEE10hipError_tPvRmT1_T2_T3_mT4_P12ihipStream_tbEUlT_E0_NS1_11comp_targetILNS1_3genE2ELNS1_11target_archE906ELNS1_3gpuE6ELNS1_3repE0EEENS1_30default_config_static_selectorELNS0_4arch9wavefront6targetE1EEEvS14_,comdat
	.protected	_ZN7rocprim17ROCPRIM_400000_NS6detail17trampoline_kernelINS0_14default_configENS1_22reduce_config_selectorIN6thrust23THRUST_200600_302600_NS5tupleIblNS6_9null_typeES8_S8_S8_S8_S8_S8_S8_EEEEZNS1_11reduce_implILb1ES3_NS6_12zip_iteratorINS7_INS6_11hip_rocprim26transform_input_iterator_tIbNSD_35transform_pair_of_input_iterators_tIbNS6_6detail15normal_iteratorINS6_10device_ptrIKxEEEESL_NS6_8equal_toIxEEEENSG_9not_fun_tINSD_8identityEEEEENSD_19counting_iterator_tIlEES8_S8_S8_S8_S8_S8_S8_S8_EEEEPS9_S9_NSD_9__find_if7functorIS9_EEEE10hipError_tPvRmT1_T2_T3_mT4_P12ihipStream_tbEUlT_E0_NS1_11comp_targetILNS1_3genE2ELNS1_11target_archE906ELNS1_3gpuE6ELNS1_3repE0EEENS1_30default_config_static_selectorELNS0_4arch9wavefront6targetE1EEEvS14_ ; -- Begin function _ZN7rocprim17ROCPRIM_400000_NS6detail17trampoline_kernelINS0_14default_configENS1_22reduce_config_selectorIN6thrust23THRUST_200600_302600_NS5tupleIblNS6_9null_typeES8_S8_S8_S8_S8_S8_S8_EEEEZNS1_11reduce_implILb1ES3_NS6_12zip_iteratorINS7_INS6_11hip_rocprim26transform_input_iterator_tIbNSD_35transform_pair_of_input_iterators_tIbNS6_6detail15normal_iteratorINS6_10device_ptrIKxEEEESL_NS6_8equal_toIxEEEENSG_9not_fun_tINSD_8identityEEEEENSD_19counting_iterator_tIlEES8_S8_S8_S8_S8_S8_S8_S8_EEEEPS9_S9_NSD_9__find_if7functorIS9_EEEE10hipError_tPvRmT1_T2_T3_mT4_P12ihipStream_tbEUlT_E0_NS1_11comp_targetILNS1_3genE2ELNS1_11target_archE906ELNS1_3gpuE6ELNS1_3repE0EEENS1_30default_config_static_selectorELNS0_4arch9wavefront6targetE1EEEvS14_
	.globl	_ZN7rocprim17ROCPRIM_400000_NS6detail17trampoline_kernelINS0_14default_configENS1_22reduce_config_selectorIN6thrust23THRUST_200600_302600_NS5tupleIblNS6_9null_typeES8_S8_S8_S8_S8_S8_S8_EEEEZNS1_11reduce_implILb1ES3_NS6_12zip_iteratorINS7_INS6_11hip_rocprim26transform_input_iterator_tIbNSD_35transform_pair_of_input_iterators_tIbNS6_6detail15normal_iteratorINS6_10device_ptrIKxEEEESL_NS6_8equal_toIxEEEENSG_9not_fun_tINSD_8identityEEEEENSD_19counting_iterator_tIlEES8_S8_S8_S8_S8_S8_S8_S8_EEEEPS9_S9_NSD_9__find_if7functorIS9_EEEE10hipError_tPvRmT1_T2_T3_mT4_P12ihipStream_tbEUlT_E0_NS1_11comp_targetILNS1_3genE2ELNS1_11target_archE906ELNS1_3gpuE6ELNS1_3repE0EEENS1_30default_config_static_selectorELNS0_4arch9wavefront6targetE1EEEvS14_
	.p2align	8
	.type	_ZN7rocprim17ROCPRIM_400000_NS6detail17trampoline_kernelINS0_14default_configENS1_22reduce_config_selectorIN6thrust23THRUST_200600_302600_NS5tupleIblNS6_9null_typeES8_S8_S8_S8_S8_S8_S8_EEEEZNS1_11reduce_implILb1ES3_NS6_12zip_iteratorINS7_INS6_11hip_rocprim26transform_input_iterator_tIbNSD_35transform_pair_of_input_iterators_tIbNS6_6detail15normal_iteratorINS6_10device_ptrIKxEEEESL_NS6_8equal_toIxEEEENSG_9not_fun_tINSD_8identityEEEEENSD_19counting_iterator_tIlEES8_S8_S8_S8_S8_S8_S8_S8_EEEEPS9_S9_NSD_9__find_if7functorIS9_EEEE10hipError_tPvRmT1_T2_T3_mT4_P12ihipStream_tbEUlT_E0_NS1_11comp_targetILNS1_3genE2ELNS1_11target_archE906ELNS1_3gpuE6ELNS1_3repE0EEENS1_30default_config_static_selectorELNS0_4arch9wavefront6targetE1EEEvS14_,@function
_ZN7rocprim17ROCPRIM_400000_NS6detail17trampoline_kernelINS0_14default_configENS1_22reduce_config_selectorIN6thrust23THRUST_200600_302600_NS5tupleIblNS6_9null_typeES8_S8_S8_S8_S8_S8_S8_EEEEZNS1_11reduce_implILb1ES3_NS6_12zip_iteratorINS7_INS6_11hip_rocprim26transform_input_iterator_tIbNSD_35transform_pair_of_input_iterators_tIbNS6_6detail15normal_iteratorINS6_10device_ptrIKxEEEESL_NS6_8equal_toIxEEEENSG_9not_fun_tINSD_8identityEEEEENSD_19counting_iterator_tIlEES8_S8_S8_S8_S8_S8_S8_S8_EEEEPS9_S9_NSD_9__find_if7functorIS9_EEEE10hipError_tPvRmT1_T2_T3_mT4_P12ihipStream_tbEUlT_E0_NS1_11comp_targetILNS1_3genE2ELNS1_11target_archE906ELNS1_3gpuE6ELNS1_3repE0EEENS1_30default_config_static_selectorELNS0_4arch9wavefront6targetE1EEEvS14_: ; @_ZN7rocprim17ROCPRIM_400000_NS6detail17trampoline_kernelINS0_14default_configENS1_22reduce_config_selectorIN6thrust23THRUST_200600_302600_NS5tupleIblNS6_9null_typeES8_S8_S8_S8_S8_S8_S8_EEEEZNS1_11reduce_implILb1ES3_NS6_12zip_iteratorINS7_INS6_11hip_rocprim26transform_input_iterator_tIbNSD_35transform_pair_of_input_iterators_tIbNS6_6detail15normal_iteratorINS6_10device_ptrIKxEEEESL_NS6_8equal_toIxEEEENSG_9not_fun_tINSD_8identityEEEEENSD_19counting_iterator_tIlEES8_S8_S8_S8_S8_S8_S8_S8_EEEEPS9_S9_NSD_9__find_if7functorIS9_EEEE10hipError_tPvRmT1_T2_T3_mT4_P12ihipStream_tbEUlT_E0_NS1_11comp_targetILNS1_3genE2ELNS1_11target_archE906ELNS1_3gpuE6ELNS1_3repE0EEENS1_30default_config_static_selectorELNS0_4arch9wavefront6targetE1EEEvS14_
; %bb.0:
	.section	.rodata,"a",@progbits
	.p2align	6, 0x0
	.amdhsa_kernel _ZN7rocprim17ROCPRIM_400000_NS6detail17trampoline_kernelINS0_14default_configENS1_22reduce_config_selectorIN6thrust23THRUST_200600_302600_NS5tupleIblNS6_9null_typeES8_S8_S8_S8_S8_S8_S8_EEEEZNS1_11reduce_implILb1ES3_NS6_12zip_iteratorINS7_INS6_11hip_rocprim26transform_input_iterator_tIbNSD_35transform_pair_of_input_iterators_tIbNS6_6detail15normal_iteratorINS6_10device_ptrIKxEEEESL_NS6_8equal_toIxEEEENSG_9not_fun_tINSD_8identityEEEEENSD_19counting_iterator_tIlEES8_S8_S8_S8_S8_S8_S8_S8_EEEEPS9_S9_NSD_9__find_if7functorIS9_EEEE10hipError_tPvRmT1_T2_T3_mT4_P12ihipStream_tbEUlT_E0_NS1_11comp_targetILNS1_3genE2ELNS1_11target_archE906ELNS1_3gpuE6ELNS1_3repE0EEENS1_30default_config_static_selectorELNS0_4arch9wavefront6targetE1EEEvS14_
		.amdhsa_group_segment_fixed_size 0
		.amdhsa_private_segment_fixed_size 0
		.amdhsa_kernarg_size 104
		.amdhsa_user_sgpr_count 6
		.amdhsa_user_sgpr_private_segment_buffer 1
		.amdhsa_user_sgpr_dispatch_ptr 0
		.amdhsa_user_sgpr_queue_ptr 0
		.amdhsa_user_sgpr_kernarg_segment_ptr 1
		.amdhsa_user_sgpr_dispatch_id 0
		.amdhsa_user_sgpr_flat_scratch_init 0
		.amdhsa_user_sgpr_kernarg_preload_length 0
		.amdhsa_user_sgpr_kernarg_preload_offset 0
		.amdhsa_user_sgpr_private_segment_size 0
		.amdhsa_uses_dynamic_stack 0
		.amdhsa_system_sgpr_private_segment_wavefront_offset 0
		.amdhsa_system_sgpr_workgroup_id_x 1
		.amdhsa_system_sgpr_workgroup_id_y 0
		.amdhsa_system_sgpr_workgroup_id_z 0
		.amdhsa_system_sgpr_workgroup_info 0
		.amdhsa_system_vgpr_workitem_id 0
		.amdhsa_next_free_vgpr 1
		.amdhsa_next_free_sgpr 0
		.amdhsa_accum_offset 4
		.amdhsa_reserve_vcc 0
		.amdhsa_reserve_flat_scratch 0
		.amdhsa_float_round_mode_32 0
		.amdhsa_float_round_mode_16_64 0
		.amdhsa_float_denorm_mode_32 3
		.amdhsa_float_denorm_mode_16_64 3
		.amdhsa_dx10_clamp 1
		.amdhsa_ieee_mode 1
		.amdhsa_fp16_overflow 0
		.amdhsa_tg_split 0
		.amdhsa_exception_fp_ieee_invalid_op 0
		.amdhsa_exception_fp_denorm_src 0
		.amdhsa_exception_fp_ieee_div_zero 0
		.amdhsa_exception_fp_ieee_overflow 0
		.amdhsa_exception_fp_ieee_underflow 0
		.amdhsa_exception_fp_ieee_inexact 0
		.amdhsa_exception_int_div_zero 0
	.end_amdhsa_kernel
	.section	.text._ZN7rocprim17ROCPRIM_400000_NS6detail17trampoline_kernelINS0_14default_configENS1_22reduce_config_selectorIN6thrust23THRUST_200600_302600_NS5tupleIblNS6_9null_typeES8_S8_S8_S8_S8_S8_S8_EEEEZNS1_11reduce_implILb1ES3_NS6_12zip_iteratorINS7_INS6_11hip_rocprim26transform_input_iterator_tIbNSD_35transform_pair_of_input_iterators_tIbNS6_6detail15normal_iteratorINS6_10device_ptrIKxEEEESL_NS6_8equal_toIxEEEENSG_9not_fun_tINSD_8identityEEEEENSD_19counting_iterator_tIlEES8_S8_S8_S8_S8_S8_S8_S8_EEEEPS9_S9_NSD_9__find_if7functorIS9_EEEE10hipError_tPvRmT1_T2_T3_mT4_P12ihipStream_tbEUlT_E0_NS1_11comp_targetILNS1_3genE2ELNS1_11target_archE906ELNS1_3gpuE6ELNS1_3repE0EEENS1_30default_config_static_selectorELNS0_4arch9wavefront6targetE1EEEvS14_,"axG",@progbits,_ZN7rocprim17ROCPRIM_400000_NS6detail17trampoline_kernelINS0_14default_configENS1_22reduce_config_selectorIN6thrust23THRUST_200600_302600_NS5tupleIblNS6_9null_typeES8_S8_S8_S8_S8_S8_S8_EEEEZNS1_11reduce_implILb1ES3_NS6_12zip_iteratorINS7_INS6_11hip_rocprim26transform_input_iterator_tIbNSD_35transform_pair_of_input_iterators_tIbNS6_6detail15normal_iteratorINS6_10device_ptrIKxEEEESL_NS6_8equal_toIxEEEENSG_9not_fun_tINSD_8identityEEEEENSD_19counting_iterator_tIlEES8_S8_S8_S8_S8_S8_S8_S8_EEEEPS9_S9_NSD_9__find_if7functorIS9_EEEE10hipError_tPvRmT1_T2_T3_mT4_P12ihipStream_tbEUlT_E0_NS1_11comp_targetILNS1_3genE2ELNS1_11target_archE906ELNS1_3gpuE6ELNS1_3repE0EEENS1_30default_config_static_selectorELNS0_4arch9wavefront6targetE1EEEvS14_,comdat
.Lfunc_end70:
	.size	_ZN7rocprim17ROCPRIM_400000_NS6detail17trampoline_kernelINS0_14default_configENS1_22reduce_config_selectorIN6thrust23THRUST_200600_302600_NS5tupleIblNS6_9null_typeES8_S8_S8_S8_S8_S8_S8_EEEEZNS1_11reduce_implILb1ES3_NS6_12zip_iteratorINS7_INS6_11hip_rocprim26transform_input_iterator_tIbNSD_35transform_pair_of_input_iterators_tIbNS6_6detail15normal_iteratorINS6_10device_ptrIKxEEEESL_NS6_8equal_toIxEEEENSG_9not_fun_tINSD_8identityEEEEENSD_19counting_iterator_tIlEES8_S8_S8_S8_S8_S8_S8_S8_EEEEPS9_S9_NSD_9__find_if7functorIS9_EEEE10hipError_tPvRmT1_T2_T3_mT4_P12ihipStream_tbEUlT_E0_NS1_11comp_targetILNS1_3genE2ELNS1_11target_archE906ELNS1_3gpuE6ELNS1_3repE0EEENS1_30default_config_static_selectorELNS0_4arch9wavefront6targetE1EEEvS14_, .Lfunc_end70-_ZN7rocprim17ROCPRIM_400000_NS6detail17trampoline_kernelINS0_14default_configENS1_22reduce_config_selectorIN6thrust23THRUST_200600_302600_NS5tupleIblNS6_9null_typeES8_S8_S8_S8_S8_S8_S8_EEEEZNS1_11reduce_implILb1ES3_NS6_12zip_iteratorINS7_INS6_11hip_rocprim26transform_input_iterator_tIbNSD_35transform_pair_of_input_iterators_tIbNS6_6detail15normal_iteratorINS6_10device_ptrIKxEEEESL_NS6_8equal_toIxEEEENSG_9not_fun_tINSD_8identityEEEEENSD_19counting_iterator_tIlEES8_S8_S8_S8_S8_S8_S8_S8_EEEEPS9_S9_NSD_9__find_if7functorIS9_EEEE10hipError_tPvRmT1_T2_T3_mT4_P12ihipStream_tbEUlT_E0_NS1_11comp_targetILNS1_3genE2ELNS1_11target_archE906ELNS1_3gpuE6ELNS1_3repE0EEENS1_30default_config_static_selectorELNS0_4arch9wavefront6targetE1EEEvS14_
                                        ; -- End function
	.section	.AMDGPU.csdata,"",@progbits
; Kernel info:
; codeLenInByte = 0
; NumSgprs: 4
; NumVgprs: 0
; NumAgprs: 0
; TotalNumVgprs: 0
; ScratchSize: 0
; MemoryBound: 0
; FloatMode: 240
; IeeeMode: 1
; LDSByteSize: 0 bytes/workgroup (compile time only)
; SGPRBlocks: 0
; VGPRBlocks: 0
; NumSGPRsForWavesPerEU: 4
; NumVGPRsForWavesPerEU: 1
; AccumOffset: 4
; Occupancy: 8
; WaveLimiterHint : 0
; COMPUTE_PGM_RSRC2:SCRATCH_EN: 0
; COMPUTE_PGM_RSRC2:USER_SGPR: 6
; COMPUTE_PGM_RSRC2:TRAP_HANDLER: 0
; COMPUTE_PGM_RSRC2:TGID_X_EN: 1
; COMPUTE_PGM_RSRC2:TGID_Y_EN: 0
; COMPUTE_PGM_RSRC2:TGID_Z_EN: 0
; COMPUTE_PGM_RSRC2:TIDIG_COMP_CNT: 0
; COMPUTE_PGM_RSRC3_GFX90A:ACCUM_OFFSET: 0
; COMPUTE_PGM_RSRC3_GFX90A:TG_SPLIT: 0
	.section	.text._ZN7rocprim17ROCPRIM_400000_NS6detail17trampoline_kernelINS0_14default_configENS1_22reduce_config_selectorIN6thrust23THRUST_200600_302600_NS5tupleIblNS6_9null_typeES8_S8_S8_S8_S8_S8_S8_EEEEZNS1_11reduce_implILb1ES3_NS6_12zip_iteratorINS7_INS6_11hip_rocprim26transform_input_iterator_tIbNSD_35transform_pair_of_input_iterators_tIbNS6_6detail15normal_iteratorINS6_10device_ptrIKxEEEESL_NS6_8equal_toIxEEEENSG_9not_fun_tINSD_8identityEEEEENSD_19counting_iterator_tIlEES8_S8_S8_S8_S8_S8_S8_S8_EEEEPS9_S9_NSD_9__find_if7functorIS9_EEEE10hipError_tPvRmT1_T2_T3_mT4_P12ihipStream_tbEUlT_E0_NS1_11comp_targetILNS1_3genE10ELNS1_11target_archE1201ELNS1_3gpuE5ELNS1_3repE0EEENS1_30default_config_static_selectorELNS0_4arch9wavefront6targetE1EEEvS14_,"axG",@progbits,_ZN7rocprim17ROCPRIM_400000_NS6detail17trampoline_kernelINS0_14default_configENS1_22reduce_config_selectorIN6thrust23THRUST_200600_302600_NS5tupleIblNS6_9null_typeES8_S8_S8_S8_S8_S8_S8_EEEEZNS1_11reduce_implILb1ES3_NS6_12zip_iteratorINS7_INS6_11hip_rocprim26transform_input_iterator_tIbNSD_35transform_pair_of_input_iterators_tIbNS6_6detail15normal_iteratorINS6_10device_ptrIKxEEEESL_NS6_8equal_toIxEEEENSG_9not_fun_tINSD_8identityEEEEENSD_19counting_iterator_tIlEES8_S8_S8_S8_S8_S8_S8_S8_EEEEPS9_S9_NSD_9__find_if7functorIS9_EEEE10hipError_tPvRmT1_T2_T3_mT4_P12ihipStream_tbEUlT_E0_NS1_11comp_targetILNS1_3genE10ELNS1_11target_archE1201ELNS1_3gpuE5ELNS1_3repE0EEENS1_30default_config_static_selectorELNS0_4arch9wavefront6targetE1EEEvS14_,comdat
	.protected	_ZN7rocprim17ROCPRIM_400000_NS6detail17trampoline_kernelINS0_14default_configENS1_22reduce_config_selectorIN6thrust23THRUST_200600_302600_NS5tupleIblNS6_9null_typeES8_S8_S8_S8_S8_S8_S8_EEEEZNS1_11reduce_implILb1ES3_NS6_12zip_iteratorINS7_INS6_11hip_rocprim26transform_input_iterator_tIbNSD_35transform_pair_of_input_iterators_tIbNS6_6detail15normal_iteratorINS6_10device_ptrIKxEEEESL_NS6_8equal_toIxEEEENSG_9not_fun_tINSD_8identityEEEEENSD_19counting_iterator_tIlEES8_S8_S8_S8_S8_S8_S8_S8_EEEEPS9_S9_NSD_9__find_if7functorIS9_EEEE10hipError_tPvRmT1_T2_T3_mT4_P12ihipStream_tbEUlT_E0_NS1_11comp_targetILNS1_3genE10ELNS1_11target_archE1201ELNS1_3gpuE5ELNS1_3repE0EEENS1_30default_config_static_selectorELNS0_4arch9wavefront6targetE1EEEvS14_ ; -- Begin function _ZN7rocprim17ROCPRIM_400000_NS6detail17trampoline_kernelINS0_14default_configENS1_22reduce_config_selectorIN6thrust23THRUST_200600_302600_NS5tupleIblNS6_9null_typeES8_S8_S8_S8_S8_S8_S8_EEEEZNS1_11reduce_implILb1ES3_NS6_12zip_iteratorINS7_INS6_11hip_rocprim26transform_input_iterator_tIbNSD_35transform_pair_of_input_iterators_tIbNS6_6detail15normal_iteratorINS6_10device_ptrIKxEEEESL_NS6_8equal_toIxEEEENSG_9not_fun_tINSD_8identityEEEEENSD_19counting_iterator_tIlEES8_S8_S8_S8_S8_S8_S8_S8_EEEEPS9_S9_NSD_9__find_if7functorIS9_EEEE10hipError_tPvRmT1_T2_T3_mT4_P12ihipStream_tbEUlT_E0_NS1_11comp_targetILNS1_3genE10ELNS1_11target_archE1201ELNS1_3gpuE5ELNS1_3repE0EEENS1_30default_config_static_selectorELNS0_4arch9wavefront6targetE1EEEvS14_
	.globl	_ZN7rocprim17ROCPRIM_400000_NS6detail17trampoline_kernelINS0_14default_configENS1_22reduce_config_selectorIN6thrust23THRUST_200600_302600_NS5tupleIblNS6_9null_typeES8_S8_S8_S8_S8_S8_S8_EEEEZNS1_11reduce_implILb1ES3_NS6_12zip_iteratorINS7_INS6_11hip_rocprim26transform_input_iterator_tIbNSD_35transform_pair_of_input_iterators_tIbNS6_6detail15normal_iteratorINS6_10device_ptrIKxEEEESL_NS6_8equal_toIxEEEENSG_9not_fun_tINSD_8identityEEEEENSD_19counting_iterator_tIlEES8_S8_S8_S8_S8_S8_S8_S8_EEEEPS9_S9_NSD_9__find_if7functorIS9_EEEE10hipError_tPvRmT1_T2_T3_mT4_P12ihipStream_tbEUlT_E0_NS1_11comp_targetILNS1_3genE10ELNS1_11target_archE1201ELNS1_3gpuE5ELNS1_3repE0EEENS1_30default_config_static_selectorELNS0_4arch9wavefront6targetE1EEEvS14_
	.p2align	8
	.type	_ZN7rocprim17ROCPRIM_400000_NS6detail17trampoline_kernelINS0_14default_configENS1_22reduce_config_selectorIN6thrust23THRUST_200600_302600_NS5tupleIblNS6_9null_typeES8_S8_S8_S8_S8_S8_S8_EEEEZNS1_11reduce_implILb1ES3_NS6_12zip_iteratorINS7_INS6_11hip_rocprim26transform_input_iterator_tIbNSD_35transform_pair_of_input_iterators_tIbNS6_6detail15normal_iteratorINS6_10device_ptrIKxEEEESL_NS6_8equal_toIxEEEENSG_9not_fun_tINSD_8identityEEEEENSD_19counting_iterator_tIlEES8_S8_S8_S8_S8_S8_S8_S8_EEEEPS9_S9_NSD_9__find_if7functorIS9_EEEE10hipError_tPvRmT1_T2_T3_mT4_P12ihipStream_tbEUlT_E0_NS1_11comp_targetILNS1_3genE10ELNS1_11target_archE1201ELNS1_3gpuE5ELNS1_3repE0EEENS1_30default_config_static_selectorELNS0_4arch9wavefront6targetE1EEEvS14_,@function
_ZN7rocprim17ROCPRIM_400000_NS6detail17trampoline_kernelINS0_14default_configENS1_22reduce_config_selectorIN6thrust23THRUST_200600_302600_NS5tupleIblNS6_9null_typeES8_S8_S8_S8_S8_S8_S8_EEEEZNS1_11reduce_implILb1ES3_NS6_12zip_iteratorINS7_INS6_11hip_rocprim26transform_input_iterator_tIbNSD_35transform_pair_of_input_iterators_tIbNS6_6detail15normal_iteratorINS6_10device_ptrIKxEEEESL_NS6_8equal_toIxEEEENSG_9not_fun_tINSD_8identityEEEEENSD_19counting_iterator_tIlEES8_S8_S8_S8_S8_S8_S8_S8_EEEEPS9_S9_NSD_9__find_if7functorIS9_EEEE10hipError_tPvRmT1_T2_T3_mT4_P12ihipStream_tbEUlT_E0_NS1_11comp_targetILNS1_3genE10ELNS1_11target_archE1201ELNS1_3gpuE5ELNS1_3repE0EEENS1_30default_config_static_selectorELNS0_4arch9wavefront6targetE1EEEvS14_: ; @_ZN7rocprim17ROCPRIM_400000_NS6detail17trampoline_kernelINS0_14default_configENS1_22reduce_config_selectorIN6thrust23THRUST_200600_302600_NS5tupleIblNS6_9null_typeES8_S8_S8_S8_S8_S8_S8_EEEEZNS1_11reduce_implILb1ES3_NS6_12zip_iteratorINS7_INS6_11hip_rocprim26transform_input_iterator_tIbNSD_35transform_pair_of_input_iterators_tIbNS6_6detail15normal_iteratorINS6_10device_ptrIKxEEEESL_NS6_8equal_toIxEEEENSG_9not_fun_tINSD_8identityEEEEENSD_19counting_iterator_tIlEES8_S8_S8_S8_S8_S8_S8_S8_EEEEPS9_S9_NSD_9__find_if7functorIS9_EEEE10hipError_tPvRmT1_T2_T3_mT4_P12ihipStream_tbEUlT_E0_NS1_11comp_targetILNS1_3genE10ELNS1_11target_archE1201ELNS1_3gpuE5ELNS1_3repE0EEENS1_30default_config_static_selectorELNS0_4arch9wavefront6targetE1EEEvS14_
; %bb.0:
	.section	.rodata,"a",@progbits
	.p2align	6, 0x0
	.amdhsa_kernel _ZN7rocprim17ROCPRIM_400000_NS6detail17trampoline_kernelINS0_14default_configENS1_22reduce_config_selectorIN6thrust23THRUST_200600_302600_NS5tupleIblNS6_9null_typeES8_S8_S8_S8_S8_S8_S8_EEEEZNS1_11reduce_implILb1ES3_NS6_12zip_iteratorINS7_INS6_11hip_rocprim26transform_input_iterator_tIbNSD_35transform_pair_of_input_iterators_tIbNS6_6detail15normal_iteratorINS6_10device_ptrIKxEEEESL_NS6_8equal_toIxEEEENSG_9not_fun_tINSD_8identityEEEEENSD_19counting_iterator_tIlEES8_S8_S8_S8_S8_S8_S8_S8_EEEEPS9_S9_NSD_9__find_if7functorIS9_EEEE10hipError_tPvRmT1_T2_T3_mT4_P12ihipStream_tbEUlT_E0_NS1_11comp_targetILNS1_3genE10ELNS1_11target_archE1201ELNS1_3gpuE5ELNS1_3repE0EEENS1_30default_config_static_selectorELNS0_4arch9wavefront6targetE1EEEvS14_
		.amdhsa_group_segment_fixed_size 0
		.amdhsa_private_segment_fixed_size 0
		.amdhsa_kernarg_size 104
		.amdhsa_user_sgpr_count 6
		.amdhsa_user_sgpr_private_segment_buffer 1
		.amdhsa_user_sgpr_dispatch_ptr 0
		.amdhsa_user_sgpr_queue_ptr 0
		.amdhsa_user_sgpr_kernarg_segment_ptr 1
		.amdhsa_user_sgpr_dispatch_id 0
		.amdhsa_user_sgpr_flat_scratch_init 0
		.amdhsa_user_sgpr_kernarg_preload_length 0
		.amdhsa_user_sgpr_kernarg_preload_offset 0
		.amdhsa_user_sgpr_private_segment_size 0
		.amdhsa_uses_dynamic_stack 0
		.amdhsa_system_sgpr_private_segment_wavefront_offset 0
		.amdhsa_system_sgpr_workgroup_id_x 1
		.amdhsa_system_sgpr_workgroup_id_y 0
		.amdhsa_system_sgpr_workgroup_id_z 0
		.amdhsa_system_sgpr_workgroup_info 0
		.amdhsa_system_vgpr_workitem_id 0
		.amdhsa_next_free_vgpr 1
		.amdhsa_next_free_sgpr 0
		.amdhsa_accum_offset 4
		.amdhsa_reserve_vcc 0
		.amdhsa_reserve_flat_scratch 0
		.amdhsa_float_round_mode_32 0
		.amdhsa_float_round_mode_16_64 0
		.amdhsa_float_denorm_mode_32 3
		.amdhsa_float_denorm_mode_16_64 3
		.amdhsa_dx10_clamp 1
		.amdhsa_ieee_mode 1
		.amdhsa_fp16_overflow 0
		.amdhsa_tg_split 0
		.amdhsa_exception_fp_ieee_invalid_op 0
		.amdhsa_exception_fp_denorm_src 0
		.amdhsa_exception_fp_ieee_div_zero 0
		.amdhsa_exception_fp_ieee_overflow 0
		.amdhsa_exception_fp_ieee_underflow 0
		.amdhsa_exception_fp_ieee_inexact 0
		.amdhsa_exception_int_div_zero 0
	.end_amdhsa_kernel
	.section	.text._ZN7rocprim17ROCPRIM_400000_NS6detail17trampoline_kernelINS0_14default_configENS1_22reduce_config_selectorIN6thrust23THRUST_200600_302600_NS5tupleIblNS6_9null_typeES8_S8_S8_S8_S8_S8_S8_EEEEZNS1_11reduce_implILb1ES3_NS6_12zip_iteratorINS7_INS6_11hip_rocprim26transform_input_iterator_tIbNSD_35transform_pair_of_input_iterators_tIbNS6_6detail15normal_iteratorINS6_10device_ptrIKxEEEESL_NS6_8equal_toIxEEEENSG_9not_fun_tINSD_8identityEEEEENSD_19counting_iterator_tIlEES8_S8_S8_S8_S8_S8_S8_S8_EEEEPS9_S9_NSD_9__find_if7functorIS9_EEEE10hipError_tPvRmT1_T2_T3_mT4_P12ihipStream_tbEUlT_E0_NS1_11comp_targetILNS1_3genE10ELNS1_11target_archE1201ELNS1_3gpuE5ELNS1_3repE0EEENS1_30default_config_static_selectorELNS0_4arch9wavefront6targetE1EEEvS14_,"axG",@progbits,_ZN7rocprim17ROCPRIM_400000_NS6detail17trampoline_kernelINS0_14default_configENS1_22reduce_config_selectorIN6thrust23THRUST_200600_302600_NS5tupleIblNS6_9null_typeES8_S8_S8_S8_S8_S8_S8_EEEEZNS1_11reduce_implILb1ES3_NS6_12zip_iteratorINS7_INS6_11hip_rocprim26transform_input_iterator_tIbNSD_35transform_pair_of_input_iterators_tIbNS6_6detail15normal_iteratorINS6_10device_ptrIKxEEEESL_NS6_8equal_toIxEEEENSG_9not_fun_tINSD_8identityEEEEENSD_19counting_iterator_tIlEES8_S8_S8_S8_S8_S8_S8_S8_EEEEPS9_S9_NSD_9__find_if7functorIS9_EEEE10hipError_tPvRmT1_T2_T3_mT4_P12ihipStream_tbEUlT_E0_NS1_11comp_targetILNS1_3genE10ELNS1_11target_archE1201ELNS1_3gpuE5ELNS1_3repE0EEENS1_30default_config_static_selectorELNS0_4arch9wavefront6targetE1EEEvS14_,comdat
.Lfunc_end71:
	.size	_ZN7rocprim17ROCPRIM_400000_NS6detail17trampoline_kernelINS0_14default_configENS1_22reduce_config_selectorIN6thrust23THRUST_200600_302600_NS5tupleIblNS6_9null_typeES8_S8_S8_S8_S8_S8_S8_EEEEZNS1_11reduce_implILb1ES3_NS6_12zip_iteratorINS7_INS6_11hip_rocprim26transform_input_iterator_tIbNSD_35transform_pair_of_input_iterators_tIbNS6_6detail15normal_iteratorINS6_10device_ptrIKxEEEESL_NS6_8equal_toIxEEEENSG_9not_fun_tINSD_8identityEEEEENSD_19counting_iterator_tIlEES8_S8_S8_S8_S8_S8_S8_S8_EEEEPS9_S9_NSD_9__find_if7functorIS9_EEEE10hipError_tPvRmT1_T2_T3_mT4_P12ihipStream_tbEUlT_E0_NS1_11comp_targetILNS1_3genE10ELNS1_11target_archE1201ELNS1_3gpuE5ELNS1_3repE0EEENS1_30default_config_static_selectorELNS0_4arch9wavefront6targetE1EEEvS14_, .Lfunc_end71-_ZN7rocprim17ROCPRIM_400000_NS6detail17trampoline_kernelINS0_14default_configENS1_22reduce_config_selectorIN6thrust23THRUST_200600_302600_NS5tupleIblNS6_9null_typeES8_S8_S8_S8_S8_S8_S8_EEEEZNS1_11reduce_implILb1ES3_NS6_12zip_iteratorINS7_INS6_11hip_rocprim26transform_input_iterator_tIbNSD_35transform_pair_of_input_iterators_tIbNS6_6detail15normal_iteratorINS6_10device_ptrIKxEEEESL_NS6_8equal_toIxEEEENSG_9not_fun_tINSD_8identityEEEEENSD_19counting_iterator_tIlEES8_S8_S8_S8_S8_S8_S8_S8_EEEEPS9_S9_NSD_9__find_if7functorIS9_EEEE10hipError_tPvRmT1_T2_T3_mT4_P12ihipStream_tbEUlT_E0_NS1_11comp_targetILNS1_3genE10ELNS1_11target_archE1201ELNS1_3gpuE5ELNS1_3repE0EEENS1_30default_config_static_selectorELNS0_4arch9wavefront6targetE1EEEvS14_
                                        ; -- End function
	.section	.AMDGPU.csdata,"",@progbits
; Kernel info:
; codeLenInByte = 0
; NumSgprs: 4
; NumVgprs: 0
; NumAgprs: 0
; TotalNumVgprs: 0
; ScratchSize: 0
; MemoryBound: 0
; FloatMode: 240
; IeeeMode: 1
; LDSByteSize: 0 bytes/workgroup (compile time only)
; SGPRBlocks: 0
; VGPRBlocks: 0
; NumSGPRsForWavesPerEU: 4
; NumVGPRsForWavesPerEU: 1
; AccumOffset: 4
; Occupancy: 8
; WaveLimiterHint : 0
; COMPUTE_PGM_RSRC2:SCRATCH_EN: 0
; COMPUTE_PGM_RSRC2:USER_SGPR: 6
; COMPUTE_PGM_RSRC2:TRAP_HANDLER: 0
; COMPUTE_PGM_RSRC2:TGID_X_EN: 1
; COMPUTE_PGM_RSRC2:TGID_Y_EN: 0
; COMPUTE_PGM_RSRC2:TGID_Z_EN: 0
; COMPUTE_PGM_RSRC2:TIDIG_COMP_CNT: 0
; COMPUTE_PGM_RSRC3_GFX90A:ACCUM_OFFSET: 0
; COMPUTE_PGM_RSRC3_GFX90A:TG_SPLIT: 0
	.section	.text._ZN7rocprim17ROCPRIM_400000_NS6detail17trampoline_kernelINS0_14default_configENS1_22reduce_config_selectorIN6thrust23THRUST_200600_302600_NS5tupleIblNS6_9null_typeES8_S8_S8_S8_S8_S8_S8_EEEEZNS1_11reduce_implILb1ES3_NS6_12zip_iteratorINS7_INS6_11hip_rocprim26transform_input_iterator_tIbNSD_35transform_pair_of_input_iterators_tIbNS6_6detail15normal_iteratorINS6_10device_ptrIKxEEEESL_NS6_8equal_toIxEEEENSG_9not_fun_tINSD_8identityEEEEENSD_19counting_iterator_tIlEES8_S8_S8_S8_S8_S8_S8_S8_EEEEPS9_S9_NSD_9__find_if7functorIS9_EEEE10hipError_tPvRmT1_T2_T3_mT4_P12ihipStream_tbEUlT_E0_NS1_11comp_targetILNS1_3genE10ELNS1_11target_archE1200ELNS1_3gpuE4ELNS1_3repE0EEENS1_30default_config_static_selectorELNS0_4arch9wavefront6targetE1EEEvS14_,"axG",@progbits,_ZN7rocprim17ROCPRIM_400000_NS6detail17trampoline_kernelINS0_14default_configENS1_22reduce_config_selectorIN6thrust23THRUST_200600_302600_NS5tupleIblNS6_9null_typeES8_S8_S8_S8_S8_S8_S8_EEEEZNS1_11reduce_implILb1ES3_NS6_12zip_iteratorINS7_INS6_11hip_rocprim26transform_input_iterator_tIbNSD_35transform_pair_of_input_iterators_tIbNS6_6detail15normal_iteratorINS6_10device_ptrIKxEEEESL_NS6_8equal_toIxEEEENSG_9not_fun_tINSD_8identityEEEEENSD_19counting_iterator_tIlEES8_S8_S8_S8_S8_S8_S8_S8_EEEEPS9_S9_NSD_9__find_if7functorIS9_EEEE10hipError_tPvRmT1_T2_T3_mT4_P12ihipStream_tbEUlT_E0_NS1_11comp_targetILNS1_3genE10ELNS1_11target_archE1200ELNS1_3gpuE4ELNS1_3repE0EEENS1_30default_config_static_selectorELNS0_4arch9wavefront6targetE1EEEvS14_,comdat
	.protected	_ZN7rocprim17ROCPRIM_400000_NS6detail17trampoline_kernelINS0_14default_configENS1_22reduce_config_selectorIN6thrust23THRUST_200600_302600_NS5tupleIblNS6_9null_typeES8_S8_S8_S8_S8_S8_S8_EEEEZNS1_11reduce_implILb1ES3_NS6_12zip_iteratorINS7_INS6_11hip_rocprim26transform_input_iterator_tIbNSD_35transform_pair_of_input_iterators_tIbNS6_6detail15normal_iteratorINS6_10device_ptrIKxEEEESL_NS6_8equal_toIxEEEENSG_9not_fun_tINSD_8identityEEEEENSD_19counting_iterator_tIlEES8_S8_S8_S8_S8_S8_S8_S8_EEEEPS9_S9_NSD_9__find_if7functorIS9_EEEE10hipError_tPvRmT1_T2_T3_mT4_P12ihipStream_tbEUlT_E0_NS1_11comp_targetILNS1_3genE10ELNS1_11target_archE1200ELNS1_3gpuE4ELNS1_3repE0EEENS1_30default_config_static_selectorELNS0_4arch9wavefront6targetE1EEEvS14_ ; -- Begin function _ZN7rocprim17ROCPRIM_400000_NS6detail17trampoline_kernelINS0_14default_configENS1_22reduce_config_selectorIN6thrust23THRUST_200600_302600_NS5tupleIblNS6_9null_typeES8_S8_S8_S8_S8_S8_S8_EEEEZNS1_11reduce_implILb1ES3_NS6_12zip_iteratorINS7_INS6_11hip_rocprim26transform_input_iterator_tIbNSD_35transform_pair_of_input_iterators_tIbNS6_6detail15normal_iteratorINS6_10device_ptrIKxEEEESL_NS6_8equal_toIxEEEENSG_9not_fun_tINSD_8identityEEEEENSD_19counting_iterator_tIlEES8_S8_S8_S8_S8_S8_S8_S8_EEEEPS9_S9_NSD_9__find_if7functorIS9_EEEE10hipError_tPvRmT1_T2_T3_mT4_P12ihipStream_tbEUlT_E0_NS1_11comp_targetILNS1_3genE10ELNS1_11target_archE1200ELNS1_3gpuE4ELNS1_3repE0EEENS1_30default_config_static_selectorELNS0_4arch9wavefront6targetE1EEEvS14_
	.globl	_ZN7rocprim17ROCPRIM_400000_NS6detail17trampoline_kernelINS0_14default_configENS1_22reduce_config_selectorIN6thrust23THRUST_200600_302600_NS5tupleIblNS6_9null_typeES8_S8_S8_S8_S8_S8_S8_EEEEZNS1_11reduce_implILb1ES3_NS6_12zip_iteratorINS7_INS6_11hip_rocprim26transform_input_iterator_tIbNSD_35transform_pair_of_input_iterators_tIbNS6_6detail15normal_iteratorINS6_10device_ptrIKxEEEESL_NS6_8equal_toIxEEEENSG_9not_fun_tINSD_8identityEEEEENSD_19counting_iterator_tIlEES8_S8_S8_S8_S8_S8_S8_S8_EEEEPS9_S9_NSD_9__find_if7functorIS9_EEEE10hipError_tPvRmT1_T2_T3_mT4_P12ihipStream_tbEUlT_E0_NS1_11comp_targetILNS1_3genE10ELNS1_11target_archE1200ELNS1_3gpuE4ELNS1_3repE0EEENS1_30default_config_static_selectorELNS0_4arch9wavefront6targetE1EEEvS14_
	.p2align	8
	.type	_ZN7rocprim17ROCPRIM_400000_NS6detail17trampoline_kernelINS0_14default_configENS1_22reduce_config_selectorIN6thrust23THRUST_200600_302600_NS5tupleIblNS6_9null_typeES8_S8_S8_S8_S8_S8_S8_EEEEZNS1_11reduce_implILb1ES3_NS6_12zip_iteratorINS7_INS6_11hip_rocprim26transform_input_iterator_tIbNSD_35transform_pair_of_input_iterators_tIbNS6_6detail15normal_iteratorINS6_10device_ptrIKxEEEESL_NS6_8equal_toIxEEEENSG_9not_fun_tINSD_8identityEEEEENSD_19counting_iterator_tIlEES8_S8_S8_S8_S8_S8_S8_S8_EEEEPS9_S9_NSD_9__find_if7functorIS9_EEEE10hipError_tPvRmT1_T2_T3_mT4_P12ihipStream_tbEUlT_E0_NS1_11comp_targetILNS1_3genE10ELNS1_11target_archE1200ELNS1_3gpuE4ELNS1_3repE0EEENS1_30default_config_static_selectorELNS0_4arch9wavefront6targetE1EEEvS14_,@function
_ZN7rocprim17ROCPRIM_400000_NS6detail17trampoline_kernelINS0_14default_configENS1_22reduce_config_selectorIN6thrust23THRUST_200600_302600_NS5tupleIblNS6_9null_typeES8_S8_S8_S8_S8_S8_S8_EEEEZNS1_11reduce_implILb1ES3_NS6_12zip_iteratorINS7_INS6_11hip_rocprim26transform_input_iterator_tIbNSD_35transform_pair_of_input_iterators_tIbNS6_6detail15normal_iteratorINS6_10device_ptrIKxEEEESL_NS6_8equal_toIxEEEENSG_9not_fun_tINSD_8identityEEEEENSD_19counting_iterator_tIlEES8_S8_S8_S8_S8_S8_S8_S8_EEEEPS9_S9_NSD_9__find_if7functorIS9_EEEE10hipError_tPvRmT1_T2_T3_mT4_P12ihipStream_tbEUlT_E0_NS1_11comp_targetILNS1_3genE10ELNS1_11target_archE1200ELNS1_3gpuE4ELNS1_3repE0EEENS1_30default_config_static_selectorELNS0_4arch9wavefront6targetE1EEEvS14_: ; @_ZN7rocprim17ROCPRIM_400000_NS6detail17trampoline_kernelINS0_14default_configENS1_22reduce_config_selectorIN6thrust23THRUST_200600_302600_NS5tupleIblNS6_9null_typeES8_S8_S8_S8_S8_S8_S8_EEEEZNS1_11reduce_implILb1ES3_NS6_12zip_iteratorINS7_INS6_11hip_rocprim26transform_input_iterator_tIbNSD_35transform_pair_of_input_iterators_tIbNS6_6detail15normal_iteratorINS6_10device_ptrIKxEEEESL_NS6_8equal_toIxEEEENSG_9not_fun_tINSD_8identityEEEEENSD_19counting_iterator_tIlEES8_S8_S8_S8_S8_S8_S8_S8_EEEEPS9_S9_NSD_9__find_if7functorIS9_EEEE10hipError_tPvRmT1_T2_T3_mT4_P12ihipStream_tbEUlT_E0_NS1_11comp_targetILNS1_3genE10ELNS1_11target_archE1200ELNS1_3gpuE4ELNS1_3repE0EEENS1_30default_config_static_selectorELNS0_4arch9wavefront6targetE1EEEvS14_
; %bb.0:
	.section	.rodata,"a",@progbits
	.p2align	6, 0x0
	.amdhsa_kernel _ZN7rocprim17ROCPRIM_400000_NS6detail17trampoline_kernelINS0_14default_configENS1_22reduce_config_selectorIN6thrust23THRUST_200600_302600_NS5tupleIblNS6_9null_typeES8_S8_S8_S8_S8_S8_S8_EEEEZNS1_11reduce_implILb1ES3_NS6_12zip_iteratorINS7_INS6_11hip_rocprim26transform_input_iterator_tIbNSD_35transform_pair_of_input_iterators_tIbNS6_6detail15normal_iteratorINS6_10device_ptrIKxEEEESL_NS6_8equal_toIxEEEENSG_9not_fun_tINSD_8identityEEEEENSD_19counting_iterator_tIlEES8_S8_S8_S8_S8_S8_S8_S8_EEEEPS9_S9_NSD_9__find_if7functorIS9_EEEE10hipError_tPvRmT1_T2_T3_mT4_P12ihipStream_tbEUlT_E0_NS1_11comp_targetILNS1_3genE10ELNS1_11target_archE1200ELNS1_3gpuE4ELNS1_3repE0EEENS1_30default_config_static_selectorELNS0_4arch9wavefront6targetE1EEEvS14_
		.amdhsa_group_segment_fixed_size 0
		.amdhsa_private_segment_fixed_size 0
		.amdhsa_kernarg_size 104
		.amdhsa_user_sgpr_count 6
		.amdhsa_user_sgpr_private_segment_buffer 1
		.amdhsa_user_sgpr_dispatch_ptr 0
		.amdhsa_user_sgpr_queue_ptr 0
		.amdhsa_user_sgpr_kernarg_segment_ptr 1
		.amdhsa_user_sgpr_dispatch_id 0
		.amdhsa_user_sgpr_flat_scratch_init 0
		.amdhsa_user_sgpr_kernarg_preload_length 0
		.amdhsa_user_sgpr_kernarg_preload_offset 0
		.amdhsa_user_sgpr_private_segment_size 0
		.amdhsa_uses_dynamic_stack 0
		.amdhsa_system_sgpr_private_segment_wavefront_offset 0
		.amdhsa_system_sgpr_workgroup_id_x 1
		.amdhsa_system_sgpr_workgroup_id_y 0
		.amdhsa_system_sgpr_workgroup_id_z 0
		.amdhsa_system_sgpr_workgroup_info 0
		.amdhsa_system_vgpr_workitem_id 0
		.amdhsa_next_free_vgpr 1
		.amdhsa_next_free_sgpr 0
		.amdhsa_accum_offset 4
		.amdhsa_reserve_vcc 0
		.amdhsa_reserve_flat_scratch 0
		.amdhsa_float_round_mode_32 0
		.amdhsa_float_round_mode_16_64 0
		.amdhsa_float_denorm_mode_32 3
		.amdhsa_float_denorm_mode_16_64 3
		.amdhsa_dx10_clamp 1
		.amdhsa_ieee_mode 1
		.amdhsa_fp16_overflow 0
		.amdhsa_tg_split 0
		.amdhsa_exception_fp_ieee_invalid_op 0
		.amdhsa_exception_fp_denorm_src 0
		.amdhsa_exception_fp_ieee_div_zero 0
		.amdhsa_exception_fp_ieee_overflow 0
		.amdhsa_exception_fp_ieee_underflow 0
		.amdhsa_exception_fp_ieee_inexact 0
		.amdhsa_exception_int_div_zero 0
	.end_amdhsa_kernel
	.section	.text._ZN7rocprim17ROCPRIM_400000_NS6detail17trampoline_kernelINS0_14default_configENS1_22reduce_config_selectorIN6thrust23THRUST_200600_302600_NS5tupleIblNS6_9null_typeES8_S8_S8_S8_S8_S8_S8_EEEEZNS1_11reduce_implILb1ES3_NS6_12zip_iteratorINS7_INS6_11hip_rocprim26transform_input_iterator_tIbNSD_35transform_pair_of_input_iterators_tIbNS6_6detail15normal_iteratorINS6_10device_ptrIKxEEEESL_NS6_8equal_toIxEEEENSG_9not_fun_tINSD_8identityEEEEENSD_19counting_iterator_tIlEES8_S8_S8_S8_S8_S8_S8_S8_EEEEPS9_S9_NSD_9__find_if7functorIS9_EEEE10hipError_tPvRmT1_T2_T3_mT4_P12ihipStream_tbEUlT_E0_NS1_11comp_targetILNS1_3genE10ELNS1_11target_archE1200ELNS1_3gpuE4ELNS1_3repE0EEENS1_30default_config_static_selectorELNS0_4arch9wavefront6targetE1EEEvS14_,"axG",@progbits,_ZN7rocprim17ROCPRIM_400000_NS6detail17trampoline_kernelINS0_14default_configENS1_22reduce_config_selectorIN6thrust23THRUST_200600_302600_NS5tupleIblNS6_9null_typeES8_S8_S8_S8_S8_S8_S8_EEEEZNS1_11reduce_implILb1ES3_NS6_12zip_iteratorINS7_INS6_11hip_rocprim26transform_input_iterator_tIbNSD_35transform_pair_of_input_iterators_tIbNS6_6detail15normal_iteratorINS6_10device_ptrIKxEEEESL_NS6_8equal_toIxEEEENSG_9not_fun_tINSD_8identityEEEEENSD_19counting_iterator_tIlEES8_S8_S8_S8_S8_S8_S8_S8_EEEEPS9_S9_NSD_9__find_if7functorIS9_EEEE10hipError_tPvRmT1_T2_T3_mT4_P12ihipStream_tbEUlT_E0_NS1_11comp_targetILNS1_3genE10ELNS1_11target_archE1200ELNS1_3gpuE4ELNS1_3repE0EEENS1_30default_config_static_selectorELNS0_4arch9wavefront6targetE1EEEvS14_,comdat
.Lfunc_end72:
	.size	_ZN7rocprim17ROCPRIM_400000_NS6detail17trampoline_kernelINS0_14default_configENS1_22reduce_config_selectorIN6thrust23THRUST_200600_302600_NS5tupleIblNS6_9null_typeES8_S8_S8_S8_S8_S8_S8_EEEEZNS1_11reduce_implILb1ES3_NS6_12zip_iteratorINS7_INS6_11hip_rocprim26transform_input_iterator_tIbNSD_35transform_pair_of_input_iterators_tIbNS6_6detail15normal_iteratorINS6_10device_ptrIKxEEEESL_NS6_8equal_toIxEEEENSG_9not_fun_tINSD_8identityEEEEENSD_19counting_iterator_tIlEES8_S8_S8_S8_S8_S8_S8_S8_EEEEPS9_S9_NSD_9__find_if7functorIS9_EEEE10hipError_tPvRmT1_T2_T3_mT4_P12ihipStream_tbEUlT_E0_NS1_11comp_targetILNS1_3genE10ELNS1_11target_archE1200ELNS1_3gpuE4ELNS1_3repE0EEENS1_30default_config_static_selectorELNS0_4arch9wavefront6targetE1EEEvS14_, .Lfunc_end72-_ZN7rocprim17ROCPRIM_400000_NS6detail17trampoline_kernelINS0_14default_configENS1_22reduce_config_selectorIN6thrust23THRUST_200600_302600_NS5tupleIblNS6_9null_typeES8_S8_S8_S8_S8_S8_S8_EEEEZNS1_11reduce_implILb1ES3_NS6_12zip_iteratorINS7_INS6_11hip_rocprim26transform_input_iterator_tIbNSD_35transform_pair_of_input_iterators_tIbNS6_6detail15normal_iteratorINS6_10device_ptrIKxEEEESL_NS6_8equal_toIxEEEENSG_9not_fun_tINSD_8identityEEEEENSD_19counting_iterator_tIlEES8_S8_S8_S8_S8_S8_S8_S8_EEEEPS9_S9_NSD_9__find_if7functorIS9_EEEE10hipError_tPvRmT1_T2_T3_mT4_P12ihipStream_tbEUlT_E0_NS1_11comp_targetILNS1_3genE10ELNS1_11target_archE1200ELNS1_3gpuE4ELNS1_3repE0EEENS1_30default_config_static_selectorELNS0_4arch9wavefront6targetE1EEEvS14_
                                        ; -- End function
	.section	.AMDGPU.csdata,"",@progbits
; Kernel info:
; codeLenInByte = 0
; NumSgprs: 4
; NumVgprs: 0
; NumAgprs: 0
; TotalNumVgprs: 0
; ScratchSize: 0
; MemoryBound: 0
; FloatMode: 240
; IeeeMode: 1
; LDSByteSize: 0 bytes/workgroup (compile time only)
; SGPRBlocks: 0
; VGPRBlocks: 0
; NumSGPRsForWavesPerEU: 4
; NumVGPRsForWavesPerEU: 1
; AccumOffset: 4
; Occupancy: 8
; WaveLimiterHint : 0
; COMPUTE_PGM_RSRC2:SCRATCH_EN: 0
; COMPUTE_PGM_RSRC2:USER_SGPR: 6
; COMPUTE_PGM_RSRC2:TRAP_HANDLER: 0
; COMPUTE_PGM_RSRC2:TGID_X_EN: 1
; COMPUTE_PGM_RSRC2:TGID_Y_EN: 0
; COMPUTE_PGM_RSRC2:TGID_Z_EN: 0
; COMPUTE_PGM_RSRC2:TIDIG_COMP_CNT: 0
; COMPUTE_PGM_RSRC3_GFX90A:ACCUM_OFFSET: 0
; COMPUTE_PGM_RSRC3_GFX90A:TG_SPLIT: 0
	.section	.text._ZN7rocprim17ROCPRIM_400000_NS6detail17trampoline_kernelINS0_14default_configENS1_22reduce_config_selectorIN6thrust23THRUST_200600_302600_NS5tupleIblNS6_9null_typeES8_S8_S8_S8_S8_S8_S8_EEEEZNS1_11reduce_implILb1ES3_NS6_12zip_iteratorINS7_INS6_11hip_rocprim26transform_input_iterator_tIbNSD_35transform_pair_of_input_iterators_tIbNS6_6detail15normal_iteratorINS6_10device_ptrIKxEEEESL_NS6_8equal_toIxEEEENSG_9not_fun_tINSD_8identityEEEEENSD_19counting_iterator_tIlEES8_S8_S8_S8_S8_S8_S8_S8_EEEEPS9_S9_NSD_9__find_if7functorIS9_EEEE10hipError_tPvRmT1_T2_T3_mT4_P12ihipStream_tbEUlT_E0_NS1_11comp_targetILNS1_3genE9ELNS1_11target_archE1100ELNS1_3gpuE3ELNS1_3repE0EEENS1_30default_config_static_selectorELNS0_4arch9wavefront6targetE1EEEvS14_,"axG",@progbits,_ZN7rocprim17ROCPRIM_400000_NS6detail17trampoline_kernelINS0_14default_configENS1_22reduce_config_selectorIN6thrust23THRUST_200600_302600_NS5tupleIblNS6_9null_typeES8_S8_S8_S8_S8_S8_S8_EEEEZNS1_11reduce_implILb1ES3_NS6_12zip_iteratorINS7_INS6_11hip_rocprim26transform_input_iterator_tIbNSD_35transform_pair_of_input_iterators_tIbNS6_6detail15normal_iteratorINS6_10device_ptrIKxEEEESL_NS6_8equal_toIxEEEENSG_9not_fun_tINSD_8identityEEEEENSD_19counting_iterator_tIlEES8_S8_S8_S8_S8_S8_S8_S8_EEEEPS9_S9_NSD_9__find_if7functorIS9_EEEE10hipError_tPvRmT1_T2_T3_mT4_P12ihipStream_tbEUlT_E0_NS1_11comp_targetILNS1_3genE9ELNS1_11target_archE1100ELNS1_3gpuE3ELNS1_3repE0EEENS1_30default_config_static_selectorELNS0_4arch9wavefront6targetE1EEEvS14_,comdat
	.protected	_ZN7rocprim17ROCPRIM_400000_NS6detail17trampoline_kernelINS0_14default_configENS1_22reduce_config_selectorIN6thrust23THRUST_200600_302600_NS5tupleIblNS6_9null_typeES8_S8_S8_S8_S8_S8_S8_EEEEZNS1_11reduce_implILb1ES3_NS6_12zip_iteratorINS7_INS6_11hip_rocprim26transform_input_iterator_tIbNSD_35transform_pair_of_input_iterators_tIbNS6_6detail15normal_iteratorINS6_10device_ptrIKxEEEESL_NS6_8equal_toIxEEEENSG_9not_fun_tINSD_8identityEEEEENSD_19counting_iterator_tIlEES8_S8_S8_S8_S8_S8_S8_S8_EEEEPS9_S9_NSD_9__find_if7functorIS9_EEEE10hipError_tPvRmT1_T2_T3_mT4_P12ihipStream_tbEUlT_E0_NS1_11comp_targetILNS1_3genE9ELNS1_11target_archE1100ELNS1_3gpuE3ELNS1_3repE0EEENS1_30default_config_static_selectorELNS0_4arch9wavefront6targetE1EEEvS14_ ; -- Begin function _ZN7rocprim17ROCPRIM_400000_NS6detail17trampoline_kernelINS0_14default_configENS1_22reduce_config_selectorIN6thrust23THRUST_200600_302600_NS5tupleIblNS6_9null_typeES8_S8_S8_S8_S8_S8_S8_EEEEZNS1_11reduce_implILb1ES3_NS6_12zip_iteratorINS7_INS6_11hip_rocprim26transform_input_iterator_tIbNSD_35transform_pair_of_input_iterators_tIbNS6_6detail15normal_iteratorINS6_10device_ptrIKxEEEESL_NS6_8equal_toIxEEEENSG_9not_fun_tINSD_8identityEEEEENSD_19counting_iterator_tIlEES8_S8_S8_S8_S8_S8_S8_S8_EEEEPS9_S9_NSD_9__find_if7functorIS9_EEEE10hipError_tPvRmT1_T2_T3_mT4_P12ihipStream_tbEUlT_E0_NS1_11comp_targetILNS1_3genE9ELNS1_11target_archE1100ELNS1_3gpuE3ELNS1_3repE0EEENS1_30default_config_static_selectorELNS0_4arch9wavefront6targetE1EEEvS14_
	.globl	_ZN7rocprim17ROCPRIM_400000_NS6detail17trampoline_kernelINS0_14default_configENS1_22reduce_config_selectorIN6thrust23THRUST_200600_302600_NS5tupleIblNS6_9null_typeES8_S8_S8_S8_S8_S8_S8_EEEEZNS1_11reduce_implILb1ES3_NS6_12zip_iteratorINS7_INS6_11hip_rocprim26transform_input_iterator_tIbNSD_35transform_pair_of_input_iterators_tIbNS6_6detail15normal_iteratorINS6_10device_ptrIKxEEEESL_NS6_8equal_toIxEEEENSG_9not_fun_tINSD_8identityEEEEENSD_19counting_iterator_tIlEES8_S8_S8_S8_S8_S8_S8_S8_EEEEPS9_S9_NSD_9__find_if7functorIS9_EEEE10hipError_tPvRmT1_T2_T3_mT4_P12ihipStream_tbEUlT_E0_NS1_11comp_targetILNS1_3genE9ELNS1_11target_archE1100ELNS1_3gpuE3ELNS1_3repE0EEENS1_30default_config_static_selectorELNS0_4arch9wavefront6targetE1EEEvS14_
	.p2align	8
	.type	_ZN7rocprim17ROCPRIM_400000_NS6detail17trampoline_kernelINS0_14default_configENS1_22reduce_config_selectorIN6thrust23THRUST_200600_302600_NS5tupleIblNS6_9null_typeES8_S8_S8_S8_S8_S8_S8_EEEEZNS1_11reduce_implILb1ES3_NS6_12zip_iteratorINS7_INS6_11hip_rocprim26transform_input_iterator_tIbNSD_35transform_pair_of_input_iterators_tIbNS6_6detail15normal_iteratorINS6_10device_ptrIKxEEEESL_NS6_8equal_toIxEEEENSG_9not_fun_tINSD_8identityEEEEENSD_19counting_iterator_tIlEES8_S8_S8_S8_S8_S8_S8_S8_EEEEPS9_S9_NSD_9__find_if7functorIS9_EEEE10hipError_tPvRmT1_T2_T3_mT4_P12ihipStream_tbEUlT_E0_NS1_11comp_targetILNS1_3genE9ELNS1_11target_archE1100ELNS1_3gpuE3ELNS1_3repE0EEENS1_30default_config_static_selectorELNS0_4arch9wavefront6targetE1EEEvS14_,@function
_ZN7rocprim17ROCPRIM_400000_NS6detail17trampoline_kernelINS0_14default_configENS1_22reduce_config_selectorIN6thrust23THRUST_200600_302600_NS5tupleIblNS6_9null_typeES8_S8_S8_S8_S8_S8_S8_EEEEZNS1_11reduce_implILb1ES3_NS6_12zip_iteratorINS7_INS6_11hip_rocprim26transform_input_iterator_tIbNSD_35transform_pair_of_input_iterators_tIbNS6_6detail15normal_iteratorINS6_10device_ptrIKxEEEESL_NS6_8equal_toIxEEEENSG_9not_fun_tINSD_8identityEEEEENSD_19counting_iterator_tIlEES8_S8_S8_S8_S8_S8_S8_S8_EEEEPS9_S9_NSD_9__find_if7functorIS9_EEEE10hipError_tPvRmT1_T2_T3_mT4_P12ihipStream_tbEUlT_E0_NS1_11comp_targetILNS1_3genE9ELNS1_11target_archE1100ELNS1_3gpuE3ELNS1_3repE0EEENS1_30default_config_static_selectorELNS0_4arch9wavefront6targetE1EEEvS14_: ; @_ZN7rocprim17ROCPRIM_400000_NS6detail17trampoline_kernelINS0_14default_configENS1_22reduce_config_selectorIN6thrust23THRUST_200600_302600_NS5tupleIblNS6_9null_typeES8_S8_S8_S8_S8_S8_S8_EEEEZNS1_11reduce_implILb1ES3_NS6_12zip_iteratorINS7_INS6_11hip_rocprim26transform_input_iterator_tIbNSD_35transform_pair_of_input_iterators_tIbNS6_6detail15normal_iteratorINS6_10device_ptrIKxEEEESL_NS6_8equal_toIxEEEENSG_9not_fun_tINSD_8identityEEEEENSD_19counting_iterator_tIlEES8_S8_S8_S8_S8_S8_S8_S8_EEEEPS9_S9_NSD_9__find_if7functorIS9_EEEE10hipError_tPvRmT1_T2_T3_mT4_P12ihipStream_tbEUlT_E0_NS1_11comp_targetILNS1_3genE9ELNS1_11target_archE1100ELNS1_3gpuE3ELNS1_3repE0EEENS1_30default_config_static_selectorELNS0_4arch9wavefront6targetE1EEEvS14_
; %bb.0:
	.section	.rodata,"a",@progbits
	.p2align	6, 0x0
	.amdhsa_kernel _ZN7rocprim17ROCPRIM_400000_NS6detail17trampoline_kernelINS0_14default_configENS1_22reduce_config_selectorIN6thrust23THRUST_200600_302600_NS5tupleIblNS6_9null_typeES8_S8_S8_S8_S8_S8_S8_EEEEZNS1_11reduce_implILb1ES3_NS6_12zip_iteratorINS7_INS6_11hip_rocprim26transform_input_iterator_tIbNSD_35transform_pair_of_input_iterators_tIbNS6_6detail15normal_iteratorINS6_10device_ptrIKxEEEESL_NS6_8equal_toIxEEEENSG_9not_fun_tINSD_8identityEEEEENSD_19counting_iterator_tIlEES8_S8_S8_S8_S8_S8_S8_S8_EEEEPS9_S9_NSD_9__find_if7functorIS9_EEEE10hipError_tPvRmT1_T2_T3_mT4_P12ihipStream_tbEUlT_E0_NS1_11comp_targetILNS1_3genE9ELNS1_11target_archE1100ELNS1_3gpuE3ELNS1_3repE0EEENS1_30default_config_static_selectorELNS0_4arch9wavefront6targetE1EEEvS14_
		.amdhsa_group_segment_fixed_size 0
		.amdhsa_private_segment_fixed_size 0
		.amdhsa_kernarg_size 104
		.amdhsa_user_sgpr_count 6
		.amdhsa_user_sgpr_private_segment_buffer 1
		.amdhsa_user_sgpr_dispatch_ptr 0
		.amdhsa_user_sgpr_queue_ptr 0
		.amdhsa_user_sgpr_kernarg_segment_ptr 1
		.amdhsa_user_sgpr_dispatch_id 0
		.amdhsa_user_sgpr_flat_scratch_init 0
		.amdhsa_user_sgpr_kernarg_preload_length 0
		.amdhsa_user_sgpr_kernarg_preload_offset 0
		.amdhsa_user_sgpr_private_segment_size 0
		.amdhsa_uses_dynamic_stack 0
		.amdhsa_system_sgpr_private_segment_wavefront_offset 0
		.amdhsa_system_sgpr_workgroup_id_x 1
		.amdhsa_system_sgpr_workgroup_id_y 0
		.amdhsa_system_sgpr_workgroup_id_z 0
		.amdhsa_system_sgpr_workgroup_info 0
		.amdhsa_system_vgpr_workitem_id 0
		.amdhsa_next_free_vgpr 1
		.amdhsa_next_free_sgpr 0
		.amdhsa_accum_offset 4
		.amdhsa_reserve_vcc 0
		.amdhsa_reserve_flat_scratch 0
		.amdhsa_float_round_mode_32 0
		.amdhsa_float_round_mode_16_64 0
		.amdhsa_float_denorm_mode_32 3
		.amdhsa_float_denorm_mode_16_64 3
		.amdhsa_dx10_clamp 1
		.amdhsa_ieee_mode 1
		.amdhsa_fp16_overflow 0
		.amdhsa_tg_split 0
		.amdhsa_exception_fp_ieee_invalid_op 0
		.amdhsa_exception_fp_denorm_src 0
		.amdhsa_exception_fp_ieee_div_zero 0
		.amdhsa_exception_fp_ieee_overflow 0
		.amdhsa_exception_fp_ieee_underflow 0
		.amdhsa_exception_fp_ieee_inexact 0
		.amdhsa_exception_int_div_zero 0
	.end_amdhsa_kernel
	.section	.text._ZN7rocprim17ROCPRIM_400000_NS6detail17trampoline_kernelINS0_14default_configENS1_22reduce_config_selectorIN6thrust23THRUST_200600_302600_NS5tupleIblNS6_9null_typeES8_S8_S8_S8_S8_S8_S8_EEEEZNS1_11reduce_implILb1ES3_NS6_12zip_iteratorINS7_INS6_11hip_rocprim26transform_input_iterator_tIbNSD_35transform_pair_of_input_iterators_tIbNS6_6detail15normal_iteratorINS6_10device_ptrIKxEEEESL_NS6_8equal_toIxEEEENSG_9not_fun_tINSD_8identityEEEEENSD_19counting_iterator_tIlEES8_S8_S8_S8_S8_S8_S8_S8_EEEEPS9_S9_NSD_9__find_if7functorIS9_EEEE10hipError_tPvRmT1_T2_T3_mT4_P12ihipStream_tbEUlT_E0_NS1_11comp_targetILNS1_3genE9ELNS1_11target_archE1100ELNS1_3gpuE3ELNS1_3repE0EEENS1_30default_config_static_selectorELNS0_4arch9wavefront6targetE1EEEvS14_,"axG",@progbits,_ZN7rocprim17ROCPRIM_400000_NS6detail17trampoline_kernelINS0_14default_configENS1_22reduce_config_selectorIN6thrust23THRUST_200600_302600_NS5tupleIblNS6_9null_typeES8_S8_S8_S8_S8_S8_S8_EEEEZNS1_11reduce_implILb1ES3_NS6_12zip_iteratorINS7_INS6_11hip_rocprim26transform_input_iterator_tIbNSD_35transform_pair_of_input_iterators_tIbNS6_6detail15normal_iteratorINS6_10device_ptrIKxEEEESL_NS6_8equal_toIxEEEENSG_9not_fun_tINSD_8identityEEEEENSD_19counting_iterator_tIlEES8_S8_S8_S8_S8_S8_S8_S8_EEEEPS9_S9_NSD_9__find_if7functorIS9_EEEE10hipError_tPvRmT1_T2_T3_mT4_P12ihipStream_tbEUlT_E0_NS1_11comp_targetILNS1_3genE9ELNS1_11target_archE1100ELNS1_3gpuE3ELNS1_3repE0EEENS1_30default_config_static_selectorELNS0_4arch9wavefront6targetE1EEEvS14_,comdat
.Lfunc_end73:
	.size	_ZN7rocprim17ROCPRIM_400000_NS6detail17trampoline_kernelINS0_14default_configENS1_22reduce_config_selectorIN6thrust23THRUST_200600_302600_NS5tupleIblNS6_9null_typeES8_S8_S8_S8_S8_S8_S8_EEEEZNS1_11reduce_implILb1ES3_NS6_12zip_iteratorINS7_INS6_11hip_rocprim26transform_input_iterator_tIbNSD_35transform_pair_of_input_iterators_tIbNS6_6detail15normal_iteratorINS6_10device_ptrIKxEEEESL_NS6_8equal_toIxEEEENSG_9not_fun_tINSD_8identityEEEEENSD_19counting_iterator_tIlEES8_S8_S8_S8_S8_S8_S8_S8_EEEEPS9_S9_NSD_9__find_if7functorIS9_EEEE10hipError_tPvRmT1_T2_T3_mT4_P12ihipStream_tbEUlT_E0_NS1_11comp_targetILNS1_3genE9ELNS1_11target_archE1100ELNS1_3gpuE3ELNS1_3repE0EEENS1_30default_config_static_selectorELNS0_4arch9wavefront6targetE1EEEvS14_, .Lfunc_end73-_ZN7rocprim17ROCPRIM_400000_NS6detail17trampoline_kernelINS0_14default_configENS1_22reduce_config_selectorIN6thrust23THRUST_200600_302600_NS5tupleIblNS6_9null_typeES8_S8_S8_S8_S8_S8_S8_EEEEZNS1_11reduce_implILb1ES3_NS6_12zip_iteratorINS7_INS6_11hip_rocprim26transform_input_iterator_tIbNSD_35transform_pair_of_input_iterators_tIbNS6_6detail15normal_iteratorINS6_10device_ptrIKxEEEESL_NS6_8equal_toIxEEEENSG_9not_fun_tINSD_8identityEEEEENSD_19counting_iterator_tIlEES8_S8_S8_S8_S8_S8_S8_S8_EEEEPS9_S9_NSD_9__find_if7functorIS9_EEEE10hipError_tPvRmT1_T2_T3_mT4_P12ihipStream_tbEUlT_E0_NS1_11comp_targetILNS1_3genE9ELNS1_11target_archE1100ELNS1_3gpuE3ELNS1_3repE0EEENS1_30default_config_static_selectorELNS0_4arch9wavefront6targetE1EEEvS14_
                                        ; -- End function
	.section	.AMDGPU.csdata,"",@progbits
; Kernel info:
; codeLenInByte = 0
; NumSgprs: 4
; NumVgprs: 0
; NumAgprs: 0
; TotalNumVgprs: 0
; ScratchSize: 0
; MemoryBound: 0
; FloatMode: 240
; IeeeMode: 1
; LDSByteSize: 0 bytes/workgroup (compile time only)
; SGPRBlocks: 0
; VGPRBlocks: 0
; NumSGPRsForWavesPerEU: 4
; NumVGPRsForWavesPerEU: 1
; AccumOffset: 4
; Occupancy: 8
; WaveLimiterHint : 0
; COMPUTE_PGM_RSRC2:SCRATCH_EN: 0
; COMPUTE_PGM_RSRC2:USER_SGPR: 6
; COMPUTE_PGM_RSRC2:TRAP_HANDLER: 0
; COMPUTE_PGM_RSRC2:TGID_X_EN: 1
; COMPUTE_PGM_RSRC2:TGID_Y_EN: 0
; COMPUTE_PGM_RSRC2:TGID_Z_EN: 0
; COMPUTE_PGM_RSRC2:TIDIG_COMP_CNT: 0
; COMPUTE_PGM_RSRC3_GFX90A:ACCUM_OFFSET: 0
; COMPUTE_PGM_RSRC3_GFX90A:TG_SPLIT: 0
	.section	.text._ZN7rocprim17ROCPRIM_400000_NS6detail17trampoline_kernelINS0_14default_configENS1_22reduce_config_selectorIN6thrust23THRUST_200600_302600_NS5tupleIblNS6_9null_typeES8_S8_S8_S8_S8_S8_S8_EEEEZNS1_11reduce_implILb1ES3_NS6_12zip_iteratorINS7_INS6_11hip_rocprim26transform_input_iterator_tIbNSD_35transform_pair_of_input_iterators_tIbNS6_6detail15normal_iteratorINS6_10device_ptrIKxEEEESL_NS6_8equal_toIxEEEENSG_9not_fun_tINSD_8identityEEEEENSD_19counting_iterator_tIlEES8_S8_S8_S8_S8_S8_S8_S8_EEEEPS9_S9_NSD_9__find_if7functorIS9_EEEE10hipError_tPvRmT1_T2_T3_mT4_P12ihipStream_tbEUlT_E0_NS1_11comp_targetILNS1_3genE8ELNS1_11target_archE1030ELNS1_3gpuE2ELNS1_3repE0EEENS1_30default_config_static_selectorELNS0_4arch9wavefront6targetE1EEEvS14_,"axG",@progbits,_ZN7rocprim17ROCPRIM_400000_NS6detail17trampoline_kernelINS0_14default_configENS1_22reduce_config_selectorIN6thrust23THRUST_200600_302600_NS5tupleIblNS6_9null_typeES8_S8_S8_S8_S8_S8_S8_EEEEZNS1_11reduce_implILb1ES3_NS6_12zip_iteratorINS7_INS6_11hip_rocprim26transform_input_iterator_tIbNSD_35transform_pair_of_input_iterators_tIbNS6_6detail15normal_iteratorINS6_10device_ptrIKxEEEESL_NS6_8equal_toIxEEEENSG_9not_fun_tINSD_8identityEEEEENSD_19counting_iterator_tIlEES8_S8_S8_S8_S8_S8_S8_S8_EEEEPS9_S9_NSD_9__find_if7functorIS9_EEEE10hipError_tPvRmT1_T2_T3_mT4_P12ihipStream_tbEUlT_E0_NS1_11comp_targetILNS1_3genE8ELNS1_11target_archE1030ELNS1_3gpuE2ELNS1_3repE0EEENS1_30default_config_static_selectorELNS0_4arch9wavefront6targetE1EEEvS14_,comdat
	.protected	_ZN7rocprim17ROCPRIM_400000_NS6detail17trampoline_kernelINS0_14default_configENS1_22reduce_config_selectorIN6thrust23THRUST_200600_302600_NS5tupleIblNS6_9null_typeES8_S8_S8_S8_S8_S8_S8_EEEEZNS1_11reduce_implILb1ES3_NS6_12zip_iteratorINS7_INS6_11hip_rocprim26transform_input_iterator_tIbNSD_35transform_pair_of_input_iterators_tIbNS6_6detail15normal_iteratorINS6_10device_ptrIKxEEEESL_NS6_8equal_toIxEEEENSG_9not_fun_tINSD_8identityEEEEENSD_19counting_iterator_tIlEES8_S8_S8_S8_S8_S8_S8_S8_EEEEPS9_S9_NSD_9__find_if7functorIS9_EEEE10hipError_tPvRmT1_T2_T3_mT4_P12ihipStream_tbEUlT_E0_NS1_11comp_targetILNS1_3genE8ELNS1_11target_archE1030ELNS1_3gpuE2ELNS1_3repE0EEENS1_30default_config_static_selectorELNS0_4arch9wavefront6targetE1EEEvS14_ ; -- Begin function _ZN7rocprim17ROCPRIM_400000_NS6detail17trampoline_kernelINS0_14default_configENS1_22reduce_config_selectorIN6thrust23THRUST_200600_302600_NS5tupleIblNS6_9null_typeES8_S8_S8_S8_S8_S8_S8_EEEEZNS1_11reduce_implILb1ES3_NS6_12zip_iteratorINS7_INS6_11hip_rocprim26transform_input_iterator_tIbNSD_35transform_pair_of_input_iterators_tIbNS6_6detail15normal_iteratorINS6_10device_ptrIKxEEEESL_NS6_8equal_toIxEEEENSG_9not_fun_tINSD_8identityEEEEENSD_19counting_iterator_tIlEES8_S8_S8_S8_S8_S8_S8_S8_EEEEPS9_S9_NSD_9__find_if7functorIS9_EEEE10hipError_tPvRmT1_T2_T3_mT4_P12ihipStream_tbEUlT_E0_NS1_11comp_targetILNS1_3genE8ELNS1_11target_archE1030ELNS1_3gpuE2ELNS1_3repE0EEENS1_30default_config_static_selectorELNS0_4arch9wavefront6targetE1EEEvS14_
	.globl	_ZN7rocprim17ROCPRIM_400000_NS6detail17trampoline_kernelINS0_14default_configENS1_22reduce_config_selectorIN6thrust23THRUST_200600_302600_NS5tupleIblNS6_9null_typeES8_S8_S8_S8_S8_S8_S8_EEEEZNS1_11reduce_implILb1ES3_NS6_12zip_iteratorINS7_INS6_11hip_rocprim26transform_input_iterator_tIbNSD_35transform_pair_of_input_iterators_tIbNS6_6detail15normal_iteratorINS6_10device_ptrIKxEEEESL_NS6_8equal_toIxEEEENSG_9not_fun_tINSD_8identityEEEEENSD_19counting_iterator_tIlEES8_S8_S8_S8_S8_S8_S8_S8_EEEEPS9_S9_NSD_9__find_if7functorIS9_EEEE10hipError_tPvRmT1_T2_T3_mT4_P12ihipStream_tbEUlT_E0_NS1_11comp_targetILNS1_3genE8ELNS1_11target_archE1030ELNS1_3gpuE2ELNS1_3repE0EEENS1_30default_config_static_selectorELNS0_4arch9wavefront6targetE1EEEvS14_
	.p2align	8
	.type	_ZN7rocprim17ROCPRIM_400000_NS6detail17trampoline_kernelINS0_14default_configENS1_22reduce_config_selectorIN6thrust23THRUST_200600_302600_NS5tupleIblNS6_9null_typeES8_S8_S8_S8_S8_S8_S8_EEEEZNS1_11reduce_implILb1ES3_NS6_12zip_iteratorINS7_INS6_11hip_rocprim26transform_input_iterator_tIbNSD_35transform_pair_of_input_iterators_tIbNS6_6detail15normal_iteratorINS6_10device_ptrIKxEEEESL_NS6_8equal_toIxEEEENSG_9not_fun_tINSD_8identityEEEEENSD_19counting_iterator_tIlEES8_S8_S8_S8_S8_S8_S8_S8_EEEEPS9_S9_NSD_9__find_if7functorIS9_EEEE10hipError_tPvRmT1_T2_T3_mT4_P12ihipStream_tbEUlT_E0_NS1_11comp_targetILNS1_3genE8ELNS1_11target_archE1030ELNS1_3gpuE2ELNS1_3repE0EEENS1_30default_config_static_selectorELNS0_4arch9wavefront6targetE1EEEvS14_,@function
_ZN7rocprim17ROCPRIM_400000_NS6detail17trampoline_kernelINS0_14default_configENS1_22reduce_config_selectorIN6thrust23THRUST_200600_302600_NS5tupleIblNS6_9null_typeES8_S8_S8_S8_S8_S8_S8_EEEEZNS1_11reduce_implILb1ES3_NS6_12zip_iteratorINS7_INS6_11hip_rocprim26transform_input_iterator_tIbNSD_35transform_pair_of_input_iterators_tIbNS6_6detail15normal_iteratorINS6_10device_ptrIKxEEEESL_NS6_8equal_toIxEEEENSG_9not_fun_tINSD_8identityEEEEENSD_19counting_iterator_tIlEES8_S8_S8_S8_S8_S8_S8_S8_EEEEPS9_S9_NSD_9__find_if7functorIS9_EEEE10hipError_tPvRmT1_T2_T3_mT4_P12ihipStream_tbEUlT_E0_NS1_11comp_targetILNS1_3genE8ELNS1_11target_archE1030ELNS1_3gpuE2ELNS1_3repE0EEENS1_30default_config_static_selectorELNS0_4arch9wavefront6targetE1EEEvS14_: ; @_ZN7rocprim17ROCPRIM_400000_NS6detail17trampoline_kernelINS0_14default_configENS1_22reduce_config_selectorIN6thrust23THRUST_200600_302600_NS5tupleIblNS6_9null_typeES8_S8_S8_S8_S8_S8_S8_EEEEZNS1_11reduce_implILb1ES3_NS6_12zip_iteratorINS7_INS6_11hip_rocprim26transform_input_iterator_tIbNSD_35transform_pair_of_input_iterators_tIbNS6_6detail15normal_iteratorINS6_10device_ptrIKxEEEESL_NS6_8equal_toIxEEEENSG_9not_fun_tINSD_8identityEEEEENSD_19counting_iterator_tIlEES8_S8_S8_S8_S8_S8_S8_S8_EEEEPS9_S9_NSD_9__find_if7functorIS9_EEEE10hipError_tPvRmT1_T2_T3_mT4_P12ihipStream_tbEUlT_E0_NS1_11comp_targetILNS1_3genE8ELNS1_11target_archE1030ELNS1_3gpuE2ELNS1_3repE0EEENS1_30default_config_static_selectorELNS0_4arch9wavefront6targetE1EEEvS14_
; %bb.0:
	.section	.rodata,"a",@progbits
	.p2align	6, 0x0
	.amdhsa_kernel _ZN7rocprim17ROCPRIM_400000_NS6detail17trampoline_kernelINS0_14default_configENS1_22reduce_config_selectorIN6thrust23THRUST_200600_302600_NS5tupleIblNS6_9null_typeES8_S8_S8_S8_S8_S8_S8_EEEEZNS1_11reduce_implILb1ES3_NS6_12zip_iteratorINS7_INS6_11hip_rocprim26transform_input_iterator_tIbNSD_35transform_pair_of_input_iterators_tIbNS6_6detail15normal_iteratorINS6_10device_ptrIKxEEEESL_NS6_8equal_toIxEEEENSG_9not_fun_tINSD_8identityEEEEENSD_19counting_iterator_tIlEES8_S8_S8_S8_S8_S8_S8_S8_EEEEPS9_S9_NSD_9__find_if7functorIS9_EEEE10hipError_tPvRmT1_T2_T3_mT4_P12ihipStream_tbEUlT_E0_NS1_11comp_targetILNS1_3genE8ELNS1_11target_archE1030ELNS1_3gpuE2ELNS1_3repE0EEENS1_30default_config_static_selectorELNS0_4arch9wavefront6targetE1EEEvS14_
		.amdhsa_group_segment_fixed_size 0
		.amdhsa_private_segment_fixed_size 0
		.amdhsa_kernarg_size 104
		.amdhsa_user_sgpr_count 6
		.amdhsa_user_sgpr_private_segment_buffer 1
		.amdhsa_user_sgpr_dispatch_ptr 0
		.amdhsa_user_sgpr_queue_ptr 0
		.amdhsa_user_sgpr_kernarg_segment_ptr 1
		.amdhsa_user_sgpr_dispatch_id 0
		.amdhsa_user_sgpr_flat_scratch_init 0
		.amdhsa_user_sgpr_kernarg_preload_length 0
		.amdhsa_user_sgpr_kernarg_preload_offset 0
		.amdhsa_user_sgpr_private_segment_size 0
		.amdhsa_uses_dynamic_stack 0
		.amdhsa_system_sgpr_private_segment_wavefront_offset 0
		.amdhsa_system_sgpr_workgroup_id_x 1
		.amdhsa_system_sgpr_workgroup_id_y 0
		.amdhsa_system_sgpr_workgroup_id_z 0
		.amdhsa_system_sgpr_workgroup_info 0
		.amdhsa_system_vgpr_workitem_id 0
		.amdhsa_next_free_vgpr 1
		.amdhsa_next_free_sgpr 0
		.amdhsa_accum_offset 4
		.amdhsa_reserve_vcc 0
		.amdhsa_reserve_flat_scratch 0
		.amdhsa_float_round_mode_32 0
		.amdhsa_float_round_mode_16_64 0
		.amdhsa_float_denorm_mode_32 3
		.amdhsa_float_denorm_mode_16_64 3
		.amdhsa_dx10_clamp 1
		.amdhsa_ieee_mode 1
		.amdhsa_fp16_overflow 0
		.amdhsa_tg_split 0
		.amdhsa_exception_fp_ieee_invalid_op 0
		.amdhsa_exception_fp_denorm_src 0
		.amdhsa_exception_fp_ieee_div_zero 0
		.amdhsa_exception_fp_ieee_overflow 0
		.amdhsa_exception_fp_ieee_underflow 0
		.amdhsa_exception_fp_ieee_inexact 0
		.amdhsa_exception_int_div_zero 0
	.end_amdhsa_kernel
	.section	.text._ZN7rocprim17ROCPRIM_400000_NS6detail17trampoline_kernelINS0_14default_configENS1_22reduce_config_selectorIN6thrust23THRUST_200600_302600_NS5tupleIblNS6_9null_typeES8_S8_S8_S8_S8_S8_S8_EEEEZNS1_11reduce_implILb1ES3_NS6_12zip_iteratorINS7_INS6_11hip_rocprim26transform_input_iterator_tIbNSD_35transform_pair_of_input_iterators_tIbNS6_6detail15normal_iteratorINS6_10device_ptrIKxEEEESL_NS6_8equal_toIxEEEENSG_9not_fun_tINSD_8identityEEEEENSD_19counting_iterator_tIlEES8_S8_S8_S8_S8_S8_S8_S8_EEEEPS9_S9_NSD_9__find_if7functorIS9_EEEE10hipError_tPvRmT1_T2_T3_mT4_P12ihipStream_tbEUlT_E0_NS1_11comp_targetILNS1_3genE8ELNS1_11target_archE1030ELNS1_3gpuE2ELNS1_3repE0EEENS1_30default_config_static_selectorELNS0_4arch9wavefront6targetE1EEEvS14_,"axG",@progbits,_ZN7rocprim17ROCPRIM_400000_NS6detail17trampoline_kernelINS0_14default_configENS1_22reduce_config_selectorIN6thrust23THRUST_200600_302600_NS5tupleIblNS6_9null_typeES8_S8_S8_S8_S8_S8_S8_EEEEZNS1_11reduce_implILb1ES3_NS6_12zip_iteratorINS7_INS6_11hip_rocprim26transform_input_iterator_tIbNSD_35transform_pair_of_input_iterators_tIbNS6_6detail15normal_iteratorINS6_10device_ptrIKxEEEESL_NS6_8equal_toIxEEEENSG_9not_fun_tINSD_8identityEEEEENSD_19counting_iterator_tIlEES8_S8_S8_S8_S8_S8_S8_S8_EEEEPS9_S9_NSD_9__find_if7functorIS9_EEEE10hipError_tPvRmT1_T2_T3_mT4_P12ihipStream_tbEUlT_E0_NS1_11comp_targetILNS1_3genE8ELNS1_11target_archE1030ELNS1_3gpuE2ELNS1_3repE0EEENS1_30default_config_static_selectorELNS0_4arch9wavefront6targetE1EEEvS14_,comdat
.Lfunc_end74:
	.size	_ZN7rocprim17ROCPRIM_400000_NS6detail17trampoline_kernelINS0_14default_configENS1_22reduce_config_selectorIN6thrust23THRUST_200600_302600_NS5tupleIblNS6_9null_typeES8_S8_S8_S8_S8_S8_S8_EEEEZNS1_11reduce_implILb1ES3_NS6_12zip_iteratorINS7_INS6_11hip_rocprim26transform_input_iterator_tIbNSD_35transform_pair_of_input_iterators_tIbNS6_6detail15normal_iteratorINS6_10device_ptrIKxEEEESL_NS6_8equal_toIxEEEENSG_9not_fun_tINSD_8identityEEEEENSD_19counting_iterator_tIlEES8_S8_S8_S8_S8_S8_S8_S8_EEEEPS9_S9_NSD_9__find_if7functorIS9_EEEE10hipError_tPvRmT1_T2_T3_mT4_P12ihipStream_tbEUlT_E0_NS1_11comp_targetILNS1_3genE8ELNS1_11target_archE1030ELNS1_3gpuE2ELNS1_3repE0EEENS1_30default_config_static_selectorELNS0_4arch9wavefront6targetE1EEEvS14_, .Lfunc_end74-_ZN7rocprim17ROCPRIM_400000_NS6detail17trampoline_kernelINS0_14default_configENS1_22reduce_config_selectorIN6thrust23THRUST_200600_302600_NS5tupleIblNS6_9null_typeES8_S8_S8_S8_S8_S8_S8_EEEEZNS1_11reduce_implILb1ES3_NS6_12zip_iteratorINS7_INS6_11hip_rocprim26transform_input_iterator_tIbNSD_35transform_pair_of_input_iterators_tIbNS6_6detail15normal_iteratorINS6_10device_ptrIKxEEEESL_NS6_8equal_toIxEEEENSG_9not_fun_tINSD_8identityEEEEENSD_19counting_iterator_tIlEES8_S8_S8_S8_S8_S8_S8_S8_EEEEPS9_S9_NSD_9__find_if7functorIS9_EEEE10hipError_tPvRmT1_T2_T3_mT4_P12ihipStream_tbEUlT_E0_NS1_11comp_targetILNS1_3genE8ELNS1_11target_archE1030ELNS1_3gpuE2ELNS1_3repE0EEENS1_30default_config_static_selectorELNS0_4arch9wavefront6targetE1EEEvS14_
                                        ; -- End function
	.section	.AMDGPU.csdata,"",@progbits
; Kernel info:
; codeLenInByte = 0
; NumSgprs: 4
; NumVgprs: 0
; NumAgprs: 0
; TotalNumVgprs: 0
; ScratchSize: 0
; MemoryBound: 0
; FloatMode: 240
; IeeeMode: 1
; LDSByteSize: 0 bytes/workgroup (compile time only)
; SGPRBlocks: 0
; VGPRBlocks: 0
; NumSGPRsForWavesPerEU: 4
; NumVGPRsForWavesPerEU: 1
; AccumOffset: 4
; Occupancy: 8
; WaveLimiterHint : 0
; COMPUTE_PGM_RSRC2:SCRATCH_EN: 0
; COMPUTE_PGM_RSRC2:USER_SGPR: 6
; COMPUTE_PGM_RSRC2:TRAP_HANDLER: 0
; COMPUTE_PGM_RSRC2:TGID_X_EN: 1
; COMPUTE_PGM_RSRC2:TGID_Y_EN: 0
; COMPUTE_PGM_RSRC2:TGID_Z_EN: 0
; COMPUTE_PGM_RSRC2:TIDIG_COMP_CNT: 0
; COMPUTE_PGM_RSRC3_GFX90A:ACCUM_OFFSET: 0
; COMPUTE_PGM_RSRC3_GFX90A:TG_SPLIT: 0
	.section	.text._ZN7rocprim17ROCPRIM_400000_NS6detail17trampoline_kernelINS0_14default_configENS1_22reduce_config_selectorIN6thrust23THRUST_200600_302600_NS5tupleIblNS6_9null_typeES8_S8_S8_S8_S8_S8_S8_EEEEZNS1_11reduce_implILb1ES3_NS6_12zip_iteratorINS7_INS6_11hip_rocprim26transform_input_iterator_tIbNSD_35transform_pair_of_input_iterators_tIbNS6_6detail15normal_iteratorINS6_10device_ptrIKxEEEESL_NS6_8equal_toIxEEEENSG_9not_fun_tINSD_8identityEEEEENSD_19counting_iterator_tIlEES8_S8_S8_S8_S8_S8_S8_S8_EEEEPS9_S9_NSD_9__find_if7functorIS9_EEEE10hipError_tPvRmT1_T2_T3_mT4_P12ihipStream_tbEUlT_E1_NS1_11comp_targetILNS1_3genE0ELNS1_11target_archE4294967295ELNS1_3gpuE0ELNS1_3repE0EEENS1_30default_config_static_selectorELNS0_4arch9wavefront6targetE1EEEvS14_,"axG",@progbits,_ZN7rocprim17ROCPRIM_400000_NS6detail17trampoline_kernelINS0_14default_configENS1_22reduce_config_selectorIN6thrust23THRUST_200600_302600_NS5tupleIblNS6_9null_typeES8_S8_S8_S8_S8_S8_S8_EEEEZNS1_11reduce_implILb1ES3_NS6_12zip_iteratorINS7_INS6_11hip_rocprim26transform_input_iterator_tIbNSD_35transform_pair_of_input_iterators_tIbNS6_6detail15normal_iteratorINS6_10device_ptrIKxEEEESL_NS6_8equal_toIxEEEENSG_9not_fun_tINSD_8identityEEEEENSD_19counting_iterator_tIlEES8_S8_S8_S8_S8_S8_S8_S8_EEEEPS9_S9_NSD_9__find_if7functorIS9_EEEE10hipError_tPvRmT1_T2_T3_mT4_P12ihipStream_tbEUlT_E1_NS1_11comp_targetILNS1_3genE0ELNS1_11target_archE4294967295ELNS1_3gpuE0ELNS1_3repE0EEENS1_30default_config_static_selectorELNS0_4arch9wavefront6targetE1EEEvS14_,comdat
	.protected	_ZN7rocprim17ROCPRIM_400000_NS6detail17trampoline_kernelINS0_14default_configENS1_22reduce_config_selectorIN6thrust23THRUST_200600_302600_NS5tupleIblNS6_9null_typeES8_S8_S8_S8_S8_S8_S8_EEEEZNS1_11reduce_implILb1ES3_NS6_12zip_iteratorINS7_INS6_11hip_rocprim26transform_input_iterator_tIbNSD_35transform_pair_of_input_iterators_tIbNS6_6detail15normal_iteratorINS6_10device_ptrIKxEEEESL_NS6_8equal_toIxEEEENSG_9not_fun_tINSD_8identityEEEEENSD_19counting_iterator_tIlEES8_S8_S8_S8_S8_S8_S8_S8_EEEEPS9_S9_NSD_9__find_if7functorIS9_EEEE10hipError_tPvRmT1_T2_T3_mT4_P12ihipStream_tbEUlT_E1_NS1_11comp_targetILNS1_3genE0ELNS1_11target_archE4294967295ELNS1_3gpuE0ELNS1_3repE0EEENS1_30default_config_static_selectorELNS0_4arch9wavefront6targetE1EEEvS14_ ; -- Begin function _ZN7rocprim17ROCPRIM_400000_NS6detail17trampoline_kernelINS0_14default_configENS1_22reduce_config_selectorIN6thrust23THRUST_200600_302600_NS5tupleIblNS6_9null_typeES8_S8_S8_S8_S8_S8_S8_EEEEZNS1_11reduce_implILb1ES3_NS6_12zip_iteratorINS7_INS6_11hip_rocprim26transform_input_iterator_tIbNSD_35transform_pair_of_input_iterators_tIbNS6_6detail15normal_iteratorINS6_10device_ptrIKxEEEESL_NS6_8equal_toIxEEEENSG_9not_fun_tINSD_8identityEEEEENSD_19counting_iterator_tIlEES8_S8_S8_S8_S8_S8_S8_S8_EEEEPS9_S9_NSD_9__find_if7functorIS9_EEEE10hipError_tPvRmT1_T2_T3_mT4_P12ihipStream_tbEUlT_E1_NS1_11comp_targetILNS1_3genE0ELNS1_11target_archE4294967295ELNS1_3gpuE0ELNS1_3repE0EEENS1_30default_config_static_selectorELNS0_4arch9wavefront6targetE1EEEvS14_
	.globl	_ZN7rocprim17ROCPRIM_400000_NS6detail17trampoline_kernelINS0_14default_configENS1_22reduce_config_selectorIN6thrust23THRUST_200600_302600_NS5tupleIblNS6_9null_typeES8_S8_S8_S8_S8_S8_S8_EEEEZNS1_11reduce_implILb1ES3_NS6_12zip_iteratorINS7_INS6_11hip_rocprim26transform_input_iterator_tIbNSD_35transform_pair_of_input_iterators_tIbNS6_6detail15normal_iteratorINS6_10device_ptrIKxEEEESL_NS6_8equal_toIxEEEENSG_9not_fun_tINSD_8identityEEEEENSD_19counting_iterator_tIlEES8_S8_S8_S8_S8_S8_S8_S8_EEEEPS9_S9_NSD_9__find_if7functorIS9_EEEE10hipError_tPvRmT1_T2_T3_mT4_P12ihipStream_tbEUlT_E1_NS1_11comp_targetILNS1_3genE0ELNS1_11target_archE4294967295ELNS1_3gpuE0ELNS1_3repE0EEENS1_30default_config_static_selectorELNS0_4arch9wavefront6targetE1EEEvS14_
	.p2align	8
	.type	_ZN7rocprim17ROCPRIM_400000_NS6detail17trampoline_kernelINS0_14default_configENS1_22reduce_config_selectorIN6thrust23THRUST_200600_302600_NS5tupleIblNS6_9null_typeES8_S8_S8_S8_S8_S8_S8_EEEEZNS1_11reduce_implILb1ES3_NS6_12zip_iteratorINS7_INS6_11hip_rocprim26transform_input_iterator_tIbNSD_35transform_pair_of_input_iterators_tIbNS6_6detail15normal_iteratorINS6_10device_ptrIKxEEEESL_NS6_8equal_toIxEEEENSG_9not_fun_tINSD_8identityEEEEENSD_19counting_iterator_tIlEES8_S8_S8_S8_S8_S8_S8_S8_EEEEPS9_S9_NSD_9__find_if7functorIS9_EEEE10hipError_tPvRmT1_T2_T3_mT4_P12ihipStream_tbEUlT_E1_NS1_11comp_targetILNS1_3genE0ELNS1_11target_archE4294967295ELNS1_3gpuE0ELNS1_3repE0EEENS1_30default_config_static_selectorELNS0_4arch9wavefront6targetE1EEEvS14_,@function
_ZN7rocprim17ROCPRIM_400000_NS6detail17trampoline_kernelINS0_14default_configENS1_22reduce_config_selectorIN6thrust23THRUST_200600_302600_NS5tupleIblNS6_9null_typeES8_S8_S8_S8_S8_S8_S8_EEEEZNS1_11reduce_implILb1ES3_NS6_12zip_iteratorINS7_INS6_11hip_rocprim26transform_input_iterator_tIbNSD_35transform_pair_of_input_iterators_tIbNS6_6detail15normal_iteratorINS6_10device_ptrIKxEEEESL_NS6_8equal_toIxEEEENSG_9not_fun_tINSD_8identityEEEEENSD_19counting_iterator_tIlEES8_S8_S8_S8_S8_S8_S8_S8_EEEEPS9_S9_NSD_9__find_if7functorIS9_EEEE10hipError_tPvRmT1_T2_T3_mT4_P12ihipStream_tbEUlT_E1_NS1_11comp_targetILNS1_3genE0ELNS1_11target_archE4294967295ELNS1_3gpuE0ELNS1_3repE0EEENS1_30default_config_static_selectorELNS0_4arch9wavefront6targetE1EEEvS14_: ; @_ZN7rocprim17ROCPRIM_400000_NS6detail17trampoline_kernelINS0_14default_configENS1_22reduce_config_selectorIN6thrust23THRUST_200600_302600_NS5tupleIblNS6_9null_typeES8_S8_S8_S8_S8_S8_S8_EEEEZNS1_11reduce_implILb1ES3_NS6_12zip_iteratorINS7_INS6_11hip_rocprim26transform_input_iterator_tIbNSD_35transform_pair_of_input_iterators_tIbNS6_6detail15normal_iteratorINS6_10device_ptrIKxEEEESL_NS6_8equal_toIxEEEENSG_9not_fun_tINSD_8identityEEEEENSD_19counting_iterator_tIlEES8_S8_S8_S8_S8_S8_S8_S8_EEEEPS9_S9_NSD_9__find_if7functorIS9_EEEE10hipError_tPvRmT1_T2_T3_mT4_P12ihipStream_tbEUlT_E1_NS1_11comp_targetILNS1_3genE0ELNS1_11target_archE4294967295ELNS1_3gpuE0ELNS1_3repE0EEENS1_30default_config_static_selectorELNS0_4arch9wavefront6targetE1EEEvS14_
; %bb.0:
	.section	.rodata,"a",@progbits
	.p2align	6, 0x0
	.amdhsa_kernel _ZN7rocprim17ROCPRIM_400000_NS6detail17trampoline_kernelINS0_14default_configENS1_22reduce_config_selectorIN6thrust23THRUST_200600_302600_NS5tupleIblNS6_9null_typeES8_S8_S8_S8_S8_S8_S8_EEEEZNS1_11reduce_implILb1ES3_NS6_12zip_iteratorINS7_INS6_11hip_rocprim26transform_input_iterator_tIbNSD_35transform_pair_of_input_iterators_tIbNS6_6detail15normal_iteratorINS6_10device_ptrIKxEEEESL_NS6_8equal_toIxEEEENSG_9not_fun_tINSD_8identityEEEEENSD_19counting_iterator_tIlEES8_S8_S8_S8_S8_S8_S8_S8_EEEEPS9_S9_NSD_9__find_if7functorIS9_EEEE10hipError_tPvRmT1_T2_T3_mT4_P12ihipStream_tbEUlT_E1_NS1_11comp_targetILNS1_3genE0ELNS1_11target_archE4294967295ELNS1_3gpuE0ELNS1_3repE0EEENS1_30default_config_static_selectorELNS0_4arch9wavefront6targetE1EEEvS14_
		.amdhsa_group_segment_fixed_size 0
		.amdhsa_private_segment_fixed_size 0
		.amdhsa_kernarg_size 88
		.amdhsa_user_sgpr_count 6
		.amdhsa_user_sgpr_private_segment_buffer 1
		.amdhsa_user_sgpr_dispatch_ptr 0
		.amdhsa_user_sgpr_queue_ptr 0
		.amdhsa_user_sgpr_kernarg_segment_ptr 1
		.amdhsa_user_sgpr_dispatch_id 0
		.amdhsa_user_sgpr_flat_scratch_init 0
		.amdhsa_user_sgpr_kernarg_preload_length 0
		.amdhsa_user_sgpr_kernarg_preload_offset 0
		.amdhsa_user_sgpr_private_segment_size 0
		.amdhsa_uses_dynamic_stack 0
		.amdhsa_system_sgpr_private_segment_wavefront_offset 0
		.amdhsa_system_sgpr_workgroup_id_x 1
		.amdhsa_system_sgpr_workgroup_id_y 0
		.amdhsa_system_sgpr_workgroup_id_z 0
		.amdhsa_system_sgpr_workgroup_info 0
		.amdhsa_system_vgpr_workitem_id 0
		.amdhsa_next_free_vgpr 1
		.amdhsa_next_free_sgpr 0
		.amdhsa_accum_offset 4
		.amdhsa_reserve_vcc 0
		.amdhsa_reserve_flat_scratch 0
		.amdhsa_float_round_mode_32 0
		.amdhsa_float_round_mode_16_64 0
		.amdhsa_float_denorm_mode_32 3
		.amdhsa_float_denorm_mode_16_64 3
		.amdhsa_dx10_clamp 1
		.amdhsa_ieee_mode 1
		.amdhsa_fp16_overflow 0
		.amdhsa_tg_split 0
		.amdhsa_exception_fp_ieee_invalid_op 0
		.amdhsa_exception_fp_denorm_src 0
		.amdhsa_exception_fp_ieee_div_zero 0
		.amdhsa_exception_fp_ieee_overflow 0
		.amdhsa_exception_fp_ieee_underflow 0
		.amdhsa_exception_fp_ieee_inexact 0
		.amdhsa_exception_int_div_zero 0
	.end_amdhsa_kernel
	.section	.text._ZN7rocprim17ROCPRIM_400000_NS6detail17trampoline_kernelINS0_14default_configENS1_22reduce_config_selectorIN6thrust23THRUST_200600_302600_NS5tupleIblNS6_9null_typeES8_S8_S8_S8_S8_S8_S8_EEEEZNS1_11reduce_implILb1ES3_NS6_12zip_iteratorINS7_INS6_11hip_rocprim26transform_input_iterator_tIbNSD_35transform_pair_of_input_iterators_tIbNS6_6detail15normal_iteratorINS6_10device_ptrIKxEEEESL_NS6_8equal_toIxEEEENSG_9not_fun_tINSD_8identityEEEEENSD_19counting_iterator_tIlEES8_S8_S8_S8_S8_S8_S8_S8_EEEEPS9_S9_NSD_9__find_if7functorIS9_EEEE10hipError_tPvRmT1_T2_T3_mT4_P12ihipStream_tbEUlT_E1_NS1_11comp_targetILNS1_3genE0ELNS1_11target_archE4294967295ELNS1_3gpuE0ELNS1_3repE0EEENS1_30default_config_static_selectorELNS0_4arch9wavefront6targetE1EEEvS14_,"axG",@progbits,_ZN7rocprim17ROCPRIM_400000_NS6detail17trampoline_kernelINS0_14default_configENS1_22reduce_config_selectorIN6thrust23THRUST_200600_302600_NS5tupleIblNS6_9null_typeES8_S8_S8_S8_S8_S8_S8_EEEEZNS1_11reduce_implILb1ES3_NS6_12zip_iteratorINS7_INS6_11hip_rocprim26transform_input_iterator_tIbNSD_35transform_pair_of_input_iterators_tIbNS6_6detail15normal_iteratorINS6_10device_ptrIKxEEEESL_NS6_8equal_toIxEEEENSG_9not_fun_tINSD_8identityEEEEENSD_19counting_iterator_tIlEES8_S8_S8_S8_S8_S8_S8_S8_EEEEPS9_S9_NSD_9__find_if7functorIS9_EEEE10hipError_tPvRmT1_T2_T3_mT4_P12ihipStream_tbEUlT_E1_NS1_11comp_targetILNS1_3genE0ELNS1_11target_archE4294967295ELNS1_3gpuE0ELNS1_3repE0EEENS1_30default_config_static_selectorELNS0_4arch9wavefront6targetE1EEEvS14_,comdat
.Lfunc_end75:
	.size	_ZN7rocprim17ROCPRIM_400000_NS6detail17trampoline_kernelINS0_14default_configENS1_22reduce_config_selectorIN6thrust23THRUST_200600_302600_NS5tupleIblNS6_9null_typeES8_S8_S8_S8_S8_S8_S8_EEEEZNS1_11reduce_implILb1ES3_NS6_12zip_iteratorINS7_INS6_11hip_rocprim26transform_input_iterator_tIbNSD_35transform_pair_of_input_iterators_tIbNS6_6detail15normal_iteratorINS6_10device_ptrIKxEEEESL_NS6_8equal_toIxEEEENSG_9not_fun_tINSD_8identityEEEEENSD_19counting_iterator_tIlEES8_S8_S8_S8_S8_S8_S8_S8_EEEEPS9_S9_NSD_9__find_if7functorIS9_EEEE10hipError_tPvRmT1_T2_T3_mT4_P12ihipStream_tbEUlT_E1_NS1_11comp_targetILNS1_3genE0ELNS1_11target_archE4294967295ELNS1_3gpuE0ELNS1_3repE0EEENS1_30default_config_static_selectorELNS0_4arch9wavefront6targetE1EEEvS14_, .Lfunc_end75-_ZN7rocprim17ROCPRIM_400000_NS6detail17trampoline_kernelINS0_14default_configENS1_22reduce_config_selectorIN6thrust23THRUST_200600_302600_NS5tupleIblNS6_9null_typeES8_S8_S8_S8_S8_S8_S8_EEEEZNS1_11reduce_implILb1ES3_NS6_12zip_iteratorINS7_INS6_11hip_rocprim26transform_input_iterator_tIbNSD_35transform_pair_of_input_iterators_tIbNS6_6detail15normal_iteratorINS6_10device_ptrIKxEEEESL_NS6_8equal_toIxEEEENSG_9not_fun_tINSD_8identityEEEEENSD_19counting_iterator_tIlEES8_S8_S8_S8_S8_S8_S8_S8_EEEEPS9_S9_NSD_9__find_if7functorIS9_EEEE10hipError_tPvRmT1_T2_T3_mT4_P12ihipStream_tbEUlT_E1_NS1_11comp_targetILNS1_3genE0ELNS1_11target_archE4294967295ELNS1_3gpuE0ELNS1_3repE0EEENS1_30default_config_static_selectorELNS0_4arch9wavefront6targetE1EEEvS14_
                                        ; -- End function
	.section	.AMDGPU.csdata,"",@progbits
; Kernel info:
; codeLenInByte = 0
; NumSgprs: 4
; NumVgprs: 0
; NumAgprs: 0
; TotalNumVgprs: 0
; ScratchSize: 0
; MemoryBound: 0
; FloatMode: 240
; IeeeMode: 1
; LDSByteSize: 0 bytes/workgroup (compile time only)
; SGPRBlocks: 0
; VGPRBlocks: 0
; NumSGPRsForWavesPerEU: 4
; NumVGPRsForWavesPerEU: 1
; AccumOffset: 4
; Occupancy: 8
; WaveLimiterHint : 0
; COMPUTE_PGM_RSRC2:SCRATCH_EN: 0
; COMPUTE_PGM_RSRC2:USER_SGPR: 6
; COMPUTE_PGM_RSRC2:TRAP_HANDLER: 0
; COMPUTE_PGM_RSRC2:TGID_X_EN: 1
; COMPUTE_PGM_RSRC2:TGID_Y_EN: 0
; COMPUTE_PGM_RSRC2:TGID_Z_EN: 0
; COMPUTE_PGM_RSRC2:TIDIG_COMP_CNT: 0
; COMPUTE_PGM_RSRC3_GFX90A:ACCUM_OFFSET: 0
; COMPUTE_PGM_RSRC3_GFX90A:TG_SPLIT: 0
	.section	.text._ZN7rocprim17ROCPRIM_400000_NS6detail17trampoline_kernelINS0_14default_configENS1_22reduce_config_selectorIN6thrust23THRUST_200600_302600_NS5tupleIblNS6_9null_typeES8_S8_S8_S8_S8_S8_S8_EEEEZNS1_11reduce_implILb1ES3_NS6_12zip_iteratorINS7_INS6_11hip_rocprim26transform_input_iterator_tIbNSD_35transform_pair_of_input_iterators_tIbNS6_6detail15normal_iteratorINS6_10device_ptrIKxEEEESL_NS6_8equal_toIxEEEENSG_9not_fun_tINSD_8identityEEEEENSD_19counting_iterator_tIlEES8_S8_S8_S8_S8_S8_S8_S8_EEEEPS9_S9_NSD_9__find_if7functorIS9_EEEE10hipError_tPvRmT1_T2_T3_mT4_P12ihipStream_tbEUlT_E1_NS1_11comp_targetILNS1_3genE5ELNS1_11target_archE942ELNS1_3gpuE9ELNS1_3repE0EEENS1_30default_config_static_selectorELNS0_4arch9wavefront6targetE1EEEvS14_,"axG",@progbits,_ZN7rocprim17ROCPRIM_400000_NS6detail17trampoline_kernelINS0_14default_configENS1_22reduce_config_selectorIN6thrust23THRUST_200600_302600_NS5tupleIblNS6_9null_typeES8_S8_S8_S8_S8_S8_S8_EEEEZNS1_11reduce_implILb1ES3_NS6_12zip_iteratorINS7_INS6_11hip_rocprim26transform_input_iterator_tIbNSD_35transform_pair_of_input_iterators_tIbNS6_6detail15normal_iteratorINS6_10device_ptrIKxEEEESL_NS6_8equal_toIxEEEENSG_9not_fun_tINSD_8identityEEEEENSD_19counting_iterator_tIlEES8_S8_S8_S8_S8_S8_S8_S8_EEEEPS9_S9_NSD_9__find_if7functorIS9_EEEE10hipError_tPvRmT1_T2_T3_mT4_P12ihipStream_tbEUlT_E1_NS1_11comp_targetILNS1_3genE5ELNS1_11target_archE942ELNS1_3gpuE9ELNS1_3repE0EEENS1_30default_config_static_selectorELNS0_4arch9wavefront6targetE1EEEvS14_,comdat
	.protected	_ZN7rocprim17ROCPRIM_400000_NS6detail17trampoline_kernelINS0_14default_configENS1_22reduce_config_selectorIN6thrust23THRUST_200600_302600_NS5tupleIblNS6_9null_typeES8_S8_S8_S8_S8_S8_S8_EEEEZNS1_11reduce_implILb1ES3_NS6_12zip_iteratorINS7_INS6_11hip_rocprim26transform_input_iterator_tIbNSD_35transform_pair_of_input_iterators_tIbNS6_6detail15normal_iteratorINS6_10device_ptrIKxEEEESL_NS6_8equal_toIxEEEENSG_9not_fun_tINSD_8identityEEEEENSD_19counting_iterator_tIlEES8_S8_S8_S8_S8_S8_S8_S8_EEEEPS9_S9_NSD_9__find_if7functorIS9_EEEE10hipError_tPvRmT1_T2_T3_mT4_P12ihipStream_tbEUlT_E1_NS1_11comp_targetILNS1_3genE5ELNS1_11target_archE942ELNS1_3gpuE9ELNS1_3repE0EEENS1_30default_config_static_selectorELNS0_4arch9wavefront6targetE1EEEvS14_ ; -- Begin function _ZN7rocprim17ROCPRIM_400000_NS6detail17trampoline_kernelINS0_14default_configENS1_22reduce_config_selectorIN6thrust23THRUST_200600_302600_NS5tupleIblNS6_9null_typeES8_S8_S8_S8_S8_S8_S8_EEEEZNS1_11reduce_implILb1ES3_NS6_12zip_iteratorINS7_INS6_11hip_rocprim26transform_input_iterator_tIbNSD_35transform_pair_of_input_iterators_tIbNS6_6detail15normal_iteratorINS6_10device_ptrIKxEEEESL_NS6_8equal_toIxEEEENSG_9not_fun_tINSD_8identityEEEEENSD_19counting_iterator_tIlEES8_S8_S8_S8_S8_S8_S8_S8_EEEEPS9_S9_NSD_9__find_if7functorIS9_EEEE10hipError_tPvRmT1_T2_T3_mT4_P12ihipStream_tbEUlT_E1_NS1_11comp_targetILNS1_3genE5ELNS1_11target_archE942ELNS1_3gpuE9ELNS1_3repE0EEENS1_30default_config_static_selectorELNS0_4arch9wavefront6targetE1EEEvS14_
	.globl	_ZN7rocprim17ROCPRIM_400000_NS6detail17trampoline_kernelINS0_14default_configENS1_22reduce_config_selectorIN6thrust23THRUST_200600_302600_NS5tupleIblNS6_9null_typeES8_S8_S8_S8_S8_S8_S8_EEEEZNS1_11reduce_implILb1ES3_NS6_12zip_iteratorINS7_INS6_11hip_rocprim26transform_input_iterator_tIbNSD_35transform_pair_of_input_iterators_tIbNS6_6detail15normal_iteratorINS6_10device_ptrIKxEEEESL_NS6_8equal_toIxEEEENSG_9not_fun_tINSD_8identityEEEEENSD_19counting_iterator_tIlEES8_S8_S8_S8_S8_S8_S8_S8_EEEEPS9_S9_NSD_9__find_if7functorIS9_EEEE10hipError_tPvRmT1_T2_T3_mT4_P12ihipStream_tbEUlT_E1_NS1_11comp_targetILNS1_3genE5ELNS1_11target_archE942ELNS1_3gpuE9ELNS1_3repE0EEENS1_30default_config_static_selectorELNS0_4arch9wavefront6targetE1EEEvS14_
	.p2align	8
	.type	_ZN7rocprim17ROCPRIM_400000_NS6detail17trampoline_kernelINS0_14default_configENS1_22reduce_config_selectorIN6thrust23THRUST_200600_302600_NS5tupleIblNS6_9null_typeES8_S8_S8_S8_S8_S8_S8_EEEEZNS1_11reduce_implILb1ES3_NS6_12zip_iteratorINS7_INS6_11hip_rocprim26transform_input_iterator_tIbNSD_35transform_pair_of_input_iterators_tIbNS6_6detail15normal_iteratorINS6_10device_ptrIKxEEEESL_NS6_8equal_toIxEEEENSG_9not_fun_tINSD_8identityEEEEENSD_19counting_iterator_tIlEES8_S8_S8_S8_S8_S8_S8_S8_EEEEPS9_S9_NSD_9__find_if7functorIS9_EEEE10hipError_tPvRmT1_T2_T3_mT4_P12ihipStream_tbEUlT_E1_NS1_11comp_targetILNS1_3genE5ELNS1_11target_archE942ELNS1_3gpuE9ELNS1_3repE0EEENS1_30default_config_static_selectorELNS0_4arch9wavefront6targetE1EEEvS14_,@function
_ZN7rocprim17ROCPRIM_400000_NS6detail17trampoline_kernelINS0_14default_configENS1_22reduce_config_selectorIN6thrust23THRUST_200600_302600_NS5tupleIblNS6_9null_typeES8_S8_S8_S8_S8_S8_S8_EEEEZNS1_11reduce_implILb1ES3_NS6_12zip_iteratorINS7_INS6_11hip_rocprim26transform_input_iterator_tIbNSD_35transform_pair_of_input_iterators_tIbNS6_6detail15normal_iteratorINS6_10device_ptrIKxEEEESL_NS6_8equal_toIxEEEENSG_9not_fun_tINSD_8identityEEEEENSD_19counting_iterator_tIlEES8_S8_S8_S8_S8_S8_S8_S8_EEEEPS9_S9_NSD_9__find_if7functorIS9_EEEE10hipError_tPvRmT1_T2_T3_mT4_P12ihipStream_tbEUlT_E1_NS1_11comp_targetILNS1_3genE5ELNS1_11target_archE942ELNS1_3gpuE9ELNS1_3repE0EEENS1_30default_config_static_selectorELNS0_4arch9wavefront6targetE1EEEvS14_: ; @_ZN7rocprim17ROCPRIM_400000_NS6detail17trampoline_kernelINS0_14default_configENS1_22reduce_config_selectorIN6thrust23THRUST_200600_302600_NS5tupleIblNS6_9null_typeES8_S8_S8_S8_S8_S8_S8_EEEEZNS1_11reduce_implILb1ES3_NS6_12zip_iteratorINS7_INS6_11hip_rocprim26transform_input_iterator_tIbNSD_35transform_pair_of_input_iterators_tIbNS6_6detail15normal_iteratorINS6_10device_ptrIKxEEEESL_NS6_8equal_toIxEEEENSG_9not_fun_tINSD_8identityEEEEENSD_19counting_iterator_tIlEES8_S8_S8_S8_S8_S8_S8_S8_EEEEPS9_S9_NSD_9__find_if7functorIS9_EEEE10hipError_tPvRmT1_T2_T3_mT4_P12ihipStream_tbEUlT_E1_NS1_11comp_targetILNS1_3genE5ELNS1_11target_archE942ELNS1_3gpuE9ELNS1_3repE0EEENS1_30default_config_static_selectorELNS0_4arch9wavefront6targetE1EEEvS14_
; %bb.0:
	.section	.rodata,"a",@progbits
	.p2align	6, 0x0
	.amdhsa_kernel _ZN7rocprim17ROCPRIM_400000_NS6detail17trampoline_kernelINS0_14default_configENS1_22reduce_config_selectorIN6thrust23THRUST_200600_302600_NS5tupleIblNS6_9null_typeES8_S8_S8_S8_S8_S8_S8_EEEEZNS1_11reduce_implILb1ES3_NS6_12zip_iteratorINS7_INS6_11hip_rocprim26transform_input_iterator_tIbNSD_35transform_pair_of_input_iterators_tIbNS6_6detail15normal_iteratorINS6_10device_ptrIKxEEEESL_NS6_8equal_toIxEEEENSG_9not_fun_tINSD_8identityEEEEENSD_19counting_iterator_tIlEES8_S8_S8_S8_S8_S8_S8_S8_EEEEPS9_S9_NSD_9__find_if7functorIS9_EEEE10hipError_tPvRmT1_T2_T3_mT4_P12ihipStream_tbEUlT_E1_NS1_11comp_targetILNS1_3genE5ELNS1_11target_archE942ELNS1_3gpuE9ELNS1_3repE0EEENS1_30default_config_static_selectorELNS0_4arch9wavefront6targetE1EEEvS14_
		.amdhsa_group_segment_fixed_size 0
		.amdhsa_private_segment_fixed_size 0
		.amdhsa_kernarg_size 88
		.amdhsa_user_sgpr_count 6
		.amdhsa_user_sgpr_private_segment_buffer 1
		.amdhsa_user_sgpr_dispatch_ptr 0
		.amdhsa_user_sgpr_queue_ptr 0
		.amdhsa_user_sgpr_kernarg_segment_ptr 1
		.amdhsa_user_sgpr_dispatch_id 0
		.amdhsa_user_sgpr_flat_scratch_init 0
		.amdhsa_user_sgpr_kernarg_preload_length 0
		.amdhsa_user_sgpr_kernarg_preload_offset 0
		.amdhsa_user_sgpr_private_segment_size 0
		.amdhsa_uses_dynamic_stack 0
		.amdhsa_system_sgpr_private_segment_wavefront_offset 0
		.amdhsa_system_sgpr_workgroup_id_x 1
		.amdhsa_system_sgpr_workgroup_id_y 0
		.amdhsa_system_sgpr_workgroup_id_z 0
		.amdhsa_system_sgpr_workgroup_info 0
		.amdhsa_system_vgpr_workitem_id 0
		.amdhsa_next_free_vgpr 1
		.amdhsa_next_free_sgpr 0
		.amdhsa_accum_offset 4
		.amdhsa_reserve_vcc 0
		.amdhsa_reserve_flat_scratch 0
		.amdhsa_float_round_mode_32 0
		.amdhsa_float_round_mode_16_64 0
		.amdhsa_float_denorm_mode_32 3
		.amdhsa_float_denorm_mode_16_64 3
		.amdhsa_dx10_clamp 1
		.amdhsa_ieee_mode 1
		.amdhsa_fp16_overflow 0
		.amdhsa_tg_split 0
		.amdhsa_exception_fp_ieee_invalid_op 0
		.amdhsa_exception_fp_denorm_src 0
		.amdhsa_exception_fp_ieee_div_zero 0
		.amdhsa_exception_fp_ieee_overflow 0
		.amdhsa_exception_fp_ieee_underflow 0
		.amdhsa_exception_fp_ieee_inexact 0
		.amdhsa_exception_int_div_zero 0
	.end_amdhsa_kernel
	.section	.text._ZN7rocprim17ROCPRIM_400000_NS6detail17trampoline_kernelINS0_14default_configENS1_22reduce_config_selectorIN6thrust23THRUST_200600_302600_NS5tupleIblNS6_9null_typeES8_S8_S8_S8_S8_S8_S8_EEEEZNS1_11reduce_implILb1ES3_NS6_12zip_iteratorINS7_INS6_11hip_rocprim26transform_input_iterator_tIbNSD_35transform_pair_of_input_iterators_tIbNS6_6detail15normal_iteratorINS6_10device_ptrIKxEEEESL_NS6_8equal_toIxEEEENSG_9not_fun_tINSD_8identityEEEEENSD_19counting_iterator_tIlEES8_S8_S8_S8_S8_S8_S8_S8_EEEEPS9_S9_NSD_9__find_if7functorIS9_EEEE10hipError_tPvRmT1_T2_T3_mT4_P12ihipStream_tbEUlT_E1_NS1_11comp_targetILNS1_3genE5ELNS1_11target_archE942ELNS1_3gpuE9ELNS1_3repE0EEENS1_30default_config_static_selectorELNS0_4arch9wavefront6targetE1EEEvS14_,"axG",@progbits,_ZN7rocprim17ROCPRIM_400000_NS6detail17trampoline_kernelINS0_14default_configENS1_22reduce_config_selectorIN6thrust23THRUST_200600_302600_NS5tupleIblNS6_9null_typeES8_S8_S8_S8_S8_S8_S8_EEEEZNS1_11reduce_implILb1ES3_NS6_12zip_iteratorINS7_INS6_11hip_rocprim26transform_input_iterator_tIbNSD_35transform_pair_of_input_iterators_tIbNS6_6detail15normal_iteratorINS6_10device_ptrIKxEEEESL_NS6_8equal_toIxEEEENSG_9not_fun_tINSD_8identityEEEEENSD_19counting_iterator_tIlEES8_S8_S8_S8_S8_S8_S8_S8_EEEEPS9_S9_NSD_9__find_if7functorIS9_EEEE10hipError_tPvRmT1_T2_T3_mT4_P12ihipStream_tbEUlT_E1_NS1_11comp_targetILNS1_3genE5ELNS1_11target_archE942ELNS1_3gpuE9ELNS1_3repE0EEENS1_30default_config_static_selectorELNS0_4arch9wavefront6targetE1EEEvS14_,comdat
.Lfunc_end76:
	.size	_ZN7rocprim17ROCPRIM_400000_NS6detail17trampoline_kernelINS0_14default_configENS1_22reduce_config_selectorIN6thrust23THRUST_200600_302600_NS5tupleIblNS6_9null_typeES8_S8_S8_S8_S8_S8_S8_EEEEZNS1_11reduce_implILb1ES3_NS6_12zip_iteratorINS7_INS6_11hip_rocprim26transform_input_iterator_tIbNSD_35transform_pair_of_input_iterators_tIbNS6_6detail15normal_iteratorINS6_10device_ptrIKxEEEESL_NS6_8equal_toIxEEEENSG_9not_fun_tINSD_8identityEEEEENSD_19counting_iterator_tIlEES8_S8_S8_S8_S8_S8_S8_S8_EEEEPS9_S9_NSD_9__find_if7functorIS9_EEEE10hipError_tPvRmT1_T2_T3_mT4_P12ihipStream_tbEUlT_E1_NS1_11comp_targetILNS1_3genE5ELNS1_11target_archE942ELNS1_3gpuE9ELNS1_3repE0EEENS1_30default_config_static_selectorELNS0_4arch9wavefront6targetE1EEEvS14_, .Lfunc_end76-_ZN7rocprim17ROCPRIM_400000_NS6detail17trampoline_kernelINS0_14default_configENS1_22reduce_config_selectorIN6thrust23THRUST_200600_302600_NS5tupleIblNS6_9null_typeES8_S8_S8_S8_S8_S8_S8_EEEEZNS1_11reduce_implILb1ES3_NS6_12zip_iteratorINS7_INS6_11hip_rocprim26transform_input_iterator_tIbNSD_35transform_pair_of_input_iterators_tIbNS6_6detail15normal_iteratorINS6_10device_ptrIKxEEEESL_NS6_8equal_toIxEEEENSG_9not_fun_tINSD_8identityEEEEENSD_19counting_iterator_tIlEES8_S8_S8_S8_S8_S8_S8_S8_EEEEPS9_S9_NSD_9__find_if7functorIS9_EEEE10hipError_tPvRmT1_T2_T3_mT4_P12ihipStream_tbEUlT_E1_NS1_11comp_targetILNS1_3genE5ELNS1_11target_archE942ELNS1_3gpuE9ELNS1_3repE0EEENS1_30default_config_static_selectorELNS0_4arch9wavefront6targetE1EEEvS14_
                                        ; -- End function
	.section	.AMDGPU.csdata,"",@progbits
; Kernel info:
; codeLenInByte = 0
; NumSgprs: 4
; NumVgprs: 0
; NumAgprs: 0
; TotalNumVgprs: 0
; ScratchSize: 0
; MemoryBound: 0
; FloatMode: 240
; IeeeMode: 1
; LDSByteSize: 0 bytes/workgroup (compile time only)
; SGPRBlocks: 0
; VGPRBlocks: 0
; NumSGPRsForWavesPerEU: 4
; NumVGPRsForWavesPerEU: 1
; AccumOffset: 4
; Occupancy: 8
; WaveLimiterHint : 0
; COMPUTE_PGM_RSRC2:SCRATCH_EN: 0
; COMPUTE_PGM_RSRC2:USER_SGPR: 6
; COMPUTE_PGM_RSRC2:TRAP_HANDLER: 0
; COMPUTE_PGM_RSRC2:TGID_X_EN: 1
; COMPUTE_PGM_RSRC2:TGID_Y_EN: 0
; COMPUTE_PGM_RSRC2:TGID_Z_EN: 0
; COMPUTE_PGM_RSRC2:TIDIG_COMP_CNT: 0
; COMPUTE_PGM_RSRC3_GFX90A:ACCUM_OFFSET: 0
; COMPUTE_PGM_RSRC3_GFX90A:TG_SPLIT: 0
	.section	.text._ZN7rocprim17ROCPRIM_400000_NS6detail17trampoline_kernelINS0_14default_configENS1_22reduce_config_selectorIN6thrust23THRUST_200600_302600_NS5tupleIblNS6_9null_typeES8_S8_S8_S8_S8_S8_S8_EEEEZNS1_11reduce_implILb1ES3_NS6_12zip_iteratorINS7_INS6_11hip_rocprim26transform_input_iterator_tIbNSD_35transform_pair_of_input_iterators_tIbNS6_6detail15normal_iteratorINS6_10device_ptrIKxEEEESL_NS6_8equal_toIxEEEENSG_9not_fun_tINSD_8identityEEEEENSD_19counting_iterator_tIlEES8_S8_S8_S8_S8_S8_S8_S8_EEEEPS9_S9_NSD_9__find_if7functorIS9_EEEE10hipError_tPvRmT1_T2_T3_mT4_P12ihipStream_tbEUlT_E1_NS1_11comp_targetILNS1_3genE4ELNS1_11target_archE910ELNS1_3gpuE8ELNS1_3repE0EEENS1_30default_config_static_selectorELNS0_4arch9wavefront6targetE1EEEvS14_,"axG",@progbits,_ZN7rocprim17ROCPRIM_400000_NS6detail17trampoline_kernelINS0_14default_configENS1_22reduce_config_selectorIN6thrust23THRUST_200600_302600_NS5tupleIblNS6_9null_typeES8_S8_S8_S8_S8_S8_S8_EEEEZNS1_11reduce_implILb1ES3_NS6_12zip_iteratorINS7_INS6_11hip_rocprim26transform_input_iterator_tIbNSD_35transform_pair_of_input_iterators_tIbNS6_6detail15normal_iteratorINS6_10device_ptrIKxEEEESL_NS6_8equal_toIxEEEENSG_9not_fun_tINSD_8identityEEEEENSD_19counting_iterator_tIlEES8_S8_S8_S8_S8_S8_S8_S8_EEEEPS9_S9_NSD_9__find_if7functorIS9_EEEE10hipError_tPvRmT1_T2_T3_mT4_P12ihipStream_tbEUlT_E1_NS1_11comp_targetILNS1_3genE4ELNS1_11target_archE910ELNS1_3gpuE8ELNS1_3repE0EEENS1_30default_config_static_selectorELNS0_4arch9wavefront6targetE1EEEvS14_,comdat
	.protected	_ZN7rocprim17ROCPRIM_400000_NS6detail17trampoline_kernelINS0_14default_configENS1_22reduce_config_selectorIN6thrust23THRUST_200600_302600_NS5tupleIblNS6_9null_typeES8_S8_S8_S8_S8_S8_S8_EEEEZNS1_11reduce_implILb1ES3_NS6_12zip_iteratorINS7_INS6_11hip_rocprim26transform_input_iterator_tIbNSD_35transform_pair_of_input_iterators_tIbNS6_6detail15normal_iteratorINS6_10device_ptrIKxEEEESL_NS6_8equal_toIxEEEENSG_9not_fun_tINSD_8identityEEEEENSD_19counting_iterator_tIlEES8_S8_S8_S8_S8_S8_S8_S8_EEEEPS9_S9_NSD_9__find_if7functorIS9_EEEE10hipError_tPvRmT1_T2_T3_mT4_P12ihipStream_tbEUlT_E1_NS1_11comp_targetILNS1_3genE4ELNS1_11target_archE910ELNS1_3gpuE8ELNS1_3repE0EEENS1_30default_config_static_selectorELNS0_4arch9wavefront6targetE1EEEvS14_ ; -- Begin function _ZN7rocprim17ROCPRIM_400000_NS6detail17trampoline_kernelINS0_14default_configENS1_22reduce_config_selectorIN6thrust23THRUST_200600_302600_NS5tupleIblNS6_9null_typeES8_S8_S8_S8_S8_S8_S8_EEEEZNS1_11reduce_implILb1ES3_NS6_12zip_iteratorINS7_INS6_11hip_rocprim26transform_input_iterator_tIbNSD_35transform_pair_of_input_iterators_tIbNS6_6detail15normal_iteratorINS6_10device_ptrIKxEEEESL_NS6_8equal_toIxEEEENSG_9not_fun_tINSD_8identityEEEEENSD_19counting_iterator_tIlEES8_S8_S8_S8_S8_S8_S8_S8_EEEEPS9_S9_NSD_9__find_if7functorIS9_EEEE10hipError_tPvRmT1_T2_T3_mT4_P12ihipStream_tbEUlT_E1_NS1_11comp_targetILNS1_3genE4ELNS1_11target_archE910ELNS1_3gpuE8ELNS1_3repE0EEENS1_30default_config_static_selectorELNS0_4arch9wavefront6targetE1EEEvS14_
	.globl	_ZN7rocprim17ROCPRIM_400000_NS6detail17trampoline_kernelINS0_14default_configENS1_22reduce_config_selectorIN6thrust23THRUST_200600_302600_NS5tupleIblNS6_9null_typeES8_S8_S8_S8_S8_S8_S8_EEEEZNS1_11reduce_implILb1ES3_NS6_12zip_iteratorINS7_INS6_11hip_rocprim26transform_input_iterator_tIbNSD_35transform_pair_of_input_iterators_tIbNS6_6detail15normal_iteratorINS6_10device_ptrIKxEEEESL_NS6_8equal_toIxEEEENSG_9not_fun_tINSD_8identityEEEEENSD_19counting_iterator_tIlEES8_S8_S8_S8_S8_S8_S8_S8_EEEEPS9_S9_NSD_9__find_if7functorIS9_EEEE10hipError_tPvRmT1_T2_T3_mT4_P12ihipStream_tbEUlT_E1_NS1_11comp_targetILNS1_3genE4ELNS1_11target_archE910ELNS1_3gpuE8ELNS1_3repE0EEENS1_30default_config_static_selectorELNS0_4arch9wavefront6targetE1EEEvS14_
	.p2align	8
	.type	_ZN7rocprim17ROCPRIM_400000_NS6detail17trampoline_kernelINS0_14default_configENS1_22reduce_config_selectorIN6thrust23THRUST_200600_302600_NS5tupleIblNS6_9null_typeES8_S8_S8_S8_S8_S8_S8_EEEEZNS1_11reduce_implILb1ES3_NS6_12zip_iteratorINS7_INS6_11hip_rocprim26transform_input_iterator_tIbNSD_35transform_pair_of_input_iterators_tIbNS6_6detail15normal_iteratorINS6_10device_ptrIKxEEEESL_NS6_8equal_toIxEEEENSG_9not_fun_tINSD_8identityEEEEENSD_19counting_iterator_tIlEES8_S8_S8_S8_S8_S8_S8_S8_EEEEPS9_S9_NSD_9__find_if7functorIS9_EEEE10hipError_tPvRmT1_T2_T3_mT4_P12ihipStream_tbEUlT_E1_NS1_11comp_targetILNS1_3genE4ELNS1_11target_archE910ELNS1_3gpuE8ELNS1_3repE0EEENS1_30default_config_static_selectorELNS0_4arch9wavefront6targetE1EEEvS14_,@function
_ZN7rocprim17ROCPRIM_400000_NS6detail17trampoline_kernelINS0_14default_configENS1_22reduce_config_selectorIN6thrust23THRUST_200600_302600_NS5tupleIblNS6_9null_typeES8_S8_S8_S8_S8_S8_S8_EEEEZNS1_11reduce_implILb1ES3_NS6_12zip_iteratorINS7_INS6_11hip_rocprim26transform_input_iterator_tIbNSD_35transform_pair_of_input_iterators_tIbNS6_6detail15normal_iteratorINS6_10device_ptrIKxEEEESL_NS6_8equal_toIxEEEENSG_9not_fun_tINSD_8identityEEEEENSD_19counting_iterator_tIlEES8_S8_S8_S8_S8_S8_S8_S8_EEEEPS9_S9_NSD_9__find_if7functorIS9_EEEE10hipError_tPvRmT1_T2_T3_mT4_P12ihipStream_tbEUlT_E1_NS1_11comp_targetILNS1_3genE4ELNS1_11target_archE910ELNS1_3gpuE8ELNS1_3repE0EEENS1_30default_config_static_selectorELNS0_4arch9wavefront6targetE1EEEvS14_: ; @_ZN7rocprim17ROCPRIM_400000_NS6detail17trampoline_kernelINS0_14default_configENS1_22reduce_config_selectorIN6thrust23THRUST_200600_302600_NS5tupleIblNS6_9null_typeES8_S8_S8_S8_S8_S8_S8_EEEEZNS1_11reduce_implILb1ES3_NS6_12zip_iteratorINS7_INS6_11hip_rocprim26transform_input_iterator_tIbNSD_35transform_pair_of_input_iterators_tIbNS6_6detail15normal_iteratorINS6_10device_ptrIKxEEEESL_NS6_8equal_toIxEEEENSG_9not_fun_tINSD_8identityEEEEENSD_19counting_iterator_tIlEES8_S8_S8_S8_S8_S8_S8_S8_EEEEPS9_S9_NSD_9__find_if7functorIS9_EEEE10hipError_tPvRmT1_T2_T3_mT4_P12ihipStream_tbEUlT_E1_NS1_11comp_targetILNS1_3genE4ELNS1_11target_archE910ELNS1_3gpuE8ELNS1_3repE0EEENS1_30default_config_static_selectorELNS0_4arch9wavefront6targetE1EEEvS14_
; %bb.0:
	s_load_dword s36, s[4:5], 0x4
	s_load_dwordx4 s[24:27], s[4:5], 0x8
	s_load_dwordx4 s[20:23], s[4:5], 0x28
	s_load_dword s33, s[4:5], 0x40
	s_load_dwordx2 s[18:19], s[4:5], 0x48
	s_waitcnt lgkmcnt(0)
	s_cmp_lt_i32 s36, 4
	s_cbranch_scc1 .LBB77_21
; %bb.1:
	s_cmp_gt_i32 s36, 7
	s_cbranch_scc0 .LBB77_22
; %bb.2:
	s_cmp_eq_u32 s36, 8
	s_mov_b64 s[28:29], 0
	s_cbranch_scc0 .LBB77_23
; %bb.3:
	s_mov_b32 s7, 0
	s_lshl_b32 s14, s6, 11
	s_mov_b32 s15, s7
	s_lshr_b64 s[0:1], s[22:23], 11
	s_lshl_b64 s[2:3], s[14:15], 3
	s_add_u32 s16, s24, s2
	s_addc_u32 s17, s25, s3
	s_add_u32 s30, s26, s2
	s_addc_u32 s31, s27, s3
	;; [unrolled: 2-line block ×3, first 2 shown]
	s_cmp_lg_u64 s[0:1], s[6:7]
	s_cbranch_scc0 .LBB77_44
; %bb.4:
	v_lshlrev_b32_e32 v1, 3, v0
	v_mov_b32_e32 v2, s17
	v_add_co_u32_e32 v28, vcc, s16, v1
	v_addc_co_u32_e32 v29, vcc, 0, v2, vcc
	v_mov_b32_e32 v2, s31
	v_add_co_u32_e32 v30, vcc, s30, v1
	v_addc_co_u32_e32 v31, vcc, 0, v2, vcc
	s_movk_i32 s0, 0x1000
	v_add_co_u32_e32 v10, vcc, s0, v28
	v_addc_co_u32_e32 v11, vcc, 0, v29, vcc
	s_movk_i32 s1, 0x2000
	v_add_co_u32_e32 v12, vcc, s1, v28
	v_addc_co_u32_e32 v13, vcc, 0, v29, vcc
	v_add_co_u32_e32 v14, vcc, s0, v30
	v_addc_co_u32_e32 v15, vcc, 0, v31, vcc
	v_add_co_u32_e32 v16, vcc, s1, v30
	global_load_dwordx2 v[2:3], v1, s[16:17]
	global_load_dwordx2 v[4:5], v1, s[30:31] offset:2048
	global_load_dwordx2 v[6:7], v1, s[30:31]
	global_load_dwordx2 v[8:9], v1, s[16:17] offset:2048
	v_addc_co_u32_e32 v17, vcc, 0, v31, vcc
	s_movk_i32 s0, 0x3000
	global_load_dwordx2 v[18:19], v[10:11], off offset:2048
	global_load_dwordx2 v[20:21], v[12:13], off offset:-4096
	global_load_dwordx2 v[22:23], v[12:13], off
	global_load_dwordx2 v[24:25], v[16:17], off offset:-4096
	global_load_dwordx2 v[26:27], v[16:17], off
	v_add_co_u32_e32 v10, vcc, s0, v28
	v_addc_co_u32_e32 v11, vcc, 0, v29, vcc
	v_add_co_u32_e32 v28, vcc, s0, v30
	v_addc_co_u32_e32 v29, vcc, 0, v31, vcc
	global_load_dwordx2 v[30:31], v[10:11], off
	global_load_dwordx2 v[32:33], v[10:11], off offset:2048
	global_load_dwordx2 v[34:35], v[28:29], off
	global_load_dwordx2 v[36:37], v[28:29], off offset:2048
	global_load_dwordx2 v[38:39], v[14:15], off offset:2048
	global_load_dwordx2 v[40:41], v[12:13], off offset:2048
	global_load_dwordx2 v[42:43], v[16:17], off offset:2048
	v_mov_b32_e32 v1, s38
	v_add_co_u32_e32 v17, vcc, s37, v0
	v_addc_co_u32_e32 v1, vcc, 0, v1, vcc
	v_mov_b32_e32 v10, 0x200
	v_mov_b32_e32 v11, 0x100
	;; [unrolled: 1-line block ×7, first 2 shown]
	s_waitcnt vmcnt(13)
	v_cmp_ne_u64_e64 s[0:1], v[2:3], v[6:7]
	s_waitcnt vmcnt(12)
	v_cmp_ne_u64_e32 vcc, v[8:9], v[4:5]
	v_cndmask_b32_e32 v4, v10, v11, vcc
	s_or_b64 s[34:35], s[0:1], vcc
	s_waitcnt vmcnt(8)
	v_cmp_ne_u64_e32 vcc, v[20:21], v[24:25]
	s_or_b64 vcc, s[34:35], vcc
	v_cndmask_b32_e64 v2, v4, 0, s[0:1]
	s_waitcnt vmcnt(7)
	v_cmp_ne_u64_e64 s[0:1], v[22:23], v[26:27]
	s_waitcnt vmcnt(4)
	v_cmp_ne_u64_e64 s[2:3], v[30:31], v[34:35]
	;; [unrolled: 2-line block ×4, first 2 shown]
	v_cndmask_b32_e64 v3, v12, v13, s[10:11]
	s_or_b64 s[10:11], vcc, s[10:11]
	s_waitcnt vmcnt(0)
	v_cmp_ne_u64_e64 s[12:13], v[40:41], v[42:43]
	v_cndmask_b32_e32 v2, v3, v2, vcc
	s_or_b64 vcc, s[10:11], s[0:1]
	v_cndmask_b32_e64 v4, v14, v15, s[12:13]
	s_or_b64 s[0:1], vcc, s[12:13]
	v_cndmask_b32_e32 v2, v4, v2, vcc
	s_or_b64 vcc, s[0:1], s[2:3]
	v_cndmask_b32_e32 v2, v16, v2, vcc
	v_add_co_u32_e64 v2, s[0:1], v17, v2
	v_addc_co_u32_e64 v3, s[0:1], 0, v1, s[0:1]
	s_or_b64 s[0:1], vcc, s[8:9]
	v_cndmask_b32_e64 v1, 0, 1, s[0:1]
	v_mov_b32_dpp v4, v2 quad_perm:[1,0,3,2] row_mask:0xf bank_mask:0xf bound_ctrl:1
	v_mov_b32_dpp v5, v3 quad_perm:[1,0,3,2] row_mask:0xf bank_mask:0xf bound_ctrl:1
	;; [unrolled: 1-line block ×3, first 2 shown]
	v_and_b32_e32 v7, 1, v6
	v_cmp_eq_u32_e32 vcc, 1, v7
	s_and_saveexec_b64 s[2:3], vcc
; %bb.5:
	v_cmp_lt_i64_e32 vcc, v[2:3], v[4:5]
	v_cndmask_b32_e64 v6, v6, 1, s[0:1]
	s_and_b64 vcc, s[0:1], vcc
	v_cndmask_b32_e32 v2, v4, v2, vcc
	v_and_b32_e32 v4, 1, v6
	v_cndmask_b32_e32 v3, v5, v3, vcc
	v_cmp_eq_u32_e32 vcc, 1, v4
	s_andn2_b64 s[0:1], s[0:1], exec
	s_and_b64 s[8:9], vcc, exec
	v_and_b32_e32 v1, 0xff, v6
	s_or_b64 s[0:1], s[0:1], s[8:9]
; %bb.6:
	s_or_b64 exec, exec, s[2:3]
	v_mov_b32_dpp v6, v1 quad_perm:[2,3,0,1] row_mask:0xf bank_mask:0xf bound_ctrl:1
	v_and_b32_e32 v7, 1, v6
	v_mov_b32_dpp v4, v2 quad_perm:[2,3,0,1] row_mask:0xf bank_mask:0xf bound_ctrl:1
	v_mov_b32_dpp v5, v3 quad_perm:[2,3,0,1] row_mask:0xf bank_mask:0xf bound_ctrl:1
	v_cmp_eq_u32_e32 vcc, 1, v7
	s_and_saveexec_b64 s[2:3], vcc
; %bb.7:
	v_cmp_lt_i64_e32 vcc, v[2:3], v[4:5]
	v_cndmask_b32_e64 v6, v6, 1, s[0:1]
	s_and_b64 vcc, s[0:1], vcc
	v_cndmask_b32_e32 v2, v4, v2, vcc
	v_and_b32_e32 v4, 1, v6
	v_cndmask_b32_e32 v3, v5, v3, vcc
	v_cmp_eq_u32_e32 vcc, 1, v4
	s_andn2_b64 s[0:1], s[0:1], exec
	s_and_b64 s[8:9], vcc, exec
	v_and_b32_e32 v1, 0xff, v6
	s_or_b64 s[0:1], s[0:1], s[8:9]
; %bb.8:
	s_or_b64 exec, exec, s[2:3]
	v_mov_b32_dpp v6, v1 row_ror:4 row_mask:0xf bank_mask:0xf bound_ctrl:1
	v_and_b32_e32 v7, 1, v6
	v_mov_b32_dpp v4, v2 row_ror:4 row_mask:0xf bank_mask:0xf bound_ctrl:1
	v_mov_b32_dpp v5, v3 row_ror:4 row_mask:0xf bank_mask:0xf bound_ctrl:1
	v_cmp_eq_u32_e32 vcc, 1, v7
	s_and_saveexec_b64 s[2:3], vcc
; %bb.9:
	v_cmp_lt_i64_e32 vcc, v[2:3], v[4:5]
	v_cndmask_b32_e64 v6, v6, 1, s[0:1]
	s_and_b64 vcc, s[0:1], vcc
	v_cndmask_b32_e32 v2, v4, v2, vcc
	v_and_b32_e32 v4, 1, v6
	v_cndmask_b32_e32 v3, v5, v3, vcc
	v_cmp_eq_u32_e32 vcc, 1, v4
	s_andn2_b64 s[0:1], s[0:1], exec
	s_and_b64 s[8:9], vcc, exec
	v_and_b32_e32 v1, 0xff, v6
	s_or_b64 s[0:1], s[0:1], s[8:9]
; %bb.10:
	s_or_b64 exec, exec, s[2:3]
	v_mov_b32_dpp v6, v1 row_ror:8 row_mask:0xf bank_mask:0xf bound_ctrl:1
	v_and_b32_e32 v7, 1, v6
	v_mov_b32_dpp v4, v2 row_ror:8 row_mask:0xf bank_mask:0xf bound_ctrl:1
	v_mov_b32_dpp v5, v3 row_ror:8 row_mask:0xf bank_mask:0xf bound_ctrl:1
	v_cmp_eq_u32_e32 vcc, 1, v7
	s_and_saveexec_b64 s[2:3], vcc
; %bb.11:
	v_cmp_lt_i64_e32 vcc, v[2:3], v[4:5]
	v_cndmask_b32_e64 v6, v6, 1, s[0:1]
	s_and_b64 vcc, s[0:1], vcc
	v_cndmask_b32_e32 v2, v4, v2, vcc
	v_and_b32_e32 v4, 1, v6
	v_cndmask_b32_e32 v3, v5, v3, vcc
	v_cmp_eq_u32_e32 vcc, 1, v4
	s_andn2_b64 s[0:1], s[0:1], exec
	s_and_b64 s[8:9], vcc, exec
	v_and_b32_e32 v1, 0xff, v6
	s_or_b64 s[0:1], s[0:1], s[8:9]
; %bb.12:
	s_or_b64 exec, exec, s[2:3]
	v_mov_b32_dpp v6, v1 row_bcast:15 row_mask:0xf bank_mask:0xf bound_ctrl:1
	v_and_b32_e32 v7, 1, v6
	v_mov_b32_dpp v4, v2 row_bcast:15 row_mask:0xf bank_mask:0xf bound_ctrl:1
	v_mov_b32_dpp v5, v3 row_bcast:15 row_mask:0xf bank_mask:0xf bound_ctrl:1
	v_cmp_eq_u32_e32 vcc, 1, v7
	s_and_saveexec_b64 s[2:3], vcc
; %bb.13:
	v_cmp_lt_i64_e32 vcc, v[2:3], v[4:5]
	v_cndmask_b32_e64 v6, v6, 1, s[0:1]
	s_and_b64 vcc, s[0:1], vcc
	v_cndmask_b32_e32 v2, v4, v2, vcc
	v_and_b32_e32 v4, 1, v6
	v_cndmask_b32_e32 v3, v5, v3, vcc
	v_cmp_eq_u32_e32 vcc, 1, v4
	s_andn2_b64 s[0:1], s[0:1], exec
	s_and_b64 s[8:9], vcc, exec
	v_and_b32_e32 v1, 0xff, v6
	s_or_b64 s[0:1], s[0:1], s[8:9]
; %bb.14:
	s_or_b64 exec, exec, s[2:3]
	v_mov_b32_dpp v6, v1 row_bcast:31 row_mask:0xf bank_mask:0xf bound_ctrl:1
	v_and_b32_e32 v7, 1, v6
	v_mov_b32_dpp v4, v2 row_bcast:31 row_mask:0xf bank_mask:0xf bound_ctrl:1
	v_mov_b32_dpp v5, v3 row_bcast:31 row_mask:0xf bank_mask:0xf bound_ctrl:1
	v_cmp_eq_u32_e32 vcc, 1, v7
	s_and_saveexec_b64 s[2:3], vcc
; %bb.15:
	v_cmp_lt_i64_e32 vcc, v[2:3], v[4:5]
	v_and_b32_e32 v1, 0xff, v6
	s_and_b64 vcc, s[0:1], vcc
	v_cndmask_b32_e32 v2, v4, v2, vcc
	v_cndmask_b32_e32 v3, v5, v3, vcc
	v_cndmask_b32_e64 v1, v1, 1, s[0:1]
; %bb.16:
	s_or_b64 exec, exec, s[2:3]
	v_mbcnt_lo_u32_b32 v4, -1, 0
	v_mbcnt_hi_u32_b32 v4, -1, v4
	v_bfrev_b32_e32 v5, 0.5
	v_lshl_or_b32 v5, v4, 2, v5
	ds_bpermute_b32 v7, v5, v1
	ds_bpermute_b32 v2, v5, v2
	;; [unrolled: 1-line block ×3, first 2 shown]
	v_cmp_eq_u32_e32 vcc, 0, v4
	s_and_saveexec_b64 s[0:1], vcc
	s_cbranch_execz .LBB77_18
; %bb.17:
	v_lshrrev_b32_e32 v1, 2, v0
	v_and_b32_e32 v1, 48, v1
	s_waitcnt lgkmcnt(2)
	ds_write_b8 v1, v7 offset:192
	s_waitcnt lgkmcnt(1)
	ds_write_b64 v1, v[2:3] offset:200
.LBB77_18:
	s_or_b64 exec, exec, s[0:1]
	v_cmp_gt_u32_e32 vcc, 64, v0
	s_waitcnt lgkmcnt(0)
	s_barrier
	s_and_saveexec_b64 s[2:3], vcc
	s_cbranch_execz .LBB77_20
; %bb.19:
	v_and_b32_e32 v1, 3, v4
	v_lshlrev_b32_e32 v2, 4, v1
	ds_read_u8 v5, v2 offset:192
	ds_read_b64 v[2:3], v2 offset:200
	v_cmp_ne_u32_e32 vcc, 3, v1
	v_addc_co_u32_e32 v6, vcc, 0, v4, vcc
	s_waitcnt lgkmcnt(1)
	v_and_b32_e32 v7, 0xff, v5
	v_lshlrev_b32_e32 v8, 2, v6
	ds_bpermute_b32 v9, v8, v7
	s_waitcnt lgkmcnt(1)
	ds_bpermute_b32 v6, v8, v2
	ds_bpermute_b32 v7, v8, v3
	v_and_b32_e32 v8, 1, v5
	s_waitcnt lgkmcnt(2)
	v_and_b32_e32 v10, 1, v9
	v_cmp_eq_u32_e64 s[0:1], 1, v10
	s_waitcnt lgkmcnt(0)
	v_cmp_lt_i64_e32 vcc, v[6:7], v[2:3]
	s_and_b64 vcc, s[0:1], vcc
	v_cndmask_b32_e64 v5, v5, 1, s[0:1]
	v_cndmask_b32_e32 v2, v2, v6, vcc
	v_cndmask_b32_e32 v3, v3, v7, vcc
	v_cmp_eq_u32_e32 vcc, 1, v8
	v_cndmask_b32_e32 v8, v9, v5, vcc
	v_cndmask_b32_e32 v3, v7, v3, vcc
	;; [unrolled: 1-line block ×3, first 2 shown]
	v_cmp_gt_u32_e32 vcc, 2, v1
	v_cndmask_b32_e64 v1, 0, 1, vcc
	v_lshlrev_b32_e32 v1, 1, v1
	v_and_b32_e32 v5, 0xff, v8
	v_add_lshl_u32 v1, v1, v4, 2
	ds_bpermute_b32 v6, v1, v5
	ds_bpermute_b32 v4, v1, v2
	;; [unrolled: 1-line block ×3, first 2 shown]
	v_and_b32_e32 v1, 1, v8
	s_waitcnt lgkmcnt(2)
	v_and_b32_e32 v7, 1, v6
	v_cmp_eq_u32_e64 s[0:1], 1, v7
	s_waitcnt lgkmcnt(0)
	v_cmp_lt_i64_e32 vcc, v[4:5], v[2:3]
	s_and_b64 vcc, s[0:1], vcc
	v_cndmask_b32_e64 v7, v8, 1, s[0:1]
	v_cndmask_b32_e32 v2, v2, v4, vcc
	v_cndmask_b32_e32 v3, v3, v5, vcc
	v_cmp_eq_u32_e32 vcc, 1, v1
	v_cndmask_b32_e32 v1, v6, v7, vcc
	v_cndmask_b32_e32 v3, v5, v3, vcc
	;; [unrolled: 1-line block ×3, first 2 shown]
	v_and_b32_e32 v7, 0xff, v1
.LBB77_20:
	s_or_b64 exec, exec, s[2:3]
	s_branch .LBB77_89
.LBB77_21:
	s_mov_b64 s[10:11], 0
                                        ; implicit-def: $vgpr4_vgpr5
                                        ; implicit-def: $vgpr1
	s_cbranch_execnz .LBB77_133
	s_branch .LBB77_208
.LBB77_22:
	s_mov_b64 s[28:29], -1
.LBB77_23:
	s_mov_b64 s[10:11], 0
                                        ; implicit-def: $vgpr4_vgpr5
                                        ; implicit-def: $vgpr1
	s_and_b64 vcc, exec, s[28:29]
	s_cbranch_vccz .LBB77_94
.LBB77_24:
	s_cmp_eq_u32 s36, 4
	s_cbranch_scc0 .LBB77_43
; %bb.25:
	s_mov_b32 s7, 0
	s_lshl_b32 s14, s6, 10
	s_mov_b32 s15, s7
	s_lshr_b64 s[0:1], s[22:23], 10
	s_lshl_b64 s[2:3], s[14:15], 3
	s_add_u32 s8, s24, s2
	s_addc_u32 s9, s25, s3
	s_add_u32 s12, s26, s2
	s_addc_u32 s13, s27, s3
	;; [unrolled: 2-line block ×3, first 2 shown]
	s_cmp_lg_u64 s[0:1], s[6:7]
	s_cbranch_scc0 .LBB77_95
; %bb.26:
	v_lshlrev_b32_e32 v1, 3, v0
	v_mov_b32_e32 v2, s9
	v_add_co_u32_e32 v10, vcc, s8, v1
	v_addc_co_u32_e32 v11, vcc, 0, v2, vcc
	v_mov_b32_e32 v2, s13
	v_add_co_u32_e32 v12, vcc, s12, v1
	v_addc_co_u32_e32 v13, vcc, 0, v2, vcc
	s_movk_i32 s0, 0x1000
	v_add_co_u32_e32 v10, vcc, s0, v10
	global_load_dwordx2 v[2:3], v1, s[8:9]
	s_waitcnt lgkmcnt(0)
	global_load_dwordx2 v[4:5], v1, s[12:13] offset:2048
	global_load_dwordx2 v[6:7], v1, s[12:13]
	global_load_dwordx2 v[8:9], v1, s[8:9] offset:2048
	v_addc_co_u32_e32 v11, vcc, 0, v11, vcc
	v_add_co_u32_e32 v12, vcc, s0, v12
	v_addc_co_u32_e32 v13, vcc, 0, v13, vcc
	global_load_dwordx2 v[14:15], v[10:11], off
	global_load_dwordx2 v[16:17], v[10:11], off offset:2048
	global_load_dwordx2 v[18:19], v[12:13], off
	global_load_dwordx2 v[20:21], v[12:13], off offset:2048
	v_mov_b32_e32 v1, s17
	v_add_co_u32_e32 v13, vcc, s16, v0
	v_addc_co_u32_e32 v1, vcc, 0, v1, vcc
	v_mov_b32_e32 v10, 0x200
	v_mov_b32_e32 v11, 0x100
	;; [unrolled: 1-line block ×3, first 2 shown]
	s_waitcnt vmcnt(5)
	v_cmp_ne_u64_e64 s[0:1], v[2:3], v[6:7]
	s_waitcnt vmcnt(4)
	v_cmp_ne_u64_e32 vcc, v[8:9], v[4:5]
	v_cndmask_b32_e32 v4, v10, v11, vcc
	s_or_b64 s[2:3], s[0:1], vcc
	v_cndmask_b32_e64 v2, v4, 0, s[0:1]
	s_waitcnt vmcnt(1)
	v_cmp_ne_u64_e32 vcc, v[14:15], v[18:19]
	s_or_b64 vcc, s[2:3], vcc
	s_waitcnt vmcnt(0)
	v_cmp_ne_u64_e64 s[0:1], v[16:17], v[20:21]
	v_cndmask_b32_e32 v2, v12, v2, vcc
	v_add_co_u32_e64 v2, s[2:3], v13, v2
	s_or_b64 s[0:1], vcc, s[0:1]
	v_addc_co_u32_e64 v3, s[2:3], 0, v1, s[2:3]
	v_cndmask_b32_e64 v1, 0, 1, s[0:1]
	v_mov_b32_dpp v4, v2 quad_perm:[1,0,3,2] row_mask:0xf bank_mask:0xf bound_ctrl:1
	v_mov_b32_dpp v5, v3 quad_perm:[1,0,3,2] row_mask:0xf bank_mask:0xf bound_ctrl:1
	;; [unrolled: 1-line block ×3, first 2 shown]
	v_and_b32_e32 v7, 1, v6
	v_cmp_eq_u32_e32 vcc, 1, v7
	s_and_saveexec_b64 s[2:3], vcc
; %bb.27:
	v_cmp_lt_i64_e32 vcc, v[2:3], v[4:5]
	v_cndmask_b32_e64 v6, v6, 1, s[0:1]
	s_and_b64 vcc, s[0:1], vcc
	v_cndmask_b32_e32 v2, v4, v2, vcc
	v_and_b32_e32 v4, 1, v6
	v_cndmask_b32_e32 v3, v5, v3, vcc
	v_cmp_eq_u32_e32 vcc, 1, v4
	s_andn2_b64 s[0:1], s[0:1], exec
	s_and_b64 s[28:29], vcc, exec
	v_and_b32_e32 v1, 0xff, v6
	s_or_b64 s[0:1], s[0:1], s[28:29]
; %bb.28:
	s_or_b64 exec, exec, s[2:3]
	v_mov_b32_dpp v6, v1 quad_perm:[2,3,0,1] row_mask:0xf bank_mask:0xf bound_ctrl:1
	v_and_b32_e32 v7, 1, v6
	v_mov_b32_dpp v4, v2 quad_perm:[2,3,0,1] row_mask:0xf bank_mask:0xf bound_ctrl:1
	v_mov_b32_dpp v5, v3 quad_perm:[2,3,0,1] row_mask:0xf bank_mask:0xf bound_ctrl:1
	v_cmp_eq_u32_e32 vcc, 1, v7
	s_and_saveexec_b64 s[2:3], vcc
; %bb.29:
	v_cmp_lt_i64_e32 vcc, v[2:3], v[4:5]
	v_cndmask_b32_e64 v6, v6, 1, s[0:1]
	s_and_b64 vcc, s[0:1], vcc
	v_cndmask_b32_e32 v2, v4, v2, vcc
	v_and_b32_e32 v4, 1, v6
	v_cndmask_b32_e32 v3, v5, v3, vcc
	v_cmp_eq_u32_e32 vcc, 1, v4
	s_andn2_b64 s[0:1], s[0:1], exec
	s_and_b64 s[28:29], vcc, exec
	v_and_b32_e32 v1, 0xff, v6
	s_or_b64 s[0:1], s[0:1], s[28:29]
; %bb.30:
	s_or_b64 exec, exec, s[2:3]
	v_mov_b32_dpp v6, v1 row_ror:4 row_mask:0xf bank_mask:0xf bound_ctrl:1
	v_and_b32_e32 v7, 1, v6
	v_mov_b32_dpp v4, v2 row_ror:4 row_mask:0xf bank_mask:0xf bound_ctrl:1
	v_mov_b32_dpp v5, v3 row_ror:4 row_mask:0xf bank_mask:0xf bound_ctrl:1
	v_cmp_eq_u32_e32 vcc, 1, v7
	s_and_saveexec_b64 s[2:3], vcc
; %bb.31:
	v_cmp_lt_i64_e32 vcc, v[2:3], v[4:5]
	v_cndmask_b32_e64 v6, v6, 1, s[0:1]
	s_and_b64 vcc, s[0:1], vcc
	v_cndmask_b32_e32 v2, v4, v2, vcc
	v_and_b32_e32 v4, 1, v6
	v_cndmask_b32_e32 v3, v5, v3, vcc
	v_cmp_eq_u32_e32 vcc, 1, v4
	s_andn2_b64 s[0:1], s[0:1], exec
	s_and_b64 s[28:29], vcc, exec
	v_and_b32_e32 v1, 0xff, v6
	s_or_b64 s[0:1], s[0:1], s[28:29]
; %bb.32:
	s_or_b64 exec, exec, s[2:3]
	v_mov_b32_dpp v6, v1 row_ror:8 row_mask:0xf bank_mask:0xf bound_ctrl:1
	v_and_b32_e32 v7, 1, v6
	v_mov_b32_dpp v4, v2 row_ror:8 row_mask:0xf bank_mask:0xf bound_ctrl:1
	v_mov_b32_dpp v5, v3 row_ror:8 row_mask:0xf bank_mask:0xf bound_ctrl:1
	v_cmp_eq_u32_e32 vcc, 1, v7
	s_and_saveexec_b64 s[2:3], vcc
; %bb.33:
	v_cmp_lt_i64_e32 vcc, v[2:3], v[4:5]
	v_cndmask_b32_e64 v6, v6, 1, s[0:1]
	s_and_b64 vcc, s[0:1], vcc
	v_cndmask_b32_e32 v2, v4, v2, vcc
	v_and_b32_e32 v4, 1, v6
	v_cndmask_b32_e32 v3, v5, v3, vcc
	v_cmp_eq_u32_e32 vcc, 1, v4
	s_andn2_b64 s[0:1], s[0:1], exec
	s_and_b64 s[28:29], vcc, exec
	v_and_b32_e32 v1, 0xff, v6
	s_or_b64 s[0:1], s[0:1], s[28:29]
; %bb.34:
	s_or_b64 exec, exec, s[2:3]
	v_mov_b32_dpp v6, v1 row_bcast:15 row_mask:0xf bank_mask:0xf bound_ctrl:1
	v_and_b32_e32 v7, 1, v6
	v_mov_b32_dpp v4, v2 row_bcast:15 row_mask:0xf bank_mask:0xf bound_ctrl:1
	v_mov_b32_dpp v5, v3 row_bcast:15 row_mask:0xf bank_mask:0xf bound_ctrl:1
	v_cmp_eq_u32_e32 vcc, 1, v7
	s_and_saveexec_b64 s[2:3], vcc
; %bb.35:
	v_cmp_lt_i64_e32 vcc, v[2:3], v[4:5]
	v_cndmask_b32_e64 v6, v6, 1, s[0:1]
	s_and_b64 vcc, s[0:1], vcc
	v_cndmask_b32_e32 v2, v4, v2, vcc
	v_and_b32_e32 v4, 1, v6
	v_cndmask_b32_e32 v3, v5, v3, vcc
	v_cmp_eq_u32_e32 vcc, 1, v4
	s_andn2_b64 s[0:1], s[0:1], exec
	s_and_b64 s[28:29], vcc, exec
	v_and_b32_e32 v1, 0xff, v6
	s_or_b64 s[0:1], s[0:1], s[28:29]
; %bb.36:
	s_or_b64 exec, exec, s[2:3]
	v_mov_b32_dpp v6, v1 row_bcast:31 row_mask:0xf bank_mask:0xf bound_ctrl:1
	v_and_b32_e32 v7, 1, v6
	v_mov_b32_dpp v4, v2 row_bcast:31 row_mask:0xf bank_mask:0xf bound_ctrl:1
	v_mov_b32_dpp v5, v3 row_bcast:31 row_mask:0xf bank_mask:0xf bound_ctrl:1
	v_cmp_eq_u32_e32 vcc, 1, v7
	s_and_saveexec_b64 s[2:3], vcc
; %bb.37:
	v_cmp_lt_i64_e32 vcc, v[2:3], v[4:5]
	v_and_b32_e32 v1, 0xff, v6
	s_and_b64 vcc, s[0:1], vcc
	v_cndmask_b32_e32 v2, v4, v2, vcc
	v_cndmask_b32_e32 v3, v5, v3, vcc
	v_cndmask_b32_e64 v1, v1, 1, s[0:1]
; %bb.38:
	s_or_b64 exec, exec, s[2:3]
	v_mbcnt_lo_u32_b32 v4, -1, 0
	v_mbcnt_hi_u32_b32 v4, -1, v4
	v_bfrev_b32_e32 v5, 0.5
	v_lshl_or_b32 v5, v4, 2, v5
	ds_bpermute_b32 v6, v5, v1
	ds_bpermute_b32 v2, v5, v2
	;; [unrolled: 1-line block ×3, first 2 shown]
	v_cmp_eq_u32_e32 vcc, 0, v4
	s_and_saveexec_b64 s[0:1], vcc
	s_cbranch_execz .LBB77_40
; %bb.39:
	v_lshrrev_b32_e32 v1, 2, v0
	v_and_b32_e32 v1, 48, v1
	s_waitcnt lgkmcnt(2)
	ds_write_b8 v1, v6 offset:128
	s_waitcnt lgkmcnt(1)
	ds_write_b64 v1, v[2:3] offset:136
.LBB77_40:
	s_or_b64 exec, exec, s[0:1]
	v_cmp_gt_u32_e32 vcc, 64, v0
	s_waitcnt lgkmcnt(0)
	s_barrier
	s_and_saveexec_b64 s[2:3], vcc
	s_cbranch_execz .LBB77_42
; %bb.41:
	v_and_b32_e32 v1, 3, v4
	v_lshlrev_b32_e32 v2, 4, v1
	ds_read_u8 v5, v2 offset:128
	ds_read_b64 v[2:3], v2 offset:136
	v_cmp_ne_u32_e32 vcc, 3, v1
	v_addc_co_u32_e32 v6, vcc, 0, v4, vcc
	s_waitcnt lgkmcnt(1)
	v_and_b32_e32 v7, 0xff, v5
	v_lshlrev_b32_e32 v8, 2, v6
	ds_bpermute_b32 v9, v8, v7
	s_waitcnt lgkmcnt(1)
	ds_bpermute_b32 v6, v8, v2
	ds_bpermute_b32 v7, v8, v3
	v_and_b32_e32 v8, 1, v5
	s_waitcnt lgkmcnt(2)
	v_and_b32_e32 v10, 1, v9
	v_cmp_eq_u32_e64 s[0:1], 1, v10
	s_waitcnt lgkmcnt(0)
	v_cmp_lt_i64_e32 vcc, v[6:7], v[2:3]
	s_and_b64 vcc, s[0:1], vcc
	v_cndmask_b32_e64 v5, v5, 1, s[0:1]
	v_cndmask_b32_e32 v2, v2, v6, vcc
	v_cndmask_b32_e32 v3, v3, v7, vcc
	v_cmp_eq_u32_e32 vcc, 1, v8
	v_cndmask_b32_e32 v8, v9, v5, vcc
	v_cndmask_b32_e32 v3, v7, v3, vcc
	;; [unrolled: 1-line block ×3, first 2 shown]
	v_cmp_gt_u32_e32 vcc, 2, v1
	v_cndmask_b32_e64 v1, 0, 1, vcc
	v_lshlrev_b32_e32 v1, 1, v1
	v_and_b32_e32 v5, 0xff, v8
	v_add_lshl_u32 v1, v1, v4, 2
	ds_bpermute_b32 v6, v1, v5
	ds_bpermute_b32 v4, v1, v2
	;; [unrolled: 1-line block ×3, first 2 shown]
	v_and_b32_e32 v1, 1, v8
	s_waitcnt lgkmcnt(2)
	v_and_b32_e32 v7, 1, v6
	v_cmp_eq_u32_e64 s[0:1], 1, v7
	s_waitcnt lgkmcnt(0)
	v_cmp_lt_i64_e32 vcc, v[4:5], v[2:3]
	s_and_b64 vcc, s[0:1], vcc
	v_cndmask_b32_e64 v7, v8, 1, s[0:1]
	v_cndmask_b32_e32 v2, v2, v4, vcc
	v_cndmask_b32_e32 v3, v3, v5, vcc
	v_cmp_eq_u32_e32 vcc, 1, v1
	v_cndmask_b32_e32 v1, v6, v7, vcc
	v_cndmask_b32_e32 v3, v5, v3, vcc
	;; [unrolled: 1-line block ×3, first 2 shown]
	v_and_b32_e32 v6, 0xff, v1
.LBB77_42:
	s_or_b64 exec, exec, s[2:3]
	s_branch .LBB77_128
.LBB77_43:
                                        ; implicit-def: $vgpr4_vgpr5
                                        ; implicit-def: $vgpr1
	s_branch .LBB77_208
.LBB77_44:
                                        ; implicit-def: $vgpr2_vgpr3
                                        ; implicit-def: $vgpr7
	s_cbranch_execz .LBB77_89
; %bb.45:
	s_sub_i32 s39, s22, s14
	v_pk_mov_b32 v[4:5], 0, 0
	v_cmp_gt_u32_e32 vcc, s39, v0
	v_mov_b32_e32 v18, 0
	v_pk_mov_b32 v[2:3], v[4:5], v[4:5] op_sel:[0,1]
	v_mov_b32_e32 v1, 0
	s_and_saveexec_b64 s[0:1], vcc
	s_cbranch_execz .LBB77_47
; %bb.46:
	v_lshlrev_b32_e32 v1, 3, v0
	global_load_dwordx2 v[6:7], v1, s[16:17]
	global_load_dwordx2 v[8:9], v1, s[30:31]
	v_mov_b32_e32 v1, s38
	v_add_co_u32_e32 v2, vcc, s37, v0
	v_addc_co_u32_e32 v3, vcc, 0, v1, vcc
	s_waitcnt vmcnt(0)
	v_cmp_ne_u64_e32 vcc, v[6:7], v[8:9]
	v_cndmask_b32_e64 v1, 0, 1, vcc
.LBB77_47:
	s_or_b64 exec, exec, s[0:1]
	v_or_b32_e32 v6, 0x100, v0
	v_cmp_gt_u32_e64 s[8:9], s39, v6
	s_and_saveexec_b64 s[0:1], s[8:9]
	s_cbranch_execz .LBB77_49
; %bb.48:
	v_lshlrev_b32_e32 v4, 3, v0
	global_load_dwordx2 v[8:9], v4, s[16:17] offset:2048
	global_load_dwordx2 v[10:11], v4, s[30:31] offset:2048
	v_mov_b32_e32 v5, s38
	v_add_co_u32_e32 v4, vcc, s37, v6
	v_addc_co_u32_e32 v5, vcc, 0, v5, vcc
	s_waitcnt vmcnt(0)
	v_cmp_ne_u64_e32 vcc, v[8:9], v[10:11]
	v_cndmask_b32_e64 v18, 0, 1, vcc
.LBB77_49:
	s_or_b64 exec, exec, s[0:1]
	v_or_b32_e32 v8, 0x200, v0
	v_pk_mov_b32 v[6:7], 0, 0
	v_cmp_gt_u32_e32 vcc, s39, v8
	v_mov_b32_e32 v19, 0
	v_pk_mov_b32 v[12:13], v[6:7], v[6:7] op_sel:[0,1]
	v_mov_b32_e32 v23, 0
	s_and_saveexec_b64 s[2:3], vcc
	s_cbranch_execz .LBB77_51
; %bb.50:
	v_lshlrev_b32_e32 v9, 3, v8
	global_load_dwordx2 v[10:11], v9, s[16:17]
	global_load_dwordx2 v[14:15], v9, s[30:31]
	v_mov_b32_e32 v9, s38
	v_add_co_u32_e64 v12, s[0:1], s37, v8
	v_addc_co_u32_e64 v13, s[0:1], 0, v9, s[0:1]
	s_waitcnt vmcnt(0)
	v_cmp_ne_u64_e64 s[0:1], v[10:11], v[14:15]
	v_cndmask_b32_e64 v23, 0, 1, s[0:1]
.LBB77_51:
	s_or_b64 exec, exec, s[2:3]
	v_or_b32_e32 v8, 0x300, v0
	v_cmp_gt_u32_e64 s[10:11], s39, v8
	s_and_saveexec_b64 s[2:3], s[10:11]
	s_cbranch_execz .LBB77_53
; %bb.52:
	v_lshlrev_b32_e32 v6, 3, v8
	global_load_dwordx2 v[10:11], v6, s[16:17]
	global_load_dwordx2 v[14:15], v6, s[30:31]
	v_mov_b32_e32 v7, s38
	v_add_co_u32_e64 v6, s[0:1], s37, v8
	v_addc_co_u32_e64 v7, s[0:1], 0, v7, s[0:1]
	s_waitcnt vmcnt(0)
	v_cmp_ne_u64_e64 s[0:1], v[10:11], v[14:15]
	v_cndmask_b32_e64 v19, 0, 1, s[0:1]
.LBB77_53:
	s_or_b64 exec, exec, s[2:3]
	v_or_b32_e32 v10, 0x400, v0
	v_pk_mov_b32 v[8:9], 0, 0
	v_cmp_gt_u32_e64 s[0:1], s39, v10
	v_mov_b32_e32 v20, 0
	v_pk_mov_b32 v[14:15], v[8:9], v[8:9] op_sel:[0,1]
	v_mov_b32_e32 v24, 0
	s_and_saveexec_b64 s[12:13], s[0:1]
	s_cbranch_execz .LBB77_55
; %bb.54:
	v_lshlrev_b32_e32 v11, 3, v10
	global_load_dwordx2 v[16:17], v11, s[16:17]
	global_load_dwordx2 v[24:25], v11, s[30:31]
	v_mov_b32_e32 v11, s38
	v_add_co_u32_e64 v14, s[2:3], s37, v10
	v_addc_co_u32_e64 v15, s[2:3], 0, v11, s[2:3]
	s_waitcnt vmcnt(0)
	v_cmp_ne_u64_e64 s[2:3], v[16:17], v[24:25]
	v_cndmask_b32_e64 v24, 0, 1, s[2:3]
.LBB77_55:
	s_or_b64 exec, exec, s[12:13]
	v_or_b32_e32 v10, 0x500, v0
	v_cmp_gt_u32_e64 s[12:13], s39, v10
	s_and_saveexec_b64 s[14:15], s[12:13]
	s_cbranch_execz .LBB77_57
; %bb.56:
	v_lshlrev_b32_e32 v8, 3, v10
	global_load_dwordx2 v[16:17], v8, s[16:17]
	global_load_dwordx2 v[20:21], v8, s[30:31]
	v_mov_b32_e32 v9, s38
	v_add_co_u32_e64 v8, s[2:3], s37, v10
	v_addc_co_u32_e64 v9, s[2:3], 0, v9, s[2:3]
	s_waitcnt vmcnt(0)
	v_cmp_ne_u64_e64 s[2:3], v[16:17], v[20:21]
	v_cndmask_b32_e64 v20, 0, 1, s[2:3]
.LBB77_57:
	s_or_b64 exec, exec, s[14:15]
	v_or_b32_e32 v25, 0x600, v0
	v_pk_mov_b32 v[10:11], 0, 0
	v_cmp_gt_u32_e64 s[2:3], s39, v25
	v_mov_b32_e32 v21, 0
	v_mov_b32_e32 v22, 0
	v_pk_mov_b32 v[16:17], v[10:11], v[10:11] op_sel:[0,1]
	s_and_saveexec_b64 s[34:35], s[2:3]
	s_cbranch_execz .LBB77_59
; %bb.58:
	v_lshlrev_b32_e32 v16, 3, v25
	global_load_dwordx2 v[26:27], v16, s[16:17]
	global_load_dwordx2 v[28:29], v16, s[30:31]
	v_mov_b32_e32 v17, s38
	v_add_co_u32_e64 v16, s[14:15], s37, v25
	v_addc_co_u32_e64 v17, s[14:15], 0, v17, s[14:15]
	s_waitcnt vmcnt(0)
	v_cmp_ne_u64_e64 s[14:15], v[26:27], v[28:29]
	v_cndmask_b32_e64 v22, 0, 1, s[14:15]
.LBB77_59:
	s_or_b64 exec, exec, s[34:35]
	v_or_b32_e32 v25, 0x700, v0
	v_cmp_gt_u32_e64 s[14:15], s39, v25
	s_and_saveexec_b64 s[34:35], s[14:15]
	s_cbranch_execnz .LBB77_240
; %bb.60:
	s_or_b64 exec, exec, s[34:35]
	s_and_saveexec_b64 s[30:31], s[8:9]
	s_cbranch_execnz .LBB77_241
.LBB77_61:
	s_or_b64 exec, exec, s[30:31]
	s_and_saveexec_b64 s[16:17], vcc
	s_cbranch_execnz .LBB77_242
.LBB77_62:
	s_or_b64 exec, exec, s[16:17]
	s_and_saveexec_b64 s[16:17], s[10:11]
	s_cbranch_execnz .LBB77_243
.LBB77_63:
	s_or_b64 exec, exec, s[16:17]
	s_and_saveexec_b64 s[8:9], s[0:1]
	s_cbranch_execnz .LBB77_244
.LBB77_64:
	s_or_b64 exec, exec, s[8:9]
	s_and_saveexec_b64 s[8:9], s[12:13]
	s_cbranch_execnz .LBB77_245
.LBB77_65:
	s_or_b64 exec, exec, s[8:9]
	s_and_saveexec_b64 s[8:9], s[2:3]
	s_cbranch_execnz .LBB77_246
.LBB77_66:
	s_or_b64 exec, exec, s[8:9]
	s_and_saveexec_b64 s[2:3], s[14:15]
	s_cbranch_execz .LBB77_68
.LBB77_67:
	v_and_b32_e32 v5, 1, v21
	v_cmp_lt_i64_e32 vcc, v[10:11], v[2:3]
	v_cmp_eq_u32_e64 s[0:1], 1, v5
	v_and_b32_e32 v4, 1, v1
	s_and_b64 vcc, s[0:1], vcc
	v_cndmask_b32_e64 v1, v1, 1, s[0:1]
	v_cndmask_b32_e32 v2, v2, v10, vcc
	v_cndmask_b32_e32 v3, v3, v11, vcc
	v_cmp_eq_u32_e32 vcc, 1, v4
	v_cndmask_b32_e32 v1, v21, v1, vcc
	v_cndmask_b32_e32 v3, v11, v3, vcc
	v_cndmask_b32_e32 v2, v10, v2, vcc
.LBB77_68:
	s_or_b64 exec, exec, s[2:3]
	v_mbcnt_lo_u32_b32 v4, -1, 0
	v_mbcnt_hi_u32_b32 v6, -1, v4
	v_and_b32_e32 v8, 63, v6
	v_cmp_ne_u32_e32 vcc, 63, v8
	v_addc_co_u32_e32 v4, vcc, 0, v6, vcc
	v_and_b32_e32 v7, 0xffff, v1
	v_lshlrev_b32_e32 v5, 2, v4
	ds_bpermute_b32 v11, v5, v7
	ds_bpermute_b32 v4, v5, v2
	;; [unrolled: 1-line block ×3, first 2 shown]
	s_min_u32 s8, s39, 0x100
	v_and_b32_e32 v9, 0xc0, v0
	v_sub_u32_e64 v10, s8, v9 clamp
	v_add_u32_e32 v9, 1, v8
	v_cmp_lt_u32_e32 vcc, v9, v10
	v_mov_b32_e32 v9, v7
	s_and_saveexec_b64 s[0:1], vcc
	s_xor_b64 s[2:3], exec, s[0:1]
	s_cbranch_execz .LBB77_70
; %bb.69:
	s_waitcnt lgkmcnt(2)
	v_and_b32_e32 v9, 1, v11
	s_waitcnt lgkmcnt(0)
	v_cmp_lt_i64_e32 vcc, v[4:5], v[2:3]
	v_cmp_eq_u32_e64 s[0:1], 1, v9
	v_and_b32_e32 v1, 1, v1
	s_and_b64 vcc, s[0:1], vcc
	v_cndmask_b32_e64 v7, v7, 1, s[0:1]
	v_cndmask_b32_e32 v2, v2, v4, vcc
	v_cndmask_b32_e32 v3, v3, v5, vcc
	v_cmp_eq_u32_e32 vcc, 1, v1
	v_cndmask_b32_e32 v9, v11, v7, vcc
	v_cndmask_b32_e32 v3, v5, v3, vcc
	;; [unrolled: 1-line block ×3, first 2 shown]
	v_and_b32_e32 v7, 0xff, v9
.LBB77_70:
	s_or_b64 exec, exec, s[2:3]
	v_cmp_gt_u32_e32 vcc, 62, v8
	v_cndmask_b32_e64 v1, 0, 1, vcc
	v_lshlrev_b32_e32 v1, 1, v1
	s_waitcnt lgkmcnt(0)
	v_add_lshl_u32 v5, v1, v6, 2
	ds_bpermute_b32 v1, v5, v7
	ds_bpermute_b32 v4, v5, v2
	ds_bpermute_b32 v5, v5, v3
	v_add_u32_e32 v11, 2, v8
	v_cmp_lt_u32_e32 vcc, v11, v10
	s_and_saveexec_b64 s[2:3], vcc
	s_cbranch_execz .LBB77_72
; %bb.71:
	s_waitcnt lgkmcnt(2)
	v_and_b32_e32 v11, 1, v1
	s_waitcnt lgkmcnt(0)
	v_cmp_lt_i64_e32 vcc, v[4:5], v[2:3]
	v_cmp_eq_u32_e64 s[0:1], 1, v11
	v_and_b32_e32 v7, 1, v9
	s_and_b64 vcc, s[0:1], vcc
	v_cndmask_b32_e64 v9, v9, 1, s[0:1]
	v_cndmask_b32_e32 v2, v2, v4, vcc
	v_cndmask_b32_e32 v3, v3, v5, vcc
	v_cmp_eq_u32_e32 vcc, 1, v7
	v_cndmask_b32_e32 v9, v1, v9, vcc
	v_cndmask_b32_e32 v3, v5, v3, vcc
	v_cndmask_b32_e32 v2, v4, v2, vcc
	v_and_b32_e32 v7, 0xff, v9
.LBB77_72:
	s_or_b64 exec, exec, s[2:3]
	v_cmp_gt_u32_e32 vcc, 60, v8
	s_waitcnt lgkmcnt(2)
	v_cndmask_b32_e64 v1, 0, 1, vcc
	v_lshlrev_b32_e32 v1, 2, v1
	s_waitcnt lgkmcnt(0)
	v_add_lshl_u32 v5, v1, v6, 2
	ds_bpermute_b32 v1, v5, v7
	ds_bpermute_b32 v4, v5, v2
	ds_bpermute_b32 v5, v5, v3
	v_add_u32_e32 v11, 4, v8
	v_cmp_lt_u32_e32 vcc, v11, v10
	s_and_saveexec_b64 s[2:3], vcc
	s_cbranch_execz .LBB77_74
; %bb.73:
	s_waitcnt lgkmcnt(2)
	v_and_b32_e32 v11, 1, v1
	s_waitcnt lgkmcnt(0)
	v_cmp_lt_i64_e32 vcc, v[4:5], v[2:3]
	v_cmp_eq_u32_e64 s[0:1], 1, v11
	v_and_b32_e32 v7, 1, v9
	s_and_b64 vcc, s[0:1], vcc
	v_cndmask_b32_e64 v9, v9, 1, s[0:1]
	v_cndmask_b32_e32 v2, v2, v4, vcc
	v_cndmask_b32_e32 v3, v3, v5, vcc
	v_cmp_eq_u32_e32 vcc, 1, v7
	v_cndmask_b32_e32 v9, v1, v9, vcc
	v_cndmask_b32_e32 v3, v5, v3, vcc
	v_cndmask_b32_e32 v2, v4, v2, vcc
	v_and_b32_e32 v7, 0xff, v9
.LBB77_74:
	s_or_b64 exec, exec, s[2:3]
	v_cmp_gt_u32_e32 vcc, 56, v8
	s_waitcnt lgkmcnt(2)
	;; [unrolled: 31-line block ×4, first 2 shown]
	v_cndmask_b32_e64 v1, 0, 1, vcc
	v_lshlrev_b32_e32 v1, 5, v1
	s_waitcnt lgkmcnt(0)
	v_add_lshl_u32 v5, v1, v6, 2
	ds_bpermute_b32 v1, v5, v7
	ds_bpermute_b32 v4, v5, v2
	;; [unrolled: 1-line block ×3, first 2 shown]
	v_add_u32_e32 v8, 32, v8
	v_cmp_lt_u32_e32 vcc, v8, v10
	s_and_saveexec_b64 s[2:3], vcc
	s_cbranch_execz .LBB77_80
; %bb.79:
	s_waitcnt lgkmcnt(2)
	v_and_b32_e32 v8, 1, v1
	s_waitcnt lgkmcnt(0)
	v_cmp_lt_i64_e32 vcc, v[4:5], v[2:3]
	v_cmp_eq_u32_e64 s[0:1], 1, v8
	v_and_b32_e32 v7, 1, v9
	s_and_b64 vcc, s[0:1], vcc
	v_cndmask_b32_e64 v8, v9, 1, s[0:1]
	v_cndmask_b32_e32 v2, v2, v4, vcc
	v_cndmask_b32_e32 v3, v3, v5, vcc
	v_cmp_eq_u32_e32 vcc, 1, v7
	v_cndmask_b32_e32 v9, v1, v8, vcc
	v_cndmask_b32_e32 v3, v5, v3, vcc
	v_cndmask_b32_e32 v2, v4, v2, vcc
	v_and_b32_e32 v7, 0xff, v9
.LBB77_80:
	s_or_b64 exec, exec, s[2:3]
	v_cmp_eq_u32_e32 vcc, 0, v6
	s_and_saveexec_b64 s[0:1], vcc
	s_cbranch_execz .LBB77_82
; %bb.81:
	s_waitcnt lgkmcnt(2)
	v_lshrrev_b32_e32 v1, 2, v0
	v_and_b32_e32 v1, 48, v1
	ds_write_b8 v1, v9 offset:256
	ds_write_b64 v1, v[2:3] offset:264
.LBB77_82:
	s_or_b64 exec, exec, s[0:1]
	v_cmp_gt_u32_e32 vcc, 4, v0
	s_waitcnt lgkmcnt(0)
	s_barrier
	s_and_saveexec_b64 s[2:3], vcc
	s_cbranch_execz .LBB77_88
; %bb.83:
	v_lshlrev_b32_e32 v2, 4, v6
	ds_read_u8 v1, v2 offset:256
	ds_read_b64 v[2:3], v2 offset:264
	v_and_b32_e32 v8, 3, v6
	v_cmp_ne_u32_e32 vcc, 3, v8
	v_addc_co_u32_e32 v4, vcc, 0, v6, vcc
	s_waitcnt lgkmcnt(1)
	v_and_b32_e32 v7, 0xff, v1
	v_lshlrev_b32_e32 v5, 2, v4
	ds_bpermute_b32 v9, v5, v7
	s_waitcnt lgkmcnt(1)
	ds_bpermute_b32 v4, v5, v2
	ds_bpermute_b32 v5, v5, v3
	s_add_i32 s8, s8, 63
	s_lshr_b32 s10, s8, 6
	v_add_u32_e32 v10, 1, v8
	v_cmp_gt_u32_e32 vcc, s10, v10
	s_and_saveexec_b64 s[8:9], vcc
	s_cbranch_execz .LBB77_85
; %bb.84:
	s_waitcnt lgkmcnt(2)
	v_and_b32_e32 v10, 1, v9
	s_waitcnt lgkmcnt(0)
	v_cmp_lt_i64_e32 vcc, v[4:5], v[2:3]
	v_cmp_eq_u32_e64 s[0:1], 1, v10
	v_and_b32_e32 v7, 1, v1
	s_and_b64 vcc, s[0:1], vcc
	v_cndmask_b32_e64 v1, v1, 1, s[0:1]
	v_cndmask_b32_e32 v2, v2, v4, vcc
	v_cndmask_b32_e32 v3, v3, v5, vcc
	v_cmp_eq_u32_e32 vcc, 1, v7
	v_cndmask_b32_e32 v1, v9, v1, vcc
	v_cndmask_b32_e32 v3, v5, v3, vcc
	;; [unrolled: 1-line block ×3, first 2 shown]
	v_and_b32_e32 v7, 0xff, v1
.LBB77_85:
	s_or_b64 exec, exec, s[8:9]
	v_cmp_gt_u32_e32 vcc, 2, v8
	s_waitcnt lgkmcnt(1)
	v_cndmask_b32_e64 v4, 0, 1, vcc
	v_lshlrev_b32_e32 v4, 1, v4
	s_waitcnt lgkmcnt(0)
	v_add_lshl_u32 v5, v4, v6, 2
	ds_bpermute_b32 v6, v5, v7
	ds_bpermute_b32 v4, v5, v2
	;; [unrolled: 1-line block ×3, first 2 shown]
	v_add_u32_e32 v8, 2, v8
	v_cmp_gt_u32_e32 vcc, s10, v8
	s_and_saveexec_b64 s[8:9], vcc
	s_cbranch_execz .LBB77_87
; %bb.86:
	s_waitcnt lgkmcnt(2)
	v_and_b32_e32 v8, 1, v6
	s_waitcnt lgkmcnt(0)
	v_cmp_lt_i64_e32 vcc, v[4:5], v[2:3]
	v_cmp_eq_u32_e64 s[0:1], 1, v8
	v_and_b32_e32 v7, 1, v1
	s_and_b64 vcc, s[0:1], vcc
	v_cndmask_b32_e64 v1, v1, 1, s[0:1]
	v_cndmask_b32_e32 v2, v2, v4, vcc
	v_cndmask_b32_e32 v3, v3, v5, vcc
	v_cmp_eq_u32_e32 vcc, 1, v7
	v_cndmask_b32_e32 v1, v6, v1, vcc
	v_cndmask_b32_e32 v3, v5, v3, vcc
	;; [unrolled: 1-line block ×3, first 2 shown]
	v_and_b32_e32 v7, 0xff, v1
.LBB77_87:
	s_or_b64 exec, exec, s[8:9]
.LBB77_88:
	s_or_b64 exec, exec, s[2:3]
.LBB77_89:
	v_cmp_eq_u32_e32 vcc, 0, v0
	s_mov_b64 s[10:11], 0
                                        ; implicit-def: $vgpr4_vgpr5
                                        ; implicit-def: $vgpr1
	s_and_saveexec_b64 s[0:1], vcc
	s_xor_b64 s[8:9], exec, s[0:1]
	s_cbranch_execz .LBB77_93
; %bb.90:
	s_cmp_eq_u64 s[22:23], 0
	s_waitcnt lgkmcnt(0)
	v_pk_mov_b32 v[4:5], s[18:19], s[18:19] op_sel:[0,1]
	v_mov_b32_e32 v1, s33
	s_cbranch_scc1 .LBB77_92
; %bb.91:
	v_and_b32_e32 v1, 1, v7
	s_bitcmp1_b32 s33, 0
	v_mov_b32_e32 v4, s33
	v_cmp_eq_u32_e32 vcc, 1, v1
	v_cmp_gt_i64_e64 s[2:3], s[18:19], v[2:3]
	v_cndmask_b32_e64 v1, v4, 1, vcc
	s_cselect_b64 s[0:1], -1, 0
	v_mov_b32_e32 v4, s18
	s_and_b64 vcc, vcc, s[2:3]
	v_mov_b32_e32 v5, s19
	v_cndmask_b32_e32 v4, v4, v2, vcc
	v_cndmask_b32_e32 v5, v5, v3, vcc
	v_cndmask_b32_e64 v1, v7, v1, s[0:1]
	v_cndmask_b32_e64 v5, v3, v5, s[0:1]
	;; [unrolled: 1-line block ×3, first 2 shown]
.LBB77_92:
	s_mov_b64 s[10:11], exec
.LBB77_93:
	s_or_b64 exec, exec, s[8:9]
	s_and_b64 vcc, exec, s[28:29]
	s_cbranch_vccnz .LBB77_24
.LBB77_94:
	s_branch .LBB77_208
.LBB77_95:
                                        ; implicit-def: $vgpr2_vgpr3
                                        ; implicit-def: $vgpr6
	s_cbranch_execz .LBB77_128
; %bb.96:
	s_sub_i32 s28, s22, s14
	s_waitcnt lgkmcnt(0)
	v_pk_mov_b32 v[4:5], 0, 0
	v_cmp_gt_u32_e32 vcc, s28, v0
	v_mov_b32_e32 v1, 0
	v_pk_mov_b32 v[2:3], v[4:5], v[4:5] op_sel:[0,1]
	v_mov_b32_e32 v10, 0
	s_and_saveexec_b64 s[0:1], vcc
	s_cbranch_execz .LBB77_98
; %bb.97:
	v_lshlrev_b32_e32 v2, 3, v0
	global_load_dwordx2 v[6:7], v2, s[8:9]
	global_load_dwordx2 v[8:9], v2, s[12:13]
	v_mov_b32_e32 v3, s17
	v_add_co_u32_e32 v2, vcc, s16, v0
	v_addc_co_u32_e32 v3, vcc, 0, v3, vcc
	s_waitcnt vmcnt(0)
	v_cmp_ne_u64_e32 vcc, v[6:7], v[8:9]
	v_cndmask_b32_e64 v10, 0, 1, vcc
.LBB77_98:
	s_or_b64 exec, exec, s[0:1]
	v_or_b32_e32 v6, 0x100, v0
	v_cmp_gt_u32_e64 s[0:1], s28, v6
	s_and_saveexec_b64 s[2:3], s[0:1]
	s_cbranch_execz .LBB77_100
; %bb.99:
	v_lshlrev_b32_e32 v1, 3, v0
	global_load_dwordx2 v[8:9], v1, s[8:9] offset:2048
	global_load_dwordx2 v[12:13], v1, s[12:13] offset:2048
	v_mov_b32_e32 v1, s17
	v_add_co_u32_e32 v4, vcc, s16, v6
	v_addc_co_u32_e32 v5, vcc, 0, v1, vcc
	s_waitcnt vmcnt(0)
	v_cmp_ne_u64_e32 vcc, v[8:9], v[12:13]
	v_cndmask_b32_e64 v1, 0, 1, vcc
.LBB77_100:
	s_or_b64 exec, exec, s[2:3]
	v_or_b32_e32 v13, 0x200, v0
	v_pk_mov_b32 v[6:7], 0, 0
	v_cmp_gt_u32_e32 vcc, s28, v13
	v_mov_b32_e32 v11, 0
	v_pk_mov_b32 v[8:9], v[6:7], v[6:7] op_sel:[0,1]
	v_mov_b32_e32 v12, 0
	s_and_saveexec_b64 s[14:15], vcc
	s_cbranch_execz .LBB77_102
; %bb.101:
	v_lshlrev_b32_e32 v8, 3, v13
	global_load_dwordx2 v[14:15], v8, s[8:9]
	global_load_dwordx2 v[16:17], v8, s[12:13]
	v_mov_b32_e32 v9, s17
	v_add_co_u32_e64 v8, s[2:3], s16, v13
	v_addc_co_u32_e64 v9, s[2:3], 0, v9, s[2:3]
	s_waitcnt vmcnt(0)
	v_cmp_ne_u64_e64 s[2:3], v[14:15], v[16:17]
	v_cndmask_b32_e64 v12, 0, 1, s[2:3]
.LBB77_102:
	s_or_b64 exec, exec, s[14:15]
	v_or_b32_e32 v13, 0x300, v0
	v_cmp_gt_u32_e64 s[2:3], s28, v13
	s_and_saveexec_b64 s[14:15], s[2:3]
	s_cbranch_execnz .LBB77_247
; %bb.103:
	s_or_b64 exec, exec, s[14:15]
	s_and_saveexec_b64 s[12:13], s[0:1]
	s_cbranch_execnz .LBB77_248
.LBB77_104:
	s_or_b64 exec, exec, s[12:13]
	s_and_saveexec_b64 s[8:9], vcc
	s_cbranch_execnz .LBB77_249
.LBB77_105:
	s_or_b64 exec, exec, s[8:9]
	s_and_saveexec_b64 s[8:9], s[2:3]
	s_cbranch_execz .LBB77_107
.LBB77_106:
	v_and_b32_e32 v4, 1, v11
	v_cmp_lt_i64_e32 vcc, v[6:7], v[2:3]
	v_cmp_eq_u32_e64 s[0:1], 1, v4
	v_and_b32_e32 v1, 1, v10
	s_and_b64 vcc, s[0:1], vcc
	v_cndmask_b32_e64 v4, v10, 1, s[0:1]
	v_cndmask_b32_e32 v2, v2, v6, vcc
	v_cndmask_b32_e32 v3, v3, v7, vcc
	v_cmp_eq_u32_e32 vcc, 1, v1
	v_cndmask_b32_e32 v10, v11, v4, vcc
	v_cndmask_b32_e32 v3, v7, v3, vcc
	;; [unrolled: 1-line block ×3, first 2 shown]
.LBB77_107:
	s_or_b64 exec, exec, s[8:9]
	v_mbcnt_lo_u32_b32 v1, -1, 0
	v_mbcnt_hi_u32_b32 v1, -1, v1
	v_and_b32_e32 v7, 63, v1
	v_cmp_ne_u32_e32 vcc, 63, v7
	v_addc_co_u32_e32 v4, vcc, 0, v1, vcc
	v_and_b32_e32 v6, 0xffff, v10
	v_lshlrev_b32_e32 v5, 2, v4
	ds_bpermute_b32 v11, v5, v6
	ds_bpermute_b32 v4, v5, v2
	;; [unrolled: 1-line block ×3, first 2 shown]
	s_min_u32 s8, s28, 0x100
	v_and_b32_e32 v8, 0xc0, v0
	v_sub_u32_e64 v9, s8, v8 clamp
	v_add_u32_e32 v8, 1, v7
	v_cmp_lt_u32_e32 vcc, v8, v9
	v_mov_b32_e32 v8, v6
	s_and_saveexec_b64 s[0:1], vcc
	s_xor_b64 s[2:3], exec, s[0:1]
	s_cbranch_execz .LBB77_109
; %bb.108:
	v_and_b32_e32 v8, 1, v10
	s_waitcnt lgkmcnt(2)
	v_and_b32_e32 v10, 1, v11
	s_waitcnt lgkmcnt(0)
	v_cmp_lt_i64_e32 vcc, v[4:5], v[2:3]
	v_cmp_eq_u32_e64 s[0:1], 1, v10
	s_and_b64 vcc, s[0:1], vcc
	v_cndmask_b32_e64 v6, v6, 1, s[0:1]
	v_cndmask_b32_e32 v2, v2, v4, vcc
	v_cndmask_b32_e32 v3, v3, v5, vcc
	v_cmp_eq_u32_e32 vcc, 1, v8
	v_cndmask_b32_e32 v8, v11, v6, vcc
	v_cndmask_b32_e32 v3, v5, v3, vcc
	;; [unrolled: 1-line block ×3, first 2 shown]
	v_and_b32_e32 v6, 0xff, v8
.LBB77_109:
	s_or_b64 exec, exec, s[2:3]
	v_cmp_gt_u32_e32 vcc, 62, v7
	s_waitcnt lgkmcnt(1)
	v_cndmask_b32_e64 v4, 0, 1, vcc
	v_lshlrev_b32_e32 v4, 1, v4
	s_waitcnt lgkmcnt(0)
	v_add_lshl_u32 v5, v4, v1, 2
	ds_bpermute_b32 v10, v5, v6
	ds_bpermute_b32 v4, v5, v2
	ds_bpermute_b32 v5, v5, v3
	v_add_u32_e32 v11, 2, v7
	v_cmp_lt_u32_e32 vcc, v11, v9
	s_and_saveexec_b64 s[2:3], vcc
	s_cbranch_execz .LBB77_111
; %bb.110:
	s_waitcnt lgkmcnt(2)
	v_and_b32_e32 v11, 1, v10
	s_waitcnt lgkmcnt(0)
	v_cmp_lt_i64_e32 vcc, v[4:5], v[2:3]
	v_cmp_eq_u32_e64 s[0:1], 1, v11
	v_and_b32_e32 v6, 1, v8
	s_and_b64 vcc, s[0:1], vcc
	v_cndmask_b32_e64 v8, v8, 1, s[0:1]
	v_cndmask_b32_e32 v2, v2, v4, vcc
	v_cndmask_b32_e32 v3, v3, v5, vcc
	v_cmp_eq_u32_e32 vcc, 1, v6
	v_cndmask_b32_e32 v8, v10, v8, vcc
	v_cndmask_b32_e32 v3, v5, v3, vcc
	v_cndmask_b32_e32 v2, v4, v2, vcc
	v_and_b32_e32 v6, 0xff, v8
.LBB77_111:
	s_or_b64 exec, exec, s[2:3]
	v_cmp_gt_u32_e32 vcc, 60, v7
	s_waitcnt lgkmcnt(1)
	v_cndmask_b32_e64 v4, 0, 1, vcc
	v_lshlrev_b32_e32 v4, 2, v4
	s_waitcnt lgkmcnt(0)
	v_add_lshl_u32 v5, v4, v1, 2
	ds_bpermute_b32 v10, v5, v6
	ds_bpermute_b32 v4, v5, v2
	ds_bpermute_b32 v5, v5, v3
	v_add_u32_e32 v11, 4, v7
	v_cmp_lt_u32_e32 vcc, v11, v9
	s_and_saveexec_b64 s[2:3], vcc
	s_cbranch_execz .LBB77_113
; %bb.112:
	s_waitcnt lgkmcnt(2)
	v_and_b32_e32 v11, 1, v10
	s_waitcnt lgkmcnt(0)
	v_cmp_lt_i64_e32 vcc, v[4:5], v[2:3]
	v_cmp_eq_u32_e64 s[0:1], 1, v11
	v_and_b32_e32 v6, 1, v8
	s_and_b64 vcc, s[0:1], vcc
	v_cndmask_b32_e64 v8, v8, 1, s[0:1]
	v_cndmask_b32_e32 v2, v2, v4, vcc
	v_cndmask_b32_e32 v3, v3, v5, vcc
	v_cmp_eq_u32_e32 vcc, 1, v6
	v_cndmask_b32_e32 v8, v10, v8, vcc
	v_cndmask_b32_e32 v3, v5, v3, vcc
	v_cndmask_b32_e32 v2, v4, v2, vcc
	v_and_b32_e32 v6, 0xff, v8
.LBB77_113:
	;; [unrolled: 31-line block ×5, first 2 shown]
	s_or_b64 exec, exec, s[2:3]
	v_cmp_eq_u32_e32 vcc, 0, v1
	s_and_saveexec_b64 s[0:1], vcc
	s_cbranch_execz .LBB77_121
; %bb.120:
	s_waitcnt lgkmcnt(1)
	v_lshrrev_b32_e32 v4, 2, v0
	v_and_b32_e32 v4, 48, v4
	ds_write_b8 v4, v8 offset:256
	ds_write_b64 v4, v[2:3] offset:264
.LBB77_121:
	s_or_b64 exec, exec, s[0:1]
	v_cmp_gt_u32_e32 vcc, 4, v0
	s_waitcnt lgkmcnt(0)
	s_barrier
	s_and_saveexec_b64 s[2:3], vcc
	s_cbranch_execz .LBB77_127
; %bb.122:
	v_lshlrev_b32_e32 v2, 4, v1
	ds_read_u8 v7, v2 offset:256
	ds_read_b64 v[2:3], v2 offset:264
	v_and_b32_e32 v8, 3, v1
	v_cmp_ne_u32_e32 vcc, 3, v8
	v_addc_co_u32_e32 v4, vcc, 0, v1, vcc
	s_waitcnt lgkmcnt(1)
	v_and_b32_e32 v6, 0xff, v7
	v_lshlrev_b32_e32 v5, 2, v4
	ds_bpermute_b32 v9, v5, v6
	s_waitcnt lgkmcnt(1)
	ds_bpermute_b32 v4, v5, v2
	ds_bpermute_b32 v5, v5, v3
	s_add_i32 s8, s8, 63
	s_lshr_b32 s12, s8, 6
	v_add_u32_e32 v10, 1, v8
	v_cmp_gt_u32_e32 vcc, s12, v10
	s_and_saveexec_b64 s[8:9], vcc
	s_cbranch_execz .LBB77_124
; %bb.123:
	s_waitcnt lgkmcnt(2)
	v_and_b32_e32 v10, 1, v9
	s_waitcnt lgkmcnt(0)
	v_cmp_lt_i64_e32 vcc, v[4:5], v[2:3]
	v_cmp_eq_u32_e64 s[0:1], 1, v10
	v_and_b32_e32 v6, 1, v7
	s_and_b64 vcc, s[0:1], vcc
	v_cndmask_b32_e64 v7, v7, 1, s[0:1]
	v_cndmask_b32_e32 v2, v2, v4, vcc
	v_cndmask_b32_e32 v3, v3, v5, vcc
	v_cmp_eq_u32_e32 vcc, 1, v6
	v_cndmask_b32_e32 v7, v9, v7, vcc
	v_cndmask_b32_e32 v3, v5, v3, vcc
	;; [unrolled: 1-line block ×3, first 2 shown]
	v_and_b32_e32 v6, 0xff, v7
.LBB77_124:
	s_or_b64 exec, exec, s[8:9]
	v_cmp_gt_u32_e32 vcc, 2, v8
	s_waitcnt lgkmcnt(1)
	v_cndmask_b32_e64 v4, 0, 1, vcc
	v_lshlrev_b32_e32 v4, 1, v4
	s_waitcnt lgkmcnt(0)
	v_add_lshl_u32 v5, v4, v1, 2
	ds_bpermute_b32 v1, v5, v6
	ds_bpermute_b32 v4, v5, v2
	;; [unrolled: 1-line block ×3, first 2 shown]
	v_add_u32_e32 v8, 2, v8
	v_cmp_gt_u32_e32 vcc, s12, v8
	s_and_saveexec_b64 s[8:9], vcc
	s_cbranch_execz .LBB77_126
; %bb.125:
	s_waitcnt lgkmcnt(2)
	v_and_b32_e32 v8, 1, v1
	s_waitcnt lgkmcnt(0)
	v_cmp_lt_i64_e32 vcc, v[4:5], v[2:3]
	v_cmp_eq_u32_e64 s[0:1], 1, v8
	v_and_b32_e32 v6, 1, v7
	s_and_b64 vcc, s[0:1], vcc
	v_cndmask_b32_e64 v7, v7, 1, s[0:1]
	v_cndmask_b32_e32 v2, v2, v4, vcc
	v_cndmask_b32_e32 v3, v3, v5, vcc
	v_cmp_eq_u32_e32 vcc, 1, v6
	v_cndmask_b32_e32 v1, v1, v7, vcc
	v_cndmask_b32_e32 v3, v5, v3, vcc
	;; [unrolled: 1-line block ×3, first 2 shown]
	v_and_b32_e32 v6, 0xff, v1
.LBB77_126:
	s_or_b64 exec, exec, s[8:9]
.LBB77_127:
	s_or_b64 exec, exec, s[2:3]
.LBB77_128:
	v_cmp_eq_u32_e32 vcc, 0, v0
                                        ; implicit-def: $vgpr4_vgpr5
                                        ; implicit-def: $vgpr1
	s_and_saveexec_b64 s[0:1], vcc
	s_xor_b64 s[8:9], exec, s[0:1]
	s_cbranch_execz .LBB77_132
; %bb.129:
	s_cmp_eq_u64 s[22:23], 0
	s_waitcnt lgkmcnt(0)
	v_pk_mov_b32 v[4:5], s[18:19], s[18:19] op_sel:[0,1]
	v_mov_b32_e32 v1, s33
	s_cbranch_scc1 .LBB77_131
; %bb.130:
	v_and_b32_e32 v1, 1, v6
	s_bitcmp1_b32 s33, 0
	v_mov_b32_e32 v4, s33
	v_cmp_eq_u32_e32 vcc, 1, v1
	v_cmp_gt_i64_e64 s[2:3], s[18:19], v[2:3]
	v_cndmask_b32_e64 v1, v4, 1, vcc
	s_cselect_b64 s[0:1], -1, 0
	v_mov_b32_e32 v4, s18
	s_and_b64 vcc, vcc, s[2:3]
	v_mov_b32_e32 v5, s19
	v_cndmask_b32_e32 v4, v4, v2, vcc
	v_cndmask_b32_e32 v5, v5, v3, vcc
	v_cndmask_b32_e64 v1, v6, v1, s[0:1]
	v_cndmask_b32_e64 v5, v3, v5, s[0:1]
	;; [unrolled: 1-line block ×3, first 2 shown]
.LBB77_131:
	s_or_b64 s[10:11], s[10:11], exec
.LBB77_132:
	s_or_b64 exec, exec, s[8:9]
	s_branch .LBB77_208
.LBB77_133:
	s_cmp_gt_i32 s36, 1
	s_cbranch_scc0 .LBB77_153
; %bb.134:
	s_cmp_eq_u32 s36, 2
	s_cbranch_scc0 .LBB77_154
; %bb.135:
	s_mov_b32 s7, 0
	s_lshl_b32 s12, s6, 9
	s_mov_b32 s13, s7
	s_lshr_b64 s[0:1], s[22:23], 9
	s_lshl_b64 s[8:9], s[12:13], 3
	s_add_u32 s2, s24, s8
	s_addc_u32 s3, s25, s9
	s_add_u32 s8, s26, s8
	s_addc_u32 s9, s27, s9
	;; [unrolled: 2-line block ×3, first 2 shown]
	s_cmp_lg_u64 s[0:1], s[6:7]
	s_cbranch_scc0 .LBB77_155
; %bb.136:
	s_waitcnt lgkmcnt(2)
	v_lshlrev_b32_e32 v1, 3, v0
	global_load_dwordx2 v[2:3], v1, s[8:9] offset:2048
	s_waitcnt lgkmcnt(0)
	global_load_dwordx2 v[4:5], v1, s[8:9]
	global_load_dwordx2 v[6:7], v1, s[2:3] offset:2048
	global_load_dwordx2 v[8:9], v1, s[2:3]
	v_mov_b32_e32 v1, s17
	v_add_co_u32_e32 v10, vcc, s16, v0
	v_addc_co_u32_e32 v1, vcc, 0, v1, vcc
	v_add_co_u32_e32 v11, vcc, 0x100, v10
	v_addc_co_u32_e32 v12, vcc, 0, v1, vcc
	s_waitcnt vmcnt(1)
	v_cmp_ne_u64_e32 vcc, v[6:7], v[2:3]
	s_waitcnt vmcnt(0)
	v_cmp_ne_u64_e64 s[0:1], v[8:9], v[4:5]
	v_cndmask_b32_e64 v3, v12, v1, s[0:1]
	v_cndmask_b32_e64 v2, v11, v10, s[0:1]
	s_or_b64 s[0:1], s[0:1], vcc
	v_cndmask_b32_e64 v1, 0, 1, s[0:1]
	v_mov_b32_dpp v4, v2 quad_perm:[1,0,3,2] row_mask:0xf bank_mask:0xf bound_ctrl:1
	v_mov_b32_dpp v5, v3 quad_perm:[1,0,3,2] row_mask:0xf bank_mask:0xf bound_ctrl:1
	;; [unrolled: 1-line block ×3, first 2 shown]
	v_and_b32_e32 v7, 1, v6
	v_cmp_eq_u32_e32 vcc, 1, v7
	s_and_saveexec_b64 s[14:15], vcc
; %bb.137:
	v_cmp_lt_i64_e32 vcc, v[2:3], v[4:5]
	v_cndmask_b32_e64 v6, v6, 1, s[0:1]
	s_and_b64 vcc, s[0:1], vcc
	v_cndmask_b32_e32 v2, v4, v2, vcc
	v_and_b32_e32 v4, 1, v6
	v_cndmask_b32_e32 v3, v5, v3, vcc
	v_cmp_eq_u32_e32 vcc, 1, v4
	s_andn2_b64 s[0:1], s[0:1], exec
	s_and_b64 s[28:29], vcc, exec
	v_and_b32_e32 v1, 0xff, v6
	s_or_b64 s[0:1], s[0:1], s[28:29]
; %bb.138:
	s_or_b64 exec, exec, s[14:15]
	v_mov_b32_dpp v6, v1 quad_perm:[2,3,0,1] row_mask:0xf bank_mask:0xf bound_ctrl:1
	v_and_b32_e32 v7, 1, v6
	v_mov_b32_dpp v4, v2 quad_perm:[2,3,0,1] row_mask:0xf bank_mask:0xf bound_ctrl:1
	v_mov_b32_dpp v5, v3 quad_perm:[2,3,0,1] row_mask:0xf bank_mask:0xf bound_ctrl:1
	v_cmp_eq_u32_e32 vcc, 1, v7
	s_and_saveexec_b64 s[14:15], vcc
; %bb.139:
	v_cmp_lt_i64_e32 vcc, v[2:3], v[4:5]
	v_cndmask_b32_e64 v6, v6, 1, s[0:1]
	s_and_b64 vcc, s[0:1], vcc
	v_cndmask_b32_e32 v2, v4, v2, vcc
	v_and_b32_e32 v4, 1, v6
	v_cndmask_b32_e32 v3, v5, v3, vcc
	v_cmp_eq_u32_e32 vcc, 1, v4
	s_andn2_b64 s[0:1], s[0:1], exec
	s_and_b64 s[28:29], vcc, exec
	v_and_b32_e32 v1, 0xff, v6
	s_or_b64 s[0:1], s[0:1], s[28:29]
; %bb.140:
	s_or_b64 exec, exec, s[14:15]
	v_mov_b32_dpp v6, v1 row_ror:4 row_mask:0xf bank_mask:0xf bound_ctrl:1
	v_and_b32_e32 v7, 1, v6
	v_mov_b32_dpp v4, v2 row_ror:4 row_mask:0xf bank_mask:0xf bound_ctrl:1
	v_mov_b32_dpp v5, v3 row_ror:4 row_mask:0xf bank_mask:0xf bound_ctrl:1
	v_cmp_eq_u32_e32 vcc, 1, v7
	s_and_saveexec_b64 s[14:15], vcc
; %bb.141:
	v_cmp_lt_i64_e32 vcc, v[2:3], v[4:5]
	v_cndmask_b32_e64 v6, v6, 1, s[0:1]
	s_and_b64 vcc, s[0:1], vcc
	v_cndmask_b32_e32 v2, v4, v2, vcc
	v_and_b32_e32 v4, 1, v6
	v_cndmask_b32_e32 v3, v5, v3, vcc
	v_cmp_eq_u32_e32 vcc, 1, v4
	s_andn2_b64 s[0:1], s[0:1], exec
	s_and_b64 s[28:29], vcc, exec
	v_and_b32_e32 v1, 0xff, v6
	s_or_b64 s[0:1], s[0:1], s[28:29]
; %bb.142:
	s_or_b64 exec, exec, s[14:15]
	v_mov_b32_dpp v6, v1 row_ror:8 row_mask:0xf bank_mask:0xf bound_ctrl:1
	v_and_b32_e32 v7, 1, v6
	v_mov_b32_dpp v4, v2 row_ror:8 row_mask:0xf bank_mask:0xf bound_ctrl:1
	v_mov_b32_dpp v5, v3 row_ror:8 row_mask:0xf bank_mask:0xf bound_ctrl:1
	v_cmp_eq_u32_e32 vcc, 1, v7
	s_and_saveexec_b64 s[14:15], vcc
; %bb.143:
	v_cmp_lt_i64_e32 vcc, v[2:3], v[4:5]
	v_cndmask_b32_e64 v6, v6, 1, s[0:1]
	s_and_b64 vcc, s[0:1], vcc
	v_cndmask_b32_e32 v2, v4, v2, vcc
	v_and_b32_e32 v4, 1, v6
	v_cndmask_b32_e32 v3, v5, v3, vcc
	v_cmp_eq_u32_e32 vcc, 1, v4
	s_andn2_b64 s[0:1], s[0:1], exec
	s_and_b64 s[28:29], vcc, exec
	v_and_b32_e32 v1, 0xff, v6
	s_or_b64 s[0:1], s[0:1], s[28:29]
; %bb.144:
	s_or_b64 exec, exec, s[14:15]
	v_mov_b32_dpp v6, v1 row_bcast:15 row_mask:0xf bank_mask:0xf bound_ctrl:1
	v_and_b32_e32 v7, 1, v6
	v_mov_b32_dpp v4, v2 row_bcast:15 row_mask:0xf bank_mask:0xf bound_ctrl:1
	v_mov_b32_dpp v5, v3 row_bcast:15 row_mask:0xf bank_mask:0xf bound_ctrl:1
	v_cmp_eq_u32_e32 vcc, 1, v7
	s_and_saveexec_b64 s[14:15], vcc
; %bb.145:
	v_cmp_lt_i64_e32 vcc, v[2:3], v[4:5]
	v_cndmask_b32_e64 v6, v6, 1, s[0:1]
	s_and_b64 vcc, s[0:1], vcc
	v_cndmask_b32_e32 v2, v4, v2, vcc
	v_and_b32_e32 v4, 1, v6
	v_cndmask_b32_e32 v3, v5, v3, vcc
	v_cmp_eq_u32_e32 vcc, 1, v4
	s_andn2_b64 s[0:1], s[0:1], exec
	s_and_b64 s[28:29], vcc, exec
	v_and_b32_e32 v1, 0xff, v6
	s_or_b64 s[0:1], s[0:1], s[28:29]
; %bb.146:
	s_or_b64 exec, exec, s[14:15]
	v_mov_b32_dpp v6, v1 row_bcast:31 row_mask:0xf bank_mask:0xf bound_ctrl:1
	v_and_b32_e32 v7, 1, v6
	v_mov_b32_dpp v4, v2 row_bcast:31 row_mask:0xf bank_mask:0xf bound_ctrl:1
	v_mov_b32_dpp v5, v3 row_bcast:31 row_mask:0xf bank_mask:0xf bound_ctrl:1
	v_cmp_eq_u32_e32 vcc, 1, v7
	s_and_saveexec_b64 s[14:15], vcc
; %bb.147:
	v_cmp_lt_i64_e32 vcc, v[2:3], v[4:5]
	v_and_b32_e32 v1, 0xff, v6
	s_and_b64 vcc, s[0:1], vcc
	v_cndmask_b32_e32 v2, v4, v2, vcc
	v_cndmask_b32_e32 v3, v5, v3, vcc
	v_cndmask_b32_e64 v1, v1, 1, s[0:1]
; %bb.148:
	s_or_b64 exec, exec, s[14:15]
	v_mbcnt_lo_u32_b32 v4, -1, 0
	v_mbcnt_hi_u32_b32 v4, -1, v4
	v_bfrev_b32_e32 v5, 0.5
	v_lshl_or_b32 v5, v4, 2, v5
	ds_bpermute_b32 v6, v5, v1
	ds_bpermute_b32 v2, v5, v2
	;; [unrolled: 1-line block ×3, first 2 shown]
	v_cmp_eq_u32_e32 vcc, 0, v4
	s_and_saveexec_b64 s[0:1], vcc
	s_cbranch_execz .LBB77_150
; %bb.149:
	v_lshrrev_b32_e32 v1, 2, v0
	v_and_b32_e32 v1, 48, v1
	s_waitcnt lgkmcnt(2)
	ds_write_b8 v1, v6 offset:64
	s_waitcnt lgkmcnt(1)
	ds_write_b64 v1, v[2:3] offset:72
.LBB77_150:
	s_or_b64 exec, exec, s[0:1]
	v_cmp_gt_u32_e32 vcc, 64, v0
	s_waitcnt lgkmcnt(0)
	s_barrier
	s_and_saveexec_b64 s[14:15], vcc
	s_cbranch_execz .LBB77_152
; %bb.151:
	v_and_b32_e32 v1, 3, v4
	v_lshlrev_b32_e32 v2, 4, v1
	ds_read_u8 v5, v2 offset:64
	ds_read_b64 v[2:3], v2 offset:72
	v_cmp_ne_u32_e32 vcc, 3, v1
	v_addc_co_u32_e32 v6, vcc, 0, v4, vcc
	s_waitcnt lgkmcnt(1)
	v_and_b32_e32 v7, 0xff, v5
	v_lshlrev_b32_e32 v8, 2, v6
	ds_bpermute_b32 v9, v8, v7
	s_waitcnt lgkmcnt(1)
	ds_bpermute_b32 v6, v8, v2
	ds_bpermute_b32 v7, v8, v3
	v_and_b32_e32 v8, 1, v5
	s_waitcnt lgkmcnt(2)
	v_and_b32_e32 v10, 1, v9
	v_cmp_eq_u32_e64 s[0:1], 1, v10
	s_waitcnt lgkmcnt(0)
	v_cmp_lt_i64_e32 vcc, v[6:7], v[2:3]
	s_and_b64 vcc, s[0:1], vcc
	v_cndmask_b32_e64 v5, v5, 1, s[0:1]
	v_cndmask_b32_e32 v2, v2, v6, vcc
	v_cndmask_b32_e32 v3, v3, v7, vcc
	v_cmp_eq_u32_e32 vcc, 1, v8
	v_cndmask_b32_e32 v8, v9, v5, vcc
	v_cndmask_b32_e32 v3, v7, v3, vcc
	v_cndmask_b32_e32 v2, v6, v2, vcc
	v_cmp_gt_u32_e32 vcc, 2, v1
	v_cndmask_b32_e64 v1, 0, 1, vcc
	v_lshlrev_b32_e32 v1, 1, v1
	v_and_b32_e32 v5, 0xff, v8
	v_add_lshl_u32 v1, v1, v4, 2
	ds_bpermute_b32 v6, v1, v5
	ds_bpermute_b32 v4, v1, v2
	;; [unrolled: 1-line block ×3, first 2 shown]
	v_and_b32_e32 v1, 1, v8
	s_waitcnt lgkmcnt(2)
	v_and_b32_e32 v7, 1, v6
	v_cmp_eq_u32_e64 s[0:1], 1, v7
	s_waitcnt lgkmcnt(0)
	v_cmp_lt_i64_e32 vcc, v[4:5], v[2:3]
	s_and_b64 vcc, s[0:1], vcc
	v_cndmask_b32_e64 v7, v8, 1, s[0:1]
	v_cndmask_b32_e32 v2, v2, v4, vcc
	v_cndmask_b32_e32 v3, v3, v5, vcc
	v_cmp_eq_u32_e32 vcc, 1, v1
	v_cndmask_b32_e32 v1, v6, v7, vcc
	v_cndmask_b32_e32 v3, v5, v3, vcc
	;; [unrolled: 1-line block ×3, first 2 shown]
	v_and_b32_e32 v6, 0xff, v1
.LBB77_152:
	s_or_b64 exec, exec, s[14:15]
	s_branch .LBB77_183
.LBB77_153:
                                        ; implicit-def: $vgpr4_vgpr5
                                        ; implicit-def: $vgpr1
	s_cbranch_execnz .LBB77_188
	s_branch .LBB77_208
.LBB77_154:
                                        ; implicit-def: $vgpr4_vgpr5
                                        ; implicit-def: $vgpr1
	s_branch .LBB77_208
.LBB77_155:
                                        ; implicit-def: $vgpr2_vgpr3
                                        ; implicit-def: $vgpr6
	s_cbranch_execz .LBB77_183
; %bb.156:
	s_sub_i32 s14, s22, s12
	s_waitcnt lgkmcnt(0)
	v_pk_mov_b32 v[4:5], 0, 0
	v_cmp_gt_u32_e32 vcc, s14, v0
	v_mov_b32_e32 v1, 0
	v_pk_mov_b32 v[2:3], v[4:5], v[4:5] op_sel:[0,1]
	v_mov_b32_e32 v7, 0
	s_and_saveexec_b64 s[0:1], vcc
	s_cbranch_execz .LBB77_158
; %bb.157:
	v_lshlrev_b32_e32 v2, 3, v0
	global_load_dwordx2 v[6:7], v2, s[2:3]
	global_load_dwordx2 v[8:9], v2, s[8:9]
	v_mov_b32_e32 v3, s17
	v_add_co_u32_e32 v2, vcc, s16, v0
	v_addc_co_u32_e32 v3, vcc, 0, v3, vcc
	s_waitcnt vmcnt(0)
	v_cmp_ne_u64_e32 vcc, v[6:7], v[8:9]
	v_cndmask_b32_e64 v7, 0, 1, vcc
.LBB77_158:
	s_or_b64 exec, exec, s[0:1]
	v_or_b32_e32 v6, 0x100, v0
	v_cmp_gt_u32_e32 vcc, s14, v6
	s_and_saveexec_b64 s[12:13], vcc
	s_cbranch_execz .LBB77_160
; %bb.159:
	v_lshlrev_b32_e32 v1, 3, v0
	global_load_dwordx2 v[8:9], v1, s[2:3] offset:2048
	global_load_dwordx2 v[10:11], v1, s[8:9] offset:2048
	v_mov_b32_e32 v1, s17
	v_add_co_u32_e64 v4, s[0:1], s16, v6
	v_addc_co_u32_e64 v5, s[0:1], 0, v1, s[0:1]
	s_waitcnt vmcnt(0)
	v_cmp_ne_u64_e64 s[0:1], v[8:9], v[10:11]
	v_cndmask_b32_e64 v1, 0, 1, s[0:1]
.LBB77_160:
	s_or_b64 exec, exec, s[12:13]
	s_and_saveexec_b64 s[2:3], vcc
	s_cbranch_execz .LBB77_162
; %bb.161:
	v_and_b32_e32 v8, 1, v1
	v_cmp_lt_i64_e32 vcc, v[4:5], v[2:3]
	v_cmp_eq_u32_e64 s[0:1], 1, v8
	v_and_b32_e32 v6, 1, v7
	s_and_b64 vcc, s[0:1], vcc
	v_cndmask_b32_e64 v7, v7, 1, s[0:1]
	v_cndmask_b32_e32 v2, v2, v4, vcc
	v_cndmask_b32_e32 v3, v3, v5, vcc
	v_cmp_eq_u32_e32 vcc, 1, v6
	v_cndmask_b32_e32 v7, v1, v7, vcc
	v_cndmask_b32_e32 v3, v5, v3, vcc
	;; [unrolled: 1-line block ×3, first 2 shown]
.LBB77_162:
	s_or_b64 exec, exec, s[2:3]
	v_mbcnt_lo_u32_b32 v1, -1, 0
	v_mbcnt_hi_u32_b32 v1, -1, v1
	v_and_b32_e32 v8, 63, v1
	v_cmp_ne_u32_e32 vcc, 63, v8
	v_addc_co_u32_e32 v4, vcc, 0, v1, vcc
	v_and_b32_e32 v6, 0xffff, v7
	v_lshlrev_b32_e32 v5, 2, v4
	ds_bpermute_b32 v10, v5, v6
	ds_bpermute_b32 v4, v5, v2
	;; [unrolled: 1-line block ×3, first 2 shown]
	s_min_u32 s8, s14, 0x100
	v_and_b32_e32 v9, 0xc0, v0
	v_sub_u32_e64 v9, s8, v9 clamp
	v_add_u32_e32 v11, 1, v8
	v_cmp_lt_u32_e32 vcc, v11, v9
	s_and_saveexec_b64 s[2:3], vcc
	s_cbranch_execz .LBB77_164
; %bb.163:
	s_waitcnt lgkmcnt(2)
	v_and_b32_e32 v11, 1, v10
	s_waitcnt lgkmcnt(0)
	v_cmp_lt_i64_e32 vcc, v[4:5], v[2:3]
	v_cmp_eq_u32_e64 s[0:1], 1, v11
	v_and_b32_e32 v6, 1, v7
	s_and_b64 vcc, s[0:1], vcc
	v_cndmask_b32_e64 v7, v7, 1, s[0:1]
	v_cndmask_b32_e32 v2, v2, v4, vcc
	v_cndmask_b32_e32 v3, v3, v5, vcc
	v_cmp_eq_u32_e32 vcc, 1, v6
	v_cndmask_b32_e32 v7, v10, v7, vcc
	v_cndmask_b32_e32 v3, v5, v3, vcc
	v_cndmask_b32_e32 v2, v4, v2, vcc
	v_and_b32_e32 v6, 0xff, v7
.LBB77_164:
	s_or_b64 exec, exec, s[2:3]
	v_cmp_gt_u32_e32 vcc, 62, v8
	s_waitcnt lgkmcnt(1)
	v_cndmask_b32_e64 v4, 0, 1, vcc
	v_lshlrev_b32_e32 v4, 1, v4
	s_waitcnt lgkmcnt(0)
	v_add_lshl_u32 v5, v4, v1, 2
	ds_bpermute_b32 v10, v5, v6
	ds_bpermute_b32 v4, v5, v2
	ds_bpermute_b32 v5, v5, v3
	v_add_u32_e32 v11, 2, v8
	v_cmp_lt_u32_e32 vcc, v11, v9
	s_and_saveexec_b64 s[2:3], vcc
	s_cbranch_execz .LBB77_166
; %bb.165:
	s_waitcnt lgkmcnt(2)
	v_and_b32_e32 v11, 1, v10
	s_waitcnt lgkmcnt(0)
	v_cmp_lt_i64_e32 vcc, v[4:5], v[2:3]
	v_cmp_eq_u32_e64 s[0:1], 1, v11
	v_and_b32_e32 v6, 1, v7
	s_and_b64 vcc, s[0:1], vcc
	v_cndmask_b32_e64 v7, v7, 1, s[0:1]
	v_cndmask_b32_e32 v2, v2, v4, vcc
	v_cndmask_b32_e32 v3, v3, v5, vcc
	v_cmp_eq_u32_e32 vcc, 1, v6
	v_cndmask_b32_e32 v7, v10, v7, vcc
	v_cndmask_b32_e32 v3, v5, v3, vcc
	v_cndmask_b32_e32 v2, v4, v2, vcc
	v_and_b32_e32 v6, 0xff, v7
.LBB77_166:
	s_or_b64 exec, exec, s[2:3]
	v_cmp_gt_u32_e32 vcc, 60, v8
	s_waitcnt lgkmcnt(1)
	v_cndmask_b32_e64 v4, 0, 1, vcc
	v_lshlrev_b32_e32 v4, 2, v4
	s_waitcnt lgkmcnt(0)
	v_add_lshl_u32 v5, v4, v1, 2
	ds_bpermute_b32 v10, v5, v6
	ds_bpermute_b32 v4, v5, v2
	ds_bpermute_b32 v5, v5, v3
	;; [unrolled: 31-line block ×5, first 2 shown]
	v_add_u32_e32 v8, 32, v8
	v_cmp_lt_u32_e32 vcc, v8, v9
	s_and_saveexec_b64 s[2:3], vcc
	s_cbranch_execz .LBB77_174
; %bb.173:
	s_waitcnt lgkmcnt(2)
	v_and_b32_e32 v8, 1, v10
	s_waitcnt lgkmcnt(0)
	v_cmp_lt_i64_e32 vcc, v[4:5], v[2:3]
	v_cmp_eq_u32_e64 s[0:1], 1, v8
	v_and_b32_e32 v6, 1, v7
	s_and_b64 vcc, s[0:1], vcc
	v_cndmask_b32_e64 v7, v7, 1, s[0:1]
	v_cndmask_b32_e32 v2, v2, v4, vcc
	v_cndmask_b32_e32 v3, v3, v5, vcc
	v_cmp_eq_u32_e32 vcc, 1, v6
	v_cndmask_b32_e32 v7, v10, v7, vcc
	v_cndmask_b32_e32 v3, v5, v3, vcc
	;; [unrolled: 1-line block ×3, first 2 shown]
	v_and_b32_e32 v6, 0xff, v7
.LBB77_174:
	s_or_b64 exec, exec, s[2:3]
	v_cmp_eq_u32_e32 vcc, 0, v1
	s_and_saveexec_b64 s[0:1], vcc
	s_cbranch_execz .LBB77_176
; %bb.175:
	s_waitcnt lgkmcnt(1)
	v_lshrrev_b32_e32 v4, 2, v0
	v_and_b32_e32 v4, 48, v4
	ds_write_b8 v4, v7 offset:256
	ds_write_b64 v4, v[2:3] offset:264
.LBB77_176:
	s_or_b64 exec, exec, s[0:1]
	v_cmp_gt_u32_e32 vcc, 4, v0
	s_waitcnt lgkmcnt(0)
	s_barrier
	s_and_saveexec_b64 s[2:3], vcc
	s_cbranch_execz .LBB77_182
; %bb.177:
	v_lshlrev_b32_e32 v2, 4, v1
	ds_read_u8 v7, v2 offset:256
	ds_read_b64 v[2:3], v2 offset:264
	v_and_b32_e32 v8, 3, v1
	v_cmp_ne_u32_e32 vcc, 3, v8
	v_addc_co_u32_e32 v4, vcc, 0, v1, vcc
	s_waitcnt lgkmcnt(1)
	v_and_b32_e32 v6, 0xff, v7
	v_lshlrev_b32_e32 v5, 2, v4
	ds_bpermute_b32 v9, v5, v6
	s_waitcnt lgkmcnt(1)
	ds_bpermute_b32 v4, v5, v2
	ds_bpermute_b32 v5, v5, v3
	s_add_i32 s8, s8, 63
	s_lshr_b32 s12, s8, 6
	v_add_u32_e32 v10, 1, v8
	v_cmp_gt_u32_e32 vcc, s12, v10
	s_and_saveexec_b64 s[8:9], vcc
	s_cbranch_execz .LBB77_179
; %bb.178:
	s_waitcnt lgkmcnt(2)
	v_and_b32_e32 v10, 1, v9
	s_waitcnt lgkmcnt(0)
	v_cmp_lt_i64_e32 vcc, v[4:5], v[2:3]
	v_cmp_eq_u32_e64 s[0:1], 1, v10
	v_and_b32_e32 v6, 1, v7
	s_and_b64 vcc, s[0:1], vcc
	v_cndmask_b32_e64 v7, v7, 1, s[0:1]
	v_cndmask_b32_e32 v2, v2, v4, vcc
	v_cndmask_b32_e32 v3, v3, v5, vcc
	v_cmp_eq_u32_e32 vcc, 1, v6
	v_cndmask_b32_e32 v7, v9, v7, vcc
	v_cndmask_b32_e32 v3, v5, v3, vcc
	;; [unrolled: 1-line block ×3, first 2 shown]
	v_and_b32_e32 v6, 0xff, v7
.LBB77_179:
	s_or_b64 exec, exec, s[8:9]
	v_cmp_gt_u32_e32 vcc, 2, v8
	s_waitcnt lgkmcnt(1)
	v_cndmask_b32_e64 v4, 0, 1, vcc
	v_lshlrev_b32_e32 v4, 1, v4
	s_waitcnt lgkmcnt(0)
	v_add_lshl_u32 v5, v4, v1, 2
	ds_bpermute_b32 v1, v5, v6
	ds_bpermute_b32 v4, v5, v2
	;; [unrolled: 1-line block ×3, first 2 shown]
	v_add_u32_e32 v8, 2, v8
	v_cmp_gt_u32_e32 vcc, s12, v8
	s_and_saveexec_b64 s[8:9], vcc
	s_cbranch_execz .LBB77_181
; %bb.180:
	s_waitcnt lgkmcnt(2)
	v_and_b32_e32 v8, 1, v1
	s_waitcnt lgkmcnt(0)
	v_cmp_lt_i64_e32 vcc, v[4:5], v[2:3]
	v_cmp_eq_u32_e64 s[0:1], 1, v8
	v_and_b32_e32 v6, 1, v7
	s_and_b64 vcc, s[0:1], vcc
	v_cndmask_b32_e64 v7, v7, 1, s[0:1]
	v_cndmask_b32_e32 v2, v2, v4, vcc
	v_cndmask_b32_e32 v3, v3, v5, vcc
	v_cmp_eq_u32_e32 vcc, 1, v6
	v_cndmask_b32_e32 v1, v1, v7, vcc
	v_cndmask_b32_e32 v3, v5, v3, vcc
	;; [unrolled: 1-line block ×3, first 2 shown]
	v_and_b32_e32 v6, 0xff, v1
.LBB77_181:
	s_or_b64 exec, exec, s[8:9]
.LBB77_182:
	s_or_b64 exec, exec, s[2:3]
.LBB77_183:
	v_cmp_eq_u32_e32 vcc, 0, v0
                                        ; implicit-def: $vgpr4_vgpr5
                                        ; implicit-def: $vgpr1
	s_and_saveexec_b64 s[0:1], vcc
	s_xor_b64 s[8:9], exec, s[0:1]
	s_cbranch_execz .LBB77_187
; %bb.184:
	s_cmp_eq_u64 s[22:23], 0
	s_waitcnt lgkmcnt(0)
	v_pk_mov_b32 v[4:5], s[18:19], s[18:19] op_sel:[0,1]
	v_mov_b32_e32 v1, s33
	s_cbranch_scc1 .LBB77_186
; %bb.185:
	v_and_b32_e32 v1, 1, v6
	s_bitcmp1_b32 s33, 0
	v_mov_b32_e32 v4, s33
	v_cmp_eq_u32_e32 vcc, 1, v1
	v_cmp_gt_i64_e64 s[2:3], s[18:19], v[2:3]
	v_cndmask_b32_e64 v1, v4, 1, vcc
	s_cselect_b64 s[0:1], -1, 0
	v_mov_b32_e32 v4, s18
	s_and_b64 vcc, vcc, s[2:3]
	v_mov_b32_e32 v5, s19
	v_cndmask_b32_e32 v4, v4, v2, vcc
	v_cndmask_b32_e32 v5, v5, v3, vcc
	v_cndmask_b32_e64 v1, v6, v1, s[0:1]
	v_cndmask_b32_e64 v5, v3, v5, s[0:1]
	v_cndmask_b32_e64 v4, v2, v4, s[0:1]
.LBB77_186:
	s_or_b64 s[10:11], s[10:11], exec
.LBB77_187:
	s_or_b64 exec, exec, s[8:9]
	s_branch .LBB77_208
.LBB77_188:
	s_cmp_eq_u32 s36, 1
	s_cbranch_scc0 .LBB77_207
; %bb.189:
	s_mov_b32 s3, 0
	s_lshl_b32 s2, s6, 8
	s_mov_b32 s7, s3
	s_lshr_b64 s[0:1], s[22:23], 8
	s_cmp_lg_u64 s[0:1], s[6:7]
	s_cbranch_scc0 .LBB77_211
; %bb.190:
	s_lshl_b64 s[0:1], s[2:3], 3
	s_add_u32 s8, s24, s0
	s_addc_u32 s9, s25, s1
	s_add_u32 s0, s26, s0
	s_waitcnt lgkmcnt(2)
	v_lshlrev_b32_e32 v1, 3, v0
	s_addc_u32 s1, s27, s1
	global_load_dwordx2 v[6:7], v1, s[8:9]
	global_load_dwordx2 v[8:9], v1, s[0:1]
	s_add_u32 s0, s20, s2
	s_addc_u32 s1, s21, 0
	v_mov_b32_e32 v1, s1
	v_add_co_u32_e32 v2, vcc, s0, v0
	v_addc_co_u32_e32 v3, vcc, 0, v1, vcc
	s_waitcnt lgkmcnt(1)
	v_mov_b32_dpp v4, v2 quad_perm:[1,0,3,2] row_mask:0xf bank_mask:0xf bound_ctrl:1
	s_waitcnt lgkmcnt(0)
	v_mov_b32_dpp v5, v3 quad_perm:[1,0,3,2] row_mask:0xf bank_mask:0xf bound_ctrl:1
	s_waitcnt vmcnt(0)
	v_cmp_ne_u64_e32 vcc, v[6:7], v[8:9]
	v_cndmask_b32_e64 v1, 0, 1, vcc
	v_cndmask_b32_e64 v6, 0, 1, vcc
	s_nop 0
	v_mov_b32_dpp v1, v1 quad_perm:[1,0,3,2] row_mask:0xf bank_mask:0xf bound_ctrl:1
	v_and_b32_e32 v7, 1, v1
	v_cmp_eq_u32_e64 s[0:1], 1, v7
	s_and_saveexec_b64 s[8:9], s[0:1]
; %bb.191:
	v_cmp_lt_i64_e64 s[0:1], v[2:3], v[4:5]
	v_cndmask_b32_e64 v6, v1, 1, vcc
	s_and_b64 vcc, vcc, s[0:1]
	v_cndmask_b32_e32 v3, v5, v3, vcc
	v_cndmask_b32_e32 v2, v4, v2, vcc
; %bb.192:
	s_or_b64 exec, exec, s[8:9]
	v_and_b32_e32 v1, 0xff, v6
	v_and_b32_e32 v6, 1, v6
	v_mov_b32_dpp v4, v2 quad_perm:[2,3,0,1] row_mask:0xf bank_mask:0xf bound_ctrl:1
	v_mov_b32_dpp v7, v1 quad_perm:[2,3,0,1] row_mask:0xf bank_mask:0xf bound_ctrl:1
	v_and_b32_e32 v8, 1, v7
	v_mov_b32_dpp v5, v3 quad_perm:[2,3,0,1] row_mask:0xf bank_mask:0xf bound_ctrl:1
	v_cmp_eq_u32_e32 vcc, 1, v8
	v_cmp_eq_u32_e64 s[0:1], 1, v6
	s_and_saveexec_b64 s[8:9], vcc
; %bb.193:
	v_cmp_lt_i64_e32 vcc, v[2:3], v[4:5]
	v_cndmask_b32_e64 v6, v7, 1, s[0:1]
	s_and_b64 vcc, s[0:1], vcc
	v_cndmask_b32_e32 v2, v4, v2, vcc
	v_and_b32_e32 v4, 1, v6
	v_cndmask_b32_e32 v3, v5, v3, vcc
	v_cmp_eq_u32_e32 vcc, 1, v4
	s_andn2_b64 s[0:1], s[0:1], exec
	s_and_b64 s[12:13], vcc, exec
	v_and_b32_e32 v1, 0xff, v6
	s_or_b64 s[0:1], s[0:1], s[12:13]
; %bb.194:
	s_or_b64 exec, exec, s[8:9]
	v_mov_b32_dpp v6, v1 row_ror:4 row_mask:0xf bank_mask:0xf bound_ctrl:1
	v_and_b32_e32 v7, 1, v6
	v_mov_b32_dpp v4, v2 row_ror:4 row_mask:0xf bank_mask:0xf bound_ctrl:1
	v_mov_b32_dpp v5, v3 row_ror:4 row_mask:0xf bank_mask:0xf bound_ctrl:1
	v_cmp_eq_u32_e32 vcc, 1, v7
	s_and_saveexec_b64 s[8:9], vcc
; %bb.195:
	v_cmp_lt_i64_e32 vcc, v[2:3], v[4:5]
	v_cndmask_b32_e64 v6, v6, 1, s[0:1]
	s_and_b64 vcc, s[0:1], vcc
	v_cndmask_b32_e32 v2, v4, v2, vcc
	v_and_b32_e32 v4, 1, v6
	v_cndmask_b32_e32 v3, v5, v3, vcc
	v_cmp_eq_u32_e32 vcc, 1, v4
	s_andn2_b64 s[0:1], s[0:1], exec
	s_and_b64 s[12:13], vcc, exec
	v_and_b32_e32 v1, 0xff, v6
	s_or_b64 s[0:1], s[0:1], s[12:13]
; %bb.196:
	s_or_b64 exec, exec, s[8:9]
	v_mov_b32_dpp v6, v1 row_ror:8 row_mask:0xf bank_mask:0xf bound_ctrl:1
	v_and_b32_e32 v7, 1, v6
	v_mov_b32_dpp v4, v2 row_ror:8 row_mask:0xf bank_mask:0xf bound_ctrl:1
	v_mov_b32_dpp v5, v3 row_ror:8 row_mask:0xf bank_mask:0xf bound_ctrl:1
	v_cmp_eq_u32_e32 vcc, 1, v7
	s_and_saveexec_b64 s[8:9], vcc
; %bb.197:
	v_cmp_lt_i64_e32 vcc, v[2:3], v[4:5]
	v_cndmask_b32_e64 v6, v6, 1, s[0:1]
	s_and_b64 vcc, s[0:1], vcc
	v_cndmask_b32_e32 v2, v4, v2, vcc
	v_and_b32_e32 v4, 1, v6
	v_cndmask_b32_e32 v3, v5, v3, vcc
	v_cmp_eq_u32_e32 vcc, 1, v4
	s_andn2_b64 s[0:1], s[0:1], exec
	s_and_b64 s[12:13], vcc, exec
	v_and_b32_e32 v1, 0xff, v6
	s_or_b64 s[0:1], s[0:1], s[12:13]
; %bb.198:
	s_or_b64 exec, exec, s[8:9]
	v_mov_b32_dpp v6, v1 row_bcast:15 row_mask:0xf bank_mask:0xf bound_ctrl:1
	v_and_b32_e32 v7, 1, v6
	v_mov_b32_dpp v4, v2 row_bcast:15 row_mask:0xf bank_mask:0xf bound_ctrl:1
	v_mov_b32_dpp v5, v3 row_bcast:15 row_mask:0xf bank_mask:0xf bound_ctrl:1
	v_cmp_eq_u32_e32 vcc, 1, v7
	s_and_saveexec_b64 s[8:9], vcc
; %bb.199:
	v_cmp_lt_i64_e32 vcc, v[2:3], v[4:5]
	v_cndmask_b32_e64 v6, v6, 1, s[0:1]
	s_and_b64 vcc, s[0:1], vcc
	v_cndmask_b32_e32 v2, v4, v2, vcc
	v_and_b32_e32 v4, 1, v6
	v_cndmask_b32_e32 v3, v5, v3, vcc
	v_cmp_eq_u32_e32 vcc, 1, v4
	s_andn2_b64 s[0:1], s[0:1], exec
	s_and_b64 s[12:13], vcc, exec
	v_and_b32_e32 v1, 0xff, v6
	s_or_b64 s[0:1], s[0:1], s[12:13]
; %bb.200:
	s_or_b64 exec, exec, s[8:9]
	v_mov_b32_dpp v6, v1 row_bcast:31 row_mask:0xf bank_mask:0xf bound_ctrl:1
	v_and_b32_e32 v7, 1, v6
	v_mov_b32_dpp v4, v2 row_bcast:31 row_mask:0xf bank_mask:0xf bound_ctrl:1
	v_mov_b32_dpp v5, v3 row_bcast:31 row_mask:0xf bank_mask:0xf bound_ctrl:1
	v_cmp_eq_u32_e32 vcc, 1, v7
	s_and_saveexec_b64 s[8:9], vcc
; %bb.201:
	v_cmp_lt_i64_e32 vcc, v[2:3], v[4:5]
	v_and_b32_e32 v1, 0xff, v6
	s_and_b64 vcc, s[0:1], vcc
	v_cndmask_b32_e32 v2, v4, v2, vcc
	v_cndmask_b32_e32 v3, v5, v3, vcc
	v_cndmask_b32_e64 v1, v1, 1, s[0:1]
; %bb.202:
	s_or_b64 exec, exec, s[8:9]
	v_mbcnt_lo_u32_b32 v4, -1, 0
	v_mbcnt_hi_u32_b32 v4, -1, v4
	v_bfrev_b32_e32 v5, 0.5
	v_lshl_or_b32 v5, v4, 2, v5
	ds_bpermute_b32 v6, v5, v1
	ds_bpermute_b32 v2, v5, v2
	;; [unrolled: 1-line block ×3, first 2 shown]
	v_cmp_eq_u32_e32 vcc, 0, v4
	s_and_saveexec_b64 s[0:1], vcc
	s_cbranch_execz .LBB77_204
; %bb.203:
	v_lshrrev_b32_e32 v1, 2, v0
	v_and_b32_e32 v1, 48, v1
	s_waitcnt lgkmcnt(2)
	ds_write_b8 v1, v6
	s_waitcnt lgkmcnt(1)
	ds_write_b64 v1, v[2:3] offset:8
.LBB77_204:
	s_or_b64 exec, exec, s[0:1]
	v_cmp_gt_u32_e32 vcc, 64, v0
	s_waitcnt lgkmcnt(0)
	s_barrier
	s_and_saveexec_b64 s[8:9], vcc
	s_cbranch_execz .LBB77_206
; %bb.205:
	v_and_b32_e32 v1, 3, v4
	v_lshlrev_b32_e32 v2, 4, v1
	ds_read_u8 v5, v2
	ds_read_b64 v[2:3], v2 offset:8
	v_cmp_ne_u32_e32 vcc, 3, v1
	v_addc_co_u32_e32 v6, vcc, 0, v4, vcc
	s_waitcnt lgkmcnt(1)
	v_and_b32_e32 v7, 0xff, v5
	v_lshlrev_b32_e32 v8, 2, v6
	ds_bpermute_b32 v9, v8, v7
	s_waitcnt lgkmcnt(1)
	ds_bpermute_b32 v6, v8, v2
	ds_bpermute_b32 v7, v8, v3
	v_and_b32_e32 v8, 1, v5
	s_waitcnt lgkmcnt(2)
	v_and_b32_e32 v10, 1, v9
	v_cmp_eq_u32_e64 s[0:1], 1, v10
	s_waitcnt lgkmcnt(0)
	v_cmp_lt_i64_e32 vcc, v[6:7], v[2:3]
	s_and_b64 vcc, s[0:1], vcc
	v_cndmask_b32_e64 v5, v5, 1, s[0:1]
	v_cndmask_b32_e32 v2, v2, v6, vcc
	v_cndmask_b32_e32 v3, v3, v7, vcc
	v_cmp_eq_u32_e32 vcc, 1, v8
	v_cndmask_b32_e32 v8, v9, v5, vcc
	v_cndmask_b32_e32 v3, v7, v3, vcc
	;; [unrolled: 1-line block ×3, first 2 shown]
	v_cmp_gt_u32_e32 vcc, 2, v1
	v_cndmask_b32_e64 v1, 0, 1, vcc
	v_lshlrev_b32_e32 v1, 1, v1
	v_and_b32_e32 v5, 0xff, v8
	v_add_lshl_u32 v1, v1, v4, 2
	ds_bpermute_b32 v6, v1, v5
	ds_bpermute_b32 v4, v1, v2
	;; [unrolled: 1-line block ×3, first 2 shown]
	v_and_b32_e32 v1, 1, v8
	s_waitcnt lgkmcnt(2)
	v_and_b32_e32 v7, 1, v6
	v_cmp_eq_u32_e64 s[0:1], 1, v7
	s_waitcnt lgkmcnt(0)
	v_cmp_lt_i64_e32 vcc, v[4:5], v[2:3]
	s_and_b64 vcc, s[0:1], vcc
	v_cndmask_b32_e64 v7, v8, 1, s[0:1]
	v_cndmask_b32_e32 v2, v2, v4, vcc
	v_cndmask_b32_e32 v3, v3, v5, vcc
	v_cmp_eq_u32_e32 vcc, 1, v1
	v_cndmask_b32_e32 v1, v6, v7, vcc
	v_cndmask_b32_e32 v3, v5, v3, vcc
	;; [unrolled: 1-line block ×3, first 2 shown]
	v_and_b32_e32 v6, 0xff, v1
.LBB77_206:
	s_or_b64 exec, exec, s[8:9]
	s_branch .LBB77_235
.LBB77_207:
                                        ; implicit-def: $vgpr4_vgpr5
                                        ; implicit-def: $vgpr1
                                        ; implicit-def: $sgpr6_sgpr7
.LBB77_208:
	s_and_saveexec_b64 s[0:1], s[10:11]
	s_cbranch_execz .LBB77_210
.LBB77_209:
	s_load_dwordx2 s[0:1], s[4:5], 0x38
	s_lshl_b64 s[2:3], s[6:7], 4
	v_mov_b32_e32 v0, 0
	s_waitcnt lgkmcnt(0)
	s_add_u32 s0, s0, s2
	s_addc_u32 s1, s1, s3
	global_store_byte v0, v1, s[0:1]
	global_store_dwordx2 v0, v[4:5], s[0:1] offset:8
.LBB77_210:
	s_endpgm
.LBB77_211:
                                        ; implicit-def: $vgpr2_vgpr3
                                        ; implicit-def: $vgpr6
	s_cbranch_execz .LBB77_235
; %bb.212:
	s_sub_i32 s8, s22, s2
	v_cmp_gt_u32_e32 vcc, s8, v0
	v_pk_mov_b32 v[2:3], 0, 0
	v_mov_b32_e32 v7, 0
	s_and_saveexec_b64 s[0:1], vcc
	s_cbranch_execz .LBB77_214
; %bb.213:
	s_lshl_b64 s[12:13], s[2:3], 3
	s_add_u32 s14, s26, s12
	s_addc_u32 s15, s27, s13
	s_add_u32 s12, s24, s12
	s_addc_u32 s13, s25, s13
	s_waitcnt lgkmcnt(2)
	v_lshlrev_b32_e32 v1, 3, v0
	s_waitcnt lgkmcnt(0)
	global_load_dwordx2 v[4:5], v1, s[12:13]
	global_load_dwordx2 v[6:7], v1, s[14:15]
	s_add_u32 s2, s20, s2
	s_addc_u32 s3, s21, 0
	v_mov_b32_e32 v1, s3
	v_add_co_u32_e32 v2, vcc, s2, v0
	v_addc_co_u32_e32 v3, vcc, 0, v1, vcc
	s_waitcnt vmcnt(0)
	v_cmp_ne_u64_e32 vcc, v[4:5], v[6:7]
	v_cndmask_b32_e64 v7, 0, 1, vcc
.LBB77_214:
	s_or_b64 exec, exec, s[0:1]
	s_waitcnt lgkmcnt(2)
	v_mbcnt_lo_u32_b32 v1, -1, 0
	v_mbcnt_hi_u32_b32 v1, -1, v1
	v_and_b32_e32 v8, 63, v1
	v_cmp_ne_u32_e32 vcc, 63, v8
	s_waitcnt lgkmcnt(1)
	v_addc_co_u32_e32 v4, vcc, 0, v1, vcc
	v_and_b32_e32 v6, 0xffff, v7
	s_waitcnt lgkmcnt(0)
	v_lshlrev_b32_e32 v5, 2, v4
	ds_bpermute_b32 v10, v5, v6
	ds_bpermute_b32 v4, v5, v2
	ds_bpermute_b32 v5, v5, v3
	s_min_u32 s8, s8, 0x100
	v_and_b32_e32 v9, 0xc0, v0
	v_sub_u32_e64 v9, s8, v9 clamp
	v_add_u32_e32 v11, 1, v8
	v_cmp_lt_u32_e32 vcc, v11, v9
	s_and_saveexec_b64 s[2:3], vcc
	s_cbranch_execz .LBB77_216
; %bb.215:
	s_waitcnt lgkmcnt(2)
	v_and_b32_e32 v11, 1, v10
	s_waitcnt lgkmcnt(0)
	v_cmp_lt_i64_e32 vcc, v[4:5], v[2:3]
	v_cmp_eq_u32_e64 s[0:1], 1, v11
	v_and_b32_e32 v6, 1, v7
	s_and_b64 vcc, s[0:1], vcc
	v_cndmask_b32_e64 v7, v7, 1, s[0:1]
	v_cndmask_b32_e32 v2, v2, v4, vcc
	v_cndmask_b32_e32 v3, v3, v5, vcc
	v_cmp_eq_u32_e32 vcc, 1, v6
	v_cndmask_b32_e32 v7, v10, v7, vcc
	v_cndmask_b32_e32 v3, v5, v3, vcc
	v_cndmask_b32_e32 v2, v4, v2, vcc
	v_and_b32_e32 v6, 0xff, v7
.LBB77_216:
	s_or_b64 exec, exec, s[2:3]
	v_cmp_gt_u32_e32 vcc, 62, v8
	s_waitcnt lgkmcnt(1)
	v_cndmask_b32_e64 v4, 0, 1, vcc
	v_lshlrev_b32_e32 v4, 1, v4
	s_waitcnt lgkmcnt(0)
	v_add_lshl_u32 v5, v4, v1, 2
	ds_bpermute_b32 v10, v5, v6
	ds_bpermute_b32 v4, v5, v2
	ds_bpermute_b32 v5, v5, v3
	v_add_u32_e32 v11, 2, v8
	v_cmp_lt_u32_e32 vcc, v11, v9
	s_and_saveexec_b64 s[2:3], vcc
	s_cbranch_execz .LBB77_218
; %bb.217:
	s_waitcnt lgkmcnt(2)
	v_and_b32_e32 v11, 1, v10
	s_waitcnt lgkmcnt(0)
	v_cmp_lt_i64_e32 vcc, v[4:5], v[2:3]
	v_cmp_eq_u32_e64 s[0:1], 1, v11
	v_and_b32_e32 v6, 1, v7
	s_and_b64 vcc, s[0:1], vcc
	v_cndmask_b32_e64 v7, v7, 1, s[0:1]
	v_cndmask_b32_e32 v2, v2, v4, vcc
	v_cndmask_b32_e32 v3, v3, v5, vcc
	v_cmp_eq_u32_e32 vcc, 1, v6
	v_cndmask_b32_e32 v7, v10, v7, vcc
	v_cndmask_b32_e32 v3, v5, v3, vcc
	v_cndmask_b32_e32 v2, v4, v2, vcc
	v_and_b32_e32 v6, 0xff, v7
.LBB77_218:
	s_or_b64 exec, exec, s[2:3]
	v_cmp_gt_u32_e32 vcc, 60, v8
	s_waitcnt lgkmcnt(1)
	v_cndmask_b32_e64 v4, 0, 1, vcc
	v_lshlrev_b32_e32 v4, 2, v4
	s_waitcnt lgkmcnt(0)
	v_add_lshl_u32 v5, v4, v1, 2
	ds_bpermute_b32 v10, v5, v6
	ds_bpermute_b32 v4, v5, v2
	ds_bpermute_b32 v5, v5, v3
	;; [unrolled: 31-line block ×5, first 2 shown]
	v_add_u32_e32 v8, 32, v8
	v_cmp_lt_u32_e32 vcc, v8, v9
	s_and_saveexec_b64 s[2:3], vcc
	s_cbranch_execz .LBB77_226
; %bb.225:
	s_waitcnt lgkmcnt(2)
	v_and_b32_e32 v8, 1, v10
	s_waitcnt lgkmcnt(0)
	v_cmp_lt_i64_e32 vcc, v[4:5], v[2:3]
	v_cmp_eq_u32_e64 s[0:1], 1, v8
	v_and_b32_e32 v6, 1, v7
	s_and_b64 vcc, s[0:1], vcc
	v_cndmask_b32_e64 v7, v7, 1, s[0:1]
	v_cndmask_b32_e32 v2, v2, v4, vcc
	v_cndmask_b32_e32 v3, v3, v5, vcc
	v_cmp_eq_u32_e32 vcc, 1, v6
	v_cndmask_b32_e32 v7, v10, v7, vcc
	v_cndmask_b32_e32 v3, v5, v3, vcc
	;; [unrolled: 1-line block ×3, first 2 shown]
	v_and_b32_e32 v6, 0xff, v7
.LBB77_226:
	s_or_b64 exec, exec, s[2:3]
	v_cmp_eq_u32_e32 vcc, 0, v1
	s_and_saveexec_b64 s[0:1], vcc
	s_cbranch_execz .LBB77_228
; %bb.227:
	s_waitcnt lgkmcnt(1)
	v_lshrrev_b32_e32 v4, 2, v0
	v_and_b32_e32 v4, 48, v4
	ds_write_b8 v4, v7 offset:256
	ds_write_b64 v4, v[2:3] offset:264
.LBB77_228:
	s_or_b64 exec, exec, s[0:1]
	v_cmp_gt_u32_e32 vcc, 4, v0
	s_waitcnt lgkmcnt(0)
	s_barrier
	s_and_saveexec_b64 s[2:3], vcc
	s_cbranch_execz .LBB77_234
; %bb.229:
	v_lshlrev_b32_e32 v2, 4, v1
	ds_read_u8 v7, v2 offset:256
	ds_read_b64 v[2:3], v2 offset:264
	v_and_b32_e32 v8, 3, v1
	v_cmp_ne_u32_e32 vcc, 3, v8
	v_addc_co_u32_e32 v4, vcc, 0, v1, vcc
	s_waitcnt lgkmcnt(1)
	v_and_b32_e32 v6, 0xff, v7
	v_lshlrev_b32_e32 v5, 2, v4
	ds_bpermute_b32 v9, v5, v6
	s_waitcnt lgkmcnt(1)
	ds_bpermute_b32 v4, v5, v2
	ds_bpermute_b32 v5, v5, v3
	s_add_i32 s8, s8, 63
	s_lshr_b32 s12, s8, 6
	v_add_u32_e32 v10, 1, v8
	v_cmp_gt_u32_e32 vcc, s12, v10
	s_and_saveexec_b64 s[8:9], vcc
	s_cbranch_execz .LBB77_231
; %bb.230:
	s_waitcnt lgkmcnt(2)
	v_and_b32_e32 v10, 1, v9
	s_waitcnt lgkmcnt(0)
	v_cmp_lt_i64_e32 vcc, v[4:5], v[2:3]
	v_cmp_eq_u32_e64 s[0:1], 1, v10
	v_and_b32_e32 v6, 1, v7
	s_and_b64 vcc, s[0:1], vcc
	v_cndmask_b32_e64 v7, v7, 1, s[0:1]
	v_cndmask_b32_e32 v2, v2, v4, vcc
	v_cndmask_b32_e32 v3, v3, v5, vcc
	v_cmp_eq_u32_e32 vcc, 1, v6
	v_cndmask_b32_e32 v7, v9, v7, vcc
	v_cndmask_b32_e32 v3, v5, v3, vcc
	;; [unrolled: 1-line block ×3, first 2 shown]
	v_and_b32_e32 v6, 0xff, v7
.LBB77_231:
	s_or_b64 exec, exec, s[8:9]
	v_cmp_gt_u32_e32 vcc, 2, v8
	s_waitcnt lgkmcnt(1)
	v_cndmask_b32_e64 v4, 0, 1, vcc
	v_lshlrev_b32_e32 v4, 1, v4
	s_waitcnt lgkmcnt(0)
	v_add_lshl_u32 v5, v4, v1, 2
	ds_bpermute_b32 v1, v5, v6
	ds_bpermute_b32 v4, v5, v2
	;; [unrolled: 1-line block ×3, first 2 shown]
	v_add_u32_e32 v8, 2, v8
	v_cmp_gt_u32_e32 vcc, s12, v8
	s_and_saveexec_b64 s[8:9], vcc
	s_cbranch_execz .LBB77_233
; %bb.232:
	s_waitcnt lgkmcnt(2)
	v_and_b32_e32 v8, 1, v1
	s_waitcnt lgkmcnt(0)
	v_cmp_lt_i64_e32 vcc, v[4:5], v[2:3]
	v_cmp_eq_u32_e64 s[0:1], 1, v8
	v_and_b32_e32 v6, 1, v7
	s_and_b64 vcc, s[0:1], vcc
	v_cndmask_b32_e64 v7, v7, 1, s[0:1]
	v_cndmask_b32_e32 v2, v2, v4, vcc
	v_cndmask_b32_e32 v3, v3, v5, vcc
	v_cmp_eq_u32_e32 vcc, 1, v6
	v_cndmask_b32_e32 v1, v1, v7, vcc
	v_cndmask_b32_e32 v3, v5, v3, vcc
	;; [unrolled: 1-line block ×3, first 2 shown]
	v_and_b32_e32 v6, 0xff, v1
.LBB77_233:
	s_or_b64 exec, exec, s[8:9]
.LBB77_234:
	s_or_b64 exec, exec, s[2:3]
.LBB77_235:
	v_cmp_eq_u32_e32 vcc, 0, v0
                                        ; implicit-def: $vgpr4_vgpr5
                                        ; implicit-def: $vgpr1
	s_and_saveexec_b64 s[8:9], vcc
	s_cbranch_execz .LBB77_239
; %bb.236:
	s_cmp_eq_u64 s[22:23], 0
	s_waitcnt lgkmcnt(0)
	v_pk_mov_b32 v[4:5], s[18:19], s[18:19] op_sel:[0,1]
	v_mov_b32_e32 v1, s33
	s_cbranch_scc1 .LBB77_238
; %bb.237:
	v_and_b32_e32 v0, 1, v6
	s_bitcmp1_b32 s33, 0
	v_mov_b32_e32 v1, s33
	v_cmp_eq_u32_e32 vcc, 1, v0
	v_cmp_gt_i64_e64 s[2:3], s[18:19], v[2:3]
	v_cndmask_b32_e64 v0, v1, 1, vcc
	s_cselect_b64 s[0:1], -1, 0
	v_mov_b32_e32 v1, s18
	s_and_b64 vcc, vcc, s[2:3]
	v_cndmask_b32_e32 v4, v1, v2, vcc
	v_mov_b32_e32 v1, s19
	v_cndmask_b32_e32 v5, v1, v3, vcc
	v_cndmask_b32_e64 v1, v6, v0, s[0:1]
	v_cndmask_b32_e64 v5, v3, v5, s[0:1]
	;; [unrolled: 1-line block ×3, first 2 shown]
.LBB77_238:
	s_or_b64 s[10:11], s[10:11], exec
.LBB77_239:
	s_or_b64 exec, exec, s[8:9]
	s_and_saveexec_b64 s[0:1], s[10:11]
	s_cbranch_execnz .LBB77_209
	s_branch .LBB77_210
.LBB77_240:
	v_lshlrev_b32_e32 v10, 3, v25
	global_load_dwordx2 v[26:27], v10, s[16:17]
	global_load_dwordx2 v[28:29], v10, s[30:31]
	v_mov_b32_e32 v11, s38
	v_add_co_u32_e64 v10, s[16:17], s37, v25
	v_addc_co_u32_e64 v11, s[16:17], 0, v11, s[16:17]
	s_waitcnt vmcnt(0)
	v_cmp_ne_u64_e64 s[16:17], v[26:27], v[28:29]
	v_cndmask_b32_e64 v21, 0, 1, s[16:17]
	s_or_b64 exec, exec, s[34:35]
	s_and_saveexec_b64 s[30:31], s[8:9]
	s_cbranch_execz .LBB77_61
.LBB77_241:
	v_and_b32_e32 v26, 1, v18
	v_cmp_lt_i64_e64 s[8:9], v[4:5], v[2:3]
	v_cmp_eq_u32_e64 s[16:17], 1, v26
	v_and_b32_e32 v25, 1, v1
	s_and_b64 s[8:9], s[16:17], s[8:9]
	v_cndmask_b32_e64 v1, v1, 1, s[16:17]
	v_cndmask_b32_e64 v2, v2, v4, s[8:9]
	;; [unrolled: 1-line block ×3, first 2 shown]
	v_cmp_eq_u32_e64 s[8:9], 1, v25
	v_cndmask_b32_e64 v1, v18, v1, s[8:9]
	v_cndmask_b32_e64 v3, v5, v3, s[8:9]
	;; [unrolled: 1-line block ×3, first 2 shown]
	s_or_b64 exec, exec, s[30:31]
	s_and_saveexec_b64 s[16:17], vcc
	s_cbranch_execz .LBB77_62
.LBB77_242:
	v_and_b32_e32 v5, 1, v23
	v_cmp_lt_i64_e32 vcc, v[12:13], v[2:3]
	v_cmp_eq_u32_e64 s[8:9], 1, v5
	v_and_b32_e32 v4, 1, v1
	s_and_b64 vcc, s[8:9], vcc
	v_cndmask_b32_e64 v1, v1, 1, s[8:9]
	v_cndmask_b32_e32 v2, v2, v12, vcc
	v_cndmask_b32_e32 v3, v3, v13, vcc
	v_cmp_eq_u32_e32 vcc, 1, v4
	v_cndmask_b32_e32 v1, v23, v1, vcc
	v_cndmask_b32_e32 v3, v13, v3, vcc
	v_cndmask_b32_e32 v2, v12, v2, vcc
	s_or_b64 exec, exec, s[16:17]
	s_and_saveexec_b64 s[16:17], s[10:11]
	s_cbranch_execz .LBB77_63
.LBB77_243:
	v_and_b32_e32 v5, 1, v19
	v_cmp_lt_i64_e32 vcc, v[6:7], v[2:3]
	v_cmp_eq_u32_e64 s[8:9], 1, v5
	v_and_b32_e32 v4, 1, v1
	s_and_b64 vcc, s[8:9], vcc
	v_cndmask_b32_e64 v1, v1, 1, s[8:9]
	v_cndmask_b32_e32 v2, v2, v6, vcc
	v_cndmask_b32_e32 v3, v3, v7, vcc
	v_cmp_eq_u32_e32 vcc, 1, v4
	v_cndmask_b32_e32 v1, v19, v1, vcc
	v_cndmask_b32_e32 v3, v7, v3, vcc
	;; [unrolled: 1-line block ×3, first 2 shown]
	s_or_b64 exec, exec, s[16:17]
	s_and_saveexec_b64 s[8:9], s[0:1]
	s_cbranch_execz .LBB77_64
.LBB77_244:
	v_and_b32_e32 v5, 1, v24
	v_cmp_lt_i64_e32 vcc, v[14:15], v[2:3]
	v_cmp_eq_u32_e64 s[0:1], 1, v5
	v_and_b32_e32 v4, 1, v1
	s_and_b64 vcc, s[0:1], vcc
	v_cndmask_b32_e64 v1, v1, 1, s[0:1]
	v_cndmask_b32_e32 v2, v2, v14, vcc
	v_cndmask_b32_e32 v3, v3, v15, vcc
	v_cmp_eq_u32_e32 vcc, 1, v4
	v_cndmask_b32_e32 v1, v24, v1, vcc
	v_cndmask_b32_e32 v3, v15, v3, vcc
	;; [unrolled: 1-line block ×3, first 2 shown]
	s_or_b64 exec, exec, s[8:9]
	s_and_saveexec_b64 s[8:9], s[12:13]
	s_cbranch_execz .LBB77_65
.LBB77_245:
	v_and_b32_e32 v5, 1, v20
	v_cmp_lt_i64_e32 vcc, v[8:9], v[2:3]
	v_cmp_eq_u32_e64 s[0:1], 1, v5
	v_and_b32_e32 v4, 1, v1
	s_and_b64 vcc, s[0:1], vcc
	v_cndmask_b32_e64 v1, v1, 1, s[0:1]
	v_cndmask_b32_e32 v2, v2, v8, vcc
	v_cndmask_b32_e32 v3, v3, v9, vcc
	v_cmp_eq_u32_e32 vcc, 1, v4
	v_cndmask_b32_e32 v1, v20, v1, vcc
	v_cndmask_b32_e32 v3, v9, v3, vcc
	;; [unrolled: 1-line block ×3, first 2 shown]
	s_or_b64 exec, exec, s[8:9]
	s_and_saveexec_b64 s[8:9], s[2:3]
	s_cbranch_execz .LBB77_66
.LBB77_246:
	v_and_b32_e32 v5, 1, v22
	v_cmp_lt_i64_e32 vcc, v[16:17], v[2:3]
	v_cmp_eq_u32_e64 s[0:1], 1, v5
	v_and_b32_e32 v4, 1, v1
	s_and_b64 vcc, s[0:1], vcc
	v_cndmask_b32_e64 v1, v1, 1, s[0:1]
	v_cndmask_b32_e32 v2, v2, v16, vcc
	v_cndmask_b32_e32 v3, v3, v17, vcc
	v_cmp_eq_u32_e32 vcc, 1, v4
	v_cndmask_b32_e32 v1, v22, v1, vcc
	v_cndmask_b32_e32 v3, v17, v3, vcc
	;; [unrolled: 1-line block ×3, first 2 shown]
	s_or_b64 exec, exec, s[8:9]
	s_and_saveexec_b64 s[2:3], s[14:15]
	s_cbranch_execnz .LBB77_67
	s_branch .LBB77_68
.LBB77_247:
	v_lshlrev_b32_e32 v6, 3, v13
	global_load_dwordx2 v[14:15], v6, s[8:9]
	global_load_dwordx2 v[16:17], v6, s[12:13]
	v_mov_b32_e32 v7, s17
	v_add_co_u32_e64 v6, s[8:9], s16, v13
	v_addc_co_u32_e64 v7, s[8:9], 0, v7, s[8:9]
	s_waitcnt vmcnt(0)
	v_cmp_ne_u64_e64 s[8:9], v[14:15], v[16:17]
	v_cndmask_b32_e64 v11, 0, 1, s[8:9]
	s_or_b64 exec, exec, s[14:15]
	s_and_saveexec_b64 s[12:13], s[0:1]
	s_cbranch_execz .LBB77_104
.LBB77_248:
	v_and_b32_e32 v14, 1, v1
	v_cmp_lt_i64_e64 s[0:1], v[4:5], v[2:3]
	v_cmp_eq_u32_e64 s[8:9], 1, v14
	v_and_b32_e32 v13, 1, v10
	s_and_b64 s[0:1], s[8:9], s[0:1]
	v_cndmask_b32_e64 v10, v10, 1, s[8:9]
	v_cndmask_b32_e64 v2, v2, v4, s[0:1]
	;; [unrolled: 1-line block ×3, first 2 shown]
	v_cmp_eq_u32_e64 s[0:1], 1, v13
	v_cndmask_b32_e64 v10, v1, v10, s[0:1]
	v_cndmask_b32_e64 v3, v5, v3, s[0:1]
	;; [unrolled: 1-line block ×3, first 2 shown]
	s_or_b64 exec, exec, s[12:13]
	s_and_saveexec_b64 s[8:9], vcc
	s_cbranch_execz .LBB77_105
.LBB77_249:
	v_and_b32_e32 v4, 1, v12
	v_cmp_lt_i64_e32 vcc, v[8:9], v[2:3]
	v_cmp_eq_u32_e64 s[0:1], 1, v4
	v_and_b32_e32 v1, 1, v10
	s_and_b64 vcc, s[0:1], vcc
	v_cndmask_b32_e64 v4, v10, 1, s[0:1]
	v_cndmask_b32_e32 v2, v2, v8, vcc
	v_cndmask_b32_e32 v3, v3, v9, vcc
	v_cmp_eq_u32_e32 vcc, 1, v1
	v_cndmask_b32_e32 v10, v12, v4, vcc
	v_cndmask_b32_e32 v3, v9, v3, vcc
	;; [unrolled: 1-line block ×3, first 2 shown]
	s_or_b64 exec, exec, s[8:9]
	s_and_saveexec_b64 s[8:9], s[2:3]
	s_cbranch_execnz .LBB77_106
	s_branch .LBB77_107
	.section	.rodata,"a",@progbits
	.p2align	6, 0x0
	.amdhsa_kernel _ZN7rocprim17ROCPRIM_400000_NS6detail17trampoline_kernelINS0_14default_configENS1_22reduce_config_selectorIN6thrust23THRUST_200600_302600_NS5tupleIblNS6_9null_typeES8_S8_S8_S8_S8_S8_S8_EEEEZNS1_11reduce_implILb1ES3_NS6_12zip_iteratorINS7_INS6_11hip_rocprim26transform_input_iterator_tIbNSD_35transform_pair_of_input_iterators_tIbNS6_6detail15normal_iteratorINS6_10device_ptrIKxEEEESL_NS6_8equal_toIxEEEENSG_9not_fun_tINSD_8identityEEEEENSD_19counting_iterator_tIlEES8_S8_S8_S8_S8_S8_S8_S8_EEEEPS9_S9_NSD_9__find_if7functorIS9_EEEE10hipError_tPvRmT1_T2_T3_mT4_P12ihipStream_tbEUlT_E1_NS1_11comp_targetILNS1_3genE4ELNS1_11target_archE910ELNS1_3gpuE8ELNS1_3repE0EEENS1_30default_config_static_selectorELNS0_4arch9wavefront6targetE1EEEvS14_
		.amdhsa_group_segment_fixed_size 320
		.amdhsa_private_segment_fixed_size 0
		.amdhsa_kernarg_size 88
		.amdhsa_user_sgpr_count 6
		.amdhsa_user_sgpr_private_segment_buffer 1
		.amdhsa_user_sgpr_dispatch_ptr 0
		.amdhsa_user_sgpr_queue_ptr 0
		.amdhsa_user_sgpr_kernarg_segment_ptr 1
		.amdhsa_user_sgpr_dispatch_id 0
		.amdhsa_user_sgpr_flat_scratch_init 0
		.amdhsa_user_sgpr_kernarg_preload_length 0
		.amdhsa_user_sgpr_kernarg_preload_offset 0
		.amdhsa_user_sgpr_private_segment_size 0
		.amdhsa_uses_dynamic_stack 0
		.amdhsa_system_sgpr_private_segment_wavefront_offset 0
		.amdhsa_system_sgpr_workgroup_id_x 1
		.amdhsa_system_sgpr_workgroup_id_y 0
		.amdhsa_system_sgpr_workgroup_id_z 0
		.amdhsa_system_sgpr_workgroup_info 0
		.amdhsa_system_vgpr_workitem_id 0
		.amdhsa_next_free_vgpr 44
		.amdhsa_next_free_sgpr 40
		.amdhsa_accum_offset 44
		.amdhsa_reserve_vcc 1
		.amdhsa_reserve_flat_scratch 0
		.amdhsa_float_round_mode_32 0
		.amdhsa_float_round_mode_16_64 0
		.amdhsa_float_denorm_mode_32 3
		.amdhsa_float_denorm_mode_16_64 3
		.amdhsa_dx10_clamp 1
		.amdhsa_ieee_mode 1
		.amdhsa_fp16_overflow 0
		.amdhsa_tg_split 0
		.amdhsa_exception_fp_ieee_invalid_op 0
		.amdhsa_exception_fp_denorm_src 0
		.amdhsa_exception_fp_ieee_div_zero 0
		.amdhsa_exception_fp_ieee_overflow 0
		.amdhsa_exception_fp_ieee_underflow 0
		.amdhsa_exception_fp_ieee_inexact 0
		.amdhsa_exception_int_div_zero 0
	.end_amdhsa_kernel
	.section	.text._ZN7rocprim17ROCPRIM_400000_NS6detail17trampoline_kernelINS0_14default_configENS1_22reduce_config_selectorIN6thrust23THRUST_200600_302600_NS5tupleIblNS6_9null_typeES8_S8_S8_S8_S8_S8_S8_EEEEZNS1_11reduce_implILb1ES3_NS6_12zip_iteratorINS7_INS6_11hip_rocprim26transform_input_iterator_tIbNSD_35transform_pair_of_input_iterators_tIbNS6_6detail15normal_iteratorINS6_10device_ptrIKxEEEESL_NS6_8equal_toIxEEEENSG_9not_fun_tINSD_8identityEEEEENSD_19counting_iterator_tIlEES8_S8_S8_S8_S8_S8_S8_S8_EEEEPS9_S9_NSD_9__find_if7functorIS9_EEEE10hipError_tPvRmT1_T2_T3_mT4_P12ihipStream_tbEUlT_E1_NS1_11comp_targetILNS1_3genE4ELNS1_11target_archE910ELNS1_3gpuE8ELNS1_3repE0EEENS1_30default_config_static_selectorELNS0_4arch9wavefront6targetE1EEEvS14_,"axG",@progbits,_ZN7rocprim17ROCPRIM_400000_NS6detail17trampoline_kernelINS0_14default_configENS1_22reduce_config_selectorIN6thrust23THRUST_200600_302600_NS5tupleIblNS6_9null_typeES8_S8_S8_S8_S8_S8_S8_EEEEZNS1_11reduce_implILb1ES3_NS6_12zip_iteratorINS7_INS6_11hip_rocprim26transform_input_iterator_tIbNSD_35transform_pair_of_input_iterators_tIbNS6_6detail15normal_iteratorINS6_10device_ptrIKxEEEESL_NS6_8equal_toIxEEEENSG_9not_fun_tINSD_8identityEEEEENSD_19counting_iterator_tIlEES8_S8_S8_S8_S8_S8_S8_S8_EEEEPS9_S9_NSD_9__find_if7functorIS9_EEEE10hipError_tPvRmT1_T2_T3_mT4_P12ihipStream_tbEUlT_E1_NS1_11comp_targetILNS1_3genE4ELNS1_11target_archE910ELNS1_3gpuE8ELNS1_3repE0EEENS1_30default_config_static_selectorELNS0_4arch9wavefront6targetE1EEEvS14_,comdat
.Lfunc_end77:
	.size	_ZN7rocprim17ROCPRIM_400000_NS6detail17trampoline_kernelINS0_14default_configENS1_22reduce_config_selectorIN6thrust23THRUST_200600_302600_NS5tupleIblNS6_9null_typeES8_S8_S8_S8_S8_S8_S8_EEEEZNS1_11reduce_implILb1ES3_NS6_12zip_iteratorINS7_INS6_11hip_rocprim26transform_input_iterator_tIbNSD_35transform_pair_of_input_iterators_tIbNS6_6detail15normal_iteratorINS6_10device_ptrIKxEEEESL_NS6_8equal_toIxEEEENSG_9not_fun_tINSD_8identityEEEEENSD_19counting_iterator_tIlEES8_S8_S8_S8_S8_S8_S8_S8_EEEEPS9_S9_NSD_9__find_if7functorIS9_EEEE10hipError_tPvRmT1_T2_T3_mT4_P12ihipStream_tbEUlT_E1_NS1_11comp_targetILNS1_3genE4ELNS1_11target_archE910ELNS1_3gpuE8ELNS1_3repE0EEENS1_30default_config_static_selectorELNS0_4arch9wavefront6targetE1EEEvS14_, .Lfunc_end77-_ZN7rocprim17ROCPRIM_400000_NS6detail17trampoline_kernelINS0_14default_configENS1_22reduce_config_selectorIN6thrust23THRUST_200600_302600_NS5tupleIblNS6_9null_typeES8_S8_S8_S8_S8_S8_S8_EEEEZNS1_11reduce_implILb1ES3_NS6_12zip_iteratorINS7_INS6_11hip_rocprim26transform_input_iterator_tIbNSD_35transform_pair_of_input_iterators_tIbNS6_6detail15normal_iteratorINS6_10device_ptrIKxEEEESL_NS6_8equal_toIxEEEENSG_9not_fun_tINSD_8identityEEEEENSD_19counting_iterator_tIlEES8_S8_S8_S8_S8_S8_S8_S8_EEEEPS9_S9_NSD_9__find_if7functorIS9_EEEE10hipError_tPvRmT1_T2_T3_mT4_P12ihipStream_tbEUlT_E1_NS1_11comp_targetILNS1_3genE4ELNS1_11target_archE910ELNS1_3gpuE8ELNS1_3repE0EEENS1_30default_config_static_selectorELNS0_4arch9wavefront6targetE1EEEvS14_
                                        ; -- End function
	.section	.AMDGPU.csdata,"",@progbits
; Kernel info:
; codeLenInByte = 13212
; NumSgprs: 44
; NumVgprs: 44
; NumAgprs: 0
; TotalNumVgprs: 44
; ScratchSize: 0
; MemoryBound: 0
; FloatMode: 240
; IeeeMode: 1
; LDSByteSize: 320 bytes/workgroup (compile time only)
; SGPRBlocks: 5
; VGPRBlocks: 5
; NumSGPRsForWavesPerEU: 44
; NumVGPRsForWavesPerEU: 44
; AccumOffset: 44
; Occupancy: 8
; WaveLimiterHint : 0
; COMPUTE_PGM_RSRC2:SCRATCH_EN: 0
; COMPUTE_PGM_RSRC2:USER_SGPR: 6
; COMPUTE_PGM_RSRC2:TRAP_HANDLER: 0
; COMPUTE_PGM_RSRC2:TGID_X_EN: 1
; COMPUTE_PGM_RSRC2:TGID_Y_EN: 0
; COMPUTE_PGM_RSRC2:TGID_Z_EN: 0
; COMPUTE_PGM_RSRC2:TIDIG_COMP_CNT: 0
; COMPUTE_PGM_RSRC3_GFX90A:ACCUM_OFFSET: 10
; COMPUTE_PGM_RSRC3_GFX90A:TG_SPLIT: 0
	.section	.text._ZN7rocprim17ROCPRIM_400000_NS6detail17trampoline_kernelINS0_14default_configENS1_22reduce_config_selectorIN6thrust23THRUST_200600_302600_NS5tupleIblNS6_9null_typeES8_S8_S8_S8_S8_S8_S8_EEEEZNS1_11reduce_implILb1ES3_NS6_12zip_iteratorINS7_INS6_11hip_rocprim26transform_input_iterator_tIbNSD_35transform_pair_of_input_iterators_tIbNS6_6detail15normal_iteratorINS6_10device_ptrIKxEEEESL_NS6_8equal_toIxEEEENSG_9not_fun_tINSD_8identityEEEEENSD_19counting_iterator_tIlEES8_S8_S8_S8_S8_S8_S8_S8_EEEEPS9_S9_NSD_9__find_if7functorIS9_EEEE10hipError_tPvRmT1_T2_T3_mT4_P12ihipStream_tbEUlT_E1_NS1_11comp_targetILNS1_3genE3ELNS1_11target_archE908ELNS1_3gpuE7ELNS1_3repE0EEENS1_30default_config_static_selectorELNS0_4arch9wavefront6targetE1EEEvS14_,"axG",@progbits,_ZN7rocprim17ROCPRIM_400000_NS6detail17trampoline_kernelINS0_14default_configENS1_22reduce_config_selectorIN6thrust23THRUST_200600_302600_NS5tupleIblNS6_9null_typeES8_S8_S8_S8_S8_S8_S8_EEEEZNS1_11reduce_implILb1ES3_NS6_12zip_iteratorINS7_INS6_11hip_rocprim26transform_input_iterator_tIbNSD_35transform_pair_of_input_iterators_tIbNS6_6detail15normal_iteratorINS6_10device_ptrIKxEEEESL_NS6_8equal_toIxEEEENSG_9not_fun_tINSD_8identityEEEEENSD_19counting_iterator_tIlEES8_S8_S8_S8_S8_S8_S8_S8_EEEEPS9_S9_NSD_9__find_if7functorIS9_EEEE10hipError_tPvRmT1_T2_T3_mT4_P12ihipStream_tbEUlT_E1_NS1_11comp_targetILNS1_3genE3ELNS1_11target_archE908ELNS1_3gpuE7ELNS1_3repE0EEENS1_30default_config_static_selectorELNS0_4arch9wavefront6targetE1EEEvS14_,comdat
	.protected	_ZN7rocprim17ROCPRIM_400000_NS6detail17trampoline_kernelINS0_14default_configENS1_22reduce_config_selectorIN6thrust23THRUST_200600_302600_NS5tupleIblNS6_9null_typeES8_S8_S8_S8_S8_S8_S8_EEEEZNS1_11reduce_implILb1ES3_NS6_12zip_iteratorINS7_INS6_11hip_rocprim26transform_input_iterator_tIbNSD_35transform_pair_of_input_iterators_tIbNS6_6detail15normal_iteratorINS6_10device_ptrIKxEEEESL_NS6_8equal_toIxEEEENSG_9not_fun_tINSD_8identityEEEEENSD_19counting_iterator_tIlEES8_S8_S8_S8_S8_S8_S8_S8_EEEEPS9_S9_NSD_9__find_if7functorIS9_EEEE10hipError_tPvRmT1_T2_T3_mT4_P12ihipStream_tbEUlT_E1_NS1_11comp_targetILNS1_3genE3ELNS1_11target_archE908ELNS1_3gpuE7ELNS1_3repE0EEENS1_30default_config_static_selectorELNS0_4arch9wavefront6targetE1EEEvS14_ ; -- Begin function _ZN7rocprim17ROCPRIM_400000_NS6detail17trampoline_kernelINS0_14default_configENS1_22reduce_config_selectorIN6thrust23THRUST_200600_302600_NS5tupleIblNS6_9null_typeES8_S8_S8_S8_S8_S8_S8_EEEEZNS1_11reduce_implILb1ES3_NS6_12zip_iteratorINS7_INS6_11hip_rocprim26transform_input_iterator_tIbNSD_35transform_pair_of_input_iterators_tIbNS6_6detail15normal_iteratorINS6_10device_ptrIKxEEEESL_NS6_8equal_toIxEEEENSG_9not_fun_tINSD_8identityEEEEENSD_19counting_iterator_tIlEES8_S8_S8_S8_S8_S8_S8_S8_EEEEPS9_S9_NSD_9__find_if7functorIS9_EEEE10hipError_tPvRmT1_T2_T3_mT4_P12ihipStream_tbEUlT_E1_NS1_11comp_targetILNS1_3genE3ELNS1_11target_archE908ELNS1_3gpuE7ELNS1_3repE0EEENS1_30default_config_static_selectorELNS0_4arch9wavefront6targetE1EEEvS14_
	.globl	_ZN7rocprim17ROCPRIM_400000_NS6detail17trampoline_kernelINS0_14default_configENS1_22reduce_config_selectorIN6thrust23THRUST_200600_302600_NS5tupleIblNS6_9null_typeES8_S8_S8_S8_S8_S8_S8_EEEEZNS1_11reduce_implILb1ES3_NS6_12zip_iteratorINS7_INS6_11hip_rocprim26transform_input_iterator_tIbNSD_35transform_pair_of_input_iterators_tIbNS6_6detail15normal_iteratorINS6_10device_ptrIKxEEEESL_NS6_8equal_toIxEEEENSG_9not_fun_tINSD_8identityEEEEENSD_19counting_iterator_tIlEES8_S8_S8_S8_S8_S8_S8_S8_EEEEPS9_S9_NSD_9__find_if7functorIS9_EEEE10hipError_tPvRmT1_T2_T3_mT4_P12ihipStream_tbEUlT_E1_NS1_11comp_targetILNS1_3genE3ELNS1_11target_archE908ELNS1_3gpuE7ELNS1_3repE0EEENS1_30default_config_static_selectorELNS0_4arch9wavefront6targetE1EEEvS14_
	.p2align	8
	.type	_ZN7rocprim17ROCPRIM_400000_NS6detail17trampoline_kernelINS0_14default_configENS1_22reduce_config_selectorIN6thrust23THRUST_200600_302600_NS5tupleIblNS6_9null_typeES8_S8_S8_S8_S8_S8_S8_EEEEZNS1_11reduce_implILb1ES3_NS6_12zip_iteratorINS7_INS6_11hip_rocprim26transform_input_iterator_tIbNSD_35transform_pair_of_input_iterators_tIbNS6_6detail15normal_iteratorINS6_10device_ptrIKxEEEESL_NS6_8equal_toIxEEEENSG_9not_fun_tINSD_8identityEEEEENSD_19counting_iterator_tIlEES8_S8_S8_S8_S8_S8_S8_S8_EEEEPS9_S9_NSD_9__find_if7functorIS9_EEEE10hipError_tPvRmT1_T2_T3_mT4_P12ihipStream_tbEUlT_E1_NS1_11comp_targetILNS1_3genE3ELNS1_11target_archE908ELNS1_3gpuE7ELNS1_3repE0EEENS1_30default_config_static_selectorELNS0_4arch9wavefront6targetE1EEEvS14_,@function
_ZN7rocprim17ROCPRIM_400000_NS6detail17trampoline_kernelINS0_14default_configENS1_22reduce_config_selectorIN6thrust23THRUST_200600_302600_NS5tupleIblNS6_9null_typeES8_S8_S8_S8_S8_S8_S8_EEEEZNS1_11reduce_implILb1ES3_NS6_12zip_iteratorINS7_INS6_11hip_rocprim26transform_input_iterator_tIbNSD_35transform_pair_of_input_iterators_tIbNS6_6detail15normal_iteratorINS6_10device_ptrIKxEEEESL_NS6_8equal_toIxEEEENSG_9not_fun_tINSD_8identityEEEEENSD_19counting_iterator_tIlEES8_S8_S8_S8_S8_S8_S8_S8_EEEEPS9_S9_NSD_9__find_if7functorIS9_EEEE10hipError_tPvRmT1_T2_T3_mT4_P12ihipStream_tbEUlT_E1_NS1_11comp_targetILNS1_3genE3ELNS1_11target_archE908ELNS1_3gpuE7ELNS1_3repE0EEENS1_30default_config_static_selectorELNS0_4arch9wavefront6targetE1EEEvS14_: ; @_ZN7rocprim17ROCPRIM_400000_NS6detail17trampoline_kernelINS0_14default_configENS1_22reduce_config_selectorIN6thrust23THRUST_200600_302600_NS5tupleIblNS6_9null_typeES8_S8_S8_S8_S8_S8_S8_EEEEZNS1_11reduce_implILb1ES3_NS6_12zip_iteratorINS7_INS6_11hip_rocprim26transform_input_iterator_tIbNSD_35transform_pair_of_input_iterators_tIbNS6_6detail15normal_iteratorINS6_10device_ptrIKxEEEESL_NS6_8equal_toIxEEEENSG_9not_fun_tINSD_8identityEEEEENSD_19counting_iterator_tIlEES8_S8_S8_S8_S8_S8_S8_S8_EEEEPS9_S9_NSD_9__find_if7functorIS9_EEEE10hipError_tPvRmT1_T2_T3_mT4_P12ihipStream_tbEUlT_E1_NS1_11comp_targetILNS1_3genE3ELNS1_11target_archE908ELNS1_3gpuE7ELNS1_3repE0EEENS1_30default_config_static_selectorELNS0_4arch9wavefront6targetE1EEEvS14_
; %bb.0:
	.section	.rodata,"a",@progbits
	.p2align	6, 0x0
	.amdhsa_kernel _ZN7rocprim17ROCPRIM_400000_NS6detail17trampoline_kernelINS0_14default_configENS1_22reduce_config_selectorIN6thrust23THRUST_200600_302600_NS5tupleIblNS6_9null_typeES8_S8_S8_S8_S8_S8_S8_EEEEZNS1_11reduce_implILb1ES3_NS6_12zip_iteratorINS7_INS6_11hip_rocprim26transform_input_iterator_tIbNSD_35transform_pair_of_input_iterators_tIbNS6_6detail15normal_iteratorINS6_10device_ptrIKxEEEESL_NS6_8equal_toIxEEEENSG_9not_fun_tINSD_8identityEEEEENSD_19counting_iterator_tIlEES8_S8_S8_S8_S8_S8_S8_S8_EEEEPS9_S9_NSD_9__find_if7functorIS9_EEEE10hipError_tPvRmT1_T2_T3_mT4_P12ihipStream_tbEUlT_E1_NS1_11comp_targetILNS1_3genE3ELNS1_11target_archE908ELNS1_3gpuE7ELNS1_3repE0EEENS1_30default_config_static_selectorELNS0_4arch9wavefront6targetE1EEEvS14_
		.amdhsa_group_segment_fixed_size 0
		.amdhsa_private_segment_fixed_size 0
		.amdhsa_kernarg_size 88
		.amdhsa_user_sgpr_count 6
		.amdhsa_user_sgpr_private_segment_buffer 1
		.amdhsa_user_sgpr_dispatch_ptr 0
		.amdhsa_user_sgpr_queue_ptr 0
		.amdhsa_user_sgpr_kernarg_segment_ptr 1
		.amdhsa_user_sgpr_dispatch_id 0
		.amdhsa_user_sgpr_flat_scratch_init 0
		.amdhsa_user_sgpr_kernarg_preload_length 0
		.amdhsa_user_sgpr_kernarg_preload_offset 0
		.amdhsa_user_sgpr_private_segment_size 0
		.amdhsa_uses_dynamic_stack 0
		.amdhsa_system_sgpr_private_segment_wavefront_offset 0
		.amdhsa_system_sgpr_workgroup_id_x 1
		.amdhsa_system_sgpr_workgroup_id_y 0
		.amdhsa_system_sgpr_workgroup_id_z 0
		.amdhsa_system_sgpr_workgroup_info 0
		.amdhsa_system_vgpr_workitem_id 0
		.amdhsa_next_free_vgpr 1
		.amdhsa_next_free_sgpr 0
		.amdhsa_accum_offset 4
		.amdhsa_reserve_vcc 0
		.amdhsa_reserve_flat_scratch 0
		.amdhsa_float_round_mode_32 0
		.amdhsa_float_round_mode_16_64 0
		.amdhsa_float_denorm_mode_32 3
		.amdhsa_float_denorm_mode_16_64 3
		.amdhsa_dx10_clamp 1
		.amdhsa_ieee_mode 1
		.amdhsa_fp16_overflow 0
		.amdhsa_tg_split 0
		.amdhsa_exception_fp_ieee_invalid_op 0
		.amdhsa_exception_fp_denorm_src 0
		.amdhsa_exception_fp_ieee_div_zero 0
		.amdhsa_exception_fp_ieee_overflow 0
		.amdhsa_exception_fp_ieee_underflow 0
		.amdhsa_exception_fp_ieee_inexact 0
		.amdhsa_exception_int_div_zero 0
	.end_amdhsa_kernel
	.section	.text._ZN7rocprim17ROCPRIM_400000_NS6detail17trampoline_kernelINS0_14default_configENS1_22reduce_config_selectorIN6thrust23THRUST_200600_302600_NS5tupleIblNS6_9null_typeES8_S8_S8_S8_S8_S8_S8_EEEEZNS1_11reduce_implILb1ES3_NS6_12zip_iteratorINS7_INS6_11hip_rocprim26transform_input_iterator_tIbNSD_35transform_pair_of_input_iterators_tIbNS6_6detail15normal_iteratorINS6_10device_ptrIKxEEEESL_NS6_8equal_toIxEEEENSG_9not_fun_tINSD_8identityEEEEENSD_19counting_iterator_tIlEES8_S8_S8_S8_S8_S8_S8_S8_EEEEPS9_S9_NSD_9__find_if7functorIS9_EEEE10hipError_tPvRmT1_T2_T3_mT4_P12ihipStream_tbEUlT_E1_NS1_11comp_targetILNS1_3genE3ELNS1_11target_archE908ELNS1_3gpuE7ELNS1_3repE0EEENS1_30default_config_static_selectorELNS0_4arch9wavefront6targetE1EEEvS14_,"axG",@progbits,_ZN7rocprim17ROCPRIM_400000_NS6detail17trampoline_kernelINS0_14default_configENS1_22reduce_config_selectorIN6thrust23THRUST_200600_302600_NS5tupleIblNS6_9null_typeES8_S8_S8_S8_S8_S8_S8_EEEEZNS1_11reduce_implILb1ES3_NS6_12zip_iteratorINS7_INS6_11hip_rocprim26transform_input_iterator_tIbNSD_35transform_pair_of_input_iterators_tIbNS6_6detail15normal_iteratorINS6_10device_ptrIKxEEEESL_NS6_8equal_toIxEEEENSG_9not_fun_tINSD_8identityEEEEENSD_19counting_iterator_tIlEES8_S8_S8_S8_S8_S8_S8_S8_EEEEPS9_S9_NSD_9__find_if7functorIS9_EEEE10hipError_tPvRmT1_T2_T3_mT4_P12ihipStream_tbEUlT_E1_NS1_11comp_targetILNS1_3genE3ELNS1_11target_archE908ELNS1_3gpuE7ELNS1_3repE0EEENS1_30default_config_static_selectorELNS0_4arch9wavefront6targetE1EEEvS14_,comdat
.Lfunc_end78:
	.size	_ZN7rocprim17ROCPRIM_400000_NS6detail17trampoline_kernelINS0_14default_configENS1_22reduce_config_selectorIN6thrust23THRUST_200600_302600_NS5tupleIblNS6_9null_typeES8_S8_S8_S8_S8_S8_S8_EEEEZNS1_11reduce_implILb1ES3_NS6_12zip_iteratorINS7_INS6_11hip_rocprim26transform_input_iterator_tIbNSD_35transform_pair_of_input_iterators_tIbNS6_6detail15normal_iteratorINS6_10device_ptrIKxEEEESL_NS6_8equal_toIxEEEENSG_9not_fun_tINSD_8identityEEEEENSD_19counting_iterator_tIlEES8_S8_S8_S8_S8_S8_S8_S8_EEEEPS9_S9_NSD_9__find_if7functorIS9_EEEE10hipError_tPvRmT1_T2_T3_mT4_P12ihipStream_tbEUlT_E1_NS1_11comp_targetILNS1_3genE3ELNS1_11target_archE908ELNS1_3gpuE7ELNS1_3repE0EEENS1_30default_config_static_selectorELNS0_4arch9wavefront6targetE1EEEvS14_, .Lfunc_end78-_ZN7rocprim17ROCPRIM_400000_NS6detail17trampoline_kernelINS0_14default_configENS1_22reduce_config_selectorIN6thrust23THRUST_200600_302600_NS5tupleIblNS6_9null_typeES8_S8_S8_S8_S8_S8_S8_EEEEZNS1_11reduce_implILb1ES3_NS6_12zip_iteratorINS7_INS6_11hip_rocprim26transform_input_iterator_tIbNSD_35transform_pair_of_input_iterators_tIbNS6_6detail15normal_iteratorINS6_10device_ptrIKxEEEESL_NS6_8equal_toIxEEEENSG_9not_fun_tINSD_8identityEEEEENSD_19counting_iterator_tIlEES8_S8_S8_S8_S8_S8_S8_S8_EEEEPS9_S9_NSD_9__find_if7functorIS9_EEEE10hipError_tPvRmT1_T2_T3_mT4_P12ihipStream_tbEUlT_E1_NS1_11comp_targetILNS1_3genE3ELNS1_11target_archE908ELNS1_3gpuE7ELNS1_3repE0EEENS1_30default_config_static_selectorELNS0_4arch9wavefront6targetE1EEEvS14_
                                        ; -- End function
	.section	.AMDGPU.csdata,"",@progbits
; Kernel info:
; codeLenInByte = 0
; NumSgprs: 4
; NumVgprs: 0
; NumAgprs: 0
; TotalNumVgprs: 0
; ScratchSize: 0
; MemoryBound: 0
; FloatMode: 240
; IeeeMode: 1
; LDSByteSize: 0 bytes/workgroup (compile time only)
; SGPRBlocks: 0
; VGPRBlocks: 0
; NumSGPRsForWavesPerEU: 4
; NumVGPRsForWavesPerEU: 1
; AccumOffset: 4
; Occupancy: 8
; WaveLimiterHint : 0
; COMPUTE_PGM_RSRC2:SCRATCH_EN: 0
; COMPUTE_PGM_RSRC2:USER_SGPR: 6
; COMPUTE_PGM_RSRC2:TRAP_HANDLER: 0
; COMPUTE_PGM_RSRC2:TGID_X_EN: 1
; COMPUTE_PGM_RSRC2:TGID_Y_EN: 0
; COMPUTE_PGM_RSRC2:TGID_Z_EN: 0
; COMPUTE_PGM_RSRC2:TIDIG_COMP_CNT: 0
; COMPUTE_PGM_RSRC3_GFX90A:ACCUM_OFFSET: 0
; COMPUTE_PGM_RSRC3_GFX90A:TG_SPLIT: 0
	.section	.text._ZN7rocprim17ROCPRIM_400000_NS6detail17trampoline_kernelINS0_14default_configENS1_22reduce_config_selectorIN6thrust23THRUST_200600_302600_NS5tupleIblNS6_9null_typeES8_S8_S8_S8_S8_S8_S8_EEEEZNS1_11reduce_implILb1ES3_NS6_12zip_iteratorINS7_INS6_11hip_rocprim26transform_input_iterator_tIbNSD_35transform_pair_of_input_iterators_tIbNS6_6detail15normal_iteratorINS6_10device_ptrIKxEEEESL_NS6_8equal_toIxEEEENSG_9not_fun_tINSD_8identityEEEEENSD_19counting_iterator_tIlEES8_S8_S8_S8_S8_S8_S8_S8_EEEEPS9_S9_NSD_9__find_if7functorIS9_EEEE10hipError_tPvRmT1_T2_T3_mT4_P12ihipStream_tbEUlT_E1_NS1_11comp_targetILNS1_3genE2ELNS1_11target_archE906ELNS1_3gpuE6ELNS1_3repE0EEENS1_30default_config_static_selectorELNS0_4arch9wavefront6targetE1EEEvS14_,"axG",@progbits,_ZN7rocprim17ROCPRIM_400000_NS6detail17trampoline_kernelINS0_14default_configENS1_22reduce_config_selectorIN6thrust23THRUST_200600_302600_NS5tupleIblNS6_9null_typeES8_S8_S8_S8_S8_S8_S8_EEEEZNS1_11reduce_implILb1ES3_NS6_12zip_iteratorINS7_INS6_11hip_rocprim26transform_input_iterator_tIbNSD_35transform_pair_of_input_iterators_tIbNS6_6detail15normal_iteratorINS6_10device_ptrIKxEEEESL_NS6_8equal_toIxEEEENSG_9not_fun_tINSD_8identityEEEEENSD_19counting_iterator_tIlEES8_S8_S8_S8_S8_S8_S8_S8_EEEEPS9_S9_NSD_9__find_if7functorIS9_EEEE10hipError_tPvRmT1_T2_T3_mT4_P12ihipStream_tbEUlT_E1_NS1_11comp_targetILNS1_3genE2ELNS1_11target_archE906ELNS1_3gpuE6ELNS1_3repE0EEENS1_30default_config_static_selectorELNS0_4arch9wavefront6targetE1EEEvS14_,comdat
	.protected	_ZN7rocprim17ROCPRIM_400000_NS6detail17trampoline_kernelINS0_14default_configENS1_22reduce_config_selectorIN6thrust23THRUST_200600_302600_NS5tupleIblNS6_9null_typeES8_S8_S8_S8_S8_S8_S8_EEEEZNS1_11reduce_implILb1ES3_NS6_12zip_iteratorINS7_INS6_11hip_rocprim26transform_input_iterator_tIbNSD_35transform_pair_of_input_iterators_tIbNS6_6detail15normal_iteratorINS6_10device_ptrIKxEEEESL_NS6_8equal_toIxEEEENSG_9not_fun_tINSD_8identityEEEEENSD_19counting_iterator_tIlEES8_S8_S8_S8_S8_S8_S8_S8_EEEEPS9_S9_NSD_9__find_if7functorIS9_EEEE10hipError_tPvRmT1_T2_T3_mT4_P12ihipStream_tbEUlT_E1_NS1_11comp_targetILNS1_3genE2ELNS1_11target_archE906ELNS1_3gpuE6ELNS1_3repE0EEENS1_30default_config_static_selectorELNS0_4arch9wavefront6targetE1EEEvS14_ ; -- Begin function _ZN7rocprim17ROCPRIM_400000_NS6detail17trampoline_kernelINS0_14default_configENS1_22reduce_config_selectorIN6thrust23THRUST_200600_302600_NS5tupleIblNS6_9null_typeES8_S8_S8_S8_S8_S8_S8_EEEEZNS1_11reduce_implILb1ES3_NS6_12zip_iteratorINS7_INS6_11hip_rocprim26transform_input_iterator_tIbNSD_35transform_pair_of_input_iterators_tIbNS6_6detail15normal_iteratorINS6_10device_ptrIKxEEEESL_NS6_8equal_toIxEEEENSG_9not_fun_tINSD_8identityEEEEENSD_19counting_iterator_tIlEES8_S8_S8_S8_S8_S8_S8_S8_EEEEPS9_S9_NSD_9__find_if7functorIS9_EEEE10hipError_tPvRmT1_T2_T3_mT4_P12ihipStream_tbEUlT_E1_NS1_11comp_targetILNS1_3genE2ELNS1_11target_archE906ELNS1_3gpuE6ELNS1_3repE0EEENS1_30default_config_static_selectorELNS0_4arch9wavefront6targetE1EEEvS14_
	.globl	_ZN7rocprim17ROCPRIM_400000_NS6detail17trampoline_kernelINS0_14default_configENS1_22reduce_config_selectorIN6thrust23THRUST_200600_302600_NS5tupleIblNS6_9null_typeES8_S8_S8_S8_S8_S8_S8_EEEEZNS1_11reduce_implILb1ES3_NS6_12zip_iteratorINS7_INS6_11hip_rocprim26transform_input_iterator_tIbNSD_35transform_pair_of_input_iterators_tIbNS6_6detail15normal_iteratorINS6_10device_ptrIKxEEEESL_NS6_8equal_toIxEEEENSG_9not_fun_tINSD_8identityEEEEENSD_19counting_iterator_tIlEES8_S8_S8_S8_S8_S8_S8_S8_EEEEPS9_S9_NSD_9__find_if7functorIS9_EEEE10hipError_tPvRmT1_T2_T3_mT4_P12ihipStream_tbEUlT_E1_NS1_11comp_targetILNS1_3genE2ELNS1_11target_archE906ELNS1_3gpuE6ELNS1_3repE0EEENS1_30default_config_static_selectorELNS0_4arch9wavefront6targetE1EEEvS14_
	.p2align	8
	.type	_ZN7rocprim17ROCPRIM_400000_NS6detail17trampoline_kernelINS0_14default_configENS1_22reduce_config_selectorIN6thrust23THRUST_200600_302600_NS5tupleIblNS6_9null_typeES8_S8_S8_S8_S8_S8_S8_EEEEZNS1_11reduce_implILb1ES3_NS6_12zip_iteratorINS7_INS6_11hip_rocprim26transform_input_iterator_tIbNSD_35transform_pair_of_input_iterators_tIbNS6_6detail15normal_iteratorINS6_10device_ptrIKxEEEESL_NS6_8equal_toIxEEEENSG_9not_fun_tINSD_8identityEEEEENSD_19counting_iterator_tIlEES8_S8_S8_S8_S8_S8_S8_S8_EEEEPS9_S9_NSD_9__find_if7functorIS9_EEEE10hipError_tPvRmT1_T2_T3_mT4_P12ihipStream_tbEUlT_E1_NS1_11comp_targetILNS1_3genE2ELNS1_11target_archE906ELNS1_3gpuE6ELNS1_3repE0EEENS1_30default_config_static_selectorELNS0_4arch9wavefront6targetE1EEEvS14_,@function
_ZN7rocprim17ROCPRIM_400000_NS6detail17trampoline_kernelINS0_14default_configENS1_22reduce_config_selectorIN6thrust23THRUST_200600_302600_NS5tupleIblNS6_9null_typeES8_S8_S8_S8_S8_S8_S8_EEEEZNS1_11reduce_implILb1ES3_NS6_12zip_iteratorINS7_INS6_11hip_rocprim26transform_input_iterator_tIbNSD_35transform_pair_of_input_iterators_tIbNS6_6detail15normal_iteratorINS6_10device_ptrIKxEEEESL_NS6_8equal_toIxEEEENSG_9not_fun_tINSD_8identityEEEEENSD_19counting_iterator_tIlEES8_S8_S8_S8_S8_S8_S8_S8_EEEEPS9_S9_NSD_9__find_if7functorIS9_EEEE10hipError_tPvRmT1_T2_T3_mT4_P12ihipStream_tbEUlT_E1_NS1_11comp_targetILNS1_3genE2ELNS1_11target_archE906ELNS1_3gpuE6ELNS1_3repE0EEENS1_30default_config_static_selectorELNS0_4arch9wavefront6targetE1EEEvS14_: ; @_ZN7rocprim17ROCPRIM_400000_NS6detail17trampoline_kernelINS0_14default_configENS1_22reduce_config_selectorIN6thrust23THRUST_200600_302600_NS5tupleIblNS6_9null_typeES8_S8_S8_S8_S8_S8_S8_EEEEZNS1_11reduce_implILb1ES3_NS6_12zip_iteratorINS7_INS6_11hip_rocprim26transform_input_iterator_tIbNSD_35transform_pair_of_input_iterators_tIbNS6_6detail15normal_iteratorINS6_10device_ptrIKxEEEESL_NS6_8equal_toIxEEEENSG_9not_fun_tINSD_8identityEEEEENSD_19counting_iterator_tIlEES8_S8_S8_S8_S8_S8_S8_S8_EEEEPS9_S9_NSD_9__find_if7functorIS9_EEEE10hipError_tPvRmT1_T2_T3_mT4_P12ihipStream_tbEUlT_E1_NS1_11comp_targetILNS1_3genE2ELNS1_11target_archE906ELNS1_3gpuE6ELNS1_3repE0EEENS1_30default_config_static_selectorELNS0_4arch9wavefront6targetE1EEEvS14_
; %bb.0:
	.section	.rodata,"a",@progbits
	.p2align	6, 0x0
	.amdhsa_kernel _ZN7rocprim17ROCPRIM_400000_NS6detail17trampoline_kernelINS0_14default_configENS1_22reduce_config_selectorIN6thrust23THRUST_200600_302600_NS5tupleIblNS6_9null_typeES8_S8_S8_S8_S8_S8_S8_EEEEZNS1_11reduce_implILb1ES3_NS6_12zip_iteratorINS7_INS6_11hip_rocprim26transform_input_iterator_tIbNSD_35transform_pair_of_input_iterators_tIbNS6_6detail15normal_iteratorINS6_10device_ptrIKxEEEESL_NS6_8equal_toIxEEEENSG_9not_fun_tINSD_8identityEEEEENSD_19counting_iterator_tIlEES8_S8_S8_S8_S8_S8_S8_S8_EEEEPS9_S9_NSD_9__find_if7functorIS9_EEEE10hipError_tPvRmT1_T2_T3_mT4_P12ihipStream_tbEUlT_E1_NS1_11comp_targetILNS1_3genE2ELNS1_11target_archE906ELNS1_3gpuE6ELNS1_3repE0EEENS1_30default_config_static_selectorELNS0_4arch9wavefront6targetE1EEEvS14_
		.amdhsa_group_segment_fixed_size 0
		.amdhsa_private_segment_fixed_size 0
		.amdhsa_kernarg_size 88
		.amdhsa_user_sgpr_count 6
		.amdhsa_user_sgpr_private_segment_buffer 1
		.amdhsa_user_sgpr_dispatch_ptr 0
		.amdhsa_user_sgpr_queue_ptr 0
		.amdhsa_user_sgpr_kernarg_segment_ptr 1
		.amdhsa_user_sgpr_dispatch_id 0
		.amdhsa_user_sgpr_flat_scratch_init 0
		.amdhsa_user_sgpr_kernarg_preload_length 0
		.amdhsa_user_sgpr_kernarg_preload_offset 0
		.amdhsa_user_sgpr_private_segment_size 0
		.amdhsa_uses_dynamic_stack 0
		.amdhsa_system_sgpr_private_segment_wavefront_offset 0
		.amdhsa_system_sgpr_workgroup_id_x 1
		.amdhsa_system_sgpr_workgroup_id_y 0
		.amdhsa_system_sgpr_workgroup_id_z 0
		.amdhsa_system_sgpr_workgroup_info 0
		.amdhsa_system_vgpr_workitem_id 0
		.amdhsa_next_free_vgpr 1
		.amdhsa_next_free_sgpr 0
		.amdhsa_accum_offset 4
		.amdhsa_reserve_vcc 0
		.amdhsa_reserve_flat_scratch 0
		.amdhsa_float_round_mode_32 0
		.amdhsa_float_round_mode_16_64 0
		.amdhsa_float_denorm_mode_32 3
		.amdhsa_float_denorm_mode_16_64 3
		.amdhsa_dx10_clamp 1
		.amdhsa_ieee_mode 1
		.amdhsa_fp16_overflow 0
		.amdhsa_tg_split 0
		.amdhsa_exception_fp_ieee_invalid_op 0
		.amdhsa_exception_fp_denorm_src 0
		.amdhsa_exception_fp_ieee_div_zero 0
		.amdhsa_exception_fp_ieee_overflow 0
		.amdhsa_exception_fp_ieee_underflow 0
		.amdhsa_exception_fp_ieee_inexact 0
		.amdhsa_exception_int_div_zero 0
	.end_amdhsa_kernel
	.section	.text._ZN7rocprim17ROCPRIM_400000_NS6detail17trampoline_kernelINS0_14default_configENS1_22reduce_config_selectorIN6thrust23THRUST_200600_302600_NS5tupleIblNS6_9null_typeES8_S8_S8_S8_S8_S8_S8_EEEEZNS1_11reduce_implILb1ES3_NS6_12zip_iteratorINS7_INS6_11hip_rocprim26transform_input_iterator_tIbNSD_35transform_pair_of_input_iterators_tIbNS6_6detail15normal_iteratorINS6_10device_ptrIKxEEEESL_NS6_8equal_toIxEEEENSG_9not_fun_tINSD_8identityEEEEENSD_19counting_iterator_tIlEES8_S8_S8_S8_S8_S8_S8_S8_EEEEPS9_S9_NSD_9__find_if7functorIS9_EEEE10hipError_tPvRmT1_T2_T3_mT4_P12ihipStream_tbEUlT_E1_NS1_11comp_targetILNS1_3genE2ELNS1_11target_archE906ELNS1_3gpuE6ELNS1_3repE0EEENS1_30default_config_static_selectorELNS0_4arch9wavefront6targetE1EEEvS14_,"axG",@progbits,_ZN7rocprim17ROCPRIM_400000_NS6detail17trampoline_kernelINS0_14default_configENS1_22reduce_config_selectorIN6thrust23THRUST_200600_302600_NS5tupleIblNS6_9null_typeES8_S8_S8_S8_S8_S8_S8_EEEEZNS1_11reduce_implILb1ES3_NS6_12zip_iteratorINS7_INS6_11hip_rocprim26transform_input_iterator_tIbNSD_35transform_pair_of_input_iterators_tIbNS6_6detail15normal_iteratorINS6_10device_ptrIKxEEEESL_NS6_8equal_toIxEEEENSG_9not_fun_tINSD_8identityEEEEENSD_19counting_iterator_tIlEES8_S8_S8_S8_S8_S8_S8_S8_EEEEPS9_S9_NSD_9__find_if7functorIS9_EEEE10hipError_tPvRmT1_T2_T3_mT4_P12ihipStream_tbEUlT_E1_NS1_11comp_targetILNS1_3genE2ELNS1_11target_archE906ELNS1_3gpuE6ELNS1_3repE0EEENS1_30default_config_static_selectorELNS0_4arch9wavefront6targetE1EEEvS14_,comdat
.Lfunc_end79:
	.size	_ZN7rocprim17ROCPRIM_400000_NS6detail17trampoline_kernelINS0_14default_configENS1_22reduce_config_selectorIN6thrust23THRUST_200600_302600_NS5tupleIblNS6_9null_typeES8_S8_S8_S8_S8_S8_S8_EEEEZNS1_11reduce_implILb1ES3_NS6_12zip_iteratorINS7_INS6_11hip_rocprim26transform_input_iterator_tIbNSD_35transform_pair_of_input_iterators_tIbNS6_6detail15normal_iteratorINS6_10device_ptrIKxEEEESL_NS6_8equal_toIxEEEENSG_9not_fun_tINSD_8identityEEEEENSD_19counting_iterator_tIlEES8_S8_S8_S8_S8_S8_S8_S8_EEEEPS9_S9_NSD_9__find_if7functorIS9_EEEE10hipError_tPvRmT1_T2_T3_mT4_P12ihipStream_tbEUlT_E1_NS1_11comp_targetILNS1_3genE2ELNS1_11target_archE906ELNS1_3gpuE6ELNS1_3repE0EEENS1_30default_config_static_selectorELNS0_4arch9wavefront6targetE1EEEvS14_, .Lfunc_end79-_ZN7rocprim17ROCPRIM_400000_NS6detail17trampoline_kernelINS0_14default_configENS1_22reduce_config_selectorIN6thrust23THRUST_200600_302600_NS5tupleIblNS6_9null_typeES8_S8_S8_S8_S8_S8_S8_EEEEZNS1_11reduce_implILb1ES3_NS6_12zip_iteratorINS7_INS6_11hip_rocprim26transform_input_iterator_tIbNSD_35transform_pair_of_input_iterators_tIbNS6_6detail15normal_iteratorINS6_10device_ptrIKxEEEESL_NS6_8equal_toIxEEEENSG_9not_fun_tINSD_8identityEEEEENSD_19counting_iterator_tIlEES8_S8_S8_S8_S8_S8_S8_S8_EEEEPS9_S9_NSD_9__find_if7functorIS9_EEEE10hipError_tPvRmT1_T2_T3_mT4_P12ihipStream_tbEUlT_E1_NS1_11comp_targetILNS1_3genE2ELNS1_11target_archE906ELNS1_3gpuE6ELNS1_3repE0EEENS1_30default_config_static_selectorELNS0_4arch9wavefront6targetE1EEEvS14_
                                        ; -- End function
	.section	.AMDGPU.csdata,"",@progbits
; Kernel info:
; codeLenInByte = 0
; NumSgprs: 4
; NumVgprs: 0
; NumAgprs: 0
; TotalNumVgprs: 0
; ScratchSize: 0
; MemoryBound: 0
; FloatMode: 240
; IeeeMode: 1
; LDSByteSize: 0 bytes/workgroup (compile time only)
; SGPRBlocks: 0
; VGPRBlocks: 0
; NumSGPRsForWavesPerEU: 4
; NumVGPRsForWavesPerEU: 1
; AccumOffset: 4
; Occupancy: 8
; WaveLimiterHint : 0
; COMPUTE_PGM_RSRC2:SCRATCH_EN: 0
; COMPUTE_PGM_RSRC2:USER_SGPR: 6
; COMPUTE_PGM_RSRC2:TRAP_HANDLER: 0
; COMPUTE_PGM_RSRC2:TGID_X_EN: 1
; COMPUTE_PGM_RSRC2:TGID_Y_EN: 0
; COMPUTE_PGM_RSRC2:TGID_Z_EN: 0
; COMPUTE_PGM_RSRC2:TIDIG_COMP_CNT: 0
; COMPUTE_PGM_RSRC3_GFX90A:ACCUM_OFFSET: 0
; COMPUTE_PGM_RSRC3_GFX90A:TG_SPLIT: 0
	.section	.text._ZN7rocprim17ROCPRIM_400000_NS6detail17trampoline_kernelINS0_14default_configENS1_22reduce_config_selectorIN6thrust23THRUST_200600_302600_NS5tupleIblNS6_9null_typeES8_S8_S8_S8_S8_S8_S8_EEEEZNS1_11reduce_implILb1ES3_NS6_12zip_iteratorINS7_INS6_11hip_rocprim26transform_input_iterator_tIbNSD_35transform_pair_of_input_iterators_tIbNS6_6detail15normal_iteratorINS6_10device_ptrIKxEEEESL_NS6_8equal_toIxEEEENSG_9not_fun_tINSD_8identityEEEEENSD_19counting_iterator_tIlEES8_S8_S8_S8_S8_S8_S8_S8_EEEEPS9_S9_NSD_9__find_if7functorIS9_EEEE10hipError_tPvRmT1_T2_T3_mT4_P12ihipStream_tbEUlT_E1_NS1_11comp_targetILNS1_3genE10ELNS1_11target_archE1201ELNS1_3gpuE5ELNS1_3repE0EEENS1_30default_config_static_selectorELNS0_4arch9wavefront6targetE1EEEvS14_,"axG",@progbits,_ZN7rocprim17ROCPRIM_400000_NS6detail17trampoline_kernelINS0_14default_configENS1_22reduce_config_selectorIN6thrust23THRUST_200600_302600_NS5tupleIblNS6_9null_typeES8_S8_S8_S8_S8_S8_S8_EEEEZNS1_11reduce_implILb1ES3_NS6_12zip_iteratorINS7_INS6_11hip_rocprim26transform_input_iterator_tIbNSD_35transform_pair_of_input_iterators_tIbNS6_6detail15normal_iteratorINS6_10device_ptrIKxEEEESL_NS6_8equal_toIxEEEENSG_9not_fun_tINSD_8identityEEEEENSD_19counting_iterator_tIlEES8_S8_S8_S8_S8_S8_S8_S8_EEEEPS9_S9_NSD_9__find_if7functorIS9_EEEE10hipError_tPvRmT1_T2_T3_mT4_P12ihipStream_tbEUlT_E1_NS1_11comp_targetILNS1_3genE10ELNS1_11target_archE1201ELNS1_3gpuE5ELNS1_3repE0EEENS1_30default_config_static_selectorELNS0_4arch9wavefront6targetE1EEEvS14_,comdat
	.protected	_ZN7rocprim17ROCPRIM_400000_NS6detail17trampoline_kernelINS0_14default_configENS1_22reduce_config_selectorIN6thrust23THRUST_200600_302600_NS5tupleIblNS6_9null_typeES8_S8_S8_S8_S8_S8_S8_EEEEZNS1_11reduce_implILb1ES3_NS6_12zip_iteratorINS7_INS6_11hip_rocprim26transform_input_iterator_tIbNSD_35transform_pair_of_input_iterators_tIbNS6_6detail15normal_iteratorINS6_10device_ptrIKxEEEESL_NS6_8equal_toIxEEEENSG_9not_fun_tINSD_8identityEEEEENSD_19counting_iterator_tIlEES8_S8_S8_S8_S8_S8_S8_S8_EEEEPS9_S9_NSD_9__find_if7functorIS9_EEEE10hipError_tPvRmT1_T2_T3_mT4_P12ihipStream_tbEUlT_E1_NS1_11comp_targetILNS1_3genE10ELNS1_11target_archE1201ELNS1_3gpuE5ELNS1_3repE0EEENS1_30default_config_static_selectorELNS0_4arch9wavefront6targetE1EEEvS14_ ; -- Begin function _ZN7rocprim17ROCPRIM_400000_NS6detail17trampoline_kernelINS0_14default_configENS1_22reduce_config_selectorIN6thrust23THRUST_200600_302600_NS5tupleIblNS6_9null_typeES8_S8_S8_S8_S8_S8_S8_EEEEZNS1_11reduce_implILb1ES3_NS6_12zip_iteratorINS7_INS6_11hip_rocprim26transform_input_iterator_tIbNSD_35transform_pair_of_input_iterators_tIbNS6_6detail15normal_iteratorINS6_10device_ptrIKxEEEESL_NS6_8equal_toIxEEEENSG_9not_fun_tINSD_8identityEEEEENSD_19counting_iterator_tIlEES8_S8_S8_S8_S8_S8_S8_S8_EEEEPS9_S9_NSD_9__find_if7functorIS9_EEEE10hipError_tPvRmT1_T2_T3_mT4_P12ihipStream_tbEUlT_E1_NS1_11comp_targetILNS1_3genE10ELNS1_11target_archE1201ELNS1_3gpuE5ELNS1_3repE0EEENS1_30default_config_static_selectorELNS0_4arch9wavefront6targetE1EEEvS14_
	.globl	_ZN7rocprim17ROCPRIM_400000_NS6detail17trampoline_kernelINS0_14default_configENS1_22reduce_config_selectorIN6thrust23THRUST_200600_302600_NS5tupleIblNS6_9null_typeES8_S8_S8_S8_S8_S8_S8_EEEEZNS1_11reduce_implILb1ES3_NS6_12zip_iteratorINS7_INS6_11hip_rocprim26transform_input_iterator_tIbNSD_35transform_pair_of_input_iterators_tIbNS6_6detail15normal_iteratorINS6_10device_ptrIKxEEEESL_NS6_8equal_toIxEEEENSG_9not_fun_tINSD_8identityEEEEENSD_19counting_iterator_tIlEES8_S8_S8_S8_S8_S8_S8_S8_EEEEPS9_S9_NSD_9__find_if7functorIS9_EEEE10hipError_tPvRmT1_T2_T3_mT4_P12ihipStream_tbEUlT_E1_NS1_11comp_targetILNS1_3genE10ELNS1_11target_archE1201ELNS1_3gpuE5ELNS1_3repE0EEENS1_30default_config_static_selectorELNS0_4arch9wavefront6targetE1EEEvS14_
	.p2align	8
	.type	_ZN7rocprim17ROCPRIM_400000_NS6detail17trampoline_kernelINS0_14default_configENS1_22reduce_config_selectorIN6thrust23THRUST_200600_302600_NS5tupleIblNS6_9null_typeES8_S8_S8_S8_S8_S8_S8_EEEEZNS1_11reduce_implILb1ES3_NS6_12zip_iteratorINS7_INS6_11hip_rocprim26transform_input_iterator_tIbNSD_35transform_pair_of_input_iterators_tIbNS6_6detail15normal_iteratorINS6_10device_ptrIKxEEEESL_NS6_8equal_toIxEEEENSG_9not_fun_tINSD_8identityEEEEENSD_19counting_iterator_tIlEES8_S8_S8_S8_S8_S8_S8_S8_EEEEPS9_S9_NSD_9__find_if7functorIS9_EEEE10hipError_tPvRmT1_T2_T3_mT4_P12ihipStream_tbEUlT_E1_NS1_11comp_targetILNS1_3genE10ELNS1_11target_archE1201ELNS1_3gpuE5ELNS1_3repE0EEENS1_30default_config_static_selectorELNS0_4arch9wavefront6targetE1EEEvS14_,@function
_ZN7rocprim17ROCPRIM_400000_NS6detail17trampoline_kernelINS0_14default_configENS1_22reduce_config_selectorIN6thrust23THRUST_200600_302600_NS5tupleIblNS6_9null_typeES8_S8_S8_S8_S8_S8_S8_EEEEZNS1_11reduce_implILb1ES3_NS6_12zip_iteratorINS7_INS6_11hip_rocprim26transform_input_iterator_tIbNSD_35transform_pair_of_input_iterators_tIbNS6_6detail15normal_iteratorINS6_10device_ptrIKxEEEESL_NS6_8equal_toIxEEEENSG_9not_fun_tINSD_8identityEEEEENSD_19counting_iterator_tIlEES8_S8_S8_S8_S8_S8_S8_S8_EEEEPS9_S9_NSD_9__find_if7functorIS9_EEEE10hipError_tPvRmT1_T2_T3_mT4_P12ihipStream_tbEUlT_E1_NS1_11comp_targetILNS1_3genE10ELNS1_11target_archE1201ELNS1_3gpuE5ELNS1_3repE0EEENS1_30default_config_static_selectorELNS0_4arch9wavefront6targetE1EEEvS14_: ; @_ZN7rocprim17ROCPRIM_400000_NS6detail17trampoline_kernelINS0_14default_configENS1_22reduce_config_selectorIN6thrust23THRUST_200600_302600_NS5tupleIblNS6_9null_typeES8_S8_S8_S8_S8_S8_S8_EEEEZNS1_11reduce_implILb1ES3_NS6_12zip_iteratorINS7_INS6_11hip_rocprim26transform_input_iterator_tIbNSD_35transform_pair_of_input_iterators_tIbNS6_6detail15normal_iteratorINS6_10device_ptrIKxEEEESL_NS6_8equal_toIxEEEENSG_9not_fun_tINSD_8identityEEEEENSD_19counting_iterator_tIlEES8_S8_S8_S8_S8_S8_S8_S8_EEEEPS9_S9_NSD_9__find_if7functorIS9_EEEE10hipError_tPvRmT1_T2_T3_mT4_P12ihipStream_tbEUlT_E1_NS1_11comp_targetILNS1_3genE10ELNS1_11target_archE1201ELNS1_3gpuE5ELNS1_3repE0EEENS1_30default_config_static_selectorELNS0_4arch9wavefront6targetE1EEEvS14_
; %bb.0:
	.section	.rodata,"a",@progbits
	.p2align	6, 0x0
	.amdhsa_kernel _ZN7rocprim17ROCPRIM_400000_NS6detail17trampoline_kernelINS0_14default_configENS1_22reduce_config_selectorIN6thrust23THRUST_200600_302600_NS5tupleIblNS6_9null_typeES8_S8_S8_S8_S8_S8_S8_EEEEZNS1_11reduce_implILb1ES3_NS6_12zip_iteratorINS7_INS6_11hip_rocprim26transform_input_iterator_tIbNSD_35transform_pair_of_input_iterators_tIbNS6_6detail15normal_iteratorINS6_10device_ptrIKxEEEESL_NS6_8equal_toIxEEEENSG_9not_fun_tINSD_8identityEEEEENSD_19counting_iterator_tIlEES8_S8_S8_S8_S8_S8_S8_S8_EEEEPS9_S9_NSD_9__find_if7functorIS9_EEEE10hipError_tPvRmT1_T2_T3_mT4_P12ihipStream_tbEUlT_E1_NS1_11comp_targetILNS1_3genE10ELNS1_11target_archE1201ELNS1_3gpuE5ELNS1_3repE0EEENS1_30default_config_static_selectorELNS0_4arch9wavefront6targetE1EEEvS14_
		.amdhsa_group_segment_fixed_size 0
		.amdhsa_private_segment_fixed_size 0
		.amdhsa_kernarg_size 88
		.amdhsa_user_sgpr_count 6
		.amdhsa_user_sgpr_private_segment_buffer 1
		.amdhsa_user_sgpr_dispatch_ptr 0
		.amdhsa_user_sgpr_queue_ptr 0
		.amdhsa_user_sgpr_kernarg_segment_ptr 1
		.amdhsa_user_sgpr_dispatch_id 0
		.amdhsa_user_sgpr_flat_scratch_init 0
		.amdhsa_user_sgpr_kernarg_preload_length 0
		.amdhsa_user_sgpr_kernarg_preload_offset 0
		.amdhsa_user_sgpr_private_segment_size 0
		.amdhsa_uses_dynamic_stack 0
		.amdhsa_system_sgpr_private_segment_wavefront_offset 0
		.amdhsa_system_sgpr_workgroup_id_x 1
		.amdhsa_system_sgpr_workgroup_id_y 0
		.amdhsa_system_sgpr_workgroup_id_z 0
		.amdhsa_system_sgpr_workgroup_info 0
		.amdhsa_system_vgpr_workitem_id 0
		.amdhsa_next_free_vgpr 1
		.amdhsa_next_free_sgpr 0
		.amdhsa_accum_offset 4
		.amdhsa_reserve_vcc 0
		.amdhsa_reserve_flat_scratch 0
		.amdhsa_float_round_mode_32 0
		.amdhsa_float_round_mode_16_64 0
		.amdhsa_float_denorm_mode_32 3
		.amdhsa_float_denorm_mode_16_64 3
		.amdhsa_dx10_clamp 1
		.amdhsa_ieee_mode 1
		.amdhsa_fp16_overflow 0
		.amdhsa_tg_split 0
		.amdhsa_exception_fp_ieee_invalid_op 0
		.amdhsa_exception_fp_denorm_src 0
		.amdhsa_exception_fp_ieee_div_zero 0
		.amdhsa_exception_fp_ieee_overflow 0
		.amdhsa_exception_fp_ieee_underflow 0
		.amdhsa_exception_fp_ieee_inexact 0
		.amdhsa_exception_int_div_zero 0
	.end_amdhsa_kernel
	.section	.text._ZN7rocprim17ROCPRIM_400000_NS6detail17trampoline_kernelINS0_14default_configENS1_22reduce_config_selectorIN6thrust23THRUST_200600_302600_NS5tupleIblNS6_9null_typeES8_S8_S8_S8_S8_S8_S8_EEEEZNS1_11reduce_implILb1ES3_NS6_12zip_iteratorINS7_INS6_11hip_rocprim26transform_input_iterator_tIbNSD_35transform_pair_of_input_iterators_tIbNS6_6detail15normal_iteratorINS6_10device_ptrIKxEEEESL_NS6_8equal_toIxEEEENSG_9not_fun_tINSD_8identityEEEEENSD_19counting_iterator_tIlEES8_S8_S8_S8_S8_S8_S8_S8_EEEEPS9_S9_NSD_9__find_if7functorIS9_EEEE10hipError_tPvRmT1_T2_T3_mT4_P12ihipStream_tbEUlT_E1_NS1_11comp_targetILNS1_3genE10ELNS1_11target_archE1201ELNS1_3gpuE5ELNS1_3repE0EEENS1_30default_config_static_selectorELNS0_4arch9wavefront6targetE1EEEvS14_,"axG",@progbits,_ZN7rocprim17ROCPRIM_400000_NS6detail17trampoline_kernelINS0_14default_configENS1_22reduce_config_selectorIN6thrust23THRUST_200600_302600_NS5tupleIblNS6_9null_typeES8_S8_S8_S8_S8_S8_S8_EEEEZNS1_11reduce_implILb1ES3_NS6_12zip_iteratorINS7_INS6_11hip_rocprim26transform_input_iterator_tIbNSD_35transform_pair_of_input_iterators_tIbNS6_6detail15normal_iteratorINS6_10device_ptrIKxEEEESL_NS6_8equal_toIxEEEENSG_9not_fun_tINSD_8identityEEEEENSD_19counting_iterator_tIlEES8_S8_S8_S8_S8_S8_S8_S8_EEEEPS9_S9_NSD_9__find_if7functorIS9_EEEE10hipError_tPvRmT1_T2_T3_mT4_P12ihipStream_tbEUlT_E1_NS1_11comp_targetILNS1_3genE10ELNS1_11target_archE1201ELNS1_3gpuE5ELNS1_3repE0EEENS1_30default_config_static_selectorELNS0_4arch9wavefront6targetE1EEEvS14_,comdat
.Lfunc_end80:
	.size	_ZN7rocprim17ROCPRIM_400000_NS6detail17trampoline_kernelINS0_14default_configENS1_22reduce_config_selectorIN6thrust23THRUST_200600_302600_NS5tupleIblNS6_9null_typeES8_S8_S8_S8_S8_S8_S8_EEEEZNS1_11reduce_implILb1ES3_NS6_12zip_iteratorINS7_INS6_11hip_rocprim26transform_input_iterator_tIbNSD_35transform_pair_of_input_iterators_tIbNS6_6detail15normal_iteratorINS6_10device_ptrIKxEEEESL_NS6_8equal_toIxEEEENSG_9not_fun_tINSD_8identityEEEEENSD_19counting_iterator_tIlEES8_S8_S8_S8_S8_S8_S8_S8_EEEEPS9_S9_NSD_9__find_if7functorIS9_EEEE10hipError_tPvRmT1_T2_T3_mT4_P12ihipStream_tbEUlT_E1_NS1_11comp_targetILNS1_3genE10ELNS1_11target_archE1201ELNS1_3gpuE5ELNS1_3repE0EEENS1_30default_config_static_selectorELNS0_4arch9wavefront6targetE1EEEvS14_, .Lfunc_end80-_ZN7rocprim17ROCPRIM_400000_NS6detail17trampoline_kernelINS0_14default_configENS1_22reduce_config_selectorIN6thrust23THRUST_200600_302600_NS5tupleIblNS6_9null_typeES8_S8_S8_S8_S8_S8_S8_EEEEZNS1_11reduce_implILb1ES3_NS6_12zip_iteratorINS7_INS6_11hip_rocprim26transform_input_iterator_tIbNSD_35transform_pair_of_input_iterators_tIbNS6_6detail15normal_iteratorINS6_10device_ptrIKxEEEESL_NS6_8equal_toIxEEEENSG_9not_fun_tINSD_8identityEEEEENSD_19counting_iterator_tIlEES8_S8_S8_S8_S8_S8_S8_S8_EEEEPS9_S9_NSD_9__find_if7functorIS9_EEEE10hipError_tPvRmT1_T2_T3_mT4_P12ihipStream_tbEUlT_E1_NS1_11comp_targetILNS1_3genE10ELNS1_11target_archE1201ELNS1_3gpuE5ELNS1_3repE0EEENS1_30default_config_static_selectorELNS0_4arch9wavefront6targetE1EEEvS14_
                                        ; -- End function
	.section	.AMDGPU.csdata,"",@progbits
; Kernel info:
; codeLenInByte = 0
; NumSgprs: 4
; NumVgprs: 0
; NumAgprs: 0
; TotalNumVgprs: 0
; ScratchSize: 0
; MemoryBound: 0
; FloatMode: 240
; IeeeMode: 1
; LDSByteSize: 0 bytes/workgroup (compile time only)
; SGPRBlocks: 0
; VGPRBlocks: 0
; NumSGPRsForWavesPerEU: 4
; NumVGPRsForWavesPerEU: 1
; AccumOffset: 4
; Occupancy: 8
; WaveLimiterHint : 0
; COMPUTE_PGM_RSRC2:SCRATCH_EN: 0
; COMPUTE_PGM_RSRC2:USER_SGPR: 6
; COMPUTE_PGM_RSRC2:TRAP_HANDLER: 0
; COMPUTE_PGM_RSRC2:TGID_X_EN: 1
; COMPUTE_PGM_RSRC2:TGID_Y_EN: 0
; COMPUTE_PGM_RSRC2:TGID_Z_EN: 0
; COMPUTE_PGM_RSRC2:TIDIG_COMP_CNT: 0
; COMPUTE_PGM_RSRC3_GFX90A:ACCUM_OFFSET: 0
; COMPUTE_PGM_RSRC3_GFX90A:TG_SPLIT: 0
	.section	.text._ZN7rocprim17ROCPRIM_400000_NS6detail17trampoline_kernelINS0_14default_configENS1_22reduce_config_selectorIN6thrust23THRUST_200600_302600_NS5tupleIblNS6_9null_typeES8_S8_S8_S8_S8_S8_S8_EEEEZNS1_11reduce_implILb1ES3_NS6_12zip_iteratorINS7_INS6_11hip_rocprim26transform_input_iterator_tIbNSD_35transform_pair_of_input_iterators_tIbNS6_6detail15normal_iteratorINS6_10device_ptrIKxEEEESL_NS6_8equal_toIxEEEENSG_9not_fun_tINSD_8identityEEEEENSD_19counting_iterator_tIlEES8_S8_S8_S8_S8_S8_S8_S8_EEEEPS9_S9_NSD_9__find_if7functorIS9_EEEE10hipError_tPvRmT1_T2_T3_mT4_P12ihipStream_tbEUlT_E1_NS1_11comp_targetILNS1_3genE10ELNS1_11target_archE1200ELNS1_3gpuE4ELNS1_3repE0EEENS1_30default_config_static_selectorELNS0_4arch9wavefront6targetE1EEEvS14_,"axG",@progbits,_ZN7rocprim17ROCPRIM_400000_NS6detail17trampoline_kernelINS0_14default_configENS1_22reduce_config_selectorIN6thrust23THRUST_200600_302600_NS5tupleIblNS6_9null_typeES8_S8_S8_S8_S8_S8_S8_EEEEZNS1_11reduce_implILb1ES3_NS6_12zip_iteratorINS7_INS6_11hip_rocprim26transform_input_iterator_tIbNSD_35transform_pair_of_input_iterators_tIbNS6_6detail15normal_iteratorINS6_10device_ptrIKxEEEESL_NS6_8equal_toIxEEEENSG_9not_fun_tINSD_8identityEEEEENSD_19counting_iterator_tIlEES8_S8_S8_S8_S8_S8_S8_S8_EEEEPS9_S9_NSD_9__find_if7functorIS9_EEEE10hipError_tPvRmT1_T2_T3_mT4_P12ihipStream_tbEUlT_E1_NS1_11comp_targetILNS1_3genE10ELNS1_11target_archE1200ELNS1_3gpuE4ELNS1_3repE0EEENS1_30default_config_static_selectorELNS0_4arch9wavefront6targetE1EEEvS14_,comdat
	.protected	_ZN7rocprim17ROCPRIM_400000_NS6detail17trampoline_kernelINS0_14default_configENS1_22reduce_config_selectorIN6thrust23THRUST_200600_302600_NS5tupleIblNS6_9null_typeES8_S8_S8_S8_S8_S8_S8_EEEEZNS1_11reduce_implILb1ES3_NS6_12zip_iteratorINS7_INS6_11hip_rocprim26transform_input_iterator_tIbNSD_35transform_pair_of_input_iterators_tIbNS6_6detail15normal_iteratorINS6_10device_ptrIKxEEEESL_NS6_8equal_toIxEEEENSG_9not_fun_tINSD_8identityEEEEENSD_19counting_iterator_tIlEES8_S8_S8_S8_S8_S8_S8_S8_EEEEPS9_S9_NSD_9__find_if7functorIS9_EEEE10hipError_tPvRmT1_T2_T3_mT4_P12ihipStream_tbEUlT_E1_NS1_11comp_targetILNS1_3genE10ELNS1_11target_archE1200ELNS1_3gpuE4ELNS1_3repE0EEENS1_30default_config_static_selectorELNS0_4arch9wavefront6targetE1EEEvS14_ ; -- Begin function _ZN7rocprim17ROCPRIM_400000_NS6detail17trampoline_kernelINS0_14default_configENS1_22reduce_config_selectorIN6thrust23THRUST_200600_302600_NS5tupleIblNS6_9null_typeES8_S8_S8_S8_S8_S8_S8_EEEEZNS1_11reduce_implILb1ES3_NS6_12zip_iteratorINS7_INS6_11hip_rocprim26transform_input_iterator_tIbNSD_35transform_pair_of_input_iterators_tIbNS6_6detail15normal_iteratorINS6_10device_ptrIKxEEEESL_NS6_8equal_toIxEEEENSG_9not_fun_tINSD_8identityEEEEENSD_19counting_iterator_tIlEES8_S8_S8_S8_S8_S8_S8_S8_EEEEPS9_S9_NSD_9__find_if7functorIS9_EEEE10hipError_tPvRmT1_T2_T3_mT4_P12ihipStream_tbEUlT_E1_NS1_11comp_targetILNS1_3genE10ELNS1_11target_archE1200ELNS1_3gpuE4ELNS1_3repE0EEENS1_30default_config_static_selectorELNS0_4arch9wavefront6targetE1EEEvS14_
	.globl	_ZN7rocprim17ROCPRIM_400000_NS6detail17trampoline_kernelINS0_14default_configENS1_22reduce_config_selectorIN6thrust23THRUST_200600_302600_NS5tupleIblNS6_9null_typeES8_S8_S8_S8_S8_S8_S8_EEEEZNS1_11reduce_implILb1ES3_NS6_12zip_iteratorINS7_INS6_11hip_rocprim26transform_input_iterator_tIbNSD_35transform_pair_of_input_iterators_tIbNS6_6detail15normal_iteratorINS6_10device_ptrIKxEEEESL_NS6_8equal_toIxEEEENSG_9not_fun_tINSD_8identityEEEEENSD_19counting_iterator_tIlEES8_S8_S8_S8_S8_S8_S8_S8_EEEEPS9_S9_NSD_9__find_if7functorIS9_EEEE10hipError_tPvRmT1_T2_T3_mT4_P12ihipStream_tbEUlT_E1_NS1_11comp_targetILNS1_3genE10ELNS1_11target_archE1200ELNS1_3gpuE4ELNS1_3repE0EEENS1_30default_config_static_selectorELNS0_4arch9wavefront6targetE1EEEvS14_
	.p2align	8
	.type	_ZN7rocprim17ROCPRIM_400000_NS6detail17trampoline_kernelINS0_14default_configENS1_22reduce_config_selectorIN6thrust23THRUST_200600_302600_NS5tupleIblNS6_9null_typeES8_S8_S8_S8_S8_S8_S8_EEEEZNS1_11reduce_implILb1ES3_NS6_12zip_iteratorINS7_INS6_11hip_rocprim26transform_input_iterator_tIbNSD_35transform_pair_of_input_iterators_tIbNS6_6detail15normal_iteratorINS6_10device_ptrIKxEEEESL_NS6_8equal_toIxEEEENSG_9not_fun_tINSD_8identityEEEEENSD_19counting_iterator_tIlEES8_S8_S8_S8_S8_S8_S8_S8_EEEEPS9_S9_NSD_9__find_if7functorIS9_EEEE10hipError_tPvRmT1_T2_T3_mT4_P12ihipStream_tbEUlT_E1_NS1_11comp_targetILNS1_3genE10ELNS1_11target_archE1200ELNS1_3gpuE4ELNS1_3repE0EEENS1_30default_config_static_selectorELNS0_4arch9wavefront6targetE1EEEvS14_,@function
_ZN7rocprim17ROCPRIM_400000_NS6detail17trampoline_kernelINS0_14default_configENS1_22reduce_config_selectorIN6thrust23THRUST_200600_302600_NS5tupleIblNS6_9null_typeES8_S8_S8_S8_S8_S8_S8_EEEEZNS1_11reduce_implILb1ES3_NS6_12zip_iteratorINS7_INS6_11hip_rocprim26transform_input_iterator_tIbNSD_35transform_pair_of_input_iterators_tIbNS6_6detail15normal_iteratorINS6_10device_ptrIKxEEEESL_NS6_8equal_toIxEEEENSG_9not_fun_tINSD_8identityEEEEENSD_19counting_iterator_tIlEES8_S8_S8_S8_S8_S8_S8_S8_EEEEPS9_S9_NSD_9__find_if7functorIS9_EEEE10hipError_tPvRmT1_T2_T3_mT4_P12ihipStream_tbEUlT_E1_NS1_11comp_targetILNS1_3genE10ELNS1_11target_archE1200ELNS1_3gpuE4ELNS1_3repE0EEENS1_30default_config_static_selectorELNS0_4arch9wavefront6targetE1EEEvS14_: ; @_ZN7rocprim17ROCPRIM_400000_NS6detail17trampoline_kernelINS0_14default_configENS1_22reduce_config_selectorIN6thrust23THRUST_200600_302600_NS5tupleIblNS6_9null_typeES8_S8_S8_S8_S8_S8_S8_EEEEZNS1_11reduce_implILb1ES3_NS6_12zip_iteratorINS7_INS6_11hip_rocprim26transform_input_iterator_tIbNSD_35transform_pair_of_input_iterators_tIbNS6_6detail15normal_iteratorINS6_10device_ptrIKxEEEESL_NS6_8equal_toIxEEEENSG_9not_fun_tINSD_8identityEEEEENSD_19counting_iterator_tIlEES8_S8_S8_S8_S8_S8_S8_S8_EEEEPS9_S9_NSD_9__find_if7functorIS9_EEEE10hipError_tPvRmT1_T2_T3_mT4_P12ihipStream_tbEUlT_E1_NS1_11comp_targetILNS1_3genE10ELNS1_11target_archE1200ELNS1_3gpuE4ELNS1_3repE0EEENS1_30default_config_static_selectorELNS0_4arch9wavefront6targetE1EEEvS14_
; %bb.0:
	.section	.rodata,"a",@progbits
	.p2align	6, 0x0
	.amdhsa_kernel _ZN7rocprim17ROCPRIM_400000_NS6detail17trampoline_kernelINS0_14default_configENS1_22reduce_config_selectorIN6thrust23THRUST_200600_302600_NS5tupleIblNS6_9null_typeES8_S8_S8_S8_S8_S8_S8_EEEEZNS1_11reduce_implILb1ES3_NS6_12zip_iteratorINS7_INS6_11hip_rocprim26transform_input_iterator_tIbNSD_35transform_pair_of_input_iterators_tIbNS6_6detail15normal_iteratorINS6_10device_ptrIKxEEEESL_NS6_8equal_toIxEEEENSG_9not_fun_tINSD_8identityEEEEENSD_19counting_iterator_tIlEES8_S8_S8_S8_S8_S8_S8_S8_EEEEPS9_S9_NSD_9__find_if7functorIS9_EEEE10hipError_tPvRmT1_T2_T3_mT4_P12ihipStream_tbEUlT_E1_NS1_11comp_targetILNS1_3genE10ELNS1_11target_archE1200ELNS1_3gpuE4ELNS1_3repE0EEENS1_30default_config_static_selectorELNS0_4arch9wavefront6targetE1EEEvS14_
		.amdhsa_group_segment_fixed_size 0
		.amdhsa_private_segment_fixed_size 0
		.amdhsa_kernarg_size 88
		.amdhsa_user_sgpr_count 6
		.amdhsa_user_sgpr_private_segment_buffer 1
		.amdhsa_user_sgpr_dispatch_ptr 0
		.amdhsa_user_sgpr_queue_ptr 0
		.amdhsa_user_sgpr_kernarg_segment_ptr 1
		.amdhsa_user_sgpr_dispatch_id 0
		.amdhsa_user_sgpr_flat_scratch_init 0
		.amdhsa_user_sgpr_kernarg_preload_length 0
		.amdhsa_user_sgpr_kernarg_preload_offset 0
		.amdhsa_user_sgpr_private_segment_size 0
		.amdhsa_uses_dynamic_stack 0
		.amdhsa_system_sgpr_private_segment_wavefront_offset 0
		.amdhsa_system_sgpr_workgroup_id_x 1
		.amdhsa_system_sgpr_workgroup_id_y 0
		.amdhsa_system_sgpr_workgroup_id_z 0
		.amdhsa_system_sgpr_workgroup_info 0
		.amdhsa_system_vgpr_workitem_id 0
		.amdhsa_next_free_vgpr 1
		.amdhsa_next_free_sgpr 0
		.amdhsa_accum_offset 4
		.amdhsa_reserve_vcc 0
		.amdhsa_reserve_flat_scratch 0
		.amdhsa_float_round_mode_32 0
		.amdhsa_float_round_mode_16_64 0
		.amdhsa_float_denorm_mode_32 3
		.amdhsa_float_denorm_mode_16_64 3
		.amdhsa_dx10_clamp 1
		.amdhsa_ieee_mode 1
		.amdhsa_fp16_overflow 0
		.amdhsa_tg_split 0
		.amdhsa_exception_fp_ieee_invalid_op 0
		.amdhsa_exception_fp_denorm_src 0
		.amdhsa_exception_fp_ieee_div_zero 0
		.amdhsa_exception_fp_ieee_overflow 0
		.amdhsa_exception_fp_ieee_underflow 0
		.amdhsa_exception_fp_ieee_inexact 0
		.amdhsa_exception_int_div_zero 0
	.end_amdhsa_kernel
	.section	.text._ZN7rocprim17ROCPRIM_400000_NS6detail17trampoline_kernelINS0_14default_configENS1_22reduce_config_selectorIN6thrust23THRUST_200600_302600_NS5tupleIblNS6_9null_typeES8_S8_S8_S8_S8_S8_S8_EEEEZNS1_11reduce_implILb1ES3_NS6_12zip_iteratorINS7_INS6_11hip_rocprim26transform_input_iterator_tIbNSD_35transform_pair_of_input_iterators_tIbNS6_6detail15normal_iteratorINS6_10device_ptrIKxEEEESL_NS6_8equal_toIxEEEENSG_9not_fun_tINSD_8identityEEEEENSD_19counting_iterator_tIlEES8_S8_S8_S8_S8_S8_S8_S8_EEEEPS9_S9_NSD_9__find_if7functorIS9_EEEE10hipError_tPvRmT1_T2_T3_mT4_P12ihipStream_tbEUlT_E1_NS1_11comp_targetILNS1_3genE10ELNS1_11target_archE1200ELNS1_3gpuE4ELNS1_3repE0EEENS1_30default_config_static_selectorELNS0_4arch9wavefront6targetE1EEEvS14_,"axG",@progbits,_ZN7rocprim17ROCPRIM_400000_NS6detail17trampoline_kernelINS0_14default_configENS1_22reduce_config_selectorIN6thrust23THRUST_200600_302600_NS5tupleIblNS6_9null_typeES8_S8_S8_S8_S8_S8_S8_EEEEZNS1_11reduce_implILb1ES3_NS6_12zip_iteratorINS7_INS6_11hip_rocprim26transform_input_iterator_tIbNSD_35transform_pair_of_input_iterators_tIbNS6_6detail15normal_iteratorINS6_10device_ptrIKxEEEESL_NS6_8equal_toIxEEEENSG_9not_fun_tINSD_8identityEEEEENSD_19counting_iterator_tIlEES8_S8_S8_S8_S8_S8_S8_S8_EEEEPS9_S9_NSD_9__find_if7functorIS9_EEEE10hipError_tPvRmT1_T2_T3_mT4_P12ihipStream_tbEUlT_E1_NS1_11comp_targetILNS1_3genE10ELNS1_11target_archE1200ELNS1_3gpuE4ELNS1_3repE0EEENS1_30default_config_static_selectorELNS0_4arch9wavefront6targetE1EEEvS14_,comdat
.Lfunc_end81:
	.size	_ZN7rocprim17ROCPRIM_400000_NS6detail17trampoline_kernelINS0_14default_configENS1_22reduce_config_selectorIN6thrust23THRUST_200600_302600_NS5tupleIblNS6_9null_typeES8_S8_S8_S8_S8_S8_S8_EEEEZNS1_11reduce_implILb1ES3_NS6_12zip_iteratorINS7_INS6_11hip_rocprim26transform_input_iterator_tIbNSD_35transform_pair_of_input_iterators_tIbNS6_6detail15normal_iteratorINS6_10device_ptrIKxEEEESL_NS6_8equal_toIxEEEENSG_9not_fun_tINSD_8identityEEEEENSD_19counting_iterator_tIlEES8_S8_S8_S8_S8_S8_S8_S8_EEEEPS9_S9_NSD_9__find_if7functorIS9_EEEE10hipError_tPvRmT1_T2_T3_mT4_P12ihipStream_tbEUlT_E1_NS1_11comp_targetILNS1_3genE10ELNS1_11target_archE1200ELNS1_3gpuE4ELNS1_3repE0EEENS1_30default_config_static_selectorELNS0_4arch9wavefront6targetE1EEEvS14_, .Lfunc_end81-_ZN7rocprim17ROCPRIM_400000_NS6detail17trampoline_kernelINS0_14default_configENS1_22reduce_config_selectorIN6thrust23THRUST_200600_302600_NS5tupleIblNS6_9null_typeES8_S8_S8_S8_S8_S8_S8_EEEEZNS1_11reduce_implILb1ES3_NS6_12zip_iteratorINS7_INS6_11hip_rocprim26transform_input_iterator_tIbNSD_35transform_pair_of_input_iterators_tIbNS6_6detail15normal_iteratorINS6_10device_ptrIKxEEEESL_NS6_8equal_toIxEEEENSG_9not_fun_tINSD_8identityEEEEENSD_19counting_iterator_tIlEES8_S8_S8_S8_S8_S8_S8_S8_EEEEPS9_S9_NSD_9__find_if7functorIS9_EEEE10hipError_tPvRmT1_T2_T3_mT4_P12ihipStream_tbEUlT_E1_NS1_11comp_targetILNS1_3genE10ELNS1_11target_archE1200ELNS1_3gpuE4ELNS1_3repE0EEENS1_30default_config_static_selectorELNS0_4arch9wavefront6targetE1EEEvS14_
                                        ; -- End function
	.section	.AMDGPU.csdata,"",@progbits
; Kernel info:
; codeLenInByte = 0
; NumSgprs: 4
; NumVgprs: 0
; NumAgprs: 0
; TotalNumVgprs: 0
; ScratchSize: 0
; MemoryBound: 0
; FloatMode: 240
; IeeeMode: 1
; LDSByteSize: 0 bytes/workgroup (compile time only)
; SGPRBlocks: 0
; VGPRBlocks: 0
; NumSGPRsForWavesPerEU: 4
; NumVGPRsForWavesPerEU: 1
; AccumOffset: 4
; Occupancy: 8
; WaveLimiterHint : 0
; COMPUTE_PGM_RSRC2:SCRATCH_EN: 0
; COMPUTE_PGM_RSRC2:USER_SGPR: 6
; COMPUTE_PGM_RSRC2:TRAP_HANDLER: 0
; COMPUTE_PGM_RSRC2:TGID_X_EN: 1
; COMPUTE_PGM_RSRC2:TGID_Y_EN: 0
; COMPUTE_PGM_RSRC2:TGID_Z_EN: 0
; COMPUTE_PGM_RSRC2:TIDIG_COMP_CNT: 0
; COMPUTE_PGM_RSRC3_GFX90A:ACCUM_OFFSET: 0
; COMPUTE_PGM_RSRC3_GFX90A:TG_SPLIT: 0
	.section	.text._ZN7rocprim17ROCPRIM_400000_NS6detail17trampoline_kernelINS0_14default_configENS1_22reduce_config_selectorIN6thrust23THRUST_200600_302600_NS5tupleIblNS6_9null_typeES8_S8_S8_S8_S8_S8_S8_EEEEZNS1_11reduce_implILb1ES3_NS6_12zip_iteratorINS7_INS6_11hip_rocprim26transform_input_iterator_tIbNSD_35transform_pair_of_input_iterators_tIbNS6_6detail15normal_iteratorINS6_10device_ptrIKxEEEESL_NS6_8equal_toIxEEEENSG_9not_fun_tINSD_8identityEEEEENSD_19counting_iterator_tIlEES8_S8_S8_S8_S8_S8_S8_S8_EEEEPS9_S9_NSD_9__find_if7functorIS9_EEEE10hipError_tPvRmT1_T2_T3_mT4_P12ihipStream_tbEUlT_E1_NS1_11comp_targetILNS1_3genE9ELNS1_11target_archE1100ELNS1_3gpuE3ELNS1_3repE0EEENS1_30default_config_static_selectorELNS0_4arch9wavefront6targetE1EEEvS14_,"axG",@progbits,_ZN7rocprim17ROCPRIM_400000_NS6detail17trampoline_kernelINS0_14default_configENS1_22reduce_config_selectorIN6thrust23THRUST_200600_302600_NS5tupleIblNS6_9null_typeES8_S8_S8_S8_S8_S8_S8_EEEEZNS1_11reduce_implILb1ES3_NS6_12zip_iteratorINS7_INS6_11hip_rocprim26transform_input_iterator_tIbNSD_35transform_pair_of_input_iterators_tIbNS6_6detail15normal_iteratorINS6_10device_ptrIKxEEEESL_NS6_8equal_toIxEEEENSG_9not_fun_tINSD_8identityEEEEENSD_19counting_iterator_tIlEES8_S8_S8_S8_S8_S8_S8_S8_EEEEPS9_S9_NSD_9__find_if7functorIS9_EEEE10hipError_tPvRmT1_T2_T3_mT4_P12ihipStream_tbEUlT_E1_NS1_11comp_targetILNS1_3genE9ELNS1_11target_archE1100ELNS1_3gpuE3ELNS1_3repE0EEENS1_30default_config_static_selectorELNS0_4arch9wavefront6targetE1EEEvS14_,comdat
	.protected	_ZN7rocprim17ROCPRIM_400000_NS6detail17trampoline_kernelINS0_14default_configENS1_22reduce_config_selectorIN6thrust23THRUST_200600_302600_NS5tupleIblNS6_9null_typeES8_S8_S8_S8_S8_S8_S8_EEEEZNS1_11reduce_implILb1ES3_NS6_12zip_iteratorINS7_INS6_11hip_rocprim26transform_input_iterator_tIbNSD_35transform_pair_of_input_iterators_tIbNS6_6detail15normal_iteratorINS6_10device_ptrIKxEEEESL_NS6_8equal_toIxEEEENSG_9not_fun_tINSD_8identityEEEEENSD_19counting_iterator_tIlEES8_S8_S8_S8_S8_S8_S8_S8_EEEEPS9_S9_NSD_9__find_if7functorIS9_EEEE10hipError_tPvRmT1_T2_T3_mT4_P12ihipStream_tbEUlT_E1_NS1_11comp_targetILNS1_3genE9ELNS1_11target_archE1100ELNS1_3gpuE3ELNS1_3repE0EEENS1_30default_config_static_selectorELNS0_4arch9wavefront6targetE1EEEvS14_ ; -- Begin function _ZN7rocprim17ROCPRIM_400000_NS6detail17trampoline_kernelINS0_14default_configENS1_22reduce_config_selectorIN6thrust23THRUST_200600_302600_NS5tupleIblNS6_9null_typeES8_S8_S8_S8_S8_S8_S8_EEEEZNS1_11reduce_implILb1ES3_NS6_12zip_iteratorINS7_INS6_11hip_rocprim26transform_input_iterator_tIbNSD_35transform_pair_of_input_iterators_tIbNS6_6detail15normal_iteratorINS6_10device_ptrIKxEEEESL_NS6_8equal_toIxEEEENSG_9not_fun_tINSD_8identityEEEEENSD_19counting_iterator_tIlEES8_S8_S8_S8_S8_S8_S8_S8_EEEEPS9_S9_NSD_9__find_if7functorIS9_EEEE10hipError_tPvRmT1_T2_T3_mT4_P12ihipStream_tbEUlT_E1_NS1_11comp_targetILNS1_3genE9ELNS1_11target_archE1100ELNS1_3gpuE3ELNS1_3repE0EEENS1_30default_config_static_selectorELNS0_4arch9wavefront6targetE1EEEvS14_
	.globl	_ZN7rocprim17ROCPRIM_400000_NS6detail17trampoline_kernelINS0_14default_configENS1_22reduce_config_selectorIN6thrust23THRUST_200600_302600_NS5tupleIblNS6_9null_typeES8_S8_S8_S8_S8_S8_S8_EEEEZNS1_11reduce_implILb1ES3_NS6_12zip_iteratorINS7_INS6_11hip_rocprim26transform_input_iterator_tIbNSD_35transform_pair_of_input_iterators_tIbNS6_6detail15normal_iteratorINS6_10device_ptrIKxEEEESL_NS6_8equal_toIxEEEENSG_9not_fun_tINSD_8identityEEEEENSD_19counting_iterator_tIlEES8_S8_S8_S8_S8_S8_S8_S8_EEEEPS9_S9_NSD_9__find_if7functorIS9_EEEE10hipError_tPvRmT1_T2_T3_mT4_P12ihipStream_tbEUlT_E1_NS1_11comp_targetILNS1_3genE9ELNS1_11target_archE1100ELNS1_3gpuE3ELNS1_3repE0EEENS1_30default_config_static_selectorELNS0_4arch9wavefront6targetE1EEEvS14_
	.p2align	8
	.type	_ZN7rocprim17ROCPRIM_400000_NS6detail17trampoline_kernelINS0_14default_configENS1_22reduce_config_selectorIN6thrust23THRUST_200600_302600_NS5tupleIblNS6_9null_typeES8_S8_S8_S8_S8_S8_S8_EEEEZNS1_11reduce_implILb1ES3_NS6_12zip_iteratorINS7_INS6_11hip_rocprim26transform_input_iterator_tIbNSD_35transform_pair_of_input_iterators_tIbNS6_6detail15normal_iteratorINS6_10device_ptrIKxEEEESL_NS6_8equal_toIxEEEENSG_9not_fun_tINSD_8identityEEEEENSD_19counting_iterator_tIlEES8_S8_S8_S8_S8_S8_S8_S8_EEEEPS9_S9_NSD_9__find_if7functorIS9_EEEE10hipError_tPvRmT1_T2_T3_mT4_P12ihipStream_tbEUlT_E1_NS1_11comp_targetILNS1_3genE9ELNS1_11target_archE1100ELNS1_3gpuE3ELNS1_3repE0EEENS1_30default_config_static_selectorELNS0_4arch9wavefront6targetE1EEEvS14_,@function
_ZN7rocprim17ROCPRIM_400000_NS6detail17trampoline_kernelINS0_14default_configENS1_22reduce_config_selectorIN6thrust23THRUST_200600_302600_NS5tupleIblNS6_9null_typeES8_S8_S8_S8_S8_S8_S8_EEEEZNS1_11reduce_implILb1ES3_NS6_12zip_iteratorINS7_INS6_11hip_rocprim26transform_input_iterator_tIbNSD_35transform_pair_of_input_iterators_tIbNS6_6detail15normal_iteratorINS6_10device_ptrIKxEEEESL_NS6_8equal_toIxEEEENSG_9not_fun_tINSD_8identityEEEEENSD_19counting_iterator_tIlEES8_S8_S8_S8_S8_S8_S8_S8_EEEEPS9_S9_NSD_9__find_if7functorIS9_EEEE10hipError_tPvRmT1_T2_T3_mT4_P12ihipStream_tbEUlT_E1_NS1_11comp_targetILNS1_3genE9ELNS1_11target_archE1100ELNS1_3gpuE3ELNS1_3repE0EEENS1_30default_config_static_selectorELNS0_4arch9wavefront6targetE1EEEvS14_: ; @_ZN7rocprim17ROCPRIM_400000_NS6detail17trampoline_kernelINS0_14default_configENS1_22reduce_config_selectorIN6thrust23THRUST_200600_302600_NS5tupleIblNS6_9null_typeES8_S8_S8_S8_S8_S8_S8_EEEEZNS1_11reduce_implILb1ES3_NS6_12zip_iteratorINS7_INS6_11hip_rocprim26transform_input_iterator_tIbNSD_35transform_pair_of_input_iterators_tIbNS6_6detail15normal_iteratorINS6_10device_ptrIKxEEEESL_NS6_8equal_toIxEEEENSG_9not_fun_tINSD_8identityEEEEENSD_19counting_iterator_tIlEES8_S8_S8_S8_S8_S8_S8_S8_EEEEPS9_S9_NSD_9__find_if7functorIS9_EEEE10hipError_tPvRmT1_T2_T3_mT4_P12ihipStream_tbEUlT_E1_NS1_11comp_targetILNS1_3genE9ELNS1_11target_archE1100ELNS1_3gpuE3ELNS1_3repE0EEENS1_30default_config_static_selectorELNS0_4arch9wavefront6targetE1EEEvS14_
; %bb.0:
	.section	.rodata,"a",@progbits
	.p2align	6, 0x0
	.amdhsa_kernel _ZN7rocprim17ROCPRIM_400000_NS6detail17trampoline_kernelINS0_14default_configENS1_22reduce_config_selectorIN6thrust23THRUST_200600_302600_NS5tupleIblNS6_9null_typeES8_S8_S8_S8_S8_S8_S8_EEEEZNS1_11reduce_implILb1ES3_NS6_12zip_iteratorINS7_INS6_11hip_rocprim26transform_input_iterator_tIbNSD_35transform_pair_of_input_iterators_tIbNS6_6detail15normal_iteratorINS6_10device_ptrIKxEEEESL_NS6_8equal_toIxEEEENSG_9not_fun_tINSD_8identityEEEEENSD_19counting_iterator_tIlEES8_S8_S8_S8_S8_S8_S8_S8_EEEEPS9_S9_NSD_9__find_if7functorIS9_EEEE10hipError_tPvRmT1_T2_T3_mT4_P12ihipStream_tbEUlT_E1_NS1_11comp_targetILNS1_3genE9ELNS1_11target_archE1100ELNS1_3gpuE3ELNS1_3repE0EEENS1_30default_config_static_selectorELNS0_4arch9wavefront6targetE1EEEvS14_
		.amdhsa_group_segment_fixed_size 0
		.amdhsa_private_segment_fixed_size 0
		.amdhsa_kernarg_size 88
		.amdhsa_user_sgpr_count 6
		.amdhsa_user_sgpr_private_segment_buffer 1
		.amdhsa_user_sgpr_dispatch_ptr 0
		.amdhsa_user_sgpr_queue_ptr 0
		.amdhsa_user_sgpr_kernarg_segment_ptr 1
		.amdhsa_user_sgpr_dispatch_id 0
		.amdhsa_user_sgpr_flat_scratch_init 0
		.amdhsa_user_sgpr_kernarg_preload_length 0
		.amdhsa_user_sgpr_kernarg_preload_offset 0
		.amdhsa_user_sgpr_private_segment_size 0
		.amdhsa_uses_dynamic_stack 0
		.amdhsa_system_sgpr_private_segment_wavefront_offset 0
		.amdhsa_system_sgpr_workgroup_id_x 1
		.amdhsa_system_sgpr_workgroup_id_y 0
		.amdhsa_system_sgpr_workgroup_id_z 0
		.amdhsa_system_sgpr_workgroup_info 0
		.amdhsa_system_vgpr_workitem_id 0
		.amdhsa_next_free_vgpr 1
		.amdhsa_next_free_sgpr 0
		.amdhsa_accum_offset 4
		.amdhsa_reserve_vcc 0
		.amdhsa_reserve_flat_scratch 0
		.amdhsa_float_round_mode_32 0
		.amdhsa_float_round_mode_16_64 0
		.amdhsa_float_denorm_mode_32 3
		.amdhsa_float_denorm_mode_16_64 3
		.amdhsa_dx10_clamp 1
		.amdhsa_ieee_mode 1
		.amdhsa_fp16_overflow 0
		.amdhsa_tg_split 0
		.amdhsa_exception_fp_ieee_invalid_op 0
		.amdhsa_exception_fp_denorm_src 0
		.amdhsa_exception_fp_ieee_div_zero 0
		.amdhsa_exception_fp_ieee_overflow 0
		.amdhsa_exception_fp_ieee_underflow 0
		.amdhsa_exception_fp_ieee_inexact 0
		.amdhsa_exception_int_div_zero 0
	.end_amdhsa_kernel
	.section	.text._ZN7rocprim17ROCPRIM_400000_NS6detail17trampoline_kernelINS0_14default_configENS1_22reduce_config_selectorIN6thrust23THRUST_200600_302600_NS5tupleIblNS6_9null_typeES8_S8_S8_S8_S8_S8_S8_EEEEZNS1_11reduce_implILb1ES3_NS6_12zip_iteratorINS7_INS6_11hip_rocprim26transform_input_iterator_tIbNSD_35transform_pair_of_input_iterators_tIbNS6_6detail15normal_iteratorINS6_10device_ptrIKxEEEESL_NS6_8equal_toIxEEEENSG_9not_fun_tINSD_8identityEEEEENSD_19counting_iterator_tIlEES8_S8_S8_S8_S8_S8_S8_S8_EEEEPS9_S9_NSD_9__find_if7functorIS9_EEEE10hipError_tPvRmT1_T2_T3_mT4_P12ihipStream_tbEUlT_E1_NS1_11comp_targetILNS1_3genE9ELNS1_11target_archE1100ELNS1_3gpuE3ELNS1_3repE0EEENS1_30default_config_static_selectorELNS0_4arch9wavefront6targetE1EEEvS14_,"axG",@progbits,_ZN7rocprim17ROCPRIM_400000_NS6detail17trampoline_kernelINS0_14default_configENS1_22reduce_config_selectorIN6thrust23THRUST_200600_302600_NS5tupleIblNS6_9null_typeES8_S8_S8_S8_S8_S8_S8_EEEEZNS1_11reduce_implILb1ES3_NS6_12zip_iteratorINS7_INS6_11hip_rocprim26transform_input_iterator_tIbNSD_35transform_pair_of_input_iterators_tIbNS6_6detail15normal_iteratorINS6_10device_ptrIKxEEEESL_NS6_8equal_toIxEEEENSG_9not_fun_tINSD_8identityEEEEENSD_19counting_iterator_tIlEES8_S8_S8_S8_S8_S8_S8_S8_EEEEPS9_S9_NSD_9__find_if7functorIS9_EEEE10hipError_tPvRmT1_T2_T3_mT4_P12ihipStream_tbEUlT_E1_NS1_11comp_targetILNS1_3genE9ELNS1_11target_archE1100ELNS1_3gpuE3ELNS1_3repE0EEENS1_30default_config_static_selectorELNS0_4arch9wavefront6targetE1EEEvS14_,comdat
.Lfunc_end82:
	.size	_ZN7rocprim17ROCPRIM_400000_NS6detail17trampoline_kernelINS0_14default_configENS1_22reduce_config_selectorIN6thrust23THRUST_200600_302600_NS5tupleIblNS6_9null_typeES8_S8_S8_S8_S8_S8_S8_EEEEZNS1_11reduce_implILb1ES3_NS6_12zip_iteratorINS7_INS6_11hip_rocprim26transform_input_iterator_tIbNSD_35transform_pair_of_input_iterators_tIbNS6_6detail15normal_iteratorINS6_10device_ptrIKxEEEESL_NS6_8equal_toIxEEEENSG_9not_fun_tINSD_8identityEEEEENSD_19counting_iterator_tIlEES8_S8_S8_S8_S8_S8_S8_S8_EEEEPS9_S9_NSD_9__find_if7functorIS9_EEEE10hipError_tPvRmT1_T2_T3_mT4_P12ihipStream_tbEUlT_E1_NS1_11comp_targetILNS1_3genE9ELNS1_11target_archE1100ELNS1_3gpuE3ELNS1_3repE0EEENS1_30default_config_static_selectorELNS0_4arch9wavefront6targetE1EEEvS14_, .Lfunc_end82-_ZN7rocprim17ROCPRIM_400000_NS6detail17trampoline_kernelINS0_14default_configENS1_22reduce_config_selectorIN6thrust23THRUST_200600_302600_NS5tupleIblNS6_9null_typeES8_S8_S8_S8_S8_S8_S8_EEEEZNS1_11reduce_implILb1ES3_NS6_12zip_iteratorINS7_INS6_11hip_rocprim26transform_input_iterator_tIbNSD_35transform_pair_of_input_iterators_tIbNS6_6detail15normal_iteratorINS6_10device_ptrIKxEEEESL_NS6_8equal_toIxEEEENSG_9not_fun_tINSD_8identityEEEEENSD_19counting_iterator_tIlEES8_S8_S8_S8_S8_S8_S8_S8_EEEEPS9_S9_NSD_9__find_if7functorIS9_EEEE10hipError_tPvRmT1_T2_T3_mT4_P12ihipStream_tbEUlT_E1_NS1_11comp_targetILNS1_3genE9ELNS1_11target_archE1100ELNS1_3gpuE3ELNS1_3repE0EEENS1_30default_config_static_selectorELNS0_4arch9wavefront6targetE1EEEvS14_
                                        ; -- End function
	.section	.AMDGPU.csdata,"",@progbits
; Kernel info:
; codeLenInByte = 0
; NumSgprs: 4
; NumVgprs: 0
; NumAgprs: 0
; TotalNumVgprs: 0
; ScratchSize: 0
; MemoryBound: 0
; FloatMode: 240
; IeeeMode: 1
; LDSByteSize: 0 bytes/workgroup (compile time only)
; SGPRBlocks: 0
; VGPRBlocks: 0
; NumSGPRsForWavesPerEU: 4
; NumVGPRsForWavesPerEU: 1
; AccumOffset: 4
; Occupancy: 8
; WaveLimiterHint : 0
; COMPUTE_PGM_RSRC2:SCRATCH_EN: 0
; COMPUTE_PGM_RSRC2:USER_SGPR: 6
; COMPUTE_PGM_RSRC2:TRAP_HANDLER: 0
; COMPUTE_PGM_RSRC2:TGID_X_EN: 1
; COMPUTE_PGM_RSRC2:TGID_Y_EN: 0
; COMPUTE_PGM_RSRC2:TGID_Z_EN: 0
; COMPUTE_PGM_RSRC2:TIDIG_COMP_CNT: 0
; COMPUTE_PGM_RSRC3_GFX90A:ACCUM_OFFSET: 0
; COMPUTE_PGM_RSRC3_GFX90A:TG_SPLIT: 0
	.section	.text._ZN7rocprim17ROCPRIM_400000_NS6detail17trampoline_kernelINS0_14default_configENS1_22reduce_config_selectorIN6thrust23THRUST_200600_302600_NS5tupleIblNS6_9null_typeES8_S8_S8_S8_S8_S8_S8_EEEEZNS1_11reduce_implILb1ES3_NS6_12zip_iteratorINS7_INS6_11hip_rocprim26transform_input_iterator_tIbNSD_35transform_pair_of_input_iterators_tIbNS6_6detail15normal_iteratorINS6_10device_ptrIKxEEEESL_NS6_8equal_toIxEEEENSG_9not_fun_tINSD_8identityEEEEENSD_19counting_iterator_tIlEES8_S8_S8_S8_S8_S8_S8_S8_EEEEPS9_S9_NSD_9__find_if7functorIS9_EEEE10hipError_tPvRmT1_T2_T3_mT4_P12ihipStream_tbEUlT_E1_NS1_11comp_targetILNS1_3genE8ELNS1_11target_archE1030ELNS1_3gpuE2ELNS1_3repE0EEENS1_30default_config_static_selectorELNS0_4arch9wavefront6targetE1EEEvS14_,"axG",@progbits,_ZN7rocprim17ROCPRIM_400000_NS6detail17trampoline_kernelINS0_14default_configENS1_22reduce_config_selectorIN6thrust23THRUST_200600_302600_NS5tupleIblNS6_9null_typeES8_S8_S8_S8_S8_S8_S8_EEEEZNS1_11reduce_implILb1ES3_NS6_12zip_iteratorINS7_INS6_11hip_rocprim26transform_input_iterator_tIbNSD_35transform_pair_of_input_iterators_tIbNS6_6detail15normal_iteratorINS6_10device_ptrIKxEEEESL_NS6_8equal_toIxEEEENSG_9not_fun_tINSD_8identityEEEEENSD_19counting_iterator_tIlEES8_S8_S8_S8_S8_S8_S8_S8_EEEEPS9_S9_NSD_9__find_if7functorIS9_EEEE10hipError_tPvRmT1_T2_T3_mT4_P12ihipStream_tbEUlT_E1_NS1_11comp_targetILNS1_3genE8ELNS1_11target_archE1030ELNS1_3gpuE2ELNS1_3repE0EEENS1_30default_config_static_selectorELNS0_4arch9wavefront6targetE1EEEvS14_,comdat
	.protected	_ZN7rocprim17ROCPRIM_400000_NS6detail17trampoline_kernelINS0_14default_configENS1_22reduce_config_selectorIN6thrust23THRUST_200600_302600_NS5tupleIblNS6_9null_typeES8_S8_S8_S8_S8_S8_S8_EEEEZNS1_11reduce_implILb1ES3_NS6_12zip_iteratorINS7_INS6_11hip_rocprim26transform_input_iterator_tIbNSD_35transform_pair_of_input_iterators_tIbNS6_6detail15normal_iteratorINS6_10device_ptrIKxEEEESL_NS6_8equal_toIxEEEENSG_9not_fun_tINSD_8identityEEEEENSD_19counting_iterator_tIlEES8_S8_S8_S8_S8_S8_S8_S8_EEEEPS9_S9_NSD_9__find_if7functorIS9_EEEE10hipError_tPvRmT1_T2_T3_mT4_P12ihipStream_tbEUlT_E1_NS1_11comp_targetILNS1_3genE8ELNS1_11target_archE1030ELNS1_3gpuE2ELNS1_3repE0EEENS1_30default_config_static_selectorELNS0_4arch9wavefront6targetE1EEEvS14_ ; -- Begin function _ZN7rocprim17ROCPRIM_400000_NS6detail17trampoline_kernelINS0_14default_configENS1_22reduce_config_selectorIN6thrust23THRUST_200600_302600_NS5tupleIblNS6_9null_typeES8_S8_S8_S8_S8_S8_S8_EEEEZNS1_11reduce_implILb1ES3_NS6_12zip_iteratorINS7_INS6_11hip_rocprim26transform_input_iterator_tIbNSD_35transform_pair_of_input_iterators_tIbNS6_6detail15normal_iteratorINS6_10device_ptrIKxEEEESL_NS6_8equal_toIxEEEENSG_9not_fun_tINSD_8identityEEEEENSD_19counting_iterator_tIlEES8_S8_S8_S8_S8_S8_S8_S8_EEEEPS9_S9_NSD_9__find_if7functorIS9_EEEE10hipError_tPvRmT1_T2_T3_mT4_P12ihipStream_tbEUlT_E1_NS1_11comp_targetILNS1_3genE8ELNS1_11target_archE1030ELNS1_3gpuE2ELNS1_3repE0EEENS1_30default_config_static_selectorELNS0_4arch9wavefront6targetE1EEEvS14_
	.globl	_ZN7rocprim17ROCPRIM_400000_NS6detail17trampoline_kernelINS0_14default_configENS1_22reduce_config_selectorIN6thrust23THRUST_200600_302600_NS5tupleIblNS6_9null_typeES8_S8_S8_S8_S8_S8_S8_EEEEZNS1_11reduce_implILb1ES3_NS6_12zip_iteratorINS7_INS6_11hip_rocprim26transform_input_iterator_tIbNSD_35transform_pair_of_input_iterators_tIbNS6_6detail15normal_iteratorINS6_10device_ptrIKxEEEESL_NS6_8equal_toIxEEEENSG_9not_fun_tINSD_8identityEEEEENSD_19counting_iterator_tIlEES8_S8_S8_S8_S8_S8_S8_S8_EEEEPS9_S9_NSD_9__find_if7functorIS9_EEEE10hipError_tPvRmT1_T2_T3_mT4_P12ihipStream_tbEUlT_E1_NS1_11comp_targetILNS1_3genE8ELNS1_11target_archE1030ELNS1_3gpuE2ELNS1_3repE0EEENS1_30default_config_static_selectorELNS0_4arch9wavefront6targetE1EEEvS14_
	.p2align	8
	.type	_ZN7rocprim17ROCPRIM_400000_NS6detail17trampoline_kernelINS0_14default_configENS1_22reduce_config_selectorIN6thrust23THRUST_200600_302600_NS5tupleIblNS6_9null_typeES8_S8_S8_S8_S8_S8_S8_EEEEZNS1_11reduce_implILb1ES3_NS6_12zip_iteratorINS7_INS6_11hip_rocprim26transform_input_iterator_tIbNSD_35transform_pair_of_input_iterators_tIbNS6_6detail15normal_iteratorINS6_10device_ptrIKxEEEESL_NS6_8equal_toIxEEEENSG_9not_fun_tINSD_8identityEEEEENSD_19counting_iterator_tIlEES8_S8_S8_S8_S8_S8_S8_S8_EEEEPS9_S9_NSD_9__find_if7functorIS9_EEEE10hipError_tPvRmT1_T2_T3_mT4_P12ihipStream_tbEUlT_E1_NS1_11comp_targetILNS1_3genE8ELNS1_11target_archE1030ELNS1_3gpuE2ELNS1_3repE0EEENS1_30default_config_static_selectorELNS0_4arch9wavefront6targetE1EEEvS14_,@function
_ZN7rocprim17ROCPRIM_400000_NS6detail17trampoline_kernelINS0_14default_configENS1_22reduce_config_selectorIN6thrust23THRUST_200600_302600_NS5tupleIblNS6_9null_typeES8_S8_S8_S8_S8_S8_S8_EEEEZNS1_11reduce_implILb1ES3_NS6_12zip_iteratorINS7_INS6_11hip_rocprim26transform_input_iterator_tIbNSD_35transform_pair_of_input_iterators_tIbNS6_6detail15normal_iteratorINS6_10device_ptrIKxEEEESL_NS6_8equal_toIxEEEENSG_9not_fun_tINSD_8identityEEEEENSD_19counting_iterator_tIlEES8_S8_S8_S8_S8_S8_S8_S8_EEEEPS9_S9_NSD_9__find_if7functorIS9_EEEE10hipError_tPvRmT1_T2_T3_mT4_P12ihipStream_tbEUlT_E1_NS1_11comp_targetILNS1_3genE8ELNS1_11target_archE1030ELNS1_3gpuE2ELNS1_3repE0EEENS1_30default_config_static_selectorELNS0_4arch9wavefront6targetE1EEEvS14_: ; @_ZN7rocprim17ROCPRIM_400000_NS6detail17trampoline_kernelINS0_14default_configENS1_22reduce_config_selectorIN6thrust23THRUST_200600_302600_NS5tupleIblNS6_9null_typeES8_S8_S8_S8_S8_S8_S8_EEEEZNS1_11reduce_implILb1ES3_NS6_12zip_iteratorINS7_INS6_11hip_rocprim26transform_input_iterator_tIbNSD_35transform_pair_of_input_iterators_tIbNS6_6detail15normal_iteratorINS6_10device_ptrIKxEEEESL_NS6_8equal_toIxEEEENSG_9not_fun_tINSD_8identityEEEEENSD_19counting_iterator_tIlEES8_S8_S8_S8_S8_S8_S8_S8_EEEEPS9_S9_NSD_9__find_if7functorIS9_EEEE10hipError_tPvRmT1_T2_T3_mT4_P12ihipStream_tbEUlT_E1_NS1_11comp_targetILNS1_3genE8ELNS1_11target_archE1030ELNS1_3gpuE2ELNS1_3repE0EEENS1_30default_config_static_selectorELNS0_4arch9wavefront6targetE1EEEvS14_
; %bb.0:
	.section	.rodata,"a",@progbits
	.p2align	6, 0x0
	.amdhsa_kernel _ZN7rocprim17ROCPRIM_400000_NS6detail17trampoline_kernelINS0_14default_configENS1_22reduce_config_selectorIN6thrust23THRUST_200600_302600_NS5tupleIblNS6_9null_typeES8_S8_S8_S8_S8_S8_S8_EEEEZNS1_11reduce_implILb1ES3_NS6_12zip_iteratorINS7_INS6_11hip_rocprim26transform_input_iterator_tIbNSD_35transform_pair_of_input_iterators_tIbNS6_6detail15normal_iteratorINS6_10device_ptrIKxEEEESL_NS6_8equal_toIxEEEENSG_9not_fun_tINSD_8identityEEEEENSD_19counting_iterator_tIlEES8_S8_S8_S8_S8_S8_S8_S8_EEEEPS9_S9_NSD_9__find_if7functorIS9_EEEE10hipError_tPvRmT1_T2_T3_mT4_P12ihipStream_tbEUlT_E1_NS1_11comp_targetILNS1_3genE8ELNS1_11target_archE1030ELNS1_3gpuE2ELNS1_3repE0EEENS1_30default_config_static_selectorELNS0_4arch9wavefront6targetE1EEEvS14_
		.amdhsa_group_segment_fixed_size 0
		.amdhsa_private_segment_fixed_size 0
		.amdhsa_kernarg_size 88
		.amdhsa_user_sgpr_count 6
		.amdhsa_user_sgpr_private_segment_buffer 1
		.amdhsa_user_sgpr_dispatch_ptr 0
		.amdhsa_user_sgpr_queue_ptr 0
		.amdhsa_user_sgpr_kernarg_segment_ptr 1
		.amdhsa_user_sgpr_dispatch_id 0
		.amdhsa_user_sgpr_flat_scratch_init 0
		.amdhsa_user_sgpr_kernarg_preload_length 0
		.amdhsa_user_sgpr_kernarg_preload_offset 0
		.amdhsa_user_sgpr_private_segment_size 0
		.amdhsa_uses_dynamic_stack 0
		.amdhsa_system_sgpr_private_segment_wavefront_offset 0
		.amdhsa_system_sgpr_workgroup_id_x 1
		.amdhsa_system_sgpr_workgroup_id_y 0
		.amdhsa_system_sgpr_workgroup_id_z 0
		.amdhsa_system_sgpr_workgroup_info 0
		.amdhsa_system_vgpr_workitem_id 0
		.amdhsa_next_free_vgpr 1
		.amdhsa_next_free_sgpr 0
		.amdhsa_accum_offset 4
		.amdhsa_reserve_vcc 0
		.amdhsa_reserve_flat_scratch 0
		.amdhsa_float_round_mode_32 0
		.amdhsa_float_round_mode_16_64 0
		.amdhsa_float_denorm_mode_32 3
		.amdhsa_float_denorm_mode_16_64 3
		.amdhsa_dx10_clamp 1
		.amdhsa_ieee_mode 1
		.amdhsa_fp16_overflow 0
		.amdhsa_tg_split 0
		.amdhsa_exception_fp_ieee_invalid_op 0
		.amdhsa_exception_fp_denorm_src 0
		.amdhsa_exception_fp_ieee_div_zero 0
		.amdhsa_exception_fp_ieee_overflow 0
		.amdhsa_exception_fp_ieee_underflow 0
		.amdhsa_exception_fp_ieee_inexact 0
		.amdhsa_exception_int_div_zero 0
	.end_amdhsa_kernel
	.section	.text._ZN7rocprim17ROCPRIM_400000_NS6detail17trampoline_kernelINS0_14default_configENS1_22reduce_config_selectorIN6thrust23THRUST_200600_302600_NS5tupleIblNS6_9null_typeES8_S8_S8_S8_S8_S8_S8_EEEEZNS1_11reduce_implILb1ES3_NS6_12zip_iteratorINS7_INS6_11hip_rocprim26transform_input_iterator_tIbNSD_35transform_pair_of_input_iterators_tIbNS6_6detail15normal_iteratorINS6_10device_ptrIKxEEEESL_NS6_8equal_toIxEEEENSG_9not_fun_tINSD_8identityEEEEENSD_19counting_iterator_tIlEES8_S8_S8_S8_S8_S8_S8_S8_EEEEPS9_S9_NSD_9__find_if7functorIS9_EEEE10hipError_tPvRmT1_T2_T3_mT4_P12ihipStream_tbEUlT_E1_NS1_11comp_targetILNS1_3genE8ELNS1_11target_archE1030ELNS1_3gpuE2ELNS1_3repE0EEENS1_30default_config_static_selectorELNS0_4arch9wavefront6targetE1EEEvS14_,"axG",@progbits,_ZN7rocprim17ROCPRIM_400000_NS6detail17trampoline_kernelINS0_14default_configENS1_22reduce_config_selectorIN6thrust23THRUST_200600_302600_NS5tupleIblNS6_9null_typeES8_S8_S8_S8_S8_S8_S8_EEEEZNS1_11reduce_implILb1ES3_NS6_12zip_iteratorINS7_INS6_11hip_rocprim26transform_input_iterator_tIbNSD_35transform_pair_of_input_iterators_tIbNS6_6detail15normal_iteratorINS6_10device_ptrIKxEEEESL_NS6_8equal_toIxEEEENSG_9not_fun_tINSD_8identityEEEEENSD_19counting_iterator_tIlEES8_S8_S8_S8_S8_S8_S8_S8_EEEEPS9_S9_NSD_9__find_if7functorIS9_EEEE10hipError_tPvRmT1_T2_T3_mT4_P12ihipStream_tbEUlT_E1_NS1_11comp_targetILNS1_3genE8ELNS1_11target_archE1030ELNS1_3gpuE2ELNS1_3repE0EEENS1_30default_config_static_selectorELNS0_4arch9wavefront6targetE1EEEvS14_,comdat
.Lfunc_end83:
	.size	_ZN7rocprim17ROCPRIM_400000_NS6detail17trampoline_kernelINS0_14default_configENS1_22reduce_config_selectorIN6thrust23THRUST_200600_302600_NS5tupleIblNS6_9null_typeES8_S8_S8_S8_S8_S8_S8_EEEEZNS1_11reduce_implILb1ES3_NS6_12zip_iteratorINS7_INS6_11hip_rocprim26transform_input_iterator_tIbNSD_35transform_pair_of_input_iterators_tIbNS6_6detail15normal_iteratorINS6_10device_ptrIKxEEEESL_NS6_8equal_toIxEEEENSG_9not_fun_tINSD_8identityEEEEENSD_19counting_iterator_tIlEES8_S8_S8_S8_S8_S8_S8_S8_EEEEPS9_S9_NSD_9__find_if7functorIS9_EEEE10hipError_tPvRmT1_T2_T3_mT4_P12ihipStream_tbEUlT_E1_NS1_11comp_targetILNS1_3genE8ELNS1_11target_archE1030ELNS1_3gpuE2ELNS1_3repE0EEENS1_30default_config_static_selectorELNS0_4arch9wavefront6targetE1EEEvS14_, .Lfunc_end83-_ZN7rocprim17ROCPRIM_400000_NS6detail17trampoline_kernelINS0_14default_configENS1_22reduce_config_selectorIN6thrust23THRUST_200600_302600_NS5tupleIblNS6_9null_typeES8_S8_S8_S8_S8_S8_S8_EEEEZNS1_11reduce_implILb1ES3_NS6_12zip_iteratorINS7_INS6_11hip_rocprim26transform_input_iterator_tIbNSD_35transform_pair_of_input_iterators_tIbNS6_6detail15normal_iteratorINS6_10device_ptrIKxEEEESL_NS6_8equal_toIxEEEENSG_9not_fun_tINSD_8identityEEEEENSD_19counting_iterator_tIlEES8_S8_S8_S8_S8_S8_S8_S8_EEEEPS9_S9_NSD_9__find_if7functorIS9_EEEE10hipError_tPvRmT1_T2_T3_mT4_P12ihipStream_tbEUlT_E1_NS1_11comp_targetILNS1_3genE8ELNS1_11target_archE1030ELNS1_3gpuE2ELNS1_3repE0EEENS1_30default_config_static_selectorELNS0_4arch9wavefront6targetE1EEEvS14_
                                        ; -- End function
	.section	.AMDGPU.csdata,"",@progbits
; Kernel info:
; codeLenInByte = 0
; NumSgprs: 4
; NumVgprs: 0
; NumAgprs: 0
; TotalNumVgprs: 0
; ScratchSize: 0
; MemoryBound: 0
; FloatMode: 240
; IeeeMode: 1
; LDSByteSize: 0 bytes/workgroup (compile time only)
; SGPRBlocks: 0
; VGPRBlocks: 0
; NumSGPRsForWavesPerEU: 4
; NumVGPRsForWavesPerEU: 1
; AccumOffset: 4
; Occupancy: 8
; WaveLimiterHint : 0
; COMPUTE_PGM_RSRC2:SCRATCH_EN: 0
; COMPUTE_PGM_RSRC2:USER_SGPR: 6
; COMPUTE_PGM_RSRC2:TRAP_HANDLER: 0
; COMPUTE_PGM_RSRC2:TGID_X_EN: 1
; COMPUTE_PGM_RSRC2:TGID_Y_EN: 0
; COMPUTE_PGM_RSRC2:TGID_Z_EN: 0
; COMPUTE_PGM_RSRC2:TIDIG_COMP_CNT: 0
; COMPUTE_PGM_RSRC3_GFX90A:ACCUM_OFFSET: 0
; COMPUTE_PGM_RSRC3_GFX90A:TG_SPLIT: 0
	.section	.text._ZN6thrust23THRUST_200600_302600_NS11hip_rocprim14__parallel_for6kernelILj256ENS1_10for_each_fINS0_7pointerINS0_5tupleIblNS0_9null_typeES7_S7_S7_S7_S7_S7_S7_EENS1_3tagENS0_11use_defaultESA_EENS0_6detail16wrapped_functionINSC_23allocator_traits_detail24construct1_via_allocatorINSC_18no_throw_allocatorINSC_19temporary_allocatorIS8_S9_EEEEEEvEEEEmLj1EEEvT0_T1_SO_,"axG",@progbits,_ZN6thrust23THRUST_200600_302600_NS11hip_rocprim14__parallel_for6kernelILj256ENS1_10for_each_fINS0_7pointerINS0_5tupleIblNS0_9null_typeES7_S7_S7_S7_S7_S7_S7_EENS1_3tagENS0_11use_defaultESA_EENS0_6detail16wrapped_functionINSC_23allocator_traits_detail24construct1_via_allocatorINSC_18no_throw_allocatorINSC_19temporary_allocatorIS8_S9_EEEEEEvEEEEmLj1EEEvT0_T1_SO_,comdat
	.protected	_ZN6thrust23THRUST_200600_302600_NS11hip_rocprim14__parallel_for6kernelILj256ENS1_10for_each_fINS0_7pointerINS0_5tupleIblNS0_9null_typeES7_S7_S7_S7_S7_S7_S7_EENS1_3tagENS0_11use_defaultESA_EENS0_6detail16wrapped_functionINSC_23allocator_traits_detail24construct1_via_allocatorINSC_18no_throw_allocatorINSC_19temporary_allocatorIS8_S9_EEEEEEvEEEEmLj1EEEvT0_T1_SO_ ; -- Begin function _ZN6thrust23THRUST_200600_302600_NS11hip_rocprim14__parallel_for6kernelILj256ENS1_10for_each_fINS0_7pointerINS0_5tupleIblNS0_9null_typeES7_S7_S7_S7_S7_S7_S7_EENS1_3tagENS0_11use_defaultESA_EENS0_6detail16wrapped_functionINSC_23allocator_traits_detail24construct1_via_allocatorINSC_18no_throw_allocatorINSC_19temporary_allocatorIS8_S9_EEEEEEvEEEEmLj1EEEvT0_T1_SO_
	.globl	_ZN6thrust23THRUST_200600_302600_NS11hip_rocprim14__parallel_for6kernelILj256ENS1_10for_each_fINS0_7pointerINS0_5tupleIblNS0_9null_typeES7_S7_S7_S7_S7_S7_S7_EENS1_3tagENS0_11use_defaultESA_EENS0_6detail16wrapped_functionINSC_23allocator_traits_detail24construct1_via_allocatorINSC_18no_throw_allocatorINSC_19temporary_allocatorIS8_S9_EEEEEEvEEEEmLj1EEEvT0_T1_SO_
	.p2align	8
	.type	_ZN6thrust23THRUST_200600_302600_NS11hip_rocprim14__parallel_for6kernelILj256ENS1_10for_each_fINS0_7pointerINS0_5tupleIblNS0_9null_typeES7_S7_S7_S7_S7_S7_S7_EENS1_3tagENS0_11use_defaultESA_EENS0_6detail16wrapped_functionINSC_23allocator_traits_detail24construct1_via_allocatorINSC_18no_throw_allocatorINSC_19temporary_allocatorIS8_S9_EEEEEEvEEEEmLj1EEEvT0_T1_SO_,@function
_ZN6thrust23THRUST_200600_302600_NS11hip_rocprim14__parallel_for6kernelILj256ENS1_10for_each_fINS0_7pointerINS0_5tupleIblNS0_9null_typeES7_S7_S7_S7_S7_S7_S7_EENS1_3tagENS0_11use_defaultESA_EENS0_6detail16wrapped_functionINSC_23allocator_traits_detail24construct1_via_allocatorINSC_18no_throw_allocatorINSC_19temporary_allocatorIS8_S9_EEEEEEvEEEEmLj1EEEvT0_T1_SO_: ; @_ZN6thrust23THRUST_200600_302600_NS11hip_rocprim14__parallel_for6kernelILj256ENS1_10for_each_fINS0_7pointerINS0_5tupleIblNS0_9null_typeES7_S7_S7_S7_S7_S7_S7_EENS1_3tagENS0_11use_defaultESA_EENS0_6detail16wrapped_functionINSC_23allocator_traits_detail24construct1_via_allocatorINSC_18no_throw_allocatorINSC_19temporary_allocatorIS8_S9_EEEEEEvEEEEmLj1EEEvT0_T1_SO_
; %bb.0:
	s_load_dwordx4 s[8:11], s[4:5], 0x10
	s_load_dwordx2 s[0:1], s[4:5], 0x0
	s_lshl_b32 s2, s6, 8
	v_mov_b32_e32 v2, 0x100
	v_mov_b32_e32 v3, 0
	s_waitcnt lgkmcnt(0)
	s_add_u32 s4, s2, s10
	s_addc_u32 s5, 0, s11
	s_sub_u32 s2, s8, s4
	s_subb_u32 s3, s9, s5
	v_cmp_lt_u64_e32 vcc, s[2:3], v[2:3]
	s_cbranch_vccz .LBB84_4
; %bb.1:
	v_cmp_gt_u32_e32 vcc, s2, v0
	s_mov_b64 s[6:7], 0
	s_mov_b64 s[2:3], 0
                                        ; implicit-def: $vgpr2_vgpr3
	s_and_saveexec_b64 s[8:9], vcc
	s_xor_b64 s[8:9], exec, s[8:9]
; %bb.2:
	s_lshl_b64 s[10:11], s[4:5], 4
	s_add_u32 s10, s0, s10
	s_addc_u32 s11, s1, s11
	v_lshlrev_b32_e32 v1, 4, v0
	v_mov_b32_e32 v3, s11
	v_add_co_u32_e32 v2, vcc, s10, v1
	s_mov_b64 s[2:3], exec
	v_addc_co_u32_e32 v3, vcc, 0, v3, vcc
; %bb.3:
	s_or_b64 exec, exec, s[8:9]
	s_and_b64 vcc, exec, s[6:7]
	s_cbranch_vccnz .LBB84_5
	s_branch .LBB84_6
.LBB84_4:
	s_mov_b64 s[2:3], 0
                                        ; implicit-def: $vgpr2_vgpr3
	s_cbranch_execz .LBB84_6
.LBB84_5:
	s_lshl_b64 s[4:5], s[4:5], 4
	s_add_u32 s0, s0, s4
	s_addc_u32 s1, s1, s5
	v_lshlrev_b32_e32 v0, 4, v0
	v_mov_b32_e32 v1, s1
	v_add_co_u32_e32 v2, vcc, s0, v0
	v_addc_co_u32_e32 v3, vcc, 0, v1, vcc
	s_or_b64 s[2:3], s[2:3], exec
.LBB84_6:
	s_and_saveexec_b64 s[0:1], s[2:3]
	s_cbranch_execnz .LBB84_8
; %bb.7:
	s_endpgm
.LBB84_8:
	v_mov_b32_e32 v0, 0
	v_mov_b32_e32 v1, v0
	flat_store_byte v[2:3], v0
	flat_store_dwordx2 v[2:3], v[0:1] offset:8
	s_endpgm
	.section	.rodata,"a",@progbits
	.p2align	6, 0x0
	.amdhsa_kernel _ZN6thrust23THRUST_200600_302600_NS11hip_rocprim14__parallel_for6kernelILj256ENS1_10for_each_fINS0_7pointerINS0_5tupleIblNS0_9null_typeES7_S7_S7_S7_S7_S7_S7_EENS1_3tagENS0_11use_defaultESA_EENS0_6detail16wrapped_functionINSC_23allocator_traits_detail24construct1_via_allocatorINSC_18no_throw_allocatorINSC_19temporary_allocatorIS8_S9_EEEEEEvEEEEmLj1EEEvT0_T1_SO_
		.amdhsa_group_segment_fixed_size 0
		.amdhsa_private_segment_fixed_size 0
		.amdhsa_kernarg_size 32
		.amdhsa_user_sgpr_count 6
		.amdhsa_user_sgpr_private_segment_buffer 1
		.amdhsa_user_sgpr_dispatch_ptr 0
		.amdhsa_user_sgpr_queue_ptr 0
		.amdhsa_user_sgpr_kernarg_segment_ptr 1
		.amdhsa_user_sgpr_dispatch_id 0
		.amdhsa_user_sgpr_flat_scratch_init 0
		.amdhsa_user_sgpr_kernarg_preload_length 0
		.amdhsa_user_sgpr_kernarg_preload_offset 0
		.amdhsa_user_sgpr_private_segment_size 0
		.amdhsa_uses_dynamic_stack 0
		.amdhsa_system_sgpr_private_segment_wavefront_offset 0
		.amdhsa_system_sgpr_workgroup_id_x 1
		.amdhsa_system_sgpr_workgroup_id_y 0
		.amdhsa_system_sgpr_workgroup_id_z 0
		.amdhsa_system_sgpr_workgroup_info 0
		.amdhsa_system_vgpr_workitem_id 0
		.amdhsa_next_free_vgpr 4
		.amdhsa_next_free_sgpr 12
		.amdhsa_accum_offset 4
		.amdhsa_reserve_vcc 1
		.amdhsa_reserve_flat_scratch 0
		.amdhsa_float_round_mode_32 0
		.amdhsa_float_round_mode_16_64 0
		.amdhsa_float_denorm_mode_32 3
		.amdhsa_float_denorm_mode_16_64 3
		.amdhsa_dx10_clamp 1
		.amdhsa_ieee_mode 1
		.amdhsa_fp16_overflow 0
		.amdhsa_tg_split 0
		.amdhsa_exception_fp_ieee_invalid_op 0
		.amdhsa_exception_fp_denorm_src 0
		.amdhsa_exception_fp_ieee_div_zero 0
		.amdhsa_exception_fp_ieee_overflow 0
		.amdhsa_exception_fp_ieee_underflow 0
		.amdhsa_exception_fp_ieee_inexact 0
		.amdhsa_exception_int_div_zero 0
	.end_amdhsa_kernel
	.section	.text._ZN6thrust23THRUST_200600_302600_NS11hip_rocprim14__parallel_for6kernelILj256ENS1_10for_each_fINS0_7pointerINS0_5tupleIblNS0_9null_typeES7_S7_S7_S7_S7_S7_S7_EENS1_3tagENS0_11use_defaultESA_EENS0_6detail16wrapped_functionINSC_23allocator_traits_detail24construct1_via_allocatorINSC_18no_throw_allocatorINSC_19temporary_allocatorIS8_S9_EEEEEEvEEEEmLj1EEEvT0_T1_SO_,"axG",@progbits,_ZN6thrust23THRUST_200600_302600_NS11hip_rocprim14__parallel_for6kernelILj256ENS1_10for_each_fINS0_7pointerINS0_5tupleIblNS0_9null_typeES7_S7_S7_S7_S7_S7_S7_EENS1_3tagENS0_11use_defaultESA_EENS0_6detail16wrapped_functionINSC_23allocator_traits_detail24construct1_via_allocatorINSC_18no_throw_allocatorINSC_19temporary_allocatorIS8_S9_EEEEEEvEEEEmLj1EEEvT0_T1_SO_,comdat
.Lfunc_end84:
	.size	_ZN6thrust23THRUST_200600_302600_NS11hip_rocprim14__parallel_for6kernelILj256ENS1_10for_each_fINS0_7pointerINS0_5tupleIblNS0_9null_typeES7_S7_S7_S7_S7_S7_S7_EENS1_3tagENS0_11use_defaultESA_EENS0_6detail16wrapped_functionINSC_23allocator_traits_detail24construct1_via_allocatorINSC_18no_throw_allocatorINSC_19temporary_allocatorIS8_S9_EEEEEEvEEEEmLj1EEEvT0_T1_SO_, .Lfunc_end84-_ZN6thrust23THRUST_200600_302600_NS11hip_rocprim14__parallel_for6kernelILj256ENS1_10for_each_fINS0_7pointerINS0_5tupleIblNS0_9null_typeES7_S7_S7_S7_S7_S7_S7_EENS1_3tagENS0_11use_defaultESA_EENS0_6detail16wrapped_functionINSC_23allocator_traits_detail24construct1_via_allocatorINSC_18no_throw_allocatorINSC_19temporary_allocatorIS8_S9_EEEEEEvEEEEmLj1EEEvT0_T1_SO_
                                        ; -- End function
	.section	.AMDGPU.csdata,"",@progbits
; Kernel info:
; codeLenInByte = 208
; NumSgprs: 16
; NumVgprs: 4
; NumAgprs: 0
; TotalNumVgprs: 4
; ScratchSize: 0
; MemoryBound: 0
; FloatMode: 240
; IeeeMode: 1
; LDSByteSize: 0 bytes/workgroup (compile time only)
; SGPRBlocks: 1
; VGPRBlocks: 0
; NumSGPRsForWavesPerEU: 16
; NumVGPRsForWavesPerEU: 4
; AccumOffset: 4
; Occupancy: 8
; WaveLimiterHint : 0
; COMPUTE_PGM_RSRC2:SCRATCH_EN: 0
; COMPUTE_PGM_RSRC2:USER_SGPR: 6
; COMPUTE_PGM_RSRC2:TRAP_HANDLER: 0
; COMPUTE_PGM_RSRC2:TGID_X_EN: 1
; COMPUTE_PGM_RSRC2:TGID_Y_EN: 0
; COMPUTE_PGM_RSRC2:TGID_Z_EN: 0
; COMPUTE_PGM_RSRC2:TIDIG_COMP_CNT: 0
; COMPUTE_PGM_RSRC3_GFX90A:ACCUM_OFFSET: 0
; COMPUTE_PGM_RSRC3_GFX90A:TG_SPLIT: 0
	.section	.text._ZN6thrust23THRUST_200600_302600_NS11hip_rocprim14__parallel_for6kernelILj256ENS1_10for_each_fINS0_7pointerINS0_5tupleIblNS0_9null_typeES7_S7_S7_S7_S7_S7_S7_EENS1_3tagENS0_11use_defaultESA_EENS0_6detail16wrapped_functionINSC_23allocator_traits_detail5gozerEvEEEElLj1EEEvT0_T1_SJ_,"axG",@progbits,_ZN6thrust23THRUST_200600_302600_NS11hip_rocprim14__parallel_for6kernelILj256ENS1_10for_each_fINS0_7pointerINS0_5tupleIblNS0_9null_typeES7_S7_S7_S7_S7_S7_S7_EENS1_3tagENS0_11use_defaultESA_EENS0_6detail16wrapped_functionINSC_23allocator_traits_detail5gozerEvEEEElLj1EEEvT0_T1_SJ_,comdat
	.protected	_ZN6thrust23THRUST_200600_302600_NS11hip_rocprim14__parallel_for6kernelILj256ENS1_10for_each_fINS0_7pointerINS0_5tupleIblNS0_9null_typeES7_S7_S7_S7_S7_S7_S7_EENS1_3tagENS0_11use_defaultESA_EENS0_6detail16wrapped_functionINSC_23allocator_traits_detail5gozerEvEEEElLj1EEEvT0_T1_SJ_ ; -- Begin function _ZN6thrust23THRUST_200600_302600_NS11hip_rocprim14__parallel_for6kernelILj256ENS1_10for_each_fINS0_7pointerINS0_5tupleIblNS0_9null_typeES7_S7_S7_S7_S7_S7_S7_EENS1_3tagENS0_11use_defaultESA_EENS0_6detail16wrapped_functionINSC_23allocator_traits_detail5gozerEvEEEElLj1EEEvT0_T1_SJ_
	.globl	_ZN6thrust23THRUST_200600_302600_NS11hip_rocprim14__parallel_for6kernelILj256ENS1_10for_each_fINS0_7pointerINS0_5tupleIblNS0_9null_typeES7_S7_S7_S7_S7_S7_S7_EENS1_3tagENS0_11use_defaultESA_EENS0_6detail16wrapped_functionINSC_23allocator_traits_detail5gozerEvEEEElLj1EEEvT0_T1_SJ_
	.p2align	8
	.type	_ZN6thrust23THRUST_200600_302600_NS11hip_rocprim14__parallel_for6kernelILj256ENS1_10for_each_fINS0_7pointerINS0_5tupleIblNS0_9null_typeES7_S7_S7_S7_S7_S7_S7_EENS1_3tagENS0_11use_defaultESA_EENS0_6detail16wrapped_functionINSC_23allocator_traits_detail5gozerEvEEEElLj1EEEvT0_T1_SJ_,@function
_ZN6thrust23THRUST_200600_302600_NS11hip_rocprim14__parallel_for6kernelILj256ENS1_10for_each_fINS0_7pointerINS0_5tupleIblNS0_9null_typeES7_S7_S7_S7_S7_S7_S7_EENS1_3tagENS0_11use_defaultESA_EENS0_6detail16wrapped_functionINSC_23allocator_traits_detail5gozerEvEEEElLj1EEEvT0_T1_SJ_: ; @_ZN6thrust23THRUST_200600_302600_NS11hip_rocprim14__parallel_for6kernelILj256ENS1_10for_each_fINS0_7pointerINS0_5tupleIblNS0_9null_typeES7_S7_S7_S7_S7_S7_S7_EENS1_3tagENS0_11use_defaultESA_EENS0_6detail16wrapped_functionINSC_23allocator_traits_detail5gozerEvEEEElLj1EEEvT0_T1_SJ_
; %bb.0:
	s_endpgm
	.section	.rodata,"a",@progbits
	.p2align	6, 0x0
	.amdhsa_kernel _ZN6thrust23THRUST_200600_302600_NS11hip_rocprim14__parallel_for6kernelILj256ENS1_10for_each_fINS0_7pointerINS0_5tupleIblNS0_9null_typeES7_S7_S7_S7_S7_S7_S7_EENS1_3tagENS0_11use_defaultESA_EENS0_6detail16wrapped_functionINSC_23allocator_traits_detail5gozerEvEEEElLj1EEEvT0_T1_SJ_
		.amdhsa_group_segment_fixed_size 0
		.amdhsa_private_segment_fixed_size 0
		.amdhsa_kernarg_size 32
		.amdhsa_user_sgpr_count 6
		.amdhsa_user_sgpr_private_segment_buffer 1
		.amdhsa_user_sgpr_dispatch_ptr 0
		.amdhsa_user_sgpr_queue_ptr 0
		.amdhsa_user_sgpr_kernarg_segment_ptr 1
		.amdhsa_user_sgpr_dispatch_id 0
		.amdhsa_user_sgpr_flat_scratch_init 0
		.amdhsa_user_sgpr_kernarg_preload_length 0
		.amdhsa_user_sgpr_kernarg_preload_offset 0
		.amdhsa_user_sgpr_private_segment_size 0
		.amdhsa_uses_dynamic_stack 0
		.amdhsa_system_sgpr_private_segment_wavefront_offset 0
		.amdhsa_system_sgpr_workgroup_id_x 1
		.amdhsa_system_sgpr_workgroup_id_y 0
		.amdhsa_system_sgpr_workgroup_id_z 0
		.amdhsa_system_sgpr_workgroup_info 0
		.amdhsa_system_vgpr_workitem_id 0
		.amdhsa_next_free_vgpr 1
		.amdhsa_next_free_sgpr 0
		.amdhsa_accum_offset 4
		.amdhsa_reserve_vcc 0
		.amdhsa_reserve_flat_scratch 0
		.amdhsa_float_round_mode_32 0
		.amdhsa_float_round_mode_16_64 0
		.amdhsa_float_denorm_mode_32 3
		.amdhsa_float_denorm_mode_16_64 3
		.amdhsa_dx10_clamp 1
		.amdhsa_ieee_mode 1
		.amdhsa_fp16_overflow 0
		.amdhsa_tg_split 0
		.amdhsa_exception_fp_ieee_invalid_op 0
		.amdhsa_exception_fp_denorm_src 0
		.amdhsa_exception_fp_ieee_div_zero 0
		.amdhsa_exception_fp_ieee_overflow 0
		.amdhsa_exception_fp_ieee_underflow 0
		.amdhsa_exception_fp_ieee_inexact 0
		.amdhsa_exception_int_div_zero 0
	.end_amdhsa_kernel
	.section	.text._ZN6thrust23THRUST_200600_302600_NS11hip_rocprim14__parallel_for6kernelILj256ENS1_10for_each_fINS0_7pointerINS0_5tupleIblNS0_9null_typeES7_S7_S7_S7_S7_S7_S7_EENS1_3tagENS0_11use_defaultESA_EENS0_6detail16wrapped_functionINSC_23allocator_traits_detail5gozerEvEEEElLj1EEEvT0_T1_SJ_,"axG",@progbits,_ZN6thrust23THRUST_200600_302600_NS11hip_rocprim14__parallel_for6kernelILj256ENS1_10for_each_fINS0_7pointerINS0_5tupleIblNS0_9null_typeES7_S7_S7_S7_S7_S7_S7_EENS1_3tagENS0_11use_defaultESA_EENS0_6detail16wrapped_functionINSC_23allocator_traits_detail5gozerEvEEEElLj1EEEvT0_T1_SJ_,comdat
.Lfunc_end85:
	.size	_ZN6thrust23THRUST_200600_302600_NS11hip_rocprim14__parallel_for6kernelILj256ENS1_10for_each_fINS0_7pointerINS0_5tupleIblNS0_9null_typeES7_S7_S7_S7_S7_S7_S7_EENS1_3tagENS0_11use_defaultESA_EENS0_6detail16wrapped_functionINSC_23allocator_traits_detail5gozerEvEEEElLj1EEEvT0_T1_SJ_, .Lfunc_end85-_ZN6thrust23THRUST_200600_302600_NS11hip_rocprim14__parallel_for6kernelILj256ENS1_10for_each_fINS0_7pointerINS0_5tupleIblNS0_9null_typeES7_S7_S7_S7_S7_S7_S7_EENS1_3tagENS0_11use_defaultESA_EENS0_6detail16wrapped_functionINSC_23allocator_traits_detail5gozerEvEEEElLj1EEEvT0_T1_SJ_
                                        ; -- End function
	.section	.AMDGPU.csdata,"",@progbits
; Kernel info:
; codeLenInByte = 4
; NumSgprs: 4
; NumVgprs: 0
; NumAgprs: 0
; TotalNumVgprs: 0
; ScratchSize: 0
; MemoryBound: 0
; FloatMode: 240
; IeeeMode: 1
; LDSByteSize: 0 bytes/workgroup (compile time only)
; SGPRBlocks: 0
; VGPRBlocks: 0
; NumSGPRsForWavesPerEU: 4
; NumVGPRsForWavesPerEU: 1
; AccumOffset: 4
; Occupancy: 8
; WaveLimiterHint : 0
; COMPUTE_PGM_RSRC2:SCRATCH_EN: 0
; COMPUTE_PGM_RSRC2:USER_SGPR: 6
; COMPUTE_PGM_RSRC2:TRAP_HANDLER: 0
; COMPUTE_PGM_RSRC2:TGID_X_EN: 1
; COMPUTE_PGM_RSRC2:TGID_Y_EN: 0
; COMPUTE_PGM_RSRC2:TGID_Z_EN: 0
; COMPUTE_PGM_RSRC2:TIDIG_COMP_CNT: 0
; COMPUTE_PGM_RSRC3_GFX90A:ACCUM_OFFSET: 0
; COMPUTE_PGM_RSRC3_GFX90A:TG_SPLIT: 0
	.section	.text._ZN6thrust23THRUST_200600_302600_NS11hip_rocprim14__parallel_for6kernelILj256ENS1_20__uninitialized_copy7functorIPNS0_5tupleIblNS0_9null_typeES7_S7_S7_S7_S7_S7_S7_EENS0_7pointerIS8_NS1_3tagENS0_11use_defaultESC_EEEEmLj1EEEvT0_T1_SG_,"axG",@progbits,_ZN6thrust23THRUST_200600_302600_NS11hip_rocprim14__parallel_for6kernelILj256ENS1_20__uninitialized_copy7functorIPNS0_5tupleIblNS0_9null_typeES7_S7_S7_S7_S7_S7_S7_EENS0_7pointerIS8_NS1_3tagENS0_11use_defaultESC_EEEEmLj1EEEvT0_T1_SG_,comdat
	.protected	_ZN6thrust23THRUST_200600_302600_NS11hip_rocprim14__parallel_for6kernelILj256ENS1_20__uninitialized_copy7functorIPNS0_5tupleIblNS0_9null_typeES7_S7_S7_S7_S7_S7_S7_EENS0_7pointerIS8_NS1_3tagENS0_11use_defaultESC_EEEEmLj1EEEvT0_T1_SG_ ; -- Begin function _ZN6thrust23THRUST_200600_302600_NS11hip_rocprim14__parallel_for6kernelILj256ENS1_20__uninitialized_copy7functorIPNS0_5tupleIblNS0_9null_typeES7_S7_S7_S7_S7_S7_S7_EENS0_7pointerIS8_NS1_3tagENS0_11use_defaultESC_EEEEmLj1EEEvT0_T1_SG_
	.globl	_ZN6thrust23THRUST_200600_302600_NS11hip_rocprim14__parallel_for6kernelILj256ENS1_20__uninitialized_copy7functorIPNS0_5tupleIblNS0_9null_typeES7_S7_S7_S7_S7_S7_S7_EENS0_7pointerIS8_NS1_3tagENS0_11use_defaultESC_EEEEmLj1EEEvT0_T1_SG_
	.p2align	8
	.type	_ZN6thrust23THRUST_200600_302600_NS11hip_rocprim14__parallel_for6kernelILj256ENS1_20__uninitialized_copy7functorIPNS0_5tupleIblNS0_9null_typeES7_S7_S7_S7_S7_S7_S7_EENS0_7pointerIS8_NS1_3tagENS0_11use_defaultESC_EEEEmLj1EEEvT0_T1_SG_,@function
_ZN6thrust23THRUST_200600_302600_NS11hip_rocprim14__parallel_for6kernelILj256ENS1_20__uninitialized_copy7functorIPNS0_5tupleIblNS0_9null_typeES7_S7_S7_S7_S7_S7_S7_EENS0_7pointerIS8_NS1_3tagENS0_11use_defaultESC_EEEEmLj1EEEvT0_T1_SG_: ; @_ZN6thrust23THRUST_200600_302600_NS11hip_rocprim14__parallel_for6kernelILj256ENS1_20__uninitialized_copy7functorIPNS0_5tupleIblNS0_9null_typeES7_S7_S7_S7_S7_S7_S7_EENS0_7pointerIS8_NS1_3tagENS0_11use_defaultESC_EEEEmLj1EEEvT0_T1_SG_
; %bb.0:
	s_load_dwordx8 s[8:15], s[4:5], 0x0
	s_lshl_b32 s0, s6, 8
	v_mov_b32_e32 v2, 0x100
	v_mov_b32_e32 v3, 0
	s_waitcnt lgkmcnt(0)
	s_add_u32 s4, s0, s14
	s_addc_u32 s5, 0, s15
	s_sub_u32 s2, s12, s4
	s_subb_u32 s3, s13, s5
	v_cmp_lt_u64_e32 vcc, s[2:3], v[2:3]
	s_mov_b64 s[0:1], -1
	s_cbranch_vccnz .LBB86_3
; %bb.1:
	s_andn2_b64 vcc, exec, s[0:1]
	s_cbranch_vccz .LBB86_6
.LBB86_2:
	s_endpgm
.LBB86_3:
	v_cmp_gt_u32_e32 vcc, s2, v0
	s_and_saveexec_b64 s[0:1], vcc
	s_cbranch_execz .LBB86_5
; %bb.4:
	v_mov_b32_e32 v1, s5
	v_add_co_u32_e32 v2, vcc, s4, v0
	v_addc_co_u32_e32 v3, vcc, 0, v1, vcc
	v_lshlrev_b64 v[6:7], 4, v[2:3]
	v_mov_b32_e32 v1, s9
	v_add_co_u32_e32 v2, vcc, s8, v6
	v_addc_co_u32_e32 v3, vcc, v1, v7, vcc
	global_load_dwordx4 v[2:5], v[2:3], off
	v_mov_b32_e32 v1, s11
	v_add_co_u32_e32 v6, vcc, s10, v6
	v_addc_co_u32_e32 v7, vcc, v1, v7, vcc
	s_waitcnt vmcnt(0)
	flat_store_dwordx4 v[6:7], v[2:5]
.LBB86_5:
	s_or_b64 exec, exec, s[0:1]
	s_cbranch_execnz .LBB86_2
.LBB86_6:
	v_mov_b32_e32 v1, s5
	v_add_co_u32_e32 v0, vcc, s4, v0
	v_addc_co_u32_e32 v1, vcc, 0, v1, vcc
	v_lshlrev_b64 v[4:5], 4, v[0:1]
	v_mov_b32_e32 v1, s9
	v_add_co_u32_e32 v0, vcc, s8, v4
	v_addc_co_u32_e32 v1, vcc, v1, v5, vcc
	global_load_dwordx4 v[0:3], v[0:1], off
	v_mov_b32_e32 v6, s11
	v_add_co_u32_e32 v4, vcc, s10, v4
	v_addc_co_u32_e32 v5, vcc, v6, v5, vcc
	s_waitcnt vmcnt(0)
	flat_store_dwordx4 v[4:5], v[0:3]
	s_endpgm
	.section	.rodata,"a",@progbits
	.p2align	6, 0x0
	.amdhsa_kernel _ZN6thrust23THRUST_200600_302600_NS11hip_rocprim14__parallel_for6kernelILj256ENS1_20__uninitialized_copy7functorIPNS0_5tupleIblNS0_9null_typeES7_S7_S7_S7_S7_S7_S7_EENS0_7pointerIS8_NS1_3tagENS0_11use_defaultESC_EEEEmLj1EEEvT0_T1_SG_
		.amdhsa_group_segment_fixed_size 0
		.amdhsa_private_segment_fixed_size 0
		.amdhsa_kernarg_size 32
		.amdhsa_user_sgpr_count 6
		.amdhsa_user_sgpr_private_segment_buffer 1
		.amdhsa_user_sgpr_dispatch_ptr 0
		.amdhsa_user_sgpr_queue_ptr 0
		.amdhsa_user_sgpr_kernarg_segment_ptr 1
		.amdhsa_user_sgpr_dispatch_id 0
		.amdhsa_user_sgpr_flat_scratch_init 0
		.amdhsa_user_sgpr_kernarg_preload_length 0
		.amdhsa_user_sgpr_kernarg_preload_offset 0
		.amdhsa_user_sgpr_private_segment_size 0
		.amdhsa_uses_dynamic_stack 0
		.amdhsa_system_sgpr_private_segment_wavefront_offset 0
		.amdhsa_system_sgpr_workgroup_id_x 1
		.amdhsa_system_sgpr_workgroup_id_y 0
		.amdhsa_system_sgpr_workgroup_id_z 0
		.amdhsa_system_sgpr_workgroup_info 0
		.amdhsa_system_vgpr_workitem_id 0
		.amdhsa_next_free_vgpr 8
		.amdhsa_next_free_sgpr 16
		.amdhsa_accum_offset 8
		.amdhsa_reserve_vcc 1
		.amdhsa_reserve_flat_scratch 0
		.amdhsa_float_round_mode_32 0
		.amdhsa_float_round_mode_16_64 0
		.amdhsa_float_denorm_mode_32 3
		.amdhsa_float_denorm_mode_16_64 3
		.amdhsa_dx10_clamp 1
		.amdhsa_ieee_mode 1
		.amdhsa_fp16_overflow 0
		.amdhsa_tg_split 0
		.amdhsa_exception_fp_ieee_invalid_op 0
		.amdhsa_exception_fp_denorm_src 0
		.amdhsa_exception_fp_ieee_div_zero 0
		.amdhsa_exception_fp_ieee_overflow 0
		.amdhsa_exception_fp_ieee_underflow 0
		.amdhsa_exception_fp_ieee_inexact 0
		.amdhsa_exception_int_div_zero 0
	.end_amdhsa_kernel
	.section	.text._ZN6thrust23THRUST_200600_302600_NS11hip_rocprim14__parallel_for6kernelILj256ENS1_20__uninitialized_copy7functorIPNS0_5tupleIblNS0_9null_typeES7_S7_S7_S7_S7_S7_S7_EENS0_7pointerIS8_NS1_3tagENS0_11use_defaultESC_EEEEmLj1EEEvT0_T1_SG_,"axG",@progbits,_ZN6thrust23THRUST_200600_302600_NS11hip_rocprim14__parallel_for6kernelILj256ENS1_20__uninitialized_copy7functorIPNS0_5tupleIblNS0_9null_typeES7_S7_S7_S7_S7_S7_S7_EENS0_7pointerIS8_NS1_3tagENS0_11use_defaultESC_EEEEmLj1EEEvT0_T1_SG_,comdat
.Lfunc_end86:
	.size	_ZN6thrust23THRUST_200600_302600_NS11hip_rocprim14__parallel_for6kernelILj256ENS1_20__uninitialized_copy7functorIPNS0_5tupleIblNS0_9null_typeES7_S7_S7_S7_S7_S7_S7_EENS0_7pointerIS8_NS1_3tagENS0_11use_defaultESC_EEEEmLj1EEEvT0_T1_SG_, .Lfunc_end86-_ZN6thrust23THRUST_200600_302600_NS11hip_rocprim14__parallel_for6kernelILj256ENS1_20__uninitialized_copy7functorIPNS0_5tupleIblNS0_9null_typeES7_S7_S7_S7_S7_S7_S7_EENS0_7pointerIS8_NS1_3tagENS0_11use_defaultESC_EEEEmLj1EEEvT0_T1_SG_
                                        ; -- End function
	.section	.AMDGPU.csdata,"",@progbits
; Kernel info:
; codeLenInByte = 220
; NumSgprs: 20
; NumVgprs: 8
; NumAgprs: 0
; TotalNumVgprs: 8
; ScratchSize: 0
; MemoryBound: 0
; FloatMode: 240
; IeeeMode: 1
; LDSByteSize: 0 bytes/workgroup (compile time only)
; SGPRBlocks: 2
; VGPRBlocks: 0
; NumSGPRsForWavesPerEU: 20
; NumVGPRsForWavesPerEU: 8
; AccumOffset: 8
; Occupancy: 8
; WaveLimiterHint : 0
; COMPUTE_PGM_RSRC2:SCRATCH_EN: 0
; COMPUTE_PGM_RSRC2:USER_SGPR: 6
; COMPUTE_PGM_RSRC2:TRAP_HANDLER: 0
; COMPUTE_PGM_RSRC2:TGID_X_EN: 1
; COMPUTE_PGM_RSRC2:TGID_Y_EN: 0
; COMPUTE_PGM_RSRC2:TGID_Z_EN: 0
; COMPUTE_PGM_RSRC2:TIDIG_COMP_CNT: 0
; COMPUTE_PGM_RSRC3_GFX90A:ACCUM_OFFSET: 1
; COMPUTE_PGM_RSRC3_GFX90A:TG_SPLIT: 0
	.section	.text._ZN6thrust23THRUST_200600_302600_NS11hip_rocprim14__parallel_for6kernelILj256ENS1_20__uninitialized_copy7functorINS0_6detail15normal_iteratorINS0_10device_ptrIiEEEENS7_INS0_7pointerIiNS1_3tagENS0_11use_defaultESD_EEEEEElLj1EEEvT0_T1_SI_,"axG",@progbits,_ZN6thrust23THRUST_200600_302600_NS11hip_rocprim14__parallel_for6kernelILj256ENS1_20__uninitialized_copy7functorINS0_6detail15normal_iteratorINS0_10device_ptrIiEEEENS7_INS0_7pointerIiNS1_3tagENS0_11use_defaultESD_EEEEEElLj1EEEvT0_T1_SI_,comdat
	.protected	_ZN6thrust23THRUST_200600_302600_NS11hip_rocprim14__parallel_for6kernelILj256ENS1_20__uninitialized_copy7functorINS0_6detail15normal_iteratorINS0_10device_ptrIiEEEENS7_INS0_7pointerIiNS1_3tagENS0_11use_defaultESD_EEEEEElLj1EEEvT0_T1_SI_ ; -- Begin function _ZN6thrust23THRUST_200600_302600_NS11hip_rocprim14__parallel_for6kernelILj256ENS1_20__uninitialized_copy7functorINS0_6detail15normal_iteratorINS0_10device_ptrIiEEEENS7_INS0_7pointerIiNS1_3tagENS0_11use_defaultESD_EEEEEElLj1EEEvT0_T1_SI_
	.globl	_ZN6thrust23THRUST_200600_302600_NS11hip_rocprim14__parallel_for6kernelILj256ENS1_20__uninitialized_copy7functorINS0_6detail15normal_iteratorINS0_10device_ptrIiEEEENS7_INS0_7pointerIiNS1_3tagENS0_11use_defaultESD_EEEEEElLj1EEEvT0_T1_SI_
	.p2align	8
	.type	_ZN6thrust23THRUST_200600_302600_NS11hip_rocprim14__parallel_for6kernelILj256ENS1_20__uninitialized_copy7functorINS0_6detail15normal_iteratorINS0_10device_ptrIiEEEENS7_INS0_7pointerIiNS1_3tagENS0_11use_defaultESD_EEEEEElLj1EEEvT0_T1_SI_,@function
_ZN6thrust23THRUST_200600_302600_NS11hip_rocprim14__parallel_for6kernelILj256ENS1_20__uninitialized_copy7functorINS0_6detail15normal_iteratorINS0_10device_ptrIiEEEENS7_INS0_7pointerIiNS1_3tagENS0_11use_defaultESD_EEEEEElLj1EEEvT0_T1_SI_: ; @_ZN6thrust23THRUST_200600_302600_NS11hip_rocprim14__parallel_for6kernelILj256ENS1_20__uninitialized_copy7functorINS0_6detail15normal_iteratorINS0_10device_ptrIiEEEENS7_INS0_7pointerIiNS1_3tagENS0_11use_defaultESD_EEEEEElLj1EEEvT0_T1_SI_
; %bb.0:
	s_load_dwordx8 s[8:15], s[4:5], 0x0
	s_lshl_b32 s0, s6, 8
	v_mov_b32_e32 v2, 0x100
	v_mov_b32_e32 v3, 0
	s_waitcnt lgkmcnt(0)
	s_add_u32 s6, s0, s14
	s_addc_u32 s7, 0, s15
	s_sub_u32 s0, s12, s6
	s_subb_u32 s1, s13, s7
	v_cmp_lt_i64_e32 vcc, s[0:1], v[2:3]
	s_and_b64 s[2:3], vcc, exec
	s_cselect_b32 s0, s0, 0x100
	s_cmpk_lg_i32 s0, 0x100
	s_cbranch_scc0 .LBB87_4
; %bb.1:
	v_cmp_gt_u32_e32 vcc, s0, v0
	s_mov_b64 s[2:3], 0
	s_mov_b64 s[0:1], 0
                                        ; implicit-def: $vgpr2_vgpr3
                                        ; implicit-def: $vgpr4_vgpr5
	s_and_saveexec_b64 s[4:5], vcc
	s_xor_b64 s[4:5], exec, s[4:5]
; %bb.2:
	v_mov_b32_e32 v1, s7
	v_add_co_u32_e32 v2, vcc, s6, v0
	v_addc_co_u32_e32 v3, vcc, 0, v1, vcc
	v_lshlrev_b64 v[4:5], 2, v[2:3]
	v_mov_b32_e32 v1, s11
	v_add_co_u32_e32 v2, vcc, s10, v4
	v_addc_co_u32_e32 v3, vcc, v1, v5, vcc
	v_mov_b32_e32 v1, s9
	v_add_co_u32_e32 v4, vcc, s8, v4
	s_mov_b64 s[0:1], exec
	v_addc_co_u32_e32 v5, vcc, v1, v5, vcc
; %bb.3:
	s_or_b64 exec, exec, s[4:5]
	s_and_b64 vcc, exec, s[2:3]
	s_cbranch_vccnz .LBB87_5
	s_branch .LBB87_6
.LBB87_4:
	s_mov_b64 s[0:1], 0
                                        ; implicit-def: $vgpr2_vgpr3
                                        ; implicit-def: $vgpr4_vgpr5
	s_cbranch_execz .LBB87_6
.LBB87_5:
	v_mov_b32_e32 v1, s7
	v_add_co_u32_e32 v0, vcc, s6, v0
	v_addc_co_u32_e32 v1, vcc, 0, v1, vcc
	v_lshlrev_b64 v[0:1], 2, v[0:1]
	v_mov_b32_e32 v2, s9
	v_add_co_u32_e32 v4, vcc, s8, v0
	v_addc_co_u32_e32 v5, vcc, v2, v1, vcc
	v_mov_b32_e32 v3, s11
	v_add_co_u32_e32 v2, vcc, s10, v0
	v_addc_co_u32_e32 v3, vcc, v3, v1, vcc
	s_or_b64 s[0:1], s[0:1], exec
.LBB87_6:
	s_and_saveexec_b64 s[2:3], s[0:1]
	s_cbranch_execnz .LBB87_8
; %bb.7:
	s_endpgm
.LBB87_8:
	flat_load_dword v0, v[4:5]
	s_waitcnt vmcnt(0) lgkmcnt(0)
	flat_store_dword v[2:3], v0
	s_endpgm
	.section	.rodata,"a",@progbits
	.p2align	6, 0x0
	.amdhsa_kernel _ZN6thrust23THRUST_200600_302600_NS11hip_rocprim14__parallel_for6kernelILj256ENS1_20__uninitialized_copy7functorINS0_6detail15normal_iteratorINS0_10device_ptrIiEEEENS7_INS0_7pointerIiNS1_3tagENS0_11use_defaultESD_EEEEEElLj1EEEvT0_T1_SI_
		.amdhsa_group_segment_fixed_size 0
		.amdhsa_private_segment_fixed_size 0
		.amdhsa_kernarg_size 32
		.amdhsa_user_sgpr_count 6
		.amdhsa_user_sgpr_private_segment_buffer 1
		.amdhsa_user_sgpr_dispatch_ptr 0
		.amdhsa_user_sgpr_queue_ptr 0
		.amdhsa_user_sgpr_kernarg_segment_ptr 1
		.amdhsa_user_sgpr_dispatch_id 0
		.amdhsa_user_sgpr_flat_scratch_init 0
		.amdhsa_user_sgpr_kernarg_preload_length 0
		.amdhsa_user_sgpr_kernarg_preload_offset 0
		.amdhsa_user_sgpr_private_segment_size 0
		.amdhsa_uses_dynamic_stack 0
		.amdhsa_system_sgpr_private_segment_wavefront_offset 0
		.amdhsa_system_sgpr_workgroup_id_x 1
		.amdhsa_system_sgpr_workgroup_id_y 0
		.amdhsa_system_sgpr_workgroup_id_z 0
		.amdhsa_system_sgpr_workgroup_info 0
		.amdhsa_system_vgpr_workitem_id 0
		.amdhsa_next_free_vgpr 6
		.amdhsa_next_free_sgpr 16
		.amdhsa_accum_offset 8
		.amdhsa_reserve_vcc 1
		.amdhsa_reserve_flat_scratch 0
		.amdhsa_float_round_mode_32 0
		.amdhsa_float_round_mode_16_64 0
		.amdhsa_float_denorm_mode_32 3
		.amdhsa_float_denorm_mode_16_64 3
		.amdhsa_dx10_clamp 1
		.amdhsa_ieee_mode 1
		.amdhsa_fp16_overflow 0
		.amdhsa_tg_split 0
		.amdhsa_exception_fp_ieee_invalid_op 0
		.amdhsa_exception_fp_denorm_src 0
		.amdhsa_exception_fp_ieee_div_zero 0
		.amdhsa_exception_fp_ieee_overflow 0
		.amdhsa_exception_fp_ieee_underflow 0
		.amdhsa_exception_fp_ieee_inexact 0
		.amdhsa_exception_int_div_zero 0
	.end_amdhsa_kernel
	.section	.text._ZN6thrust23THRUST_200600_302600_NS11hip_rocprim14__parallel_for6kernelILj256ENS1_20__uninitialized_copy7functorINS0_6detail15normal_iteratorINS0_10device_ptrIiEEEENS7_INS0_7pointerIiNS1_3tagENS0_11use_defaultESD_EEEEEElLj1EEEvT0_T1_SI_,"axG",@progbits,_ZN6thrust23THRUST_200600_302600_NS11hip_rocprim14__parallel_for6kernelILj256ENS1_20__uninitialized_copy7functorINS0_6detail15normal_iteratorINS0_10device_ptrIiEEEENS7_INS0_7pointerIiNS1_3tagENS0_11use_defaultESD_EEEEEElLj1EEEvT0_T1_SI_,comdat
.Lfunc_end87:
	.size	_ZN6thrust23THRUST_200600_302600_NS11hip_rocprim14__parallel_for6kernelILj256ENS1_20__uninitialized_copy7functorINS0_6detail15normal_iteratorINS0_10device_ptrIiEEEENS7_INS0_7pointerIiNS1_3tagENS0_11use_defaultESD_EEEEEElLj1EEEvT0_T1_SI_, .Lfunc_end87-_ZN6thrust23THRUST_200600_302600_NS11hip_rocprim14__parallel_for6kernelILj256ENS1_20__uninitialized_copy7functorINS0_6detail15normal_iteratorINS0_10device_ptrIiEEEENS7_INS0_7pointerIiNS1_3tagENS0_11use_defaultESD_EEEEEElLj1EEEvT0_T1_SI_
                                        ; -- End function
	.section	.AMDGPU.csdata,"",@progbits
; Kernel info:
; codeLenInByte = 244
; NumSgprs: 20
; NumVgprs: 6
; NumAgprs: 0
; TotalNumVgprs: 6
; ScratchSize: 0
; MemoryBound: 0
; FloatMode: 240
; IeeeMode: 1
; LDSByteSize: 0 bytes/workgroup (compile time only)
; SGPRBlocks: 2
; VGPRBlocks: 0
; NumSGPRsForWavesPerEU: 20
; NumVGPRsForWavesPerEU: 6
; AccumOffset: 8
; Occupancy: 8
; WaveLimiterHint : 0
; COMPUTE_PGM_RSRC2:SCRATCH_EN: 0
; COMPUTE_PGM_RSRC2:USER_SGPR: 6
; COMPUTE_PGM_RSRC2:TRAP_HANDLER: 0
; COMPUTE_PGM_RSRC2:TGID_X_EN: 1
; COMPUTE_PGM_RSRC2:TGID_Y_EN: 0
; COMPUTE_PGM_RSRC2:TGID_Z_EN: 0
; COMPUTE_PGM_RSRC2:TIDIG_COMP_CNT: 0
; COMPUTE_PGM_RSRC3_GFX90A:ACCUM_OFFSET: 1
; COMPUTE_PGM_RSRC3_GFX90A:TG_SPLIT: 0
	.section	.text._ZN7rocprim17ROCPRIM_400000_NS6detail17trampoline_kernelINS0_14default_configENS1_25partition_config_selectorILNS1_17partition_subalgoE3EiNS0_10empty_typeEbEEZZNS1_14partition_implILS5_3ELb0ES3_jN6thrust23THRUST_200600_302600_NS6detail15normal_iteratorINSA_7pointerIiNSA_11hip_rocprim3tagENSA_11use_defaultESG_EEEEPS6_SJ_NS0_5tupleIJPiSJ_EEENSK_IJSJ_SJ_EEES6_PlJ7is_evenIiEEEE10hipError_tPvRmT3_T4_T5_T6_T7_T9_mT8_P12ihipStream_tbDpT10_ENKUlT_T0_E_clISt17integral_constantIbLb0EES1A_EEDaS15_S16_EUlS15_E_NS1_11comp_targetILNS1_3genE0ELNS1_11target_archE4294967295ELNS1_3gpuE0ELNS1_3repE0EEENS1_30default_config_static_selectorELNS0_4arch9wavefront6targetE1EEEvT1_,"axG",@progbits,_ZN7rocprim17ROCPRIM_400000_NS6detail17trampoline_kernelINS0_14default_configENS1_25partition_config_selectorILNS1_17partition_subalgoE3EiNS0_10empty_typeEbEEZZNS1_14partition_implILS5_3ELb0ES3_jN6thrust23THRUST_200600_302600_NS6detail15normal_iteratorINSA_7pointerIiNSA_11hip_rocprim3tagENSA_11use_defaultESG_EEEEPS6_SJ_NS0_5tupleIJPiSJ_EEENSK_IJSJ_SJ_EEES6_PlJ7is_evenIiEEEE10hipError_tPvRmT3_T4_T5_T6_T7_T9_mT8_P12ihipStream_tbDpT10_ENKUlT_T0_E_clISt17integral_constantIbLb0EES1A_EEDaS15_S16_EUlS15_E_NS1_11comp_targetILNS1_3genE0ELNS1_11target_archE4294967295ELNS1_3gpuE0ELNS1_3repE0EEENS1_30default_config_static_selectorELNS0_4arch9wavefront6targetE1EEEvT1_,comdat
	.protected	_ZN7rocprim17ROCPRIM_400000_NS6detail17trampoline_kernelINS0_14default_configENS1_25partition_config_selectorILNS1_17partition_subalgoE3EiNS0_10empty_typeEbEEZZNS1_14partition_implILS5_3ELb0ES3_jN6thrust23THRUST_200600_302600_NS6detail15normal_iteratorINSA_7pointerIiNSA_11hip_rocprim3tagENSA_11use_defaultESG_EEEEPS6_SJ_NS0_5tupleIJPiSJ_EEENSK_IJSJ_SJ_EEES6_PlJ7is_evenIiEEEE10hipError_tPvRmT3_T4_T5_T6_T7_T9_mT8_P12ihipStream_tbDpT10_ENKUlT_T0_E_clISt17integral_constantIbLb0EES1A_EEDaS15_S16_EUlS15_E_NS1_11comp_targetILNS1_3genE0ELNS1_11target_archE4294967295ELNS1_3gpuE0ELNS1_3repE0EEENS1_30default_config_static_selectorELNS0_4arch9wavefront6targetE1EEEvT1_ ; -- Begin function _ZN7rocprim17ROCPRIM_400000_NS6detail17trampoline_kernelINS0_14default_configENS1_25partition_config_selectorILNS1_17partition_subalgoE3EiNS0_10empty_typeEbEEZZNS1_14partition_implILS5_3ELb0ES3_jN6thrust23THRUST_200600_302600_NS6detail15normal_iteratorINSA_7pointerIiNSA_11hip_rocprim3tagENSA_11use_defaultESG_EEEEPS6_SJ_NS0_5tupleIJPiSJ_EEENSK_IJSJ_SJ_EEES6_PlJ7is_evenIiEEEE10hipError_tPvRmT3_T4_T5_T6_T7_T9_mT8_P12ihipStream_tbDpT10_ENKUlT_T0_E_clISt17integral_constantIbLb0EES1A_EEDaS15_S16_EUlS15_E_NS1_11comp_targetILNS1_3genE0ELNS1_11target_archE4294967295ELNS1_3gpuE0ELNS1_3repE0EEENS1_30default_config_static_selectorELNS0_4arch9wavefront6targetE1EEEvT1_
	.globl	_ZN7rocprim17ROCPRIM_400000_NS6detail17trampoline_kernelINS0_14default_configENS1_25partition_config_selectorILNS1_17partition_subalgoE3EiNS0_10empty_typeEbEEZZNS1_14partition_implILS5_3ELb0ES3_jN6thrust23THRUST_200600_302600_NS6detail15normal_iteratorINSA_7pointerIiNSA_11hip_rocprim3tagENSA_11use_defaultESG_EEEEPS6_SJ_NS0_5tupleIJPiSJ_EEENSK_IJSJ_SJ_EEES6_PlJ7is_evenIiEEEE10hipError_tPvRmT3_T4_T5_T6_T7_T9_mT8_P12ihipStream_tbDpT10_ENKUlT_T0_E_clISt17integral_constantIbLb0EES1A_EEDaS15_S16_EUlS15_E_NS1_11comp_targetILNS1_3genE0ELNS1_11target_archE4294967295ELNS1_3gpuE0ELNS1_3repE0EEENS1_30default_config_static_selectorELNS0_4arch9wavefront6targetE1EEEvT1_
	.p2align	8
	.type	_ZN7rocprim17ROCPRIM_400000_NS6detail17trampoline_kernelINS0_14default_configENS1_25partition_config_selectorILNS1_17partition_subalgoE3EiNS0_10empty_typeEbEEZZNS1_14partition_implILS5_3ELb0ES3_jN6thrust23THRUST_200600_302600_NS6detail15normal_iteratorINSA_7pointerIiNSA_11hip_rocprim3tagENSA_11use_defaultESG_EEEEPS6_SJ_NS0_5tupleIJPiSJ_EEENSK_IJSJ_SJ_EEES6_PlJ7is_evenIiEEEE10hipError_tPvRmT3_T4_T5_T6_T7_T9_mT8_P12ihipStream_tbDpT10_ENKUlT_T0_E_clISt17integral_constantIbLb0EES1A_EEDaS15_S16_EUlS15_E_NS1_11comp_targetILNS1_3genE0ELNS1_11target_archE4294967295ELNS1_3gpuE0ELNS1_3repE0EEENS1_30default_config_static_selectorELNS0_4arch9wavefront6targetE1EEEvT1_,@function
_ZN7rocprim17ROCPRIM_400000_NS6detail17trampoline_kernelINS0_14default_configENS1_25partition_config_selectorILNS1_17partition_subalgoE3EiNS0_10empty_typeEbEEZZNS1_14partition_implILS5_3ELb0ES3_jN6thrust23THRUST_200600_302600_NS6detail15normal_iteratorINSA_7pointerIiNSA_11hip_rocprim3tagENSA_11use_defaultESG_EEEEPS6_SJ_NS0_5tupleIJPiSJ_EEENSK_IJSJ_SJ_EEES6_PlJ7is_evenIiEEEE10hipError_tPvRmT3_T4_T5_T6_T7_T9_mT8_P12ihipStream_tbDpT10_ENKUlT_T0_E_clISt17integral_constantIbLb0EES1A_EEDaS15_S16_EUlS15_E_NS1_11comp_targetILNS1_3genE0ELNS1_11target_archE4294967295ELNS1_3gpuE0ELNS1_3repE0EEENS1_30default_config_static_selectorELNS0_4arch9wavefront6targetE1EEEvT1_: ; @_ZN7rocprim17ROCPRIM_400000_NS6detail17trampoline_kernelINS0_14default_configENS1_25partition_config_selectorILNS1_17partition_subalgoE3EiNS0_10empty_typeEbEEZZNS1_14partition_implILS5_3ELb0ES3_jN6thrust23THRUST_200600_302600_NS6detail15normal_iteratorINSA_7pointerIiNSA_11hip_rocprim3tagENSA_11use_defaultESG_EEEEPS6_SJ_NS0_5tupleIJPiSJ_EEENSK_IJSJ_SJ_EEES6_PlJ7is_evenIiEEEE10hipError_tPvRmT3_T4_T5_T6_T7_T9_mT8_P12ihipStream_tbDpT10_ENKUlT_T0_E_clISt17integral_constantIbLb0EES1A_EEDaS15_S16_EUlS15_E_NS1_11comp_targetILNS1_3genE0ELNS1_11target_archE4294967295ELNS1_3gpuE0ELNS1_3repE0EEENS1_30default_config_static_selectorELNS0_4arch9wavefront6targetE1EEEvT1_
; %bb.0:
	.section	.rodata,"a",@progbits
	.p2align	6, 0x0
	.amdhsa_kernel _ZN7rocprim17ROCPRIM_400000_NS6detail17trampoline_kernelINS0_14default_configENS1_25partition_config_selectorILNS1_17partition_subalgoE3EiNS0_10empty_typeEbEEZZNS1_14partition_implILS5_3ELb0ES3_jN6thrust23THRUST_200600_302600_NS6detail15normal_iteratorINSA_7pointerIiNSA_11hip_rocprim3tagENSA_11use_defaultESG_EEEEPS6_SJ_NS0_5tupleIJPiSJ_EEENSK_IJSJ_SJ_EEES6_PlJ7is_evenIiEEEE10hipError_tPvRmT3_T4_T5_T6_T7_T9_mT8_P12ihipStream_tbDpT10_ENKUlT_T0_E_clISt17integral_constantIbLb0EES1A_EEDaS15_S16_EUlS15_E_NS1_11comp_targetILNS1_3genE0ELNS1_11target_archE4294967295ELNS1_3gpuE0ELNS1_3repE0EEENS1_30default_config_static_selectorELNS0_4arch9wavefront6targetE1EEEvT1_
		.amdhsa_group_segment_fixed_size 0
		.amdhsa_private_segment_fixed_size 0
		.amdhsa_kernarg_size 120
		.amdhsa_user_sgpr_count 6
		.amdhsa_user_sgpr_private_segment_buffer 1
		.amdhsa_user_sgpr_dispatch_ptr 0
		.amdhsa_user_sgpr_queue_ptr 0
		.amdhsa_user_sgpr_kernarg_segment_ptr 1
		.amdhsa_user_sgpr_dispatch_id 0
		.amdhsa_user_sgpr_flat_scratch_init 0
		.amdhsa_user_sgpr_kernarg_preload_length 0
		.amdhsa_user_sgpr_kernarg_preload_offset 0
		.amdhsa_user_sgpr_private_segment_size 0
		.amdhsa_uses_dynamic_stack 0
		.amdhsa_system_sgpr_private_segment_wavefront_offset 0
		.amdhsa_system_sgpr_workgroup_id_x 1
		.amdhsa_system_sgpr_workgroup_id_y 0
		.amdhsa_system_sgpr_workgroup_id_z 0
		.amdhsa_system_sgpr_workgroup_info 0
		.amdhsa_system_vgpr_workitem_id 0
		.amdhsa_next_free_vgpr 1
		.amdhsa_next_free_sgpr 0
		.amdhsa_accum_offset 4
		.amdhsa_reserve_vcc 0
		.amdhsa_reserve_flat_scratch 0
		.amdhsa_float_round_mode_32 0
		.amdhsa_float_round_mode_16_64 0
		.amdhsa_float_denorm_mode_32 3
		.amdhsa_float_denorm_mode_16_64 3
		.amdhsa_dx10_clamp 1
		.amdhsa_ieee_mode 1
		.amdhsa_fp16_overflow 0
		.amdhsa_tg_split 0
		.amdhsa_exception_fp_ieee_invalid_op 0
		.amdhsa_exception_fp_denorm_src 0
		.amdhsa_exception_fp_ieee_div_zero 0
		.amdhsa_exception_fp_ieee_overflow 0
		.amdhsa_exception_fp_ieee_underflow 0
		.amdhsa_exception_fp_ieee_inexact 0
		.amdhsa_exception_int_div_zero 0
	.end_amdhsa_kernel
	.section	.text._ZN7rocprim17ROCPRIM_400000_NS6detail17trampoline_kernelINS0_14default_configENS1_25partition_config_selectorILNS1_17partition_subalgoE3EiNS0_10empty_typeEbEEZZNS1_14partition_implILS5_3ELb0ES3_jN6thrust23THRUST_200600_302600_NS6detail15normal_iteratorINSA_7pointerIiNSA_11hip_rocprim3tagENSA_11use_defaultESG_EEEEPS6_SJ_NS0_5tupleIJPiSJ_EEENSK_IJSJ_SJ_EEES6_PlJ7is_evenIiEEEE10hipError_tPvRmT3_T4_T5_T6_T7_T9_mT8_P12ihipStream_tbDpT10_ENKUlT_T0_E_clISt17integral_constantIbLb0EES1A_EEDaS15_S16_EUlS15_E_NS1_11comp_targetILNS1_3genE0ELNS1_11target_archE4294967295ELNS1_3gpuE0ELNS1_3repE0EEENS1_30default_config_static_selectorELNS0_4arch9wavefront6targetE1EEEvT1_,"axG",@progbits,_ZN7rocprim17ROCPRIM_400000_NS6detail17trampoline_kernelINS0_14default_configENS1_25partition_config_selectorILNS1_17partition_subalgoE3EiNS0_10empty_typeEbEEZZNS1_14partition_implILS5_3ELb0ES3_jN6thrust23THRUST_200600_302600_NS6detail15normal_iteratorINSA_7pointerIiNSA_11hip_rocprim3tagENSA_11use_defaultESG_EEEEPS6_SJ_NS0_5tupleIJPiSJ_EEENSK_IJSJ_SJ_EEES6_PlJ7is_evenIiEEEE10hipError_tPvRmT3_T4_T5_T6_T7_T9_mT8_P12ihipStream_tbDpT10_ENKUlT_T0_E_clISt17integral_constantIbLb0EES1A_EEDaS15_S16_EUlS15_E_NS1_11comp_targetILNS1_3genE0ELNS1_11target_archE4294967295ELNS1_3gpuE0ELNS1_3repE0EEENS1_30default_config_static_selectorELNS0_4arch9wavefront6targetE1EEEvT1_,comdat
.Lfunc_end88:
	.size	_ZN7rocprim17ROCPRIM_400000_NS6detail17trampoline_kernelINS0_14default_configENS1_25partition_config_selectorILNS1_17partition_subalgoE3EiNS0_10empty_typeEbEEZZNS1_14partition_implILS5_3ELb0ES3_jN6thrust23THRUST_200600_302600_NS6detail15normal_iteratorINSA_7pointerIiNSA_11hip_rocprim3tagENSA_11use_defaultESG_EEEEPS6_SJ_NS0_5tupleIJPiSJ_EEENSK_IJSJ_SJ_EEES6_PlJ7is_evenIiEEEE10hipError_tPvRmT3_T4_T5_T6_T7_T9_mT8_P12ihipStream_tbDpT10_ENKUlT_T0_E_clISt17integral_constantIbLb0EES1A_EEDaS15_S16_EUlS15_E_NS1_11comp_targetILNS1_3genE0ELNS1_11target_archE4294967295ELNS1_3gpuE0ELNS1_3repE0EEENS1_30default_config_static_selectorELNS0_4arch9wavefront6targetE1EEEvT1_, .Lfunc_end88-_ZN7rocprim17ROCPRIM_400000_NS6detail17trampoline_kernelINS0_14default_configENS1_25partition_config_selectorILNS1_17partition_subalgoE3EiNS0_10empty_typeEbEEZZNS1_14partition_implILS5_3ELb0ES3_jN6thrust23THRUST_200600_302600_NS6detail15normal_iteratorINSA_7pointerIiNSA_11hip_rocprim3tagENSA_11use_defaultESG_EEEEPS6_SJ_NS0_5tupleIJPiSJ_EEENSK_IJSJ_SJ_EEES6_PlJ7is_evenIiEEEE10hipError_tPvRmT3_T4_T5_T6_T7_T9_mT8_P12ihipStream_tbDpT10_ENKUlT_T0_E_clISt17integral_constantIbLb0EES1A_EEDaS15_S16_EUlS15_E_NS1_11comp_targetILNS1_3genE0ELNS1_11target_archE4294967295ELNS1_3gpuE0ELNS1_3repE0EEENS1_30default_config_static_selectorELNS0_4arch9wavefront6targetE1EEEvT1_
                                        ; -- End function
	.section	.AMDGPU.csdata,"",@progbits
; Kernel info:
; codeLenInByte = 0
; NumSgprs: 4
; NumVgprs: 0
; NumAgprs: 0
; TotalNumVgprs: 0
; ScratchSize: 0
; MemoryBound: 0
; FloatMode: 240
; IeeeMode: 1
; LDSByteSize: 0 bytes/workgroup (compile time only)
; SGPRBlocks: 0
; VGPRBlocks: 0
; NumSGPRsForWavesPerEU: 4
; NumVGPRsForWavesPerEU: 1
; AccumOffset: 4
; Occupancy: 8
; WaveLimiterHint : 0
; COMPUTE_PGM_RSRC2:SCRATCH_EN: 0
; COMPUTE_PGM_RSRC2:USER_SGPR: 6
; COMPUTE_PGM_RSRC2:TRAP_HANDLER: 0
; COMPUTE_PGM_RSRC2:TGID_X_EN: 1
; COMPUTE_PGM_RSRC2:TGID_Y_EN: 0
; COMPUTE_PGM_RSRC2:TGID_Z_EN: 0
; COMPUTE_PGM_RSRC2:TIDIG_COMP_CNT: 0
; COMPUTE_PGM_RSRC3_GFX90A:ACCUM_OFFSET: 0
; COMPUTE_PGM_RSRC3_GFX90A:TG_SPLIT: 0
	.section	.text._ZN7rocprim17ROCPRIM_400000_NS6detail17trampoline_kernelINS0_14default_configENS1_25partition_config_selectorILNS1_17partition_subalgoE3EiNS0_10empty_typeEbEEZZNS1_14partition_implILS5_3ELb0ES3_jN6thrust23THRUST_200600_302600_NS6detail15normal_iteratorINSA_7pointerIiNSA_11hip_rocprim3tagENSA_11use_defaultESG_EEEEPS6_SJ_NS0_5tupleIJPiSJ_EEENSK_IJSJ_SJ_EEES6_PlJ7is_evenIiEEEE10hipError_tPvRmT3_T4_T5_T6_T7_T9_mT8_P12ihipStream_tbDpT10_ENKUlT_T0_E_clISt17integral_constantIbLb0EES1A_EEDaS15_S16_EUlS15_E_NS1_11comp_targetILNS1_3genE5ELNS1_11target_archE942ELNS1_3gpuE9ELNS1_3repE0EEENS1_30default_config_static_selectorELNS0_4arch9wavefront6targetE1EEEvT1_,"axG",@progbits,_ZN7rocprim17ROCPRIM_400000_NS6detail17trampoline_kernelINS0_14default_configENS1_25partition_config_selectorILNS1_17partition_subalgoE3EiNS0_10empty_typeEbEEZZNS1_14partition_implILS5_3ELb0ES3_jN6thrust23THRUST_200600_302600_NS6detail15normal_iteratorINSA_7pointerIiNSA_11hip_rocprim3tagENSA_11use_defaultESG_EEEEPS6_SJ_NS0_5tupleIJPiSJ_EEENSK_IJSJ_SJ_EEES6_PlJ7is_evenIiEEEE10hipError_tPvRmT3_T4_T5_T6_T7_T9_mT8_P12ihipStream_tbDpT10_ENKUlT_T0_E_clISt17integral_constantIbLb0EES1A_EEDaS15_S16_EUlS15_E_NS1_11comp_targetILNS1_3genE5ELNS1_11target_archE942ELNS1_3gpuE9ELNS1_3repE0EEENS1_30default_config_static_selectorELNS0_4arch9wavefront6targetE1EEEvT1_,comdat
	.protected	_ZN7rocprim17ROCPRIM_400000_NS6detail17trampoline_kernelINS0_14default_configENS1_25partition_config_selectorILNS1_17partition_subalgoE3EiNS0_10empty_typeEbEEZZNS1_14partition_implILS5_3ELb0ES3_jN6thrust23THRUST_200600_302600_NS6detail15normal_iteratorINSA_7pointerIiNSA_11hip_rocprim3tagENSA_11use_defaultESG_EEEEPS6_SJ_NS0_5tupleIJPiSJ_EEENSK_IJSJ_SJ_EEES6_PlJ7is_evenIiEEEE10hipError_tPvRmT3_T4_T5_T6_T7_T9_mT8_P12ihipStream_tbDpT10_ENKUlT_T0_E_clISt17integral_constantIbLb0EES1A_EEDaS15_S16_EUlS15_E_NS1_11comp_targetILNS1_3genE5ELNS1_11target_archE942ELNS1_3gpuE9ELNS1_3repE0EEENS1_30default_config_static_selectorELNS0_4arch9wavefront6targetE1EEEvT1_ ; -- Begin function _ZN7rocprim17ROCPRIM_400000_NS6detail17trampoline_kernelINS0_14default_configENS1_25partition_config_selectorILNS1_17partition_subalgoE3EiNS0_10empty_typeEbEEZZNS1_14partition_implILS5_3ELb0ES3_jN6thrust23THRUST_200600_302600_NS6detail15normal_iteratorINSA_7pointerIiNSA_11hip_rocprim3tagENSA_11use_defaultESG_EEEEPS6_SJ_NS0_5tupleIJPiSJ_EEENSK_IJSJ_SJ_EEES6_PlJ7is_evenIiEEEE10hipError_tPvRmT3_T4_T5_T6_T7_T9_mT8_P12ihipStream_tbDpT10_ENKUlT_T0_E_clISt17integral_constantIbLb0EES1A_EEDaS15_S16_EUlS15_E_NS1_11comp_targetILNS1_3genE5ELNS1_11target_archE942ELNS1_3gpuE9ELNS1_3repE0EEENS1_30default_config_static_selectorELNS0_4arch9wavefront6targetE1EEEvT1_
	.globl	_ZN7rocprim17ROCPRIM_400000_NS6detail17trampoline_kernelINS0_14default_configENS1_25partition_config_selectorILNS1_17partition_subalgoE3EiNS0_10empty_typeEbEEZZNS1_14partition_implILS5_3ELb0ES3_jN6thrust23THRUST_200600_302600_NS6detail15normal_iteratorINSA_7pointerIiNSA_11hip_rocprim3tagENSA_11use_defaultESG_EEEEPS6_SJ_NS0_5tupleIJPiSJ_EEENSK_IJSJ_SJ_EEES6_PlJ7is_evenIiEEEE10hipError_tPvRmT3_T4_T5_T6_T7_T9_mT8_P12ihipStream_tbDpT10_ENKUlT_T0_E_clISt17integral_constantIbLb0EES1A_EEDaS15_S16_EUlS15_E_NS1_11comp_targetILNS1_3genE5ELNS1_11target_archE942ELNS1_3gpuE9ELNS1_3repE0EEENS1_30default_config_static_selectorELNS0_4arch9wavefront6targetE1EEEvT1_
	.p2align	8
	.type	_ZN7rocprim17ROCPRIM_400000_NS6detail17trampoline_kernelINS0_14default_configENS1_25partition_config_selectorILNS1_17partition_subalgoE3EiNS0_10empty_typeEbEEZZNS1_14partition_implILS5_3ELb0ES3_jN6thrust23THRUST_200600_302600_NS6detail15normal_iteratorINSA_7pointerIiNSA_11hip_rocprim3tagENSA_11use_defaultESG_EEEEPS6_SJ_NS0_5tupleIJPiSJ_EEENSK_IJSJ_SJ_EEES6_PlJ7is_evenIiEEEE10hipError_tPvRmT3_T4_T5_T6_T7_T9_mT8_P12ihipStream_tbDpT10_ENKUlT_T0_E_clISt17integral_constantIbLb0EES1A_EEDaS15_S16_EUlS15_E_NS1_11comp_targetILNS1_3genE5ELNS1_11target_archE942ELNS1_3gpuE9ELNS1_3repE0EEENS1_30default_config_static_selectorELNS0_4arch9wavefront6targetE1EEEvT1_,@function
_ZN7rocprim17ROCPRIM_400000_NS6detail17trampoline_kernelINS0_14default_configENS1_25partition_config_selectorILNS1_17partition_subalgoE3EiNS0_10empty_typeEbEEZZNS1_14partition_implILS5_3ELb0ES3_jN6thrust23THRUST_200600_302600_NS6detail15normal_iteratorINSA_7pointerIiNSA_11hip_rocprim3tagENSA_11use_defaultESG_EEEEPS6_SJ_NS0_5tupleIJPiSJ_EEENSK_IJSJ_SJ_EEES6_PlJ7is_evenIiEEEE10hipError_tPvRmT3_T4_T5_T6_T7_T9_mT8_P12ihipStream_tbDpT10_ENKUlT_T0_E_clISt17integral_constantIbLb0EES1A_EEDaS15_S16_EUlS15_E_NS1_11comp_targetILNS1_3genE5ELNS1_11target_archE942ELNS1_3gpuE9ELNS1_3repE0EEENS1_30default_config_static_selectorELNS0_4arch9wavefront6targetE1EEEvT1_: ; @_ZN7rocprim17ROCPRIM_400000_NS6detail17trampoline_kernelINS0_14default_configENS1_25partition_config_selectorILNS1_17partition_subalgoE3EiNS0_10empty_typeEbEEZZNS1_14partition_implILS5_3ELb0ES3_jN6thrust23THRUST_200600_302600_NS6detail15normal_iteratorINSA_7pointerIiNSA_11hip_rocprim3tagENSA_11use_defaultESG_EEEEPS6_SJ_NS0_5tupleIJPiSJ_EEENSK_IJSJ_SJ_EEES6_PlJ7is_evenIiEEEE10hipError_tPvRmT3_T4_T5_T6_T7_T9_mT8_P12ihipStream_tbDpT10_ENKUlT_T0_E_clISt17integral_constantIbLb0EES1A_EEDaS15_S16_EUlS15_E_NS1_11comp_targetILNS1_3genE5ELNS1_11target_archE942ELNS1_3gpuE9ELNS1_3repE0EEENS1_30default_config_static_selectorELNS0_4arch9wavefront6targetE1EEEvT1_
; %bb.0:
	.section	.rodata,"a",@progbits
	.p2align	6, 0x0
	.amdhsa_kernel _ZN7rocprim17ROCPRIM_400000_NS6detail17trampoline_kernelINS0_14default_configENS1_25partition_config_selectorILNS1_17partition_subalgoE3EiNS0_10empty_typeEbEEZZNS1_14partition_implILS5_3ELb0ES3_jN6thrust23THRUST_200600_302600_NS6detail15normal_iteratorINSA_7pointerIiNSA_11hip_rocprim3tagENSA_11use_defaultESG_EEEEPS6_SJ_NS0_5tupleIJPiSJ_EEENSK_IJSJ_SJ_EEES6_PlJ7is_evenIiEEEE10hipError_tPvRmT3_T4_T5_T6_T7_T9_mT8_P12ihipStream_tbDpT10_ENKUlT_T0_E_clISt17integral_constantIbLb0EES1A_EEDaS15_S16_EUlS15_E_NS1_11comp_targetILNS1_3genE5ELNS1_11target_archE942ELNS1_3gpuE9ELNS1_3repE0EEENS1_30default_config_static_selectorELNS0_4arch9wavefront6targetE1EEEvT1_
		.amdhsa_group_segment_fixed_size 0
		.amdhsa_private_segment_fixed_size 0
		.amdhsa_kernarg_size 120
		.amdhsa_user_sgpr_count 6
		.amdhsa_user_sgpr_private_segment_buffer 1
		.amdhsa_user_sgpr_dispatch_ptr 0
		.amdhsa_user_sgpr_queue_ptr 0
		.amdhsa_user_sgpr_kernarg_segment_ptr 1
		.amdhsa_user_sgpr_dispatch_id 0
		.amdhsa_user_sgpr_flat_scratch_init 0
		.amdhsa_user_sgpr_kernarg_preload_length 0
		.amdhsa_user_sgpr_kernarg_preload_offset 0
		.amdhsa_user_sgpr_private_segment_size 0
		.amdhsa_uses_dynamic_stack 0
		.amdhsa_system_sgpr_private_segment_wavefront_offset 0
		.amdhsa_system_sgpr_workgroup_id_x 1
		.amdhsa_system_sgpr_workgroup_id_y 0
		.amdhsa_system_sgpr_workgroup_id_z 0
		.amdhsa_system_sgpr_workgroup_info 0
		.amdhsa_system_vgpr_workitem_id 0
		.amdhsa_next_free_vgpr 1
		.amdhsa_next_free_sgpr 0
		.amdhsa_accum_offset 4
		.amdhsa_reserve_vcc 0
		.amdhsa_reserve_flat_scratch 0
		.amdhsa_float_round_mode_32 0
		.amdhsa_float_round_mode_16_64 0
		.amdhsa_float_denorm_mode_32 3
		.amdhsa_float_denorm_mode_16_64 3
		.amdhsa_dx10_clamp 1
		.amdhsa_ieee_mode 1
		.amdhsa_fp16_overflow 0
		.amdhsa_tg_split 0
		.amdhsa_exception_fp_ieee_invalid_op 0
		.amdhsa_exception_fp_denorm_src 0
		.amdhsa_exception_fp_ieee_div_zero 0
		.amdhsa_exception_fp_ieee_overflow 0
		.amdhsa_exception_fp_ieee_underflow 0
		.amdhsa_exception_fp_ieee_inexact 0
		.amdhsa_exception_int_div_zero 0
	.end_amdhsa_kernel
	.section	.text._ZN7rocprim17ROCPRIM_400000_NS6detail17trampoline_kernelINS0_14default_configENS1_25partition_config_selectorILNS1_17partition_subalgoE3EiNS0_10empty_typeEbEEZZNS1_14partition_implILS5_3ELb0ES3_jN6thrust23THRUST_200600_302600_NS6detail15normal_iteratorINSA_7pointerIiNSA_11hip_rocprim3tagENSA_11use_defaultESG_EEEEPS6_SJ_NS0_5tupleIJPiSJ_EEENSK_IJSJ_SJ_EEES6_PlJ7is_evenIiEEEE10hipError_tPvRmT3_T4_T5_T6_T7_T9_mT8_P12ihipStream_tbDpT10_ENKUlT_T0_E_clISt17integral_constantIbLb0EES1A_EEDaS15_S16_EUlS15_E_NS1_11comp_targetILNS1_3genE5ELNS1_11target_archE942ELNS1_3gpuE9ELNS1_3repE0EEENS1_30default_config_static_selectorELNS0_4arch9wavefront6targetE1EEEvT1_,"axG",@progbits,_ZN7rocprim17ROCPRIM_400000_NS6detail17trampoline_kernelINS0_14default_configENS1_25partition_config_selectorILNS1_17partition_subalgoE3EiNS0_10empty_typeEbEEZZNS1_14partition_implILS5_3ELb0ES3_jN6thrust23THRUST_200600_302600_NS6detail15normal_iteratorINSA_7pointerIiNSA_11hip_rocprim3tagENSA_11use_defaultESG_EEEEPS6_SJ_NS0_5tupleIJPiSJ_EEENSK_IJSJ_SJ_EEES6_PlJ7is_evenIiEEEE10hipError_tPvRmT3_T4_T5_T6_T7_T9_mT8_P12ihipStream_tbDpT10_ENKUlT_T0_E_clISt17integral_constantIbLb0EES1A_EEDaS15_S16_EUlS15_E_NS1_11comp_targetILNS1_3genE5ELNS1_11target_archE942ELNS1_3gpuE9ELNS1_3repE0EEENS1_30default_config_static_selectorELNS0_4arch9wavefront6targetE1EEEvT1_,comdat
.Lfunc_end89:
	.size	_ZN7rocprim17ROCPRIM_400000_NS6detail17trampoline_kernelINS0_14default_configENS1_25partition_config_selectorILNS1_17partition_subalgoE3EiNS0_10empty_typeEbEEZZNS1_14partition_implILS5_3ELb0ES3_jN6thrust23THRUST_200600_302600_NS6detail15normal_iteratorINSA_7pointerIiNSA_11hip_rocprim3tagENSA_11use_defaultESG_EEEEPS6_SJ_NS0_5tupleIJPiSJ_EEENSK_IJSJ_SJ_EEES6_PlJ7is_evenIiEEEE10hipError_tPvRmT3_T4_T5_T6_T7_T9_mT8_P12ihipStream_tbDpT10_ENKUlT_T0_E_clISt17integral_constantIbLb0EES1A_EEDaS15_S16_EUlS15_E_NS1_11comp_targetILNS1_3genE5ELNS1_11target_archE942ELNS1_3gpuE9ELNS1_3repE0EEENS1_30default_config_static_selectorELNS0_4arch9wavefront6targetE1EEEvT1_, .Lfunc_end89-_ZN7rocprim17ROCPRIM_400000_NS6detail17trampoline_kernelINS0_14default_configENS1_25partition_config_selectorILNS1_17partition_subalgoE3EiNS0_10empty_typeEbEEZZNS1_14partition_implILS5_3ELb0ES3_jN6thrust23THRUST_200600_302600_NS6detail15normal_iteratorINSA_7pointerIiNSA_11hip_rocprim3tagENSA_11use_defaultESG_EEEEPS6_SJ_NS0_5tupleIJPiSJ_EEENSK_IJSJ_SJ_EEES6_PlJ7is_evenIiEEEE10hipError_tPvRmT3_T4_T5_T6_T7_T9_mT8_P12ihipStream_tbDpT10_ENKUlT_T0_E_clISt17integral_constantIbLb0EES1A_EEDaS15_S16_EUlS15_E_NS1_11comp_targetILNS1_3genE5ELNS1_11target_archE942ELNS1_3gpuE9ELNS1_3repE0EEENS1_30default_config_static_selectorELNS0_4arch9wavefront6targetE1EEEvT1_
                                        ; -- End function
	.section	.AMDGPU.csdata,"",@progbits
; Kernel info:
; codeLenInByte = 0
; NumSgprs: 4
; NumVgprs: 0
; NumAgprs: 0
; TotalNumVgprs: 0
; ScratchSize: 0
; MemoryBound: 0
; FloatMode: 240
; IeeeMode: 1
; LDSByteSize: 0 bytes/workgroup (compile time only)
; SGPRBlocks: 0
; VGPRBlocks: 0
; NumSGPRsForWavesPerEU: 4
; NumVGPRsForWavesPerEU: 1
; AccumOffset: 4
; Occupancy: 8
; WaveLimiterHint : 0
; COMPUTE_PGM_RSRC2:SCRATCH_EN: 0
; COMPUTE_PGM_RSRC2:USER_SGPR: 6
; COMPUTE_PGM_RSRC2:TRAP_HANDLER: 0
; COMPUTE_PGM_RSRC2:TGID_X_EN: 1
; COMPUTE_PGM_RSRC2:TGID_Y_EN: 0
; COMPUTE_PGM_RSRC2:TGID_Z_EN: 0
; COMPUTE_PGM_RSRC2:TIDIG_COMP_CNT: 0
; COMPUTE_PGM_RSRC3_GFX90A:ACCUM_OFFSET: 0
; COMPUTE_PGM_RSRC3_GFX90A:TG_SPLIT: 0
	.section	.text._ZN7rocprim17ROCPRIM_400000_NS6detail17trampoline_kernelINS0_14default_configENS1_25partition_config_selectorILNS1_17partition_subalgoE3EiNS0_10empty_typeEbEEZZNS1_14partition_implILS5_3ELb0ES3_jN6thrust23THRUST_200600_302600_NS6detail15normal_iteratorINSA_7pointerIiNSA_11hip_rocprim3tagENSA_11use_defaultESG_EEEEPS6_SJ_NS0_5tupleIJPiSJ_EEENSK_IJSJ_SJ_EEES6_PlJ7is_evenIiEEEE10hipError_tPvRmT3_T4_T5_T6_T7_T9_mT8_P12ihipStream_tbDpT10_ENKUlT_T0_E_clISt17integral_constantIbLb0EES1A_EEDaS15_S16_EUlS15_E_NS1_11comp_targetILNS1_3genE4ELNS1_11target_archE910ELNS1_3gpuE8ELNS1_3repE0EEENS1_30default_config_static_selectorELNS0_4arch9wavefront6targetE1EEEvT1_,"axG",@progbits,_ZN7rocprim17ROCPRIM_400000_NS6detail17trampoline_kernelINS0_14default_configENS1_25partition_config_selectorILNS1_17partition_subalgoE3EiNS0_10empty_typeEbEEZZNS1_14partition_implILS5_3ELb0ES3_jN6thrust23THRUST_200600_302600_NS6detail15normal_iteratorINSA_7pointerIiNSA_11hip_rocprim3tagENSA_11use_defaultESG_EEEEPS6_SJ_NS0_5tupleIJPiSJ_EEENSK_IJSJ_SJ_EEES6_PlJ7is_evenIiEEEE10hipError_tPvRmT3_T4_T5_T6_T7_T9_mT8_P12ihipStream_tbDpT10_ENKUlT_T0_E_clISt17integral_constantIbLb0EES1A_EEDaS15_S16_EUlS15_E_NS1_11comp_targetILNS1_3genE4ELNS1_11target_archE910ELNS1_3gpuE8ELNS1_3repE0EEENS1_30default_config_static_selectorELNS0_4arch9wavefront6targetE1EEEvT1_,comdat
	.protected	_ZN7rocprim17ROCPRIM_400000_NS6detail17trampoline_kernelINS0_14default_configENS1_25partition_config_selectorILNS1_17partition_subalgoE3EiNS0_10empty_typeEbEEZZNS1_14partition_implILS5_3ELb0ES3_jN6thrust23THRUST_200600_302600_NS6detail15normal_iteratorINSA_7pointerIiNSA_11hip_rocprim3tagENSA_11use_defaultESG_EEEEPS6_SJ_NS0_5tupleIJPiSJ_EEENSK_IJSJ_SJ_EEES6_PlJ7is_evenIiEEEE10hipError_tPvRmT3_T4_T5_T6_T7_T9_mT8_P12ihipStream_tbDpT10_ENKUlT_T0_E_clISt17integral_constantIbLb0EES1A_EEDaS15_S16_EUlS15_E_NS1_11comp_targetILNS1_3genE4ELNS1_11target_archE910ELNS1_3gpuE8ELNS1_3repE0EEENS1_30default_config_static_selectorELNS0_4arch9wavefront6targetE1EEEvT1_ ; -- Begin function _ZN7rocprim17ROCPRIM_400000_NS6detail17trampoline_kernelINS0_14default_configENS1_25partition_config_selectorILNS1_17partition_subalgoE3EiNS0_10empty_typeEbEEZZNS1_14partition_implILS5_3ELb0ES3_jN6thrust23THRUST_200600_302600_NS6detail15normal_iteratorINSA_7pointerIiNSA_11hip_rocprim3tagENSA_11use_defaultESG_EEEEPS6_SJ_NS0_5tupleIJPiSJ_EEENSK_IJSJ_SJ_EEES6_PlJ7is_evenIiEEEE10hipError_tPvRmT3_T4_T5_T6_T7_T9_mT8_P12ihipStream_tbDpT10_ENKUlT_T0_E_clISt17integral_constantIbLb0EES1A_EEDaS15_S16_EUlS15_E_NS1_11comp_targetILNS1_3genE4ELNS1_11target_archE910ELNS1_3gpuE8ELNS1_3repE0EEENS1_30default_config_static_selectorELNS0_4arch9wavefront6targetE1EEEvT1_
	.globl	_ZN7rocprim17ROCPRIM_400000_NS6detail17trampoline_kernelINS0_14default_configENS1_25partition_config_selectorILNS1_17partition_subalgoE3EiNS0_10empty_typeEbEEZZNS1_14partition_implILS5_3ELb0ES3_jN6thrust23THRUST_200600_302600_NS6detail15normal_iteratorINSA_7pointerIiNSA_11hip_rocprim3tagENSA_11use_defaultESG_EEEEPS6_SJ_NS0_5tupleIJPiSJ_EEENSK_IJSJ_SJ_EEES6_PlJ7is_evenIiEEEE10hipError_tPvRmT3_T4_T5_T6_T7_T9_mT8_P12ihipStream_tbDpT10_ENKUlT_T0_E_clISt17integral_constantIbLb0EES1A_EEDaS15_S16_EUlS15_E_NS1_11comp_targetILNS1_3genE4ELNS1_11target_archE910ELNS1_3gpuE8ELNS1_3repE0EEENS1_30default_config_static_selectorELNS0_4arch9wavefront6targetE1EEEvT1_
	.p2align	8
	.type	_ZN7rocprim17ROCPRIM_400000_NS6detail17trampoline_kernelINS0_14default_configENS1_25partition_config_selectorILNS1_17partition_subalgoE3EiNS0_10empty_typeEbEEZZNS1_14partition_implILS5_3ELb0ES3_jN6thrust23THRUST_200600_302600_NS6detail15normal_iteratorINSA_7pointerIiNSA_11hip_rocprim3tagENSA_11use_defaultESG_EEEEPS6_SJ_NS0_5tupleIJPiSJ_EEENSK_IJSJ_SJ_EEES6_PlJ7is_evenIiEEEE10hipError_tPvRmT3_T4_T5_T6_T7_T9_mT8_P12ihipStream_tbDpT10_ENKUlT_T0_E_clISt17integral_constantIbLb0EES1A_EEDaS15_S16_EUlS15_E_NS1_11comp_targetILNS1_3genE4ELNS1_11target_archE910ELNS1_3gpuE8ELNS1_3repE0EEENS1_30default_config_static_selectorELNS0_4arch9wavefront6targetE1EEEvT1_,@function
_ZN7rocprim17ROCPRIM_400000_NS6detail17trampoline_kernelINS0_14default_configENS1_25partition_config_selectorILNS1_17partition_subalgoE3EiNS0_10empty_typeEbEEZZNS1_14partition_implILS5_3ELb0ES3_jN6thrust23THRUST_200600_302600_NS6detail15normal_iteratorINSA_7pointerIiNSA_11hip_rocprim3tagENSA_11use_defaultESG_EEEEPS6_SJ_NS0_5tupleIJPiSJ_EEENSK_IJSJ_SJ_EEES6_PlJ7is_evenIiEEEE10hipError_tPvRmT3_T4_T5_T6_T7_T9_mT8_P12ihipStream_tbDpT10_ENKUlT_T0_E_clISt17integral_constantIbLb0EES1A_EEDaS15_S16_EUlS15_E_NS1_11comp_targetILNS1_3genE4ELNS1_11target_archE910ELNS1_3gpuE8ELNS1_3repE0EEENS1_30default_config_static_selectorELNS0_4arch9wavefront6targetE1EEEvT1_: ; @_ZN7rocprim17ROCPRIM_400000_NS6detail17trampoline_kernelINS0_14default_configENS1_25partition_config_selectorILNS1_17partition_subalgoE3EiNS0_10empty_typeEbEEZZNS1_14partition_implILS5_3ELb0ES3_jN6thrust23THRUST_200600_302600_NS6detail15normal_iteratorINSA_7pointerIiNSA_11hip_rocprim3tagENSA_11use_defaultESG_EEEEPS6_SJ_NS0_5tupleIJPiSJ_EEENSK_IJSJ_SJ_EEES6_PlJ7is_evenIiEEEE10hipError_tPvRmT3_T4_T5_T6_T7_T9_mT8_P12ihipStream_tbDpT10_ENKUlT_T0_E_clISt17integral_constantIbLb0EES1A_EEDaS15_S16_EUlS15_E_NS1_11comp_targetILNS1_3genE4ELNS1_11target_archE910ELNS1_3gpuE8ELNS1_3repE0EEENS1_30default_config_static_selectorELNS0_4arch9wavefront6targetE1EEEvT1_
; %bb.0:
	s_load_dwordx4 s[20:23], s[4:5], 0x8
	s_load_dwordx4 s[24:27], s[4:5], 0x48
	s_load_dwordx2 s[28:29], s[4:5], 0x58
	s_load_dword s2, s[4:5], 0x70
	s_mul_i32 s30, s6, 0xa00
	s_waitcnt lgkmcnt(0)
	s_lshl_b64 s[0:1], s[22:23], 2
	s_add_u32 s7, s20, s0
	s_addc_u32 s8, s21, s1
	s_mul_i32 s0, s2, 0xa00
	s_add_i32 s1, s0, s22
	s_sub_i32 s33, s28, s1
	s_add_i32 s3, s2, -1
	s_addk_i32 s33, 0xa00
	s_add_u32 s0, s22, s0
	s_addc_u32 s1, s23, 0
	s_cmp_eq_u32 s6, s3
	s_load_dwordx2 s[34:35], s[26:27], 0x0
	v_pk_mov_b32 v[2:3], s[28:29], s[28:29] op_sel:[0,1]
	s_cselect_b64 s[26:27], -1, 0
	s_cmp_lg_u32 s6, s3
	s_mov_b32 s31, 0
	v_cmp_lt_u64_e32 vcc, s[0:1], v[2:3]
	s_cselect_b64 s[0:1], -1, 0
	s_or_b64 s[2:3], s[0:1], vcc
	s_lshl_b64 s[0:1], s[30:31], 2
	s_add_u32 s7, s7, s0
	s_addc_u32 s10, s8, s1
	s_mov_b64 s[0:1], -1
	s_and_b64 vcc, exec, s[2:3]
	v_lshlrev_b32_e32 v1, 2, v0
	s_cbranch_vccz .LBB90_2
; %bb.1:
	v_mov_b32_e32 v3, s10
	v_add_co_u32_e32 v2, vcc, s7, v1
	v_addc_co_u32_e32 v3, vcc, 0, v3, vcc
	v_add_co_u32_e32 v4, vcc, 0x1000, v2
	v_addc_co_u32_e32 v5, vcc, 0, v3, vcc
	flat_load_dword v6, v[2:3]
	flat_load_dword v7, v[2:3] offset:1024
	flat_load_dword v8, v[2:3] offset:2048
	flat_load_dword v9, v[2:3] offset:3072
	flat_load_dword v10, v[4:5]
	flat_load_dword v11, v[4:5] offset:1024
	flat_load_dword v12, v[4:5] offset:2048
	;; [unrolled: 1-line block ×3, first 2 shown]
	v_add_co_u32_e32 v2, vcc, 0x2000, v2
	v_addc_co_u32_e32 v3, vcc, 0, v3, vcc
	flat_load_dword v4, v[2:3]
	flat_load_dword v5, v[2:3] offset:1024
	s_mov_b64 s[0:1], 0
	s_waitcnt vmcnt(0) lgkmcnt(0)
	ds_write2st64_b32 v1, v6, v7 offset1:4
	ds_write2st64_b32 v1, v8, v9 offset0:8 offset1:12
	ds_write2st64_b32 v1, v10, v11 offset0:16 offset1:20
	;; [unrolled: 1-line block ×4, first 2 shown]
	s_waitcnt lgkmcnt(0)
	s_barrier
.LBB90_2:
	s_andn2_b64 vcc, exec, s[0:1]
	v_cmp_gt_u32_e64 s[0:1], s33, v0
	s_cbranch_vccnz .LBB90_24
; %bb.3:
                                        ; implicit-def: $vgpr2_vgpr3_vgpr4_vgpr5_vgpr6_vgpr7_vgpr8_vgpr9_vgpr10_vgpr11
	s_and_saveexec_b64 s[8:9], s[0:1]
	s_cbranch_execz .LBB90_5
; %bb.4:
	v_mov_b32_e32 v3, s10
	v_add_co_u32_e32 v2, vcc, s7, v1
	v_addc_co_u32_e32 v3, vcc, 0, v3, vcc
	flat_load_dword v2, v[2:3]
.LBB90_5:
	s_or_b64 exec, exec, s[8:9]
	v_or_b32_e32 v12, 0x100, v0
	v_cmp_gt_u32_e32 vcc, s33, v12
	s_and_saveexec_b64 s[0:1], vcc
	s_cbranch_execz .LBB90_7
; %bb.6:
	v_mov_b32_e32 v3, s10
	v_add_co_u32_e32 v12, vcc, s7, v1
	v_addc_co_u32_e32 v13, vcc, 0, v3, vcc
	flat_load_dword v3, v[12:13] offset:1024
.LBB90_7:
	s_or_b64 exec, exec, s[0:1]
	v_or_b32_e32 v12, 0x200, v0
	v_cmp_gt_u32_e32 vcc, s33, v12
	s_and_saveexec_b64 s[0:1], vcc
	s_cbranch_execz .LBB90_9
; %bb.8:
	v_mov_b32_e32 v4, s10
	v_add_co_u32_e32 v12, vcc, s7, v1
	v_addc_co_u32_e32 v13, vcc, 0, v4, vcc
	flat_load_dword v4, v[12:13] offset:2048
.LBB90_9:
	;; [unrolled: 11-line block ×3, first 2 shown]
	s_or_b64 exec, exec, s[0:1]
	v_or_b32_e32 v12, 0x400, v0
	v_cmp_gt_u32_e32 vcc, s33, v12
	s_and_saveexec_b64 s[0:1], vcc
	s_cbranch_execz .LBB90_13
; %bb.12:
	v_lshlrev_b32_e32 v6, 2, v12
	v_mov_b32_e32 v13, s10
	v_add_co_u32_e32 v12, vcc, s7, v6
	v_addc_co_u32_e32 v13, vcc, 0, v13, vcc
	flat_load_dword v6, v[12:13]
.LBB90_13:
	s_or_b64 exec, exec, s[0:1]
	v_or_b32_e32 v12, 0x500, v0
	v_cmp_gt_u32_e32 vcc, s33, v12
	s_and_saveexec_b64 s[0:1], vcc
	s_cbranch_execz .LBB90_15
; %bb.14:
	v_lshlrev_b32_e32 v7, 2, v12
	v_mov_b32_e32 v13, s10
	v_add_co_u32_e32 v12, vcc, s7, v7
	v_addc_co_u32_e32 v13, vcc, 0, v13, vcc
	flat_load_dword v7, v[12:13]
.LBB90_15:
	;; [unrolled: 12-line block ×6, first 2 shown]
	s_or_b64 exec, exec, s[0:1]
	s_waitcnt vmcnt(0) lgkmcnt(0)
	ds_write2st64_b32 v1, v2, v3 offset1:4
	ds_write2st64_b32 v1, v4, v5 offset0:8 offset1:12
	ds_write2st64_b32 v1, v6, v7 offset0:16 offset1:20
	;; [unrolled: 1-line block ×4, first 2 shown]
	s_waitcnt lgkmcnt(0)
	s_barrier
.LBB90_24:
	v_mul_u32_u24_e32 v23, 10, v0
	v_lshlrev_b32_e32 v29, 2, v23
	s_waitcnt lgkmcnt(0)
	ds_read2_b64 v[6:9], v29 offset1:1
	ds_read2_b64 v[2:5], v29 offset0:2 offset1:3
	ds_read_b64 v[12:13], v29 offset:32
	v_cndmask_b32_e64 v10, 0, 1, s[2:3]
	v_cmp_ne_u32_e64 s[0:1], 1, v10
	s_andn2_b64 vcc, exec, s[2:3]
	s_waitcnt lgkmcnt(2)
	v_xor_b32_e32 v21, -1, v6
	v_xor_b32_e32 v20, -1, v7
	;; [unrolled: 1-line block ×4, first 2 shown]
	s_waitcnt lgkmcnt(1)
	v_xor_b32_e32 v17, -1, v2
	v_xor_b32_e32 v16, -1, v3
	;; [unrolled: 1-line block ×4, first 2 shown]
	s_waitcnt lgkmcnt(0)
	v_xor_b32_e32 v11, -1, v12
	v_xor_b32_e32 v10, -1, v13
	s_barrier
	s_cbranch_vccnz .LBB90_26
; %bb.25:
	v_mov_b32_e32 v22, 1
	v_and_b32_e32 v25, 1, v21
	v_and_b32_sdwa v26, v20, v22 dst_sel:BYTE_1 dst_unused:UNUSED_PAD src0_sel:DWORD src1_sel:DWORD
	v_and_b32_e32 v27, 1, v19
	v_and_b32_sdwa v28, v18, v22 dst_sel:BYTE_1 dst_unused:UNUSED_PAD src0_sel:DWORD src1_sel:DWORD
	;; [unrolled: 2-line block ×4, first 2 shown]
	v_or_b32_e32 v25, v25, v26
	v_or_b32_sdwa v26, v27, v28 dst_sel:WORD_1 dst_unused:UNUSED_PAD src0_sel:DWORD src1_sel:DWORD
	v_or_b32_sdwa v26, v25, v26 dst_sel:DWORD dst_unused:UNUSED_PAD src0_sel:WORD_0 src1_sel:DWORD
	v_or_b32_e32 v25, v30, v31
	v_or_b32_sdwa v27, v32, v33 dst_sel:WORD_1 dst_unused:UNUSED_PAD src0_sel:DWORD src1_sel:DWORD
	v_and_b32_e32 v24, 1, v11
	v_and_b32_e32 v22, 1, v10
	v_or_b32_sdwa v25, v25, v27 dst_sel:DWORD dst_unused:UNUSED_PAD src0_sel:WORD_0 src1_sel:DWORD
	s_load_dwordx2 s[36:37], s[4:5], 0x68
	s_cbranch_execz .LBB90_27
	s_branch .LBB90_28
.LBB90_26:
                                        ; implicit-def: $vgpr22
                                        ; implicit-def: $vgpr24
                                        ; implicit-def: $vgpr25
                                        ; implicit-def: $vgpr26
	s_load_dwordx2 s[36:37], s[4:5], 0x68
.LBB90_27:
	v_or_b32_e32 v32, 1, v23
	v_cmp_gt_u32_e32 vcc, s33, v23
	v_add_u32_e32 v22, 2, v23
	v_cndmask_b32_e64 v33, 0, 1, vcc
	v_cmp_gt_u32_e32 vcc, s33, v32
	v_add_u32_e32 v31, 3, v23
	v_cndmask_b32_e64 v32, 0, 1, vcc
	;; [unrolled: 3-line block ×3, first 2 shown]
	v_cmp_gt_u32_e32 vcc, s33, v31
	v_add_u32_e32 v30, 5, v23
	v_and_b32_e32 v19, v22, v19
	v_cndmask_b32_e64 v22, 0, 1, vcc
	v_cmp_gt_u32_e32 vcc, s33, v24
	v_add_u32_e32 v25, 6, v23
	v_and_b32_sdwa v18, v22, v18 dst_sel:BYTE_1 dst_unused:UNUSED_PAD src0_sel:DWORD src1_sel:DWORD
	v_cndmask_b32_e64 v22, 0, 1, vcc
	v_cmp_gt_u32_e32 vcc, s33, v30
	v_add_u32_e32 v28, 7, v23
	v_and_b32_e32 v17, v22, v17
	v_cndmask_b32_e64 v22, 0, 1, vcc
	v_cmp_gt_u32_e32 vcc, s33, v25
	v_add_u32_e32 v26, 8, v23
	v_and_b32_sdwa v16, v22, v16 dst_sel:BYTE_1 dst_unused:UNUSED_PAD src0_sel:DWORD src1_sel:DWORD
	v_cndmask_b32_e64 v22, 0, 1, vcc
	v_cmp_gt_u32_e32 vcc, s33, v28
	v_add_u32_e32 v27, 9, v23
	v_and_b32_e32 v15, v22, v15
	v_cndmask_b32_e64 v22, 0, 1, vcc
	v_cmp_gt_u32_e32 vcc, s33, v26
	v_and_b32_sdwa v14, v22, v14 dst_sel:BYTE_1 dst_unused:UNUSED_PAD src0_sel:DWORD src1_sel:DWORD
	v_cndmask_b32_e64 v22, 0, 1, vcc
	v_cmp_gt_u32_e32 vcc, s33, v27
	v_and_b32_e32 v21, v33, v21
	v_and_b32_sdwa v20, v32, v20 dst_sel:BYTE_1 dst_unused:UNUSED_PAD src0_sel:DWORD src1_sel:DWORD
	v_and_b32_e32 v24, v22, v11
	v_cndmask_b32_e64 v11, 0, 1, vcc
	v_and_b32_e32 v22, v11, v10
	v_or_b32_e32 v10, v21, v20
	v_or_b32_sdwa v11, v19, v18 dst_sel:WORD_1 dst_unused:UNUSED_PAD src0_sel:DWORD src1_sel:DWORD
	v_or_b32_sdwa v26, v10, v11 dst_sel:DWORD dst_unused:UNUSED_PAD src0_sel:WORD_0 src1_sel:DWORD
	v_or_b32_e32 v10, v17, v16
	v_or_b32_sdwa v11, v15, v14 dst_sel:WORD_1 dst_unused:UNUSED_PAD src0_sel:DWORD src1_sel:DWORD
	v_or_b32_sdwa v25, v10, v11 dst_sel:DWORD dst_unused:UNUSED_PAD src0_sel:WORD_0 src1_sel:DWORD
.LBB90_28:
	v_bfe_u32 v30, v26, 16, 8
	v_lshrrev_b32_e32 v28, 24, v26
	v_add_u32_sdwa v11, v26, v26 dst_sel:DWORD dst_unused:UNUSED_PAD src0_sel:BYTE_1 src1_sel:BYTE_0
	v_and_b32_e32 v31, 0xff, v25
	v_bfe_u32 v32, v25, 8, 8
	v_add3_u32 v11, v11, v30, v28
	v_bfe_u32 v33, v25, 16, 8
	v_lshrrev_b32_e32 v27, 24, v25
	v_add3_u32 v11, v11, v31, v32
	v_and_b32_e32 v34, 0xff, v24
	v_and_b32_e32 v10, 0xff, v22
	v_add3_u32 v11, v11, v33, v27
	v_add3_u32 v37, v11, v34, v10
	v_mbcnt_lo_u32_b32 v10, -1, 0
	v_mbcnt_hi_u32_b32 v35, -1, v10
	v_and_b32_e32 v10, 15, v35
	v_cmp_eq_u32_e64 s[16:17], 0, v10
	v_cmp_lt_u32_e64 s[14:15], 1, v10
	v_cmp_lt_u32_e64 s[12:13], 3, v10
	;; [unrolled: 1-line block ×3, first 2 shown]
	v_and_b32_e32 v10, 16, v35
	v_cmp_eq_u32_e64 s[8:9], 0, v10
	v_or_b32_e32 v10, 63, v0
	s_cmp_lg_u32 s6, 0
	v_cmp_lt_u32_e64 s[2:3], 31, v35
	v_lshrrev_b32_e32 v36, 6, v0
	v_cmp_eq_u32_e64 s[20:21], v10, v0
	s_cbranch_scc0 .LBB90_55
; %bb.29:
	v_mov_b32_dpp v10, v37 row_shr:1 row_mask:0xf bank_mask:0xf
	v_cndmask_b32_e64 v10, v10, 0, s[16:17]
	v_add_u32_e32 v10, v10, v37
	s_nop 1
	v_mov_b32_dpp v11, v10 row_shr:2 row_mask:0xf bank_mask:0xf
	v_cndmask_b32_e64 v11, 0, v11, s[14:15]
	v_add_u32_e32 v10, v10, v11
	s_nop 1
	;; [unrolled: 4-line block ×4, first 2 shown]
	v_mov_b32_dpp v11, v10 row_bcast:15 row_mask:0xf bank_mask:0xf
	v_cndmask_b32_e64 v11, v11, 0, s[8:9]
	v_add_u32_e32 v10, v10, v11
	s_nop 1
	v_mov_b32_dpp v11, v10 row_bcast:31 row_mask:0xf bank_mask:0xf
	v_cndmask_b32_e64 v11, 0, v11, s[2:3]
	v_add_u32_e32 v10, v10, v11
	s_and_saveexec_b64 s[18:19], s[20:21]
	s_cbranch_execz .LBB90_31
; %bb.30:
	v_lshlrev_b32_e32 v11, 2, v36
	ds_write_b32 v11, v10
.LBB90_31:
	s_or_b64 exec, exec, s[18:19]
	v_cmp_gt_u32_e32 vcc, 4, v0
	s_waitcnt lgkmcnt(0)
	s_barrier
	s_and_saveexec_b64 s[18:19], vcc
	s_cbranch_execz .LBB90_33
; %bb.32:
	ds_read_b32 v11, v1
	v_and_b32_e32 v14, 3, v35
	v_cmp_ne_u32_e32 vcc, 0, v14
	s_waitcnt lgkmcnt(0)
	v_mov_b32_dpp v15, v11 row_shr:1 row_mask:0xf bank_mask:0xf
	v_cndmask_b32_e32 v15, 0, v15, vcc
	v_add_u32_e32 v11, v15, v11
	v_cmp_lt_u32_e32 vcc, 1, v14
	s_nop 0
	v_mov_b32_dpp v15, v11 row_shr:2 row_mask:0xf bank_mask:0xf
	v_cndmask_b32_e32 v14, 0, v15, vcc
	v_add_u32_e32 v11, v11, v14
	ds_write_b32 v1, v11
.LBB90_33:
	s_or_b64 exec, exec, s[18:19]
	v_cmp_gt_u32_e32 vcc, 64, v0
	v_cmp_lt_u32_e64 s[18:19], 63, v0
	s_waitcnt lgkmcnt(0)
	s_barrier
	s_waitcnt lgkmcnt(0)
                                        ; implicit-def: $vgpr38
	s_and_saveexec_b64 s[38:39], s[18:19]
	s_cbranch_execz .LBB90_35
; %bb.34:
	v_lshl_add_u32 v11, v36, 2, -4
	ds_read_b32 v38, v11
	s_waitcnt lgkmcnt(0)
	v_add_u32_e32 v10, v38, v10
.LBB90_35:
	s_or_b64 exec, exec, s[38:39]
	v_add_u32_e32 v11, -1, v35
	v_and_b32_e32 v14, 64, v35
	v_cmp_lt_i32_e64 s[18:19], v11, v14
	v_cndmask_b32_e64 v11, v11, v35, s[18:19]
	v_lshlrev_b32_e32 v11, 2, v11
	ds_bpermute_b32 v39, v11, v10
	v_cmp_eq_u32_e64 s[18:19], 0, v35
	s_and_saveexec_b64 s[38:39], vcc
	s_cbranch_execz .LBB90_54
; %bb.36:
	v_mov_b32_e32 v19, 0
	ds_read_b32 v10, v19 offset:12
	s_and_saveexec_b64 s[40:41], s[18:19]
	s_cbranch_execz .LBB90_38
; %bb.37:
	s_add_i32 s42, s6, 64
	s_mov_b32 s43, 0
	s_lshl_b64 s[42:43], s[42:43], 3
	s_add_u32 s42, s36, s42
	v_mov_b32_e32 v11, 1
	s_addc_u32 s43, s37, s43
	s_waitcnt lgkmcnt(0)
	global_store_dwordx2 v19, v[10:11], s[42:43]
.LBB90_38:
	s_or_b64 exec, exec, s[40:41]
	v_xad_u32 v14, v35, -1, s6
	v_add_u32_e32 v18, 64, v14
	v_lshlrev_b64 v[16:17], 3, v[18:19]
	v_mov_b32_e32 v11, s37
	v_add_co_u32_e32 v20, vcc, s36, v16
	v_addc_co_u32_e32 v21, vcc, v11, v17, vcc
	global_load_dwordx2 v[16:17], v[20:21], off glc
	s_waitcnt vmcnt(0)
	v_cmp_eq_u16_sdwa s[42:43], v17, v19 src0_sel:BYTE_0 src1_sel:DWORD
	s_and_saveexec_b64 s[40:41], s[42:43]
	s_cbranch_execz .LBB90_42
; %bb.39:
	s_mov_b64 s[42:43], 0
	v_mov_b32_e32 v11, 0
.LBB90_40:                              ; =>This Inner Loop Header: Depth=1
	global_load_dwordx2 v[16:17], v[20:21], off glc
	s_waitcnt vmcnt(0)
	v_cmp_ne_u16_sdwa s[44:45], v17, v11 src0_sel:BYTE_0 src1_sel:DWORD
	s_or_b64 s[42:43], s[44:45], s[42:43]
	s_andn2_b64 exec, exec, s[42:43]
	s_cbranch_execnz .LBB90_40
; %bb.41:
	s_or_b64 exec, exec, s[42:43]
.LBB90_42:
	s_or_b64 exec, exec, s[40:41]
	v_and_b32_e32 v41, 63, v35
	v_mov_b32_e32 v40, 2
	v_cmp_ne_u32_e32 vcc, 63, v41
	v_cmp_eq_u16_sdwa s[40:41], v17, v40 src0_sel:BYTE_0 src1_sel:DWORD
	v_lshlrev_b64 v[18:19], v35, -1
	v_addc_co_u32_e32 v20, vcc, 0, v35, vcc
	v_and_b32_e32 v11, s41, v19
	v_lshlrev_b32_e32 v42, 2, v20
	v_or_b32_e32 v11, 0x80000000, v11
	ds_bpermute_b32 v20, v42, v16
	v_and_b32_e32 v15, s40, v18
	v_ffbl_b32_e32 v11, v11
	v_add_u32_e32 v11, 32, v11
	v_ffbl_b32_e32 v15, v15
	v_min_u32_e32 v11, v15, v11
	v_cmp_lt_u32_e32 vcc, v41, v11
	s_waitcnt lgkmcnt(0)
	v_cndmask_b32_e32 v15, 0, v20, vcc
	v_cmp_gt_u32_e32 vcc, 62, v41
	v_add_u32_e32 v15, v15, v16
	v_cndmask_b32_e64 v16, 0, 1, vcc
	v_lshlrev_b32_e32 v16, 1, v16
	v_add_lshl_u32 v43, v16, v35, 2
	ds_bpermute_b32 v16, v43, v15
	v_add_u32_e32 v44, 2, v41
	v_cmp_le_u32_e32 vcc, v44, v11
	v_add_u32_e32 v46, 4, v41
	v_add_u32_e32 v48, 8, v41
	s_waitcnt lgkmcnt(0)
	v_cndmask_b32_e32 v16, 0, v16, vcc
	v_cmp_gt_u32_e32 vcc, 60, v41
	v_add_u32_e32 v15, v15, v16
	v_cndmask_b32_e64 v16, 0, 1, vcc
	v_lshlrev_b32_e32 v16, 2, v16
	v_add_lshl_u32 v45, v16, v35, 2
	ds_bpermute_b32 v16, v45, v15
	v_cmp_le_u32_e32 vcc, v46, v11
	v_add_u32_e32 v50, 16, v41
	v_add_u32_e32 v52, 32, v41
	s_waitcnt lgkmcnt(0)
	v_cndmask_b32_e32 v16, 0, v16, vcc
	v_cmp_gt_u32_e32 vcc, 56, v41
	v_add_u32_e32 v15, v15, v16
	v_cndmask_b32_e64 v16, 0, 1, vcc
	v_lshlrev_b32_e32 v16, 3, v16
	v_add_lshl_u32 v47, v16, v35, 2
	ds_bpermute_b32 v16, v47, v15
	v_cmp_le_u32_e32 vcc, v48, v11
	s_waitcnt lgkmcnt(0)
	v_cndmask_b32_e32 v16, 0, v16, vcc
	v_cmp_gt_u32_e32 vcc, 48, v41
	v_add_u32_e32 v15, v15, v16
	v_cndmask_b32_e64 v16, 0, 1, vcc
	v_lshlrev_b32_e32 v16, 4, v16
	v_add_lshl_u32 v49, v16, v35, 2
	ds_bpermute_b32 v16, v49, v15
	v_cmp_le_u32_e32 vcc, v50, v11
	;; [unrolled: 9-line block ×3, first 2 shown]
	s_waitcnt lgkmcnt(0)
	v_cndmask_b32_e32 v11, 0, v16, vcc
	v_add_u32_e32 v16, v15, v11
	v_mov_b32_e32 v15, 0
	s_branch .LBB90_44
.LBB90_43:                              ;   in Loop: Header=BB90_44 Depth=1
	s_or_b64 exec, exec, s[40:41]
	v_cmp_eq_u16_sdwa s[40:41], v17, v40 src0_sel:BYTE_0 src1_sel:DWORD
	v_and_b32_e32 v20, s41, v19
	v_or_b32_e32 v20, 0x80000000, v20
	ds_bpermute_b32 v53, v42, v16
	v_and_b32_e32 v21, s40, v18
	v_ffbl_b32_e32 v20, v20
	v_add_u32_e32 v20, 32, v20
	v_ffbl_b32_e32 v21, v21
	v_min_u32_e32 v20, v21, v20
	v_cmp_lt_u32_e32 vcc, v41, v20
	s_waitcnt lgkmcnt(0)
	v_cndmask_b32_e32 v21, 0, v53, vcc
	v_add_u32_e32 v16, v21, v16
	ds_bpermute_b32 v21, v43, v16
	v_cmp_le_u32_e32 vcc, v44, v20
	v_subrev_u32_e32 v14, 64, v14
	s_waitcnt lgkmcnt(0)
	v_cndmask_b32_e32 v21, 0, v21, vcc
	v_add_u32_e32 v16, v16, v21
	ds_bpermute_b32 v21, v45, v16
	v_cmp_le_u32_e32 vcc, v46, v20
	s_waitcnt lgkmcnt(0)
	v_cndmask_b32_e32 v21, 0, v21, vcc
	v_add_u32_e32 v16, v16, v21
	ds_bpermute_b32 v21, v47, v16
	v_cmp_le_u32_e32 vcc, v48, v20
	;; [unrolled: 5-line block ×4, first 2 shown]
	s_waitcnt lgkmcnt(0)
	v_cndmask_b32_e32 v20, 0, v21, vcc
	v_add3_u32 v16, v20, v11, v16
.LBB90_44:                              ; =>This Loop Header: Depth=1
                                        ;     Child Loop BB90_47 Depth 2
	v_cmp_ne_u16_sdwa s[40:41], v17, v40 src0_sel:BYTE_0 src1_sel:DWORD
	v_cndmask_b32_e64 v11, 0, 1, s[40:41]
	;;#ASMSTART
	;;#ASMEND
	v_cmp_ne_u32_e32 vcc, 0, v11
	s_cmp_lg_u64 vcc, exec
	v_mov_b32_e32 v11, v16
	s_cbranch_scc1 .LBB90_49
; %bb.45:                               ;   in Loop: Header=BB90_44 Depth=1
	v_lshlrev_b64 v[16:17], 3, v[14:15]
	v_mov_b32_e32 v21, s37
	v_add_co_u32_e32 v20, vcc, s36, v16
	v_addc_co_u32_e32 v21, vcc, v21, v17, vcc
	global_load_dwordx2 v[16:17], v[20:21], off glc
	s_waitcnt vmcnt(0)
	v_cmp_eq_u16_sdwa s[42:43], v17, v15 src0_sel:BYTE_0 src1_sel:DWORD
	s_and_saveexec_b64 s[40:41], s[42:43]
	s_cbranch_execz .LBB90_43
; %bb.46:                               ;   in Loop: Header=BB90_44 Depth=1
	s_mov_b64 s[42:43], 0
.LBB90_47:                              ;   Parent Loop BB90_44 Depth=1
                                        ; =>  This Inner Loop Header: Depth=2
	global_load_dwordx2 v[16:17], v[20:21], off glc
	s_waitcnt vmcnt(0)
	v_cmp_ne_u16_sdwa s[44:45], v17, v15 src0_sel:BYTE_0 src1_sel:DWORD
	s_or_b64 s[42:43], s[44:45], s[42:43]
	s_andn2_b64 exec, exec, s[42:43]
	s_cbranch_execnz .LBB90_47
; %bb.48:                               ;   in Loop: Header=BB90_44 Depth=1
	s_or_b64 exec, exec, s[42:43]
	s_branch .LBB90_43
.LBB90_49:                              ;   in Loop: Header=BB90_44 Depth=1
                                        ; implicit-def: $vgpr16
                                        ; implicit-def: $vgpr17
	s_cbranch_execz .LBB90_44
; %bb.50:
	s_and_saveexec_b64 s[40:41], s[18:19]
	s_cbranch_execz .LBB90_52
; %bb.51:
	s_add_i32 s6, s6, 64
	s_mov_b32 s7, 0
	s_lshl_b64 s[6:7], s[6:7], 3
	s_add_u32 s6, s36, s6
	v_add_u32_e32 v14, v11, v10
	v_mov_b32_e32 v15, 2
	s_addc_u32 s7, s37, s7
	v_mov_b32_e32 v16, 0
	global_store_dwordx2 v16, v[14:15], s[6:7]
	ds_write_b64 v16, v[10:11] offset:10240
.LBB90_52:
	s_or_b64 exec, exec, s[40:41]
	v_cmp_eq_u32_e32 vcc, 0, v0
	s_and_b64 exec, exec, vcc
	s_cbranch_execz .LBB90_54
; %bb.53:
	v_mov_b32_e32 v10, 0
	ds_write_b32 v10, v11 offset:12
.LBB90_54:
	s_or_b64 exec, exec, s[38:39]
	v_mov_b32_e32 v10, 0
	s_waitcnt lgkmcnt(0)
	s_barrier
	ds_read_b32 v11, v10 offset:12
	v_cndmask_b32_e64 v14, v39, v38, s[18:19]
	v_cmp_ne_u32_e32 vcc, 0, v0
	v_cndmask_b32_e32 v14, 0, v14, vcc
	s_waitcnt lgkmcnt(0)
	v_add_u32_e32 v39, v11, v14
	v_add_u32_sdwa v38, v39, v26 dst_sel:DWORD dst_unused:UNUSED_PAD src0_sel:DWORD src1_sel:BYTE_0
	v_add_u32_sdwa v21, v38, v26 dst_sel:DWORD dst_unused:UNUSED_PAD src0_sel:DWORD src1_sel:BYTE_1
	v_add_u32_e32 v20, v21, v30
	v_add_u32_e32 v19, v20, v28
	;; [unrolled: 1-line block ×3, first 2 shown]
	s_barrier
	ds_read_b64 v[10:11], v10 offset:10240
	v_add_u32_e32 v17, v18, v32
	v_add_u32_e32 v16, v17, v33
	;; [unrolled: 1-line block ×4, first 2 shown]
	s_load_dwordx2 s[4:5], s[4:5], 0x28
	s_branch .LBB90_65
.LBB90_55:
                                        ; implicit-def: $vgpr11
                                        ; implicit-def: $vgpr14
                                        ; implicit-def: $vgpr15
                                        ; implicit-def: $vgpr16
                                        ; implicit-def: $vgpr17
                                        ; implicit-def: $vgpr18
                                        ; implicit-def: $vgpr19
                                        ; implicit-def: $vgpr20
                                        ; implicit-def: $vgpr21
                                        ; implicit-def: $vgpr38
                                        ; implicit-def: $vgpr39
	s_load_dwordx2 s[4:5], s[4:5], 0x28
	s_cbranch_execz .LBB90_65
; %bb.56:
	s_waitcnt lgkmcnt(0)
	v_mov_b32_dpp v10, v37 row_shr:1 row_mask:0xf bank_mask:0xf
	v_cndmask_b32_e64 v10, v10, 0, s[16:17]
	v_add_u32_e32 v10, v10, v37
	s_nop 1
	v_mov_b32_dpp v11, v10 row_shr:2 row_mask:0xf bank_mask:0xf
	v_cndmask_b32_e64 v11, 0, v11, s[14:15]
	v_add_u32_e32 v10, v10, v11
	s_nop 1
	;; [unrolled: 4-line block ×4, first 2 shown]
	v_mov_b32_dpp v11, v10 row_bcast:15 row_mask:0xf bank_mask:0xf
	v_cndmask_b32_e64 v11, v11, 0, s[8:9]
	v_add_u32_e32 v10, v10, v11
	s_nop 1
	v_mov_b32_dpp v11, v10 row_bcast:31 row_mask:0xf bank_mask:0xf
	v_cndmask_b32_e64 v11, 0, v11, s[2:3]
	v_add_u32_e32 v10, v10, v11
	s_and_saveexec_b64 s[2:3], s[20:21]
	s_cbranch_execz .LBB90_58
; %bb.57:
	v_lshlrev_b32_e32 v11, 2, v36
	ds_write_b32 v11, v10
.LBB90_58:
	s_or_b64 exec, exec, s[2:3]
	v_cmp_gt_u32_e32 vcc, 4, v0
	s_waitcnt lgkmcnt(0)
	s_barrier
	s_and_saveexec_b64 s[2:3], vcc
	s_cbranch_execz .LBB90_60
; %bb.59:
	s_movk_i32 s6, 0xffdc
	v_mad_i32_i24 v11, v0, s6, v29
	ds_read_b32 v14, v11
	v_and_b32_e32 v15, 3, v35
	v_cmp_ne_u32_e32 vcc, 0, v15
	s_waitcnt lgkmcnt(0)
	v_mov_b32_dpp v16, v14 row_shr:1 row_mask:0xf bank_mask:0xf
	v_cndmask_b32_e32 v16, 0, v16, vcc
	v_add_u32_e32 v14, v16, v14
	v_cmp_lt_u32_e32 vcc, 1, v15
	s_nop 0
	v_mov_b32_dpp v16, v14 row_shr:2 row_mask:0xf bank_mask:0xf
	v_cndmask_b32_e32 v15, 0, v16, vcc
	v_add_u32_e32 v14, v14, v15
	ds_write_b32 v11, v14
.LBB90_60:
	s_or_b64 exec, exec, s[2:3]
	v_cmp_lt_u32_e32 vcc, 63, v0
	v_mov_b32_e32 v11, 0
	v_mov_b32_e32 v14, 0
	s_waitcnt lgkmcnt(0)
	s_barrier
	s_and_saveexec_b64 s[2:3], vcc
	s_cbranch_execz .LBB90_62
; %bb.61:
	v_lshl_add_u32 v14, v36, 2, -4
	ds_read_b32 v14, v14
.LBB90_62:
	s_or_b64 exec, exec, s[2:3]
	v_add_u32_e32 v15, -1, v35
	v_and_b32_e32 v16, 64, v35
	v_cmp_lt_i32_e32 vcc, v15, v16
	v_cndmask_b32_e32 v15, v15, v35, vcc
	s_waitcnt lgkmcnt(0)
	v_add_u32_e32 v10, v14, v10
	v_lshlrev_b32_e32 v15, 2, v15
	ds_bpermute_b32 v15, v15, v10
	ds_read_b32 v10, v11 offset:12
	v_cmp_eq_u32_e32 vcc, 0, v0
	s_and_saveexec_b64 s[2:3], vcc
	s_cbranch_execz .LBB90_64
; %bb.63:
	v_mov_b32_e32 v16, 0
	v_mov_b32_e32 v11, 2
	s_waitcnt lgkmcnt(0)
	global_store_dwordx2 v16, v[10:11], s[36:37] offset:512
.LBB90_64:
	s_or_b64 exec, exec, s[2:3]
	v_cmp_eq_u32_e64 s[2:3], 0, v35
	s_waitcnt lgkmcnt(1)
	v_cndmask_b32_e64 v14, v15, v14, s[2:3]
	v_cndmask_b32_e64 v39, v14, 0, vcc
	v_add_u32_sdwa v38, v39, v26 dst_sel:DWORD dst_unused:UNUSED_PAD src0_sel:DWORD src1_sel:BYTE_0
	v_add_u32_sdwa v21, v38, v26 dst_sel:DWORD dst_unused:UNUSED_PAD src0_sel:DWORD src1_sel:BYTE_1
	v_add_u32_e32 v20, v21, v30
	v_add_u32_e32 v19, v20, v28
	;; [unrolled: 1-line block ×6, first 2 shown]
	v_mov_b32_e32 v11, 0
	v_add_u32_e32 v14, v15, v34
	s_waitcnt lgkmcnt(0)
	s_barrier
.LBB90_65:
	s_waitcnt lgkmcnt(0)
	v_add_u32_e32 v23, v10, v23
	v_sub_u32_e32 v31, v39, v11
	v_and_b32_e32 v33, 1, v26
	v_sub_u32_e32 v32, v23, v31
	v_cmp_eq_u32_e32 vcc, 1, v33
	v_cndmask_b32_e32 v31, v32, v31, vcc
	v_lshlrev_b32_e32 v31, 2, v31
	v_lshrrev_b32_e32 v30, 8, v26
	ds_write_b32 v31, v6
	v_sub_u32_e32 v6, v38, v11
	v_sub_u32_e32 v31, v23, v6
	v_and_b32_e32 v30, 1, v30
	v_add_u32_e32 v31, 1, v31
	v_cmp_eq_u32_e32 vcc, 1, v30
	v_cndmask_b32_e32 v6, v31, v6, vcc
	v_lshlrev_b32_e32 v6, 2, v6
	ds_write_b32 v6, v7
	v_sub_u32_e32 v6, v21, v11
	v_mov_b32_e32 v21, 1
	v_sub_u32_e32 v7, v23, v6
	v_and_b32_sdwa v26, v21, v26 dst_sel:DWORD dst_unused:UNUSED_PAD src0_sel:DWORD src1_sel:WORD_1
	v_add_u32_e32 v7, 2, v7
	v_cmp_eq_u32_e32 vcc, 1, v26
	v_cndmask_b32_e32 v6, v7, v6, vcc
	v_lshlrev_b32_e32 v6, 2, v6
	ds_write_b32 v6, v8
	v_sub_u32_e32 v6, v20, v11
	v_sub_u32_e32 v7, v23, v6
	v_and_b32_e32 v8, 1, v28
	v_add_u32_e32 v7, 3, v7
	v_cmp_eq_u32_e32 vcc, 1, v8
	v_cndmask_b32_e32 v6, v7, v6, vcc
	v_lshlrev_b32_e32 v6, 2, v6
	ds_write_b32 v6, v9
	v_sub_u32_e32 v6, v19, v11
	v_sub_u32_e32 v7, v23, v6
	v_and_b32_e32 v8, 1, v25
	v_add_u32_e32 v7, 4, v7
	v_cmp_eq_u32_e32 vcc, 1, v8
	v_cndmask_b32_e32 v6, v7, v6, vcc
	v_lshlrev_b32_e32 v6, 2, v6
	v_lshrrev_b32_e32 v29, 8, v25
	ds_write_b32 v6, v2
	v_sub_u32_e32 v2, v18, v11
	v_sub_u32_e32 v6, v23, v2
	v_and_b32_e32 v7, 1, v29
	v_add_u32_e32 v6, 5, v6
	v_cmp_eq_u32_e32 vcc, 1, v7
	v_cndmask_b32_e32 v2, v6, v2, vcc
	v_lshlrev_b32_e32 v2, 2, v2
	ds_write_b32 v2, v3
	v_sub_u32_e32 v2, v17, v11
	v_sub_u32_e32 v3, v23, v2
	v_and_b32_sdwa v6, v21, v25 dst_sel:DWORD dst_unused:UNUSED_PAD src0_sel:DWORD src1_sel:WORD_1
	v_add_u32_e32 v3, 6, v3
	v_cmp_eq_u32_e32 vcc, 1, v6
	v_cndmask_b32_e32 v2, v3, v2, vcc
	v_lshlrev_b32_e32 v2, 2, v2
	ds_write_b32 v2, v4
	v_sub_u32_e32 v2, v16, v11
	v_sub_u32_e32 v3, v23, v2
	v_and_b32_e32 v4, 1, v27
	v_add_u32_e32 v3, 7, v3
	v_cmp_eq_u32_e32 vcc, 1, v4
	v_cndmask_b32_e32 v2, v3, v2, vcc
	v_lshlrev_b32_e32 v2, 2, v2
	ds_write_b32 v2, v5
	v_sub_u32_e32 v2, v15, v11
	v_sub_u32_e32 v3, v23, v2
	v_and_b32_e32 v4, 1, v24
	;; [unrolled: 8-line block ×3, first 2 shown]
	v_add_u32_e32 v3, 9, v3
	v_cmp_eq_u32_e32 vcc, 1, v4
	v_cndmask_b32_e32 v2, v3, v2, vcc
	s_add_u32 s2, s22, s30
	v_lshlrev_b32_e32 v2, 2, v2
	s_addc_u32 s3, s23, 0
	ds_write_b32 v2, v13
	s_waitcnt lgkmcnt(0)
	s_barrier
	ds_read2st64_b32 v[12:13], v1 offset1:4
	ds_read2st64_b32 v[8:9], v1 offset0:8 offset1:12
	ds_read2st64_b32 v[6:7], v1 offset0:16 offset1:20
	;; [unrolled: 1-line block ×4, first 2 shown]
	v_mov_b32_e32 v14, s35
	v_add_co_u32_e32 v1, vcc, s34, v11
	s_sub_u32 s2, s28, s2
	v_addc_co_u32_e32 v11, vcc, 0, v14, vcc
	s_subb_u32 s3, s29, s3
	v_mov_b32_e32 v14, s3
	v_add_co_u32_e32 v15, vcc, s2, v10
	v_addc_co_u32_e32 v14, vcc, 0, v14, vcc
	s_and_b64 vcc, exec, s[0:1]
	v_add_co_u32_e64 v17, s[0:1], v15, v1
	v_or_b32_e32 v26, 0x100, v0
	v_or_b32_e32 v25, 0x200, v0
	;; [unrolled: 1-line block ×9, first 2 shown]
	v_addc_co_u32_e64 v18, s[0:1], v14, v11, s[0:1]
	s_cbranch_vccnz .LBB90_107
; %bb.66:
	v_cmp_ge_u32_e32 vcc, v0, v10
                                        ; implicit-def: $vgpr14_vgpr15
	s_and_saveexec_b64 s[0:1], vcc
	s_xor_b64 s[0:1], exec, s[0:1]
; %bb.67:
	v_not_b32_e32 v14, v0
	v_ashrrev_i32_e32 v15, 31, v14
	v_add_co_u32_e32 v14, vcc, v17, v14
	v_addc_co_u32_e32 v15, vcc, v18, v15, vcc
; %bb.68:
	s_andn2_saveexec_b64 s[0:1], s[0:1]
; %bb.69:
	v_add_co_u32_e32 v14, vcc, v1, v0
	v_addc_co_u32_e32 v15, vcc, 0, v11, vcc
; %bb.70:
	s_or_b64 exec, exec, s[0:1]
	v_lshlrev_b64 v[14:15], 2, v[14:15]
	v_mov_b32_e32 v27, s5
	v_add_co_u32_e32 v14, vcc, s4, v14
	v_addc_co_u32_e32 v15, vcc, v27, v15, vcc
	v_cmp_ge_u32_e32 vcc, v26, v10
	s_waitcnt lgkmcnt(4)
	global_store_dword v[14:15], v12, off
                                        ; implicit-def: $vgpr14_vgpr15
	s_and_saveexec_b64 s[0:1], vcc
	s_xor_b64 s[0:1], exec, s[0:1]
; %bb.71:
	v_xor_b32_e32 v14, 0xfffffeff, v0
	v_ashrrev_i32_e32 v15, 31, v14
	v_add_co_u32_e32 v14, vcc, v17, v14
	v_addc_co_u32_e32 v15, vcc, v18, v15, vcc
; %bb.72:
	s_andn2_saveexec_b64 s[0:1], s[0:1]
; %bb.73:
	v_add_co_u32_e32 v14, vcc, v1, v26
	v_addc_co_u32_e32 v15, vcc, 0, v11, vcc
; %bb.74:
	s_or_b64 exec, exec, s[0:1]
	v_lshlrev_b64 v[14:15], 2, v[14:15]
	v_mov_b32_e32 v27, s5
	v_add_co_u32_e32 v14, vcc, s4, v14
	v_addc_co_u32_e32 v15, vcc, v27, v15, vcc
	v_cmp_ge_u32_e32 vcc, v25, v10
	global_store_dword v[14:15], v13, off
                                        ; implicit-def: $vgpr14_vgpr15
	s_and_saveexec_b64 s[0:1], vcc
	s_xor_b64 s[0:1], exec, s[0:1]
; %bb.75:
	v_xor_b32_e32 v14, 0xfffffdff, v0
	v_ashrrev_i32_e32 v15, 31, v14
	v_add_co_u32_e32 v14, vcc, v17, v14
	v_addc_co_u32_e32 v15, vcc, v18, v15, vcc
; %bb.76:
	s_andn2_saveexec_b64 s[0:1], s[0:1]
; %bb.77:
	v_add_co_u32_e32 v14, vcc, v1, v25
	v_addc_co_u32_e32 v15, vcc, 0, v11, vcc
; %bb.78:
	s_or_b64 exec, exec, s[0:1]
	v_lshlrev_b64 v[14:15], 2, v[14:15]
	v_mov_b32_e32 v27, s5
	v_add_co_u32_e32 v14, vcc, s4, v14
	v_addc_co_u32_e32 v15, vcc, v27, v15, vcc
	v_cmp_ge_u32_e32 vcc, v24, v10
	s_waitcnt lgkmcnt(3)
	global_store_dword v[14:15], v8, off
                                        ; implicit-def: $vgpr14_vgpr15
	s_and_saveexec_b64 s[0:1], vcc
	s_xor_b64 s[0:1], exec, s[0:1]
; %bb.79:
	v_xor_b32_e32 v14, 0xfffffcff, v0
	v_ashrrev_i32_e32 v15, 31, v14
	v_add_co_u32_e32 v14, vcc, v17, v14
	v_addc_co_u32_e32 v15, vcc, v18, v15, vcc
; %bb.80:
	s_andn2_saveexec_b64 s[0:1], s[0:1]
; %bb.81:
	v_add_co_u32_e32 v14, vcc, v1, v24
	v_addc_co_u32_e32 v15, vcc, 0, v11, vcc
; %bb.82:
	s_or_b64 exec, exec, s[0:1]
	v_lshlrev_b64 v[14:15], 2, v[14:15]
	v_mov_b32_e32 v27, s5
	v_add_co_u32_e32 v14, vcc, s4, v14
	v_addc_co_u32_e32 v15, vcc, v27, v15, vcc
	v_cmp_ge_u32_e32 vcc, v23, v10
	global_store_dword v[14:15], v9, off
                                        ; implicit-def: $vgpr14_vgpr15
	s_and_saveexec_b64 s[0:1], vcc
	s_xor_b64 s[0:1], exec, s[0:1]
; %bb.83:
	v_xor_b32_e32 v14, 0xfffffbff, v0
	;; [unrolled: 43-line block ×4, first 2 shown]
	v_ashrrev_i32_e32 v15, 31, v14
	v_add_co_u32_e32 v14, vcc, v17, v14
	v_addc_co_u32_e32 v15, vcc, v18, v15, vcc
; %bb.100:
	s_andn2_saveexec_b64 s[0:1], s[0:1]
; %bb.101:
	v_add_co_u32_e32 v14, vcc, v1, v19
	v_addc_co_u32_e32 v15, vcc, 0, v11, vcc
; %bb.102:
	s_or_b64 exec, exec, s[0:1]
	v_lshlrev_b64 v[14:15], 2, v[14:15]
	v_mov_b32_e32 v27, s5
	v_add_co_u32_e32 v14, vcc, s4, v14
	v_addc_co_u32_e32 v15, vcc, v27, v15, vcc
	v_cmp_ge_u32_e32 vcc, v16, v10
	s_waitcnt lgkmcnt(0)
	global_store_dword v[14:15], v2, off
                                        ; implicit-def: $vgpr14_vgpr15
	s_and_saveexec_b64 s[0:1], vcc
	s_xor_b64 s[0:1], exec, s[0:1]
; %bb.103:
	v_xor_b32_e32 v14, 0xfffff6ff, v0
	v_ashrrev_i32_e32 v15, 31, v14
	v_add_co_u32_e32 v14, vcc, v17, v14
	v_addc_co_u32_e32 v15, vcc, v18, v15, vcc
; %bb.104:
	s_andn2_saveexec_b64 s[0:1], s[0:1]
; %bb.105:
	v_add_co_u32_e32 v14, vcc, v1, v16
	v_addc_co_u32_e32 v15, vcc, 0, v11, vcc
; %bb.106:
	s_or_b64 exec, exec, s[0:1]
	s_mov_b64 s[0:1], -1
	s_branch .LBB90_169
.LBB90_107:
	s_mov_b64 s[0:1], 0
                                        ; implicit-def: $vgpr14_vgpr15
	s_cbranch_execz .LBB90_169
; %bb.108:
	v_cmp_gt_u32_e32 vcc, s33, v0
	s_and_saveexec_b64 s[2:3], vcc
	s_cbranch_execz .LBB90_134
; %bb.109:
	v_cmp_ge_u32_e32 vcc, v0, v10
                                        ; implicit-def: $vgpr14_vgpr15
	s_and_saveexec_b64 s[6:7], vcc
	s_xor_b64 s[6:7], exec, s[6:7]
; %bb.110:
	v_not_b32_e32 v14, v0
	v_ashrrev_i32_e32 v15, 31, v14
	v_add_co_u32_e32 v14, vcc, v17, v14
	v_addc_co_u32_e32 v15, vcc, v18, v15, vcc
; %bb.111:
	s_andn2_saveexec_b64 s[6:7], s[6:7]
; %bb.112:
	v_add_co_u32_e32 v14, vcc, v1, v0
	v_addc_co_u32_e32 v15, vcc, 0, v11, vcc
; %bb.113:
	s_or_b64 exec, exec, s[6:7]
	v_lshlrev_b64 v[14:15], 2, v[14:15]
	v_mov_b32_e32 v27, s5
	v_add_co_u32_e32 v14, vcc, s4, v14
	v_addc_co_u32_e32 v15, vcc, v27, v15, vcc
	s_waitcnt lgkmcnt(4)
	global_store_dword v[14:15], v12, off
	s_or_b64 exec, exec, s[2:3]
	v_cmp_gt_u32_e32 vcc, s33, v26
	s_and_saveexec_b64 s[2:3], vcc
	s_cbranch_execnz .LBB90_135
.LBB90_114:
	s_or_b64 exec, exec, s[2:3]
	v_cmp_gt_u32_e32 vcc, s33, v25
	s_and_saveexec_b64 s[2:3], vcc
	s_cbranch_execz .LBB90_140
.LBB90_115:
	v_cmp_ge_u32_e32 vcc, v25, v10
                                        ; implicit-def: $vgpr12_vgpr13
	s_and_saveexec_b64 s[6:7], vcc
	s_xor_b64 s[6:7], exec, s[6:7]
	s_cbranch_execz .LBB90_117
; %bb.116:
	s_waitcnt lgkmcnt(4)
	v_xor_b32_e32 v12, 0xfffffdff, v0
	v_ashrrev_i32_e32 v13, 31, v12
	v_add_co_u32_e32 v12, vcc, v17, v12
	v_addc_co_u32_e32 v13, vcc, v18, v13, vcc
                                        ; implicit-def: $vgpr25
.LBB90_117:
	s_andn2_saveexec_b64 s[6:7], s[6:7]
	s_cbranch_execz .LBB90_119
; %bb.118:
	s_waitcnt lgkmcnt(4)
	v_add_co_u32_e32 v12, vcc, v1, v25
	v_addc_co_u32_e32 v13, vcc, 0, v11, vcc
.LBB90_119:
	s_or_b64 exec, exec, s[6:7]
	s_waitcnt lgkmcnt(4)
	v_lshlrev_b64 v[12:13], 2, v[12:13]
	v_mov_b32_e32 v14, s5
	v_add_co_u32_e32 v12, vcc, s4, v12
	v_addc_co_u32_e32 v13, vcc, v14, v13, vcc
	s_waitcnt lgkmcnt(3)
	global_store_dword v[12:13], v8, off
	s_or_b64 exec, exec, s[2:3]
	v_cmp_gt_u32_e32 vcc, s33, v24
	s_and_saveexec_b64 s[2:3], vcc
	s_cbranch_execnz .LBB90_141
.LBB90_120:
	s_or_b64 exec, exec, s[2:3]
	v_cmp_gt_u32_e32 vcc, s33, v23
	s_and_saveexec_b64 s[2:3], vcc
	s_cbranch_execz .LBB90_146
.LBB90_121:
	v_cmp_ge_u32_e32 vcc, v23, v10
                                        ; implicit-def: $vgpr8_vgpr9
	s_and_saveexec_b64 s[6:7], vcc
	s_xor_b64 s[6:7], exec, s[6:7]
	s_cbranch_execz .LBB90_123
; %bb.122:
	s_waitcnt lgkmcnt(3)
	v_xor_b32_e32 v8, 0xfffffbff, v0
	v_ashrrev_i32_e32 v9, 31, v8
	v_add_co_u32_e32 v8, vcc, v17, v8
	v_addc_co_u32_e32 v9, vcc, v18, v9, vcc
                                        ; implicit-def: $vgpr23
.LBB90_123:
	s_andn2_saveexec_b64 s[6:7], s[6:7]
	s_cbranch_execz .LBB90_125
; %bb.124:
	s_waitcnt lgkmcnt(3)
	v_add_co_u32_e32 v8, vcc, v1, v23
	v_addc_co_u32_e32 v9, vcc, 0, v11, vcc
.LBB90_125:
	s_or_b64 exec, exec, s[6:7]
	s_waitcnt lgkmcnt(3)
	v_lshlrev_b64 v[8:9], 2, v[8:9]
	v_mov_b32_e32 v12, s5
	v_add_co_u32_e32 v8, vcc, s4, v8
	v_addc_co_u32_e32 v9, vcc, v12, v9, vcc
	s_waitcnt lgkmcnt(2)
	global_store_dword v[8:9], v6, off
	s_or_b64 exec, exec, s[2:3]
	v_cmp_gt_u32_e32 vcc, s33, v22
	s_and_saveexec_b64 s[2:3], vcc
	s_cbranch_execnz .LBB90_147
.LBB90_126:
	s_or_b64 exec, exec, s[2:3]
	v_cmp_gt_u32_e32 vcc, s33, v21
	s_and_saveexec_b64 s[2:3], vcc
	s_cbranch_execz .LBB90_152
.LBB90_127:
	v_cmp_ge_u32_e32 vcc, v21, v10
                                        ; implicit-def: $vgpr6_vgpr7
	s_and_saveexec_b64 s[6:7], vcc
	s_xor_b64 s[6:7], exec, s[6:7]
	s_cbranch_execz .LBB90_129
; %bb.128:
	s_waitcnt lgkmcnt(2)
	v_xor_b32_e32 v6, 0xfffff9ff, v0
	v_ashrrev_i32_e32 v7, 31, v6
	v_add_co_u32_e32 v6, vcc, v17, v6
	v_addc_co_u32_e32 v7, vcc, v18, v7, vcc
                                        ; implicit-def: $vgpr21
.LBB90_129:
	s_andn2_saveexec_b64 s[6:7], s[6:7]
	s_cbranch_execz .LBB90_131
; %bb.130:
	s_waitcnt lgkmcnt(2)
	v_add_co_u32_e32 v6, vcc, v1, v21
	v_addc_co_u32_e32 v7, vcc, 0, v11, vcc
.LBB90_131:
	s_or_b64 exec, exec, s[6:7]
	s_waitcnt lgkmcnt(2)
	v_lshlrev_b64 v[6:7], 2, v[6:7]
	v_mov_b32_e32 v8, s5
	v_add_co_u32_e32 v6, vcc, s4, v6
	v_addc_co_u32_e32 v7, vcc, v8, v7, vcc
	s_waitcnt lgkmcnt(1)
	global_store_dword v[6:7], v4, off
	s_or_b64 exec, exec, s[2:3]
	v_cmp_gt_u32_e32 vcc, s33, v20
	s_and_saveexec_b64 s[2:3], vcc
	s_cbranch_execnz .LBB90_153
.LBB90_132:
	s_or_b64 exec, exec, s[2:3]
	v_cmp_gt_u32_e32 vcc, s33, v19
	s_and_saveexec_b64 s[2:3], vcc
	s_cbranch_execnz .LBB90_158
.LBB90_133:
	s_or_b64 exec, exec, s[2:3]
	v_cmp_gt_u32_e32 vcc, s33, v16
                                        ; implicit-def: $vgpr14_vgpr15
	s_and_saveexec_b64 s[2:3], vcc
	s_cbranch_execz .LBB90_168
	s_branch .LBB90_163
.LBB90_134:
	s_or_b64 exec, exec, s[2:3]
	v_cmp_gt_u32_e32 vcc, s33, v26
	s_and_saveexec_b64 s[2:3], vcc
	s_cbranch_execz .LBB90_114
.LBB90_135:
	v_cmp_ge_u32_e32 vcc, v26, v10
                                        ; implicit-def: $vgpr14_vgpr15
	s_and_saveexec_b64 s[6:7], vcc
	s_xor_b64 s[6:7], exec, s[6:7]
	s_cbranch_execz .LBB90_137
; %bb.136:
	s_waitcnt lgkmcnt(4)
	v_xor_b32_e32 v12, 0xfffffeff, v0
	v_ashrrev_i32_e32 v15, 31, v12
	v_add_co_u32_e32 v14, vcc, v17, v12
	v_addc_co_u32_e32 v15, vcc, v18, v15, vcc
                                        ; implicit-def: $vgpr26
.LBB90_137:
	s_andn2_saveexec_b64 s[6:7], s[6:7]
; %bb.138:
	v_add_co_u32_e32 v14, vcc, v1, v26
	v_addc_co_u32_e32 v15, vcc, 0, v11, vcc
; %bb.139:
	s_or_b64 exec, exec, s[6:7]
	v_lshlrev_b64 v[14:15], 2, v[14:15]
	s_waitcnt lgkmcnt(4)
	v_mov_b32_e32 v12, s5
	v_add_co_u32_e32 v14, vcc, s4, v14
	v_addc_co_u32_e32 v15, vcc, v12, v15, vcc
	global_store_dword v[14:15], v13, off
	s_or_b64 exec, exec, s[2:3]
	v_cmp_gt_u32_e32 vcc, s33, v25
	s_and_saveexec_b64 s[2:3], vcc
	s_cbranch_execnz .LBB90_115
.LBB90_140:
	s_or_b64 exec, exec, s[2:3]
	v_cmp_gt_u32_e32 vcc, s33, v24
	s_and_saveexec_b64 s[2:3], vcc
	s_cbranch_execz .LBB90_120
.LBB90_141:
	v_cmp_ge_u32_e32 vcc, v24, v10
                                        ; implicit-def: $vgpr12_vgpr13
	s_and_saveexec_b64 s[6:7], vcc
	s_xor_b64 s[6:7], exec, s[6:7]
	s_cbranch_execz .LBB90_143
; %bb.142:
	s_waitcnt lgkmcnt(3)
	v_xor_b32_e32 v8, 0xfffffcff, v0
	v_ashrrev_i32_e32 v13, 31, v8
	v_add_co_u32_e32 v12, vcc, v17, v8
	v_addc_co_u32_e32 v13, vcc, v18, v13, vcc
                                        ; implicit-def: $vgpr24
.LBB90_143:
	s_andn2_saveexec_b64 s[6:7], s[6:7]
	s_cbranch_execz .LBB90_145
; %bb.144:
	s_waitcnt lgkmcnt(4)
	v_add_co_u32_e32 v12, vcc, v1, v24
	v_addc_co_u32_e32 v13, vcc, 0, v11, vcc
.LBB90_145:
	s_or_b64 exec, exec, s[6:7]
	s_waitcnt lgkmcnt(4)
	v_lshlrev_b64 v[12:13], 2, v[12:13]
	s_waitcnt lgkmcnt(3)
	v_mov_b32_e32 v8, s5
	v_add_co_u32_e32 v12, vcc, s4, v12
	v_addc_co_u32_e32 v13, vcc, v8, v13, vcc
	global_store_dword v[12:13], v9, off
	s_or_b64 exec, exec, s[2:3]
	v_cmp_gt_u32_e32 vcc, s33, v23
	s_and_saveexec_b64 s[2:3], vcc
	s_cbranch_execnz .LBB90_121
.LBB90_146:
	s_or_b64 exec, exec, s[2:3]
	v_cmp_gt_u32_e32 vcc, s33, v22
	s_and_saveexec_b64 s[2:3], vcc
	s_cbranch_execz .LBB90_126
.LBB90_147:
	v_cmp_ge_u32_e32 vcc, v22, v10
                                        ; implicit-def: $vgpr8_vgpr9
	s_and_saveexec_b64 s[6:7], vcc
	s_xor_b64 s[6:7], exec, s[6:7]
	s_cbranch_execz .LBB90_149
; %bb.148:
	s_waitcnt lgkmcnt(2)
	v_xor_b32_e32 v6, 0xfffffaff, v0
	v_ashrrev_i32_e32 v9, 31, v6
	v_add_co_u32_e32 v8, vcc, v17, v6
	v_addc_co_u32_e32 v9, vcc, v18, v9, vcc
                                        ; implicit-def: $vgpr22
.LBB90_149:
	s_andn2_saveexec_b64 s[6:7], s[6:7]
	s_cbranch_execz .LBB90_151
; %bb.150:
	s_waitcnt lgkmcnt(3)
	v_add_co_u32_e32 v8, vcc, v1, v22
	v_addc_co_u32_e32 v9, vcc, 0, v11, vcc
.LBB90_151:
	s_or_b64 exec, exec, s[6:7]
	s_waitcnt lgkmcnt(3)
	v_lshlrev_b64 v[8:9], 2, v[8:9]
	s_waitcnt lgkmcnt(2)
	v_mov_b32_e32 v6, s5
	v_add_co_u32_e32 v8, vcc, s4, v8
	v_addc_co_u32_e32 v9, vcc, v6, v9, vcc
	global_store_dword v[8:9], v7, off
	s_or_b64 exec, exec, s[2:3]
	v_cmp_gt_u32_e32 vcc, s33, v21
	s_and_saveexec_b64 s[2:3], vcc
	s_cbranch_execnz .LBB90_127
.LBB90_152:
	s_or_b64 exec, exec, s[2:3]
	v_cmp_gt_u32_e32 vcc, s33, v20
	s_and_saveexec_b64 s[2:3], vcc
	s_cbranch_execz .LBB90_132
.LBB90_153:
	v_cmp_ge_u32_e32 vcc, v20, v10
                                        ; implicit-def: $vgpr6_vgpr7
	s_and_saveexec_b64 s[6:7], vcc
	s_xor_b64 s[6:7], exec, s[6:7]
	s_cbranch_execz .LBB90_155
; %bb.154:
	s_waitcnt lgkmcnt(1)
	v_xor_b32_e32 v4, 0xfffff8ff, v0
	v_ashrrev_i32_e32 v7, 31, v4
	v_add_co_u32_e32 v6, vcc, v17, v4
	v_addc_co_u32_e32 v7, vcc, v18, v7, vcc
                                        ; implicit-def: $vgpr20
.LBB90_155:
	s_andn2_saveexec_b64 s[6:7], s[6:7]
	s_cbranch_execz .LBB90_157
; %bb.156:
	s_waitcnt lgkmcnt(2)
	v_add_co_u32_e32 v6, vcc, v1, v20
	v_addc_co_u32_e32 v7, vcc, 0, v11, vcc
.LBB90_157:
	s_or_b64 exec, exec, s[6:7]
	s_waitcnt lgkmcnt(2)
	v_lshlrev_b64 v[6:7], 2, v[6:7]
	s_waitcnt lgkmcnt(1)
	v_mov_b32_e32 v4, s5
	v_add_co_u32_e32 v6, vcc, s4, v6
	v_addc_co_u32_e32 v7, vcc, v4, v7, vcc
	global_store_dword v[6:7], v5, off
	s_or_b64 exec, exec, s[2:3]
	v_cmp_gt_u32_e32 vcc, s33, v19
	s_and_saveexec_b64 s[2:3], vcc
	s_cbranch_execz .LBB90_133
.LBB90_158:
	v_cmp_ge_u32_e32 vcc, v19, v10
                                        ; implicit-def: $vgpr4_vgpr5
	s_and_saveexec_b64 s[6:7], vcc
	s_xor_b64 s[6:7], exec, s[6:7]
	s_cbranch_execz .LBB90_160
; %bb.159:
	s_waitcnt lgkmcnt(1)
	v_xor_b32_e32 v4, 0xfffff7ff, v0
	v_ashrrev_i32_e32 v5, 31, v4
	v_add_co_u32_e32 v4, vcc, v17, v4
	v_addc_co_u32_e32 v5, vcc, v18, v5, vcc
                                        ; implicit-def: $vgpr19
.LBB90_160:
	s_andn2_saveexec_b64 s[6:7], s[6:7]
	s_cbranch_execz .LBB90_162
; %bb.161:
	s_waitcnt lgkmcnt(1)
	v_add_co_u32_e32 v4, vcc, v1, v19
	v_addc_co_u32_e32 v5, vcc, 0, v11, vcc
.LBB90_162:
	s_or_b64 exec, exec, s[6:7]
	s_waitcnt lgkmcnt(1)
	v_lshlrev_b64 v[4:5], 2, v[4:5]
	v_mov_b32_e32 v6, s5
	v_add_co_u32_e32 v4, vcc, s4, v4
	v_addc_co_u32_e32 v5, vcc, v6, v5, vcc
	s_waitcnt lgkmcnt(0)
	global_store_dword v[4:5], v2, off
	s_or_b64 exec, exec, s[2:3]
	v_cmp_gt_u32_e32 vcc, s33, v16
                                        ; implicit-def: $vgpr14_vgpr15
	s_and_saveexec_b64 s[2:3], vcc
	s_cbranch_execz .LBB90_168
.LBB90_163:
	v_cmp_ge_u32_e32 vcc, v16, v10
                                        ; implicit-def: $vgpr14_vgpr15
	s_and_saveexec_b64 s[6:7], vcc
	s_xor_b64 s[6:7], exec, s[6:7]
	s_cbranch_execz .LBB90_165
; %bb.164:
	s_waitcnt lgkmcnt(0)
	v_xor_b32_e32 v2, 0xfffff6ff, v0
	v_ashrrev_i32_e32 v4, 31, v2
	v_add_co_u32_e32 v14, vcc, v17, v2
	v_addc_co_u32_e32 v15, vcc, v18, v4, vcc
                                        ; implicit-def: $vgpr16
.LBB90_165:
	s_andn2_saveexec_b64 s[6:7], s[6:7]
; %bb.166:
	v_add_co_u32_e32 v14, vcc, v1, v16
	v_addc_co_u32_e32 v15, vcc, 0, v11, vcc
; %bb.167:
	s_or_b64 exec, exec, s[6:7]
	s_or_b64 s[0:1], s[0:1], exec
.LBB90_168:
	s_or_b64 exec, exec, s[2:3]
.LBB90_169:
	s_and_saveexec_b64 s[2:3], s[0:1]
	s_cbranch_execz .LBB90_171
; %bb.170:
	s_waitcnt lgkmcnt(1)
	v_lshlrev_b64 v[4:5], 2, v[14:15]
	s_waitcnt lgkmcnt(0)
	v_mov_b32_e32 v2, s5
	v_add_co_u32_e32 v4, vcc, s4, v4
	v_addc_co_u32_e32 v5, vcc, v2, v5, vcc
	global_store_dword v[4:5], v3, off
.LBB90_171:
	s_or_b64 exec, exec, s[2:3]
	v_cmp_eq_u32_e32 vcc, 0, v0
	s_and_b64 s[0:1], vcc, s[26:27]
	s_and_saveexec_b64 s[2:3], s[0:1]
	s_cbranch_execz .LBB90_173
; %bb.172:
	v_add_co_u32_e32 v0, vcc, v1, v10
	s_waitcnt lgkmcnt(0)
	v_mov_b32_e32 v2, 0
	v_addc_co_u32_e32 v1, vcc, 0, v11, vcc
	global_store_dwordx2 v2, v[0:1], s[24:25]
.LBB90_173:
	s_endpgm
	.section	.rodata,"a",@progbits
	.p2align	6, 0x0
	.amdhsa_kernel _ZN7rocprim17ROCPRIM_400000_NS6detail17trampoline_kernelINS0_14default_configENS1_25partition_config_selectorILNS1_17partition_subalgoE3EiNS0_10empty_typeEbEEZZNS1_14partition_implILS5_3ELb0ES3_jN6thrust23THRUST_200600_302600_NS6detail15normal_iteratorINSA_7pointerIiNSA_11hip_rocprim3tagENSA_11use_defaultESG_EEEEPS6_SJ_NS0_5tupleIJPiSJ_EEENSK_IJSJ_SJ_EEES6_PlJ7is_evenIiEEEE10hipError_tPvRmT3_T4_T5_T6_T7_T9_mT8_P12ihipStream_tbDpT10_ENKUlT_T0_E_clISt17integral_constantIbLb0EES1A_EEDaS15_S16_EUlS15_E_NS1_11comp_targetILNS1_3genE4ELNS1_11target_archE910ELNS1_3gpuE8ELNS1_3repE0EEENS1_30default_config_static_selectorELNS0_4arch9wavefront6targetE1EEEvT1_
		.amdhsa_group_segment_fixed_size 10248
		.amdhsa_private_segment_fixed_size 0
		.amdhsa_kernarg_size 120
		.amdhsa_user_sgpr_count 6
		.amdhsa_user_sgpr_private_segment_buffer 1
		.amdhsa_user_sgpr_dispatch_ptr 0
		.amdhsa_user_sgpr_queue_ptr 0
		.amdhsa_user_sgpr_kernarg_segment_ptr 1
		.amdhsa_user_sgpr_dispatch_id 0
		.amdhsa_user_sgpr_flat_scratch_init 0
		.amdhsa_user_sgpr_kernarg_preload_length 0
		.amdhsa_user_sgpr_kernarg_preload_offset 0
		.amdhsa_user_sgpr_private_segment_size 0
		.amdhsa_uses_dynamic_stack 0
		.amdhsa_system_sgpr_private_segment_wavefront_offset 0
		.amdhsa_system_sgpr_workgroup_id_x 1
		.amdhsa_system_sgpr_workgroup_id_y 0
		.amdhsa_system_sgpr_workgroup_id_z 0
		.amdhsa_system_sgpr_workgroup_info 0
		.amdhsa_system_vgpr_workitem_id 0
		.amdhsa_next_free_vgpr 54
		.amdhsa_next_free_sgpr 46
		.amdhsa_accum_offset 56
		.amdhsa_reserve_vcc 1
		.amdhsa_reserve_flat_scratch 0
		.amdhsa_float_round_mode_32 0
		.amdhsa_float_round_mode_16_64 0
		.amdhsa_float_denorm_mode_32 3
		.amdhsa_float_denorm_mode_16_64 3
		.amdhsa_dx10_clamp 1
		.amdhsa_ieee_mode 1
		.amdhsa_fp16_overflow 0
		.amdhsa_tg_split 0
		.amdhsa_exception_fp_ieee_invalid_op 0
		.amdhsa_exception_fp_denorm_src 0
		.amdhsa_exception_fp_ieee_div_zero 0
		.amdhsa_exception_fp_ieee_overflow 0
		.amdhsa_exception_fp_ieee_underflow 0
		.amdhsa_exception_fp_ieee_inexact 0
		.amdhsa_exception_int_div_zero 0
	.end_amdhsa_kernel
	.section	.text._ZN7rocprim17ROCPRIM_400000_NS6detail17trampoline_kernelINS0_14default_configENS1_25partition_config_selectorILNS1_17partition_subalgoE3EiNS0_10empty_typeEbEEZZNS1_14partition_implILS5_3ELb0ES3_jN6thrust23THRUST_200600_302600_NS6detail15normal_iteratorINSA_7pointerIiNSA_11hip_rocprim3tagENSA_11use_defaultESG_EEEEPS6_SJ_NS0_5tupleIJPiSJ_EEENSK_IJSJ_SJ_EEES6_PlJ7is_evenIiEEEE10hipError_tPvRmT3_T4_T5_T6_T7_T9_mT8_P12ihipStream_tbDpT10_ENKUlT_T0_E_clISt17integral_constantIbLb0EES1A_EEDaS15_S16_EUlS15_E_NS1_11comp_targetILNS1_3genE4ELNS1_11target_archE910ELNS1_3gpuE8ELNS1_3repE0EEENS1_30default_config_static_selectorELNS0_4arch9wavefront6targetE1EEEvT1_,"axG",@progbits,_ZN7rocprim17ROCPRIM_400000_NS6detail17trampoline_kernelINS0_14default_configENS1_25partition_config_selectorILNS1_17partition_subalgoE3EiNS0_10empty_typeEbEEZZNS1_14partition_implILS5_3ELb0ES3_jN6thrust23THRUST_200600_302600_NS6detail15normal_iteratorINSA_7pointerIiNSA_11hip_rocprim3tagENSA_11use_defaultESG_EEEEPS6_SJ_NS0_5tupleIJPiSJ_EEENSK_IJSJ_SJ_EEES6_PlJ7is_evenIiEEEE10hipError_tPvRmT3_T4_T5_T6_T7_T9_mT8_P12ihipStream_tbDpT10_ENKUlT_T0_E_clISt17integral_constantIbLb0EES1A_EEDaS15_S16_EUlS15_E_NS1_11comp_targetILNS1_3genE4ELNS1_11target_archE910ELNS1_3gpuE8ELNS1_3repE0EEENS1_30default_config_static_selectorELNS0_4arch9wavefront6targetE1EEEvT1_,comdat
.Lfunc_end90:
	.size	_ZN7rocprim17ROCPRIM_400000_NS6detail17trampoline_kernelINS0_14default_configENS1_25partition_config_selectorILNS1_17partition_subalgoE3EiNS0_10empty_typeEbEEZZNS1_14partition_implILS5_3ELb0ES3_jN6thrust23THRUST_200600_302600_NS6detail15normal_iteratorINSA_7pointerIiNSA_11hip_rocprim3tagENSA_11use_defaultESG_EEEEPS6_SJ_NS0_5tupleIJPiSJ_EEENSK_IJSJ_SJ_EEES6_PlJ7is_evenIiEEEE10hipError_tPvRmT3_T4_T5_T6_T7_T9_mT8_P12ihipStream_tbDpT10_ENKUlT_T0_E_clISt17integral_constantIbLb0EES1A_EEDaS15_S16_EUlS15_E_NS1_11comp_targetILNS1_3genE4ELNS1_11target_archE910ELNS1_3gpuE8ELNS1_3repE0EEENS1_30default_config_static_selectorELNS0_4arch9wavefront6targetE1EEEvT1_, .Lfunc_end90-_ZN7rocprim17ROCPRIM_400000_NS6detail17trampoline_kernelINS0_14default_configENS1_25partition_config_selectorILNS1_17partition_subalgoE3EiNS0_10empty_typeEbEEZZNS1_14partition_implILS5_3ELb0ES3_jN6thrust23THRUST_200600_302600_NS6detail15normal_iteratorINSA_7pointerIiNSA_11hip_rocprim3tagENSA_11use_defaultESG_EEEEPS6_SJ_NS0_5tupleIJPiSJ_EEENSK_IJSJ_SJ_EEES6_PlJ7is_evenIiEEEE10hipError_tPvRmT3_T4_T5_T6_T7_T9_mT8_P12ihipStream_tbDpT10_ENKUlT_T0_E_clISt17integral_constantIbLb0EES1A_EEDaS15_S16_EUlS15_E_NS1_11comp_targetILNS1_3genE4ELNS1_11target_archE910ELNS1_3gpuE8ELNS1_3repE0EEENS1_30default_config_static_selectorELNS0_4arch9wavefront6targetE1EEEvT1_
                                        ; -- End function
	.section	.AMDGPU.csdata,"",@progbits
; Kernel info:
; codeLenInByte = 6108
; NumSgprs: 50
; NumVgprs: 54
; NumAgprs: 0
; TotalNumVgprs: 54
; ScratchSize: 0
; MemoryBound: 0
; FloatMode: 240
; IeeeMode: 1
; LDSByteSize: 10248 bytes/workgroup (compile time only)
; SGPRBlocks: 6
; VGPRBlocks: 6
; NumSGPRsForWavesPerEU: 50
; NumVGPRsForWavesPerEU: 54
; AccumOffset: 56
; Occupancy: 6
; WaveLimiterHint : 1
; COMPUTE_PGM_RSRC2:SCRATCH_EN: 0
; COMPUTE_PGM_RSRC2:USER_SGPR: 6
; COMPUTE_PGM_RSRC2:TRAP_HANDLER: 0
; COMPUTE_PGM_RSRC2:TGID_X_EN: 1
; COMPUTE_PGM_RSRC2:TGID_Y_EN: 0
; COMPUTE_PGM_RSRC2:TGID_Z_EN: 0
; COMPUTE_PGM_RSRC2:TIDIG_COMP_CNT: 0
; COMPUTE_PGM_RSRC3_GFX90A:ACCUM_OFFSET: 13
; COMPUTE_PGM_RSRC3_GFX90A:TG_SPLIT: 0
	.section	.text._ZN7rocprim17ROCPRIM_400000_NS6detail17trampoline_kernelINS0_14default_configENS1_25partition_config_selectorILNS1_17partition_subalgoE3EiNS0_10empty_typeEbEEZZNS1_14partition_implILS5_3ELb0ES3_jN6thrust23THRUST_200600_302600_NS6detail15normal_iteratorINSA_7pointerIiNSA_11hip_rocprim3tagENSA_11use_defaultESG_EEEEPS6_SJ_NS0_5tupleIJPiSJ_EEENSK_IJSJ_SJ_EEES6_PlJ7is_evenIiEEEE10hipError_tPvRmT3_T4_T5_T6_T7_T9_mT8_P12ihipStream_tbDpT10_ENKUlT_T0_E_clISt17integral_constantIbLb0EES1A_EEDaS15_S16_EUlS15_E_NS1_11comp_targetILNS1_3genE3ELNS1_11target_archE908ELNS1_3gpuE7ELNS1_3repE0EEENS1_30default_config_static_selectorELNS0_4arch9wavefront6targetE1EEEvT1_,"axG",@progbits,_ZN7rocprim17ROCPRIM_400000_NS6detail17trampoline_kernelINS0_14default_configENS1_25partition_config_selectorILNS1_17partition_subalgoE3EiNS0_10empty_typeEbEEZZNS1_14partition_implILS5_3ELb0ES3_jN6thrust23THRUST_200600_302600_NS6detail15normal_iteratorINSA_7pointerIiNSA_11hip_rocprim3tagENSA_11use_defaultESG_EEEEPS6_SJ_NS0_5tupleIJPiSJ_EEENSK_IJSJ_SJ_EEES6_PlJ7is_evenIiEEEE10hipError_tPvRmT3_T4_T5_T6_T7_T9_mT8_P12ihipStream_tbDpT10_ENKUlT_T0_E_clISt17integral_constantIbLb0EES1A_EEDaS15_S16_EUlS15_E_NS1_11comp_targetILNS1_3genE3ELNS1_11target_archE908ELNS1_3gpuE7ELNS1_3repE0EEENS1_30default_config_static_selectorELNS0_4arch9wavefront6targetE1EEEvT1_,comdat
	.protected	_ZN7rocprim17ROCPRIM_400000_NS6detail17trampoline_kernelINS0_14default_configENS1_25partition_config_selectorILNS1_17partition_subalgoE3EiNS0_10empty_typeEbEEZZNS1_14partition_implILS5_3ELb0ES3_jN6thrust23THRUST_200600_302600_NS6detail15normal_iteratorINSA_7pointerIiNSA_11hip_rocprim3tagENSA_11use_defaultESG_EEEEPS6_SJ_NS0_5tupleIJPiSJ_EEENSK_IJSJ_SJ_EEES6_PlJ7is_evenIiEEEE10hipError_tPvRmT3_T4_T5_T6_T7_T9_mT8_P12ihipStream_tbDpT10_ENKUlT_T0_E_clISt17integral_constantIbLb0EES1A_EEDaS15_S16_EUlS15_E_NS1_11comp_targetILNS1_3genE3ELNS1_11target_archE908ELNS1_3gpuE7ELNS1_3repE0EEENS1_30default_config_static_selectorELNS0_4arch9wavefront6targetE1EEEvT1_ ; -- Begin function _ZN7rocprim17ROCPRIM_400000_NS6detail17trampoline_kernelINS0_14default_configENS1_25partition_config_selectorILNS1_17partition_subalgoE3EiNS0_10empty_typeEbEEZZNS1_14partition_implILS5_3ELb0ES3_jN6thrust23THRUST_200600_302600_NS6detail15normal_iteratorINSA_7pointerIiNSA_11hip_rocprim3tagENSA_11use_defaultESG_EEEEPS6_SJ_NS0_5tupleIJPiSJ_EEENSK_IJSJ_SJ_EEES6_PlJ7is_evenIiEEEE10hipError_tPvRmT3_T4_T5_T6_T7_T9_mT8_P12ihipStream_tbDpT10_ENKUlT_T0_E_clISt17integral_constantIbLb0EES1A_EEDaS15_S16_EUlS15_E_NS1_11comp_targetILNS1_3genE3ELNS1_11target_archE908ELNS1_3gpuE7ELNS1_3repE0EEENS1_30default_config_static_selectorELNS0_4arch9wavefront6targetE1EEEvT1_
	.globl	_ZN7rocprim17ROCPRIM_400000_NS6detail17trampoline_kernelINS0_14default_configENS1_25partition_config_selectorILNS1_17partition_subalgoE3EiNS0_10empty_typeEbEEZZNS1_14partition_implILS5_3ELb0ES3_jN6thrust23THRUST_200600_302600_NS6detail15normal_iteratorINSA_7pointerIiNSA_11hip_rocprim3tagENSA_11use_defaultESG_EEEEPS6_SJ_NS0_5tupleIJPiSJ_EEENSK_IJSJ_SJ_EEES6_PlJ7is_evenIiEEEE10hipError_tPvRmT3_T4_T5_T6_T7_T9_mT8_P12ihipStream_tbDpT10_ENKUlT_T0_E_clISt17integral_constantIbLb0EES1A_EEDaS15_S16_EUlS15_E_NS1_11comp_targetILNS1_3genE3ELNS1_11target_archE908ELNS1_3gpuE7ELNS1_3repE0EEENS1_30default_config_static_selectorELNS0_4arch9wavefront6targetE1EEEvT1_
	.p2align	8
	.type	_ZN7rocprim17ROCPRIM_400000_NS6detail17trampoline_kernelINS0_14default_configENS1_25partition_config_selectorILNS1_17partition_subalgoE3EiNS0_10empty_typeEbEEZZNS1_14partition_implILS5_3ELb0ES3_jN6thrust23THRUST_200600_302600_NS6detail15normal_iteratorINSA_7pointerIiNSA_11hip_rocprim3tagENSA_11use_defaultESG_EEEEPS6_SJ_NS0_5tupleIJPiSJ_EEENSK_IJSJ_SJ_EEES6_PlJ7is_evenIiEEEE10hipError_tPvRmT3_T4_T5_T6_T7_T9_mT8_P12ihipStream_tbDpT10_ENKUlT_T0_E_clISt17integral_constantIbLb0EES1A_EEDaS15_S16_EUlS15_E_NS1_11comp_targetILNS1_3genE3ELNS1_11target_archE908ELNS1_3gpuE7ELNS1_3repE0EEENS1_30default_config_static_selectorELNS0_4arch9wavefront6targetE1EEEvT1_,@function
_ZN7rocprim17ROCPRIM_400000_NS6detail17trampoline_kernelINS0_14default_configENS1_25partition_config_selectorILNS1_17partition_subalgoE3EiNS0_10empty_typeEbEEZZNS1_14partition_implILS5_3ELb0ES3_jN6thrust23THRUST_200600_302600_NS6detail15normal_iteratorINSA_7pointerIiNSA_11hip_rocprim3tagENSA_11use_defaultESG_EEEEPS6_SJ_NS0_5tupleIJPiSJ_EEENSK_IJSJ_SJ_EEES6_PlJ7is_evenIiEEEE10hipError_tPvRmT3_T4_T5_T6_T7_T9_mT8_P12ihipStream_tbDpT10_ENKUlT_T0_E_clISt17integral_constantIbLb0EES1A_EEDaS15_S16_EUlS15_E_NS1_11comp_targetILNS1_3genE3ELNS1_11target_archE908ELNS1_3gpuE7ELNS1_3repE0EEENS1_30default_config_static_selectorELNS0_4arch9wavefront6targetE1EEEvT1_: ; @_ZN7rocprim17ROCPRIM_400000_NS6detail17trampoline_kernelINS0_14default_configENS1_25partition_config_selectorILNS1_17partition_subalgoE3EiNS0_10empty_typeEbEEZZNS1_14partition_implILS5_3ELb0ES3_jN6thrust23THRUST_200600_302600_NS6detail15normal_iteratorINSA_7pointerIiNSA_11hip_rocprim3tagENSA_11use_defaultESG_EEEEPS6_SJ_NS0_5tupleIJPiSJ_EEENSK_IJSJ_SJ_EEES6_PlJ7is_evenIiEEEE10hipError_tPvRmT3_T4_T5_T6_T7_T9_mT8_P12ihipStream_tbDpT10_ENKUlT_T0_E_clISt17integral_constantIbLb0EES1A_EEDaS15_S16_EUlS15_E_NS1_11comp_targetILNS1_3genE3ELNS1_11target_archE908ELNS1_3gpuE7ELNS1_3repE0EEENS1_30default_config_static_selectorELNS0_4arch9wavefront6targetE1EEEvT1_
; %bb.0:
	.section	.rodata,"a",@progbits
	.p2align	6, 0x0
	.amdhsa_kernel _ZN7rocprim17ROCPRIM_400000_NS6detail17trampoline_kernelINS0_14default_configENS1_25partition_config_selectorILNS1_17partition_subalgoE3EiNS0_10empty_typeEbEEZZNS1_14partition_implILS5_3ELb0ES3_jN6thrust23THRUST_200600_302600_NS6detail15normal_iteratorINSA_7pointerIiNSA_11hip_rocprim3tagENSA_11use_defaultESG_EEEEPS6_SJ_NS0_5tupleIJPiSJ_EEENSK_IJSJ_SJ_EEES6_PlJ7is_evenIiEEEE10hipError_tPvRmT3_T4_T5_T6_T7_T9_mT8_P12ihipStream_tbDpT10_ENKUlT_T0_E_clISt17integral_constantIbLb0EES1A_EEDaS15_S16_EUlS15_E_NS1_11comp_targetILNS1_3genE3ELNS1_11target_archE908ELNS1_3gpuE7ELNS1_3repE0EEENS1_30default_config_static_selectorELNS0_4arch9wavefront6targetE1EEEvT1_
		.amdhsa_group_segment_fixed_size 0
		.amdhsa_private_segment_fixed_size 0
		.amdhsa_kernarg_size 120
		.amdhsa_user_sgpr_count 6
		.amdhsa_user_sgpr_private_segment_buffer 1
		.amdhsa_user_sgpr_dispatch_ptr 0
		.amdhsa_user_sgpr_queue_ptr 0
		.amdhsa_user_sgpr_kernarg_segment_ptr 1
		.amdhsa_user_sgpr_dispatch_id 0
		.amdhsa_user_sgpr_flat_scratch_init 0
		.amdhsa_user_sgpr_kernarg_preload_length 0
		.amdhsa_user_sgpr_kernarg_preload_offset 0
		.amdhsa_user_sgpr_private_segment_size 0
		.amdhsa_uses_dynamic_stack 0
		.amdhsa_system_sgpr_private_segment_wavefront_offset 0
		.amdhsa_system_sgpr_workgroup_id_x 1
		.amdhsa_system_sgpr_workgroup_id_y 0
		.amdhsa_system_sgpr_workgroup_id_z 0
		.amdhsa_system_sgpr_workgroup_info 0
		.amdhsa_system_vgpr_workitem_id 0
		.amdhsa_next_free_vgpr 1
		.amdhsa_next_free_sgpr 0
		.amdhsa_accum_offset 4
		.amdhsa_reserve_vcc 0
		.amdhsa_reserve_flat_scratch 0
		.amdhsa_float_round_mode_32 0
		.amdhsa_float_round_mode_16_64 0
		.amdhsa_float_denorm_mode_32 3
		.amdhsa_float_denorm_mode_16_64 3
		.amdhsa_dx10_clamp 1
		.amdhsa_ieee_mode 1
		.amdhsa_fp16_overflow 0
		.amdhsa_tg_split 0
		.amdhsa_exception_fp_ieee_invalid_op 0
		.amdhsa_exception_fp_denorm_src 0
		.amdhsa_exception_fp_ieee_div_zero 0
		.amdhsa_exception_fp_ieee_overflow 0
		.amdhsa_exception_fp_ieee_underflow 0
		.amdhsa_exception_fp_ieee_inexact 0
		.amdhsa_exception_int_div_zero 0
	.end_amdhsa_kernel
	.section	.text._ZN7rocprim17ROCPRIM_400000_NS6detail17trampoline_kernelINS0_14default_configENS1_25partition_config_selectorILNS1_17partition_subalgoE3EiNS0_10empty_typeEbEEZZNS1_14partition_implILS5_3ELb0ES3_jN6thrust23THRUST_200600_302600_NS6detail15normal_iteratorINSA_7pointerIiNSA_11hip_rocprim3tagENSA_11use_defaultESG_EEEEPS6_SJ_NS0_5tupleIJPiSJ_EEENSK_IJSJ_SJ_EEES6_PlJ7is_evenIiEEEE10hipError_tPvRmT3_T4_T5_T6_T7_T9_mT8_P12ihipStream_tbDpT10_ENKUlT_T0_E_clISt17integral_constantIbLb0EES1A_EEDaS15_S16_EUlS15_E_NS1_11comp_targetILNS1_3genE3ELNS1_11target_archE908ELNS1_3gpuE7ELNS1_3repE0EEENS1_30default_config_static_selectorELNS0_4arch9wavefront6targetE1EEEvT1_,"axG",@progbits,_ZN7rocprim17ROCPRIM_400000_NS6detail17trampoline_kernelINS0_14default_configENS1_25partition_config_selectorILNS1_17partition_subalgoE3EiNS0_10empty_typeEbEEZZNS1_14partition_implILS5_3ELb0ES3_jN6thrust23THRUST_200600_302600_NS6detail15normal_iteratorINSA_7pointerIiNSA_11hip_rocprim3tagENSA_11use_defaultESG_EEEEPS6_SJ_NS0_5tupleIJPiSJ_EEENSK_IJSJ_SJ_EEES6_PlJ7is_evenIiEEEE10hipError_tPvRmT3_T4_T5_T6_T7_T9_mT8_P12ihipStream_tbDpT10_ENKUlT_T0_E_clISt17integral_constantIbLb0EES1A_EEDaS15_S16_EUlS15_E_NS1_11comp_targetILNS1_3genE3ELNS1_11target_archE908ELNS1_3gpuE7ELNS1_3repE0EEENS1_30default_config_static_selectorELNS0_4arch9wavefront6targetE1EEEvT1_,comdat
.Lfunc_end91:
	.size	_ZN7rocprim17ROCPRIM_400000_NS6detail17trampoline_kernelINS0_14default_configENS1_25partition_config_selectorILNS1_17partition_subalgoE3EiNS0_10empty_typeEbEEZZNS1_14partition_implILS5_3ELb0ES3_jN6thrust23THRUST_200600_302600_NS6detail15normal_iteratorINSA_7pointerIiNSA_11hip_rocprim3tagENSA_11use_defaultESG_EEEEPS6_SJ_NS0_5tupleIJPiSJ_EEENSK_IJSJ_SJ_EEES6_PlJ7is_evenIiEEEE10hipError_tPvRmT3_T4_T5_T6_T7_T9_mT8_P12ihipStream_tbDpT10_ENKUlT_T0_E_clISt17integral_constantIbLb0EES1A_EEDaS15_S16_EUlS15_E_NS1_11comp_targetILNS1_3genE3ELNS1_11target_archE908ELNS1_3gpuE7ELNS1_3repE0EEENS1_30default_config_static_selectorELNS0_4arch9wavefront6targetE1EEEvT1_, .Lfunc_end91-_ZN7rocprim17ROCPRIM_400000_NS6detail17trampoline_kernelINS0_14default_configENS1_25partition_config_selectorILNS1_17partition_subalgoE3EiNS0_10empty_typeEbEEZZNS1_14partition_implILS5_3ELb0ES3_jN6thrust23THRUST_200600_302600_NS6detail15normal_iteratorINSA_7pointerIiNSA_11hip_rocprim3tagENSA_11use_defaultESG_EEEEPS6_SJ_NS0_5tupleIJPiSJ_EEENSK_IJSJ_SJ_EEES6_PlJ7is_evenIiEEEE10hipError_tPvRmT3_T4_T5_T6_T7_T9_mT8_P12ihipStream_tbDpT10_ENKUlT_T0_E_clISt17integral_constantIbLb0EES1A_EEDaS15_S16_EUlS15_E_NS1_11comp_targetILNS1_3genE3ELNS1_11target_archE908ELNS1_3gpuE7ELNS1_3repE0EEENS1_30default_config_static_selectorELNS0_4arch9wavefront6targetE1EEEvT1_
                                        ; -- End function
	.section	.AMDGPU.csdata,"",@progbits
; Kernel info:
; codeLenInByte = 0
; NumSgprs: 4
; NumVgprs: 0
; NumAgprs: 0
; TotalNumVgprs: 0
; ScratchSize: 0
; MemoryBound: 0
; FloatMode: 240
; IeeeMode: 1
; LDSByteSize: 0 bytes/workgroup (compile time only)
; SGPRBlocks: 0
; VGPRBlocks: 0
; NumSGPRsForWavesPerEU: 4
; NumVGPRsForWavesPerEU: 1
; AccumOffset: 4
; Occupancy: 8
; WaveLimiterHint : 0
; COMPUTE_PGM_RSRC2:SCRATCH_EN: 0
; COMPUTE_PGM_RSRC2:USER_SGPR: 6
; COMPUTE_PGM_RSRC2:TRAP_HANDLER: 0
; COMPUTE_PGM_RSRC2:TGID_X_EN: 1
; COMPUTE_PGM_RSRC2:TGID_Y_EN: 0
; COMPUTE_PGM_RSRC2:TGID_Z_EN: 0
; COMPUTE_PGM_RSRC2:TIDIG_COMP_CNT: 0
; COMPUTE_PGM_RSRC3_GFX90A:ACCUM_OFFSET: 0
; COMPUTE_PGM_RSRC3_GFX90A:TG_SPLIT: 0
	.section	.text._ZN7rocprim17ROCPRIM_400000_NS6detail17trampoline_kernelINS0_14default_configENS1_25partition_config_selectorILNS1_17partition_subalgoE3EiNS0_10empty_typeEbEEZZNS1_14partition_implILS5_3ELb0ES3_jN6thrust23THRUST_200600_302600_NS6detail15normal_iteratorINSA_7pointerIiNSA_11hip_rocprim3tagENSA_11use_defaultESG_EEEEPS6_SJ_NS0_5tupleIJPiSJ_EEENSK_IJSJ_SJ_EEES6_PlJ7is_evenIiEEEE10hipError_tPvRmT3_T4_T5_T6_T7_T9_mT8_P12ihipStream_tbDpT10_ENKUlT_T0_E_clISt17integral_constantIbLb0EES1A_EEDaS15_S16_EUlS15_E_NS1_11comp_targetILNS1_3genE2ELNS1_11target_archE906ELNS1_3gpuE6ELNS1_3repE0EEENS1_30default_config_static_selectorELNS0_4arch9wavefront6targetE1EEEvT1_,"axG",@progbits,_ZN7rocprim17ROCPRIM_400000_NS6detail17trampoline_kernelINS0_14default_configENS1_25partition_config_selectorILNS1_17partition_subalgoE3EiNS0_10empty_typeEbEEZZNS1_14partition_implILS5_3ELb0ES3_jN6thrust23THRUST_200600_302600_NS6detail15normal_iteratorINSA_7pointerIiNSA_11hip_rocprim3tagENSA_11use_defaultESG_EEEEPS6_SJ_NS0_5tupleIJPiSJ_EEENSK_IJSJ_SJ_EEES6_PlJ7is_evenIiEEEE10hipError_tPvRmT3_T4_T5_T6_T7_T9_mT8_P12ihipStream_tbDpT10_ENKUlT_T0_E_clISt17integral_constantIbLb0EES1A_EEDaS15_S16_EUlS15_E_NS1_11comp_targetILNS1_3genE2ELNS1_11target_archE906ELNS1_3gpuE6ELNS1_3repE0EEENS1_30default_config_static_selectorELNS0_4arch9wavefront6targetE1EEEvT1_,comdat
	.protected	_ZN7rocprim17ROCPRIM_400000_NS6detail17trampoline_kernelINS0_14default_configENS1_25partition_config_selectorILNS1_17partition_subalgoE3EiNS0_10empty_typeEbEEZZNS1_14partition_implILS5_3ELb0ES3_jN6thrust23THRUST_200600_302600_NS6detail15normal_iteratorINSA_7pointerIiNSA_11hip_rocprim3tagENSA_11use_defaultESG_EEEEPS6_SJ_NS0_5tupleIJPiSJ_EEENSK_IJSJ_SJ_EEES6_PlJ7is_evenIiEEEE10hipError_tPvRmT3_T4_T5_T6_T7_T9_mT8_P12ihipStream_tbDpT10_ENKUlT_T0_E_clISt17integral_constantIbLb0EES1A_EEDaS15_S16_EUlS15_E_NS1_11comp_targetILNS1_3genE2ELNS1_11target_archE906ELNS1_3gpuE6ELNS1_3repE0EEENS1_30default_config_static_selectorELNS0_4arch9wavefront6targetE1EEEvT1_ ; -- Begin function _ZN7rocprim17ROCPRIM_400000_NS6detail17trampoline_kernelINS0_14default_configENS1_25partition_config_selectorILNS1_17partition_subalgoE3EiNS0_10empty_typeEbEEZZNS1_14partition_implILS5_3ELb0ES3_jN6thrust23THRUST_200600_302600_NS6detail15normal_iteratorINSA_7pointerIiNSA_11hip_rocprim3tagENSA_11use_defaultESG_EEEEPS6_SJ_NS0_5tupleIJPiSJ_EEENSK_IJSJ_SJ_EEES6_PlJ7is_evenIiEEEE10hipError_tPvRmT3_T4_T5_T6_T7_T9_mT8_P12ihipStream_tbDpT10_ENKUlT_T0_E_clISt17integral_constantIbLb0EES1A_EEDaS15_S16_EUlS15_E_NS1_11comp_targetILNS1_3genE2ELNS1_11target_archE906ELNS1_3gpuE6ELNS1_3repE0EEENS1_30default_config_static_selectorELNS0_4arch9wavefront6targetE1EEEvT1_
	.globl	_ZN7rocprim17ROCPRIM_400000_NS6detail17trampoline_kernelINS0_14default_configENS1_25partition_config_selectorILNS1_17partition_subalgoE3EiNS0_10empty_typeEbEEZZNS1_14partition_implILS5_3ELb0ES3_jN6thrust23THRUST_200600_302600_NS6detail15normal_iteratorINSA_7pointerIiNSA_11hip_rocprim3tagENSA_11use_defaultESG_EEEEPS6_SJ_NS0_5tupleIJPiSJ_EEENSK_IJSJ_SJ_EEES6_PlJ7is_evenIiEEEE10hipError_tPvRmT3_T4_T5_T6_T7_T9_mT8_P12ihipStream_tbDpT10_ENKUlT_T0_E_clISt17integral_constantIbLb0EES1A_EEDaS15_S16_EUlS15_E_NS1_11comp_targetILNS1_3genE2ELNS1_11target_archE906ELNS1_3gpuE6ELNS1_3repE0EEENS1_30default_config_static_selectorELNS0_4arch9wavefront6targetE1EEEvT1_
	.p2align	8
	.type	_ZN7rocprim17ROCPRIM_400000_NS6detail17trampoline_kernelINS0_14default_configENS1_25partition_config_selectorILNS1_17partition_subalgoE3EiNS0_10empty_typeEbEEZZNS1_14partition_implILS5_3ELb0ES3_jN6thrust23THRUST_200600_302600_NS6detail15normal_iteratorINSA_7pointerIiNSA_11hip_rocprim3tagENSA_11use_defaultESG_EEEEPS6_SJ_NS0_5tupleIJPiSJ_EEENSK_IJSJ_SJ_EEES6_PlJ7is_evenIiEEEE10hipError_tPvRmT3_T4_T5_T6_T7_T9_mT8_P12ihipStream_tbDpT10_ENKUlT_T0_E_clISt17integral_constantIbLb0EES1A_EEDaS15_S16_EUlS15_E_NS1_11comp_targetILNS1_3genE2ELNS1_11target_archE906ELNS1_3gpuE6ELNS1_3repE0EEENS1_30default_config_static_selectorELNS0_4arch9wavefront6targetE1EEEvT1_,@function
_ZN7rocprim17ROCPRIM_400000_NS6detail17trampoline_kernelINS0_14default_configENS1_25partition_config_selectorILNS1_17partition_subalgoE3EiNS0_10empty_typeEbEEZZNS1_14partition_implILS5_3ELb0ES3_jN6thrust23THRUST_200600_302600_NS6detail15normal_iteratorINSA_7pointerIiNSA_11hip_rocprim3tagENSA_11use_defaultESG_EEEEPS6_SJ_NS0_5tupleIJPiSJ_EEENSK_IJSJ_SJ_EEES6_PlJ7is_evenIiEEEE10hipError_tPvRmT3_T4_T5_T6_T7_T9_mT8_P12ihipStream_tbDpT10_ENKUlT_T0_E_clISt17integral_constantIbLb0EES1A_EEDaS15_S16_EUlS15_E_NS1_11comp_targetILNS1_3genE2ELNS1_11target_archE906ELNS1_3gpuE6ELNS1_3repE0EEENS1_30default_config_static_selectorELNS0_4arch9wavefront6targetE1EEEvT1_: ; @_ZN7rocprim17ROCPRIM_400000_NS6detail17trampoline_kernelINS0_14default_configENS1_25partition_config_selectorILNS1_17partition_subalgoE3EiNS0_10empty_typeEbEEZZNS1_14partition_implILS5_3ELb0ES3_jN6thrust23THRUST_200600_302600_NS6detail15normal_iteratorINSA_7pointerIiNSA_11hip_rocprim3tagENSA_11use_defaultESG_EEEEPS6_SJ_NS0_5tupleIJPiSJ_EEENSK_IJSJ_SJ_EEES6_PlJ7is_evenIiEEEE10hipError_tPvRmT3_T4_T5_T6_T7_T9_mT8_P12ihipStream_tbDpT10_ENKUlT_T0_E_clISt17integral_constantIbLb0EES1A_EEDaS15_S16_EUlS15_E_NS1_11comp_targetILNS1_3genE2ELNS1_11target_archE906ELNS1_3gpuE6ELNS1_3repE0EEENS1_30default_config_static_selectorELNS0_4arch9wavefront6targetE1EEEvT1_
; %bb.0:
	.section	.rodata,"a",@progbits
	.p2align	6, 0x0
	.amdhsa_kernel _ZN7rocprim17ROCPRIM_400000_NS6detail17trampoline_kernelINS0_14default_configENS1_25partition_config_selectorILNS1_17partition_subalgoE3EiNS0_10empty_typeEbEEZZNS1_14partition_implILS5_3ELb0ES3_jN6thrust23THRUST_200600_302600_NS6detail15normal_iteratorINSA_7pointerIiNSA_11hip_rocprim3tagENSA_11use_defaultESG_EEEEPS6_SJ_NS0_5tupleIJPiSJ_EEENSK_IJSJ_SJ_EEES6_PlJ7is_evenIiEEEE10hipError_tPvRmT3_T4_T5_T6_T7_T9_mT8_P12ihipStream_tbDpT10_ENKUlT_T0_E_clISt17integral_constantIbLb0EES1A_EEDaS15_S16_EUlS15_E_NS1_11comp_targetILNS1_3genE2ELNS1_11target_archE906ELNS1_3gpuE6ELNS1_3repE0EEENS1_30default_config_static_selectorELNS0_4arch9wavefront6targetE1EEEvT1_
		.amdhsa_group_segment_fixed_size 0
		.amdhsa_private_segment_fixed_size 0
		.amdhsa_kernarg_size 120
		.amdhsa_user_sgpr_count 6
		.amdhsa_user_sgpr_private_segment_buffer 1
		.amdhsa_user_sgpr_dispatch_ptr 0
		.amdhsa_user_sgpr_queue_ptr 0
		.amdhsa_user_sgpr_kernarg_segment_ptr 1
		.amdhsa_user_sgpr_dispatch_id 0
		.amdhsa_user_sgpr_flat_scratch_init 0
		.amdhsa_user_sgpr_kernarg_preload_length 0
		.amdhsa_user_sgpr_kernarg_preload_offset 0
		.amdhsa_user_sgpr_private_segment_size 0
		.amdhsa_uses_dynamic_stack 0
		.amdhsa_system_sgpr_private_segment_wavefront_offset 0
		.amdhsa_system_sgpr_workgroup_id_x 1
		.amdhsa_system_sgpr_workgroup_id_y 0
		.amdhsa_system_sgpr_workgroup_id_z 0
		.amdhsa_system_sgpr_workgroup_info 0
		.amdhsa_system_vgpr_workitem_id 0
		.amdhsa_next_free_vgpr 1
		.amdhsa_next_free_sgpr 0
		.amdhsa_accum_offset 4
		.amdhsa_reserve_vcc 0
		.amdhsa_reserve_flat_scratch 0
		.amdhsa_float_round_mode_32 0
		.amdhsa_float_round_mode_16_64 0
		.amdhsa_float_denorm_mode_32 3
		.amdhsa_float_denorm_mode_16_64 3
		.amdhsa_dx10_clamp 1
		.amdhsa_ieee_mode 1
		.amdhsa_fp16_overflow 0
		.amdhsa_tg_split 0
		.amdhsa_exception_fp_ieee_invalid_op 0
		.amdhsa_exception_fp_denorm_src 0
		.amdhsa_exception_fp_ieee_div_zero 0
		.amdhsa_exception_fp_ieee_overflow 0
		.amdhsa_exception_fp_ieee_underflow 0
		.amdhsa_exception_fp_ieee_inexact 0
		.amdhsa_exception_int_div_zero 0
	.end_amdhsa_kernel
	.section	.text._ZN7rocprim17ROCPRIM_400000_NS6detail17trampoline_kernelINS0_14default_configENS1_25partition_config_selectorILNS1_17partition_subalgoE3EiNS0_10empty_typeEbEEZZNS1_14partition_implILS5_3ELb0ES3_jN6thrust23THRUST_200600_302600_NS6detail15normal_iteratorINSA_7pointerIiNSA_11hip_rocprim3tagENSA_11use_defaultESG_EEEEPS6_SJ_NS0_5tupleIJPiSJ_EEENSK_IJSJ_SJ_EEES6_PlJ7is_evenIiEEEE10hipError_tPvRmT3_T4_T5_T6_T7_T9_mT8_P12ihipStream_tbDpT10_ENKUlT_T0_E_clISt17integral_constantIbLb0EES1A_EEDaS15_S16_EUlS15_E_NS1_11comp_targetILNS1_3genE2ELNS1_11target_archE906ELNS1_3gpuE6ELNS1_3repE0EEENS1_30default_config_static_selectorELNS0_4arch9wavefront6targetE1EEEvT1_,"axG",@progbits,_ZN7rocprim17ROCPRIM_400000_NS6detail17trampoline_kernelINS0_14default_configENS1_25partition_config_selectorILNS1_17partition_subalgoE3EiNS0_10empty_typeEbEEZZNS1_14partition_implILS5_3ELb0ES3_jN6thrust23THRUST_200600_302600_NS6detail15normal_iteratorINSA_7pointerIiNSA_11hip_rocprim3tagENSA_11use_defaultESG_EEEEPS6_SJ_NS0_5tupleIJPiSJ_EEENSK_IJSJ_SJ_EEES6_PlJ7is_evenIiEEEE10hipError_tPvRmT3_T4_T5_T6_T7_T9_mT8_P12ihipStream_tbDpT10_ENKUlT_T0_E_clISt17integral_constantIbLb0EES1A_EEDaS15_S16_EUlS15_E_NS1_11comp_targetILNS1_3genE2ELNS1_11target_archE906ELNS1_3gpuE6ELNS1_3repE0EEENS1_30default_config_static_selectorELNS0_4arch9wavefront6targetE1EEEvT1_,comdat
.Lfunc_end92:
	.size	_ZN7rocprim17ROCPRIM_400000_NS6detail17trampoline_kernelINS0_14default_configENS1_25partition_config_selectorILNS1_17partition_subalgoE3EiNS0_10empty_typeEbEEZZNS1_14partition_implILS5_3ELb0ES3_jN6thrust23THRUST_200600_302600_NS6detail15normal_iteratorINSA_7pointerIiNSA_11hip_rocprim3tagENSA_11use_defaultESG_EEEEPS6_SJ_NS0_5tupleIJPiSJ_EEENSK_IJSJ_SJ_EEES6_PlJ7is_evenIiEEEE10hipError_tPvRmT3_T4_T5_T6_T7_T9_mT8_P12ihipStream_tbDpT10_ENKUlT_T0_E_clISt17integral_constantIbLb0EES1A_EEDaS15_S16_EUlS15_E_NS1_11comp_targetILNS1_3genE2ELNS1_11target_archE906ELNS1_3gpuE6ELNS1_3repE0EEENS1_30default_config_static_selectorELNS0_4arch9wavefront6targetE1EEEvT1_, .Lfunc_end92-_ZN7rocprim17ROCPRIM_400000_NS6detail17trampoline_kernelINS0_14default_configENS1_25partition_config_selectorILNS1_17partition_subalgoE3EiNS0_10empty_typeEbEEZZNS1_14partition_implILS5_3ELb0ES3_jN6thrust23THRUST_200600_302600_NS6detail15normal_iteratorINSA_7pointerIiNSA_11hip_rocprim3tagENSA_11use_defaultESG_EEEEPS6_SJ_NS0_5tupleIJPiSJ_EEENSK_IJSJ_SJ_EEES6_PlJ7is_evenIiEEEE10hipError_tPvRmT3_T4_T5_T6_T7_T9_mT8_P12ihipStream_tbDpT10_ENKUlT_T0_E_clISt17integral_constantIbLb0EES1A_EEDaS15_S16_EUlS15_E_NS1_11comp_targetILNS1_3genE2ELNS1_11target_archE906ELNS1_3gpuE6ELNS1_3repE0EEENS1_30default_config_static_selectorELNS0_4arch9wavefront6targetE1EEEvT1_
                                        ; -- End function
	.section	.AMDGPU.csdata,"",@progbits
; Kernel info:
; codeLenInByte = 0
; NumSgprs: 4
; NumVgprs: 0
; NumAgprs: 0
; TotalNumVgprs: 0
; ScratchSize: 0
; MemoryBound: 0
; FloatMode: 240
; IeeeMode: 1
; LDSByteSize: 0 bytes/workgroup (compile time only)
; SGPRBlocks: 0
; VGPRBlocks: 0
; NumSGPRsForWavesPerEU: 4
; NumVGPRsForWavesPerEU: 1
; AccumOffset: 4
; Occupancy: 8
; WaveLimiterHint : 0
; COMPUTE_PGM_RSRC2:SCRATCH_EN: 0
; COMPUTE_PGM_RSRC2:USER_SGPR: 6
; COMPUTE_PGM_RSRC2:TRAP_HANDLER: 0
; COMPUTE_PGM_RSRC2:TGID_X_EN: 1
; COMPUTE_PGM_RSRC2:TGID_Y_EN: 0
; COMPUTE_PGM_RSRC2:TGID_Z_EN: 0
; COMPUTE_PGM_RSRC2:TIDIG_COMP_CNT: 0
; COMPUTE_PGM_RSRC3_GFX90A:ACCUM_OFFSET: 0
; COMPUTE_PGM_RSRC3_GFX90A:TG_SPLIT: 0
	.section	.text._ZN7rocprim17ROCPRIM_400000_NS6detail17trampoline_kernelINS0_14default_configENS1_25partition_config_selectorILNS1_17partition_subalgoE3EiNS0_10empty_typeEbEEZZNS1_14partition_implILS5_3ELb0ES3_jN6thrust23THRUST_200600_302600_NS6detail15normal_iteratorINSA_7pointerIiNSA_11hip_rocprim3tagENSA_11use_defaultESG_EEEEPS6_SJ_NS0_5tupleIJPiSJ_EEENSK_IJSJ_SJ_EEES6_PlJ7is_evenIiEEEE10hipError_tPvRmT3_T4_T5_T6_T7_T9_mT8_P12ihipStream_tbDpT10_ENKUlT_T0_E_clISt17integral_constantIbLb0EES1A_EEDaS15_S16_EUlS15_E_NS1_11comp_targetILNS1_3genE10ELNS1_11target_archE1200ELNS1_3gpuE4ELNS1_3repE0EEENS1_30default_config_static_selectorELNS0_4arch9wavefront6targetE1EEEvT1_,"axG",@progbits,_ZN7rocprim17ROCPRIM_400000_NS6detail17trampoline_kernelINS0_14default_configENS1_25partition_config_selectorILNS1_17partition_subalgoE3EiNS0_10empty_typeEbEEZZNS1_14partition_implILS5_3ELb0ES3_jN6thrust23THRUST_200600_302600_NS6detail15normal_iteratorINSA_7pointerIiNSA_11hip_rocprim3tagENSA_11use_defaultESG_EEEEPS6_SJ_NS0_5tupleIJPiSJ_EEENSK_IJSJ_SJ_EEES6_PlJ7is_evenIiEEEE10hipError_tPvRmT3_T4_T5_T6_T7_T9_mT8_P12ihipStream_tbDpT10_ENKUlT_T0_E_clISt17integral_constantIbLb0EES1A_EEDaS15_S16_EUlS15_E_NS1_11comp_targetILNS1_3genE10ELNS1_11target_archE1200ELNS1_3gpuE4ELNS1_3repE0EEENS1_30default_config_static_selectorELNS0_4arch9wavefront6targetE1EEEvT1_,comdat
	.protected	_ZN7rocprim17ROCPRIM_400000_NS6detail17trampoline_kernelINS0_14default_configENS1_25partition_config_selectorILNS1_17partition_subalgoE3EiNS0_10empty_typeEbEEZZNS1_14partition_implILS5_3ELb0ES3_jN6thrust23THRUST_200600_302600_NS6detail15normal_iteratorINSA_7pointerIiNSA_11hip_rocprim3tagENSA_11use_defaultESG_EEEEPS6_SJ_NS0_5tupleIJPiSJ_EEENSK_IJSJ_SJ_EEES6_PlJ7is_evenIiEEEE10hipError_tPvRmT3_T4_T5_T6_T7_T9_mT8_P12ihipStream_tbDpT10_ENKUlT_T0_E_clISt17integral_constantIbLb0EES1A_EEDaS15_S16_EUlS15_E_NS1_11comp_targetILNS1_3genE10ELNS1_11target_archE1200ELNS1_3gpuE4ELNS1_3repE0EEENS1_30default_config_static_selectorELNS0_4arch9wavefront6targetE1EEEvT1_ ; -- Begin function _ZN7rocprim17ROCPRIM_400000_NS6detail17trampoline_kernelINS0_14default_configENS1_25partition_config_selectorILNS1_17partition_subalgoE3EiNS0_10empty_typeEbEEZZNS1_14partition_implILS5_3ELb0ES3_jN6thrust23THRUST_200600_302600_NS6detail15normal_iteratorINSA_7pointerIiNSA_11hip_rocprim3tagENSA_11use_defaultESG_EEEEPS6_SJ_NS0_5tupleIJPiSJ_EEENSK_IJSJ_SJ_EEES6_PlJ7is_evenIiEEEE10hipError_tPvRmT3_T4_T5_T6_T7_T9_mT8_P12ihipStream_tbDpT10_ENKUlT_T0_E_clISt17integral_constantIbLb0EES1A_EEDaS15_S16_EUlS15_E_NS1_11comp_targetILNS1_3genE10ELNS1_11target_archE1200ELNS1_3gpuE4ELNS1_3repE0EEENS1_30default_config_static_selectorELNS0_4arch9wavefront6targetE1EEEvT1_
	.globl	_ZN7rocprim17ROCPRIM_400000_NS6detail17trampoline_kernelINS0_14default_configENS1_25partition_config_selectorILNS1_17partition_subalgoE3EiNS0_10empty_typeEbEEZZNS1_14partition_implILS5_3ELb0ES3_jN6thrust23THRUST_200600_302600_NS6detail15normal_iteratorINSA_7pointerIiNSA_11hip_rocprim3tagENSA_11use_defaultESG_EEEEPS6_SJ_NS0_5tupleIJPiSJ_EEENSK_IJSJ_SJ_EEES6_PlJ7is_evenIiEEEE10hipError_tPvRmT3_T4_T5_T6_T7_T9_mT8_P12ihipStream_tbDpT10_ENKUlT_T0_E_clISt17integral_constantIbLb0EES1A_EEDaS15_S16_EUlS15_E_NS1_11comp_targetILNS1_3genE10ELNS1_11target_archE1200ELNS1_3gpuE4ELNS1_3repE0EEENS1_30default_config_static_selectorELNS0_4arch9wavefront6targetE1EEEvT1_
	.p2align	8
	.type	_ZN7rocprim17ROCPRIM_400000_NS6detail17trampoline_kernelINS0_14default_configENS1_25partition_config_selectorILNS1_17partition_subalgoE3EiNS0_10empty_typeEbEEZZNS1_14partition_implILS5_3ELb0ES3_jN6thrust23THRUST_200600_302600_NS6detail15normal_iteratorINSA_7pointerIiNSA_11hip_rocprim3tagENSA_11use_defaultESG_EEEEPS6_SJ_NS0_5tupleIJPiSJ_EEENSK_IJSJ_SJ_EEES6_PlJ7is_evenIiEEEE10hipError_tPvRmT3_T4_T5_T6_T7_T9_mT8_P12ihipStream_tbDpT10_ENKUlT_T0_E_clISt17integral_constantIbLb0EES1A_EEDaS15_S16_EUlS15_E_NS1_11comp_targetILNS1_3genE10ELNS1_11target_archE1200ELNS1_3gpuE4ELNS1_3repE0EEENS1_30default_config_static_selectorELNS0_4arch9wavefront6targetE1EEEvT1_,@function
_ZN7rocprim17ROCPRIM_400000_NS6detail17trampoline_kernelINS0_14default_configENS1_25partition_config_selectorILNS1_17partition_subalgoE3EiNS0_10empty_typeEbEEZZNS1_14partition_implILS5_3ELb0ES3_jN6thrust23THRUST_200600_302600_NS6detail15normal_iteratorINSA_7pointerIiNSA_11hip_rocprim3tagENSA_11use_defaultESG_EEEEPS6_SJ_NS0_5tupleIJPiSJ_EEENSK_IJSJ_SJ_EEES6_PlJ7is_evenIiEEEE10hipError_tPvRmT3_T4_T5_T6_T7_T9_mT8_P12ihipStream_tbDpT10_ENKUlT_T0_E_clISt17integral_constantIbLb0EES1A_EEDaS15_S16_EUlS15_E_NS1_11comp_targetILNS1_3genE10ELNS1_11target_archE1200ELNS1_3gpuE4ELNS1_3repE0EEENS1_30default_config_static_selectorELNS0_4arch9wavefront6targetE1EEEvT1_: ; @_ZN7rocprim17ROCPRIM_400000_NS6detail17trampoline_kernelINS0_14default_configENS1_25partition_config_selectorILNS1_17partition_subalgoE3EiNS0_10empty_typeEbEEZZNS1_14partition_implILS5_3ELb0ES3_jN6thrust23THRUST_200600_302600_NS6detail15normal_iteratorINSA_7pointerIiNSA_11hip_rocprim3tagENSA_11use_defaultESG_EEEEPS6_SJ_NS0_5tupleIJPiSJ_EEENSK_IJSJ_SJ_EEES6_PlJ7is_evenIiEEEE10hipError_tPvRmT3_T4_T5_T6_T7_T9_mT8_P12ihipStream_tbDpT10_ENKUlT_T0_E_clISt17integral_constantIbLb0EES1A_EEDaS15_S16_EUlS15_E_NS1_11comp_targetILNS1_3genE10ELNS1_11target_archE1200ELNS1_3gpuE4ELNS1_3repE0EEENS1_30default_config_static_selectorELNS0_4arch9wavefront6targetE1EEEvT1_
; %bb.0:
	.section	.rodata,"a",@progbits
	.p2align	6, 0x0
	.amdhsa_kernel _ZN7rocprim17ROCPRIM_400000_NS6detail17trampoline_kernelINS0_14default_configENS1_25partition_config_selectorILNS1_17partition_subalgoE3EiNS0_10empty_typeEbEEZZNS1_14partition_implILS5_3ELb0ES3_jN6thrust23THRUST_200600_302600_NS6detail15normal_iteratorINSA_7pointerIiNSA_11hip_rocprim3tagENSA_11use_defaultESG_EEEEPS6_SJ_NS0_5tupleIJPiSJ_EEENSK_IJSJ_SJ_EEES6_PlJ7is_evenIiEEEE10hipError_tPvRmT3_T4_T5_T6_T7_T9_mT8_P12ihipStream_tbDpT10_ENKUlT_T0_E_clISt17integral_constantIbLb0EES1A_EEDaS15_S16_EUlS15_E_NS1_11comp_targetILNS1_3genE10ELNS1_11target_archE1200ELNS1_3gpuE4ELNS1_3repE0EEENS1_30default_config_static_selectorELNS0_4arch9wavefront6targetE1EEEvT1_
		.amdhsa_group_segment_fixed_size 0
		.amdhsa_private_segment_fixed_size 0
		.amdhsa_kernarg_size 120
		.amdhsa_user_sgpr_count 6
		.amdhsa_user_sgpr_private_segment_buffer 1
		.amdhsa_user_sgpr_dispatch_ptr 0
		.amdhsa_user_sgpr_queue_ptr 0
		.amdhsa_user_sgpr_kernarg_segment_ptr 1
		.amdhsa_user_sgpr_dispatch_id 0
		.amdhsa_user_sgpr_flat_scratch_init 0
		.amdhsa_user_sgpr_kernarg_preload_length 0
		.amdhsa_user_sgpr_kernarg_preload_offset 0
		.amdhsa_user_sgpr_private_segment_size 0
		.amdhsa_uses_dynamic_stack 0
		.amdhsa_system_sgpr_private_segment_wavefront_offset 0
		.amdhsa_system_sgpr_workgroup_id_x 1
		.amdhsa_system_sgpr_workgroup_id_y 0
		.amdhsa_system_sgpr_workgroup_id_z 0
		.amdhsa_system_sgpr_workgroup_info 0
		.amdhsa_system_vgpr_workitem_id 0
		.amdhsa_next_free_vgpr 1
		.amdhsa_next_free_sgpr 0
		.amdhsa_accum_offset 4
		.amdhsa_reserve_vcc 0
		.amdhsa_reserve_flat_scratch 0
		.amdhsa_float_round_mode_32 0
		.amdhsa_float_round_mode_16_64 0
		.amdhsa_float_denorm_mode_32 3
		.amdhsa_float_denorm_mode_16_64 3
		.amdhsa_dx10_clamp 1
		.amdhsa_ieee_mode 1
		.amdhsa_fp16_overflow 0
		.amdhsa_tg_split 0
		.amdhsa_exception_fp_ieee_invalid_op 0
		.amdhsa_exception_fp_denorm_src 0
		.amdhsa_exception_fp_ieee_div_zero 0
		.amdhsa_exception_fp_ieee_overflow 0
		.amdhsa_exception_fp_ieee_underflow 0
		.amdhsa_exception_fp_ieee_inexact 0
		.amdhsa_exception_int_div_zero 0
	.end_amdhsa_kernel
	.section	.text._ZN7rocprim17ROCPRIM_400000_NS6detail17trampoline_kernelINS0_14default_configENS1_25partition_config_selectorILNS1_17partition_subalgoE3EiNS0_10empty_typeEbEEZZNS1_14partition_implILS5_3ELb0ES3_jN6thrust23THRUST_200600_302600_NS6detail15normal_iteratorINSA_7pointerIiNSA_11hip_rocprim3tagENSA_11use_defaultESG_EEEEPS6_SJ_NS0_5tupleIJPiSJ_EEENSK_IJSJ_SJ_EEES6_PlJ7is_evenIiEEEE10hipError_tPvRmT3_T4_T5_T6_T7_T9_mT8_P12ihipStream_tbDpT10_ENKUlT_T0_E_clISt17integral_constantIbLb0EES1A_EEDaS15_S16_EUlS15_E_NS1_11comp_targetILNS1_3genE10ELNS1_11target_archE1200ELNS1_3gpuE4ELNS1_3repE0EEENS1_30default_config_static_selectorELNS0_4arch9wavefront6targetE1EEEvT1_,"axG",@progbits,_ZN7rocprim17ROCPRIM_400000_NS6detail17trampoline_kernelINS0_14default_configENS1_25partition_config_selectorILNS1_17partition_subalgoE3EiNS0_10empty_typeEbEEZZNS1_14partition_implILS5_3ELb0ES3_jN6thrust23THRUST_200600_302600_NS6detail15normal_iteratorINSA_7pointerIiNSA_11hip_rocprim3tagENSA_11use_defaultESG_EEEEPS6_SJ_NS0_5tupleIJPiSJ_EEENSK_IJSJ_SJ_EEES6_PlJ7is_evenIiEEEE10hipError_tPvRmT3_T4_T5_T6_T7_T9_mT8_P12ihipStream_tbDpT10_ENKUlT_T0_E_clISt17integral_constantIbLb0EES1A_EEDaS15_S16_EUlS15_E_NS1_11comp_targetILNS1_3genE10ELNS1_11target_archE1200ELNS1_3gpuE4ELNS1_3repE0EEENS1_30default_config_static_selectorELNS0_4arch9wavefront6targetE1EEEvT1_,comdat
.Lfunc_end93:
	.size	_ZN7rocprim17ROCPRIM_400000_NS6detail17trampoline_kernelINS0_14default_configENS1_25partition_config_selectorILNS1_17partition_subalgoE3EiNS0_10empty_typeEbEEZZNS1_14partition_implILS5_3ELb0ES3_jN6thrust23THRUST_200600_302600_NS6detail15normal_iteratorINSA_7pointerIiNSA_11hip_rocprim3tagENSA_11use_defaultESG_EEEEPS6_SJ_NS0_5tupleIJPiSJ_EEENSK_IJSJ_SJ_EEES6_PlJ7is_evenIiEEEE10hipError_tPvRmT3_T4_T5_T6_T7_T9_mT8_P12ihipStream_tbDpT10_ENKUlT_T0_E_clISt17integral_constantIbLb0EES1A_EEDaS15_S16_EUlS15_E_NS1_11comp_targetILNS1_3genE10ELNS1_11target_archE1200ELNS1_3gpuE4ELNS1_3repE0EEENS1_30default_config_static_selectorELNS0_4arch9wavefront6targetE1EEEvT1_, .Lfunc_end93-_ZN7rocprim17ROCPRIM_400000_NS6detail17trampoline_kernelINS0_14default_configENS1_25partition_config_selectorILNS1_17partition_subalgoE3EiNS0_10empty_typeEbEEZZNS1_14partition_implILS5_3ELb0ES3_jN6thrust23THRUST_200600_302600_NS6detail15normal_iteratorINSA_7pointerIiNSA_11hip_rocprim3tagENSA_11use_defaultESG_EEEEPS6_SJ_NS0_5tupleIJPiSJ_EEENSK_IJSJ_SJ_EEES6_PlJ7is_evenIiEEEE10hipError_tPvRmT3_T4_T5_T6_T7_T9_mT8_P12ihipStream_tbDpT10_ENKUlT_T0_E_clISt17integral_constantIbLb0EES1A_EEDaS15_S16_EUlS15_E_NS1_11comp_targetILNS1_3genE10ELNS1_11target_archE1200ELNS1_3gpuE4ELNS1_3repE0EEENS1_30default_config_static_selectorELNS0_4arch9wavefront6targetE1EEEvT1_
                                        ; -- End function
	.section	.AMDGPU.csdata,"",@progbits
; Kernel info:
; codeLenInByte = 0
; NumSgprs: 4
; NumVgprs: 0
; NumAgprs: 0
; TotalNumVgprs: 0
; ScratchSize: 0
; MemoryBound: 0
; FloatMode: 240
; IeeeMode: 1
; LDSByteSize: 0 bytes/workgroup (compile time only)
; SGPRBlocks: 0
; VGPRBlocks: 0
; NumSGPRsForWavesPerEU: 4
; NumVGPRsForWavesPerEU: 1
; AccumOffset: 4
; Occupancy: 8
; WaveLimiterHint : 0
; COMPUTE_PGM_RSRC2:SCRATCH_EN: 0
; COMPUTE_PGM_RSRC2:USER_SGPR: 6
; COMPUTE_PGM_RSRC2:TRAP_HANDLER: 0
; COMPUTE_PGM_RSRC2:TGID_X_EN: 1
; COMPUTE_PGM_RSRC2:TGID_Y_EN: 0
; COMPUTE_PGM_RSRC2:TGID_Z_EN: 0
; COMPUTE_PGM_RSRC2:TIDIG_COMP_CNT: 0
; COMPUTE_PGM_RSRC3_GFX90A:ACCUM_OFFSET: 0
; COMPUTE_PGM_RSRC3_GFX90A:TG_SPLIT: 0
	.section	.text._ZN7rocprim17ROCPRIM_400000_NS6detail17trampoline_kernelINS0_14default_configENS1_25partition_config_selectorILNS1_17partition_subalgoE3EiNS0_10empty_typeEbEEZZNS1_14partition_implILS5_3ELb0ES3_jN6thrust23THRUST_200600_302600_NS6detail15normal_iteratorINSA_7pointerIiNSA_11hip_rocprim3tagENSA_11use_defaultESG_EEEEPS6_SJ_NS0_5tupleIJPiSJ_EEENSK_IJSJ_SJ_EEES6_PlJ7is_evenIiEEEE10hipError_tPvRmT3_T4_T5_T6_T7_T9_mT8_P12ihipStream_tbDpT10_ENKUlT_T0_E_clISt17integral_constantIbLb0EES1A_EEDaS15_S16_EUlS15_E_NS1_11comp_targetILNS1_3genE9ELNS1_11target_archE1100ELNS1_3gpuE3ELNS1_3repE0EEENS1_30default_config_static_selectorELNS0_4arch9wavefront6targetE1EEEvT1_,"axG",@progbits,_ZN7rocprim17ROCPRIM_400000_NS6detail17trampoline_kernelINS0_14default_configENS1_25partition_config_selectorILNS1_17partition_subalgoE3EiNS0_10empty_typeEbEEZZNS1_14partition_implILS5_3ELb0ES3_jN6thrust23THRUST_200600_302600_NS6detail15normal_iteratorINSA_7pointerIiNSA_11hip_rocprim3tagENSA_11use_defaultESG_EEEEPS6_SJ_NS0_5tupleIJPiSJ_EEENSK_IJSJ_SJ_EEES6_PlJ7is_evenIiEEEE10hipError_tPvRmT3_T4_T5_T6_T7_T9_mT8_P12ihipStream_tbDpT10_ENKUlT_T0_E_clISt17integral_constantIbLb0EES1A_EEDaS15_S16_EUlS15_E_NS1_11comp_targetILNS1_3genE9ELNS1_11target_archE1100ELNS1_3gpuE3ELNS1_3repE0EEENS1_30default_config_static_selectorELNS0_4arch9wavefront6targetE1EEEvT1_,comdat
	.protected	_ZN7rocprim17ROCPRIM_400000_NS6detail17trampoline_kernelINS0_14default_configENS1_25partition_config_selectorILNS1_17partition_subalgoE3EiNS0_10empty_typeEbEEZZNS1_14partition_implILS5_3ELb0ES3_jN6thrust23THRUST_200600_302600_NS6detail15normal_iteratorINSA_7pointerIiNSA_11hip_rocprim3tagENSA_11use_defaultESG_EEEEPS6_SJ_NS0_5tupleIJPiSJ_EEENSK_IJSJ_SJ_EEES6_PlJ7is_evenIiEEEE10hipError_tPvRmT3_T4_T5_T6_T7_T9_mT8_P12ihipStream_tbDpT10_ENKUlT_T0_E_clISt17integral_constantIbLb0EES1A_EEDaS15_S16_EUlS15_E_NS1_11comp_targetILNS1_3genE9ELNS1_11target_archE1100ELNS1_3gpuE3ELNS1_3repE0EEENS1_30default_config_static_selectorELNS0_4arch9wavefront6targetE1EEEvT1_ ; -- Begin function _ZN7rocprim17ROCPRIM_400000_NS6detail17trampoline_kernelINS0_14default_configENS1_25partition_config_selectorILNS1_17partition_subalgoE3EiNS0_10empty_typeEbEEZZNS1_14partition_implILS5_3ELb0ES3_jN6thrust23THRUST_200600_302600_NS6detail15normal_iteratorINSA_7pointerIiNSA_11hip_rocprim3tagENSA_11use_defaultESG_EEEEPS6_SJ_NS0_5tupleIJPiSJ_EEENSK_IJSJ_SJ_EEES6_PlJ7is_evenIiEEEE10hipError_tPvRmT3_T4_T5_T6_T7_T9_mT8_P12ihipStream_tbDpT10_ENKUlT_T0_E_clISt17integral_constantIbLb0EES1A_EEDaS15_S16_EUlS15_E_NS1_11comp_targetILNS1_3genE9ELNS1_11target_archE1100ELNS1_3gpuE3ELNS1_3repE0EEENS1_30default_config_static_selectorELNS0_4arch9wavefront6targetE1EEEvT1_
	.globl	_ZN7rocprim17ROCPRIM_400000_NS6detail17trampoline_kernelINS0_14default_configENS1_25partition_config_selectorILNS1_17partition_subalgoE3EiNS0_10empty_typeEbEEZZNS1_14partition_implILS5_3ELb0ES3_jN6thrust23THRUST_200600_302600_NS6detail15normal_iteratorINSA_7pointerIiNSA_11hip_rocprim3tagENSA_11use_defaultESG_EEEEPS6_SJ_NS0_5tupleIJPiSJ_EEENSK_IJSJ_SJ_EEES6_PlJ7is_evenIiEEEE10hipError_tPvRmT3_T4_T5_T6_T7_T9_mT8_P12ihipStream_tbDpT10_ENKUlT_T0_E_clISt17integral_constantIbLb0EES1A_EEDaS15_S16_EUlS15_E_NS1_11comp_targetILNS1_3genE9ELNS1_11target_archE1100ELNS1_3gpuE3ELNS1_3repE0EEENS1_30default_config_static_selectorELNS0_4arch9wavefront6targetE1EEEvT1_
	.p2align	8
	.type	_ZN7rocprim17ROCPRIM_400000_NS6detail17trampoline_kernelINS0_14default_configENS1_25partition_config_selectorILNS1_17partition_subalgoE3EiNS0_10empty_typeEbEEZZNS1_14partition_implILS5_3ELb0ES3_jN6thrust23THRUST_200600_302600_NS6detail15normal_iteratorINSA_7pointerIiNSA_11hip_rocprim3tagENSA_11use_defaultESG_EEEEPS6_SJ_NS0_5tupleIJPiSJ_EEENSK_IJSJ_SJ_EEES6_PlJ7is_evenIiEEEE10hipError_tPvRmT3_T4_T5_T6_T7_T9_mT8_P12ihipStream_tbDpT10_ENKUlT_T0_E_clISt17integral_constantIbLb0EES1A_EEDaS15_S16_EUlS15_E_NS1_11comp_targetILNS1_3genE9ELNS1_11target_archE1100ELNS1_3gpuE3ELNS1_3repE0EEENS1_30default_config_static_selectorELNS0_4arch9wavefront6targetE1EEEvT1_,@function
_ZN7rocprim17ROCPRIM_400000_NS6detail17trampoline_kernelINS0_14default_configENS1_25partition_config_selectorILNS1_17partition_subalgoE3EiNS0_10empty_typeEbEEZZNS1_14partition_implILS5_3ELb0ES3_jN6thrust23THRUST_200600_302600_NS6detail15normal_iteratorINSA_7pointerIiNSA_11hip_rocprim3tagENSA_11use_defaultESG_EEEEPS6_SJ_NS0_5tupleIJPiSJ_EEENSK_IJSJ_SJ_EEES6_PlJ7is_evenIiEEEE10hipError_tPvRmT3_T4_T5_T6_T7_T9_mT8_P12ihipStream_tbDpT10_ENKUlT_T0_E_clISt17integral_constantIbLb0EES1A_EEDaS15_S16_EUlS15_E_NS1_11comp_targetILNS1_3genE9ELNS1_11target_archE1100ELNS1_3gpuE3ELNS1_3repE0EEENS1_30default_config_static_selectorELNS0_4arch9wavefront6targetE1EEEvT1_: ; @_ZN7rocprim17ROCPRIM_400000_NS6detail17trampoline_kernelINS0_14default_configENS1_25partition_config_selectorILNS1_17partition_subalgoE3EiNS0_10empty_typeEbEEZZNS1_14partition_implILS5_3ELb0ES3_jN6thrust23THRUST_200600_302600_NS6detail15normal_iteratorINSA_7pointerIiNSA_11hip_rocprim3tagENSA_11use_defaultESG_EEEEPS6_SJ_NS0_5tupleIJPiSJ_EEENSK_IJSJ_SJ_EEES6_PlJ7is_evenIiEEEE10hipError_tPvRmT3_T4_T5_T6_T7_T9_mT8_P12ihipStream_tbDpT10_ENKUlT_T0_E_clISt17integral_constantIbLb0EES1A_EEDaS15_S16_EUlS15_E_NS1_11comp_targetILNS1_3genE9ELNS1_11target_archE1100ELNS1_3gpuE3ELNS1_3repE0EEENS1_30default_config_static_selectorELNS0_4arch9wavefront6targetE1EEEvT1_
; %bb.0:
	.section	.rodata,"a",@progbits
	.p2align	6, 0x0
	.amdhsa_kernel _ZN7rocprim17ROCPRIM_400000_NS6detail17trampoline_kernelINS0_14default_configENS1_25partition_config_selectorILNS1_17partition_subalgoE3EiNS0_10empty_typeEbEEZZNS1_14partition_implILS5_3ELb0ES3_jN6thrust23THRUST_200600_302600_NS6detail15normal_iteratorINSA_7pointerIiNSA_11hip_rocprim3tagENSA_11use_defaultESG_EEEEPS6_SJ_NS0_5tupleIJPiSJ_EEENSK_IJSJ_SJ_EEES6_PlJ7is_evenIiEEEE10hipError_tPvRmT3_T4_T5_T6_T7_T9_mT8_P12ihipStream_tbDpT10_ENKUlT_T0_E_clISt17integral_constantIbLb0EES1A_EEDaS15_S16_EUlS15_E_NS1_11comp_targetILNS1_3genE9ELNS1_11target_archE1100ELNS1_3gpuE3ELNS1_3repE0EEENS1_30default_config_static_selectorELNS0_4arch9wavefront6targetE1EEEvT1_
		.amdhsa_group_segment_fixed_size 0
		.amdhsa_private_segment_fixed_size 0
		.amdhsa_kernarg_size 120
		.amdhsa_user_sgpr_count 6
		.amdhsa_user_sgpr_private_segment_buffer 1
		.amdhsa_user_sgpr_dispatch_ptr 0
		.amdhsa_user_sgpr_queue_ptr 0
		.amdhsa_user_sgpr_kernarg_segment_ptr 1
		.amdhsa_user_sgpr_dispatch_id 0
		.amdhsa_user_sgpr_flat_scratch_init 0
		.amdhsa_user_sgpr_kernarg_preload_length 0
		.amdhsa_user_sgpr_kernarg_preload_offset 0
		.amdhsa_user_sgpr_private_segment_size 0
		.amdhsa_uses_dynamic_stack 0
		.amdhsa_system_sgpr_private_segment_wavefront_offset 0
		.amdhsa_system_sgpr_workgroup_id_x 1
		.amdhsa_system_sgpr_workgroup_id_y 0
		.amdhsa_system_sgpr_workgroup_id_z 0
		.amdhsa_system_sgpr_workgroup_info 0
		.amdhsa_system_vgpr_workitem_id 0
		.amdhsa_next_free_vgpr 1
		.amdhsa_next_free_sgpr 0
		.amdhsa_accum_offset 4
		.amdhsa_reserve_vcc 0
		.amdhsa_reserve_flat_scratch 0
		.amdhsa_float_round_mode_32 0
		.amdhsa_float_round_mode_16_64 0
		.amdhsa_float_denorm_mode_32 3
		.amdhsa_float_denorm_mode_16_64 3
		.amdhsa_dx10_clamp 1
		.amdhsa_ieee_mode 1
		.amdhsa_fp16_overflow 0
		.amdhsa_tg_split 0
		.amdhsa_exception_fp_ieee_invalid_op 0
		.amdhsa_exception_fp_denorm_src 0
		.amdhsa_exception_fp_ieee_div_zero 0
		.amdhsa_exception_fp_ieee_overflow 0
		.amdhsa_exception_fp_ieee_underflow 0
		.amdhsa_exception_fp_ieee_inexact 0
		.amdhsa_exception_int_div_zero 0
	.end_amdhsa_kernel
	.section	.text._ZN7rocprim17ROCPRIM_400000_NS6detail17trampoline_kernelINS0_14default_configENS1_25partition_config_selectorILNS1_17partition_subalgoE3EiNS0_10empty_typeEbEEZZNS1_14partition_implILS5_3ELb0ES3_jN6thrust23THRUST_200600_302600_NS6detail15normal_iteratorINSA_7pointerIiNSA_11hip_rocprim3tagENSA_11use_defaultESG_EEEEPS6_SJ_NS0_5tupleIJPiSJ_EEENSK_IJSJ_SJ_EEES6_PlJ7is_evenIiEEEE10hipError_tPvRmT3_T4_T5_T6_T7_T9_mT8_P12ihipStream_tbDpT10_ENKUlT_T0_E_clISt17integral_constantIbLb0EES1A_EEDaS15_S16_EUlS15_E_NS1_11comp_targetILNS1_3genE9ELNS1_11target_archE1100ELNS1_3gpuE3ELNS1_3repE0EEENS1_30default_config_static_selectorELNS0_4arch9wavefront6targetE1EEEvT1_,"axG",@progbits,_ZN7rocprim17ROCPRIM_400000_NS6detail17trampoline_kernelINS0_14default_configENS1_25partition_config_selectorILNS1_17partition_subalgoE3EiNS0_10empty_typeEbEEZZNS1_14partition_implILS5_3ELb0ES3_jN6thrust23THRUST_200600_302600_NS6detail15normal_iteratorINSA_7pointerIiNSA_11hip_rocprim3tagENSA_11use_defaultESG_EEEEPS6_SJ_NS0_5tupleIJPiSJ_EEENSK_IJSJ_SJ_EEES6_PlJ7is_evenIiEEEE10hipError_tPvRmT3_T4_T5_T6_T7_T9_mT8_P12ihipStream_tbDpT10_ENKUlT_T0_E_clISt17integral_constantIbLb0EES1A_EEDaS15_S16_EUlS15_E_NS1_11comp_targetILNS1_3genE9ELNS1_11target_archE1100ELNS1_3gpuE3ELNS1_3repE0EEENS1_30default_config_static_selectorELNS0_4arch9wavefront6targetE1EEEvT1_,comdat
.Lfunc_end94:
	.size	_ZN7rocprim17ROCPRIM_400000_NS6detail17trampoline_kernelINS0_14default_configENS1_25partition_config_selectorILNS1_17partition_subalgoE3EiNS0_10empty_typeEbEEZZNS1_14partition_implILS5_3ELb0ES3_jN6thrust23THRUST_200600_302600_NS6detail15normal_iteratorINSA_7pointerIiNSA_11hip_rocprim3tagENSA_11use_defaultESG_EEEEPS6_SJ_NS0_5tupleIJPiSJ_EEENSK_IJSJ_SJ_EEES6_PlJ7is_evenIiEEEE10hipError_tPvRmT3_T4_T5_T6_T7_T9_mT8_P12ihipStream_tbDpT10_ENKUlT_T0_E_clISt17integral_constantIbLb0EES1A_EEDaS15_S16_EUlS15_E_NS1_11comp_targetILNS1_3genE9ELNS1_11target_archE1100ELNS1_3gpuE3ELNS1_3repE0EEENS1_30default_config_static_selectorELNS0_4arch9wavefront6targetE1EEEvT1_, .Lfunc_end94-_ZN7rocprim17ROCPRIM_400000_NS6detail17trampoline_kernelINS0_14default_configENS1_25partition_config_selectorILNS1_17partition_subalgoE3EiNS0_10empty_typeEbEEZZNS1_14partition_implILS5_3ELb0ES3_jN6thrust23THRUST_200600_302600_NS6detail15normal_iteratorINSA_7pointerIiNSA_11hip_rocprim3tagENSA_11use_defaultESG_EEEEPS6_SJ_NS0_5tupleIJPiSJ_EEENSK_IJSJ_SJ_EEES6_PlJ7is_evenIiEEEE10hipError_tPvRmT3_T4_T5_T6_T7_T9_mT8_P12ihipStream_tbDpT10_ENKUlT_T0_E_clISt17integral_constantIbLb0EES1A_EEDaS15_S16_EUlS15_E_NS1_11comp_targetILNS1_3genE9ELNS1_11target_archE1100ELNS1_3gpuE3ELNS1_3repE0EEENS1_30default_config_static_selectorELNS0_4arch9wavefront6targetE1EEEvT1_
                                        ; -- End function
	.section	.AMDGPU.csdata,"",@progbits
; Kernel info:
; codeLenInByte = 0
; NumSgprs: 4
; NumVgprs: 0
; NumAgprs: 0
; TotalNumVgprs: 0
; ScratchSize: 0
; MemoryBound: 0
; FloatMode: 240
; IeeeMode: 1
; LDSByteSize: 0 bytes/workgroup (compile time only)
; SGPRBlocks: 0
; VGPRBlocks: 0
; NumSGPRsForWavesPerEU: 4
; NumVGPRsForWavesPerEU: 1
; AccumOffset: 4
; Occupancy: 8
; WaveLimiterHint : 0
; COMPUTE_PGM_RSRC2:SCRATCH_EN: 0
; COMPUTE_PGM_RSRC2:USER_SGPR: 6
; COMPUTE_PGM_RSRC2:TRAP_HANDLER: 0
; COMPUTE_PGM_RSRC2:TGID_X_EN: 1
; COMPUTE_PGM_RSRC2:TGID_Y_EN: 0
; COMPUTE_PGM_RSRC2:TGID_Z_EN: 0
; COMPUTE_PGM_RSRC2:TIDIG_COMP_CNT: 0
; COMPUTE_PGM_RSRC3_GFX90A:ACCUM_OFFSET: 0
; COMPUTE_PGM_RSRC3_GFX90A:TG_SPLIT: 0
	.section	.text._ZN7rocprim17ROCPRIM_400000_NS6detail17trampoline_kernelINS0_14default_configENS1_25partition_config_selectorILNS1_17partition_subalgoE3EiNS0_10empty_typeEbEEZZNS1_14partition_implILS5_3ELb0ES3_jN6thrust23THRUST_200600_302600_NS6detail15normal_iteratorINSA_7pointerIiNSA_11hip_rocprim3tagENSA_11use_defaultESG_EEEEPS6_SJ_NS0_5tupleIJPiSJ_EEENSK_IJSJ_SJ_EEES6_PlJ7is_evenIiEEEE10hipError_tPvRmT3_T4_T5_T6_T7_T9_mT8_P12ihipStream_tbDpT10_ENKUlT_T0_E_clISt17integral_constantIbLb0EES1A_EEDaS15_S16_EUlS15_E_NS1_11comp_targetILNS1_3genE8ELNS1_11target_archE1030ELNS1_3gpuE2ELNS1_3repE0EEENS1_30default_config_static_selectorELNS0_4arch9wavefront6targetE1EEEvT1_,"axG",@progbits,_ZN7rocprim17ROCPRIM_400000_NS6detail17trampoline_kernelINS0_14default_configENS1_25partition_config_selectorILNS1_17partition_subalgoE3EiNS0_10empty_typeEbEEZZNS1_14partition_implILS5_3ELb0ES3_jN6thrust23THRUST_200600_302600_NS6detail15normal_iteratorINSA_7pointerIiNSA_11hip_rocprim3tagENSA_11use_defaultESG_EEEEPS6_SJ_NS0_5tupleIJPiSJ_EEENSK_IJSJ_SJ_EEES6_PlJ7is_evenIiEEEE10hipError_tPvRmT3_T4_T5_T6_T7_T9_mT8_P12ihipStream_tbDpT10_ENKUlT_T0_E_clISt17integral_constantIbLb0EES1A_EEDaS15_S16_EUlS15_E_NS1_11comp_targetILNS1_3genE8ELNS1_11target_archE1030ELNS1_3gpuE2ELNS1_3repE0EEENS1_30default_config_static_selectorELNS0_4arch9wavefront6targetE1EEEvT1_,comdat
	.protected	_ZN7rocprim17ROCPRIM_400000_NS6detail17trampoline_kernelINS0_14default_configENS1_25partition_config_selectorILNS1_17partition_subalgoE3EiNS0_10empty_typeEbEEZZNS1_14partition_implILS5_3ELb0ES3_jN6thrust23THRUST_200600_302600_NS6detail15normal_iteratorINSA_7pointerIiNSA_11hip_rocprim3tagENSA_11use_defaultESG_EEEEPS6_SJ_NS0_5tupleIJPiSJ_EEENSK_IJSJ_SJ_EEES6_PlJ7is_evenIiEEEE10hipError_tPvRmT3_T4_T5_T6_T7_T9_mT8_P12ihipStream_tbDpT10_ENKUlT_T0_E_clISt17integral_constantIbLb0EES1A_EEDaS15_S16_EUlS15_E_NS1_11comp_targetILNS1_3genE8ELNS1_11target_archE1030ELNS1_3gpuE2ELNS1_3repE0EEENS1_30default_config_static_selectorELNS0_4arch9wavefront6targetE1EEEvT1_ ; -- Begin function _ZN7rocprim17ROCPRIM_400000_NS6detail17trampoline_kernelINS0_14default_configENS1_25partition_config_selectorILNS1_17partition_subalgoE3EiNS0_10empty_typeEbEEZZNS1_14partition_implILS5_3ELb0ES3_jN6thrust23THRUST_200600_302600_NS6detail15normal_iteratorINSA_7pointerIiNSA_11hip_rocprim3tagENSA_11use_defaultESG_EEEEPS6_SJ_NS0_5tupleIJPiSJ_EEENSK_IJSJ_SJ_EEES6_PlJ7is_evenIiEEEE10hipError_tPvRmT3_T4_T5_T6_T7_T9_mT8_P12ihipStream_tbDpT10_ENKUlT_T0_E_clISt17integral_constantIbLb0EES1A_EEDaS15_S16_EUlS15_E_NS1_11comp_targetILNS1_3genE8ELNS1_11target_archE1030ELNS1_3gpuE2ELNS1_3repE0EEENS1_30default_config_static_selectorELNS0_4arch9wavefront6targetE1EEEvT1_
	.globl	_ZN7rocprim17ROCPRIM_400000_NS6detail17trampoline_kernelINS0_14default_configENS1_25partition_config_selectorILNS1_17partition_subalgoE3EiNS0_10empty_typeEbEEZZNS1_14partition_implILS5_3ELb0ES3_jN6thrust23THRUST_200600_302600_NS6detail15normal_iteratorINSA_7pointerIiNSA_11hip_rocprim3tagENSA_11use_defaultESG_EEEEPS6_SJ_NS0_5tupleIJPiSJ_EEENSK_IJSJ_SJ_EEES6_PlJ7is_evenIiEEEE10hipError_tPvRmT3_T4_T5_T6_T7_T9_mT8_P12ihipStream_tbDpT10_ENKUlT_T0_E_clISt17integral_constantIbLb0EES1A_EEDaS15_S16_EUlS15_E_NS1_11comp_targetILNS1_3genE8ELNS1_11target_archE1030ELNS1_3gpuE2ELNS1_3repE0EEENS1_30default_config_static_selectorELNS0_4arch9wavefront6targetE1EEEvT1_
	.p2align	8
	.type	_ZN7rocprim17ROCPRIM_400000_NS6detail17trampoline_kernelINS0_14default_configENS1_25partition_config_selectorILNS1_17partition_subalgoE3EiNS0_10empty_typeEbEEZZNS1_14partition_implILS5_3ELb0ES3_jN6thrust23THRUST_200600_302600_NS6detail15normal_iteratorINSA_7pointerIiNSA_11hip_rocprim3tagENSA_11use_defaultESG_EEEEPS6_SJ_NS0_5tupleIJPiSJ_EEENSK_IJSJ_SJ_EEES6_PlJ7is_evenIiEEEE10hipError_tPvRmT3_T4_T5_T6_T7_T9_mT8_P12ihipStream_tbDpT10_ENKUlT_T0_E_clISt17integral_constantIbLb0EES1A_EEDaS15_S16_EUlS15_E_NS1_11comp_targetILNS1_3genE8ELNS1_11target_archE1030ELNS1_3gpuE2ELNS1_3repE0EEENS1_30default_config_static_selectorELNS0_4arch9wavefront6targetE1EEEvT1_,@function
_ZN7rocprim17ROCPRIM_400000_NS6detail17trampoline_kernelINS0_14default_configENS1_25partition_config_selectorILNS1_17partition_subalgoE3EiNS0_10empty_typeEbEEZZNS1_14partition_implILS5_3ELb0ES3_jN6thrust23THRUST_200600_302600_NS6detail15normal_iteratorINSA_7pointerIiNSA_11hip_rocprim3tagENSA_11use_defaultESG_EEEEPS6_SJ_NS0_5tupleIJPiSJ_EEENSK_IJSJ_SJ_EEES6_PlJ7is_evenIiEEEE10hipError_tPvRmT3_T4_T5_T6_T7_T9_mT8_P12ihipStream_tbDpT10_ENKUlT_T0_E_clISt17integral_constantIbLb0EES1A_EEDaS15_S16_EUlS15_E_NS1_11comp_targetILNS1_3genE8ELNS1_11target_archE1030ELNS1_3gpuE2ELNS1_3repE0EEENS1_30default_config_static_selectorELNS0_4arch9wavefront6targetE1EEEvT1_: ; @_ZN7rocprim17ROCPRIM_400000_NS6detail17trampoline_kernelINS0_14default_configENS1_25partition_config_selectorILNS1_17partition_subalgoE3EiNS0_10empty_typeEbEEZZNS1_14partition_implILS5_3ELb0ES3_jN6thrust23THRUST_200600_302600_NS6detail15normal_iteratorINSA_7pointerIiNSA_11hip_rocprim3tagENSA_11use_defaultESG_EEEEPS6_SJ_NS0_5tupleIJPiSJ_EEENSK_IJSJ_SJ_EEES6_PlJ7is_evenIiEEEE10hipError_tPvRmT3_T4_T5_T6_T7_T9_mT8_P12ihipStream_tbDpT10_ENKUlT_T0_E_clISt17integral_constantIbLb0EES1A_EEDaS15_S16_EUlS15_E_NS1_11comp_targetILNS1_3genE8ELNS1_11target_archE1030ELNS1_3gpuE2ELNS1_3repE0EEENS1_30default_config_static_selectorELNS0_4arch9wavefront6targetE1EEEvT1_
; %bb.0:
	.section	.rodata,"a",@progbits
	.p2align	6, 0x0
	.amdhsa_kernel _ZN7rocprim17ROCPRIM_400000_NS6detail17trampoline_kernelINS0_14default_configENS1_25partition_config_selectorILNS1_17partition_subalgoE3EiNS0_10empty_typeEbEEZZNS1_14partition_implILS5_3ELb0ES3_jN6thrust23THRUST_200600_302600_NS6detail15normal_iteratorINSA_7pointerIiNSA_11hip_rocprim3tagENSA_11use_defaultESG_EEEEPS6_SJ_NS0_5tupleIJPiSJ_EEENSK_IJSJ_SJ_EEES6_PlJ7is_evenIiEEEE10hipError_tPvRmT3_T4_T5_T6_T7_T9_mT8_P12ihipStream_tbDpT10_ENKUlT_T0_E_clISt17integral_constantIbLb0EES1A_EEDaS15_S16_EUlS15_E_NS1_11comp_targetILNS1_3genE8ELNS1_11target_archE1030ELNS1_3gpuE2ELNS1_3repE0EEENS1_30default_config_static_selectorELNS0_4arch9wavefront6targetE1EEEvT1_
		.amdhsa_group_segment_fixed_size 0
		.amdhsa_private_segment_fixed_size 0
		.amdhsa_kernarg_size 120
		.amdhsa_user_sgpr_count 6
		.amdhsa_user_sgpr_private_segment_buffer 1
		.amdhsa_user_sgpr_dispatch_ptr 0
		.amdhsa_user_sgpr_queue_ptr 0
		.amdhsa_user_sgpr_kernarg_segment_ptr 1
		.amdhsa_user_sgpr_dispatch_id 0
		.amdhsa_user_sgpr_flat_scratch_init 0
		.amdhsa_user_sgpr_kernarg_preload_length 0
		.amdhsa_user_sgpr_kernarg_preload_offset 0
		.amdhsa_user_sgpr_private_segment_size 0
		.amdhsa_uses_dynamic_stack 0
		.amdhsa_system_sgpr_private_segment_wavefront_offset 0
		.amdhsa_system_sgpr_workgroup_id_x 1
		.amdhsa_system_sgpr_workgroup_id_y 0
		.amdhsa_system_sgpr_workgroup_id_z 0
		.amdhsa_system_sgpr_workgroup_info 0
		.amdhsa_system_vgpr_workitem_id 0
		.amdhsa_next_free_vgpr 1
		.amdhsa_next_free_sgpr 0
		.amdhsa_accum_offset 4
		.amdhsa_reserve_vcc 0
		.amdhsa_reserve_flat_scratch 0
		.amdhsa_float_round_mode_32 0
		.amdhsa_float_round_mode_16_64 0
		.amdhsa_float_denorm_mode_32 3
		.amdhsa_float_denorm_mode_16_64 3
		.amdhsa_dx10_clamp 1
		.amdhsa_ieee_mode 1
		.amdhsa_fp16_overflow 0
		.amdhsa_tg_split 0
		.amdhsa_exception_fp_ieee_invalid_op 0
		.amdhsa_exception_fp_denorm_src 0
		.amdhsa_exception_fp_ieee_div_zero 0
		.amdhsa_exception_fp_ieee_overflow 0
		.amdhsa_exception_fp_ieee_underflow 0
		.amdhsa_exception_fp_ieee_inexact 0
		.amdhsa_exception_int_div_zero 0
	.end_amdhsa_kernel
	.section	.text._ZN7rocprim17ROCPRIM_400000_NS6detail17trampoline_kernelINS0_14default_configENS1_25partition_config_selectorILNS1_17partition_subalgoE3EiNS0_10empty_typeEbEEZZNS1_14partition_implILS5_3ELb0ES3_jN6thrust23THRUST_200600_302600_NS6detail15normal_iteratorINSA_7pointerIiNSA_11hip_rocprim3tagENSA_11use_defaultESG_EEEEPS6_SJ_NS0_5tupleIJPiSJ_EEENSK_IJSJ_SJ_EEES6_PlJ7is_evenIiEEEE10hipError_tPvRmT3_T4_T5_T6_T7_T9_mT8_P12ihipStream_tbDpT10_ENKUlT_T0_E_clISt17integral_constantIbLb0EES1A_EEDaS15_S16_EUlS15_E_NS1_11comp_targetILNS1_3genE8ELNS1_11target_archE1030ELNS1_3gpuE2ELNS1_3repE0EEENS1_30default_config_static_selectorELNS0_4arch9wavefront6targetE1EEEvT1_,"axG",@progbits,_ZN7rocprim17ROCPRIM_400000_NS6detail17trampoline_kernelINS0_14default_configENS1_25partition_config_selectorILNS1_17partition_subalgoE3EiNS0_10empty_typeEbEEZZNS1_14partition_implILS5_3ELb0ES3_jN6thrust23THRUST_200600_302600_NS6detail15normal_iteratorINSA_7pointerIiNSA_11hip_rocprim3tagENSA_11use_defaultESG_EEEEPS6_SJ_NS0_5tupleIJPiSJ_EEENSK_IJSJ_SJ_EEES6_PlJ7is_evenIiEEEE10hipError_tPvRmT3_T4_T5_T6_T7_T9_mT8_P12ihipStream_tbDpT10_ENKUlT_T0_E_clISt17integral_constantIbLb0EES1A_EEDaS15_S16_EUlS15_E_NS1_11comp_targetILNS1_3genE8ELNS1_11target_archE1030ELNS1_3gpuE2ELNS1_3repE0EEENS1_30default_config_static_selectorELNS0_4arch9wavefront6targetE1EEEvT1_,comdat
.Lfunc_end95:
	.size	_ZN7rocprim17ROCPRIM_400000_NS6detail17trampoline_kernelINS0_14default_configENS1_25partition_config_selectorILNS1_17partition_subalgoE3EiNS0_10empty_typeEbEEZZNS1_14partition_implILS5_3ELb0ES3_jN6thrust23THRUST_200600_302600_NS6detail15normal_iteratorINSA_7pointerIiNSA_11hip_rocprim3tagENSA_11use_defaultESG_EEEEPS6_SJ_NS0_5tupleIJPiSJ_EEENSK_IJSJ_SJ_EEES6_PlJ7is_evenIiEEEE10hipError_tPvRmT3_T4_T5_T6_T7_T9_mT8_P12ihipStream_tbDpT10_ENKUlT_T0_E_clISt17integral_constantIbLb0EES1A_EEDaS15_S16_EUlS15_E_NS1_11comp_targetILNS1_3genE8ELNS1_11target_archE1030ELNS1_3gpuE2ELNS1_3repE0EEENS1_30default_config_static_selectorELNS0_4arch9wavefront6targetE1EEEvT1_, .Lfunc_end95-_ZN7rocprim17ROCPRIM_400000_NS6detail17trampoline_kernelINS0_14default_configENS1_25partition_config_selectorILNS1_17partition_subalgoE3EiNS0_10empty_typeEbEEZZNS1_14partition_implILS5_3ELb0ES3_jN6thrust23THRUST_200600_302600_NS6detail15normal_iteratorINSA_7pointerIiNSA_11hip_rocprim3tagENSA_11use_defaultESG_EEEEPS6_SJ_NS0_5tupleIJPiSJ_EEENSK_IJSJ_SJ_EEES6_PlJ7is_evenIiEEEE10hipError_tPvRmT3_T4_T5_T6_T7_T9_mT8_P12ihipStream_tbDpT10_ENKUlT_T0_E_clISt17integral_constantIbLb0EES1A_EEDaS15_S16_EUlS15_E_NS1_11comp_targetILNS1_3genE8ELNS1_11target_archE1030ELNS1_3gpuE2ELNS1_3repE0EEENS1_30default_config_static_selectorELNS0_4arch9wavefront6targetE1EEEvT1_
                                        ; -- End function
	.section	.AMDGPU.csdata,"",@progbits
; Kernel info:
; codeLenInByte = 0
; NumSgprs: 4
; NumVgprs: 0
; NumAgprs: 0
; TotalNumVgprs: 0
; ScratchSize: 0
; MemoryBound: 0
; FloatMode: 240
; IeeeMode: 1
; LDSByteSize: 0 bytes/workgroup (compile time only)
; SGPRBlocks: 0
; VGPRBlocks: 0
; NumSGPRsForWavesPerEU: 4
; NumVGPRsForWavesPerEU: 1
; AccumOffset: 4
; Occupancy: 8
; WaveLimiterHint : 0
; COMPUTE_PGM_RSRC2:SCRATCH_EN: 0
; COMPUTE_PGM_RSRC2:USER_SGPR: 6
; COMPUTE_PGM_RSRC2:TRAP_HANDLER: 0
; COMPUTE_PGM_RSRC2:TGID_X_EN: 1
; COMPUTE_PGM_RSRC2:TGID_Y_EN: 0
; COMPUTE_PGM_RSRC2:TGID_Z_EN: 0
; COMPUTE_PGM_RSRC2:TIDIG_COMP_CNT: 0
; COMPUTE_PGM_RSRC3_GFX90A:ACCUM_OFFSET: 0
; COMPUTE_PGM_RSRC3_GFX90A:TG_SPLIT: 0
	.section	.text._ZN7rocprim17ROCPRIM_400000_NS6detail17trampoline_kernelINS0_14default_configENS1_25partition_config_selectorILNS1_17partition_subalgoE3EiNS0_10empty_typeEbEEZZNS1_14partition_implILS5_3ELb0ES3_jN6thrust23THRUST_200600_302600_NS6detail15normal_iteratorINSA_7pointerIiNSA_11hip_rocprim3tagENSA_11use_defaultESG_EEEEPS6_SJ_NS0_5tupleIJPiSJ_EEENSK_IJSJ_SJ_EEES6_PlJ7is_evenIiEEEE10hipError_tPvRmT3_T4_T5_T6_T7_T9_mT8_P12ihipStream_tbDpT10_ENKUlT_T0_E_clISt17integral_constantIbLb1EES1A_EEDaS15_S16_EUlS15_E_NS1_11comp_targetILNS1_3genE0ELNS1_11target_archE4294967295ELNS1_3gpuE0ELNS1_3repE0EEENS1_30default_config_static_selectorELNS0_4arch9wavefront6targetE1EEEvT1_,"axG",@progbits,_ZN7rocprim17ROCPRIM_400000_NS6detail17trampoline_kernelINS0_14default_configENS1_25partition_config_selectorILNS1_17partition_subalgoE3EiNS0_10empty_typeEbEEZZNS1_14partition_implILS5_3ELb0ES3_jN6thrust23THRUST_200600_302600_NS6detail15normal_iteratorINSA_7pointerIiNSA_11hip_rocprim3tagENSA_11use_defaultESG_EEEEPS6_SJ_NS0_5tupleIJPiSJ_EEENSK_IJSJ_SJ_EEES6_PlJ7is_evenIiEEEE10hipError_tPvRmT3_T4_T5_T6_T7_T9_mT8_P12ihipStream_tbDpT10_ENKUlT_T0_E_clISt17integral_constantIbLb1EES1A_EEDaS15_S16_EUlS15_E_NS1_11comp_targetILNS1_3genE0ELNS1_11target_archE4294967295ELNS1_3gpuE0ELNS1_3repE0EEENS1_30default_config_static_selectorELNS0_4arch9wavefront6targetE1EEEvT1_,comdat
	.protected	_ZN7rocprim17ROCPRIM_400000_NS6detail17trampoline_kernelINS0_14default_configENS1_25partition_config_selectorILNS1_17partition_subalgoE3EiNS0_10empty_typeEbEEZZNS1_14partition_implILS5_3ELb0ES3_jN6thrust23THRUST_200600_302600_NS6detail15normal_iteratorINSA_7pointerIiNSA_11hip_rocprim3tagENSA_11use_defaultESG_EEEEPS6_SJ_NS0_5tupleIJPiSJ_EEENSK_IJSJ_SJ_EEES6_PlJ7is_evenIiEEEE10hipError_tPvRmT3_T4_T5_T6_T7_T9_mT8_P12ihipStream_tbDpT10_ENKUlT_T0_E_clISt17integral_constantIbLb1EES1A_EEDaS15_S16_EUlS15_E_NS1_11comp_targetILNS1_3genE0ELNS1_11target_archE4294967295ELNS1_3gpuE0ELNS1_3repE0EEENS1_30default_config_static_selectorELNS0_4arch9wavefront6targetE1EEEvT1_ ; -- Begin function _ZN7rocprim17ROCPRIM_400000_NS6detail17trampoline_kernelINS0_14default_configENS1_25partition_config_selectorILNS1_17partition_subalgoE3EiNS0_10empty_typeEbEEZZNS1_14partition_implILS5_3ELb0ES3_jN6thrust23THRUST_200600_302600_NS6detail15normal_iteratorINSA_7pointerIiNSA_11hip_rocprim3tagENSA_11use_defaultESG_EEEEPS6_SJ_NS0_5tupleIJPiSJ_EEENSK_IJSJ_SJ_EEES6_PlJ7is_evenIiEEEE10hipError_tPvRmT3_T4_T5_T6_T7_T9_mT8_P12ihipStream_tbDpT10_ENKUlT_T0_E_clISt17integral_constantIbLb1EES1A_EEDaS15_S16_EUlS15_E_NS1_11comp_targetILNS1_3genE0ELNS1_11target_archE4294967295ELNS1_3gpuE0ELNS1_3repE0EEENS1_30default_config_static_selectorELNS0_4arch9wavefront6targetE1EEEvT1_
	.globl	_ZN7rocprim17ROCPRIM_400000_NS6detail17trampoline_kernelINS0_14default_configENS1_25partition_config_selectorILNS1_17partition_subalgoE3EiNS0_10empty_typeEbEEZZNS1_14partition_implILS5_3ELb0ES3_jN6thrust23THRUST_200600_302600_NS6detail15normal_iteratorINSA_7pointerIiNSA_11hip_rocprim3tagENSA_11use_defaultESG_EEEEPS6_SJ_NS0_5tupleIJPiSJ_EEENSK_IJSJ_SJ_EEES6_PlJ7is_evenIiEEEE10hipError_tPvRmT3_T4_T5_T6_T7_T9_mT8_P12ihipStream_tbDpT10_ENKUlT_T0_E_clISt17integral_constantIbLb1EES1A_EEDaS15_S16_EUlS15_E_NS1_11comp_targetILNS1_3genE0ELNS1_11target_archE4294967295ELNS1_3gpuE0ELNS1_3repE0EEENS1_30default_config_static_selectorELNS0_4arch9wavefront6targetE1EEEvT1_
	.p2align	8
	.type	_ZN7rocprim17ROCPRIM_400000_NS6detail17trampoline_kernelINS0_14default_configENS1_25partition_config_selectorILNS1_17partition_subalgoE3EiNS0_10empty_typeEbEEZZNS1_14partition_implILS5_3ELb0ES3_jN6thrust23THRUST_200600_302600_NS6detail15normal_iteratorINSA_7pointerIiNSA_11hip_rocprim3tagENSA_11use_defaultESG_EEEEPS6_SJ_NS0_5tupleIJPiSJ_EEENSK_IJSJ_SJ_EEES6_PlJ7is_evenIiEEEE10hipError_tPvRmT3_T4_T5_T6_T7_T9_mT8_P12ihipStream_tbDpT10_ENKUlT_T0_E_clISt17integral_constantIbLb1EES1A_EEDaS15_S16_EUlS15_E_NS1_11comp_targetILNS1_3genE0ELNS1_11target_archE4294967295ELNS1_3gpuE0ELNS1_3repE0EEENS1_30default_config_static_selectorELNS0_4arch9wavefront6targetE1EEEvT1_,@function
_ZN7rocprim17ROCPRIM_400000_NS6detail17trampoline_kernelINS0_14default_configENS1_25partition_config_selectorILNS1_17partition_subalgoE3EiNS0_10empty_typeEbEEZZNS1_14partition_implILS5_3ELb0ES3_jN6thrust23THRUST_200600_302600_NS6detail15normal_iteratorINSA_7pointerIiNSA_11hip_rocprim3tagENSA_11use_defaultESG_EEEEPS6_SJ_NS0_5tupleIJPiSJ_EEENSK_IJSJ_SJ_EEES6_PlJ7is_evenIiEEEE10hipError_tPvRmT3_T4_T5_T6_T7_T9_mT8_P12ihipStream_tbDpT10_ENKUlT_T0_E_clISt17integral_constantIbLb1EES1A_EEDaS15_S16_EUlS15_E_NS1_11comp_targetILNS1_3genE0ELNS1_11target_archE4294967295ELNS1_3gpuE0ELNS1_3repE0EEENS1_30default_config_static_selectorELNS0_4arch9wavefront6targetE1EEEvT1_: ; @_ZN7rocprim17ROCPRIM_400000_NS6detail17trampoline_kernelINS0_14default_configENS1_25partition_config_selectorILNS1_17partition_subalgoE3EiNS0_10empty_typeEbEEZZNS1_14partition_implILS5_3ELb0ES3_jN6thrust23THRUST_200600_302600_NS6detail15normal_iteratorINSA_7pointerIiNSA_11hip_rocprim3tagENSA_11use_defaultESG_EEEEPS6_SJ_NS0_5tupleIJPiSJ_EEENSK_IJSJ_SJ_EEES6_PlJ7is_evenIiEEEE10hipError_tPvRmT3_T4_T5_T6_T7_T9_mT8_P12ihipStream_tbDpT10_ENKUlT_T0_E_clISt17integral_constantIbLb1EES1A_EEDaS15_S16_EUlS15_E_NS1_11comp_targetILNS1_3genE0ELNS1_11target_archE4294967295ELNS1_3gpuE0ELNS1_3repE0EEENS1_30default_config_static_selectorELNS0_4arch9wavefront6targetE1EEEvT1_
; %bb.0:
	.section	.rodata,"a",@progbits
	.p2align	6, 0x0
	.amdhsa_kernel _ZN7rocprim17ROCPRIM_400000_NS6detail17trampoline_kernelINS0_14default_configENS1_25partition_config_selectorILNS1_17partition_subalgoE3EiNS0_10empty_typeEbEEZZNS1_14partition_implILS5_3ELb0ES3_jN6thrust23THRUST_200600_302600_NS6detail15normal_iteratorINSA_7pointerIiNSA_11hip_rocprim3tagENSA_11use_defaultESG_EEEEPS6_SJ_NS0_5tupleIJPiSJ_EEENSK_IJSJ_SJ_EEES6_PlJ7is_evenIiEEEE10hipError_tPvRmT3_T4_T5_T6_T7_T9_mT8_P12ihipStream_tbDpT10_ENKUlT_T0_E_clISt17integral_constantIbLb1EES1A_EEDaS15_S16_EUlS15_E_NS1_11comp_targetILNS1_3genE0ELNS1_11target_archE4294967295ELNS1_3gpuE0ELNS1_3repE0EEENS1_30default_config_static_selectorELNS0_4arch9wavefront6targetE1EEEvT1_
		.amdhsa_group_segment_fixed_size 0
		.amdhsa_private_segment_fixed_size 0
		.amdhsa_kernarg_size 136
		.amdhsa_user_sgpr_count 6
		.amdhsa_user_sgpr_private_segment_buffer 1
		.amdhsa_user_sgpr_dispatch_ptr 0
		.amdhsa_user_sgpr_queue_ptr 0
		.amdhsa_user_sgpr_kernarg_segment_ptr 1
		.amdhsa_user_sgpr_dispatch_id 0
		.amdhsa_user_sgpr_flat_scratch_init 0
		.amdhsa_user_sgpr_kernarg_preload_length 0
		.amdhsa_user_sgpr_kernarg_preload_offset 0
		.amdhsa_user_sgpr_private_segment_size 0
		.amdhsa_uses_dynamic_stack 0
		.amdhsa_system_sgpr_private_segment_wavefront_offset 0
		.amdhsa_system_sgpr_workgroup_id_x 1
		.amdhsa_system_sgpr_workgroup_id_y 0
		.amdhsa_system_sgpr_workgroup_id_z 0
		.amdhsa_system_sgpr_workgroup_info 0
		.amdhsa_system_vgpr_workitem_id 0
		.amdhsa_next_free_vgpr 1
		.amdhsa_next_free_sgpr 0
		.amdhsa_accum_offset 4
		.amdhsa_reserve_vcc 0
		.amdhsa_reserve_flat_scratch 0
		.amdhsa_float_round_mode_32 0
		.amdhsa_float_round_mode_16_64 0
		.amdhsa_float_denorm_mode_32 3
		.amdhsa_float_denorm_mode_16_64 3
		.amdhsa_dx10_clamp 1
		.amdhsa_ieee_mode 1
		.amdhsa_fp16_overflow 0
		.amdhsa_tg_split 0
		.amdhsa_exception_fp_ieee_invalid_op 0
		.amdhsa_exception_fp_denorm_src 0
		.amdhsa_exception_fp_ieee_div_zero 0
		.amdhsa_exception_fp_ieee_overflow 0
		.amdhsa_exception_fp_ieee_underflow 0
		.amdhsa_exception_fp_ieee_inexact 0
		.amdhsa_exception_int_div_zero 0
	.end_amdhsa_kernel
	.section	.text._ZN7rocprim17ROCPRIM_400000_NS6detail17trampoline_kernelINS0_14default_configENS1_25partition_config_selectorILNS1_17partition_subalgoE3EiNS0_10empty_typeEbEEZZNS1_14partition_implILS5_3ELb0ES3_jN6thrust23THRUST_200600_302600_NS6detail15normal_iteratorINSA_7pointerIiNSA_11hip_rocprim3tagENSA_11use_defaultESG_EEEEPS6_SJ_NS0_5tupleIJPiSJ_EEENSK_IJSJ_SJ_EEES6_PlJ7is_evenIiEEEE10hipError_tPvRmT3_T4_T5_T6_T7_T9_mT8_P12ihipStream_tbDpT10_ENKUlT_T0_E_clISt17integral_constantIbLb1EES1A_EEDaS15_S16_EUlS15_E_NS1_11comp_targetILNS1_3genE0ELNS1_11target_archE4294967295ELNS1_3gpuE0ELNS1_3repE0EEENS1_30default_config_static_selectorELNS0_4arch9wavefront6targetE1EEEvT1_,"axG",@progbits,_ZN7rocprim17ROCPRIM_400000_NS6detail17trampoline_kernelINS0_14default_configENS1_25partition_config_selectorILNS1_17partition_subalgoE3EiNS0_10empty_typeEbEEZZNS1_14partition_implILS5_3ELb0ES3_jN6thrust23THRUST_200600_302600_NS6detail15normal_iteratorINSA_7pointerIiNSA_11hip_rocprim3tagENSA_11use_defaultESG_EEEEPS6_SJ_NS0_5tupleIJPiSJ_EEENSK_IJSJ_SJ_EEES6_PlJ7is_evenIiEEEE10hipError_tPvRmT3_T4_T5_T6_T7_T9_mT8_P12ihipStream_tbDpT10_ENKUlT_T0_E_clISt17integral_constantIbLb1EES1A_EEDaS15_S16_EUlS15_E_NS1_11comp_targetILNS1_3genE0ELNS1_11target_archE4294967295ELNS1_3gpuE0ELNS1_3repE0EEENS1_30default_config_static_selectorELNS0_4arch9wavefront6targetE1EEEvT1_,comdat
.Lfunc_end96:
	.size	_ZN7rocprim17ROCPRIM_400000_NS6detail17trampoline_kernelINS0_14default_configENS1_25partition_config_selectorILNS1_17partition_subalgoE3EiNS0_10empty_typeEbEEZZNS1_14partition_implILS5_3ELb0ES3_jN6thrust23THRUST_200600_302600_NS6detail15normal_iteratorINSA_7pointerIiNSA_11hip_rocprim3tagENSA_11use_defaultESG_EEEEPS6_SJ_NS0_5tupleIJPiSJ_EEENSK_IJSJ_SJ_EEES6_PlJ7is_evenIiEEEE10hipError_tPvRmT3_T4_T5_T6_T7_T9_mT8_P12ihipStream_tbDpT10_ENKUlT_T0_E_clISt17integral_constantIbLb1EES1A_EEDaS15_S16_EUlS15_E_NS1_11comp_targetILNS1_3genE0ELNS1_11target_archE4294967295ELNS1_3gpuE0ELNS1_3repE0EEENS1_30default_config_static_selectorELNS0_4arch9wavefront6targetE1EEEvT1_, .Lfunc_end96-_ZN7rocprim17ROCPRIM_400000_NS6detail17trampoline_kernelINS0_14default_configENS1_25partition_config_selectorILNS1_17partition_subalgoE3EiNS0_10empty_typeEbEEZZNS1_14partition_implILS5_3ELb0ES3_jN6thrust23THRUST_200600_302600_NS6detail15normal_iteratorINSA_7pointerIiNSA_11hip_rocprim3tagENSA_11use_defaultESG_EEEEPS6_SJ_NS0_5tupleIJPiSJ_EEENSK_IJSJ_SJ_EEES6_PlJ7is_evenIiEEEE10hipError_tPvRmT3_T4_T5_T6_T7_T9_mT8_P12ihipStream_tbDpT10_ENKUlT_T0_E_clISt17integral_constantIbLb1EES1A_EEDaS15_S16_EUlS15_E_NS1_11comp_targetILNS1_3genE0ELNS1_11target_archE4294967295ELNS1_3gpuE0ELNS1_3repE0EEENS1_30default_config_static_selectorELNS0_4arch9wavefront6targetE1EEEvT1_
                                        ; -- End function
	.section	.AMDGPU.csdata,"",@progbits
; Kernel info:
; codeLenInByte = 0
; NumSgprs: 4
; NumVgprs: 0
; NumAgprs: 0
; TotalNumVgprs: 0
; ScratchSize: 0
; MemoryBound: 0
; FloatMode: 240
; IeeeMode: 1
; LDSByteSize: 0 bytes/workgroup (compile time only)
; SGPRBlocks: 0
; VGPRBlocks: 0
; NumSGPRsForWavesPerEU: 4
; NumVGPRsForWavesPerEU: 1
; AccumOffset: 4
; Occupancy: 8
; WaveLimiterHint : 0
; COMPUTE_PGM_RSRC2:SCRATCH_EN: 0
; COMPUTE_PGM_RSRC2:USER_SGPR: 6
; COMPUTE_PGM_RSRC2:TRAP_HANDLER: 0
; COMPUTE_PGM_RSRC2:TGID_X_EN: 1
; COMPUTE_PGM_RSRC2:TGID_Y_EN: 0
; COMPUTE_PGM_RSRC2:TGID_Z_EN: 0
; COMPUTE_PGM_RSRC2:TIDIG_COMP_CNT: 0
; COMPUTE_PGM_RSRC3_GFX90A:ACCUM_OFFSET: 0
; COMPUTE_PGM_RSRC3_GFX90A:TG_SPLIT: 0
	.section	.text._ZN7rocprim17ROCPRIM_400000_NS6detail17trampoline_kernelINS0_14default_configENS1_25partition_config_selectorILNS1_17partition_subalgoE3EiNS0_10empty_typeEbEEZZNS1_14partition_implILS5_3ELb0ES3_jN6thrust23THRUST_200600_302600_NS6detail15normal_iteratorINSA_7pointerIiNSA_11hip_rocprim3tagENSA_11use_defaultESG_EEEEPS6_SJ_NS0_5tupleIJPiSJ_EEENSK_IJSJ_SJ_EEES6_PlJ7is_evenIiEEEE10hipError_tPvRmT3_T4_T5_T6_T7_T9_mT8_P12ihipStream_tbDpT10_ENKUlT_T0_E_clISt17integral_constantIbLb1EES1A_EEDaS15_S16_EUlS15_E_NS1_11comp_targetILNS1_3genE5ELNS1_11target_archE942ELNS1_3gpuE9ELNS1_3repE0EEENS1_30default_config_static_selectorELNS0_4arch9wavefront6targetE1EEEvT1_,"axG",@progbits,_ZN7rocprim17ROCPRIM_400000_NS6detail17trampoline_kernelINS0_14default_configENS1_25partition_config_selectorILNS1_17partition_subalgoE3EiNS0_10empty_typeEbEEZZNS1_14partition_implILS5_3ELb0ES3_jN6thrust23THRUST_200600_302600_NS6detail15normal_iteratorINSA_7pointerIiNSA_11hip_rocprim3tagENSA_11use_defaultESG_EEEEPS6_SJ_NS0_5tupleIJPiSJ_EEENSK_IJSJ_SJ_EEES6_PlJ7is_evenIiEEEE10hipError_tPvRmT3_T4_T5_T6_T7_T9_mT8_P12ihipStream_tbDpT10_ENKUlT_T0_E_clISt17integral_constantIbLb1EES1A_EEDaS15_S16_EUlS15_E_NS1_11comp_targetILNS1_3genE5ELNS1_11target_archE942ELNS1_3gpuE9ELNS1_3repE0EEENS1_30default_config_static_selectorELNS0_4arch9wavefront6targetE1EEEvT1_,comdat
	.protected	_ZN7rocprim17ROCPRIM_400000_NS6detail17trampoline_kernelINS0_14default_configENS1_25partition_config_selectorILNS1_17partition_subalgoE3EiNS0_10empty_typeEbEEZZNS1_14partition_implILS5_3ELb0ES3_jN6thrust23THRUST_200600_302600_NS6detail15normal_iteratorINSA_7pointerIiNSA_11hip_rocprim3tagENSA_11use_defaultESG_EEEEPS6_SJ_NS0_5tupleIJPiSJ_EEENSK_IJSJ_SJ_EEES6_PlJ7is_evenIiEEEE10hipError_tPvRmT3_T4_T5_T6_T7_T9_mT8_P12ihipStream_tbDpT10_ENKUlT_T0_E_clISt17integral_constantIbLb1EES1A_EEDaS15_S16_EUlS15_E_NS1_11comp_targetILNS1_3genE5ELNS1_11target_archE942ELNS1_3gpuE9ELNS1_3repE0EEENS1_30default_config_static_selectorELNS0_4arch9wavefront6targetE1EEEvT1_ ; -- Begin function _ZN7rocprim17ROCPRIM_400000_NS6detail17trampoline_kernelINS0_14default_configENS1_25partition_config_selectorILNS1_17partition_subalgoE3EiNS0_10empty_typeEbEEZZNS1_14partition_implILS5_3ELb0ES3_jN6thrust23THRUST_200600_302600_NS6detail15normal_iteratorINSA_7pointerIiNSA_11hip_rocprim3tagENSA_11use_defaultESG_EEEEPS6_SJ_NS0_5tupleIJPiSJ_EEENSK_IJSJ_SJ_EEES6_PlJ7is_evenIiEEEE10hipError_tPvRmT3_T4_T5_T6_T7_T9_mT8_P12ihipStream_tbDpT10_ENKUlT_T0_E_clISt17integral_constantIbLb1EES1A_EEDaS15_S16_EUlS15_E_NS1_11comp_targetILNS1_3genE5ELNS1_11target_archE942ELNS1_3gpuE9ELNS1_3repE0EEENS1_30default_config_static_selectorELNS0_4arch9wavefront6targetE1EEEvT1_
	.globl	_ZN7rocprim17ROCPRIM_400000_NS6detail17trampoline_kernelINS0_14default_configENS1_25partition_config_selectorILNS1_17partition_subalgoE3EiNS0_10empty_typeEbEEZZNS1_14partition_implILS5_3ELb0ES3_jN6thrust23THRUST_200600_302600_NS6detail15normal_iteratorINSA_7pointerIiNSA_11hip_rocprim3tagENSA_11use_defaultESG_EEEEPS6_SJ_NS0_5tupleIJPiSJ_EEENSK_IJSJ_SJ_EEES6_PlJ7is_evenIiEEEE10hipError_tPvRmT3_T4_T5_T6_T7_T9_mT8_P12ihipStream_tbDpT10_ENKUlT_T0_E_clISt17integral_constantIbLb1EES1A_EEDaS15_S16_EUlS15_E_NS1_11comp_targetILNS1_3genE5ELNS1_11target_archE942ELNS1_3gpuE9ELNS1_3repE0EEENS1_30default_config_static_selectorELNS0_4arch9wavefront6targetE1EEEvT1_
	.p2align	8
	.type	_ZN7rocprim17ROCPRIM_400000_NS6detail17trampoline_kernelINS0_14default_configENS1_25partition_config_selectorILNS1_17partition_subalgoE3EiNS0_10empty_typeEbEEZZNS1_14partition_implILS5_3ELb0ES3_jN6thrust23THRUST_200600_302600_NS6detail15normal_iteratorINSA_7pointerIiNSA_11hip_rocprim3tagENSA_11use_defaultESG_EEEEPS6_SJ_NS0_5tupleIJPiSJ_EEENSK_IJSJ_SJ_EEES6_PlJ7is_evenIiEEEE10hipError_tPvRmT3_T4_T5_T6_T7_T9_mT8_P12ihipStream_tbDpT10_ENKUlT_T0_E_clISt17integral_constantIbLb1EES1A_EEDaS15_S16_EUlS15_E_NS1_11comp_targetILNS1_3genE5ELNS1_11target_archE942ELNS1_3gpuE9ELNS1_3repE0EEENS1_30default_config_static_selectorELNS0_4arch9wavefront6targetE1EEEvT1_,@function
_ZN7rocprim17ROCPRIM_400000_NS6detail17trampoline_kernelINS0_14default_configENS1_25partition_config_selectorILNS1_17partition_subalgoE3EiNS0_10empty_typeEbEEZZNS1_14partition_implILS5_3ELb0ES3_jN6thrust23THRUST_200600_302600_NS6detail15normal_iteratorINSA_7pointerIiNSA_11hip_rocprim3tagENSA_11use_defaultESG_EEEEPS6_SJ_NS0_5tupleIJPiSJ_EEENSK_IJSJ_SJ_EEES6_PlJ7is_evenIiEEEE10hipError_tPvRmT3_T4_T5_T6_T7_T9_mT8_P12ihipStream_tbDpT10_ENKUlT_T0_E_clISt17integral_constantIbLb1EES1A_EEDaS15_S16_EUlS15_E_NS1_11comp_targetILNS1_3genE5ELNS1_11target_archE942ELNS1_3gpuE9ELNS1_3repE0EEENS1_30default_config_static_selectorELNS0_4arch9wavefront6targetE1EEEvT1_: ; @_ZN7rocprim17ROCPRIM_400000_NS6detail17trampoline_kernelINS0_14default_configENS1_25partition_config_selectorILNS1_17partition_subalgoE3EiNS0_10empty_typeEbEEZZNS1_14partition_implILS5_3ELb0ES3_jN6thrust23THRUST_200600_302600_NS6detail15normal_iteratorINSA_7pointerIiNSA_11hip_rocprim3tagENSA_11use_defaultESG_EEEEPS6_SJ_NS0_5tupleIJPiSJ_EEENSK_IJSJ_SJ_EEES6_PlJ7is_evenIiEEEE10hipError_tPvRmT3_T4_T5_T6_T7_T9_mT8_P12ihipStream_tbDpT10_ENKUlT_T0_E_clISt17integral_constantIbLb1EES1A_EEDaS15_S16_EUlS15_E_NS1_11comp_targetILNS1_3genE5ELNS1_11target_archE942ELNS1_3gpuE9ELNS1_3repE0EEENS1_30default_config_static_selectorELNS0_4arch9wavefront6targetE1EEEvT1_
; %bb.0:
	.section	.rodata,"a",@progbits
	.p2align	6, 0x0
	.amdhsa_kernel _ZN7rocprim17ROCPRIM_400000_NS6detail17trampoline_kernelINS0_14default_configENS1_25partition_config_selectorILNS1_17partition_subalgoE3EiNS0_10empty_typeEbEEZZNS1_14partition_implILS5_3ELb0ES3_jN6thrust23THRUST_200600_302600_NS6detail15normal_iteratorINSA_7pointerIiNSA_11hip_rocprim3tagENSA_11use_defaultESG_EEEEPS6_SJ_NS0_5tupleIJPiSJ_EEENSK_IJSJ_SJ_EEES6_PlJ7is_evenIiEEEE10hipError_tPvRmT3_T4_T5_T6_T7_T9_mT8_P12ihipStream_tbDpT10_ENKUlT_T0_E_clISt17integral_constantIbLb1EES1A_EEDaS15_S16_EUlS15_E_NS1_11comp_targetILNS1_3genE5ELNS1_11target_archE942ELNS1_3gpuE9ELNS1_3repE0EEENS1_30default_config_static_selectorELNS0_4arch9wavefront6targetE1EEEvT1_
		.amdhsa_group_segment_fixed_size 0
		.amdhsa_private_segment_fixed_size 0
		.amdhsa_kernarg_size 136
		.amdhsa_user_sgpr_count 6
		.amdhsa_user_sgpr_private_segment_buffer 1
		.amdhsa_user_sgpr_dispatch_ptr 0
		.amdhsa_user_sgpr_queue_ptr 0
		.amdhsa_user_sgpr_kernarg_segment_ptr 1
		.amdhsa_user_sgpr_dispatch_id 0
		.amdhsa_user_sgpr_flat_scratch_init 0
		.amdhsa_user_sgpr_kernarg_preload_length 0
		.amdhsa_user_sgpr_kernarg_preload_offset 0
		.amdhsa_user_sgpr_private_segment_size 0
		.amdhsa_uses_dynamic_stack 0
		.amdhsa_system_sgpr_private_segment_wavefront_offset 0
		.amdhsa_system_sgpr_workgroup_id_x 1
		.amdhsa_system_sgpr_workgroup_id_y 0
		.amdhsa_system_sgpr_workgroup_id_z 0
		.amdhsa_system_sgpr_workgroup_info 0
		.amdhsa_system_vgpr_workitem_id 0
		.amdhsa_next_free_vgpr 1
		.amdhsa_next_free_sgpr 0
		.amdhsa_accum_offset 4
		.amdhsa_reserve_vcc 0
		.amdhsa_reserve_flat_scratch 0
		.amdhsa_float_round_mode_32 0
		.amdhsa_float_round_mode_16_64 0
		.amdhsa_float_denorm_mode_32 3
		.amdhsa_float_denorm_mode_16_64 3
		.amdhsa_dx10_clamp 1
		.amdhsa_ieee_mode 1
		.amdhsa_fp16_overflow 0
		.amdhsa_tg_split 0
		.amdhsa_exception_fp_ieee_invalid_op 0
		.amdhsa_exception_fp_denorm_src 0
		.amdhsa_exception_fp_ieee_div_zero 0
		.amdhsa_exception_fp_ieee_overflow 0
		.amdhsa_exception_fp_ieee_underflow 0
		.amdhsa_exception_fp_ieee_inexact 0
		.amdhsa_exception_int_div_zero 0
	.end_amdhsa_kernel
	.section	.text._ZN7rocprim17ROCPRIM_400000_NS6detail17trampoline_kernelINS0_14default_configENS1_25partition_config_selectorILNS1_17partition_subalgoE3EiNS0_10empty_typeEbEEZZNS1_14partition_implILS5_3ELb0ES3_jN6thrust23THRUST_200600_302600_NS6detail15normal_iteratorINSA_7pointerIiNSA_11hip_rocprim3tagENSA_11use_defaultESG_EEEEPS6_SJ_NS0_5tupleIJPiSJ_EEENSK_IJSJ_SJ_EEES6_PlJ7is_evenIiEEEE10hipError_tPvRmT3_T4_T5_T6_T7_T9_mT8_P12ihipStream_tbDpT10_ENKUlT_T0_E_clISt17integral_constantIbLb1EES1A_EEDaS15_S16_EUlS15_E_NS1_11comp_targetILNS1_3genE5ELNS1_11target_archE942ELNS1_3gpuE9ELNS1_3repE0EEENS1_30default_config_static_selectorELNS0_4arch9wavefront6targetE1EEEvT1_,"axG",@progbits,_ZN7rocprim17ROCPRIM_400000_NS6detail17trampoline_kernelINS0_14default_configENS1_25partition_config_selectorILNS1_17partition_subalgoE3EiNS0_10empty_typeEbEEZZNS1_14partition_implILS5_3ELb0ES3_jN6thrust23THRUST_200600_302600_NS6detail15normal_iteratorINSA_7pointerIiNSA_11hip_rocprim3tagENSA_11use_defaultESG_EEEEPS6_SJ_NS0_5tupleIJPiSJ_EEENSK_IJSJ_SJ_EEES6_PlJ7is_evenIiEEEE10hipError_tPvRmT3_T4_T5_T6_T7_T9_mT8_P12ihipStream_tbDpT10_ENKUlT_T0_E_clISt17integral_constantIbLb1EES1A_EEDaS15_S16_EUlS15_E_NS1_11comp_targetILNS1_3genE5ELNS1_11target_archE942ELNS1_3gpuE9ELNS1_3repE0EEENS1_30default_config_static_selectorELNS0_4arch9wavefront6targetE1EEEvT1_,comdat
.Lfunc_end97:
	.size	_ZN7rocprim17ROCPRIM_400000_NS6detail17trampoline_kernelINS0_14default_configENS1_25partition_config_selectorILNS1_17partition_subalgoE3EiNS0_10empty_typeEbEEZZNS1_14partition_implILS5_3ELb0ES3_jN6thrust23THRUST_200600_302600_NS6detail15normal_iteratorINSA_7pointerIiNSA_11hip_rocprim3tagENSA_11use_defaultESG_EEEEPS6_SJ_NS0_5tupleIJPiSJ_EEENSK_IJSJ_SJ_EEES6_PlJ7is_evenIiEEEE10hipError_tPvRmT3_T4_T5_T6_T7_T9_mT8_P12ihipStream_tbDpT10_ENKUlT_T0_E_clISt17integral_constantIbLb1EES1A_EEDaS15_S16_EUlS15_E_NS1_11comp_targetILNS1_3genE5ELNS1_11target_archE942ELNS1_3gpuE9ELNS1_3repE0EEENS1_30default_config_static_selectorELNS0_4arch9wavefront6targetE1EEEvT1_, .Lfunc_end97-_ZN7rocprim17ROCPRIM_400000_NS6detail17trampoline_kernelINS0_14default_configENS1_25partition_config_selectorILNS1_17partition_subalgoE3EiNS0_10empty_typeEbEEZZNS1_14partition_implILS5_3ELb0ES3_jN6thrust23THRUST_200600_302600_NS6detail15normal_iteratorINSA_7pointerIiNSA_11hip_rocprim3tagENSA_11use_defaultESG_EEEEPS6_SJ_NS0_5tupleIJPiSJ_EEENSK_IJSJ_SJ_EEES6_PlJ7is_evenIiEEEE10hipError_tPvRmT3_T4_T5_T6_T7_T9_mT8_P12ihipStream_tbDpT10_ENKUlT_T0_E_clISt17integral_constantIbLb1EES1A_EEDaS15_S16_EUlS15_E_NS1_11comp_targetILNS1_3genE5ELNS1_11target_archE942ELNS1_3gpuE9ELNS1_3repE0EEENS1_30default_config_static_selectorELNS0_4arch9wavefront6targetE1EEEvT1_
                                        ; -- End function
	.section	.AMDGPU.csdata,"",@progbits
; Kernel info:
; codeLenInByte = 0
; NumSgprs: 4
; NumVgprs: 0
; NumAgprs: 0
; TotalNumVgprs: 0
; ScratchSize: 0
; MemoryBound: 0
; FloatMode: 240
; IeeeMode: 1
; LDSByteSize: 0 bytes/workgroup (compile time only)
; SGPRBlocks: 0
; VGPRBlocks: 0
; NumSGPRsForWavesPerEU: 4
; NumVGPRsForWavesPerEU: 1
; AccumOffset: 4
; Occupancy: 8
; WaveLimiterHint : 0
; COMPUTE_PGM_RSRC2:SCRATCH_EN: 0
; COMPUTE_PGM_RSRC2:USER_SGPR: 6
; COMPUTE_PGM_RSRC2:TRAP_HANDLER: 0
; COMPUTE_PGM_RSRC2:TGID_X_EN: 1
; COMPUTE_PGM_RSRC2:TGID_Y_EN: 0
; COMPUTE_PGM_RSRC2:TGID_Z_EN: 0
; COMPUTE_PGM_RSRC2:TIDIG_COMP_CNT: 0
; COMPUTE_PGM_RSRC3_GFX90A:ACCUM_OFFSET: 0
; COMPUTE_PGM_RSRC3_GFX90A:TG_SPLIT: 0
	.section	.text._ZN7rocprim17ROCPRIM_400000_NS6detail17trampoline_kernelINS0_14default_configENS1_25partition_config_selectorILNS1_17partition_subalgoE3EiNS0_10empty_typeEbEEZZNS1_14partition_implILS5_3ELb0ES3_jN6thrust23THRUST_200600_302600_NS6detail15normal_iteratorINSA_7pointerIiNSA_11hip_rocprim3tagENSA_11use_defaultESG_EEEEPS6_SJ_NS0_5tupleIJPiSJ_EEENSK_IJSJ_SJ_EEES6_PlJ7is_evenIiEEEE10hipError_tPvRmT3_T4_T5_T6_T7_T9_mT8_P12ihipStream_tbDpT10_ENKUlT_T0_E_clISt17integral_constantIbLb1EES1A_EEDaS15_S16_EUlS15_E_NS1_11comp_targetILNS1_3genE4ELNS1_11target_archE910ELNS1_3gpuE8ELNS1_3repE0EEENS1_30default_config_static_selectorELNS0_4arch9wavefront6targetE1EEEvT1_,"axG",@progbits,_ZN7rocprim17ROCPRIM_400000_NS6detail17trampoline_kernelINS0_14default_configENS1_25partition_config_selectorILNS1_17partition_subalgoE3EiNS0_10empty_typeEbEEZZNS1_14partition_implILS5_3ELb0ES3_jN6thrust23THRUST_200600_302600_NS6detail15normal_iteratorINSA_7pointerIiNSA_11hip_rocprim3tagENSA_11use_defaultESG_EEEEPS6_SJ_NS0_5tupleIJPiSJ_EEENSK_IJSJ_SJ_EEES6_PlJ7is_evenIiEEEE10hipError_tPvRmT3_T4_T5_T6_T7_T9_mT8_P12ihipStream_tbDpT10_ENKUlT_T0_E_clISt17integral_constantIbLb1EES1A_EEDaS15_S16_EUlS15_E_NS1_11comp_targetILNS1_3genE4ELNS1_11target_archE910ELNS1_3gpuE8ELNS1_3repE0EEENS1_30default_config_static_selectorELNS0_4arch9wavefront6targetE1EEEvT1_,comdat
	.protected	_ZN7rocprim17ROCPRIM_400000_NS6detail17trampoline_kernelINS0_14default_configENS1_25partition_config_selectorILNS1_17partition_subalgoE3EiNS0_10empty_typeEbEEZZNS1_14partition_implILS5_3ELb0ES3_jN6thrust23THRUST_200600_302600_NS6detail15normal_iteratorINSA_7pointerIiNSA_11hip_rocprim3tagENSA_11use_defaultESG_EEEEPS6_SJ_NS0_5tupleIJPiSJ_EEENSK_IJSJ_SJ_EEES6_PlJ7is_evenIiEEEE10hipError_tPvRmT3_T4_T5_T6_T7_T9_mT8_P12ihipStream_tbDpT10_ENKUlT_T0_E_clISt17integral_constantIbLb1EES1A_EEDaS15_S16_EUlS15_E_NS1_11comp_targetILNS1_3genE4ELNS1_11target_archE910ELNS1_3gpuE8ELNS1_3repE0EEENS1_30default_config_static_selectorELNS0_4arch9wavefront6targetE1EEEvT1_ ; -- Begin function _ZN7rocprim17ROCPRIM_400000_NS6detail17trampoline_kernelINS0_14default_configENS1_25partition_config_selectorILNS1_17partition_subalgoE3EiNS0_10empty_typeEbEEZZNS1_14partition_implILS5_3ELb0ES3_jN6thrust23THRUST_200600_302600_NS6detail15normal_iteratorINSA_7pointerIiNSA_11hip_rocprim3tagENSA_11use_defaultESG_EEEEPS6_SJ_NS0_5tupleIJPiSJ_EEENSK_IJSJ_SJ_EEES6_PlJ7is_evenIiEEEE10hipError_tPvRmT3_T4_T5_T6_T7_T9_mT8_P12ihipStream_tbDpT10_ENKUlT_T0_E_clISt17integral_constantIbLb1EES1A_EEDaS15_S16_EUlS15_E_NS1_11comp_targetILNS1_3genE4ELNS1_11target_archE910ELNS1_3gpuE8ELNS1_3repE0EEENS1_30default_config_static_selectorELNS0_4arch9wavefront6targetE1EEEvT1_
	.globl	_ZN7rocprim17ROCPRIM_400000_NS6detail17trampoline_kernelINS0_14default_configENS1_25partition_config_selectorILNS1_17partition_subalgoE3EiNS0_10empty_typeEbEEZZNS1_14partition_implILS5_3ELb0ES3_jN6thrust23THRUST_200600_302600_NS6detail15normal_iteratorINSA_7pointerIiNSA_11hip_rocprim3tagENSA_11use_defaultESG_EEEEPS6_SJ_NS0_5tupleIJPiSJ_EEENSK_IJSJ_SJ_EEES6_PlJ7is_evenIiEEEE10hipError_tPvRmT3_T4_T5_T6_T7_T9_mT8_P12ihipStream_tbDpT10_ENKUlT_T0_E_clISt17integral_constantIbLb1EES1A_EEDaS15_S16_EUlS15_E_NS1_11comp_targetILNS1_3genE4ELNS1_11target_archE910ELNS1_3gpuE8ELNS1_3repE0EEENS1_30default_config_static_selectorELNS0_4arch9wavefront6targetE1EEEvT1_
	.p2align	8
	.type	_ZN7rocprim17ROCPRIM_400000_NS6detail17trampoline_kernelINS0_14default_configENS1_25partition_config_selectorILNS1_17partition_subalgoE3EiNS0_10empty_typeEbEEZZNS1_14partition_implILS5_3ELb0ES3_jN6thrust23THRUST_200600_302600_NS6detail15normal_iteratorINSA_7pointerIiNSA_11hip_rocprim3tagENSA_11use_defaultESG_EEEEPS6_SJ_NS0_5tupleIJPiSJ_EEENSK_IJSJ_SJ_EEES6_PlJ7is_evenIiEEEE10hipError_tPvRmT3_T4_T5_T6_T7_T9_mT8_P12ihipStream_tbDpT10_ENKUlT_T0_E_clISt17integral_constantIbLb1EES1A_EEDaS15_S16_EUlS15_E_NS1_11comp_targetILNS1_3genE4ELNS1_11target_archE910ELNS1_3gpuE8ELNS1_3repE0EEENS1_30default_config_static_selectorELNS0_4arch9wavefront6targetE1EEEvT1_,@function
_ZN7rocprim17ROCPRIM_400000_NS6detail17trampoline_kernelINS0_14default_configENS1_25partition_config_selectorILNS1_17partition_subalgoE3EiNS0_10empty_typeEbEEZZNS1_14partition_implILS5_3ELb0ES3_jN6thrust23THRUST_200600_302600_NS6detail15normal_iteratorINSA_7pointerIiNSA_11hip_rocprim3tagENSA_11use_defaultESG_EEEEPS6_SJ_NS0_5tupleIJPiSJ_EEENSK_IJSJ_SJ_EEES6_PlJ7is_evenIiEEEE10hipError_tPvRmT3_T4_T5_T6_T7_T9_mT8_P12ihipStream_tbDpT10_ENKUlT_T0_E_clISt17integral_constantIbLb1EES1A_EEDaS15_S16_EUlS15_E_NS1_11comp_targetILNS1_3genE4ELNS1_11target_archE910ELNS1_3gpuE8ELNS1_3repE0EEENS1_30default_config_static_selectorELNS0_4arch9wavefront6targetE1EEEvT1_: ; @_ZN7rocprim17ROCPRIM_400000_NS6detail17trampoline_kernelINS0_14default_configENS1_25partition_config_selectorILNS1_17partition_subalgoE3EiNS0_10empty_typeEbEEZZNS1_14partition_implILS5_3ELb0ES3_jN6thrust23THRUST_200600_302600_NS6detail15normal_iteratorINSA_7pointerIiNSA_11hip_rocprim3tagENSA_11use_defaultESG_EEEEPS6_SJ_NS0_5tupleIJPiSJ_EEENSK_IJSJ_SJ_EEES6_PlJ7is_evenIiEEEE10hipError_tPvRmT3_T4_T5_T6_T7_T9_mT8_P12ihipStream_tbDpT10_ENKUlT_T0_E_clISt17integral_constantIbLb1EES1A_EEDaS15_S16_EUlS15_E_NS1_11comp_targetILNS1_3genE4ELNS1_11target_archE910ELNS1_3gpuE8ELNS1_3repE0EEENS1_30default_config_static_selectorELNS0_4arch9wavefront6targetE1EEEvT1_
; %bb.0:
	s_load_dwordx2 s[28:29], s[4:5], 0x28
	s_load_dwordx4 s[20:23], s[4:5], 0x48
	s_load_dwordx2 s[30:31], s[4:5], 0x58
	s_load_dwordx2 s[34:35], s[4:5], 0x68
	v_cmp_eq_u32_e64 s[0:1], 0, v0
	s_and_saveexec_b64 s[2:3], s[0:1]
	s_cbranch_execz .LBB98_4
; %bb.1:
	s_mov_b64 s[8:9], exec
	v_mbcnt_lo_u32_b32 v1, s8, 0
	v_mbcnt_hi_u32_b32 v1, s9, v1
	v_cmp_eq_u32_e32 vcc, 0, v1
                                        ; implicit-def: $vgpr2
	s_and_saveexec_b64 s[6:7], vcc
	s_cbranch_execz .LBB98_3
; %bb.2:
	s_load_dwordx2 s[10:11], s[4:5], 0x78
	s_bcnt1_i32_b64 s8, s[8:9]
	v_mov_b32_e32 v2, 0
	v_mov_b32_e32 v3, s8
	s_waitcnt lgkmcnt(0)
	global_atomic_add v2, v2, v3, s[10:11] glc
.LBB98_3:
	s_or_b64 exec, exec, s[6:7]
	s_waitcnt vmcnt(0)
	v_readfirstlane_b32 s6, v2
	v_add_u32_e32 v1, s6, v1
	v_mov_b32_e32 v2, 0
	ds_write_b32 v2, v1
.LBB98_4:
	s_or_b64 exec, exec, s[2:3]
	v_mov_b32_e32 v13, 0
	s_load_dwordx4 s[24:27], s[4:5], 0x8
	s_load_dword s2, s[4:5], 0x70
	s_waitcnt lgkmcnt(0)
	s_barrier
	ds_read_b32 v1, v13
	s_waitcnt lgkmcnt(0)
	s_barrier
	global_load_dwordx2 v[14:15], v13, s[22:23]
	s_lshl_b64 s[4:5], s[26:27], 2
	s_add_u32 s6, s24, s4
	s_addc_u32 s7, s25, s5
	s_movk_i32 s3, 0xa00
	s_add_i32 s4, s2, -1
	s_mulk_i32 s2, 0xa00
	v_mul_lo_u32 v12, v1, s3
	s_add_i32 s3, s2, s26
	s_sub_i32 s33, s30, s3
	s_addk_i32 s33, 0xa00
	s_add_u32 s2, s26, s2
	v_readfirstlane_b32 s40, v1
	s_addc_u32 s3, s27, 0
	s_cmp_eq_u32 s40, s4
	v_pk_mov_b32 v[2:3], s[30:31], s[30:31] op_sel:[0,1]
	s_cselect_b64 s[22:23], -1, 0
	s_cmp_lg_u32 s40, s4
	v_cmp_lt_u64_e32 vcc, s[2:3], v[2:3]
	s_cselect_b64 s[2:3], -1, 0
	v_lshlrev_b64 v[2:3], 2, v[12:13]
	s_or_b64 s[4:5], vcc, s[2:3]
	v_mov_b32_e32 v1, s7
	v_add_co_u32_e32 v13, vcc, s6, v2
	v_addc_co_u32_e32 v16, vcc, v1, v3, vcc
	s_mov_b64 s[2:3], -1
	s_and_b64 vcc, exec, s[4:5]
	v_lshlrev_b32_e32 v1, 2, v0
	s_cbranch_vccz .LBB98_6
; %bb.5:
	v_add_co_u32_e32 v2, vcc, v13, v1
	v_addc_co_u32_e32 v3, vcc, 0, v16, vcc
	v_add_co_u32_e32 v4, vcc, 0x1000, v2
	v_addc_co_u32_e32 v5, vcc, 0, v3, vcc
	flat_load_dword v6, v[2:3]
	flat_load_dword v7, v[2:3] offset:1024
	flat_load_dword v8, v[2:3] offset:2048
	;; [unrolled: 1-line block ×3, first 2 shown]
	flat_load_dword v10, v[4:5]
	flat_load_dword v11, v[4:5] offset:1024
	flat_load_dword v17, v[4:5] offset:2048
	;; [unrolled: 1-line block ×3, first 2 shown]
	v_add_co_u32_e32 v2, vcc, 0x2000, v2
	v_addc_co_u32_e32 v3, vcc, 0, v3, vcc
	flat_load_dword v4, v[2:3]
	flat_load_dword v5, v[2:3] offset:1024
	s_mov_b64 s[2:3], 0
	s_waitcnt vmcnt(0) lgkmcnt(0)
	ds_write2st64_b32 v1, v6, v7 offset1:4
	ds_write2st64_b32 v1, v8, v9 offset0:8 offset1:12
	ds_write2st64_b32 v1, v10, v11 offset0:16 offset1:20
	;; [unrolled: 1-line block ×4, first 2 shown]
	s_waitcnt lgkmcnt(0)
	s_barrier
.LBB98_6:
	s_andn2_b64 vcc, exec, s[2:3]
	v_cmp_gt_u32_e64 s[2:3], s33, v0
	s_cbranch_vccnz .LBB98_28
; %bb.7:
                                        ; implicit-def: $vgpr2_vgpr3_vgpr4_vgpr5_vgpr6_vgpr7_vgpr8_vgpr9_vgpr10_vgpr11
	s_and_saveexec_b64 s[6:7], s[2:3]
	s_cbranch_execz .LBB98_9
; %bb.8:
	v_add_co_u32_e32 v2, vcc, v13, v1
	v_addc_co_u32_e32 v3, vcc, 0, v16, vcc
	flat_load_dword v2, v[2:3]
.LBB98_9:
	s_or_b64 exec, exec, s[6:7]
	v_or_b32_e32 v17, 0x100, v0
	v_cmp_gt_u32_e32 vcc, s33, v17
	s_and_saveexec_b64 s[2:3], vcc
	s_cbranch_execz .LBB98_11
; %bb.10:
	v_add_co_u32_e32 v18, vcc, v13, v1
	v_addc_co_u32_e32 v19, vcc, 0, v16, vcc
	flat_load_dword v3, v[18:19] offset:1024
.LBB98_11:
	s_or_b64 exec, exec, s[2:3]
	v_or_b32_e32 v17, 0x200, v0
	v_cmp_gt_u32_e32 vcc, s33, v17
	s_and_saveexec_b64 s[2:3], vcc
	s_cbranch_execz .LBB98_13
; %bb.12:
	v_add_co_u32_e32 v18, vcc, v13, v1
	v_addc_co_u32_e32 v19, vcc, 0, v16, vcc
	flat_load_dword v4, v[18:19] offset:2048
.LBB98_13:
	;; [unrolled: 10-line block ×3, first 2 shown]
	s_or_b64 exec, exec, s[2:3]
	v_or_b32_e32 v17, 0x400, v0
	v_cmp_gt_u32_e32 vcc, s33, v17
	s_and_saveexec_b64 s[2:3], vcc
	s_cbranch_execz .LBB98_17
; %bb.16:
	v_lshlrev_b32_e32 v6, 2, v17
	v_add_co_u32_e32 v18, vcc, v13, v6
	v_addc_co_u32_e32 v19, vcc, 0, v16, vcc
	flat_load_dword v6, v[18:19]
.LBB98_17:
	s_or_b64 exec, exec, s[2:3]
	v_or_b32_e32 v17, 0x500, v0
	v_cmp_gt_u32_e32 vcc, s33, v17
	s_and_saveexec_b64 s[2:3], vcc
	s_cbranch_execz .LBB98_19
; %bb.18:
	v_lshlrev_b32_e32 v7, 2, v17
	v_add_co_u32_e32 v18, vcc, v13, v7
	v_addc_co_u32_e32 v19, vcc, 0, v16, vcc
	flat_load_dword v7, v[18:19]
.LBB98_19:
	;; [unrolled: 11-line block ×6, first 2 shown]
	s_or_b64 exec, exec, s[2:3]
	s_waitcnt vmcnt(0) lgkmcnt(0)
	ds_write2st64_b32 v1, v2, v3 offset1:4
	ds_write2st64_b32 v1, v4, v5 offset0:8 offset1:12
	ds_write2st64_b32 v1, v6, v7 offset0:16 offset1:20
	;; [unrolled: 1-line block ×4, first 2 shown]
	s_waitcnt lgkmcnt(0)
	s_barrier
.LBB98_28:
	v_mul_u32_u24_e32 v26, 10, v0
	v_lshlrev_b32_e32 v32, 2, v26
	ds_read2_b64 v[6:9], v32 offset1:1
	ds_read2_b64 v[2:5], v32 offset0:2 offset1:3
	ds_read_b64 v[16:17], v32 offset:32
	v_cndmask_b32_e64 v10, 0, 1, s[4:5]
	v_cmp_ne_u32_e64 s[2:3], 1, v10
	s_andn2_b64 vcc, exec, s[4:5]
	s_waitcnt lgkmcnt(2)
	v_xor_b32_e32 v25, -1, v6
	v_xor_b32_e32 v24, -1, v7
	;; [unrolled: 1-line block ×4, first 2 shown]
	s_waitcnt lgkmcnt(1)
	v_xor_b32_e32 v21, -1, v2
	v_xor_b32_e32 v20, -1, v3
	v_xor_b32_e32 v19, -1, v4
	v_xor_b32_e32 v18, -1, v5
	s_waitcnt lgkmcnt(0)
	v_xor_b32_e32 v11, -1, v16
	v_xor_b32_e32 v10, -1, v17
	s_barrier
	s_cbranch_vccnz .LBB98_30
; %bb.29:
	v_mov_b32_e32 v13, 1
	v_and_b32_e32 v28, 1, v25
	v_and_b32_sdwa v29, v24, v13 dst_sel:BYTE_1 dst_unused:UNUSED_PAD src0_sel:DWORD src1_sel:DWORD
	v_and_b32_e32 v30, 1, v23
	v_and_b32_sdwa v31, v22, v13 dst_sel:BYTE_1 dst_unused:UNUSED_PAD src0_sel:DWORD src1_sel:DWORD
	;; [unrolled: 2-line block ×4, first 2 shown]
	v_or_b32_e32 v28, v28, v29
	v_or_b32_sdwa v29, v30, v31 dst_sel:WORD_1 dst_unused:UNUSED_PAD src0_sel:DWORD src1_sel:DWORD
	v_or_b32_sdwa v29, v28, v29 dst_sel:DWORD dst_unused:UNUSED_PAD src0_sel:WORD_0 src1_sel:DWORD
	v_or_b32_e32 v28, v33, v34
	v_or_b32_sdwa v30, v35, v36 dst_sel:WORD_1 dst_unused:UNUSED_PAD src0_sel:DWORD src1_sel:DWORD
	v_and_b32_e32 v27, 1, v11
	v_and_b32_e32 v13, 1, v10
	v_or_b32_sdwa v28, v28, v30 dst_sel:DWORD dst_unused:UNUSED_PAD src0_sel:WORD_0 src1_sel:DWORD
	s_cbranch_execz .LBB98_31
	s_branch .LBB98_32
.LBB98_30:
                                        ; implicit-def: $vgpr13
                                        ; implicit-def: $vgpr27
                                        ; implicit-def: $vgpr28
                                        ; implicit-def: $vgpr29
.LBB98_31:
	v_or_b32_e32 v35, 1, v26
	v_cmp_gt_u32_e32 vcc, s33, v26
	v_add_u32_e32 v13, 2, v26
	v_cndmask_b32_e64 v36, 0, 1, vcc
	v_cmp_gt_u32_e32 vcc, s33, v35
	v_add_u32_e32 v34, 3, v26
	v_cndmask_b32_e64 v35, 0, 1, vcc
	v_cmp_gt_u32_e32 vcc, s33, v13
	v_add_u32_e32 v27, 4, v26
	v_cndmask_b32_e64 v13, 0, 1, vcc
	v_cmp_gt_u32_e32 vcc, s33, v34
	v_add_u32_e32 v33, 5, v26
	v_and_b32_e32 v23, v13, v23
	v_cndmask_b32_e64 v13, 0, 1, vcc
	v_cmp_gt_u32_e32 vcc, s33, v27
	v_add_u32_e32 v28, 6, v26
	v_and_b32_sdwa v22, v13, v22 dst_sel:BYTE_1 dst_unused:UNUSED_PAD src0_sel:DWORD src1_sel:DWORD
	v_cndmask_b32_e64 v13, 0, 1, vcc
	v_cmp_gt_u32_e32 vcc, s33, v33
	v_add_u32_e32 v31, 7, v26
	v_and_b32_e32 v21, v13, v21
	v_cndmask_b32_e64 v13, 0, 1, vcc
	v_cmp_gt_u32_e32 vcc, s33, v28
	v_add_u32_e32 v29, 8, v26
	v_and_b32_sdwa v20, v13, v20 dst_sel:BYTE_1 dst_unused:UNUSED_PAD src0_sel:DWORD src1_sel:DWORD
	v_cndmask_b32_e64 v13, 0, 1, vcc
	v_cmp_gt_u32_e32 vcc, s33, v31
	v_add_u32_e32 v30, 9, v26
	v_and_b32_e32 v19, v13, v19
	v_cndmask_b32_e64 v13, 0, 1, vcc
	v_cmp_gt_u32_e32 vcc, s33, v29
	v_and_b32_sdwa v18, v13, v18 dst_sel:BYTE_1 dst_unused:UNUSED_PAD src0_sel:DWORD src1_sel:DWORD
	v_cndmask_b32_e64 v13, 0, 1, vcc
	v_cmp_gt_u32_e32 vcc, s33, v30
	v_and_b32_e32 v25, v36, v25
	v_and_b32_sdwa v24, v35, v24 dst_sel:BYTE_1 dst_unused:UNUSED_PAD src0_sel:DWORD src1_sel:DWORD
	v_and_b32_e32 v27, v13, v11
	v_cndmask_b32_e64 v11, 0, 1, vcc
	v_and_b32_e32 v13, v11, v10
	v_or_b32_e32 v10, v25, v24
	v_or_b32_sdwa v11, v23, v22 dst_sel:WORD_1 dst_unused:UNUSED_PAD src0_sel:DWORD src1_sel:DWORD
	v_or_b32_sdwa v29, v10, v11 dst_sel:DWORD dst_unused:UNUSED_PAD src0_sel:WORD_0 src1_sel:DWORD
	v_or_b32_e32 v10, v21, v20
	v_or_b32_sdwa v11, v19, v18 dst_sel:WORD_1 dst_unused:UNUSED_PAD src0_sel:DWORD src1_sel:DWORD
	v_or_b32_sdwa v28, v10, v11 dst_sel:DWORD dst_unused:UNUSED_PAD src0_sel:WORD_0 src1_sel:DWORD
.LBB98_32:
	v_bfe_u32 v33, v29, 16, 8
	v_lshrrev_b32_e32 v31, 24, v29
	v_add_u32_sdwa v11, v29, v29 dst_sel:DWORD dst_unused:UNUSED_PAD src0_sel:BYTE_1 src1_sel:BYTE_0
	v_and_b32_e32 v34, 0xff, v28
	v_bfe_u32 v35, v28, 8, 8
	v_add3_u32 v11, v11, v33, v31
	v_bfe_u32 v36, v28, 16, 8
	v_lshrrev_b32_e32 v30, 24, v28
	v_add3_u32 v11, v11, v34, v35
	v_and_b32_e32 v37, 0xff, v27
	v_and_b32_e32 v10, 0xff, v13
	v_add3_u32 v11, v11, v36, v30
	v_add3_u32 v40, v11, v37, v10
	v_mbcnt_lo_u32_b32 v10, -1, 0
	v_mbcnt_hi_u32_b32 v38, -1, v10
	v_and_b32_e32 v10, 15, v38
	v_cmp_eq_u32_e64 s[16:17], 0, v10
	v_cmp_lt_u32_e64 s[14:15], 1, v10
	v_cmp_lt_u32_e64 s[12:13], 3, v10
	;; [unrolled: 1-line block ×3, first 2 shown]
	v_and_b32_e32 v10, 16, v38
	v_cmp_eq_u32_e64 s[8:9], 0, v10
	v_or_b32_e32 v10, 63, v0
	s_cmp_lg_u32 s40, 0
	v_cmp_lt_u32_e64 s[4:5], 31, v38
	v_lshrrev_b32_e32 v39, 6, v0
	v_cmp_eq_u32_e64 s[6:7], v10, v0
	s_cbranch_scc0 .LBB98_63
; %bb.33:
	v_mov_b32_dpp v10, v40 row_shr:1 row_mask:0xf bank_mask:0xf
	v_cndmask_b32_e64 v10, v10, 0, s[16:17]
	v_add_u32_e32 v10, v10, v40
	s_nop 1
	v_mov_b32_dpp v11, v10 row_shr:2 row_mask:0xf bank_mask:0xf
	v_cndmask_b32_e64 v11, 0, v11, s[14:15]
	v_add_u32_e32 v10, v10, v11
	s_nop 1
	;; [unrolled: 4-line block ×4, first 2 shown]
	v_mov_b32_dpp v11, v10 row_bcast:15 row_mask:0xf bank_mask:0xf
	v_cndmask_b32_e64 v11, v11, 0, s[8:9]
	v_add_u32_e32 v10, v10, v11
	s_nop 1
	v_mov_b32_dpp v11, v10 row_bcast:31 row_mask:0xf bank_mask:0xf
	v_cndmask_b32_e64 v11, 0, v11, s[4:5]
	v_add_u32_e32 v10, v10, v11
	s_and_saveexec_b64 s[18:19], s[6:7]
	s_cbranch_execz .LBB98_35
; %bb.34:
	v_lshlrev_b32_e32 v11, 2, v39
	ds_write_b32 v11, v10
.LBB98_35:
	s_or_b64 exec, exec, s[18:19]
	v_cmp_gt_u32_e32 vcc, 4, v0
	s_waitcnt lgkmcnt(0)
	s_barrier
	s_and_saveexec_b64 s[18:19], vcc
	s_cbranch_execz .LBB98_37
; %bb.36:
	ds_read_b32 v11, v1
	v_and_b32_e32 v18, 3, v38
	v_cmp_ne_u32_e32 vcc, 0, v18
	s_waitcnt lgkmcnt(0)
	v_mov_b32_dpp v19, v11 row_shr:1 row_mask:0xf bank_mask:0xf
	v_cndmask_b32_e32 v19, 0, v19, vcc
	v_add_u32_e32 v11, v19, v11
	v_cmp_lt_u32_e32 vcc, 1, v18
	s_nop 0
	v_mov_b32_dpp v19, v11 row_shr:2 row_mask:0xf bank_mask:0xf
	v_cndmask_b32_e32 v18, 0, v19, vcc
	v_add_u32_e32 v11, v11, v18
	ds_write_b32 v1, v11
.LBB98_37:
	s_or_b64 exec, exec, s[18:19]
	v_cmp_gt_u32_e32 vcc, 64, v0
	v_cmp_lt_u32_e64 s[18:19], 63, v0
	s_waitcnt lgkmcnt(0)
	s_barrier
	s_waitcnt lgkmcnt(0)
                                        ; implicit-def: $vgpr41
	s_and_saveexec_b64 s[24:25], s[18:19]
	s_cbranch_execz .LBB98_39
; %bb.38:
	v_lshl_add_u32 v11, v39, 2, -4
	ds_read_b32 v41, v11
	s_waitcnt lgkmcnt(0)
	v_add_u32_e32 v10, v41, v10
.LBB98_39:
	s_or_b64 exec, exec, s[24:25]
	v_add_u32_e32 v11, -1, v38
	v_and_b32_e32 v18, 64, v38
	v_cmp_lt_i32_e64 s[18:19], v11, v18
	v_cndmask_b32_e64 v11, v11, v38, s[18:19]
	v_lshlrev_b32_e32 v11, 2, v11
	ds_bpermute_b32 v42, v11, v10
	v_cmp_eq_u32_e64 s[18:19], 0, v38
	s_and_saveexec_b64 s[24:25], vcc
	s_cbranch_execz .LBB98_62
; %bb.40:
	v_mov_b32_e32 v25, 0
	ds_read_b32 v10, v25 offset:12
	s_and_saveexec_b64 s[36:37], s[18:19]
	s_cbranch_execz .LBB98_42
; %bb.41:
	s_add_i32 s38, s40, 64
	s_mov_b32 s39, 0
	s_lshl_b64 s[38:39], s[38:39], 3
	s_add_u32 s38, s34, s38
	v_mov_b32_e32 v11, 1
	s_addc_u32 s39, s35, s39
	s_waitcnt lgkmcnt(0)
	global_store_dwordx2 v25, v[10:11], s[38:39]
.LBB98_42:
	s_or_b64 exec, exec, s[36:37]
	v_xad_u32 v18, v38, -1, s40
	v_add_u32_e32 v24, 64, v18
	v_lshlrev_b64 v[20:21], 3, v[24:25]
	v_mov_b32_e32 v11, s35
	v_add_co_u32_e32 v20, vcc, s34, v20
	v_addc_co_u32_e32 v21, vcc, v11, v21, vcc
	global_load_dwordx2 v[22:23], v[20:21], off glc
	s_waitcnt vmcnt(0)
	v_cmp_eq_u16_sdwa s[38:39], v23, v25 src0_sel:BYTE_0 src1_sel:DWORD
	s_and_saveexec_b64 s[36:37], s[38:39]
	s_cbranch_execz .LBB98_48
; %bb.43:
	s_mov_b32 s41, 1
	s_mov_b64 s[38:39], 0
	v_mov_b32_e32 v11, 0
.LBB98_44:                              ; =>This Loop Header: Depth=1
                                        ;     Child Loop BB98_45 Depth 2
	s_max_u32 s42, s41, 1
.LBB98_45:                              ;   Parent Loop BB98_44 Depth=1
                                        ; =>  This Inner Loop Header: Depth=2
	s_add_i32 s42, s42, -1
	s_cmp_eq_u32 s42, 0
	s_sleep 1
	s_cbranch_scc0 .LBB98_45
; %bb.46:                               ;   in Loop: Header=BB98_44 Depth=1
	global_load_dwordx2 v[22:23], v[20:21], off glc
	s_cmp_lt_u32 s41, 32
	s_cselect_b64 s[42:43], -1, 0
	s_cmp_lg_u64 s[42:43], 0
	s_addc_u32 s41, s41, 0
	s_waitcnt vmcnt(0)
	v_cmp_ne_u16_sdwa s[42:43], v23, v11 src0_sel:BYTE_0 src1_sel:DWORD
	s_or_b64 s[38:39], s[42:43], s[38:39]
	s_andn2_b64 exec, exec, s[38:39]
	s_cbranch_execnz .LBB98_44
; %bb.47:
	s_or_b64 exec, exec, s[38:39]
.LBB98_48:
	s_or_b64 exec, exec, s[36:37]
	v_and_b32_e32 v44, 63, v38
	v_mov_b32_e32 v43, 2
	v_cmp_ne_u32_e32 vcc, 63, v44
	v_cmp_eq_u16_sdwa s[36:37], v23, v43 src0_sel:BYTE_0 src1_sel:DWORD
	v_lshlrev_b64 v[20:21], v38, -1
	v_addc_co_u32_e32 v24, vcc, 0, v38, vcc
	v_and_b32_e32 v11, s37, v21
	v_lshlrev_b32_e32 v45, 2, v24
	v_or_b32_e32 v11, 0x80000000, v11
	ds_bpermute_b32 v24, v45, v22
	v_and_b32_e32 v19, s36, v20
	v_ffbl_b32_e32 v11, v11
	v_add_u32_e32 v11, 32, v11
	v_ffbl_b32_e32 v19, v19
	v_min_u32_e32 v11, v19, v11
	v_cmp_lt_u32_e32 vcc, v44, v11
	s_waitcnt lgkmcnt(0)
	v_cndmask_b32_e32 v19, 0, v24, vcc
	v_cmp_gt_u32_e32 vcc, 62, v44
	v_add_u32_e32 v19, v19, v22
	v_cndmask_b32_e64 v22, 0, 1, vcc
	v_lshlrev_b32_e32 v22, 1, v22
	v_add_lshl_u32 v46, v22, v38, 2
	ds_bpermute_b32 v22, v46, v19
	v_add_u32_e32 v47, 2, v44
	v_cmp_le_u32_e32 vcc, v47, v11
	v_add_u32_e32 v49, 4, v44
	v_add_u32_e32 v51, 8, v44
	s_waitcnt lgkmcnt(0)
	v_cndmask_b32_e32 v22, 0, v22, vcc
	v_cmp_gt_u32_e32 vcc, 60, v44
	v_add_u32_e32 v19, v19, v22
	v_cndmask_b32_e64 v22, 0, 1, vcc
	v_lshlrev_b32_e32 v22, 2, v22
	v_add_lshl_u32 v48, v22, v38, 2
	ds_bpermute_b32 v22, v48, v19
	v_cmp_le_u32_e32 vcc, v49, v11
	v_add_u32_e32 v53, 16, v44
	v_add_u32_e32 v55, 32, v44
	s_waitcnt lgkmcnt(0)
	v_cndmask_b32_e32 v22, 0, v22, vcc
	v_cmp_gt_u32_e32 vcc, 56, v44
	v_add_u32_e32 v19, v19, v22
	v_cndmask_b32_e64 v22, 0, 1, vcc
	v_lshlrev_b32_e32 v22, 3, v22
	v_add_lshl_u32 v50, v22, v38, 2
	ds_bpermute_b32 v22, v50, v19
	v_cmp_le_u32_e32 vcc, v51, v11
	s_waitcnt lgkmcnt(0)
	v_cndmask_b32_e32 v22, 0, v22, vcc
	v_cmp_gt_u32_e32 vcc, 48, v44
	v_add_u32_e32 v19, v19, v22
	v_cndmask_b32_e64 v22, 0, 1, vcc
	v_lshlrev_b32_e32 v22, 4, v22
	v_add_lshl_u32 v52, v22, v38, 2
	ds_bpermute_b32 v22, v52, v19
	v_cmp_le_u32_e32 vcc, v53, v11
	s_waitcnt lgkmcnt(0)
	v_cndmask_b32_e32 v22, 0, v22, vcc
	v_cmp_gt_u32_e32 vcc, 32, v44
	v_add_u32_e32 v19, v19, v22
	v_cndmask_b32_e64 v22, 0, 1, vcc
	v_lshlrev_b32_e32 v22, 5, v22
	v_add_lshl_u32 v54, v22, v38, 2
	ds_bpermute_b32 v22, v54, v19
	v_cmp_le_u32_e32 vcc, v55, v11
	s_waitcnt lgkmcnt(0)
	v_cndmask_b32_e32 v11, 0, v22, vcc
	v_add_u32_e32 v22, v19, v11
	v_mov_b32_e32 v19, 0
	s_branch .LBB98_50
.LBB98_49:                              ;   in Loop: Header=BB98_50 Depth=1
	s_or_b64 exec, exec, s[36:37]
	v_cmp_eq_u16_sdwa s[36:37], v23, v43 src0_sel:BYTE_0 src1_sel:DWORD
	v_and_b32_e32 v24, s37, v21
	v_or_b32_e32 v24, 0x80000000, v24
	ds_bpermute_b32 v56, v45, v22
	v_and_b32_e32 v25, s36, v20
	v_ffbl_b32_e32 v24, v24
	v_add_u32_e32 v24, 32, v24
	v_ffbl_b32_e32 v25, v25
	v_min_u32_e32 v24, v25, v24
	v_cmp_lt_u32_e32 vcc, v44, v24
	s_waitcnt lgkmcnt(0)
	v_cndmask_b32_e32 v25, 0, v56, vcc
	v_add_u32_e32 v22, v25, v22
	ds_bpermute_b32 v25, v46, v22
	v_cmp_le_u32_e32 vcc, v47, v24
	v_subrev_u32_e32 v18, 64, v18
	s_waitcnt lgkmcnt(0)
	v_cndmask_b32_e32 v25, 0, v25, vcc
	v_add_u32_e32 v22, v22, v25
	ds_bpermute_b32 v25, v48, v22
	v_cmp_le_u32_e32 vcc, v49, v24
	s_waitcnt lgkmcnt(0)
	v_cndmask_b32_e32 v25, 0, v25, vcc
	v_add_u32_e32 v22, v22, v25
	ds_bpermute_b32 v25, v50, v22
	v_cmp_le_u32_e32 vcc, v51, v24
	;; [unrolled: 5-line block ×4, first 2 shown]
	s_waitcnt lgkmcnt(0)
	v_cndmask_b32_e32 v24, 0, v25, vcc
	v_add3_u32 v22, v24, v11, v22
.LBB98_50:                              ; =>This Loop Header: Depth=1
                                        ;     Child Loop BB98_53 Depth 2
                                        ;       Child Loop BB98_54 Depth 3
	v_cmp_ne_u16_sdwa s[36:37], v23, v43 src0_sel:BYTE_0 src1_sel:DWORD
	v_cndmask_b32_e64 v11, 0, 1, s[36:37]
	;;#ASMSTART
	;;#ASMEND
	v_cmp_ne_u32_e32 vcc, 0, v11
	s_cmp_lg_u64 vcc, exec
	v_mov_b32_e32 v11, v22
	s_cbranch_scc1 .LBB98_57
; %bb.51:                               ;   in Loop: Header=BB98_50 Depth=1
	v_lshlrev_b64 v[22:23], 3, v[18:19]
	v_mov_b32_e32 v25, s35
	v_add_co_u32_e32 v24, vcc, s34, v22
	v_addc_co_u32_e32 v25, vcc, v25, v23, vcc
	global_load_dwordx2 v[22:23], v[24:25], off glc
	s_waitcnt vmcnt(0)
	v_cmp_eq_u16_sdwa s[38:39], v23, v19 src0_sel:BYTE_0 src1_sel:DWORD
	s_and_saveexec_b64 s[36:37], s[38:39]
	s_cbranch_execz .LBB98_49
; %bb.52:                               ;   in Loop: Header=BB98_50 Depth=1
	s_mov_b32 s41, 1
	s_mov_b64 s[38:39], 0
.LBB98_53:                              ;   Parent Loop BB98_50 Depth=1
                                        ; =>  This Loop Header: Depth=2
                                        ;       Child Loop BB98_54 Depth 3
	s_max_u32 s42, s41, 1
.LBB98_54:                              ;   Parent Loop BB98_50 Depth=1
                                        ;     Parent Loop BB98_53 Depth=2
                                        ; =>    This Inner Loop Header: Depth=3
	s_add_i32 s42, s42, -1
	s_cmp_eq_u32 s42, 0
	s_sleep 1
	s_cbranch_scc0 .LBB98_54
; %bb.55:                               ;   in Loop: Header=BB98_53 Depth=2
	global_load_dwordx2 v[22:23], v[24:25], off glc
	s_cmp_lt_u32 s41, 32
	s_cselect_b64 s[42:43], -1, 0
	s_cmp_lg_u64 s[42:43], 0
	s_addc_u32 s41, s41, 0
	s_waitcnt vmcnt(0)
	v_cmp_ne_u16_sdwa s[42:43], v23, v19 src0_sel:BYTE_0 src1_sel:DWORD
	s_or_b64 s[38:39], s[42:43], s[38:39]
	s_andn2_b64 exec, exec, s[38:39]
	s_cbranch_execnz .LBB98_53
; %bb.56:                               ;   in Loop: Header=BB98_50 Depth=1
	s_or_b64 exec, exec, s[38:39]
	s_branch .LBB98_49
.LBB98_57:                              ;   in Loop: Header=BB98_50 Depth=1
                                        ; implicit-def: $vgpr22
                                        ; implicit-def: $vgpr23
	s_cbranch_execz .LBB98_50
; %bb.58:
	s_and_saveexec_b64 s[36:37], s[18:19]
	s_cbranch_execz .LBB98_60
; %bb.59:
	s_add_i32 s38, s40, 64
	s_mov_b32 s39, 0
	s_lshl_b64 s[38:39], s[38:39], 3
	s_add_u32 s38, s34, s38
	v_add_u32_e32 v18, v11, v10
	v_mov_b32_e32 v19, 2
	s_addc_u32 s39, s35, s39
	v_mov_b32_e32 v20, 0
	global_store_dwordx2 v20, v[18:19], s[38:39]
	ds_write_b64 v20, v[10:11] offset:10240
.LBB98_60:
	s_or_b64 exec, exec, s[36:37]
	s_and_b64 exec, exec, s[0:1]
	s_cbranch_execz .LBB98_62
; %bb.61:
	v_mov_b32_e32 v10, 0
	ds_write_b32 v10, v11 offset:12
.LBB98_62:
	s_or_b64 exec, exec, s[24:25]
	v_mov_b32_e32 v10, 0
	s_waitcnt lgkmcnt(0)
	s_barrier
	ds_read_b32 v11, v10 offset:12
	v_cndmask_b32_e64 v18, v42, v41, s[18:19]
	v_cndmask_b32_e64 v18, v18, 0, s[0:1]
	s_waitcnt lgkmcnt(0)
	s_barrier
	v_add_u32_e32 v42, v11, v18
	v_add_u32_sdwa v41, v42, v29 dst_sel:DWORD dst_unused:UNUSED_PAD src0_sel:DWORD src1_sel:BYTE_0
	v_add_u32_sdwa v25, v41, v29 dst_sel:DWORD dst_unused:UNUSED_PAD src0_sel:DWORD src1_sel:BYTE_1
	v_add_u32_e32 v24, v25, v33
	v_add_u32_e32 v23, v24, v31
	;; [unrolled: 1-line block ×3, first 2 shown]
	ds_read_b64 v[10:11], v10 offset:10240
	v_add_u32_e32 v21, v22, v35
	v_add_u32_e32 v20, v21, v36
	;; [unrolled: 1-line block ×4, first 2 shown]
	s_branch .LBB98_73
.LBB98_63:
                                        ; implicit-def: $vgpr11
                                        ; implicit-def: $vgpr18
                                        ; implicit-def: $vgpr19
                                        ; implicit-def: $vgpr20
                                        ; implicit-def: $vgpr21
                                        ; implicit-def: $vgpr22
                                        ; implicit-def: $vgpr23
                                        ; implicit-def: $vgpr24
                                        ; implicit-def: $vgpr25
                                        ; implicit-def: $vgpr41
                                        ; implicit-def: $vgpr42
	s_cbranch_execz .LBB98_73
; %bb.64:
	s_waitcnt lgkmcnt(0)
	v_mov_b32_dpp v10, v40 row_shr:1 row_mask:0xf bank_mask:0xf
	v_cndmask_b32_e64 v10, v10, 0, s[16:17]
	v_add_u32_e32 v10, v10, v40
	s_nop 1
	v_mov_b32_dpp v11, v10 row_shr:2 row_mask:0xf bank_mask:0xf
	v_cndmask_b32_e64 v11, 0, v11, s[14:15]
	v_add_u32_e32 v10, v10, v11
	s_nop 1
	;; [unrolled: 4-line block ×4, first 2 shown]
	v_mov_b32_dpp v11, v10 row_bcast:15 row_mask:0xf bank_mask:0xf
	v_cndmask_b32_e64 v11, v11, 0, s[8:9]
	v_add_u32_e32 v10, v10, v11
	s_nop 1
	v_mov_b32_dpp v11, v10 row_bcast:31 row_mask:0xf bank_mask:0xf
	v_cndmask_b32_e64 v11, 0, v11, s[4:5]
	v_add_u32_e32 v10, v10, v11
	s_and_saveexec_b64 s[4:5], s[6:7]
	s_cbranch_execz .LBB98_66
; %bb.65:
	v_lshlrev_b32_e32 v11, 2, v39
	ds_write_b32 v11, v10
.LBB98_66:
	s_or_b64 exec, exec, s[4:5]
	v_cmp_gt_u32_e32 vcc, 4, v0
	s_waitcnt lgkmcnt(0)
	s_barrier
	s_and_saveexec_b64 s[4:5], vcc
	s_cbranch_execz .LBB98_68
; %bb.67:
	s_movk_i32 s6, 0xffdc
	v_mad_i32_i24 v11, v0, s6, v32
	ds_read_b32 v18, v11
	v_and_b32_e32 v19, 3, v38
	v_cmp_ne_u32_e32 vcc, 0, v19
	s_waitcnt lgkmcnt(0)
	v_mov_b32_dpp v20, v18 row_shr:1 row_mask:0xf bank_mask:0xf
	v_cndmask_b32_e32 v20, 0, v20, vcc
	v_add_u32_e32 v18, v20, v18
	v_cmp_lt_u32_e32 vcc, 1, v19
	s_nop 0
	v_mov_b32_dpp v20, v18 row_shr:2 row_mask:0xf bank_mask:0xf
	v_cndmask_b32_e32 v19, 0, v20, vcc
	v_add_u32_e32 v18, v18, v19
	ds_write_b32 v11, v18
.LBB98_68:
	s_or_b64 exec, exec, s[4:5]
	v_cmp_lt_u32_e32 vcc, 63, v0
	v_mov_b32_e32 v11, 0
	v_mov_b32_e32 v18, 0
	s_waitcnt lgkmcnt(0)
	s_barrier
	s_and_saveexec_b64 s[4:5], vcc
	s_cbranch_execz .LBB98_70
; %bb.69:
	v_lshl_add_u32 v18, v39, 2, -4
	ds_read_b32 v18, v18
.LBB98_70:
	s_or_b64 exec, exec, s[4:5]
	v_add_u32_e32 v19, -1, v38
	v_and_b32_e32 v20, 64, v38
	v_cmp_lt_i32_e32 vcc, v19, v20
	v_cndmask_b32_e32 v19, v19, v38, vcc
	s_waitcnt lgkmcnt(0)
	v_add_u32_e32 v10, v18, v10
	v_lshlrev_b32_e32 v19, 2, v19
	ds_bpermute_b32 v19, v19, v10
	ds_read_b32 v10, v11 offset:12
	s_and_saveexec_b64 s[4:5], s[0:1]
	s_cbranch_execz .LBB98_72
; %bb.71:
	v_mov_b32_e32 v20, 0
	v_mov_b32_e32 v11, 2
	s_waitcnt lgkmcnt(0)
	global_store_dwordx2 v20, v[10:11], s[34:35] offset:512
.LBB98_72:
	s_or_b64 exec, exec, s[4:5]
	v_cmp_eq_u32_e32 vcc, 0, v38
	s_waitcnt lgkmcnt(1)
	v_cndmask_b32_e32 v18, v19, v18, vcc
	v_cndmask_b32_e64 v42, v18, 0, s[0:1]
	v_add_u32_sdwa v41, v42, v29 dst_sel:DWORD dst_unused:UNUSED_PAD src0_sel:DWORD src1_sel:BYTE_0
	v_add_u32_sdwa v25, v41, v29 dst_sel:DWORD dst_unused:UNUSED_PAD src0_sel:DWORD src1_sel:BYTE_1
	v_add_u32_e32 v24, v25, v33
	v_add_u32_e32 v23, v24, v31
	;; [unrolled: 1-line block ×6, first 2 shown]
	v_mov_b32_e32 v11, 0
	v_add_u32_e32 v18, v19, v37
	s_waitcnt lgkmcnt(0)
	s_barrier
.LBB98_73:
	s_waitcnt lgkmcnt(0)
	v_add_u32_e32 v26, v10, v26
	v_sub_u32_e32 v34, v42, v11
	v_and_b32_e32 v36, 1, v29
	v_sub_u32_e32 v35, v26, v34
	v_cmp_eq_u32_e32 vcc, 1, v36
	v_cndmask_b32_e32 v34, v35, v34, vcc
	v_lshlrev_b32_e32 v34, 2, v34
	v_lshrrev_b32_e32 v33, 8, v29
	ds_write_b32 v34, v6
	v_sub_u32_e32 v6, v41, v11
	v_sub_u32_e32 v34, v26, v6
	v_and_b32_e32 v33, 1, v33
	v_add_u32_e32 v34, 1, v34
	v_cmp_eq_u32_e32 vcc, 1, v33
	v_cndmask_b32_e32 v6, v34, v6, vcc
	v_lshlrev_b32_e32 v6, 2, v6
	ds_write_b32 v6, v7
	v_sub_u32_e32 v6, v25, v11
	v_mov_b32_e32 v25, 1
	v_sub_u32_e32 v7, v26, v6
	v_and_b32_sdwa v29, v25, v29 dst_sel:DWORD dst_unused:UNUSED_PAD src0_sel:DWORD src1_sel:WORD_1
	v_add_u32_e32 v7, 2, v7
	v_cmp_eq_u32_e32 vcc, 1, v29
	v_cndmask_b32_e32 v6, v7, v6, vcc
	v_lshlrev_b32_e32 v6, 2, v6
	ds_write_b32 v6, v8
	v_sub_u32_e32 v6, v24, v11
	v_sub_u32_e32 v7, v26, v6
	v_and_b32_e32 v8, 1, v31
	v_add_u32_e32 v7, 3, v7
	v_cmp_eq_u32_e32 vcc, 1, v8
	v_cndmask_b32_e32 v6, v7, v6, vcc
	v_lshlrev_b32_e32 v6, 2, v6
	ds_write_b32 v6, v9
	v_sub_u32_e32 v6, v23, v11
	v_sub_u32_e32 v7, v26, v6
	v_and_b32_e32 v8, 1, v28
	v_add_u32_e32 v7, 4, v7
	v_cmp_eq_u32_e32 vcc, 1, v8
	v_cndmask_b32_e32 v6, v7, v6, vcc
	v_lshlrev_b32_e32 v6, 2, v6
	v_lshrrev_b32_e32 v32, 8, v28
	ds_write_b32 v6, v2
	v_sub_u32_e32 v2, v22, v11
	v_sub_u32_e32 v6, v26, v2
	v_and_b32_e32 v7, 1, v32
	v_add_u32_e32 v6, 5, v6
	v_cmp_eq_u32_e32 vcc, 1, v7
	v_cndmask_b32_e32 v2, v6, v2, vcc
	v_lshlrev_b32_e32 v2, 2, v2
	ds_write_b32 v2, v3
	v_sub_u32_e32 v2, v21, v11
	v_sub_u32_e32 v3, v26, v2
	v_and_b32_sdwa v6, v25, v28 dst_sel:DWORD dst_unused:UNUSED_PAD src0_sel:DWORD src1_sel:WORD_1
	v_add_u32_e32 v3, 6, v3
	v_cmp_eq_u32_e32 vcc, 1, v6
	v_cndmask_b32_e32 v2, v3, v2, vcc
	v_lshlrev_b32_e32 v2, 2, v2
	ds_write_b32 v2, v4
	v_sub_u32_e32 v2, v20, v11
	v_sub_u32_e32 v3, v26, v2
	v_and_b32_e32 v4, 1, v30
	v_add_u32_e32 v3, 7, v3
	v_cmp_eq_u32_e32 vcc, 1, v4
	v_cndmask_b32_e32 v2, v3, v2, vcc
	v_lshlrev_b32_e32 v2, 2, v2
	ds_write_b32 v2, v5
	v_sub_u32_e32 v2, v19, v11
	v_sub_u32_e32 v3, v26, v2
	v_and_b32_e32 v4, 1, v27
	;; [unrolled: 8-line block ×3, first 2 shown]
	v_add_u32_e32 v3, 9, v3
	v_cmp_eq_u32_e32 vcc, 1, v4
	v_cndmask_b32_e32 v2, v3, v2, vcc
	v_lshlrev_b32_e32 v2, 2, v2
	ds_write_b32 v2, v17
	s_waitcnt lgkmcnt(0)
	s_barrier
	ds_read2st64_b32 v[16:17], v1 offset1:4
	ds_read2st64_b32 v[8:9], v1 offset0:8 offset1:12
	ds_read2st64_b32 v[6:7], v1 offset0:16 offset1:20
	;; [unrolled: 1-line block ×4, first 2 shown]
	s_waitcnt vmcnt(0)
	v_add_co_u32_e32 v1, vcc, v14, v11
	v_addc_co_u32_e32 v11, vcc, 0, v15, vcc
	v_mov_b32_e32 v13, s27
	v_add_co_u32_e32 v12, vcc, s26, v12
	v_addc_co_u32_e32 v13, vcc, 0, v13, vcc
	v_mov_b32_e32 v14, s31
	v_sub_co_u32_e32 v12, vcc, s30, v12
	v_subb_co_u32_e32 v13, vcc, v14, v13, vcc
	v_add_co_u32_e32 v12, vcc, v12, v10
	v_addc_co_u32_e32 v13, vcc, 0, v13, vcc
	s_and_b64 vcc, exec, s[2:3]
	v_add_co_u32_e64 v14, s[2:3], v12, v1
	v_or_b32_e32 v26, 0x100, v0
	v_or_b32_e32 v25, 0x200, v0
	;; [unrolled: 1-line block ×9, first 2 shown]
	v_addc_co_u32_e64 v15, s[2:3], v13, v11, s[2:3]
	s_cbranch_vccnz .LBB98_118
; %bb.74:
	v_cmp_ge_u32_e32 vcc, v0, v10
                                        ; implicit-def: $vgpr12_vgpr13
	s_and_saveexec_b64 s[2:3], vcc
	s_xor_b64 s[2:3], exec, s[2:3]
; %bb.75:
	v_not_b32_e32 v12, v0
	v_ashrrev_i32_e32 v13, 31, v12
	v_add_co_u32_e32 v12, vcc, v14, v12
	v_addc_co_u32_e32 v13, vcc, v15, v13, vcc
; %bb.76:
	s_andn2_saveexec_b64 s[2:3], s[2:3]
; %bb.77:
	v_add_co_u32_e32 v12, vcc, v1, v0
	v_addc_co_u32_e32 v13, vcc, 0, v11, vcc
; %bb.78:
	s_or_b64 exec, exec, s[2:3]
	v_lshlrev_b64 v[12:13], 2, v[12:13]
	v_mov_b32_e32 v27, s29
	v_add_co_u32_e32 v12, vcc, s28, v12
	v_addc_co_u32_e32 v13, vcc, v27, v13, vcc
	v_cmp_ge_u32_e32 vcc, v26, v10
	s_waitcnt lgkmcnt(4)
	global_store_dword v[12:13], v16, off
                                        ; implicit-def: $vgpr12_vgpr13
	s_and_saveexec_b64 s[2:3], vcc
	s_xor_b64 s[2:3], exec, s[2:3]
; %bb.79:
	v_xor_b32_e32 v12, 0xfffffeff, v0
	v_ashrrev_i32_e32 v13, 31, v12
	v_add_co_u32_e32 v12, vcc, v14, v12
	v_addc_co_u32_e32 v13, vcc, v15, v13, vcc
; %bb.80:
	s_andn2_saveexec_b64 s[2:3], s[2:3]
; %bb.81:
	v_add_co_u32_e32 v12, vcc, v1, v26
	v_addc_co_u32_e32 v13, vcc, 0, v11, vcc
; %bb.82:
	s_or_b64 exec, exec, s[2:3]
	v_lshlrev_b64 v[12:13], 2, v[12:13]
	v_mov_b32_e32 v27, s29
	v_add_co_u32_e32 v12, vcc, s28, v12
	v_addc_co_u32_e32 v13, vcc, v27, v13, vcc
	v_cmp_ge_u32_e32 vcc, v25, v10
	global_store_dword v[12:13], v17, off
                                        ; implicit-def: $vgpr12_vgpr13
	s_and_saveexec_b64 s[2:3], vcc
	s_xor_b64 s[2:3], exec, s[2:3]
; %bb.83:
	v_xor_b32_e32 v12, 0xfffffdff, v0
	v_ashrrev_i32_e32 v13, 31, v12
	v_add_co_u32_e32 v12, vcc, v14, v12
	v_addc_co_u32_e32 v13, vcc, v15, v13, vcc
; %bb.84:
	s_andn2_saveexec_b64 s[2:3], s[2:3]
; %bb.85:
	v_add_co_u32_e32 v12, vcc, v1, v25
	v_addc_co_u32_e32 v13, vcc, 0, v11, vcc
; %bb.86:
	s_or_b64 exec, exec, s[2:3]
	v_lshlrev_b64 v[12:13], 2, v[12:13]
	v_mov_b32_e32 v27, s29
	v_add_co_u32_e32 v12, vcc, s28, v12
	v_addc_co_u32_e32 v13, vcc, v27, v13, vcc
	v_cmp_ge_u32_e32 vcc, v24, v10
	s_waitcnt lgkmcnt(3)
	global_store_dword v[12:13], v8, off
                                        ; implicit-def: $vgpr12_vgpr13
	s_and_saveexec_b64 s[2:3], vcc
	s_xor_b64 s[2:3], exec, s[2:3]
; %bb.87:
	v_xor_b32_e32 v12, 0xfffffcff, v0
	v_ashrrev_i32_e32 v13, 31, v12
	v_add_co_u32_e32 v12, vcc, v14, v12
	v_addc_co_u32_e32 v13, vcc, v15, v13, vcc
; %bb.88:
	s_andn2_saveexec_b64 s[2:3], s[2:3]
; %bb.89:
	v_add_co_u32_e32 v12, vcc, v1, v24
	v_addc_co_u32_e32 v13, vcc, 0, v11, vcc
; %bb.90:
	s_or_b64 exec, exec, s[2:3]
	v_lshlrev_b64 v[12:13], 2, v[12:13]
	v_mov_b32_e32 v27, s29
	v_add_co_u32_e32 v12, vcc, s28, v12
	v_addc_co_u32_e32 v13, vcc, v27, v13, vcc
	v_cmp_ge_u32_e32 vcc, v23, v10
	global_store_dword v[12:13], v9, off
                                        ; implicit-def: $vgpr12_vgpr13
	s_and_saveexec_b64 s[2:3], vcc
	s_xor_b64 s[2:3], exec, s[2:3]
; %bb.91:
	v_xor_b32_e32 v12, 0xfffffbff, v0
	;; [unrolled: 43-line block ×4, first 2 shown]
	v_ashrrev_i32_e32 v13, 31, v12
	v_add_co_u32_e32 v12, vcc, v14, v12
	v_addc_co_u32_e32 v13, vcc, v15, v13, vcc
; %bb.108:
	s_andn2_saveexec_b64 s[2:3], s[2:3]
; %bb.109:
	v_add_co_u32_e32 v12, vcc, v1, v19
	v_addc_co_u32_e32 v13, vcc, 0, v11, vcc
; %bb.110:
	s_or_b64 exec, exec, s[2:3]
	v_lshlrev_b64 v[12:13], 2, v[12:13]
	v_mov_b32_e32 v27, s29
	v_add_co_u32_e32 v12, vcc, s28, v12
	v_addc_co_u32_e32 v13, vcc, v27, v13, vcc
	v_cmp_ge_u32_e32 vcc, v18, v10
	s_waitcnt lgkmcnt(0)
	global_store_dword v[12:13], v2, off
                                        ; implicit-def: $vgpr12_vgpr13
	s_and_saveexec_b64 s[2:3], vcc
	s_xor_b64 s[2:3], exec, s[2:3]
; %bb.111:
	v_xor_b32_e32 v12, 0xfffff6ff, v0
	v_ashrrev_i32_e32 v13, 31, v12
	v_add_co_u32_e32 v12, vcc, v14, v12
	v_addc_co_u32_e32 v13, vcc, v15, v13, vcc
; %bb.112:
	s_andn2_saveexec_b64 s[2:3], s[2:3]
; %bb.113:
	v_add_co_u32_e32 v12, vcc, v1, v18
	v_addc_co_u32_e32 v13, vcc, 0, v11, vcc
; %bb.114:
	s_or_b64 exec, exec, s[2:3]
	s_mov_b64 s[2:3], -1
.LBB98_115:
	s_and_saveexec_b64 s[4:5], s[2:3]
	s_cbranch_execz .LBB98_146
.LBB98_116:
	s_waitcnt lgkmcnt(1)
	v_lshlrev_b64 v[4:5], 2, v[12:13]
	v_mov_b32_e32 v0, s29
	v_add_co_u32_e32 v4, vcc, s28, v4
	v_addc_co_u32_e32 v5, vcc, v0, v5, vcc
	s_waitcnt lgkmcnt(0)
	global_store_dword v[4:5], v3, off
	s_or_b64 exec, exec, s[4:5]
	s_and_b64 s[0:1], s[0:1], s[22:23]
	s_and_saveexec_b64 s[2:3], s[0:1]
	s_cbranch_execnz .LBB98_147
.LBB98_117:
	s_endpgm
.LBB98_118:
	s_mov_b64 s[2:3], 0
                                        ; implicit-def: $vgpr12_vgpr13
	s_cbranch_execz .LBB98_115
; %bb.119:
	v_cmp_gt_u32_e32 vcc, s33, v0
	s_and_saveexec_b64 s[4:5], vcc
	s_cbranch_execz .LBB98_148
; %bb.120:
	v_cmp_ge_u32_e32 vcc, v0, v10
                                        ; implicit-def: $vgpr12_vgpr13
	s_and_saveexec_b64 s[6:7], vcc
	s_xor_b64 s[6:7], exec, s[6:7]
; %bb.121:
	v_not_b32_e32 v12, v0
	v_ashrrev_i32_e32 v13, 31, v12
	v_add_co_u32_e32 v12, vcc, v14, v12
	v_addc_co_u32_e32 v13, vcc, v15, v13, vcc
; %bb.122:
	s_andn2_saveexec_b64 s[6:7], s[6:7]
; %bb.123:
	v_add_co_u32_e32 v12, vcc, v1, v0
	v_addc_co_u32_e32 v13, vcc, 0, v11, vcc
; %bb.124:
	s_or_b64 exec, exec, s[6:7]
	v_lshlrev_b64 v[12:13], 2, v[12:13]
	v_mov_b32_e32 v27, s29
	v_add_co_u32_e32 v12, vcc, s28, v12
	v_addc_co_u32_e32 v13, vcc, v27, v13, vcc
	s_waitcnt lgkmcnt(4)
	global_store_dword v[12:13], v16, off
	s_or_b64 exec, exec, s[4:5]
	v_cmp_gt_u32_e32 vcc, s33, v26
	s_and_saveexec_b64 s[4:5], vcc
	s_cbranch_execnz .LBB98_149
.LBB98_125:
	s_or_b64 exec, exec, s[4:5]
	v_cmp_gt_u32_e32 vcc, s33, v25
	s_and_saveexec_b64 s[4:5], vcc
	s_cbranch_execz .LBB98_154
.LBB98_126:
	v_cmp_ge_u32_e32 vcc, v25, v10
                                        ; implicit-def: $vgpr12_vgpr13
	s_and_saveexec_b64 s[6:7], vcc
	s_xor_b64 s[6:7], exec, s[6:7]
; %bb.127:
	v_xor_b32_e32 v12, 0xfffffdff, v0
	v_ashrrev_i32_e32 v13, 31, v12
	v_add_co_u32_e32 v12, vcc, v14, v12
	v_addc_co_u32_e32 v13, vcc, v15, v13, vcc
                                        ; implicit-def: $vgpr25
; %bb.128:
	s_andn2_saveexec_b64 s[6:7], s[6:7]
; %bb.129:
	v_add_co_u32_e32 v12, vcc, v1, v25
	v_addc_co_u32_e32 v13, vcc, 0, v11, vcc
; %bb.130:
	s_or_b64 exec, exec, s[6:7]
	v_lshlrev_b64 v[12:13], 2, v[12:13]
	s_waitcnt lgkmcnt(4)
	v_mov_b32_e32 v16, s29
	v_add_co_u32_e32 v12, vcc, s28, v12
	v_addc_co_u32_e32 v13, vcc, v16, v13, vcc
	s_waitcnt lgkmcnt(3)
	global_store_dword v[12:13], v8, off
	s_or_b64 exec, exec, s[4:5]
	v_cmp_gt_u32_e32 vcc, s33, v24
	s_and_saveexec_b64 s[4:5], vcc
	s_cbranch_execnz .LBB98_155
.LBB98_131:
	s_or_b64 exec, exec, s[4:5]
	v_cmp_gt_u32_e32 vcc, s33, v23
	s_and_saveexec_b64 s[4:5], vcc
	s_cbranch_execz .LBB98_160
.LBB98_132:
	v_cmp_ge_u32_e32 vcc, v23, v10
                                        ; implicit-def: $vgpr8_vgpr9
	s_and_saveexec_b64 s[6:7], vcc
	s_xor_b64 s[6:7], exec, s[6:7]
	s_cbranch_execz .LBB98_134
; %bb.133:
	s_waitcnt lgkmcnt(3)
	v_xor_b32_e32 v8, 0xfffffbff, v0
	v_ashrrev_i32_e32 v9, 31, v8
	v_add_co_u32_e32 v8, vcc, v14, v8
	v_addc_co_u32_e32 v9, vcc, v15, v9, vcc
                                        ; implicit-def: $vgpr23
.LBB98_134:
	s_andn2_saveexec_b64 s[6:7], s[6:7]
	s_cbranch_execz .LBB98_136
; %bb.135:
	s_waitcnt lgkmcnt(3)
	v_add_co_u32_e32 v8, vcc, v1, v23
	v_addc_co_u32_e32 v9, vcc, 0, v11, vcc
.LBB98_136:
	s_or_b64 exec, exec, s[6:7]
	s_waitcnt lgkmcnt(3)
	v_lshlrev_b64 v[8:9], 2, v[8:9]
	v_mov_b32_e32 v12, s29
	v_add_co_u32_e32 v8, vcc, s28, v8
	v_addc_co_u32_e32 v9, vcc, v12, v9, vcc
	s_waitcnt lgkmcnt(2)
	global_store_dword v[8:9], v6, off
	s_or_b64 exec, exec, s[4:5]
	v_cmp_gt_u32_e32 vcc, s33, v22
	s_and_saveexec_b64 s[4:5], vcc
	s_cbranch_execnz .LBB98_161
.LBB98_137:
	s_or_b64 exec, exec, s[4:5]
	v_cmp_gt_u32_e32 vcc, s33, v21
	s_and_saveexec_b64 s[4:5], vcc
	s_cbranch_execz .LBB98_166
.LBB98_138:
	v_cmp_ge_u32_e32 vcc, v21, v10
                                        ; implicit-def: $vgpr6_vgpr7
	s_and_saveexec_b64 s[6:7], vcc
	s_xor_b64 s[6:7], exec, s[6:7]
	s_cbranch_execz .LBB98_140
; %bb.139:
	s_waitcnt lgkmcnt(2)
	v_xor_b32_e32 v6, 0xfffff9ff, v0
	v_ashrrev_i32_e32 v7, 31, v6
	v_add_co_u32_e32 v6, vcc, v14, v6
	v_addc_co_u32_e32 v7, vcc, v15, v7, vcc
                                        ; implicit-def: $vgpr21
.LBB98_140:
	s_andn2_saveexec_b64 s[6:7], s[6:7]
	s_cbranch_execz .LBB98_142
; %bb.141:
	s_waitcnt lgkmcnt(2)
	v_add_co_u32_e32 v6, vcc, v1, v21
	v_addc_co_u32_e32 v7, vcc, 0, v11, vcc
.LBB98_142:
	s_or_b64 exec, exec, s[6:7]
	s_waitcnt lgkmcnt(2)
	v_lshlrev_b64 v[6:7], 2, v[6:7]
	v_mov_b32_e32 v8, s29
	v_add_co_u32_e32 v6, vcc, s28, v6
	v_addc_co_u32_e32 v7, vcc, v8, v7, vcc
	s_waitcnt lgkmcnt(1)
	global_store_dword v[6:7], v4, off
	s_or_b64 exec, exec, s[4:5]
	v_cmp_gt_u32_e32 vcc, s33, v20
	s_and_saveexec_b64 s[4:5], vcc
	s_cbranch_execnz .LBB98_167
.LBB98_143:
	s_or_b64 exec, exec, s[4:5]
	v_cmp_gt_u32_e32 vcc, s33, v19
	s_and_saveexec_b64 s[4:5], vcc
	s_cbranch_execnz .LBB98_172
.LBB98_144:
	s_or_b64 exec, exec, s[4:5]
	v_cmp_gt_u32_e32 vcc, s33, v18
                                        ; implicit-def: $vgpr12_vgpr13
	s_and_saveexec_b64 s[4:5], vcc
	s_cbranch_execnz .LBB98_177
.LBB98_145:
	s_or_b64 exec, exec, s[4:5]
	s_and_saveexec_b64 s[4:5], s[2:3]
	s_cbranch_execnz .LBB98_116
.LBB98_146:
	s_or_b64 exec, exec, s[4:5]
	s_and_b64 s[0:1], s[0:1], s[22:23]
	s_and_saveexec_b64 s[2:3], s[0:1]
	s_cbranch_execz .LBB98_117
.LBB98_147:
	v_add_co_u32_e32 v0, vcc, v1, v10
	s_waitcnt lgkmcnt(0)
	v_mov_b32_e32 v2, 0
	v_addc_co_u32_e32 v1, vcc, 0, v11, vcc
	global_store_dwordx2 v2, v[0:1], s[20:21]
	s_endpgm
.LBB98_148:
	s_or_b64 exec, exec, s[4:5]
	v_cmp_gt_u32_e32 vcc, s33, v26
	s_and_saveexec_b64 s[4:5], vcc
	s_cbranch_execz .LBB98_125
.LBB98_149:
	v_cmp_ge_u32_e32 vcc, v26, v10
                                        ; implicit-def: $vgpr12_vgpr13
	s_and_saveexec_b64 s[6:7], vcc
	s_xor_b64 s[6:7], exec, s[6:7]
; %bb.150:
	v_xor_b32_e32 v12, 0xfffffeff, v0
	v_ashrrev_i32_e32 v13, 31, v12
	v_add_co_u32_e32 v12, vcc, v14, v12
	v_addc_co_u32_e32 v13, vcc, v15, v13, vcc
                                        ; implicit-def: $vgpr26
; %bb.151:
	s_andn2_saveexec_b64 s[6:7], s[6:7]
; %bb.152:
	v_add_co_u32_e32 v12, vcc, v1, v26
	v_addc_co_u32_e32 v13, vcc, 0, v11, vcc
; %bb.153:
	s_or_b64 exec, exec, s[6:7]
	v_lshlrev_b64 v[12:13], 2, v[12:13]
	s_waitcnt lgkmcnt(4)
	v_mov_b32_e32 v16, s29
	v_add_co_u32_e32 v12, vcc, s28, v12
	v_addc_co_u32_e32 v13, vcc, v16, v13, vcc
	global_store_dword v[12:13], v17, off
	s_or_b64 exec, exec, s[4:5]
	v_cmp_gt_u32_e32 vcc, s33, v25
	s_and_saveexec_b64 s[4:5], vcc
	s_cbranch_execnz .LBB98_126
.LBB98_154:
	s_or_b64 exec, exec, s[4:5]
	v_cmp_gt_u32_e32 vcc, s33, v24
	s_and_saveexec_b64 s[4:5], vcc
	s_cbranch_execz .LBB98_131
.LBB98_155:
	v_cmp_ge_u32_e32 vcc, v24, v10
                                        ; implicit-def: $vgpr12_vgpr13
	s_and_saveexec_b64 s[6:7], vcc
	s_xor_b64 s[6:7], exec, s[6:7]
	s_cbranch_execz .LBB98_157
; %bb.156:
	s_waitcnt lgkmcnt(3)
	v_xor_b32_e32 v8, 0xfffffcff, v0
	v_ashrrev_i32_e32 v13, 31, v8
	v_add_co_u32_e32 v12, vcc, v14, v8
	v_addc_co_u32_e32 v13, vcc, v15, v13, vcc
                                        ; implicit-def: $vgpr24
.LBB98_157:
	s_andn2_saveexec_b64 s[6:7], s[6:7]
; %bb.158:
	v_add_co_u32_e32 v12, vcc, v1, v24
	v_addc_co_u32_e32 v13, vcc, 0, v11, vcc
; %bb.159:
	s_or_b64 exec, exec, s[6:7]
	v_lshlrev_b64 v[12:13], 2, v[12:13]
	s_waitcnt lgkmcnt(3)
	v_mov_b32_e32 v8, s29
	v_add_co_u32_e32 v12, vcc, s28, v12
	v_addc_co_u32_e32 v13, vcc, v8, v13, vcc
	global_store_dword v[12:13], v9, off
	s_or_b64 exec, exec, s[4:5]
	v_cmp_gt_u32_e32 vcc, s33, v23
	s_and_saveexec_b64 s[4:5], vcc
	s_cbranch_execnz .LBB98_132
.LBB98_160:
	s_or_b64 exec, exec, s[4:5]
	v_cmp_gt_u32_e32 vcc, s33, v22
	s_and_saveexec_b64 s[4:5], vcc
	s_cbranch_execz .LBB98_137
.LBB98_161:
	v_cmp_ge_u32_e32 vcc, v22, v10
                                        ; implicit-def: $vgpr8_vgpr9
	s_and_saveexec_b64 s[6:7], vcc
	s_xor_b64 s[6:7], exec, s[6:7]
	s_cbranch_execz .LBB98_163
; %bb.162:
	s_waitcnt lgkmcnt(2)
	v_xor_b32_e32 v6, 0xfffffaff, v0
	v_ashrrev_i32_e32 v9, 31, v6
	v_add_co_u32_e32 v8, vcc, v14, v6
	v_addc_co_u32_e32 v9, vcc, v15, v9, vcc
                                        ; implicit-def: $vgpr22
.LBB98_163:
	s_andn2_saveexec_b64 s[6:7], s[6:7]
	s_cbranch_execz .LBB98_165
; %bb.164:
	s_waitcnt lgkmcnt(3)
	v_add_co_u32_e32 v8, vcc, v1, v22
	v_addc_co_u32_e32 v9, vcc, 0, v11, vcc
.LBB98_165:
	s_or_b64 exec, exec, s[6:7]
	s_waitcnt lgkmcnt(3)
	v_lshlrev_b64 v[8:9], 2, v[8:9]
	s_waitcnt lgkmcnt(2)
	v_mov_b32_e32 v6, s29
	v_add_co_u32_e32 v8, vcc, s28, v8
	v_addc_co_u32_e32 v9, vcc, v6, v9, vcc
	global_store_dword v[8:9], v7, off
	s_or_b64 exec, exec, s[4:5]
	v_cmp_gt_u32_e32 vcc, s33, v21
	s_and_saveexec_b64 s[4:5], vcc
	s_cbranch_execnz .LBB98_138
.LBB98_166:
	s_or_b64 exec, exec, s[4:5]
	v_cmp_gt_u32_e32 vcc, s33, v20
	s_and_saveexec_b64 s[4:5], vcc
	s_cbranch_execz .LBB98_143
.LBB98_167:
	v_cmp_ge_u32_e32 vcc, v20, v10
                                        ; implicit-def: $vgpr6_vgpr7
	s_and_saveexec_b64 s[6:7], vcc
	s_xor_b64 s[6:7], exec, s[6:7]
	s_cbranch_execz .LBB98_169
; %bb.168:
	s_waitcnt lgkmcnt(1)
	v_xor_b32_e32 v4, 0xfffff8ff, v0
	v_ashrrev_i32_e32 v7, 31, v4
	v_add_co_u32_e32 v6, vcc, v14, v4
	v_addc_co_u32_e32 v7, vcc, v15, v7, vcc
                                        ; implicit-def: $vgpr20
.LBB98_169:
	s_andn2_saveexec_b64 s[6:7], s[6:7]
	s_cbranch_execz .LBB98_171
; %bb.170:
	s_waitcnt lgkmcnt(2)
	v_add_co_u32_e32 v6, vcc, v1, v20
	v_addc_co_u32_e32 v7, vcc, 0, v11, vcc
.LBB98_171:
	s_or_b64 exec, exec, s[6:7]
	s_waitcnt lgkmcnt(2)
	v_lshlrev_b64 v[6:7], 2, v[6:7]
	s_waitcnt lgkmcnt(1)
	v_mov_b32_e32 v4, s29
	v_add_co_u32_e32 v6, vcc, s28, v6
	v_addc_co_u32_e32 v7, vcc, v4, v7, vcc
	global_store_dword v[6:7], v5, off
	s_or_b64 exec, exec, s[4:5]
	v_cmp_gt_u32_e32 vcc, s33, v19
	s_and_saveexec_b64 s[4:5], vcc
	s_cbranch_execz .LBB98_144
.LBB98_172:
	v_cmp_ge_u32_e32 vcc, v19, v10
                                        ; implicit-def: $vgpr4_vgpr5
	s_and_saveexec_b64 s[6:7], vcc
	s_xor_b64 s[6:7], exec, s[6:7]
	s_cbranch_execz .LBB98_174
; %bb.173:
	s_waitcnt lgkmcnt(1)
	v_xor_b32_e32 v4, 0xfffff7ff, v0
	v_ashrrev_i32_e32 v5, 31, v4
	v_add_co_u32_e32 v4, vcc, v14, v4
	v_addc_co_u32_e32 v5, vcc, v15, v5, vcc
                                        ; implicit-def: $vgpr19
.LBB98_174:
	s_andn2_saveexec_b64 s[6:7], s[6:7]
	s_cbranch_execz .LBB98_176
; %bb.175:
	s_waitcnt lgkmcnt(1)
	v_add_co_u32_e32 v4, vcc, v1, v19
	v_addc_co_u32_e32 v5, vcc, 0, v11, vcc
.LBB98_176:
	s_or_b64 exec, exec, s[6:7]
	s_waitcnt lgkmcnt(1)
	v_lshlrev_b64 v[4:5], 2, v[4:5]
	v_mov_b32_e32 v6, s29
	v_add_co_u32_e32 v4, vcc, s28, v4
	v_addc_co_u32_e32 v5, vcc, v6, v5, vcc
	s_waitcnt lgkmcnt(0)
	global_store_dword v[4:5], v2, off
	s_or_b64 exec, exec, s[4:5]
	v_cmp_gt_u32_e32 vcc, s33, v18
                                        ; implicit-def: $vgpr12_vgpr13
	s_and_saveexec_b64 s[4:5], vcc
	s_cbranch_execz .LBB98_145
.LBB98_177:
	v_cmp_ge_u32_e32 vcc, v18, v10
                                        ; implicit-def: $vgpr12_vgpr13
	s_and_saveexec_b64 s[6:7], vcc
	s_xor_b64 s[6:7], exec, s[6:7]
	s_cbranch_execz .LBB98_179
; %bb.178:
	v_xor_b32_e32 v0, 0xfffff6ff, v0
	s_waitcnt lgkmcnt(0)
	v_ashrrev_i32_e32 v2, 31, v0
	v_add_co_u32_e32 v12, vcc, v14, v0
	v_addc_co_u32_e32 v13, vcc, v15, v2, vcc
                                        ; implicit-def: $vgpr18
.LBB98_179:
	s_andn2_saveexec_b64 s[6:7], s[6:7]
; %bb.180:
	v_add_co_u32_e32 v12, vcc, v1, v18
	v_addc_co_u32_e32 v13, vcc, 0, v11, vcc
; %bb.181:
	s_or_b64 exec, exec, s[6:7]
	s_or_b64 s[2:3], s[2:3], exec
	s_or_b64 exec, exec, s[4:5]
	s_and_saveexec_b64 s[4:5], s[2:3]
	s_cbranch_execnz .LBB98_116
	s_branch .LBB98_146
	.section	.rodata,"a",@progbits
	.p2align	6, 0x0
	.amdhsa_kernel _ZN7rocprim17ROCPRIM_400000_NS6detail17trampoline_kernelINS0_14default_configENS1_25partition_config_selectorILNS1_17partition_subalgoE3EiNS0_10empty_typeEbEEZZNS1_14partition_implILS5_3ELb0ES3_jN6thrust23THRUST_200600_302600_NS6detail15normal_iteratorINSA_7pointerIiNSA_11hip_rocprim3tagENSA_11use_defaultESG_EEEEPS6_SJ_NS0_5tupleIJPiSJ_EEENSK_IJSJ_SJ_EEES6_PlJ7is_evenIiEEEE10hipError_tPvRmT3_T4_T5_T6_T7_T9_mT8_P12ihipStream_tbDpT10_ENKUlT_T0_E_clISt17integral_constantIbLb1EES1A_EEDaS15_S16_EUlS15_E_NS1_11comp_targetILNS1_3genE4ELNS1_11target_archE910ELNS1_3gpuE8ELNS1_3repE0EEENS1_30default_config_static_selectorELNS0_4arch9wavefront6targetE1EEEvT1_
		.amdhsa_group_segment_fixed_size 10248
		.amdhsa_private_segment_fixed_size 0
		.amdhsa_kernarg_size 136
		.amdhsa_user_sgpr_count 6
		.amdhsa_user_sgpr_private_segment_buffer 1
		.amdhsa_user_sgpr_dispatch_ptr 0
		.amdhsa_user_sgpr_queue_ptr 0
		.amdhsa_user_sgpr_kernarg_segment_ptr 1
		.amdhsa_user_sgpr_dispatch_id 0
		.amdhsa_user_sgpr_flat_scratch_init 0
		.amdhsa_user_sgpr_kernarg_preload_length 0
		.amdhsa_user_sgpr_kernarg_preload_offset 0
		.amdhsa_user_sgpr_private_segment_size 0
		.amdhsa_uses_dynamic_stack 0
		.amdhsa_system_sgpr_private_segment_wavefront_offset 0
		.amdhsa_system_sgpr_workgroup_id_x 1
		.amdhsa_system_sgpr_workgroup_id_y 0
		.amdhsa_system_sgpr_workgroup_id_z 0
		.amdhsa_system_sgpr_workgroup_info 0
		.amdhsa_system_vgpr_workitem_id 0
		.amdhsa_next_free_vgpr 57
		.amdhsa_next_free_sgpr 44
		.amdhsa_accum_offset 60
		.amdhsa_reserve_vcc 1
		.amdhsa_reserve_flat_scratch 0
		.amdhsa_float_round_mode_32 0
		.amdhsa_float_round_mode_16_64 0
		.amdhsa_float_denorm_mode_32 3
		.amdhsa_float_denorm_mode_16_64 3
		.amdhsa_dx10_clamp 1
		.amdhsa_ieee_mode 1
		.amdhsa_fp16_overflow 0
		.amdhsa_tg_split 0
		.amdhsa_exception_fp_ieee_invalid_op 0
		.amdhsa_exception_fp_denorm_src 0
		.amdhsa_exception_fp_ieee_div_zero 0
		.amdhsa_exception_fp_ieee_overflow 0
		.amdhsa_exception_fp_ieee_underflow 0
		.amdhsa_exception_fp_ieee_inexact 0
		.amdhsa_exception_int_div_zero 0
	.end_amdhsa_kernel
	.section	.text._ZN7rocprim17ROCPRIM_400000_NS6detail17trampoline_kernelINS0_14default_configENS1_25partition_config_selectorILNS1_17partition_subalgoE3EiNS0_10empty_typeEbEEZZNS1_14partition_implILS5_3ELb0ES3_jN6thrust23THRUST_200600_302600_NS6detail15normal_iteratorINSA_7pointerIiNSA_11hip_rocprim3tagENSA_11use_defaultESG_EEEEPS6_SJ_NS0_5tupleIJPiSJ_EEENSK_IJSJ_SJ_EEES6_PlJ7is_evenIiEEEE10hipError_tPvRmT3_T4_T5_T6_T7_T9_mT8_P12ihipStream_tbDpT10_ENKUlT_T0_E_clISt17integral_constantIbLb1EES1A_EEDaS15_S16_EUlS15_E_NS1_11comp_targetILNS1_3genE4ELNS1_11target_archE910ELNS1_3gpuE8ELNS1_3repE0EEENS1_30default_config_static_selectorELNS0_4arch9wavefront6targetE1EEEvT1_,"axG",@progbits,_ZN7rocprim17ROCPRIM_400000_NS6detail17trampoline_kernelINS0_14default_configENS1_25partition_config_selectorILNS1_17partition_subalgoE3EiNS0_10empty_typeEbEEZZNS1_14partition_implILS5_3ELb0ES3_jN6thrust23THRUST_200600_302600_NS6detail15normal_iteratorINSA_7pointerIiNSA_11hip_rocprim3tagENSA_11use_defaultESG_EEEEPS6_SJ_NS0_5tupleIJPiSJ_EEENSK_IJSJ_SJ_EEES6_PlJ7is_evenIiEEEE10hipError_tPvRmT3_T4_T5_T6_T7_T9_mT8_P12ihipStream_tbDpT10_ENKUlT_T0_E_clISt17integral_constantIbLb1EES1A_EEDaS15_S16_EUlS15_E_NS1_11comp_targetILNS1_3genE4ELNS1_11target_archE910ELNS1_3gpuE8ELNS1_3repE0EEENS1_30default_config_static_selectorELNS0_4arch9wavefront6targetE1EEEvT1_,comdat
.Lfunc_end98:
	.size	_ZN7rocprim17ROCPRIM_400000_NS6detail17trampoline_kernelINS0_14default_configENS1_25partition_config_selectorILNS1_17partition_subalgoE3EiNS0_10empty_typeEbEEZZNS1_14partition_implILS5_3ELb0ES3_jN6thrust23THRUST_200600_302600_NS6detail15normal_iteratorINSA_7pointerIiNSA_11hip_rocprim3tagENSA_11use_defaultESG_EEEEPS6_SJ_NS0_5tupleIJPiSJ_EEENSK_IJSJ_SJ_EEES6_PlJ7is_evenIiEEEE10hipError_tPvRmT3_T4_T5_T6_T7_T9_mT8_P12ihipStream_tbDpT10_ENKUlT_T0_E_clISt17integral_constantIbLb1EES1A_EEDaS15_S16_EUlS15_E_NS1_11comp_targetILNS1_3genE4ELNS1_11target_archE910ELNS1_3gpuE8ELNS1_3repE0EEENS1_30default_config_static_selectorELNS0_4arch9wavefront6targetE1EEEvT1_, .Lfunc_end98-_ZN7rocprim17ROCPRIM_400000_NS6detail17trampoline_kernelINS0_14default_configENS1_25partition_config_selectorILNS1_17partition_subalgoE3EiNS0_10empty_typeEbEEZZNS1_14partition_implILS5_3ELb0ES3_jN6thrust23THRUST_200600_302600_NS6detail15normal_iteratorINSA_7pointerIiNSA_11hip_rocprim3tagENSA_11use_defaultESG_EEEEPS6_SJ_NS0_5tupleIJPiSJ_EEENSK_IJSJ_SJ_EEES6_PlJ7is_evenIiEEEE10hipError_tPvRmT3_T4_T5_T6_T7_T9_mT8_P12ihipStream_tbDpT10_ENKUlT_T0_E_clISt17integral_constantIbLb1EES1A_EEDaS15_S16_EUlS15_E_NS1_11comp_targetILNS1_3genE4ELNS1_11target_archE910ELNS1_3gpuE8ELNS1_3repE0EEENS1_30default_config_static_selectorELNS0_4arch9wavefront6targetE1EEEvT1_
                                        ; -- End function
	.section	.AMDGPU.csdata,"",@progbits
; Kernel info:
; codeLenInByte = 6252
; NumSgprs: 48
; NumVgprs: 57
; NumAgprs: 0
; TotalNumVgprs: 57
; ScratchSize: 0
; MemoryBound: 0
; FloatMode: 240
; IeeeMode: 1
; LDSByteSize: 10248 bytes/workgroup (compile time only)
; SGPRBlocks: 5
; VGPRBlocks: 7
; NumSGPRsForWavesPerEU: 48
; NumVGPRsForWavesPerEU: 57
; AccumOffset: 60
; Occupancy: 6
; WaveLimiterHint : 1
; COMPUTE_PGM_RSRC2:SCRATCH_EN: 0
; COMPUTE_PGM_RSRC2:USER_SGPR: 6
; COMPUTE_PGM_RSRC2:TRAP_HANDLER: 0
; COMPUTE_PGM_RSRC2:TGID_X_EN: 1
; COMPUTE_PGM_RSRC2:TGID_Y_EN: 0
; COMPUTE_PGM_RSRC2:TGID_Z_EN: 0
; COMPUTE_PGM_RSRC2:TIDIG_COMP_CNT: 0
; COMPUTE_PGM_RSRC3_GFX90A:ACCUM_OFFSET: 14
; COMPUTE_PGM_RSRC3_GFX90A:TG_SPLIT: 0
	.section	.text._ZN7rocprim17ROCPRIM_400000_NS6detail17trampoline_kernelINS0_14default_configENS1_25partition_config_selectorILNS1_17partition_subalgoE3EiNS0_10empty_typeEbEEZZNS1_14partition_implILS5_3ELb0ES3_jN6thrust23THRUST_200600_302600_NS6detail15normal_iteratorINSA_7pointerIiNSA_11hip_rocprim3tagENSA_11use_defaultESG_EEEEPS6_SJ_NS0_5tupleIJPiSJ_EEENSK_IJSJ_SJ_EEES6_PlJ7is_evenIiEEEE10hipError_tPvRmT3_T4_T5_T6_T7_T9_mT8_P12ihipStream_tbDpT10_ENKUlT_T0_E_clISt17integral_constantIbLb1EES1A_EEDaS15_S16_EUlS15_E_NS1_11comp_targetILNS1_3genE3ELNS1_11target_archE908ELNS1_3gpuE7ELNS1_3repE0EEENS1_30default_config_static_selectorELNS0_4arch9wavefront6targetE1EEEvT1_,"axG",@progbits,_ZN7rocprim17ROCPRIM_400000_NS6detail17trampoline_kernelINS0_14default_configENS1_25partition_config_selectorILNS1_17partition_subalgoE3EiNS0_10empty_typeEbEEZZNS1_14partition_implILS5_3ELb0ES3_jN6thrust23THRUST_200600_302600_NS6detail15normal_iteratorINSA_7pointerIiNSA_11hip_rocprim3tagENSA_11use_defaultESG_EEEEPS6_SJ_NS0_5tupleIJPiSJ_EEENSK_IJSJ_SJ_EEES6_PlJ7is_evenIiEEEE10hipError_tPvRmT3_T4_T5_T6_T7_T9_mT8_P12ihipStream_tbDpT10_ENKUlT_T0_E_clISt17integral_constantIbLb1EES1A_EEDaS15_S16_EUlS15_E_NS1_11comp_targetILNS1_3genE3ELNS1_11target_archE908ELNS1_3gpuE7ELNS1_3repE0EEENS1_30default_config_static_selectorELNS0_4arch9wavefront6targetE1EEEvT1_,comdat
	.protected	_ZN7rocprim17ROCPRIM_400000_NS6detail17trampoline_kernelINS0_14default_configENS1_25partition_config_selectorILNS1_17partition_subalgoE3EiNS0_10empty_typeEbEEZZNS1_14partition_implILS5_3ELb0ES3_jN6thrust23THRUST_200600_302600_NS6detail15normal_iteratorINSA_7pointerIiNSA_11hip_rocprim3tagENSA_11use_defaultESG_EEEEPS6_SJ_NS0_5tupleIJPiSJ_EEENSK_IJSJ_SJ_EEES6_PlJ7is_evenIiEEEE10hipError_tPvRmT3_T4_T5_T6_T7_T9_mT8_P12ihipStream_tbDpT10_ENKUlT_T0_E_clISt17integral_constantIbLb1EES1A_EEDaS15_S16_EUlS15_E_NS1_11comp_targetILNS1_3genE3ELNS1_11target_archE908ELNS1_3gpuE7ELNS1_3repE0EEENS1_30default_config_static_selectorELNS0_4arch9wavefront6targetE1EEEvT1_ ; -- Begin function _ZN7rocprim17ROCPRIM_400000_NS6detail17trampoline_kernelINS0_14default_configENS1_25partition_config_selectorILNS1_17partition_subalgoE3EiNS0_10empty_typeEbEEZZNS1_14partition_implILS5_3ELb0ES3_jN6thrust23THRUST_200600_302600_NS6detail15normal_iteratorINSA_7pointerIiNSA_11hip_rocprim3tagENSA_11use_defaultESG_EEEEPS6_SJ_NS0_5tupleIJPiSJ_EEENSK_IJSJ_SJ_EEES6_PlJ7is_evenIiEEEE10hipError_tPvRmT3_T4_T5_T6_T7_T9_mT8_P12ihipStream_tbDpT10_ENKUlT_T0_E_clISt17integral_constantIbLb1EES1A_EEDaS15_S16_EUlS15_E_NS1_11comp_targetILNS1_3genE3ELNS1_11target_archE908ELNS1_3gpuE7ELNS1_3repE0EEENS1_30default_config_static_selectorELNS0_4arch9wavefront6targetE1EEEvT1_
	.globl	_ZN7rocprim17ROCPRIM_400000_NS6detail17trampoline_kernelINS0_14default_configENS1_25partition_config_selectorILNS1_17partition_subalgoE3EiNS0_10empty_typeEbEEZZNS1_14partition_implILS5_3ELb0ES3_jN6thrust23THRUST_200600_302600_NS6detail15normal_iteratorINSA_7pointerIiNSA_11hip_rocprim3tagENSA_11use_defaultESG_EEEEPS6_SJ_NS0_5tupleIJPiSJ_EEENSK_IJSJ_SJ_EEES6_PlJ7is_evenIiEEEE10hipError_tPvRmT3_T4_T5_T6_T7_T9_mT8_P12ihipStream_tbDpT10_ENKUlT_T0_E_clISt17integral_constantIbLb1EES1A_EEDaS15_S16_EUlS15_E_NS1_11comp_targetILNS1_3genE3ELNS1_11target_archE908ELNS1_3gpuE7ELNS1_3repE0EEENS1_30default_config_static_selectorELNS0_4arch9wavefront6targetE1EEEvT1_
	.p2align	8
	.type	_ZN7rocprim17ROCPRIM_400000_NS6detail17trampoline_kernelINS0_14default_configENS1_25partition_config_selectorILNS1_17partition_subalgoE3EiNS0_10empty_typeEbEEZZNS1_14partition_implILS5_3ELb0ES3_jN6thrust23THRUST_200600_302600_NS6detail15normal_iteratorINSA_7pointerIiNSA_11hip_rocprim3tagENSA_11use_defaultESG_EEEEPS6_SJ_NS0_5tupleIJPiSJ_EEENSK_IJSJ_SJ_EEES6_PlJ7is_evenIiEEEE10hipError_tPvRmT3_T4_T5_T6_T7_T9_mT8_P12ihipStream_tbDpT10_ENKUlT_T0_E_clISt17integral_constantIbLb1EES1A_EEDaS15_S16_EUlS15_E_NS1_11comp_targetILNS1_3genE3ELNS1_11target_archE908ELNS1_3gpuE7ELNS1_3repE0EEENS1_30default_config_static_selectorELNS0_4arch9wavefront6targetE1EEEvT1_,@function
_ZN7rocprim17ROCPRIM_400000_NS6detail17trampoline_kernelINS0_14default_configENS1_25partition_config_selectorILNS1_17partition_subalgoE3EiNS0_10empty_typeEbEEZZNS1_14partition_implILS5_3ELb0ES3_jN6thrust23THRUST_200600_302600_NS6detail15normal_iteratorINSA_7pointerIiNSA_11hip_rocprim3tagENSA_11use_defaultESG_EEEEPS6_SJ_NS0_5tupleIJPiSJ_EEENSK_IJSJ_SJ_EEES6_PlJ7is_evenIiEEEE10hipError_tPvRmT3_T4_T5_T6_T7_T9_mT8_P12ihipStream_tbDpT10_ENKUlT_T0_E_clISt17integral_constantIbLb1EES1A_EEDaS15_S16_EUlS15_E_NS1_11comp_targetILNS1_3genE3ELNS1_11target_archE908ELNS1_3gpuE7ELNS1_3repE0EEENS1_30default_config_static_selectorELNS0_4arch9wavefront6targetE1EEEvT1_: ; @_ZN7rocprim17ROCPRIM_400000_NS6detail17trampoline_kernelINS0_14default_configENS1_25partition_config_selectorILNS1_17partition_subalgoE3EiNS0_10empty_typeEbEEZZNS1_14partition_implILS5_3ELb0ES3_jN6thrust23THRUST_200600_302600_NS6detail15normal_iteratorINSA_7pointerIiNSA_11hip_rocprim3tagENSA_11use_defaultESG_EEEEPS6_SJ_NS0_5tupleIJPiSJ_EEENSK_IJSJ_SJ_EEES6_PlJ7is_evenIiEEEE10hipError_tPvRmT3_T4_T5_T6_T7_T9_mT8_P12ihipStream_tbDpT10_ENKUlT_T0_E_clISt17integral_constantIbLb1EES1A_EEDaS15_S16_EUlS15_E_NS1_11comp_targetILNS1_3genE3ELNS1_11target_archE908ELNS1_3gpuE7ELNS1_3repE0EEENS1_30default_config_static_selectorELNS0_4arch9wavefront6targetE1EEEvT1_
; %bb.0:
	.section	.rodata,"a",@progbits
	.p2align	6, 0x0
	.amdhsa_kernel _ZN7rocprim17ROCPRIM_400000_NS6detail17trampoline_kernelINS0_14default_configENS1_25partition_config_selectorILNS1_17partition_subalgoE3EiNS0_10empty_typeEbEEZZNS1_14partition_implILS5_3ELb0ES3_jN6thrust23THRUST_200600_302600_NS6detail15normal_iteratorINSA_7pointerIiNSA_11hip_rocprim3tagENSA_11use_defaultESG_EEEEPS6_SJ_NS0_5tupleIJPiSJ_EEENSK_IJSJ_SJ_EEES6_PlJ7is_evenIiEEEE10hipError_tPvRmT3_T4_T5_T6_T7_T9_mT8_P12ihipStream_tbDpT10_ENKUlT_T0_E_clISt17integral_constantIbLb1EES1A_EEDaS15_S16_EUlS15_E_NS1_11comp_targetILNS1_3genE3ELNS1_11target_archE908ELNS1_3gpuE7ELNS1_3repE0EEENS1_30default_config_static_selectorELNS0_4arch9wavefront6targetE1EEEvT1_
		.amdhsa_group_segment_fixed_size 0
		.amdhsa_private_segment_fixed_size 0
		.amdhsa_kernarg_size 136
		.amdhsa_user_sgpr_count 6
		.amdhsa_user_sgpr_private_segment_buffer 1
		.amdhsa_user_sgpr_dispatch_ptr 0
		.amdhsa_user_sgpr_queue_ptr 0
		.amdhsa_user_sgpr_kernarg_segment_ptr 1
		.amdhsa_user_sgpr_dispatch_id 0
		.amdhsa_user_sgpr_flat_scratch_init 0
		.amdhsa_user_sgpr_kernarg_preload_length 0
		.amdhsa_user_sgpr_kernarg_preload_offset 0
		.amdhsa_user_sgpr_private_segment_size 0
		.amdhsa_uses_dynamic_stack 0
		.amdhsa_system_sgpr_private_segment_wavefront_offset 0
		.amdhsa_system_sgpr_workgroup_id_x 1
		.amdhsa_system_sgpr_workgroup_id_y 0
		.amdhsa_system_sgpr_workgroup_id_z 0
		.amdhsa_system_sgpr_workgroup_info 0
		.amdhsa_system_vgpr_workitem_id 0
		.amdhsa_next_free_vgpr 1
		.amdhsa_next_free_sgpr 0
		.amdhsa_accum_offset 4
		.amdhsa_reserve_vcc 0
		.amdhsa_reserve_flat_scratch 0
		.amdhsa_float_round_mode_32 0
		.amdhsa_float_round_mode_16_64 0
		.amdhsa_float_denorm_mode_32 3
		.amdhsa_float_denorm_mode_16_64 3
		.amdhsa_dx10_clamp 1
		.amdhsa_ieee_mode 1
		.amdhsa_fp16_overflow 0
		.amdhsa_tg_split 0
		.amdhsa_exception_fp_ieee_invalid_op 0
		.amdhsa_exception_fp_denorm_src 0
		.amdhsa_exception_fp_ieee_div_zero 0
		.amdhsa_exception_fp_ieee_overflow 0
		.amdhsa_exception_fp_ieee_underflow 0
		.amdhsa_exception_fp_ieee_inexact 0
		.amdhsa_exception_int_div_zero 0
	.end_amdhsa_kernel
	.section	.text._ZN7rocprim17ROCPRIM_400000_NS6detail17trampoline_kernelINS0_14default_configENS1_25partition_config_selectorILNS1_17partition_subalgoE3EiNS0_10empty_typeEbEEZZNS1_14partition_implILS5_3ELb0ES3_jN6thrust23THRUST_200600_302600_NS6detail15normal_iteratorINSA_7pointerIiNSA_11hip_rocprim3tagENSA_11use_defaultESG_EEEEPS6_SJ_NS0_5tupleIJPiSJ_EEENSK_IJSJ_SJ_EEES6_PlJ7is_evenIiEEEE10hipError_tPvRmT3_T4_T5_T6_T7_T9_mT8_P12ihipStream_tbDpT10_ENKUlT_T0_E_clISt17integral_constantIbLb1EES1A_EEDaS15_S16_EUlS15_E_NS1_11comp_targetILNS1_3genE3ELNS1_11target_archE908ELNS1_3gpuE7ELNS1_3repE0EEENS1_30default_config_static_selectorELNS0_4arch9wavefront6targetE1EEEvT1_,"axG",@progbits,_ZN7rocprim17ROCPRIM_400000_NS6detail17trampoline_kernelINS0_14default_configENS1_25partition_config_selectorILNS1_17partition_subalgoE3EiNS0_10empty_typeEbEEZZNS1_14partition_implILS5_3ELb0ES3_jN6thrust23THRUST_200600_302600_NS6detail15normal_iteratorINSA_7pointerIiNSA_11hip_rocprim3tagENSA_11use_defaultESG_EEEEPS6_SJ_NS0_5tupleIJPiSJ_EEENSK_IJSJ_SJ_EEES6_PlJ7is_evenIiEEEE10hipError_tPvRmT3_T4_T5_T6_T7_T9_mT8_P12ihipStream_tbDpT10_ENKUlT_T0_E_clISt17integral_constantIbLb1EES1A_EEDaS15_S16_EUlS15_E_NS1_11comp_targetILNS1_3genE3ELNS1_11target_archE908ELNS1_3gpuE7ELNS1_3repE0EEENS1_30default_config_static_selectorELNS0_4arch9wavefront6targetE1EEEvT1_,comdat
.Lfunc_end99:
	.size	_ZN7rocprim17ROCPRIM_400000_NS6detail17trampoline_kernelINS0_14default_configENS1_25partition_config_selectorILNS1_17partition_subalgoE3EiNS0_10empty_typeEbEEZZNS1_14partition_implILS5_3ELb0ES3_jN6thrust23THRUST_200600_302600_NS6detail15normal_iteratorINSA_7pointerIiNSA_11hip_rocprim3tagENSA_11use_defaultESG_EEEEPS6_SJ_NS0_5tupleIJPiSJ_EEENSK_IJSJ_SJ_EEES6_PlJ7is_evenIiEEEE10hipError_tPvRmT3_T4_T5_T6_T7_T9_mT8_P12ihipStream_tbDpT10_ENKUlT_T0_E_clISt17integral_constantIbLb1EES1A_EEDaS15_S16_EUlS15_E_NS1_11comp_targetILNS1_3genE3ELNS1_11target_archE908ELNS1_3gpuE7ELNS1_3repE0EEENS1_30default_config_static_selectorELNS0_4arch9wavefront6targetE1EEEvT1_, .Lfunc_end99-_ZN7rocprim17ROCPRIM_400000_NS6detail17trampoline_kernelINS0_14default_configENS1_25partition_config_selectorILNS1_17partition_subalgoE3EiNS0_10empty_typeEbEEZZNS1_14partition_implILS5_3ELb0ES3_jN6thrust23THRUST_200600_302600_NS6detail15normal_iteratorINSA_7pointerIiNSA_11hip_rocprim3tagENSA_11use_defaultESG_EEEEPS6_SJ_NS0_5tupleIJPiSJ_EEENSK_IJSJ_SJ_EEES6_PlJ7is_evenIiEEEE10hipError_tPvRmT3_T4_T5_T6_T7_T9_mT8_P12ihipStream_tbDpT10_ENKUlT_T0_E_clISt17integral_constantIbLb1EES1A_EEDaS15_S16_EUlS15_E_NS1_11comp_targetILNS1_3genE3ELNS1_11target_archE908ELNS1_3gpuE7ELNS1_3repE0EEENS1_30default_config_static_selectorELNS0_4arch9wavefront6targetE1EEEvT1_
                                        ; -- End function
	.section	.AMDGPU.csdata,"",@progbits
; Kernel info:
; codeLenInByte = 0
; NumSgprs: 4
; NumVgprs: 0
; NumAgprs: 0
; TotalNumVgprs: 0
; ScratchSize: 0
; MemoryBound: 0
; FloatMode: 240
; IeeeMode: 1
; LDSByteSize: 0 bytes/workgroup (compile time only)
; SGPRBlocks: 0
; VGPRBlocks: 0
; NumSGPRsForWavesPerEU: 4
; NumVGPRsForWavesPerEU: 1
; AccumOffset: 4
; Occupancy: 8
; WaveLimiterHint : 0
; COMPUTE_PGM_RSRC2:SCRATCH_EN: 0
; COMPUTE_PGM_RSRC2:USER_SGPR: 6
; COMPUTE_PGM_RSRC2:TRAP_HANDLER: 0
; COMPUTE_PGM_RSRC2:TGID_X_EN: 1
; COMPUTE_PGM_RSRC2:TGID_Y_EN: 0
; COMPUTE_PGM_RSRC2:TGID_Z_EN: 0
; COMPUTE_PGM_RSRC2:TIDIG_COMP_CNT: 0
; COMPUTE_PGM_RSRC3_GFX90A:ACCUM_OFFSET: 0
; COMPUTE_PGM_RSRC3_GFX90A:TG_SPLIT: 0
	.section	.text._ZN7rocprim17ROCPRIM_400000_NS6detail17trampoline_kernelINS0_14default_configENS1_25partition_config_selectorILNS1_17partition_subalgoE3EiNS0_10empty_typeEbEEZZNS1_14partition_implILS5_3ELb0ES3_jN6thrust23THRUST_200600_302600_NS6detail15normal_iteratorINSA_7pointerIiNSA_11hip_rocprim3tagENSA_11use_defaultESG_EEEEPS6_SJ_NS0_5tupleIJPiSJ_EEENSK_IJSJ_SJ_EEES6_PlJ7is_evenIiEEEE10hipError_tPvRmT3_T4_T5_T6_T7_T9_mT8_P12ihipStream_tbDpT10_ENKUlT_T0_E_clISt17integral_constantIbLb1EES1A_EEDaS15_S16_EUlS15_E_NS1_11comp_targetILNS1_3genE2ELNS1_11target_archE906ELNS1_3gpuE6ELNS1_3repE0EEENS1_30default_config_static_selectorELNS0_4arch9wavefront6targetE1EEEvT1_,"axG",@progbits,_ZN7rocprim17ROCPRIM_400000_NS6detail17trampoline_kernelINS0_14default_configENS1_25partition_config_selectorILNS1_17partition_subalgoE3EiNS0_10empty_typeEbEEZZNS1_14partition_implILS5_3ELb0ES3_jN6thrust23THRUST_200600_302600_NS6detail15normal_iteratorINSA_7pointerIiNSA_11hip_rocprim3tagENSA_11use_defaultESG_EEEEPS6_SJ_NS0_5tupleIJPiSJ_EEENSK_IJSJ_SJ_EEES6_PlJ7is_evenIiEEEE10hipError_tPvRmT3_T4_T5_T6_T7_T9_mT8_P12ihipStream_tbDpT10_ENKUlT_T0_E_clISt17integral_constantIbLb1EES1A_EEDaS15_S16_EUlS15_E_NS1_11comp_targetILNS1_3genE2ELNS1_11target_archE906ELNS1_3gpuE6ELNS1_3repE0EEENS1_30default_config_static_selectorELNS0_4arch9wavefront6targetE1EEEvT1_,comdat
	.protected	_ZN7rocprim17ROCPRIM_400000_NS6detail17trampoline_kernelINS0_14default_configENS1_25partition_config_selectorILNS1_17partition_subalgoE3EiNS0_10empty_typeEbEEZZNS1_14partition_implILS5_3ELb0ES3_jN6thrust23THRUST_200600_302600_NS6detail15normal_iteratorINSA_7pointerIiNSA_11hip_rocprim3tagENSA_11use_defaultESG_EEEEPS6_SJ_NS0_5tupleIJPiSJ_EEENSK_IJSJ_SJ_EEES6_PlJ7is_evenIiEEEE10hipError_tPvRmT3_T4_T5_T6_T7_T9_mT8_P12ihipStream_tbDpT10_ENKUlT_T0_E_clISt17integral_constantIbLb1EES1A_EEDaS15_S16_EUlS15_E_NS1_11comp_targetILNS1_3genE2ELNS1_11target_archE906ELNS1_3gpuE6ELNS1_3repE0EEENS1_30default_config_static_selectorELNS0_4arch9wavefront6targetE1EEEvT1_ ; -- Begin function _ZN7rocprim17ROCPRIM_400000_NS6detail17trampoline_kernelINS0_14default_configENS1_25partition_config_selectorILNS1_17partition_subalgoE3EiNS0_10empty_typeEbEEZZNS1_14partition_implILS5_3ELb0ES3_jN6thrust23THRUST_200600_302600_NS6detail15normal_iteratorINSA_7pointerIiNSA_11hip_rocprim3tagENSA_11use_defaultESG_EEEEPS6_SJ_NS0_5tupleIJPiSJ_EEENSK_IJSJ_SJ_EEES6_PlJ7is_evenIiEEEE10hipError_tPvRmT3_T4_T5_T6_T7_T9_mT8_P12ihipStream_tbDpT10_ENKUlT_T0_E_clISt17integral_constantIbLb1EES1A_EEDaS15_S16_EUlS15_E_NS1_11comp_targetILNS1_3genE2ELNS1_11target_archE906ELNS1_3gpuE6ELNS1_3repE0EEENS1_30default_config_static_selectorELNS0_4arch9wavefront6targetE1EEEvT1_
	.globl	_ZN7rocprim17ROCPRIM_400000_NS6detail17trampoline_kernelINS0_14default_configENS1_25partition_config_selectorILNS1_17partition_subalgoE3EiNS0_10empty_typeEbEEZZNS1_14partition_implILS5_3ELb0ES3_jN6thrust23THRUST_200600_302600_NS6detail15normal_iteratorINSA_7pointerIiNSA_11hip_rocprim3tagENSA_11use_defaultESG_EEEEPS6_SJ_NS0_5tupleIJPiSJ_EEENSK_IJSJ_SJ_EEES6_PlJ7is_evenIiEEEE10hipError_tPvRmT3_T4_T5_T6_T7_T9_mT8_P12ihipStream_tbDpT10_ENKUlT_T0_E_clISt17integral_constantIbLb1EES1A_EEDaS15_S16_EUlS15_E_NS1_11comp_targetILNS1_3genE2ELNS1_11target_archE906ELNS1_3gpuE6ELNS1_3repE0EEENS1_30default_config_static_selectorELNS0_4arch9wavefront6targetE1EEEvT1_
	.p2align	8
	.type	_ZN7rocprim17ROCPRIM_400000_NS6detail17trampoline_kernelINS0_14default_configENS1_25partition_config_selectorILNS1_17partition_subalgoE3EiNS0_10empty_typeEbEEZZNS1_14partition_implILS5_3ELb0ES3_jN6thrust23THRUST_200600_302600_NS6detail15normal_iteratorINSA_7pointerIiNSA_11hip_rocprim3tagENSA_11use_defaultESG_EEEEPS6_SJ_NS0_5tupleIJPiSJ_EEENSK_IJSJ_SJ_EEES6_PlJ7is_evenIiEEEE10hipError_tPvRmT3_T4_T5_T6_T7_T9_mT8_P12ihipStream_tbDpT10_ENKUlT_T0_E_clISt17integral_constantIbLb1EES1A_EEDaS15_S16_EUlS15_E_NS1_11comp_targetILNS1_3genE2ELNS1_11target_archE906ELNS1_3gpuE6ELNS1_3repE0EEENS1_30default_config_static_selectorELNS0_4arch9wavefront6targetE1EEEvT1_,@function
_ZN7rocprim17ROCPRIM_400000_NS6detail17trampoline_kernelINS0_14default_configENS1_25partition_config_selectorILNS1_17partition_subalgoE3EiNS0_10empty_typeEbEEZZNS1_14partition_implILS5_3ELb0ES3_jN6thrust23THRUST_200600_302600_NS6detail15normal_iteratorINSA_7pointerIiNSA_11hip_rocprim3tagENSA_11use_defaultESG_EEEEPS6_SJ_NS0_5tupleIJPiSJ_EEENSK_IJSJ_SJ_EEES6_PlJ7is_evenIiEEEE10hipError_tPvRmT3_T4_T5_T6_T7_T9_mT8_P12ihipStream_tbDpT10_ENKUlT_T0_E_clISt17integral_constantIbLb1EES1A_EEDaS15_S16_EUlS15_E_NS1_11comp_targetILNS1_3genE2ELNS1_11target_archE906ELNS1_3gpuE6ELNS1_3repE0EEENS1_30default_config_static_selectorELNS0_4arch9wavefront6targetE1EEEvT1_: ; @_ZN7rocprim17ROCPRIM_400000_NS6detail17trampoline_kernelINS0_14default_configENS1_25partition_config_selectorILNS1_17partition_subalgoE3EiNS0_10empty_typeEbEEZZNS1_14partition_implILS5_3ELb0ES3_jN6thrust23THRUST_200600_302600_NS6detail15normal_iteratorINSA_7pointerIiNSA_11hip_rocprim3tagENSA_11use_defaultESG_EEEEPS6_SJ_NS0_5tupleIJPiSJ_EEENSK_IJSJ_SJ_EEES6_PlJ7is_evenIiEEEE10hipError_tPvRmT3_T4_T5_T6_T7_T9_mT8_P12ihipStream_tbDpT10_ENKUlT_T0_E_clISt17integral_constantIbLb1EES1A_EEDaS15_S16_EUlS15_E_NS1_11comp_targetILNS1_3genE2ELNS1_11target_archE906ELNS1_3gpuE6ELNS1_3repE0EEENS1_30default_config_static_selectorELNS0_4arch9wavefront6targetE1EEEvT1_
; %bb.0:
	.section	.rodata,"a",@progbits
	.p2align	6, 0x0
	.amdhsa_kernel _ZN7rocprim17ROCPRIM_400000_NS6detail17trampoline_kernelINS0_14default_configENS1_25partition_config_selectorILNS1_17partition_subalgoE3EiNS0_10empty_typeEbEEZZNS1_14partition_implILS5_3ELb0ES3_jN6thrust23THRUST_200600_302600_NS6detail15normal_iteratorINSA_7pointerIiNSA_11hip_rocprim3tagENSA_11use_defaultESG_EEEEPS6_SJ_NS0_5tupleIJPiSJ_EEENSK_IJSJ_SJ_EEES6_PlJ7is_evenIiEEEE10hipError_tPvRmT3_T4_T5_T6_T7_T9_mT8_P12ihipStream_tbDpT10_ENKUlT_T0_E_clISt17integral_constantIbLb1EES1A_EEDaS15_S16_EUlS15_E_NS1_11comp_targetILNS1_3genE2ELNS1_11target_archE906ELNS1_3gpuE6ELNS1_3repE0EEENS1_30default_config_static_selectorELNS0_4arch9wavefront6targetE1EEEvT1_
		.amdhsa_group_segment_fixed_size 0
		.amdhsa_private_segment_fixed_size 0
		.amdhsa_kernarg_size 136
		.amdhsa_user_sgpr_count 6
		.amdhsa_user_sgpr_private_segment_buffer 1
		.amdhsa_user_sgpr_dispatch_ptr 0
		.amdhsa_user_sgpr_queue_ptr 0
		.amdhsa_user_sgpr_kernarg_segment_ptr 1
		.amdhsa_user_sgpr_dispatch_id 0
		.amdhsa_user_sgpr_flat_scratch_init 0
		.amdhsa_user_sgpr_kernarg_preload_length 0
		.amdhsa_user_sgpr_kernarg_preload_offset 0
		.amdhsa_user_sgpr_private_segment_size 0
		.amdhsa_uses_dynamic_stack 0
		.amdhsa_system_sgpr_private_segment_wavefront_offset 0
		.amdhsa_system_sgpr_workgroup_id_x 1
		.amdhsa_system_sgpr_workgroup_id_y 0
		.amdhsa_system_sgpr_workgroup_id_z 0
		.amdhsa_system_sgpr_workgroup_info 0
		.amdhsa_system_vgpr_workitem_id 0
		.amdhsa_next_free_vgpr 1
		.amdhsa_next_free_sgpr 0
		.amdhsa_accum_offset 4
		.amdhsa_reserve_vcc 0
		.amdhsa_reserve_flat_scratch 0
		.amdhsa_float_round_mode_32 0
		.amdhsa_float_round_mode_16_64 0
		.amdhsa_float_denorm_mode_32 3
		.amdhsa_float_denorm_mode_16_64 3
		.amdhsa_dx10_clamp 1
		.amdhsa_ieee_mode 1
		.amdhsa_fp16_overflow 0
		.amdhsa_tg_split 0
		.amdhsa_exception_fp_ieee_invalid_op 0
		.amdhsa_exception_fp_denorm_src 0
		.amdhsa_exception_fp_ieee_div_zero 0
		.amdhsa_exception_fp_ieee_overflow 0
		.amdhsa_exception_fp_ieee_underflow 0
		.amdhsa_exception_fp_ieee_inexact 0
		.amdhsa_exception_int_div_zero 0
	.end_amdhsa_kernel
	.section	.text._ZN7rocprim17ROCPRIM_400000_NS6detail17trampoline_kernelINS0_14default_configENS1_25partition_config_selectorILNS1_17partition_subalgoE3EiNS0_10empty_typeEbEEZZNS1_14partition_implILS5_3ELb0ES3_jN6thrust23THRUST_200600_302600_NS6detail15normal_iteratorINSA_7pointerIiNSA_11hip_rocprim3tagENSA_11use_defaultESG_EEEEPS6_SJ_NS0_5tupleIJPiSJ_EEENSK_IJSJ_SJ_EEES6_PlJ7is_evenIiEEEE10hipError_tPvRmT3_T4_T5_T6_T7_T9_mT8_P12ihipStream_tbDpT10_ENKUlT_T0_E_clISt17integral_constantIbLb1EES1A_EEDaS15_S16_EUlS15_E_NS1_11comp_targetILNS1_3genE2ELNS1_11target_archE906ELNS1_3gpuE6ELNS1_3repE0EEENS1_30default_config_static_selectorELNS0_4arch9wavefront6targetE1EEEvT1_,"axG",@progbits,_ZN7rocprim17ROCPRIM_400000_NS6detail17trampoline_kernelINS0_14default_configENS1_25partition_config_selectorILNS1_17partition_subalgoE3EiNS0_10empty_typeEbEEZZNS1_14partition_implILS5_3ELb0ES3_jN6thrust23THRUST_200600_302600_NS6detail15normal_iteratorINSA_7pointerIiNSA_11hip_rocprim3tagENSA_11use_defaultESG_EEEEPS6_SJ_NS0_5tupleIJPiSJ_EEENSK_IJSJ_SJ_EEES6_PlJ7is_evenIiEEEE10hipError_tPvRmT3_T4_T5_T6_T7_T9_mT8_P12ihipStream_tbDpT10_ENKUlT_T0_E_clISt17integral_constantIbLb1EES1A_EEDaS15_S16_EUlS15_E_NS1_11comp_targetILNS1_3genE2ELNS1_11target_archE906ELNS1_3gpuE6ELNS1_3repE0EEENS1_30default_config_static_selectorELNS0_4arch9wavefront6targetE1EEEvT1_,comdat
.Lfunc_end100:
	.size	_ZN7rocprim17ROCPRIM_400000_NS6detail17trampoline_kernelINS0_14default_configENS1_25partition_config_selectorILNS1_17partition_subalgoE3EiNS0_10empty_typeEbEEZZNS1_14partition_implILS5_3ELb0ES3_jN6thrust23THRUST_200600_302600_NS6detail15normal_iteratorINSA_7pointerIiNSA_11hip_rocprim3tagENSA_11use_defaultESG_EEEEPS6_SJ_NS0_5tupleIJPiSJ_EEENSK_IJSJ_SJ_EEES6_PlJ7is_evenIiEEEE10hipError_tPvRmT3_T4_T5_T6_T7_T9_mT8_P12ihipStream_tbDpT10_ENKUlT_T0_E_clISt17integral_constantIbLb1EES1A_EEDaS15_S16_EUlS15_E_NS1_11comp_targetILNS1_3genE2ELNS1_11target_archE906ELNS1_3gpuE6ELNS1_3repE0EEENS1_30default_config_static_selectorELNS0_4arch9wavefront6targetE1EEEvT1_, .Lfunc_end100-_ZN7rocprim17ROCPRIM_400000_NS6detail17trampoline_kernelINS0_14default_configENS1_25partition_config_selectorILNS1_17partition_subalgoE3EiNS0_10empty_typeEbEEZZNS1_14partition_implILS5_3ELb0ES3_jN6thrust23THRUST_200600_302600_NS6detail15normal_iteratorINSA_7pointerIiNSA_11hip_rocprim3tagENSA_11use_defaultESG_EEEEPS6_SJ_NS0_5tupleIJPiSJ_EEENSK_IJSJ_SJ_EEES6_PlJ7is_evenIiEEEE10hipError_tPvRmT3_T4_T5_T6_T7_T9_mT8_P12ihipStream_tbDpT10_ENKUlT_T0_E_clISt17integral_constantIbLb1EES1A_EEDaS15_S16_EUlS15_E_NS1_11comp_targetILNS1_3genE2ELNS1_11target_archE906ELNS1_3gpuE6ELNS1_3repE0EEENS1_30default_config_static_selectorELNS0_4arch9wavefront6targetE1EEEvT1_
                                        ; -- End function
	.section	.AMDGPU.csdata,"",@progbits
; Kernel info:
; codeLenInByte = 0
; NumSgprs: 4
; NumVgprs: 0
; NumAgprs: 0
; TotalNumVgprs: 0
; ScratchSize: 0
; MemoryBound: 0
; FloatMode: 240
; IeeeMode: 1
; LDSByteSize: 0 bytes/workgroup (compile time only)
; SGPRBlocks: 0
; VGPRBlocks: 0
; NumSGPRsForWavesPerEU: 4
; NumVGPRsForWavesPerEU: 1
; AccumOffset: 4
; Occupancy: 8
; WaveLimiterHint : 0
; COMPUTE_PGM_RSRC2:SCRATCH_EN: 0
; COMPUTE_PGM_RSRC2:USER_SGPR: 6
; COMPUTE_PGM_RSRC2:TRAP_HANDLER: 0
; COMPUTE_PGM_RSRC2:TGID_X_EN: 1
; COMPUTE_PGM_RSRC2:TGID_Y_EN: 0
; COMPUTE_PGM_RSRC2:TGID_Z_EN: 0
; COMPUTE_PGM_RSRC2:TIDIG_COMP_CNT: 0
; COMPUTE_PGM_RSRC3_GFX90A:ACCUM_OFFSET: 0
; COMPUTE_PGM_RSRC3_GFX90A:TG_SPLIT: 0
	.section	.text._ZN7rocprim17ROCPRIM_400000_NS6detail17trampoline_kernelINS0_14default_configENS1_25partition_config_selectorILNS1_17partition_subalgoE3EiNS0_10empty_typeEbEEZZNS1_14partition_implILS5_3ELb0ES3_jN6thrust23THRUST_200600_302600_NS6detail15normal_iteratorINSA_7pointerIiNSA_11hip_rocprim3tagENSA_11use_defaultESG_EEEEPS6_SJ_NS0_5tupleIJPiSJ_EEENSK_IJSJ_SJ_EEES6_PlJ7is_evenIiEEEE10hipError_tPvRmT3_T4_T5_T6_T7_T9_mT8_P12ihipStream_tbDpT10_ENKUlT_T0_E_clISt17integral_constantIbLb1EES1A_EEDaS15_S16_EUlS15_E_NS1_11comp_targetILNS1_3genE10ELNS1_11target_archE1200ELNS1_3gpuE4ELNS1_3repE0EEENS1_30default_config_static_selectorELNS0_4arch9wavefront6targetE1EEEvT1_,"axG",@progbits,_ZN7rocprim17ROCPRIM_400000_NS6detail17trampoline_kernelINS0_14default_configENS1_25partition_config_selectorILNS1_17partition_subalgoE3EiNS0_10empty_typeEbEEZZNS1_14partition_implILS5_3ELb0ES3_jN6thrust23THRUST_200600_302600_NS6detail15normal_iteratorINSA_7pointerIiNSA_11hip_rocprim3tagENSA_11use_defaultESG_EEEEPS6_SJ_NS0_5tupleIJPiSJ_EEENSK_IJSJ_SJ_EEES6_PlJ7is_evenIiEEEE10hipError_tPvRmT3_T4_T5_T6_T7_T9_mT8_P12ihipStream_tbDpT10_ENKUlT_T0_E_clISt17integral_constantIbLb1EES1A_EEDaS15_S16_EUlS15_E_NS1_11comp_targetILNS1_3genE10ELNS1_11target_archE1200ELNS1_3gpuE4ELNS1_3repE0EEENS1_30default_config_static_selectorELNS0_4arch9wavefront6targetE1EEEvT1_,comdat
	.protected	_ZN7rocprim17ROCPRIM_400000_NS6detail17trampoline_kernelINS0_14default_configENS1_25partition_config_selectorILNS1_17partition_subalgoE3EiNS0_10empty_typeEbEEZZNS1_14partition_implILS5_3ELb0ES3_jN6thrust23THRUST_200600_302600_NS6detail15normal_iteratorINSA_7pointerIiNSA_11hip_rocprim3tagENSA_11use_defaultESG_EEEEPS6_SJ_NS0_5tupleIJPiSJ_EEENSK_IJSJ_SJ_EEES6_PlJ7is_evenIiEEEE10hipError_tPvRmT3_T4_T5_T6_T7_T9_mT8_P12ihipStream_tbDpT10_ENKUlT_T0_E_clISt17integral_constantIbLb1EES1A_EEDaS15_S16_EUlS15_E_NS1_11comp_targetILNS1_3genE10ELNS1_11target_archE1200ELNS1_3gpuE4ELNS1_3repE0EEENS1_30default_config_static_selectorELNS0_4arch9wavefront6targetE1EEEvT1_ ; -- Begin function _ZN7rocprim17ROCPRIM_400000_NS6detail17trampoline_kernelINS0_14default_configENS1_25partition_config_selectorILNS1_17partition_subalgoE3EiNS0_10empty_typeEbEEZZNS1_14partition_implILS5_3ELb0ES3_jN6thrust23THRUST_200600_302600_NS6detail15normal_iteratorINSA_7pointerIiNSA_11hip_rocprim3tagENSA_11use_defaultESG_EEEEPS6_SJ_NS0_5tupleIJPiSJ_EEENSK_IJSJ_SJ_EEES6_PlJ7is_evenIiEEEE10hipError_tPvRmT3_T4_T5_T6_T7_T9_mT8_P12ihipStream_tbDpT10_ENKUlT_T0_E_clISt17integral_constantIbLb1EES1A_EEDaS15_S16_EUlS15_E_NS1_11comp_targetILNS1_3genE10ELNS1_11target_archE1200ELNS1_3gpuE4ELNS1_3repE0EEENS1_30default_config_static_selectorELNS0_4arch9wavefront6targetE1EEEvT1_
	.globl	_ZN7rocprim17ROCPRIM_400000_NS6detail17trampoline_kernelINS0_14default_configENS1_25partition_config_selectorILNS1_17partition_subalgoE3EiNS0_10empty_typeEbEEZZNS1_14partition_implILS5_3ELb0ES3_jN6thrust23THRUST_200600_302600_NS6detail15normal_iteratorINSA_7pointerIiNSA_11hip_rocprim3tagENSA_11use_defaultESG_EEEEPS6_SJ_NS0_5tupleIJPiSJ_EEENSK_IJSJ_SJ_EEES6_PlJ7is_evenIiEEEE10hipError_tPvRmT3_T4_T5_T6_T7_T9_mT8_P12ihipStream_tbDpT10_ENKUlT_T0_E_clISt17integral_constantIbLb1EES1A_EEDaS15_S16_EUlS15_E_NS1_11comp_targetILNS1_3genE10ELNS1_11target_archE1200ELNS1_3gpuE4ELNS1_3repE0EEENS1_30default_config_static_selectorELNS0_4arch9wavefront6targetE1EEEvT1_
	.p2align	8
	.type	_ZN7rocprim17ROCPRIM_400000_NS6detail17trampoline_kernelINS0_14default_configENS1_25partition_config_selectorILNS1_17partition_subalgoE3EiNS0_10empty_typeEbEEZZNS1_14partition_implILS5_3ELb0ES3_jN6thrust23THRUST_200600_302600_NS6detail15normal_iteratorINSA_7pointerIiNSA_11hip_rocprim3tagENSA_11use_defaultESG_EEEEPS6_SJ_NS0_5tupleIJPiSJ_EEENSK_IJSJ_SJ_EEES6_PlJ7is_evenIiEEEE10hipError_tPvRmT3_T4_T5_T6_T7_T9_mT8_P12ihipStream_tbDpT10_ENKUlT_T0_E_clISt17integral_constantIbLb1EES1A_EEDaS15_S16_EUlS15_E_NS1_11comp_targetILNS1_3genE10ELNS1_11target_archE1200ELNS1_3gpuE4ELNS1_3repE0EEENS1_30default_config_static_selectorELNS0_4arch9wavefront6targetE1EEEvT1_,@function
_ZN7rocprim17ROCPRIM_400000_NS6detail17trampoline_kernelINS0_14default_configENS1_25partition_config_selectorILNS1_17partition_subalgoE3EiNS0_10empty_typeEbEEZZNS1_14partition_implILS5_3ELb0ES3_jN6thrust23THRUST_200600_302600_NS6detail15normal_iteratorINSA_7pointerIiNSA_11hip_rocprim3tagENSA_11use_defaultESG_EEEEPS6_SJ_NS0_5tupleIJPiSJ_EEENSK_IJSJ_SJ_EEES6_PlJ7is_evenIiEEEE10hipError_tPvRmT3_T4_T5_T6_T7_T9_mT8_P12ihipStream_tbDpT10_ENKUlT_T0_E_clISt17integral_constantIbLb1EES1A_EEDaS15_S16_EUlS15_E_NS1_11comp_targetILNS1_3genE10ELNS1_11target_archE1200ELNS1_3gpuE4ELNS1_3repE0EEENS1_30default_config_static_selectorELNS0_4arch9wavefront6targetE1EEEvT1_: ; @_ZN7rocprim17ROCPRIM_400000_NS6detail17trampoline_kernelINS0_14default_configENS1_25partition_config_selectorILNS1_17partition_subalgoE3EiNS0_10empty_typeEbEEZZNS1_14partition_implILS5_3ELb0ES3_jN6thrust23THRUST_200600_302600_NS6detail15normal_iteratorINSA_7pointerIiNSA_11hip_rocprim3tagENSA_11use_defaultESG_EEEEPS6_SJ_NS0_5tupleIJPiSJ_EEENSK_IJSJ_SJ_EEES6_PlJ7is_evenIiEEEE10hipError_tPvRmT3_T4_T5_T6_T7_T9_mT8_P12ihipStream_tbDpT10_ENKUlT_T0_E_clISt17integral_constantIbLb1EES1A_EEDaS15_S16_EUlS15_E_NS1_11comp_targetILNS1_3genE10ELNS1_11target_archE1200ELNS1_3gpuE4ELNS1_3repE0EEENS1_30default_config_static_selectorELNS0_4arch9wavefront6targetE1EEEvT1_
; %bb.0:
	.section	.rodata,"a",@progbits
	.p2align	6, 0x0
	.amdhsa_kernel _ZN7rocprim17ROCPRIM_400000_NS6detail17trampoline_kernelINS0_14default_configENS1_25partition_config_selectorILNS1_17partition_subalgoE3EiNS0_10empty_typeEbEEZZNS1_14partition_implILS5_3ELb0ES3_jN6thrust23THRUST_200600_302600_NS6detail15normal_iteratorINSA_7pointerIiNSA_11hip_rocprim3tagENSA_11use_defaultESG_EEEEPS6_SJ_NS0_5tupleIJPiSJ_EEENSK_IJSJ_SJ_EEES6_PlJ7is_evenIiEEEE10hipError_tPvRmT3_T4_T5_T6_T7_T9_mT8_P12ihipStream_tbDpT10_ENKUlT_T0_E_clISt17integral_constantIbLb1EES1A_EEDaS15_S16_EUlS15_E_NS1_11comp_targetILNS1_3genE10ELNS1_11target_archE1200ELNS1_3gpuE4ELNS1_3repE0EEENS1_30default_config_static_selectorELNS0_4arch9wavefront6targetE1EEEvT1_
		.amdhsa_group_segment_fixed_size 0
		.amdhsa_private_segment_fixed_size 0
		.amdhsa_kernarg_size 136
		.amdhsa_user_sgpr_count 6
		.amdhsa_user_sgpr_private_segment_buffer 1
		.amdhsa_user_sgpr_dispatch_ptr 0
		.amdhsa_user_sgpr_queue_ptr 0
		.amdhsa_user_sgpr_kernarg_segment_ptr 1
		.amdhsa_user_sgpr_dispatch_id 0
		.amdhsa_user_sgpr_flat_scratch_init 0
		.amdhsa_user_sgpr_kernarg_preload_length 0
		.amdhsa_user_sgpr_kernarg_preload_offset 0
		.amdhsa_user_sgpr_private_segment_size 0
		.amdhsa_uses_dynamic_stack 0
		.amdhsa_system_sgpr_private_segment_wavefront_offset 0
		.amdhsa_system_sgpr_workgroup_id_x 1
		.amdhsa_system_sgpr_workgroup_id_y 0
		.amdhsa_system_sgpr_workgroup_id_z 0
		.amdhsa_system_sgpr_workgroup_info 0
		.amdhsa_system_vgpr_workitem_id 0
		.amdhsa_next_free_vgpr 1
		.amdhsa_next_free_sgpr 0
		.amdhsa_accum_offset 4
		.amdhsa_reserve_vcc 0
		.amdhsa_reserve_flat_scratch 0
		.amdhsa_float_round_mode_32 0
		.amdhsa_float_round_mode_16_64 0
		.amdhsa_float_denorm_mode_32 3
		.amdhsa_float_denorm_mode_16_64 3
		.amdhsa_dx10_clamp 1
		.amdhsa_ieee_mode 1
		.amdhsa_fp16_overflow 0
		.amdhsa_tg_split 0
		.amdhsa_exception_fp_ieee_invalid_op 0
		.amdhsa_exception_fp_denorm_src 0
		.amdhsa_exception_fp_ieee_div_zero 0
		.amdhsa_exception_fp_ieee_overflow 0
		.amdhsa_exception_fp_ieee_underflow 0
		.amdhsa_exception_fp_ieee_inexact 0
		.amdhsa_exception_int_div_zero 0
	.end_amdhsa_kernel
	.section	.text._ZN7rocprim17ROCPRIM_400000_NS6detail17trampoline_kernelINS0_14default_configENS1_25partition_config_selectorILNS1_17partition_subalgoE3EiNS0_10empty_typeEbEEZZNS1_14partition_implILS5_3ELb0ES3_jN6thrust23THRUST_200600_302600_NS6detail15normal_iteratorINSA_7pointerIiNSA_11hip_rocprim3tagENSA_11use_defaultESG_EEEEPS6_SJ_NS0_5tupleIJPiSJ_EEENSK_IJSJ_SJ_EEES6_PlJ7is_evenIiEEEE10hipError_tPvRmT3_T4_T5_T6_T7_T9_mT8_P12ihipStream_tbDpT10_ENKUlT_T0_E_clISt17integral_constantIbLb1EES1A_EEDaS15_S16_EUlS15_E_NS1_11comp_targetILNS1_3genE10ELNS1_11target_archE1200ELNS1_3gpuE4ELNS1_3repE0EEENS1_30default_config_static_selectorELNS0_4arch9wavefront6targetE1EEEvT1_,"axG",@progbits,_ZN7rocprim17ROCPRIM_400000_NS6detail17trampoline_kernelINS0_14default_configENS1_25partition_config_selectorILNS1_17partition_subalgoE3EiNS0_10empty_typeEbEEZZNS1_14partition_implILS5_3ELb0ES3_jN6thrust23THRUST_200600_302600_NS6detail15normal_iteratorINSA_7pointerIiNSA_11hip_rocprim3tagENSA_11use_defaultESG_EEEEPS6_SJ_NS0_5tupleIJPiSJ_EEENSK_IJSJ_SJ_EEES6_PlJ7is_evenIiEEEE10hipError_tPvRmT3_T4_T5_T6_T7_T9_mT8_P12ihipStream_tbDpT10_ENKUlT_T0_E_clISt17integral_constantIbLb1EES1A_EEDaS15_S16_EUlS15_E_NS1_11comp_targetILNS1_3genE10ELNS1_11target_archE1200ELNS1_3gpuE4ELNS1_3repE0EEENS1_30default_config_static_selectorELNS0_4arch9wavefront6targetE1EEEvT1_,comdat
.Lfunc_end101:
	.size	_ZN7rocprim17ROCPRIM_400000_NS6detail17trampoline_kernelINS0_14default_configENS1_25partition_config_selectorILNS1_17partition_subalgoE3EiNS0_10empty_typeEbEEZZNS1_14partition_implILS5_3ELb0ES3_jN6thrust23THRUST_200600_302600_NS6detail15normal_iteratorINSA_7pointerIiNSA_11hip_rocprim3tagENSA_11use_defaultESG_EEEEPS6_SJ_NS0_5tupleIJPiSJ_EEENSK_IJSJ_SJ_EEES6_PlJ7is_evenIiEEEE10hipError_tPvRmT3_T4_T5_T6_T7_T9_mT8_P12ihipStream_tbDpT10_ENKUlT_T0_E_clISt17integral_constantIbLb1EES1A_EEDaS15_S16_EUlS15_E_NS1_11comp_targetILNS1_3genE10ELNS1_11target_archE1200ELNS1_3gpuE4ELNS1_3repE0EEENS1_30default_config_static_selectorELNS0_4arch9wavefront6targetE1EEEvT1_, .Lfunc_end101-_ZN7rocprim17ROCPRIM_400000_NS6detail17trampoline_kernelINS0_14default_configENS1_25partition_config_selectorILNS1_17partition_subalgoE3EiNS0_10empty_typeEbEEZZNS1_14partition_implILS5_3ELb0ES3_jN6thrust23THRUST_200600_302600_NS6detail15normal_iteratorINSA_7pointerIiNSA_11hip_rocprim3tagENSA_11use_defaultESG_EEEEPS6_SJ_NS0_5tupleIJPiSJ_EEENSK_IJSJ_SJ_EEES6_PlJ7is_evenIiEEEE10hipError_tPvRmT3_T4_T5_T6_T7_T9_mT8_P12ihipStream_tbDpT10_ENKUlT_T0_E_clISt17integral_constantIbLb1EES1A_EEDaS15_S16_EUlS15_E_NS1_11comp_targetILNS1_3genE10ELNS1_11target_archE1200ELNS1_3gpuE4ELNS1_3repE0EEENS1_30default_config_static_selectorELNS0_4arch9wavefront6targetE1EEEvT1_
                                        ; -- End function
	.section	.AMDGPU.csdata,"",@progbits
; Kernel info:
; codeLenInByte = 0
; NumSgprs: 4
; NumVgprs: 0
; NumAgprs: 0
; TotalNumVgprs: 0
; ScratchSize: 0
; MemoryBound: 0
; FloatMode: 240
; IeeeMode: 1
; LDSByteSize: 0 bytes/workgroup (compile time only)
; SGPRBlocks: 0
; VGPRBlocks: 0
; NumSGPRsForWavesPerEU: 4
; NumVGPRsForWavesPerEU: 1
; AccumOffset: 4
; Occupancy: 8
; WaveLimiterHint : 0
; COMPUTE_PGM_RSRC2:SCRATCH_EN: 0
; COMPUTE_PGM_RSRC2:USER_SGPR: 6
; COMPUTE_PGM_RSRC2:TRAP_HANDLER: 0
; COMPUTE_PGM_RSRC2:TGID_X_EN: 1
; COMPUTE_PGM_RSRC2:TGID_Y_EN: 0
; COMPUTE_PGM_RSRC2:TGID_Z_EN: 0
; COMPUTE_PGM_RSRC2:TIDIG_COMP_CNT: 0
; COMPUTE_PGM_RSRC3_GFX90A:ACCUM_OFFSET: 0
; COMPUTE_PGM_RSRC3_GFX90A:TG_SPLIT: 0
	.section	.text._ZN7rocprim17ROCPRIM_400000_NS6detail17trampoline_kernelINS0_14default_configENS1_25partition_config_selectorILNS1_17partition_subalgoE3EiNS0_10empty_typeEbEEZZNS1_14partition_implILS5_3ELb0ES3_jN6thrust23THRUST_200600_302600_NS6detail15normal_iteratorINSA_7pointerIiNSA_11hip_rocprim3tagENSA_11use_defaultESG_EEEEPS6_SJ_NS0_5tupleIJPiSJ_EEENSK_IJSJ_SJ_EEES6_PlJ7is_evenIiEEEE10hipError_tPvRmT3_T4_T5_T6_T7_T9_mT8_P12ihipStream_tbDpT10_ENKUlT_T0_E_clISt17integral_constantIbLb1EES1A_EEDaS15_S16_EUlS15_E_NS1_11comp_targetILNS1_3genE9ELNS1_11target_archE1100ELNS1_3gpuE3ELNS1_3repE0EEENS1_30default_config_static_selectorELNS0_4arch9wavefront6targetE1EEEvT1_,"axG",@progbits,_ZN7rocprim17ROCPRIM_400000_NS6detail17trampoline_kernelINS0_14default_configENS1_25partition_config_selectorILNS1_17partition_subalgoE3EiNS0_10empty_typeEbEEZZNS1_14partition_implILS5_3ELb0ES3_jN6thrust23THRUST_200600_302600_NS6detail15normal_iteratorINSA_7pointerIiNSA_11hip_rocprim3tagENSA_11use_defaultESG_EEEEPS6_SJ_NS0_5tupleIJPiSJ_EEENSK_IJSJ_SJ_EEES6_PlJ7is_evenIiEEEE10hipError_tPvRmT3_T4_T5_T6_T7_T9_mT8_P12ihipStream_tbDpT10_ENKUlT_T0_E_clISt17integral_constantIbLb1EES1A_EEDaS15_S16_EUlS15_E_NS1_11comp_targetILNS1_3genE9ELNS1_11target_archE1100ELNS1_3gpuE3ELNS1_3repE0EEENS1_30default_config_static_selectorELNS0_4arch9wavefront6targetE1EEEvT1_,comdat
	.protected	_ZN7rocprim17ROCPRIM_400000_NS6detail17trampoline_kernelINS0_14default_configENS1_25partition_config_selectorILNS1_17partition_subalgoE3EiNS0_10empty_typeEbEEZZNS1_14partition_implILS5_3ELb0ES3_jN6thrust23THRUST_200600_302600_NS6detail15normal_iteratorINSA_7pointerIiNSA_11hip_rocprim3tagENSA_11use_defaultESG_EEEEPS6_SJ_NS0_5tupleIJPiSJ_EEENSK_IJSJ_SJ_EEES6_PlJ7is_evenIiEEEE10hipError_tPvRmT3_T4_T5_T6_T7_T9_mT8_P12ihipStream_tbDpT10_ENKUlT_T0_E_clISt17integral_constantIbLb1EES1A_EEDaS15_S16_EUlS15_E_NS1_11comp_targetILNS1_3genE9ELNS1_11target_archE1100ELNS1_3gpuE3ELNS1_3repE0EEENS1_30default_config_static_selectorELNS0_4arch9wavefront6targetE1EEEvT1_ ; -- Begin function _ZN7rocprim17ROCPRIM_400000_NS6detail17trampoline_kernelINS0_14default_configENS1_25partition_config_selectorILNS1_17partition_subalgoE3EiNS0_10empty_typeEbEEZZNS1_14partition_implILS5_3ELb0ES3_jN6thrust23THRUST_200600_302600_NS6detail15normal_iteratorINSA_7pointerIiNSA_11hip_rocprim3tagENSA_11use_defaultESG_EEEEPS6_SJ_NS0_5tupleIJPiSJ_EEENSK_IJSJ_SJ_EEES6_PlJ7is_evenIiEEEE10hipError_tPvRmT3_T4_T5_T6_T7_T9_mT8_P12ihipStream_tbDpT10_ENKUlT_T0_E_clISt17integral_constantIbLb1EES1A_EEDaS15_S16_EUlS15_E_NS1_11comp_targetILNS1_3genE9ELNS1_11target_archE1100ELNS1_3gpuE3ELNS1_3repE0EEENS1_30default_config_static_selectorELNS0_4arch9wavefront6targetE1EEEvT1_
	.globl	_ZN7rocprim17ROCPRIM_400000_NS6detail17trampoline_kernelINS0_14default_configENS1_25partition_config_selectorILNS1_17partition_subalgoE3EiNS0_10empty_typeEbEEZZNS1_14partition_implILS5_3ELb0ES3_jN6thrust23THRUST_200600_302600_NS6detail15normal_iteratorINSA_7pointerIiNSA_11hip_rocprim3tagENSA_11use_defaultESG_EEEEPS6_SJ_NS0_5tupleIJPiSJ_EEENSK_IJSJ_SJ_EEES6_PlJ7is_evenIiEEEE10hipError_tPvRmT3_T4_T5_T6_T7_T9_mT8_P12ihipStream_tbDpT10_ENKUlT_T0_E_clISt17integral_constantIbLb1EES1A_EEDaS15_S16_EUlS15_E_NS1_11comp_targetILNS1_3genE9ELNS1_11target_archE1100ELNS1_3gpuE3ELNS1_3repE0EEENS1_30default_config_static_selectorELNS0_4arch9wavefront6targetE1EEEvT1_
	.p2align	8
	.type	_ZN7rocprim17ROCPRIM_400000_NS6detail17trampoline_kernelINS0_14default_configENS1_25partition_config_selectorILNS1_17partition_subalgoE3EiNS0_10empty_typeEbEEZZNS1_14partition_implILS5_3ELb0ES3_jN6thrust23THRUST_200600_302600_NS6detail15normal_iteratorINSA_7pointerIiNSA_11hip_rocprim3tagENSA_11use_defaultESG_EEEEPS6_SJ_NS0_5tupleIJPiSJ_EEENSK_IJSJ_SJ_EEES6_PlJ7is_evenIiEEEE10hipError_tPvRmT3_T4_T5_T6_T7_T9_mT8_P12ihipStream_tbDpT10_ENKUlT_T0_E_clISt17integral_constantIbLb1EES1A_EEDaS15_S16_EUlS15_E_NS1_11comp_targetILNS1_3genE9ELNS1_11target_archE1100ELNS1_3gpuE3ELNS1_3repE0EEENS1_30default_config_static_selectorELNS0_4arch9wavefront6targetE1EEEvT1_,@function
_ZN7rocprim17ROCPRIM_400000_NS6detail17trampoline_kernelINS0_14default_configENS1_25partition_config_selectorILNS1_17partition_subalgoE3EiNS0_10empty_typeEbEEZZNS1_14partition_implILS5_3ELb0ES3_jN6thrust23THRUST_200600_302600_NS6detail15normal_iteratorINSA_7pointerIiNSA_11hip_rocprim3tagENSA_11use_defaultESG_EEEEPS6_SJ_NS0_5tupleIJPiSJ_EEENSK_IJSJ_SJ_EEES6_PlJ7is_evenIiEEEE10hipError_tPvRmT3_T4_T5_T6_T7_T9_mT8_P12ihipStream_tbDpT10_ENKUlT_T0_E_clISt17integral_constantIbLb1EES1A_EEDaS15_S16_EUlS15_E_NS1_11comp_targetILNS1_3genE9ELNS1_11target_archE1100ELNS1_3gpuE3ELNS1_3repE0EEENS1_30default_config_static_selectorELNS0_4arch9wavefront6targetE1EEEvT1_: ; @_ZN7rocprim17ROCPRIM_400000_NS6detail17trampoline_kernelINS0_14default_configENS1_25partition_config_selectorILNS1_17partition_subalgoE3EiNS0_10empty_typeEbEEZZNS1_14partition_implILS5_3ELb0ES3_jN6thrust23THRUST_200600_302600_NS6detail15normal_iteratorINSA_7pointerIiNSA_11hip_rocprim3tagENSA_11use_defaultESG_EEEEPS6_SJ_NS0_5tupleIJPiSJ_EEENSK_IJSJ_SJ_EEES6_PlJ7is_evenIiEEEE10hipError_tPvRmT3_T4_T5_T6_T7_T9_mT8_P12ihipStream_tbDpT10_ENKUlT_T0_E_clISt17integral_constantIbLb1EES1A_EEDaS15_S16_EUlS15_E_NS1_11comp_targetILNS1_3genE9ELNS1_11target_archE1100ELNS1_3gpuE3ELNS1_3repE0EEENS1_30default_config_static_selectorELNS0_4arch9wavefront6targetE1EEEvT1_
; %bb.0:
	.section	.rodata,"a",@progbits
	.p2align	6, 0x0
	.amdhsa_kernel _ZN7rocprim17ROCPRIM_400000_NS6detail17trampoline_kernelINS0_14default_configENS1_25partition_config_selectorILNS1_17partition_subalgoE3EiNS0_10empty_typeEbEEZZNS1_14partition_implILS5_3ELb0ES3_jN6thrust23THRUST_200600_302600_NS6detail15normal_iteratorINSA_7pointerIiNSA_11hip_rocprim3tagENSA_11use_defaultESG_EEEEPS6_SJ_NS0_5tupleIJPiSJ_EEENSK_IJSJ_SJ_EEES6_PlJ7is_evenIiEEEE10hipError_tPvRmT3_T4_T5_T6_T7_T9_mT8_P12ihipStream_tbDpT10_ENKUlT_T0_E_clISt17integral_constantIbLb1EES1A_EEDaS15_S16_EUlS15_E_NS1_11comp_targetILNS1_3genE9ELNS1_11target_archE1100ELNS1_3gpuE3ELNS1_3repE0EEENS1_30default_config_static_selectorELNS0_4arch9wavefront6targetE1EEEvT1_
		.amdhsa_group_segment_fixed_size 0
		.amdhsa_private_segment_fixed_size 0
		.amdhsa_kernarg_size 136
		.amdhsa_user_sgpr_count 6
		.amdhsa_user_sgpr_private_segment_buffer 1
		.amdhsa_user_sgpr_dispatch_ptr 0
		.amdhsa_user_sgpr_queue_ptr 0
		.amdhsa_user_sgpr_kernarg_segment_ptr 1
		.amdhsa_user_sgpr_dispatch_id 0
		.amdhsa_user_sgpr_flat_scratch_init 0
		.amdhsa_user_sgpr_kernarg_preload_length 0
		.amdhsa_user_sgpr_kernarg_preload_offset 0
		.amdhsa_user_sgpr_private_segment_size 0
		.amdhsa_uses_dynamic_stack 0
		.amdhsa_system_sgpr_private_segment_wavefront_offset 0
		.amdhsa_system_sgpr_workgroup_id_x 1
		.amdhsa_system_sgpr_workgroup_id_y 0
		.amdhsa_system_sgpr_workgroup_id_z 0
		.amdhsa_system_sgpr_workgroup_info 0
		.amdhsa_system_vgpr_workitem_id 0
		.amdhsa_next_free_vgpr 1
		.amdhsa_next_free_sgpr 0
		.amdhsa_accum_offset 4
		.amdhsa_reserve_vcc 0
		.amdhsa_reserve_flat_scratch 0
		.amdhsa_float_round_mode_32 0
		.amdhsa_float_round_mode_16_64 0
		.amdhsa_float_denorm_mode_32 3
		.amdhsa_float_denorm_mode_16_64 3
		.amdhsa_dx10_clamp 1
		.amdhsa_ieee_mode 1
		.amdhsa_fp16_overflow 0
		.amdhsa_tg_split 0
		.amdhsa_exception_fp_ieee_invalid_op 0
		.amdhsa_exception_fp_denorm_src 0
		.amdhsa_exception_fp_ieee_div_zero 0
		.amdhsa_exception_fp_ieee_overflow 0
		.amdhsa_exception_fp_ieee_underflow 0
		.amdhsa_exception_fp_ieee_inexact 0
		.amdhsa_exception_int_div_zero 0
	.end_amdhsa_kernel
	.section	.text._ZN7rocprim17ROCPRIM_400000_NS6detail17trampoline_kernelINS0_14default_configENS1_25partition_config_selectorILNS1_17partition_subalgoE3EiNS0_10empty_typeEbEEZZNS1_14partition_implILS5_3ELb0ES3_jN6thrust23THRUST_200600_302600_NS6detail15normal_iteratorINSA_7pointerIiNSA_11hip_rocprim3tagENSA_11use_defaultESG_EEEEPS6_SJ_NS0_5tupleIJPiSJ_EEENSK_IJSJ_SJ_EEES6_PlJ7is_evenIiEEEE10hipError_tPvRmT3_T4_T5_T6_T7_T9_mT8_P12ihipStream_tbDpT10_ENKUlT_T0_E_clISt17integral_constantIbLb1EES1A_EEDaS15_S16_EUlS15_E_NS1_11comp_targetILNS1_3genE9ELNS1_11target_archE1100ELNS1_3gpuE3ELNS1_3repE0EEENS1_30default_config_static_selectorELNS0_4arch9wavefront6targetE1EEEvT1_,"axG",@progbits,_ZN7rocprim17ROCPRIM_400000_NS6detail17trampoline_kernelINS0_14default_configENS1_25partition_config_selectorILNS1_17partition_subalgoE3EiNS0_10empty_typeEbEEZZNS1_14partition_implILS5_3ELb0ES3_jN6thrust23THRUST_200600_302600_NS6detail15normal_iteratorINSA_7pointerIiNSA_11hip_rocprim3tagENSA_11use_defaultESG_EEEEPS6_SJ_NS0_5tupleIJPiSJ_EEENSK_IJSJ_SJ_EEES6_PlJ7is_evenIiEEEE10hipError_tPvRmT3_T4_T5_T6_T7_T9_mT8_P12ihipStream_tbDpT10_ENKUlT_T0_E_clISt17integral_constantIbLb1EES1A_EEDaS15_S16_EUlS15_E_NS1_11comp_targetILNS1_3genE9ELNS1_11target_archE1100ELNS1_3gpuE3ELNS1_3repE0EEENS1_30default_config_static_selectorELNS0_4arch9wavefront6targetE1EEEvT1_,comdat
.Lfunc_end102:
	.size	_ZN7rocprim17ROCPRIM_400000_NS6detail17trampoline_kernelINS0_14default_configENS1_25partition_config_selectorILNS1_17partition_subalgoE3EiNS0_10empty_typeEbEEZZNS1_14partition_implILS5_3ELb0ES3_jN6thrust23THRUST_200600_302600_NS6detail15normal_iteratorINSA_7pointerIiNSA_11hip_rocprim3tagENSA_11use_defaultESG_EEEEPS6_SJ_NS0_5tupleIJPiSJ_EEENSK_IJSJ_SJ_EEES6_PlJ7is_evenIiEEEE10hipError_tPvRmT3_T4_T5_T6_T7_T9_mT8_P12ihipStream_tbDpT10_ENKUlT_T0_E_clISt17integral_constantIbLb1EES1A_EEDaS15_S16_EUlS15_E_NS1_11comp_targetILNS1_3genE9ELNS1_11target_archE1100ELNS1_3gpuE3ELNS1_3repE0EEENS1_30default_config_static_selectorELNS0_4arch9wavefront6targetE1EEEvT1_, .Lfunc_end102-_ZN7rocprim17ROCPRIM_400000_NS6detail17trampoline_kernelINS0_14default_configENS1_25partition_config_selectorILNS1_17partition_subalgoE3EiNS0_10empty_typeEbEEZZNS1_14partition_implILS5_3ELb0ES3_jN6thrust23THRUST_200600_302600_NS6detail15normal_iteratorINSA_7pointerIiNSA_11hip_rocprim3tagENSA_11use_defaultESG_EEEEPS6_SJ_NS0_5tupleIJPiSJ_EEENSK_IJSJ_SJ_EEES6_PlJ7is_evenIiEEEE10hipError_tPvRmT3_T4_T5_T6_T7_T9_mT8_P12ihipStream_tbDpT10_ENKUlT_T0_E_clISt17integral_constantIbLb1EES1A_EEDaS15_S16_EUlS15_E_NS1_11comp_targetILNS1_3genE9ELNS1_11target_archE1100ELNS1_3gpuE3ELNS1_3repE0EEENS1_30default_config_static_selectorELNS0_4arch9wavefront6targetE1EEEvT1_
                                        ; -- End function
	.section	.AMDGPU.csdata,"",@progbits
; Kernel info:
; codeLenInByte = 0
; NumSgprs: 4
; NumVgprs: 0
; NumAgprs: 0
; TotalNumVgprs: 0
; ScratchSize: 0
; MemoryBound: 0
; FloatMode: 240
; IeeeMode: 1
; LDSByteSize: 0 bytes/workgroup (compile time only)
; SGPRBlocks: 0
; VGPRBlocks: 0
; NumSGPRsForWavesPerEU: 4
; NumVGPRsForWavesPerEU: 1
; AccumOffset: 4
; Occupancy: 8
; WaveLimiterHint : 0
; COMPUTE_PGM_RSRC2:SCRATCH_EN: 0
; COMPUTE_PGM_RSRC2:USER_SGPR: 6
; COMPUTE_PGM_RSRC2:TRAP_HANDLER: 0
; COMPUTE_PGM_RSRC2:TGID_X_EN: 1
; COMPUTE_PGM_RSRC2:TGID_Y_EN: 0
; COMPUTE_PGM_RSRC2:TGID_Z_EN: 0
; COMPUTE_PGM_RSRC2:TIDIG_COMP_CNT: 0
; COMPUTE_PGM_RSRC3_GFX90A:ACCUM_OFFSET: 0
; COMPUTE_PGM_RSRC3_GFX90A:TG_SPLIT: 0
	.section	.text._ZN7rocprim17ROCPRIM_400000_NS6detail17trampoline_kernelINS0_14default_configENS1_25partition_config_selectorILNS1_17partition_subalgoE3EiNS0_10empty_typeEbEEZZNS1_14partition_implILS5_3ELb0ES3_jN6thrust23THRUST_200600_302600_NS6detail15normal_iteratorINSA_7pointerIiNSA_11hip_rocprim3tagENSA_11use_defaultESG_EEEEPS6_SJ_NS0_5tupleIJPiSJ_EEENSK_IJSJ_SJ_EEES6_PlJ7is_evenIiEEEE10hipError_tPvRmT3_T4_T5_T6_T7_T9_mT8_P12ihipStream_tbDpT10_ENKUlT_T0_E_clISt17integral_constantIbLb1EES1A_EEDaS15_S16_EUlS15_E_NS1_11comp_targetILNS1_3genE8ELNS1_11target_archE1030ELNS1_3gpuE2ELNS1_3repE0EEENS1_30default_config_static_selectorELNS0_4arch9wavefront6targetE1EEEvT1_,"axG",@progbits,_ZN7rocprim17ROCPRIM_400000_NS6detail17trampoline_kernelINS0_14default_configENS1_25partition_config_selectorILNS1_17partition_subalgoE3EiNS0_10empty_typeEbEEZZNS1_14partition_implILS5_3ELb0ES3_jN6thrust23THRUST_200600_302600_NS6detail15normal_iteratorINSA_7pointerIiNSA_11hip_rocprim3tagENSA_11use_defaultESG_EEEEPS6_SJ_NS0_5tupleIJPiSJ_EEENSK_IJSJ_SJ_EEES6_PlJ7is_evenIiEEEE10hipError_tPvRmT3_T4_T5_T6_T7_T9_mT8_P12ihipStream_tbDpT10_ENKUlT_T0_E_clISt17integral_constantIbLb1EES1A_EEDaS15_S16_EUlS15_E_NS1_11comp_targetILNS1_3genE8ELNS1_11target_archE1030ELNS1_3gpuE2ELNS1_3repE0EEENS1_30default_config_static_selectorELNS0_4arch9wavefront6targetE1EEEvT1_,comdat
	.protected	_ZN7rocprim17ROCPRIM_400000_NS6detail17trampoline_kernelINS0_14default_configENS1_25partition_config_selectorILNS1_17partition_subalgoE3EiNS0_10empty_typeEbEEZZNS1_14partition_implILS5_3ELb0ES3_jN6thrust23THRUST_200600_302600_NS6detail15normal_iteratorINSA_7pointerIiNSA_11hip_rocprim3tagENSA_11use_defaultESG_EEEEPS6_SJ_NS0_5tupleIJPiSJ_EEENSK_IJSJ_SJ_EEES6_PlJ7is_evenIiEEEE10hipError_tPvRmT3_T4_T5_T6_T7_T9_mT8_P12ihipStream_tbDpT10_ENKUlT_T0_E_clISt17integral_constantIbLb1EES1A_EEDaS15_S16_EUlS15_E_NS1_11comp_targetILNS1_3genE8ELNS1_11target_archE1030ELNS1_3gpuE2ELNS1_3repE0EEENS1_30default_config_static_selectorELNS0_4arch9wavefront6targetE1EEEvT1_ ; -- Begin function _ZN7rocprim17ROCPRIM_400000_NS6detail17trampoline_kernelINS0_14default_configENS1_25partition_config_selectorILNS1_17partition_subalgoE3EiNS0_10empty_typeEbEEZZNS1_14partition_implILS5_3ELb0ES3_jN6thrust23THRUST_200600_302600_NS6detail15normal_iteratorINSA_7pointerIiNSA_11hip_rocprim3tagENSA_11use_defaultESG_EEEEPS6_SJ_NS0_5tupleIJPiSJ_EEENSK_IJSJ_SJ_EEES6_PlJ7is_evenIiEEEE10hipError_tPvRmT3_T4_T5_T6_T7_T9_mT8_P12ihipStream_tbDpT10_ENKUlT_T0_E_clISt17integral_constantIbLb1EES1A_EEDaS15_S16_EUlS15_E_NS1_11comp_targetILNS1_3genE8ELNS1_11target_archE1030ELNS1_3gpuE2ELNS1_3repE0EEENS1_30default_config_static_selectorELNS0_4arch9wavefront6targetE1EEEvT1_
	.globl	_ZN7rocprim17ROCPRIM_400000_NS6detail17trampoline_kernelINS0_14default_configENS1_25partition_config_selectorILNS1_17partition_subalgoE3EiNS0_10empty_typeEbEEZZNS1_14partition_implILS5_3ELb0ES3_jN6thrust23THRUST_200600_302600_NS6detail15normal_iteratorINSA_7pointerIiNSA_11hip_rocprim3tagENSA_11use_defaultESG_EEEEPS6_SJ_NS0_5tupleIJPiSJ_EEENSK_IJSJ_SJ_EEES6_PlJ7is_evenIiEEEE10hipError_tPvRmT3_T4_T5_T6_T7_T9_mT8_P12ihipStream_tbDpT10_ENKUlT_T0_E_clISt17integral_constantIbLb1EES1A_EEDaS15_S16_EUlS15_E_NS1_11comp_targetILNS1_3genE8ELNS1_11target_archE1030ELNS1_3gpuE2ELNS1_3repE0EEENS1_30default_config_static_selectorELNS0_4arch9wavefront6targetE1EEEvT1_
	.p2align	8
	.type	_ZN7rocprim17ROCPRIM_400000_NS6detail17trampoline_kernelINS0_14default_configENS1_25partition_config_selectorILNS1_17partition_subalgoE3EiNS0_10empty_typeEbEEZZNS1_14partition_implILS5_3ELb0ES3_jN6thrust23THRUST_200600_302600_NS6detail15normal_iteratorINSA_7pointerIiNSA_11hip_rocprim3tagENSA_11use_defaultESG_EEEEPS6_SJ_NS0_5tupleIJPiSJ_EEENSK_IJSJ_SJ_EEES6_PlJ7is_evenIiEEEE10hipError_tPvRmT3_T4_T5_T6_T7_T9_mT8_P12ihipStream_tbDpT10_ENKUlT_T0_E_clISt17integral_constantIbLb1EES1A_EEDaS15_S16_EUlS15_E_NS1_11comp_targetILNS1_3genE8ELNS1_11target_archE1030ELNS1_3gpuE2ELNS1_3repE0EEENS1_30default_config_static_selectorELNS0_4arch9wavefront6targetE1EEEvT1_,@function
_ZN7rocprim17ROCPRIM_400000_NS6detail17trampoline_kernelINS0_14default_configENS1_25partition_config_selectorILNS1_17partition_subalgoE3EiNS0_10empty_typeEbEEZZNS1_14partition_implILS5_3ELb0ES3_jN6thrust23THRUST_200600_302600_NS6detail15normal_iteratorINSA_7pointerIiNSA_11hip_rocprim3tagENSA_11use_defaultESG_EEEEPS6_SJ_NS0_5tupleIJPiSJ_EEENSK_IJSJ_SJ_EEES6_PlJ7is_evenIiEEEE10hipError_tPvRmT3_T4_T5_T6_T7_T9_mT8_P12ihipStream_tbDpT10_ENKUlT_T0_E_clISt17integral_constantIbLb1EES1A_EEDaS15_S16_EUlS15_E_NS1_11comp_targetILNS1_3genE8ELNS1_11target_archE1030ELNS1_3gpuE2ELNS1_3repE0EEENS1_30default_config_static_selectorELNS0_4arch9wavefront6targetE1EEEvT1_: ; @_ZN7rocprim17ROCPRIM_400000_NS6detail17trampoline_kernelINS0_14default_configENS1_25partition_config_selectorILNS1_17partition_subalgoE3EiNS0_10empty_typeEbEEZZNS1_14partition_implILS5_3ELb0ES3_jN6thrust23THRUST_200600_302600_NS6detail15normal_iteratorINSA_7pointerIiNSA_11hip_rocprim3tagENSA_11use_defaultESG_EEEEPS6_SJ_NS0_5tupleIJPiSJ_EEENSK_IJSJ_SJ_EEES6_PlJ7is_evenIiEEEE10hipError_tPvRmT3_T4_T5_T6_T7_T9_mT8_P12ihipStream_tbDpT10_ENKUlT_T0_E_clISt17integral_constantIbLb1EES1A_EEDaS15_S16_EUlS15_E_NS1_11comp_targetILNS1_3genE8ELNS1_11target_archE1030ELNS1_3gpuE2ELNS1_3repE0EEENS1_30default_config_static_selectorELNS0_4arch9wavefront6targetE1EEEvT1_
; %bb.0:
	.section	.rodata,"a",@progbits
	.p2align	6, 0x0
	.amdhsa_kernel _ZN7rocprim17ROCPRIM_400000_NS6detail17trampoline_kernelINS0_14default_configENS1_25partition_config_selectorILNS1_17partition_subalgoE3EiNS0_10empty_typeEbEEZZNS1_14partition_implILS5_3ELb0ES3_jN6thrust23THRUST_200600_302600_NS6detail15normal_iteratorINSA_7pointerIiNSA_11hip_rocprim3tagENSA_11use_defaultESG_EEEEPS6_SJ_NS0_5tupleIJPiSJ_EEENSK_IJSJ_SJ_EEES6_PlJ7is_evenIiEEEE10hipError_tPvRmT3_T4_T5_T6_T7_T9_mT8_P12ihipStream_tbDpT10_ENKUlT_T0_E_clISt17integral_constantIbLb1EES1A_EEDaS15_S16_EUlS15_E_NS1_11comp_targetILNS1_3genE8ELNS1_11target_archE1030ELNS1_3gpuE2ELNS1_3repE0EEENS1_30default_config_static_selectorELNS0_4arch9wavefront6targetE1EEEvT1_
		.amdhsa_group_segment_fixed_size 0
		.amdhsa_private_segment_fixed_size 0
		.amdhsa_kernarg_size 136
		.amdhsa_user_sgpr_count 6
		.amdhsa_user_sgpr_private_segment_buffer 1
		.amdhsa_user_sgpr_dispatch_ptr 0
		.amdhsa_user_sgpr_queue_ptr 0
		.amdhsa_user_sgpr_kernarg_segment_ptr 1
		.amdhsa_user_sgpr_dispatch_id 0
		.amdhsa_user_sgpr_flat_scratch_init 0
		.amdhsa_user_sgpr_kernarg_preload_length 0
		.amdhsa_user_sgpr_kernarg_preload_offset 0
		.amdhsa_user_sgpr_private_segment_size 0
		.amdhsa_uses_dynamic_stack 0
		.amdhsa_system_sgpr_private_segment_wavefront_offset 0
		.amdhsa_system_sgpr_workgroup_id_x 1
		.amdhsa_system_sgpr_workgroup_id_y 0
		.amdhsa_system_sgpr_workgroup_id_z 0
		.amdhsa_system_sgpr_workgroup_info 0
		.amdhsa_system_vgpr_workitem_id 0
		.amdhsa_next_free_vgpr 1
		.amdhsa_next_free_sgpr 0
		.amdhsa_accum_offset 4
		.amdhsa_reserve_vcc 0
		.amdhsa_reserve_flat_scratch 0
		.amdhsa_float_round_mode_32 0
		.amdhsa_float_round_mode_16_64 0
		.amdhsa_float_denorm_mode_32 3
		.amdhsa_float_denorm_mode_16_64 3
		.amdhsa_dx10_clamp 1
		.amdhsa_ieee_mode 1
		.amdhsa_fp16_overflow 0
		.amdhsa_tg_split 0
		.amdhsa_exception_fp_ieee_invalid_op 0
		.amdhsa_exception_fp_denorm_src 0
		.amdhsa_exception_fp_ieee_div_zero 0
		.amdhsa_exception_fp_ieee_overflow 0
		.amdhsa_exception_fp_ieee_underflow 0
		.amdhsa_exception_fp_ieee_inexact 0
		.amdhsa_exception_int_div_zero 0
	.end_amdhsa_kernel
	.section	.text._ZN7rocprim17ROCPRIM_400000_NS6detail17trampoline_kernelINS0_14default_configENS1_25partition_config_selectorILNS1_17partition_subalgoE3EiNS0_10empty_typeEbEEZZNS1_14partition_implILS5_3ELb0ES3_jN6thrust23THRUST_200600_302600_NS6detail15normal_iteratorINSA_7pointerIiNSA_11hip_rocprim3tagENSA_11use_defaultESG_EEEEPS6_SJ_NS0_5tupleIJPiSJ_EEENSK_IJSJ_SJ_EEES6_PlJ7is_evenIiEEEE10hipError_tPvRmT3_T4_T5_T6_T7_T9_mT8_P12ihipStream_tbDpT10_ENKUlT_T0_E_clISt17integral_constantIbLb1EES1A_EEDaS15_S16_EUlS15_E_NS1_11comp_targetILNS1_3genE8ELNS1_11target_archE1030ELNS1_3gpuE2ELNS1_3repE0EEENS1_30default_config_static_selectorELNS0_4arch9wavefront6targetE1EEEvT1_,"axG",@progbits,_ZN7rocprim17ROCPRIM_400000_NS6detail17trampoline_kernelINS0_14default_configENS1_25partition_config_selectorILNS1_17partition_subalgoE3EiNS0_10empty_typeEbEEZZNS1_14partition_implILS5_3ELb0ES3_jN6thrust23THRUST_200600_302600_NS6detail15normal_iteratorINSA_7pointerIiNSA_11hip_rocprim3tagENSA_11use_defaultESG_EEEEPS6_SJ_NS0_5tupleIJPiSJ_EEENSK_IJSJ_SJ_EEES6_PlJ7is_evenIiEEEE10hipError_tPvRmT3_T4_T5_T6_T7_T9_mT8_P12ihipStream_tbDpT10_ENKUlT_T0_E_clISt17integral_constantIbLb1EES1A_EEDaS15_S16_EUlS15_E_NS1_11comp_targetILNS1_3genE8ELNS1_11target_archE1030ELNS1_3gpuE2ELNS1_3repE0EEENS1_30default_config_static_selectorELNS0_4arch9wavefront6targetE1EEEvT1_,comdat
.Lfunc_end103:
	.size	_ZN7rocprim17ROCPRIM_400000_NS6detail17trampoline_kernelINS0_14default_configENS1_25partition_config_selectorILNS1_17partition_subalgoE3EiNS0_10empty_typeEbEEZZNS1_14partition_implILS5_3ELb0ES3_jN6thrust23THRUST_200600_302600_NS6detail15normal_iteratorINSA_7pointerIiNSA_11hip_rocprim3tagENSA_11use_defaultESG_EEEEPS6_SJ_NS0_5tupleIJPiSJ_EEENSK_IJSJ_SJ_EEES6_PlJ7is_evenIiEEEE10hipError_tPvRmT3_T4_T5_T6_T7_T9_mT8_P12ihipStream_tbDpT10_ENKUlT_T0_E_clISt17integral_constantIbLb1EES1A_EEDaS15_S16_EUlS15_E_NS1_11comp_targetILNS1_3genE8ELNS1_11target_archE1030ELNS1_3gpuE2ELNS1_3repE0EEENS1_30default_config_static_selectorELNS0_4arch9wavefront6targetE1EEEvT1_, .Lfunc_end103-_ZN7rocprim17ROCPRIM_400000_NS6detail17trampoline_kernelINS0_14default_configENS1_25partition_config_selectorILNS1_17partition_subalgoE3EiNS0_10empty_typeEbEEZZNS1_14partition_implILS5_3ELb0ES3_jN6thrust23THRUST_200600_302600_NS6detail15normal_iteratorINSA_7pointerIiNSA_11hip_rocprim3tagENSA_11use_defaultESG_EEEEPS6_SJ_NS0_5tupleIJPiSJ_EEENSK_IJSJ_SJ_EEES6_PlJ7is_evenIiEEEE10hipError_tPvRmT3_T4_T5_T6_T7_T9_mT8_P12ihipStream_tbDpT10_ENKUlT_T0_E_clISt17integral_constantIbLb1EES1A_EEDaS15_S16_EUlS15_E_NS1_11comp_targetILNS1_3genE8ELNS1_11target_archE1030ELNS1_3gpuE2ELNS1_3repE0EEENS1_30default_config_static_selectorELNS0_4arch9wavefront6targetE1EEEvT1_
                                        ; -- End function
	.section	.AMDGPU.csdata,"",@progbits
; Kernel info:
; codeLenInByte = 0
; NumSgprs: 4
; NumVgprs: 0
; NumAgprs: 0
; TotalNumVgprs: 0
; ScratchSize: 0
; MemoryBound: 0
; FloatMode: 240
; IeeeMode: 1
; LDSByteSize: 0 bytes/workgroup (compile time only)
; SGPRBlocks: 0
; VGPRBlocks: 0
; NumSGPRsForWavesPerEU: 4
; NumVGPRsForWavesPerEU: 1
; AccumOffset: 4
; Occupancy: 8
; WaveLimiterHint : 0
; COMPUTE_PGM_RSRC2:SCRATCH_EN: 0
; COMPUTE_PGM_RSRC2:USER_SGPR: 6
; COMPUTE_PGM_RSRC2:TRAP_HANDLER: 0
; COMPUTE_PGM_RSRC2:TGID_X_EN: 1
; COMPUTE_PGM_RSRC2:TGID_Y_EN: 0
; COMPUTE_PGM_RSRC2:TGID_Z_EN: 0
; COMPUTE_PGM_RSRC2:TIDIG_COMP_CNT: 0
; COMPUTE_PGM_RSRC3_GFX90A:ACCUM_OFFSET: 0
; COMPUTE_PGM_RSRC3_GFX90A:TG_SPLIT: 0
	.section	.text._ZN7rocprim17ROCPRIM_400000_NS6detail17trampoline_kernelINS0_14default_configENS1_25partition_config_selectorILNS1_17partition_subalgoE3EiNS0_10empty_typeEbEEZZNS1_14partition_implILS5_3ELb0ES3_jN6thrust23THRUST_200600_302600_NS6detail15normal_iteratorINSA_7pointerIiNSA_11hip_rocprim3tagENSA_11use_defaultESG_EEEEPS6_SJ_NS0_5tupleIJPiSJ_EEENSK_IJSJ_SJ_EEES6_PlJ7is_evenIiEEEE10hipError_tPvRmT3_T4_T5_T6_T7_T9_mT8_P12ihipStream_tbDpT10_ENKUlT_T0_E_clISt17integral_constantIbLb1EES19_IbLb0EEEEDaS15_S16_EUlS15_E_NS1_11comp_targetILNS1_3genE0ELNS1_11target_archE4294967295ELNS1_3gpuE0ELNS1_3repE0EEENS1_30default_config_static_selectorELNS0_4arch9wavefront6targetE1EEEvT1_,"axG",@progbits,_ZN7rocprim17ROCPRIM_400000_NS6detail17trampoline_kernelINS0_14default_configENS1_25partition_config_selectorILNS1_17partition_subalgoE3EiNS0_10empty_typeEbEEZZNS1_14partition_implILS5_3ELb0ES3_jN6thrust23THRUST_200600_302600_NS6detail15normal_iteratorINSA_7pointerIiNSA_11hip_rocprim3tagENSA_11use_defaultESG_EEEEPS6_SJ_NS0_5tupleIJPiSJ_EEENSK_IJSJ_SJ_EEES6_PlJ7is_evenIiEEEE10hipError_tPvRmT3_T4_T5_T6_T7_T9_mT8_P12ihipStream_tbDpT10_ENKUlT_T0_E_clISt17integral_constantIbLb1EES19_IbLb0EEEEDaS15_S16_EUlS15_E_NS1_11comp_targetILNS1_3genE0ELNS1_11target_archE4294967295ELNS1_3gpuE0ELNS1_3repE0EEENS1_30default_config_static_selectorELNS0_4arch9wavefront6targetE1EEEvT1_,comdat
	.protected	_ZN7rocprim17ROCPRIM_400000_NS6detail17trampoline_kernelINS0_14default_configENS1_25partition_config_selectorILNS1_17partition_subalgoE3EiNS0_10empty_typeEbEEZZNS1_14partition_implILS5_3ELb0ES3_jN6thrust23THRUST_200600_302600_NS6detail15normal_iteratorINSA_7pointerIiNSA_11hip_rocprim3tagENSA_11use_defaultESG_EEEEPS6_SJ_NS0_5tupleIJPiSJ_EEENSK_IJSJ_SJ_EEES6_PlJ7is_evenIiEEEE10hipError_tPvRmT3_T4_T5_T6_T7_T9_mT8_P12ihipStream_tbDpT10_ENKUlT_T0_E_clISt17integral_constantIbLb1EES19_IbLb0EEEEDaS15_S16_EUlS15_E_NS1_11comp_targetILNS1_3genE0ELNS1_11target_archE4294967295ELNS1_3gpuE0ELNS1_3repE0EEENS1_30default_config_static_selectorELNS0_4arch9wavefront6targetE1EEEvT1_ ; -- Begin function _ZN7rocprim17ROCPRIM_400000_NS6detail17trampoline_kernelINS0_14default_configENS1_25partition_config_selectorILNS1_17partition_subalgoE3EiNS0_10empty_typeEbEEZZNS1_14partition_implILS5_3ELb0ES3_jN6thrust23THRUST_200600_302600_NS6detail15normal_iteratorINSA_7pointerIiNSA_11hip_rocprim3tagENSA_11use_defaultESG_EEEEPS6_SJ_NS0_5tupleIJPiSJ_EEENSK_IJSJ_SJ_EEES6_PlJ7is_evenIiEEEE10hipError_tPvRmT3_T4_T5_T6_T7_T9_mT8_P12ihipStream_tbDpT10_ENKUlT_T0_E_clISt17integral_constantIbLb1EES19_IbLb0EEEEDaS15_S16_EUlS15_E_NS1_11comp_targetILNS1_3genE0ELNS1_11target_archE4294967295ELNS1_3gpuE0ELNS1_3repE0EEENS1_30default_config_static_selectorELNS0_4arch9wavefront6targetE1EEEvT1_
	.globl	_ZN7rocprim17ROCPRIM_400000_NS6detail17trampoline_kernelINS0_14default_configENS1_25partition_config_selectorILNS1_17partition_subalgoE3EiNS0_10empty_typeEbEEZZNS1_14partition_implILS5_3ELb0ES3_jN6thrust23THRUST_200600_302600_NS6detail15normal_iteratorINSA_7pointerIiNSA_11hip_rocprim3tagENSA_11use_defaultESG_EEEEPS6_SJ_NS0_5tupleIJPiSJ_EEENSK_IJSJ_SJ_EEES6_PlJ7is_evenIiEEEE10hipError_tPvRmT3_T4_T5_T6_T7_T9_mT8_P12ihipStream_tbDpT10_ENKUlT_T0_E_clISt17integral_constantIbLb1EES19_IbLb0EEEEDaS15_S16_EUlS15_E_NS1_11comp_targetILNS1_3genE0ELNS1_11target_archE4294967295ELNS1_3gpuE0ELNS1_3repE0EEENS1_30default_config_static_selectorELNS0_4arch9wavefront6targetE1EEEvT1_
	.p2align	8
	.type	_ZN7rocprim17ROCPRIM_400000_NS6detail17trampoline_kernelINS0_14default_configENS1_25partition_config_selectorILNS1_17partition_subalgoE3EiNS0_10empty_typeEbEEZZNS1_14partition_implILS5_3ELb0ES3_jN6thrust23THRUST_200600_302600_NS6detail15normal_iteratorINSA_7pointerIiNSA_11hip_rocprim3tagENSA_11use_defaultESG_EEEEPS6_SJ_NS0_5tupleIJPiSJ_EEENSK_IJSJ_SJ_EEES6_PlJ7is_evenIiEEEE10hipError_tPvRmT3_T4_T5_T6_T7_T9_mT8_P12ihipStream_tbDpT10_ENKUlT_T0_E_clISt17integral_constantIbLb1EES19_IbLb0EEEEDaS15_S16_EUlS15_E_NS1_11comp_targetILNS1_3genE0ELNS1_11target_archE4294967295ELNS1_3gpuE0ELNS1_3repE0EEENS1_30default_config_static_selectorELNS0_4arch9wavefront6targetE1EEEvT1_,@function
_ZN7rocprim17ROCPRIM_400000_NS6detail17trampoline_kernelINS0_14default_configENS1_25partition_config_selectorILNS1_17partition_subalgoE3EiNS0_10empty_typeEbEEZZNS1_14partition_implILS5_3ELb0ES3_jN6thrust23THRUST_200600_302600_NS6detail15normal_iteratorINSA_7pointerIiNSA_11hip_rocprim3tagENSA_11use_defaultESG_EEEEPS6_SJ_NS0_5tupleIJPiSJ_EEENSK_IJSJ_SJ_EEES6_PlJ7is_evenIiEEEE10hipError_tPvRmT3_T4_T5_T6_T7_T9_mT8_P12ihipStream_tbDpT10_ENKUlT_T0_E_clISt17integral_constantIbLb1EES19_IbLb0EEEEDaS15_S16_EUlS15_E_NS1_11comp_targetILNS1_3genE0ELNS1_11target_archE4294967295ELNS1_3gpuE0ELNS1_3repE0EEENS1_30default_config_static_selectorELNS0_4arch9wavefront6targetE1EEEvT1_: ; @_ZN7rocprim17ROCPRIM_400000_NS6detail17trampoline_kernelINS0_14default_configENS1_25partition_config_selectorILNS1_17partition_subalgoE3EiNS0_10empty_typeEbEEZZNS1_14partition_implILS5_3ELb0ES3_jN6thrust23THRUST_200600_302600_NS6detail15normal_iteratorINSA_7pointerIiNSA_11hip_rocprim3tagENSA_11use_defaultESG_EEEEPS6_SJ_NS0_5tupleIJPiSJ_EEENSK_IJSJ_SJ_EEES6_PlJ7is_evenIiEEEE10hipError_tPvRmT3_T4_T5_T6_T7_T9_mT8_P12ihipStream_tbDpT10_ENKUlT_T0_E_clISt17integral_constantIbLb1EES19_IbLb0EEEEDaS15_S16_EUlS15_E_NS1_11comp_targetILNS1_3genE0ELNS1_11target_archE4294967295ELNS1_3gpuE0ELNS1_3repE0EEENS1_30default_config_static_selectorELNS0_4arch9wavefront6targetE1EEEvT1_
; %bb.0:
	.section	.rodata,"a",@progbits
	.p2align	6, 0x0
	.amdhsa_kernel _ZN7rocprim17ROCPRIM_400000_NS6detail17trampoline_kernelINS0_14default_configENS1_25partition_config_selectorILNS1_17partition_subalgoE3EiNS0_10empty_typeEbEEZZNS1_14partition_implILS5_3ELb0ES3_jN6thrust23THRUST_200600_302600_NS6detail15normal_iteratorINSA_7pointerIiNSA_11hip_rocprim3tagENSA_11use_defaultESG_EEEEPS6_SJ_NS0_5tupleIJPiSJ_EEENSK_IJSJ_SJ_EEES6_PlJ7is_evenIiEEEE10hipError_tPvRmT3_T4_T5_T6_T7_T9_mT8_P12ihipStream_tbDpT10_ENKUlT_T0_E_clISt17integral_constantIbLb1EES19_IbLb0EEEEDaS15_S16_EUlS15_E_NS1_11comp_targetILNS1_3genE0ELNS1_11target_archE4294967295ELNS1_3gpuE0ELNS1_3repE0EEENS1_30default_config_static_selectorELNS0_4arch9wavefront6targetE1EEEvT1_
		.amdhsa_group_segment_fixed_size 0
		.amdhsa_private_segment_fixed_size 0
		.amdhsa_kernarg_size 120
		.amdhsa_user_sgpr_count 6
		.amdhsa_user_sgpr_private_segment_buffer 1
		.amdhsa_user_sgpr_dispatch_ptr 0
		.amdhsa_user_sgpr_queue_ptr 0
		.amdhsa_user_sgpr_kernarg_segment_ptr 1
		.amdhsa_user_sgpr_dispatch_id 0
		.amdhsa_user_sgpr_flat_scratch_init 0
		.amdhsa_user_sgpr_kernarg_preload_length 0
		.amdhsa_user_sgpr_kernarg_preload_offset 0
		.amdhsa_user_sgpr_private_segment_size 0
		.amdhsa_uses_dynamic_stack 0
		.amdhsa_system_sgpr_private_segment_wavefront_offset 0
		.amdhsa_system_sgpr_workgroup_id_x 1
		.amdhsa_system_sgpr_workgroup_id_y 0
		.amdhsa_system_sgpr_workgroup_id_z 0
		.amdhsa_system_sgpr_workgroup_info 0
		.amdhsa_system_vgpr_workitem_id 0
		.amdhsa_next_free_vgpr 1
		.amdhsa_next_free_sgpr 0
		.amdhsa_accum_offset 4
		.amdhsa_reserve_vcc 0
		.amdhsa_reserve_flat_scratch 0
		.amdhsa_float_round_mode_32 0
		.amdhsa_float_round_mode_16_64 0
		.amdhsa_float_denorm_mode_32 3
		.amdhsa_float_denorm_mode_16_64 3
		.amdhsa_dx10_clamp 1
		.amdhsa_ieee_mode 1
		.amdhsa_fp16_overflow 0
		.amdhsa_tg_split 0
		.amdhsa_exception_fp_ieee_invalid_op 0
		.amdhsa_exception_fp_denorm_src 0
		.amdhsa_exception_fp_ieee_div_zero 0
		.amdhsa_exception_fp_ieee_overflow 0
		.amdhsa_exception_fp_ieee_underflow 0
		.amdhsa_exception_fp_ieee_inexact 0
		.amdhsa_exception_int_div_zero 0
	.end_amdhsa_kernel
	.section	.text._ZN7rocprim17ROCPRIM_400000_NS6detail17trampoline_kernelINS0_14default_configENS1_25partition_config_selectorILNS1_17partition_subalgoE3EiNS0_10empty_typeEbEEZZNS1_14partition_implILS5_3ELb0ES3_jN6thrust23THRUST_200600_302600_NS6detail15normal_iteratorINSA_7pointerIiNSA_11hip_rocprim3tagENSA_11use_defaultESG_EEEEPS6_SJ_NS0_5tupleIJPiSJ_EEENSK_IJSJ_SJ_EEES6_PlJ7is_evenIiEEEE10hipError_tPvRmT3_T4_T5_T6_T7_T9_mT8_P12ihipStream_tbDpT10_ENKUlT_T0_E_clISt17integral_constantIbLb1EES19_IbLb0EEEEDaS15_S16_EUlS15_E_NS1_11comp_targetILNS1_3genE0ELNS1_11target_archE4294967295ELNS1_3gpuE0ELNS1_3repE0EEENS1_30default_config_static_selectorELNS0_4arch9wavefront6targetE1EEEvT1_,"axG",@progbits,_ZN7rocprim17ROCPRIM_400000_NS6detail17trampoline_kernelINS0_14default_configENS1_25partition_config_selectorILNS1_17partition_subalgoE3EiNS0_10empty_typeEbEEZZNS1_14partition_implILS5_3ELb0ES3_jN6thrust23THRUST_200600_302600_NS6detail15normal_iteratorINSA_7pointerIiNSA_11hip_rocprim3tagENSA_11use_defaultESG_EEEEPS6_SJ_NS0_5tupleIJPiSJ_EEENSK_IJSJ_SJ_EEES6_PlJ7is_evenIiEEEE10hipError_tPvRmT3_T4_T5_T6_T7_T9_mT8_P12ihipStream_tbDpT10_ENKUlT_T0_E_clISt17integral_constantIbLb1EES19_IbLb0EEEEDaS15_S16_EUlS15_E_NS1_11comp_targetILNS1_3genE0ELNS1_11target_archE4294967295ELNS1_3gpuE0ELNS1_3repE0EEENS1_30default_config_static_selectorELNS0_4arch9wavefront6targetE1EEEvT1_,comdat
.Lfunc_end104:
	.size	_ZN7rocprim17ROCPRIM_400000_NS6detail17trampoline_kernelINS0_14default_configENS1_25partition_config_selectorILNS1_17partition_subalgoE3EiNS0_10empty_typeEbEEZZNS1_14partition_implILS5_3ELb0ES3_jN6thrust23THRUST_200600_302600_NS6detail15normal_iteratorINSA_7pointerIiNSA_11hip_rocprim3tagENSA_11use_defaultESG_EEEEPS6_SJ_NS0_5tupleIJPiSJ_EEENSK_IJSJ_SJ_EEES6_PlJ7is_evenIiEEEE10hipError_tPvRmT3_T4_T5_T6_T7_T9_mT8_P12ihipStream_tbDpT10_ENKUlT_T0_E_clISt17integral_constantIbLb1EES19_IbLb0EEEEDaS15_S16_EUlS15_E_NS1_11comp_targetILNS1_3genE0ELNS1_11target_archE4294967295ELNS1_3gpuE0ELNS1_3repE0EEENS1_30default_config_static_selectorELNS0_4arch9wavefront6targetE1EEEvT1_, .Lfunc_end104-_ZN7rocprim17ROCPRIM_400000_NS6detail17trampoline_kernelINS0_14default_configENS1_25partition_config_selectorILNS1_17partition_subalgoE3EiNS0_10empty_typeEbEEZZNS1_14partition_implILS5_3ELb0ES3_jN6thrust23THRUST_200600_302600_NS6detail15normal_iteratorINSA_7pointerIiNSA_11hip_rocprim3tagENSA_11use_defaultESG_EEEEPS6_SJ_NS0_5tupleIJPiSJ_EEENSK_IJSJ_SJ_EEES6_PlJ7is_evenIiEEEE10hipError_tPvRmT3_T4_T5_T6_T7_T9_mT8_P12ihipStream_tbDpT10_ENKUlT_T0_E_clISt17integral_constantIbLb1EES19_IbLb0EEEEDaS15_S16_EUlS15_E_NS1_11comp_targetILNS1_3genE0ELNS1_11target_archE4294967295ELNS1_3gpuE0ELNS1_3repE0EEENS1_30default_config_static_selectorELNS0_4arch9wavefront6targetE1EEEvT1_
                                        ; -- End function
	.section	.AMDGPU.csdata,"",@progbits
; Kernel info:
; codeLenInByte = 0
; NumSgprs: 4
; NumVgprs: 0
; NumAgprs: 0
; TotalNumVgprs: 0
; ScratchSize: 0
; MemoryBound: 0
; FloatMode: 240
; IeeeMode: 1
; LDSByteSize: 0 bytes/workgroup (compile time only)
; SGPRBlocks: 0
; VGPRBlocks: 0
; NumSGPRsForWavesPerEU: 4
; NumVGPRsForWavesPerEU: 1
; AccumOffset: 4
; Occupancy: 8
; WaveLimiterHint : 0
; COMPUTE_PGM_RSRC2:SCRATCH_EN: 0
; COMPUTE_PGM_RSRC2:USER_SGPR: 6
; COMPUTE_PGM_RSRC2:TRAP_HANDLER: 0
; COMPUTE_PGM_RSRC2:TGID_X_EN: 1
; COMPUTE_PGM_RSRC2:TGID_Y_EN: 0
; COMPUTE_PGM_RSRC2:TGID_Z_EN: 0
; COMPUTE_PGM_RSRC2:TIDIG_COMP_CNT: 0
; COMPUTE_PGM_RSRC3_GFX90A:ACCUM_OFFSET: 0
; COMPUTE_PGM_RSRC3_GFX90A:TG_SPLIT: 0
	.section	.text._ZN7rocprim17ROCPRIM_400000_NS6detail17trampoline_kernelINS0_14default_configENS1_25partition_config_selectorILNS1_17partition_subalgoE3EiNS0_10empty_typeEbEEZZNS1_14partition_implILS5_3ELb0ES3_jN6thrust23THRUST_200600_302600_NS6detail15normal_iteratorINSA_7pointerIiNSA_11hip_rocprim3tagENSA_11use_defaultESG_EEEEPS6_SJ_NS0_5tupleIJPiSJ_EEENSK_IJSJ_SJ_EEES6_PlJ7is_evenIiEEEE10hipError_tPvRmT3_T4_T5_T6_T7_T9_mT8_P12ihipStream_tbDpT10_ENKUlT_T0_E_clISt17integral_constantIbLb1EES19_IbLb0EEEEDaS15_S16_EUlS15_E_NS1_11comp_targetILNS1_3genE5ELNS1_11target_archE942ELNS1_3gpuE9ELNS1_3repE0EEENS1_30default_config_static_selectorELNS0_4arch9wavefront6targetE1EEEvT1_,"axG",@progbits,_ZN7rocprim17ROCPRIM_400000_NS6detail17trampoline_kernelINS0_14default_configENS1_25partition_config_selectorILNS1_17partition_subalgoE3EiNS0_10empty_typeEbEEZZNS1_14partition_implILS5_3ELb0ES3_jN6thrust23THRUST_200600_302600_NS6detail15normal_iteratorINSA_7pointerIiNSA_11hip_rocprim3tagENSA_11use_defaultESG_EEEEPS6_SJ_NS0_5tupleIJPiSJ_EEENSK_IJSJ_SJ_EEES6_PlJ7is_evenIiEEEE10hipError_tPvRmT3_T4_T5_T6_T7_T9_mT8_P12ihipStream_tbDpT10_ENKUlT_T0_E_clISt17integral_constantIbLb1EES19_IbLb0EEEEDaS15_S16_EUlS15_E_NS1_11comp_targetILNS1_3genE5ELNS1_11target_archE942ELNS1_3gpuE9ELNS1_3repE0EEENS1_30default_config_static_selectorELNS0_4arch9wavefront6targetE1EEEvT1_,comdat
	.protected	_ZN7rocprim17ROCPRIM_400000_NS6detail17trampoline_kernelINS0_14default_configENS1_25partition_config_selectorILNS1_17partition_subalgoE3EiNS0_10empty_typeEbEEZZNS1_14partition_implILS5_3ELb0ES3_jN6thrust23THRUST_200600_302600_NS6detail15normal_iteratorINSA_7pointerIiNSA_11hip_rocprim3tagENSA_11use_defaultESG_EEEEPS6_SJ_NS0_5tupleIJPiSJ_EEENSK_IJSJ_SJ_EEES6_PlJ7is_evenIiEEEE10hipError_tPvRmT3_T4_T5_T6_T7_T9_mT8_P12ihipStream_tbDpT10_ENKUlT_T0_E_clISt17integral_constantIbLb1EES19_IbLb0EEEEDaS15_S16_EUlS15_E_NS1_11comp_targetILNS1_3genE5ELNS1_11target_archE942ELNS1_3gpuE9ELNS1_3repE0EEENS1_30default_config_static_selectorELNS0_4arch9wavefront6targetE1EEEvT1_ ; -- Begin function _ZN7rocprim17ROCPRIM_400000_NS6detail17trampoline_kernelINS0_14default_configENS1_25partition_config_selectorILNS1_17partition_subalgoE3EiNS0_10empty_typeEbEEZZNS1_14partition_implILS5_3ELb0ES3_jN6thrust23THRUST_200600_302600_NS6detail15normal_iteratorINSA_7pointerIiNSA_11hip_rocprim3tagENSA_11use_defaultESG_EEEEPS6_SJ_NS0_5tupleIJPiSJ_EEENSK_IJSJ_SJ_EEES6_PlJ7is_evenIiEEEE10hipError_tPvRmT3_T4_T5_T6_T7_T9_mT8_P12ihipStream_tbDpT10_ENKUlT_T0_E_clISt17integral_constantIbLb1EES19_IbLb0EEEEDaS15_S16_EUlS15_E_NS1_11comp_targetILNS1_3genE5ELNS1_11target_archE942ELNS1_3gpuE9ELNS1_3repE0EEENS1_30default_config_static_selectorELNS0_4arch9wavefront6targetE1EEEvT1_
	.globl	_ZN7rocprim17ROCPRIM_400000_NS6detail17trampoline_kernelINS0_14default_configENS1_25partition_config_selectorILNS1_17partition_subalgoE3EiNS0_10empty_typeEbEEZZNS1_14partition_implILS5_3ELb0ES3_jN6thrust23THRUST_200600_302600_NS6detail15normal_iteratorINSA_7pointerIiNSA_11hip_rocprim3tagENSA_11use_defaultESG_EEEEPS6_SJ_NS0_5tupleIJPiSJ_EEENSK_IJSJ_SJ_EEES6_PlJ7is_evenIiEEEE10hipError_tPvRmT3_T4_T5_T6_T7_T9_mT8_P12ihipStream_tbDpT10_ENKUlT_T0_E_clISt17integral_constantIbLb1EES19_IbLb0EEEEDaS15_S16_EUlS15_E_NS1_11comp_targetILNS1_3genE5ELNS1_11target_archE942ELNS1_3gpuE9ELNS1_3repE0EEENS1_30default_config_static_selectorELNS0_4arch9wavefront6targetE1EEEvT1_
	.p2align	8
	.type	_ZN7rocprim17ROCPRIM_400000_NS6detail17trampoline_kernelINS0_14default_configENS1_25partition_config_selectorILNS1_17partition_subalgoE3EiNS0_10empty_typeEbEEZZNS1_14partition_implILS5_3ELb0ES3_jN6thrust23THRUST_200600_302600_NS6detail15normal_iteratorINSA_7pointerIiNSA_11hip_rocprim3tagENSA_11use_defaultESG_EEEEPS6_SJ_NS0_5tupleIJPiSJ_EEENSK_IJSJ_SJ_EEES6_PlJ7is_evenIiEEEE10hipError_tPvRmT3_T4_T5_T6_T7_T9_mT8_P12ihipStream_tbDpT10_ENKUlT_T0_E_clISt17integral_constantIbLb1EES19_IbLb0EEEEDaS15_S16_EUlS15_E_NS1_11comp_targetILNS1_3genE5ELNS1_11target_archE942ELNS1_3gpuE9ELNS1_3repE0EEENS1_30default_config_static_selectorELNS0_4arch9wavefront6targetE1EEEvT1_,@function
_ZN7rocprim17ROCPRIM_400000_NS6detail17trampoline_kernelINS0_14default_configENS1_25partition_config_selectorILNS1_17partition_subalgoE3EiNS0_10empty_typeEbEEZZNS1_14partition_implILS5_3ELb0ES3_jN6thrust23THRUST_200600_302600_NS6detail15normal_iteratorINSA_7pointerIiNSA_11hip_rocprim3tagENSA_11use_defaultESG_EEEEPS6_SJ_NS0_5tupleIJPiSJ_EEENSK_IJSJ_SJ_EEES6_PlJ7is_evenIiEEEE10hipError_tPvRmT3_T4_T5_T6_T7_T9_mT8_P12ihipStream_tbDpT10_ENKUlT_T0_E_clISt17integral_constantIbLb1EES19_IbLb0EEEEDaS15_S16_EUlS15_E_NS1_11comp_targetILNS1_3genE5ELNS1_11target_archE942ELNS1_3gpuE9ELNS1_3repE0EEENS1_30default_config_static_selectorELNS0_4arch9wavefront6targetE1EEEvT1_: ; @_ZN7rocprim17ROCPRIM_400000_NS6detail17trampoline_kernelINS0_14default_configENS1_25partition_config_selectorILNS1_17partition_subalgoE3EiNS0_10empty_typeEbEEZZNS1_14partition_implILS5_3ELb0ES3_jN6thrust23THRUST_200600_302600_NS6detail15normal_iteratorINSA_7pointerIiNSA_11hip_rocprim3tagENSA_11use_defaultESG_EEEEPS6_SJ_NS0_5tupleIJPiSJ_EEENSK_IJSJ_SJ_EEES6_PlJ7is_evenIiEEEE10hipError_tPvRmT3_T4_T5_T6_T7_T9_mT8_P12ihipStream_tbDpT10_ENKUlT_T0_E_clISt17integral_constantIbLb1EES19_IbLb0EEEEDaS15_S16_EUlS15_E_NS1_11comp_targetILNS1_3genE5ELNS1_11target_archE942ELNS1_3gpuE9ELNS1_3repE0EEENS1_30default_config_static_selectorELNS0_4arch9wavefront6targetE1EEEvT1_
; %bb.0:
	.section	.rodata,"a",@progbits
	.p2align	6, 0x0
	.amdhsa_kernel _ZN7rocprim17ROCPRIM_400000_NS6detail17trampoline_kernelINS0_14default_configENS1_25partition_config_selectorILNS1_17partition_subalgoE3EiNS0_10empty_typeEbEEZZNS1_14partition_implILS5_3ELb0ES3_jN6thrust23THRUST_200600_302600_NS6detail15normal_iteratorINSA_7pointerIiNSA_11hip_rocprim3tagENSA_11use_defaultESG_EEEEPS6_SJ_NS0_5tupleIJPiSJ_EEENSK_IJSJ_SJ_EEES6_PlJ7is_evenIiEEEE10hipError_tPvRmT3_T4_T5_T6_T7_T9_mT8_P12ihipStream_tbDpT10_ENKUlT_T0_E_clISt17integral_constantIbLb1EES19_IbLb0EEEEDaS15_S16_EUlS15_E_NS1_11comp_targetILNS1_3genE5ELNS1_11target_archE942ELNS1_3gpuE9ELNS1_3repE0EEENS1_30default_config_static_selectorELNS0_4arch9wavefront6targetE1EEEvT1_
		.amdhsa_group_segment_fixed_size 0
		.amdhsa_private_segment_fixed_size 0
		.amdhsa_kernarg_size 120
		.amdhsa_user_sgpr_count 6
		.amdhsa_user_sgpr_private_segment_buffer 1
		.amdhsa_user_sgpr_dispatch_ptr 0
		.amdhsa_user_sgpr_queue_ptr 0
		.amdhsa_user_sgpr_kernarg_segment_ptr 1
		.amdhsa_user_sgpr_dispatch_id 0
		.amdhsa_user_sgpr_flat_scratch_init 0
		.amdhsa_user_sgpr_kernarg_preload_length 0
		.amdhsa_user_sgpr_kernarg_preload_offset 0
		.amdhsa_user_sgpr_private_segment_size 0
		.amdhsa_uses_dynamic_stack 0
		.amdhsa_system_sgpr_private_segment_wavefront_offset 0
		.amdhsa_system_sgpr_workgroup_id_x 1
		.amdhsa_system_sgpr_workgroup_id_y 0
		.amdhsa_system_sgpr_workgroup_id_z 0
		.amdhsa_system_sgpr_workgroup_info 0
		.amdhsa_system_vgpr_workitem_id 0
		.amdhsa_next_free_vgpr 1
		.amdhsa_next_free_sgpr 0
		.amdhsa_accum_offset 4
		.amdhsa_reserve_vcc 0
		.amdhsa_reserve_flat_scratch 0
		.amdhsa_float_round_mode_32 0
		.amdhsa_float_round_mode_16_64 0
		.amdhsa_float_denorm_mode_32 3
		.amdhsa_float_denorm_mode_16_64 3
		.amdhsa_dx10_clamp 1
		.amdhsa_ieee_mode 1
		.amdhsa_fp16_overflow 0
		.amdhsa_tg_split 0
		.amdhsa_exception_fp_ieee_invalid_op 0
		.amdhsa_exception_fp_denorm_src 0
		.amdhsa_exception_fp_ieee_div_zero 0
		.amdhsa_exception_fp_ieee_overflow 0
		.amdhsa_exception_fp_ieee_underflow 0
		.amdhsa_exception_fp_ieee_inexact 0
		.amdhsa_exception_int_div_zero 0
	.end_amdhsa_kernel
	.section	.text._ZN7rocprim17ROCPRIM_400000_NS6detail17trampoline_kernelINS0_14default_configENS1_25partition_config_selectorILNS1_17partition_subalgoE3EiNS0_10empty_typeEbEEZZNS1_14partition_implILS5_3ELb0ES3_jN6thrust23THRUST_200600_302600_NS6detail15normal_iteratorINSA_7pointerIiNSA_11hip_rocprim3tagENSA_11use_defaultESG_EEEEPS6_SJ_NS0_5tupleIJPiSJ_EEENSK_IJSJ_SJ_EEES6_PlJ7is_evenIiEEEE10hipError_tPvRmT3_T4_T5_T6_T7_T9_mT8_P12ihipStream_tbDpT10_ENKUlT_T0_E_clISt17integral_constantIbLb1EES19_IbLb0EEEEDaS15_S16_EUlS15_E_NS1_11comp_targetILNS1_3genE5ELNS1_11target_archE942ELNS1_3gpuE9ELNS1_3repE0EEENS1_30default_config_static_selectorELNS0_4arch9wavefront6targetE1EEEvT1_,"axG",@progbits,_ZN7rocprim17ROCPRIM_400000_NS6detail17trampoline_kernelINS0_14default_configENS1_25partition_config_selectorILNS1_17partition_subalgoE3EiNS0_10empty_typeEbEEZZNS1_14partition_implILS5_3ELb0ES3_jN6thrust23THRUST_200600_302600_NS6detail15normal_iteratorINSA_7pointerIiNSA_11hip_rocprim3tagENSA_11use_defaultESG_EEEEPS6_SJ_NS0_5tupleIJPiSJ_EEENSK_IJSJ_SJ_EEES6_PlJ7is_evenIiEEEE10hipError_tPvRmT3_T4_T5_T6_T7_T9_mT8_P12ihipStream_tbDpT10_ENKUlT_T0_E_clISt17integral_constantIbLb1EES19_IbLb0EEEEDaS15_S16_EUlS15_E_NS1_11comp_targetILNS1_3genE5ELNS1_11target_archE942ELNS1_3gpuE9ELNS1_3repE0EEENS1_30default_config_static_selectorELNS0_4arch9wavefront6targetE1EEEvT1_,comdat
.Lfunc_end105:
	.size	_ZN7rocprim17ROCPRIM_400000_NS6detail17trampoline_kernelINS0_14default_configENS1_25partition_config_selectorILNS1_17partition_subalgoE3EiNS0_10empty_typeEbEEZZNS1_14partition_implILS5_3ELb0ES3_jN6thrust23THRUST_200600_302600_NS6detail15normal_iteratorINSA_7pointerIiNSA_11hip_rocprim3tagENSA_11use_defaultESG_EEEEPS6_SJ_NS0_5tupleIJPiSJ_EEENSK_IJSJ_SJ_EEES6_PlJ7is_evenIiEEEE10hipError_tPvRmT3_T4_T5_T6_T7_T9_mT8_P12ihipStream_tbDpT10_ENKUlT_T0_E_clISt17integral_constantIbLb1EES19_IbLb0EEEEDaS15_S16_EUlS15_E_NS1_11comp_targetILNS1_3genE5ELNS1_11target_archE942ELNS1_3gpuE9ELNS1_3repE0EEENS1_30default_config_static_selectorELNS0_4arch9wavefront6targetE1EEEvT1_, .Lfunc_end105-_ZN7rocprim17ROCPRIM_400000_NS6detail17trampoline_kernelINS0_14default_configENS1_25partition_config_selectorILNS1_17partition_subalgoE3EiNS0_10empty_typeEbEEZZNS1_14partition_implILS5_3ELb0ES3_jN6thrust23THRUST_200600_302600_NS6detail15normal_iteratorINSA_7pointerIiNSA_11hip_rocprim3tagENSA_11use_defaultESG_EEEEPS6_SJ_NS0_5tupleIJPiSJ_EEENSK_IJSJ_SJ_EEES6_PlJ7is_evenIiEEEE10hipError_tPvRmT3_T4_T5_T6_T7_T9_mT8_P12ihipStream_tbDpT10_ENKUlT_T0_E_clISt17integral_constantIbLb1EES19_IbLb0EEEEDaS15_S16_EUlS15_E_NS1_11comp_targetILNS1_3genE5ELNS1_11target_archE942ELNS1_3gpuE9ELNS1_3repE0EEENS1_30default_config_static_selectorELNS0_4arch9wavefront6targetE1EEEvT1_
                                        ; -- End function
	.section	.AMDGPU.csdata,"",@progbits
; Kernel info:
; codeLenInByte = 0
; NumSgprs: 4
; NumVgprs: 0
; NumAgprs: 0
; TotalNumVgprs: 0
; ScratchSize: 0
; MemoryBound: 0
; FloatMode: 240
; IeeeMode: 1
; LDSByteSize: 0 bytes/workgroup (compile time only)
; SGPRBlocks: 0
; VGPRBlocks: 0
; NumSGPRsForWavesPerEU: 4
; NumVGPRsForWavesPerEU: 1
; AccumOffset: 4
; Occupancy: 8
; WaveLimiterHint : 0
; COMPUTE_PGM_RSRC2:SCRATCH_EN: 0
; COMPUTE_PGM_RSRC2:USER_SGPR: 6
; COMPUTE_PGM_RSRC2:TRAP_HANDLER: 0
; COMPUTE_PGM_RSRC2:TGID_X_EN: 1
; COMPUTE_PGM_RSRC2:TGID_Y_EN: 0
; COMPUTE_PGM_RSRC2:TGID_Z_EN: 0
; COMPUTE_PGM_RSRC2:TIDIG_COMP_CNT: 0
; COMPUTE_PGM_RSRC3_GFX90A:ACCUM_OFFSET: 0
; COMPUTE_PGM_RSRC3_GFX90A:TG_SPLIT: 0
	.section	.text._ZN7rocprim17ROCPRIM_400000_NS6detail17trampoline_kernelINS0_14default_configENS1_25partition_config_selectorILNS1_17partition_subalgoE3EiNS0_10empty_typeEbEEZZNS1_14partition_implILS5_3ELb0ES3_jN6thrust23THRUST_200600_302600_NS6detail15normal_iteratorINSA_7pointerIiNSA_11hip_rocprim3tagENSA_11use_defaultESG_EEEEPS6_SJ_NS0_5tupleIJPiSJ_EEENSK_IJSJ_SJ_EEES6_PlJ7is_evenIiEEEE10hipError_tPvRmT3_T4_T5_T6_T7_T9_mT8_P12ihipStream_tbDpT10_ENKUlT_T0_E_clISt17integral_constantIbLb1EES19_IbLb0EEEEDaS15_S16_EUlS15_E_NS1_11comp_targetILNS1_3genE4ELNS1_11target_archE910ELNS1_3gpuE8ELNS1_3repE0EEENS1_30default_config_static_selectorELNS0_4arch9wavefront6targetE1EEEvT1_,"axG",@progbits,_ZN7rocprim17ROCPRIM_400000_NS6detail17trampoline_kernelINS0_14default_configENS1_25partition_config_selectorILNS1_17partition_subalgoE3EiNS0_10empty_typeEbEEZZNS1_14partition_implILS5_3ELb0ES3_jN6thrust23THRUST_200600_302600_NS6detail15normal_iteratorINSA_7pointerIiNSA_11hip_rocprim3tagENSA_11use_defaultESG_EEEEPS6_SJ_NS0_5tupleIJPiSJ_EEENSK_IJSJ_SJ_EEES6_PlJ7is_evenIiEEEE10hipError_tPvRmT3_T4_T5_T6_T7_T9_mT8_P12ihipStream_tbDpT10_ENKUlT_T0_E_clISt17integral_constantIbLb1EES19_IbLb0EEEEDaS15_S16_EUlS15_E_NS1_11comp_targetILNS1_3genE4ELNS1_11target_archE910ELNS1_3gpuE8ELNS1_3repE0EEENS1_30default_config_static_selectorELNS0_4arch9wavefront6targetE1EEEvT1_,comdat
	.protected	_ZN7rocprim17ROCPRIM_400000_NS6detail17trampoline_kernelINS0_14default_configENS1_25partition_config_selectorILNS1_17partition_subalgoE3EiNS0_10empty_typeEbEEZZNS1_14partition_implILS5_3ELb0ES3_jN6thrust23THRUST_200600_302600_NS6detail15normal_iteratorINSA_7pointerIiNSA_11hip_rocprim3tagENSA_11use_defaultESG_EEEEPS6_SJ_NS0_5tupleIJPiSJ_EEENSK_IJSJ_SJ_EEES6_PlJ7is_evenIiEEEE10hipError_tPvRmT3_T4_T5_T6_T7_T9_mT8_P12ihipStream_tbDpT10_ENKUlT_T0_E_clISt17integral_constantIbLb1EES19_IbLb0EEEEDaS15_S16_EUlS15_E_NS1_11comp_targetILNS1_3genE4ELNS1_11target_archE910ELNS1_3gpuE8ELNS1_3repE0EEENS1_30default_config_static_selectorELNS0_4arch9wavefront6targetE1EEEvT1_ ; -- Begin function _ZN7rocprim17ROCPRIM_400000_NS6detail17trampoline_kernelINS0_14default_configENS1_25partition_config_selectorILNS1_17partition_subalgoE3EiNS0_10empty_typeEbEEZZNS1_14partition_implILS5_3ELb0ES3_jN6thrust23THRUST_200600_302600_NS6detail15normal_iteratorINSA_7pointerIiNSA_11hip_rocprim3tagENSA_11use_defaultESG_EEEEPS6_SJ_NS0_5tupleIJPiSJ_EEENSK_IJSJ_SJ_EEES6_PlJ7is_evenIiEEEE10hipError_tPvRmT3_T4_T5_T6_T7_T9_mT8_P12ihipStream_tbDpT10_ENKUlT_T0_E_clISt17integral_constantIbLb1EES19_IbLb0EEEEDaS15_S16_EUlS15_E_NS1_11comp_targetILNS1_3genE4ELNS1_11target_archE910ELNS1_3gpuE8ELNS1_3repE0EEENS1_30default_config_static_selectorELNS0_4arch9wavefront6targetE1EEEvT1_
	.globl	_ZN7rocprim17ROCPRIM_400000_NS6detail17trampoline_kernelINS0_14default_configENS1_25partition_config_selectorILNS1_17partition_subalgoE3EiNS0_10empty_typeEbEEZZNS1_14partition_implILS5_3ELb0ES3_jN6thrust23THRUST_200600_302600_NS6detail15normal_iteratorINSA_7pointerIiNSA_11hip_rocprim3tagENSA_11use_defaultESG_EEEEPS6_SJ_NS0_5tupleIJPiSJ_EEENSK_IJSJ_SJ_EEES6_PlJ7is_evenIiEEEE10hipError_tPvRmT3_T4_T5_T6_T7_T9_mT8_P12ihipStream_tbDpT10_ENKUlT_T0_E_clISt17integral_constantIbLb1EES19_IbLb0EEEEDaS15_S16_EUlS15_E_NS1_11comp_targetILNS1_3genE4ELNS1_11target_archE910ELNS1_3gpuE8ELNS1_3repE0EEENS1_30default_config_static_selectorELNS0_4arch9wavefront6targetE1EEEvT1_
	.p2align	8
	.type	_ZN7rocprim17ROCPRIM_400000_NS6detail17trampoline_kernelINS0_14default_configENS1_25partition_config_selectorILNS1_17partition_subalgoE3EiNS0_10empty_typeEbEEZZNS1_14partition_implILS5_3ELb0ES3_jN6thrust23THRUST_200600_302600_NS6detail15normal_iteratorINSA_7pointerIiNSA_11hip_rocprim3tagENSA_11use_defaultESG_EEEEPS6_SJ_NS0_5tupleIJPiSJ_EEENSK_IJSJ_SJ_EEES6_PlJ7is_evenIiEEEE10hipError_tPvRmT3_T4_T5_T6_T7_T9_mT8_P12ihipStream_tbDpT10_ENKUlT_T0_E_clISt17integral_constantIbLb1EES19_IbLb0EEEEDaS15_S16_EUlS15_E_NS1_11comp_targetILNS1_3genE4ELNS1_11target_archE910ELNS1_3gpuE8ELNS1_3repE0EEENS1_30default_config_static_selectorELNS0_4arch9wavefront6targetE1EEEvT1_,@function
_ZN7rocprim17ROCPRIM_400000_NS6detail17trampoline_kernelINS0_14default_configENS1_25partition_config_selectorILNS1_17partition_subalgoE3EiNS0_10empty_typeEbEEZZNS1_14partition_implILS5_3ELb0ES3_jN6thrust23THRUST_200600_302600_NS6detail15normal_iteratorINSA_7pointerIiNSA_11hip_rocprim3tagENSA_11use_defaultESG_EEEEPS6_SJ_NS0_5tupleIJPiSJ_EEENSK_IJSJ_SJ_EEES6_PlJ7is_evenIiEEEE10hipError_tPvRmT3_T4_T5_T6_T7_T9_mT8_P12ihipStream_tbDpT10_ENKUlT_T0_E_clISt17integral_constantIbLb1EES19_IbLb0EEEEDaS15_S16_EUlS15_E_NS1_11comp_targetILNS1_3genE4ELNS1_11target_archE910ELNS1_3gpuE8ELNS1_3repE0EEENS1_30default_config_static_selectorELNS0_4arch9wavefront6targetE1EEEvT1_: ; @_ZN7rocprim17ROCPRIM_400000_NS6detail17trampoline_kernelINS0_14default_configENS1_25partition_config_selectorILNS1_17partition_subalgoE3EiNS0_10empty_typeEbEEZZNS1_14partition_implILS5_3ELb0ES3_jN6thrust23THRUST_200600_302600_NS6detail15normal_iteratorINSA_7pointerIiNSA_11hip_rocprim3tagENSA_11use_defaultESG_EEEEPS6_SJ_NS0_5tupleIJPiSJ_EEENSK_IJSJ_SJ_EEES6_PlJ7is_evenIiEEEE10hipError_tPvRmT3_T4_T5_T6_T7_T9_mT8_P12ihipStream_tbDpT10_ENKUlT_T0_E_clISt17integral_constantIbLb1EES19_IbLb0EEEEDaS15_S16_EUlS15_E_NS1_11comp_targetILNS1_3genE4ELNS1_11target_archE910ELNS1_3gpuE8ELNS1_3repE0EEENS1_30default_config_static_selectorELNS0_4arch9wavefront6targetE1EEEvT1_
; %bb.0:
	s_load_dwordx4 s[20:23], s[4:5], 0x8
	s_load_dwordx4 s[24:27], s[4:5], 0x48
	s_load_dwordx2 s[28:29], s[4:5], 0x58
	s_load_dword s2, s[4:5], 0x70
	s_mul_i32 s30, s6, 0xa00
	s_waitcnt lgkmcnt(0)
	s_lshl_b64 s[0:1], s[22:23], 2
	s_add_u32 s7, s20, s0
	s_addc_u32 s8, s21, s1
	s_mul_i32 s0, s2, 0xa00
	s_add_i32 s1, s0, s22
	s_sub_i32 s33, s28, s1
	s_add_i32 s3, s2, -1
	s_addk_i32 s33, 0xa00
	s_add_u32 s0, s22, s0
	s_addc_u32 s1, s23, 0
	s_cmp_eq_u32 s6, s3
	s_load_dwordx2 s[34:35], s[26:27], 0x0
	v_pk_mov_b32 v[2:3], s[28:29], s[28:29] op_sel:[0,1]
	s_cselect_b64 s[26:27], -1, 0
	s_cmp_lg_u32 s6, s3
	s_mov_b32 s31, 0
	v_cmp_lt_u64_e32 vcc, s[0:1], v[2:3]
	s_cselect_b64 s[0:1], -1, 0
	s_or_b64 s[2:3], s[0:1], vcc
	s_lshl_b64 s[0:1], s[30:31], 2
	s_add_u32 s7, s7, s0
	s_addc_u32 s10, s8, s1
	s_mov_b64 s[0:1], -1
	s_and_b64 vcc, exec, s[2:3]
	v_lshlrev_b32_e32 v1, 2, v0
	s_cbranch_vccz .LBB106_2
; %bb.1:
	v_mov_b32_e32 v3, s10
	v_add_co_u32_e32 v2, vcc, s7, v1
	v_addc_co_u32_e32 v3, vcc, 0, v3, vcc
	v_add_co_u32_e32 v4, vcc, 0x1000, v2
	v_addc_co_u32_e32 v5, vcc, 0, v3, vcc
	flat_load_dword v6, v[2:3]
	flat_load_dword v7, v[2:3] offset:1024
	flat_load_dword v8, v[2:3] offset:2048
	;; [unrolled: 1-line block ×3, first 2 shown]
	flat_load_dword v10, v[4:5]
	flat_load_dword v11, v[4:5] offset:1024
	flat_load_dword v12, v[4:5] offset:2048
	;; [unrolled: 1-line block ×3, first 2 shown]
	v_add_co_u32_e32 v2, vcc, 0x2000, v2
	v_addc_co_u32_e32 v3, vcc, 0, v3, vcc
	flat_load_dword v4, v[2:3]
	flat_load_dword v5, v[2:3] offset:1024
	s_mov_b64 s[0:1], 0
	s_waitcnt vmcnt(0) lgkmcnt(0)
	ds_write2st64_b32 v1, v6, v7 offset1:4
	ds_write2st64_b32 v1, v8, v9 offset0:8 offset1:12
	ds_write2st64_b32 v1, v10, v11 offset0:16 offset1:20
	;; [unrolled: 1-line block ×4, first 2 shown]
	s_waitcnt lgkmcnt(0)
	s_barrier
.LBB106_2:
	s_andn2_b64 vcc, exec, s[0:1]
	v_cmp_gt_u32_e64 s[0:1], s33, v0
	s_cbranch_vccnz .LBB106_24
; %bb.3:
                                        ; implicit-def: $vgpr2_vgpr3_vgpr4_vgpr5_vgpr6_vgpr7_vgpr8_vgpr9_vgpr10_vgpr11
	s_and_saveexec_b64 s[8:9], s[0:1]
	s_cbranch_execz .LBB106_5
; %bb.4:
	v_mov_b32_e32 v3, s10
	v_add_co_u32_e32 v2, vcc, s7, v1
	v_addc_co_u32_e32 v3, vcc, 0, v3, vcc
	flat_load_dword v2, v[2:3]
.LBB106_5:
	s_or_b64 exec, exec, s[8:9]
	v_or_b32_e32 v12, 0x100, v0
	v_cmp_gt_u32_e32 vcc, s33, v12
	s_and_saveexec_b64 s[0:1], vcc
	s_cbranch_execz .LBB106_7
; %bb.6:
	v_mov_b32_e32 v3, s10
	v_add_co_u32_e32 v12, vcc, s7, v1
	v_addc_co_u32_e32 v13, vcc, 0, v3, vcc
	flat_load_dword v3, v[12:13] offset:1024
.LBB106_7:
	s_or_b64 exec, exec, s[0:1]
	v_or_b32_e32 v12, 0x200, v0
	v_cmp_gt_u32_e32 vcc, s33, v12
	s_and_saveexec_b64 s[0:1], vcc
	s_cbranch_execz .LBB106_9
; %bb.8:
	v_mov_b32_e32 v4, s10
	v_add_co_u32_e32 v12, vcc, s7, v1
	v_addc_co_u32_e32 v13, vcc, 0, v4, vcc
	flat_load_dword v4, v[12:13] offset:2048
.LBB106_9:
	;; [unrolled: 11-line block ×3, first 2 shown]
	s_or_b64 exec, exec, s[0:1]
	v_or_b32_e32 v12, 0x400, v0
	v_cmp_gt_u32_e32 vcc, s33, v12
	s_and_saveexec_b64 s[0:1], vcc
	s_cbranch_execz .LBB106_13
; %bb.12:
	v_lshlrev_b32_e32 v6, 2, v12
	v_mov_b32_e32 v13, s10
	v_add_co_u32_e32 v12, vcc, s7, v6
	v_addc_co_u32_e32 v13, vcc, 0, v13, vcc
	flat_load_dword v6, v[12:13]
.LBB106_13:
	s_or_b64 exec, exec, s[0:1]
	v_or_b32_e32 v12, 0x500, v0
	v_cmp_gt_u32_e32 vcc, s33, v12
	s_and_saveexec_b64 s[0:1], vcc
	s_cbranch_execz .LBB106_15
; %bb.14:
	v_lshlrev_b32_e32 v7, 2, v12
	v_mov_b32_e32 v13, s10
	v_add_co_u32_e32 v12, vcc, s7, v7
	v_addc_co_u32_e32 v13, vcc, 0, v13, vcc
	flat_load_dword v7, v[12:13]
.LBB106_15:
	;; [unrolled: 12-line block ×6, first 2 shown]
	s_or_b64 exec, exec, s[0:1]
	s_waitcnt vmcnt(0) lgkmcnt(0)
	ds_write2st64_b32 v1, v2, v3 offset1:4
	ds_write2st64_b32 v1, v4, v5 offset0:8 offset1:12
	ds_write2st64_b32 v1, v6, v7 offset0:16 offset1:20
	;; [unrolled: 1-line block ×4, first 2 shown]
	s_waitcnt lgkmcnt(0)
	s_barrier
.LBB106_24:
	v_mul_u32_u24_e32 v23, 10, v0
	v_lshlrev_b32_e32 v29, 2, v23
	s_waitcnt lgkmcnt(0)
	ds_read2_b64 v[6:9], v29 offset1:1
	ds_read2_b64 v[2:5], v29 offset0:2 offset1:3
	ds_read_b64 v[12:13], v29 offset:32
	v_cndmask_b32_e64 v10, 0, 1, s[2:3]
	v_cmp_ne_u32_e64 s[0:1], 1, v10
	s_andn2_b64 vcc, exec, s[2:3]
	s_waitcnt lgkmcnt(2)
	v_xor_b32_e32 v21, -1, v6
	v_xor_b32_e32 v20, -1, v7
	;; [unrolled: 1-line block ×4, first 2 shown]
	s_waitcnt lgkmcnt(1)
	v_xor_b32_e32 v17, -1, v2
	v_xor_b32_e32 v16, -1, v3
	;; [unrolled: 1-line block ×4, first 2 shown]
	s_waitcnt lgkmcnt(0)
	v_xor_b32_e32 v11, -1, v12
	v_xor_b32_e32 v10, -1, v13
	s_barrier
	s_cbranch_vccnz .LBB106_26
; %bb.25:
	v_mov_b32_e32 v22, 1
	v_and_b32_e32 v25, 1, v21
	v_and_b32_sdwa v26, v20, v22 dst_sel:BYTE_1 dst_unused:UNUSED_PAD src0_sel:DWORD src1_sel:DWORD
	v_and_b32_e32 v27, 1, v19
	v_and_b32_sdwa v28, v18, v22 dst_sel:BYTE_1 dst_unused:UNUSED_PAD src0_sel:DWORD src1_sel:DWORD
	;; [unrolled: 2-line block ×4, first 2 shown]
	v_or_b32_e32 v25, v25, v26
	v_or_b32_sdwa v26, v27, v28 dst_sel:WORD_1 dst_unused:UNUSED_PAD src0_sel:DWORD src1_sel:DWORD
	v_or_b32_sdwa v26, v25, v26 dst_sel:DWORD dst_unused:UNUSED_PAD src0_sel:WORD_0 src1_sel:DWORD
	v_or_b32_e32 v25, v30, v31
	v_or_b32_sdwa v27, v32, v33 dst_sel:WORD_1 dst_unused:UNUSED_PAD src0_sel:DWORD src1_sel:DWORD
	v_and_b32_e32 v24, 1, v11
	v_and_b32_e32 v22, 1, v10
	v_or_b32_sdwa v25, v25, v27 dst_sel:DWORD dst_unused:UNUSED_PAD src0_sel:WORD_0 src1_sel:DWORD
	s_load_dwordx2 s[36:37], s[4:5], 0x68
	s_cbranch_execz .LBB106_27
	s_branch .LBB106_28
.LBB106_26:
                                        ; implicit-def: $vgpr22
                                        ; implicit-def: $vgpr24
                                        ; implicit-def: $vgpr25
                                        ; implicit-def: $vgpr26
	s_load_dwordx2 s[36:37], s[4:5], 0x68
.LBB106_27:
	v_or_b32_e32 v32, 1, v23
	v_cmp_gt_u32_e32 vcc, s33, v23
	v_add_u32_e32 v22, 2, v23
	v_cndmask_b32_e64 v33, 0, 1, vcc
	v_cmp_gt_u32_e32 vcc, s33, v32
	v_add_u32_e32 v31, 3, v23
	v_cndmask_b32_e64 v32, 0, 1, vcc
	;; [unrolled: 3-line block ×3, first 2 shown]
	v_cmp_gt_u32_e32 vcc, s33, v31
	v_add_u32_e32 v30, 5, v23
	v_and_b32_e32 v19, v22, v19
	v_cndmask_b32_e64 v22, 0, 1, vcc
	v_cmp_gt_u32_e32 vcc, s33, v24
	v_add_u32_e32 v25, 6, v23
	v_and_b32_sdwa v18, v22, v18 dst_sel:BYTE_1 dst_unused:UNUSED_PAD src0_sel:DWORD src1_sel:DWORD
	v_cndmask_b32_e64 v22, 0, 1, vcc
	v_cmp_gt_u32_e32 vcc, s33, v30
	v_add_u32_e32 v28, 7, v23
	v_and_b32_e32 v17, v22, v17
	v_cndmask_b32_e64 v22, 0, 1, vcc
	v_cmp_gt_u32_e32 vcc, s33, v25
	v_add_u32_e32 v26, 8, v23
	v_and_b32_sdwa v16, v22, v16 dst_sel:BYTE_1 dst_unused:UNUSED_PAD src0_sel:DWORD src1_sel:DWORD
	v_cndmask_b32_e64 v22, 0, 1, vcc
	v_cmp_gt_u32_e32 vcc, s33, v28
	v_add_u32_e32 v27, 9, v23
	v_and_b32_e32 v15, v22, v15
	v_cndmask_b32_e64 v22, 0, 1, vcc
	v_cmp_gt_u32_e32 vcc, s33, v26
	v_and_b32_sdwa v14, v22, v14 dst_sel:BYTE_1 dst_unused:UNUSED_PAD src0_sel:DWORD src1_sel:DWORD
	v_cndmask_b32_e64 v22, 0, 1, vcc
	v_cmp_gt_u32_e32 vcc, s33, v27
	v_and_b32_e32 v21, v33, v21
	v_and_b32_sdwa v20, v32, v20 dst_sel:BYTE_1 dst_unused:UNUSED_PAD src0_sel:DWORD src1_sel:DWORD
	v_and_b32_e32 v24, v22, v11
	v_cndmask_b32_e64 v11, 0, 1, vcc
	v_and_b32_e32 v22, v11, v10
	v_or_b32_e32 v10, v21, v20
	v_or_b32_sdwa v11, v19, v18 dst_sel:WORD_1 dst_unused:UNUSED_PAD src0_sel:DWORD src1_sel:DWORD
	v_or_b32_sdwa v26, v10, v11 dst_sel:DWORD dst_unused:UNUSED_PAD src0_sel:WORD_0 src1_sel:DWORD
	v_or_b32_e32 v10, v17, v16
	v_or_b32_sdwa v11, v15, v14 dst_sel:WORD_1 dst_unused:UNUSED_PAD src0_sel:DWORD src1_sel:DWORD
	v_or_b32_sdwa v25, v10, v11 dst_sel:DWORD dst_unused:UNUSED_PAD src0_sel:WORD_0 src1_sel:DWORD
.LBB106_28:
	v_bfe_u32 v30, v26, 16, 8
	v_lshrrev_b32_e32 v28, 24, v26
	v_add_u32_sdwa v11, v26, v26 dst_sel:DWORD dst_unused:UNUSED_PAD src0_sel:BYTE_1 src1_sel:BYTE_0
	v_and_b32_e32 v31, 0xff, v25
	v_bfe_u32 v32, v25, 8, 8
	v_add3_u32 v11, v11, v30, v28
	v_bfe_u32 v33, v25, 16, 8
	v_lshrrev_b32_e32 v27, 24, v25
	v_add3_u32 v11, v11, v31, v32
	v_and_b32_e32 v34, 0xff, v24
	v_and_b32_e32 v10, 0xff, v22
	v_add3_u32 v11, v11, v33, v27
	v_add3_u32 v37, v11, v34, v10
	v_mbcnt_lo_u32_b32 v10, -1, 0
	v_mbcnt_hi_u32_b32 v35, -1, v10
	v_and_b32_e32 v10, 15, v35
	v_cmp_eq_u32_e64 s[16:17], 0, v10
	v_cmp_lt_u32_e64 s[14:15], 1, v10
	v_cmp_lt_u32_e64 s[12:13], 3, v10
	;; [unrolled: 1-line block ×3, first 2 shown]
	v_and_b32_e32 v10, 16, v35
	v_cmp_eq_u32_e64 s[8:9], 0, v10
	v_or_b32_e32 v10, 63, v0
	s_cmp_lg_u32 s6, 0
	v_cmp_lt_u32_e64 s[2:3], 31, v35
	v_lshrrev_b32_e32 v36, 6, v0
	v_cmp_eq_u32_e64 s[20:21], v10, v0
	s_cbranch_scc0 .LBB106_59
; %bb.29:
	v_mov_b32_dpp v10, v37 row_shr:1 row_mask:0xf bank_mask:0xf
	v_cndmask_b32_e64 v10, v10, 0, s[16:17]
	v_add_u32_e32 v10, v10, v37
	s_nop 1
	v_mov_b32_dpp v11, v10 row_shr:2 row_mask:0xf bank_mask:0xf
	v_cndmask_b32_e64 v11, 0, v11, s[14:15]
	v_add_u32_e32 v10, v10, v11
	s_nop 1
	;; [unrolled: 4-line block ×4, first 2 shown]
	v_mov_b32_dpp v11, v10 row_bcast:15 row_mask:0xf bank_mask:0xf
	v_cndmask_b32_e64 v11, v11, 0, s[8:9]
	v_add_u32_e32 v10, v10, v11
	s_nop 1
	v_mov_b32_dpp v11, v10 row_bcast:31 row_mask:0xf bank_mask:0xf
	v_cndmask_b32_e64 v11, 0, v11, s[2:3]
	v_add_u32_e32 v10, v10, v11
	s_and_saveexec_b64 s[18:19], s[20:21]
	s_cbranch_execz .LBB106_31
; %bb.30:
	v_lshlrev_b32_e32 v11, 2, v36
	ds_write_b32 v11, v10
.LBB106_31:
	s_or_b64 exec, exec, s[18:19]
	v_cmp_gt_u32_e32 vcc, 4, v0
	s_waitcnt lgkmcnt(0)
	s_barrier
	s_and_saveexec_b64 s[18:19], vcc
	s_cbranch_execz .LBB106_33
; %bb.32:
	ds_read_b32 v11, v1
	v_and_b32_e32 v14, 3, v35
	v_cmp_ne_u32_e32 vcc, 0, v14
	s_waitcnt lgkmcnt(0)
	v_mov_b32_dpp v15, v11 row_shr:1 row_mask:0xf bank_mask:0xf
	v_cndmask_b32_e32 v15, 0, v15, vcc
	v_add_u32_e32 v11, v15, v11
	v_cmp_lt_u32_e32 vcc, 1, v14
	s_nop 0
	v_mov_b32_dpp v15, v11 row_shr:2 row_mask:0xf bank_mask:0xf
	v_cndmask_b32_e32 v14, 0, v15, vcc
	v_add_u32_e32 v11, v11, v14
	ds_write_b32 v1, v11
.LBB106_33:
	s_or_b64 exec, exec, s[18:19]
	v_cmp_gt_u32_e32 vcc, 64, v0
	v_cmp_lt_u32_e64 s[18:19], 63, v0
	s_waitcnt lgkmcnt(0)
	s_barrier
	s_waitcnt lgkmcnt(0)
                                        ; implicit-def: $vgpr38
	s_and_saveexec_b64 s[38:39], s[18:19]
	s_cbranch_execz .LBB106_35
; %bb.34:
	v_lshl_add_u32 v11, v36, 2, -4
	ds_read_b32 v38, v11
	s_waitcnt lgkmcnt(0)
	v_add_u32_e32 v10, v38, v10
.LBB106_35:
	s_or_b64 exec, exec, s[38:39]
	v_add_u32_e32 v11, -1, v35
	v_and_b32_e32 v14, 64, v35
	v_cmp_lt_i32_e64 s[18:19], v11, v14
	v_cndmask_b32_e64 v11, v11, v35, s[18:19]
	v_lshlrev_b32_e32 v11, 2, v11
	ds_bpermute_b32 v39, v11, v10
	v_cmp_eq_u32_e64 s[18:19], 0, v35
	s_and_saveexec_b64 s[38:39], vcc
	s_cbranch_execz .LBB106_58
; %bb.36:
	v_mov_b32_e32 v21, 0
	ds_read_b32 v10, v21 offset:12
	s_and_saveexec_b64 s[40:41], s[18:19]
	s_cbranch_execz .LBB106_38
; %bb.37:
	s_add_i32 s42, s6, 64
	s_mov_b32 s43, 0
	s_lshl_b64 s[42:43], s[42:43], 3
	s_add_u32 s42, s36, s42
	v_mov_b32_e32 v11, 1
	s_addc_u32 s43, s37, s43
	s_waitcnt lgkmcnt(0)
	global_store_dwordx2 v21, v[10:11], s[42:43]
.LBB106_38:
	s_or_b64 exec, exec, s[40:41]
	v_xad_u32 v14, v35, -1, s6
	v_add_u32_e32 v20, 64, v14
	v_lshlrev_b64 v[16:17], 3, v[20:21]
	v_mov_b32_e32 v11, s37
	v_add_co_u32_e32 v16, vcc, s36, v16
	v_addc_co_u32_e32 v17, vcc, v11, v17, vcc
	global_load_dwordx2 v[18:19], v[16:17], off glc
	s_waitcnt vmcnt(0)
	v_cmp_eq_u16_sdwa s[42:43], v19, v21 src0_sel:BYTE_0 src1_sel:DWORD
	s_and_saveexec_b64 s[40:41], s[42:43]
	s_cbranch_execz .LBB106_44
; %bb.39:
	s_mov_b32 s7, 1
	s_mov_b64 s[42:43], 0
	v_mov_b32_e32 v11, 0
.LBB106_40:                             ; =>This Loop Header: Depth=1
                                        ;     Child Loop BB106_41 Depth 2
	s_max_u32 s31, s7, 1
.LBB106_41:                             ;   Parent Loop BB106_40 Depth=1
                                        ; =>  This Inner Loop Header: Depth=2
	s_add_i32 s31, s31, -1
	s_cmp_eq_u32 s31, 0
	s_sleep 1
	s_cbranch_scc0 .LBB106_41
; %bb.42:                               ;   in Loop: Header=BB106_40 Depth=1
	global_load_dwordx2 v[18:19], v[16:17], off glc
	s_cmp_lt_u32 s7, 32
	s_cselect_b64 s[44:45], -1, 0
	s_cmp_lg_u64 s[44:45], 0
	s_addc_u32 s7, s7, 0
	s_waitcnt vmcnt(0)
	v_cmp_ne_u16_sdwa s[44:45], v19, v11 src0_sel:BYTE_0 src1_sel:DWORD
	s_or_b64 s[42:43], s[44:45], s[42:43]
	s_andn2_b64 exec, exec, s[42:43]
	s_cbranch_execnz .LBB106_40
; %bb.43:
	s_or_b64 exec, exec, s[42:43]
.LBB106_44:
	s_or_b64 exec, exec, s[40:41]
	v_and_b32_e32 v41, 63, v35
	v_mov_b32_e32 v40, 2
	v_cmp_ne_u32_e32 vcc, 63, v41
	v_cmp_eq_u16_sdwa s[40:41], v19, v40 src0_sel:BYTE_0 src1_sel:DWORD
	v_lshlrev_b64 v[16:17], v35, -1
	v_addc_co_u32_e32 v20, vcc, 0, v35, vcc
	v_and_b32_e32 v11, s41, v17
	v_lshlrev_b32_e32 v42, 2, v20
	v_or_b32_e32 v11, 0x80000000, v11
	ds_bpermute_b32 v20, v42, v18
	v_and_b32_e32 v15, s40, v16
	v_ffbl_b32_e32 v11, v11
	v_add_u32_e32 v11, 32, v11
	v_ffbl_b32_e32 v15, v15
	v_min_u32_e32 v11, v15, v11
	v_cmp_lt_u32_e32 vcc, v41, v11
	s_waitcnt lgkmcnt(0)
	v_cndmask_b32_e32 v15, 0, v20, vcc
	v_cmp_gt_u32_e32 vcc, 62, v41
	v_add_u32_e32 v15, v15, v18
	v_cndmask_b32_e64 v18, 0, 1, vcc
	v_lshlrev_b32_e32 v18, 1, v18
	v_add_lshl_u32 v43, v18, v35, 2
	ds_bpermute_b32 v18, v43, v15
	v_add_u32_e32 v44, 2, v41
	v_cmp_le_u32_e32 vcc, v44, v11
	v_add_u32_e32 v46, 4, v41
	v_add_u32_e32 v48, 8, v41
	s_waitcnt lgkmcnt(0)
	v_cndmask_b32_e32 v18, 0, v18, vcc
	v_cmp_gt_u32_e32 vcc, 60, v41
	v_add_u32_e32 v15, v15, v18
	v_cndmask_b32_e64 v18, 0, 1, vcc
	v_lshlrev_b32_e32 v18, 2, v18
	v_add_lshl_u32 v45, v18, v35, 2
	ds_bpermute_b32 v18, v45, v15
	v_cmp_le_u32_e32 vcc, v46, v11
	v_add_u32_e32 v50, 16, v41
	v_add_u32_e32 v52, 32, v41
	s_waitcnt lgkmcnt(0)
	v_cndmask_b32_e32 v18, 0, v18, vcc
	v_cmp_gt_u32_e32 vcc, 56, v41
	v_add_u32_e32 v15, v15, v18
	v_cndmask_b32_e64 v18, 0, 1, vcc
	v_lshlrev_b32_e32 v18, 3, v18
	v_add_lshl_u32 v47, v18, v35, 2
	ds_bpermute_b32 v18, v47, v15
	v_cmp_le_u32_e32 vcc, v48, v11
	s_waitcnt lgkmcnt(0)
	v_cndmask_b32_e32 v18, 0, v18, vcc
	v_cmp_gt_u32_e32 vcc, 48, v41
	v_add_u32_e32 v15, v15, v18
	v_cndmask_b32_e64 v18, 0, 1, vcc
	v_lshlrev_b32_e32 v18, 4, v18
	v_add_lshl_u32 v49, v18, v35, 2
	ds_bpermute_b32 v18, v49, v15
	v_cmp_le_u32_e32 vcc, v50, v11
	;; [unrolled: 9-line block ×3, first 2 shown]
	s_waitcnt lgkmcnt(0)
	v_cndmask_b32_e32 v11, 0, v18, vcc
	v_add_u32_e32 v18, v15, v11
	v_mov_b32_e32 v15, 0
	s_branch .LBB106_46
.LBB106_45:                             ;   in Loop: Header=BB106_46 Depth=1
	s_or_b64 exec, exec, s[40:41]
	v_cmp_eq_u16_sdwa s[40:41], v19, v40 src0_sel:BYTE_0 src1_sel:DWORD
	v_and_b32_e32 v20, s41, v17
	v_or_b32_e32 v20, 0x80000000, v20
	ds_bpermute_b32 v53, v42, v18
	v_and_b32_e32 v21, s40, v16
	v_ffbl_b32_e32 v20, v20
	v_add_u32_e32 v20, 32, v20
	v_ffbl_b32_e32 v21, v21
	v_min_u32_e32 v20, v21, v20
	v_cmp_lt_u32_e32 vcc, v41, v20
	s_waitcnt lgkmcnt(0)
	v_cndmask_b32_e32 v21, 0, v53, vcc
	v_add_u32_e32 v18, v21, v18
	ds_bpermute_b32 v21, v43, v18
	v_cmp_le_u32_e32 vcc, v44, v20
	v_subrev_u32_e32 v14, 64, v14
	s_waitcnt lgkmcnt(0)
	v_cndmask_b32_e32 v21, 0, v21, vcc
	v_add_u32_e32 v18, v18, v21
	ds_bpermute_b32 v21, v45, v18
	v_cmp_le_u32_e32 vcc, v46, v20
	s_waitcnt lgkmcnt(0)
	v_cndmask_b32_e32 v21, 0, v21, vcc
	v_add_u32_e32 v18, v18, v21
	ds_bpermute_b32 v21, v47, v18
	v_cmp_le_u32_e32 vcc, v48, v20
	;; [unrolled: 5-line block ×4, first 2 shown]
	s_waitcnt lgkmcnt(0)
	v_cndmask_b32_e32 v20, 0, v21, vcc
	v_add3_u32 v18, v20, v11, v18
.LBB106_46:                             ; =>This Loop Header: Depth=1
                                        ;     Child Loop BB106_49 Depth 2
                                        ;       Child Loop BB106_50 Depth 3
	v_cmp_ne_u16_sdwa s[40:41], v19, v40 src0_sel:BYTE_0 src1_sel:DWORD
	v_cndmask_b32_e64 v11, 0, 1, s[40:41]
	;;#ASMSTART
	;;#ASMEND
	v_cmp_ne_u32_e32 vcc, 0, v11
	s_cmp_lg_u64 vcc, exec
	v_mov_b32_e32 v11, v18
	s_cbranch_scc1 .LBB106_53
; %bb.47:                               ;   in Loop: Header=BB106_46 Depth=1
	v_lshlrev_b64 v[18:19], 3, v[14:15]
	v_mov_b32_e32 v21, s37
	v_add_co_u32_e32 v20, vcc, s36, v18
	v_addc_co_u32_e32 v21, vcc, v21, v19, vcc
	global_load_dwordx2 v[18:19], v[20:21], off glc
	s_waitcnt vmcnt(0)
	v_cmp_eq_u16_sdwa s[42:43], v19, v15 src0_sel:BYTE_0 src1_sel:DWORD
	s_and_saveexec_b64 s[40:41], s[42:43]
	s_cbranch_execz .LBB106_45
; %bb.48:                               ;   in Loop: Header=BB106_46 Depth=1
	s_mov_b32 s7, 1
	s_mov_b64 s[42:43], 0
.LBB106_49:                             ;   Parent Loop BB106_46 Depth=1
                                        ; =>  This Loop Header: Depth=2
                                        ;       Child Loop BB106_50 Depth 3
	s_max_u32 s31, s7, 1
.LBB106_50:                             ;   Parent Loop BB106_46 Depth=1
                                        ;     Parent Loop BB106_49 Depth=2
                                        ; =>    This Inner Loop Header: Depth=3
	s_add_i32 s31, s31, -1
	s_cmp_eq_u32 s31, 0
	s_sleep 1
	s_cbranch_scc0 .LBB106_50
; %bb.51:                               ;   in Loop: Header=BB106_49 Depth=2
	global_load_dwordx2 v[18:19], v[20:21], off glc
	s_cmp_lt_u32 s7, 32
	s_cselect_b64 s[44:45], -1, 0
	s_cmp_lg_u64 s[44:45], 0
	s_addc_u32 s7, s7, 0
	s_waitcnt vmcnt(0)
	v_cmp_ne_u16_sdwa s[44:45], v19, v15 src0_sel:BYTE_0 src1_sel:DWORD
	s_or_b64 s[42:43], s[44:45], s[42:43]
	s_andn2_b64 exec, exec, s[42:43]
	s_cbranch_execnz .LBB106_49
; %bb.52:                               ;   in Loop: Header=BB106_46 Depth=1
	s_or_b64 exec, exec, s[42:43]
	s_branch .LBB106_45
.LBB106_53:                             ;   in Loop: Header=BB106_46 Depth=1
                                        ; implicit-def: $vgpr18
                                        ; implicit-def: $vgpr19
	s_cbranch_execz .LBB106_46
; %bb.54:
	s_and_saveexec_b64 s[40:41], s[18:19]
	s_cbranch_execz .LBB106_56
; %bb.55:
	s_add_i32 s6, s6, 64
	s_mov_b32 s7, 0
	s_lshl_b64 s[6:7], s[6:7], 3
	s_add_u32 s6, s36, s6
	v_add_u32_e32 v14, v11, v10
	v_mov_b32_e32 v15, 2
	s_addc_u32 s7, s37, s7
	v_mov_b32_e32 v16, 0
	global_store_dwordx2 v16, v[14:15], s[6:7]
	ds_write_b64 v16, v[10:11] offset:10240
.LBB106_56:
	s_or_b64 exec, exec, s[40:41]
	v_cmp_eq_u32_e32 vcc, 0, v0
	s_and_b64 exec, exec, vcc
	s_cbranch_execz .LBB106_58
; %bb.57:
	v_mov_b32_e32 v10, 0
	ds_write_b32 v10, v11 offset:12
.LBB106_58:
	s_or_b64 exec, exec, s[38:39]
	v_mov_b32_e32 v10, 0
	s_waitcnt lgkmcnt(0)
	s_barrier
	ds_read_b32 v11, v10 offset:12
	v_cndmask_b32_e64 v14, v39, v38, s[18:19]
	v_cmp_ne_u32_e32 vcc, 0, v0
	v_cndmask_b32_e32 v14, 0, v14, vcc
	s_waitcnt lgkmcnt(0)
	v_add_u32_e32 v39, v11, v14
	v_add_u32_sdwa v38, v39, v26 dst_sel:DWORD dst_unused:UNUSED_PAD src0_sel:DWORD src1_sel:BYTE_0
	v_add_u32_sdwa v21, v38, v26 dst_sel:DWORD dst_unused:UNUSED_PAD src0_sel:DWORD src1_sel:BYTE_1
	v_add_u32_e32 v20, v21, v30
	v_add_u32_e32 v19, v20, v28
	v_add_u32_e32 v18, v19, v31
	s_barrier
	ds_read_b64 v[10:11], v10 offset:10240
	v_add_u32_e32 v17, v18, v32
	v_add_u32_e32 v16, v17, v33
	;; [unrolled: 1-line block ×4, first 2 shown]
	s_load_dwordx2 s[4:5], s[4:5], 0x28
	s_branch .LBB106_69
.LBB106_59:
                                        ; implicit-def: $vgpr11
                                        ; implicit-def: $vgpr14
                                        ; implicit-def: $vgpr15
                                        ; implicit-def: $vgpr16
                                        ; implicit-def: $vgpr17
                                        ; implicit-def: $vgpr18
                                        ; implicit-def: $vgpr19
                                        ; implicit-def: $vgpr20
                                        ; implicit-def: $vgpr21
                                        ; implicit-def: $vgpr38
                                        ; implicit-def: $vgpr39
	s_load_dwordx2 s[4:5], s[4:5], 0x28
	s_cbranch_execz .LBB106_69
; %bb.60:
	s_waitcnt lgkmcnt(0)
	v_mov_b32_dpp v10, v37 row_shr:1 row_mask:0xf bank_mask:0xf
	v_cndmask_b32_e64 v10, v10, 0, s[16:17]
	v_add_u32_e32 v10, v10, v37
	s_nop 1
	v_mov_b32_dpp v11, v10 row_shr:2 row_mask:0xf bank_mask:0xf
	v_cndmask_b32_e64 v11, 0, v11, s[14:15]
	v_add_u32_e32 v10, v10, v11
	s_nop 1
	v_mov_b32_dpp v11, v10 row_shr:4 row_mask:0xf bank_mask:0xf
	v_cndmask_b32_e64 v11, 0, v11, s[12:13]
	v_add_u32_e32 v10, v10, v11
	s_nop 1
	v_mov_b32_dpp v11, v10 row_shr:8 row_mask:0xf bank_mask:0xf
	v_cndmask_b32_e64 v11, 0, v11, s[10:11]
	v_add_u32_e32 v10, v10, v11
	s_nop 1
	v_mov_b32_dpp v11, v10 row_bcast:15 row_mask:0xf bank_mask:0xf
	v_cndmask_b32_e64 v11, v11, 0, s[8:9]
	v_add_u32_e32 v10, v10, v11
	s_nop 1
	v_mov_b32_dpp v11, v10 row_bcast:31 row_mask:0xf bank_mask:0xf
	v_cndmask_b32_e64 v11, 0, v11, s[2:3]
	v_add_u32_e32 v10, v10, v11
	s_and_saveexec_b64 s[2:3], s[20:21]
	s_cbranch_execz .LBB106_62
; %bb.61:
	v_lshlrev_b32_e32 v11, 2, v36
	ds_write_b32 v11, v10
.LBB106_62:
	s_or_b64 exec, exec, s[2:3]
	v_cmp_gt_u32_e32 vcc, 4, v0
	s_waitcnt lgkmcnt(0)
	s_barrier
	s_and_saveexec_b64 s[2:3], vcc
	s_cbranch_execz .LBB106_64
; %bb.63:
	s_movk_i32 s6, 0xffdc
	v_mad_i32_i24 v11, v0, s6, v29
	ds_read_b32 v14, v11
	v_and_b32_e32 v15, 3, v35
	v_cmp_ne_u32_e32 vcc, 0, v15
	s_waitcnt lgkmcnt(0)
	v_mov_b32_dpp v16, v14 row_shr:1 row_mask:0xf bank_mask:0xf
	v_cndmask_b32_e32 v16, 0, v16, vcc
	v_add_u32_e32 v14, v16, v14
	v_cmp_lt_u32_e32 vcc, 1, v15
	s_nop 0
	v_mov_b32_dpp v16, v14 row_shr:2 row_mask:0xf bank_mask:0xf
	v_cndmask_b32_e32 v15, 0, v16, vcc
	v_add_u32_e32 v14, v14, v15
	ds_write_b32 v11, v14
.LBB106_64:
	s_or_b64 exec, exec, s[2:3]
	v_cmp_lt_u32_e32 vcc, 63, v0
	v_mov_b32_e32 v11, 0
	v_mov_b32_e32 v14, 0
	s_waitcnt lgkmcnt(0)
	s_barrier
	s_and_saveexec_b64 s[2:3], vcc
	s_cbranch_execz .LBB106_66
; %bb.65:
	v_lshl_add_u32 v14, v36, 2, -4
	ds_read_b32 v14, v14
.LBB106_66:
	s_or_b64 exec, exec, s[2:3]
	v_add_u32_e32 v15, -1, v35
	v_and_b32_e32 v16, 64, v35
	v_cmp_lt_i32_e32 vcc, v15, v16
	v_cndmask_b32_e32 v15, v15, v35, vcc
	s_waitcnt lgkmcnt(0)
	v_add_u32_e32 v10, v14, v10
	v_lshlrev_b32_e32 v15, 2, v15
	ds_bpermute_b32 v15, v15, v10
	ds_read_b32 v10, v11 offset:12
	v_cmp_eq_u32_e32 vcc, 0, v0
	s_and_saveexec_b64 s[2:3], vcc
	s_cbranch_execz .LBB106_68
; %bb.67:
	v_mov_b32_e32 v16, 0
	v_mov_b32_e32 v11, 2
	s_waitcnt lgkmcnt(0)
	global_store_dwordx2 v16, v[10:11], s[36:37] offset:512
.LBB106_68:
	s_or_b64 exec, exec, s[2:3]
	v_cmp_eq_u32_e64 s[2:3], 0, v35
	s_waitcnt lgkmcnt(1)
	v_cndmask_b32_e64 v14, v15, v14, s[2:3]
	v_cndmask_b32_e64 v39, v14, 0, vcc
	v_add_u32_sdwa v38, v39, v26 dst_sel:DWORD dst_unused:UNUSED_PAD src0_sel:DWORD src1_sel:BYTE_0
	v_add_u32_sdwa v21, v38, v26 dst_sel:DWORD dst_unused:UNUSED_PAD src0_sel:DWORD src1_sel:BYTE_1
	v_add_u32_e32 v20, v21, v30
	v_add_u32_e32 v19, v20, v28
	;; [unrolled: 1-line block ×6, first 2 shown]
	v_mov_b32_e32 v11, 0
	v_add_u32_e32 v14, v15, v34
	s_waitcnt lgkmcnt(0)
	s_barrier
.LBB106_69:
	s_waitcnt lgkmcnt(0)
	v_add_u32_e32 v23, v10, v23
	v_sub_u32_e32 v31, v39, v11
	v_and_b32_e32 v33, 1, v26
	v_sub_u32_e32 v32, v23, v31
	v_cmp_eq_u32_e32 vcc, 1, v33
	v_cndmask_b32_e32 v31, v32, v31, vcc
	v_lshlrev_b32_e32 v31, 2, v31
	v_lshrrev_b32_e32 v30, 8, v26
	ds_write_b32 v31, v6
	v_sub_u32_e32 v6, v38, v11
	v_sub_u32_e32 v31, v23, v6
	v_and_b32_e32 v30, 1, v30
	v_add_u32_e32 v31, 1, v31
	v_cmp_eq_u32_e32 vcc, 1, v30
	v_cndmask_b32_e32 v6, v31, v6, vcc
	v_lshlrev_b32_e32 v6, 2, v6
	ds_write_b32 v6, v7
	v_sub_u32_e32 v6, v21, v11
	v_mov_b32_e32 v21, 1
	v_sub_u32_e32 v7, v23, v6
	v_and_b32_sdwa v26, v21, v26 dst_sel:DWORD dst_unused:UNUSED_PAD src0_sel:DWORD src1_sel:WORD_1
	v_add_u32_e32 v7, 2, v7
	v_cmp_eq_u32_e32 vcc, 1, v26
	v_cndmask_b32_e32 v6, v7, v6, vcc
	v_lshlrev_b32_e32 v6, 2, v6
	ds_write_b32 v6, v8
	v_sub_u32_e32 v6, v20, v11
	v_sub_u32_e32 v7, v23, v6
	v_and_b32_e32 v8, 1, v28
	v_add_u32_e32 v7, 3, v7
	v_cmp_eq_u32_e32 vcc, 1, v8
	v_cndmask_b32_e32 v6, v7, v6, vcc
	v_lshlrev_b32_e32 v6, 2, v6
	ds_write_b32 v6, v9
	v_sub_u32_e32 v6, v19, v11
	v_sub_u32_e32 v7, v23, v6
	v_and_b32_e32 v8, 1, v25
	v_add_u32_e32 v7, 4, v7
	v_cmp_eq_u32_e32 vcc, 1, v8
	v_cndmask_b32_e32 v6, v7, v6, vcc
	v_lshlrev_b32_e32 v6, 2, v6
	v_lshrrev_b32_e32 v29, 8, v25
	ds_write_b32 v6, v2
	v_sub_u32_e32 v2, v18, v11
	v_sub_u32_e32 v6, v23, v2
	v_and_b32_e32 v7, 1, v29
	v_add_u32_e32 v6, 5, v6
	v_cmp_eq_u32_e32 vcc, 1, v7
	v_cndmask_b32_e32 v2, v6, v2, vcc
	v_lshlrev_b32_e32 v2, 2, v2
	ds_write_b32 v2, v3
	v_sub_u32_e32 v2, v17, v11
	v_sub_u32_e32 v3, v23, v2
	v_and_b32_sdwa v6, v21, v25 dst_sel:DWORD dst_unused:UNUSED_PAD src0_sel:DWORD src1_sel:WORD_1
	v_add_u32_e32 v3, 6, v3
	v_cmp_eq_u32_e32 vcc, 1, v6
	v_cndmask_b32_e32 v2, v3, v2, vcc
	v_lshlrev_b32_e32 v2, 2, v2
	ds_write_b32 v2, v4
	v_sub_u32_e32 v2, v16, v11
	v_sub_u32_e32 v3, v23, v2
	v_and_b32_e32 v4, 1, v27
	v_add_u32_e32 v3, 7, v3
	v_cmp_eq_u32_e32 vcc, 1, v4
	v_cndmask_b32_e32 v2, v3, v2, vcc
	v_lshlrev_b32_e32 v2, 2, v2
	ds_write_b32 v2, v5
	v_sub_u32_e32 v2, v15, v11
	v_sub_u32_e32 v3, v23, v2
	v_and_b32_e32 v4, 1, v24
	;; [unrolled: 8-line block ×3, first 2 shown]
	v_add_u32_e32 v3, 9, v3
	v_cmp_eq_u32_e32 vcc, 1, v4
	v_cndmask_b32_e32 v2, v3, v2, vcc
	s_add_u32 s2, s22, s30
	v_lshlrev_b32_e32 v2, 2, v2
	s_addc_u32 s3, s23, 0
	ds_write_b32 v2, v13
	s_waitcnt lgkmcnt(0)
	s_barrier
	ds_read2st64_b32 v[12:13], v1 offset1:4
	ds_read2st64_b32 v[8:9], v1 offset0:8 offset1:12
	ds_read2st64_b32 v[6:7], v1 offset0:16 offset1:20
	ds_read2st64_b32 v[4:5], v1 offset0:24 offset1:28
	ds_read2st64_b32 v[2:3], v1 offset0:32 offset1:36
	v_mov_b32_e32 v14, s35
	v_add_co_u32_e32 v1, vcc, s34, v11
	s_sub_u32 s2, s28, s2
	v_addc_co_u32_e32 v11, vcc, 0, v14, vcc
	s_subb_u32 s3, s29, s3
	v_mov_b32_e32 v14, s3
	v_add_co_u32_e32 v15, vcc, s2, v10
	v_addc_co_u32_e32 v14, vcc, 0, v14, vcc
	s_and_b64 vcc, exec, s[0:1]
	v_add_co_u32_e64 v17, s[0:1], v15, v1
	v_or_b32_e32 v26, 0x100, v0
	v_or_b32_e32 v25, 0x200, v0
	;; [unrolled: 1-line block ×9, first 2 shown]
	v_addc_co_u32_e64 v18, s[0:1], v14, v11, s[0:1]
	s_cbranch_vccnz .LBB106_111
; %bb.70:
	v_cmp_ge_u32_e32 vcc, v0, v10
                                        ; implicit-def: $vgpr14_vgpr15
	s_and_saveexec_b64 s[0:1], vcc
	s_xor_b64 s[0:1], exec, s[0:1]
; %bb.71:
	v_not_b32_e32 v14, v0
	v_ashrrev_i32_e32 v15, 31, v14
	v_add_co_u32_e32 v14, vcc, v17, v14
	v_addc_co_u32_e32 v15, vcc, v18, v15, vcc
; %bb.72:
	s_andn2_saveexec_b64 s[0:1], s[0:1]
; %bb.73:
	v_add_co_u32_e32 v14, vcc, v1, v0
	v_addc_co_u32_e32 v15, vcc, 0, v11, vcc
; %bb.74:
	s_or_b64 exec, exec, s[0:1]
	v_lshlrev_b64 v[14:15], 2, v[14:15]
	v_mov_b32_e32 v27, s5
	v_add_co_u32_e32 v14, vcc, s4, v14
	v_addc_co_u32_e32 v15, vcc, v27, v15, vcc
	v_cmp_ge_u32_e32 vcc, v26, v10
	s_waitcnt lgkmcnt(4)
	global_store_dword v[14:15], v12, off
                                        ; implicit-def: $vgpr14_vgpr15
	s_and_saveexec_b64 s[0:1], vcc
	s_xor_b64 s[0:1], exec, s[0:1]
; %bb.75:
	v_xor_b32_e32 v14, 0xfffffeff, v0
	v_ashrrev_i32_e32 v15, 31, v14
	v_add_co_u32_e32 v14, vcc, v17, v14
	v_addc_co_u32_e32 v15, vcc, v18, v15, vcc
; %bb.76:
	s_andn2_saveexec_b64 s[0:1], s[0:1]
; %bb.77:
	v_add_co_u32_e32 v14, vcc, v1, v26
	v_addc_co_u32_e32 v15, vcc, 0, v11, vcc
; %bb.78:
	s_or_b64 exec, exec, s[0:1]
	v_lshlrev_b64 v[14:15], 2, v[14:15]
	v_mov_b32_e32 v27, s5
	v_add_co_u32_e32 v14, vcc, s4, v14
	v_addc_co_u32_e32 v15, vcc, v27, v15, vcc
	v_cmp_ge_u32_e32 vcc, v25, v10
	global_store_dword v[14:15], v13, off
                                        ; implicit-def: $vgpr14_vgpr15
	s_and_saveexec_b64 s[0:1], vcc
	s_xor_b64 s[0:1], exec, s[0:1]
; %bb.79:
	v_xor_b32_e32 v14, 0xfffffdff, v0
	v_ashrrev_i32_e32 v15, 31, v14
	v_add_co_u32_e32 v14, vcc, v17, v14
	v_addc_co_u32_e32 v15, vcc, v18, v15, vcc
; %bb.80:
	s_andn2_saveexec_b64 s[0:1], s[0:1]
; %bb.81:
	v_add_co_u32_e32 v14, vcc, v1, v25
	v_addc_co_u32_e32 v15, vcc, 0, v11, vcc
; %bb.82:
	s_or_b64 exec, exec, s[0:1]
	v_lshlrev_b64 v[14:15], 2, v[14:15]
	v_mov_b32_e32 v27, s5
	v_add_co_u32_e32 v14, vcc, s4, v14
	v_addc_co_u32_e32 v15, vcc, v27, v15, vcc
	v_cmp_ge_u32_e32 vcc, v24, v10
	s_waitcnt lgkmcnt(3)
	global_store_dword v[14:15], v8, off
                                        ; implicit-def: $vgpr14_vgpr15
	s_and_saveexec_b64 s[0:1], vcc
	s_xor_b64 s[0:1], exec, s[0:1]
; %bb.83:
	v_xor_b32_e32 v14, 0xfffffcff, v0
	v_ashrrev_i32_e32 v15, 31, v14
	v_add_co_u32_e32 v14, vcc, v17, v14
	v_addc_co_u32_e32 v15, vcc, v18, v15, vcc
; %bb.84:
	s_andn2_saveexec_b64 s[0:1], s[0:1]
; %bb.85:
	v_add_co_u32_e32 v14, vcc, v1, v24
	v_addc_co_u32_e32 v15, vcc, 0, v11, vcc
; %bb.86:
	s_or_b64 exec, exec, s[0:1]
	v_lshlrev_b64 v[14:15], 2, v[14:15]
	v_mov_b32_e32 v27, s5
	v_add_co_u32_e32 v14, vcc, s4, v14
	v_addc_co_u32_e32 v15, vcc, v27, v15, vcc
	v_cmp_ge_u32_e32 vcc, v23, v10
	global_store_dword v[14:15], v9, off
                                        ; implicit-def: $vgpr14_vgpr15
	s_and_saveexec_b64 s[0:1], vcc
	s_xor_b64 s[0:1], exec, s[0:1]
; %bb.87:
	v_xor_b32_e32 v14, 0xfffffbff, v0
	;; [unrolled: 43-line block ×4, first 2 shown]
	v_ashrrev_i32_e32 v15, 31, v14
	v_add_co_u32_e32 v14, vcc, v17, v14
	v_addc_co_u32_e32 v15, vcc, v18, v15, vcc
; %bb.104:
	s_andn2_saveexec_b64 s[0:1], s[0:1]
; %bb.105:
	v_add_co_u32_e32 v14, vcc, v1, v19
	v_addc_co_u32_e32 v15, vcc, 0, v11, vcc
; %bb.106:
	s_or_b64 exec, exec, s[0:1]
	v_lshlrev_b64 v[14:15], 2, v[14:15]
	v_mov_b32_e32 v27, s5
	v_add_co_u32_e32 v14, vcc, s4, v14
	v_addc_co_u32_e32 v15, vcc, v27, v15, vcc
	v_cmp_ge_u32_e32 vcc, v16, v10
	s_waitcnt lgkmcnt(0)
	global_store_dword v[14:15], v2, off
                                        ; implicit-def: $vgpr14_vgpr15
	s_and_saveexec_b64 s[0:1], vcc
	s_xor_b64 s[0:1], exec, s[0:1]
; %bb.107:
	v_xor_b32_e32 v14, 0xfffff6ff, v0
	v_ashrrev_i32_e32 v15, 31, v14
	v_add_co_u32_e32 v14, vcc, v17, v14
	v_addc_co_u32_e32 v15, vcc, v18, v15, vcc
; %bb.108:
	s_andn2_saveexec_b64 s[0:1], s[0:1]
; %bb.109:
	v_add_co_u32_e32 v14, vcc, v1, v16
	v_addc_co_u32_e32 v15, vcc, 0, v11, vcc
; %bb.110:
	s_or_b64 exec, exec, s[0:1]
	s_mov_b64 s[0:1], -1
	s_branch .LBB106_173
.LBB106_111:
	s_mov_b64 s[0:1], 0
                                        ; implicit-def: $vgpr14_vgpr15
	s_cbranch_execz .LBB106_173
; %bb.112:
	v_cmp_gt_u32_e32 vcc, s33, v0
	s_and_saveexec_b64 s[2:3], vcc
	s_cbranch_execz .LBB106_138
; %bb.113:
	v_cmp_ge_u32_e32 vcc, v0, v10
                                        ; implicit-def: $vgpr14_vgpr15
	s_and_saveexec_b64 s[6:7], vcc
	s_xor_b64 s[6:7], exec, s[6:7]
; %bb.114:
	v_not_b32_e32 v14, v0
	v_ashrrev_i32_e32 v15, 31, v14
	v_add_co_u32_e32 v14, vcc, v17, v14
	v_addc_co_u32_e32 v15, vcc, v18, v15, vcc
; %bb.115:
	s_andn2_saveexec_b64 s[6:7], s[6:7]
; %bb.116:
	v_add_co_u32_e32 v14, vcc, v1, v0
	v_addc_co_u32_e32 v15, vcc, 0, v11, vcc
; %bb.117:
	s_or_b64 exec, exec, s[6:7]
	v_lshlrev_b64 v[14:15], 2, v[14:15]
	v_mov_b32_e32 v27, s5
	v_add_co_u32_e32 v14, vcc, s4, v14
	v_addc_co_u32_e32 v15, vcc, v27, v15, vcc
	s_waitcnt lgkmcnt(4)
	global_store_dword v[14:15], v12, off
	s_or_b64 exec, exec, s[2:3]
	v_cmp_gt_u32_e32 vcc, s33, v26
	s_and_saveexec_b64 s[2:3], vcc
	s_cbranch_execnz .LBB106_139
.LBB106_118:
	s_or_b64 exec, exec, s[2:3]
	v_cmp_gt_u32_e32 vcc, s33, v25
	s_and_saveexec_b64 s[2:3], vcc
	s_cbranch_execz .LBB106_144
.LBB106_119:
	v_cmp_ge_u32_e32 vcc, v25, v10
                                        ; implicit-def: $vgpr12_vgpr13
	s_and_saveexec_b64 s[6:7], vcc
	s_xor_b64 s[6:7], exec, s[6:7]
	s_cbranch_execz .LBB106_121
; %bb.120:
	s_waitcnt lgkmcnt(4)
	v_xor_b32_e32 v12, 0xfffffdff, v0
	v_ashrrev_i32_e32 v13, 31, v12
	v_add_co_u32_e32 v12, vcc, v17, v12
	v_addc_co_u32_e32 v13, vcc, v18, v13, vcc
                                        ; implicit-def: $vgpr25
.LBB106_121:
	s_andn2_saveexec_b64 s[6:7], s[6:7]
	s_cbranch_execz .LBB106_123
; %bb.122:
	s_waitcnt lgkmcnt(4)
	v_add_co_u32_e32 v12, vcc, v1, v25
	v_addc_co_u32_e32 v13, vcc, 0, v11, vcc
.LBB106_123:
	s_or_b64 exec, exec, s[6:7]
	s_waitcnt lgkmcnt(4)
	v_lshlrev_b64 v[12:13], 2, v[12:13]
	v_mov_b32_e32 v14, s5
	v_add_co_u32_e32 v12, vcc, s4, v12
	v_addc_co_u32_e32 v13, vcc, v14, v13, vcc
	s_waitcnt lgkmcnt(3)
	global_store_dword v[12:13], v8, off
	s_or_b64 exec, exec, s[2:3]
	v_cmp_gt_u32_e32 vcc, s33, v24
	s_and_saveexec_b64 s[2:3], vcc
	s_cbranch_execnz .LBB106_145
.LBB106_124:
	s_or_b64 exec, exec, s[2:3]
	v_cmp_gt_u32_e32 vcc, s33, v23
	s_and_saveexec_b64 s[2:3], vcc
	s_cbranch_execz .LBB106_150
.LBB106_125:
	v_cmp_ge_u32_e32 vcc, v23, v10
                                        ; implicit-def: $vgpr8_vgpr9
	s_and_saveexec_b64 s[6:7], vcc
	s_xor_b64 s[6:7], exec, s[6:7]
	s_cbranch_execz .LBB106_127
; %bb.126:
	s_waitcnt lgkmcnt(3)
	v_xor_b32_e32 v8, 0xfffffbff, v0
	v_ashrrev_i32_e32 v9, 31, v8
	v_add_co_u32_e32 v8, vcc, v17, v8
	v_addc_co_u32_e32 v9, vcc, v18, v9, vcc
                                        ; implicit-def: $vgpr23
.LBB106_127:
	s_andn2_saveexec_b64 s[6:7], s[6:7]
	s_cbranch_execz .LBB106_129
; %bb.128:
	s_waitcnt lgkmcnt(3)
	v_add_co_u32_e32 v8, vcc, v1, v23
	v_addc_co_u32_e32 v9, vcc, 0, v11, vcc
.LBB106_129:
	s_or_b64 exec, exec, s[6:7]
	s_waitcnt lgkmcnt(3)
	v_lshlrev_b64 v[8:9], 2, v[8:9]
	v_mov_b32_e32 v12, s5
	v_add_co_u32_e32 v8, vcc, s4, v8
	v_addc_co_u32_e32 v9, vcc, v12, v9, vcc
	s_waitcnt lgkmcnt(2)
	global_store_dword v[8:9], v6, off
	s_or_b64 exec, exec, s[2:3]
	v_cmp_gt_u32_e32 vcc, s33, v22
	s_and_saveexec_b64 s[2:3], vcc
	s_cbranch_execnz .LBB106_151
.LBB106_130:
	s_or_b64 exec, exec, s[2:3]
	v_cmp_gt_u32_e32 vcc, s33, v21
	s_and_saveexec_b64 s[2:3], vcc
	s_cbranch_execz .LBB106_156
.LBB106_131:
	v_cmp_ge_u32_e32 vcc, v21, v10
                                        ; implicit-def: $vgpr6_vgpr7
	s_and_saveexec_b64 s[6:7], vcc
	s_xor_b64 s[6:7], exec, s[6:7]
	s_cbranch_execz .LBB106_133
; %bb.132:
	s_waitcnt lgkmcnt(2)
	v_xor_b32_e32 v6, 0xfffff9ff, v0
	v_ashrrev_i32_e32 v7, 31, v6
	v_add_co_u32_e32 v6, vcc, v17, v6
	v_addc_co_u32_e32 v7, vcc, v18, v7, vcc
                                        ; implicit-def: $vgpr21
.LBB106_133:
	s_andn2_saveexec_b64 s[6:7], s[6:7]
	s_cbranch_execz .LBB106_135
; %bb.134:
	s_waitcnt lgkmcnt(2)
	v_add_co_u32_e32 v6, vcc, v1, v21
	v_addc_co_u32_e32 v7, vcc, 0, v11, vcc
.LBB106_135:
	s_or_b64 exec, exec, s[6:7]
	s_waitcnt lgkmcnt(2)
	v_lshlrev_b64 v[6:7], 2, v[6:7]
	v_mov_b32_e32 v8, s5
	v_add_co_u32_e32 v6, vcc, s4, v6
	v_addc_co_u32_e32 v7, vcc, v8, v7, vcc
	s_waitcnt lgkmcnt(1)
	global_store_dword v[6:7], v4, off
	s_or_b64 exec, exec, s[2:3]
	v_cmp_gt_u32_e32 vcc, s33, v20
	s_and_saveexec_b64 s[2:3], vcc
	s_cbranch_execnz .LBB106_157
.LBB106_136:
	s_or_b64 exec, exec, s[2:3]
	v_cmp_gt_u32_e32 vcc, s33, v19
	s_and_saveexec_b64 s[2:3], vcc
	s_cbranch_execnz .LBB106_162
.LBB106_137:
	s_or_b64 exec, exec, s[2:3]
	v_cmp_gt_u32_e32 vcc, s33, v16
                                        ; implicit-def: $vgpr14_vgpr15
	s_and_saveexec_b64 s[2:3], vcc
	s_cbranch_execz .LBB106_172
	s_branch .LBB106_167
.LBB106_138:
	s_or_b64 exec, exec, s[2:3]
	v_cmp_gt_u32_e32 vcc, s33, v26
	s_and_saveexec_b64 s[2:3], vcc
	s_cbranch_execz .LBB106_118
.LBB106_139:
	v_cmp_ge_u32_e32 vcc, v26, v10
                                        ; implicit-def: $vgpr14_vgpr15
	s_and_saveexec_b64 s[6:7], vcc
	s_xor_b64 s[6:7], exec, s[6:7]
	s_cbranch_execz .LBB106_141
; %bb.140:
	s_waitcnt lgkmcnt(4)
	v_xor_b32_e32 v12, 0xfffffeff, v0
	v_ashrrev_i32_e32 v15, 31, v12
	v_add_co_u32_e32 v14, vcc, v17, v12
	v_addc_co_u32_e32 v15, vcc, v18, v15, vcc
                                        ; implicit-def: $vgpr26
.LBB106_141:
	s_andn2_saveexec_b64 s[6:7], s[6:7]
; %bb.142:
	v_add_co_u32_e32 v14, vcc, v1, v26
	v_addc_co_u32_e32 v15, vcc, 0, v11, vcc
; %bb.143:
	s_or_b64 exec, exec, s[6:7]
	v_lshlrev_b64 v[14:15], 2, v[14:15]
	s_waitcnt lgkmcnt(4)
	v_mov_b32_e32 v12, s5
	v_add_co_u32_e32 v14, vcc, s4, v14
	v_addc_co_u32_e32 v15, vcc, v12, v15, vcc
	global_store_dword v[14:15], v13, off
	s_or_b64 exec, exec, s[2:3]
	v_cmp_gt_u32_e32 vcc, s33, v25
	s_and_saveexec_b64 s[2:3], vcc
	s_cbranch_execnz .LBB106_119
.LBB106_144:
	s_or_b64 exec, exec, s[2:3]
	v_cmp_gt_u32_e32 vcc, s33, v24
	s_and_saveexec_b64 s[2:3], vcc
	s_cbranch_execz .LBB106_124
.LBB106_145:
	v_cmp_ge_u32_e32 vcc, v24, v10
                                        ; implicit-def: $vgpr12_vgpr13
	s_and_saveexec_b64 s[6:7], vcc
	s_xor_b64 s[6:7], exec, s[6:7]
	s_cbranch_execz .LBB106_147
; %bb.146:
	s_waitcnt lgkmcnt(3)
	v_xor_b32_e32 v8, 0xfffffcff, v0
	v_ashrrev_i32_e32 v13, 31, v8
	v_add_co_u32_e32 v12, vcc, v17, v8
	v_addc_co_u32_e32 v13, vcc, v18, v13, vcc
                                        ; implicit-def: $vgpr24
.LBB106_147:
	s_andn2_saveexec_b64 s[6:7], s[6:7]
	s_cbranch_execz .LBB106_149
; %bb.148:
	s_waitcnt lgkmcnt(4)
	v_add_co_u32_e32 v12, vcc, v1, v24
	v_addc_co_u32_e32 v13, vcc, 0, v11, vcc
.LBB106_149:
	s_or_b64 exec, exec, s[6:7]
	s_waitcnt lgkmcnt(4)
	v_lshlrev_b64 v[12:13], 2, v[12:13]
	s_waitcnt lgkmcnt(3)
	v_mov_b32_e32 v8, s5
	v_add_co_u32_e32 v12, vcc, s4, v12
	v_addc_co_u32_e32 v13, vcc, v8, v13, vcc
	global_store_dword v[12:13], v9, off
	s_or_b64 exec, exec, s[2:3]
	v_cmp_gt_u32_e32 vcc, s33, v23
	s_and_saveexec_b64 s[2:3], vcc
	s_cbranch_execnz .LBB106_125
.LBB106_150:
	s_or_b64 exec, exec, s[2:3]
	v_cmp_gt_u32_e32 vcc, s33, v22
	s_and_saveexec_b64 s[2:3], vcc
	s_cbranch_execz .LBB106_130
.LBB106_151:
	v_cmp_ge_u32_e32 vcc, v22, v10
                                        ; implicit-def: $vgpr8_vgpr9
	s_and_saveexec_b64 s[6:7], vcc
	s_xor_b64 s[6:7], exec, s[6:7]
	s_cbranch_execz .LBB106_153
; %bb.152:
	s_waitcnt lgkmcnt(2)
	v_xor_b32_e32 v6, 0xfffffaff, v0
	v_ashrrev_i32_e32 v9, 31, v6
	v_add_co_u32_e32 v8, vcc, v17, v6
	v_addc_co_u32_e32 v9, vcc, v18, v9, vcc
                                        ; implicit-def: $vgpr22
.LBB106_153:
	s_andn2_saveexec_b64 s[6:7], s[6:7]
	s_cbranch_execz .LBB106_155
; %bb.154:
	s_waitcnt lgkmcnt(3)
	v_add_co_u32_e32 v8, vcc, v1, v22
	v_addc_co_u32_e32 v9, vcc, 0, v11, vcc
.LBB106_155:
	s_or_b64 exec, exec, s[6:7]
	s_waitcnt lgkmcnt(3)
	v_lshlrev_b64 v[8:9], 2, v[8:9]
	s_waitcnt lgkmcnt(2)
	v_mov_b32_e32 v6, s5
	v_add_co_u32_e32 v8, vcc, s4, v8
	v_addc_co_u32_e32 v9, vcc, v6, v9, vcc
	global_store_dword v[8:9], v7, off
	s_or_b64 exec, exec, s[2:3]
	v_cmp_gt_u32_e32 vcc, s33, v21
	s_and_saveexec_b64 s[2:3], vcc
	s_cbranch_execnz .LBB106_131
.LBB106_156:
	s_or_b64 exec, exec, s[2:3]
	v_cmp_gt_u32_e32 vcc, s33, v20
	s_and_saveexec_b64 s[2:3], vcc
	s_cbranch_execz .LBB106_136
.LBB106_157:
	v_cmp_ge_u32_e32 vcc, v20, v10
                                        ; implicit-def: $vgpr6_vgpr7
	s_and_saveexec_b64 s[6:7], vcc
	s_xor_b64 s[6:7], exec, s[6:7]
	s_cbranch_execz .LBB106_159
; %bb.158:
	s_waitcnt lgkmcnt(1)
	v_xor_b32_e32 v4, 0xfffff8ff, v0
	v_ashrrev_i32_e32 v7, 31, v4
	v_add_co_u32_e32 v6, vcc, v17, v4
	v_addc_co_u32_e32 v7, vcc, v18, v7, vcc
                                        ; implicit-def: $vgpr20
.LBB106_159:
	s_andn2_saveexec_b64 s[6:7], s[6:7]
	s_cbranch_execz .LBB106_161
; %bb.160:
	s_waitcnt lgkmcnt(2)
	v_add_co_u32_e32 v6, vcc, v1, v20
	v_addc_co_u32_e32 v7, vcc, 0, v11, vcc
.LBB106_161:
	s_or_b64 exec, exec, s[6:7]
	s_waitcnt lgkmcnt(2)
	v_lshlrev_b64 v[6:7], 2, v[6:7]
	s_waitcnt lgkmcnt(1)
	v_mov_b32_e32 v4, s5
	v_add_co_u32_e32 v6, vcc, s4, v6
	v_addc_co_u32_e32 v7, vcc, v4, v7, vcc
	global_store_dword v[6:7], v5, off
	s_or_b64 exec, exec, s[2:3]
	v_cmp_gt_u32_e32 vcc, s33, v19
	s_and_saveexec_b64 s[2:3], vcc
	s_cbranch_execz .LBB106_137
.LBB106_162:
	v_cmp_ge_u32_e32 vcc, v19, v10
                                        ; implicit-def: $vgpr4_vgpr5
	s_and_saveexec_b64 s[6:7], vcc
	s_xor_b64 s[6:7], exec, s[6:7]
	s_cbranch_execz .LBB106_164
; %bb.163:
	s_waitcnt lgkmcnt(1)
	v_xor_b32_e32 v4, 0xfffff7ff, v0
	v_ashrrev_i32_e32 v5, 31, v4
	v_add_co_u32_e32 v4, vcc, v17, v4
	v_addc_co_u32_e32 v5, vcc, v18, v5, vcc
                                        ; implicit-def: $vgpr19
.LBB106_164:
	s_andn2_saveexec_b64 s[6:7], s[6:7]
	s_cbranch_execz .LBB106_166
; %bb.165:
	s_waitcnt lgkmcnt(1)
	v_add_co_u32_e32 v4, vcc, v1, v19
	v_addc_co_u32_e32 v5, vcc, 0, v11, vcc
.LBB106_166:
	s_or_b64 exec, exec, s[6:7]
	s_waitcnt lgkmcnt(1)
	v_lshlrev_b64 v[4:5], 2, v[4:5]
	v_mov_b32_e32 v6, s5
	v_add_co_u32_e32 v4, vcc, s4, v4
	v_addc_co_u32_e32 v5, vcc, v6, v5, vcc
	s_waitcnt lgkmcnt(0)
	global_store_dword v[4:5], v2, off
	s_or_b64 exec, exec, s[2:3]
	v_cmp_gt_u32_e32 vcc, s33, v16
                                        ; implicit-def: $vgpr14_vgpr15
	s_and_saveexec_b64 s[2:3], vcc
	s_cbranch_execz .LBB106_172
.LBB106_167:
	v_cmp_ge_u32_e32 vcc, v16, v10
                                        ; implicit-def: $vgpr14_vgpr15
	s_and_saveexec_b64 s[6:7], vcc
	s_xor_b64 s[6:7], exec, s[6:7]
	s_cbranch_execz .LBB106_169
; %bb.168:
	s_waitcnt lgkmcnt(0)
	v_xor_b32_e32 v2, 0xfffff6ff, v0
	v_ashrrev_i32_e32 v4, 31, v2
	v_add_co_u32_e32 v14, vcc, v17, v2
	v_addc_co_u32_e32 v15, vcc, v18, v4, vcc
                                        ; implicit-def: $vgpr16
.LBB106_169:
	s_andn2_saveexec_b64 s[6:7], s[6:7]
; %bb.170:
	v_add_co_u32_e32 v14, vcc, v1, v16
	v_addc_co_u32_e32 v15, vcc, 0, v11, vcc
; %bb.171:
	s_or_b64 exec, exec, s[6:7]
	s_or_b64 s[0:1], s[0:1], exec
.LBB106_172:
	s_or_b64 exec, exec, s[2:3]
.LBB106_173:
	s_and_saveexec_b64 s[2:3], s[0:1]
	s_cbranch_execz .LBB106_175
; %bb.174:
	s_waitcnt lgkmcnt(1)
	v_lshlrev_b64 v[4:5], 2, v[14:15]
	s_waitcnt lgkmcnt(0)
	v_mov_b32_e32 v2, s5
	v_add_co_u32_e32 v4, vcc, s4, v4
	v_addc_co_u32_e32 v5, vcc, v2, v5, vcc
	global_store_dword v[4:5], v3, off
.LBB106_175:
	s_or_b64 exec, exec, s[2:3]
	v_cmp_eq_u32_e32 vcc, 0, v0
	s_and_b64 s[0:1], vcc, s[26:27]
	s_and_saveexec_b64 s[2:3], s[0:1]
	s_cbranch_execz .LBB106_177
; %bb.176:
	v_add_co_u32_e32 v0, vcc, v1, v10
	s_waitcnt lgkmcnt(0)
	v_mov_b32_e32 v2, 0
	v_addc_co_u32_e32 v1, vcc, 0, v11, vcc
	global_store_dwordx2 v2, v[0:1], s[24:25]
.LBB106_177:
	s_endpgm
	.section	.rodata,"a",@progbits
	.p2align	6, 0x0
	.amdhsa_kernel _ZN7rocprim17ROCPRIM_400000_NS6detail17trampoline_kernelINS0_14default_configENS1_25partition_config_selectorILNS1_17partition_subalgoE3EiNS0_10empty_typeEbEEZZNS1_14partition_implILS5_3ELb0ES3_jN6thrust23THRUST_200600_302600_NS6detail15normal_iteratorINSA_7pointerIiNSA_11hip_rocprim3tagENSA_11use_defaultESG_EEEEPS6_SJ_NS0_5tupleIJPiSJ_EEENSK_IJSJ_SJ_EEES6_PlJ7is_evenIiEEEE10hipError_tPvRmT3_T4_T5_T6_T7_T9_mT8_P12ihipStream_tbDpT10_ENKUlT_T0_E_clISt17integral_constantIbLb1EES19_IbLb0EEEEDaS15_S16_EUlS15_E_NS1_11comp_targetILNS1_3genE4ELNS1_11target_archE910ELNS1_3gpuE8ELNS1_3repE0EEENS1_30default_config_static_selectorELNS0_4arch9wavefront6targetE1EEEvT1_
		.amdhsa_group_segment_fixed_size 10248
		.amdhsa_private_segment_fixed_size 0
		.amdhsa_kernarg_size 120
		.amdhsa_user_sgpr_count 6
		.amdhsa_user_sgpr_private_segment_buffer 1
		.amdhsa_user_sgpr_dispatch_ptr 0
		.amdhsa_user_sgpr_queue_ptr 0
		.amdhsa_user_sgpr_kernarg_segment_ptr 1
		.amdhsa_user_sgpr_dispatch_id 0
		.amdhsa_user_sgpr_flat_scratch_init 0
		.amdhsa_user_sgpr_kernarg_preload_length 0
		.amdhsa_user_sgpr_kernarg_preload_offset 0
		.amdhsa_user_sgpr_private_segment_size 0
		.amdhsa_uses_dynamic_stack 0
		.amdhsa_system_sgpr_private_segment_wavefront_offset 0
		.amdhsa_system_sgpr_workgroup_id_x 1
		.amdhsa_system_sgpr_workgroup_id_y 0
		.amdhsa_system_sgpr_workgroup_id_z 0
		.amdhsa_system_sgpr_workgroup_info 0
		.amdhsa_system_vgpr_workitem_id 0
		.amdhsa_next_free_vgpr 54
		.amdhsa_next_free_sgpr 46
		.amdhsa_accum_offset 56
		.amdhsa_reserve_vcc 1
		.amdhsa_reserve_flat_scratch 0
		.amdhsa_float_round_mode_32 0
		.amdhsa_float_round_mode_16_64 0
		.amdhsa_float_denorm_mode_32 3
		.amdhsa_float_denorm_mode_16_64 3
		.amdhsa_dx10_clamp 1
		.amdhsa_ieee_mode 1
		.amdhsa_fp16_overflow 0
		.amdhsa_tg_split 0
		.amdhsa_exception_fp_ieee_invalid_op 0
		.amdhsa_exception_fp_denorm_src 0
		.amdhsa_exception_fp_ieee_div_zero 0
		.amdhsa_exception_fp_ieee_overflow 0
		.amdhsa_exception_fp_ieee_underflow 0
		.amdhsa_exception_fp_ieee_inexact 0
		.amdhsa_exception_int_div_zero 0
	.end_amdhsa_kernel
	.section	.text._ZN7rocprim17ROCPRIM_400000_NS6detail17trampoline_kernelINS0_14default_configENS1_25partition_config_selectorILNS1_17partition_subalgoE3EiNS0_10empty_typeEbEEZZNS1_14partition_implILS5_3ELb0ES3_jN6thrust23THRUST_200600_302600_NS6detail15normal_iteratorINSA_7pointerIiNSA_11hip_rocprim3tagENSA_11use_defaultESG_EEEEPS6_SJ_NS0_5tupleIJPiSJ_EEENSK_IJSJ_SJ_EEES6_PlJ7is_evenIiEEEE10hipError_tPvRmT3_T4_T5_T6_T7_T9_mT8_P12ihipStream_tbDpT10_ENKUlT_T0_E_clISt17integral_constantIbLb1EES19_IbLb0EEEEDaS15_S16_EUlS15_E_NS1_11comp_targetILNS1_3genE4ELNS1_11target_archE910ELNS1_3gpuE8ELNS1_3repE0EEENS1_30default_config_static_selectorELNS0_4arch9wavefront6targetE1EEEvT1_,"axG",@progbits,_ZN7rocprim17ROCPRIM_400000_NS6detail17trampoline_kernelINS0_14default_configENS1_25partition_config_selectorILNS1_17partition_subalgoE3EiNS0_10empty_typeEbEEZZNS1_14partition_implILS5_3ELb0ES3_jN6thrust23THRUST_200600_302600_NS6detail15normal_iteratorINSA_7pointerIiNSA_11hip_rocprim3tagENSA_11use_defaultESG_EEEEPS6_SJ_NS0_5tupleIJPiSJ_EEENSK_IJSJ_SJ_EEES6_PlJ7is_evenIiEEEE10hipError_tPvRmT3_T4_T5_T6_T7_T9_mT8_P12ihipStream_tbDpT10_ENKUlT_T0_E_clISt17integral_constantIbLb1EES19_IbLb0EEEEDaS15_S16_EUlS15_E_NS1_11comp_targetILNS1_3genE4ELNS1_11target_archE910ELNS1_3gpuE8ELNS1_3repE0EEENS1_30default_config_static_selectorELNS0_4arch9wavefront6targetE1EEEvT1_,comdat
.Lfunc_end106:
	.size	_ZN7rocprim17ROCPRIM_400000_NS6detail17trampoline_kernelINS0_14default_configENS1_25partition_config_selectorILNS1_17partition_subalgoE3EiNS0_10empty_typeEbEEZZNS1_14partition_implILS5_3ELb0ES3_jN6thrust23THRUST_200600_302600_NS6detail15normal_iteratorINSA_7pointerIiNSA_11hip_rocprim3tagENSA_11use_defaultESG_EEEEPS6_SJ_NS0_5tupleIJPiSJ_EEENSK_IJSJ_SJ_EEES6_PlJ7is_evenIiEEEE10hipError_tPvRmT3_T4_T5_T6_T7_T9_mT8_P12ihipStream_tbDpT10_ENKUlT_T0_E_clISt17integral_constantIbLb1EES19_IbLb0EEEEDaS15_S16_EUlS15_E_NS1_11comp_targetILNS1_3genE4ELNS1_11target_archE910ELNS1_3gpuE8ELNS1_3repE0EEENS1_30default_config_static_selectorELNS0_4arch9wavefront6targetE1EEEvT1_, .Lfunc_end106-_ZN7rocprim17ROCPRIM_400000_NS6detail17trampoline_kernelINS0_14default_configENS1_25partition_config_selectorILNS1_17partition_subalgoE3EiNS0_10empty_typeEbEEZZNS1_14partition_implILS5_3ELb0ES3_jN6thrust23THRUST_200600_302600_NS6detail15normal_iteratorINSA_7pointerIiNSA_11hip_rocprim3tagENSA_11use_defaultESG_EEEEPS6_SJ_NS0_5tupleIJPiSJ_EEENSK_IJSJ_SJ_EEES6_PlJ7is_evenIiEEEE10hipError_tPvRmT3_T4_T5_T6_T7_T9_mT8_P12ihipStream_tbDpT10_ENKUlT_T0_E_clISt17integral_constantIbLb1EES19_IbLb0EEEEDaS15_S16_EUlS15_E_NS1_11comp_targetILNS1_3genE4ELNS1_11target_archE910ELNS1_3gpuE8ELNS1_3repE0EEENS1_30default_config_static_selectorELNS0_4arch9wavefront6targetE1EEEvT1_
                                        ; -- End function
	.section	.AMDGPU.csdata,"",@progbits
; Kernel info:
; codeLenInByte = 6188
; NumSgprs: 50
; NumVgprs: 54
; NumAgprs: 0
; TotalNumVgprs: 54
; ScratchSize: 0
; MemoryBound: 0
; FloatMode: 240
; IeeeMode: 1
; LDSByteSize: 10248 bytes/workgroup (compile time only)
; SGPRBlocks: 6
; VGPRBlocks: 6
; NumSGPRsForWavesPerEU: 50
; NumVGPRsForWavesPerEU: 54
; AccumOffset: 56
; Occupancy: 6
; WaveLimiterHint : 1
; COMPUTE_PGM_RSRC2:SCRATCH_EN: 0
; COMPUTE_PGM_RSRC2:USER_SGPR: 6
; COMPUTE_PGM_RSRC2:TRAP_HANDLER: 0
; COMPUTE_PGM_RSRC2:TGID_X_EN: 1
; COMPUTE_PGM_RSRC2:TGID_Y_EN: 0
; COMPUTE_PGM_RSRC2:TGID_Z_EN: 0
; COMPUTE_PGM_RSRC2:TIDIG_COMP_CNT: 0
; COMPUTE_PGM_RSRC3_GFX90A:ACCUM_OFFSET: 13
; COMPUTE_PGM_RSRC3_GFX90A:TG_SPLIT: 0
	.section	.text._ZN7rocprim17ROCPRIM_400000_NS6detail17trampoline_kernelINS0_14default_configENS1_25partition_config_selectorILNS1_17partition_subalgoE3EiNS0_10empty_typeEbEEZZNS1_14partition_implILS5_3ELb0ES3_jN6thrust23THRUST_200600_302600_NS6detail15normal_iteratorINSA_7pointerIiNSA_11hip_rocprim3tagENSA_11use_defaultESG_EEEEPS6_SJ_NS0_5tupleIJPiSJ_EEENSK_IJSJ_SJ_EEES6_PlJ7is_evenIiEEEE10hipError_tPvRmT3_T4_T5_T6_T7_T9_mT8_P12ihipStream_tbDpT10_ENKUlT_T0_E_clISt17integral_constantIbLb1EES19_IbLb0EEEEDaS15_S16_EUlS15_E_NS1_11comp_targetILNS1_3genE3ELNS1_11target_archE908ELNS1_3gpuE7ELNS1_3repE0EEENS1_30default_config_static_selectorELNS0_4arch9wavefront6targetE1EEEvT1_,"axG",@progbits,_ZN7rocprim17ROCPRIM_400000_NS6detail17trampoline_kernelINS0_14default_configENS1_25partition_config_selectorILNS1_17partition_subalgoE3EiNS0_10empty_typeEbEEZZNS1_14partition_implILS5_3ELb0ES3_jN6thrust23THRUST_200600_302600_NS6detail15normal_iteratorINSA_7pointerIiNSA_11hip_rocprim3tagENSA_11use_defaultESG_EEEEPS6_SJ_NS0_5tupleIJPiSJ_EEENSK_IJSJ_SJ_EEES6_PlJ7is_evenIiEEEE10hipError_tPvRmT3_T4_T5_T6_T7_T9_mT8_P12ihipStream_tbDpT10_ENKUlT_T0_E_clISt17integral_constantIbLb1EES19_IbLb0EEEEDaS15_S16_EUlS15_E_NS1_11comp_targetILNS1_3genE3ELNS1_11target_archE908ELNS1_3gpuE7ELNS1_3repE0EEENS1_30default_config_static_selectorELNS0_4arch9wavefront6targetE1EEEvT1_,comdat
	.protected	_ZN7rocprim17ROCPRIM_400000_NS6detail17trampoline_kernelINS0_14default_configENS1_25partition_config_selectorILNS1_17partition_subalgoE3EiNS0_10empty_typeEbEEZZNS1_14partition_implILS5_3ELb0ES3_jN6thrust23THRUST_200600_302600_NS6detail15normal_iteratorINSA_7pointerIiNSA_11hip_rocprim3tagENSA_11use_defaultESG_EEEEPS6_SJ_NS0_5tupleIJPiSJ_EEENSK_IJSJ_SJ_EEES6_PlJ7is_evenIiEEEE10hipError_tPvRmT3_T4_T5_T6_T7_T9_mT8_P12ihipStream_tbDpT10_ENKUlT_T0_E_clISt17integral_constantIbLb1EES19_IbLb0EEEEDaS15_S16_EUlS15_E_NS1_11comp_targetILNS1_3genE3ELNS1_11target_archE908ELNS1_3gpuE7ELNS1_3repE0EEENS1_30default_config_static_selectorELNS0_4arch9wavefront6targetE1EEEvT1_ ; -- Begin function _ZN7rocprim17ROCPRIM_400000_NS6detail17trampoline_kernelINS0_14default_configENS1_25partition_config_selectorILNS1_17partition_subalgoE3EiNS0_10empty_typeEbEEZZNS1_14partition_implILS5_3ELb0ES3_jN6thrust23THRUST_200600_302600_NS6detail15normal_iteratorINSA_7pointerIiNSA_11hip_rocprim3tagENSA_11use_defaultESG_EEEEPS6_SJ_NS0_5tupleIJPiSJ_EEENSK_IJSJ_SJ_EEES6_PlJ7is_evenIiEEEE10hipError_tPvRmT3_T4_T5_T6_T7_T9_mT8_P12ihipStream_tbDpT10_ENKUlT_T0_E_clISt17integral_constantIbLb1EES19_IbLb0EEEEDaS15_S16_EUlS15_E_NS1_11comp_targetILNS1_3genE3ELNS1_11target_archE908ELNS1_3gpuE7ELNS1_3repE0EEENS1_30default_config_static_selectorELNS0_4arch9wavefront6targetE1EEEvT1_
	.globl	_ZN7rocprim17ROCPRIM_400000_NS6detail17trampoline_kernelINS0_14default_configENS1_25partition_config_selectorILNS1_17partition_subalgoE3EiNS0_10empty_typeEbEEZZNS1_14partition_implILS5_3ELb0ES3_jN6thrust23THRUST_200600_302600_NS6detail15normal_iteratorINSA_7pointerIiNSA_11hip_rocprim3tagENSA_11use_defaultESG_EEEEPS6_SJ_NS0_5tupleIJPiSJ_EEENSK_IJSJ_SJ_EEES6_PlJ7is_evenIiEEEE10hipError_tPvRmT3_T4_T5_T6_T7_T9_mT8_P12ihipStream_tbDpT10_ENKUlT_T0_E_clISt17integral_constantIbLb1EES19_IbLb0EEEEDaS15_S16_EUlS15_E_NS1_11comp_targetILNS1_3genE3ELNS1_11target_archE908ELNS1_3gpuE7ELNS1_3repE0EEENS1_30default_config_static_selectorELNS0_4arch9wavefront6targetE1EEEvT1_
	.p2align	8
	.type	_ZN7rocprim17ROCPRIM_400000_NS6detail17trampoline_kernelINS0_14default_configENS1_25partition_config_selectorILNS1_17partition_subalgoE3EiNS0_10empty_typeEbEEZZNS1_14partition_implILS5_3ELb0ES3_jN6thrust23THRUST_200600_302600_NS6detail15normal_iteratorINSA_7pointerIiNSA_11hip_rocprim3tagENSA_11use_defaultESG_EEEEPS6_SJ_NS0_5tupleIJPiSJ_EEENSK_IJSJ_SJ_EEES6_PlJ7is_evenIiEEEE10hipError_tPvRmT3_T4_T5_T6_T7_T9_mT8_P12ihipStream_tbDpT10_ENKUlT_T0_E_clISt17integral_constantIbLb1EES19_IbLb0EEEEDaS15_S16_EUlS15_E_NS1_11comp_targetILNS1_3genE3ELNS1_11target_archE908ELNS1_3gpuE7ELNS1_3repE0EEENS1_30default_config_static_selectorELNS0_4arch9wavefront6targetE1EEEvT1_,@function
_ZN7rocprim17ROCPRIM_400000_NS6detail17trampoline_kernelINS0_14default_configENS1_25partition_config_selectorILNS1_17partition_subalgoE3EiNS0_10empty_typeEbEEZZNS1_14partition_implILS5_3ELb0ES3_jN6thrust23THRUST_200600_302600_NS6detail15normal_iteratorINSA_7pointerIiNSA_11hip_rocprim3tagENSA_11use_defaultESG_EEEEPS6_SJ_NS0_5tupleIJPiSJ_EEENSK_IJSJ_SJ_EEES6_PlJ7is_evenIiEEEE10hipError_tPvRmT3_T4_T5_T6_T7_T9_mT8_P12ihipStream_tbDpT10_ENKUlT_T0_E_clISt17integral_constantIbLb1EES19_IbLb0EEEEDaS15_S16_EUlS15_E_NS1_11comp_targetILNS1_3genE3ELNS1_11target_archE908ELNS1_3gpuE7ELNS1_3repE0EEENS1_30default_config_static_selectorELNS0_4arch9wavefront6targetE1EEEvT1_: ; @_ZN7rocprim17ROCPRIM_400000_NS6detail17trampoline_kernelINS0_14default_configENS1_25partition_config_selectorILNS1_17partition_subalgoE3EiNS0_10empty_typeEbEEZZNS1_14partition_implILS5_3ELb0ES3_jN6thrust23THRUST_200600_302600_NS6detail15normal_iteratorINSA_7pointerIiNSA_11hip_rocprim3tagENSA_11use_defaultESG_EEEEPS6_SJ_NS0_5tupleIJPiSJ_EEENSK_IJSJ_SJ_EEES6_PlJ7is_evenIiEEEE10hipError_tPvRmT3_T4_T5_T6_T7_T9_mT8_P12ihipStream_tbDpT10_ENKUlT_T0_E_clISt17integral_constantIbLb1EES19_IbLb0EEEEDaS15_S16_EUlS15_E_NS1_11comp_targetILNS1_3genE3ELNS1_11target_archE908ELNS1_3gpuE7ELNS1_3repE0EEENS1_30default_config_static_selectorELNS0_4arch9wavefront6targetE1EEEvT1_
; %bb.0:
	.section	.rodata,"a",@progbits
	.p2align	6, 0x0
	.amdhsa_kernel _ZN7rocprim17ROCPRIM_400000_NS6detail17trampoline_kernelINS0_14default_configENS1_25partition_config_selectorILNS1_17partition_subalgoE3EiNS0_10empty_typeEbEEZZNS1_14partition_implILS5_3ELb0ES3_jN6thrust23THRUST_200600_302600_NS6detail15normal_iteratorINSA_7pointerIiNSA_11hip_rocprim3tagENSA_11use_defaultESG_EEEEPS6_SJ_NS0_5tupleIJPiSJ_EEENSK_IJSJ_SJ_EEES6_PlJ7is_evenIiEEEE10hipError_tPvRmT3_T4_T5_T6_T7_T9_mT8_P12ihipStream_tbDpT10_ENKUlT_T0_E_clISt17integral_constantIbLb1EES19_IbLb0EEEEDaS15_S16_EUlS15_E_NS1_11comp_targetILNS1_3genE3ELNS1_11target_archE908ELNS1_3gpuE7ELNS1_3repE0EEENS1_30default_config_static_selectorELNS0_4arch9wavefront6targetE1EEEvT1_
		.amdhsa_group_segment_fixed_size 0
		.amdhsa_private_segment_fixed_size 0
		.amdhsa_kernarg_size 120
		.amdhsa_user_sgpr_count 6
		.amdhsa_user_sgpr_private_segment_buffer 1
		.amdhsa_user_sgpr_dispatch_ptr 0
		.amdhsa_user_sgpr_queue_ptr 0
		.amdhsa_user_sgpr_kernarg_segment_ptr 1
		.amdhsa_user_sgpr_dispatch_id 0
		.amdhsa_user_sgpr_flat_scratch_init 0
		.amdhsa_user_sgpr_kernarg_preload_length 0
		.amdhsa_user_sgpr_kernarg_preload_offset 0
		.amdhsa_user_sgpr_private_segment_size 0
		.amdhsa_uses_dynamic_stack 0
		.amdhsa_system_sgpr_private_segment_wavefront_offset 0
		.amdhsa_system_sgpr_workgroup_id_x 1
		.amdhsa_system_sgpr_workgroup_id_y 0
		.amdhsa_system_sgpr_workgroup_id_z 0
		.amdhsa_system_sgpr_workgroup_info 0
		.amdhsa_system_vgpr_workitem_id 0
		.amdhsa_next_free_vgpr 1
		.amdhsa_next_free_sgpr 0
		.amdhsa_accum_offset 4
		.amdhsa_reserve_vcc 0
		.amdhsa_reserve_flat_scratch 0
		.amdhsa_float_round_mode_32 0
		.amdhsa_float_round_mode_16_64 0
		.amdhsa_float_denorm_mode_32 3
		.amdhsa_float_denorm_mode_16_64 3
		.amdhsa_dx10_clamp 1
		.amdhsa_ieee_mode 1
		.amdhsa_fp16_overflow 0
		.amdhsa_tg_split 0
		.amdhsa_exception_fp_ieee_invalid_op 0
		.amdhsa_exception_fp_denorm_src 0
		.amdhsa_exception_fp_ieee_div_zero 0
		.amdhsa_exception_fp_ieee_overflow 0
		.amdhsa_exception_fp_ieee_underflow 0
		.amdhsa_exception_fp_ieee_inexact 0
		.amdhsa_exception_int_div_zero 0
	.end_amdhsa_kernel
	.section	.text._ZN7rocprim17ROCPRIM_400000_NS6detail17trampoline_kernelINS0_14default_configENS1_25partition_config_selectorILNS1_17partition_subalgoE3EiNS0_10empty_typeEbEEZZNS1_14partition_implILS5_3ELb0ES3_jN6thrust23THRUST_200600_302600_NS6detail15normal_iteratorINSA_7pointerIiNSA_11hip_rocprim3tagENSA_11use_defaultESG_EEEEPS6_SJ_NS0_5tupleIJPiSJ_EEENSK_IJSJ_SJ_EEES6_PlJ7is_evenIiEEEE10hipError_tPvRmT3_T4_T5_T6_T7_T9_mT8_P12ihipStream_tbDpT10_ENKUlT_T0_E_clISt17integral_constantIbLb1EES19_IbLb0EEEEDaS15_S16_EUlS15_E_NS1_11comp_targetILNS1_3genE3ELNS1_11target_archE908ELNS1_3gpuE7ELNS1_3repE0EEENS1_30default_config_static_selectorELNS0_4arch9wavefront6targetE1EEEvT1_,"axG",@progbits,_ZN7rocprim17ROCPRIM_400000_NS6detail17trampoline_kernelINS0_14default_configENS1_25partition_config_selectorILNS1_17partition_subalgoE3EiNS0_10empty_typeEbEEZZNS1_14partition_implILS5_3ELb0ES3_jN6thrust23THRUST_200600_302600_NS6detail15normal_iteratorINSA_7pointerIiNSA_11hip_rocprim3tagENSA_11use_defaultESG_EEEEPS6_SJ_NS0_5tupleIJPiSJ_EEENSK_IJSJ_SJ_EEES6_PlJ7is_evenIiEEEE10hipError_tPvRmT3_T4_T5_T6_T7_T9_mT8_P12ihipStream_tbDpT10_ENKUlT_T0_E_clISt17integral_constantIbLb1EES19_IbLb0EEEEDaS15_S16_EUlS15_E_NS1_11comp_targetILNS1_3genE3ELNS1_11target_archE908ELNS1_3gpuE7ELNS1_3repE0EEENS1_30default_config_static_selectorELNS0_4arch9wavefront6targetE1EEEvT1_,comdat
.Lfunc_end107:
	.size	_ZN7rocprim17ROCPRIM_400000_NS6detail17trampoline_kernelINS0_14default_configENS1_25partition_config_selectorILNS1_17partition_subalgoE3EiNS0_10empty_typeEbEEZZNS1_14partition_implILS5_3ELb0ES3_jN6thrust23THRUST_200600_302600_NS6detail15normal_iteratorINSA_7pointerIiNSA_11hip_rocprim3tagENSA_11use_defaultESG_EEEEPS6_SJ_NS0_5tupleIJPiSJ_EEENSK_IJSJ_SJ_EEES6_PlJ7is_evenIiEEEE10hipError_tPvRmT3_T4_T5_T6_T7_T9_mT8_P12ihipStream_tbDpT10_ENKUlT_T0_E_clISt17integral_constantIbLb1EES19_IbLb0EEEEDaS15_S16_EUlS15_E_NS1_11comp_targetILNS1_3genE3ELNS1_11target_archE908ELNS1_3gpuE7ELNS1_3repE0EEENS1_30default_config_static_selectorELNS0_4arch9wavefront6targetE1EEEvT1_, .Lfunc_end107-_ZN7rocprim17ROCPRIM_400000_NS6detail17trampoline_kernelINS0_14default_configENS1_25partition_config_selectorILNS1_17partition_subalgoE3EiNS0_10empty_typeEbEEZZNS1_14partition_implILS5_3ELb0ES3_jN6thrust23THRUST_200600_302600_NS6detail15normal_iteratorINSA_7pointerIiNSA_11hip_rocprim3tagENSA_11use_defaultESG_EEEEPS6_SJ_NS0_5tupleIJPiSJ_EEENSK_IJSJ_SJ_EEES6_PlJ7is_evenIiEEEE10hipError_tPvRmT3_T4_T5_T6_T7_T9_mT8_P12ihipStream_tbDpT10_ENKUlT_T0_E_clISt17integral_constantIbLb1EES19_IbLb0EEEEDaS15_S16_EUlS15_E_NS1_11comp_targetILNS1_3genE3ELNS1_11target_archE908ELNS1_3gpuE7ELNS1_3repE0EEENS1_30default_config_static_selectorELNS0_4arch9wavefront6targetE1EEEvT1_
                                        ; -- End function
	.section	.AMDGPU.csdata,"",@progbits
; Kernel info:
; codeLenInByte = 0
; NumSgprs: 4
; NumVgprs: 0
; NumAgprs: 0
; TotalNumVgprs: 0
; ScratchSize: 0
; MemoryBound: 0
; FloatMode: 240
; IeeeMode: 1
; LDSByteSize: 0 bytes/workgroup (compile time only)
; SGPRBlocks: 0
; VGPRBlocks: 0
; NumSGPRsForWavesPerEU: 4
; NumVGPRsForWavesPerEU: 1
; AccumOffset: 4
; Occupancy: 8
; WaveLimiterHint : 0
; COMPUTE_PGM_RSRC2:SCRATCH_EN: 0
; COMPUTE_PGM_RSRC2:USER_SGPR: 6
; COMPUTE_PGM_RSRC2:TRAP_HANDLER: 0
; COMPUTE_PGM_RSRC2:TGID_X_EN: 1
; COMPUTE_PGM_RSRC2:TGID_Y_EN: 0
; COMPUTE_PGM_RSRC2:TGID_Z_EN: 0
; COMPUTE_PGM_RSRC2:TIDIG_COMP_CNT: 0
; COMPUTE_PGM_RSRC3_GFX90A:ACCUM_OFFSET: 0
; COMPUTE_PGM_RSRC3_GFX90A:TG_SPLIT: 0
	.section	.text._ZN7rocprim17ROCPRIM_400000_NS6detail17trampoline_kernelINS0_14default_configENS1_25partition_config_selectorILNS1_17partition_subalgoE3EiNS0_10empty_typeEbEEZZNS1_14partition_implILS5_3ELb0ES3_jN6thrust23THRUST_200600_302600_NS6detail15normal_iteratorINSA_7pointerIiNSA_11hip_rocprim3tagENSA_11use_defaultESG_EEEEPS6_SJ_NS0_5tupleIJPiSJ_EEENSK_IJSJ_SJ_EEES6_PlJ7is_evenIiEEEE10hipError_tPvRmT3_T4_T5_T6_T7_T9_mT8_P12ihipStream_tbDpT10_ENKUlT_T0_E_clISt17integral_constantIbLb1EES19_IbLb0EEEEDaS15_S16_EUlS15_E_NS1_11comp_targetILNS1_3genE2ELNS1_11target_archE906ELNS1_3gpuE6ELNS1_3repE0EEENS1_30default_config_static_selectorELNS0_4arch9wavefront6targetE1EEEvT1_,"axG",@progbits,_ZN7rocprim17ROCPRIM_400000_NS6detail17trampoline_kernelINS0_14default_configENS1_25partition_config_selectorILNS1_17partition_subalgoE3EiNS0_10empty_typeEbEEZZNS1_14partition_implILS5_3ELb0ES3_jN6thrust23THRUST_200600_302600_NS6detail15normal_iteratorINSA_7pointerIiNSA_11hip_rocprim3tagENSA_11use_defaultESG_EEEEPS6_SJ_NS0_5tupleIJPiSJ_EEENSK_IJSJ_SJ_EEES6_PlJ7is_evenIiEEEE10hipError_tPvRmT3_T4_T5_T6_T7_T9_mT8_P12ihipStream_tbDpT10_ENKUlT_T0_E_clISt17integral_constantIbLb1EES19_IbLb0EEEEDaS15_S16_EUlS15_E_NS1_11comp_targetILNS1_3genE2ELNS1_11target_archE906ELNS1_3gpuE6ELNS1_3repE0EEENS1_30default_config_static_selectorELNS0_4arch9wavefront6targetE1EEEvT1_,comdat
	.protected	_ZN7rocprim17ROCPRIM_400000_NS6detail17trampoline_kernelINS0_14default_configENS1_25partition_config_selectorILNS1_17partition_subalgoE3EiNS0_10empty_typeEbEEZZNS1_14partition_implILS5_3ELb0ES3_jN6thrust23THRUST_200600_302600_NS6detail15normal_iteratorINSA_7pointerIiNSA_11hip_rocprim3tagENSA_11use_defaultESG_EEEEPS6_SJ_NS0_5tupleIJPiSJ_EEENSK_IJSJ_SJ_EEES6_PlJ7is_evenIiEEEE10hipError_tPvRmT3_T4_T5_T6_T7_T9_mT8_P12ihipStream_tbDpT10_ENKUlT_T0_E_clISt17integral_constantIbLb1EES19_IbLb0EEEEDaS15_S16_EUlS15_E_NS1_11comp_targetILNS1_3genE2ELNS1_11target_archE906ELNS1_3gpuE6ELNS1_3repE0EEENS1_30default_config_static_selectorELNS0_4arch9wavefront6targetE1EEEvT1_ ; -- Begin function _ZN7rocprim17ROCPRIM_400000_NS6detail17trampoline_kernelINS0_14default_configENS1_25partition_config_selectorILNS1_17partition_subalgoE3EiNS0_10empty_typeEbEEZZNS1_14partition_implILS5_3ELb0ES3_jN6thrust23THRUST_200600_302600_NS6detail15normal_iteratorINSA_7pointerIiNSA_11hip_rocprim3tagENSA_11use_defaultESG_EEEEPS6_SJ_NS0_5tupleIJPiSJ_EEENSK_IJSJ_SJ_EEES6_PlJ7is_evenIiEEEE10hipError_tPvRmT3_T4_T5_T6_T7_T9_mT8_P12ihipStream_tbDpT10_ENKUlT_T0_E_clISt17integral_constantIbLb1EES19_IbLb0EEEEDaS15_S16_EUlS15_E_NS1_11comp_targetILNS1_3genE2ELNS1_11target_archE906ELNS1_3gpuE6ELNS1_3repE0EEENS1_30default_config_static_selectorELNS0_4arch9wavefront6targetE1EEEvT1_
	.globl	_ZN7rocprim17ROCPRIM_400000_NS6detail17trampoline_kernelINS0_14default_configENS1_25partition_config_selectorILNS1_17partition_subalgoE3EiNS0_10empty_typeEbEEZZNS1_14partition_implILS5_3ELb0ES3_jN6thrust23THRUST_200600_302600_NS6detail15normal_iteratorINSA_7pointerIiNSA_11hip_rocprim3tagENSA_11use_defaultESG_EEEEPS6_SJ_NS0_5tupleIJPiSJ_EEENSK_IJSJ_SJ_EEES6_PlJ7is_evenIiEEEE10hipError_tPvRmT3_T4_T5_T6_T7_T9_mT8_P12ihipStream_tbDpT10_ENKUlT_T0_E_clISt17integral_constantIbLb1EES19_IbLb0EEEEDaS15_S16_EUlS15_E_NS1_11comp_targetILNS1_3genE2ELNS1_11target_archE906ELNS1_3gpuE6ELNS1_3repE0EEENS1_30default_config_static_selectorELNS0_4arch9wavefront6targetE1EEEvT1_
	.p2align	8
	.type	_ZN7rocprim17ROCPRIM_400000_NS6detail17trampoline_kernelINS0_14default_configENS1_25partition_config_selectorILNS1_17partition_subalgoE3EiNS0_10empty_typeEbEEZZNS1_14partition_implILS5_3ELb0ES3_jN6thrust23THRUST_200600_302600_NS6detail15normal_iteratorINSA_7pointerIiNSA_11hip_rocprim3tagENSA_11use_defaultESG_EEEEPS6_SJ_NS0_5tupleIJPiSJ_EEENSK_IJSJ_SJ_EEES6_PlJ7is_evenIiEEEE10hipError_tPvRmT3_T4_T5_T6_T7_T9_mT8_P12ihipStream_tbDpT10_ENKUlT_T0_E_clISt17integral_constantIbLb1EES19_IbLb0EEEEDaS15_S16_EUlS15_E_NS1_11comp_targetILNS1_3genE2ELNS1_11target_archE906ELNS1_3gpuE6ELNS1_3repE0EEENS1_30default_config_static_selectorELNS0_4arch9wavefront6targetE1EEEvT1_,@function
_ZN7rocprim17ROCPRIM_400000_NS6detail17trampoline_kernelINS0_14default_configENS1_25partition_config_selectorILNS1_17partition_subalgoE3EiNS0_10empty_typeEbEEZZNS1_14partition_implILS5_3ELb0ES3_jN6thrust23THRUST_200600_302600_NS6detail15normal_iteratorINSA_7pointerIiNSA_11hip_rocprim3tagENSA_11use_defaultESG_EEEEPS6_SJ_NS0_5tupleIJPiSJ_EEENSK_IJSJ_SJ_EEES6_PlJ7is_evenIiEEEE10hipError_tPvRmT3_T4_T5_T6_T7_T9_mT8_P12ihipStream_tbDpT10_ENKUlT_T0_E_clISt17integral_constantIbLb1EES19_IbLb0EEEEDaS15_S16_EUlS15_E_NS1_11comp_targetILNS1_3genE2ELNS1_11target_archE906ELNS1_3gpuE6ELNS1_3repE0EEENS1_30default_config_static_selectorELNS0_4arch9wavefront6targetE1EEEvT1_: ; @_ZN7rocprim17ROCPRIM_400000_NS6detail17trampoline_kernelINS0_14default_configENS1_25partition_config_selectorILNS1_17partition_subalgoE3EiNS0_10empty_typeEbEEZZNS1_14partition_implILS5_3ELb0ES3_jN6thrust23THRUST_200600_302600_NS6detail15normal_iteratorINSA_7pointerIiNSA_11hip_rocprim3tagENSA_11use_defaultESG_EEEEPS6_SJ_NS0_5tupleIJPiSJ_EEENSK_IJSJ_SJ_EEES6_PlJ7is_evenIiEEEE10hipError_tPvRmT3_T4_T5_T6_T7_T9_mT8_P12ihipStream_tbDpT10_ENKUlT_T0_E_clISt17integral_constantIbLb1EES19_IbLb0EEEEDaS15_S16_EUlS15_E_NS1_11comp_targetILNS1_3genE2ELNS1_11target_archE906ELNS1_3gpuE6ELNS1_3repE0EEENS1_30default_config_static_selectorELNS0_4arch9wavefront6targetE1EEEvT1_
; %bb.0:
	.section	.rodata,"a",@progbits
	.p2align	6, 0x0
	.amdhsa_kernel _ZN7rocprim17ROCPRIM_400000_NS6detail17trampoline_kernelINS0_14default_configENS1_25partition_config_selectorILNS1_17partition_subalgoE3EiNS0_10empty_typeEbEEZZNS1_14partition_implILS5_3ELb0ES3_jN6thrust23THRUST_200600_302600_NS6detail15normal_iteratorINSA_7pointerIiNSA_11hip_rocprim3tagENSA_11use_defaultESG_EEEEPS6_SJ_NS0_5tupleIJPiSJ_EEENSK_IJSJ_SJ_EEES6_PlJ7is_evenIiEEEE10hipError_tPvRmT3_T4_T5_T6_T7_T9_mT8_P12ihipStream_tbDpT10_ENKUlT_T0_E_clISt17integral_constantIbLb1EES19_IbLb0EEEEDaS15_S16_EUlS15_E_NS1_11comp_targetILNS1_3genE2ELNS1_11target_archE906ELNS1_3gpuE6ELNS1_3repE0EEENS1_30default_config_static_selectorELNS0_4arch9wavefront6targetE1EEEvT1_
		.amdhsa_group_segment_fixed_size 0
		.amdhsa_private_segment_fixed_size 0
		.amdhsa_kernarg_size 120
		.amdhsa_user_sgpr_count 6
		.amdhsa_user_sgpr_private_segment_buffer 1
		.amdhsa_user_sgpr_dispatch_ptr 0
		.amdhsa_user_sgpr_queue_ptr 0
		.amdhsa_user_sgpr_kernarg_segment_ptr 1
		.amdhsa_user_sgpr_dispatch_id 0
		.amdhsa_user_sgpr_flat_scratch_init 0
		.amdhsa_user_sgpr_kernarg_preload_length 0
		.amdhsa_user_sgpr_kernarg_preload_offset 0
		.amdhsa_user_sgpr_private_segment_size 0
		.amdhsa_uses_dynamic_stack 0
		.amdhsa_system_sgpr_private_segment_wavefront_offset 0
		.amdhsa_system_sgpr_workgroup_id_x 1
		.amdhsa_system_sgpr_workgroup_id_y 0
		.amdhsa_system_sgpr_workgroup_id_z 0
		.amdhsa_system_sgpr_workgroup_info 0
		.amdhsa_system_vgpr_workitem_id 0
		.amdhsa_next_free_vgpr 1
		.amdhsa_next_free_sgpr 0
		.amdhsa_accum_offset 4
		.amdhsa_reserve_vcc 0
		.amdhsa_reserve_flat_scratch 0
		.amdhsa_float_round_mode_32 0
		.amdhsa_float_round_mode_16_64 0
		.amdhsa_float_denorm_mode_32 3
		.amdhsa_float_denorm_mode_16_64 3
		.amdhsa_dx10_clamp 1
		.amdhsa_ieee_mode 1
		.amdhsa_fp16_overflow 0
		.amdhsa_tg_split 0
		.amdhsa_exception_fp_ieee_invalid_op 0
		.amdhsa_exception_fp_denorm_src 0
		.amdhsa_exception_fp_ieee_div_zero 0
		.amdhsa_exception_fp_ieee_overflow 0
		.amdhsa_exception_fp_ieee_underflow 0
		.amdhsa_exception_fp_ieee_inexact 0
		.amdhsa_exception_int_div_zero 0
	.end_amdhsa_kernel
	.section	.text._ZN7rocprim17ROCPRIM_400000_NS6detail17trampoline_kernelINS0_14default_configENS1_25partition_config_selectorILNS1_17partition_subalgoE3EiNS0_10empty_typeEbEEZZNS1_14partition_implILS5_3ELb0ES3_jN6thrust23THRUST_200600_302600_NS6detail15normal_iteratorINSA_7pointerIiNSA_11hip_rocprim3tagENSA_11use_defaultESG_EEEEPS6_SJ_NS0_5tupleIJPiSJ_EEENSK_IJSJ_SJ_EEES6_PlJ7is_evenIiEEEE10hipError_tPvRmT3_T4_T5_T6_T7_T9_mT8_P12ihipStream_tbDpT10_ENKUlT_T0_E_clISt17integral_constantIbLb1EES19_IbLb0EEEEDaS15_S16_EUlS15_E_NS1_11comp_targetILNS1_3genE2ELNS1_11target_archE906ELNS1_3gpuE6ELNS1_3repE0EEENS1_30default_config_static_selectorELNS0_4arch9wavefront6targetE1EEEvT1_,"axG",@progbits,_ZN7rocprim17ROCPRIM_400000_NS6detail17trampoline_kernelINS0_14default_configENS1_25partition_config_selectorILNS1_17partition_subalgoE3EiNS0_10empty_typeEbEEZZNS1_14partition_implILS5_3ELb0ES3_jN6thrust23THRUST_200600_302600_NS6detail15normal_iteratorINSA_7pointerIiNSA_11hip_rocprim3tagENSA_11use_defaultESG_EEEEPS6_SJ_NS0_5tupleIJPiSJ_EEENSK_IJSJ_SJ_EEES6_PlJ7is_evenIiEEEE10hipError_tPvRmT3_T4_T5_T6_T7_T9_mT8_P12ihipStream_tbDpT10_ENKUlT_T0_E_clISt17integral_constantIbLb1EES19_IbLb0EEEEDaS15_S16_EUlS15_E_NS1_11comp_targetILNS1_3genE2ELNS1_11target_archE906ELNS1_3gpuE6ELNS1_3repE0EEENS1_30default_config_static_selectorELNS0_4arch9wavefront6targetE1EEEvT1_,comdat
.Lfunc_end108:
	.size	_ZN7rocprim17ROCPRIM_400000_NS6detail17trampoline_kernelINS0_14default_configENS1_25partition_config_selectorILNS1_17partition_subalgoE3EiNS0_10empty_typeEbEEZZNS1_14partition_implILS5_3ELb0ES3_jN6thrust23THRUST_200600_302600_NS6detail15normal_iteratorINSA_7pointerIiNSA_11hip_rocprim3tagENSA_11use_defaultESG_EEEEPS6_SJ_NS0_5tupleIJPiSJ_EEENSK_IJSJ_SJ_EEES6_PlJ7is_evenIiEEEE10hipError_tPvRmT3_T4_T5_T6_T7_T9_mT8_P12ihipStream_tbDpT10_ENKUlT_T0_E_clISt17integral_constantIbLb1EES19_IbLb0EEEEDaS15_S16_EUlS15_E_NS1_11comp_targetILNS1_3genE2ELNS1_11target_archE906ELNS1_3gpuE6ELNS1_3repE0EEENS1_30default_config_static_selectorELNS0_4arch9wavefront6targetE1EEEvT1_, .Lfunc_end108-_ZN7rocprim17ROCPRIM_400000_NS6detail17trampoline_kernelINS0_14default_configENS1_25partition_config_selectorILNS1_17partition_subalgoE3EiNS0_10empty_typeEbEEZZNS1_14partition_implILS5_3ELb0ES3_jN6thrust23THRUST_200600_302600_NS6detail15normal_iteratorINSA_7pointerIiNSA_11hip_rocprim3tagENSA_11use_defaultESG_EEEEPS6_SJ_NS0_5tupleIJPiSJ_EEENSK_IJSJ_SJ_EEES6_PlJ7is_evenIiEEEE10hipError_tPvRmT3_T4_T5_T6_T7_T9_mT8_P12ihipStream_tbDpT10_ENKUlT_T0_E_clISt17integral_constantIbLb1EES19_IbLb0EEEEDaS15_S16_EUlS15_E_NS1_11comp_targetILNS1_3genE2ELNS1_11target_archE906ELNS1_3gpuE6ELNS1_3repE0EEENS1_30default_config_static_selectorELNS0_4arch9wavefront6targetE1EEEvT1_
                                        ; -- End function
	.section	.AMDGPU.csdata,"",@progbits
; Kernel info:
; codeLenInByte = 0
; NumSgprs: 4
; NumVgprs: 0
; NumAgprs: 0
; TotalNumVgprs: 0
; ScratchSize: 0
; MemoryBound: 0
; FloatMode: 240
; IeeeMode: 1
; LDSByteSize: 0 bytes/workgroup (compile time only)
; SGPRBlocks: 0
; VGPRBlocks: 0
; NumSGPRsForWavesPerEU: 4
; NumVGPRsForWavesPerEU: 1
; AccumOffset: 4
; Occupancy: 8
; WaveLimiterHint : 0
; COMPUTE_PGM_RSRC2:SCRATCH_EN: 0
; COMPUTE_PGM_RSRC2:USER_SGPR: 6
; COMPUTE_PGM_RSRC2:TRAP_HANDLER: 0
; COMPUTE_PGM_RSRC2:TGID_X_EN: 1
; COMPUTE_PGM_RSRC2:TGID_Y_EN: 0
; COMPUTE_PGM_RSRC2:TGID_Z_EN: 0
; COMPUTE_PGM_RSRC2:TIDIG_COMP_CNT: 0
; COMPUTE_PGM_RSRC3_GFX90A:ACCUM_OFFSET: 0
; COMPUTE_PGM_RSRC3_GFX90A:TG_SPLIT: 0
	.section	.text._ZN7rocprim17ROCPRIM_400000_NS6detail17trampoline_kernelINS0_14default_configENS1_25partition_config_selectorILNS1_17partition_subalgoE3EiNS0_10empty_typeEbEEZZNS1_14partition_implILS5_3ELb0ES3_jN6thrust23THRUST_200600_302600_NS6detail15normal_iteratorINSA_7pointerIiNSA_11hip_rocprim3tagENSA_11use_defaultESG_EEEEPS6_SJ_NS0_5tupleIJPiSJ_EEENSK_IJSJ_SJ_EEES6_PlJ7is_evenIiEEEE10hipError_tPvRmT3_T4_T5_T6_T7_T9_mT8_P12ihipStream_tbDpT10_ENKUlT_T0_E_clISt17integral_constantIbLb1EES19_IbLb0EEEEDaS15_S16_EUlS15_E_NS1_11comp_targetILNS1_3genE10ELNS1_11target_archE1200ELNS1_3gpuE4ELNS1_3repE0EEENS1_30default_config_static_selectorELNS0_4arch9wavefront6targetE1EEEvT1_,"axG",@progbits,_ZN7rocprim17ROCPRIM_400000_NS6detail17trampoline_kernelINS0_14default_configENS1_25partition_config_selectorILNS1_17partition_subalgoE3EiNS0_10empty_typeEbEEZZNS1_14partition_implILS5_3ELb0ES3_jN6thrust23THRUST_200600_302600_NS6detail15normal_iteratorINSA_7pointerIiNSA_11hip_rocprim3tagENSA_11use_defaultESG_EEEEPS6_SJ_NS0_5tupleIJPiSJ_EEENSK_IJSJ_SJ_EEES6_PlJ7is_evenIiEEEE10hipError_tPvRmT3_T4_T5_T6_T7_T9_mT8_P12ihipStream_tbDpT10_ENKUlT_T0_E_clISt17integral_constantIbLb1EES19_IbLb0EEEEDaS15_S16_EUlS15_E_NS1_11comp_targetILNS1_3genE10ELNS1_11target_archE1200ELNS1_3gpuE4ELNS1_3repE0EEENS1_30default_config_static_selectorELNS0_4arch9wavefront6targetE1EEEvT1_,comdat
	.protected	_ZN7rocprim17ROCPRIM_400000_NS6detail17trampoline_kernelINS0_14default_configENS1_25partition_config_selectorILNS1_17partition_subalgoE3EiNS0_10empty_typeEbEEZZNS1_14partition_implILS5_3ELb0ES3_jN6thrust23THRUST_200600_302600_NS6detail15normal_iteratorINSA_7pointerIiNSA_11hip_rocprim3tagENSA_11use_defaultESG_EEEEPS6_SJ_NS0_5tupleIJPiSJ_EEENSK_IJSJ_SJ_EEES6_PlJ7is_evenIiEEEE10hipError_tPvRmT3_T4_T5_T6_T7_T9_mT8_P12ihipStream_tbDpT10_ENKUlT_T0_E_clISt17integral_constantIbLb1EES19_IbLb0EEEEDaS15_S16_EUlS15_E_NS1_11comp_targetILNS1_3genE10ELNS1_11target_archE1200ELNS1_3gpuE4ELNS1_3repE0EEENS1_30default_config_static_selectorELNS0_4arch9wavefront6targetE1EEEvT1_ ; -- Begin function _ZN7rocprim17ROCPRIM_400000_NS6detail17trampoline_kernelINS0_14default_configENS1_25partition_config_selectorILNS1_17partition_subalgoE3EiNS0_10empty_typeEbEEZZNS1_14partition_implILS5_3ELb0ES3_jN6thrust23THRUST_200600_302600_NS6detail15normal_iteratorINSA_7pointerIiNSA_11hip_rocprim3tagENSA_11use_defaultESG_EEEEPS6_SJ_NS0_5tupleIJPiSJ_EEENSK_IJSJ_SJ_EEES6_PlJ7is_evenIiEEEE10hipError_tPvRmT3_T4_T5_T6_T7_T9_mT8_P12ihipStream_tbDpT10_ENKUlT_T0_E_clISt17integral_constantIbLb1EES19_IbLb0EEEEDaS15_S16_EUlS15_E_NS1_11comp_targetILNS1_3genE10ELNS1_11target_archE1200ELNS1_3gpuE4ELNS1_3repE0EEENS1_30default_config_static_selectorELNS0_4arch9wavefront6targetE1EEEvT1_
	.globl	_ZN7rocprim17ROCPRIM_400000_NS6detail17trampoline_kernelINS0_14default_configENS1_25partition_config_selectorILNS1_17partition_subalgoE3EiNS0_10empty_typeEbEEZZNS1_14partition_implILS5_3ELb0ES3_jN6thrust23THRUST_200600_302600_NS6detail15normal_iteratorINSA_7pointerIiNSA_11hip_rocprim3tagENSA_11use_defaultESG_EEEEPS6_SJ_NS0_5tupleIJPiSJ_EEENSK_IJSJ_SJ_EEES6_PlJ7is_evenIiEEEE10hipError_tPvRmT3_T4_T5_T6_T7_T9_mT8_P12ihipStream_tbDpT10_ENKUlT_T0_E_clISt17integral_constantIbLb1EES19_IbLb0EEEEDaS15_S16_EUlS15_E_NS1_11comp_targetILNS1_3genE10ELNS1_11target_archE1200ELNS1_3gpuE4ELNS1_3repE0EEENS1_30default_config_static_selectorELNS0_4arch9wavefront6targetE1EEEvT1_
	.p2align	8
	.type	_ZN7rocprim17ROCPRIM_400000_NS6detail17trampoline_kernelINS0_14default_configENS1_25partition_config_selectorILNS1_17partition_subalgoE3EiNS0_10empty_typeEbEEZZNS1_14partition_implILS5_3ELb0ES3_jN6thrust23THRUST_200600_302600_NS6detail15normal_iteratorINSA_7pointerIiNSA_11hip_rocprim3tagENSA_11use_defaultESG_EEEEPS6_SJ_NS0_5tupleIJPiSJ_EEENSK_IJSJ_SJ_EEES6_PlJ7is_evenIiEEEE10hipError_tPvRmT3_T4_T5_T6_T7_T9_mT8_P12ihipStream_tbDpT10_ENKUlT_T0_E_clISt17integral_constantIbLb1EES19_IbLb0EEEEDaS15_S16_EUlS15_E_NS1_11comp_targetILNS1_3genE10ELNS1_11target_archE1200ELNS1_3gpuE4ELNS1_3repE0EEENS1_30default_config_static_selectorELNS0_4arch9wavefront6targetE1EEEvT1_,@function
_ZN7rocprim17ROCPRIM_400000_NS6detail17trampoline_kernelINS0_14default_configENS1_25partition_config_selectorILNS1_17partition_subalgoE3EiNS0_10empty_typeEbEEZZNS1_14partition_implILS5_3ELb0ES3_jN6thrust23THRUST_200600_302600_NS6detail15normal_iteratorINSA_7pointerIiNSA_11hip_rocprim3tagENSA_11use_defaultESG_EEEEPS6_SJ_NS0_5tupleIJPiSJ_EEENSK_IJSJ_SJ_EEES6_PlJ7is_evenIiEEEE10hipError_tPvRmT3_T4_T5_T6_T7_T9_mT8_P12ihipStream_tbDpT10_ENKUlT_T0_E_clISt17integral_constantIbLb1EES19_IbLb0EEEEDaS15_S16_EUlS15_E_NS1_11comp_targetILNS1_3genE10ELNS1_11target_archE1200ELNS1_3gpuE4ELNS1_3repE0EEENS1_30default_config_static_selectorELNS0_4arch9wavefront6targetE1EEEvT1_: ; @_ZN7rocprim17ROCPRIM_400000_NS6detail17trampoline_kernelINS0_14default_configENS1_25partition_config_selectorILNS1_17partition_subalgoE3EiNS0_10empty_typeEbEEZZNS1_14partition_implILS5_3ELb0ES3_jN6thrust23THRUST_200600_302600_NS6detail15normal_iteratorINSA_7pointerIiNSA_11hip_rocprim3tagENSA_11use_defaultESG_EEEEPS6_SJ_NS0_5tupleIJPiSJ_EEENSK_IJSJ_SJ_EEES6_PlJ7is_evenIiEEEE10hipError_tPvRmT3_T4_T5_T6_T7_T9_mT8_P12ihipStream_tbDpT10_ENKUlT_T0_E_clISt17integral_constantIbLb1EES19_IbLb0EEEEDaS15_S16_EUlS15_E_NS1_11comp_targetILNS1_3genE10ELNS1_11target_archE1200ELNS1_3gpuE4ELNS1_3repE0EEENS1_30default_config_static_selectorELNS0_4arch9wavefront6targetE1EEEvT1_
; %bb.0:
	.section	.rodata,"a",@progbits
	.p2align	6, 0x0
	.amdhsa_kernel _ZN7rocprim17ROCPRIM_400000_NS6detail17trampoline_kernelINS0_14default_configENS1_25partition_config_selectorILNS1_17partition_subalgoE3EiNS0_10empty_typeEbEEZZNS1_14partition_implILS5_3ELb0ES3_jN6thrust23THRUST_200600_302600_NS6detail15normal_iteratorINSA_7pointerIiNSA_11hip_rocprim3tagENSA_11use_defaultESG_EEEEPS6_SJ_NS0_5tupleIJPiSJ_EEENSK_IJSJ_SJ_EEES6_PlJ7is_evenIiEEEE10hipError_tPvRmT3_T4_T5_T6_T7_T9_mT8_P12ihipStream_tbDpT10_ENKUlT_T0_E_clISt17integral_constantIbLb1EES19_IbLb0EEEEDaS15_S16_EUlS15_E_NS1_11comp_targetILNS1_3genE10ELNS1_11target_archE1200ELNS1_3gpuE4ELNS1_3repE0EEENS1_30default_config_static_selectorELNS0_4arch9wavefront6targetE1EEEvT1_
		.amdhsa_group_segment_fixed_size 0
		.amdhsa_private_segment_fixed_size 0
		.amdhsa_kernarg_size 120
		.amdhsa_user_sgpr_count 6
		.amdhsa_user_sgpr_private_segment_buffer 1
		.amdhsa_user_sgpr_dispatch_ptr 0
		.amdhsa_user_sgpr_queue_ptr 0
		.amdhsa_user_sgpr_kernarg_segment_ptr 1
		.amdhsa_user_sgpr_dispatch_id 0
		.amdhsa_user_sgpr_flat_scratch_init 0
		.amdhsa_user_sgpr_kernarg_preload_length 0
		.amdhsa_user_sgpr_kernarg_preload_offset 0
		.amdhsa_user_sgpr_private_segment_size 0
		.amdhsa_uses_dynamic_stack 0
		.amdhsa_system_sgpr_private_segment_wavefront_offset 0
		.amdhsa_system_sgpr_workgroup_id_x 1
		.amdhsa_system_sgpr_workgroup_id_y 0
		.amdhsa_system_sgpr_workgroup_id_z 0
		.amdhsa_system_sgpr_workgroup_info 0
		.amdhsa_system_vgpr_workitem_id 0
		.amdhsa_next_free_vgpr 1
		.amdhsa_next_free_sgpr 0
		.amdhsa_accum_offset 4
		.amdhsa_reserve_vcc 0
		.amdhsa_reserve_flat_scratch 0
		.amdhsa_float_round_mode_32 0
		.amdhsa_float_round_mode_16_64 0
		.amdhsa_float_denorm_mode_32 3
		.amdhsa_float_denorm_mode_16_64 3
		.amdhsa_dx10_clamp 1
		.amdhsa_ieee_mode 1
		.amdhsa_fp16_overflow 0
		.amdhsa_tg_split 0
		.amdhsa_exception_fp_ieee_invalid_op 0
		.amdhsa_exception_fp_denorm_src 0
		.amdhsa_exception_fp_ieee_div_zero 0
		.amdhsa_exception_fp_ieee_overflow 0
		.amdhsa_exception_fp_ieee_underflow 0
		.amdhsa_exception_fp_ieee_inexact 0
		.amdhsa_exception_int_div_zero 0
	.end_amdhsa_kernel
	.section	.text._ZN7rocprim17ROCPRIM_400000_NS6detail17trampoline_kernelINS0_14default_configENS1_25partition_config_selectorILNS1_17partition_subalgoE3EiNS0_10empty_typeEbEEZZNS1_14partition_implILS5_3ELb0ES3_jN6thrust23THRUST_200600_302600_NS6detail15normal_iteratorINSA_7pointerIiNSA_11hip_rocprim3tagENSA_11use_defaultESG_EEEEPS6_SJ_NS0_5tupleIJPiSJ_EEENSK_IJSJ_SJ_EEES6_PlJ7is_evenIiEEEE10hipError_tPvRmT3_T4_T5_T6_T7_T9_mT8_P12ihipStream_tbDpT10_ENKUlT_T0_E_clISt17integral_constantIbLb1EES19_IbLb0EEEEDaS15_S16_EUlS15_E_NS1_11comp_targetILNS1_3genE10ELNS1_11target_archE1200ELNS1_3gpuE4ELNS1_3repE0EEENS1_30default_config_static_selectorELNS0_4arch9wavefront6targetE1EEEvT1_,"axG",@progbits,_ZN7rocprim17ROCPRIM_400000_NS6detail17trampoline_kernelINS0_14default_configENS1_25partition_config_selectorILNS1_17partition_subalgoE3EiNS0_10empty_typeEbEEZZNS1_14partition_implILS5_3ELb0ES3_jN6thrust23THRUST_200600_302600_NS6detail15normal_iteratorINSA_7pointerIiNSA_11hip_rocprim3tagENSA_11use_defaultESG_EEEEPS6_SJ_NS0_5tupleIJPiSJ_EEENSK_IJSJ_SJ_EEES6_PlJ7is_evenIiEEEE10hipError_tPvRmT3_T4_T5_T6_T7_T9_mT8_P12ihipStream_tbDpT10_ENKUlT_T0_E_clISt17integral_constantIbLb1EES19_IbLb0EEEEDaS15_S16_EUlS15_E_NS1_11comp_targetILNS1_3genE10ELNS1_11target_archE1200ELNS1_3gpuE4ELNS1_3repE0EEENS1_30default_config_static_selectorELNS0_4arch9wavefront6targetE1EEEvT1_,comdat
.Lfunc_end109:
	.size	_ZN7rocprim17ROCPRIM_400000_NS6detail17trampoline_kernelINS0_14default_configENS1_25partition_config_selectorILNS1_17partition_subalgoE3EiNS0_10empty_typeEbEEZZNS1_14partition_implILS5_3ELb0ES3_jN6thrust23THRUST_200600_302600_NS6detail15normal_iteratorINSA_7pointerIiNSA_11hip_rocprim3tagENSA_11use_defaultESG_EEEEPS6_SJ_NS0_5tupleIJPiSJ_EEENSK_IJSJ_SJ_EEES6_PlJ7is_evenIiEEEE10hipError_tPvRmT3_T4_T5_T6_T7_T9_mT8_P12ihipStream_tbDpT10_ENKUlT_T0_E_clISt17integral_constantIbLb1EES19_IbLb0EEEEDaS15_S16_EUlS15_E_NS1_11comp_targetILNS1_3genE10ELNS1_11target_archE1200ELNS1_3gpuE4ELNS1_3repE0EEENS1_30default_config_static_selectorELNS0_4arch9wavefront6targetE1EEEvT1_, .Lfunc_end109-_ZN7rocprim17ROCPRIM_400000_NS6detail17trampoline_kernelINS0_14default_configENS1_25partition_config_selectorILNS1_17partition_subalgoE3EiNS0_10empty_typeEbEEZZNS1_14partition_implILS5_3ELb0ES3_jN6thrust23THRUST_200600_302600_NS6detail15normal_iteratorINSA_7pointerIiNSA_11hip_rocprim3tagENSA_11use_defaultESG_EEEEPS6_SJ_NS0_5tupleIJPiSJ_EEENSK_IJSJ_SJ_EEES6_PlJ7is_evenIiEEEE10hipError_tPvRmT3_T4_T5_T6_T7_T9_mT8_P12ihipStream_tbDpT10_ENKUlT_T0_E_clISt17integral_constantIbLb1EES19_IbLb0EEEEDaS15_S16_EUlS15_E_NS1_11comp_targetILNS1_3genE10ELNS1_11target_archE1200ELNS1_3gpuE4ELNS1_3repE0EEENS1_30default_config_static_selectorELNS0_4arch9wavefront6targetE1EEEvT1_
                                        ; -- End function
	.section	.AMDGPU.csdata,"",@progbits
; Kernel info:
; codeLenInByte = 0
; NumSgprs: 4
; NumVgprs: 0
; NumAgprs: 0
; TotalNumVgprs: 0
; ScratchSize: 0
; MemoryBound: 0
; FloatMode: 240
; IeeeMode: 1
; LDSByteSize: 0 bytes/workgroup (compile time only)
; SGPRBlocks: 0
; VGPRBlocks: 0
; NumSGPRsForWavesPerEU: 4
; NumVGPRsForWavesPerEU: 1
; AccumOffset: 4
; Occupancy: 8
; WaveLimiterHint : 0
; COMPUTE_PGM_RSRC2:SCRATCH_EN: 0
; COMPUTE_PGM_RSRC2:USER_SGPR: 6
; COMPUTE_PGM_RSRC2:TRAP_HANDLER: 0
; COMPUTE_PGM_RSRC2:TGID_X_EN: 1
; COMPUTE_PGM_RSRC2:TGID_Y_EN: 0
; COMPUTE_PGM_RSRC2:TGID_Z_EN: 0
; COMPUTE_PGM_RSRC2:TIDIG_COMP_CNT: 0
; COMPUTE_PGM_RSRC3_GFX90A:ACCUM_OFFSET: 0
; COMPUTE_PGM_RSRC3_GFX90A:TG_SPLIT: 0
	.section	.text._ZN7rocprim17ROCPRIM_400000_NS6detail17trampoline_kernelINS0_14default_configENS1_25partition_config_selectorILNS1_17partition_subalgoE3EiNS0_10empty_typeEbEEZZNS1_14partition_implILS5_3ELb0ES3_jN6thrust23THRUST_200600_302600_NS6detail15normal_iteratorINSA_7pointerIiNSA_11hip_rocprim3tagENSA_11use_defaultESG_EEEEPS6_SJ_NS0_5tupleIJPiSJ_EEENSK_IJSJ_SJ_EEES6_PlJ7is_evenIiEEEE10hipError_tPvRmT3_T4_T5_T6_T7_T9_mT8_P12ihipStream_tbDpT10_ENKUlT_T0_E_clISt17integral_constantIbLb1EES19_IbLb0EEEEDaS15_S16_EUlS15_E_NS1_11comp_targetILNS1_3genE9ELNS1_11target_archE1100ELNS1_3gpuE3ELNS1_3repE0EEENS1_30default_config_static_selectorELNS0_4arch9wavefront6targetE1EEEvT1_,"axG",@progbits,_ZN7rocprim17ROCPRIM_400000_NS6detail17trampoline_kernelINS0_14default_configENS1_25partition_config_selectorILNS1_17partition_subalgoE3EiNS0_10empty_typeEbEEZZNS1_14partition_implILS5_3ELb0ES3_jN6thrust23THRUST_200600_302600_NS6detail15normal_iteratorINSA_7pointerIiNSA_11hip_rocprim3tagENSA_11use_defaultESG_EEEEPS6_SJ_NS0_5tupleIJPiSJ_EEENSK_IJSJ_SJ_EEES6_PlJ7is_evenIiEEEE10hipError_tPvRmT3_T4_T5_T6_T7_T9_mT8_P12ihipStream_tbDpT10_ENKUlT_T0_E_clISt17integral_constantIbLb1EES19_IbLb0EEEEDaS15_S16_EUlS15_E_NS1_11comp_targetILNS1_3genE9ELNS1_11target_archE1100ELNS1_3gpuE3ELNS1_3repE0EEENS1_30default_config_static_selectorELNS0_4arch9wavefront6targetE1EEEvT1_,comdat
	.protected	_ZN7rocprim17ROCPRIM_400000_NS6detail17trampoline_kernelINS0_14default_configENS1_25partition_config_selectorILNS1_17partition_subalgoE3EiNS0_10empty_typeEbEEZZNS1_14partition_implILS5_3ELb0ES3_jN6thrust23THRUST_200600_302600_NS6detail15normal_iteratorINSA_7pointerIiNSA_11hip_rocprim3tagENSA_11use_defaultESG_EEEEPS6_SJ_NS0_5tupleIJPiSJ_EEENSK_IJSJ_SJ_EEES6_PlJ7is_evenIiEEEE10hipError_tPvRmT3_T4_T5_T6_T7_T9_mT8_P12ihipStream_tbDpT10_ENKUlT_T0_E_clISt17integral_constantIbLb1EES19_IbLb0EEEEDaS15_S16_EUlS15_E_NS1_11comp_targetILNS1_3genE9ELNS1_11target_archE1100ELNS1_3gpuE3ELNS1_3repE0EEENS1_30default_config_static_selectorELNS0_4arch9wavefront6targetE1EEEvT1_ ; -- Begin function _ZN7rocprim17ROCPRIM_400000_NS6detail17trampoline_kernelINS0_14default_configENS1_25partition_config_selectorILNS1_17partition_subalgoE3EiNS0_10empty_typeEbEEZZNS1_14partition_implILS5_3ELb0ES3_jN6thrust23THRUST_200600_302600_NS6detail15normal_iteratorINSA_7pointerIiNSA_11hip_rocprim3tagENSA_11use_defaultESG_EEEEPS6_SJ_NS0_5tupleIJPiSJ_EEENSK_IJSJ_SJ_EEES6_PlJ7is_evenIiEEEE10hipError_tPvRmT3_T4_T5_T6_T7_T9_mT8_P12ihipStream_tbDpT10_ENKUlT_T0_E_clISt17integral_constantIbLb1EES19_IbLb0EEEEDaS15_S16_EUlS15_E_NS1_11comp_targetILNS1_3genE9ELNS1_11target_archE1100ELNS1_3gpuE3ELNS1_3repE0EEENS1_30default_config_static_selectorELNS0_4arch9wavefront6targetE1EEEvT1_
	.globl	_ZN7rocprim17ROCPRIM_400000_NS6detail17trampoline_kernelINS0_14default_configENS1_25partition_config_selectorILNS1_17partition_subalgoE3EiNS0_10empty_typeEbEEZZNS1_14partition_implILS5_3ELb0ES3_jN6thrust23THRUST_200600_302600_NS6detail15normal_iteratorINSA_7pointerIiNSA_11hip_rocprim3tagENSA_11use_defaultESG_EEEEPS6_SJ_NS0_5tupleIJPiSJ_EEENSK_IJSJ_SJ_EEES6_PlJ7is_evenIiEEEE10hipError_tPvRmT3_T4_T5_T6_T7_T9_mT8_P12ihipStream_tbDpT10_ENKUlT_T0_E_clISt17integral_constantIbLb1EES19_IbLb0EEEEDaS15_S16_EUlS15_E_NS1_11comp_targetILNS1_3genE9ELNS1_11target_archE1100ELNS1_3gpuE3ELNS1_3repE0EEENS1_30default_config_static_selectorELNS0_4arch9wavefront6targetE1EEEvT1_
	.p2align	8
	.type	_ZN7rocprim17ROCPRIM_400000_NS6detail17trampoline_kernelINS0_14default_configENS1_25partition_config_selectorILNS1_17partition_subalgoE3EiNS0_10empty_typeEbEEZZNS1_14partition_implILS5_3ELb0ES3_jN6thrust23THRUST_200600_302600_NS6detail15normal_iteratorINSA_7pointerIiNSA_11hip_rocprim3tagENSA_11use_defaultESG_EEEEPS6_SJ_NS0_5tupleIJPiSJ_EEENSK_IJSJ_SJ_EEES6_PlJ7is_evenIiEEEE10hipError_tPvRmT3_T4_T5_T6_T7_T9_mT8_P12ihipStream_tbDpT10_ENKUlT_T0_E_clISt17integral_constantIbLb1EES19_IbLb0EEEEDaS15_S16_EUlS15_E_NS1_11comp_targetILNS1_3genE9ELNS1_11target_archE1100ELNS1_3gpuE3ELNS1_3repE0EEENS1_30default_config_static_selectorELNS0_4arch9wavefront6targetE1EEEvT1_,@function
_ZN7rocprim17ROCPRIM_400000_NS6detail17trampoline_kernelINS0_14default_configENS1_25partition_config_selectorILNS1_17partition_subalgoE3EiNS0_10empty_typeEbEEZZNS1_14partition_implILS5_3ELb0ES3_jN6thrust23THRUST_200600_302600_NS6detail15normal_iteratorINSA_7pointerIiNSA_11hip_rocprim3tagENSA_11use_defaultESG_EEEEPS6_SJ_NS0_5tupleIJPiSJ_EEENSK_IJSJ_SJ_EEES6_PlJ7is_evenIiEEEE10hipError_tPvRmT3_T4_T5_T6_T7_T9_mT8_P12ihipStream_tbDpT10_ENKUlT_T0_E_clISt17integral_constantIbLb1EES19_IbLb0EEEEDaS15_S16_EUlS15_E_NS1_11comp_targetILNS1_3genE9ELNS1_11target_archE1100ELNS1_3gpuE3ELNS1_3repE0EEENS1_30default_config_static_selectorELNS0_4arch9wavefront6targetE1EEEvT1_: ; @_ZN7rocprim17ROCPRIM_400000_NS6detail17trampoline_kernelINS0_14default_configENS1_25partition_config_selectorILNS1_17partition_subalgoE3EiNS0_10empty_typeEbEEZZNS1_14partition_implILS5_3ELb0ES3_jN6thrust23THRUST_200600_302600_NS6detail15normal_iteratorINSA_7pointerIiNSA_11hip_rocprim3tagENSA_11use_defaultESG_EEEEPS6_SJ_NS0_5tupleIJPiSJ_EEENSK_IJSJ_SJ_EEES6_PlJ7is_evenIiEEEE10hipError_tPvRmT3_T4_T5_T6_T7_T9_mT8_P12ihipStream_tbDpT10_ENKUlT_T0_E_clISt17integral_constantIbLb1EES19_IbLb0EEEEDaS15_S16_EUlS15_E_NS1_11comp_targetILNS1_3genE9ELNS1_11target_archE1100ELNS1_3gpuE3ELNS1_3repE0EEENS1_30default_config_static_selectorELNS0_4arch9wavefront6targetE1EEEvT1_
; %bb.0:
	.section	.rodata,"a",@progbits
	.p2align	6, 0x0
	.amdhsa_kernel _ZN7rocprim17ROCPRIM_400000_NS6detail17trampoline_kernelINS0_14default_configENS1_25partition_config_selectorILNS1_17partition_subalgoE3EiNS0_10empty_typeEbEEZZNS1_14partition_implILS5_3ELb0ES3_jN6thrust23THRUST_200600_302600_NS6detail15normal_iteratorINSA_7pointerIiNSA_11hip_rocprim3tagENSA_11use_defaultESG_EEEEPS6_SJ_NS0_5tupleIJPiSJ_EEENSK_IJSJ_SJ_EEES6_PlJ7is_evenIiEEEE10hipError_tPvRmT3_T4_T5_T6_T7_T9_mT8_P12ihipStream_tbDpT10_ENKUlT_T0_E_clISt17integral_constantIbLb1EES19_IbLb0EEEEDaS15_S16_EUlS15_E_NS1_11comp_targetILNS1_3genE9ELNS1_11target_archE1100ELNS1_3gpuE3ELNS1_3repE0EEENS1_30default_config_static_selectorELNS0_4arch9wavefront6targetE1EEEvT1_
		.amdhsa_group_segment_fixed_size 0
		.amdhsa_private_segment_fixed_size 0
		.amdhsa_kernarg_size 120
		.amdhsa_user_sgpr_count 6
		.amdhsa_user_sgpr_private_segment_buffer 1
		.amdhsa_user_sgpr_dispatch_ptr 0
		.amdhsa_user_sgpr_queue_ptr 0
		.amdhsa_user_sgpr_kernarg_segment_ptr 1
		.amdhsa_user_sgpr_dispatch_id 0
		.amdhsa_user_sgpr_flat_scratch_init 0
		.amdhsa_user_sgpr_kernarg_preload_length 0
		.amdhsa_user_sgpr_kernarg_preload_offset 0
		.amdhsa_user_sgpr_private_segment_size 0
		.amdhsa_uses_dynamic_stack 0
		.amdhsa_system_sgpr_private_segment_wavefront_offset 0
		.amdhsa_system_sgpr_workgroup_id_x 1
		.amdhsa_system_sgpr_workgroup_id_y 0
		.amdhsa_system_sgpr_workgroup_id_z 0
		.amdhsa_system_sgpr_workgroup_info 0
		.amdhsa_system_vgpr_workitem_id 0
		.amdhsa_next_free_vgpr 1
		.amdhsa_next_free_sgpr 0
		.amdhsa_accum_offset 4
		.amdhsa_reserve_vcc 0
		.amdhsa_reserve_flat_scratch 0
		.amdhsa_float_round_mode_32 0
		.amdhsa_float_round_mode_16_64 0
		.amdhsa_float_denorm_mode_32 3
		.amdhsa_float_denorm_mode_16_64 3
		.amdhsa_dx10_clamp 1
		.amdhsa_ieee_mode 1
		.amdhsa_fp16_overflow 0
		.amdhsa_tg_split 0
		.amdhsa_exception_fp_ieee_invalid_op 0
		.amdhsa_exception_fp_denorm_src 0
		.amdhsa_exception_fp_ieee_div_zero 0
		.amdhsa_exception_fp_ieee_overflow 0
		.amdhsa_exception_fp_ieee_underflow 0
		.amdhsa_exception_fp_ieee_inexact 0
		.amdhsa_exception_int_div_zero 0
	.end_amdhsa_kernel
	.section	.text._ZN7rocprim17ROCPRIM_400000_NS6detail17trampoline_kernelINS0_14default_configENS1_25partition_config_selectorILNS1_17partition_subalgoE3EiNS0_10empty_typeEbEEZZNS1_14partition_implILS5_3ELb0ES3_jN6thrust23THRUST_200600_302600_NS6detail15normal_iteratorINSA_7pointerIiNSA_11hip_rocprim3tagENSA_11use_defaultESG_EEEEPS6_SJ_NS0_5tupleIJPiSJ_EEENSK_IJSJ_SJ_EEES6_PlJ7is_evenIiEEEE10hipError_tPvRmT3_T4_T5_T6_T7_T9_mT8_P12ihipStream_tbDpT10_ENKUlT_T0_E_clISt17integral_constantIbLb1EES19_IbLb0EEEEDaS15_S16_EUlS15_E_NS1_11comp_targetILNS1_3genE9ELNS1_11target_archE1100ELNS1_3gpuE3ELNS1_3repE0EEENS1_30default_config_static_selectorELNS0_4arch9wavefront6targetE1EEEvT1_,"axG",@progbits,_ZN7rocprim17ROCPRIM_400000_NS6detail17trampoline_kernelINS0_14default_configENS1_25partition_config_selectorILNS1_17partition_subalgoE3EiNS0_10empty_typeEbEEZZNS1_14partition_implILS5_3ELb0ES3_jN6thrust23THRUST_200600_302600_NS6detail15normal_iteratorINSA_7pointerIiNSA_11hip_rocprim3tagENSA_11use_defaultESG_EEEEPS6_SJ_NS0_5tupleIJPiSJ_EEENSK_IJSJ_SJ_EEES6_PlJ7is_evenIiEEEE10hipError_tPvRmT3_T4_T5_T6_T7_T9_mT8_P12ihipStream_tbDpT10_ENKUlT_T0_E_clISt17integral_constantIbLb1EES19_IbLb0EEEEDaS15_S16_EUlS15_E_NS1_11comp_targetILNS1_3genE9ELNS1_11target_archE1100ELNS1_3gpuE3ELNS1_3repE0EEENS1_30default_config_static_selectorELNS0_4arch9wavefront6targetE1EEEvT1_,comdat
.Lfunc_end110:
	.size	_ZN7rocprim17ROCPRIM_400000_NS6detail17trampoline_kernelINS0_14default_configENS1_25partition_config_selectorILNS1_17partition_subalgoE3EiNS0_10empty_typeEbEEZZNS1_14partition_implILS5_3ELb0ES3_jN6thrust23THRUST_200600_302600_NS6detail15normal_iteratorINSA_7pointerIiNSA_11hip_rocprim3tagENSA_11use_defaultESG_EEEEPS6_SJ_NS0_5tupleIJPiSJ_EEENSK_IJSJ_SJ_EEES6_PlJ7is_evenIiEEEE10hipError_tPvRmT3_T4_T5_T6_T7_T9_mT8_P12ihipStream_tbDpT10_ENKUlT_T0_E_clISt17integral_constantIbLb1EES19_IbLb0EEEEDaS15_S16_EUlS15_E_NS1_11comp_targetILNS1_3genE9ELNS1_11target_archE1100ELNS1_3gpuE3ELNS1_3repE0EEENS1_30default_config_static_selectorELNS0_4arch9wavefront6targetE1EEEvT1_, .Lfunc_end110-_ZN7rocprim17ROCPRIM_400000_NS6detail17trampoline_kernelINS0_14default_configENS1_25partition_config_selectorILNS1_17partition_subalgoE3EiNS0_10empty_typeEbEEZZNS1_14partition_implILS5_3ELb0ES3_jN6thrust23THRUST_200600_302600_NS6detail15normal_iteratorINSA_7pointerIiNSA_11hip_rocprim3tagENSA_11use_defaultESG_EEEEPS6_SJ_NS0_5tupleIJPiSJ_EEENSK_IJSJ_SJ_EEES6_PlJ7is_evenIiEEEE10hipError_tPvRmT3_T4_T5_T6_T7_T9_mT8_P12ihipStream_tbDpT10_ENKUlT_T0_E_clISt17integral_constantIbLb1EES19_IbLb0EEEEDaS15_S16_EUlS15_E_NS1_11comp_targetILNS1_3genE9ELNS1_11target_archE1100ELNS1_3gpuE3ELNS1_3repE0EEENS1_30default_config_static_selectorELNS0_4arch9wavefront6targetE1EEEvT1_
                                        ; -- End function
	.section	.AMDGPU.csdata,"",@progbits
; Kernel info:
; codeLenInByte = 0
; NumSgprs: 4
; NumVgprs: 0
; NumAgprs: 0
; TotalNumVgprs: 0
; ScratchSize: 0
; MemoryBound: 0
; FloatMode: 240
; IeeeMode: 1
; LDSByteSize: 0 bytes/workgroup (compile time only)
; SGPRBlocks: 0
; VGPRBlocks: 0
; NumSGPRsForWavesPerEU: 4
; NumVGPRsForWavesPerEU: 1
; AccumOffset: 4
; Occupancy: 8
; WaveLimiterHint : 0
; COMPUTE_PGM_RSRC2:SCRATCH_EN: 0
; COMPUTE_PGM_RSRC2:USER_SGPR: 6
; COMPUTE_PGM_RSRC2:TRAP_HANDLER: 0
; COMPUTE_PGM_RSRC2:TGID_X_EN: 1
; COMPUTE_PGM_RSRC2:TGID_Y_EN: 0
; COMPUTE_PGM_RSRC2:TGID_Z_EN: 0
; COMPUTE_PGM_RSRC2:TIDIG_COMP_CNT: 0
; COMPUTE_PGM_RSRC3_GFX90A:ACCUM_OFFSET: 0
; COMPUTE_PGM_RSRC3_GFX90A:TG_SPLIT: 0
	.section	.text._ZN7rocprim17ROCPRIM_400000_NS6detail17trampoline_kernelINS0_14default_configENS1_25partition_config_selectorILNS1_17partition_subalgoE3EiNS0_10empty_typeEbEEZZNS1_14partition_implILS5_3ELb0ES3_jN6thrust23THRUST_200600_302600_NS6detail15normal_iteratorINSA_7pointerIiNSA_11hip_rocprim3tagENSA_11use_defaultESG_EEEEPS6_SJ_NS0_5tupleIJPiSJ_EEENSK_IJSJ_SJ_EEES6_PlJ7is_evenIiEEEE10hipError_tPvRmT3_T4_T5_T6_T7_T9_mT8_P12ihipStream_tbDpT10_ENKUlT_T0_E_clISt17integral_constantIbLb1EES19_IbLb0EEEEDaS15_S16_EUlS15_E_NS1_11comp_targetILNS1_3genE8ELNS1_11target_archE1030ELNS1_3gpuE2ELNS1_3repE0EEENS1_30default_config_static_selectorELNS0_4arch9wavefront6targetE1EEEvT1_,"axG",@progbits,_ZN7rocprim17ROCPRIM_400000_NS6detail17trampoline_kernelINS0_14default_configENS1_25partition_config_selectorILNS1_17partition_subalgoE3EiNS0_10empty_typeEbEEZZNS1_14partition_implILS5_3ELb0ES3_jN6thrust23THRUST_200600_302600_NS6detail15normal_iteratorINSA_7pointerIiNSA_11hip_rocprim3tagENSA_11use_defaultESG_EEEEPS6_SJ_NS0_5tupleIJPiSJ_EEENSK_IJSJ_SJ_EEES6_PlJ7is_evenIiEEEE10hipError_tPvRmT3_T4_T5_T6_T7_T9_mT8_P12ihipStream_tbDpT10_ENKUlT_T0_E_clISt17integral_constantIbLb1EES19_IbLb0EEEEDaS15_S16_EUlS15_E_NS1_11comp_targetILNS1_3genE8ELNS1_11target_archE1030ELNS1_3gpuE2ELNS1_3repE0EEENS1_30default_config_static_selectorELNS0_4arch9wavefront6targetE1EEEvT1_,comdat
	.protected	_ZN7rocprim17ROCPRIM_400000_NS6detail17trampoline_kernelINS0_14default_configENS1_25partition_config_selectorILNS1_17partition_subalgoE3EiNS0_10empty_typeEbEEZZNS1_14partition_implILS5_3ELb0ES3_jN6thrust23THRUST_200600_302600_NS6detail15normal_iteratorINSA_7pointerIiNSA_11hip_rocprim3tagENSA_11use_defaultESG_EEEEPS6_SJ_NS0_5tupleIJPiSJ_EEENSK_IJSJ_SJ_EEES6_PlJ7is_evenIiEEEE10hipError_tPvRmT3_T4_T5_T6_T7_T9_mT8_P12ihipStream_tbDpT10_ENKUlT_T0_E_clISt17integral_constantIbLb1EES19_IbLb0EEEEDaS15_S16_EUlS15_E_NS1_11comp_targetILNS1_3genE8ELNS1_11target_archE1030ELNS1_3gpuE2ELNS1_3repE0EEENS1_30default_config_static_selectorELNS0_4arch9wavefront6targetE1EEEvT1_ ; -- Begin function _ZN7rocprim17ROCPRIM_400000_NS6detail17trampoline_kernelINS0_14default_configENS1_25partition_config_selectorILNS1_17partition_subalgoE3EiNS0_10empty_typeEbEEZZNS1_14partition_implILS5_3ELb0ES3_jN6thrust23THRUST_200600_302600_NS6detail15normal_iteratorINSA_7pointerIiNSA_11hip_rocprim3tagENSA_11use_defaultESG_EEEEPS6_SJ_NS0_5tupleIJPiSJ_EEENSK_IJSJ_SJ_EEES6_PlJ7is_evenIiEEEE10hipError_tPvRmT3_T4_T5_T6_T7_T9_mT8_P12ihipStream_tbDpT10_ENKUlT_T0_E_clISt17integral_constantIbLb1EES19_IbLb0EEEEDaS15_S16_EUlS15_E_NS1_11comp_targetILNS1_3genE8ELNS1_11target_archE1030ELNS1_3gpuE2ELNS1_3repE0EEENS1_30default_config_static_selectorELNS0_4arch9wavefront6targetE1EEEvT1_
	.globl	_ZN7rocprim17ROCPRIM_400000_NS6detail17trampoline_kernelINS0_14default_configENS1_25partition_config_selectorILNS1_17partition_subalgoE3EiNS0_10empty_typeEbEEZZNS1_14partition_implILS5_3ELb0ES3_jN6thrust23THRUST_200600_302600_NS6detail15normal_iteratorINSA_7pointerIiNSA_11hip_rocprim3tagENSA_11use_defaultESG_EEEEPS6_SJ_NS0_5tupleIJPiSJ_EEENSK_IJSJ_SJ_EEES6_PlJ7is_evenIiEEEE10hipError_tPvRmT3_T4_T5_T6_T7_T9_mT8_P12ihipStream_tbDpT10_ENKUlT_T0_E_clISt17integral_constantIbLb1EES19_IbLb0EEEEDaS15_S16_EUlS15_E_NS1_11comp_targetILNS1_3genE8ELNS1_11target_archE1030ELNS1_3gpuE2ELNS1_3repE0EEENS1_30default_config_static_selectorELNS0_4arch9wavefront6targetE1EEEvT1_
	.p2align	8
	.type	_ZN7rocprim17ROCPRIM_400000_NS6detail17trampoline_kernelINS0_14default_configENS1_25partition_config_selectorILNS1_17partition_subalgoE3EiNS0_10empty_typeEbEEZZNS1_14partition_implILS5_3ELb0ES3_jN6thrust23THRUST_200600_302600_NS6detail15normal_iteratorINSA_7pointerIiNSA_11hip_rocprim3tagENSA_11use_defaultESG_EEEEPS6_SJ_NS0_5tupleIJPiSJ_EEENSK_IJSJ_SJ_EEES6_PlJ7is_evenIiEEEE10hipError_tPvRmT3_T4_T5_T6_T7_T9_mT8_P12ihipStream_tbDpT10_ENKUlT_T0_E_clISt17integral_constantIbLb1EES19_IbLb0EEEEDaS15_S16_EUlS15_E_NS1_11comp_targetILNS1_3genE8ELNS1_11target_archE1030ELNS1_3gpuE2ELNS1_3repE0EEENS1_30default_config_static_selectorELNS0_4arch9wavefront6targetE1EEEvT1_,@function
_ZN7rocprim17ROCPRIM_400000_NS6detail17trampoline_kernelINS0_14default_configENS1_25partition_config_selectorILNS1_17partition_subalgoE3EiNS0_10empty_typeEbEEZZNS1_14partition_implILS5_3ELb0ES3_jN6thrust23THRUST_200600_302600_NS6detail15normal_iteratorINSA_7pointerIiNSA_11hip_rocprim3tagENSA_11use_defaultESG_EEEEPS6_SJ_NS0_5tupleIJPiSJ_EEENSK_IJSJ_SJ_EEES6_PlJ7is_evenIiEEEE10hipError_tPvRmT3_T4_T5_T6_T7_T9_mT8_P12ihipStream_tbDpT10_ENKUlT_T0_E_clISt17integral_constantIbLb1EES19_IbLb0EEEEDaS15_S16_EUlS15_E_NS1_11comp_targetILNS1_3genE8ELNS1_11target_archE1030ELNS1_3gpuE2ELNS1_3repE0EEENS1_30default_config_static_selectorELNS0_4arch9wavefront6targetE1EEEvT1_: ; @_ZN7rocprim17ROCPRIM_400000_NS6detail17trampoline_kernelINS0_14default_configENS1_25partition_config_selectorILNS1_17partition_subalgoE3EiNS0_10empty_typeEbEEZZNS1_14partition_implILS5_3ELb0ES3_jN6thrust23THRUST_200600_302600_NS6detail15normal_iteratorINSA_7pointerIiNSA_11hip_rocprim3tagENSA_11use_defaultESG_EEEEPS6_SJ_NS0_5tupleIJPiSJ_EEENSK_IJSJ_SJ_EEES6_PlJ7is_evenIiEEEE10hipError_tPvRmT3_T4_T5_T6_T7_T9_mT8_P12ihipStream_tbDpT10_ENKUlT_T0_E_clISt17integral_constantIbLb1EES19_IbLb0EEEEDaS15_S16_EUlS15_E_NS1_11comp_targetILNS1_3genE8ELNS1_11target_archE1030ELNS1_3gpuE2ELNS1_3repE0EEENS1_30default_config_static_selectorELNS0_4arch9wavefront6targetE1EEEvT1_
; %bb.0:
	.section	.rodata,"a",@progbits
	.p2align	6, 0x0
	.amdhsa_kernel _ZN7rocprim17ROCPRIM_400000_NS6detail17trampoline_kernelINS0_14default_configENS1_25partition_config_selectorILNS1_17partition_subalgoE3EiNS0_10empty_typeEbEEZZNS1_14partition_implILS5_3ELb0ES3_jN6thrust23THRUST_200600_302600_NS6detail15normal_iteratorINSA_7pointerIiNSA_11hip_rocprim3tagENSA_11use_defaultESG_EEEEPS6_SJ_NS0_5tupleIJPiSJ_EEENSK_IJSJ_SJ_EEES6_PlJ7is_evenIiEEEE10hipError_tPvRmT3_T4_T5_T6_T7_T9_mT8_P12ihipStream_tbDpT10_ENKUlT_T0_E_clISt17integral_constantIbLb1EES19_IbLb0EEEEDaS15_S16_EUlS15_E_NS1_11comp_targetILNS1_3genE8ELNS1_11target_archE1030ELNS1_3gpuE2ELNS1_3repE0EEENS1_30default_config_static_selectorELNS0_4arch9wavefront6targetE1EEEvT1_
		.amdhsa_group_segment_fixed_size 0
		.amdhsa_private_segment_fixed_size 0
		.amdhsa_kernarg_size 120
		.amdhsa_user_sgpr_count 6
		.amdhsa_user_sgpr_private_segment_buffer 1
		.amdhsa_user_sgpr_dispatch_ptr 0
		.amdhsa_user_sgpr_queue_ptr 0
		.amdhsa_user_sgpr_kernarg_segment_ptr 1
		.amdhsa_user_sgpr_dispatch_id 0
		.amdhsa_user_sgpr_flat_scratch_init 0
		.amdhsa_user_sgpr_kernarg_preload_length 0
		.amdhsa_user_sgpr_kernarg_preload_offset 0
		.amdhsa_user_sgpr_private_segment_size 0
		.amdhsa_uses_dynamic_stack 0
		.amdhsa_system_sgpr_private_segment_wavefront_offset 0
		.amdhsa_system_sgpr_workgroup_id_x 1
		.amdhsa_system_sgpr_workgroup_id_y 0
		.amdhsa_system_sgpr_workgroup_id_z 0
		.amdhsa_system_sgpr_workgroup_info 0
		.amdhsa_system_vgpr_workitem_id 0
		.amdhsa_next_free_vgpr 1
		.amdhsa_next_free_sgpr 0
		.amdhsa_accum_offset 4
		.amdhsa_reserve_vcc 0
		.amdhsa_reserve_flat_scratch 0
		.amdhsa_float_round_mode_32 0
		.amdhsa_float_round_mode_16_64 0
		.amdhsa_float_denorm_mode_32 3
		.amdhsa_float_denorm_mode_16_64 3
		.amdhsa_dx10_clamp 1
		.amdhsa_ieee_mode 1
		.amdhsa_fp16_overflow 0
		.amdhsa_tg_split 0
		.amdhsa_exception_fp_ieee_invalid_op 0
		.amdhsa_exception_fp_denorm_src 0
		.amdhsa_exception_fp_ieee_div_zero 0
		.amdhsa_exception_fp_ieee_overflow 0
		.amdhsa_exception_fp_ieee_underflow 0
		.amdhsa_exception_fp_ieee_inexact 0
		.amdhsa_exception_int_div_zero 0
	.end_amdhsa_kernel
	.section	.text._ZN7rocprim17ROCPRIM_400000_NS6detail17trampoline_kernelINS0_14default_configENS1_25partition_config_selectorILNS1_17partition_subalgoE3EiNS0_10empty_typeEbEEZZNS1_14partition_implILS5_3ELb0ES3_jN6thrust23THRUST_200600_302600_NS6detail15normal_iteratorINSA_7pointerIiNSA_11hip_rocprim3tagENSA_11use_defaultESG_EEEEPS6_SJ_NS0_5tupleIJPiSJ_EEENSK_IJSJ_SJ_EEES6_PlJ7is_evenIiEEEE10hipError_tPvRmT3_T4_T5_T6_T7_T9_mT8_P12ihipStream_tbDpT10_ENKUlT_T0_E_clISt17integral_constantIbLb1EES19_IbLb0EEEEDaS15_S16_EUlS15_E_NS1_11comp_targetILNS1_3genE8ELNS1_11target_archE1030ELNS1_3gpuE2ELNS1_3repE0EEENS1_30default_config_static_selectorELNS0_4arch9wavefront6targetE1EEEvT1_,"axG",@progbits,_ZN7rocprim17ROCPRIM_400000_NS6detail17trampoline_kernelINS0_14default_configENS1_25partition_config_selectorILNS1_17partition_subalgoE3EiNS0_10empty_typeEbEEZZNS1_14partition_implILS5_3ELb0ES3_jN6thrust23THRUST_200600_302600_NS6detail15normal_iteratorINSA_7pointerIiNSA_11hip_rocprim3tagENSA_11use_defaultESG_EEEEPS6_SJ_NS0_5tupleIJPiSJ_EEENSK_IJSJ_SJ_EEES6_PlJ7is_evenIiEEEE10hipError_tPvRmT3_T4_T5_T6_T7_T9_mT8_P12ihipStream_tbDpT10_ENKUlT_T0_E_clISt17integral_constantIbLb1EES19_IbLb0EEEEDaS15_S16_EUlS15_E_NS1_11comp_targetILNS1_3genE8ELNS1_11target_archE1030ELNS1_3gpuE2ELNS1_3repE0EEENS1_30default_config_static_selectorELNS0_4arch9wavefront6targetE1EEEvT1_,comdat
.Lfunc_end111:
	.size	_ZN7rocprim17ROCPRIM_400000_NS6detail17trampoline_kernelINS0_14default_configENS1_25partition_config_selectorILNS1_17partition_subalgoE3EiNS0_10empty_typeEbEEZZNS1_14partition_implILS5_3ELb0ES3_jN6thrust23THRUST_200600_302600_NS6detail15normal_iteratorINSA_7pointerIiNSA_11hip_rocprim3tagENSA_11use_defaultESG_EEEEPS6_SJ_NS0_5tupleIJPiSJ_EEENSK_IJSJ_SJ_EEES6_PlJ7is_evenIiEEEE10hipError_tPvRmT3_T4_T5_T6_T7_T9_mT8_P12ihipStream_tbDpT10_ENKUlT_T0_E_clISt17integral_constantIbLb1EES19_IbLb0EEEEDaS15_S16_EUlS15_E_NS1_11comp_targetILNS1_3genE8ELNS1_11target_archE1030ELNS1_3gpuE2ELNS1_3repE0EEENS1_30default_config_static_selectorELNS0_4arch9wavefront6targetE1EEEvT1_, .Lfunc_end111-_ZN7rocprim17ROCPRIM_400000_NS6detail17trampoline_kernelINS0_14default_configENS1_25partition_config_selectorILNS1_17partition_subalgoE3EiNS0_10empty_typeEbEEZZNS1_14partition_implILS5_3ELb0ES3_jN6thrust23THRUST_200600_302600_NS6detail15normal_iteratorINSA_7pointerIiNSA_11hip_rocprim3tagENSA_11use_defaultESG_EEEEPS6_SJ_NS0_5tupleIJPiSJ_EEENSK_IJSJ_SJ_EEES6_PlJ7is_evenIiEEEE10hipError_tPvRmT3_T4_T5_T6_T7_T9_mT8_P12ihipStream_tbDpT10_ENKUlT_T0_E_clISt17integral_constantIbLb1EES19_IbLb0EEEEDaS15_S16_EUlS15_E_NS1_11comp_targetILNS1_3genE8ELNS1_11target_archE1030ELNS1_3gpuE2ELNS1_3repE0EEENS1_30default_config_static_selectorELNS0_4arch9wavefront6targetE1EEEvT1_
                                        ; -- End function
	.section	.AMDGPU.csdata,"",@progbits
; Kernel info:
; codeLenInByte = 0
; NumSgprs: 4
; NumVgprs: 0
; NumAgprs: 0
; TotalNumVgprs: 0
; ScratchSize: 0
; MemoryBound: 0
; FloatMode: 240
; IeeeMode: 1
; LDSByteSize: 0 bytes/workgroup (compile time only)
; SGPRBlocks: 0
; VGPRBlocks: 0
; NumSGPRsForWavesPerEU: 4
; NumVGPRsForWavesPerEU: 1
; AccumOffset: 4
; Occupancy: 8
; WaveLimiterHint : 0
; COMPUTE_PGM_RSRC2:SCRATCH_EN: 0
; COMPUTE_PGM_RSRC2:USER_SGPR: 6
; COMPUTE_PGM_RSRC2:TRAP_HANDLER: 0
; COMPUTE_PGM_RSRC2:TGID_X_EN: 1
; COMPUTE_PGM_RSRC2:TGID_Y_EN: 0
; COMPUTE_PGM_RSRC2:TGID_Z_EN: 0
; COMPUTE_PGM_RSRC2:TIDIG_COMP_CNT: 0
; COMPUTE_PGM_RSRC3_GFX90A:ACCUM_OFFSET: 0
; COMPUTE_PGM_RSRC3_GFX90A:TG_SPLIT: 0
	.section	.text._ZN7rocprim17ROCPRIM_400000_NS6detail17trampoline_kernelINS0_14default_configENS1_25partition_config_selectorILNS1_17partition_subalgoE3EiNS0_10empty_typeEbEEZZNS1_14partition_implILS5_3ELb0ES3_jN6thrust23THRUST_200600_302600_NS6detail15normal_iteratorINSA_7pointerIiNSA_11hip_rocprim3tagENSA_11use_defaultESG_EEEEPS6_SJ_NS0_5tupleIJPiSJ_EEENSK_IJSJ_SJ_EEES6_PlJ7is_evenIiEEEE10hipError_tPvRmT3_T4_T5_T6_T7_T9_mT8_P12ihipStream_tbDpT10_ENKUlT_T0_E_clISt17integral_constantIbLb0EES19_IbLb1EEEEDaS15_S16_EUlS15_E_NS1_11comp_targetILNS1_3genE0ELNS1_11target_archE4294967295ELNS1_3gpuE0ELNS1_3repE0EEENS1_30default_config_static_selectorELNS0_4arch9wavefront6targetE1EEEvT1_,"axG",@progbits,_ZN7rocprim17ROCPRIM_400000_NS6detail17trampoline_kernelINS0_14default_configENS1_25partition_config_selectorILNS1_17partition_subalgoE3EiNS0_10empty_typeEbEEZZNS1_14partition_implILS5_3ELb0ES3_jN6thrust23THRUST_200600_302600_NS6detail15normal_iteratorINSA_7pointerIiNSA_11hip_rocprim3tagENSA_11use_defaultESG_EEEEPS6_SJ_NS0_5tupleIJPiSJ_EEENSK_IJSJ_SJ_EEES6_PlJ7is_evenIiEEEE10hipError_tPvRmT3_T4_T5_T6_T7_T9_mT8_P12ihipStream_tbDpT10_ENKUlT_T0_E_clISt17integral_constantIbLb0EES19_IbLb1EEEEDaS15_S16_EUlS15_E_NS1_11comp_targetILNS1_3genE0ELNS1_11target_archE4294967295ELNS1_3gpuE0ELNS1_3repE0EEENS1_30default_config_static_selectorELNS0_4arch9wavefront6targetE1EEEvT1_,comdat
	.protected	_ZN7rocprim17ROCPRIM_400000_NS6detail17trampoline_kernelINS0_14default_configENS1_25partition_config_selectorILNS1_17partition_subalgoE3EiNS0_10empty_typeEbEEZZNS1_14partition_implILS5_3ELb0ES3_jN6thrust23THRUST_200600_302600_NS6detail15normal_iteratorINSA_7pointerIiNSA_11hip_rocprim3tagENSA_11use_defaultESG_EEEEPS6_SJ_NS0_5tupleIJPiSJ_EEENSK_IJSJ_SJ_EEES6_PlJ7is_evenIiEEEE10hipError_tPvRmT3_T4_T5_T6_T7_T9_mT8_P12ihipStream_tbDpT10_ENKUlT_T0_E_clISt17integral_constantIbLb0EES19_IbLb1EEEEDaS15_S16_EUlS15_E_NS1_11comp_targetILNS1_3genE0ELNS1_11target_archE4294967295ELNS1_3gpuE0ELNS1_3repE0EEENS1_30default_config_static_selectorELNS0_4arch9wavefront6targetE1EEEvT1_ ; -- Begin function _ZN7rocprim17ROCPRIM_400000_NS6detail17trampoline_kernelINS0_14default_configENS1_25partition_config_selectorILNS1_17partition_subalgoE3EiNS0_10empty_typeEbEEZZNS1_14partition_implILS5_3ELb0ES3_jN6thrust23THRUST_200600_302600_NS6detail15normal_iteratorINSA_7pointerIiNSA_11hip_rocprim3tagENSA_11use_defaultESG_EEEEPS6_SJ_NS0_5tupleIJPiSJ_EEENSK_IJSJ_SJ_EEES6_PlJ7is_evenIiEEEE10hipError_tPvRmT3_T4_T5_T6_T7_T9_mT8_P12ihipStream_tbDpT10_ENKUlT_T0_E_clISt17integral_constantIbLb0EES19_IbLb1EEEEDaS15_S16_EUlS15_E_NS1_11comp_targetILNS1_3genE0ELNS1_11target_archE4294967295ELNS1_3gpuE0ELNS1_3repE0EEENS1_30default_config_static_selectorELNS0_4arch9wavefront6targetE1EEEvT1_
	.globl	_ZN7rocprim17ROCPRIM_400000_NS6detail17trampoline_kernelINS0_14default_configENS1_25partition_config_selectorILNS1_17partition_subalgoE3EiNS0_10empty_typeEbEEZZNS1_14partition_implILS5_3ELb0ES3_jN6thrust23THRUST_200600_302600_NS6detail15normal_iteratorINSA_7pointerIiNSA_11hip_rocprim3tagENSA_11use_defaultESG_EEEEPS6_SJ_NS0_5tupleIJPiSJ_EEENSK_IJSJ_SJ_EEES6_PlJ7is_evenIiEEEE10hipError_tPvRmT3_T4_T5_T6_T7_T9_mT8_P12ihipStream_tbDpT10_ENKUlT_T0_E_clISt17integral_constantIbLb0EES19_IbLb1EEEEDaS15_S16_EUlS15_E_NS1_11comp_targetILNS1_3genE0ELNS1_11target_archE4294967295ELNS1_3gpuE0ELNS1_3repE0EEENS1_30default_config_static_selectorELNS0_4arch9wavefront6targetE1EEEvT1_
	.p2align	8
	.type	_ZN7rocprim17ROCPRIM_400000_NS6detail17trampoline_kernelINS0_14default_configENS1_25partition_config_selectorILNS1_17partition_subalgoE3EiNS0_10empty_typeEbEEZZNS1_14partition_implILS5_3ELb0ES3_jN6thrust23THRUST_200600_302600_NS6detail15normal_iteratorINSA_7pointerIiNSA_11hip_rocprim3tagENSA_11use_defaultESG_EEEEPS6_SJ_NS0_5tupleIJPiSJ_EEENSK_IJSJ_SJ_EEES6_PlJ7is_evenIiEEEE10hipError_tPvRmT3_T4_T5_T6_T7_T9_mT8_P12ihipStream_tbDpT10_ENKUlT_T0_E_clISt17integral_constantIbLb0EES19_IbLb1EEEEDaS15_S16_EUlS15_E_NS1_11comp_targetILNS1_3genE0ELNS1_11target_archE4294967295ELNS1_3gpuE0ELNS1_3repE0EEENS1_30default_config_static_selectorELNS0_4arch9wavefront6targetE1EEEvT1_,@function
_ZN7rocprim17ROCPRIM_400000_NS6detail17trampoline_kernelINS0_14default_configENS1_25partition_config_selectorILNS1_17partition_subalgoE3EiNS0_10empty_typeEbEEZZNS1_14partition_implILS5_3ELb0ES3_jN6thrust23THRUST_200600_302600_NS6detail15normal_iteratorINSA_7pointerIiNSA_11hip_rocprim3tagENSA_11use_defaultESG_EEEEPS6_SJ_NS0_5tupleIJPiSJ_EEENSK_IJSJ_SJ_EEES6_PlJ7is_evenIiEEEE10hipError_tPvRmT3_T4_T5_T6_T7_T9_mT8_P12ihipStream_tbDpT10_ENKUlT_T0_E_clISt17integral_constantIbLb0EES19_IbLb1EEEEDaS15_S16_EUlS15_E_NS1_11comp_targetILNS1_3genE0ELNS1_11target_archE4294967295ELNS1_3gpuE0ELNS1_3repE0EEENS1_30default_config_static_selectorELNS0_4arch9wavefront6targetE1EEEvT1_: ; @_ZN7rocprim17ROCPRIM_400000_NS6detail17trampoline_kernelINS0_14default_configENS1_25partition_config_selectorILNS1_17partition_subalgoE3EiNS0_10empty_typeEbEEZZNS1_14partition_implILS5_3ELb0ES3_jN6thrust23THRUST_200600_302600_NS6detail15normal_iteratorINSA_7pointerIiNSA_11hip_rocprim3tagENSA_11use_defaultESG_EEEEPS6_SJ_NS0_5tupleIJPiSJ_EEENSK_IJSJ_SJ_EEES6_PlJ7is_evenIiEEEE10hipError_tPvRmT3_T4_T5_T6_T7_T9_mT8_P12ihipStream_tbDpT10_ENKUlT_T0_E_clISt17integral_constantIbLb0EES19_IbLb1EEEEDaS15_S16_EUlS15_E_NS1_11comp_targetILNS1_3genE0ELNS1_11target_archE4294967295ELNS1_3gpuE0ELNS1_3repE0EEENS1_30default_config_static_selectorELNS0_4arch9wavefront6targetE1EEEvT1_
; %bb.0:
	.section	.rodata,"a",@progbits
	.p2align	6, 0x0
	.amdhsa_kernel _ZN7rocprim17ROCPRIM_400000_NS6detail17trampoline_kernelINS0_14default_configENS1_25partition_config_selectorILNS1_17partition_subalgoE3EiNS0_10empty_typeEbEEZZNS1_14partition_implILS5_3ELb0ES3_jN6thrust23THRUST_200600_302600_NS6detail15normal_iteratorINSA_7pointerIiNSA_11hip_rocprim3tagENSA_11use_defaultESG_EEEEPS6_SJ_NS0_5tupleIJPiSJ_EEENSK_IJSJ_SJ_EEES6_PlJ7is_evenIiEEEE10hipError_tPvRmT3_T4_T5_T6_T7_T9_mT8_P12ihipStream_tbDpT10_ENKUlT_T0_E_clISt17integral_constantIbLb0EES19_IbLb1EEEEDaS15_S16_EUlS15_E_NS1_11comp_targetILNS1_3genE0ELNS1_11target_archE4294967295ELNS1_3gpuE0ELNS1_3repE0EEENS1_30default_config_static_selectorELNS0_4arch9wavefront6targetE1EEEvT1_
		.amdhsa_group_segment_fixed_size 0
		.amdhsa_private_segment_fixed_size 0
		.amdhsa_kernarg_size 136
		.amdhsa_user_sgpr_count 6
		.amdhsa_user_sgpr_private_segment_buffer 1
		.amdhsa_user_sgpr_dispatch_ptr 0
		.amdhsa_user_sgpr_queue_ptr 0
		.amdhsa_user_sgpr_kernarg_segment_ptr 1
		.amdhsa_user_sgpr_dispatch_id 0
		.amdhsa_user_sgpr_flat_scratch_init 0
		.amdhsa_user_sgpr_kernarg_preload_length 0
		.amdhsa_user_sgpr_kernarg_preload_offset 0
		.amdhsa_user_sgpr_private_segment_size 0
		.amdhsa_uses_dynamic_stack 0
		.amdhsa_system_sgpr_private_segment_wavefront_offset 0
		.amdhsa_system_sgpr_workgroup_id_x 1
		.amdhsa_system_sgpr_workgroup_id_y 0
		.amdhsa_system_sgpr_workgroup_id_z 0
		.amdhsa_system_sgpr_workgroup_info 0
		.amdhsa_system_vgpr_workitem_id 0
		.amdhsa_next_free_vgpr 1
		.amdhsa_next_free_sgpr 0
		.amdhsa_accum_offset 4
		.amdhsa_reserve_vcc 0
		.amdhsa_reserve_flat_scratch 0
		.amdhsa_float_round_mode_32 0
		.amdhsa_float_round_mode_16_64 0
		.amdhsa_float_denorm_mode_32 3
		.amdhsa_float_denorm_mode_16_64 3
		.amdhsa_dx10_clamp 1
		.amdhsa_ieee_mode 1
		.amdhsa_fp16_overflow 0
		.amdhsa_tg_split 0
		.amdhsa_exception_fp_ieee_invalid_op 0
		.amdhsa_exception_fp_denorm_src 0
		.amdhsa_exception_fp_ieee_div_zero 0
		.amdhsa_exception_fp_ieee_overflow 0
		.amdhsa_exception_fp_ieee_underflow 0
		.amdhsa_exception_fp_ieee_inexact 0
		.amdhsa_exception_int_div_zero 0
	.end_amdhsa_kernel
	.section	.text._ZN7rocprim17ROCPRIM_400000_NS6detail17trampoline_kernelINS0_14default_configENS1_25partition_config_selectorILNS1_17partition_subalgoE3EiNS0_10empty_typeEbEEZZNS1_14partition_implILS5_3ELb0ES3_jN6thrust23THRUST_200600_302600_NS6detail15normal_iteratorINSA_7pointerIiNSA_11hip_rocprim3tagENSA_11use_defaultESG_EEEEPS6_SJ_NS0_5tupleIJPiSJ_EEENSK_IJSJ_SJ_EEES6_PlJ7is_evenIiEEEE10hipError_tPvRmT3_T4_T5_T6_T7_T9_mT8_P12ihipStream_tbDpT10_ENKUlT_T0_E_clISt17integral_constantIbLb0EES19_IbLb1EEEEDaS15_S16_EUlS15_E_NS1_11comp_targetILNS1_3genE0ELNS1_11target_archE4294967295ELNS1_3gpuE0ELNS1_3repE0EEENS1_30default_config_static_selectorELNS0_4arch9wavefront6targetE1EEEvT1_,"axG",@progbits,_ZN7rocprim17ROCPRIM_400000_NS6detail17trampoline_kernelINS0_14default_configENS1_25partition_config_selectorILNS1_17partition_subalgoE3EiNS0_10empty_typeEbEEZZNS1_14partition_implILS5_3ELb0ES3_jN6thrust23THRUST_200600_302600_NS6detail15normal_iteratorINSA_7pointerIiNSA_11hip_rocprim3tagENSA_11use_defaultESG_EEEEPS6_SJ_NS0_5tupleIJPiSJ_EEENSK_IJSJ_SJ_EEES6_PlJ7is_evenIiEEEE10hipError_tPvRmT3_T4_T5_T6_T7_T9_mT8_P12ihipStream_tbDpT10_ENKUlT_T0_E_clISt17integral_constantIbLb0EES19_IbLb1EEEEDaS15_S16_EUlS15_E_NS1_11comp_targetILNS1_3genE0ELNS1_11target_archE4294967295ELNS1_3gpuE0ELNS1_3repE0EEENS1_30default_config_static_selectorELNS0_4arch9wavefront6targetE1EEEvT1_,comdat
.Lfunc_end112:
	.size	_ZN7rocprim17ROCPRIM_400000_NS6detail17trampoline_kernelINS0_14default_configENS1_25partition_config_selectorILNS1_17partition_subalgoE3EiNS0_10empty_typeEbEEZZNS1_14partition_implILS5_3ELb0ES3_jN6thrust23THRUST_200600_302600_NS6detail15normal_iteratorINSA_7pointerIiNSA_11hip_rocprim3tagENSA_11use_defaultESG_EEEEPS6_SJ_NS0_5tupleIJPiSJ_EEENSK_IJSJ_SJ_EEES6_PlJ7is_evenIiEEEE10hipError_tPvRmT3_T4_T5_T6_T7_T9_mT8_P12ihipStream_tbDpT10_ENKUlT_T0_E_clISt17integral_constantIbLb0EES19_IbLb1EEEEDaS15_S16_EUlS15_E_NS1_11comp_targetILNS1_3genE0ELNS1_11target_archE4294967295ELNS1_3gpuE0ELNS1_3repE0EEENS1_30default_config_static_selectorELNS0_4arch9wavefront6targetE1EEEvT1_, .Lfunc_end112-_ZN7rocprim17ROCPRIM_400000_NS6detail17trampoline_kernelINS0_14default_configENS1_25partition_config_selectorILNS1_17partition_subalgoE3EiNS0_10empty_typeEbEEZZNS1_14partition_implILS5_3ELb0ES3_jN6thrust23THRUST_200600_302600_NS6detail15normal_iteratorINSA_7pointerIiNSA_11hip_rocprim3tagENSA_11use_defaultESG_EEEEPS6_SJ_NS0_5tupleIJPiSJ_EEENSK_IJSJ_SJ_EEES6_PlJ7is_evenIiEEEE10hipError_tPvRmT3_T4_T5_T6_T7_T9_mT8_P12ihipStream_tbDpT10_ENKUlT_T0_E_clISt17integral_constantIbLb0EES19_IbLb1EEEEDaS15_S16_EUlS15_E_NS1_11comp_targetILNS1_3genE0ELNS1_11target_archE4294967295ELNS1_3gpuE0ELNS1_3repE0EEENS1_30default_config_static_selectorELNS0_4arch9wavefront6targetE1EEEvT1_
                                        ; -- End function
	.section	.AMDGPU.csdata,"",@progbits
; Kernel info:
; codeLenInByte = 0
; NumSgprs: 4
; NumVgprs: 0
; NumAgprs: 0
; TotalNumVgprs: 0
; ScratchSize: 0
; MemoryBound: 0
; FloatMode: 240
; IeeeMode: 1
; LDSByteSize: 0 bytes/workgroup (compile time only)
; SGPRBlocks: 0
; VGPRBlocks: 0
; NumSGPRsForWavesPerEU: 4
; NumVGPRsForWavesPerEU: 1
; AccumOffset: 4
; Occupancy: 8
; WaveLimiterHint : 0
; COMPUTE_PGM_RSRC2:SCRATCH_EN: 0
; COMPUTE_PGM_RSRC2:USER_SGPR: 6
; COMPUTE_PGM_RSRC2:TRAP_HANDLER: 0
; COMPUTE_PGM_RSRC2:TGID_X_EN: 1
; COMPUTE_PGM_RSRC2:TGID_Y_EN: 0
; COMPUTE_PGM_RSRC2:TGID_Z_EN: 0
; COMPUTE_PGM_RSRC2:TIDIG_COMP_CNT: 0
; COMPUTE_PGM_RSRC3_GFX90A:ACCUM_OFFSET: 0
; COMPUTE_PGM_RSRC3_GFX90A:TG_SPLIT: 0
	.section	.text._ZN7rocprim17ROCPRIM_400000_NS6detail17trampoline_kernelINS0_14default_configENS1_25partition_config_selectorILNS1_17partition_subalgoE3EiNS0_10empty_typeEbEEZZNS1_14partition_implILS5_3ELb0ES3_jN6thrust23THRUST_200600_302600_NS6detail15normal_iteratorINSA_7pointerIiNSA_11hip_rocprim3tagENSA_11use_defaultESG_EEEEPS6_SJ_NS0_5tupleIJPiSJ_EEENSK_IJSJ_SJ_EEES6_PlJ7is_evenIiEEEE10hipError_tPvRmT3_T4_T5_T6_T7_T9_mT8_P12ihipStream_tbDpT10_ENKUlT_T0_E_clISt17integral_constantIbLb0EES19_IbLb1EEEEDaS15_S16_EUlS15_E_NS1_11comp_targetILNS1_3genE5ELNS1_11target_archE942ELNS1_3gpuE9ELNS1_3repE0EEENS1_30default_config_static_selectorELNS0_4arch9wavefront6targetE1EEEvT1_,"axG",@progbits,_ZN7rocprim17ROCPRIM_400000_NS6detail17trampoline_kernelINS0_14default_configENS1_25partition_config_selectorILNS1_17partition_subalgoE3EiNS0_10empty_typeEbEEZZNS1_14partition_implILS5_3ELb0ES3_jN6thrust23THRUST_200600_302600_NS6detail15normal_iteratorINSA_7pointerIiNSA_11hip_rocprim3tagENSA_11use_defaultESG_EEEEPS6_SJ_NS0_5tupleIJPiSJ_EEENSK_IJSJ_SJ_EEES6_PlJ7is_evenIiEEEE10hipError_tPvRmT3_T4_T5_T6_T7_T9_mT8_P12ihipStream_tbDpT10_ENKUlT_T0_E_clISt17integral_constantIbLb0EES19_IbLb1EEEEDaS15_S16_EUlS15_E_NS1_11comp_targetILNS1_3genE5ELNS1_11target_archE942ELNS1_3gpuE9ELNS1_3repE0EEENS1_30default_config_static_selectorELNS0_4arch9wavefront6targetE1EEEvT1_,comdat
	.protected	_ZN7rocprim17ROCPRIM_400000_NS6detail17trampoline_kernelINS0_14default_configENS1_25partition_config_selectorILNS1_17partition_subalgoE3EiNS0_10empty_typeEbEEZZNS1_14partition_implILS5_3ELb0ES3_jN6thrust23THRUST_200600_302600_NS6detail15normal_iteratorINSA_7pointerIiNSA_11hip_rocprim3tagENSA_11use_defaultESG_EEEEPS6_SJ_NS0_5tupleIJPiSJ_EEENSK_IJSJ_SJ_EEES6_PlJ7is_evenIiEEEE10hipError_tPvRmT3_T4_T5_T6_T7_T9_mT8_P12ihipStream_tbDpT10_ENKUlT_T0_E_clISt17integral_constantIbLb0EES19_IbLb1EEEEDaS15_S16_EUlS15_E_NS1_11comp_targetILNS1_3genE5ELNS1_11target_archE942ELNS1_3gpuE9ELNS1_3repE0EEENS1_30default_config_static_selectorELNS0_4arch9wavefront6targetE1EEEvT1_ ; -- Begin function _ZN7rocprim17ROCPRIM_400000_NS6detail17trampoline_kernelINS0_14default_configENS1_25partition_config_selectorILNS1_17partition_subalgoE3EiNS0_10empty_typeEbEEZZNS1_14partition_implILS5_3ELb0ES3_jN6thrust23THRUST_200600_302600_NS6detail15normal_iteratorINSA_7pointerIiNSA_11hip_rocprim3tagENSA_11use_defaultESG_EEEEPS6_SJ_NS0_5tupleIJPiSJ_EEENSK_IJSJ_SJ_EEES6_PlJ7is_evenIiEEEE10hipError_tPvRmT3_T4_T5_T6_T7_T9_mT8_P12ihipStream_tbDpT10_ENKUlT_T0_E_clISt17integral_constantIbLb0EES19_IbLb1EEEEDaS15_S16_EUlS15_E_NS1_11comp_targetILNS1_3genE5ELNS1_11target_archE942ELNS1_3gpuE9ELNS1_3repE0EEENS1_30default_config_static_selectorELNS0_4arch9wavefront6targetE1EEEvT1_
	.globl	_ZN7rocprim17ROCPRIM_400000_NS6detail17trampoline_kernelINS0_14default_configENS1_25partition_config_selectorILNS1_17partition_subalgoE3EiNS0_10empty_typeEbEEZZNS1_14partition_implILS5_3ELb0ES3_jN6thrust23THRUST_200600_302600_NS6detail15normal_iteratorINSA_7pointerIiNSA_11hip_rocprim3tagENSA_11use_defaultESG_EEEEPS6_SJ_NS0_5tupleIJPiSJ_EEENSK_IJSJ_SJ_EEES6_PlJ7is_evenIiEEEE10hipError_tPvRmT3_T4_T5_T6_T7_T9_mT8_P12ihipStream_tbDpT10_ENKUlT_T0_E_clISt17integral_constantIbLb0EES19_IbLb1EEEEDaS15_S16_EUlS15_E_NS1_11comp_targetILNS1_3genE5ELNS1_11target_archE942ELNS1_3gpuE9ELNS1_3repE0EEENS1_30default_config_static_selectorELNS0_4arch9wavefront6targetE1EEEvT1_
	.p2align	8
	.type	_ZN7rocprim17ROCPRIM_400000_NS6detail17trampoline_kernelINS0_14default_configENS1_25partition_config_selectorILNS1_17partition_subalgoE3EiNS0_10empty_typeEbEEZZNS1_14partition_implILS5_3ELb0ES3_jN6thrust23THRUST_200600_302600_NS6detail15normal_iteratorINSA_7pointerIiNSA_11hip_rocprim3tagENSA_11use_defaultESG_EEEEPS6_SJ_NS0_5tupleIJPiSJ_EEENSK_IJSJ_SJ_EEES6_PlJ7is_evenIiEEEE10hipError_tPvRmT3_T4_T5_T6_T7_T9_mT8_P12ihipStream_tbDpT10_ENKUlT_T0_E_clISt17integral_constantIbLb0EES19_IbLb1EEEEDaS15_S16_EUlS15_E_NS1_11comp_targetILNS1_3genE5ELNS1_11target_archE942ELNS1_3gpuE9ELNS1_3repE0EEENS1_30default_config_static_selectorELNS0_4arch9wavefront6targetE1EEEvT1_,@function
_ZN7rocprim17ROCPRIM_400000_NS6detail17trampoline_kernelINS0_14default_configENS1_25partition_config_selectorILNS1_17partition_subalgoE3EiNS0_10empty_typeEbEEZZNS1_14partition_implILS5_3ELb0ES3_jN6thrust23THRUST_200600_302600_NS6detail15normal_iteratorINSA_7pointerIiNSA_11hip_rocprim3tagENSA_11use_defaultESG_EEEEPS6_SJ_NS0_5tupleIJPiSJ_EEENSK_IJSJ_SJ_EEES6_PlJ7is_evenIiEEEE10hipError_tPvRmT3_T4_T5_T6_T7_T9_mT8_P12ihipStream_tbDpT10_ENKUlT_T0_E_clISt17integral_constantIbLb0EES19_IbLb1EEEEDaS15_S16_EUlS15_E_NS1_11comp_targetILNS1_3genE5ELNS1_11target_archE942ELNS1_3gpuE9ELNS1_3repE0EEENS1_30default_config_static_selectorELNS0_4arch9wavefront6targetE1EEEvT1_: ; @_ZN7rocprim17ROCPRIM_400000_NS6detail17trampoline_kernelINS0_14default_configENS1_25partition_config_selectorILNS1_17partition_subalgoE3EiNS0_10empty_typeEbEEZZNS1_14partition_implILS5_3ELb0ES3_jN6thrust23THRUST_200600_302600_NS6detail15normal_iteratorINSA_7pointerIiNSA_11hip_rocprim3tagENSA_11use_defaultESG_EEEEPS6_SJ_NS0_5tupleIJPiSJ_EEENSK_IJSJ_SJ_EEES6_PlJ7is_evenIiEEEE10hipError_tPvRmT3_T4_T5_T6_T7_T9_mT8_P12ihipStream_tbDpT10_ENKUlT_T0_E_clISt17integral_constantIbLb0EES19_IbLb1EEEEDaS15_S16_EUlS15_E_NS1_11comp_targetILNS1_3genE5ELNS1_11target_archE942ELNS1_3gpuE9ELNS1_3repE0EEENS1_30default_config_static_selectorELNS0_4arch9wavefront6targetE1EEEvT1_
; %bb.0:
	.section	.rodata,"a",@progbits
	.p2align	6, 0x0
	.amdhsa_kernel _ZN7rocprim17ROCPRIM_400000_NS6detail17trampoline_kernelINS0_14default_configENS1_25partition_config_selectorILNS1_17partition_subalgoE3EiNS0_10empty_typeEbEEZZNS1_14partition_implILS5_3ELb0ES3_jN6thrust23THRUST_200600_302600_NS6detail15normal_iteratorINSA_7pointerIiNSA_11hip_rocprim3tagENSA_11use_defaultESG_EEEEPS6_SJ_NS0_5tupleIJPiSJ_EEENSK_IJSJ_SJ_EEES6_PlJ7is_evenIiEEEE10hipError_tPvRmT3_T4_T5_T6_T7_T9_mT8_P12ihipStream_tbDpT10_ENKUlT_T0_E_clISt17integral_constantIbLb0EES19_IbLb1EEEEDaS15_S16_EUlS15_E_NS1_11comp_targetILNS1_3genE5ELNS1_11target_archE942ELNS1_3gpuE9ELNS1_3repE0EEENS1_30default_config_static_selectorELNS0_4arch9wavefront6targetE1EEEvT1_
		.amdhsa_group_segment_fixed_size 0
		.amdhsa_private_segment_fixed_size 0
		.amdhsa_kernarg_size 136
		.amdhsa_user_sgpr_count 6
		.amdhsa_user_sgpr_private_segment_buffer 1
		.amdhsa_user_sgpr_dispatch_ptr 0
		.amdhsa_user_sgpr_queue_ptr 0
		.amdhsa_user_sgpr_kernarg_segment_ptr 1
		.amdhsa_user_sgpr_dispatch_id 0
		.amdhsa_user_sgpr_flat_scratch_init 0
		.amdhsa_user_sgpr_kernarg_preload_length 0
		.amdhsa_user_sgpr_kernarg_preload_offset 0
		.amdhsa_user_sgpr_private_segment_size 0
		.amdhsa_uses_dynamic_stack 0
		.amdhsa_system_sgpr_private_segment_wavefront_offset 0
		.amdhsa_system_sgpr_workgroup_id_x 1
		.amdhsa_system_sgpr_workgroup_id_y 0
		.amdhsa_system_sgpr_workgroup_id_z 0
		.amdhsa_system_sgpr_workgroup_info 0
		.amdhsa_system_vgpr_workitem_id 0
		.amdhsa_next_free_vgpr 1
		.amdhsa_next_free_sgpr 0
		.amdhsa_accum_offset 4
		.amdhsa_reserve_vcc 0
		.amdhsa_reserve_flat_scratch 0
		.amdhsa_float_round_mode_32 0
		.amdhsa_float_round_mode_16_64 0
		.amdhsa_float_denorm_mode_32 3
		.amdhsa_float_denorm_mode_16_64 3
		.amdhsa_dx10_clamp 1
		.amdhsa_ieee_mode 1
		.amdhsa_fp16_overflow 0
		.amdhsa_tg_split 0
		.amdhsa_exception_fp_ieee_invalid_op 0
		.amdhsa_exception_fp_denorm_src 0
		.amdhsa_exception_fp_ieee_div_zero 0
		.amdhsa_exception_fp_ieee_overflow 0
		.amdhsa_exception_fp_ieee_underflow 0
		.amdhsa_exception_fp_ieee_inexact 0
		.amdhsa_exception_int_div_zero 0
	.end_amdhsa_kernel
	.section	.text._ZN7rocprim17ROCPRIM_400000_NS6detail17trampoline_kernelINS0_14default_configENS1_25partition_config_selectorILNS1_17partition_subalgoE3EiNS0_10empty_typeEbEEZZNS1_14partition_implILS5_3ELb0ES3_jN6thrust23THRUST_200600_302600_NS6detail15normal_iteratorINSA_7pointerIiNSA_11hip_rocprim3tagENSA_11use_defaultESG_EEEEPS6_SJ_NS0_5tupleIJPiSJ_EEENSK_IJSJ_SJ_EEES6_PlJ7is_evenIiEEEE10hipError_tPvRmT3_T4_T5_T6_T7_T9_mT8_P12ihipStream_tbDpT10_ENKUlT_T0_E_clISt17integral_constantIbLb0EES19_IbLb1EEEEDaS15_S16_EUlS15_E_NS1_11comp_targetILNS1_3genE5ELNS1_11target_archE942ELNS1_3gpuE9ELNS1_3repE0EEENS1_30default_config_static_selectorELNS0_4arch9wavefront6targetE1EEEvT1_,"axG",@progbits,_ZN7rocprim17ROCPRIM_400000_NS6detail17trampoline_kernelINS0_14default_configENS1_25partition_config_selectorILNS1_17partition_subalgoE3EiNS0_10empty_typeEbEEZZNS1_14partition_implILS5_3ELb0ES3_jN6thrust23THRUST_200600_302600_NS6detail15normal_iteratorINSA_7pointerIiNSA_11hip_rocprim3tagENSA_11use_defaultESG_EEEEPS6_SJ_NS0_5tupleIJPiSJ_EEENSK_IJSJ_SJ_EEES6_PlJ7is_evenIiEEEE10hipError_tPvRmT3_T4_T5_T6_T7_T9_mT8_P12ihipStream_tbDpT10_ENKUlT_T0_E_clISt17integral_constantIbLb0EES19_IbLb1EEEEDaS15_S16_EUlS15_E_NS1_11comp_targetILNS1_3genE5ELNS1_11target_archE942ELNS1_3gpuE9ELNS1_3repE0EEENS1_30default_config_static_selectorELNS0_4arch9wavefront6targetE1EEEvT1_,comdat
.Lfunc_end113:
	.size	_ZN7rocprim17ROCPRIM_400000_NS6detail17trampoline_kernelINS0_14default_configENS1_25partition_config_selectorILNS1_17partition_subalgoE3EiNS0_10empty_typeEbEEZZNS1_14partition_implILS5_3ELb0ES3_jN6thrust23THRUST_200600_302600_NS6detail15normal_iteratorINSA_7pointerIiNSA_11hip_rocprim3tagENSA_11use_defaultESG_EEEEPS6_SJ_NS0_5tupleIJPiSJ_EEENSK_IJSJ_SJ_EEES6_PlJ7is_evenIiEEEE10hipError_tPvRmT3_T4_T5_T6_T7_T9_mT8_P12ihipStream_tbDpT10_ENKUlT_T0_E_clISt17integral_constantIbLb0EES19_IbLb1EEEEDaS15_S16_EUlS15_E_NS1_11comp_targetILNS1_3genE5ELNS1_11target_archE942ELNS1_3gpuE9ELNS1_3repE0EEENS1_30default_config_static_selectorELNS0_4arch9wavefront6targetE1EEEvT1_, .Lfunc_end113-_ZN7rocprim17ROCPRIM_400000_NS6detail17trampoline_kernelINS0_14default_configENS1_25partition_config_selectorILNS1_17partition_subalgoE3EiNS0_10empty_typeEbEEZZNS1_14partition_implILS5_3ELb0ES3_jN6thrust23THRUST_200600_302600_NS6detail15normal_iteratorINSA_7pointerIiNSA_11hip_rocprim3tagENSA_11use_defaultESG_EEEEPS6_SJ_NS0_5tupleIJPiSJ_EEENSK_IJSJ_SJ_EEES6_PlJ7is_evenIiEEEE10hipError_tPvRmT3_T4_T5_T6_T7_T9_mT8_P12ihipStream_tbDpT10_ENKUlT_T0_E_clISt17integral_constantIbLb0EES19_IbLb1EEEEDaS15_S16_EUlS15_E_NS1_11comp_targetILNS1_3genE5ELNS1_11target_archE942ELNS1_3gpuE9ELNS1_3repE0EEENS1_30default_config_static_selectorELNS0_4arch9wavefront6targetE1EEEvT1_
                                        ; -- End function
	.section	.AMDGPU.csdata,"",@progbits
; Kernel info:
; codeLenInByte = 0
; NumSgprs: 4
; NumVgprs: 0
; NumAgprs: 0
; TotalNumVgprs: 0
; ScratchSize: 0
; MemoryBound: 0
; FloatMode: 240
; IeeeMode: 1
; LDSByteSize: 0 bytes/workgroup (compile time only)
; SGPRBlocks: 0
; VGPRBlocks: 0
; NumSGPRsForWavesPerEU: 4
; NumVGPRsForWavesPerEU: 1
; AccumOffset: 4
; Occupancy: 8
; WaveLimiterHint : 0
; COMPUTE_PGM_RSRC2:SCRATCH_EN: 0
; COMPUTE_PGM_RSRC2:USER_SGPR: 6
; COMPUTE_PGM_RSRC2:TRAP_HANDLER: 0
; COMPUTE_PGM_RSRC2:TGID_X_EN: 1
; COMPUTE_PGM_RSRC2:TGID_Y_EN: 0
; COMPUTE_PGM_RSRC2:TGID_Z_EN: 0
; COMPUTE_PGM_RSRC2:TIDIG_COMP_CNT: 0
; COMPUTE_PGM_RSRC3_GFX90A:ACCUM_OFFSET: 0
; COMPUTE_PGM_RSRC3_GFX90A:TG_SPLIT: 0
	.section	.text._ZN7rocprim17ROCPRIM_400000_NS6detail17trampoline_kernelINS0_14default_configENS1_25partition_config_selectorILNS1_17partition_subalgoE3EiNS0_10empty_typeEbEEZZNS1_14partition_implILS5_3ELb0ES3_jN6thrust23THRUST_200600_302600_NS6detail15normal_iteratorINSA_7pointerIiNSA_11hip_rocprim3tagENSA_11use_defaultESG_EEEEPS6_SJ_NS0_5tupleIJPiSJ_EEENSK_IJSJ_SJ_EEES6_PlJ7is_evenIiEEEE10hipError_tPvRmT3_T4_T5_T6_T7_T9_mT8_P12ihipStream_tbDpT10_ENKUlT_T0_E_clISt17integral_constantIbLb0EES19_IbLb1EEEEDaS15_S16_EUlS15_E_NS1_11comp_targetILNS1_3genE4ELNS1_11target_archE910ELNS1_3gpuE8ELNS1_3repE0EEENS1_30default_config_static_selectorELNS0_4arch9wavefront6targetE1EEEvT1_,"axG",@progbits,_ZN7rocprim17ROCPRIM_400000_NS6detail17trampoline_kernelINS0_14default_configENS1_25partition_config_selectorILNS1_17partition_subalgoE3EiNS0_10empty_typeEbEEZZNS1_14partition_implILS5_3ELb0ES3_jN6thrust23THRUST_200600_302600_NS6detail15normal_iteratorINSA_7pointerIiNSA_11hip_rocprim3tagENSA_11use_defaultESG_EEEEPS6_SJ_NS0_5tupleIJPiSJ_EEENSK_IJSJ_SJ_EEES6_PlJ7is_evenIiEEEE10hipError_tPvRmT3_T4_T5_T6_T7_T9_mT8_P12ihipStream_tbDpT10_ENKUlT_T0_E_clISt17integral_constantIbLb0EES19_IbLb1EEEEDaS15_S16_EUlS15_E_NS1_11comp_targetILNS1_3genE4ELNS1_11target_archE910ELNS1_3gpuE8ELNS1_3repE0EEENS1_30default_config_static_selectorELNS0_4arch9wavefront6targetE1EEEvT1_,comdat
	.protected	_ZN7rocprim17ROCPRIM_400000_NS6detail17trampoline_kernelINS0_14default_configENS1_25partition_config_selectorILNS1_17partition_subalgoE3EiNS0_10empty_typeEbEEZZNS1_14partition_implILS5_3ELb0ES3_jN6thrust23THRUST_200600_302600_NS6detail15normal_iteratorINSA_7pointerIiNSA_11hip_rocprim3tagENSA_11use_defaultESG_EEEEPS6_SJ_NS0_5tupleIJPiSJ_EEENSK_IJSJ_SJ_EEES6_PlJ7is_evenIiEEEE10hipError_tPvRmT3_T4_T5_T6_T7_T9_mT8_P12ihipStream_tbDpT10_ENKUlT_T0_E_clISt17integral_constantIbLb0EES19_IbLb1EEEEDaS15_S16_EUlS15_E_NS1_11comp_targetILNS1_3genE4ELNS1_11target_archE910ELNS1_3gpuE8ELNS1_3repE0EEENS1_30default_config_static_selectorELNS0_4arch9wavefront6targetE1EEEvT1_ ; -- Begin function _ZN7rocprim17ROCPRIM_400000_NS6detail17trampoline_kernelINS0_14default_configENS1_25partition_config_selectorILNS1_17partition_subalgoE3EiNS0_10empty_typeEbEEZZNS1_14partition_implILS5_3ELb0ES3_jN6thrust23THRUST_200600_302600_NS6detail15normal_iteratorINSA_7pointerIiNSA_11hip_rocprim3tagENSA_11use_defaultESG_EEEEPS6_SJ_NS0_5tupleIJPiSJ_EEENSK_IJSJ_SJ_EEES6_PlJ7is_evenIiEEEE10hipError_tPvRmT3_T4_T5_T6_T7_T9_mT8_P12ihipStream_tbDpT10_ENKUlT_T0_E_clISt17integral_constantIbLb0EES19_IbLb1EEEEDaS15_S16_EUlS15_E_NS1_11comp_targetILNS1_3genE4ELNS1_11target_archE910ELNS1_3gpuE8ELNS1_3repE0EEENS1_30default_config_static_selectorELNS0_4arch9wavefront6targetE1EEEvT1_
	.globl	_ZN7rocprim17ROCPRIM_400000_NS6detail17trampoline_kernelINS0_14default_configENS1_25partition_config_selectorILNS1_17partition_subalgoE3EiNS0_10empty_typeEbEEZZNS1_14partition_implILS5_3ELb0ES3_jN6thrust23THRUST_200600_302600_NS6detail15normal_iteratorINSA_7pointerIiNSA_11hip_rocprim3tagENSA_11use_defaultESG_EEEEPS6_SJ_NS0_5tupleIJPiSJ_EEENSK_IJSJ_SJ_EEES6_PlJ7is_evenIiEEEE10hipError_tPvRmT3_T4_T5_T6_T7_T9_mT8_P12ihipStream_tbDpT10_ENKUlT_T0_E_clISt17integral_constantIbLb0EES19_IbLb1EEEEDaS15_S16_EUlS15_E_NS1_11comp_targetILNS1_3genE4ELNS1_11target_archE910ELNS1_3gpuE8ELNS1_3repE0EEENS1_30default_config_static_selectorELNS0_4arch9wavefront6targetE1EEEvT1_
	.p2align	8
	.type	_ZN7rocprim17ROCPRIM_400000_NS6detail17trampoline_kernelINS0_14default_configENS1_25partition_config_selectorILNS1_17partition_subalgoE3EiNS0_10empty_typeEbEEZZNS1_14partition_implILS5_3ELb0ES3_jN6thrust23THRUST_200600_302600_NS6detail15normal_iteratorINSA_7pointerIiNSA_11hip_rocprim3tagENSA_11use_defaultESG_EEEEPS6_SJ_NS0_5tupleIJPiSJ_EEENSK_IJSJ_SJ_EEES6_PlJ7is_evenIiEEEE10hipError_tPvRmT3_T4_T5_T6_T7_T9_mT8_P12ihipStream_tbDpT10_ENKUlT_T0_E_clISt17integral_constantIbLb0EES19_IbLb1EEEEDaS15_S16_EUlS15_E_NS1_11comp_targetILNS1_3genE4ELNS1_11target_archE910ELNS1_3gpuE8ELNS1_3repE0EEENS1_30default_config_static_selectorELNS0_4arch9wavefront6targetE1EEEvT1_,@function
_ZN7rocprim17ROCPRIM_400000_NS6detail17trampoline_kernelINS0_14default_configENS1_25partition_config_selectorILNS1_17partition_subalgoE3EiNS0_10empty_typeEbEEZZNS1_14partition_implILS5_3ELb0ES3_jN6thrust23THRUST_200600_302600_NS6detail15normal_iteratorINSA_7pointerIiNSA_11hip_rocprim3tagENSA_11use_defaultESG_EEEEPS6_SJ_NS0_5tupleIJPiSJ_EEENSK_IJSJ_SJ_EEES6_PlJ7is_evenIiEEEE10hipError_tPvRmT3_T4_T5_T6_T7_T9_mT8_P12ihipStream_tbDpT10_ENKUlT_T0_E_clISt17integral_constantIbLb0EES19_IbLb1EEEEDaS15_S16_EUlS15_E_NS1_11comp_targetILNS1_3genE4ELNS1_11target_archE910ELNS1_3gpuE8ELNS1_3repE0EEENS1_30default_config_static_selectorELNS0_4arch9wavefront6targetE1EEEvT1_: ; @_ZN7rocprim17ROCPRIM_400000_NS6detail17trampoline_kernelINS0_14default_configENS1_25partition_config_selectorILNS1_17partition_subalgoE3EiNS0_10empty_typeEbEEZZNS1_14partition_implILS5_3ELb0ES3_jN6thrust23THRUST_200600_302600_NS6detail15normal_iteratorINSA_7pointerIiNSA_11hip_rocprim3tagENSA_11use_defaultESG_EEEEPS6_SJ_NS0_5tupleIJPiSJ_EEENSK_IJSJ_SJ_EEES6_PlJ7is_evenIiEEEE10hipError_tPvRmT3_T4_T5_T6_T7_T9_mT8_P12ihipStream_tbDpT10_ENKUlT_T0_E_clISt17integral_constantIbLb0EES19_IbLb1EEEEDaS15_S16_EUlS15_E_NS1_11comp_targetILNS1_3genE4ELNS1_11target_archE910ELNS1_3gpuE8ELNS1_3repE0EEENS1_30default_config_static_selectorELNS0_4arch9wavefront6targetE1EEEvT1_
; %bb.0:
	s_load_dwordx2 s[28:29], s[4:5], 0x28
	s_load_dwordx4 s[20:23], s[4:5], 0x48
	s_load_dwordx2 s[30:31], s[4:5], 0x58
	s_load_dwordx2 s[34:35], s[4:5], 0x68
	v_cmp_eq_u32_e64 s[0:1], 0, v0
	s_and_saveexec_b64 s[2:3], s[0:1]
	s_cbranch_execz .LBB114_4
; %bb.1:
	s_mov_b64 s[8:9], exec
	v_mbcnt_lo_u32_b32 v1, s8, 0
	v_mbcnt_hi_u32_b32 v1, s9, v1
	v_cmp_eq_u32_e32 vcc, 0, v1
                                        ; implicit-def: $vgpr2
	s_and_saveexec_b64 s[6:7], vcc
	s_cbranch_execz .LBB114_3
; %bb.2:
	s_load_dwordx2 s[10:11], s[4:5], 0x78
	s_bcnt1_i32_b64 s8, s[8:9]
	v_mov_b32_e32 v2, 0
	v_mov_b32_e32 v3, s8
	s_waitcnt lgkmcnt(0)
	global_atomic_add v2, v2, v3, s[10:11] glc
.LBB114_3:
	s_or_b64 exec, exec, s[6:7]
	s_waitcnt vmcnt(0)
	v_readfirstlane_b32 s6, v2
	v_add_u32_e32 v1, s6, v1
	v_mov_b32_e32 v2, 0
	ds_write_b32 v2, v1
.LBB114_4:
	s_or_b64 exec, exec, s[2:3]
	v_mov_b32_e32 v13, 0
	s_load_dwordx4 s[24:27], s[4:5], 0x8
	s_load_dword s2, s[4:5], 0x70
	s_waitcnt lgkmcnt(0)
	s_barrier
	ds_read_b32 v1, v13
	s_waitcnt lgkmcnt(0)
	s_barrier
	global_load_dwordx2 v[14:15], v13, s[22:23]
	s_lshl_b64 s[4:5], s[26:27], 2
	s_add_u32 s6, s24, s4
	s_addc_u32 s7, s25, s5
	s_movk_i32 s3, 0xa00
	s_add_i32 s4, s2, -1
	s_mulk_i32 s2, 0xa00
	v_mul_lo_u32 v12, v1, s3
	s_add_i32 s3, s2, s26
	s_sub_i32 s33, s30, s3
	s_addk_i32 s33, 0xa00
	s_add_u32 s2, s26, s2
	v_readfirstlane_b32 s40, v1
	s_addc_u32 s3, s27, 0
	s_cmp_eq_u32 s40, s4
	v_pk_mov_b32 v[2:3], s[30:31], s[30:31] op_sel:[0,1]
	s_cselect_b64 s[22:23], -1, 0
	s_cmp_lg_u32 s40, s4
	v_cmp_lt_u64_e32 vcc, s[2:3], v[2:3]
	s_cselect_b64 s[2:3], -1, 0
	v_lshlrev_b64 v[2:3], 2, v[12:13]
	s_or_b64 s[4:5], vcc, s[2:3]
	v_mov_b32_e32 v1, s7
	v_add_co_u32_e32 v13, vcc, s6, v2
	v_addc_co_u32_e32 v16, vcc, v1, v3, vcc
	s_mov_b64 s[2:3], -1
	s_and_b64 vcc, exec, s[4:5]
	v_lshlrev_b32_e32 v1, 2, v0
	s_cbranch_vccz .LBB114_6
; %bb.5:
	v_add_co_u32_e32 v2, vcc, v13, v1
	v_addc_co_u32_e32 v3, vcc, 0, v16, vcc
	v_add_co_u32_e32 v4, vcc, 0x1000, v2
	v_addc_co_u32_e32 v5, vcc, 0, v3, vcc
	flat_load_dword v6, v[2:3]
	flat_load_dword v7, v[2:3] offset:1024
	flat_load_dword v8, v[2:3] offset:2048
	;; [unrolled: 1-line block ×3, first 2 shown]
	flat_load_dword v10, v[4:5]
	flat_load_dword v11, v[4:5] offset:1024
	flat_load_dword v17, v[4:5] offset:2048
	;; [unrolled: 1-line block ×3, first 2 shown]
	v_add_co_u32_e32 v2, vcc, 0x2000, v2
	v_addc_co_u32_e32 v3, vcc, 0, v3, vcc
	flat_load_dword v4, v[2:3]
	flat_load_dword v5, v[2:3] offset:1024
	s_mov_b64 s[2:3], 0
	s_waitcnt vmcnt(0) lgkmcnt(0)
	ds_write2st64_b32 v1, v6, v7 offset1:4
	ds_write2st64_b32 v1, v8, v9 offset0:8 offset1:12
	ds_write2st64_b32 v1, v10, v11 offset0:16 offset1:20
	;; [unrolled: 1-line block ×4, first 2 shown]
	s_waitcnt lgkmcnt(0)
	s_barrier
.LBB114_6:
	s_andn2_b64 vcc, exec, s[2:3]
	v_cmp_gt_u32_e64 s[2:3], s33, v0
	s_cbranch_vccnz .LBB114_28
; %bb.7:
                                        ; implicit-def: $vgpr2_vgpr3_vgpr4_vgpr5_vgpr6_vgpr7_vgpr8_vgpr9_vgpr10_vgpr11
	s_and_saveexec_b64 s[6:7], s[2:3]
	s_cbranch_execz .LBB114_9
; %bb.8:
	v_add_co_u32_e32 v2, vcc, v13, v1
	v_addc_co_u32_e32 v3, vcc, 0, v16, vcc
	flat_load_dword v2, v[2:3]
.LBB114_9:
	s_or_b64 exec, exec, s[6:7]
	v_or_b32_e32 v17, 0x100, v0
	v_cmp_gt_u32_e32 vcc, s33, v17
	s_and_saveexec_b64 s[2:3], vcc
	s_cbranch_execz .LBB114_11
; %bb.10:
	v_add_co_u32_e32 v18, vcc, v13, v1
	v_addc_co_u32_e32 v19, vcc, 0, v16, vcc
	flat_load_dword v3, v[18:19] offset:1024
.LBB114_11:
	s_or_b64 exec, exec, s[2:3]
	v_or_b32_e32 v17, 0x200, v0
	v_cmp_gt_u32_e32 vcc, s33, v17
	s_and_saveexec_b64 s[2:3], vcc
	s_cbranch_execz .LBB114_13
; %bb.12:
	v_add_co_u32_e32 v18, vcc, v13, v1
	v_addc_co_u32_e32 v19, vcc, 0, v16, vcc
	flat_load_dword v4, v[18:19] offset:2048
.LBB114_13:
	;; [unrolled: 10-line block ×3, first 2 shown]
	s_or_b64 exec, exec, s[2:3]
	v_or_b32_e32 v17, 0x400, v0
	v_cmp_gt_u32_e32 vcc, s33, v17
	s_and_saveexec_b64 s[2:3], vcc
	s_cbranch_execz .LBB114_17
; %bb.16:
	v_lshlrev_b32_e32 v6, 2, v17
	v_add_co_u32_e32 v18, vcc, v13, v6
	v_addc_co_u32_e32 v19, vcc, 0, v16, vcc
	flat_load_dword v6, v[18:19]
.LBB114_17:
	s_or_b64 exec, exec, s[2:3]
	v_or_b32_e32 v17, 0x500, v0
	v_cmp_gt_u32_e32 vcc, s33, v17
	s_and_saveexec_b64 s[2:3], vcc
	s_cbranch_execz .LBB114_19
; %bb.18:
	v_lshlrev_b32_e32 v7, 2, v17
	v_add_co_u32_e32 v18, vcc, v13, v7
	v_addc_co_u32_e32 v19, vcc, 0, v16, vcc
	flat_load_dword v7, v[18:19]
.LBB114_19:
	;; [unrolled: 11-line block ×6, first 2 shown]
	s_or_b64 exec, exec, s[2:3]
	s_waitcnt vmcnt(0) lgkmcnt(0)
	ds_write2st64_b32 v1, v2, v3 offset1:4
	ds_write2st64_b32 v1, v4, v5 offset0:8 offset1:12
	ds_write2st64_b32 v1, v6, v7 offset0:16 offset1:20
	;; [unrolled: 1-line block ×4, first 2 shown]
	s_waitcnt lgkmcnt(0)
	s_barrier
.LBB114_28:
	v_mul_u32_u24_e32 v26, 10, v0
	v_lshlrev_b32_e32 v32, 2, v26
	ds_read2_b64 v[6:9], v32 offset1:1
	ds_read2_b64 v[2:5], v32 offset0:2 offset1:3
	ds_read_b64 v[16:17], v32 offset:32
	v_cndmask_b32_e64 v10, 0, 1, s[4:5]
	v_cmp_ne_u32_e64 s[2:3], 1, v10
	s_andn2_b64 vcc, exec, s[4:5]
	s_waitcnt lgkmcnt(2)
	v_xor_b32_e32 v25, -1, v6
	v_xor_b32_e32 v24, -1, v7
	;; [unrolled: 1-line block ×4, first 2 shown]
	s_waitcnt lgkmcnt(1)
	v_xor_b32_e32 v21, -1, v2
	v_xor_b32_e32 v20, -1, v3
	v_xor_b32_e32 v19, -1, v4
	v_xor_b32_e32 v18, -1, v5
	s_waitcnt lgkmcnt(0)
	v_xor_b32_e32 v11, -1, v16
	v_xor_b32_e32 v10, -1, v17
	s_barrier
	s_cbranch_vccnz .LBB114_30
; %bb.29:
	v_mov_b32_e32 v13, 1
	v_and_b32_e32 v28, 1, v25
	v_and_b32_sdwa v29, v24, v13 dst_sel:BYTE_1 dst_unused:UNUSED_PAD src0_sel:DWORD src1_sel:DWORD
	v_and_b32_e32 v30, 1, v23
	v_and_b32_sdwa v31, v22, v13 dst_sel:BYTE_1 dst_unused:UNUSED_PAD src0_sel:DWORD src1_sel:DWORD
	v_and_b32_e32 v33, 1, v21
	v_and_b32_sdwa v34, v20, v13 dst_sel:BYTE_1 dst_unused:UNUSED_PAD src0_sel:DWORD src1_sel:DWORD
	v_and_b32_e32 v35, 1, v19
	v_and_b32_sdwa v36, v18, v13 dst_sel:BYTE_1 dst_unused:UNUSED_PAD src0_sel:DWORD src1_sel:DWORD
	v_or_b32_e32 v28, v28, v29
	v_or_b32_sdwa v29, v30, v31 dst_sel:WORD_1 dst_unused:UNUSED_PAD src0_sel:DWORD src1_sel:DWORD
	v_or_b32_sdwa v29, v28, v29 dst_sel:DWORD dst_unused:UNUSED_PAD src0_sel:WORD_0 src1_sel:DWORD
	v_or_b32_e32 v28, v33, v34
	v_or_b32_sdwa v30, v35, v36 dst_sel:WORD_1 dst_unused:UNUSED_PAD src0_sel:DWORD src1_sel:DWORD
	v_and_b32_e32 v27, 1, v11
	v_and_b32_e32 v13, 1, v10
	v_or_b32_sdwa v28, v28, v30 dst_sel:DWORD dst_unused:UNUSED_PAD src0_sel:WORD_0 src1_sel:DWORD
	s_cbranch_execz .LBB114_31
	s_branch .LBB114_32
.LBB114_30:
                                        ; implicit-def: $vgpr13
                                        ; implicit-def: $vgpr27
                                        ; implicit-def: $vgpr28
                                        ; implicit-def: $vgpr29
.LBB114_31:
	v_or_b32_e32 v35, 1, v26
	v_cmp_gt_u32_e32 vcc, s33, v26
	v_add_u32_e32 v13, 2, v26
	v_cndmask_b32_e64 v36, 0, 1, vcc
	v_cmp_gt_u32_e32 vcc, s33, v35
	v_add_u32_e32 v34, 3, v26
	v_cndmask_b32_e64 v35, 0, 1, vcc
	;; [unrolled: 3-line block ×3, first 2 shown]
	v_cmp_gt_u32_e32 vcc, s33, v34
	v_add_u32_e32 v33, 5, v26
	v_and_b32_e32 v23, v13, v23
	v_cndmask_b32_e64 v13, 0, 1, vcc
	v_cmp_gt_u32_e32 vcc, s33, v27
	v_add_u32_e32 v28, 6, v26
	v_and_b32_sdwa v22, v13, v22 dst_sel:BYTE_1 dst_unused:UNUSED_PAD src0_sel:DWORD src1_sel:DWORD
	v_cndmask_b32_e64 v13, 0, 1, vcc
	v_cmp_gt_u32_e32 vcc, s33, v33
	v_add_u32_e32 v31, 7, v26
	v_and_b32_e32 v21, v13, v21
	v_cndmask_b32_e64 v13, 0, 1, vcc
	v_cmp_gt_u32_e32 vcc, s33, v28
	v_add_u32_e32 v29, 8, v26
	v_and_b32_sdwa v20, v13, v20 dst_sel:BYTE_1 dst_unused:UNUSED_PAD src0_sel:DWORD src1_sel:DWORD
	v_cndmask_b32_e64 v13, 0, 1, vcc
	v_cmp_gt_u32_e32 vcc, s33, v31
	v_add_u32_e32 v30, 9, v26
	v_and_b32_e32 v19, v13, v19
	v_cndmask_b32_e64 v13, 0, 1, vcc
	v_cmp_gt_u32_e32 vcc, s33, v29
	v_and_b32_sdwa v18, v13, v18 dst_sel:BYTE_1 dst_unused:UNUSED_PAD src0_sel:DWORD src1_sel:DWORD
	v_cndmask_b32_e64 v13, 0, 1, vcc
	v_cmp_gt_u32_e32 vcc, s33, v30
	v_and_b32_e32 v25, v36, v25
	v_and_b32_sdwa v24, v35, v24 dst_sel:BYTE_1 dst_unused:UNUSED_PAD src0_sel:DWORD src1_sel:DWORD
	v_and_b32_e32 v27, v13, v11
	v_cndmask_b32_e64 v11, 0, 1, vcc
	v_and_b32_e32 v13, v11, v10
	v_or_b32_e32 v10, v25, v24
	v_or_b32_sdwa v11, v23, v22 dst_sel:WORD_1 dst_unused:UNUSED_PAD src0_sel:DWORD src1_sel:DWORD
	v_or_b32_sdwa v29, v10, v11 dst_sel:DWORD dst_unused:UNUSED_PAD src0_sel:WORD_0 src1_sel:DWORD
	v_or_b32_e32 v10, v21, v20
	v_or_b32_sdwa v11, v19, v18 dst_sel:WORD_1 dst_unused:UNUSED_PAD src0_sel:DWORD src1_sel:DWORD
	v_or_b32_sdwa v28, v10, v11 dst_sel:DWORD dst_unused:UNUSED_PAD src0_sel:WORD_0 src1_sel:DWORD
.LBB114_32:
	v_bfe_u32 v33, v29, 16, 8
	v_lshrrev_b32_e32 v31, 24, v29
	v_add_u32_sdwa v11, v29, v29 dst_sel:DWORD dst_unused:UNUSED_PAD src0_sel:BYTE_1 src1_sel:BYTE_0
	v_and_b32_e32 v34, 0xff, v28
	v_bfe_u32 v35, v28, 8, 8
	v_add3_u32 v11, v11, v33, v31
	v_bfe_u32 v36, v28, 16, 8
	v_lshrrev_b32_e32 v30, 24, v28
	v_add3_u32 v11, v11, v34, v35
	v_and_b32_e32 v37, 0xff, v27
	v_and_b32_e32 v10, 0xff, v13
	v_add3_u32 v11, v11, v36, v30
	v_add3_u32 v40, v11, v37, v10
	v_mbcnt_lo_u32_b32 v10, -1, 0
	v_mbcnt_hi_u32_b32 v38, -1, v10
	v_and_b32_e32 v10, 15, v38
	v_cmp_eq_u32_e64 s[16:17], 0, v10
	v_cmp_lt_u32_e64 s[14:15], 1, v10
	v_cmp_lt_u32_e64 s[12:13], 3, v10
	v_cmp_lt_u32_e64 s[10:11], 7, v10
	v_and_b32_e32 v10, 16, v38
	v_cmp_eq_u32_e64 s[8:9], 0, v10
	v_or_b32_e32 v10, 63, v0
	s_cmp_lg_u32 s40, 0
	v_cmp_lt_u32_e64 s[4:5], 31, v38
	v_lshrrev_b32_e32 v39, 6, v0
	v_cmp_eq_u32_e64 s[6:7], v10, v0
	s_cbranch_scc0 .LBB114_59
; %bb.33:
	v_mov_b32_dpp v10, v40 row_shr:1 row_mask:0xf bank_mask:0xf
	v_cndmask_b32_e64 v10, v10, 0, s[16:17]
	v_add_u32_e32 v10, v10, v40
	s_nop 1
	v_mov_b32_dpp v11, v10 row_shr:2 row_mask:0xf bank_mask:0xf
	v_cndmask_b32_e64 v11, 0, v11, s[14:15]
	v_add_u32_e32 v10, v10, v11
	s_nop 1
	;; [unrolled: 4-line block ×4, first 2 shown]
	v_mov_b32_dpp v11, v10 row_bcast:15 row_mask:0xf bank_mask:0xf
	v_cndmask_b32_e64 v11, v11, 0, s[8:9]
	v_add_u32_e32 v10, v10, v11
	s_nop 1
	v_mov_b32_dpp v11, v10 row_bcast:31 row_mask:0xf bank_mask:0xf
	v_cndmask_b32_e64 v11, 0, v11, s[4:5]
	v_add_u32_e32 v10, v10, v11
	s_and_saveexec_b64 s[18:19], s[6:7]
	s_cbranch_execz .LBB114_35
; %bb.34:
	v_lshlrev_b32_e32 v11, 2, v39
	ds_write_b32 v11, v10
.LBB114_35:
	s_or_b64 exec, exec, s[18:19]
	v_cmp_gt_u32_e32 vcc, 4, v0
	s_waitcnt lgkmcnt(0)
	s_barrier
	s_and_saveexec_b64 s[18:19], vcc
	s_cbranch_execz .LBB114_37
; %bb.36:
	ds_read_b32 v11, v1
	v_and_b32_e32 v18, 3, v38
	v_cmp_ne_u32_e32 vcc, 0, v18
	s_waitcnt lgkmcnt(0)
	v_mov_b32_dpp v19, v11 row_shr:1 row_mask:0xf bank_mask:0xf
	v_cndmask_b32_e32 v19, 0, v19, vcc
	v_add_u32_e32 v11, v19, v11
	v_cmp_lt_u32_e32 vcc, 1, v18
	s_nop 0
	v_mov_b32_dpp v19, v11 row_shr:2 row_mask:0xf bank_mask:0xf
	v_cndmask_b32_e32 v18, 0, v19, vcc
	v_add_u32_e32 v11, v11, v18
	ds_write_b32 v1, v11
.LBB114_37:
	s_or_b64 exec, exec, s[18:19]
	v_cmp_gt_u32_e32 vcc, 64, v0
	v_cmp_lt_u32_e64 s[18:19], 63, v0
	s_waitcnt lgkmcnt(0)
	s_barrier
	s_waitcnt lgkmcnt(0)
                                        ; implicit-def: $vgpr41
	s_and_saveexec_b64 s[24:25], s[18:19]
	s_cbranch_execz .LBB114_39
; %bb.38:
	v_lshl_add_u32 v11, v39, 2, -4
	ds_read_b32 v41, v11
	s_waitcnt lgkmcnt(0)
	v_add_u32_e32 v10, v41, v10
.LBB114_39:
	s_or_b64 exec, exec, s[24:25]
	v_add_u32_e32 v11, -1, v38
	v_and_b32_e32 v18, 64, v38
	v_cmp_lt_i32_e64 s[18:19], v11, v18
	v_cndmask_b32_e64 v11, v11, v38, s[18:19]
	v_lshlrev_b32_e32 v11, 2, v11
	ds_bpermute_b32 v42, v11, v10
	v_cmp_eq_u32_e64 s[18:19], 0, v38
	s_and_saveexec_b64 s[24:25], vcc
	s_cbranch_execz .LBB114_58
; %bb.40:
	v_mov_b32_e32 v23, 0
	ds_read_b32 v10, v23 offset:12
	s_and_saveexec_b64 s[36:37], s[18:19]
	s_cbranch_execz .LBB114_42
; %bb.41:
	s_add_i32 s38, s40, 64
	s_mov_b32 s39, 0
	s_lshl_b64 s[38:39], s[38:39], 3
	s_add_u32 s38, s34, s38
	v_mov_b32_e32 v11, 1
	s_addc_u32 s39, s35, s39
	s_waitcnt lgkmcnt(0)
	global_store_dwordx2 v23, v[10:11], s[38:39]
.LBB114_42:
	s_or_b64 exec, exec, s[36:37]
	v_xad_u32 v18, v38, -1, s40
	v_add_u32_e32 v22, 64, v18
	v_lshlrev_b64 v[20:21], 3, v[22:23]
	v_mov_b32_e32 v11, s35
	v_add_co_u32_e32 v24, vcc, s34, v20
	v_addc_co_u32_e32 v25, vcc, v11, v21, vcc
	global_load_dwordx2 v[20:21], v[24:25], off glc
	s_waitcnt vmcnt(0)
	v_cmp_eq_u16_sdwa s[38:39], v21, v23 src0_sel:BYTE_0 src1_sel:DWORD
	s_and_saveexec_b64 s[36:37], s[38:39]
	s_cbranch_execz .LBB114_46
; %bb.43:
	s_mov_b64 s[38:39], 0
	v_mov_b32_e32 v11, 0
.LBB114_44:                             ; =>This Inner Loop Header: Depth=1
	global_load_dwordx2 v[20:21], v[24:25], off glc
	s_waitcnt vmcnt(0)
	v_cmp_ne_u16_sdwa s[42:43], v21, v11 src0_sel:BYTE_0 src1_sel:DWORD
	s_or_b64 s[38:39], s[42:43], s[38:39]
	s_andn2_b64 exec, exec, s[38:39]
	s_cbranch_execnz .LBB114_44
; %bb.45:
	s_or_b64 exec, exec, s[38:39]
.LBB114_46:
	s_or_b64 exec, exec, s[36:37]
	v_and_b32_e32 v44, 63, v38
	v_mov_b32_e32 v43, 2
	v_cmp_ne_u32_e32 vcc, 63, v44
	v_cmp_eq_u16_sdwa s[36:37], v21, v43 src0_sel:BYTE_0 src1_sel:DWORD
	v_lshlrev_b64 v[22:23], v38, -1
	v_addc_co_u32_e32 v24, vcc, 0, v38, vcc
	v_and_b32_e32 v11, s37, v23
	v_lshlrev_b32_e32 v45, 2, v24
	v_or_b32_e32 v11, 0x80000000, v11
	ds_bpermute_b32 v24, v45, v20
	v_and_b32_e32 v19, s36, v22
	v_ffbl_b32_e32 v11, v11
	v_add_u32_e32 v11, 32, v11
	v_ffbl_b32_e32 v19, v19
	v_min_u32_e32 v11, v19, v11
	v_cmp_lt_u32_e32 vcc, v44, v11
	s_waitcnt lgkmcnt(0)
	v_cndmask_b32_e32 v19, 0, v24, vcc
	v_cmp_gt_u32_e32 vcc, 62, v44
	v_add_u32_e32 v19, v19, v20
	v_cndmask_b32_e64 v20, 0, 1, vcc
	v_lshlrev_b32_e32 v20, 1, v20
	v_add_lshl_u32 v46, v20, v38, 2
	ds_bpermute_b32 v20, v46, v19
	v_add_u32_e32 v47, 2, v44
	v_cmp_le_u32_e32 vcc, v47, v11
	v_add_u32_e32 v49, 4, v44
	v_add_u32_e32 v51, 8, v44
	s_waitcnt lgkmcnt(0)
	v_cndmask_b32_e32 v20, 0, v20, vcc
	v_cmp_gt_u32_e32 vcc, 60, v44
	v_add_u32_e32 v19, v19, v20
	v_cndmask_b32_e64 v20, 0, 1, vcc
	v_lshlrev_b32_e32 v20, 2, v20
	v_add_lshl_u32 v48, v20, v38, 2
	ds_bpermute_b32 v20, v48, v19
	v_cmp_le_u32_e32 vcc, v49, v11
	v_add_u32_e32 v53, 16, v44
	v_add_u32_e32 v55, 32, v44
	s_waitcnt lgkmcnt(0)
	v_cndmask_b32_e32 v20, 0, v20, vcc
	v_cmp_gt_u32_e32 vcc, 56, v44
	v_add_u32_e32 v19, v19, v20
	v_cndmask_b32_e64 v20, 0, 1, vcc
	v_lshlrev_b32_e32 v20, 3, v20
	v_add_lshl_u32 v50, v20, v38, 2
	ds_bpermute_b32 v20, v50, v19
	v_cmp_le_u32_e32 vcc, v51, v11
	s_waitcnt lgkmcnt(0)
	v_cndmask_b32_e32 v20, 0, v20, vcc
	v_cmp_gt_u32_e32 vcc, 48, v44
	v_add_u32_e32 v19, v19, v20
	v_cndmask_b32_e64 v20, 0, 1, vcc
	v_lshlrev_b32_e32 v20, 4, v20
	v_add_lshl_u32 v52, v20, v38, 2
	ds_bpermute_b32 v20, v52, v19
	v_cmp_le_u32_e32 vcc, v53, v11
	;; [unrolled: 9-line block ×3, first 2 shown]
	s_waitcnt lgkmcnt(0)
	v_cndmask_b32_e32 v11, 0, v20, vcc
	v_add_u32_e32 v20, v19, v11
	v_mov_b32_e32 v19, 0
	s_branch .LBB114_48
.LBB114_47:                             ;   in Loop: Header=BB114_48 Depth=1
	s_or_b64 exec, exec, s[36:37]
	v_cmp_eq_u16_sdwa s[36:37], v21, v43 src0_sel:BYTE_0 src1_sel:DWORD
	v_and_b32_e32 v24, s37, v23
	v_or_b32_e32 v24, 0x80000000, v24
	ds_bpermute_b32 v56, v45, v20
	v_and_b32_e32 v25, s36, v22
	v_ffbl_b32_e32 v24, v24
	v_add_u32_e32 v24, 32, v24
	v_ffbl_b32_e32 v25, v25
	v_min_u32_e32 v24, v25, v24
	v_cmp_lt_u32_e32 vcc, v44, v24
	s_waitcnt lgkmcnt(0)
	v_cndmask_b32_e32 v25, 0, v56, vcc
	v_add_u32_e32 v20, v25, v20
	ds_bpermute_b32 v25, v46, v20
	v_cmp_le_u32_e32 vcc, v47, v24
	v_subrev_u32_e32 v18, 64, v18
	s_waitcnt lgkmcnt(0)
	v_cndmask_b32_e32 v25, 0, v25, vcc
	v_add_u32_e32 v20, v20, v25
	ds_bpermute_b32 v25, v48, v20
	v_cmp_le_u32_e32 vcc, v49, v24
	s_waitcnt lgkmcnt(0)
	v_cndmask_b32_e32 v25, 0, v25, vcc
	v_add_u32_e32 v20, v20, v25
	ds_bpermute_b32 v25, v50, v20
	v_cmp_le_u32_e32 vcc, v51, v24
	;; [unrolled: 5-line block ×4, first 2 shown]
	s_waitcnt lgkmcnt(0)
	v_cndmask_b32_e32 v24, 0, v25, vcc
	v_add3_u32 v20, v24, v11, v20
.LBB114_48:                             ; =>This Loop Header: Depth=1
                                        ;     Child Loop BB114_51 Depth 2
	v_cmp_ne_u16_sdwa s[36:37], v21, v43 src0_sel:BYTE_0 src1_sel:DWORD
	v_cndmask_b32_e64 v11, 0, 1, s[36:37]
	;;#ASMSTART
	;;#ASMEND
	v_cmp_ne_u32_e32 vcc, 0, v11
	s_cmp_lg_u64 vcc, exec
	v_mov_b32_e32 v11, v20
	s_cbranch_scc1 .LBB114_53
; %bb.49:                               ;   in Loop: Header=BB114_48 Depth=1
	v_lshlrev_b64 v[20:21], 3, v[18:19]
	v_mov_b32_e32 v25, s35
	v_add_co_u32_e32 v24, vcc, s34, v20
	v_addc_co_u32_e32 v25, vcc, v25, v21, vcc
	global_load_dwordx2 v[20:21], v[24:25], off glc
	s_waitcnt vmcnt(0)
	v_cmp_eq_u16_sdwa s[38:39], v21, v19 src0_sel:BYTE_0 src1_sel:DWORD
	s_and_saveexec_b64 s[36:37], s[38:39]
	s_cbranch_execz .LBB114_47
; %bb.50:                               ;   in Loop: Header=BB114_48 Depth=1
	s_mov_b64 s[38:39], 0
.LBB114_51:                             ;   Parent Loop BB114_48 Depth=1
                                        ; =>  This Inner Loop Header: Depth=2
	global_load_dwordx2 v[20:21], v[24:25], off glc
	s_waitcnt vmcnt(0)
	v_cmp_ne_u16_sdwa s[42:43], v21, v19 src0_sel:BYTE_0 src1_sel:DWORD
	s_or_b64 s[38:39], s[42:43], s[38:39]
	s_andn2_b64 exec, exec, s[38:39]
	s_cbranch_execnz .LBB114_51
; %bb.52:                               ;   in Loop: Header=BB114_48 Depth=1
	s_or_b64 exec, exec, s[38:39]
	s_branch .LBB114_47
.LBB114_53:                             ;   in Loop: Header=BB114_48 Depth=1
                                        ; implicit-def: $vgpr20
                                        ; implicit-def: $vgpr21
	s_cbranch_execz .LBB114_48
; %bb.54:
	s_and_saveexec_b64 s[36:37], s[18:19]
	s_cbranch_execz .LBB114_56
; %bb.55:
	s_add_i32 s38, s40, 64
	s_mov_b32 s39, 0
	s_lshl_b64 s[38:39], s[38:39], 3
	s_add_u32 s38, s34, s38
	v_add_u32_e32 v18, v11, v10
	v_mov_b32_e32 v19, 2
	s_addc_u32 s39, s35, s39
	v_mov_b32_e32 v20, 0
	global_store_dwordx2 v20, v[18:19], s[38:39]
	ds_write_b64 v20, v[10:11] offset:10240
.LBB114_56:
	s_or_b64 exec, exec, s[36:37]
	s_and_b64 exec, exec, s[0:1]
	s_cbranch_execz .LBB114_58
; %bb.57:
	v_mov_b32_e32 v10, 0
	ds_write_b32 v10, v11 offset:12
.LBB114_58:
	s_or_b64 exec, exec, s[24:25]
	v_mov_b32_e32 v10, 0
	s_waitcnt lgkmcnt(0)
	s_barrier
	ds_read_b32 v11, v10 offset:12
	v_cndmask_b32_e64 v18, v42, v41, s[18:19]
	v_cndmask_b32_e64 v18, v18, 0, s[0:1]
	s_waitcnt lgkmcnt(0)
	s_barrier
	v_add_u32_e32 v42, v11, v18
	v_add_u32_sdwa v41, v42, v29 dst_sel:DWORD dst_unused:UNUSED_PAD src0_sel:DWORD src1_sel:BYTE_0
	v_add_u32_sdwa v25, v41, v29 dst_sel:DWORD dst_unused:UNUSED_PAD src0_sel:DWORD src1_sel:BYTE_1
	v_add_u32_e32 v24, v25, v33
	v_add_u32_e32 v23, v24, v31
	;; [unrolled: 1-line block ×3, first 2 shown]
	ds_read_b64 v[10:11], v10 offset:10240
	v_add_u32_e32 v21, v22, v35
	v_add_u32_e32 v20, v21, v36
	;; [unrolled: 1-line block ×4, first 2 shown]
	s_branch .LBB114_69
.LBB114_59:
                                        ; implicit-def: $vgpr11
                                        ; implicit-def: $vgpr18
                                        ; implicit-def: $vgpr19
                                        ; implicit-def: $vgpr20
                                        ; implicit-def: $vgpr21
                                        ; implicit-def: $vgpr22
                                        ; implicit-def: $vgpr23
                                        ; implicit-def: $vgpr24
                                        ; implicit-def: $vgpr25
                                        ; implicit-def: $vgpr41
                                        ; implicit-def: $vgpr42
	s_cbranch_execz .LBB114_69
; %bb.60:
	s_waitcnt lgkmcnt(0)
	v_mov_b32_dpp v10, v40 row_shr:1 row_mask:0xf bank_mask:0xf
	v_cndmask_b32_e64 v10, v10, 0, s[16:17]
	v_add_u32_e32 v10, v10, v40
	s_nop 1
	v_mov_b32_dpp v11, v10 row_shr:2 row_mask:0xf bank_mask:0xf
	v_cndmask_b32_e64 v11, 0, v11, s[14:15]
	v_add_u32_e32 v10, v10, v11
	s_nop 1
	;; [unrolled: 4-line block ×4, first 2 shown]
	v_mov_b32_dpp v11, v10 row_bcast:15 row_mask:0xf bank_mask:0xf
	v_cndmask_b32_e64 v11, v11, 0, s[8:9]
	v_add_u32_e32 v10, v10, v11
	s_nop 1
	v_mov_b32_dpp v11, v10 row_bcast:31 row_mask:0xf bank_mask:0xf
	v_cndmask_b32_e64 v11, 0, v11, s[4:5]
	v_add_u32_e32 v10, v10, v11
	s_and_saveexec_b64 s[4:5], s[6:7]
	s_cbranch_execz .LBB114_62
; %bb.61:
	v_lshlrev_b32_e32 v11, 2, v39
	ds_write_b32 v11, v10
.LBB114_62:
	s_or_b64 exec, exec, s[4:5]
	v_cmp_gt_u32_e32 vcc, 4, v0
	s_waitcnt lgkmcnt(0)
	s_barrier
	s_and_saveexec_b64 s[4:5], vcc
	s_cbranch_execz .LBB114_64
; %bb.63:
	s_movk_i32 s6, 0xffdc
	v_mad_i32_i24 v11, v0, s6, v32
	ds_read_b32 v18, v11
	v_and_b32_e32 v19, 3, v38
	v_cmp_ne_u32_e32 vcc, 0, v19
	s_waitcnt lgkmcnt(0)
	v_mov_b32_dpp v20, v18 row_shr:1 row_mask:0xf bank_mask:0xf
	v_cndmask_b32_e32 v20, 0, v20, vcc
	v_add_u32_e32 v18, v20, v18
	v_cmp_lt_u32_e32 vcc, 1, v19
	s_nop 0
	v_mov_b32_dpp v20, v18 row_shr:2 row_mask:0xf bank_mask:0xf
	v_cndmask_b32_e32 v19, 0, v20, vcc
	v_add_u32_e32 v18, v18, v19
	ds_write_b32 v11, v18
.LBB114_64:
	s_or_b64 exec, exec, s[4:5]
	v_cmp_lt_u32_e32 vcc, 63, v0
	v_mov_b32_e32 v11, 0
	v_mov_b32_e32 v18, 0
	s_waitcnt lgkmcnt(0)
	s_barrier
	s_and_saveexec_b64 s[4:5], vcc
	s_cbranch_execz .LBB114_66
; %bb.65:
	v_lshl_add_u32 v18, v39, 2, -4
	ds_read_b32 v18, v18
.LBB114_66:
	s_or_b64 exec, exec, s[4:5]
	v_add_u32_e32 v19, -1, v38
	v_and_b32_e32 v20, 64, v38
	v_cmp_lt_i32_e32 vcc, v19, v20
	v_cndmask_b32_e32 v19, v19, v38, vcc
	s_waitcnt lgkmcnt(0)
	v_add_u32_e32 v10, v18, v10
	v_lshlrev_b32_e32 v19, 2, v19
	ds_bpermute_b32 v19, v19, v10
	ds_read_b32 v10, v11 offset:12
	s_and_saveexec_b64 s[4:5], s[0:1]
	s_cbranch_execz .LBB114_68
; %bb.67:
	v_mov_b32_e32 v20, 0
	v_mov_b32_e32 v11, 2
	s_waitcnt lgkmcnt(0)
	global_store_dwordx2 v20, v[10:11], s[34:35] offset:512
.LBB114_68:
	s_or_b64 exec, exec, s[4:5]
	v_cmp_eq_u32_e32 vcc, 0, v38
	s_waitcnt lgkmcnt(1)
	v_cndmask_b32_e32 v18, v19, v18, vcc
	v_cndmask_b32_e64 v42, v18, 0, s[0:1]
	v_add_u32_sdwa v41, v42, v29 dst_sel:DWORD dst_unused:UNUSED_PAD src0_sel:DWORD src1_sel:BYTE_0
	v_add_u32_sdwa v25, v41, v29 dst_sel:DWORD dst_unused:UNUSED_PAD src0_sel:DWORD src1_sel:BYTE_1
	v_add_u32_e32 v24, v25, v33
	v_add_u32_e32 v23, v24, v31
	;; [unrolled: 1-line block ×6, first 2 shown]
	v_mov_b32_e32 v11, 0
	v_add_u32_e32 v18, v19, v37
	s_waitcnt lgkmcnt(0)
	s_barrier
.LBB114_69:
	s_waitcnt lgkmcnt(0)
	v_add_u32_e32 v26, v10, v26
	v_sub_u32_e32 v34, v42, v11
	v_and_b32_e32 v36, 1, v29
	v_sub_u32_e32 v35, v26, v34
	v_cmp_eq_u32_e32 vcc, 1, v36
	v_cndmask_b32_e32 v34, v35, v34, vcc
	v_lshlrev_b32_e32 v34, 2, v34
	v_lshrrev_b32_e32 v33, 8, v29
	ds_write_b32 v34, v6
	v_sub_u32_e32 v6, v41, v11
	v_sub_u32_e32 v34, v26, v6
	v_and_b32_e32 v33, 1, v33
	v_add_u32_e32 v34, 1, v34
	v_cmp_eq_u32_e32 vcc, 1, v33
	v_cndmask_b32_e32 v6, v34, v6, vcc
	v_lshlrev_b32_e32 v6, 2, v6
	ds_write_b32 v6, v7
	v_sub_u32_e32 v6, v25, v11
	v_mov_b32_e32 v25, 1
	v_sub_u32_e32 v7, v26, v6
	v_and_b32_sdwa v29, v25, v29 dst_sel:DWORD dst_unused:UNUSED_PAD src0_sel:DWORD src1_sel:WORD_1
	v_add_u32_e32 v7, 2, v7
	v_cmp_eq_u32_e32 vcc, 1, v29
	v_cndmask_b32_e32 v6, v7, v6, vcc
	v_lshlrev_b32_e32 v6, 2, v6
	ds_write_b32 v6, v8
	v_sub_u32_e32 v6, v24, v11
	v_sub_u32_e32 v7, v26, v6
	v_and_b32_e32 v8, 1, v31
	v_add_u32_e32 v7, 3, v7
	v_cmp_eq_u32_e32 vcc, 1, v8
	v_cndmask_b32_e32 v6, v7, v6, vcc
	v_lshlrev_b32_e32 v6, 2, v6
	ds_write_b32 v6, v9
	v_sub_u32_e32 v6, v23, v11
	v_sub_u32_e32 v7, v26, v6
	v_and_b32_e32 v8, 1, v28
	v_add_u32_e32 v7, 4, v7
	v_cmp_eq_u32_e32 vcc, 1, v8
	v_cndmask_b32_e32 v6, v7, v6, vcc
	v_lshlrev_b32_e32 v6, 2, v6
	v_lshrrev_b32_e32 v32, 8, v28
	ds_write_b32 v6, v2
	v_sub_u32_e32 v2, v22, v11
	v_sub_u32_e32 v6, v26, v2
	v_and_b32_e32 v7, 1, v32
	v_add_u32_e32 v6, 5, v6
	v_cmp_eq_u32_e32 vcc, 1, v7
	v_cndmask_b32_e32 v2, v6, v2, vcc
	v_lshlrev_b32_e32 v2, 2, v2
	ds_write_b32 v2, v3
	v_sub_u32_e32 v2, v21, v11
	v_sub_u32_e32 v3, v26, v2
	v_and_b32_sdwa v6, v25, v28 dst_sel:DWORD dst_unused:UNUSED_PAD src0_sel:DWORD src1_sel:WORD_1
	v_add_u32_e32 v3, 6, v3
	v_cmp_eq_u32_e32 vcc, 1, v6
	v_cndmask_b32_e32 v2, v3, v2, vcc
	v_lshlrev_b32_e32 v2, 2, v2
	ds_write_b32 v2, v4
	v_sub_u32_e32 v2, v20, v11
	v_sub_u32_e32 v3, v26, v2
	v_and_b32_e32 v4, 1, v30
	v_add_u32_e32 v3, 7, v3
	v_cmp_eq_u32_e32 vcc, 1, v4
	v_cndmask_b32_e32 v2, v3, v2, vcc
	v_lshlrev_b32_e32 v2, 2, v2
	ds_write_b32 v2, v5
	v_sub_u32_e32 v2, v19, v11
	v_sub_u32_e32 v3, v26, v2
	v_and_b32_e32 v4, 1, v27
	;; [unrolled: 8-line block ×3, first 2 shown]
	v_add_u32_e32 v3, 9, v3
	v_cmp_eq_u32_e32 vcc, 1, v4
	v_cndmask_b32_e32 v2, v3, v2, vcc
	v_lshlrev_b32_e32 v2, 2, v2
	ds_write_b32 v2, v17
	s_waitcnt lgkmcnt(0)
	s_barrier
	ds_read2st64_b32 v[16:17], v1 offset1:4
	ds_read2st64_b32 v[8:9], v1 offset0:8 offset1:12
	ds_read2st64_b32 v[6:7], v1 offset0:16 offset1:20
	;; [unrolled: 1-line block ×4, first 2 shown]
	s_waitcnt vmcnt(0)
	v_add_co_u32_e32 v1, vcc, v14, v11
	v_addc_co_u32_e32 v11, vcc, 0, v15, vcc
	v_mov_b32_e32 v13, s27
	v_add_co_u32_e32 v12, vcc, s26, v12
	v_addc_co_u32_e32 v13, vcc, 0, v13, vcc
	v_mov_b32_e32 v14, s31
	v_sub_co_u32_e32 v12, vcc, s30, v12
	v_subb_co_u32_e32 v13, vcc, v14, v13, vcc
	v_add_co_u32_e32 v12, vcc, v12, v10
	v_addc_co_u32_e32 v13, vcc, 0, v13, vcc
	s_and_b64 vcc, exec, s[2:3]
	v_add_co_u32_e64 v14, s[2:3], v12, v1
	v_or_b32_e32 v26, 0x100, v0
	v_or_b32_e32 v25, 0x200, v0
	;; [unrolled: 1-line block ×9, first 2 shown]
	v_addc_co_u32_e64 v15, s[2:3], v13, v11, s[2:3]
	s_cbranch_vccnz .LBB114_114
; %bb.70:
	v_cmp_ge_u32_e32 vcc, v0, v10
                                        ; implicit-def: $vgpr12_vgpr13
	s_and_saveexec_b64 s[2:3], vcc
	s_xor_b64 s[2:3], exec, s[2:3]
; %bb.71:
	v_not_b32_e32 v12, v0
	v_ashrrev_i32_e32 v13, 31, v12
	v_add_co_u32_e32 v12, vcc, v14, v12
	v_addc_co_u32_e32 v13, vcc, v15, v13, vcc
; %bb.72:
	s_andn2_saveexec_b64 s[2:3], s[2:3]
; %bb.73:
	v_add_co_u32_e32 v12, vcc, v1, v0
	v_addc_co_u32_e32 v13, vcc, 0, v11, vcc
; %bb.74:
	s_or_b64 exec, exec, s[2:3]
	v_lshlrev_b64 v[12:13], 2, v[12:13]
	v_mov_b32_e32 v27, s29
	v_add_co_u32_e32 v12, vcc, s28, v12
	v_addc_co_u32_e32 v13, vcc, v27, v13, vcc
	v_cmp_ge_u32_e32 vcc, v26, v10
	s_waitcnt lgkmcnt(4)
	global_store_dword v[12:13], v16, off
                                        ; implicit-def: $vgpr12_vgpr13
	s_and_saveexec_b64 s[2:3], vcc
	s_xor_b64 s[2:3], exec, s[2:3]
; %bb.75:
	v_xor_b32_e32 v12, 0xfffffeff, v0
	v_ashrrev_i32_e32 v13, 31, v12
	v_add_co_u32_e32 v12, vcc, v14, v12
	v_addc_co_u32_e32 v13, vcc, v15, v13, vcc
; %bb.76:
	s_andn2_saveexec_b64 s[2:3], s[2:3]
; %bb.77:
	v_add_co_u32_e32 v12, vcc, v1, v26
	v_addc_co_u32_e32 v13, vcc, 0, v11, vcc
; %bb.78:
	s_or_b64 exec, exec, s[2:3]
	v_lshlrev_b64 v[12:13], 2, v[12:13]
	v_mov_b32_e32 v27, s29
	v_add_co_u32_e32 v12, vcc, s28, v12
	v_addc_co_u32_e32 v13, vcc, v27, v13, vcc
	v_cmp_ge_u32_e32 vcc, v25, v10
	global_store_dword v[12:13], v17, off
                                        ; implicit-def: $vgpr12_vgpr13
	s_and_saveexec_b64 s[2:3], vcc
	s_xor_b64 s[2:3], exec, s[2:3]
; %bb.79:
	v_xor_b32_e32 v12, 0xfffffdff, v0
	v_ashrrev_i32_e32 v13, 31, v12
	v_add_co_u32_e32 v12, vcc, v14, v12
	v_addc_co_u32_e32 v13, vcc, v15, v13, vcc
; %bb.80:
	s_andn2_saveexec_b64 s[2:3], s[2:3]
; %bb.81:
	v_add_co_u32_e32 v12, vcc, v1, v25
	v_addc_co_u32_e32 v13, vcc, 0, v11, vcc
; %bb.82:
	s_or_b64 exec, exec, s[2:3]
	v_lshlrev_b64 v[12:13], 2, v[12:13]
	v_mov_b32_e32 v27, s29
	v_add_co_u32_e32 v12, vcc, s28, v12
	v_addc_co_u32_e32 v13, vcc, v27, v13, vcc
	v_cmp_ge_u32_e32 vcc, v24, v10
	s_waitcnt lgkmcnt(3)
	global_store_dword v[12:13], v8, off
                                        ; implicit-def: $vgpr12_vgpr13
	s_and_saveexec_b64 s[2:3], vcc
	s_xor_b64 s[2:3], exec, s[2:3]
; %bb.83:
	v_xor_b32_e32 v12, 0xfffffcff, v0
	v_ashrrev_i32_e32 v13, 31, v12
	v_add_co_u32_e32 v12, vcc, v14, v12
	v_addc_co_u32_e32 v13, vcc, v15, v13, vcc
; %bb.84:
	s_andn2_saveexec_b64 s[2:3], s[2:3]
; %bb.85:
	v_add_co_u32_e32 v12, vcc, v1, v24
	v_addc_co_u32_e32 v13, vcc, 0, v11, vcc
; %bb.86:
	s_or_b64 exec, exec, s[2:3]
	v_lshlrev_b64 v[12:13], 2, v[12:13]
	v_mov_b32_e32 v27, s29
	v_add_co_u32_e32 v12, vcc, s28, v12
	v_addc_co_u32_e32 v13, vcc, v27, v13, vcc
	v_cmp_ge_u32_e32 vcc, v23, v10
	global_store_dword v[12:13], v9, off
                                        ; implicit-def: $vgpr12_vgpr13
	s_and_saveexec_b64 s[2:3], vcc
	s_xor_b64 s[2:3], exec, s[2:3]
; %bb.87:
	v_xor_b32_e32 v12, 0xfffffbff, v0
	;; [unrolled: 43-line block ×4, first 2 shown]
	v_ashrrev_i32_e32 v13, 31, v12
	v_add_co_u32_e32 v12, vcc, v14, v12
	v_addc_co_u32_e32 v13, vcc, v15, v13, vcc
; %bb.104:
	s_andn2_saveexec_b64 s[2:3], s[2:3]
; %bb.105:
	v_add_co_u32_e32 v12, vcc, v1, v19
	v_addc_co_u32_e32 v13, vcc, 0, v11, vcc
; %bb.106:
	s_or_b64 exec, exec, s[2:3]
	v_lshlrev_b64 v[12:13], 2, v[12:13]
	v_mov_b32_e32 v27, s29
	v_add_co_u32_e32 v12, vcc, s28, v12
	v_addc_co_u32_e32 v13, vcc, v27, v13, vcc
	v_cmp_ge_u32_e32 vcc, v18, v10
	s_waitcnt lgkmcnt(0)
	global_store_dword v[12:13], v2, off
                                        ; implicit-def: $vgpr12_vgpr13
	s_and_saveexec_b64 s[2:3], vcc
	s_xor_b64 s[2:3], exec, s[2:3]
; %bb.107:
	v_xor_b32_e32 v12, 0xfffff6ff, v0
	v_ashrrev_i32_e32 v13, 31, v12
	v_add_co_u32_e32 v12, vcc, v14, v12
	v_addc_co_u32_e32 v13, vcc, v15, v13, vcc
; %bb.108:
	s_andn2_saveexec_b64 s[2:3], s[2:3]
; %bb.109:
	v_add_co_u32_e32 v12, vcc, v1, v18
	v_addc_co_u32_e32 v13, vcc, 0, v11, vcc
; %bb.110:
	s_or_b64 exec, exec, s[2:3]
	s_mov_b64 s[2:3], -1
.LBB114_111:
	s_and_saveexec_b64 s[4:5], s[2:3]
	s_cbranch_execz .LBB114_142
.LBB114_112:
	s_waitcnt lgkmcnt(1)
	v_lshlrev_b64 v[4:5], 2, v[12:13]
	v_mov_b32_e32 v0, s29
	v_add_co_u32_e32 v4, vcc, s28, v4
	v_addc_co_u32_e32 v5, vcc, v0, v5, vcc
	s_waitcnt lgkmcnt(0)
	global_store_dword v[4:5], v3, off
	s_or_b64 exec, exec, s[4:5]
	s_and_b64 s[0:1], s[0:1], s[22:23]
	s_and_saveexec_b64 s[2:3], s[0:1]
	s_cbranch_execnz .LBB114_143
.LBB114_113:
	s_endpgm
.LBB114_114:
	s_mov_b64 s[2:3], 0
                                        ; implicit-def: $vgpr12_vgpr13
	s_cbranch_execz .LBB114_111
; %bb.115:
	v_cmp_gt_u32_e32 vcc, s33, v0
	s_and_saveexec_b64 s[4:5], vcc
	s_cbranch_execz .LBB114_144
; %bb.116:
	v_cmp_ge_u32_e32 vcc, v0, v10
                                        ; implicit-def: $vgpr12_vgpr13
	s_and_saveexec_b64 s[6:7], vcc
	s_xor_b64 s[6:7], exec, s[6:7]
; %bb.117:
	v_not_b32_e32 v12, v0
	v_ashrrev_i32_e32 v13, 31, v12
	v_add_co_u32_e32 v12, vcc, v14, v12
	v_addc_co_u32_e32 v13, vcc, v15, v13, vcc
; %bb.118:
	s_andn2_saveexec_b64 s[6:7], s[6:7]
; %bb.119:
	v_add_co_u32_e32 v12, vcc, v1, v0
	v_addc_co_u32_e32 v13, vcc, 0, v11, vcc
; %bb.120:
	s_or_b64 exec, exec, s[6:7]
	v_lshlrev_b64 v[12:13], 2, v[12:13]
	v_mov_b32_e32 v27, s29
	v_add_co_u32_e32 v12, vcc, s28, v12
	v_addc_co_u32_e32 v13, vcc, v27, v13, vcc
	s_waitcnt lgkmcnt(4)
	global_store_dword v[12:13], v16, off
	s_or_b64 exec, exec, s[4:5]
	v_cmp_gt_u32_e32 vcc, s33, v26
	s_and_saveexec_b64 s[4:5], vcc
	s_cbranch_execnz .LBB114_145
.LBB114_121:
	s_or_b64 exec, exec, s[4:5]
	v_cmp_gt_u32_e32 vcc, s33, v25
	s_and_saveexec_b64 s[4:5], vcc
	s_cbranch_execz .LBB114_150
.LBB114_122:
	v_cmp_ge_u32_e32 vcc, v25, v10
                                        ; implicit-def: $vgpr12_vgpr13
	s_and_saveexec_b64 s[6:7], vcc
	s_xor_b64 s[6:7], exec, s[6:7]
; %bb.123:
	v_xor_b32_e32 v12, 0xfffffdff, v0
	v_ashrrev_i32_e32 v13, 31, v12
	v_add_co_u32_e32 v12, vcc, v14, v12
	v_addc_co_u32_e32 v13, vcc, v15, v13, vcc
                                        ; implicit-def: $vgpr25
; %bb.124:
	s_andn2_saveexec_b64 s[6:7], s[6:7]
; %bb.125:
	v_add_co_u32_e32 v12, vcc, v1, v25
	v_addc_co_u32_e32 v13, vcc, 0, v11, vcc
; %bb.126:
	s_or_b64 exec, exec, s[6:7]
	v_lshlrev_b64 v[12:13], 2, v[12:13]
	s_waitcnt lgkmcnt(4)
	v_mov_b32_e32 v16, s29
	v_add_co_u32_e32 v12, vcc, s28, v12
	v_addc_co_u32_e32 v13, vcc, v16, v13, vcc
	s_waitcnt lgkmcnt(3)
	global_store_dword v[12:13], v8, off
	s_or_b64 exec, exec, s[4:5]
	v_cmp_gt_u32_e32 vcc, s33, v24
	s_and_saveexec_b64 s[4:5], vcc
	s_cbranch_execnz .LBB114_151
.LBB114_127:
	s_or_b64 exec, exec, s[4:5]
	v_cmp_gt_u32_e32 vcc, s33, v23
	s_and_saveexec_b64 s[4:5], vcc
	s_cbranch_execz .LBB114_156
.LBB114_128:
	v_cmp_ge_u32_e32 vcc, v23, v10
                                        ; implicit-def: $vgpr8_vgpr9
	s_and_saveexec_b64 s[6:7], vcc
	s_xor_b64 s[6:7], exec, s[6:7]
	s_cbranch_execz .LBB114_130
; %bb.129:
	s_waitcnt lgkmcnt(3)
	v_xor_b32_e32 v8, 0xfffffbff, v0
	v_ashrrev_i32_e32 v9, 31, v8
	v_add_co_u32_e32 v8, vcc, v14, v8
	v_addc_co_u32_e32 v9, vcc, v15, v9, vcc
                                        ; implicit-def: $vgpr23
.LBB114_130:
	s_andn2_saveexec_b64 s[6:7], s[6:7]
	s_cbranch_execz .LBB114_132
; %bb.131:
	s_waitcnt lgkmcnt(3)
	v_add_co_u32_e32 v8, vcc, v1, v23
	v_addc_co_u32_e32 v9, vcc, 0, v11, vcc
.LBB114_132:
	s_or_b64 exec, exec, s[6:7]
	s_waitcnt lgkmcnt(3)
	v_lshlrev_b64 v[8:9], 2, v[8:9]
	v_mov_b32_e32 v12, s29
	v_add_co_u32_e32 v8, vcc, s28, v8
	v_addc_co_u32_e32 v9, vcc, v12, v9, vcc
	s_waitcnt lgkmcnt(2)
	global_store_dword v[8:9], v6, off
	s_or_b64 exec, exec, s[4:5]
	v_cmp_gt_u32_e32 vcc, s33, v22
	s_and_saveexec_b64 s[4:5], vcc
	s_cbranch_execnz .LBB114_157
.LBB114_133:
	s_or_b64 exec, exec, s[4:5]
	v_cmp_gt_u32_e32 vcc, s33, v21
	s_and_saveexec_b64 s[4:5], vcc
	s_cbranch_execz .LBB114_162
.LBB114_134:
	v_cmp_ge_u32_e32 vcc, v21, v10
                                        ; implicit-def: $vgpr6_vgpr7
	s_and_saveexec_b64 s[6:7], vcc
	s_xor_b64 s[6:7], exec, s[6:7]
	s_cbranch_execz .LBB114_136
; %bb.135:
	s_waitcnt lgkmcnt(2)
	v_xor_b32_e32 v6, 0xfffff9ff, v0
	v_ashrrev_i32_e32 v7, 31, v6
	v_add_co_u32_e32 v6, vcc, v14, v6
	v_addc_co_u32_e32 v7, vcc, v15, v7, vcc
                                        ; implicit-def: $vgpr21
.LBB114_136:
	s_andn2_saveexec_b64 s[6:7], s[6:7]
	s_cbranch_execz .LBB114_138
; %bb.137:
	s_waitcnt lgkmcnt(2)
	v_add_co_u32_e32 v6, vcc, v1, v21
	v_addc_co_u32_e32 v7, vcc, 0, v11, vcc
.LBB114_138:
	s_or_b64 exec, exec, s[6:7]
	s_waitcnt lgkmcnt(2)
	v_lshlrev_b64 v[6:7], 2, v[6:7]
	v_mov_b32_e32 v8, s29
	v_add_co_u32_e32 v6, vcc, s28, v6
	v_addc_co_u32_e32 v7, vcc, v8, v7, vcc
	s_waitcnt lgkmcnt(1)
	global_store_dword v[6:7], v4, off
	s_or_b64 exec, exec, s[4:5]
	v_cmp_gt_u32_e32 vcc, s33, v20
	s_and_saveexec_b64 s[4:5], vcc
	s_cbranch_execnz .LBB114_163
.LBB114_139:
	s_or_b64 exec, exec, s[4:5]
	v_cmp_gt_u32_e32 vcc, s33, v19
	s_and_saveexec_b64 s[4:5], vcc
	s_cbranch_execnz .LBB114_168
.LBB114_140:
	s_or_b64 exec, exec, s[4:5]
	v_cmp_gt_u32_e32 vcc, s33, v18
                                        ; implicit-def: $vgpr12_vgpr13
	s_and_saveexec_b64 s[4:5], vcc
	s_cbranch_execnz .LBB114_173
.LBB114_141:
	s_or_b64 exec, exec, s[4:5]
	s_and_saveexec_b64 s[4:5], s[2:3]
	s_cbranch_execnz .LBB114_112
.LBB114_142:
	s_or_b64 exec, exec, s[4:5]
	s_and_b64 s[0:1], s[0:1], s[22:23]
	s_and_saveexec_b64 s[2:3], s[0:1]
	s_cbranch_execz .LBB114_113
.LBB114_143:
	v_add_co_u32_e32 v0, vcc, v1, v10
	s_waitcnt lgkmcnt(0)
	v_mov_b32_e32 v2, 0
	v_addc_co_u32_e32 v1, vcc, 0, v11, vcc
	global_store_dwordx2 v2, v[0:1], s[20:21]
	s_endpgm
.LBB114_144:
	s_or_b64 exec, exec, s[4:5]
	v_cmp_gt_u32_e32 vcc, s33, v26
	s_and_saveexec_b64 s[4:5], vcc
	s_cbranch_execz .LBB114_121
.LBB114_145:
	v_cmp_ge_u32_e32 vcc, v26, v10
                                        ; implicit-def: $vgpr12_vgpr13
	s_and_saveexec_b64 s[6:7], vcc
	s_xor_b64 s[6:7], exec, s[6:7]
; %bb.146:
	v_xor_b32_e32 v12, 0xfffffeff, v0
	v_ashrrev_i32_e32 v13, 31, v12
	v_add_co_u32_e32 v12, vcc, v14, v12
	v_addc_co_u32_e32 v13, vcc, v15, v13, vcc
                                        ; implicit-def: $vgpr26
; %bb.147:
	s_andn2_saveexec_b64 s[6:7], s[6:7]
; %bb.148:
	v_add_co_u32_e32 v12, vcc, v1, v26
	v_addc_co_u32_e32 v13, vcc, 0, v11, vcc
; %bb.149:
	s_or_b64 exec, exec, s[6:7]
	v_lshlrev_b64 v[12:13], 2, v[12:13]
	s_waitcnt lgkmcnt(4)
	v_mov_b32_e32 v16, s29
	v_add_co_u32_e32 v12, vcc, s28, v12
	v_addc_co_u32_e32 v13, vcc, v16, v13, vcc
	global_store_dword v[12:13], v17, off
	s_or_b64 exec, exec, s[4:5]
	v_cmp_gt_u32_e32 vcc, s33, v25
	s_and_saveexec_b64 s[4:5], vcc
	s_cbranch_execnz .LBB114_122
.LBB114_150:
	s_or_b64 exec, exec, s[4:5]
	v_cmp_gt_u32_e32 vcc, s33, v24
	s_and_saveexec_b64 s[4:5], vcc
	s_cbranch_execz .LBB114_127
.LBB114_151:
	v_cmp_ge_u32_e32 vcc, v24, v10
                                        ; implicit-def: $vgpr12_vgpr13
	s_and_saveexec_b64 s[6:7], vcc
	s_xor_b64 s[6:7], exec, s[6:7]
	s_cbranch_execz .LBB114_153
; %bb.152:
	s_waitcnt lgkmcnt(3)
	v_xor_b32_e32 v8, 0xfffffcff, v0
	v_ashrrev_i32_e32 v13, 31, v8
	v_add_co_u32_e32 v12, vcc, v14, v8
	v_addc_co_u32_e32 v13, vcc, v15, v13, vcc
                                        ; implicit-def: $vgpr24
.LBB114_153:
	s_andn2_saveexec_b64 s[6:7], s[6:7]
; %bb.154:
	v_add_co_u32_e32 v12, vcc, v1, v24
	v_addc_co_u32_e32 v13, vcc, 0, v11, vcc
; %bb.155:
	s_or_b64 exec, exec, s[6:7]
	v_lshlrev_b64 v[12:13], 2, v[12:13]
	s_waitcnt lgkmcnt(3)
	v_mov_b32_e32 v8, s29
	v_add_co_u32_e32 v12, vcc, s28, v12
	v_addc_co_u32_e32 v13, vcc, v8, v13, vcc
	global_store_dword v[12:13], v9, off
	s_or_b64 exec, exec, s[4:5]
	v_cmp_gt_u32_e32 vcc, s33, v23
	s_and_saveexec_b64 s[4:5], vcc
	s_cbranch_execnz .LBB114_128
.LBB114_156:
	s_or_b64 exec, exec, s[4:5]
	v_cmp_gt_u32_e32 vcc, s33, v22
	s_and_saveexec_b64 s[4:5], vcc
	s_cbranch_execz .LBB114_133
.LBB114_157:
	v_cmp_ge_u32_e32 vcc, v22, v10
                                        ; implicit-def: $vgpr8_vgpr9
	s_and_saveexec_b64 s[6:7], vcc
	s_xor_b64 s[6:7], exec, s[6:7]
	s_cbranch_execz .LBB114_159
; %bb.158:
	s_waitcnt lgkmcnt(2)
	v_xor_b32_e32 v6, 0xfffffaff, v0
	v_ashrrev_i32_e32 v9, 31, v6
	v_add_co_u32_e32 v8, vcc, v14, v6
	v_addc_co_u32_e32 v9, vcc, v15, v9, vcc
                                        ; implicit-def: $vgpr22
.LBB114_159:
	s_andn2_saveexec_b64 s[6:7], s[6:7]
	s_cbranch_execz .LBB114_161
; %bb.160:
	s_waitcnt lgkmcnt(3)
	v_add_co_u32_e32 v8, vcc, v1, v22
	v_addc_co_u32_e32 v9, vcc, 0, v11, vcc
.LBB114_161:
	s_or_b64 exec, exec, s[6:7]
	s_waitcnt lgkmcnt(3)
	v_lshlrev_b64 v[8:9], 2, v[8:9]
	s_waitcnt lgkmcnt(2)
	v_mov_b32_e32 v6, s29
	v_add_co_u32_e32 v8, vcc, s28, v8
	v_addc_co_u32_e32 v9, vcc, v6, v9, vcc
	global_store_dword v[8:9], v7, off
	s_or_b64 exec, exec, s[4:5]
	v_cmp_gt_u32_e32 vcc, s33, v21
	s_and_saveexec_b64 s[4:5], vcc
	s_cbranch_execnz .LBB114_134
.LBB114_162:
	s_or_b64 exec, exec, s[4:5]
	v_cmp_gt_u32_e32 vcc, s33, v20
	s_and_saveexec_b64 s[4:5], vcc
	s_cbranch_execz .LBB114_139
.LBB114_163:
	v_cmp_ge_u32_e32 vcc, v20, v10
                                        ; implicit-def: $vgpr6_vgpr7
	s_and_saveexec_b64 s[6:7], vcc
	s_xor_b64 s[6:7], exec, s[6:7]
	s_cbranch_execz .LBB114_165
; %bb.164:
	s_waitcnt lgkmcnt(1)
	v_xor_b32_e32 v4, 0xfffff8ff, v0
	v_ashrrev_i32_e32 v7, 31, v4
	v_add_co_u32_e32 v6, vcc, v14, v4
	v_addc_co_u32_e32 v7, vcc, v15, v7, vcc
                                        ; implicit-def: $vgpr20
.LBB114_165:
	s_andn2_saveexec_b64 s[6:7], s[6:7]
	s_cbranch_execz .LBB114_167
; %bb.166:
	s_waitcnt lgkmcnt(2)
	v_add_co_u32_e32 v6, vcc, v1, v20
	v_addc_co_u32_e32 v7, vcc, 0, v11, vcc
.LBB114_167:
	s_or_b64 exec, exec, s[6:7]
	s_waitcnt lgkmcnt(2)
	v_lshlrev_b64 v[6:7], 2, v[6:7]
	s_waitcnt lgkmcnt(1)
	v_mov_b32_e32 v4, s29
	v_add_co_u32_e32 v6, vcc, s28, v6
	v_addc_co_u32_e32 v7, vcc, v4, v7, vcc
	global_store_dword v[6:7], v5, off
	s_or_b64 exec, exec, s[4:5]
	v_cmp_gt_u32_e32 vcc, s33, v19
	s_and_saveexec_b64 s[4:5], vcc
	s_cbranch_execz .LBB114_140
.LBB114_168:
	v_cmp_ge_u32_e32 vcc, v19, v10
                                        ; implicit-def: $vgpr4_vgpr5
	s_and_saveexec_b64 s[6:7], vcc
	s_xor_b64 s[6:7], exec, s[6:7]
	s_cbranch_execz .LBB114_170
; %bb.169:
	s_waitcnt lgkmcnt(1)
	v_xor_b32_e32 v4, 0xfffff7ff, v0
	v_ashrrev_i32_e32 v5, 31, v4
	v_add_co_u32_e32 v4, vcc, v14, v4
	v_addc_co_u32_e32 v5, vcc, v15, v5, vcc
                                        ; implicit-def: $vgpr19
.LBB114_170:
	s_andn2_saveexec_b64 s[6:7], s[6:7]
	s_cbranch_execz .LBB114_172
; %bb.171:
	s_waitcnt lgkmcnt(1)
	v_add_co_u32_e32 v4, vcc, v1, v19
	v_addc_co_u32_e32 v5, vcc, 0, v11, vcc
.LBB114_172:
	s_or_b64 exec, exec, s[6:7]
	s_waitcnt lgkmcnt(1)
	v_lshlrev_b64 v[4:5], 2, v[4:5]
	v_mov_b32_e32 v6, s29
	v_add_co_u32_e32 v4, vcc, s28, v4
	v_addc_co_u32_e32 v5, vcc, v6, v5, vcc
	s_waitcnt lgkmcnt(0)
	global_store_dword v[4:5], v2, off
	s_or_b64 exec, exec, s[4:5]
	v_cmp_gt_u32_e32 vcc, s33, v18
                                        ; implicit-def: $vgpr12_vgpr13
	s_and_saveexec_b64 s[4:5], vcc
	s_cbranch_execz .LBB114_141
.LBB114_173:
	v_cmp_ge_u32_e32 vcc, v18, v10
                                        ; implicit-def: $vgpr12_vgpr13
	s_and_saveexec_b64 s[6:7], vcc
	s_xor_b64 s[6:7], exec, s[6:7]
	s_cbranch_execz .LBB114_175
; %bb.174:
	v_xor_b32_e32 v0, 0xfffff6ff, v0
	s_waitcnt lgkmcnt(0)
	v_ashrrev_i32_e32 v2, 31, v0
	v_add_co_u32_e32 v12, vcc, v14, v0
	v_addc_co_u32_e32 v13, vcc, v15, v2, vcc
                                        ; implicit-def: $vgpr18
.LBB114_175:
	s_andn2_saveexec_b64 s[6:7], s[6:7]
; %bb.176:
	v_add_co_u32_e32 v12, vcc, v1, v18
	v_addc_co_u32_e32 v13, vcc, 0, v11, vcc
; %bb.177:
	s_or_b64 exec, exec, s[6:7]
	s_or_b64 s[2:3], s[2:3], exec
	s_or_b64 exec, exec, s[4:5]
	s_and_saveexec_b64 s[4:5], s[2:3]
	s_cbranch_execnz .LBB114_112
	s_branch .LBB114_142
	.section	.rodata,"a",@progbits
	.p2align	6, 0x0
	.amdhsa_kernel _ZN7rocprim17ROCPRIM_400000_NS6detail17trampoline_kernelINS0_14default_configENS1_25partition_config_selectorILNS1_17partition_subalgoE3EiNS0_10empty_typeEbEEZZNS1_14partition_implILS5_3ELb0ES3_jN6thrust23THRUST_200600_302600_NS6detail15normal_iteratorINSA_7pointerIiNSA_11hip_rocprim3tagENSA_11use_defaultESG_EEEEPS6_SJ_NS0_5tupleIJPiSJ_EEENSK_IJSJ_SJ_EEES6_PlJ7is_evenIiEEEE10hipError_tPvRmT3_T4_T5_T6_T7_T9_mT8_P12ihipStream_tbDpT10_ENKUlT_T0_E_clISt17integral_constantIbLb0EES19_IbLb1EEEEDaS15_S16_EUlS15_E_NS1_11comp_targetILNS1_3genE4ELNS1_11target_archE910ELNS1_3gpuE8ELNS1_3repE0EEENS1_30default_config_static_selectorELNS0_4arch9wavefront6targetE1EEEvT1_
		.amdhsa_group_segment_fixed_size 10248
		.amdhsa_private_segment_fixed_size 0
		.amdhsa_kernarg_size 136
		.amdhsa_user_sgpr_count 6
		.amdhsa_user_sgpr_private_segment_buffer 1
		.amdhsa_user_sgpr_dispatch_ptr 0
		.amdhsa_user_sgpr_queue_ptr 0
		.amdhsa_user_sgpr_kernarg_segment_ptr 1
		.amdhsa_user_sgpr_dispatch_id 0
		.amdhsa_user_sgpr_flat_scratch_init 0
		.amdhsa_user_sgpr_kernarg_preload_length 0
		.amdhsa_user_sgpr_kernarg_preload_offset 0
		.amdhsa_user_sgpr_private_segment_size 0
		.amdhsa_uses_dynamic_stack 0
		.amdhsa_system_sgpr_private_segment_wavefront_offset 0
		.amdhsa_system_sgpr_workgroup_id_x 1
		.amdhsa_system_sgpr_workgroup_id_y 0
		.amdhsa_system_sgpr_workgroup_id_z 0
		.amdhsa_system_sgpr_workgroup_info 0
		.amdhsa_system_vgpr_workitem_id 0
		.amdhsa_next_free_vgpr 57
		.amdhsa_next_free_sgpr 44
		.amdhsa_accum_offset 60
		.amdhsa_reserve_vcc 1
		.amdhsa_reserve_flat_scratch 0
		.amdhsa_float_round_mode_32 0
		.amdhsa_float_round_mode_16_64 0
		.amdhsa_float_denorm_mode_32 3
		.amdhsa_float_denorm_mode_16_64 3
		.amdhsa_dx10_clamp 1
		.amdhsa_ieee_mode 1
		.amdhsa_fp16_overflow 0
		.amdhsa_tg_split 0
		.amdhsa_exception_fp_ieee_invalid_op 0
		.amdhsa_exception_fp_denorm_src 0
		.amdhsa_exception_fp_ieee_div_zero 0
		.amdhsa_exception_fp_ieee_overflow 0
		.amdhsa_exception_fp_ieee_underflow 0
		.amdhsa_exception_fp_ieee_inexact 0
		.amdhsa_exception_int_div_zero 0
	.end_amdhsa_kernel
	.section	.text._ZN7rocprim17ROCPRIM_400000_NS6detail17trampoline_kernelINS0_14default_configENS1_25partition_config_selectorILNS1_17partition_subalgoE3EiNS0_10empty_typeEbEEZZNS1_14partition_implILS5_3ELb0ES3_jN6thrust23THRUST_200600_302600_NS6detail15normal_iteratorINSA_7pointerIiNSA_11hip_rocprim3tagENSA_11use_defaultESG_EEEEPS6_SJ_NS0_5tupleIJPiSJ_EEENSK_IJSJ_SJ_EEES6_PlJ7is_evenIiEEEE10hipError_tPvRmT3_T4_T5_T6_T7_T9_mT8_P12ihipStream_tbDpT10_ENKUlT_T0_E_clISt17integral_constantIbLb0EES19_IbLb1EEEEDaS15_S16_EUlS15_E_NS1_11comp_targetILNS1_3genE4ELNS1_11target_archE910ELNS1_3gpuE8ELNS1_3repE0EEENS1_30default_config_static_selectorELNS0_4arch9wavefront6targetE1EEEvT1_,"axG",@progbits,_ZN7rocprim17ROCPRIM_400000_NS6detail17trampoline_kernelINS0_14default_configENS1_25partition_config_selectorILNS1_17partition_subalgoE3EiNS0_10empty_typeEbEEZZNS1_14partition_implILS5_3ELb0ES3_jN6thrust23THRUST_200600_302600_NS6detail15normal_iteratorINSA_7pointerIiNSA_11hip_rocprim3tagENSA_11use_defaultESG_EEEEPS6_SJ_NS0_5tupleIJPiSJ_EEENSK_IJSJ_SJ_EEES6_PlJ7is_evenIiEEEE10hipError_tPvRmT3_T4_T5_T6_T7_T9_mT8_P12ihipStream_tbDpT10_ENKUlT_T0_E_clISt17integral_constantIbLb0EES19_IbLb1EEEEDaS15_S16_EUlS15_E_NS1_11comp_targetILNS1_3genE4ELNS1_11target_archE910ELNS1_3gpuE8ELNS1_3repE0EEENS1_30default_config_static_selectorELNS0_4arch9wavefront6targetE1EEEvT1_,comdat
.Lfunc_end114:
	.size	_ZN7rocprim17ROCPRIM_400000_NS6detail17trampoline_kernelINS0_14default_configENS1_25partition_config_selectorILNS1_17partition_subalgoE3EiNS0_10empty_typeEbEEZZNS1_14partition_implILS5_3ELb0ES3_jN6thrust23THRUST_200600_302600_NS6detail15normal_iteratorINSA_7pointerIiNSA_11hip_rocprim3tagENSA_11use_defaultESG_EEEEPS6_SJ_NS0_5tupleIJPiSJ_EEENSK_IJSJ_SJ_EEES6_PlJ7is_evenIiEEEE10hipError_tPvRmT3_T4_T5_T6_T7_T9_mT8_P12ihipStream_tbDpT10_ENKUlT_T0_E_clISt17integral_constantIbLb0EES19_IbLb1EEEEDaS15_S16_EUlS15_E_NS1_11comp_targetILNS1_3genE4ELNS1_11target_archE910ELNS1_3gpuE8ELNS1_3repE0EEENS1_30default_config_static_selectorELNS0_4arch9wavefront6targetE1EEEvT1_, .Lfunc_end114-_ZN7rocprim17ROCPRIM_400000_NS6detail17trampoline_kernelINS0_14default_configENS1_25partition_config_selectorILNS1_17partition_subalgoE3EiNS0_10empty_typeEbEEZZNS1_14partition_implILS5_3ELb0ES3_jN6thrust23THRUST_200600_302600_NS6detail15normal_iteratorINSA_7pointerIiNSA_11hip_rocprim3tagENSA_11use_defaultESG_EEEEPS6_SJ_NS0_5tupleIJPiSJ_EEENSK_IJSJ_SJ_EEES6_PlJ7is_evenIiEEEE10hipError_tPvRmT3_T4_T5_T6_T7_T9_mT8_P12ihipStream_tbDpT10_ENKUlT_T0_E_clISt17integral_constantIbLb0EES19_IbLb1EEEEDaS15_S16_EUlS15_E_NS1_11comp_targetILNS1_3genE4ELNS1_11target_archE910ELNS1_3gpuE8ELNS1_3repE0EEENS1_30default_config_static_selectorELNS0_4arch9wavefront6targetE1EEEvT1_
                                        ; -- End function
	.section	.AMDGPU.csdata,"",@progbits
; Kernel info:
; codeLenInByte = 6172
; NumSgprs: 48
; NumVgprs: 57
; NumAgprs: 0
; TotalNumVgprs: 57
; ScratchSize: 0
; MemoryBound: 0
; FloatMode: 240
; IeeeMode: 1
; LDSByteSize: 10248 bytes/workgroup (compile time only)
; SGPRBlocks: 5
; VGPRBlocks: 7
; NumSGPRsForWavesPerEU: 48
; NumVGPRsForWavesPerEU: 57
; AccumOffset: 60
; Occupancy: 6
; WaveLimiterHint : 1
; COMPUTE_PGM_RSRC2:SCRATCH_EN: 0
; COMPUTE_PGM_RSRC2:USER_SGPR: 6
; COMPUTE_PGM_RSRC2:TRAP_HANDLER: 0
; COMPUTE_PGM_RSRC2:TGID_X_EN: 1
; COMPUTE_PGM_RSRC2:TGID_Y_EN: 0
; COMPUTE_PGM_RSRC2:TGID_Z_EN: 0
; COMPUTE_PGM_RSRC2:TIDIG_COMP_CNT: 0
; COMPUTE_PGM_RSRC3_GFX90A:ACCUM_OFFSET: 14
; COMPUTE_PGM_RSRC3_GFX90A:TG_SPLIT: 0
	.section	.text._ZN7rocprim17ROCPRIM_400000_NS6detail17trampoline_kernelINS0_14default_configENS1_25partition_config_selectorILNS1_17partition_subalgoE3EiNS0_10empty_typeEbEEZZNS1_14partition_implILS5_3ELb0ES3_jN6thrust23THRUST_200600_302600_NS6detail15normal_iteratorINSA_7pointerIiNSA_11hip_rocprim3tagENSA_11use_defaultESG_EEEEPS6_SJ_NS0_5tupleIJPiSJ_EEENSK_IJSJ_SJ_EEES6_PlJ7is_evenIiEEEE10hipError_tPvRmT3_T4_T5_T6_T7_T9_mT8_P12ihipStream_tbDpT10_ENKUlT_T0_E_clISt17integral_constantIbLb0EES19_IbLb1EEEEDaS15_S16_EUlS15_E_NS1_11comp_targetILNS1_3genE3ELNS1_11target_archE908ELNS1_3gpuE7ELNS1_3repE0EEENS1_30default_config_static_selectorELNS0_4arch9wavefront6targetE1EEEvT1_,"axG",@progbits,_ZN7rocprim17ROCPRIM_400000_NS6detail17trampoline_kernelINS0_14default_configENS1_25partition_config_selectorILNS1_17partition_subalgoE3EiNS0_10empty_typeEbEEZZNS1_14partition_implILS5_3ELb0ES3_jN6thrust23THRUST_200600_302600_NS6detail15normal_iteratorINSA_7pointerIiNSA_11hip_rocprim3tagENSA_11use_defaultESG_EEEEPS6_SJ_NS0_5tupleIJPiSJ_EEENSK_IJSJ_SJ_EEES6_PlJ7is_evenIiEEEE10hipError_tPvRmT3_T4_T5_T6_T7_T9_mT8_P12ihipStream_tbDpT10_ENKUlT_T0_E_clISt17integral_constantIbLb0EES19_IbLb1EEEEDaS15_S16_EUlS15_E_NS1_11comp_targetILNS1_3genE3ELNS1_11target_archE908ELNS1_3gpuE7ELNS1_3repE0EEENS1_30default_config_static_selectorELNS0_4arch9wavefront6targetE1EEEvT1_,comdat
	.protected	_ZN7rocprim17ROCPRIM_400000_NS6detail17trampoline_kernelINS0_14default_configENS1_25partition_config_selectorILNS1_17partition_subalgoE3EiNS0_10empty_typeEbEEZZNS1_14partition_implILS5_3ELb0ES3_jN6thrust23THRUST_200600_302600_NS6detail15normal_iteratorINSA_7pointerIiNSA_11hip_rocprim3tagENSA_11use_defaultESG_EEEEPS6_SJ_NS0_5tupleIJPiSJ_EEENSK_IJSJ_SJ_EEES6_PlJ7is_evenIiEEEE10hipError_tPvRmT3_T4_T5_T6_T7_T9_mT8_P12ihipStream_tbDpT10_ENKUlT_T0_E_clISt17integral_constantIbLb0EES19_IbLb1EEEEDaS15_S16_EUlS15_E_NS1_11comp_targetILNS1_3genE3ELNS1_11target_archE908ELNS1_3gpuE7ELNS1_3repE0EEENS1_30default_config_static_selectorELNS0_4arch9wavefront6targetE1EEEvT1_ ; -- Begin function _ZN7rocprim17ROCPRIM_400000_NS6detail17trampoline_kernelINS0_14default_configENS1_25partition_config_selectorILNS1_17partition_subalgoE3EiNS0_10empty_typeEbEEZZNS1_14partition_implILS5_3ELb0ES3_jN6thrust23THRUST_200600_302600_NS6detail15normal_iteratorINSA_7pointerIiNSA_11hip_rocprim3tagENSA_11use_defaultESG_EEEEPS6_SJ_NS0_5tupleIJPiSJ_EEENSK_IJSJ_SJ_EEES6_PlJ7is_evenIiEEEE10hipError_tPvRmT3_T4_T5_T6_T7_T9_mT8_P12ihipStream_tbDpT10_ENKUlT_T0_E_clISt17integral_constantIbLb0EES19_IbLb1EEEEDaS15_S16_EUlS15_E_NS1_11comp_targetILNS1_3genE3ELNS1_11target_archE908ELNS1_3gpuE7ELNS1_3repE0EEENS1_30default_config_static_selectorELNS0_4arch9wavefront6targetE1EEEvT1_
	.globl	_ZN7rocprim17ROCPRIM_400000_NS6detail17trampoline_kernelINS0_14default_configENS1_25partition_config_selectorILNS1_17partition_subalgoE3EiNS0_10empty_typeEbEEZZNS1_14partition_implILS5_3ELb0ES3_jN6thrust23THRUST_200600_302600_NS6detail15normal_iteratorINSA_7pointerIiNSA_11hip_rocprim3tagENSA_11use_defaultESG_EEEEPS6_SJ_NS0_5tupleIJPiSJ_EEENSK_IJSJ_SJ_EEES6_PlJ7is_evenIiEEEE10hipError_tPvRmT3_T4_T5_T6_T7_T9_mT8_P12ihipStream_tbDpT10_ENKUlT_T0_E_clISt17integral_constantIbLb0EES19_IbLb1EEEEDaS15_S16_EUlS15_E_NS1_11comp_targetILNS1_3genE3ELNS1_11target_archE908ELNS1_3gpuE7ELNS1_3repE0EEENS1_30default_config_static_selectorELNS0_4arch9wavefront6targetE1EEEvT1_
	.p2align	8
	.type	_ZN7rocprim17ROCPRIM_400000_NS6detail17trampoline_kernelINS0_14default_configENS1_25partition_config_selectorILNS1_17partition_subalgoE3EiNS0_10empty_typeEbEEZZNS1_14partition_implILS5_3ELb0ES3_jN6thrust23THRUST_200600_302600_NS6detail15normal_iteratorINSA_7pointerIiNSA_11hip_rocprim3tagENSA_11use_defaultESG_EEEEPS6_SJ_NS0_5tupleIJPiSJ_EEENSK_IJSJ_SJ_EEES6_PlJ7is_evenIiEEEE10hipError_tPvRmT3_T4_T5_T6_T7_T9_mT8_P12ihipStream_tbDpT10_ENKUlT_T0_E_clISt17integral_constantIbLb0EES19_IbLb1EEEEDaS15_S16_EUlS15_E_NS1_11comp_targetILNS1_3genE3ELNS1_11target_archE908ELNS1_3gpuE7ELNS1_3repE0EEENS1_30default_config_static_selectorELNS0_4arch9wavefront6targetE1EEEvT1_,@function
_ZN7rocprim17ROCPRIM_400000_NS6detail17trampoline_kernelINS0_14default_configENS1_25partition_config_selectorILNS1_17partition_subalgoE3EiNS0_10empty_typeEbEEZZNS1_14partition_implILS5_3ELb0ES3_jN6thrust23THRUST_200600_302600_NS6detail15normal_iteratorINSA_7pointerIiNSA_11hip_rocprim3tagENSA_11use_defaultESG_EEEEPS6_SJ_NS0_5tupleIJPiSJ_EEENSK_IJSJ_SJ_EEES6_PlJ7is_evenIiEEEE10hipError_tPvRmT3_T4_T5_T6_T7_T9_mT8_P12ihipStream_tbDpT10_ENKUlT_T0_E_clISt17integral_constantIbLb0EES19_IbLb1EEEEDaS15_S16_EUlS15_E_NS1_11comp_targetILNS1_3genE3ELNS1_11target_archE908ELNS1_3gpuE7ELNS1_3repE0EEENS1_30default_config_static_selectorELNS0_4arch9wavefront6targetE1EEEvT1_: ; @_ZN7rocprim17ROCPRIM_400000_NS6detail17trampoline_kernelINS0_14default_configENS1_25partition_config_selectorILNS1_17partition_subalgoE3EiNS0_10empty_typeEbEEZZNS1_14partition_implILS5_3ELb0ES3_jN6thrust23THRUST_200600_302600_NS6detail15normal_iteratorINSA_7pointerIiNSA_11hip_rocprim3tagENSA_11use_defaultESG_EEEEPS6_SJ_NS0_5tupleIJPiSJ_EEENSK_IJSJ_SJ_EEES6_PlJ7is_evenIiEEEE10hipError_tPvRmT3_T4_T5_T6_T7_T9_mT8_P12ihipStream_tbDpT10_ENKUlT_T0_E_clISt17integral_constantIbLb0EES19_IbLb1EEEEDaS15_S16_EUlS15_E_NS1_11comp_targetILNS1_3genE3ELNS1_11target_archE908ELNS1_3gpuE7ELNS1_3repE0EEENS1_30default_config_static_selectorELNS0_4arch9wavefront6targetE1EEEvT1_
; %bb.0:
	.section	.rodata,"a",@progbits
	.p2align	6, 0x0
	.amdhsa_kernel _ZN7rocprim17ROCPRIM_400000_NS6detail17trampoline_kernelINS0_14default_configENS1_25partition_config_selectorILNS1_17partition_subalgoE3EiNS0_10empty_typeEbEEZZNS1_14partition_implILS5_3ELb0ES3_jN6thrust23THRUST_200600_302600_NS6detail15normal_iteratorINSA_7pointerIiNSA_11hip_rocprim3tagENSA_11use_defaultESG_EEEEPS6_SJ_NS0_5tupleIJPiSJ_EEENSK_IJSJ_SJ_EEES6_PlJ7is_evenIiEEEE10hipError_tPvRmT3_T4_T5_T6_T7_T9_mT8_P12ihipStream_tbDpT10_ENKUlT_T0_E_clISt17integral_constantIbLb0EES19_IbLb1EEEEDaS15_S16_EUlS15_E_NS1_11comp_targetILNS1_3genE3ELNS1_11target_archE908ELNS1_3gpuE7ELNS1_3repE0EEENS1_30default_config_static_selectorELNS0_4arch9wavefront6targetE1EEEvT1_
		.amdhsa_group_segment_fixed_size 0
		.amdhsa_private_segment_fixed_size 0
		.amdhsa_kernarg_size 136
		.amdhsa_user_sgpr_count 6
		.amdhsa_user_sgpr_private_segment_buffer 1
		.amdhsa_user_sgpr_dispatch_ptr 0
		.amdhsa_user_sgpr_queue_ptr 0
		.amdhsa_user_sgpr_kernarg_segment_ptr 1
		.amdhsa_user_sgpr_dispatch_id 0
		.amdhsa_user_sgpr_flat_scratch_init 0
		.amdhsa_user_sgpr_kernarg_preload_length 0
		.amdhsa_user_sgpr_kernarg_preload_offset 0
		.amdhsa_user_sgpr_private_segment_size 0
		.amdhsa_uses_dynamic_stack 0
		.amdhsa_system_sgpr_private_segment_wavefront_offset 0
		.amdhsa_system_sgpr_workgroup_id_x 1
		.amdhsa_system_sgpr_workgroup_id_y 0
		.amdhsa_system_sgpr_workgroup_id_z 0
		.amdhsa_system_sgpr_workgroup_info 0
		.amdhsa_system_vgpr_workitem_id 0
		.amdhsa_next_free_vgpr 1
		.amdhsa_next_free_sgpr 0
		.amdhsa_accum_offset 4
		.amdhsa_reserve_vcc 0
		.amdhsa_reserve_flat_scratch 0
		.amdhsa_float_round_mode_32 0
		.amdhsa_float_round_mode_16_64 0
		.amdhsa_float_denorm_mode_32 3
		.amdhsa_float_denorm_mode_16_64 3
		.amdhsa_dx10_clamp 1
		.amdhsa_ieee_mode 1
		.amdhsa_fp16_overflow 0
		.amdhsa_tg_split 0
		.amdhsa_exception_fp_ieee_invalid_op 0
		.amdhsa_exception_fp_denorm_src 0
		.amdhsa_exception_fp_ieee_div_zero 0
		.amdhsa_exception_fp_ieee_overflow 0
		.amdhsa_exception_fp_ieee_underflow 0
		.amdhsa_exception_fp_ieee_inexact 0
		.amdhsa_exception_int_div_zero 0
	.end_amdhsa_kernel
	.section	.text._ZN7rocprim17ROCPRIM_400000_NS6detail17trampoline_kernelINS0_14default_configENS1_25partition_config_selectorILNS1_17partition_subalgoE3EiNS0_10empty_typeEbEEZZNS1_14partition_implILS5_3ELb0ES3_jN6thrust23THRUST_200600_302600_NS6detail15normal_iteratorINSA_7pointerIiNSA_11hip_rocprim3tagENSA_11use_defaultESG_EEEEPS6_SJ_NS0_5tupleIJPiSJ_EEENSK_IJSJ_SJ_EEES6_PlJ7is_evenIiEEEE10hipError_tPvRmT3_T4_T5_T6_T7_T9_mT8_P12ihipStream_tbDpT10_ENKUlT_T0_E_clISt17integral_constantIbLb0EES19_IbLb1EEEEDaS15_S16_EUlS15_E_NS1_11comp_targetILNS1_3genE3ELNS1_11target_archE908ELNS1_3gpuE7ELNS1_3repE0EEENS1_30default_config_static_selectorELNS0_4arch9wavefront6targetE1EEEvT1_,"axG",@progbits,_ZN7rocprim17ROCPRIM_400000_NS6detail17trampoline_kernelINS0_14default_configENS1_25partition_config_selectorILNS1_17partition_subalgoE3EiNS0_10empty_typeEbEEZZNS1_14partition_implILS5_3ELb0ES3_jN6thrust23THRUST_200600_302600_NS6detail15normal_iteratorINSA_7pointerIiNSA_11hip_rocprim3tagENSA_11use_defaultESG_EEEEPS6_SJ_NS0_5tupleIJPiSJ_EEENSK_IJSJ_SJ_EEES6_PlJ7is_evenIiEEEE10hipError_tPvRmT3_T4_T5_T6_T7_T9_mT8_P12ihipStream_tbDpT10_ENKUlT_T0_E_clISt17integral_constantIbLb0EES19_IbLb1EEEEDaS15_S16_EUlS15_E_NS1_11comp_targetILNS1_3genE3ELNS1_11target_archE908ELNS1_3gpuE7ELNS1_3repE0EEENS1_30default_config_static_selectorELNS0_4arch9wavefront6targetE1EEEvT1_,comdat
.Lfunc_end115:
	.size	_ZN7rocprim17ROCPRIM_400000_NS6detail17trampoline_kernelINS0_14default_configENS1_25partition_config_selectorILNS1_17partition_subalgoE3EiNS0_10empty_typeEbEEZZNS1_14partition_implILS5_3ELb0ES3_jN6thrust23THRUST_200600_302600_NS6detail15normal_iteratorINSA_7pointerIiNSA_11hip_rocprim3tagENSA_11use_defaultESG_EEEEPS6_SJ_NS0_5tupleIJPiSJ_EEENSK_IJSJ_SJ_EEES6_PlJ7is_evenIiEEEE10hipError_tPvRmT3_T4_T5_T6_T7_T9_mT8_P12ihipStream_tbDpT10_ENKUlT_T0_E_clISt17integral_constantIbLb0EES19_IbLb1EEEEDaS15_S16_EUlS15_E_NS1_11comp_targetILNS1_3genE3ELNS1_11target_archE908ELNS1_3gpuE7ELNS1_3repE0EEENS1_30default_config_static_selectorELNS0_4arch9wavefront6targetE1EEEvT1_, .Lfunc_end115-_ZN7rocprim17ROCPRIM_400000_NS6detail17trampoline_kernelINS0_14default_configENS1_25partition_config_selectorILNS1_17partition_subalgoE3EiNS0_10empty_typeEbEEZZNS1_14partition_implILS5_3ELb0ES3_jN6thrust23THRUST_200600_302600_NS6detail15normal_iteratorINSA_7pointerIiNSA_11hip_rocprim3tagENSA_11use_defaultESG_EEEEPS6_SJ_NS0_5tupleIJPiSJ_EEENSK_IJSJ_SJ_EEES6_PlJ7is_evenIiEEEE10hipError_tPvRmT3_T4_T5_T6_T7_T9_mT8_P12ihipStream_tbDpT10_ENKUlT_T0_E_clISt17integral_constantIbLb0EES19_IbLb1EEEEDaS15_S16_EUlS15_E_NS1_11comp_targetILNS1_3genE3ELNS1_11target_archE908ELNS1_3gpuE7ELNS1_3repE0EEENS1_30default_config_static_selectorELNS0_4arch9wavefront6targetE1EEEvT1_
                                        ; -- End function
	.section	.AMDGPU.csdata,"",@progbits
; Kernel info:
; codeLenInByte = 0
; NumSgprs: 4
; NumVgprs: 0
; NumAgprs: 0
; TotalNumVgprs: 0
; ScratchSize: 0
; MemoryBound: 0
; FloatMode: 240
; IeeeMode: 1
; LDSByteSize: 0 bytes/workgroup (compile time only)
; SGPRBlocks: 0
; VGPRBlocks: 0
; NumSGPRsForWavesPerEU: 4
; NumVGPRsForWavesPerEU: 1
; AccumOffset: 4
; Occupancy: 8
; WaveLimiterHint : 0
; COMPUTE_PGM_RSRC2:SCRATCH_EN: 0
; COMPUTE_PGM_RSRC2:USER_SGPR: 6
; COMPUTE_PGM_RSRC2:TRAP_HANDLER: 0
; COMPUTE_PGM_RSRC2:TGID_X_EN: 1
; COMPUTE_PGM_RSRC2:TGID_Y_EN: 0
; COMPUTE_PGM_RSRC2:TGID_Z_EN: 0
; COMPUTE_PGM_RSRC2:TIDIG_COMP_CNT: 0
; COMPUTE_PGM_RSRC3_GFX90A:ACCUM_OFFSET: 0
; COMPUTE_PGM_RSRC3_GFX90A:TG_SPLIT: 0
	.section	.text._ZN7rocprim17ROCPRIM_400000_NS6detail17trampoline_kernelINS0_14default_configENS1_25partition_config_selectorILNS1_17partition_subalgoE3EiNS0_10empty_typeEbEEZZNS1_14partition_implILS5_3ELb0ES3_jN6thrust23THRUST_200600_302600_NS6detail15normal_iteratorINSA_7pointerIiNSA_11hip_rocprim3tagENSA_11use_defaultESG_EEEEPS6_SJ_NS0_5tupleIJPiSJ_EEENSK_IJSJ_SJ_EEES6_PlJ7is_evenIiEEEE10hipError_tPvRmT3_T4_T5_T6_T7_T9_mT8_P12ihipStream_tbDpT10_ENKUlT_T0_E_clISt17integral_constantIbLb0EES19_IbLb1EEEEDaS15_S16_EUlS15_E_NS1_11comp_targetILNS1_3genE2ELNS1_11target_archE906ELNS1_3gpuE6ELNS1_3repE0EEENS1_30default_config_static_selectorELNS0_4arch9wavefront6targetE1EEEvT1_,"axG",@progbits,_ZN7rocprim17ROCPRIM_400000_NS6detail17trampoline_kernelINS0_14default_configENS1_25partition_config_selectorILNS1_17partition_subalgoE3EiNS0_10empty_typeEbEEZZNS1_14partition_implILS5_3ELb0ES3_jN6thrust23THRUST_200600_302600_NS6detail15normal_iteratorINSA_7pointerIiNSA_11hip_rocprim3tagENSA_11use_defaultESG_EEEEPS6_SJ_NS0_5tupleIJPiSJ_EEENSK_IJSJ_SJ_EEES6_PlJ7is_evenIiEEEE10hipError_tPvRmT3_T4_T5_T6_T7_T9_mT8_P12ihipStream_tbDpT10_ENKUlT_T0_E_clISt17integral_constantIbLb0EES19_IbLb1EEEEDaS15_S16_EUlS15_E_NS1_11comp_targetILNS1_3genE2ELNS1_11target_archE906ELNS1_3gpuE6ELNS1_3repE0EEENS1_30default_config_static_selectorELNS0_4arch9wavefront6targetE1EEEvT1_,comdat
	.protected	_ZN7rocprim17ROCPRIM_400000_NS6detail17trampoline_kernelINS0_14default_configENS1_25partition_config_selectorILNS1_17partition_subalgoE3EiNS0_10empty_typeEbEEZZNS1_14partition_implILS5_3ELb0ES3_jN6thrust23THRUST_200600_302600_NS6detail15normal_iteratorINSA_7pointerIiNSA_11hip_rocprim3tagENSA_11use_defaultESG_EEEEPS6_SJ_NS0_5tupleIJPiSJ_EEENSK_IJSJ_SJ_EEES6_PlJ7is_evenIiEEEE10hipError_tPvRmT3_T4_T5_T6_T7_T9_mT8_P12ihipStream_tbDpT10_ENKUlT_T0_E_clISt17integral_constantIbLb0EES19_IbLb1EEEEDaS15_S16_EUlS15_E_NS1_11comp_targetILNS1_3genE2ELNS1_11target_archE906ELNS1_3gpuE6ELNS1_3repE0EEENS1_30default_config_static_selectorELNS0_4arch9wavefront6targetE1EEEvT1_ ; -- Begin function _ZN7rocprim17ROCPRIM_400000_NS6detail17trampoline_kernelINS0_14default_configENS1_25partition_config_selectorILNS1_17partition_subalgoE3EiNS0_10empty_typeEbEEZZNS1_14partition_implILS5_3ELb0ES3_jN6thrust23THRUST_200600_302600_NS6detail15normal_iteratorINSA_7pointerIiNSA_11hip_rocprim3tagENSA_11use_defaultESG_EEEEPS6_SJ_NS0_5tupleIJPiSJ_EEENSK_IJSJ_SJ_EEES6_PlJ7is_evenIiEEEE10hipError_tPvRmT3_T4_T5_T6_T7_T9_mT8_P12ihipStream_tbDpT10_ENKUlT_T0_E_clISt17integral_constantIbLb0EES19_IbLb1EEEEDaS15_S16_EUlS15_E_NS1_11comp_targetILNS1_3genE2ELNS1_11target_archE906ELNS1_3gpuE6ELNS1_3repE0EEENS1_30default_config_static_selectorELNS0_4arch9wavefront6targetE1EEEvT1_
	.globl	_ZN7rocprim17ROCPRIM_400000_NS6detail17trampoline_kernelINS0_14default_configENS1_25partition_config_selectorILNS1_17partition_subalgoE3EiNS0_10empty_typeEbEEZZNS1_14partition_implILS5_3ELb0ES3_jN6thrust23THRUST_200600_302600_NS6detail15normal_iteratorINSA_7pointerIiNSA_11hip_rocprim3tagENSA_11use_defaultESG_EEEEPS6_SJ_NS0_5tupleIJPiSJ_EEENSK_IJSJ_SJ_EEES6_PlJ7is_evenIiEEEE10hipError_tPvRmT3_T4_T5_T6_T7_T9_mT8_P12ihipStream_tbDpT10_ENKUlT_T0_E_clISt17integral_constantIbLb0EES19_IbLb1EEEEDaS15_S16_EUlS15_E_NS1_11comp_targetILNS1_3genE2ELNS1_11target_archE906ELNS1_3gpuE6ELNS1_3repE0EEENS1_30default_config_static_selectorELNS0_4arch9wavefront6targetE1EEEvT1_
	.p2align	8
	.type	_ZN7rocprim17ROCPRIM_400000_NS6detail17trampoline_kernelINS0_14default_configENS1_25partition_config_selectorILNS1_17partition_subalgoE3EiNS0_10empty_typeEbEEZZNS1_14partition_implILS5_3ELb0ES3_jN6thrust23THRUST_200600_302600_NS6detail15normal_iteratorINSA_7pointerIiNSA_11hip_rocprim3tagENSA_11use_defaultESG_EEEEPS6_SJ_NS0_5tupleIJPiSJ_EEENSK_IJSJ_SJ_EEES6_PlJ7is_evenIiEEEE10hipError_tPvRmT3_T4_T5_T6_T7_T9_mT8_P12ihipStream_tbDpT10_ENKUlT_T0_E_clISt17integral_constantIbLb0EES19_IbLb1EEEEDaS15_S16_EUlS15_E_NS1_11comp_targetILNS1_3genE2ELNS1_11target_archE906ELNS1_3gpuE6ELNS1_3repE0EEENS1_30default_config_static_selectorELNS0_4arch9wavefront6targetE1EEEvT1_,@function
_ZN7rocprim17ROCPRIM_400000_NS6detail17trampoline_kernelINS0_14default_configENS1_25partition_config_selectorILNS1_17partition_subalgoE3EiNS0_10empty_typeEbEEZZNS1_14partition_implILS5_3ELb0ES3_jN6thrust23THRUST_200600_302600_NS6detail15normal_iteratorINSA_7pointerIiNSA_11hip_rocprim3tagENSA_11use_defaultESG_EEEEPS6_SJ_NS0_5tupleIJPiSJ_EEENSK_IJSJ_SJ_EEES6_PlJ7is_evenIiEEEE10hipError_tPvRmT3_T4_T5_T6_T7_T9_mT8_P12ihipStream_tbDpT10_ENKUlT_T0_E_clISt17integral_constantIbLb0EES19_IbLb1EEEEDaS15_S16_EUlS15_E_NS1_11comp_targetILNS1_3genE2ELNS1_11target_archE906ELNS1_3gpuE6ELNS1_3repE0EEENS1_30default_config_static_selectorELNS0_4arch9wavefront6targetE1EEEvT1_: ; @_ZN7rocprim17ROCPRIM_400000_NS6detail17trampoline_kernelINS0_14default_configENS1_25partition_config_selectorILNS1_17partition_subalgoE3EiNS0_10empty_typeEbEEZZNS1_14partition_implILS5_3ELb0ES3_jN6thrust23THRUST_200600_302600_NS6detail15normal_iteratorINSA_7pointerIiNSA_11hip_rocprim3tagENSA_11use_defaultESG_EEEEPS6_SJ_NS0_5tupleIJPiSJ_EEENSK_IJSJ_SJ_EEES6_PlJ7is_evenIiEEEE10hipError_tPvRmT3_T4_T5_T6_T7_T9_mT8_P12ihipStream_tbDpT10_ENKUlT_T0_E_clISt17integral_constantIbLb0EES19_IbLb1EEEEDaS15_S16_EUlS15_E_NS1_11comp_targetILNS1_3genE2ELNS1_11target_archE906ELNS1_3gpuE6ELNS1_3repE0EEENS1_30default_config_static_selectorELNS0_4arch9wavefront6targetE1EEEvT1_
; %bb.0:
	.section	.rodata,"a",@progbits
	.p2align	6, 0x0
	.amdhsa_kernel _ZN7rocprim17ROCPRIM_400000_NS6detail17trampoline_kernelINS0_14default_configENS1_25partition_config_selectorILNS1_17partition_subalgoE3EiNS0_10empty_typeEbEEZZNS1_14partition_implILS5_3ELb0ES3_jN6thrust23THRUST_200600_302600_NS6detail15normal_iteratorINSA_7pointerIiNSA_11hip_rocprim3tagENSA_11use_defaultESG_EEEEPS6_SJ_NS0_5tupleIJPiSJ_EEENSK_IJSJ_SJ_EEES6_PlJ7is_evenIiEEEE10hipError_tPvRmT3_T4_T5_T6_T7_T9_mT8_P12ihipStream_tbDpT10_ENKUlT_T0_E_clISt17integral_constantIbLb0EES19_IbLb1EEEEDaS15_S16_EUlS15_E_NS1_11comp_targetILNS1_3genE2ELNS1_11target_archE906ELNS1_3gpuE6ELNS1_3repE0EEENS1_30default_config_static_selectorELNS0_4arch9wavefront6targetE1EEEvT1_
		.amdhsa_group_segment_fixed_size 0
		.amdhsa_private_segment_fixed_size 0
		.amdhsa_kernarg_size 136
		.amdhsa_user_sgpr_count 6
		.amdhsa_user_sgpr_private_segment_buffer 1
		.amdhsa_user_sgpr_dispatch_ptr 0
		.amdhsa_user_sgpr_queue_ptr 0
		.amdhsa_user_sgpr_kernarg_segment_ptr 1
		.amdhsa_user_sgpr_dispatch_id 0
		.amdhsa_user_sgpr_flat_scratch_init 0
		.amdhsa_user_sgpr_kernarg_preload_length 0
		.amdhsa_user_sgpr_kernarg_preload_offset 0
		.amdhsa_user_sgpr_private_segment_size 0
		.amdhsa_uses_dynamic_stack 0
		.amdhsa_system_sgpr_private_segment_wavefront_offset 0
		.amdhsa_system_sgpr_workgroup_id_x 1
		.amdhsa_system_sgpr_workgroup_id_y 0
		.amdhsa_system_sgpr_workgroup_id_z 0
		.amdhsa_system_sgpr_workgroup_info 0
		.amdhsa_system_vgpr_workitem_id 0
		.amdhsa_next_free_vgpr 1
		.amdhsa_next_free_sgpr 0
		.amdhsa_accum_offset 4
		.amdhsa_reserve_vcc 0
		.amdhsa_reserve_flat_scratch 0
		.amdhsa_float_round_mode_32 0
		.amdhsa_float_round_mode_16_64 0
		.amdhsa_float_denorm_mode_32 3
		.amdhsa_float_denorm_mode_16_64 3
		.amdhsa_dx10_clamp 1
		.amdhsa_ieee_mode 1
		.amdhsa_fp16_overflow 0
		.amdhsa_tg_split 0
		.amdhsa_exception_fp_ieee_invalid_op 0
		.amdhsa_exception_fp_denorm_src 0
		.amdhsa_exception_fp_ieee_div_zero 0
		.amdhsa_exception_fp_ieee_overflow 0
		.amdhsa_exception_fp_ieee_underflow 0
		.amdhsa_exception_fp_ieee_inexact 0
		.amdhsa_exception_int_div_zero 0
	.end_amdhsa_kernel
	.section	.text._ZN7rocprim17ROCPRIM_400000_NS6detail17trampoline_kernelINS0_14default_configENS1_25partition_config_selectorILNS1_17partition_subalgoE3EiNS0_10empty_typeEbEEZZNS1_14partition_implILS5_3ELb0ES3_jN6thrust23THRUST_200600_302600_NS6detail15normal_iteratorINSA_7pointerIiNSA_11hip_rocprim3tagENSA_11use_defaultESG_EEEEPS6_SJ_NS0_5tupleIJPiSJ_EEENSK_IJSJ_SJ_EEES6_PlJ7is_evenIiEEEE10hipError_tPvRmT3_T4_T5_T6_T7_T9_mT8_P12ihipStream_tbDpT10_ENKUlT_T0_E_clISt17integral_constantIbLb0EES19_IbLb1EEEEDaS15_S16_EUlS15_E_NS1_11comp_targetILNS1_3genE2ELNS1_11target_archE906ELNS1_3gpuE6ELNS1_3repE0EEENS1_30default_config_static_selectorELNS0_4arch9wavefront6targetE1EEEvT1_,"axG",@progbits,_ZN7rocprim17ROCPRIM_400000_NS6detail17trampoline_kernelINS0_14default_configENS1_25partition_config_selectorILNS1_17partition_subalgoE3EiNS0_10empty_typeEbEEZZNS1_14partition_implILS5_3ELb0ES3_jN6thrust23THRUST_200600_302600_NS6detail15normal_iteratorINSA_7pointerIiNSA_11hip_rocprim3tagENSA_11use_defaultESG_EEEEPS6_SJ_NS0_5tupleIJPiSJ_EEENSK_IJSJ_SJ_EEES6_PlJ7is_evenIiEEEE10hipError_tPvRmT3_T4_T5_T6_T7_T9_mT8_P12ihipStream_tbDpT10_ENKUlT_T0_E_clISt17integral_constantIbLb0EES19_IbLb1EEEEDaS15_S16_EUlS15_E_NS1_11comp_targetILNS1_3genE2ELNS1_11target_archE906ELNS1_3gpuE6ELNS1_3repE0EEENS1_30default_config_static_selectorELNS0_4arch9wavefront6targetE1EEEvT1_,comdat
.Lfunc_end116:
	.size	_ZN7rocprim17ROCPRIM_400000_NS6detail17trampoline_kernelINS0_14default_configENS1_25partition_config_selectorILNS1_17partition_subalgoE3EiNS0_10empty_typeEbEEZZNS1_14partition_implILS5_3ELb0ES3_jN6thrust23THRUST_200600_302600_NS6detail15normal_iteratorINSA_7pointerIiNSA_11hip_rocprim3tagENSA_11use_defaultESG_EEEEPS6_SJ_NS0_5tupleIJPiSJ_EEENSK_IJSJ_SJ_EEES6_PlJ7is_evenIiEEEE10hipError_tPvRmT3_T4_T5_T6_T7_T9_mT8_P12ihipStream_tbDpT10_ENKUlT_T0_E_clISt17integral_constantIbLb0EES19_IbLb1EEEEDaS15_S16_EUlS15_E_NS1_11comp_targetILNS1_3genE2ELNS1_11target_archE906ELNS1_3gpuE6ELNS1_3repE0EEENS1_30default_config_static_selectorELNS0_4arch9wavefront6targetE1EEEvT1_, .Lfunc_end116-_ZN7rocprim17ROCPRIM_400000_NS6detail17trampoline_kernelINS0_14default_configENS1_25partition_config_selectorILNS1_17partition_subalgoE3EiNS0_10empty_typeEbEEZZNS1_14partition_implILS5_3ELb0ES3_jN6thrust23THRUST_200600_302600_NS6detail15normal_iteratorINSA_7pointerIiNSA_11hip_rocprim3tagENSA_11use_defaultESG_EEEEPS6_SJ_NS0_5tupleIJPiSJ_EEENSK_IJSJ_SJ_EEES6_PlJ7is_evenIiEEEE10hipError_tPvRmT3_T4_T5_T6_T7_T9_mT8_P12ihipStream_tbDpT10_ENKUlT_T0_E_clISt17integral_constantIbLb0EES19_IbLb1EEEEDaS15_S16_EUlS15_E_NS1_11comp_targetILNS1_3genE2ELNS1_11target_archE906ELNS1_3gpuE6ELNS1_3repE0EEENS1_30default_config_static_selectorELNS0_4arch9wavefront6targetE1EEEvT1_
                                        ; -- End function
	.section	.AMDGPU.csdata,"",@progbits
; Kernel info:
; codeLenInByte = 0
; NumSgprs: 4
; NumVgprs: 0
; NumAgprs: 0
; TotalNumVgprs: 0
; ScratchSize: 0
; MemoryBound: 0
; FloatMode: 240
; IeeeMode: 1
; LDSByteSize: 0 bytes/workgroup (compile time only)
; SGPRBlocks: 0
; VGPRBlocks: 0
; NumSGPRsForWavesPerEU: 4
; NumVGPRsForWavesPerEU: 1
; AccumOffset: 4
; Occupancy: 8
; WaveLimiterHint : 0
; COMPUTE_PGM_RSRC2:SCRATCH_EN: 0
; COMPUTE_PGM_RSRC2:USER_SGPR: 6
; COMPUTE_PGM_RSRC2:TRAP_HANDLER: 0
; COMPUTE_PGM_RSRC2:TGID_X_EN: 1
; COMPUTE_PGM_RSRC2:TGID_Y_EN: 0
; COMPUTE_PGM_RSRC2:TGID_Z_EN: 0
; COMPUTE_PGM_RSRC2:TIDIG_COMP_CNT: 0
; COMPUTE_PGM_RSRC3_GFX90A:ACCUM_OFFSET: 0
; COMPUTE_PGM_RSRC3_GFX90A:TG_SPLIT: 0
	.section	.text._ZN7rocprim17ROCPRIM_400000_NS6detail17trampoline_kernelINS0_14default_configENS1_25partition_config_selectorILNS1_17partition_subalgoE3EiNS0_10empty_typeEbEEZZNS1_14partition_implILS5_3ELb0ES3_jN6thrust23THRUST_200600_302600_NS6detail15normal_iteratorINSA_7pointerIiNSA_11hip_rocprim3tagENSA_11use_defaultESG_EEEEPS6_SJ_NS0_5tupleIJPiSJ_EEENSK_IJSJ_SJ_EEES6_PlJ7is_evenIiEEEE10hipError_tPvRmT3_T4_T5_T6_T7_T9_mT8_P12ihipStream_tbDpT10_ENKUlT_T0_E_clISt17integral_constantIbLb0EES19_IbLb1EEEEDaS15_S16_EUlS15_E_NS1_11comp_targetILNS1_3genE10ELNS1_11target_archE1200ELNS1_3gpuE4ELNS1_3repE0EEENS1_30default_config_static_selectorELNS0_4arch9wavefront6targetE1EEEvT1_,"axG",@progbits,_ZN7rocprim17ROCPRIM_400000_NS6detail17trampoline_kernelINS0_14default_configENS1_25partition_config_selectorILNS1_17partition_subalgoE3EiNS0_10empty_typeEbEEZZNS1_14partition_implILS5_3ELb0ES3_jN6thrust23THRUST_200600_302600_NS6detail15normal_iteratorINSA_7pointerIiNSA_11hip_rocprim3tagENSA_11use_defaultESG_EEEEPS6_SJ_NS0_5tupleIJPiSJ_EEENSK_IJSJ_SJ_EEES6_PlJ7is_evenIiEEEE10hipError_tPvRmT3_T4_T5_T6_T7_T9_mT8_P12ihipStream_tbDpT10_ENKUlT_T0_E_clISt17integral_constantIbLb0EES19_IbLb1EEEEDaS15_S16_EUlS15_E_NS1_11comp_targetILNS1_3genE10ELNS1_11target_archE1200ELNS1_3gpuE4ELNS1_3repE0EEENS1_30default_config_static_selectorELNS0_4arch9wavefront6targetE1EEEvT1_,comdat
	.protected	_ZN7rocprim17ROCPRIM_400000_NS6detail17trampoline_kernelINS0_14default_configENS1_25partition_config_selectorILNS1_17partition_subalgoE3EiNS0_10empty_typeEbEEZZNS1_14partition_implILS5_3ELb0ES3_jN6thrust23THRUST_200600_302600_NS6detail15normal_iteratorINSA_7pointerIiNSA_11hip_rocprim3tagENSA_11use_defaultESG_EEEEPS6_SJ_NS0_5tupleIJPiSJ_EEENSK_IJSJ_SJ_EEES6_PlJ7is_evenIiEEEE10hipError_tPvRmT3_T4_T5_T6_T7_T9_mT8_P12ihipStream_tbDpT10_ENKUlT_T0_E_clISt17integral_constantIbLb0EES19_IbLb1EEEEDaS15_S16_EUlS15_E_NS1_11comp_targetILNS1_3genE10ELNS1_11target_archE1200ELNS1_3gpuE4ELNS1_3repE0EEENS1_30default_config_static_selectorELNS0_4arch9wavefront6targetE1EEEvT1_ ; -- Begin function _ZN7rocprim17ROCPRIM_400000_NS6detail17trampoline_kernelINS0_14default_configENS1_25partition_config_selectorILNS1_17partition_subalgoE3EiNS0_10empty_typeEbEEZZNS1_14partition_implILS5_3ELb0ES3_jN6thrust23THRUST_200600_302600_NS6detail15normal_iteratorINSA_7pointerIiNSA_11hip_rocprim3tagENSA_11use_defaultESG_EEEEPS6_SJ_NS0_5tupleIJPiSJ_EEENSK_IJSJ_SJ_EEES6_PlJ7is_evenIiEEEE10hipError_tPvRmT3_T4_T5_T6_T7_T9_mT8_P12ihipStream_tbDpT10_ENKUlT_T0_E_clISt17integral_constantIbLb0EES19_IbLb1EEEEDaS15_S16_EUlS15_E_NS1_11comp_targetILNS1_3genE10ELNS1_11target_archE1200ELNS1_3gpuE4ELNS1_3repE0EEENS1_30default_config_static_selectorELNS0_4arch9wavefront6targetE1EEEvT1_
	.globl	_ZN7rocprim17ROCPRIM_400000_NS6detail17trampoline_kernelINS0_14default_configENS1_25partition_config_selectorILNS1_17partition_subalgoE3EiNS0_10empty_typeEbEEZZNS1_14partition_implILS5_3ELb0ES3_jN6thrust23THRUST_200600_302600_NS6detail15normal_iteratorINSA_7pointerIiNSA_11hip_rocprim3tagENSA_11use_defaultESG_EEEEPS6_SJ_NS0_5tupleIJPiSJ_EEENSK_IJSJ_SJ_EEES6_PlJ7is_evenIiEEEE10hipError_tPvRmT3_T4_T5_T6_T7_T9_mT8_P12ihipStream_tbDpT10_ENKUlT_T0_E_clISt17integral_constantIbLb0EES19_IbLb1EEEEDaS15_S16_EUlS15_E_NS1_11comp_targetILNS1_3genE10ELNS1_11target_archE1200ELNS1_3gpuE4ELNS1_3repE0EEENS1_30default_config_static_selectorELNS0_4arch9wavefront6targetE1EEEvT1_
	.p2align	8
	.type	_ZN7rocprim17ROCPRIM_400000_NS6detail17trampoline_kernelINS0_14default_configENS1_25partition_config_selectorILNS1_17partition_subalgoE3EiNS0_10empty_typeEbEEZZNS1_14partition_implILS5_3ELb0ES3_jN6thrust23THRUST_200600_302600_NS6detail15normal_iteratorINSA_7pointerIiNSA_11hip_rocprim3tagENSA_11use_defaultESG_EEEEPS6_SJ_NS0_5tupleIJPiSJ_EEENSK_IJSJ_SJ_EEES6_PlJ7is_evenIiEEEE10hipError_tPvRmT3_T4_T5_T6_T7_T9_mT8_P12ihipStream_tbDpT10_ENKUlT_T0_E_clISt17integral_constantIbLb0EES19_IbLb1EEEEDaS15_S16_EUlS15_E_NS1_11comp_targetILNS1_3genE10ELNS1_11target_archE1200ELNS1_3gpuE4ELNS1_3repE0EEENS1_30default_config_static_selectorELNS0_4arch9wavefront6targetE1EEEvT1_,@function
_ZN7rocprim17ROCPRIM_400000_NS6detail17trampoline_kernelINS0_14default_configENS1_25partition_config_selectorILNS1_17partition_subalgoE3EiNS0_10empty_typeEbEEZZNS1_14partition_implILS5_3ELb0ES3_jN6thrust23THRUST_200600_302600_NS6detail15normal_iteratorINSA_7pointerIiNSA_11hip_rocprim3tagENSA_11use_defaultESG_EEEEPS6_SJ_NS0_5tupleIJPiSJ_EEENSK_IJSJ_SJ_EEES6_PlJ7is_evenIiEEEE10hipError_tPvRmT3_T4_T5_T6_T7_T9_mT8_P12ihipStream_tbDpT10_ENKUlT_T0_E_clISt17integral_constantIbLb0EES19_IbLb1EEEEDaS15_S16_EUlS15_E_NS1_11comp_targetILNS1_3genE10ELNS1_11target_archE1200ELNS1_3gpuE4ELNS1_3repE0EEENS1_30default_config_static_selectorELNS0_4arch9wavefront6targetE1EEEvT1_: ; @_ZN7rocprim17ROCPRIM_400000_NS6detail17trampoline_kernelINS0_14default_configENS1_25partition_config_selectorILNS1_17partition_subalgoE3EiNS0_10empty_typeEbEEZZNS1_14partition_implILS5_3ELb0ES3_jN6thrust23THRUST_200600_302600_NS6detail15normal_iteratorINSA_7pointerIiNSA_11hip_rocprim3tagENSA_11use_defaultESG_EEEEPS6_SJ_NS0_5tupleIJPiSJ_EEENSK_IJSJ_SJ_EEES6_PlJ7is_evenIiEEEE10hipError_tPvRmT3_T4_T5_T6_T7_T9_mT8_P12ihipStream_tbDpT10_ENKUlT_T0_E_clISt17integral_constantIbLb0EES19_IbLb1EEEEDaS15_S16_EUlS15_E_NS1_11comp_targetILNS1_3genE10ELNS1_11target_archE1200ELNS1_3gpuE4ELNS1_3repE0EEENS1_30default_config_static_selectorELNS0_4arch9wavefront6targetE1EEEvT1_
; %bb.0:
	.section	.rodata,"a",@progbits
	.p2align	6, 0x0
	.amdhsa_kernel _ZN7rocprim17ROCPRIM_400000_NS6detail17trampoline_kernelINS0_14default_configENS1_25partition_config_selectorILNS1_17partition_subalgoE3EiNS0_10empty_typeEbEEZZNS1_14partition_implILS5_3ELb0ES3_jN6thrust23THRUST_200600_302600_NS6detail15normal_iteratorINSA_7pointerIiNSA_11hip_rocprim3tagENSA_11use_defaultESG_EEEEPS6_SJ_NS0_5tupleIJPiSJ_EEENSK_IJSJ_SJ_EEES6_PlJ7is_evenIiEEEE10hipError_tPvRmT3_T4_T5_T6_T7_T9_mT8_P12ihipStream_tbDpT10_ENKUlT_T0_E_clISt17integral_constantIbLb0EES19_IbLb1EEEEDaS15_S16_EUlS15_E_NS1_11comp_targetILNS1_3genE10ELNS1_11target_archE1200ELNS1_3gpuE4ELNS1_3repE0EEENS1_30default_config_static_selectorELNS0_4arch9wavefront6targetE1EEEvT1_
		.amdhsa_group_segment_fixed_size 0
		.amdhsa_private_segment_fixed_size 0
		.amdhsa_kernarg_size 136
		.amdhsa_user_sgpr_count 6
		.amdhsa_user_sgpr_private_segment_buffer 1
		.amdhsa_user_sgpr_dispatch_ptr 0
		.amdhsa_user_sgpr_queue_ptr 0
		.amdhsa_user_sgpr_kernarg_segment_ptr 1
		.amdhsa_user_sgpr_dispatch_id 0
		.amdhsa_user_sgpr_flat_scratch_init 0
		.amdhsa_user_sgpr_kernarg_preload_length 0
		.amdhsa_user_sgpr_kernarg_preload_offset 0
		.amdhsa_user_sgpr_private_segment_size 0
		.amdhsa_uses_dynamic_stack 0
		.amdhsa_system_sgpr_private_segment_wavefront_offset 0
		.amdhsa_system_sgpr_workgroup_id_x 1
		.amdhsa_system_sgpr_workgroup_id_y 0
		.amdhsa_system_sgpr_workgroup_id_z 0
		.amdhsa_system_sgpr_workgroup_info 0
		.amdhsa_system_vgpr_workitem_id 0
		.amdhsa_next_free_vgpr 1
		.amdhsa_next_free_sgpr 0
		.amdhsa_accum_offset 4
		.amdhsa_reserve_vcc 0
		.amdhsa_reserve_flat_scratch 0
		.amdhsa_float_round_mode_32 0
		.amdhsa_float_round_mode_16_64 0
		.amdhsa_float_denorm_mode_32 3
		.amdhsa_float_denorm_mode_16_64 3
		.amdhsa_dx10_clamp 1
		.amdhsa_ieee_mode 1
		.amdhsa_fp16_overflow 0
		.amdhsa_tg_split 0
		.amdhsa_exception_fp_ieee_invalid_op 0
		.amdhsa_exception_fp_denorm_src 0
		.amdhsa_exception_fp_ieee_div_zero 0
		.amdhsa_exception_fp_ieee_overflow 0
		.amdhsa_exception_fp_ieee_underflow 0
		.amdhsa_exception_fp_ieee_inexact 0
		.amdhsa_exception_int_div_zero 0
	.end_amdhsa_kernel
	.section	.text._ZN7rocprim17ROCPRIM_400000_NS6detail17trampoline_kernelINS0_14default_configENS1_25partition_config_selectorILNS1_17partition_subalgoE3EiNS0_10empty_typeEbEEZZNS1_14partition_implILS5_3ELb0ES3_jN6thrust23THRUST_200600_302600_NS6detail15normal_iteratorINSA_7pointerIiNSA_11hip_rocprim3tagENSA_11use_defaultESG_EEEEPS6_SJ_NS0_5tupleIJPiSJ_EEENSK_IJSJ_SJ_EEES6_PlJ7is_evenIiEEEE10hipError_tPvRmT3_T4_T5_T6_T7_T9_mT8_P12ihipStream_tbDpT10_ENKUlT_T0_E_clISt17integral_constantIbLb0EES19_IbLb1EEEEDaS15_S16_EUlS15_E_NS1_11comp_targetILNS1_3genE10ELNS1_11target_archE1200ELNS1_3gpuE4ELNS1_3repE0EEENS1_30default_config_static_selectorELNS0_4arch9wavefront6targetE1EEEvT1_,"axG",@progbits,_ZN7rocprim17ROCPRIM_400000_NS6detail17trampoline_kernelINS0_14default_configENS1_25partition_config_selectorILNS1_17partition_subalgoE3EiNS0_10empty_typeEbEEZZNS1_14partition_implILS5_3ELb0ES3_jN6thrust23THRUST_200600_302600_NS6detail15normal_iteratorINSA_7pointerIiNSA_11hip_rocprim3tagENSA_11use_defaultESG_EEEEPS6_SJ_NS0_5tupleIJPiSJ_EEENSK_IJSJ_SJ_EEES6_PlJ7is_evenIiEEEE10hipError_tPvRmT3_T4_T5_T6_T7_T9_mT8_P12ihipStream_tbDpT10_ENKUlT_T0_E_clISt17integral_constantIbLb0EES19_IbLb1EEEEDaS15_S16_EUlS15_E_NS1_11comp_targetILNS1_3genE10ELNS1_11target_archE1200ELNS1_3gpuE4ELNS1_3repE0EEENS1_30default_config_static_selectorELNS0_4arch9wavefront6targetE1EEEvT1_,comdat
.Lfunc_end117:
	.size	_ZN7rocprim17ROCPRIM_400000_NS6detail17trampoline_kernelINS0_14default_configENS1_25partition_config_selectorILNS1_17partition_subalgoE3EiNS0_10empty_typeEbEEZZNS1_14partition_implILS5_3ELb0ES3_jN6thrust23THRUST_200600_302600_NS6detail15normal_iteratorINSA_7pointerIiNSA_11hip_rocprim3tagENSA_11use_defaultESG_EEEEPS6_SJ_NS0_5tupleIJPiSJ_EEENSK_IJSJ_SJ_EEES6_PlJ7is_evenIiEEEE10hipError_tPvRmT3_T4_T5_T6_T7_T9_mT8_P12ihipStream_tbDpT10_ENKUlT_T0_E_clISt17integral_constantIbLb0EES19_IbLb1EEEEDaS15_S16_EUlS15_E_NS1_11comp_targetILNS1_3genE10ELNS1_11target_archE1200ELNS1_3gpuE4ELNS1_3repE0EEENS1_30default_config_static_selectorELNS0_4arch9wavefront6targetE1EEEvT1_, .Lfunc_end117-_ZN7rocprim17ROCPRIM_400000_NS6detail17trampoline_kernelINS0_14default_configENS1_25partition_config_selectorILNS1_17partition_subalgoE3EiNS0_10empty_typeEbEEZZNS1_14partition_implILS5_3ELb0ES3_jN6thrust23THRUST_200600_302600_NS6detail15normal_iteratorINSA_7pointerIiNSA_11hip_rocprim3tagENSA_11use_defaultESG_EEEEPS6_SJ_NS0_5tupleIJPiSJ_EEENSK_IJSJ_SJ_EEES6_PlJ7is_evenIiEEEE10hipError_tPvRmT3_T4_T5_T6_T7_T9_mT8_P12ihipStream_tbDpT10_ENKUlT_T0_E_clISt17integral_constantIbLb0EES19_IbLb1EEEEDaS15_S16_EUlS15_E_NS1_11comp_targetILNS1_3genE10ELNS1_11target_archE1200ELNS1_3gpuE4ELNS1_3repE0EEENS1_30default_config_static_selectorELNS0_4arch9wavefront6targetE1EEEvT1_
                                        ; -- End function
	.section	.AMDGPU.csdata,"",@progbits
; Kernel info:
; codeLenInByte = 0
; NumSgprs: 4
; NumVgprs: 0
; NumAgprs: 0
; TotalNumVgprs: 0
; ScratchSize: 0
; MemoryBound: 0
; FloatMode: 240
; IeeeMode: 1
; LDSByteSize: 0 bytes/workgroup (compile time only)
; SGPRBlocks: 0
; VGPRBlocks: 0
; NumSGPRsForWavesPerEU: 4
; NumVGPRsForWavesPerEU: 1
; AccumOffset: 4
; Occupancy: 8
; WaveLimiterHint : 0
; COMPUTE_PGM_RSRC2:SCRATCH_EN: 0
; COMPUTE_PGM_RSRC2:USER_SGPR: 6
; COMPUTE_PGM_RSRC2:TRAP_HANDLER: 0
; COMPUTE_PGM_RSRC2:TGID_X_EN: 1
; COMPUTE_PGM_RSRC2:TGID_Y_EN: 0
; COMPUTE_PGM_RSRC2:TGID_Z_EN: 0
; COMPUTE_PGM_RSRC2:TIDIG_COMP_CNT: 0
; COMPUTE_PGM_RSRC3_GFX90A:ACCUM_OFFSET: 0
; COMPUTE_PGM_RSRC3_GFX90A:TG_SPLIT: 0
	.section	.text._ZN7rocprim17ROCPRIM_400000_NS6detail17trampoline_kernelINS0_14default_configENS1_25partition_config_selectorILNS1_17partition_subalgoE3EiNS0_10empty_typeEbEEZZNS1_14partition_implILS5_3ELb0ES3_jN6thrust23THRUST_200600_302600_NS6detail15normal_iteratorINSA_7pointerIiNSA_11hip_rocprim3tagENSA_11use_defaultESG_EEEEPS6_SJ_NS0_5tupleIJPiSJ_EEENSK_IJSJ_SJ_EEES6_PlJ7is_evenIiEEEE10hipError_tPvRmT3_T4_T5_T6_T7_T9_mT8_P12ihipStream_tbDpT10_ENKUlT_T0_E_clISt17integral_constantIbLb0EES19_IbLb1EEEEDaS15_S16_EUlS15_E_NS1_11comp_targetILNS1_3genE9ELNS1_11target_archE1100ELNS1_3gpuE3ELNS1_3repE0EEENS1_30default_config_static_selectorELNS0_4arch9wavefront6targetE1EEEvT1_,"axG",@progbits,_ZN7rocprim17ROCPRIM_400000_NS6detail17trampoline_kernelINS0_14default_configENS1_25partition_config_selectorILNS1_17partition_subalgoE3EiNS0_10empty_typeEbEEZZNS1_14partition_implILS5_3ELb0ES3_jN6thrust23THRUST_200600_302600_NS6detail15normal_iteratorINSA_7pointerIiNSA_11hip_rocprim3tagENSA_11use_defaultESG_EEEEPS6_SJ_NS0_5tupleIJPiSJ_EEENSK_IJSJ_SJ_EEES6_PlJ7is_evenIiEEEE10hipError_tPvRmT3_T4_T5_T6_T7_T9_mT8_P12ihipStream_tbDpT10_ENKUlT_T0_E_clISt17integral_constantIbLb0EES19_IbLb1EEEEDaS15_S16_EUlS15_E_NS1_11comp_targetILNS1_3genE9ELNS1_11target_archE1100ELNS1_3gpuE3ELNS1_3repE0EEENS1_30default_config_static_selectorELNS0_4arch9wavefront6targetE1EEEvT1_,comdat
	.protected	_ZN7rocprim17ROCPRIM_400000_NS6detail17trampoline_kernelINS0_14default_configENS1_25partition_config_selectorILNS1_17partition_subalgoE3EiNS0_10empty_typeEbEEZZNS1_14partition_implILS5_3ELb0ES3_jN6thrust23THRUST_200600_302600_NS6detail15normal_iteratorINSA_7pointerIiNSA_11hip_rocprim3tagENSA_11use_defaultESG_EEEEPS6_SJ_NS0_5tupleIJPiSJ_EEENSK_IJSJ_SJ_EEES6_PlJ7is_evenIiEEEE10hipError_tPvRmT3_T4_T5_T6_T7_T9_mT8_P12ihipStream_tbDpT10_ENKUlT_T0_E_clISt17integral_constantIbLb0EES19_IbLb1EEEEDaS15_S16_EUlS15_E_NS1_11comp_targetILNS1_3genE9ELNS1_11target_archE1100ELNS1_3gpuE3ELNS1_3repE0EEENS1_30default_config_static_selectorELNS0_4arch9wavefront6targetE1EEEvT1_ ; -- Begin function _ZN7rocprim17ROCPRIM_400000_NS6detail17trampoline_kernelINS0_14default_configENS1_25partition_config_selectorILNS1_17partition_subalgoE3EiNS0_10empty_typeEbEEZZNS1_14partition_implILS5_3ELb0ES3_jN6thrust23THRUST_200600_302600_NS6detail15normal_iteratorINSA_7pointerIiNSA_11hip_rocprim3tagENSA_11use_defaultESG_EEEEPS6_SJ_NS0_5tupleIJPiSJ_EEENSK_IJSJ_SJ_EEES6_PlJ7is_evenIiEEEE10hipError_tPvRmT3_T4_T5_T6_T7_T9_mT8_P12ihipStream_tbDpT10_ENKUlT_T0_E_clISt17integral_constantIbLb0EES19_IbLb1EEEEDaS15_S16_EUlS15_E_NS1_11comp_targetILNS1_3genE9ELNS1_11target_archE1100ELNS1_3gpuE3ELNS1_3repE0EEENS1_30default_config_static_selectorELNS0_4arch9wavefront6targetE1EEEvT1_
	.globl	_ZN7rocprim17ROCPRIM_400000_NS6detail17trampoline_kernelINS0_14default_configENS1_25partition_config_selectorILNS1_17partition_subalgoE3EiNS0_10empty_typeEbEEZZNS1_14partition_implILS5_3ELb0ES3_jN6thrust23THRUST_200600_302600_NS6detail15normal_iteratorINSA_7pointerIiNSA_11hip_rocprim3tagENSA_11use_defaultESG_EEEEPS6_SJ_NS0_5tupleIJPiSJ_EEENSK_IJSJ_SJ_EEES6_PlJ7is_evenIiEEEE10hipError_tPvRmT3_T4_T5_T6_T7_T9_mT8_P12ihipStream_tbDpT10_ENKUlT_T0_E_clISt17integral_constantIbLb0EES19_IbLb1EEEEDaS15_S16_EUlS15_E_NS1_11comp_targetILNS1_3genE9ELNS1_11target_archE1100ELNS1_3gpuE3ELNS1_3repE0EEENS1_30default_config_static_selectorELNS0_4arch9wavefront6targetE1EEEvT1_
	.p2align	8
	.type	_ZN7rocprim17ROCPRIM_400000_NS6detail17trampoline_kernelINS0_14default_configENS1_25partition_config_selectorILNS1_17partition_subalgoE3EiNS0_10empty_typeEbEEZZNS1_14partition_implILS5_3ELb0ES3_jN6thrust23THRUST_200600_302600_NS6detail15normal_iteratorINSA_7pointerIiNSA_11hip_rocprim3tagENSA_11use_defaultESG_EEEEPS6_SJ_NS0_5tupleIJPiSJ_EEENSK_IJSJ_SJ_EEES6_PlJ7is_evenIiEEEE10hipError_tPvRmT3_T4_T5_T6_T7_T9_mT8_P12ihipStream_tbDpT10_ENKUlT_T0_E_clISt17integral_constantIbLb0EES19_IbLb1EEEEDaS15_S16_EUlS15_E_NS1_11comp_targetILNS1_3genE9ELNS1_11target_archE1100ELNS1_3gpuE3ELNS1_3repE0EEENS1_30default_config_static_selectorELNS0_4arch9wavefront6targetE1EEEvT1_,@function
_ZN7rocprim17ROCPRIM_400000_NS6detail17trampoline_kernelINS0_14default_configENS1_25partition_config_selectorILNS1_17partition_subalgoE3EiNS0_10empty_typeEbEEZZNS1_14partition_implILS5_3ELb0ES3_jN6thrust23THRUST_200600_302600_NS6detail15normal_iteratorINSA_7pointerIiNSA_11hip_rocprim3tagENSA_11use_defaultESG_EEEEPS6_SJ_NS0_5tupleIJPiSJ_EEENSK_IJSJ_SJ_EEES6_PlJ7is_evenIiEEEE10hipError_tPvRmT3_T4_T5_T6_T7_T9_mT8_P12ihipStream_tbDpT10_ENKUlT_T0_E_clISt17integral_constantIbLb0EES19_IbLb1EEEEDaS15_S16_EUlS15_E_NS1_11comp_targetILNS1_3genE9ELNS1_11target_archE1100ELNS1_3gpuE3ELNS1_3repE0EEENS1_30default_config_static_selectorELNS0_4arch9wavefront6targetE1EEEvT1_: ; @_ZN7rocprim17ROCPRIM_400000_NS6detail17trampoline_kernelINS0_14default_configENS1_25partition_config_selectorILNS1_17partition_subalgoE3EiNS0_10empty_typeEbEEZZNS1_14partition_implILS5_3ELb0ES3_jN6thrust23THRUST_200600_302600_NS6detail15normal_iteratorINSA_7pointerIiNSA_11hip_rocprim3tagENSA_11use_defaultESG_EEEEPS6_SJ_NS0_5tupleIJPiSJ_EEENSK_IJSJ_SJ_EEES6_PlJ7is_evenIiEEEE10hipError_tPvRmT3_T4_T5_T6_T7_T9_mT8_P12ihipStream_tbDpT10_ENKUlT_T0_E_clISt17integral_constantIbLb0EES19_IbLb1EEEEDaS15_S16_EUlS15_E_NS1_11comp_targetILNS1_3genE9ELNS1_11target_archE1100ELNS1_3gpuE3ELNS1_3repE0EEENS1_30default_config_static_selectorELNS0_4arch9wavefront6targetE1EEEvT1_
; %bb.0:
	.section	.rodata,"a",@progbits
	.p2align	6, 0x0
	.amdhsa_kernel _ZN7rocprim17ROCPRIM_400000_NS6detail17trampoline_kernelINS0_14default_configENS1_25partition_config_selectorILNS1_17partition_subalgoE3EiNS0_10empty_typeEbEEZZNS1_14partition_implILS5_3ELb0ES3_jN6thrust23THRUST_200600_302600_NS6detail15normal_iteratorINSA_7pointerIiNSA_11hip_rocprim3tagENSA_11use_defaultESG_EEEEPS6_SJ_NS0_5tupleIJPiSJ_EEENSK_IJSJ_SJ_EEES6_PlJ7is_evenIiEEEE10hipError_tPvRmT3_T4_T5_T6_T7_T9_mT8_P12ihipStream_tbDpT10_ENKUlT_T0_E_clISt17integral_constantIbLb0EES19_IbLb1EEEEDaS15_S16_EUlS15_E_NS1_11comp_targetILNS1_3genE9ELNS1_11target_archE1100ELNS1_3gpuE3ELNS1_3repE0EEENS1_30default_config_static_selectorELNS0_4arch9wavefront6targetE1EEEvT1_
		.amdhsa_group_segment_fixed_size 0
		.amdhsa_private_segment_fixed_size 0
		.amdhsa_kernarg_size 136
		.amdhsa_user_sgpr_count 6
		.amdhsa_user_sgpr_private_segment_buffer 1
		.amdhsa_user_sgpr_dispatch_ptr 0
		.amdhsa_user_sgpr_queue_ptr 0
		.amdhsa_user_sgpr_kernarg_segment_ptr 1
		.amdhsa_user_sgpr_dispatch_id 0
		.amdhsa_user_sgpr_flat_scratch_init 0
		.amdhsa_user_sgpr_kernarg_preload_length 0
		.amdhsa_user_sgpr_kernarg_preload_offset 0
		.amdhsa_user_sgpr_private_segment_size 0
		.amdhsa_uses_dynamic_stack 0
		.amdhsa_system_sgpr_private_segment_wavefront_offset 0
		.amdhsa_system_sgpr_workgroup_id_x 1
		.amdhsa_system_sgpr_workgroup_id_y 0
		.amdhsa_system_sgpr_workgroup_id_z 0
		.amdhsa_system_sgpr_workgroup_info 0
		.amdhsa_system_vgpr_workitem_id 0
		.amdhsa_next_free_vgpr 1
		.amdhsa_next_free_sgpr 0
		.amdhsa_accum_offset 4
		.amdhsa_reserve_vcc 0
		.amdhsa_reserve_flat_scratch 0
		.amdhsa_float_round_mode_32 0
		.amdhsa_float_round_mode_16_64 0
		.amdhsa_float_denorm_mode_32 3
		.amdhsa_float_denorm_mode_16_64 3
		.amdhsa_dx10_clamp 1
		.amdhsa_ieee_mode 1
		.amdhsa_fp16_overflow 0
		.amdhsa_tg_split 0
		.amdhsa_exception_fp_ieee_invalid_op 0
		.amdhsa_exception_fp_denorm_src 0
		.amdhsa_exception_fp_ieee_div_zero 0
		.amdhsa_exception_fp_ieee_overflow 0
		.amdhsa_exception_fp_ieee_underflow 0
		.amdhsa_exception_fp_ieee_inexact 0
		.amdhsa_exception_int_div_zero 0
	.end_amdhsa_kernel
	.section	.text._ZN7rocprim17ROCPRIM_400000_NS6detail17trampoline_kernelINS0_14default_configENS1_25partition_config_selectorILNS1_17partition_subalgoE3EiNS0_10empty_typeEbEEZZNS1_14partition_implILS5_3ELb0ES3_jN6thrust23THRUST_200600_302600_NS6detail15normal_iteratorINSA_7pointerIiNSA_11hip_rocprim3tagENSA_11use_defaultESG_EEEEPS6_SJ_NS0_5tupleIJPiSJ_EEENSK_IJSJ_SJ_EEES6_PlJ7is_evenIiEEEE10hipError_tPvRmT3_T4_T5_T6_T7_T9_mT8_P12ihipStream_tbDpT10_ENKUlT_T0_E_clISt17integral_constantIbLb0EES19_IbLb1EEEEDaS15_S16_EUlS15_E_NS1_11comp_targetILNS1_3genE9ELNS1_11target_archE1100ELNS1_3gpuE3ELNS1_3repE0EEENS1_30default_config_static_selectorELNS0_4arch9wavefront6targetE1EEEvT1_,"axG",@progbits,_ZN7rocprim17ROCPRIM_400000_NS6detail17trampoline_kernelINS0_14default_configENS1_25partition_config_selectorILNS1_17partition_subalgoE3EiNS0_10empty_typeEbEEZZNS1_14partition_implILS5_3ELb0ES3_jN6thrust23THRUST_200600_302600_NS6detail15normal_iteratorINSA_7pointerIiNSA_11hip_rocprim3tagENSA_11use_defaultESG_EEEEPS6_SJ_NS0_5tupleIJPiSJ_EEENSK_IJSJ_SJ_EEES6_PlJ7is_evenIiEEEE10hipError_tPvRmT3_T4_T5_T6_T7_T9_mT8_P12ihipStream_tbDpT10_ENKUlT_T0_E_clISt17integral_constantIbLb0EES19_IbLb1EEEEDaS15_S16_EUlS15_E_NS1_11comp_targetILNS1_3genE9ELNS1_11target_archE1100ELNS1_3gpuE3ELNS1_3repE0EEENS1_30default_config_static_selectorELNS0_4arch9wavefront6targetE1EEEvT1_,comdat
.Lfunc_end118:
	.size	_ZN7rocprim17ROCPRIM_400000_NS6detail17trampoline_kernelINS0_14default_configENS1_25partition_config_selectorILNS1_17partition_subalgoE3EiNS0_10empty_typeEbEEZZNS1_14partition_implILS5_3ELb0ES3_jN6thrust23THRUST_200600_302600_NS6detail15normal_iteratorINSA_7pointerIiNSA_11hip_rocprim3tagENSA_11use_defaultESG_EEEEPS6_SJ_NS0_5tupleIJPiSJ_EEENSK_IJSJ_SJ_EEES6_PlJ7is_evenIiEEEE10hipError_tPvRmT3_T4_T5_T6_T7_T9_mT8_P12ihipStream_tbDpT10_ENKUlT_T0_E_clISt17integral_constantIbLb0EES19_IbLb1EEEEDaS15_S16_EUlS15_E_NS1_11comp_targetILNS1_3genE9ELNS1_11target_archE1100ELNS1_3gpuE3ELNS1_3repE0EEENS1_30default_config_static_selectorELNS0_4arch9wavefront6targetE1EEEvT1_, .Lfunc_end118-_ZN7rocprim17ROCPRIM_400000_NS6detail17trampoline_kernelINS0_14default_configENS1_25partition_config_selectorILNS1_17partition_subalgoE3EiNS0_10empty_typeEbEEZZNS1_14partition_implILS5_3ELb0ES3_jN6thrust23THRUST_200600_302600_NS6detail15normal_iteratorINSA_7pointerIiNSA_11hip_rocprim3tagENSA_11use_defaultESG_EEEEPS6_SJ_NS0_5tupleIJPiSJ_EEENSK_IJSJ_SJ_EEES6_PlJ7is_evenIiEEEE10hipError_tPvRmT3_T4_T5_T6_T7_T9_mT8_P12ihipStream_tbDpT10_ENKUlT_T0_E_clISt17integral_constantIbLb0EES19_IbLb1EEEEDaS15_S16_EUlS15_E_NS1_11comp_targetILNS1_3genE9ELNS1_11target_archE1100ELNS1_3gpuE3ELNS1_3repE0EEENS1_30default_config_static_selectorELNS0_4arch9wavefront6targetE1EEEvT1_
                                        ; -- End function
	.section	.AMDGPU.csdata,"",@progbits
; Kernel info:
; codeLenInByte = 0
; NumSgprs: 4
; NumVgprs: 0
; NumAgprs: 0
; TotalNumVgprs: 0
; ScratchSize: 0
; MemoryBound: 0
; FloatMode: 240
; IeeeMode: 1
; LDSByteSize: 0 bytes/workgroup (compile time only)
; SGPRBlocks: 0
; VGPRBlocks: 0
; NumSGPRsForWavesPerEU: 4
; NumVGPRsForWavesPerEU: 1
; AccumOffset: 4
; Occupancy: 8
; WaveLimiterHint : 0
; COMPUTE_PGM_RSRC2:SCRATCH_EN: 0
; COMPUTE_PGM_RSRC2:USER_SGPR: 6
; COMPUTE_PGM_RSRC2:TRAP_HANDLER: 0
; COMPUTE_PGM_RSRC2:TGID_X_EN: 1
; COMPUTE_PGM_RSRC2:TGID_Y_EN: 0
; COMPUTE_PGM_RSRC2:TGID_Z_EN: 0
; COMPUTE_PGM_RSRC2:TIDIG_COMP_CNT: 0
; COMPUTE_PGM_RSRC3_GFX90A:ACCUM_OFFSET: 0
; COMPUTE_PGM_RSRC3_GFX90A:TG_SPLIT: 0
	.section	.text._ZN7rocprim17ROCPRIM_400000_NS6detail17trampoline_kernelINS0_14default_configENS1_25partition_config_selectorILNS1_17partition_subalgoE3EiNS0_10empty_typeEbEEZZNS1_14partition_implILS5_3ELb0ES3_jN6thrust23THRUST_200600_302600_NS6detail15normal_iteratorINSA_7pointerIiNSA_11hip_rocprim3tagENSA_11use_defaultESG_EEEEPS6_SJ_NS0_5tupleIJPiSJ_EEENSK_IJSJ_SJ_EEES6_PlJ7is_evenIiEEEE10hipError_tPvRmT3_T4_T5_T6_T7_T9_mT8_P12ihipStream_tbDpT10_ENKUlT_T0_E_clISt17integral_constantIbLb0EES19_IbLb1EEEEDaS15_S16_EUlS15_E_NS1_11comp_targetILNS1_3genE8ELNS1_11target_archE1030ELNS1_3gpuE2ELNS1_3repE0EEENS1_30default_config_static_selectorELNS0_4arch9wavefront6targetE1EEEvT1_,"axG",@progbits,_ZN7rocprim17ROCPRIM_400000_NS6detail17trampoline_kernelINS0_14default_configENS1_25partition_config_selectorILNS1_17partition_subalgoE3EiNS0_10empty_typeEbEEZZNS1_14partition_implILS5_3ELb0ES3_jN6thrust23THRUST_200600_302600_NS6detail15normal_iteratorINSA_7pointerIiNSA_11hip_rocprim3tagENSA_11use_defaultESG_EEEEPS6_SJ_NS0_5tupleIJPiSJ_EEENSK_IJSJ_SJ_EEES6_PlJ7is_evenIiEEEE10hipError_tPvRmT3_T4_T5_T6_T7_T9_mT8_P12ihipStream_tbDpT10_ENKUlT_T0_E_clISt17integral_constantIbLb0EES19_IbLb1EEEEDaS15_S16_EUlS15_E_NS1_11comp_targetILNS1_3genE8ELNS1_11target_archE1030ELNS1_3gpuE2ELNS1_3repE0EEENS1_30default_config_static_selectorELNS0_4arch9wavefront6targetE1EEEvT1_,comdat
	.protected	_ZN7rocprim17ROCPRIM_400000_NS6detail17trampoline_kernelINS0_14default_configENS1_25partition_config_selectorILNS1_17partition_subalgoE3EiNS0_10empty_typeEbEEZZNS1_14partition_implILS5_3ELb0ES3_jN6thrust23THRUST_200600_302600_NS6detail15normal_iteratorINSA_7pointerIiNSA_11hip_rocprim3tagENSA_11use_defaultESG_EEEEPS6_SJ_NS0_5tupleIJPiSJ_EEENSK_IJSJ_SJ_EEES6_PlJ7is_evenIiEEEE10hipError_tPvRmT3_T4_T5_T6_T7_T9_mT8_P12ihipStream_tbDpT10_ENKUlT_T0_E_clISt17integral_constantIbLb0EES19_IbLb1EEEEDaS15_S16_EUlS15_E_NS1_11comp_targetILNS1_3genE8ELNS1_11target_archE1030ELNS1_3gpuE2ELNS1_3repE0EEENS1_30default_config_static_selectorELNS0_4arch9wavefront6targetE1EEEvT1_ ; -- Begin function _ZN7rocprim17ROCPRIM_400000_NS6detail17trampoline_kernelINS0_14default_configENS1_25partition_config_selectorILNS1_17partition_subalgoE3EiNS0_10empty_typeEbEEZZNS1_14partition_implILS5_3ELb0ES3_jN6thrust23THRUST_200600_302600_NS6detail15normal_iteratorINSA_7pointerIiNSA_11hip_rocprim3tagENSA_11use_defaultESG_EEEEPS6_SJ_NS0_5tupleIJPiSJ_EEENSK_IJSJ_SJ_EEES6_PlJ7is_evenIiEEEE10hipError_tPvRmT3_T4_T5_T6_T7_T9_mT8_P12ihipStream_tbDpT10_ENKUlT_T0_E_clISt17integral_constantIbLb0EES19_IbLb1EEEEDaS15_S16_EUlS15_E_NS1_11comp_targetILNS1_3genE8ELNS1_11target_archE1030ELNS1_3gpuE2ELNS1_3repE0EEENS1_30default_config_static_selectorELNS0_4arch9wavefront6targetE1EEEvT1_
	.globl	_ZN7rocprim17ROCPRIM_400000_NS6detail17trampoline_kernelINS0_14default_configENS1_25partition_config_selectorILNS1_17partition_subalgoE3EiNS0_10empty_typeEbEEZZNS1_14partition_implILS5_3ELb0ES3_jN6thrust23THRUST_200600_302600_NS6detail15normal_iteratorINSA_7pointerIiNSA_11hip_rocprim3tagENSA_11use_defaultESG_EEEEPS6_SJ_NS0_5tupleIJPiSJ_EEENSK_IJSJ_SJ_EEES6_PlJ7is_evenIiEEEE10hipError_tPvRmT3_T4_T5_T6_T7_T9_mT8_P12ihipStream_tbDpT10_ENKUlT_T0_E_clISt17integral_constantIbLb0EES19_IbLb1EEEEDaS15_S16_EUlS15_E_NS1_11comp_targetILNS1_3genE8ELNS1_11target_archE1030ELNS1_3gpuE2ELNS1_3repE0EEENS1_30default_config_static_selectorELNS0_4arch9wavefront6targetE1EEEvT1_
	.p2align	8
	.type	_ZN7rocprim17ROCPRIM_400000_NS6detail17trampoline_kernelINS0_14default_configENS1_25partition_config_selectorILNS1_17partition_subalgoE3EiNS0_10empty_typeEbEEZZNS1_14partition_implILS5_3ELb0ES3_jN6thrust23THRUST_200600_302600_NS6detail15normal_iteratorINSA_7pointerIiNSA_11hip_rocprim3tagENSA_11use_defaultESG_EEEEPS6_SJ_NS0_5tupleIJPiSJ_EEENSK_IJSJ_SJ_EEES6_PlJ7is_evenIiEEEE10hipError_tPvRmT3_T4_T5_T6_T7_T9_mT8_P12ihipStream_tbDpT10_ENKUlT_T0_E_clISt17integral_constantIbLb0EES19_IbLb1EEEEDaS15_S16_EUlS15_E_NS1_11comp_targetILNS1_3genE8ELNS1_11target_archE1030ELNS1_3gpuE2ELNS1_3repE0EEENS1_30default_config_static_selectorELNS0_4arch9wavefront6targetE1EEEvT1_,@function
_ZN7rocprim17ROCPRIM_400000_NS6detail17trampoline_kernelINS0_14default_configENS1_25partition_config_selectorILNS1_17partition_subalgoE3EiNS0_10empty_typeEbEEZZNS1_14partition_implILS5_3ELb0ES3_jN6thrust23THRUST_200600_302600_NS6detail15normal_iteratorINSA_7pointerIiNSA_11hip_rocprim3tagENSA_11use_defaultESG_EEEEPS6_SJ_NS0_5tupleIJPiSJ_EEENSK_IJSJ_SJ_EEES6_PlJ7is_evenIiEEEE10hipError_tPvRmT3_T4_T5_T6_T7_T9_mT8_P12ihipStream_tbDpT10_ENKUlT_T0_E_clISt17integral_constantIbLb0EES19_IbLb1EEEEDaS15_S16_EUlS15_E_NS1_11comp_targetILNS1_3genE8ELNS1_11target_archE1030ELNS1_3gpuE2ELNS1_3repE0EEENS1_30default_config_static_selectorELNS0_4arch9wavefront6targetE1EEEvT1_: ; @_ZN7rocprim17ROCPRIM_400000_NS6detail17trampoline_kernelINS0_14default_configENS1_25partition_config_selectorILNS1_17partition_subalgoE3EiNS0_10empty_typeEbEEZZNS1_14partition_implILS5_3ELb0ES3_jN6thrust23THRUST_200600_302600_NS6detail15normal_iteratorINSA_7pointerIiNSA_11hip_rocprim3tagENSA_11use_defaultESG_EEEEPS6_SJ_NS0_5tupleIJPiSJ_EEENSK_IJSJ_SJ_EEES6_PlJ7is_evenIiEEEE10hipError_tPvRmT3_T4_T5_T6_T7_T9_mT8_P12ihipStream_tbDpT10_ENKUlT_T0_E_clISt17integral_constantIbLb0EES19_IbLb1EEEEDaS15_S16_EUlS15_E_NS1_11comp_targetILNS1_3genE8ELNS1_11target_archE1030ELNS1_3gpuE2ELNS1_3repE0EEENS1_30default_config_static_selectorELNS0_4arch9wavefront6targetE1EEEvT1_
; %bb.0:
	.section	.rodata,"a",@progbits
	.p2align	6, 0x0
	.amdhsa_kernel _ZN7rocprim17ROCPRIM_400000_NS6detail17trampoline_kernelINS0_14default_configENS1_25partition_config_selectorILNS1_17partition_subalgoE3EiNS0_10empty_typeEbEEZZNS1_14partition_implILS5_3ELb0ES3_jN6thrust23THRUST_200600_302600_NS6detail15normal_iteratorINSA_7pointerIiNSA_11hip_rocprim3tagENSA_11use_defaultESG_EEEEPS6_SJ_NS0_5tupleIJPiSJ_EEENSK_IJSJ_SJ_EEES6_PlJ7is_evenIiEEEE10hipError_tPvRmT3_T4_T5_T6_T7_T9_mT8_P12ihipStream_tbDpT10_ENKUlT_T0_E_clISt17integral_constantIbLb0EES19_IbLb1EEEEDaS15_S16_EUlS15_E_NS1_11comp_targetILNS1_3genE8ELNS1_11target_archE1030ELNS1_3gpuE2ELNS1_3repE0EEENS1_30default_config_static_selectorELNS0_4arch9wavefront6targetE1EEEvT1_
		.amdhsa_group_segment_fixed_size 0
		.amdhsa_private_segment_fixed_size 0
		.amdhsa_kernarg_size 136
		.amdhsa_user_sgpr_count 6
		.amdhsa_user_sgpr_private_segment_buffer 1
		.amdhsa_user_sgpr_dispatch_ptr 0
		.amdhsa_user_sgpr_queue_ptr 0
		.amdhsa_user_sgpr_kernarg_segment_ptr 1
		.amdhsa_user_sgpr_dispatch_id 0
		.amdhsa_user_sgpr_flat_scratch_init 0
		.amdhsa_user_sgpr_kernarg_preload_length 0
		.amdhsa_user_sgpr_kernarg_preload_offset 0
		.amdhsa_user_sgpr_private_segment_size 0
		.amdhsa_uses_dynamic_stack 0
		.amdhsa_system_sgpr_private_segment_wavefront_offset 0
		.amdhsa_system_sgpr_workgroup_id_x 1
		.amdhsa_system_sgpr_workgroup_id_y 0
		.amdhsa_system_sgpr_workgroup_id_z 0
		.amdhsa_system_sgpr_workgroup_info 0
		.amdhsa_system_vgpr_workitem_id 0
		.amdhsa_next_free_vgpr 1
		.amdhsa_next_free_sgpr 0
		.amdhsa_accum_offset 4
		.amdhsa_reserve_vcc 0
		.amdhsa_reserve_flat_scratch 0
		.amdhsa_float_round_mode_32 0
		.amdhsa_float_round_mode_16_64 0
		.amdhsa_float_denorm_mode_32 3
		.amdhsa_float_denorm_mode_16_64 3
		.amdhsa_dx10_clamp 1
		.amdhsa_ieee_mode 1
		.amdhsa_fp16_overflow 0
		.amdhsa_tg_split 0
		.amdhsa_exception_fp_ieee_invalid_op 0
		.amdhsa_exception_fp_denorm_src 0
		.amdhsa_exception_fp_ieee_div_zero 0
		.amdhsa_exception_fp_ieee_overflow 0
		.amdhsa_exception_fp_ieee_underflow 0
		.amdhsa_exception_fp_ieee_inexact 0
		.amdhsa_exception_int_div_zero 0
	.end_amdhsa_kernel
	.section	.text._ZN7rocprim17ROCPRIM_400000_NS6detail17trampoline_kernelINS0_14default_configENS1_25partition_config_selectorILNS1_17partition_subalgoE3EiNS0_10empty_typeEbEEZZNS1_14partition_implILS5_3ELb0ES3_jN6thrust23THRUST_200600_302600_NS6detail15normal_iteratorINSA_7pointerIiNSA_11hip_rocprim3tagENSA_11use_defaultESG_EEEEPS6_SJ_NS0_5tupleIJPiSJ_EEENSK_IJSJ_SJ_EEES6_PlJ7is_evenIiEEEE10hipError_tPvRmT3_T4_T5_T6_T7_T9_mT8_P12ihipStream_tbDpT10_ENKUlT_T0_E_clISt17integral_constantIbLb0EES19_IbLb1EEEEDaS15_S16_EUlS15_E_NS1_11comp_targetILNS1_3genE8ELNS1_11target_archE1030ELNS1_3gpuE2ELNS1_3repE0EEENS1_30default_config_static_selectorELNS0_4arch9wavefront6targetE1EEEvT1_,"axG",@progbits,_ZN7rocprim17ROCPRIM_400000_NS6detail17trampoline_kernelINS0_14default_configENS1_25partition_config_selectorILNS1_17partition_subalgoE3EiNS0_10empty_typeEbEEZZNS1_14partition_implILS5_3ELb0ES3_jN6thrust23THRUST_200600_302600_NS6detail15normal_iteratorINSA_7pointerIiNSA_11hip_rocprim3tagENSA_11use_defaultESG_EEEEPS6_SJ_NS0_5tupleIJPiSJ_EEENSK_IJSJ_SJ_EEES6_PlJ7is_evenIiEEEE10hipError_tPvRmT3_T4_T5_T6_T7_T9_mT8_P12ihipStream_tbDpT10_ENKUlT_T0_E_clISt17integral_constantIbLb0EES19_IbLb1EEEEDaS15_S16_EUlS15_E_NS1_11comp_targetILNS1_3genE8ELNS1_11target_archE1030ELNS1_3gpuE2ELNS1_3repE0EEENS1_30default_config_static_selectorELNS0_4arch9wavefront6targetE1EEEvT1_,comdat
.Lfunc_end119:
	.size	_ZN7rocprim17ROCPRIM_400000_NS6detail17trampoline_kernelINS0_14default_configENS1_25partition_config_selectorILNS1_17partition_subalgoE3EiNS0_10empty_typeEbEEZZNS1_14partition_implILS5_3ELb0ES3_jN6thrust23THRUST_200600_302600_NS6detail15normal_iteratorINSA_7pointerIiNSA_11hip_rocprim3tagENSA_11use_defaultESG_EEEEPS6_SJ_NS0_5tupleIJPiSJ_EEENSK_IJSJ_SJ_EEES6_PlJ7is_evenIiEEEE10hipError_tPvRmT3_T4_T5_T6_T7_T9_mT8_P12ihipStream_tbDpT10_ENKUlT_T0_E_clISt17integral_constantIbLb0EES19_IbLb1EEEEDaS15_S16_EUlS15_E_NS1_11comp_targetILNS1_3genE8ELNS1_11target_archE1030ELNS1_3gpuE2ELNS1_3repE0EEENS1_30default_config_static_selectorELNS0_4arch9wavefront6targetE1EEEvT1_, .Lfunc_end119-_ZN7rocprim17ROCPRIM_400000_NS6detail17trampoline_kernelINS0_14default_configENS1_25partition_config_selectorILNS1_17partition_subalgoE3EiNS0_10empty_typeEbEEZZNS1_14partition_implILS5_3ELb0ES3_jN6thrust23THRUST_200600_302600_NS6detail15normal_iteratorINSA_7pointerIiNSA_11hip_rocprim3tagENSA_11use_defaultESG_EEEEPS6_SJ_NS0_5tupleIJPiSJ_EEENSK_IJSJ_SJ_EEES6_PlJ7is_evenIiEEEE10hipError_tPvRmT3_T4_T5_T6_T7_T9_mT8_P12ihipStream_tbDpT10_ENKUlT_T0_E_clISt17integral_constantIbLb0EES19_IbLb1EEEEDaS15_S16_EUlS15_E_NS1_11comp_targetILNS1_3genE8ELNS1_11target_archE1030ELNS1_3gpuE2ELNS1_3repE0EEENS1_30default_config_static_selectorELNS0_4arch9wavefront6targetE1EEEvT1_
                                        ; -- End function
	.section	.AMDGPU.csdata,"",@progbits
; Kernel info:
; codeLenInByte = 0
; NumSgprs: 4
; NumVgprs: 0
; NumAgprs: 0
; TotalNumVgprs: 0
; ScratchSize: 0
; MemoryBound: 0
; FloatMode: 240
; IeeeMode: 1
; LDSByteSize: 0 bytes/workgroup (compile time only)
; SGPRBlocks: 0
; VGPRBlocks: 0
; NumSGPRsForWavesPerEU: 4
; NumVGPRsForWavesPerEU: 1
; AccumOffset: 4
; Occupancy: 8
; WaveLimiterHint : 0
; COMPUTE_PGM_RSRC2:SCRATCH_EN: 0
; COMPUTE_PGM_RSRC2:USER_SGPR: 6
; COMPUTE_PGM_RSRC2:TRAP_HANDLER: 0
; COMPUTE_PGM_RSRC2:TGID_X_EN: 1
; COMPUTE_PGM_RSRC2:TGID_Y_EN: 0
; COMPUTE_PGM_RSRC2:TGID_Z_EN: 0
; COMPUTE_PGM_RSRC2:TIDIG_COMP_CNT: 0
; COMPUTE_PGM_RSRC3_GFX90A:ACCUM_OFFSET: 0
; COMPUTE_PGM_RSRC3_GFX90A:TG_SPLIT: 0
	.section	.text._ZN7rocprim17ROCPRIM_400000_NS6detail17trampoline_kernelINS0_14default_configENS1_22reduce_config_selectorIN6thrust23THRUST_200600_302600_NS5tupleIblNS6_9null_typeES8_S8_S8_S8_S8_S8_S8_EEEEZNS1_11reduce_implILb1ES3_NS6_12zip_iteratorINS7_INS6_11hip_rocprim26transform_input_iterator_tIbNSD_35transform_pair_of_input_iterators_tIbNS6_6detail15normal_iteratorINS6_10device_ptrIKiEEEESL_NS6_8equal_toIiEEEENSG_9not_fun_tINSD_8identityEEEEENSD_19counting_iterator_tIlEES8_S8_S8_S8_S8_S8_S8_S8_EEEEPS9_S9_NSD_9__find_if7functorIS9_EEEE10hipError_tPvRmT1_T2_T3_mT4_P12ihipStream_tbEUlT_E0_NS1_11comp_targetILNS1_3genE0ELNS1_11target_archE4294967295ELNS1_3gpuE0ELNS1_3repE0EEENS1_30default_config_static_selectorELNS0_4arch9wavefront6targetE1EEEvS14_,"axG",@progbits,_ZN7rocprim17ROCPRIM_400000_NS6detail17trampoline_kernelINS0_14default_configENS1_22reduce_config_selectorIN6thrust23THRUST_200600_302600_NS5tupleIblNS6_9null_typeES8_S8_S8_S8_S8_S8_S8_EEEEZNS1_11reduce_implILb1ES3_NS6_12zip_iteratorINS7_INS6_11hip_rocprim26transform_input_iterator_tIbNSD_35transform_pair_of_input_iterators_tIbNS6_6detail15normal_iteratorINS6_10device_ptrIKiEEEESL_NS6_8equal_toIiEEEENSG_9not_fun_tINSD_8identityEEEEENSD_19counting_iterator_tIlEES8_S8_S8_S8_S8_S8_S8_S8_EEEEPS9_S9_NSD_9__find_if7functorIS9_EEEE10hipError_tPvRmT1_T2_T3_mT4_P12ihipStream_tbEUlT_E0_NS1_11comp_targetILNS1_3genE0ELNS1_11target_archE4294967295ELNS1_3gpuE0ELNS1_3repE0EEENS1_30default_config_static_selectorELNS0_4arch9wavefront6targetE1EEEvS14_,comdat
	.protected	_ZN7rocprim17ROCPRIM_400000_NS6detail17trampoline_kernelINS0_14default_configENS1_22reduce_config_selectorIN6thrust23THRUST_200600_302600_NS5tupleIblNS6_9null_typeES8_S8_S8_S8_S8_S8_S8_EEEEZNS1_11reduce_implILb1ES3_NS6_12zip_iteratorINS7_INS6_11hip_rocprim26transform_input_iterator_tIbNSD_35transform_pair_of_input_iterators_tIbNS6_6detail15normal_iteratorINS6_10device_ptrIKiEEEESL_NS6_8equal_toIiEEEENSG_9not_fun_tINSD_8identityEEEEENSD_19counting_iterator_tIlEES8_S8_S8_S8_S8_S8_S8_S8_EEEEPS9_S9_NSD_9__find_if7functorIS9_EEEE10hipError_tPvRmT1_T2_T3_mT4_P12ihipStream_tbEUlT_E0_NS1_11comp_targetILNS1_3genE0ELNS1_11target_archE4294967295ELNS1_3gpuE0ELNS1_3repE0EEENS1_30default_config_static_selectorELNS0_4arch9wavefront6targetE1EEEvS14_ ; -- Begin function _ZN7rocprim17ROCPRIM_400000_NS6detail17trampoline_kernelINS0_14default_configENS1_22reduce_config_selectorIN6thrust23THRUST_200600_302600_NS5tupleIblNS6_9null_typeES8_S8_S8_S8_S8_S8_S8_EEEEZNS1_11reduce_implILb1ES3_NS6_12zip_iteratorINS7_INS6_11hip_rocprim26transform_input_iterator_tIbNSD_35transform_pair_of_input_iterators_tIbNS6_6detail15normal_iteratorINS6_10device_ptrIKiEEEESL_NS6_8equal_toIiEEEENSG_9not_fun_tINSD_8identityEEEEENSD_19counting_iterator_tIlEES8_S8_S8_S8_S8_S8_S8_S8_EEEEPS9_S9_NSD_9__find_if7functorIS9_EEEE10hipError_tPvRmT1_T2_T3_mT4_P12ihipStream_tbEUlT_E0_NS1_11comp_targetILNS1_3genE0ELNS1_11target_archE4294967295ELNS1_3gpuE0ELNS1_3repE0EEENS1_30default_config_static_selectorELNS0_4arch9wavefront6targetE1EEEvS14_
	.globl	_ZN7rocprim17ROCPRIM_400000_NS6detail17trampoline_kernelINS0_14default_configENS1_22reduce_config_selectorIN6thrust23THRUST_200600_302600_NS5tupleIblNS6_9null_typeES8_S8_S8_S8_S8_S8_S8_EEEEZNS1_11reduce_implILb1ES3_NS6_12zip_iteratorINS7_INS6_11hip_rocprim26transform_input_iterator_tIbNSD_35transform_pair_of_input_iterators_tIbNS6_6detail15normal_iteratorINS6_10device_ptrIKiEEEESL_NS6_8equal_toIiEEEENSG_9not_fun_tINSD_8identityEEEEENSD_19counting_iterator_tIlEES8_S8_S8_S8_S8_S8_S8_S8_EEEEPS9_S9_NSD_9__find_if7functorIS9_EEEE10hipError_tPvRmT1_T2_T3_mT4_P12ihipStream_tbEUlT_E0_NS1_11comp_targetILNS1_3genE0ELNS1_11target_archE4294967295ELNS1_3gpuE0ELNS1_3repE0EEENS1_30default_config_static_selectorELNS0_4arch9wavefront6targetE1EEEvS14_
	.p2align	8
	.type	_ZN7rocprim17ROCPRIM_400000_NS6detail17trampoline_kernelINS0_14default_configENS1_22reduce_config_selectorIN6thrust23THRUST_200600_302600_NS5tupleIblNS6_9null_typeES8_S8_S8_S8_S8_S8_S8_EEEEZNS1_11reduce_implILb1ES3_NS6_12zip_iteratorINS7_INS6_11hip_rocprim26transform_input_iterator_tIbNSD_35transform_pair_of_input_iterators_tIbNS6_6detail15normal_iteratorINS6_10device_ptrIKiEEEESL_NS6_8equal_toIiEEEENSG_9not_fun_tINSD_8identityEEEEENSD_19counting_iterator_tIlEES8_S8_S8_S8_S8_S8_S8_S8_EEEEPS9_S9_NSD_9__find_if7functorIS9_EEEE10hipError_tPvRmT1_T2_T3_mT4_P12ihipStream_tbEUlT_E0_NS1_11comp_targetILNS1_3genE0ELNS1_11target_archE4294967295ELNS1_3gpuE0ELNS1_3repE0EEENS1_30default_config_static_selectorELNS0_4arch9wavefront6targetE1EEEvS14_,@function
_ZN7rocprim17ROCPRIM_400000_NS6detail17trampoline_kernelINS0_14default_configENS1_22reduce_config_selectorIN6thrust23THRUST_200600_302600_NS5tupleIblNS6_9null_typeES8_S8_S8_S8_S8_S8_S8_EEEEZNS1_11reduce_implILb1ES3_NS6_12zip_iteratorINS7_INS6_11hip_rocprim26transform_input_iterator_tIbNSD_35transform_pair_of_input_iterators_tIbNS6_6detail15normal_iteratorINS6_10device_ptrIKiEEEESL_NS6_8equal_toIiEEEENSG_9not_fun_tINSD_8identityEEEEENSD_19counting_iterator_tIlEES8_S8_S8_S8_S8_S8_S8_S8_EEEEPS9_S9_NSD_9__find_if7functorIS9_EEEE10hipError_tPvRmT1_T2_T3_mT4_P12ihipStream_tbEUlT_E0_NS1_11comp_targetILNS1_3genE0ELNS1_11target_archE4294967295ELNS1_3gpuE0ELNS1_3repE0EEENS1_30default_config_static_selectorELNS0_4arch9wavefront6targetE1EEEvS14_: ; @_ZN7rocprim17ROCPRIM_400000_NS6detail17trampoline_kernelINS0_14default_configENS1_22reduce_config_selectorIN6thrust23THRUST_200600_302600_NS5tupleIblNS6_9null_typeES8_S8_S8_S8_S8_S8_S8_EEEEZNS1_11reduce_implILb1ES3_NS6_12zip_iteratorINS7_INS6_11hip_rocprim26transform_input_iterator_tIbNSD_35transform_pair_of_input_iterators_tIbNS6_6detail15normal_iteratorINS6_10device_ptrIKiEEEESL_NS6_8equal_toIiEEEENSG_9not_fun_tINSD_8identityEEEEENSD_19counting_iterator_tIlEES8_S8_S8_S8_S8_S8_S8_S8_EEEEPS9_S9_NSD_9__find_if7functorIS9_EEEE10hipError_tPvRmT1_T2_T3_mT4_P12ihipStream_tbEUlT_E0_NS1_11comp_targetILNS1_3genE0ELNS1_11target_archE4294967295ELNS1_3gpuE0ELNS1_3repE0EEENS1_30default_config_static_selectorELNS0_4arch9wavefront6targetE1EEEvS14_
; %bb.0:
	.section	.rodata,"a",@progbits
	.p2align	6, 0x0
	.amdhsa_kernel _ZN7rocprim17ROCPRIM_400000_NS6detail17trampoline_kernelINS0_14default_configENS1_22reduce_config_selectorIN6thrust23THRUST_200600_302600_NS5tupleIblNS6_9null_typeES8_S8_S8_S8_S8_S8_S8_EEEEZNS1_11reduce_implILb1ES3_NS6_12zip_iteratorINS7_INS6_11hip_rocprim26transform_input_iterator_tIbNSD_35transform_pair_of_input_iterators_tIbNS6_6detail15normal_iteratorINS6_10device_ptrIKiEEEESL_NS6_8equal_toIiEEEENSG_9not_fun_tINSD_8identityEEEEENSD_19counting_iterator_tIlEES8_S8_S8_S8_S8_S8_S8_S8_EEEEPS9_S9_NSD_9__find_if7functorIS9_EEEE10hipError_tPvRmT1_T2_T3_mT4_P12ihipStream_tbEUlT_E0_NS1_11comp_targetILNS1_3genE0ELNS1_11target_archE4294967295ELNS1_3gpuE0ELNS1_3repE0EEENS1_30default_config_static_selectorELNS0_4arch9wavefront6targetE1EEEvS14_
		.amdhsa_group_segment_fixed_size 0
		.amdhsa_private_segment_fixed_size 0
		.amdhsa_kernarg_size 104
		.amdhsa_user_sgpr_count 6
		.amdhsa_user_sgpr_private_segment_buffer 1
		.amdhsa_user_sgpr_dispatch_ptr 0
		.amdhsa_user_sgpr_queue_ptr 0
		.amdhsa_user_sgpr_kernarg_segment_ptr 1
		.amdhsa_user_sgpr_dispatch_id 0
		.amdhsa_user_sgpr_flat_scratch_init 0
		.amdhsa_user_sgpr_kernarg_preload_length 0
		.amdhsa_user_sgpr_kernarg_preload_offset 0
		.amdhsa_user_sgpr_private_segment_size 0
		.amdhsa_uses_dynamic_stack 0
		.amdhsa_system_sgpr_private_segment_wavefront_offset 0
		.amdhsa_system_sgpr_workgroup_id_x 1
		.amdhsa_system_sgpr_workgroup_id_y 0
		.amdhsa_system_sgpr_workgroup_id_z 0
		.amdhsa_system_sgpr_workgroup_info 0
		.amdhsa_system_vgpr_workitem_id 0
		.amdhsa_next_free_vgpr 1
		.amdhsa_next_free_sgpr 0
		.amdhsa_accum_offset 4
		.amdhsa_reserve_vcc 0
		.amdhsa_reserve_flat_scratch 0
		.amdhsa_float_round_mode_32 0
		.amdhsa_float_round_mode_16_64 0
		.amdhsa_float_denorm_mode_32 3
		.amdhsa_float_denorm_mode_16_64 3
		.amdhsa_dx10_clamp 1
		.amdhsa_ieee_mode 1
		.amdhsa_fp16_overflow 0
		.amdhsa_tg_split 0
		.amdhsa_exception_fp_ieee_invalid_op 0
		.amdhsa_exception_fp_denorm_src 0
		.amdhsa_exception_fp_ieee_div_zero 0
		.amdhsa_exception_fp_ieee_overflow 0
		.amdhsa_exception_fp_ieee_underflow 0
		.amdhsa_exception_fp_ieee_inexact 0
		.amdhsa_exception_int_div_zero 0
	.end_amdhsa_kernel
	.section	.text._ZN7rocprim17ROCPRIM_400000_NS6detail17trampoline_kernelINS0_14default_configENS1_22reduce_config_selectorIN6thrust23THRUST_200600_302600_NS5tupleIblNS6_9null_typeES8_S8_S8_S8_S8_S8_S8_EEEEZNS1_11reduce_implILb1ES3_NS6_12zip_iteratorINS7_INS6_11hip_rocprim26transform_input_iterator_tIbNSD_35transform_pair_of_input_iterators_tIbNS6_6detail15normal_iteratorINS6_10device_ptrIKiEEEESL_NS6_8equal_toIiEEEENSG_9not_fun_tINSD_8identityEEEEENSD_19counting_iterator_tIlEES8_S8_S8_S8_S8_S8_S8_S8_EEEEPS9_S9_NSD_9__find_if7functorIS9_EEEE10hipError_tPvRmT1_T2_T3_mT4_P12ihipStream_tbEUlT_E0_NS1_11comp_targetILNS1_3genE0ELNS1_11target_archE4294967295ELNS1_3gpuE0ELNS1_3repE0EEENS1_30default_config_static_selectorELNS0_4arch9wavefront6targetE1EEEvS14_,"axG",@progbits,_ZN7rocprim17ROCPRIM_400000_NS6detail17trampoline_kernelINS0_14default_configENS1_22reduce_config_selectorIN6thrust23THRUST_200600_302600_NS5tupleIblNS6_9null_typeES8_S8_S8_S8_S8_S8_S8_EEEEZNS1_11reduce_implILb1ES3_NS6_12zip_iteratorINS7_INS6_11hip_rocprim26transform_input_iterator_tIbNSD_35transform_pair_of_input_iterators_tIbNS6_6detail15normal_iteratorINS6_10device_ptrIKiEEEESL_NS6_8equal_toIiEEEENSG_9not_fun_tINSD_8identityEEEEENSD_19counting_iterator_tIlEES8_S8_S8_S8_S8_S8_S8_S8_EEEEPS9_S9_NSD_9__find_if7functorIS9_EEEE10hipError_tPvRmT1_T2_T3_mT4_P12ihipStream_tbEUlT_E0_NS1_11comp_targetILNS1_3genE0ELNS1_11target_archE4294967295ELNS1_3gpuE0ELNS1_3repE0EEENS1_30default_config_static_selectorELNS0_4arch9wavefront6targetE1EEEvS14_,comdat
.Lfunc_end120:
	.size	_ZN7rocprim17ROCPRIM_400000_NS6detail17trampoline_kernelINS0_14default_configENS1_22reduce_config_selectorIN6thrust23THRUST_200600_302600_NS5tupleIblNS6_9null_typeES8_S8_S8_S8_S8_S8_S8_EEEEZNS1_11reduce_implILb1ES3_NS6_12zip_iteratorINS7_INS6_11hip_rocprim26transform_input_iterator_tIbNSD_35transform_pair_of_input_iterators_tIbNS6_6detail15normal_iteratorINS6_10device_ptrIKiEEEESL_NS6_8equal_toIiEEEENSG_9not_fun_tINSD_8identityEEEEENSD_19counting_iterator_tIlEES8_S8_S8_S8_S8_S8_S8_S8_EEEEPS9_S9_NSD_9__find_if7functorIS9_EEEE10hipError_tPvRmT1_T2_T3_mT4_P12ihipStream_tbEUlT_E0_NS1_11comp_targetILNS1_3genE0ELNS1_11target_archE4294967295ELNS1_3gpuE0ELNS1_3repE0EEENS1_30default_config_static_selectorELNS0_4arch9wavefront6targetE1EEEvS14_, .Lfunc_end120-_ZN7rocprim17ROCPRIM_400000_NS6detail17trampoline_kernelINS0_14default_configENS1_22reduce_config_selectorIN6thrust23THRUST_200600_302600_NS5tupleIblNS6_9null_typeES8_S8_S8_S8_S8_S8_S8_EEEEZNS1_11reduce_implILb1ES3_NS6_12zip_iteratorINS7_INS6_11hip_rocprim26transform_input_iterator_tIbNSD_35transform_pair_of_input_iterators_tIbNS6_6detail15normal_iteratorINS6_10device_ptrIKiEEEESL_NS6_8equal_toIiEEEENSG_9not_fun_tINSD_8identityEEEEENSD_19counting_iterator_tIlEES8_S8_S8_S8_S8_S8_S8_S8_EEEEPS9_S9_NSD_9__find_if7functorIS9_EEEE10hipError_tPvRmT1_T2_T3_mT4_P12ihipStream_tbEUlT_E0_NS1_11comp_targetILNS1_3genE0ELNS1_11target_archE4294967295ELNS1_3gpuE0ELNS1_3repE0EEENS1_30default_config_static_selectorELNS0_4arch9wavefront6targetE1EEEvS14_
                                        ; -- End function
	.section	.AMDGPU.csdata,"",@progbits
; Kernel info:
; codeLenInByte = 0
; NumSgprs: 4
; NumVgprs: 0
; NumAgprs: 0
; TotalNumVgprs: 0
; ScratchSize: 0
; MemoryBound: 0
; FloatMode: 240
; IeeeMode: 1
; LDSByteSize: 0 bytes/workgroup (compile time only)
; SGPRBlocks: 0
; VGPRBlocks: 0
; NumSGPRsForWavesPerEU: 4
; NumVGPRsForWavesPerEU: 1
; AccumOffset: 4
; Occupancy: 8
; WaveLimiterHint : 0
; COMPUTE_PGM_RSRC2:SCRATCH_EN: 0
; COMPUTE_PGM_RSRC2:USER_SGPR: 6
; COMPUTE_PGM_RSRC2:TRAP_HANDLER: 0
; COMPUTE_PGM_RSRC2:TGID_X_EN: 1
; COMPUTE_PGM_RSRC2:TGID_Y_EN: 0
; COMPUTE_PGM_RSRC2:TGID_Z_EN: 0
; COMPUTE_PGM_RSRC2:TIDIG_COMP_CNT: 0
; COMPUTE_PGM_RSRC3_GFX90A:ACCUM_OFFSET: 0
; COMPUTE_PGM_RSRC3_GFX90A:TG_SPLIT: 0
	.section	.text._ZN7rocprim17ROCPRIM_400000_NS6detail17trampoline_kernelINS0_14default_configENS1_22reduce_config_selectorIN6thrust23THRUST_200600_302600_NS5tupleIblNS6_9null_typeES8_S8_S8_S8_S8_S8_S8_EEEEZNS1_11reduce_implILb1ES3_NS6_12zip_iteratorINS7_INS6_11hip_rocprim26transform_input_iterator_tIbNSD_35transform_pair_of_input_iterators_tIbNS6_6detail15normal_iteratorINS6_10device_ptrIKiEEEESL_NS6_8equal_toIiEEEENSG_9not_fun_tINSD_8identityEEEEENSD_19counting_iterator_tIlEES8_S8_S8_S8_S8_S8_S8_S8_EEEEPS9_S9_NSD_9__find_if7functorIS9_EEEE10hipError_tPvRmT1_T2_T3_mT4_P12ihipStream_tbEUlT_E0_NS1_11comp_targetILNS1_3genE5ELNS1_11target_archE942ELNS1_3gpuE9ELNS1_3repE0EEENS1_30default_config_static_selectorELNS0_4arch9wavefront6targetE1EEEvS14_,"axG",@progbits,_ZN7rocprim17ROCPRIM_400000_NS6detail17trampoline_kernelINS0_14default_configENS1_22reduce_config_selectorIN6thrust23THRUST_200600_302600_NS5tupleIblNS6_9null_typeES8_S8_S8_S8_S8_S8_S8_EEEEZNS1_11reduce_implILb1ES3_NS6_12zip_iteratorINS7_INS6_11hip_rocprim26transform_input_iterator_tIbNSD_35transform_pair_of_input_iterators_tIbNS6_6detail15normal_iteratorINS6_10device_ptrIKiEEEESL_NS6_8equal_toIiEEEENSG_9not_fun_tINSD_8identityEEEEENSD_19counting_iterator_tIlEES8_S8_S8_S8_S8_S8_S8_S8_EEEEPS9_S9_NSD_9__find_if7functorIS9_EEEE10hipError_tPvRmT1_T2_T3_mT4_P12ihipStream_tbEUlT_E0_NS1_11comp_targetILNS1_3genE5ELNS1_11target_archE942ELNS1_3gpuE9ELNS1_3repE0EEENS1_30default_config_static_selectorELNS0_4arch9wavefront6targetE1EEEvS14_,comdat
	.protected	_ZN7rocprim17ROCPRIM_400000_NS6detail17trampoline_kernelINS0_14default_configENS1_22reduce_config_selectorIN6thrust23THRUST_200600_302600_NS5tupleIblNS6_9null_typeES8_S8_S8_S8_S8_S8_S8_EEEEZNS1_11reduce_implILb1ES3_NS6_12zip_iteratorINS7_INS6_11hip_rocprim26transform_input_iterator_tIbNSD_35transform_pair_of_input_iterators_tIbNS6_6detail15normal_iteratorINS6_10device_ptrIKiEEEESL_NS6_8equal_toIiEEEENSG_9not_fun_tINSD_8identityEEEEENSD_19counting_iterator_tIlEES8_S8_S8_S8_S8_S8_S8_S8_EEEEPS9_S9_NSD_9__find_if7functorIS9_EEEE10hipError_tPvRmT1_T2_T3_mT4_P12ihipStream_tbEUlT_E0_NS1_11comp_targetILNS1_3genE5ELNS1_11target_archE942ELNS1_3gpuE9ELNS1_3repE0EEENS1_30default_config_static_selectorELNS0_4arch9wavefront6targetE1EEEvS14_ ; -- Begin function _ZN7rocprim17ROCPRIM_400000_NS6detail17trampoline_kernelINS0_14default_configENS1_22reduce_config_selectorIN6thrust23THRUST_200600_302600_NS5tupleIblNS6_9null_typeES8_S8_S8_S8_S8_S8_S8_EEEEZNS1_11reduce_implILb1ES3_NS6_12zip_iteratorINS7_INS6_11hip_rocprim26transform_input_iterator_tIbNSD_35transform_pair_of_input_iterators_tIbNS6_6detail15normal_iteratorINS6_10device_ptrIKiEEEESL_NS6_8equal_toIiEEEENSG_9not_fun_tINSD_8identityEEEEENSD_19counting_iterator_tIlEES8_S8_S8_S8_S8_S8_S8_S8_EEEEPS9_S9_NSD_9__find_if7functorIS9_EEEE10hipError_tPvRmT1_T2_T3_mT4_P12ihipStream_tbEUlT_E0_NS1_11comp_targetILNS1_3genE5ELNS1_11target_archE942ELNS1_3gpuE9ELNS1_3repE0EEENS1_30default_config_static_selectorELNS0_4arch9wavefront6targetE1EEEvS14_
	.globl	_ZN7rocprim17ROCPRIM_400000_NS6detail17trampoline_kernelINS0_14default_configENS1_22reduce_config_selectorIN6thrust23THRUST_200600_302600_NS5tupleIblNS6_9null_typeES8_S8_S8_S8_S8_S8_S8_EEEEZNS1_11reduce_implILb1ES3_NS6_12zip_iteratorINS7_INS6_11hip_rocprim26transform_input_iterator_tIbNSD_35transform_pair_of_input_iterators_tIbNS6_6detail15normal_iteratorINS6_10device_ptrIKiEEEESL_NS6_8equal_toIiEEEENSG_9not_fun_tINSD_8identityEEEEENSD_19counting_iterator_tIlEES8_S8_S8_S8_S8_S8_S8_S8_EEEEPS9_S9_NSD_9__find_if7functorIS9_EEEE10hipError_tPvRmT1_T2_T3_mT4_P12ihipStream_tbEUlT_E0_NS1_11comp_targetILNS1_3genE5ELNS1_11target_archE942ELNS1_3gpuE9ELNS1_3repE0EEENS1_30default_config_static_selectorELNS0_4arch9wavefront6targetE1EEEvS14_
	.p2align	8
	.type	_ZN7rocprim17ROCPRIM_400000_NS6detail17trampoline_kernelINS0_14default_configENS1_22reduce_config_selectorIN6thrust23THRUST_200600_302600_NS5tupleIblNS6_9null_typeES8_S8_S8_S8_S8_S8_S8_EEEEZNS1_11reduce_implILb1ES3_NS6_12zip_iteratorINS7_INS6_11hip_rocprim26transform_input_iterator_tIbNSD_35transform_pair_of_input_iterators_tIbNS6_6detail15normal_iteratorINS6_10device_ptrIKiEEEESL_NS6_8equal_toIiEEEENSG_9not_fun_tINSD_8identityEEEEENSD_19counting_iterator_tIlEES8_S8_S8_S8_S8_S8_S8_S8_EEEEPS9_S9_NSD_9__find_if7functorIS9_EEEE10hipError_tPvRmT1_T2_T3_mT4_P12ihipStream_tbEUlT_E0_NS1_11comp_targetILNS1_3genE5ELNS1_11target_archE942ELNS1_3gpuE9ELNS1_3repE0EEENS1_30default_config_static_selectorELNS0_4arch9wavefront6targetE1EEEvS14_,@function
_ZN7rocprim17ROCPRIM_400000_NS6detail17trampoline_kernelINS0_14default_configENS1_22reduce_config_selectorIN6thrust23THRUST_200600_302600_NS5tupleIblNS6_9null_typeES8_S8_S8_S8_S8_S8_S8_EEEEZNS1_11reduce_implILb1ES3_NS6_12zip_iteratorINS7_INS6_11hip_rocprim26transform_input_iterator_tIbNSD_35transform_pair_of_input_iterators_tIbNS6_6detail15normal_iteratorINS6_10device_ptrIKiEEEESL_NS6_8equal_toIiEEEENSG_9not_fun_tINSD_8identityEEEEENSD_19counting_iterator_tIlEES8_S8_S8_S8_S8_S8_S8_S8_EEEEPS9_S9_NSD_9__find_if7functorIS9_EEEE10hipError_tPvRmT1_T2_T3_mT4_P12ihipStream_tbEUlT_E0_NS1_11comp_targetILNS1_3genE5ELNS1_11target_archE942ELNS1_3gpuE9ELNS1_3repE0EEENS1_30default_config_static_selectorELNS0_4arch9wavefront6targetE1EEEvS14_: ; @_ZN7rocprim17ROCPRIM_400000_NS6detail17trampoline_kernelINS0_14default_configENS1_22reduce_config_selectorIN6thrust23THRUST_200600_302600_NS5tupleIblNS6_9null_typeES8_S8_S8_S8_S8_S8_S8_EEEEZNS1_11reduce_implILb1ES3_NS6_12zip_iteratorINS7_INS6_11hip_rocprim26transform_input_iterator_tIbNSD_35transform_pair_of_input_iterators_tIbNS6_6detail15normal_iteratorINS6_10device_ptrIKiEEEESL_NS6_8equal_toIiEEEENSG_9not_fun_tINSD_8identityEEEEENSD_19counting_iterator_tIlEES8_S8_S8_S8_S8_S8_S8_S8_EEEEPS9_S9_NSD_9__find_if7functorIS9_EEEE10hipError_tPvRmT1_T2_T3_mT4_P12ihipStream_tbEUlT_E0_NS1_11comp_targetILNS1_3genE5ELNS1_11target_archE942ELNS1_3gpuE9ELNS1_3repE0EEENS1_30default_config_static_selectorELNS0_4arch9wavefront6targetE1EEEvS14_
; %bb.0:
	.section	.rodata,"a",@progbits
	.p2align	6, 0x0
	.amdhsa_kernel _ZN7rocprim17ROCPRIM_400000_NS6detail17trampoline_kernelINS0_14default_configENS1_22reduce_config_selectorIN6thrust23THRUST_200600_302600_NS5tupleIblNS6_9null_typeES8_S8_S8_S8_S8_S8_S8_EEEEZNS1_11reduce_implILb1ES3_NS6_12zip_iteratorINS7_INS6_11hip_rocprim26transform_input_iterator_tIbNSD_35transform_pair_of_input_iterators_tIbNS6_6detail15normal_iteratorINS6_10device_ptrIKiEEEESL_NS6_8equal_toIiEEEENSG_9not_fun_tINSD_8identityEEEEENSD_19counting_iterator_tIlEES8_S8_S8_S8_S8_S8_S8_S8_EEEEPS9_S9_NSD_9__find_if7functorIS9_EEEE10hipError_tPvRmT1_T2_T3_mT4_P12ihipStream_tbEUlT_E0_NS1_11comp_targetILNS1_3genE5ELNS1_11target_archE942ELNS1_3gpuE9ELNS1_3repE0EEENS1_30default_config_static_selectorELNS0_4arch9wavefront6targetE1EEEvS14_
		.amdhsa_group_segment_fixed_size 0
		.amdhsa_private_segment_fixed_size 0
		.amdhsa_kernarg_size 104
		.amdhsa_user_sgpr_count 6
		.amdhsa_user_sgpr_private_segment_buffer 1
		.amdhsa_user_sgpr_dispatch_ptr 0
		.amdhsa_user_sgpr_queue_ptr 0
		.amdhsa_user_sgpr_kernarg_segment_ptr 1
		.amdhsa_user_sgpr_dispatch_id 0
		.amdhsa_user_sgpr_flat_scratch_init 0
		.amdhsa_user_sgpr_kernarg_preload_length 0
		.amdhsa_user_sgpr_kernarg_preload_offset 0
		.amdhsa_user_sgpr_private_segment_size 0
		.amdhsa_uses_dynamic_stack 0
		.amdhsa_system_sgpr_private_segment_wavefront_offset 0
		.amdhsa_system_sgpr_workgroup_id_x 1
		.amdhsa_system_sgpr_workgroup_id_y 0
		.amdhsa_system_sgpr_workgroup_id_z 0
		.amdhsa_system_sgpr_workgroup_info 0
		.amdhsa_system_vgpr_workitem_id 0
		.amdhsa_next_free_vgpr 1
		.amdhsa_next_free_sgpr 0
		.amdhsa_accum_offset 4
		.amdhsa_reserve_vcc 0
		.amdhsa_reserve_flat_scratch 0
		.amdhsa_float_round_mode_32 0
		.amdhsa_float_round_mode_16_64 0
		.amdhsa_float_denorm_mode_32 3
		.amdhsa_float_denorm_mode_16_64 3
		.amdhsa_dx10_clamp 1
		.amdhsa_ieee_mode 1
		.amdhsa_fp16_overflow 0
		.amdhsa_tg_split 0
		.amdhsa_exception_fp_ieee_invalid_op 0
		.amdhsa_exception_fp_denorm_src 0
		.amdhsa_exception_fp_ieee_div_zero 0
		.amdhsa_exception_fp_ieee_overflow 0
		.amdhsa_exception_fp_ieee_underflow 0
		.amdhsa_exception_fp_ieee_inexact 0
		.amdhsa_exception_int_div_zero 0
	.end_amdhsa_kernel
	.section	.text._ZN7rocprim17ROCPRIM_400000_NS6detail17trampoline_kernelINS0_14default_configENS1_22reduce_config_selectorIN6thrust23THRUST_200600_302600_NS5tupleIblNS6_9null_typeES8_S8_S8_S8_S8_S8_S8_EEEEZNS1_11reduce_implILb1ES3_NS6_12zip_iteratorINS7_INS6_11hip_rocprim26transform_input_iterator_tIbNSD_35transform_pair_of_input_iterators_tIbNS6_6detail15normal_iteratorINS6_10device_ptrIKiEEEESL_NS6_8equal_toIiEEEENSG_9not_fun_tINSD_8identityEEEEENSD_19counting_iterator_tIlEES8_S8_S8_S8_S8_S8_S8_S8_EEEEPS9_S9_NSD_9__find_if7functorIS9_EEEE10hipError_tPvRmT1_T2_T3_mT4_P12ihipStream_tbEUlT_E0_NS1_11comp_targetILNS1_3genE5ELNS1_11target_archE942ELNS1_3gpuE9ELNS1_3repE0EEENS1_30default_config_static_selectorELNS0_4arch9wavefront6targetE1EEEvS14_,"axG",@progbits,_ZN7rocprim17ROCPRIM_400000_NS6detail17trampoline_kernelINS0_14default_configENS1_22reduce_config_selectorIN6thrust23THRUST_200600_302600_NS5tupleIblNS6_9null_typeES8_S8_S8_S8_S8_S8_S8_EEEEZNS1_11reduce_implILb1ES3_NS6_12zip_iteratorINS7_INS6_11hip_rocprim26transform_input_iterator_tIbNSD_35transform_pair_of_input_iterators_tIbNS6_6detail15normal_iteratorINS6_10device_ptrIKiEEEESL_NS6_8equal_toIiEEEENSG_9not_fun_tINSD_8identityEEEEENSD_19counting_iterator_tIlEES8_S8_S8_S8_S8_S8_S8_S8_EEEEPS9_S9_NSD_9__find_if7functorIS9_EEEE10hipError_tPvRmT1_T2_T3_mT4_P12ihipStream_tbEUlT_E0_NS1_11comp_targetILNS1_3genE5ELNS1_11target_archE942ELNS1_3gpuE9ELNS1_3repE0EEENS1_30default_config_static_selectorELNS0_4arch9wavefront6targetE1EEEvS14_,comdat
.Lfunc_end121:
	.size	_ZN7rocprim17ROCPRIM_400000_NS6detail17trampoline_kernelINS0_14default_configENS1_22reduce_config_selectorIN6thrust23THRUST_200600_302600_NS5tupleIblNS6_9null_typeES8_S8_S8_S8_S8_S8_S8_EEEEZNS1_11reduce_implILb1ES3_NS6_12zip_iteratorINS7_INS6_11hip_rocprim26transform_input_iterator_tIbNSD_35transform_pair_of_input_iterators_tIbNS6_6detail15normal_iteratorINS6_10device_ptrIKiEEEESL_NS6_8equal_toIiEEEENSG_9not_fun_tINSD_8identityEEEEENSD_19counting_iterator_tIlEES8_S8_S8_S8_S8_S8_S8_S8_EEEEPS9_S9_NSD_9__find_if7functorIS9_EEEE10hipError_tPvRmT1_T2_T3_mT4_P12ihipStream_tbEUlT_E0_NS1_11comp_targetILNS1_3genE5ELNS1_11target_archE942ELNS1_3gpuE9ELNS1_3repE0EEENS1_30default_config_static_selectorELNS0_4arch9wavefront6targetE1EEEvS14_, .Lfunc_end121-_ZN7rocprim17ROCPRIM_400000_NS6detail17trampoline_kernelINS0_14default_configENS1_22reduce_config_selectorIN6thrust23THRUST_200600_302600_NS5tupleIblNS6_9null_typeES8_S8_S8_S8_S8_S8_S8_EEEEZNS1_11reduce_implILb1ES3_NS6_12zip_iteratorINS7_INS6_11hip_rocprim26transform_input_iterator_tIbNSD_35transform_pair_of_input_iterators_tIbNS6_6detail15normal_iteratorINS6_10device_ptrIKiEEEESL_NS6_8equal_toIiEEEENSG_9not_fun_tINSD_8identityEEEEENSD_19counting_iterator_tIlEES8_S8_S8_S8_S8_S8_S8_S8_EEEEPS9_S9_NSD_9__find_if7functorIS9_EEEE10hipError_tPvRmT1_T2_T3_mT4_P12ihipStream_tbEUlT_E0_NS1_11comp_targetILNS1_3genE5ELNS1_11target_archE942ELNS1_3gpuE9ELNS1_3repE0EEENS1_30default_config_static_selectorELNS0_4arch9wavefront6targetE1EEEvS14_
                                        ; -- End function
	.section	.AMDGPU.csdata,"",@progbits
; Kernel info:
; codeLenInByte = 0
; NumSgprs: 4
; NumVgprs: 0
; NumAgprs: 0
; TotalNumVgprs: 0
; ScratchSize: 0
; MemoryBound: 0
; FloatMode: 240
; IeeeMode: 1
; LDSByteSize: 0 bytes/workgroup (compile time only)
; SGPRBlocks: 0
; VGPRBlocks: 0
; NumSGPRsForWavesPerEU: 4
; NumVGPRsForWavesPerEU: 1
; AccumOffset: 4
; Occupancy: 8
; WaveLimiterHint : 0
; COMPUTE_PGM_RSRC2:SCRATCH_EN: 0
; COMPUTE_PGM_RSRC2:USER_SGPR: 6
; COMPUTE_PGM_RSRC2:TRAP_HANDLER: 0
; COMPUTE_PGM_RSRC2:TGID_X_EN: 1
; COMPUTE_PGM_RSRC2:TGID_Y_EN: 0
; COMPUTE_PGM_RSRC2:TGID_Z_EN: 0
; COMPUTE_PGM_RSRC2:TIDIG_COMP_CNT: 0
; COMPUTE_PGM_RSRC3_GFX90A:ACCUM_OFFSET: 0
; COMPUTE_PGM_RSRC3_GFX90A:TG_SPLIT: 0
	.section	.text._ZN7rocprim17ROCPRIM_400000_NS6detail17trampoline_kernelINS0_14default_configENS1_22reduce_config_selectorIN6thrust23THRUST_200600_302600_NS5tupleIblNS6_9null_typeES8_S8_S8_S8_S8_S8_S8_EEEEZNS1_11reduce_implILb1ES3_NS6_12zip_iteratorINS7_INS6_11hip_rocprim26transform_input_iterator_tIbNSD_35transform_pair_of_input_iterators_tIbNS6_6detail15normal_iteratorINS6_10device_ptrIKiEEEESL_NS6_8equal_toIiEEEENSG_9not_fun_tINSD_8identityEEEEENSD_19counting_iterator_tIlEES8_S8_S8_S8_S8_S8_S8_S8_EEEEPS9_S9_NSD_9__find_if7functorIS9_EEEE10hipError_tPvRmT1_T2_T3_mT4_P12ihipStream_tbEUlT_E0_NS1_11comp_targetILNS1_3genE4ELNS1_11target_archE910ELNS1_3gpuE8ELNS1_3repE0EEENS1_30default_config_static_selectorELNS0_4arch9wavefront6targetE1EEEvS14_,"axG",@progbits,_ZN7rocprim17ROCPRIM_400000_NS6detail17trampoline_kernelINS0_14default_configENS1_22reduce_config_selectorIN6thrust23THRUST_200600_302600_NS5tupleIblNS6_9null_typeES8_S8_S8_S8_S8_S8_S8_EEEEZNS1_11reduce_implILb1ES3_NS6_12zip_iteratorINS7_INS6_11hip_rocprim26transform_input_iterator_tIbNSD_35transform_pair_of_input_iterators_tIbNS6_6detail15normal_iteratorINS6_10device_ptrIKiEEEESL_NS6_8equal_toIiEEEENSG_9not_fun_tINSD_8identityEEEEENSD_19counting_iterator_tIlEES8_S8_S8_S8_S8_S8_S8_S8_EEEEPS9_S9_NSD_9__find_if7functorIS9_EEEE10hipError_tPvRmT1_T2_T3_mT4_P12ihipStream_tbEUlT_E0_NS1_11comp_targetILNS1_3genE4ELNS1_11target_archE910ELNS1_3gpuE8ELNS1_3repE0EEENS1_30default_config_static_selectorELNS0_4arch9wavefront6targetE1EEEvS14_,comdat
	.protected	_ZN7rocprim17ROCPRIM_400000_NS6detail17trampoline_kernelINS0_14default_configENS1_22reduce_config_selectorIN6thrust23THRUST_200600_302600_NS5tupleIblNS6_9null_typeES8_S8_S8_S8_S8_S8_S8_EEEEZNS1_11reduce_implILb1ES3_NS6_12zip_iteratorINS7_INS6_11hip_rocprim26transform_input_iterator_tIbNSD_35transform_pair_of_input_iterators_tIbNS6_6detail15normal_iteratorINS6_10device_ptrIKiEEEESL_NS6_8equal_toIiEEEENSG_9not_fun_tINSD_8identityEEEEENSD_19counting_iterator_tIlEES8_S8_S8_S8_S8_S8_S8_S8_EEEEPS9_S9_NSD_9__find_if7functorIS9_EEEE10hipError_tPvRmT1_T2_T3_mT4_P12ihipStream_tbEUlT_E0_NS1_11comp_targetILNS1_3genE4ELNS1_11target_archE910ELNS1_3gpuE8ELNS1_3repE0EEENS1_30default_config_static_selectorELNS0_4arch9wavefront6targetE1EEEvS14_ ; -- Begin function _ZN7rocprim17ROCPRIM_400000_NS6detail17trampoline_kernelINS0_14default_configENS1_22reduce_config_selectorIN6thrust23THRUST_200600_302600_NS5tupleIblNS6_9null_typeES8_S8_S8_S8_S8_S8_S8_EEEEZNS1_11reduce_implILb1ES3_NS6_12zip_iteratorINS7_INS6_11hip_rocprim26transform_input_iterator_tIbNSD_35transform_pair_of_input_iterators_tIbNS6_6detail15normal_iteratorINS6_10device_ptrIKiEEEESL_NS6_8equal_toIiEEEENSG_9not_fun_tINSD_8identityEEEEENSD_19counting_iterator_tIlEES8_S8_S8_S8_S8_S8_S8_S8_EEEEPS9_S9_NSD_9__find_if7functorIS9_EEEE10hipError_tPvRmT1_T2_T3_mT4_P12ihipStream_tbEUlT_E0_NS1_11comp_targetILNS1_3genE4ELNS1_11target_archE910ELNS1_3gpuE8ELNS1_3repE0EEENS1_30default_config_static_selectorELNS0_4arch9wavefront6targetE1EEEvS14_
	.globl	_ZN7rocprim17ROCPRIM_400000_NS6detail17trampoline_kernelINS0_14default_configENS1_22reduce_config_selectorIN6thrust23THRUST_200600_302600_NS5tupleIblNS6_9null_typeES8_S8_S8_S8_S8_S8_S8_EEEEZNS1_11reduce_implILb1ES3_NS6_12zip_iteratorINS7_INS6_11hip_rocprim26transform_input_iterator_tIbNSD_35transform_pair_of_input_iterators_tIbNS6_6detail15normal_iteratorINS6_10device_ptrIKiEEEESL_NS6_8equal_toIiEEEENSG_9not_fun_tINSD_8identityEEEEENSD_19counting_iterator_tIlEES8_S8_S8_S8_S8_S8_S8_S8_EEEEPS9_S9_NSD_9__find_if7functorIS9_EEEE10hipError_tPvRmT1_T2_T3_mT4_P12ihipStream_tbEUlT_E0_NS1_11comp_targetILNS1_3genE4ELNS1_11target_archE910ELNS1_3gpuE8ELNS1_3repE0EEENS1_30default_config_static_selectorELNS0_4arch9wavefront6targetE1EEEvS14_
	.p2align	8
	.type	_ZN7rocprim17ROCPRIM_400000_NS6detail17trampoline_kernelINS0_14default_configENS1_22reduce_config_selectorIN6thrust23THRUST_200600_302600_NS5tupleIblNS6_9null_typeES8_S8_S8_S8_S8_S8_S8_EEEEZNS1_11reduce_implILb1ES3_NS6_12zip_iteratorINS7_INS6_11hip_rocprim26transform_input_iterator_tIbNSD_35transform_pair_of_input_iterators_tIbNS6_6detail15normal_iteratorINS6_10device_ptrIKiEEEESL_NS6_8equal_toIiEEEENSG_9not_fun_tINSD_8identityEEEEENSD_19counting_iterator_tIlEES8_S8_S8_S8_S8_S8_S8_S8_EEEEPS9_S9_NSD_9__find_if7functorIS9_EEEE10hipError_tPvRmT1_T2_T3_mT4_P12ihipStream_tbEUlT_E0_NS1_11comp_targetILNS1_3genE4ELNS1_11target_archE910ELNS1_3gpuE8ELNS1_3repE0EEENS1_30default_config_static_selectorELNS0_4arch9wavefront6targetE1EEEvS14_,@function
_ZN7rocprim17ROCPRIM_400000_NS6detail17trampoline_kernelINS0_14default_configENS1_22reduce_config_selectorIN6thrust23THRUST_200600_302600_NS5tupleIblNS6_9null_typeES8_S8_S8_S8_S8_S8_S8_EEEEZNS1_11reduce_implILb1ES3_NS6_12zip_iteratorINS7_INS6_11hip_rocprim26transform_input_iterator_tIbNSD_35transform_pair_of_input_iterators_tIbNS6_6detail15normal_iteratorINS6_10device_ptrIKiEEEESL_NS6_8equal_toIiEEEENSG_9not_fun_tINSD_8identityEEEEENSD_19counting_iterator_tIlEES8_S8_S8_S8_S8_S8_S8_S8_EEEEPS9_S9_NSD_9__find_if7functorIS9_EEEE10hipError_tPvRmT1_T2_T3_mT4_P12ihipStream_tbEUlT_E0_NS1_11comp_targetILNS1_3genE4ELNS1_11target_archE910ELNS1_3gpuE8ELNS1_3repE0EEENS1_30default_config_static_selectorELNS0_4arch9wavefront6targetE1EEEvS14_: ; @_ZN7rocprim17ROCPRIM_400000_NS6detail17trampoline_kernelINS0_14default_configENS1_22reduce_config_selectorIN6thrust23THRUST_200600_302600_NS5tupleIblNS6_9null_typeES8_S8_S8_S8_S8_S8_S8_EEEEZNS1_11reduce_implILb1ES3_NS6_12zip_iteratorINS7_INS6_11hip_rocprim26transform_input_iterator_tIbNSD_35transform_pair_of_input_iterators_tIbNS6_6detail15normal_iteratorINS6_10device_ptrIKiEEEESL_NS6_8equal_toIiEEEENSG_9not_fun_tINSD_8identityEEEEENSD_19counting_iterator_tIlEES8_S8_S8_S8_S8_S8_S8_S8_EEEEPS9_S9_NSD_9__find_if7functorIS9_EEEE10hipError_tPvRmT1_T2_T3_mT4_P12ihipStream_tbEUlT_E0_NS1_11comp_targetILNS1_3genE4ELNS1_11target_archE910ELNS1_3gpuE8ELNS1_3repE0EEENS1_30default_config_static_selectorELNS0_4arch9wavefront6targetE1EEEvS14_
; %bb.0:
	s_load_dwordx8 s[8:15], s[4:5], 0x20
	s_load_dwordx4 s[0:3], s[4:5], 0x0
	s_load_dwordx4 s[16:19], s[4:5], 0x40
	s_mov_b32 s25, 0
	s_mov_b32 s7, s25
	s_waitcnt lgkmcnt(0)
	s_lshl_b64 s[20:21], s[10:11], 2
	s_add_u32 s22, s0, s20
	s_addc_u32 s23, s1, s21
	s_add_u32 s26, s2, s20
	s_addc_u32 s27, s3, s21
	s_lshl_b32 s24, s6, 9
	s_lshr_b64 s[0:1], s[12:13], 9
	s_lshl_b64 s[2:3], s[24:25], 2
	s_add_u32 s20, s22, s2
	s_addc_u32 s21, s23, s3
	s_add_u32 s22, s26, s2
	s_addc_u32 s23, s27, s3
	;; [unrolled: 2-line block ×4, first 2 shown]
	s_cmp_lg_u64 s[0:1], s[6:7]
	v_lshlrev_b32_e32 v1, 2, v0
	s_cbranch_scc0 .LBB122_18
; %bb.1:
	global_load_dword v2, v1, s[22:23] offset:1024
	global_load_dword v3, v1, s[22:23]
	global_load_dword v4, v1, s[20:21] offset:1024
	global_load_dword v5, v1, s[20:21]
	v_mov_b32_e32 v6, s9
	v_add_co_u32_e32 v7, vcc, s8, v0
	v_addc_co_u32_e32 v6, vcc, 0, v6, vcc
	v_add_co_u32_e32 v8, vcc, 0x100, v7
	v_addc_co_u32_e32 v9, vcc, 0, v6, vcc
	s_waitcnt vmcnt(1)
	v_cmp_ne_u32_e32 vcc, v4, v2
	s_waitcnt vmcnt(0)
	v_cmp_ne_u32_e64 s[0:1], v5, v3
	v_cndmask_b32_e64 v3, v9, v6, s[0:1]
	v_cndmask_b32_e64 v2, v8, v7, s[0:1]
	s_or_b64 s[0:1], s[0:1], vcc
	v_cndmask_b32_e64 v6, 0, 1, s[0:1]
	v_mov_b32_dpp v4, v2 quad_perm:[1,0,3,2] row_mask:0xf bank_mask:0xf bound_ctrl:1
	v_mov_b32_dpp v5, v3 quad_perm:[1,0,3,2] row_mask:0xf bank_mask:0xf bound_ctrl:1
	;; [unrolled: 1-line block ×3, first 2 shown]
	v_and_b32_e32 v8, 1, v7
	v_cmp_eq_u32_e32 vcc, 1, v8
	s_and_saveexec_b64 s[2:3], vcc
; %bb.2:
	v_cmp_lt_i64_e32 vcc, v[2:3], v[4:5]
	v_cndmask_b32_e64 v7, v7, 1, s[0:1]
	s_and_b64 vcc, s[0:1], vcc
	v_cndmask_b32_e32 v2, v4, v2, vcc
	v_and_b32_e32 v4, 1, v7
	v_cndmask_b32_e32 v3, v5, v3, vcc
	v_cmp_eq_u32_e32 vcc, 1, v4
	s_andn2_b64 s[0:1], s[0:1], exec
	s_and_b64 s[10:11], vcc, exec
	v_and_b32_e32 v6, 0xff, v7
	s_or_b64 s[0:1], s[0:1], s[10:11]
; %bb.3:
	s_or_b64 exec, exec, s[2:3]
	v_mov_b32_dpp v7, v6 quad_perm:[2,3,0,1] row_mask:0xf bank_mask:0xf bound_ctrl:1
	v_and_b32_e32 v8, 1, v7
	v_mov_b32_dpp v4, v2 quad_perm:[2,3,0,1] row_mask:0xf bank_mask:0xf bound_ctrl:1
	v_mov_b32_dpp v5, v3 quad_perm:[2,3,0,1] row_mask:0xf bank_mask:0xf bound_ctrl:1
	v_cmp_eq_u32_e32 vcc, 1, v8
	s_and_saveexec_b64 s[2:3], vcc
; %bb.4:
	v_cmp_lt_i64_e32 vcc, v[2:3], v[4:5]
	v_cndmask_b32_e64 v7, v7, 1, s[0:1]
	s_and_b64 vcc, s[0:1], vcc
	v_cndmask_b32_e32 v2, v4, v2, vcc
	v_and_b32_e32 v4, 1, v7
	v_cndmask_b32_e32 v3, v5, v3, vcc
	v_cmp_eq_u32_e32 vcc, 1, v4
	s_andn2_b64 s[0:1], s[0:1], exec
	s_and_b64 s[10:11], vcc, exec
	v_and_b32_e32 v6, 0xff, v7
	s_or_b64 s[0:1], s[0:1], s[10:11]
; %bb.5:
	s_or_b64 exec, exec, s[2:3]
	v_mov_b32_dpp v7, v6 row_ror:4 row_mask:0xf bank_mask:0xf bound_ctrl:1
	v_and_b32_e32 v8, 1, v7
	v_mov_b32_dpp v4, v2 row_ror:4 row_mask:0xf bank_mask:0xf bound_ctrl:1
	v_mov_b32_dpp v5, v3 row_ror:4 row_mask:0xf bank_mask:0xf bound_ctrl:1
	v_cmp_eq_u32_e32 vcc, 1, v8
	s_and_saveexec_b64 s[2:3], vcc
; %bb.6:
	v_cmp_lt_i64_e32 vcc, v[2:3], v[4:5]
	v_cndmask_b32_e64 v7, v7, 1, s[0:1]
	s_and_b64 vcc, s[0:1], vcc
	v_cndmask_b32_e32 v2, v4, v2, vcc
	v_and_b32_e32 v4, 1, v7
	v_cndmask_b32_e32 v3, v5, v3, vcc
	v_cmp_eq_u32_e32 vcc, 1, v4
	s_andn2_b64 s[0:1], s[0:1], exec
	s_and_b64 s[10:11], vcc, exec
	v_and_b32_e32 v6, 0xff, v7
	s_or_b64 s[0:1], s[0:1], s[10:11]
; %bb.7:
	s_or_b64 exec, exec, s[2:3]
	v_mov_b32_dpp v7, v6 row_ror:8 row_mask:0xf bank_mask:0xf bound_ctrl:1
	v_and_b32_e32 v8, 1, v7
	v_mov_b32_dpp v4, v2 row_ror:8 row_mask:0xf bank_mask:0xf bound_ctrl:1
	v_mov_b32_dpp v5, v3 row_ror:8 row_mask:0xf bank_mask:0xf bound_ctrl:1
	v_cmp_eq_u32_e32 vcc, 1, v8
	s_and_saveexec_b64 s[2:3], vcc
; %bb.8:
	v_cmp_lt_i64_e32 vcc, v[2:3], v[4:5]
	v_cndmask_b32_e64 v7, v7, 1, s[0:1]
	s_and_b64 vcc, s[0:1], vcc
	v_cndmask_b32_e32 v2, v4, v2, vcc
	v_and_b32_e32 v4, 1, v7
	v_cndmask_b32_e32 v3, v5, v3, vcc
	v_cmp_eq_u32_e32 vcc, 1, v4
	s_andn2_b64 s[0:1], s[0:1], exec
	s_and_b64 s[10:11], vcc, exec
	v_and_b32_e32 v6, 0xff, v7
	s_or_b64 s[0:1], s[0:1], s[10:11]
; %bb.9:
	s_or_b64 exec, exec, s[2:3]
	v_mov_b32_dpp v7, v6 row_bcast:15 row_mask:0xf bank_mask:0xf bound_ctrl:1
	v_and_b32_e32 v8, 1, v7
	v_mov_b32_dpp v4, v2 row_bcast:15 row_mask:0xf bank_mask:0xf bound_ctrl:1
	v_mov_b32_dpp v5, v3 row_bcast:15 row_mask:0xf bank_mask:0xf bound_ctrl:1
	v_cmp_eq_u32_e32 vcc, 1, v8
	s_and_saveexec_b64 s[2:3], vcc
; %bb.10:
	v_cmp_lt_i64_e32 vcc, v[2:3], v[4:5]
	v_cndmask_b32_e64 v7, v7, 1, s[0:1]
	s_and_b64 vcc, s[0:1], vcc
	v_cndmask_b32_e32 v2, v4, v2, vcc
	v_and_b32_e32 v4, 1, v7
	v_cndmask_b32_e32 v3, v5, v3, vcc
	v_cmp_eq_u32_e32 vcc, 1, v4
	s_andn2_b64 s[0:1], s[0:1], exec
	s_and_b64 s[10:11], vcc, exec
	v_and_b32_e32 v6, 0xff, v7
	s_or_b64 s[0:1], s[0:1], s[10:11]
; %bb.11:
	s_or_b64 exec, exec, s[2:3]
	v_mov_b32_dpp v7, v6 row_bcast:31 row_mask:0xf bank_mask:0xf bound_ctrl:1
	v_and_b32_e32 v8, 1, v7
	v_mov_b32_dpp v4, v2 row_bcast:31 row_mask:0xf bank_mask:0xf bound_ctrl:1
	v_mov_b32_dpp v5, v3 row_bcast:31 row_mask:0xf bank_mask:0xf bound_ctrl:1
	v_cmp_eq_u32_e32 vcc, 1, v8
	s_and_saveexec_b64 s[2:3], vcc
; %bb.12:
	v_cmp_lt_i64_e32 vcc, v[2:3], v[4:5]
	v_and_b32_e32 v6, 0xff, v7
	s_and_b64 vcc, s[0:1], vcc
	v_cndmask_b32_e32 v2, v4, v2, vcc
	v_cndmask_b32_e32 v3, v5, v3, vcc
	v_cndmask_b32_e64 v6, v6, 1, s[0:1]
; %bb.13:
	s_or_b64 exec, exec, s[2:3]
	v_mbcnt_lo_u32_b32 v4, -1, 0
	v_mbcnt_hi_u32_b32 v4, -1, v4
	v_bfrev_b32_e32 v5, 0.5
	v_lshl_or_b32 v5, v4, 2, v5
	ds_bpermute_b32 v6, v5, v6
	ds_bpermute_b32 v2, v5, v2
	;; [unrolled: 1-line block ×3, first 2 shown]
	v_cmp_eq_u32_e32 vcc, 0, v4
	s_and_saveexec_b64 s[0:1], vcc
	s_cbranch_execz .LBB122_15
; %bb.14:
	v_lshrrev_b32_e32 v5, 2, v0
	v_and_b32_e32 v5, 48, v5
	s_waitcnt lgkmcnt(2)
	ds_write_b8 v5, v6
	s_waitcnt lgkmcnt(1)
	ds_write_b64 v5, v[2:3] offset:8
.LBB122_15:
	s_or_b64 exec, exec, s[0:1]
	v_cmp_gt_u32_e32 vcc, 64, v0
	s_waitcnt lgkmcnt(0)
	s_barrier
	s_and_saveexec_b64 s[2:3], vcc
	s_cbranch_execz .LBB122_17
; %bb.16:
	v_and_b32_e32 v5, 3, v4
	v_lshlrev_b32_e32 v2, 4, v5
	ds_read_u8 v8, v2
	ds_read_b64 v[2:3], v2 offset:8
	v_cmp_ne_u32_e32 vcc, 3, v5
	v_addc_co_u32_e32 v6, vcc, 0, v4, vcc
	s_waitcnt lgkmcnt(1)
	v_and_b32_e32 v7, 0xff, v8
	v_lshlrev_b32_e32 v9, 2, v6
	ds_bpermute_b32 v10, v9, v7
	s_waitcnt lgkmcnt(1)
	ds_bpermute_b32 v6, v9, v2
	ds_bpermute_b32 v7, v9, v3
	v_and_b32_e32 v9, 1, v8
	s_waitcnt lgkmcnt(2)
	v_and_b32_e32 v11, 1, v10
	v_cmp_eq_u32_e64 s[0:1], 1, v11
	s_waitcnt lgkmcnt(0)
	v_cmp_lt_i64_e32 vcc, v[6:7], v[2:3]
	s_and_b64 vcc, s[0:1], vcc
	v_cndmask_b32_e64 v8, v8, 1, s[0:1]
	v_cndmask_b32_e32 v2, v2, v6, vcc
	v_cndmask_b32_e32 v3, v3, v7, vcc
	v_cmp_eq_u32_e32 vcc, 1, v9
	v_cndmask_b32_e32 v8, v10, v8, vcc
	v_cndmask_b32_e32 v3, v7, v3, vcc
	;; [unrolled: 1-line block ×3, first 2 shown]
	v_cmp_gt_u32_e32 vcc, 2, v5
	v_cndmask_b32_e64 v5, 0, 1, vcc
	v_lshlrev_b32_e32 v5, 1, v5
	v_and_b32_e32 v6, 0xff, v8
	v_add_lshl_u32 v5, v5, v4, 2
	ds_bpermute_b32 v6, v5, v6
	ds_bpermute_b32 v4, v5, v2
	;; [unrolled: 1-line block ×3, first 2 shown]
	v_and_b32_e32 v7, 1, v8
	s_waitcnt lgkmcnt(2)
	v_and_b32_e32 v9, 1, v6
	v_cmp_eq_u32_e64 s[0:1], 1, v9
	s_waitcnt lgkmcnt(0)
	v_cmp_lt_i64_e32 vcc, v[4:5], v[2:3]
	s_and_b64 vcc, s[0:1], vcc
	v_cndmask_b32_e64 v8, v8, 1, s[0:1]
	v_cndmask_b32_e32 v2, v2, v4, vcc
	v_cndmask_b32_e32 v3, v3, v5, vcc
	v_cmp_eq_u32_e32 vcc, 1, v7
	v_cndmask_b32_e32 v6, v6, v8, vcc
	v_cndmask_b32_e32 v3, v5, v3, vcc
	;; [unrolled: 1-line block ×3, first 2 shown]
	v_and_b32_e32 v6, 0xff, v6
.LBB122_17:
	s_or_b64 exec, exec, s[2:3]
	s_load_dword s10, s[4:5], 0x50
	s_load_dwordx2 s[2:3], s[4:5], 0x58
	s_branch .LBB122_46
.LBB122_18:
                                        ; implicit-def: $vgpr2_vgpr3
                                        ; implicit-def: $vgpr6
	s_load_dword s10, s[4:5], 0x50
	s_load_dwordx2 s[2:3], s[4:5], 0x58
	s_cbranch_execz .LBB122_46
; %bb.19:
	s_sub_i32 s11, s12, s24
	v_pk_mov_b32 v[4:5], 0, 0
	v_cmp_gt_u32_e32 vcc, s11, v0
	v_mov_b32_e32 v6, 0
	v_pk_mov_b32 v[2:3], v[4:5], v[4:5] op_sel:[0,1]
	v_mov_b32_e32 v7, 0
	s_and_saveexec_b64 s[0:1], vcc
	s_cbranch_execz .LBB122_21
; %bb.20:
	global_load_dword v7, v1, s[20:21]
	global_load_dword v8, v1, s[22:23]
	v_mov_b32_e32 v3, s9
	v_add_co_u32_e32 v2, vcc, s8, v0
	v_addc_co_u32_e32 v3, vcc, 0, v3, vcc
	s_waitcnt vmcnt(0)
	v_cmp_ne_u32_e32 vcc, v7, v8
	v_cndmask_b32_e64 v7, 0, 1, vcc
.LBB122_21:
	s_or_b64 exec, exec, s[0:1]
	v_or_b32_e32 v8, 0x100, v0
	v_cmp_gt_u32_e32 vcc, s11, v8
	s_and_saveexec_b64 s[4:5], vcc
	s_cbranch_execz .LBB122_23
; %bb.22:
	global_load_dword v6, v1, s[20:21] offset:1024
	global_load_dword v9, v1, s[22:23] offset:1024
	v_mov_b32_e32 v1, s9
	v_add_co_u32_e64 v4, s[0:1], s8, v8
	v_addc_co_u32_e64 v5, s[0:1], 0, v1, s[0:1]
	s_waitcnt vmcnt(0)
	v_cmp_ne_u32_e64 s[0:1], v6, v9
	v_cndmask_b32_e64 v6, 0, 1, s[0:1]
.LBB122_23:
	s_or_b64 exec, exec, s[4:5]
	s_and_saveexec_b64 s[4:5], vcc
	s_cbranch_execz .LBB122_25
; %bb.24:
	v_and_b32_e32 v8, 1, v6
	v_cmp_lt_i64_e32 vcc, v[4:5], v[2:3]
	v_cmp_eq_u32_e64 s[0:1], 1, v8
	v_and_b32_e32 v1, 1, v7
	s_and_b64 vcc, s[0:1], vcc
	v_cndmask_b32_e64 v7, v7, 1, s[0:1]
	v_cndmask_b32_e32 v2, v2, v4, vcc
	v_cndmask_b32_e32 v3, v3, v5, vcc
	v_cmp_eq_u32_e32 vcc, 1, v1
	v_cndmask_b32_e32 v7, v6, v7, vcc
	v_cndmask_b32_e32 v3, v5, v3, vcc
	;; [unrolled: 1-line block ×3, first 2 shown]
.LBB122_25:
	s_or_b64 exec, exec, s[4:5]
	v_mbcnt_lo_u32_b32 v1, -1, 0
	v_mbcnt_hi_u32_b32 v1, -1, v1
	v_and_b32_e32 v8, 63, v1
	v_cmp_ne_u32_e32 vcc, 63, v8
	v_addc_co_u32_e32 v4, vcc, 0, v1, vcc
	v_and_b32_e32 v6, 0xffff, v7
	v_lshlrev_b32_e32 v5, 2, v4
	ds_bpermute_b32 v10, v5, v6
	ds_bpermute_b32 v4, v5, v2
	;; [unrolled: 1-line block ×3, first 2 shown]
	s_min_u32 s8, s11, 0x100
	v_and_b32_e32 v9, 0xc0, v0
	v_sub_u32_e64 v9, s8, v9 clamp
	v_add_u32_e32 v11, 1, v8
	v_cmp_lt_u32_e32 vcc, v11, v9
	s_and_saveexec_b64 s[4:5], vcc
	s_cbranch_execz .LBB122_27
; %bb.26:
	s_waitcnt lgkmcnt(0)
	v_and_b32_e32 v11, 1, v10
	v_cmp_lt_i64_e32 vcc, v[4:5], v[2:3]
	v_cmp_eq_u32_e64 s[0:1], 1, v11
	v_and_b32_e32 v6, 1, v7
	s_and_b64 vcc, s[0:1], vcc
	v_cndmask_b32_e64 v7, v7, 1, s[0:1]
	v_cndmask_b32_e32 v2, v2, v4, vcc
	v_cndmask_b32_e32 v3, v3, v5, vcc
	v_cmp_eq_u32_e32 vcc, 1, v6
	v_cndmask_b32_e32 v7, v10, v7, vcc
	v_cndmask_b32_e32 v3, v5, v3, vcc
	;; [unrolled: 1-line block ×3, first 2 shown]
	v_and_b32_e32 v6, 0xff, v7
.LBB122_27:
	s_or_b64 exec, exec, s[4:5]
	v_cmp_gt_u32_e32 vcc, 62, v8
	s_waitcnt lgkmcnt(0)
	v_cndmask_b32_e64 v4, 0, 1, vcc
	v_lshlrev_b32_e32 v4, 1, v4
	v_add_lshl_u32 v5, v4, v1, 2
	ds_bpermute_b32 v10, v5, v6
	ds_bpermute_b32 v4, v5, v2
	ds_bpermute_b32 v5, v5, v3
	v_add_u32_e32 v11, 2, v8
	v_cmp_lt_u32_e32 vcc, v11, v9
	s_and_saveexec_b64 s[4:5], vcc
	s_cbranch_execz .LBB122_29
; %bb.28:
	s_waitcnt lgkmcnt(2)
	v_and_b32_e32 v11, 1, v10
	s_waitcnt lgkmcnt(0)
	v_cmp_lt_i64_e32 vcc, v[4:5], v[2:3]
	v_cmp_eq_u32_e64 s[0:1], 1, v11
	v_and_b32_e32 v6, 1, v7
	s_and_b64 vcc, s[0:1], vcc
	v_cndmask_b32_e64 v7, v7, 1, s[0:1]
	v_cndmask_b32_e32 v2, v2, v4, vcc
	v_cndmask_b32_e32 v3, v3, v5, vcc
	v_cmp_eq_u32_e32 vcc, 1, v6
	v_cndmask_b32_e32 v7, v10, v7, vcc
	v_cndmask_b32_e32 v3, v5, v3, vcc
	v_cndmask_b32_e32 v2, v4, v2, vcc
	v_and_b32_e32 v6, 0xff, v7
.LBB122_29:
	s_or_b64 exec, exec, s[4:5]
	v_cmp_gt_u32_e32 vcc, 60, v8
	s_waitcnt lgkmcnt(1)
	v_cndmask_b32_e64 v4, 0, 1, vcc
	v_lshlrev_b32_e32 v4, 2, v4
	s_waitcnt lgkmcnt(0)
	v_add_lshl_u32 v5, v4, v1, 2
	ds_bpermute_b32 v10, v5, v6
	ds_bpermute_b32 v4, v5, v2
	ds_bpermute_b32 v5, v5, v3
	v_add_u32_e32 v11, 4, v8
	v_cmp_lt_u32_e32 vcc, v11, v9
	s_and_saveexec_b64 s[4:5], vcc
	s_cbranch_execz .LBB122_31
; %bb.30:
	s_waitcnt lgkmcnt(2)
	v_and_b32_e32 v11, 1, v10
	s_waitcnt lgkmcnt(0)
	v_cmp_lt_i64_e32 vcc, v[4:5], v[2:3]
	v_cmp_eq_u32_e64 s[0:1], 1, v11
	v_and_b32_e32 v6, 1, v7
	s_and_b64 vcc, s[0:1], vcc
	v_cndmask_b32_e64 v7, v7, 1, s[0:1]
	v_cndmask_b32_e32 v2, v2, v4, vcc
	v_cndmask_b32_e32 v3, v3, v5, vcc
	v_cmp_eq_u32_e32 vcc, 1, v6
	v_cndmask_b32_e32 v7, v10, v7, vcc
	v_cndmask_b32_e32 v3, v5, v3, vcc
	v_cndmask_b32_e32 v2, v4, v2, vcc
	v_and_b32_e32 v6, 0xff, v7
.LBB122_31:
	s_or_b64 exec, exec, s[4:5]
	v_cmp_gt_u32_e32 vcc, 56, v8
	s_waitcnt lgkmcnt(1)
	v_cndmask_b32_e64 v4, 0, 1, vcc
	v_lshlrev_b32_e32 v4, 3, v4
	s_waitcnt lgkmcnt(0)
	;; [unrolled: 31-line block ×4, first 2 shown]
	v_add_lshl_u32 v5, v4, v1, 2
	ds_bpermute_b32 v10, v5, v6
	ds_bpermute_b32 v4, v5, v2
	;; [unrolled: 1-line block ×3, first 2 shown]
	v_add_u32_e32 v8, 32, v8
	v_cmp_lt_u32_e32 vcc, v8, v9
	s_and_saveexec_b64 s[4:5], vcc
	s_cbranch_execz .LBB122_37
; %bb.36:
	s_waitcnt lgkmcnt(2)
	v_and_b32_e32 v8, 1, v10
	s_waitcnt lgkmcnt(0)
	v_cmp_lt_i64_e32 vcc, v[4:5], v[2:3]
	v_cmp_eq_u32_e64 s[0:1], 1, v8
	v_and_b32_e32 v6, 1, v7
	s_and_b64 vcc, s[0:1], vcc
	v_cndmask_b32_e64 v7, v7, 1, s[0:1]
	v_cndmask_b32_e32 v2, v2, v4, vcc
	v_cndmask_b32_e32 v3, v3, v5, vcc
	v_cmp_eq_u32_e32 vcc, 1, v6
	v_cndmask_b32_e32 v7, v10, v7, vcc
	v_cndmask_b32_e32 v3, v5, v3, vcc
	;; [unrolled: 1-line block ×3, first 2 shown]
	v_and_b32_e32 v6, 0xff, v7
.LBB122_37:
	s_or_b64 exec, exec, s[4:5]
	v_cmp_eq_u32_e32 vcc, 0, v1
	s_and_saveexec_b64 s[0:1], vcc
	s_cbranch_execz .LBB122_39
; %bb.38:
	s_waitcnt lgkmcnt(1)
	v_lshrrev_b32_e32 v4, 2, v0
	v_and_b32_e32 v4, 48, v4
	ds_write_b8 v4, v7 offset:64
	ds_write_b64 v4, v[2:3] offset:72
.LBB122_39:
	s_or_b64 exec, exec, s[0:1]
	v_cmp_gt_u32_e32 vcc, 4, v0
	s_waitcnt lgkmcnt(0)
	s_barrier
	s_and_saveexec_b64 s[4:5], vcc
	s_cbranch_execz .LBB122_45
; %bb.40:
	v_lshlrev_b32_e32 v2, 4, v1
	ds_read_u8 v7, v2 offset:64
	ds_read_b64 v[2:3], v2 offset:72
	v_and_b32_e32 v8, 3, v1
	v_cmp_ne_u32_e32 vcc, 3, v8
	v_addc_co_u32_e32 v4, vcc, 0, v1, vcc
	s_waitcnt lgkmcnt(1)
	v_and_b32_e32 v6, 0xff, v7
	v_lshlrev_b32_e32 v5, 2, v4
	ds_bpermute_b32 v9, v5, v6
	s_waitcnt lgkmcnt(1)
	ds_bpermute_b32 v4, v5, v2
	ds_bpermute_b32 v5, v5, v3
	s_add_i32 s8, s8, 63
	s_lshr_b32 s11, s8, 6
	v_add_u32_e32 v10, 1, v8
	v_cmp_gt_u32_e32 vcc, s11, v10
	s_and_saveexec_b64 s[8:9], vcc
	s_cbranch_execz .LBB122_42
; %bb.41:
	s_waitcnt lgkmcnt(2)
	v_and_b32_e32 v10, 1, v9
	s_waitcnt lgkmcnt(0)
	v_cmp_lt_i64_e32 vcc, v[4:5], v[2:3]
	v_cmp_eq_u32_e64 s[0:1], 1, v10
	v_and_b32_e32 v6, 1, v7
	s_and_b64 vcc, s[0:1], vcc
	v_cndmask_b32_e64 v7, v7, 1, s[0:1]
	v_cndmask_b32_e32 v2, v2, v4, vcc
	v_cndmask_b32_e32 v3, v3, v5, vcc
	v_cmp_eq_u32_e32 vcc, 1, v6
	v_cndmask_b32_e32 v7, v9, v7, vcc
	v_cndmask_b32_e32 v3, v5, v3, vcc
	;; [unrolled: 1-line block ×3, first 2 shown]
	v_and_b32_e32 v6, 0xff, v7
.LBB122_42:
	s_or_b64 exec, exec, s[8:9]
	v_cmp_gt_u32_e32 vcc, 2, v8
	s_waitcnt lgkmcnt(1)
	v_cndmask_b32_e64 v4, 0, 1, vcc
	v_lshlrev_b32_e32 v4, 1, v4
	s_waitcnt lgkmcnt(0)
	v_add_lshl_u32 v5, v4, v1, 2
	ds_bpermute_b32 v1, v5, v6
	ds_bpermute_b32 v4, v5, v2
	;; [unrolled: 1-line block ×3, first 2 shown]
	v_add_u32_e32 v8, 2, v8
	v_cmp_gt_u32_e32 vcc, s11, v8
	s_and_saveexec_b64 s[8:9], vcc
	s_cbranch_execz .LBB122_44
; %bb.43:
	s_waitcnt lgkmcnt(2)
	v_and_b32_e32 v8, 1, v1
	s_waitcnt lgkmcnt(0)
	v_cmp_lt_i64_e32 vcc, v[4:5], v[2:3]
	v_cmp_eq_u32_e64 s[0:1], 1, v8
	v_and_b32_e32 v6, 1, v7
	s_and_b64 vcc, s[0:1], vcc
	v_cndmask_b32_e64 v7, v7, 1, s[0:1]
	v_cndmask_b32_e32 v2, v2, v4, vcc
	v_cndmask_b32_e32 v3, v3, v5, vcc
	v_cmp_eq_u32_e32 vcc, 1, v6
	v_cndmask_b32_e32 v1, v1, v7, vcc
	v_cndmask_b32_e32 v3, v5, v3, vcc
	v_cndmask_b32_e32 v2, v4, v2, vcc
	v_and_b32_e32 v6, 0xff, v1
.LBB122_44:
	s_or_b64 exec, exec, s[8:9]
.LBB122_45:
	s_or_b64 exec, exec, s[4:5]
.LBB122_46:
	v_cmp_eq_u32_e32 vcc, 0, v0
	s_and_saveexec_b64 s[0:1], vcc
	s_cbranch_execnz .LBB122_48
; %bb.47:
	s_endpgm
.LBB122_48:
	s_mul_i32 s0, s18, s17
	s_mul_hi_u32 s1, s18, s16
	s_add_i32 s0, s1, s0
	s_mul_i32 s1, s19, s16
	s_add_i32 s1, s0, s1
	s_mul_i32 s0, s18, s16
	s_lshl_b64 s[0:1], s[0:1], 4
	s_add_u32 s4, s14, s0
	s_addc_u32 s5, s15, s1
	s_cmp_eq_u64 s[12:13], 0
	s_waitcnt lgkmcnt(0)
	v_mov_b32_e32 v0, s3
	s_cselect_b64 vcc, -1, 0
	v_cndmask_b32_e32 v1, v3, v0, vcc
	v_mov_b32_e32 v0, s2
	s_lshl_b64 s[0:1], s[6:7], 4
	v_cndmask_b32_e32 v0, v2, v0, vcc
	v_mov_b32_e32 v2, s10
	s_add_u32 s0, s4, s0
	v_cndmask_b32_e32 v2, v6, v2, vcc
	s_addc_u32 s1, s5, s1
	v_mov_b32_e32 v3, 0
	global_store_byte v3, v2, s[0:1]
	global_store_dwordx2 v3, v[0:1], s[0:1] offset:8
	s_endpgm
	.section	.rodata,"a",@progbits
	.p2align	6, 0x0
	.amdhsa_kernel _ZN7rocprim17ROCPRIM_400000_NS6detail17trampoline_kernelINS0_14default_configENS1_22reduce_config_selectorIN6thrust23THRUST_200600_302600_NS5tupleIblNS6_9null_typeES8_S8_S8_S8_S8_S8_S8_EEEEZNS1_11reduce_implILb1ES3_NS6_12zip_iteratorINS7_INS6_11hip_rocprim26transform_input_iterator_tIbNSD_35transform_pair_of_input_iterators_tIbNS6_6detail15normal_iteratorINS6_10device_ptrIKiEEEESL_NS6_8equal_toIiEEEENSG_9not_fun_tINSD_8identityEEEEENSD_19counting_iterator_tIlEES8_S8_S8_S8_S8_S8_S8_S8_EEEEPS9_S9_NSD_9__find_if7functorIS9_EEEE10hipError_tPvRmT1_T2_T3_mT4_P12ihipStream_tbEUlT_E0_NS1_11comp_targetILNS1_3genE4ELNS1_11target_archE910ELNS1_3gpuE8ELNS1_3repE0EEENS1_30default_config_static_selectorELNS0_4arch9wavefront6targetE1EEEvS14_
		.amdhsa_group_segment_fixed_size 128
		.amdhsa_private_segment_fixed_size 0
		.amdhsa_kernarg_size 104
		.amdhsa_user_sgpr_count 6
		.amdhsa_user_sgpr_private_segment_buffer 1
		.amdhsa_user_sgpr_dispatch_ptr 0
		.amdhsa_user_sgpr_queue_ptr 0
		.amdhsa_user_sgpr_kernarg_segment_ptr 1
		.amdhsa_user_sgpr_dispatch_id 0
		.amdhsa_user_sgpr_flat_scratch_init 0
		.amdhsa_user_sgpr_kernarg_preload_length 0
		.amdhsa_user_sgpr_kernarg_preload_offset 0
		.amdhsa_user_sgpr_private_segment_size 0
		.amdhsa_uses_dynamic_stack 0
		.amdhsa_system_sgpr_private_segment_wavefront_offset 0
		.amdhsa_system_sgpr_workgroup_id_x 1
		.amdhsa_system_sgpr_workgroup_id_y 0
		.amdhsa_system_sgpr_workgroup_id_z 0
		.amdhsa_system_sgpr_workgroup_info 0
		.amdhsa_system_vgpr_workitem_id 0
		.amdhsa_next_free_vgpr 12
		.amdhsa_next_free_sgpr 28
		.amdhsa_accum_offset 12
		.amdhsa_reserve_vcc 1
		.amdhsa_reserve_flat_scratch 0
		.amdhsa_float_round_mode_32 0
		.amdhsa_float_round_mode_16_64 0
		.amdhsa_float_denorm_mode_32 3
		.amdhsa_float_denorm_mode_16_64 3
		.amdhsa_dx10_clamp 1
		.amdhsa_ieee_mode 1
		.amdhsa_fp16_overflow 0
		.amdhsa_tg_split 0
		.amdhsa_exception_fp_ieee_invalid_op 0
		.amdhsa_exception_fp_denorm_src 0
		.amdhsa_exception_fp_ieee_div_zero 0
		.amdhsa_exception_fp_ieee_overflow 0
		.amdhsa_exception_fp_ieee_underflow 0
		.amdhsa_exception_fp_ieee_inexact 0
		.amdhsa_exception_int_div_zero 0
	.end_amdhsa_kernel
	.section	.text._ZN7rocprim17ROCPRIM_400000_NS6detail17trampoline_kernelINS0_14default_configENS1_22reduce_config_selectorIN6thrust23THRUST_200600_302600_NS5tupleIblNS6_9null_typeES8_S8_S8_S8_S8_S8_S8_EEEEZNS1_11reduce_implILb1ES3_NS6_12zip_iteratorINS7_INS6_11hip_rocprim26transform_input_iterator_tIbNSD_35transform_pair_of_input_iterators_tIbNS6_6detail15normal_iteratorINS6_10device_ptrIKiEEEESL_NS6_8equal_toIiEEEENSG_9not_fun_tINSD_8identityEEEEENSD_19counting_iterator_tIlEES8_S8_S8_S8_S8_S8_S8_S8_EEEEPS9_S9_NSD_9__find_if7functorIS9_EEEE10hipError_tPvRmT1_T2_T3_mT4_P12ihipStream_tbEUlT_E0_NS1_11comp_targetILNS1_3genE4ELNS1_11target_archE910ELNS1_3gpuE8ELNS1_3repE0EEENS1_30default_config_static_selectorELNS0_4arch9wavefront6targetE1EEEvS14_,"axG",@progbits,_ZN7rocprim17ROCPRIM_400000_NS6detail17trampoline_kernelINS0_14default_configENS1_22reduce_config_selectorIN6thrust23THRUST_200600_302600_NS5tupleIblNS6_9null_typeES8_S8_S8_S8_S8_S8_S8_EEEEZNS1_11reduce_implILb1ES3_NS6_12zip_iteratorINS7_INS6_11hip_rocprim26transform_input_iterator_tIbNSD_35transform_pair_of_input_iterators_tIbNS6_6detail15normal_iteratorINS6_10device_ptrIKiEEEESL_NS6_8equal_toIiEEEENSG_9not_fun_tINSD_8identityEEEEENSD_19counting_iterator_tIlEES8_S8_S8_S8_S8_S8_S8_S8_EEEEPS9_S9_NSD_9__find_if7functorIS9_EEEE10hipError_tPvRmT1_T2_T3_mT4_P12ihipStream_tbEUlT_E0_NS1_11comp_targetILNS1_3genE4ELNS1_11target_archE910ELNS1_3gpuE8ELNS1_3repE0EEENS1_30default_config_static_selectorELNS0_4arch9wavefront6targetE1EEEvS14_,comdat
.Lfunc_end122:
	.size	_ZN7rocprim17ROCPRIM_400000_NS6detail17trampoline_kernelINS0_14default_configENS1_22reduce_config_selectorIN6thrust23THRUST_200600_302600_NS5tupleIblNS6_9null_typeES8_S8_S8_S8_S8_S8_S8_EEEEZNS1_11reduce_implILb1ES3_NS6_12zip_iteratorINS7_INS6_11hip_rocprim26transform_input_iterator_tIbNSD_35transform_pair_of_input_iterators_tIbNS6_6detail15normal_iteratorINS6_10device_ptrIKiEEEESL_NS6_8equal_toIiEEEENSG_9not_fun_tINSD_8identityEEEEENSD_19counting_iterator_tIlEES8_S8_S8_S8_S8_S8_S8_S8_EEEEPS9_S9_NSD_9__find_if7functorIS9_EEEE10hipError_tPvRmT1_T2_T3_mT4_P12ihipStream_tbEUlT_E0_NS1_11comp_targetILNS1_3genE4ELNS1_11target_archE910ELNS1_3gpuE8ELNS1_3repE0EEENS1_30default_config_static_selectorELNS0_4arch9wavefront6targetE1EEEvS14_, .Lfunc_end122-_ZN7rocprim17ROCPRIM_400000_NS6detail17trampoline_kernelINS0_14default_configENS1_22reduce_config_selectorIN6thrust23THRUST_200600_302600_NS5tupleIblNS6_9null_typeES8_S8_S8_S8_S8_S8_S8_EEEEZNS1_11reduce_implILb1ES3_NS6_12zip_iteratorINS7_INS6_11hip_rocprim26transform_input_iterator_tIbNSD_35transform_pair_of_input_iterators_tIbNS6_6detail15normal_iteratorINS6_10device_ptrIKiEEEESL_NS6_8equal_toIiEEEENSG_9not_fun_tINSD_8identityEEEEENSD_19counting_iterator_tIlEES8_S8_S8_S8_S8_S8_S8_S8_EEEEPS9_S9_NSD_9__find_if7functorIS9_EEEE10hipError_tPvRmT1_T2_T3_mT4_P12ihipStream_tbEUlT_E0_NS1_11comp_targetILNS1_3genE4ELNS1_11target_archE910ELNS1_3gpuE8ELNS1_3repE0EEENS1_30default_config_static_selectorELNS0_4arch9wavefront6targetE1EEEvS14_
                                        ; -- End function
	.section	.AMDGPU.csdata,"",@progbits
; Kernel info:
; codeLenInByte = 2844
; NumSgprs: 32
; NumVgprs: 12
; NumAgprs: 0
; TotalNumVgprs: 12
; ScratchSize: 0
; MemoryBound: 0
; FloatMode: 240
; IeeeMode: 1
; LDSByteSize: 128 bytes/workgroup (compile time only)
; SGPRBlocks: 3
; VGPRBlocks: 1
; NumSGPRsForWavesPerEU: 32
; NumVGPRsForWavesPerEU: 12
; AccumOffset: 12
; Occupancy: 8
; WaveLimiterHint : 0
; COMPUTE_PGM_RSRC2:SCRATCH_EN: 0
; COMPUTE_PGM_RSRC2:USER_SGPR: 6
; COMPUTE_PGM_RSRC2:TRAP_HANDLER: 0
; COMPUTE_PGM_RSRC2:TGID_X_EN: 1
; COMPUTE_PGM_RSRC2:TGID_Y_EN: 0
; COMPUTE_PGM_RSRC2:TGID_Z_EN: 0
; COMPUTE_PGM_RSRC2:TIDIG_COMP_CNT: 0
; COMPUTE_PGM_RSRC3_GFX90A:ACCUM_OFFSET: 2
; COMPUTE_PGM_RSRC3_GFX90A:TG_SPLIT: 0
	.section	.text._ZN7rocprim17ROCPRIM_400000_NS6detail17trampoline_kernelINS0_14default_configENS1_22reduce_config_selectorIN6thrust23THRUST_200600_302600_NS5tupleIblNS6_9null_typeES8_S8_S8_S8_S8_S8_S8_EEEEZNS1_11reduce_implILb1ES3_NS6_12zip_iteratorINS7_INS6_11hip_rocprim26transform_input_iterator_tIbNSD_35transform_pair_of_input_iterators_tIbNS6_6detail15normal_iteratorINS6_10device_ptrIKiEEEESL_NS6_8equal_toIiEEEENSG_9not_fun_tINSD_8identityEEEEENSD_19counting_iterator_tIlEES8_S8_S8_S8_S8_S8_S8_S8_EEEEPS9_S9_NSD_9__find_if7functorIS9_EEEE10hipError_tPvRmT1_T2_T3_mT4_P12ihipStream_tbEUlT_E0_NS1_11comp_targetILNS1_3genE3ELNS1_11target_archE908ELNS1_3gpuE7ELNS1_3repE0EEENS1_30default_config_static_selectorELNS0_4arch9wavefront6targetE1EEEvS14_,"axG",@progbits,_ZN7rocprim17ROCPRIM_400000_NS6detail17trampoline_kernelINS0_14default_configENS1_22reduce_config_selectorIN6thrust23THRUST_200600_302600_NS5tupleIblNS6_9null_typeES8_S8_S8_S8_S8_S8_S8_EEEEZNS1_11reduce_implILb1ES3_NS6_12zip_iteratorINS7_INS6_11hip_rocprim26transform_input_iterator_tIbNSD_35transform_pair_of_input_iterators_tIbNS6_6detail15normal_iteratorINS6_10device_ptrIKiEEEESL_NS6_8equal_toIiEEEENSG_9not_fun_tINSD_8identityEEEEENSD_19counting_iterator_tIlEES8_S8_S8_S8_S8_S8_S8_S8_EEEEPS9_S9_NSD_9__find_if7functorIS9_EEEE10hipError_tPvRmT1_T2_T3_mT4_P12ihipStream_tbEUlT_E0_NS1_11comp_targetILNS1_3genE3ELNS1_11target_archE908ELNS1_3gpuE7ELNS1_3repE0EEENS1_30default_config_static_selectorELNS0_4arch9wavefront6targetE1EEEvS14_,comdat
	.protected	_ZN7rocprim17ROCPRIM_400000_NS6detail17trampoline_kernelINS0_14default_configENS1_22reduce_config_selectorIN6thrust23THRUST_200600_302600_NS5tupleIblNS6_9null_typeES8_S8_S8_S8_S8_S8_S8_EEEEZNS1_11reduce_implILb1ES3_NS6_12zip_iteratorINS7_INS6_11hip_rocprim26transform_input_iterator_tIbNSD_35transform_pair_of_input_iterators_tIbNS6_6detail15normal_iteratorINS6_10device_ptrIKiEEEESL_NS6_8equal_toIiEEEENSG_9not_fun_tINSD_8identityEEEEENSD_19counting_iterator_tIlEES8_S8_S8_S8_S8_S8_S8_S8_EEEEPS9_S9_NSD_9__find_if7functorIS9_EEEE10hipError_tPvRmT1_T2_T3_mT4_P12ihipStream_tbEUlT_E0_NS1_11comp_targetILNS1_3genE3ELNS1_11target_archE908ELNS1_3gpuE7ELNS1_3repE0EEENS1_30default_config_static_selectorELNS0_4arch9wavefront6targetE1EEEvS14_ ; -- Begin function _ZN7rocprim17ROCPRIM_400000_NS6detail17trampoline_kernelINS0_14default_configENS1_22reduce_config_selectorIN6thrust23THRUST_200600_302600_NS5tupleIblNS6_9null_typeES8_S8_S8_S8_S8_S8_S8_EEEEZNS1_11reduce_implILb1ES3_NS6_12zip_iteratorINS7_INS6_11hip_rocprim26transform_input_iterator_tIbNSD_35transform_pair_of_input_iterators_tIbNS6_6detail15normal_iteratorINS6_10device_ptrIKiEEEESL_NS6_8equal_toIiEEEENSG_9not_fun_tINSD_8identityEEEEENSD_19counting_iterator_tIlEES8_S8_S8_S8_S8_S8_S8_S8_EEEEPS9_S9_NSD_9__find_if7functorIS9_EEEE10hipError_tPvRmT1_T2_T3_mT4_P12ihipStream_tbEUlT_E0_NS1_11comp_targetILNS1_3genE3ELNS1_11target_archE908ELNS1_3gpuE7ELNS1_3repE0EEENS1_30default_config_static_selectorELNS0_4arch9wavefront6targetE1EEEvS14_
	.globl	_ZN7rocprim17ROCPRIM_400000_NS6detail17trampoline_kernelINS0_14default_configENS1_22reduce_config_selectorIN6thrust23THRUST_200600_302600_NS5tupleIblNS6_9null_typeES8_S8_S8_S8_S8_S8_S8_EEEEZNS1_11reduce_implILb1ES3_NS6_12zip_iteratorINS7_INS6_11hip_rocprim26transform_input_iterator_tIbNSD_35transform_pair_of_input_iterators_tIbNS6_6detail15normal_iteratorINS6_10device_ptrIKiEEEESL_NS6_8equal_toIiEEEENSG_9not_fun_tINSD_8identityEEEEENSD_19counting_iterator_tIlEES8_S8_S8_S8_S8_S8_S8_S8_EEEEPS9_S9_NSD_9__find_if7functorIS9_EEEE10hipError_tPvRmT1_T2_T3_mT4_P12ihipStream_tbEUlT_E0_NS1_11comp_targetILNS1_3genE3ELNS1_11target_archE908ELNS1_3gpuE7ELNS1_3repE0EEENS1_30default_config_static_selectorELNS0_4arch9wavefront6targetE1EEEvS14_
	.p2align	8
	.type	_ZN7rocprim17ROCPRIM_400000_NS6detail17trampoline_kernelINS0_14default_configENS1_22reduce_config_selectorIN6thrust23THRUST_200600_302600_NS5tupleIblNS6_9null_typeES8_S8_S8_S8_S8_S8_S8_EEEEZNS1_11reduce_implILb1ES3_NS6_12zip_iteratorINS7_INS6_11hip_rocprim26transform_input_iterator_tIbNSD_35transform_pair_of_input_iterators_tIbNS6_6detail15normal_iteratorINS6_10device_ptrIKiEEEESL_NS6_8equal_toIiEEEENSG_9not_fun_tINSD_8identityEEEEENSD_19counting_iterator_tIlEES8_S8_S8_S8_S8_S8_S8_S8_EEEEPS9_S9_NSD_9__find_if7functorIS9_EEEE10hipError_tPvRmT1_T2_T3_mT4_P12ihipStream_tbEUlT_E0_NS1_11comp_targetILNS1_3genE3ELNS1_11target_archE908ELNS1_3gpuE7ELNS1_3repE0EEENS1_30default_config_static_selectorELNS0_4arch9wavefront6targetE1EEEvS14_,@function
_ZN7rocprim17ROCPRIM_400000_NS6detail17trampoline_kernelINS0_14default_configENS1_22reduce_config_selectorIN6thrust23THRUST_200600_302600_NS5tupleIblNS6_9null_typeES8_S8_S8_S8_S8_S8_S8_EEEEZNS1_11reduce_implILb1ES3_NS6_12zip_iteratorINS7_INS6_11hip_rocprim26transform_input_iterator_tIbNSD_35transform_pair_of_input_iterators_tIbNS6_6detail15normal_iteratorINS6_10device_ptrIKiEEEESL_NS6_8equal_toIiEEEENSG_9not_fun_tINSD_8identityEEEEENSD_19counting_iterator_tIlEES8_S8_S8_S8_S8_S8_S8_S8_EEEEPS9_S9_NSD_9__find_if7functorIS9_EEEE10hipError_tPvRmT1_T2_T3_mT4_P12ihipStream_tbEUlT_E0_NS1_11comp_targetILNS1_3genE3ELNS1_11target_archE908ELNS1_3gpuE7ELNS1_3repE0EEENS1_30default_config_static_selectorELNS0_4arch9wavefront6targetE1EEEvS14_: ; @_ZN7rocprim17ROCPRIM_400000_NS6detail17trampoline_kernelINS0_14default_configENS1_22reduce_config_selectorIN6thrust23THRUST_200600_302600_NS5tupleIblNS6_9null_typeES8_S8_S8_S8_S8_S8_S8_EEEEZNS1_11reduce_implILb1ES3_NS6_12zip_iteratorINS7_INS6_11hip_rocprim26transform_input_iterator_tIbNSD_35transform_pair_of_input_iterators_tIbNS6_6detail15normal_iteratorINS6_10device_ptrIKiEEEESL_NS6_8equal_toIiEEEENSG_9not_fun_tINSD_8identityEEEEENSD_19counting_iterator_tIlEES8_S8_S8_S8_S8_S8_S8_S8_EEEEPS9_S9_NSD_9__find_if7functorIS9_EEEE10hipError_tPvRmT1_T2_T3_mT4_P12ihipStream_tbEUlT_E0_NS1_11comp_targetILNS1_3genE3ELNS1_11target_archE908ELNS1_3gpuE7ELNS1_3repE0EEENS1_30default_config_static_selectorELNS0_4arch9wavefront6targetE1EEEvS14_
; %bb.0:
	.section	.rodata,"a",@progbits
	.p2align	6, 0x0
	.amdhsa_kernel _ZN7rocprim17ROCPRIM_400000_NS6detail17trampoline_kernelINS0_14default_configENS1_22reduce_config_selectorIN6thrust23THRUST_200600_302600_NS5tupleIblNS6_9null_typeES8_S8_S8_S8_S8_S8_S8_EEEEZNS1_11reduce_implILb1ES3_NS6_12zip_iteratorINS7_INS6_11hip_rocprim26transform_input_iterator_tIbNSD_35transform_pair_of_input_iterators_tIbNS6_6detail15normal_iteratorINS6_10device_ptrIKiEEEESL_NS6_8equal_toIiEEEENSG_9not_fun_tINSD_8identityEEEEENSD_19counting_iterator_tIlEES8_S8_S8_S8_S8_S8_S8_S8_EEEEPS9_S9_NSD_9__find_if7functorIS9_EEEE10hipError_tPvRmT1_T2_T3_mT4_P12ihipStream_tbEUlT_E0_NS1_11comp_targetILNS1_3genE3ELNS1_11target_archE908ELNS1_3gpuE7ELNS1_3repE0EEENS1_30default_config_static_selectorELNS0_4arch9wavefront6targetE1EEEvS14_
		.amdhsa_group_segment_fixed_size 0
		.amdhsa_private_segment_fixed_size 0
		.amdhsa_kernarg_size 104
		.amdhsa_user_sgpr_count 6
		.amdhsa_user_sgpr_private_segment_buffer 1
		.amdhsa_user_sgpr_dispatch_ptr 0
		.amdhsa_user_sgpr_queue_ptr 0
		.amdhsa_user_sgpr_kernarg_segment_ptr 1
		.amdhsa_user_sgpr_dispatch_id 0
		.amdhsa_user_sgpr_flat_scratch_init 0
		.amdhsa_user_sgpr_kernarg_preload_length 0
		.amdhsa_user_sgpr_kernarg_preload_offset 0
		.amdhsa_user_sgpr_private_segment_size 0
		.amdhsa_uses_dynamic_stack 0
		.amdhsa_system_sgpr_private_segment_wavefront_offset 0
		.amdhsa_system_sgpr_workgroup_id_x 1
		.amdhsa_system_sgpr_workgroup_id_y 0
		.amdhsa_system_sgpr_workgroup_id_z 0
		.amdhsa_system_sgpr_workgroup_info 0
		.amdhsa_system_vgpr_workitem_id 0
		.amdhsa_next_free_vgpr 1
		.amdhsa_next_free_sgpr 0
		.amdhsa_accum_offset 4
		.amdhsa_reserve_vcc 0
		.amdhsa_reserve_flat_scratch 0
		.amdhsa_float_round_mode_32 0
		.amdhsa_float_round_mode_16_64 0
		.amdhsa_float_denorm_mode_32 3
		.amdhsa_float_denorm_mode_16_64 3
		.amdhsa_dx10_clamp 1
		.amdhsa_ieee_mode 1
		.amdhsa_fp16_overflow 0
		.amdhsa_tg_split 0
		.amdhsa_exception_fp_ieee_invalid_op 0
		.amdhsa_exception_fp_denorm_src 0
		.amdhsa_exception_fp_ieee_div_zero 0
		.amdhsa_exception_fp_ieee_overflow 0
		.amdhsa_exception_fp_ieee_underflow 0
		.amdhsa_exception_fp_ieee_inexact 0
		.amdhsa_exception_int_div_zero 0
	.end_amdhsa_kernel
	.section	.text._ZN7rocprim17ROCPRIM_400000_NS6detail17trampoline_kernelINS0_14default_configENS1_22reduce_config_selectorIN6thrust23THRUST_200600_302600_NS5tupleIblNS6_9null_typeES8_S8_S8_S8_S8_S8_S8_EEEEZNS1_11reduce_implILb1ES3_NS6_12zip_iteratorINS7_INS6_11hip_rocprim26transform_input_iterator_tIbNSD_35transform_pair_of_input_iterators_tIbNS6_6detail15normal_iteratorINS6_10device_ptrIKiEEEESL_NS6_8equal_toIiEEEENSG_9not_fun_tINSD_8identityEEEEENSD_19counting_iterator_tIlEES8_S8_S8_S8_S8_S8_S8_S8_EEEEPS9_S9_NSD_9__find_if7functorIS9_EEEE10hipError_tPvRmT1_T2_T3_mT4_P12ihipStream_tbEUlT_E0_NS1_11comp_targetILNS1_3genE3ELNS1_11target_archE908ELNS1_3gpuE7ELNS1_3repE0EEENS1_30default_config_static_selectorELNS0_4arch9wavefront6targetE1EEEvS14_,"axG",@progbits,_ZN7rocprim17ROCPRIM_400000_NS6detail17trampoline_kernelINS0_14default_configENS1_22reduce_config_selectorIN6thrust23THRUST_200600_302600_NS5tupleIblNS6_9null_typeES8_S8_S8_S8_S8_S8_S8_EEEEZNS1_11reduce_implILb1ES3_NS6_12zip_iteratorINS7_INS6_11hip_rocprim26transform_input_iterator_tIbNSD_35transform_pair_of_input_iterators_tIbNS6_6detail15normal_iteratorINS6_10device_ptrIKiEEEESL_NS6_8equal_toIiEEEENSG_9not_fun_tINSD_8identityEEEEENSD_19counting_iterator_tIlEES8_S8_S8_S8_S8_S8_S8_S8_EEEEPS9_S9_NSD_9__find_if7functorIS9_EEEE10hipError_tPvRmT1_T2_T3_mT4_P12ihipStream_tbEUlT_E0_NS1_11comp_targetILNS1_3genE3ELNS1_11target_archE908ELNS1_3gpuE7ELNS1_3repE0EEENS1_30default_config_static_selectorELNS0_4arch9wavefront6targetE1EEEvS14_,comdat
.Lfunc_end123:
	.size	_ZN7rocprim17ROCPRIM_400000_NS6detail17trampoline_kernelINS0_14default_configENS1_22reduce_config_selectorIN6thrust23THRUST_200600_302600_NS5tupleIblNS6_9null_typeES8_S8_S8_S8_S8_S8_S8_EEEEZNS1_11reduce_implILb1ES3_NS6_12zip_iteratorINS7_INS6_11hip_rocprim26transform_input_iterator_tIbNSD_35transform_pair_of_input_iterators_tIbNS6_6detail15normal_iteratorINS6_10device_ptrIKiEEEESL_NS6_8equal_toIiEEEENSG_9not_fun_tINSD_8identityEEEEENSD_19counting_iterator_tIlEES8_S8_S8_S8_S8_S8_S8_S8_EEEEPS9_S9_NSD_9__find_if7functorIS9_EEEE10hipError_tPvRmT1_T2_T3_mT4_P12ihipStream_tbEUlT_E0_NS1_11comp_targetILNS1_3genE3ELNS1_11target_archE908ELNS1_3gpuE7ELNS1_3repE0EEENS1_30default_config_static_selectorELNS0_4arch9wavefront6targetE1EEEvS14_, .Lfunc_end123-_ZN7rocprim17ROCPRIM_400000_NS6detail17trampoline_kernelINS0_14default_configENS1_22reduce_config_selectorIN6thrust23THRUST_200600_302600_NS5tupleIblNS6_9null_typeES8_S8_S8_S8_S8_S8_S8_EEEEZNS1_11reduce_implILb1ES3_NS6_12zip_iteratorINS7_INS6_11hip_rocprim26transform_input_iterator_tIbNSD_35transform_pair_of_input_iterators_tIbNS6_6detail15normal_iteratorINS6_10device_ptrIKiEEEESL_NS6_8equal_toIiEEEENSG_9not_fun_tINSD_8identityEEEEENSD_19counting_iterator_tIlEES8_S8_S8_S8_S8_S8_S8_S8_EEEEPS9_S9_NSD_9__find_if7functorIS9_EEEE10hipError_tPvRmT1_T2_T3_mT4_P12ihipStream_tbEUlT_E0_NS1_11comp_targetILNS1_3genE3ELNS1_11target_archE908ELNS1_3gpuE7ELNS1_3repE0EEENS1_30default_config_static_selectorELNS0_4arch9wavefront6targetE1EEEvS14_
                                        ; -- End function
	.section	.AMDGPU.csdata,"",@progbits
; Kernel info:
; codeLenInByte = 0
; NumSgprs: 4
; NumVgprs: 0
; NumAgprs: 0
; TotalNumVgprs: 0
; ScratchSize: 0
; MemoryBound: 0
; FloatMode: 240
; IeeeMode: 1
; LDSByteSize: 0 bytes/workgroup (compile time only)
; SGPRBlocks: 0
; VGPRBlocks: 0
; NumSGPRsForWavesPerEU: 4
; NumVGPRsForWavesPerEU: 1
; AccumOffset: 4
; Occupancy: 8
; WaveLimiterHint : 0
; COMPUTE_PGM_RSRC2:SCRATCH_EN: 0
; COMPUTE_PGM_RSRC2:USER_SGPR: 6
; COMPUTE_PGM_RSRC2:TRAP_HANDLER: 0
; COMPUTE_PGM_RSRC2:TGID_X_EN: 1
; COMPUTE_PGM_RSRC2:TGID_Y_EN: 0
; COMPUTE_PGM_RSRC2:TGID_Z_EN: 0
; COMPUTE_PGM_RSRC2:TIDIG_COMP_CNT: 0
; COMPUTE_PGM_RSRC3_GFX90A:ACCUM_OFFSET: 0
; COMPUTE_PGM_RSRC3_GFX90A:TG_SPLIT: 0
	.section	.text._ZN7rocprim17ROCPRIM_400000_NS6detail17trampoline_kernelINS0_14default_configENS1_22reduce_config_selectorIN6thrust23THRUST_200600_302600_NS5tupleIblNS6_9null_typeES8_S8_S8_S8_S8_S8_S8_EEEEZNS1_11reduce_implILb1ES3_NS6_12zip_iteratorINS7_INS6_11hip_rocprim26transform_input_iterator_tIbNSD_35transform_pair_of_input_iterators_tIbNS6_6detail15normal_iteratorINS6_10device_ptrIKiEEEESL_NS6_8equal_toIiEEEENSG_9not_fun_tINSD_8identityEEEEENSD_19counting_iterator_tIlEES8_S8_S8_S8_S8_S8_S8_S8_EEEEPS9_S9_NSD_9__find_if7functorIS9_EEEE10hipError_tPvRmT1_T2_T3_mT4_P12ihipStream_tbEUlT_E0_NS1_11comp_targetILNS1_3genE2ELNS1_11target_archE906ELNS1_3gpuE6ELNS1_3repE0EEENS1_30default_config_static_selectorELNS0_4arch9wavefront6targetE1EEEvS14_,"axG",@progbits,_ZN7rocprim17ROCPRIM_400000_NS6detail17trampoline_kernelINS0_14default_configENS1_22reduce_config_selectorIN6thrust23THRUST_200600_302600_NS5tupleIblNS6_9null_typeES8_S8_S8_S8_S8_S8_S8_EEEEZNS1_11reduce_implILb1ES3_NS6_12zip_iteratorINS7_INS6_11hip_rocprim26transform_input_iterator_tIbNSD_35transform_pair_of_input_iterators_tIbNS6_6detail15normal_iteratorINS6_10device_ptrIKiEEEESL_NS6_8equal_toIiEEEENSG_9not_fun_tINSD_8identityEEEEENSD_19counting_iterator_tIlEES8_S8_S8_S8_S8_S8_S8_S8_EEEEPS9_S9_NSD_9__find_if7functorIS9_EEEE10hipError_tPvRmT1_T2_T3_mT4_P12ihipStream_tbEUlT_E0_NS1_11comp_targetILNS1_3genE2ELNS1_11target_archE906ELNS1_3gpuE6ELNS1_3repE0EEENS1_30default_config_static_selectorELNS0_4arch9wavefront6targetE1EEEvS14_,comdat
	.protected	_ZN7rocprim17ROCPRIM_400000_NS6detail17trampoline_kernelINS0_14default_configENS1_22reduce_config_selectorIN6thrust23THRUST_200600_302600_NS5tupleIblNS6_9null_typeES8_S8_S8_S8_S8_S8_S8_EEEEZNS1_11reduce_implILb1ES3_NS6_12zip_iteratorINS7_INS6_11hip_rocprim26transform_input_iterator_tIbNSD_35transform_pair_of_input_iterators_tIbNS6_6detail15normal_iteratorINS6_10device_ptrIKiEEEESL_NS6_8equal_toIiEEEENSG_9not_fun_tINSD_8identityEEEEENSD_19counting_iterator_tIlEES8_S8_S8_S8_S8_S8_S8_S8_EEEEPS9_S9_NSD_9__find_if7functorIS9_EEEE10hipError_tPvRmT1_T2_T3_mT4_P12ihipStream_tbEUlT_E0_NS1_11comp_targetILNS1_3genE2ELNS1_11target_archE906ELNS1_3gpuE6ELNS1_3repE0EEENS1_30default_config_static_selectorELNS0_4arch9wavefront6targetE1EEEvS14_ ; -- Begin function _ZN7rocprim17ROCPRIM_400000_NS6detail17trampoline_kernelINS0_14default_configENS1_22reduce_config_selectorIN6thrust23THRUST_200600_302600_NS5tupleIblNS6_9null_typeES8_S8_S8_S8_S8_S8_S8_EEEEZNS1_11reduce_implILb1ES3_NS6_12zip_iteratorINS7_INS6_11hip_rocprim26transform_input_iterator_tIbNSD_35transform_pair_of_input_iterators_tIbNS6_6detail15normal_iteratorINS6_10device_ptrIKiEEEESL_NS6_8equal_toIiEEEENSG_9not_fun_tINSD_8identityEEEEENSD_19counting_iterator_tIlEES8_S8_S8_S8_S8_S8_S8_S8_EEEEPS9_S9_NSD_9__find_if7functorIS9_EEEE10hipError_tPvRmT1_T2_T3_mT4_P12ihipStream_tbEUlT_E0_NS1_11comp_targetILNS1_3genE2ELNS1_11target_archE906ELNS1_3gpuE6ELNS1_3repE0EEENS1_30default_config_static_selectorELNS0_4arch9wavefront6targetE1EEEvS14_
	.globl	_ZN7rocprim17ROCPRIM_400000_NS6detail17trampoline_kernelINS0_14default_configENS1_22reduce_config_selectorIN6thrust23THRUST_200600_302600_NS5tupleIblNS6_9null_typeES8_S8_S8_S8_S8_S8_S8_EEEEZNS1_11reduce_implILb1ES3_NS6_12zip_iteratorINS7_INS6_11hip_rocprim26transform_input_iterator_tIbNSD_35transform_pair_of_input_iterators_tIbNS6_6detail15normal_iteratorINS6_10device_ptrIKiEEEESL_NS6_8equal_toIiEEEENSG_9not_fun_tINSD_8identityEEEEENSD_19counting_iterator_tIlEES8_S8_S8_S8_S8_S8_S8_S8_EEEEPS9_S9_NSD_9__find_if7functorIS9_EEEE10hipError_tPvRmT1_T2_T3_mT4_P12ihipStream_tbEUlT_E0_NS1_11comp_targetILNS1_3genE2ELNS1_11target_archE906ELNS1_3gpuE6ELNS1_3repE0EEENS1_30default_config_static_selectorELNS0_4arch9wavefront6targetE1EEEvS14_
	.p2align	8
	.type	_ZN7rocprim17ROCPRIM_400000_NS6detail17trampoline_kernelINS0_14default_configENS1_22reduce_config_selectorIN6thrust23THRUST_200600_302600_NS5tupleIblNS6_9null_typeES8_S8_S8_S8_S8_S8_S8_EEEEZNS1_11reduce_implILb1ES3_NS6_12zip_iteratorINS7_INS6_11hip_rocprim26transform_input_iterator_tIbNSD_35transform_pair_of_input_iterators_tIbNS6_6detail15normal_iteratorINS6_10device_ptrIKiEEEESL_NS6_8equal_toIiEEEENSG_9not_fun_tINSD_8identityEEEEENSD_19counting_iterator_tIlEES8_S8_S8_S8_S8_S8_S8_S8_EEEEPS9_S9_NSD_9__find_if7functorIS9_EEEE10hipError_tPvRmT1_T2_T3_mT4_P12ihipStream_tbEUlT_E0_NS1_11comp_targetILNS1_3genE2ELNS1_11target_archE906ELNS1_3gpuE6ELNS1_3repE0EEENS1_30default_config_static_selectorELNS0_4arch9wavefront6targetE1EEEvS14_,@function
_ZN7rocprim17ROCPRIM_400000_NS6detail17trampoline_kernelINS0_14default_configENS1_22reduce_config_selectorIN6thrust23THRUST_200600_302600_NS5tupleIblNS6_9null_typeES8_S8_S8_S8_S8_S8_S8_EEEEZNS1_11reduce_implILb1ES3_NS6_12zip_iteratorINS7_INS6_11hip_rocprim26transform_input_iterator_tIbNSD_35transform_pair_of_input_iterators_tIbNS6_6detail15normal_iteratorINS6_10device_ptrIKiEEEESL_NS6_8equal_toIiEEEENSG_9not_fun_tINSD_8identityEEEEENSD_19counting_iterator_tIlEES8_S8_S8_S8_S8_S8_S8_S8_EEEEPS9_S9_NSD_9__find_if7functorIS9_EEEE10hipError_tPvRmT1_T2_T3_mT4_P12ihipStream_tbEUlT_E0_NS1_11comp_targetILNS1_3genE2ELNS1_11target_archE906ELNS1_3gpuE6ELNS1_3repE0EEENS1_30default_config_static_selectorELNS0_4arch9wavefront6targetE1EEEvS14_: ; @_ZN7rocprim17ROCPRIM_400000_NS6detail17trampoline_kernelINS0_14default_configENS1_22reduce_config_selectorIN6thrust23THRUST_200600_302600_NS5tupleIblNS6_9null_typeES8_S8_S8_S8_S8_S8_S8_EEEEZNS1_11reduce_implILb1ES3_NS6_12zip_iteratorINS7_INS6_11hip_rocprim26transform_input_iterator_tIbNSD_35transform_pair_of_input_iterators_tIbNS6_6detail15normal_iteratorINS6_10device_ptrIKiEEEESL_NS6_8equal_toIiEEEENSG_9not_fun_tINSD_8identityEEEEENSD_19counting_iterator_tIlEES8_S8_S8_S8_S8_S8_S8_S8_EEEEPS9_S9_NSD_9__find_if7functorIS9_EEEE10hipError_tPvRmT1_T2_T3_mT4_P12ihipStream_tbEUlT_E0_NS1_11comp_targetILNS1_3genE2ELNS1_11target_archE906ELNS1_3gpuE6ELNS1_3repE0EEENS1_30default_config_static_selectorELNS0_4arch9wavefront6targetE1EEEvS14_
; %bb.0:
	.section	.rodata,"a",@progbits
	.p2align	6, 0x0
	.amdhsa_kernel _ZN7rocprim17ROCPRIM_400000_NS6detail17trampoline_kernelINS0_14default_configENS1_22reduce_config_selectorIN6thrust23THRUST_200600_302600_NS5tupleIblNS6_9null_typeES8_S8_S8_S8_S8_S8_S8_EEEEZNS1_11reduce_implILb1ES3_NS6_12zip_iteratorINS7_INS6_11hip_rocprim26transform_input_iterator_tIbNSD_35transform_pair_of_input_iterators_tIbNS6_6detail15normal_iteratorINS6_10device_ptrIKiEEEESL_NS6_8equal_toIiEEEENSG_9not_fun_tINSD_8identityEEEEENSD_19counting_iterator_tIlEES8_S8_S8_S8_S8_S8_S8_S8_EEEEPS9_S9_NSD_9__find_if7functorIS9_EEEE10hipError_tPvRmT1_T2_T3_mT4_P12ihipStream_tbEUlT_E0_NS1_11comp_targetILNS1_3genE2ELNS1_11target_archE906ELNS1_3gpuE6ELNS1_3repE0EEENS1_30default_config_static_selectorELNS0_4arch9wavefront6targetE1EEEvS14_
		.amdhsa_group_segment_fixed_size 0
		.amdhsa_private_segment_fixed_size 0
		.amdhsa_kernarg_size 104
		.amdhsa_user_sgpr_count 6
		.amdhsa_user_sgpr_private_segment_buffer 1
		.amdhsa_user_sgpr_dispatch_ptr 0
		.amdhsa_user_sgpr_queue_ptr 0
		.amdhsa_user_sgpr_kernarg_segment_ptr 1
		.amdhsa_user_sgpr_dispatch_id 0
		.amdhsa_user_sgpr_flat_scratch_init 0
		.amdhsa_user_sgpr_kernarg_preload_length 0
		.amdhsa_user_sgpr_kernarg_preload_offset 0
		.amdhsa_user_sgpr_private_segment_size 0
		.amdhsa_uses_dynamic_stack 0
		.amdhsa_system_sgpr_private_segment_wavefront_offset 0
		.amdhsa_system_sgpr_workgroup_id_x 1
		.amdhsa_system_sgpr_workgroup_id_y 0
		.amdhsa_system_sgpr_workgroup_id_z 0
		.amdhsa_system_sgpr_workgroup_info 0
		.amdhsa_system_vgpr_workitem_id 0
		.amdhsa_next_free_vgpr 1
		.amdhsa_next_free_sgpr 0
		.amdhsa_accum_offset 4
		.amdhsa_reserve_vcc 0
		.amdhsa_reserve_flat_scratch 0
		.amdhsa_float_round_mode_32 0
		.amdhsa_float_round_mode_16_64 0
		.amdhsa_float_denorm_mode_32 3
		.amdhsa_float_denorm_mode_16_64 3
		.amdhsa_dx10_clamp 1
		.amdhsa_ieee_mode 1
		.amdhsa_fp16_overflow 0
		.amdhsa_tg_split 0
		.amdhsa_exception_fp_ieee_invalid_op 0
		.amdhsa_exception_fp_denorm_src 0
		.amdhsa_exception_fp_ieee_div_zero 0
		.amdhsa_exception_fp_ieee_overflow 0
		.amdhsa_exception_fp_ieee_underflow 0
		.amdhsa_exception_fp_ieee_inexact 0
		.amdhsa_exception_int_div_zero 0
	.end_amdhsa_kernel
	.section	.text._ZN7rocprim17ROCPRIM_400000_NS6detail17trampoline_kernelINS0_14default_configENS1_22reduce_config_selectorIN6thrust23THRUST_200600_302600_NS5tupleIblNS6_9null_typeES8_S8_S8_S8_S8_S8_S8_EEEEZNS1_11reduce_implILb1ES3_NS6_12zip_iteratorINS7_INS6_11hip_rocprim26transform_input_iterator_tIbNSD_35transform_pair_of_input_iterators_tIbNS6_6detail15normal_iteratorINS6_10device_ptrIKiEEEESL_NS6_8equal_toIiEEEENSG_9not_fun_tINSD_8identityEEEEENSD_19counting_iterator_tIlEES8_S8_S8_S8_S8_S8_S8_S8_EEEEPS9_S9_NSD_9__find_if7functorIS9_EEEE10hipError_tPvRmT1_T2_T3_mT4_P12ihipStream_tbEUlT_E0_NS1_11comp_targetILNS1_3genE2ELNS1_11target_archE906ELNS1_3gpuE6ELNS1_3repE0EEENS1_30default_config_static_selectorELNS0_4arch9wavefront6targetE1EEEvS14_,"axG",@progbits,_ZN7rocprim17ROCPRIM_400000_NS6detail17trampoline_kernelINS0_14default_configENS1_22reduce_config_selectorIN6thrust23THRUST_200600_302600_NS5tupleIblNS6_9null_typeES8_S8_S8_S8_S8_S8_S8_EEEEZNS1_11reduce_implILb1ES3_NS6_12zip_iteratorINS7_INS6_11hip_rocprim26transform_input_iterator_tIbNSD_35transform_pair_of_input_iterators_tIbNS6_6detail15normal_iteratorINS6_10device_ptrIKiEEEESL_NS6_8equal_toIiEEEENSG_9not_fun_tINSD_8identityEEEEENSD_19counting_iterator_tIlEES8_S8_S8_S8_S8_S8_S8_S8_EEEEPS9_S9_NSD_9__find_if7functorIS9_EEEE10hipError_tPvRmT1_T2_T3_mT4_P12ihipStream_tbEUlT_E0_NS1_11comp_targetILNS1_3genE2ELNS1_11target_archE906ELNS1_3gpuE6ELNS1_3repE0EEENS1_30default_config_static_selectorELNS0_4arch9wavefront6targetE1EEEvS14_,comdat
.Lfunc_end124:
	.size	_ZN7rocprim17ROCPRIM_400000_NS6detail17trampoline_kernelINS0_14default_configENS1_22reduce_config_selectorIN6thrust23THRUST_200600_302600_NS5tupleIblNS6_9null_typeES8_S8_S8_S8_S8_S8_S8_EEEEZNS1_11reduce_implILb1ES3_NS6_12zip_iteratorINS7_INS6_11hip_rocprim26transform_input_iterator_tIbNSD_35transform_pair_of_input_iterators_tIbNS6_6detail15normal_iteratorINS6_10device_ptrIKiEEEESL_NS6_8equal_toIiEEEENSG_9not_fun_tINSD_8identityEEEEENSD_19counting_iterator_tIlEES8_S8_S8_S8_S8_S8_S8_S8_EEEEPS9_S9_NSD_9__find_if7functorIS9_EEEE10hipError_tPvRmT1_T2_T3_mT4_P12ihipStream_tbEUlT_E0_NS1_11comp_targetILNS1_3genE2ELNS1_11target_archE906ELNS1_3gpuE6ELNS1_3repE0EEENS1_30default_config_static_selectorELNS0_4arch9wavefront6targetE1EEEvS14_, .Lfunc_end124-_ZN7rocprim17ROCPRIM_400000_NS6detail17trampoline_kernelINS0_14default_configENS1_22reduce_config_selectorIN6thrust23THRUST_200600_302600_NS5tupleIblNS6_9null_typeES8_S8_S8_S8_S8_S8_S8_EEEEZNS1_11reduce_implILb1ES3_NS6_12zip_iteratorINS7_INS6_11hip_rocprim26transform_input_iterator_tIbNSD_35transform_pair_of_input_iterators_tIbNS6_6detail15normal_iteratorINS6_10device_ptrIKiEEEESL_NS6_8equal_toIiEEEENSG_9not_fun_tINSD_8identityEEEEENSD_19counting_iterator_tIlEES8_S8_S8_S8_S8_S8_S8_S8_EEEEPS9_S9_NSD_9__find_if7functorIS9_EEEE10hipError_tPvRmT1_T2_T3_mT4_P12ihipStream_tbEUlT_E0_NS1_11comp_targetILNS1_3genE2ELNS1_11target_archE906ELNS1_3gpuE6ELNS1_3repE0EEENS1_30default_config_static_selectorELNS0_4arch9wavefront6targetE1EEEvS14_
                                        ; -- End function
	.section	.AMDGPU.csdata,"",@progbits
; Kernel info:
; codeLenInByte = 0
; NumSgprs: 4
; NumVgprs: 0
; NumAgprs: 0
; TotalNumVgprs: 0
; ScratchSize: 0
; MemoryBound: 0
; FloatMode: 240
; IeeeMode: 1
; LDSByteSize: 0 bytes/workgroup (compile time only)
; SGPRBlocks: 0
; VGPRBlocks: 0
; NumSGPRsForWavesPerEU: 4
; NumVGPRsForWavesPerEU: 1
; AccumOffset: 4
; Occupancy: 8
; WaveLimiterHint : 0
; COMPUTE_PGM_RSRC2:SCRATCH_EN: 0
; COMPUTE_PGM_RSRC2:USER_SGPR: 6
; COMPUTE_PGM_RSRC2:TRAP_HANDLER: 0
; COMPUTE_PGM_RSRC2:TGID_X_EN: 1
; COMPUTE_PGM_RSRC2:TGID_Y_EN: 0
; COMPUTE_PGM_RSRC2:TGID_Z_EN: 0
; COMPUTE_PGM_RSRC2:TIDIG_COMP_CNT: 0
; COMPUTE_PGM_RSRC3_GFX90A:ACCUM_OFFSET: 0
; COMPUTE_PGM_RSRC3_GFX90A:TG_SPLIT: 0
	.section	.text._ZN7rocprim17ROCPRIM_400000_NS6detail17trampoline_kernelINS0_14default_configENS1_22reduce_config_selectorIN6thrust23THRUST_200600_302600_NS5tupleIblNS6_9null_typeES8_S8_S8_S8_S8_S8_S8_EEEEZNS1_11reduce_implILb1ES3_NS6_12zip_iteratorINS7_INS6_11hip_rocprim26transform_input_iterator_tIbNSD_35transform_pair_of_input_iterators_tIbNS6_6detail15normal_iteratorINS6_10device_ptrIKiEEEESL_NS6_8equal_toIiEEEENSG_9not_fun_tINSD_8identityEEEEENSD_19counting_iterator_tIlEES8_S8_S8_S8_S8_S8_S8_S8_EEEEPS9_S9_NSD_9__find_if7functorIS9_EEEE10hipError_tPvRmT1_T2_T3_mT4_P12ihipStream_tbEUlT_E0_NS1_11comp_targetILNS1_3genE10ELNS1_11target_archE1201ELNS1_3gpuE5ELNS1_3repE0EEENS1_30default_config_static_selectorELNS0_4arch9wavefront6targetE1EEEvS14_,"axG",@progbits,_ZN7rocprim17ROCPRIM_400000_NS6detail17trampoline_kernelINS0_14default_configENS1_22reduce_config_selectorIN6thrust23THRUST_200600_302600_NS5tupleIblNS6_9null_typeES8_S8_S8_S8_S8_S8_S8_EEEEZNS1_11reduce_implILb1ES3_NS6_12zip_iteratorINS7_INS6_11hip_rocprim26transform_input_iterator_tIbNSD_35transform_pair_of_input_iterators_tIbNS6_6detail15normal_iteratorINS6_10device_ptrIKiEEEESL_NS6_8equal_toIiEEEENSG_9not_fun_tINSD_8identityEEEEENSD_19counting_iterator_tIlEES8_S8_S8_S8_S8_S8_S8_S8_EEEEPS9_S9_NSD_9__find_if7functorIS9_EEEE10hipError_tPvRmT1_T2_T3_mT4_P12ihipStream_tbEUlT_E0_NS1_11comp_targetILNS1_3genE10ELNS1_11target_archE1201ELNS1_3gpuE5ELNS1_3repE0EEENS1_30default_config_static_selectorELNS0_4arch9wavefront6targetE1EEEvS14_,comdat
	.protected	_ZN7rocprim17ROCPRIM_400000_NS6detail17trampoline_kernelINS0_14default_configENS1_22reduce_config_selectorIN6thrust23THRUST_200600_302600_NS5tupleIblNS6_9null_typeES8_S8_S8_S8_S8_S8_S8_EEEEZNS1_11reduce_implILb1ES3_NS6_12zip_iteratorINS7_INS6_11hip_rocprim26transform_input_iterator_tIbNSD_35transform_pair_of_input_iterators_tIbNS6_6detail15normal_iteratorINS6_10device_ptrIKiEEEESL_NS6_8equal_toIiEEEENSG_9not_fun_tINSD_8identityEEEEENSD_19counting_iterator_tIlEES8_S8_S8_S8_S8_S8_S8_S8_EEEEPS9_S9_NSD_9__find_if7functorIS9_EEEE10hipError_tPvRmT1_T2_T3_mT4_P12ihipStream_tbEUlT_E0_NS1_11comp_targetILNS1_3genE10ELNS1_11target_archE1201ELNS1_3gpuE5ELNS1_3repE0EEENS1_30default_config_static_selectorELNS0_4arch9wavefront6targetE1EEEvS14_ ; -- Begin function _ZN7rocprim17ROCPRIM_400000_NS6detail17trampoline_kernelINS0_14default_configENS1_22reduce_config_selectorIN6thrust23THRUST_200600_302600_NS5tupleIblNS6_9null_typeES8_S8_S8_S8_S8_S8_S8_EEEEZNS1_11reduce_implILb1ES3_NS6_12zip_iteratorINS7_INS6_11hip_rocprim26transform_input_iterator_tIbNSD_35transform_pair_of_input_iterators_tIbNS6_6detail15normal_iteratorINS6_10device_ptrIKiEEEESL_NS6_8equal_toIiEEEENSG_9not_fun_tINSD_8identityEEEEENSD_19counting_iterator_tIlEES8_S8_S8_S8_S8_S8_S8_S8_EEEEPS9_S9_NSD_9__find_if7functorIS9_EEEE10hipError_tPvRmT1_T2_T3_mT4_P12ihipStream_tbEUlT_E0_NS1_11comp_targetILNS1_3genE10ELNS1_11target_archE1201ELNS1_3gpuE5ELNS1_3repE0EEENS1_30default_config_static_selectorELNS0_4arch9wavefront6targetE1EEEvS14_
	.globl	_ZN7rocprim17ROCPRIM_400000_NS6detail17trampoline_kernelINS0_14default_configENS1_22reduce_config_selectorIN6thrust23THRUST_200600_302600_NS5tupleIblNS6_9null_typeES8_S8_S8_S8_S8_S8_S8_EEEEZNS1_11reduce_implILb1ES3_NS6_12zip_iteratorINS7_INS6_11hip_rocprim26transform_input_iterator_tIbNSD_35transform_pair_of_input_iterators_tIbNS6_6detail15normal_iteratorINS6_10device_ptrIKiEEEESL_NS6_8equal_toIiEEEENSG_9not_fun_tINSD_8identityEEEEENSD_19counting_iterator_tIlEES8_S8_S8_S8_S8_S8_S8_S8_EEEEPS9_S9_NSD_9__find_if7functorIS9_EEEE10hipError_tPvRmT1_T2_T3_mT4_P12ihipStream_tbEUlT_E0_NS1_11comp_targetILNS1_3genE10ELNS1_11target_archE1201ELNS1_3gpuE5ELNS1_3repE0EEENS1_30default_config_static_selectorELNS0_4arch9wavefront6targetE1EEEvS14_
	.p2align	8
	.type	_ZN7rocprim17ROCPRIM_400000_NS6detail17trampoline_kernelINS0_14default_configENS1_22reduce_config_selectorIN6thrust23THRUST_200600_302600_NS5tupleIblNS6_9null_typeES8_S8_S8_S8_S8_S8_S8_EEEEZNS1_11reduce_implILb1ES3_NS6_12zip_iteratorINS7_INS6_11hip_rocprim26transform_input_iterator_tIbNSD_35transform_pair_of_input_iterators_tIbNS6_6detail15normal_iteratorINS6_10device_ptrIKiEEEESL_NS6_8equal_toIiEEEENSG_9not_fun_tINSD_8identityEEEEENSD_19counting_iterator_tIlEES8_S8_S8_S8_S8_S8_S8_S8_EEEEPS9_S9_NSD_9__find_if7functorIS9_EEEE10hipError_tPvRmT1_T2_T3_mT4_P12ihipStream_tbEUlT_E0_NS1_11comp_targetILNS1_3genE10ELNS1_11target_archE1201ELNS1_3gpuE5ELNS1_3repE0EEENS1_30default_config_static_selectorELNS0_4arch9wavefront6targetE1EEEvS14_,@function
_ZN7rocprim17ROCPRIM_400000_NS6detail17trampoline_kernelINS0_14default_configENS1_22reduce_config_selectorIN6thrust23THRUST_200600_302600_NS5tupleIblNS6_9null_typeES8_S8_S8_S8_S8_S8_S8_EEEEZNS1_11reduce_implILb1ES3_NS6_12zip_iteratorINS7_INS6_11hip_rocprim26transform_input_iterator_tIbNSD_35transform_pair_of_input_iterators_tIbNS6_6detail15normal_iteratorINS6_10device_ptrIKiEEEESL_NS6_8equal_toIiEEEENSG_9not_fun_tINSD_8identityEEEEENSD_19counting_iterator_tIlEES8_S8_S8_S8_S8_S8_S8_S8_EEEEPS9_S9_NSD_9__find_if7functorIS9_EEEE10hipError_tPvRmT1_T2_T3_mT4_P12ihipStream_tbEUlT_E0_NS1_11comp_targetILNS1_3genE10ELNS1_11target_archE1201ELNS1_3gpuE5ELNS1_3repE0EEENS1_30default_config_static_selectorELNS0_4arch9wavefront6targetE1EEEvS14_: ; @_ZN7rocprim17ROCPRIM_400000_NS6detail17trampoline_kernelINS0_14default_configENS1_22reduce_config_selectorIN6thrust23THRUST_200600_302600_NS5tupleIblNS6_9null_typeES8_S8_S8_S8_S8_S8_S8_EEEEZNS1_11reduce_implILb1ES3_NS6_12zip_iteratorINS7_INS6_11hip_rocprim26transform_input_iterator_tIbNSD_35transform_pair_of_input_iterators_tIbNS6_6detail15normal_iteratorINS6_10device_ptrIKiEEEESL_NS6_8equal_toIiEEEENSG_9not_fun_tINSD_8identityEEEEENSD_19counting_iterator_tIlEES8_S8_S8_S8_S8_S8_S8_S8_EEEEPS9_S9_NSD_9__find_if7functorIS9_EEEE10hipError_tPvRmT1_T2_T3_mT4_P12ihipStream_tbEUlT_E0_NS1_11comp_targetILNS1_3genE10ELNS1_11target_archE1201ELNS1_3gpuE5ELNS1_3repE0EEENS1_30default_config_static_selectorELNS0_4arch9wavefront6targetE1EEEvS14_
; %bb.0:
	.section	.rodata,"a",@progbits
	.p2align	6, 0x0
	.amdhsa_kernel _ZN7rocprim17ROCPRIM_400000_NS6detail17trampoline_kernelINS0_14default_configENS1_22reduce_config_selectorIN6thrust23THRUST_200600_302600_NS5tupleIblNS6_9null_typeES8_S8_S8_S8_S8_S8_S8_EEEEZNS1_11reduce_implILb1ES3_NS6_12zip_iteratorINS7_INS6_11hip_rocprim26transform_input_iterator_tIbNSD_35transform_pair_of_input_iterators_tIbNS6_6detail15normal_iteratorINS6_10device_ptrIKiEEEESL_NS6_8equal_toIiEEEENSG_9not_fun_tINSD_8identityEEEEENSD_19counting_iterator_tIlEES8_S8_S8_S8_S8_S8_S8_S8_EEEEPS9_S9_NSD_9__find_if7functorIS9_EEEE10hipError_tPvRmT1_T2_T3_mT4_P12ihipStream_tbEUlT_E0_NS1_11comp_targetILNS1_3genE10ELNS1_11target_archE1201ELNS1_3gpuE5ELNS1_3repE0EEENS1_30default_config_static_selectorELNS0_4arch9wavefront6targetE1EEEvS14_
		.amdhsa_group_segment_fixed_size 0
		.amdhsa_private_segment_fixed_size 0
		.amdhsa_kernarg_size 104
		.amdhsa_user_sgpr_count 6
		.amdhsa_user_sgpr_private_segment_buffer 1
		.amdhsa_user_sgpr_dispatch_ptr 0
		.amdhsa_user_sgpr_queue_ptr 0
		.amdhsa_user_sgpr_kernarg_segment_ptr 1
		.amdhsa_user_sgpr_dispatch_id 0
		.amdhsa_user_sgpr_flat_scratch_init 0
		.amdhsa_user_sgpr_kernarg_preload_length 0
		.amdhsa_user_sgpr_kernarg_preload_offset 0
		.amdhsa_user_sgpr_private_segment_size 0
		.amdhsa_uses_dynamic_stack 0
		.amdhsa_system_sgpr_private_segment_wavefront_offset 0
		.amdhsa_system_sgpr_workgroup_id_x 1
		.amdhsa_system_sgpr_workgroup_id_y 0
		.amdhsa_system_sgpr_workgroup_id_z 0
		.amdhsa_system_sgpr_workgroup_info 0
		.amdhsa_system_vgpr_workitem_id 0
		.amdhsa_next_free_vgpr 1
		.amdhsa_next_free_sgpr 0
		.amdhsa_accum_offset 4
		.amdhsa_reserve_vcc 0
		.amdhsa_reserve_flat_scratch 0
		.amdhsa_float_round_mode_32 0
		.amdhsa_float_round_mode_16_64 0
		.amdhsa_float_denorm_mode_32 3
		.amdhsa_float_denorm_mode_16_64 3
		.amdhsa_dx10_clamp 1
		.amdhsa_ieee_mode 1
		.amdhsa_fp16_overflow 0
		.amdhsa_tg_split 0
		.amdhsa_exception_fp_ieee_invalid_op 0
		.amdhsa_exception_fp_denorm_src 0
		.amdhsa_exception_fp_ieee_div_zero 0
		.amdhsa_exception_fp_ieee_overflow 0
		.amdhsa_exception_fp_ieee_underflow 0
		.amdhsa_exception_fp_ieee_inexact 0
		.amdhsa_exception_int_div_zero 0
	.end_amdhsa_kernel
	.section	.text._ZN7rocprim17ROCPRIM_400000_NS6detail17trampoline_kernelINS0_14default_configENS1_22reduce_config_selectorIN6thrust23THRUST_200600_302600_NS5tupleIblNS6_9null_typeES8_S8_S8_S8_S8_S8_S8_EEEEZNS1_11reduce_implILb1ES3_NS6_12zip_iteratorINS7_INS6_11hip_rocprim26transform_input_iterator_tIbNSD_35transform_pair_of_input_iterators_tIbNS6_6detail15normal_iteratorINS6_10device_ptrIKiEEEESL_NS6_8equal_toIiEEEENSG_9not_fun_tINSD_8identityEEEEENSD_19counting_iterator_tIlEES8_S8_S8_S8_S8_S8_S8_S8_EEEEPS9_S9_NSD_9__find_if7functorIS9_EEEE10hipError_tPvRmT1_T2_T3_mT4_P12ihipStream_tbEUlT_E0_NS1_11comp_targetILNS1_3genE10ELNS1_11target_archE1201ELNS1_3gpuE5ELNS1_3repE0EEENS1_30default_config_static_selectorELNS0_4arch9wavefront6targetE1EEEvS14_,"axG",@progbits,_ZN7rocprim17ROCPRIM_400000_NS6detail17trampoline_kernelINS0_14default_configENS1_22reduce_config_selectorIN6thrust23THRUST_200600_302600_NS5tupleIblNS6_9null_typeES8_S8_S8_S8_S8_S8_S8_EEEEZNS1_11reduce_implILb1ES3_NS6_12zip_iteratorINS7_INS6_11hip_rocprim26transform_input_iterator_tIbNSD_35transform_pair_of_input_iterators_tIbNS6_6detail15normal_iteratorINS6_10device_ptrIKiEEEESL_NS6_8equal_toIiEEEENSG_9not_fun_tINSD_8identityEEEEENSD_19counting_iterator_tIlEES8_S8_S8_S8_S8_S8_S8_S8_EEEEPS9_S9_NSD_9__find_if7functorIS9_EEEE10hipError_tPvRmT1_T2_T3_mT4_P12ihipStream_tbEUlT_E0_NS1_11comp_targetILNS1_3genE10ELNS1_11target_archE1201ELNS1_3gpuE5ELNS1_3repE0EEENS1_30default_config_static_selectorELNS0_4arch9wavefront6targetE1EEEvS14_,comdat
.Lfunc_end125:
	.size	_ZN7rocprim17ROCPRIM_400000_NS6detail17trampoline_kernelINS0_14default_configENS1_22reduce_config_selectorIN6thrust23THRUST_200600_302600_NS5tupleIblNS6_9null_typeES8_S8_S8_S8_S8_S8_S8_EEEEZNS1_11reduce_implILb1ES3_NS6_12zip_iteratorINS7_INS6_11hip_rocprim26transform_input_iterator_tIbNSD_35transform_pair_of_input_iterators_tIbNS6_6detail15normal_iteratorINS6_10device_ptrIKiEEEESL_NS6_8equal_toIiEEEENSG_9not_fun_tINSD_8identityEEEEENSD_19counting_iterator_tIlEES8_S8_S8_S8_S8_S8_S8_S8_EEEEPS9_S9_NSD_9__find_if7functorIS9_EEEE10hipError_tPvRmT1_T2_T3_mT4_P12ihipStream_tbEUlT_E0_NS1_11comp_targetILNS1_3genE10ELNS1_11target_archE1201ELNS1_3gpuE5ELNS1_3repE0EEENS1_30default_config_static_selectorELNS0_4arch9wavefront6targetE1EEEvS14_, .Lfunc_end125-_ZN7rocprim17ROCPRIM_400000_NS6detail17trampoline_kernelINS0_14default_configENS1_22reduce_config_selectorIN6thrust23THRUST_200600_302600_NS5tupleIblNS6_9null_typeES8_S8_S8_S8_S8_S8_S8_EEEEZNS1_11reduce_implILb1ES3_NS6_12zip_iteratorINS7_INS6_11hip_rocprim26transform_input_iterator_tIbNSD_35transform_pair_of_input_iterators_tIbNS6_6detail15normal_iteratorINS6_10device_ptrIKiEEEESL_NS6_8equal_toIiEEEENSG_9not_fun_tINSD_8identityEEEEENSD_19counting_iterator_tIlEES8_S8_S8_S8_S8_S8_S8_S8_EEEEPS9_S9_NSD_9__find_if7functorIS9_EEEE10hipError_tPvRmT1_T2_T3_mT4_P12ihipStream_tbEUlT_E0_NS1_11comp_targetILNS1_3genE10ELNS1_11target_archE1201ELNS1_3gpuE5ELNS1_3repE0EEENS1_30default_config_static_selectorELNS0_4arch9wavefront6targetE1EEEvS14_
                                        ; -- End function
	.section	.AMDGPU.csdata,"",@progbits
; Kernel info:
; codeLenInByte = 0
; NumSgprs: 4
; NumVgprs: 0
; NumAgprs: 0
; TotalNumVgprs: 0
; ScratchSize: 0
; MemoryBound: 0
; FloatMode: 240
; IeeeMode: 1
; LDSByteSize: 0 bytes/workgroup (compile time only)
; SGPRBlocks: 0
; VGPRBlocks: 0
; NumSGPRsForWavesPerEU: 4
; NumVGPRsForWavesPerEU: 1
; AccumOffset: 4
; Occupancy: 8
; WaveLimiterHint : 0
; COMPUTE_PGM_RSRC2:SCRATCH_EN: 0
; COMPUTE_PGM_RSRC2:USER_SGPR: 6
; COMPUTE_PGM_RSRC2:TRAP_HANDLER: 0
; COMPUTE_PGM_RSRC2:TGID_X_EN: 1
; COMPUTE_PGM_RSRC2:TGID_Y_EN: 0
; COMPUTE_PGM_RSRC2:TGID_Z_EN: 0
; COMPUTE_PGM_RSRC2:TIDIG_COMP_CNT: 0
; COMPUTE_PGM_RSRC3_GFX90A:ACCUM_OFFSET: 0
; COMPUTE_PGM_RSRC3_GFX90A:TG_SPLIT: 0
	.section	.text._ZN7rocprim17ROCPRIM_400000_NS6detail17trampoline_kernelINS0_14default_configENS1_22reduce_config_selectorIN6thrust23THRUST_200600_302600_NS5tupleIblNS6_9null_typeES8_S8_S8_S8_S8_S8_S8_EEEEZNS1_11reduce_implILb1ES3_NS6_12zip_iteratorINS7_INS6_11hip_rocprim26transform_input_iterator_tIbNSD_35transform_pair_of_input_iterators_tIbNS6_6detail15normal_iteratorINS6_10device_ptrIKiEEEESL_NS6_8equal_toIiEEEENSG_9not_fun_tINSD_8identityEEEEENSD_19counting_iterator_tIlEES8_S8_S8_S8_S8_S8_S8_S8_EEEEPS9_S9_NSD_9__find_if7functorIS9_EEEE10hipError_tPvRmT1_T2_T3_mT4_P12ihipStream_tbEUlT_E0_NS1_11comp_targetILNS1_3genE10ELNS1_11target_archE1200ELNS1_3gpuE4ELNS1_3repE0EEENS1_30default_config_static_selectorELNS0_4arch9wavefront6targetE1EEEvS14_,"axG",@progbits,_ZN7rocprim17ROCPRIM_400000_NS6detail17trampoline_kernelINS0_14default_configENS1_22reduce_config_selectorIN6thrust23THRUST_200600_302600_NS5tupleIblNS6_9null_typeES8_S8_S8_S8_S8_S8_S8_EEEEZNS1_11reduce_implILb1ES3_NS6_12zip_iteratorINS7_INS6_11hip_rocprim26transform_input_iterator_tIbNSD_35transform_pair_of_input_iterators_tIbNS6_6detail15normal_iteratorINS6_10device_ptrIKiEEEESL_NS6_8equal_toIiEEEENSG_9not_fun_tINSD_8identityEEEEENSD_19counting_iterator_tIlEES8_S8_S8_S8_S8_S8_S8_S8_EEEEPS9_S9_NSD_9__find_if7functorIS9_EEEE10hipError_tPvRmT1_T2_T3_mT4_P12ihipStream_tbEUlT_E0_NS1_11comp_targetILNS1_3genE10ELNS1_11target_archE1200ELNS1_3gpuE4ELNS1_3repE0EEENS1_30default_config_static_selectorELNS0_4arch9wavefront6targetE1EEEvS14_,comdat
	.protected	_ZN7rocprim17ROCPRIM_400000_NS6detail17trampoline_kernelINS0_14default_configENS1_22reduce_config_selectorIN6thrust23THRUST_200600_302600_NS5tupleIblNS6_9null_typeES8_S8_S8_S8_S8_S8_S8_EEEEZNS1_11reduce_implILb1ES3_NS6_12zip_iteratorINS7_INS6_11hip_rocprim26transform_input_iterator_tIbNSD_35transform_pair_of_input_iterators_tIbNS6_6detail15normal_iteratorINS6_10device_ptrIKiEEEESL_NS6_8equal_toIiEEEENSG_9not_fun_tINSD_8identityEEEEENSD_19counting_iterator_tIlEES8_S8_S8_S8_S8_S8_S8_S8_EEEEPS9_S9_NSD_9__find_if7functorIS9_EEEE10hipError_tPvRmT1_T2_T3_mT4_P12ihipStream_tbEUlT_E0_NS1_11comp_targetILNS1_3genE10ELNS1_11target_archE1200ELNS1_3gpuE4ELNS1_3repE0EEENS1_30default_config_static_selectorELNS0_4arch9wavefront6targetE1EEEvS14_ ; -- Begin function _ZN7rocprim17ROCPRIM_400000_NS6detail17trampoline_kernelINS0_14default_configENS1_22reduce_config_selectorIN6thrust23THRUST_200600_302600_NS5tupleIblNS6_9null_typeES8_S8_S8_S8_S8_S8_S8_EEEEZNS1_11reduce_implILb1ES3_NS6_12zip_iteratorINS7_INS6_11hip_rocprim26transform_input_iterator_tIbNSD_35transform_pair_of_input_iterators_tIbNS6_6detail15normal_iteratorINS6_10device_ptrIKiEEEESL_NS6_8equal_toIiEEEENSG_9not_fun_tINSD_8identityEEEEENSD_19counting_iterator_tIlEES8_S8_S8_S8_S8_S8_S8_S8_EEEEPS9_S9_NSD_9__find_if7functorIS9_EEEE10hipError_tPvRmT1_T2_T3_mT4_P12ihipStream_tbEUlT_E0_NS1_11comp_targetILNS1_3genE10ELNS1_11target_archE1200ELNS1_3gpuE4ELNS1_3repE0EEENS1_30default_config_static_selectorELNS0_4arch9wavefront6targetE1EEEvS14_
	.globl	_ZN7rocprim17ROCPRIM_400000_NS6detail17trampoline_kernelINS0_14default_configENS1_22reduce_config_selectorIN6thrust23THRUST_200600_302600_NS5tupleIblNS6_9null_typeES8_S8_S8_S8_S8_S8_S8_EEEEZNS1_11reduce_implILb1ES3_NS6_12zip_iteratorINS7_INS6_11hip_rocprim26transform_input_iterator_tIbNSD_35transform_pair_of_input_iterators_tIbNS6_6detail15normal_iteratorINS6_10device_ptrIKiEEEESL_NS6_8equal_toIiEEEENSG_9not_fun_tINSD_8identityEEEEENSD_19counting_iterator_tIlEES8_S8_S8_S8_S8_S8_S8_S8_EEEEPS9_S9_NSD_9__find_if7functorIS9_EEEE10hipError_tPvRmT1_T2_T3_mT4_P12ihipStream_tbEUlT_E0_NS1_11comp_targetILNS1_3genE10ELNS1_11target_archE1200ELNS1_3gpuE4ELNS1_3repE0EEENS1_30default_config_static_selectorELNS0_4arch9wavefront6targetE1EEEvS14_
	.p2align	8
	.type	_ZN7rocprim17ROCPRIM_400000_NS6detail17trampoline_kernelINS0_14default_configENS1_22reduce_config_selectorIN6thrust23THRUST_200600_302600_NS5tupleIblNS6_9null_typeES8_S8_S8_S8_S8_S8_S8_EEEEZNS1_11reduce_implILb1ES3_NS6_12zip_iteratorINS7_INS6_11hip_rocprim26transform_input_iterator_tIbNSD_35transform_pair_of_input_iterators_tIbNS6_6detail15normal_iteratorINS6_10device_ptrIKiEEEESL_NS6_8equal_toIiEEEENSG_9not_fun_tINSD_8identityEEEEENSD_19counting_iterator_tIlEES8_S8_S8_S8_S8_S8_S8_S8_EEEEPS9_S9_NSD_9__find_if7functorIS9_EEEE10hipError_tPvRmT1_T2_T3_mT4_P12ihipStream_tbEUlT_E0_NS1_11comp_targetILNS1_3genE10ELNS1_11target_archE1200ELNS1_3gpuE4ELNS1_3repE0EEENS1_30default_config_static_selectorELNS0_4arch9wavefront6targetE1EEEvS14_,@function
_ZN7rocprim17ROCPRIM_400000_NS6detail17trampoline_kernelINS0_14default_configENS1_22reduce_config_selectorIN6thrust23THRUST_200600_302600_NS5tupleIblNS6_9null_typeES8_S8_S8_S8_S8_S8_S8_EEEEZNS1_11reduce_implILb1ES3_NS6_12zip_iteratorINS7_INS6_11hip_rocprim26transform_input_iterator_tIbNSD_35transform_pair_of_input_iterators_tIbNS6_6detail15normal_iteratorINS6_10device_ptrIKiEEEESL_NS6_8equal_toIiEEEENSG_9not_fun_tINSD_8identityEEEEENSD_19counting_iterator_tIlEES8_S8_S8_S8_S8_S8_S8_S8_EEEEPS9_S9_NSD_9__find_if7functorIS9_EEEE10hipError_tPvRmT1_T2_T3_mT4_P12ihipStream_tbEUlT_E0_NS1_11comp_targetILNS1_3genE10ELNS1_11target_archE1200ELNS1_3gpuE4ELNS1_3repE0EEENS1_30default_config_static_selectorELNS0_4arch9wavefront6targetE1EEEvS14_: ; @_ZN7rocprim17ROCPRIM_400000_NS6detail17trampoline_kernelINS0_14default_configENS1_22reduce_config_selectorIN6thrust23THRUST_200600_302600_NS5tupleIblNS6_9null_typeES8_S8_S8_S8_S8_S8_S8_EEEEZNS1_11reduce_implILb1ES3_NS6_12zip_iteratorINS7_INS6_11hip_rocprim26transform_input_iterator_tIbNSD_35transform_pair_of_input_iterators_tIbNS6_6detail15normal_iteratorINS6_10device_ptrIKiEEEESL_NS6_8equal_toIiEEEENSG_9not_fun_tINSD_8identityEEEEENSD_19counting_iterator_tIlEES8_S8_S8_S8_S8_S8_S8_S8_EEEEPS9_S9_NSD_9__find_if7functorIS9_EEEE10hipError_tPvRmT1_T2_T3_mT4_P12ihipStream_tbEUlT_E0_NS1_11comp_targetILNS1_3genE10ELNS1_11target_archE1200ELNS1_3gpuE4ELNS1_3repE0EEENS1_30default_config_static_selectorELNS0_4arch9wavefront6targetE1EEEvS14_
; %bb.0:
	.section	.rodata,"a",@progbits
	.p2align	6, 0x0
	.amdhsa_kernel _ZN7rocprim17ROCPRIM_400000_NS6detail17trampoline_kernelINS0_14default_configENS1_22reduce_config_selectorIN6thrust23THRUST_200600_302600_NS5tupleIblNS6_9null_typeES8_S8_S8_S8_S8_S8_S8_EEEEZNS1_11reduce_implILb1ES3_NS6_12zip_iteratorINS7_INS6_11hip_rocprim26transform_input_iterator_tIbNSD_35transform_pair_of_input_iterators_tIbNS6_6detail15normal_iteratorINS6_10device_ptrIKiEEEESL_NS6_8equal_toIiEEEENSG_9not_fun_tINSD_8identityEEEEENSD_19counting_iterator_tIlEES8_S8_S8_S8_S8_S8_S8_S8_EEEEPS9_S9_NSD_9__find_if7functorIS9_EEEE10hipError_tPvRmT1_T2_T3_mT4_P12ihipStream_tbEUlT_E0_NS1_11comp_targetILNS1_3genE10ELNS1_11target_archE1200ELNS1_3gpuE4ELNS1_3repE0EEENS1_30default_config_static_selectorELNS0_4arch9wavefront6targetE1EEEvS14_
		.amdhsa_group_segment_fixed_size 0
		.amdhsa_private_segment_fixed_size 0
		.amdhsa_kernarg_size 104
		.amdhsa_user_sgpr_count 6
		.amdhsa_user_sgpr_private_segment_buffer 1
		.amdhsa_user_sgpr_dispatch_ptr 0
		.amdhsa_user_sgpr_queue_ptr 0
		.amdhsa_user_sgpr_kernarg_segment_ptr 1
		.amdhsa_user_sgpr_dispatch_id 0
		.amdhsa_user_sgpr_flat_scratch_init 0
		.amdhsa_user_sgpr_kernarg_preload_length 0
		.amdhsa_user_sgpr_kernarg_preload_offset 0
		.amdhsa_user_sgpr_private_segment_size 0
		.amdhsa_uses_dynamic_stack 0
		.amdhsa_system_sgpr_private_segment_wavefront_offset 0
		.amdhsa_system_sgpr_workgroup_id_x 1
		.amdhsa_system_sgpr_workgroup_id_y 0
		.amdhsa_system_sgpr_workgroup_id_z 0
		.amdhsa_system_sgpr_workgroup_info 0
		.amdhsa_system_vgpr_workitem_id 0
		.amdhsa_next_free_vgpr 1
		.amdhsa_next_free_sgpr 0
		.amdhsa_accum_offset 4
		.amdhsa_reserve_vcc 0
		.amdhsa_reserve_flat_scratch 0
		.amdhsa_float_round_mode_32 0
		.amdhsa_float_round_mode_16_64 0
		.amdhsa_float_denorm_mode_32 3
		.amdhsa_float_denorm_mode_16_64 3
		.amdhsa_dx10_clamp 1
		.amdhsa_ieee_mode 1
		.amdhsa_fp16_overflow 0
		.amdhsa_tg_split 0
		.amdhsa_exception_fp_ieee_invalid_op 0
		.amdhsa_exception_fp_denorm_src 0
		.amdhsa_exception_fp_ieee_div_zero 0
		.amdhsa_exception_fp_ieee_overflow 0
		.amdhsa_exception_fp_ieee_underflow 0
		.amdhsa_exception_fp_ieee_inexact 0
		.amdhsa_exception_int_div_zero 0
	.end_amdhsa_kernel
	.section	.text._ZN7rocprim17ROCPRIM_400000_NS6detail17trampoline_kernelINS0_14default_configENS1_22reduce_config_selectorIN6thrust23THRUST_200600_302600_NS5tupleIblNS6_9null_typeES8_S8_S8_S8_S8_S8_S8_EEEEZNS1_11reduce_implILb1ES3_NS6_12zip_iteratorINS7_INS6_11hip_rocprim26transform_input_iterator_tIbNSD_35transform_pair_of_input_iterators_tIbNS6_6detail15normal_iteratorINS6_10device_ptrIKiEEEESL_NS6_8equal_toIiEEEENSG_9not_fun_tINSD_8identityEEEEENSD_19counting_iterator_tIlEES8_S8_S8_S8_S8_S8_S8_S8_EEEEPS9_S9_NSD_9__find_if7functorIS9_EEEE10hipError_tPvRmT1_T2_T3_mT4_P12ihipStream_tbEUlT_E0_NS1_11comp_targetILNS1_3genE10ELNS1_11target_archE1200ELNS1_3gpuE4ELNS1_3repE0EEENS1_30default_config_static_selectorELNS0_4arch9wavefront6targetE1EEEvS14_,"axG",@progbits,_ZN7rocprim17ROCPRIM_400000_NS6detail17trampoline_kernelINS0_14default_configENS1_22reduce_config_selectorIN6thrust23THRUST_200600_302600_NS5tupleIblNS6_9null_typeES8_S8_S8_S8_S8_S8_S8_EEEEZNS1_11reduce_implILb1ES3_NS6_12zip_iteratorINS7_INS6_11hip_rocprim26transform_input_iterator_tIbNSD_35transform_pair_of_input_iterators_tIbNS6_6detail15normal_iteratorINS6_10device_ptrIKiEEEESL_NS6_8equal_toIiEEEENSG_9not_fun_tINSD_8identityEEEEENSD_19counting_iterator_tIlEES8_S8_S8_S8_S8_S8_S8_S8_EEEEPS9_S9_NSD_9__find_if7functorIS9_EEEE10hipError_tPvRmT1_T2_T3_mT4_P12ihipStream_tbEUlT_E0_NS1_11comp_targetILNS1_3genE10ELNS1_11target_archE1200ELNS1_3gpuE4ELNS1_3repE0EEENS1_30default_config_static_selectorELNS0_4arch9wavefront6targetE1EEEvS14_,comdat
.Lfunc_end126:
	.size	_ZN7rocprim17ROCPRIM_400000_NS6detail17trampoline_kernelINS0_14default_configENS1_22reduce_config_selectorIN6thrust23THRUST_200600_302600_NS5tupleIblNS6_9null_typeES8_S8_S8_S8_S8_S8_S8_EEEEZNS1_11reduce_implILb1ES3_NS6_12zip_iteratorINS7_INS6_11hip_rocprim26transform_input_iterator_tIbNSD_35transform_pair_of_input_iterators_tIbNS6_6detail15normal_iteratorINS6_10device_ptrIKiEEEESL_NS6_8equal_toIiEEEENSG_9not_fun_tINSD_8identityEEEEENSD_19counting_iterator_tIlEES8_S8_S8_S8_S8_S8_S8_S8_EEEEPS9_S9_NSD_9__find_if7functorIS9_EEEE10hipError_tPvRmT1_T2_T3_mT4_P12ihipStream_tbEUlT_E0_NS1_11comp_targetILNS1_3genE10ELNS1_11target_archE1200ELNS1_3gpuE4ELNS1_3repE0EEENS1_30default_config_static_selectorELNS0_4arch9wavefront6targetE1EEEvS14_, .Lfunc_end126-_ZN7rocprim17ROCPRIM_400000_NS6detail17trampoline_kernelINS0_14default_configENS1_22reduce_config_selectorIN6thrust23THRUST_200600_302600_NS5tupleIblNS6_9null_typeES8_S8_S8_S8_S8_S8_S8_EEEEZNS1_11reduce_implILb1ES3_NS6_12zip_iteratorINS7_INS6_11hip_rocprim26transform_input_iterator_tIbNSD_35transform_pair_of_input_iterators_tIbNS6_6detail15normal_iteratorINS6_10device_ptrIKiEEEESL_NS6_8equal_toIiEEEENSG_9not_fun_tINSD_8identityEEEEENSD_19counting_iterator_tIlEES8_S8_S8_S8_S8_S8_S8_S8_EEEEPS9_S9_NSD_9__find_if7functorIS9_EEEE10hipError_tPvRmT1_T2_T3_mT4_P12ihipStream_tbEUlT_E0_NS1_11comp_targetILNS1_3genE10ELNS1_11target_archE1200ELNS1_3gpuE4ELNS1_3repE0EEENS1_30default_config_static_selectorELNS0_4arch9wavefront6targetE1EEEvS14_
                                        ; -- End function
	.section	.AMDGPU.csdata,"",@progbits
; Kernel info:
; codeLenInByte = 0
; NumSgprs: 4
; NumVgprs: 0
; NumAgprs: 0
; TotalNumVgprs: 0
; ScratchSize: 0
; MemoryBound: 0
; FloatMode: 240
; IeeeMode: 1
; LDSByteSize: 0 bytes/workgroup (compile time only)
; SGPRBlocks: 0
; VGPRBlocks: 0
; NumSGPRsForWavesPerEU: 4
; NumVGPRsForWavesPerEU: 1
; AccumOffset: 4
; Occupancy: 8
; WaveLimiterHint : 0
; COMPUTE_PGM_RSRC2:SCRATCH_EN: 0
; COMPUTE_PGM_RSRC2:USER_SGPR: 6
; COMPUTE_PGM_RSRC2:TRAP_HANDLER: 0
; COMPUTE_PGM_RSRC2:TGID_X_EN: 1
; COMPUTE_PGM_RSRC2:TGID_Y_EN: 0
; COMPUTE_PGM_RSRC2:TGID_Z_EN: 0
; COMPUTE_PGM_RSRC2:TIDIG_COMP_CNT: 0
; COMPUTE_PGM_RSRC3_GFX90A:ACCUM_OFFSET: 0
; COMPUTE_PGM_RSRC3_GFX90A:TG_SPLIT: 0
	.section	.text._ZN7rocprim17ROCPRIM_400000_NS6detail17trampoline_kernelINS0_14default_configENS1_22reduce_config_selectorIN6thrust23THRUST_200600_302600_NS5tupleIblNS6_9null_typeES8_S8_S8_S8_S8_S8_S8_EEEEZNS1_11reduce_implILb1ES3_NS6_12zip_iteratorINS7_INS6_11hip_rocprim26transform_input_iterator_tIbNSD_35transform_pair_of_input_iterators_tIbNS6_6detail15normal_iteratorINS6_10device_ptrIKiEEEESL_NS6_8equal_toIiEEEENSG_9not_fun_tINSD_8identityEEEEENSD_19counting_iterator_tIlEES8_S8_S8_S8_S8_S8_S8_S8_EEEEPS9_S9_NSD_9__find_if7functorIS9_EEEE10hipError_tPvRmT1_T2_T3_mT4_P12ihipStream_tbEUlT_E0_NS1_11comp_targetILNS1_3genE9ELNS1_11target_archE1100ELNS1_3gpuE3ELNS1_3repE0EEENS1_30default_config_static_selectorELNS0_4arch9wavefront6targetE1EEEvS14_,"axG",@progbits,_ZN7rocprim17ROCPRIM_400000_NS6detail17trampoline_kernelINS0_14default_configENS1_22reduce_config_selectorIN6thrust23THRUST_200600_302600_NS5tupleIblNS6_9null_typeES8_S8_S8_S8_S8_S8_S8_EEEEZNS1_11reduce_implILb1ES3_NS6_12zip_iteratorINS7_INS6_11hip_rocprim26transform_input_iterator_tIbNSD_35transform_pair_of_input_iterators_tIbNS6_6detail15normal_iteratorINS6_10device_ptrIKiEEEESL_NS6_8equal_toIiEEEENSG_9not_fun_tINSD_8identityEEEEENSD_19counting_iterator_tIlEES8_S8_S8_S8_S8_S8_S8_S8_EEEEPS9_S9_NSD_9__find_if7functorIS9_EEEE10hipError_tPvRmT1_T2_T3_mT4_P12ihipStream_tbEUlT_E0_NS1_11comp_targetILNS1_3genE9ELNS1_11target_archE1100ELNS1_3gpuE3ELNS1_3repE0EEENS1_30default_config_static_selectorELNS0_4arch9wavefront6targetE1EEEvS14_,comdat
	.protected	_ZN7rocprim17ROCPRIM_400000_NS6detail17trampoline_kernelINS0_14default_configENS1_22reduce_config_selectorIN6thrust23THRUST_200600_302600_NS5tupleIblNS6_9null_typeES8_S8_S8_S8_S8_S8_S8_EEEEZNS1_11reduce_implILb1ES3_NS6_12zip_iteratorINS7_INS6_11hip_rocprim26transform_input_iterator_tIbNSD_35transform_pair_of_input_iterators_tIbNS6_6detail15normal_iteratorINS6_10device_ptrIKiEEEESL_NS6_8equal_toIiEEEENSG_9not_fun_tINSD_8identityEEEEENSD_19counting_iterator_tIlEES8_S8_S8_S8_S8_S8_S8_S8_EEEEPS9_S9_NSD_9__find_if7functorIS9_EEEE10hipError_tPvRmT1_T2_T3_mT4_P12ihipStream_tbEUlT_E0_NS1_11comp_targetILNS1_3genE9ELNS1_11target_archE1100ELNS1_3gpuE3ELNS1_3repE0EEENS1_30default_config_static_selectorELNS0_4arch9wavefront6targetE1EEEvS14_ ; -- Begin function _ZN7rocprim17ROCPRIM_400000_NS6detail17trampoline_kernelINS0_14default_configENS1_22reduce_config_selectorIN6thrust23THRUST_200600_302600_NS5tupleIblNS6_9null_typeES8_S8_S8_S8_S8_S8_S8_EEEEZNS1_11reduce_implILb1ES3_NS6_12zip_iteratorINS7_INS6_11hip_rocprim26transform_input_iterator_tIbNSD_35transform_pair_of_input_iterators_tIbNS6_6detail15normal_iteratorINS6_10device_ptrIKiEEEESL_NS6_8equal_toIiEEEENSG_9not_fun_tINSD_8identityEEEEENSD_19counting_iterator_tIlEES8_S8_S8_S8_S8_S8_S8_S8_EEEEPS9_S9_NSD_9__find_if7functorIS9_EEEE10hipError_tPvRmT1_T2_T3_mT4_P12ihipStream_tbEUlT_E0_NS1_11comp_targetILNS1_3genE9ELNS1_11target_archE1100ELNS1_3gpuE3ELNS1_3repE0EEENS1_30default_config_static_selectorELNS0_4arch9wavefront6targetE1EEEvS14_
	.globl	_ZN7rocprim17ROCPRIM_400000_NS6detail17trampoline_kernelINS0_14default_configENS1_22reduce_config_selectorIN6thrust23THRUST_200600_302600_NS5tupleIblNS6_9null_typeES8_S8_S8_S8_S8_S8_S8_EEEEZNS1_11reduce_implILb1ES3_NS6_12zip_iteratorINS7_INS6_11hip_rocprim26transform_input_iterator_tIbNSD_35transform_pair_of_input_iterators_tIbNS6_6detail15normal_iteratorINS6_10device_ptrIKiEEEESL_NS6_8equal_toIiEEEENSG_9not_fun_tINSD_8identityEEEEENSD_19counting_iterator_tIlEES8_S8_S8_S8_S8_S8_S8_S8_EEEEPS9_S9_NSD_9__find_if7functorIS9_EEEE10hipError_tPvRmT1_T2_T3_mT4_P12ihipStream_tbEUlT_E0_NS1_11comp_targetILNS1_3genE9ELNS1_11target_archE1100ELNS1_3gpuE3ELNS1_3repE0EEENS1_30default_config_static_selectorELNS0_4arch9wavefront6targetE1EEEvS14_
	.p2align	8
	.type	_ZN7rocprim17ROCPRIM_400000_NS6detail17trampoline_kernelINS0_14default_configENS1_22reduce_config_selectorIN6thrust23THRUST_200600_302600_NS5tupleIblNS6_9null_typeES8_S8_S8_S8_S8_S8_S8_EEEEZNS1_11reduce_implILb1ES3_NS6_12zip_iteratorINS7_INS6_11hip_rocprim26transform_input_iterator_tIbNSD_35transform_pair_of_input_iterators_tIbNS6_6detail15normal_iteratorINS6_10device_ptrIKiEEEESL_NS6_8equal_toIiEEEENSG_9not_fun_tINSD_8identityEEEEENSD_19counting_iterator_tIlEES8_S8_S8_S8_S8_S8_S8_S8_EEEEPS9_S9_NSD_9__find_if7functorIS9_EEEE10hipError_tPvRmT1_T2_T3_mT4_P12ihipStream_tbEUlT_E0_NS1_11comp_targetILNS1_3genE9ELNS1_11target_archE1100ELNS1_3gpuE3ELNS1_3repE0EEENS1_30default_config_static_selectorELNS0_4arch9wavefront6targetE1EEEvS14_,@function
_ZN7rocprim17ROCPRIM_400000_NS6detail17trampoline_kernelINS0_14default_configENS1_22reduce_config_selectorIN6thrust23THRUST_200600_302600_NS5tupleIblNS6_9null_typeES8_S8_S8_S8_S8_S8_S8_EEEEZNS1_11reduce_implILb1ES3_NS6_12zip_iteratorINS7_INS6_11hip_rocprim26transform_input_iterator_tIbNSD_35transform_pair_of_input_iterators_tIbNS6_6detail15normal_iteratorINS6_10device_ptrIKiEEEESL_NS6_8equal_toIiEEEENSG_9not_fun_tINSD_8identityEEEEENSD_19counting_iterator_tIlEES8_S8_S8_S8_S8_S8_S8_S8_EEEEPS9_S9_NSD_9__find_if7functorIS9_EEEE10hipError_tPvRmT1_T2_T3_mT4_P12ihipStream_tbEUlT_E0_NS1_11comp_targetILNS1_3genE9ELNS1_11target_archE1100ELNS1_3gpuE3ELNS1_3repE0EEENS1_30default_config_static_selectorELNS0_4arch9wavefront6targetE1EEEvS14_: ; @_ZN7rocprim17ROCPRIM_400000_NS6detail17trampoline_kernelINS0_14default_configENS1_22reduce_config_selectorIN6thrust23THRUST_200600_302600_NS5tupleIblNS6_9null_typeES8_S8_S8_S8_S8_S8_S8_EEEEZNS1_11reduce_implILb1ES3_NS6_12zip_iteratorINS7_INS6_11hip_rocprim26transform_input_iterator_tIbNSD_35transform_pair_of_input_iterators_tIbNS6_6detail15normal_iteratorINS6_10device_ptrIKiEEEESL_NS6_8equal_toIiEEEENSG_9not_fun_tINSD_8identityEEEEENSD_19counting_iterator_tIlEES8_S8_S8_S8_S8_S8_S8_S8_EEEEPS9_S9_NSD_9__find_if7functorIS9_EEEE10hipError_tPvRmT1_T2_T3_mT4_P12ihipStream_tbEUlT_E0_NS1_11comp_targetILNS1_3genE9ELNS1_11target_archE1100ELNS1_3gpuE3ELNS1_3repE0EEENS1_30default_config_static_selectorELNS0_4arch9wavefront6targetE1EEEvS14_
; %bb.0:
	.section	.rodata,"a",@progbits
	.p2align	6, 0x0
	.amdhsa_kernel _ZN7rocprim17ROCPRIM_400000_NS6detail17trampoline_kernelINS0_14default_configENS1_22reduce_config_selectorIN6thrust23THRUST_200600_302600_NS5tupleIblNS6_9null_typeES8_S8_S8_S8_S8_S8_S8_EEEEZNS1_11reduce_implILb1ES3_NS6_12zip_iteratorINS7_INS6_11hip_rocprim26transform_input_iterator_tIbNSD_35transform_pair_of_input_iterators_tIbNS6_6detail15normal_iteratorINS6_10device_ptrIKiEEEESL_NS6_8equal_toIiEEEENSG_9not_fun_tINSD_8identityEEEEENSD_19counting_iterator_tIlEES8_S8_S8_S8_S8_S8_S8_S8_EEEEPS9_S9_NSD_9__find_if7functorIS9_EEEE10hipError_tPvRmT1_T2_T3_mT4_P12ihipStream_tbEUlT_E0_NS1_11comp_targetILNS1_3genE9ELNS1_11target_archE1100ELNS1_3gpuE3ELNS1_3repE0EEENS1_30default_config_static_selectorELNS0_4arch9wavefront6targetE1EEEvS14_
		.amdhsa_group_segment_fixed_size 0
		.amdhsa_private_segment_fixed_size 0
		.amdhsa_kernarg_size 104
		.amdhsa_user_sgpr_count 6
		.amdhsa_user_sgpr_private_segment_buffer 1
		.amdhsa_user_sgpr_dispatch_ptr 0
		.amdhsa_user_sgpr_queue_ptr 0
		.amdhsa_user_sgpr_kernarg_segment_ptr 1
		.amdhsa_user_sgpr_dispatch_id 0
		.amdhsa_user_sgpr_flat_scratch_init 0
		.amdhsa_user_sgpr_kernarg_preload_length 0
		.amdhsa_user_sgpr_kernarg_preload_offset 0
		.amdhsa_user_sgpr_private_segment_size 0
		.amdhsa_uses_dynamic_stack 0
		.amdhsa_system_sgpr_private_segment_wavefront_offset 0
		.amdhsa_system_sgpr_workgroup_id_x 1
		.amdhsa_system_sgpr_workgroup_id_y 0
		.amdhsa_system_sgpr_workgroup_id_z 0
		.amdhsa_system_sgpr_workgroup_info 0
		.amdhsa_system_vgpr_workitem_id 0
		.amdhsa_next_free_vgpr 1
		.amdhsa_next_free_sgpr 0
		.amdhsa_accum_offset 4
		.amdhsa_reserve_vcc 0
		.amdhsa_reserve_flat_scratch 0
		.amdhsa_float_round_mode_32 0
		.amdhsa_float_round_mode_16_64 0
		.amdhsa_float_denorm_mode_32 3
		.amdhsa_float_denorm_mode_16_64 3
		.amdhsa_dx10_clamp 1
		.amdhsa_ieee_mode 1
		.amdhsa_fp16_overflow 0
		.amdhsa_tg_split 0
		.amdhsa_exception_fp_ieee_invalid_op 0
		.amdhsa_exception_fp_denorm_src 0
		.amdhsa_exception_fp_ieee_div_zero 0
		.amdhsa_exception_fp_ieee_overflow 0
		.amdhsa_exception_fp_ieee_underflow 0
		.amdhsa_exception_fp_ieee_inexact 0
		.amdhsa_exception_int_div_zero 0
	.end_amdhsa_kernel
	.section	.text._ZN7rocprim17ROCPRIM_400000_NS6detail17trampoline_kernelINS0_14default_configENS1_22reduce_config_selectorIN6thrust23THRUST_200600_302600_NS5tupleIblNS6_9null_typeES8_S8_S8_S8_S8_S8_S8_EEEEZNS1_11reduce_implILb1ES3_NS6_12zip_iteratorINS7_INS6_11hip_rocprim26transform_input_iterator_tIbNSD_35transform_pair_of_input_iterators_tIbNS6_6detail15normal_iteratorINS6_10device_ptrIKiEEEESL_NS6_8equal_toIiEEEENSG_9not_fun_tINSD_8identityEEEEENSD_19counting_iterator_tIlEES8_S8_S8_S8_S8_S8_S8_S8_EEEEPS9_S9_NSD_9__find_if7functorIS9_EEEE10hipError_tPvRmT1_T2_T3_mT4_P12ihipStream_tbEUlT_E0_NS1_11comp_targetILNS1_3genE9ELNS1_11target_archE1100ELNS1_3gpuE3ELNS1_3repE0EEENS1_30default_config_static_selectorELNS0_4arch9wavefront6targetE1EEEvS14_,"axG",@progbits,_ZN7rocprim17ROCPRIM_400000_NS6detail17trampoline_kernelINS0_14default_configENS1_22reduce_config_selectorIN6thrust23THRUST_200600_302600_NS5tupleIblNS6_9null_typeES8_S8_S8_S8_S8_S8_S8_EEEEZNS1_11reduce_implILb1ES3_NS6_12zip_iteratorINS7_INS6_11hip_rocprim26transform_input_iterator_tIbNSD_35transform_pair_of_input_iterators_tIbNS6_6detail15normal_iteratorINS6_10device_ptrIKiEEEESL_NS6_8equal_toIiEEEENSG_9not_fun_tINSD_8identityEEEEENSD_19counting_iterator_tIlEES8_S8_S8_S8_S8_S8_S8_S8_EEEEPS9_S9_NSD_9__find_if7functorIS9_EEEE10hipError_tPvRmT1_T2_T3_mT4_P12ihipStream_tbEUlT_E0_NS1_11comp_targetILNS1_3genE9ELNS1_11target_archE1100ELNS1_3gpuE3ELNS1_3repE0EEENS1_30default_config_static_selectorELNS0_4arch9wavefront6targetE1EEEvS14_,comdat
.Lfunc_end127:
	.size	_ZN7rocprim17ROCPRIM_400000_NS6detail17trampoline_kernelINS0_14default_configENS1_22reduce_config_selectorIN6thrust23THRUST_200600_302600_NS5tupleIblNS6_9null_typeES8_S8_S8_S8_S8_S8_S8_EEEEZNS1_11reduce_implILb1ES3_NS6_12zip_iteratorINS7_INS6_11hip_rocprim26transform_input_iterator_tIbNSD_35transform_pair_of_input_iterators_tIbNS6_6detail15normal_iteratorINS6_10device_ptrIKiEEEESL_NS6_8equal_toIiEEEENSG_9not_fun_tINSD_8identityEEEEENSD_19counting_iterator_tIlEES8_S8_S8_S8_S8_S8_S8_S8_EEEEPS9_S9_NSD_9__find_if7functorIS9_EEEE10hipError_tPvRmT1_T2_T3_mT4_P12ihipStream_tbEUlT_E0_NS1_11comp_targetILNS1_3genE9ELNS1_11target_archE1100ELNS1_3gpuE3ELNS1_3repE0EEENS1_30default_config_static_selectorELNS0_4arch9wavefront6targetE1EEEvS14_, .Lfunc_end127-_ZN7rocprim17ROCPRIM_400000_NS6detail17trampoline_kernelINS0_14default_configENS1_22reduce_config_selectorIN6thrust23THRUST_200600_302600_NS5tupleIblNS6_9null_typeES8_S8_S8_S8_S8_S8_S8_EEEEZNS1_11reduce_implILb1ES3_NS6_12zip_iteratorINS7_INS6_11hip_rocprim26transform_input_iterator_tIbNSD_35transform_pair_of_input_iterators_tIbNS6_6detail15normal_iteratorINS6_10device_ptrIKiEEEESL_NS6_8equal_toIiEEEENSG_9not_fun_tINSD_8identityEEEEENSD_19counting_iterator_tIlEES8_S8_S8_S8_S8_S8_S8_S8_EEEEPS9_S9_NSD_9__find_if7functorIS9_EEEE10hipError_tPvRmT1_T2_T3_mT4_P12ihipStream_tbEUlT_E0_NS1_11comp_targetILNS1_3genE9ELNS1_11target_archE1100ELNS1_3gpuE3ELNS1_3repE0EEENS1_30default_config_static_selectorELNS0_4arch9wavefront6targetE1EEEvS14_
                                        ; -- End function
	.section	.AMDGPU.csdata,"",@progbits
; Kernel info:
; codeLenInByte = 0
; NumSgprs: 4
; NumVgprs: 0
; NumAgprs: 0
; TotalNumVgprs: 0
; ScratchSize: 0
; MemoryBound: 0
; FloatMode: 240
; IeeeMode: 1
; LDSByteSize: 0 bytes/workgroup (compile time only)
; SGPRBlocks: 0
; VGPRBlocks: 0
; NumSGPRsForWavesPerEU: 4
; NumVGPRsForWavesPerEU: 1
; AccumOffset: 4
; Occupancy: 8
; WaveLimiterHint : 0
; COMPUTE_PGM_RSRC2:SCRATCH_EN: 0
; COMPUTE_PGM_RSRC2:USER_SGPR: 6
; COMPUTE_PGM_RSRC2:TRAP_HANDLER: 0
; COMPUTE_PGM_RSRC2:TGID_X_EN: 1
; COMPUTE_PGM_RSRC2:TGID_Y_EN: 0
; COMPUTE_PGM_RSRC2:TGID_Z_EN: 0
; COMPUTE_PGM_RSRC2:TIDIG_COMP_CNT: 0
; COMPUTE_PGM_RSRC3_GFX90A:ACCUM_OFFSET: 0
; COMPUTE_PGM_RSRC3_GFX90A:TG_SPLIT: 0
	.section	.text._ZN7rocprim17ROCPRIM_400000_NS6detail17trampoline_kernelINS0_14default_configENS1_22reduce_config_selectorIN6thrust23THRUST_200600_302600_NS5tupleIblNS6_9null_typeES8_S8_S8_S8_S8_S8_S8_EEEEZNS1_11reduce_implILb1ES3_NS6_12zip_iteratorINS7_INS6_11hip_rocprim26transform_input_iterator_tIbNSD_35transform_pair_of_input_iterators_tIbNS6_6detail15normal_iteratorINS6_10device_ptrIKiEEEESL_NS6_8equal_toIiEEEENSG_9not_fun_tINSD_8identityEEEEENSD_19counting_iterator_tIlEES8_S8_S8_S8_S8_S8_S8_S8_EEEEPS9_S9_NSD_9__find_if7functorIS9_EEEE10hipError_tPvRmT1_T2_T3_mT4_P12ihipStream_tbEUlT_E0_NS1_11comp_targetILNS1_3genE8ELNS1_11target_archE1030ELNS1_3gpuE2ELNS1_3repE0EEENS1_30default_config_static_selectorELNS0_4arch9wavefront6targetE1EEEvS14_,"axG",@progbits,_ZN7rocprim17ROCPRIM_400000_NS6detail17trampoline_kernelINS0_14default_configENS1_22reduce_config_selectorIN6thrust23THRUST_200600_302600_NS5tupleIblNS6_9null_typeES8_S8_S8_S8_S8_S8_S8_EEEEZNS1_11reduce_implILb1ES3_NS6_12zip_iteratorINS7_INS6_11hip_rocprim26transform_input_iterator_tIbNSD_35transform_pair_of_input_iterators_tIbNS6_6detail15normal_iteratorINS6_10device_ptrIKiEEEESL_NS6_8equal_toIiEEEENSG_9not_fun_tINSD_8identityEEEEENSD_19counting_iterator_tIlEES8_S8_S8_S8_S8_S8_S8_S8_EEEEPS9_S9_NSD_9__find_if7functorIS9_EEEE10hipError_tPvRmT1_T2_T3_mT4_P12ihipStream_tbEUlT_E0_NS1_11comp_targetILNS1_3genE8ELNS1_11target_archE1030ELNS1_3gpuE2ELNS1_3repE0EEENS1_30default_config_static_selectorELNS0_4arch9wavefront6targetE1EEEvS14_,comdat
	.protected	_ZN7rocprim17ROCPRIM_400000_NS6detail17trampoline_kernelINS0_14default_configENS1_22reduce_config_selectorIN6thrust23THRUST_200600_302600_NS5tupleIblNS6_9null_typeES8_S8_S8_S8_S8_S8_S8_EEEEZNS1_11reduce_implILb1ES3_NS6_12zip_iteratorINS7_INS6_11hip_rocprim26transform_input_iterator_tIbNSD_35transform_pair_of_input_iterators_tIbNS6_6detail15normal_iteratorINS6_10device_ptrIKiEEEESL_NS6_8equal_toIiEEEENSG_9not_fun_tINSD_8identityEEEEENSD_19counting_iterator_tIlEES8_S8_S8_S8_S8_S8_S8_S8_EEEEPS9_S9_NSD_9__find_if7functorIS9_EEEE10hipError_tPvRmT1_T2_T3_mT4_P12ihipStream_tbEUlT_E0_NS1_11comp_targetILNS1_3genE8ELNS1_11target_archE1030ELNS1_3gpuE2ELNS1_3repE0EEENS1_30default_config_static_selectorELNS0_4arch9wavefront6targetE1EEEvS14_ ; -- Begin function _ZN7rocprim17ROCPRIM_400000_NS6detail17trampoline_kernelINS0_14default_configENS1_22reduce_config_selectorIN6thrust23THRUST_200600_302600_NS5tupleIblNS6_9null_typeES8_S8_S8_S8_S8_S8_S8_EEEEZNS1_11reduce_implILb1ES3_NS6_12zip_iteratorINS7_INS6_11hip_rocprim26transform_input_iterator_tIbNSD_35transform_pair_of_input_iterators_tIbNS6_6detail15normal_iteratorINS6_10device_ptrIKiEEEESL_NS6_8equal_toIiEEEENSG_9not_fun_tINSD_8identityEEEEENSD_19counting_iterator_tIlEES8_S8_S8_S8_S8_S8_S8_S8_EEEEPS9_S9_NSD_9__find_if7functorIS9_EEEE10hipError_tPvRmT1_T2_T3_mT4_P12ihipStream_tbEUlT_E0_NS1_11comp_targetILNS1_3genE8ELNS1_11target_archE1030ELNS1_3gpuE2ELNS1_3repE0EEENS1_30default_config_static_selectorELNS0_4arch9wavefront6targetE1EEEvS14_
	.globl	_ZN7rocprim17ROCPRIM_400000_NS6detail17trampoline_kernelINS0_14default_configENS1_22reduce_config_selectorIN6thrust23THRUST_200600_302600_NS5tupleIblNS6_9null_typeES8_S8_S8_S8_S8_S8_S8_EEEEZNS1_11reduce_implILb1ES3_NS6_12zip_iteratorINS7_INS6_11hip_rocprim26transform_input_iterator_tIbNSD_35transform_pair_of_input_iterators_tIbNS6_6detail15normal_iteratorINS6_10device_ptrIKiEEEESL_NS6_8equal_toIiEEEENSG_9not_fun_tINSD_8identityEEEEENSD_19counting_iterator_tIlEES8_S8_S8_S8_S8_S8_S8_S8_EEEEPS9_S9_NSD_9__find_if7functorIS9_EEEE10hipError_tPvRmT1_T2_T3_mT4_P12ihipStream_tbEUlT_E0_NS1_11comp_targetILNS1_3genE8ELNS1_11target_archE1030ELNS1_3gpuE2ELNS1_3repE0EEENS1_30default_config_static_selectorELNS0_4arch9wavefront6targetE1EEEvS14_
	.p2align	8
	.type	_ZN7rocprim17ROCPRIM_400000_NS6detail17trampoline_kernelINS0_14default_configENS1_22reduce_config_selectorIN6thrust23THRUST_200600_302600_NS5tupleIblNS6_9null_typeES8_S8_S8_S8_S8_S8_S8_EEEEZNS1_11reduce_implILb1ES3_NS6_12zip_iteratorINS7_INS6_11hip_rocprim26transform_input_iterator_tIbNSD_35transform_pair_of_input_iterators_tIbNS6_6detail15normal_iteratorINS6_10device_ptrIKiEEEESL_NS6_8equal_toIiEEEENSG_9not_fun_tINSD_8identityEEEEENSD_19counting_iterator_tIlEES8_S8_S8_S8_S8_S8_S8_S8_EEEEPS9_S9_NSD_9__find_if7functorIS9_EEEE10hipError_tPvRmT1_T2_T3_mT4_P12ihipStream_tbEUlT_E0_NS1_11comp_targetILNS1_3genE8ELNS1_11target_archE1030ELNS1_3gpuE2ELNS1_3repE0EEENS1_30default_config_static_selectorELNS0_4arch9wavefront6targetE1EEEvS14_,@function
_ZN7rocprim17ROCPRIM_400000_NS6detail17trampoline_kernelINS0_14default_configENS1_22reduce_config_selectorIN6thrust23THRUST_200600_302600_NS5tupleIblNS6_9null_typeES8_S8_S8_S8_S8_S8_S8_EEEEZNS1_11reduce_implILb1ES3_NS6_12zip_iteratorINS7_INS6_11hip_rocprim26transform_input_iterator_tIbNSD_35transform_pair_of_input_iterators_tIbNS6_6detail15normal_iteratorINS6_10device_ptrIKiEEEESL_NS6_8equal_toIiEEEENSG_9not_fun_tINSD_8identityEEEEENSD_19counting_iterator_tIlEES8_S8_S8_S8_S8_S8_S8_S8_EEEEPS9_S9_NSD_9__find_if7functorIS9_EEEE10hipError_tPvRmT1_T2_T3_mT4_P12ihipStream_tbEUlT_E0_NS1_11comp_targetILNS1_3genE8ELNS1_11target_archE1030ELNS1_3gpuE2ELNS1_3repE0EEENS1_30default_config_static_selectorELNS0_4arch9wavefront6targetE1EEEvS14_: ; @_ZN7rocprim17ROCPRIM_400000_NS6detail17trampoline_kernelINS0_14default_configENS1_22reduce_config_selectorIN6thrust23THRUST_200600_302600_NS5tupleIblNS6_9null_typeES8_S8_S8_S8_S8_S8_S8_EEEEZNS1_11reduce_implILb1ES3_NS6_12zip_iteratorINS7_INS6_11hip_rocprim26transform_input_iterator_tIbNSD_35transform_pair_of_input_iterators_tIbNS6_6detail15normal_iteratorINS6_10device_ptrIKiEEEESL_NS6_8equal_toIiEEEENSG_9not_fun_tINSD_8identityEEEEENSD_19counting_iterator_tIlEES8_S8_S8_S8_S8_S8_S8_S8_EEEEPS9_S9_NSD_9__find_if7functorIS9_EEEE10hipError_tPvRmT1_T2_T3_mT4_P12ihipStream_tbEUlT_E0_NS1_11comp_targetILNS1_3genE8ELNS1_11target_archE1030ELNS1_3gpuE2ELNS1_3repE0EEENS1_30default_config_static_selectorELNS0_4arch9wavefront6targetE1EEEvS14_
; %bb.0:
	.section	.rodata,"a",@progbits
	.p2align	6, 0x0
	.amdhsa_kernel _ZN7rocprim17ROCPRIM_400000_NS6detail17trampoline_kernelINS0_14default_configENS1_22reduce_config_selectorIN6thrust23THRUST_200600_302600_NS5tupleIblNS6_9null_typeES8_S8_S8_S8_S8_S8_S8_EEEEZNS1_11reduce_implILb1ES3_NS6_12zip_iteratorINS7_INS6_11hip_rocprim26transform_input_iterator_tIbNSD_35transform_pair_of_input_iterators_tIbNS6_6detail15normal_iteratorINS6_10device_ptrIKiEEEESL_NS6_8equal_toIiEEEENSG_9not_fun_tINSD_8identityEEEEENSD_19counting_iterator_tIlEES8_S8_S8_S8_S8_S8_S8_S8_EEEEPS9_S9_NSD_9__find_if7functorIS9_EEEE10hipError_tPvRmT1_T2_T3_mT4_P12ihipStream_tbEUlT_E0_NS1_11comp_targetILNS1_3genE8ELNS1_11target_archE1030ELNS1_3gpuE2ELNS1_3repE0EEENS1_30default_config_static_selectorELNS0_4arch9wavefront6targetE1EEEvS14_
		.amdhsa_group_segment_fixed_size 0
		.amdhsa_private_segment_fixed_size 0
		.amdhsa_kernarg_size 104
		.amdhsa_user_sgpr_count 6
		.amdhsa_user_sgpr_private_segment_buffer 1
		.amdhsa_user_sgpr_dispatch_ptr 0
		.amdhsa_user_sgpr_queue_ptr 0
		.amdhsa_user_sgpr_kernarg_segment_ptr 1
		.amdhsa_user_sgpr_dispatch_id 0
		.amdhsa_user_sgpr_flat_scratch_init 0
		.amdhsa_user_sgpr_kernarg_preload_length 0
		.amdhsa_user_sgpr_kernarg_preload_offset 0
		.amdhsa_user_sgpr_private_segment_size 0
		.amdhsa_uses_dynamic_stack 0
		.amdhsa_system_sgpr_private_segment_wavefront_offset 0
		.amdhsa_system_sgpr_workgroup_id_x 1
		.amdhsa_system_sgpr_workgroup_id_y 0
		.amdhsa_system_sgpr_workgroup_id_z 0
		.amdhsa_system_sgpr_workgroup_info 0
		.amdhsa_system_vgpr_workitem_id 0
		.amdhsa_next_free_vgpr 1
		.amdhsa_next_free_sgpr 0
		.amdhsa_accum_offset 4
		.amdhsa_reserve_vcc 0
		.amdhsa_reserve_flat_scratch 0
		.amdhsa_float_round_mode_32 0
		.amdhsa_float_round_mode_16_64 0
		.amdhsa_float_denorm_mode_32 3
		.amdhsa_float_denorm_mode_16_64 3
		.amdhsa_dx10_clamp 1
		.amdhsa_ieee_mode 1
		.amdhsa_fp16_overflow 0
		.amdhsa_tg_split 0
		.amdhsa_exception_fp_ieee_invalid_op 0
		.amdhsa_exception_fp_denorm_src 0
		.amdhsa_exception_fp_ieee_div_zero 0
		.amdhsa_exception_fp_ieee_overflow 0
		.amdhsa_exception_fp_ieee_underflow 0
		.amdhsa_exception_fp_ieee_inexact 0
		.amdhsa_exception_int_div_zero 0
	.end_amdhsa_kernel
	.section	.text._ZN7rocprim17ROCPRIM_400000_NS6detail17trampoline_kernelINS0_14default_configENS1_22reduce_config_selectorIN6thrust23THRUST_200600_302600_NS5tupleIblNS6_9null_typeES8_S8_S8_S8_S8_S8_S8_EEEEZNS1_11reduce_implILb1ES3_NS6_12zip_iteratorINS7_INS6_11hip_rocprim26transform_input_iterator_tIbNSD_35transform_pair_of_input_iterators_tIbNS6_6detail15normal_iteratorINS6_10device_ptrIKiEEEESL_NS6_8equal_toIiEEEENSG_9not_fun_tINSD_8identityEEEEENSD_19counting_iterator_tIlEES8_S8_S8_S8_S8_S8_S8_S8_EEEEPS9_S9_NSD_9__find_if7functorIS9_EEEE10hipError_tPvRmT1_T2_T3_mT4_P12ihipStream_tbEUlT_E0_NS1_11comp_targetILNS1_3genE8ELNS1_11target_archE1030ELNS1_3gpuE2ELNS1_3repE0EEENS1_30default_config_static_selectorELNS0_4arch9wavefront6targetE1EEEvS14_,"axG",@progbits,_ZN7rocprim17ROCPRIM_400000_NS6detail17trampoline_kernelINS0_14default_configENS1_22reduce_config_selectorIN6thrust23THRUST_200600_302600_NS5tupleIblNS6_9null_typeES8_S8_S8_S8_S8_S8_S8_EEEEZNS1_11reduce_implILb1ES3_NS6_12zip_iteratorINS7_INS6_11hip_rocprim26transform_input_iterator_tIbNSD_35transform_pair_of_input_iterators_tIbNS6_6detail15normal_iteratorINS6_10device_ptrIKiEEEESL_NS6_8equal_toIiEEEENSG_9not_fun_tINSD_8identityEEEEENSD_19counting_iterator_tIlEES8_S8_S8_S8_S8_S8_S8_S8_EEEEPS9_S9_NSD_9__find_if7functorIS9_EEEE10hipError_tPvRmT1_T2_T3_mT4_P12ihipStream_tbEUlT_E0_NS1_11comp_targetILNS1_3genE8ELNS1_11target_archE1030ELNS1_3gpuE2ELNS1_3repE0EEENS1_30default_config_static_selectorELNS0_4arch9wavefront6targetE1EEEvS14_,comdat
.Lfunc_end128:
	.size	_ZN7rocprim17ROCPRIM_400000_NS6detail17trampoline_kernelINS0_14default_configENS1_22reduce_config_selectorIN6thrust23THRUST_200600_302600_NS5tupleIblNS6_9null_typeES8_S8_S8_S8_S8_S8_S8_EEEEZNS1_11reduce_implILb1ES3_NS6_12zip_iteratorINS7_INS6_11hip_rocprim26transform_input_iterator_tIbNSD_35transform_pair_of_input_iterators_tIbNS6_6detail15normal_iteratorINS6_10device_ptrIKiEEEESL_NS6_8equal_toIiEEEENSG_9not_fun_tINSD_8identityEEEEENSD_19counting_iterator_tIlEES8_S8_S8_S8_S8_S8_S8_S8_EEEEPS9_S9_NSD_9__find_if7functorIS9_EEEE10hipError_tPvRmT1_T2_T3_mT4_P12ihipStream_tbEUlT_E0_NS1_11comp_targetILNS1_3genE8ELNS1_11target_archE1030ELNS1_3gpuE2ELNS1_3repE0EEENS1_30default_config_static_selectorELNS0_4arch9wavefront6targetE1EEEvS14_, .Lfunc_end128-_ZN7rocprim17ROCPRIM_400000_NS6detail17trampoline_kernelINS0_14default_configENS1_22reduce_config_selectorIN6thrust23THRUST_200600_302600_NS5tupleIblNS6_9null_typeES8_S8_S8_S8_S8_S8_S8_EEEEZNS1_11reduce_implILb1ES3_NS6_12zip_iteratorINS7_INS6_11hip_rocprim26transform_input_iterator_tIbNSD_35transform_pair_of_input_iterators_tIbNS6_6detail15normal_iteratorINS6_10device_ptrIKiEEEESL_NS6_8equal_toIiEEEENSG_9not_fun_tINSD_8identityEEEEENSD_19counting_iterator_tIlEES8_S8_S8_S8_S8_S8_S8_S8_EEEEPS9_S9_NSD_9__find_if7functorIS9_EEEE10hipError_tPvRmT1_T2_T3_mT4_P12ihipStream_tbEUlT_E0_NS1_11comp_targetILNS1_3genE8ELNS1_11target_archE1030ELNS1_3gpuE2ELNS1_3repE0EEENS1_30default_config_static_selectorELNS0_4arch9wavefront6targetE1EEEvS14_
                                        ; -- End function
	.section	.AMDGPU.csdata,"",@progbits
; Kernel info:
; codeLenInByte = 0
; NumSgprs: 4
; NumVgprs: 0
; NumAgprs: 0
; TotalNumVgprs: 0
; ScratchSize: 0
; MemoryBound: 0
; FloatMode: 240
; IeeeMode: 1
; LDSByteSize: 0 bytes/workgroup (compile time only)
; SGPRBlocks: 0
; VGPRBlocks: 0
; NumSGPRsForWavesPerEU: 4
; NumVGPRsForWavesPerEU: 1
; AccumOffset: 4
; Occupancy: 8
; WaveLimiterHint : 0
; COMPUTE_PGM_RSRC2:SCRATCH_EN: 0
; COMPUTE_PGM_RSRC2:USER_SGPR: 6
; COMPUTE_PGM_RSRC2:TRAP_HANDLER: 0
; COMPUTE_PGM_RSRC2:TGID_X_EN: 1
; COMPUTE_PGM_RSRC2:TGID_Y_EN: 0
; COMPUTE_PGM_RSRC2:TGID_Z_EN: 0
; COMPUTE_PGM_RSRC2:TIDIG_COMP_CNT: 0
; COMPUTE_PGM_RSRC3_GFX90A:ACCUM_OFFSET: 0
; COMPUTE_PGM_RSRC3_GFX90A:TG_SPLIT: 0
	.section	.text._ZN7rocprim17ROCPRIM_400000_NS6detail17trampoline_kernelINS0_14default_configENS1_22reduce_config_selectorIN6thrust23THRUST_200600_302600_NS5tupleIblNS6_9null_typeES8_S8_S8_S8_S8_S8_S8_EEEEZNS1_11reduce_implILb1ES3_NS6_12zip_iteratorINS7_INS6_11hip_rocprim26transform_input_iterator_tIbNSD_35transform_pair_of_input_iterators_tIbNS6_6detail15normal_iteratorINS6_10device_ptrIKiEEEESL_NS6_8equal_toIiEEEENSG_9not_fun_tINSD_8identityEEEEENSD_19counting_iterator_tIlEES8_S8_S8_S8_S8_S8_S8_S8_EEEEPS9_S9_NSD_9__find_if7functorIS9_EEEE10hipError_tPvRmT1_T2_T3_mT4_P12ihipStream_tbEUlT_E1_NS1_11comp_targetILNS1_3genE0ELNS1_11target_archE4294967295ELNS1_3gpuE0ELNS1_3repE0EEENS1_30default_config_static_selectorELNS0_4arch9wavefront6targetE1EEEvS14_,"axG",@progbits,_ZN7rocprim17ROCPRIM_400000_NS6detail17trampoline_kernelINS0_14default_configENS1_22reduce_config_selectorIN6thrust23THRUST_200600_302600_NS5tupleIblNS6_9null_typeES8_S8_S8_S8_S8_S8_S8_EEEEZNS1_11reduce_implILb1ES3_NS6_12zip_iteratorINS7_INS6_11hip_rocprim26transform_input_iterator_tIbNSD_35transform_pair_of_input_iterators_tIbNS6_6detail15normal_iteratorINS6_10device_ptrIKiEEEESL_NS6_8equal_toIiEEEENSG_9not_fun_tINSD_8identityEEEEENSD_19counting_iterator_tIlEES8_S8_S8_S8_S8_S8_S8_S8_EEEEPS9_S9_NSD_9__find_if7functorIS9_EEEE10hipError_tPvRmT1_T2_T3_mT4_P12ihipStream_tbEUlT_E1_NS1_11comp_targetILNS1_3genE0ELNS1_11target_archE4294967295ELNS1_3gpuE0ELNS1_3repE0EEENS1_30default_config_static_selectorELNS0_4arch9wavefront6targetE1EEEvS14_,comdat
	.protected	_ZN7rocprim17ROCPRIM_400000_NS6detail17trampoline_kernelINS0_14default_configENS1_22reduce_config_selectorIN6thrust23THRUST_200600_302600_NS5tupleIblNS6_9null_typeES8_S8_S8_S8_S8_S8_S8_EEEEZNS1_11reduce_implILb1ES3_NS6_12zip_iteratorINS7_INS6_11hip_rocprim26transform_input_iterator_tIbNSD_35transform_pair_of_input_iterators_tIbNS6_6detail15normal_iteratorINS6_10device_ptrIKiEEEESL_NS6_8equal_toIiEEEENSG_9not_fun_tINSD_8identityEEEEENSD_19counting_iterator_tIlEES8_S8_S8_S8_S8_S8_S8_S8_EEEEPS9_S9_NSD_9__find_if7functorIS9_EEEE10hipError_tPvRmT1_T2_T3_mT4_P12ihipStream_tbEUlT_E1_NS1_11comp_targetILNS1_3genE0ELNS1_11target_archE4294967295ELNS1_3gpuE0ELNS1_3repE0EEENS1_30default_config_static_selectorELNS0_4arch9wavefront6targetE1EEEvS14_ ; -- Begin function _ZN7rocprim17ROCPRIM_400000_NS6detail17trampoline_kernelINS0_14default_configENS1_22reduce_config_selectorIN6thrust23THRUST_200600_302600_NS5tupleIblNS6_9null_typeES8_S8_S8_S8_S8_S8_S8_EEEEZNS1_11reduce_implILb1ES3_NS6_12zip_iteratorINS7_INS6_11hip_rocprim26transform_input_iterator_tIbNSD_35transform_pair_of_input_iterators_tIbNS6_6detail15normal_iteratorINS6_10device_ptrIKiEEEESL_NS6_8equal_toIiEEEENSG_9not_fun_tINSD_8identityEEEEENSD_19counting_iterator_tIlEES8_S8_S8_S8_S8_S8_S8_S8_EEEEPS9_S9_NSD_9__find_if7functorIS9_EEEE10hipError_tPvRmT1_T2_T3_mT4_P12ihipStream_tbEUlT_E1_NS1_11comp_targetILNS1_3genE0ELNS1_11target_archE4294967295ELNS1_3gpuE0ELNS1_3repE0EEENS1_30default_config_static_selectorELNS0_4arch9wavefront6targetE1EEEvS14_
	.globl	_ZN7rocprim17ROCPRIM_400000_NS6detail17trampoline_kernelINS0_14default_configENS1_22reduce_config_selectorIN6thrust23THRUST_200600_302600_NS5tupleIblNS6_9null_typeES8_S8_S8_S8_S8_S8_S8_EEEEZNS1_11reduce_implILb1ES3_NS6_12zip_iteratorINS7_INS6_11hip_rocprim26transform_input_iterator_tIbNSD_35transform_pair_of_input_iterators_tIbNS6_6detail15normal_iteratorINS6_10device_ptrIKiEEEESL_NS6_8equal_toIiEEEENSG_9not_fun_tINSD_8identityEEEEENSD_19counting_iterator_tIlEES8_S8_S8_S8_S8_S8_S8_S8_EEEEPS9_S9_NSD_9__find_if7functorIS9_EEEE10hipError_tPvRmT1_T2_T3_mT4_P12ihipStream_tbEUlT_E1_NS1_11comp_targetILNS1_3genE0ELNS1_11target_archE4294967295ELNS1_3gpuE0ELNS1_3repE0EEENS1_30default_config_static_selectorELNS0_4arch9wavefront6targetE1EEEvS14_
	.p2align	8
	.type	_ZN7rocprim17ROCPRIM_400000_NS6detail17trampoline_kernelINS0_14default_configENS1_22reduce_config_selectorIN6thrust23THRUST_200600_302600_NS5tupleIblNS6_9null_typeES8_S8_S8_S8_S8_S8_S8_EEEEZNS1_11reduce_implILb1ES3_NS6_12zip_iteratorINS7_INS6_11hip_rocprim26transform_input_iterator_tIbNSD_35transform_pair_of_input_iterators_tIbNS6_6detail15normal_iteratorINS6_10device_ptrIKiEEEESL_NS6_8equal_toIiEEEENSG_9not_fun_tINSD_8identityEEEEENSD_19counting_iterator_tIlEES8_S8_S8_S8_S8_S8_S8_S8_EEEEPS9_S9_NSD_9__find_if7functorIS9_EEEE10hipError_tPvRmT1_T2_T3_mT4_P12ihipStream_tbEUlT_E1_NS1_11comp_targetILNS1_3genE0ELNS1_11target_archE4294967295ELNS1_3gpuE0ELNS1_3repE0EEENS1_30default_config_static_selectorELNS0_4arch9wavefront6targetE1EEEvS14_,@function
_ZN7rocprim17ROCPRIM_400000_NS6detail17trampoline_kernelINS0_14default_configENS1_22reduce_config_selectorIN6thrust23THRUST_200600_302600_NS5tupleIblNS6_9null_typeES8_S8_S8_S8_S8_S8_S8_EEEEZNS1_11reduce_implILb1ES3_NS6_12zip_iteratorINS7_INS6_11hip_rocprim26transform_input_iterator_tIbNSD_35transform_pair_of_input_iterators_tIbNS6_6detail15normal_iteratorINS6_10device_ptrIKiEEEESL_NS6_8equal_toIiEEEENSG_9not_fun_tINSD_8identityEEEEENSD_19counting_iterator_tIlEES8_S8_S8_S8_S8_S8_S8_S8_EEEEPS9_S9_NSD_9__find_if7functorIS9_EEEE10hipError_tPvRmT1_T2_T3_mT4_P12ihipStream_tbEUlT_E1_NS1_11comp_targetILNS1_3genE0ELNS1_11target_archE4294967295ELNS1_3gpuE0ELNS1_3repE0EEENS1_30default_config_static_selectorELNS0_4arch9wavefront6targetE1EEEvS14_: ; @_ZN7rocprim17ROCPRIM_400000_NS6detail17trampoline_kernelINS0_14default_configENS1_22reduce_config_selectorIN6thrust23THRUST_200600_302600_NS5tupleIblNS6_9null_typeES8_S8_S8_S8_S8_S8_S8_EEEEZNS1_11reduce_implILb1ES3_NS6_12zip_iteratorINS7_INS6_11hip_rocprim26transform_input_iterator_tIbNSD_35transform_pair_of_input_iterators_tIbNS6_6detail15normal_iteratorINS6_10device_ptrIKiEEEESL_NS6_8equal_toIiEEEENSG_9not_fun_tINSD_8identityEEEEENSD_19counting_iterator_tIlEES8_S8_S8_S8_S8_S8_S8_S8_EEEEPS9_S9_NSD_9__find_if7functorIS9_EEEE10hipError_tPvRmT1_T2_T3_mT4_P12ihipStream_tbEUlT_E1_NS1_11comp_targetILNS1_3genE0ELNS1_11target_archE4294967295ELNS1_3gpuE0ELNS1_3repE0EEENS1_30default_config_static_selectorELNS0_4arch9wavefront6targetE1EEEvS14_
; %bb.0:
	.section	.rodata,"a",@progbits
	.p2align	6, 0x0
	.amdhsa_kernel _ZN7rocprim17ROCPRIM_400000_NS6detail17trampoline_kernelINS0_14default_configENS1_22reduce_config_selectorIN6thrust23THRUST_200600_302600_NS5tupleIblNS6_9null_typeES8_S8_S8_S8_S8_S8_S8_EEEEZNS1_11reduce_implILb1ES3_NS6_12zip_iteratorINS7_INS6_11hip_rocprim26transform_input_iterator_tIbNSD_35transform_pair_of_input_iterators_tIbNS6_6detail15normal_iteratorINS6_10device_ptrIKiEEEESL_NS6_8equal_toIiEEEENSG_9not_fun_tINSD_8identityEEEEENSD_19counting_iterator_tIlEES8_S8_S8_S8_S8_S8_S8_S8_EEEEPS9_S9_NSD_9__find_if7functorIS9_EEEE10hipError_tPvRmT1_T2_T3_mT4_P12ihipStream_tbEUlT_E1_NS1_11comp_targetILNS1_3genE0ELNS1_11target_archE4294967295ELNS1_3gpuE0ELNS1_3repE0EEENS1_30default_config_static_selectorELNS0_4arch9wavefront6targetE1EEEvS14_
		.amdhsa_group_segment_fixed_size 0
		.amdhsa_private_segment_fixed_size 0
		.amdhsa_kernarg_size 88
		.amdhsa_user_sgpr_count 6
		.amdhsa_user_sgpr_private_segment_buffer 1
		.amdhsa_user_sgpr_dispatch_ptr 0
		.amdhsa_user_sgpr_queue_ptr 0
		.amdhsa_user_sgpr_kernarg_segment_ptr 1
		.amdhsa_user_sgpr_dispatch_id 0
		.amdhsa_user_sgpr_flat_scratch_init 0
		.amdhsa_user_sgpr_kernarg_preload_length 0
		.amdhsa_user_sgpr_kernarg_preload_offset 0
		.amdhsa_user_sgpr_private_segment_size 0
		.amdhsa_uses_dynamic_stack 0
		.amdhsa_system_sgpr_private_segment_wavefront_offset 0
		.amdhsa_system_sgpr_workgroup_id_x 1
		.amdhsa_system_sgpr_workgroup_id_y 0
		.amdhsa_system_sgpr_workgroup_id_z 0
		.amdhsa_system_sgpr_workgroup_info 0
		.amdhsa_system_vgpr_workitem_id 0
		.amdhsa_next_free_vgpr 1
		.amdhsa_next_free_sgpr 0
		.amdhsa_accum_offset 4
		.amdhsa_reserve_vcc 0
		.amdhsa_reserve_flat_scratch 0
		.amdhsa_float_round_mode_32 0
		.amdhsa_float_round_mode_16_64 0
		.amdhsa_float_denorm_mode_32 3
		.amdhsa_float_denorm_mode_16_64 3
		.amdhsa_dx10_clamp 1
		.amdhsa_ieee_mode 1
		.amdhsa_fp16_overflow 0
		.amdhsa_tg_split 0
		.amdhsa_exception_fp_ieee_invalid_op 0
		.amdhsa_exception_fp_denorm_src 0
		.amdhsa_exception_fp_ieee_div_zero 0
		.amdhsa_exception_fp_ieee_overflow 0
		.amdhsa_exception_fp_ieee_underflow 0
		.amdhsa_exception_fp_ieee_inexact 0
		.amdhsa_exception_int_div_zero 0
	.end_amdhsa_kernel
	.section	.text._ZN7rocprim17ROCPRIM_400000_NS6detail17trampoline_kernelINS0_14default_configENS1_22reduce_config_selectorIN6thrust23THRUST_200600_302600_NS5tupleIblNS6_9null_typeES8_S8_S8_S8_S8_S8_S8_EEEEZNS1_11reduce_implILb1ES3_NS6_12zip_iteratorINS7_INS6_11hip_rocprim26transform_input_iterator_tIbNSD_35transform_pair_of_input_iterators_tIbNS6_6detail15normal_iteratorINS6_10device_ptrIKiEEEESL_NS6_8equal_toIiEEEENSG_9not_fun_tINSD_8identityEEEEENSD_19counting_iterator_tIlEES8_S8_S8_S8_S8_S8_S8_S8_EEEEPS9_S9_NSD_9__find_if7functorIS9_EEEE10hipError_tPvRmT1_T2_T3_mT4_P12ihipStream_tbEUlT_E1_NS1_11comp_targetILNS1_3genE0ELNS1_11target_archE4294967295ELNS1_3gpuE0ELNS1_3repE0EEENS1_30default_config_static_selectorELNS0_4arch9wavefront6targetE1EEEvS14_,"axG",@progbits,_ZN7rocprim17ROCPRIM_400000_NS6detail17trampoline_kernelINS0_14default_configENS1_22reduce_config_selectorIN6thrust23THRUST_200600_302600_NS5tupleIblNS6_9null_typeES8_S8_S8_S8_S8_S8_S8_EEEEZNS1_11reduce_implILb1ES3_NS6_12zip_iteratorINS7_INS6_11hip_rocprim26transform_input_iterator_tIbNSD_35transform_pair_of_input_iterators_tIbNS6_6detail15normal_iteratorINS6_10device_ptrIKiEEEESL_NS6_8equal_toIiEEEENSG_9not_fun_tINSD_8identityEEEEENSD_19counting_iterator_tIlEES8_S8_S8_S8_S8_S8_S8_S8_EEEEPS9_S9_NSD_9__find_if7functorIS9_EEEE10hipError_tPvRmT1_T2_T3_mT4_P12ihipStream_tbEUlT_E1_NS1_11comp_targetILNS1_3genE0ELNS1_11target_archE4294967295ELNS1_3gpuE0ELNS1_3repE0EEENS1_30default_config_static_selectorELNS0_4arch9wavefront6targetE1EEEvS14_,comdat
.Lfunc_end129:
	.size	_ZN7rocprim17ROCPRIM_400000_NS6detail17trampoline_kernelINS0_14default_configENS1_22reduce_config_selectorIN6thrust23THRUST_200600_302600_NS5tupleIblNS6_9null_typeES8_S8_S8_S8_S8_S8_S8_EEEEZNS1_11reduce_implILb1ES3_NS6_12zip_iteratorINS7_INS6_11hip_rocprim26transform_input_iterator_tIbNSD_35transform_pair_of_input_iterators_tIbNS6_6detail15normal_iteratorINS6_10device_ptrIKiEEEESL_NS6_8equal_toIiEEEENSG_9not_fun_tINSD_8identityEEEEENSD_19counting_iterator_tIlEES8_S8_S8_S8_S8_S8_S8_S8_EEEEPS9_S9_NSD_9__find_if7functorIS9_EEEE10hipError_tPvRmT1_T2_T3_mT4_P12ihipStream_tbEUlT_E1_NS1_11comp_targetILNS1_3genE0ELNS1_11target_archE4294967295ELNS1_3gpuE0ELNS1_3repE0EEENS1_30default_config_static_selectorELNS0_4arch9wavefront6targetE1EEEvS14_, .Lfunc_end129-_ZN7rocprim17ROCPRIM_400000_NS6detail17trampoline_kernelINS0_14default_configENS1_22reduce_config_selectorIN6thrust23THRUST_200600_302600_NS5tupleIblNS6_9null_typeES8_S8_S8_S8_S8_S8_S8_EEEEZNS1_11reduce_implILb1ES3_NS6_12zip_iteratorINS7_INS6_11hip_rocprim26transform_input_iterator_tIbNSD_35transform_pair_of_input_iterators_tIbNS6_6detail15normal_iteratorINS6_10device_ptrIKiEEEESL_NS6_8equal_toIiEEEENSG_9not_fun_tINSD_8identityEEEEENSD_19counting_iterator_tIlEES8_S8_S8_S8_S8_S8_S8_S8_EEEEPS9_S9_NSD_9__find_if7functorIS9_EEEE10hipError_tPvRmT1_T2_T3_mT4_P12ihipStream_tbEUlT_E1_NS1_11comp_targetILNS1_3genE0ELNS1_11target_archE4294967295ELNS1_3gpuE0ELNS1_3repE0EEENS1_30default_config_static_selectorELNS0_4arch9wavefront6targetE1EEEvS14_
                                        ; -- End function
	.section	.AMDGPU.csdata,"",@progbits
; Kernel info:
; codeLenInByte = 0
; NumSgprs: 4
; NumVgprs: 0
; NumAgprs: 0
; TotalNumVgprs: 0
; ScratchSize: 0
; MemoryBound: 0
; FloatMode: 240
; IeeeMode: 1
; LDSByteSize: 0 bytes/workgroup (compile time only)
; SGPRBlocks: 0
; VGPRBlocks: 0
; NumSGPRsForWavesPerEU: 4
; NumVGPRsForWavesPerEU: 1
; AccumOffset: 4
; Occupancy: 8
; WaveLimiterHint : 0
; COMPUTE_PGM_RSRC2:SCRATCH_EN: 0
; COMPUTE_PGM_RSRC2:USER_SGPR: 6
; COMPUTE_PGM_RSRC2:TRAP_HANDLER: 0
; COMPUTE_PGM_RSRC2:TGID_X_EN: 1
; COMPUTE_PGM_RSRC2:TGID_Y_EN: 0
; COMPUTE_PGM_RSRC2:TGID_Z_EN: 0
; COMPUTE_PGM_RSRC2:TIDIG_COMP_CNT: 0
; COMPUTE_PGM_RSRC3_GFX90A:ACCUM_OFFSET: 0
; COMPUTE_PGM_RSRC3_GFX90A:TG_SPLIT: 0
	.section	.text._ZN7rocprim17ROCPRIM_400000_NS6detail17trampoline_kernelINS0_14default_configENS1_22reduce_config_selectorIN6thrust23THRUST_200600_302600_NS5tupleIblNS6_9null_typeES8_S8_S8_S8_S8_S8_S8_EEEEZNS1_11reduce_implILb1ES3_NS6_12zip_iteratorINS7_INS6_11hip_rocprim26transform_input_iterator_tIbNSD_35transform_pair_of_input_iterators_tIbNS6_6detail15normal_iteratorINS6_10device_ptrIKiEEEESL_NS6_8equal_toIiEEEENSG_9not_fun_tINSD_8identityEEEEENSD_19counting_iterator_tIlEES8_S8_S8_S8_S8_S8_S8_S8_EEEEPS9_S9_NSD_9__find_if7functorIS9_EEEE10hipError_tPvRmT1_T2_T3_mT4_P12ihipStream_tbEUlT_E1_NS1_11comp_targetILNS1_3genE5ELNS1_11target_archE942ELNS1_3gpuE9ELNS1_3repE0EEENS1_30default_config_static_selectorELNS0_4arch9wavefront6targetE1EEEvS14_,"axG",@progbits,_ZN7rocprim17ROCPRIM_400000_NS6detail17trampoline_kernelINS0_14default_configENS1_22reduce_config_selectorIN6thrust23THRUST_200600_302600_NS5tupleIblNS6_9null_typeES8_S8_S8_S8_S8_S8_S8_EEEEZNS1_11reduce_implILb1ES3_NS6_12zip_iteratorINS7_INS6_11hip_rocprim26transform_input_iterator_tIbNSD_35transform_pair_of_input_iterators_tIbNS6_6detail15normal_iteratorINS6_10device_ptrIKiEEEESL_NS6_8equal_toIiEEEENSG_9not_fun_tINSD_8identityEEEEENSD_19counting_iterator_tIlEES8_S8_S8_S8_S8_S8_S8_S8_EEEEPS9_S9_NSD_9__find_if7functorIS9_EEEE10hipError_tPvRmT1_T2_T3_mT4_P12ihipStream_tbEUlT_E1_NS1_11comp_targetILNS1_3genE5ELNS1_11target_archE942ELNS1_3gpuE9ELNS1_3repE0EEENS1_30default_config_static_selectorELNS0_4arch9wavefront6targetE1EEEvS14_,comdat
	.protected	_ZN7rocprim17ROCPRIM_400000_NS6detail17trampoline_kernelINS0_14default_configENS1_22reduce_config_selectorIN6thrust23THRUST_200600_302600_NS5tupleIblNS6_9null_typeES8_S8_S8_S8_S8_S8_S8_EEEEZNS1_11reduce_implILb1ES3_NS6_12zip_iteratorINS7_INS6_11hip_rocprim26transform_input_iterator_tIbNSD_35transform_pair_of_input_iterators_tIbNS6_6detail15normal_iteratorINS6_10device_ptrIKiEEEESL_NS6_8equal_toIiEEEENSG_9not_fun_tINSD_8identityEEEEENSD_19counting_iterator_tIlEES8_S8_S8_S8_S8_S8_S8_S8_EEEEPS9_S9_NSD_9__find_if7functorIS9_EEEE10hipError_tPvRmT1_T2_T3_mT4_P12ihipStream_tbEUlT_E1_NS1_11comp_targetILNS1_3genE5ELNS1_11target_archE942ELNS1_3gpuE9ELNS1_3repE0EEENS1_30default_config_static_selectorELNS0_4arch9wavefront6targetE1EEEvS14_ ; -- Begin function _ZN7rocprim17ROCPRIM_400000_NS6detail17trampoline_kernelINS0_14default_configENS1_22reduce_config_selectorIN6thrust23THRUST_200600_302600_NS5tupleIblNS6_9null_typeES8_S8_S8_S8_S8_S8_S8_EEEEZNS1_11reduce_implILb1ES3_NS6_12zip_iteratorINS7_INS6_11hip_rocprim26transform_input_iterator_tIbNSD_35transform_pair_of_input_iterators_tIbNS6_6detail15normal_iteratorINS6_10device_ptrIKiEEEESL_NS6_8equal_toIiEEEENSG_9not_fun_tINSD_8identityEEEEENSD_19counting_iterator_tIlEES8_S8_S8_S8_S8_S8_S8_S8_EEEEPS9_S9_NSD_9__find_if7functorIS9_EEEE10hipError_tPvRmT1_T2_T3_mT4_P12ihipStream_tbEUlT_E1_NS1_11comp_targetILNS1_3genE5ELNS1_11target_archE942ELNS1_3gpuE9ELNS1_3repE0EEENS1_30default_config_static_selectorELNS0_4arch9wavefront6targetE1EEEvS14_
	.globl	_ZN7rocprim17ROCPRIM_400000_NS6detail17trampoline_kernelINS0_14default_configENS1_22reduce_config_selectorIN6thrust23THRUST_200600_302600_NS5tupleIblNS6_9null_typeES8_S8_S8_S8_S8_S8_S8_EEEEZNS1_11reduce_implILb1ES3_NS6_12zip_iteratorINS7_INS6_11hip_rocprim26transform_input_iterator_tIbNSD_35transform_pair_of_input_iterators_tIbNS6_6detail15normal_iteratorINS6_10device_ptrIKiEEEESL_NS6_8equal_toIiEEEENSG_9not_fun_tINSD_8identityEEEEENSD_19counting_iterator_tIlEES8_S8_S8_S8_S8_S8_S8_S8_EEEEPS9_S9_NSD_9__find_if7functorIS9_EEEE10hipError_tPvRmT1_T2_T3_mT4_P12ihipStream_tbEUlT_E1_NS1_11comp_targetILNS1_3genE5ELNS1_11target_archE942ELNS1_3gpuE9ELNS1_3repE0EEENS1_30default_config_static_selectorELNS0_4arch9wavefront6targetE1EEEvS14_
	.p2align	8
	.type	_ZN7rocprim17ROCPRIM_400000_NS6detail17trampoline_kernelINS0_14default_configENS1_22reduce_config_selectorIN6thrust23THRUST_200600_302600_NS5tupleIblNS6_9null_typeES8_S8_S8_S8_S8_S8_S8_EEEEZNS1_11reduce_implILb1ES3_NS6_12zip_iteratorINS7_INS6_11hip_rocprim26transform_input_iterator_tIbNSD_35transform_pair_of_input_iterators_tIbNS6_6detail15normal_iteratorINS6_10device_ptrIKiEEEESL_NS6_8equal_toIiEEEENSG_9not_fun_tINSD_8identityEEEEENSD_19counting_iterator_tIlEES8_S8_S8_S8_S8_S8_S8_S8_EEEEPS9_S9_NSD_9__find_if7functorIS9_EEEE10hipError_tPvRmT1_T2_T3_mT4_P12ihipStream_tbEUlT_E1_NS1_11comp_targetILNS1_3genE5ELNS1_11target_archE942ELNS1_3gpuE9ELNS1_3repE0EEENS1_30default_config_static_selectorELNS0_4arch9wavefront6targetE1EEEvS14_,@function
_ZN7rocprim17ROCPRIM_400000_NS6detail17trampoline_kernelINS0_14default_configENS1_22reduce_config_selectorIN6thrust23THRUST_200600_302600_NS5tupleIblNS6_9null_typeES8_S8_S8_S8_S8_S8_S8_EEEEZNS1_11reduce_implILb1ES3_NS6_12zip_iteratorINS7_INS6_11hip_rocprim26transform_input_iterator_tIbNSD_35transform_pair_of_input_iterators_tIbNS6_6detail15normal_iteratorINS6_10device_ptrIKiEEEESL_NS6_8equal_toIiEEEENSG_9not_fun_tINSD_8identityEEEEENSD_19counting_iterator_tIlEES8_S8_S8_S8_S8_S8_S8_S8_EEEEPS9_S9_NSD_9__find_if7functorIS9_EEEE10hipError_tPvRmT1_T2_T3_mT4_P12ihipStream_tbEUlT_E1_NS1_11comp_targetILNS1_3genE5ELNS1_11target_archE942ELNS1_3gpuE9ELNS1_3repE0EEENS1_30default_config_static_selectorELNS0_4arch9wavefront6targetE1EEEvS14_: ; @_ZN7rocprim17ROCPRIM_400000_NS6detail17trampoline_kernelINS0_14default_configENS1_22reduce_config_selectorIN6thrust23THRUST_200600_302600_NS5tupleIblNS6_9null_typeES8_S8_S8_S8_S8_S8_S8_EEEEZNS1_11reduce_implILb1ES3_NS6_12zip_iteratorINS7_INS6_11hip_rocprim26transform_input_iterator_tIbNSD_35transform_pair_of_input_iterators_tIbNS6_6detail15normal_iteratorINS6_10device_ptrIKiEEEESL_NS6_8equal_toIiEEEENSG_9not_fun_tINSD_8identityEEEEENSD_19counting_iterator_tIlEES8_S8_S8_S8_S8_S8_S8_S8_EEEEPS9_S9_NSD_9__find_if7functorIS9_EEEE10hipError_tPvRmT1_T2_T3_mT4_P12ihipStream_tbEUlT_E1_NS1_11comp_targetILNS1_3genE5ELNS1_11target_archE942ELNS1_3gpuE9ELNS1_3repE0EEENS1_30default_config_static_selectorELNS0_4arch9wavefront6targetE1EEEvS14_
; %bb.0:
	.section	.rodata,"a",@progbits
	.p2align	6, 0x0
	.amdhsa_kernel _ZN7rocprim17ROCPRIM_400000_NS6detail17trampoline_kernelINS0_14default_configENS1_22reduce_config_selectorIN6thrust23THRUST_200600_302600_NS5tupleIblNS6_9null_typeES8_S8_S8_S8_S8_S8_S8_EEEEZNS1_11reduce_implILb1ES3_NS6_12zip_iteratorINS7_INS6_11hip_rocprim26transform_input_iterator_tIbNSD_35transform_pair_of_input_iterators_tIbNS6_6detail15normal_iteratorINS6_10device_ptrIKiEEEESL_NS6_8equal_toIiEEEENSG_9not_fun_tINSD_8identityEEEEENSD_19counting_iterator_tIlEES8_S8_S8_S8_S8_S8_S8_S8_EEEEPS9_S9_NSD_9__find_if7functorIS9_EEEE10hipError_tPvRmT1_T2_T3_mT4_P12ihipStream_tbEUlT_E1_NS1_11comp_targetILNS1_3genE5ELNS1_11target_archE942ELNS1_3gpuE9ELNS1_3repE0EEENS1_30default_config_static_selectorELNS0_4arch9wavefront6targetE1EEEvS14_
		.amdhsa_group_segment_fixed_size 0
		.amdhsa_private_segment_fixed_size 0
		.amdhsa_kernarg_size 88
		.amdhsa_user_sgpr_count 6
		.amdhsa_user_sgpr_private_segment_buffer 1
		.amdhsa_user_sgpr_dispatch_ptr 0
		.amdhsa_user_sgpr_queue_ptr 0
		.amdhsa_user_sgpr_kernarg_segment_ptr 1
		.amdhsa_user_sgpr_dispatch_id 0
		.amdhsa_user_sgpr_flat_scratch_init 0
		.amdhsa_user_sgpr_kernarg_preload_length 0
		.amdhsa_user_sgpr_kernarg_preload_offset 0
		.amdhsa_user_sgpr_private_segment_size 0
		.amdhsa_uses_dynamic_stack 0
		.amdhsa_system_sgpr_private_segment_wavefront_offset 0
		.amdhsa_system_sgpr_workgroup_id_x 1
		.amdhsa_system_sgpr_workgroup_id_y 0
		.amdhsa_system_sgpr_workgroup_id_z 0
		.amdhsa_system_sgpr_workgroup_info 0
		.amdhsa_system_vgpr_workitem_id 0
		.amdhsa_next_free_vgpr 1
		.amdhsa_next_free_sgpr 0
		.amdhsa_accum_offset 4
		.amdhsa_reserve_vcc 0
		.amdhsa_reserve_flat_scratch 0
		.amdhsa_float_round_mode_32 0
		.amdhsa_float_round_mode_16_64 0
		.amdhsa_float_denorm_mode_32 3
		.amdhsa_float_denorm_mode_16_64 3
		.amdhsa_dx10_clamp 1
		.amdhsa_ieee_mode 1
		.amdhsa_fp16_overflow 0
		.amdhsa_tg_split 0
		.amdhsa_exception_fp_ieee_invalid_op 0
		.amdhsa_exception_fp_denorm_src 0
		.amdhsa_exception_fp_ieee_div_zero 0
		.amdhsa_exception_fp_ieee_overflow 0
		.amdhsa_exception_fp_ieee_underflow 0
		.amdhsa_exception_fp_ieee_inexact 0
		.amdhsa_exception_int_div_zero 0
	.end_amdhsa_kernel
	.section	.text._ZN7rocprim17ROCPRIM_400000_NS6detail17trampoline_kernelINS0_14default_configENS1_22reduce_config_selectorIN6thrust23THRUST_200600_302600_NS5tupleIblNS6_9null_typeES8_S8_S8_S8_S8_S8_S8_EEEEZNS1_11reduce_implILb1ES3_NS6_12zip_iteratorINS7_INS6_11hip_rocprim26transform_input_iterator_tIbNSD_35transform_pair_of_input_iterators_tIbNS6_6detail15normal_iteratorINS6_10device_ptrIKiEEEESL_NS6_8equal_toIiEEEENSG_9not_fun_tINSD_8identityEEEEENSD_19counting_iterator_tIlEES8_S8_S8_S8_S8_S8_S8_S8_EEEEPS9_S9_NSD_9__find_if7functorIS9_EEEE10hipError_tPvRmT1_T2_T3_mT4_P12ihipStream_tbEUlT_E1_NS1_11comp_targetILNS1_3genE5ELNS1_11target_archE942ELNS1_3gpuE9ELNS1_3repE0EEENS1_30default_config_static_selectorELNS0_4arch9wavefront6targetE1EEEvS14_,"axG",@progbits,_ZN7rocprim17ROCPRIM_400000_NS6detail17trampoline_kernelINS0_14default_configENS1_22reduce_config_selectorIN6thrust23THRUST_200600_302600_NS5tupleIblNS6_9null_typeES8_S8_S8_S8_S8_S8_S8_EEEEZNS1_11reduce_implILb1ES3_NS6_12zip_iteratorINS7_INS6_11hip_rocprim26transform_input_iterator_tIbNSD_35transform_pair_of_input_iterators_tIbNS6_6detail15normal_iteratorINS6_10device_ptrIKiEEEESL_NS6_8equal_toIiEEEENSG_9not_fun_tINSD_8identityEEEEENSD_19counting_iterator_tIlEES8_S8_S8_S8_S8_S8_S8_S8_EEEEPS9_S9_NSD_9__find_if7functorIS9_EEEE10hipError_tPvRmT1_T2_T3_mT4_P12ihipStream_tbEUlT_E1_NS1_11comp_targetILNS1_3genE5ELNS1_11target_archE942ELNS1_3gpuE9ELNS1_3repE0EEENS1_30default_config_static_selectorELNS0_4arch9wavefront6targetE1EEEvS14_,comdat
.Lfunc_end130:
	.size	_ZN7rocprim17ROCPRIM_400000_NS6detail17trampoline_kernelINS0_14default_configENS1_22reduce_config_selectorIN6thrust23THRUST_200600_302600_NS5tupleIblNS6_9null_typeES8_S8_S8_S8_S8_S8_S8_EEEEZNS1_11reduce_implILb1ES3_NS6_12zip_iteratorINS7_INS6_11hip_rocprim26transform_input_iterator_tIbNSD_35transform_pair_of_input_iterators_tIbNS6_6detail15normal_iteratorINS6_10device_ptrIKiEEEESL_NS6_8equal_toIiEEEENSG_9not_fun_tINSD_8identityEEEEENSD_19counting_iterator_tIlEES8_S8_S8_S8_S8_S8_S8_S8_EEEEPS9_S9_NSD_9__find_if7functorIS9_EEEE10hipError_tPvRmT1_T2_T3_mT4_P12ihipStream_tbEUlT_E1_NS1_11comp_targetILNS1_3genE5ELNS1_11target_archE942ELNS1_3gpuE9ELNS1_3repE0EEENS1_30default_config_static_selectorELNS0_4arch9wavefront6targetE1EEEvS14_, .Lfunc_end130-_ZN7rocprim17ROCPRIM_400000_NS6detail17trampoline_kernelINS0_14default_configENS1_22reduce_config_selectorIN6thrust23THRUST_200600_302600_NS5tupleIblNS6_9null_typeES8_S8_S8_S8_S8_S8_S8_EEEEZNS1_11reduce_implILb1ES3_NS6_12zip_iteratorINS7_INS6_11hip_rocprim26transform_input_iterator_tIbNSD_35transform_pair_of_input_iterators_tIbNS6_6detail15normal_iteratorINS6_10device_ptrIKiEEEESL_NS6_8equal_toIiEEEENSG_9not_fun_tINSD_8identityEEEEENSD_19counting_iterator_tIlEES8_S8_S8_S8_S8_S8_S8_S8_EEEEPS9_S9_NSD_9__find_if7functorIS9_EEEE10hipError_tPvRmT1_T2_T3_mT4_P12ihipStream_tbEUlT_E1_NS1_11comp_targetILNS1_3genE5ELNS1_11target_archE942ELNS1_3gpuE9ELNS1_3repE0EEENS1_30default_config_static_selectorELNS0_4arch9wavefront6targetE1EEEvS14_
                                        ; -- End function
	.section	.AMDGPU.csdata,"",@progbits
; Kernel info:
; codeLenInByte = 0
; NumSgprs: 4
; NumVgprs: 0
; NumAgprs: 0
; TotalNumVgprs: 0
; ScratchSize: 0
; MemoryBound: 0
; FloatMode: 240
; IeeeMode: 1
; LDSByteSize: 0 bytes/workgroup (compile time only)
; SGPRBlocks: 0
; VGPRBlocks: 0
; NumSGPRsForWavesPerEU: 4
; NumVGPRsForWavesPerEU: 1
; AccumOffset: 4
; Occupancy: 8
; WaveLimiterHint : 0
; COMPUTE_PGM_RSRC2:SCRATCH_EN: 0
; COMPUTE_PGM_RSRC2:USER_SGPR: 6
; COMPUTE_PGM_RSRC2:TRAP_HANDLER: 0
; COMPUTE_PGM_RSRC2:TGID_X_EN: 1
; COMPUTE_PGM_RSRC2:TGID_Y_EN: 0
; COMPUTE_PGM_RSRC2:TGID_Z_EN: 0
; COMPUTE_PGM_RSRC2:TIDIG_COMP_CNT: 0
; COMPUTE_PGM_RSRC3_GFX90A:ACCUM_OFFSET: 0
; COMPUTE_PGM_RSRC3_GFX90A:TG_SPLIT: 0
	.section	.text._ZN7rocprim17ROCPRIM_400000_NS6detail17trampoline_kernelINS0_14default_configENS1_22reduce_config_selectorIN6thrust23THRUST_200600_302600_NS5tupleIblNS6_9null_typeES8_S8_S8_S8_S8_S8_S8_EEEEZNS1_11reduce_implILb1ES3_NS6_12zip_iteratorINS7_INS6_11hip_rocprim26transform_input_iterator_tIbNSD_35transform_pair_of_input_iterators_tIbNS6_6detail15normal_iteratorINS6_10device_ptrIKiEEEESL_NS6_8equal_toIiEEEENSG_9not_fun_tINSD_8identityEEEEENSD_19counting_iterator_tIlEES8_S8_S8_S8_S8_S8_S8_S8_EEEEPS9_S9_NSD_9__find_if7functorIS9_EEEE10hipError_tPvRmT1_T2_T3_mT4_P12ihipStream_tbEUlT_E1_NS1_11comp_targetILNS1_3genE4ELNS1_11target_archE910ELNS1_3gpuE8ELNS1_3repE0EEENS1_30default_config_static_selectorELNS0_4arch9wavefront6targetE1EEEvS14_,"axG",@progbits,_ZN7rocprim17ROCPRIM_400000_NS6detail17trampoline_kernelINS0_14default_configENS1_22reduce_config_selectorIN6thrust23THRUST_200600_302600_NS5tupleIblNS6_9null_typeES8_S8_S8_S8_S8_S8_S8_EEEEZNS1_11reduce_implILb1ES3_NS6_12zip_iteratorINS7_INS6_11hip_rocprim26transform_input_iterator_tIbNSD_35transform_pair_of_input_iterators_tIbNS6_6detail15normal_iteratorINS6_10device_ptrIKiEEEESL_NS6_8equal_toIiEEEENSG_9not_fun_tINSD_8identityEEEEENSD_19counting_iterator_tIlEES8_S8_S8_S8_S8_S8_S8_S8_EEEEPS9_S9_NSD_9__find_if7functorIS9_EEEE10hipError_tPvRmT1_T2_T3_mT4_P12ihipStream_tbEUlT_E1_NS1_11comp_targetILNS1_3genE4ELNS1_11target_archE910ELNS1_3gpuE8ELNS1_3repE0EEENS1_30default_config_static_selectorELNS0_4arch9wavefront6targetE1EEEvS14_,comdat
	.protected	_ZN7rocprim17ROCPRIM_400000_NS6detail17trampoline_kernelINS0_14default_configENS1_22reduce_config_selectorIN6thrust23THRUST_200600_302600_NS5tupleIblNS6_9null_typeES8_S8_S8_S8_S8_S8_S8_EEEEZNS1_11reduce_implILb1ES3_NS6_12zip_iteratorINS7_INS6_11hip_rocprim26transform_input_iterator_tIbNSD_35transform_pair_of_input_iterators_tIbNS6_6detail15normal_iteratorINS6_10device_ptrIKiEEEESL_NS6_8equal_toIiEEEENSG_9not_fun_tINSD_8identityEEEEENSD_19counting_iterator_tIlEES8_S8_S8_S8_S8_S8_S8_S8_EEEEPS9_S9_NSD_9__find_if7functorIS9_EEEE10hipError_tPvRmT1_T2_T3_mT4_P12ihipStream_tbEUlT_E1_NS1_11comp_targetILNS1_3genE4ELNS1_11target_archE910ELNS1_3gpuE8ELNS1_3repE0EEENS1_30default_config_static_selectorELNS0_4arch9wavefront6targetE1EEEvS14_ ; -- Begin function _ZN7rocprim17ROCPRIM_400000_NS6detail17trampoline_kernelINS0_14default_configENS1_22reduce_config_selectorIN6thrust23THRUST_200600_302600_NS5tupleIblNS6_9null_typeES8_S8_S8_S8_S8_S8_S8_EEEEZNS1_11reduce_implILb1ES3_NS6_12zip_iteratorINS7_INS6_11hip_rocprim26transform_input_iterator_tIbNSD_35transform_pair_of_input_iterators_tIbNS6_6detail15normal_iteratorINS6_10device_ptrIKiEEEESL_NS6_8equal_toIiEEEENSG_9not_fun_tINSD_8identityEEEEENSD_19counting_iterator_tIlEES8_S8_S8_S8_S8_S8_S8_S8_EEEEPS9_S9_NSD_9__find_if7functorIS9_EEEE10hipError_tPvRmT1_T2_T3_mT4_P12ihipStream_tbEUlT_E1_NS1_11comp_targetILNS1_3genE4ELNS1_11target_archE910ELNS1_3gpuE8ELNS1_3repE0EEENS1_30default_config_static_selectorELNS0_4arch9wavefront6targetE1EEEvS14_
	.globl	_ZN7rocprim17ROCPRIM_400000_NS6detail17trampoline_kernelINS0_14default_configENS1_22reduce_config_selectorIN6thrust23THRUST_200600_302600_NS5tupleIblNS6_9null_typeES8_S8_S8_S8_S8_S8_S8_EEEEZNS1_11reduce_implILb1ES3_NS6_12zip_iteratorINS7_INS6_11hip_rocprim26transform_input_iterator_tIbNSD_35transform_pair_of_input_iterators_tIbNS6_6detail15normal_iteratorINS6_10device_ptrIKiEEEESL_NS6_8equal_toIiEEEENSG_9not_fun_tINSD_8identityEEEEENSD_19counting_iterator_tIlEES8_S8_S8_S8_S8_S8_S8_S8_EEEEPS9_S9_NSD_9__find_if7functorIS9_EEEE10hipError_tPvRmT1_T2_T3_mT4_P12ihipStream_tbEUlT_E1_NS1_11comp_targetILNS1_3genE4ELNS1_11target_archE910ELNS1_3gpuE8ELNS1_3repE0EEENS1_30default_config_static_selectorELNS0_4arch9wavefront6targetE1EEEvS14_
	.p2align	8
	.type	_ZN7rocprim17ROCPRIM_400000_NS6detail17trampoline_kernelINS0_14default_configENS1_22reduce_config_selectorIN6thrust23THRUST_200600_302600_NS5tupleIblNS6_9null_typeES8_S8_S8_S8_S8_S8_S8_EEEEZNS1_11reduce_implILb1ES3_NS6_12zip_iteratorINS7_INS6_11hip_rocprim26transform_input_iterator_tIbNSD_35transform_pair_of_input_iterators_tIbNS6_6detail15normal_iteratorINS6_10device_ptrIKiEEEESL_NS6_8equal_toIiEEEENSG_9not_fun_tINSD_8identityEEEEENSD_19counting_iterator_tIlEES8_S8_S8_S8_S8_S8_S8_S8_EEEEPS9_S9_NSD_9__find_if7functorIS9_EEEE10hipError_tPvRmT1_T2_T3_mT4_P12ihipStream_tbEUlT_E1_NS1_11comp_targetILNS1_3genE4ELNS1_11target_archE910ELNS1_3gpuE8ELNS1_3repE0EEENS1_30default_config_static_selectorELNS0_4arch9wavefront6targetE1EEEvS14_,@function
_ZN7rocprim17ROCPRIM_400000_NS6detail17trampoline_kernelINS0_14default_configENS1_22reduce_config_selectorIN6thrust23THRUST_200600_302600_NS5tupleIblNS6_9null_typeES8_S8_S8_S8_S8_S8_S8_EEEEZNS1_11reduce_implILb1ES3_NS6_12zip_iteratorINS7_INS6_11hip_rocprim26transform_input_iterator_tIbNSD_35transform_pair_of_input_iterators_tIbNS6_6detail15normal_iteratorINS6_10device_ptrIKiEEEESL_NS6_8equal_toIiEEEENSG_9not_fun_tINSD_8identityEEEEENSD_19counting_iterator_tIlEES8_S8_S8_S8_S8_S8_S8_S8_EEEEPS9_S9_NSD_9__find_if7functorIS9_EEEE10hipError_tPvRmT1_T2_T3_mT4_P12ihipStream_tbEUlT_E1_NS1_11comp_targetILNS1_3genE4ELNS1_11target_archE910ELNS1_3gpuE8ELNS1_3repE0EEENS1_30default_config_static_selectorELNS0_4arch9wavefront6targetE1EEEvS14_: ; @_ZN7rocprim17ROCPRIM_400000_NS6detail17trampoline_kernelINS0_14default_configENS1_22reduce_config_selectorIN6thrust23THRUST_200600_302600_NS5tupleIblNS6_9null_typeES8_S8_S8_S8_S8_S8_S8_EEEEZNS1_11reduce_implILb1ES3_NS6_12zip_iteratorINS7_INS6_11hip_rocprim26transform_input_iterator_tIbNSD_35transform_pair_of_input_iterators_tIbNS6_6detail15normal_iteratorINS6_10device_ptrIKiEEEESL_NS6_8equal_toIiEEEENSG_9not_fun_tINSD_8identityEEEEENSD_19counting_iterator_tIlEES8_S8_S8_S8_S8_S8_S8_S8_EEEEPS9_S9_NSD_9__find_if7functorIS9_EEEE10hipError_tPvRmT1_T2_T3_mT4_P12ihipStream_tbEUlT_E1_NS1_11comp_targetILNS1_3genE4ELNS1_11target_archE910ELNS1_3gpuE8ELNS1_3repE0EEENS1_30default_config_static_selectorELNS0_4arch9wavefront6targetE1EEEvS14_
; %bb.0:
	s_load_dword s36, s[4:5], 0x4
	s_load_dwordx4 s[24:27], s[4:5], 0x8
	s_load_dwordx4 s[20:23], s[4:5], 0x28
	s_load_dword s33, s[4:5], 0x40
	s_load_dwordx2 s[18:19], s[4:5], 0x48
	s_waitcnt lgkmcnt(0)
	s_cmp_lt_i32 s36, 4
	s_cbranch_scc1 .LBB131_21
; %bb.1:
	s_cmp_gt_i32 s36, 7
	s_cbranch_scc0 .LBB131_22
; %bb.2:
	s_cmp_eq_u32 s36, 8
	s_mov_b64 s[28:29], 0
	s_cbranch_scc0 .LBB131_23
; %bb.3:
	s_mov_b32 s7, 0
	s_lshl_b32 s14, s6, 11
	s_mov_b32 s15, s7
	s_lshr_b64 s[0:1], s[22:23], 11
	s_lshl_b64 s[2:3], s[14:15], 2
	s_add_u32 s16, s24, s2
	s_addc_u32 s17, s25, s3
	s_add_u32 s30, s26, s2
	s_addc_u32 s31, s27, s3
	;; [unrolled: 2-line block ×3, first 2 shown]
	s_cmp_lg_u64 s[0:1], s[6:7]
	s_cbranch_scc0 .LBB131_44
; %bb.4:
	v_lshlrev_b32_e32 v1, 2, v0
	v_mov_b32_e32 v2, s17
	v_add_co_u32_e32 v3, vcc, s16, v1
	v_addc_co_u32_e32 v4, vcc, 0, v2, vcc
	v_mov_b32_e32 v2, s31
	v_add_co_u32_e32 v5, vcc, s30, v1
	v_addc_co_u32_e32 v6, vcc, 0, v2, vcc
	s_movk_i32 s0, 0x1000
	v_add_co_u32_e32 v2, vcc, s0, v3
	global_load_dword v7, v1, s[16:17]
	global_load_dword v8, v1, s[16:17] offset:1024
	global_load_dword v9, v1, s[16:17] offset:2048
	;; [unrolled: 1-line block ×5, first 2 shown]
	global_load_dword v13, v1, s[30:31]
	global_load_dword v14, v1, s[16:17] offset:3072
	v_addc_co_u32_e32 v3, vcc, 0, v4, vcc
	v_add_co_u32_e32 v4, vcc, s0, v5
	global_load_dword v1, v[2:3], off
	v_addc_co_u32_e32 v5, vcc, 0, v6, vcc
	global_load_dword v6, v[4:5], off
	global_load_dword v15, v[2:3], off offset:2048
	global_load_dword v16, v[2:3], off offset:3072
	;; [unrolled: 1-line block ×6, first 2 shown]
	v_mov_b32_e32 v2, s38
	v_add_co_u32_e32 v25, vcc, s37, v0
	v_addc_co_u32_e32 v26, vcc, 0, v2, vcc
	v_mov_b32_e32 v3, 0x200
	v_mov_b32_e32 v4, 0x100
	;; [unrolled: 1-line block ×7, first 2 shown]
	s_waitcnt vmcnt(12)
	v_cmp_ne_u32_e64 s[0:1], v8, v10
	s_waitcnt vmcnt(11)
	v_cmp_ne_u32_e32 vcc, v9, v11
	v_cndmask_b32_e64 v2, v3, v4, s[0:1]
	s_waitcnt vmcnt(9)
	v_cmp_ne_u32_e64 s[8:9], v7, v13
	s_or_b64 s[12:13], s[8:9], s[0:1]
	s_waitcnt vmcnt(8)
	v_cmp_ne_u32_e64 s[2:3], v14, v12
	s_or_b64 vcc, s[12:13], vcc
	v_cndmask_b32_e64 v3, v5, v21, s[2:3]
	v_cndmask_b32_e64 v2, v2, 0, s[8:9]
	s_waitcnt vmcnt(6)
	v_cmp_ne_u32_e64 s[0:1], v1, v6
	s_or_b64 s[2:3], vcc, s[2:3]
	v_cndmask_b32_e32 v1, v3, v2, vcc
	s_waitcnt vmcnt(0)
	v_cmp_ne_u32_e64 s[12:13], v19, v20
	s_or_b64 vcc, s[2:3], s[0:1]
	v_cmp_ne_u32_e64 s[8:9], v15, v17
	v_cndmask_b32_e64 v2, v22, v23, s[12:13]
	s_or_b64 s[0:1], vcc, s[12:13]
	v_cndmask_b32_e32 v1, v2, v1, vcc
	s_or_b64 vcc, s[0:1], s[8:9]
	v_cndmask_b32_e32 v1, v24, v1, vcc
	v_add_co_u32_e64 v2, s[0:1], v25, v1
	v_cmp_ne_u32_e64 s[10:11], v16, v18
	v_addc_co_u32_e64 v3, s[0:1], 0, v26, s[0:1]
	s_or_b64 s[0:1], vcc, s[10:11]
	v_cndmask_b32_e64 v1, 0, 1, s[0:1]
	v_mov_b32_dpp v4, v2 quad_perm:[1,0,3,2] row_mask:0xf bank_mask:0xf bound_ctrl:1
	v_mov_b32_dpp v5, v3 quad_perm:[1,0,3,2] row_mask:0xf bank_mask:0xf bound_ctrl:1
	;; [unrolled: 1-line block ×3, first 2 shown]
	v_and_b32_e32 v7, 1, v6
	v_cmp_eq_u32_e32 vcc, 1, v7
	s_and_saveexec_b64 s[2:3], vcc
; %bb.5:
	v_cmp_lt_i64_e32 vcc, v[2:3], v[4:5]
	v_cndmask_b32_e64 v6, v6, 1, s[0:1]
	s_and_b64 vcc, s[0:1], vcc
	v_cndmask_b32_e32 v2, v4, v2, vcc
	v_and_b32_e32 v4, 1, v6
	v_cndmask_b32_e32 v3, v5, v3, vcc
	v_cmp_eq_u32_e32 vcc, 1, v4
	s_andn2_b64 s[0:1], s[0:1], exec
	s_and_b64 s[8:9], vcc, exec
	v_and_b32_e32 v1, 0xff, v6
	s_or_b64 s[0:1], s[0:1], s[8:9]
; %bb.6:
	s_or_b64 exec, exec, s[2:3]
	v_mov_b32_dpp v6, v1 quad_perm:[2,3,0,1] row_mask:0xf bank_mask:0xf bound_ctrl:1
	v_and_b32_e32 v7, 1, v6
	v_mov_b32_dpp v4, v2 quad_perm:[2,3,0,1] row_mask:0xf bank_mask:0xf bound_ctrl:1
	v_mov_b32_dpp v5, v3 quad_perm:[2,3,0,1] row_mask:0xf bank_mask:0xf bound_ctrl:1
	v_cmp_eq_u32_e32 vcc, 1, v7
	s_and_saveexec_b64 s[2:3], vcc
; %bb.7:
	v_cmp_lt_i64_e32 vcc, v[2:3], v[4:5]
	v_cndmask_b32_e64 v6, v6, 1, s[0:1]
	s_and_b64 vcc, s[0:1], vcc
	v_cndmask_b32_e32 v2, v4, v2, vcc
	v_and_b32_e32 v4, 1, v6
	v_cndmask_b32_e32 v3, v5, v3, vcc
	v_cmp_eq_u32_e32 vcc, 1, v4
	s_andn2_b64 s[0:1], s[0:1], exec
	s_and_b64 s[8:9], vcc, exec
	v_and_b32_e32 v1, 0xff, v6
	s_or_b64 s[0:1], s[0:1], s[8:9]
; %bb.8:
	s_or_b64 exec, exec, s[2:3]
	v_mov_b32_dpp v6, v1 row_ror:4 row_mask:0xf bank_mask:0xf bound_ctrl:1
	v_and_b32_e32 v7, 1, v6
	v_mov_b32_dpp v4, v2 row_ror:4 row_mask:0xf bank_mask:0xf bound_ctrl:1
	v_mov_b32_dpp v5, v3 row_ror:4 row_mask:0xf bank_mask:0xf bound_ctrl:1
	v_cmp_eq_u32_e32 vcc, 1, v7
	s_and_saveexec_b64 s[2:3], vcc
; %bb.9:
	v_cmp_lt_i64_e32 vcc, v[2:3], v[4:5]
	v_cndmask_b32_e64 v6, v6, 1, s[0:1]
	s_and_b64 vcc, s[0:1], vcc
	v_cndmask_b32_e32 v2, v4, v2, vcc
	v_and_b32_e32 v4, 1, v6
	v_cndmask_b32_e32 v3, v5, v3, vcc
	v_cmp_eq_u32_e32 vcc, 1, v4
	s_andn2_b64 s[0:1], s[0:1], exec
	s_and_b64 s[8:9], vcc, exec
	v_and_b32_e32 v1, 0xff, v6
	s_or_b64 s[0:1], s[0:1], s[8:9]
; %bb.10:
	s_or_b64 exec, exec, s[2:3]
	v_mov_b32_dpp v6, v1 row_ror:8 row_mask:0xf bank_mask:0xf bound_ctrl:1
	v_and_b32_e32 v7, 1, v6
	v_mov_b32_dpp v4, v2 row_ror:8 row_mask:0xf bank_mask:0xf bound_ctrl:1
	v_mov_b32_dpp v5, v3 row_ror:8 row_mask:0xf bank_mask:0xf bound_ctrl:1
	v_cmp_eq_u32_e32 vcc, 1, v7
	s_and_saveexec_b64 s[2:3], vcc
; %bb.11:
	v_cmp_lt_i64_e32 vcc, v[2:3], v[4:5]
	v_cndmask_b32_e64 v6, v6, 1, s[0:1]
	s_and_b64 vcc, s[0:1], vcc
	v_cndmask_b32_e32 v2, v4, v2, vcc
	v_and_b32_e32 v4, 1, v6
	v_cndmask_b32_e32 v3, v5, v3, vcc
	v_cmp_eq_u32_e32 vcc, 1, v4
	s_andn2_b64 s[0:1], s[0:1], exec
	s_and_b64 s[8:9], vcc, exec
	v_and_b32_e32 v1, 0xff, v6
	s_or_b64 s[0:1], s[0:1], s[8:9]
; %bb.12:
	s_or_b64 exec, exec, s[2:3]
	v_mov_b32_dpp v6, v1 row_bcast:15 row_mask:0xf bank_mask:0xf bound_ctrl:1
	v_and_b32_e32 v7, 1, v6
	v_mov_b32_dpp v4, v2 row_bcast:15 row_mask:0xf bank_mask:0xf bound_ctrl:1
	v_mov_b32_dpp v5, v3 row_bcast:15 row_mask:0xf bank_mask:0xf bound_ctrl:1
	v_cmp_eq_u32_e32 vcc, 1, v7
	s_and_saveexec_b64 s[2:3], vcc
; %bb.13:
	v_cmp_lt_i64_e32 vcc, v[2:3], v[4:5]
	v_cndmask_b32_e64 v6, v6, 1, s[0:1]
	s_and_b64 vcc, s[0:1], vcc
	v_cndmask_b32_e32 v2, v4, v2, vcc
	v_and_b32_e32 v4, 1, v6
	v_cndmask_b32_e32 v3, v5, v3, vcc
	v_cmp_eq_u32_e32 vcc, 1, v4
	s_andn2_b64 s[0:1], s[0:1], exec
	s_and_b64 s[8:9], vcc, exec
	v_and_b32_e32 v1, 0xff, v6
	s_or_b64 s[0:1], s[0:1], s[8:9]
; %bb.14:
	s_or_b64 exec, exec, s[2:3]
	v_mov_b32_dpp v6, v1 row_bcast:31 row_mask:0xf bank_mask:0xf bound_ctrl:1
	v_and_b32_e32 v7, 1, v6
	v_mov_b32_dpp v4, v2 row_bcast:31 row_mask:0xf bank_mask:0xf bound_ctrl:1
	v_mov_b32_dpp v5, v3 row_bcast:31 row_mask:0xf bank_mask:0xf bound_ctrl:1
	v_cmp_eq_u32_e32 vcc, 1, v7
	s_and_saveexec_b64 s[2:3], vcc
; %bb.15:
	v_cmp_lt_i64_e32 vcc, v[2:3], v[4:5]
	v_and_b32_e32 v1, 0xff, v6
	s_and_b64 vcc, s[0:1], vcc
	v_cndmask_b32_e32 v2, v4, v2, vcc
	v_cndmask_b32_e32 v3, v5, v3, vcc
	v_cndmask_b32_e64 v1, v1, 1, s[0:1]
; %bb.16:
	s_or_b64 exec, exec, s[2:3]
	v_mbcnt_lo_u32_b32 v4, -1, 0
	v_mbcnt_hi_u32_b32 v4, -1, v4
	v_bfrev_b32_e32 v5, 0.5
	v_lshl_or_b32 v5, v4, 2, v5
	ds_bpermute_b32 v7, v5, v1
	ds_bpermute_b32 v2, v5, v2
	;; [unrolled: 1-line block ×3, first 2 shown]
	v_cmp_eq_u32_e32 vcc, 0, v4
	s_and_saveexec_b64 s[0:1], vcc
	s_cbranch_execz .LBB131_18
; %bb.17:
	v_lshrrev_b32_e32 v1, 2, v0
	v_and_b32_e32 v1, 48, v1
	s_waitcnt lgkmcnt(2)
	ds_write_b8 v1, v7 offset:192
	s_waitcnt lgkmcnt(1)
	ds_write_b64 v1, v[2:3] offset:200
.LBB131_18:
	s_or_b64 exec, exec, s[0:1]
	v_cmp_gt_u32_e32 vcc, 64, v0
	s_waitcnt lgkmcnt(0)
	s_barrier
	s_and_saveexec_b64 s[2:3], vcc
	s_cbranch_execz .LBB131_20
; %bb.19:
	v_and_b32_e32 v1, 3, v4
	v_lshlrev_b32_e32 v2, 4, v1
	ds_read_u8 v5, v2 offset:192
	ds_read_b64 v[2:3], v2 offset:200
	v_cmp_ne_u32_e32 vcc, 3, v1
	v_addc_co_u32_e32 v6, vcc, 0, v4, vcc
	s_waitcnt lgkmcnt(1)
	v_and_b32_e32 v7, 0xff, v5
	v_lshlrev_b32_e32 v8, 2, v6
	ds_bpermute_b32 v9, v8, v7
	s_waitcnt lgkmcnt(1)
	ds_bpermute_b32 v6, v8, v2
	ds_bpermute_b32 v7, v8, v3
	v_and_b32_e32 v8, 1, v5
	s_waitcnt lgkmcnt(2)
	v_and_b32_e32 v10, 1, v9
	v_cmp_eq_u32_e64 s[0:1], 1, v10
	s_waitcnt lgkmcnt(0)
	v_cmp_lt_i64_e32 vcc, v[6:7], v[2:3]
	s_and_b64 vcc, s[0:1], vcc
	v_cndmask_b32_e64 v5, v5, 1, s[0:1]
	v_cndmask_b32_e32 v2, v2, v6, vcc
	v_cndmask_b32_e32 v3, v3, v7, vcc
	v_cmp_eq_u32_e32 vcc, 1, v8
	v_cndmask_b32_e32 v8, v9, v5, vcc
	v_cndmask_b32_e32 v3, v7, v3, vcc
	;; [unrolled: 1-line block ×3, first 2 shown]
	v_cmp_gt_u32_e32 vcc, 2, v1
	v_cndmask_b32_e64 v1, 0, 1, vcc
	v_lshlrev_b32_e32 v1, 1, v1
	v_and_b32_e32 v5, 0xff, v8
	v_add_lshl_u32 v1, v1, v4, 2
	ds_bpermute_b32 v6, v1, v5
	ds_bpermute_b32 v4, v1, v2
	;; [unrolled: 1-line block ×3, first 2 shown]
	v_and_b32_e32 v1, 1, v8
	s_waitcnt lgkmcnt(2)
	v_and_b32_e32 v7, 1, v6
	v_cmp_eq_u32_e64 s[0:1], 1, v7
	s_waitcnt lgkmcnt(0)
	v_cmp_lt_i64_e32 vcc, v[4:5], v[2:3]
	s_and_b64 vcc, s[0:1], vcc
	v_cndmask_b32_e64 v7, v8, 1, s[0:1]
	v_cndmask_b32_e32 v2, v2, v4, vcc
	v_cndmask_b32_e32 v3, v3, v5, vcc
	v_cmp_eq_u32_e32 vcc, 1, v1
	v_cndmask_b32_e32 v1, v6, v7, vcc
	v_cndmask_b32_e32 v3, v5, v3, vcc
	;; [unrolled: 1-line block ×3, first 2 shown]
	v_and_b32_e32 v7, 0xff, v1
.LBB131_20:
	s_or_b64 exec, exec, s[2:3]
	s_branch .LBB131_89
.LBB131_21:
	s_mov_b64 s[10:11], 0
                                        ; implicit-def: $vgpr4_vgpr5
                                        ; implicit-def: $vgpr1
	s_cbranch_execnz .LBB131_133
	s_branch .LBB131_208
.LBB131_22:
	s_mov_b64 s[28:29], -1
.LBB131_23:
	s_mov_b64 s[10:11], 0
                                        ; implicit-def: $vgpr4_vgpr5
                                        ; implicit-def: $vgpr1
	s_and_b64 vcc, exec, s[28:29]
	s_cbranch_vccz .LBB131_94
.LBB131_24:
	s_cmp_eq_u32 s36, 4
	s_cbranch_scc0 .LBB131_43
; %bb.25:
	s_mov_b32 s7, 0
	s_lshl_b32 s16, s6, 10
	s_mov_b32 s17, s7
	s_lshr_b64 s[0:1], s[22:23], 10
	s_lshl_b64 s[2:3], s[16:17], 2
	s_add_u32 s12, s24, s2
	s_addc_u32 s13, s25, s3
	s_add_u32 s14, s26, s2
	s_addc_u32 s15, s27, s3
	s_add_u32 s28, s20, s16
	s_addc_u32 s29, s21, 0
	s_cmp_lg_u64 s[0:1], s[6:7]
	s_cbranch_scc0 .LBB131_95
; %bb.26:
	v_lshlrev_b32_e32 v1, 2, v0
	global_load_dword v2, v1, s[12:13] offset:2048
	global_load_dword v3, v1, s[14:15] offset:1024
	s_waitcnt lgkmcnt(1)
	global_load_dword v4, v1, s[14:15] offset:2048
	s_waitcnt lgkmcnt(0)
	global_load_dword v5, v1, s[14:15] offset:3072
	global_load_dword v6, v1, s[12:13] offset:3072
	;; [unrolled: 1-line block ×3, first 2 shown]
	global_load_dword v8, v1, s[14:15]
	global_load_dword v9, v1, s[12:13]
	v_mov_b32_e32 v1, s29
	v_add_co_u32_e32 v13, vcc, s28, v0
	v_mov_b32_e32 v10, 0x200
	v_mov_b32_e32 v11, 0x100
	v_addc_co_u32_e32 v1, vcc, 0, v1, vcc
	v_mov_b32_e32 v12, 0x300
	s_waitcnt vmcnt(5)
	v_cmp_ne_u32_e32 vcc, v2, v4
	s_waitcnt vmcnt(3)
	v_cmp_ne_u32_e64 s[0:1], v6, v5
	s_waitcnt vmcnt(2)
	v_cmp_ne_u32_e64 s[2:3], v7, v3
	v_cndmask_b32_e64 v2, v10, v11, s[2:3]
	s_waitcnt vmcnt(0)
	v_cmp_ne_u32_e64 s[8:9], v9, v8
	s_or_b64 s[2:3], s[8:9], s[2:3]
	v_cndmask_b32_e64 v2, v2, 0, s[8:9]
	s_or_b64 vcc, s[2:3], vcc
	v_cndmask_b32_e32 v2, v12, v2, vcc
	v_add_co_u32_e64 v2, s[2:3], v13, v2
	s_or_b64 s[0:1], vcc, s[0:1]
	v_addc_co_u32_e64 v3, s[2:3], 0, v1, s[2:3]
	v_cndmask_b32_e64 v1, 0, 1, s[0:1]
	v_mov_b32_dpp v4, v2 quad_perm:[1,0,3,2] row_mask:0xf bank_mask:0xf bound_ctrl:1
	v_mov_b32_dpp v5, v3 quad_perm:[1,0,3,2] row_mask:0xf bank_mask:0xf bound_ctrl:1
	;; [unrolled: 1-line block ×3, first 2 shown]
	v_and_b32_e32 v7, 1, v6
	v_cmp_eq_u32_e32 vcc, 1, v7
	s_and_saveexec_b64 s[2:3], vcc
; %bb.27:
	v_cmp_lt_i64_e32 vcc, v[2:3], v[4:5]
	v_cndmask_b32_e64 v6, v6, 1, s[0:1]
	s_and_b64 vcc, s[0:1], vcc
	v_cndmask_b32_e32 v2, v4, v2, vcc
	v_and_b32_e32 v4, 1, v6
	v_cndmask_b32_e32 v3, v5, v3, vcc
	v_cmp_eq_u32_e32 vcc, 1, v4
	s_andn2_b64 s[0:1], s[0:1], exec
	s_and_b64 s[8:9], vcc, exec
	v_and_b32_e32 v1, 0xff, v6
	s_or_b64 s[0:1], s[0:1], s[8:9]
; %bb.28:
	s_or_b64 exec, exec, s[2:3]
	v_mov_b32_dpp v6, v1 quad_perm:[2,3,0,1] row_mask:0xf bank_mask:0xf bound_ctrl:1
	v_and_b32_e32 v7, 1, v6
	v_mov_b32_dpp v4, v2 quad_perm:[2,3,0,1] row_mask:0xf bank_mask:0xf bound_ctrl:1
	v_mov_b32_dpp v5, v3 quad_perm:[2,3,0,1] row_mask:0xf bank_mask:0xf bound_ctrl:1
	v_cmp_eq_u32_e32 vcc, 1, v7
	s_and_saveexec_b64 s[2:3], vcc
; %bb.29:
	v_cmp_lt_i64_e32 vcc, v[2:3], v[4:5]
	v_cndmask_b32_e64 v6, v6, 1, s[0:1]
	s_and_b64 vcc, s[0:1], vcc
	v_cndmask_b32_e32 v2, v4, v2, vcc
	v_and_b32_e32 v4, 1, v6
	v_cndmask_b32_e32 v3, v5, v3, vcc
	v_cmp_eq_u32_e32 vcc, 1, v4
	s_andn2_b64 s[0:1], s[0:1], exec
	s_and_b64 s[8:9], vcc, exec
	v_and_b32_e32 v1, 0xff, v6
	s_or_b64 s[0:1], s[0:1], s[8:9]
; %bb.30:
	s_or_b64 exec, exec, s[2:3]
	v_mov_b32_dpp v6, v1 row_ror:4 row_mask:0xf bank_mask:0xf bound_ctrl:1
	v_and_b32_e32 v7, 1, v6
	v_mov_b32_dpp v4, v2 row_ror:4 row_mask:0xf bank_mask:0xf bound_ctrl:1
	v_mov_b32_dpp v5, v3 row_ror:4 row_mask:0xf bank_mask:0xf bound_ctrl:1
	v_cmp_eq_u32_e32 vcc, 1, v7
	s_and_saveexec_b64 s[2:3], vcc
; %bb.31:
	v_cmp_lt_i64_e32 vcc, v[2:3], v[4:5]
	v_cndmask_b32_e64 v6, v6, 1, s[0:1]
	s_and_b64 vcc, s[0:1], vcc
	v_cndmask_b32_e32 v2, v4, v2, vcc
	v_and_b32_e32 v4, 1, v6
	v_cndmask_b32_e32 v3, v5, v3, vcc
	v_cmp_eq_u32_e32 vcc, 1, v4
	s_andn2_b64 s[0:1], s[0:1], exec
	s_and_b64 s[8:9], vcc, exec
	v_and_b32_e32 v1, 0xff, v6
	s_or_b64 s[0:1], s[0:1], s[8:9]
; %bb.32:
	s_or_b64 exec, exec, s[2:3]
	v_mov_b32_dpp v6, v1 row_ror:8 row_mask:0xf bank_mask:0xf bound_ctrl:1
	v_and_b32_e32 v7, 1, v6
	v_mov_b32_dpp v4, v2 row_ror:8 row_mask:0xf bank_mask:0xf bound_ctrl:1
	v_mov_b32_dpp v5, v3 row_ror:8 row_mask:0xf bank_mask:0xf bound_ctrl:1
	v_cmp_eq_u32_e32 vcc, 1, v7
	s_and_saveexec_b64 s[2:3], vcc
; %bb.33:
	v_cmp_lt_i64_e32 vcc, v[2:3], v[4:5]
	v_cndmask_b32_e64 v6, v6, 1, s[0:1]
	s_and_b64 vcc, s[0:1], vcc
	v_cndmask_b32_e32 v2, v4, v2, vcc
	v_and_b32_e32 v4, 1, v6
	v_cndmask_b32_e32 v3, v5, v3, vcc
	v_cmp_eq_u32_e32 vcc, 1, v4
	s_andn2_b64 s[0:1], s[0:1], exec
	s_and_b64 s[8:9], vcc, exec
	v_and_b32_e32 v1, 0xff, v6
	s_or_b64 s[0:1], s[0:1], s[8:9]
; %bb.34:
	s_or_b64 exec, exec, s[2:3]
	v_mov_b32_dpp v6, v1 row_bcast:15 row_mask:0xf bank_mask:0xf bound_ctrl:1
	v_and_b32_e32 v7, 1, v6
	v_mov_b32_dpp v4, v2 row_bcast:15 row_mask:0xf bank_mask:0xf bound_ctrl:1
	v_mov_b32_dpp v5, v3 row_bcast:15 row_mask:0xf bank_mask:0xf bound_ctrl:1
	v_cmp_eq_u32_e32 vcc, 1, v7
	s_and_saveexec_b64 s[2:3], vcc
; %bb.35:
	v_cmp_lt_i64_e32 vcc, v[2:3], v[4:5]
	v_cndmask_b32_e64 v6, v6, 1, s[0:1]
	s_and_b64 vcc, s[0:1], vcc
	v_cndmask_b32_e32 v2, v4, v2, vcc
	v_and_b32_e32 v4, 1, v6
	v_cndmask_b32_e32 v3, v5, v3, vcc
	v_cmp_eq_u32_e32 vcc, 1, v4
	s_andn2_b64 s[0:1], s[0:1], exec
	s_and_b64 s[8:9], vcc, exec
	v_and_b32_e32 v1, 0xff, v6
	s_or_b64 s[0:1], s[0:1], s[8:9]
; %bb.36:
	s_or_b64 exec, exec, s[2:3]
	v_mov_b32_dpp v6, v1 row_bcast:31 row_mask:0xf bank_mask:0xf bound_ctrl:1
	v_and_b32_e32 v7, 1, v6
	v_mov_b32_dpp v4, v2 row_bcast:31 row_mask:0xf bank_mask:0xf bound_ctrl:1
	v_mov_b32_dpp v5, v3 row_bcast:31 row_mask:0xf bank_mask:0xf bound_ctrl:1
	v_cmp_eq_u32_e32 vcc, 1, v7
	s_and_saveexec_b64 s[2:3], vcc
; %bb.37:
	v_cmp_lt_i64_e32 vcc, v[2:3], v[4:5]
	v_and_b32_e32 v1, 0xff, v6
	s_and_b64 vcc, s[0:1], vcc
	v_cndmask_b32_e32 v2, v4, v2, vcc
	v_cndmask_b32_e32 v3, v5, v3, vcc
	v_cndmask_b32_e64 v1, v1, 1, s[0:1]
; %bb.38:
	s_or_b64 exec, exec, s[2:3]
	v_mbcnt_lo_u32_b32 v4, -1, 0
	v_mbcnt_hi_u32_b32 v4, -1, v4
	v_bfrev_b32_e32 v5, 0.5
	v_lshl_or_b32 v5, v4, 2, v5
	ds_bpermute_b32 v6, v5, v1
	ds_bpermute_b32 v2, v5, v2
	;; [unrolled: 1-line block ×3, first 2 shown]
	v_cmp_eq_u32_e32 vcc, 0, v4
	s_and_saveexec_b64 s[0:1], vcc
	s_cbranch_execz .LBB131_40
; %bb.39:
	v_lshrrev_b32_e32 v1, 2, v0
	v_and_b32_e32 v1, 48, v1
	s_waitcnt lgkmcnt(2)
	ds_write_b8 v1, v6 offset:128
	s_waitcnt lgkmcnt(1)
	ds_write_b64 v1, v[2:3] offset:136
.LBB131_40:
	s_or_b64 exec, exec, s[0:1]
	v_cmp_gt_u32_e32 vcc, 64, v0
	s_waitcnt lgkmcnt(0)
	s_barrier
	s_and_saveexec_b64 s[2:3], vcc
	s_cbranch_execz .LBB131_42
; %bb.41:
	v_and_b32_e32 v1, 3, v4
	v_lshlrev_b32_e32 v2, 4, v1
	ds_read_u8 v5, v2 offset:128
	ds_read_b64 v[2:3], v2 offset:136
	v_cmp_ne_u32_e32 vcc, 3, v1
	v_addc_co_u32_e32 v6, vcc, 0, v4, vcc
	s_waitcnt lgkmcnt(1)
	v_and_b32_e32 v7, 0xff, v5
	v_lshlrev_b32_e32 v8, 2, v6
	ds_bpermute_b32 v9, v8, v7
	s_waitcnt lgkmcnt(1)
	ds_bpermute_b32 v6, v8, v2
	ds_bpermute_b32 v7, v8, v3
	v_and_b32_e32 v8, 1, v5
	s_waitcnt lgkmcnt(2)
	v_and_b32_e32 v10, 1, v9
	v_cmp_eq_u32_e64 s[0:1], 1, v10
	s_waitcnt lgkmcnt(0)
	v_cmp_lt_i64_e32 vcc, v[6:7], v[2:3]
	s_and_b64 vcc, s[0:1], vcc
	v_cndmask_b32_e64 v5, v5, 1, s[0:1]
	v_cndmask_b32_e32 v2, v2, v6, vcc
	v_cndmask_b32_e32 v3, v3, v7, vcc
	v_cmp_eq_u32_e32 vcc, 1, v8
	v_cndmask_b32_e32 v8, v9, v5, vcc
	v_cndmask_b32_e32 v3, v7, v3, vcc
	;; [unrolled: 1-line block ×3, first 2 shown]
	v_cmp_gt_u32_e32 vcc, 2, v1
	v_cndmask_b32_e64 v1, 0, 1, vcc
	v_lshlrev_b32_e32 v1, 1, v1
	v_and_b32_e32 v5, 0xff, v8
	v_add_lshl_u32 v1, v1, v4, 2
	ds_bpermute_b32 v6, v1, v5
	ds_bpermute_b32 v4, v1, v2
	;; [unrolled: 1-line block ×3, first 2 shown]
	v_and_b32_e32 v1, 1, v8
	s_waitcnt lgkmcnt(2)
	v_and_b32_e32 v7, 1, v6
	v_cmp_eq_u32_e64 s[0:1], 1, v7
	s_waitcnt lgkmcnt(0)
	v_cmp_lt_i64_e32 vcc, v[4:5], v[2:3]
	s_and_b64 vcc, s[0:1], vcc
	v_cndmask_b32_e64 v7, v8, 1, s[0:1]
	v_cndmask_b32_e32 v2, v2, v4, vcc
	v_cndmask_b32_e32 v3, v3, v5, vcc
	v_cmp_eq_u32_e32 vcc, 1, v1
	v_cndmask_b32_e32 v1, v6, v7, vcc
	v_cndmask_b32_e32 v3, v5, v3, vcc
	;; [unrolled: 1-line block ×3, first 2 shown]
	v_and_b32_e32 v6, 0xff, v1
.LBB131_42:
	s_or_b64 exec, exec, s[2:3]
	s_branch .LBB131_128
.LBB131_43:
                                        ; implicit-def: $vgpr4_vgpr5
                                        ; implicit-def: $vgpr1
	s_branch .LBB131_208
.LBB131_44:
                                        ; implicit-def: $vgpr2_vgpr3
                                        ; implicit-def: $vgpr7
	s_cbranch_execz .LBB131_89
; %bb.45:
	s_sub_i32 s39, s22, s14
	v_pk_mov_b32 v[4:5], 0, 0
	v_cmp_gt_u32_e32 vcc, s39, v0
	v_mov_b32_e32 v18, 0
	v_pk_mov_b32 v[2:3], v[4:5], v[4:5] op_sel:[0,1]
	v_mov_b32_e32 v1, 0
	s_and_saveexec_b64 s[0:1], vcc
	s_cbranch_execz .LBB131_47
; %bb.46:
	v_lshlrev_b32_e32 v1, 2, v0
	global_load_dword v6, v1, s[16:17]
	global_load_dword v7, v1, s[30:31]
	v_mov_b32_e32 v1, s38
	v_add_co_u32_e32 v2, vcc, s37, v0
	v_addc_co_u32_e32 v3, vcc, 0, v1, vcc
	s_waitcnt vmcnt(0)
	v_cmp_ne_u32_e32 vcc, v6, v7
	v_cndmask_b32_e64 v1, 0, 1, vcc
.LBB131_47:
	s_or_b64 exec, exec, s[0:1]
	v_or_b32_e32 v6, 0x100, v0
	v_cmp_gt_u32_e64 s[8:9], s39, v6
	s_and_saveexec_b64 s[0:1], s[8:9]
	s_cbranch_execz .LBB131_49
; %bb.48:
	v_lshlrev_b32_e32 v4, 2, v0
	global_load_dword v7, v4, s[16:17] offset:1024
	global_load_dword v8, v4, s[30:31] offset:1024
	v_mov_b32_e32 v5, s38
	v_add_co_u32_e32 v4, vcc, s37, v6
	v_addc_co_u32_e32 v5, vcc, 0, v5, vcc
	s_waitcnt vmcnt(0)
	v_cmp_ne_u32_e32 vcc, v7, v8
	v_cndmask_b32_e64 v18, 0, 1, vcc
.LBB131_49:
	s_or_b64 exec, exec, s[0:1]
	v_or_b32_e32 v8, 0x200, v0
	v_pk_mov_b32 v[6:7], 0, 0
	v_cmp_gt_u32_e32 vcc, s39, v8
	v_mov_b32_e32 v19, 0
	v_pk_mov_b32 v[12:13], v[6:7], v[6:7] op_sel:[0,1]
	v_mov_b32_e32 v23, 0
	s_and_saveexec_b64 s[2:3], vcc
	s_cbranch_execz .LBB131_51
; %bb.50:
	v_lshlrev_b32_e32 v9, 2, v0
	global_load_dword v10, v9, s[16:17] offset:2048
	global_load_dword v11, v9, s[30:31] offset:2048
	v_mov_b32_e32 v9, s38
	v_add_co_u32_e64 v12, s[0:1], s37, v8
	v_addc_co_u32_e64 v13, s[0:1], 0, v9, s[0:1]
	s_waitcnt vmcnt(0)
	v_cmp_ne_u32_e64 s[0:1], v10, v11
	v_cndmask_b32_e64 v23, 0, 1, s[0:1]
.LBB131_51:
	s_or_b64 exec, exec, s[2:3]
	v_or_b32_e32 v8, 0x300, v0
	v_cmp_gt_u32_e64 s[10:11], s39, v8
	s_and_saveexec_b64 s[2:3], s[10:11]
	s_cbranch_execz .LBB131_53
; %bb.52:
	v_lshlrev_b32_e32 v6, 2, v0
	global_load_dword v9, v6, s[16:17] offset:3072
	global_load_dword v10, v6, s[30:31] offset:3072
	v_mov_b32_e32 v7, s38
	v_add_co_u32_e64 v6, s[0:1], s37, v8
	v_addc_co_u32_e64 v7, s[0:1], 0, v7, s[0:1]
	s_waitcnt vmcnt(0)
	v_cmp_ne_u32_e64 s[0:1], v9, v10
	v_cndmask_b32_e64 v19, 0, 1, s[0:1]
.LBB131_53:
	s_or_b64 exec, exec, s[2:3]
	v_or_b32_e32 v10, 0x400, v0
	v_pk_mov_b32 v[8:9], 0, 0
	v_cmp_gt_u32_e64 s[0:1], s39, v10
	v_mov_b32_e32 v20, 0
	v_pk_mov_b32 v[14:15], v[8:9], v[8:9] op_sel:[0,1]
	v_mov_b32_e32 v24, 0
	s_and_saveexec_b64 s[12:13], s[0:1]
	s_cbranch_execz .LBB131_55
; %bb.54:
	v_lshlrev_b32_e32 v11, 2, v10
	global_load_dword v16, v11, s[16:17]
	global_load_dword v17, v11, s[30:31]
	v_mov_b32_e32 v11, s38
	v_add_co_u32_e64 v14, s[2:3], s37, v10
	v_addc_co_u32_e64 v15, s[2:3], 0, v11, s[2:3]
	s_waitcnt vmcnt(0)
	v_cmp_ne_u32_e64 s[2:3], v16, v17
	v_cndmask_b32_e64 v24, 0, 1, s[2:3]
.LBB131_55:
	s_or_b64 exec, exec, s[12:13]
	v_or_b32_e32 v10, 0x500, v0
	v_cmp_gt_u32_e64 s[12:13], s39, v10
	s_and_saveexec_b64 s[14:15], s[12:13]
	s_cbranch_execz .LBB131_57
; %bb.56:
	v_lshlrev_b32_e32 v8, 2, v10
	global_load_dword v11, v8, s[16:17]
	global_load_dword v16, v8, s[30:31]
	v_mov_b32_e32 v9, s38
	v_add_co_u32_e64 v8, s[2:3], s37, v10
	v_addc_co_u32_e64 v9, s[2:3], 0, v9, s[2:3]
	s_waitcnt vmcnt(0)
	v_cmp_ne_u32_e64 s[2:3], v11, v16
	v_cndmask_b32_e64 v20, 0, 1, s[2:3]
.LBB131_57:
	s_or_b64 exec, exec, s[14:15]
	v_or_b32_e32 v25, 0x600, v0
	v_pk_mov_b32 v[10:11], 0, 0
	v_cmp_gt_u32_e64 s[2:3], s39, v25
	v_mov_b32_e32 v21, 0
	v_mov_b32_e32 v22, 0
	v_pk_mov_b32 v[16:17], v[10:11], v[10:11] op_sel:[0,1]
	s_and_saveexec_b64 s[34:35], s[2:3]
	s_cbranch_execz .LBB131_59
; %bb.58:
	v_lshlrev_b32_e32 v16, 2, v25
	global_load_dword v22, v16, s[16:17]
	global_load_dword v26, v16, s[30:31]
	v_mov_b32_e32 v17, s38
	v_add_co_u32_e64 v16, s[14:15], s37, v25
	v_addc_co_u32_e64 v17, s[14:15], 0, v17, s[14:15]
	s_waitcnt vmcnt(0)
	v_cmp_ne_u32_e64 s[14:15], v22, v26
	v_cndmask_b32_e64 v22, 0, 1, s[14:15]
.LBB131_59:
	s_or_b64 exec, exec, s[34:35]
	v_or_b32_e32 v25, 0x700, v0
	v_cmp_gt_u32_e64 s[14:15], s39, v25
	s_and_saveexec_b64 s[34:35], s[14:15]
	s_cbranch_execnz .LBB131_240
; %bb.60:
	s_or_b64 exec, exec, s[34:35]
	s_and_saveexec_b64 s[30:31], s[8:9]
	s_cbranch_execnz .LBB131_241
.LBB131_61:
	s_or_b64 exec, exec, s[30:31]
	s_and_saveexec_b64 s[16:17], vcc
	s_cbranch_execnz .LBB131_242
.LBB131_62:
	s_or_b64 exec, exec, s[16:17]
	s_and_saveexec_b64 s[16:17], s[10:11]
	s_cbranch_execnz .LBB131_243
.LBB131_63:
	s_or_b64 exec, exec, s[16:17]
	s_and_saveexec_b64 s[8:9], s[0:1]
	s_cbranch_execnz .LBB131_244
.LBB131_64:
	s_or_b64 exec, exec, s[8:9]
	s_and_saveexec_b64 s[8:9], s[12:13]
	s_cbranch_execnz .LBB131_245
.LBB131_65:
	s_or_b64 exec, exec, s[8:9]
	s_and_saveexec_b64 s[8:9], s[2:3]
	s_cbranch_execnz .LBB131_246
.LBB131_66:
	s_or_b64 exec, exec, s[8:9]
	s_and_saveexec_b64 s[2:3], s[14:15]
	s_cbranch_execz .LBB131_68
.LBB131_67:
	v_and_b32_e32 v5, 1, v21
	v_cmp_lt_i64_e32 vcc, v[10:11], v[2:3]
	v_cmp_eq_u32_e64 s[0:1], 1, v5
	v_and_b32_e32 v4, 1, v1
	s_and_b64 vcc, s[0:1], vcc
	v_cndmask_b32_e64 v1, v1, 1, s[0:1]
	v_cndmask_b32_e32 v2, v2, v10, vcc
	v_cndmask_b32_e32 v3, v3, v11, vcc
	v_cmp_eq_u32_e32 vcc, 1, v4
	v_cndmask_b32_e32 v1, v21, v1, vcc
	v_cndmask_b32_e32 v3, v11, v3, vcc
	;; [unrolled: 1-line block ×3, first 2 shown]
.LBB131_68:
	s_or_b64 exec, exec, s[2:3]
	v_mbcnt_lo_u32_b32 v4, -1, 0
	v_mbcnt_hi_u32_b32 v6, -1, v4
	v_and_b32_e32 v8, 63, v6
	v_cmp_ne_u32_e32 vcc, 63, v8
	v_addc_co_u32_e32 v4, vcc, 0, v6, vcc
	v_and_b32_e32 v7, 0xffff, v1
	v_lshlrev_b32_e32 v5, 2, v4
	ds_bpermute_b32 v11, v5, v7
	ds_bpermute_b32 v4, v5, v2
	ds_bpermute_b32 v5, v5, v3
	s_min_u32 s8, s39, 0x100
	v_and_b32_e32 v9, 0xc0, v0
	v_sub_u32_e64 v10, s8, v9 clamp
	v_add_u32_e32 v9, 1, v8
	v_cmp_lt_u32_e32 vcc, v9, v10
	v_mov_b32_e32 v9, v7
	s_and_saveexec_b64 s[0:1], vcc
	s_xor_b64 s[2:3], exec, s[0:1]
	s_cbranch_execz .LBB131_70
; %bb.69:
	s_waitcnt lgkmcnt(2)
	v_and_b32_e32 v9, 1, v11
	s_waitcnt lgkmcnt(0)
	v_cmp_lt_i64_e32 vcc, v[4:5], v[2:3]
	v_cmp_eq_u32_e64 s[0:1], 1, v9
	v_and_b32_e32 v1, 1, v1
	s_and_b64 vcc, s[0:1], vcc
	v_cndmask_b32_e64 v7, v7, 1, s[0:1]
	v_cndmask_b32_e32 v2, v2, v4, vcc
	v_cndmask_b32_e32 v3, v3, v5, vcc
	v_cmp_eq_u32_e32 vcc, 1, v1
	v_cndmask_b32_e32 v9, v11, v7, vcc
	v_cndmask_b32_e32 v3, v5, v3, vcc
	;; [unrolled: 1-line block ×3, first 2 shown]
	v_and_b32_e32 v7, 0xff, v9
.LBB131_70:
	s_or_b64 exec, exec, s[2:3]
	v_cmp_gt_u32_e32 vcc, 62, v8
	v_cndmask_b32_e64 v1, 0, 1, vcc
	v_lshlrev_b32_e32 v1, 1, v1
	s_waitcnt lgkmcnt(0)
	v_add_lshl_u32 v5, v1, v6, 2
	ds_bpermute_b32 v1, v5, v7
	ds_bpermute_b32 v4, v5, v2
	ds_bpermute_b32 v5, v5, v3
	v_add_u32_e32 v11, 2, v8
	v_cmp_lt_u32_e32 vcc, v11, v10
	s_and_saveexec_b64 s[2:3], vcc
	s_cbranch_execz .LBB131_72
; %bb.71:
	s_waitcnt lgkmcnt(2)
	v_and_b32_e32 v11, 1, v1
	s_waitcnt lgkmcnt(0)
	v_cmp_lt_i64_e32 vcc, v[4:5], v[2:3]
	v_cmp_eq_u32_e64 s[0:1], 1, v11
	v_and_b32_e32 v7, 1, v9
	s_and_b64 vcc, s[0:1], vcc
	v_cndmask_b32_e64 v9, v9, 1, s[0:1]
	v_cndmask_b32_e32 v2, v2, v4, vcc
	v_cndmask_b32_e32 v3, v3, v5, vcc
	v_cmp_eq_u32_e32 vcc, 1, v7
	v_cndmask_b32_e32 v9, v1, v9, vcc
	v_cndmask_b32_e32 v3, v5, v3, vcc
	v_cndmask_b32_e32 v2, v4, v2, vcc
	v_and_b32_e32 v7, 0xff, v9
.LBB131_72:
	s_or_b64 exec, exec, s[2:3]
	v_cmp_gt_u32_e32 vcc, 60, v8
	s_waitcnt lgkmcnt(2)
	v_cndmask_b32_e64 v1, 0, 1, vcc
	v_lshlrev_b32_e32 v1, 2, v1
	s_waitcnt lgkmcnt(0)
	v_add_lshl_u32 v5, v1, v6, 2
	ds_bpermute_b32 v1, v5, v7
	ds_bpermute_b32 v4, v5, v2
	ds_bpermute_b32 v5, v5, v3
	v_add_u32_e32 v11, 4, v8
	v_cmp_lt_u32_e32 vcc, v11, v10
	s_and_saveexec_b64 s[2:3], vcc
	s_cbranch_execz .LBB131_74
; %bb.73:
	s_waitcnt lgkmcnt(2)
	v_and_b32_e32 v11, 1, v1
	s_waitcnt lgkmcnt(0)
	v_cmp_lt_i64_e32 vcc, v[4:5], v[2:3]
	v_cmp_eq_u32_e64 s[0:1], 1, v11
	v_and_b32_e32 v7, 1, v9
	s_and_b64 vcc, s[0:1], vcc
	v_cndmask_b32_e64 v9, v9, 1, s[0:1]
	v_cndmask_b32_e32 v2, v2, v4, vcc
	v_cndmask_b32_e32 v3, v3, v5, vcc
	v_cmp_eq_u32_e32 vcc, 1, v7
	v_cndmask_b32_e32 v9, v1, v9, vcc
	v_cndmask_b32_e32 v3, v5, v3, vcc
	v_cndmask_b32_e32 v2, v4, v2, vcc
	v_and_b32_e32 v7, 0xff, v9
.LBB131_74:
	s_or_b64 exec, exec, s[2:3]
	v_cmp_gt_u32_e32 vcc, 56, v8
	s_waitcnt lgkmcnt(2)
	;; [unrolled: 31-line block ×4, first 2 shown]
	v_cndmask_b32_e64 v1, 0, 1, vcc
	v_lshlrev_b32_e32 v1, 5, v1
	s_waitcnt lgkmcnt(0)
	v_add_lshl_u32 v5, v1, v6, 2
	ds_bpermute_b32 v1, v5, v7
	ds_bpermute_b32 v4, v5, v2
	;; [unrolled: 1-line block ×3, first 2 shown]
	v_add_u32_e32 v8, 32, v8
	v_cmp_lt_u32_e32 vcc, v8, v10
	s_and_saveexec_b64 s[2:3], vcc
	s_cbranch_execz .LBB131_80
; %bb.79:
	s_waitcnt lgkmcnt(2)
	v_and_b32_e32 v8, 1, v1
	s_waitcnt lgkmcnt(0)
	v_cmp_lt_i64_e32 vcc, v[4:5], v[2:3]
	v_cmp_eq_u32_e64 s[0:1], 1, v8
	v_and_b32_e32 v7, 1, v9
	s_and_b64 vcc, s[0:1], vcc
	v_cndmask_b32_e64 v8, v9, 1, s[0:1]
	v_cndmask_b32_e32 v2, v2, v4, vcc
	v_cndmask_b32_e32 v3, v3, v5, vcc
	v_cmp_eq_u32_e32 vcc, 1, v7
	v_cndmask_b32_e32 v9, v1, v8, vcc
	v_cndmask_b32_e32 v3, v5, v3, vcc
	;; [unrolled: 1-line block ×3, first 2 shown]
	v_and_b32_e32 v7, 0xff, v9
.LBB131_80:
	s_or_b64 exec, exec, s[2:3]
	v_cmp_eq_u32_e32 vcc, 0, v6
	s_and_saveexec_b64 s[0:1], vcc
	s_cbranch_execz .LBB131_82
; %bb.81:
	s_waitcnt lgkmcnt(2)
	v_lshrrev_b32_e32 v1, 2, v0
	v_and_b32_e32 v1, 48, v1
	ds_write_b8 v1, v9 offset:256
	ds_write_b64 v1, v[2:3] offset:264
.LBB131_82:
	s_or_b64 exec, exec, s[0:1]
	v_cmp_gt_u32_e32 vcc, 4, v0
	s_waitcnt lgkmcnt(0)
	s_barrier
	s_and_saveexec_b64 s[2:3], vcc
	s_cbranch_execz .LBB131_88
; %bb.83:
	v_lshlrev_b32_e32 v2, 4, v6
	ds_read_u8 v1, v2 offset:256
	ds_read_b64 v[2:3], v2 offset:264
	v_and_b32_e32 v8, 3, v6
	v_cmp_ne_u32_e32 vcc, 3, v8
	v_addc_co_u32_e32 v4, vcc, 0, v6, vcc
	s_waitcnt lgkmcnt(1)
	v_and_b32_e32 v7, 0xff, v1
	v_lshlrev_b32_e32 v5, 2, v4
	ds_bpermute_b32 v9, v5, v7
	s_waitcnt lgkmcnt(1)
	ds_bpermute_b32 v4, v5, v2
	ds_bpermute_b32 v5, v5, v3
	s_add_i32 s8, s8, 63
	s_lshr_b32 s10, s8, 6
	v_add_u32_e32 v10, 1, v8
	v_cmp_gt_u32_e32 vcc, s10, v10
	s_and_saveexec_b64 s[8:9], vcc
	s_cbranch_execz .LBB131_85
; %bb.84:
	s_waitcnt lgkmcnt(2)
	v_and_b32_e32 v10, 1, v9
	s_waitcnt lgkmcnt(0)
	v_cmp_lt_i64_e32 vcc, v[4:5], v[2:3]
	v_cmp_eq_u32_e64 s[0:1], 1, v10
	v_and_b32_e32 v7, 1, v1
	s_and_b64 vcc, s[0:1], vcc
	v_cndmask_b32_e64 v1, v1, 1, s[0:1]
	v_cndmask_b32_e32 v2, v2, v4, vcc
	v_cndmask_b32_e32 v3, v3, v5, vcc
	v_cmp_eq_u32_e32 vcc, 1, v7
	v_cndmask_b32_e32 v1, v9, v1, vcc
	v_cndmask_b32_e32 v3, v5, v3, vcc
	v_cndmask_b32_e32 v2, v4, v2, vcc
	v_and_b32_e32 v7, 0xff, v1
.LBB131_85:
	s_or_b64 exec, exec, s[8:9]
	v_cmp_gt_u32_e32 vcc, 2, v8
	s_waitcnt lgkmcnt(1)
	v_cndmask_b32_e64 v4, 0, 1, vcc
	v_lshlrev_b32_e32 v4, 1, v4
	s_waitcnt lgkmcnt(0)
	v_add_lshl_u32 v5, v4, v6, 2
	ds_bpermute_b32 v6, v5, v7
	ds_bpermute_b32 v4, v5, v2
	;; [unrolled: 1-line block ×3, first 2 shown]
	v_add_u32_e32 v8, 2, v8
	v_cmp_gt_u32_e32 vcc, s10, v8
	s_and_saveexec_b64 s[8:9], vcc
	s_cbranch_execz .LBB131_87
; %bb.86:
	s_waitcnt lgkmcnt(2)
	v_and_b32_e32 v8, 1, v6
	s_waitcnt lgkmcnt(0)
	v_cmp_lt_i64_e32 vcc, v[4:5], v[2:3]
	v_cmp_eq_u32_e64 s[0:1], 1, v8
	v_and_b32_e32 v7, 1, v1
	s_and_b64 vcc, s[0:1], vcc
	v_cndmask_b32_e64 v1, v1, 1, s[0:1]
	v_cndmask_b32_e32 v2, v2, v4, vcc
	v_cndmask_b32_e32 v3, v3, v5, vcc
	v_cmp_eq_u32_e32 vcc, 1, v7
	v_cndmask_b32_e32 v1, v6, v1, vcc
	v_cndmask_b32_e32 v3, v5, v3, vcc
	;; [unrolled: 1-line block ×3, first 2 shown]
	v_and_b32_e32 v7, 0xff, v1
.LBB131_87:
	s_or_b64 exec, exec, s[8:9]
.LBB131_88:
	s_or_b64 exec, exec, s[2:3]
.LBB131_89:
	v_cmp_eq_u32_e32 vcc, 0, v0
	s_mov_b64 s[10:11], 0
                                        ; implicit-def: $vgpr4_vgpr5
                                        ; implicit-def: $vgpr1
	s_and_saveexec_b64 s[0:1], vcc
	s_xor_b64 s[8:9], exec, s[0:1]
	s_cbranch_execz .LBB131_93
; %bb.90:
	s_cmp_eq_u64 s[22:23], 0
	s_waitcnt lgkmcnt(0)
	v_pk_mov_b32 v[4:5], s[18:19], s[18:19] op_sel:[0,1]
	v_mov_b32_e32 v1, s33
	s_cbranch_scc1 .LBB131_92
; %bb.91:
	v_and_b32_e32 v1, 1, v7
	s_bitcmp1_b32 s33, 0
	v_mov_b32_e32 v4, s33
	v_cmp_eq_u32_e32 vcc, 1, v1
	v_cmp_gt_i64_e64 s[2:3], s[18:19], v[2:3]
	v_cndmask_b32_e64 v1, v4, 1, vcc
	s_cselect_b64 s[0:1], -1, 0
	v_mov_b32_e32 v4, s18
	s_and_b64 vcc, vcc, s[2:3]
	v_mov_b32_e32 v5, s19
	v_cndmask_b32_e32 v4, v4, v2, vcc
	v_cndmask_b32_e32 v5, v5, v3, vcc
	v_cndmask_b32_e64 v1, v7, v1, s[0:1]
	v_cndmask_b32_e64 v5, v3, v5, s[0:1]
	;; [unrolled: 1-line block ×3, first 2 shown]
.LBB131_92:
	s_mov_b64 s[10:11], exec
.LBB131_93:
	s_or_b64 exec, exec, s[8:9]
	s_and_b64 vcc, exec, s[28:29]
	s_cbranch_vccnz .LBB131_24
.LBB131_94:
	s_branch .LBB131_208
.LBB131_95:
                                        ; implicit-def: $vgpr2_vgpr3
                                        ; implicit-def: $vgpr6
	s_cbranch_execz .LBB131_128
; %bb.96:
	s_sub_i32 s30, s22, s16
	s_waitcnt lgkmcnt(0)
	v_pk_mov_b32 v[4:5], 0, 0
	v_cmp_gt_u32_e32 vcc, s30, v0
	v_mov_b32_e32 v1, 0
	v_pk_mov_b32 v[2:3], v[4:5], v[4:5] op_sel:[0,1]
	v_mov_b32_e32 v10, 0
	s_and_saveexec_b64 s[0:1], vcc
	s_cbranch_execz .LBB131_98
; %bb.97:
	v_lshlrev_b32_e32 v2, 2, v0
	global_load_dword v6, v2, s[12:13]
	global_load_dword v7, v2, s[14:15]
	v_mov_b32_e32 v3, s29
	v_add_co_u32_e32 v2, vcc, s28, v0
	v_addc_co_u32_e32 v3, vcc, 0, v3, vcc
	s_waitcnt vmcnt(0)
	v_cmp_ne_u32_e32 vcc, v6, v7
	v_cndmask_b32_e64 v10, 0, 1, vcc
.LBB131_98:
	s_or_b64 exec, exec, s[0:1]
	v_or_b32_e32 v6, 0x100, v0
	v_cmp_gt_u32_e64 s[0:1], s30, v6
	s_and_saveexec_b64 s[2:3], s[0:1]
	s_cbranch_execz .LBB131_100
; %bb.99:
	v_lshlrev_b32_e32 v1, 2, v0
	global_load_dword v7, v1, s[12:13] offset:1024
	global_load_dword v8, v1, s[14:15] offset:1024
	v_mov_b32_e32 v1, s29
	v_add_co_u32_e32 v4, vcc, s28, v6
	v_addc_co_u32_e32 v5, vcc, 0, v1, vcc
	s_waitcnt vmcnt(0)
	v_cmp_ne_u32_e32 vcc, v7, v8
	v_cndmask_b32_e64 v1, 0, 1, vcc
.LBB131_100:
	s_or_b64 exec, exec, s[2:3]
	v_or_b32_e32 v13, 0x200, v0
	v_pk_mov_b32 v[6:7], 0, 0
	v_cmp_gt_u32_e32 vcc, s30, v13
	v_mov_b32_e32 v11, 0
	v_pk_mov_b32 v[8:9], v[6:7], v[6:7] op_sel:[0,1]
	v_mov_b32_e32 v12, 0
	s_and_saveexec_b64 s[8:9], vcc
	s_cbranch_execz .LBB131_102
; %bb.101:
	v_lshlrev_b32_e32 v8, 2, v0
	global_load_dword v12, v8, s[12:13] offset:2048
	global_load_dword v14, v8, s[14:15] offset:2048
	v_mov_b32_e32 v9, s29
	v_add_co_u32_e64 v8, s[2:3], s28, v13
	v_addc_co_u32_e64 v9, s[2:3], 0, v9, s[2:3]
	s_waitcnt vmcnt(0)
	v_cmp_ne_u32_e64 s[2:3], v12, v14
	v_cndmask_b32_e64 v12, 0, 1, s[2:3]
.LBB131_102:
	s_or_b64 exec, exec, s[8:9]
	v_or_b32_e32 v13, 0x300, v0
	v_cmp_gt_u32_e64 s[2:3], s30, v13
	s_and_saveexec_b64 s[16:17], s[2:3]
	s_cbranch_execnz .LBB131_247
; %bb.103:
	s_or_b64 exec, exec, s[16:17]
	s_and_saveexec_b64 s[12:13], s[0:1]
	s_cbranch_execnz .LBB131_248
.LBB131_104:
	s_or_b64 exec, exec, s[12:13]
	s_and_saveexec_b64 s[8:9], vcc
	s_cbranch_execnz .LBB131_249
.LBB131_105:
	s_or_b64 exec, exec, s[8:9]
	s_and_saveexec_b64 s[8:9], s[2:3]
	s_cbranch_execz .LBB131_107
.LBB131_106:
	v_and_b32_e32 v4, 1, v11
	v_cmp_lt_i64_e32 vcc, v[6:7], v[2:3]
	v_cmp_eq_u32_e64 s[0:1], 1, v4
	v_and_b32_e32 v1, 1, v10
	s_and_b64 vcc, s[0:1], vcc
	v_cndmask_b32_e64 v4, v10, 1, s[0:1]
	v_cndmask_b32_e32 v2, v2, v6, vcc
	v_cndmask_b32_e32 v3, v3, v7, vcc
	v_cmp_eq_u32_e32 vcc, 1, v1
	v_cndmask_b32_e32 v10, v11, v4, vcc
	v_cndmask_b32_e32 v3, v7, v3, vcc
	v_cndmask_b32_e32 v2, v6, v2, vcc
.LBB131_107:
	s_or_b64 exec, exec, s[8:9]
	v_mbcnt_lo_u32_b32 v1, -1, 0
	v_mbcnt_hi_u32_b32 v1, -1, v1
	v_and_b32_e32 v7, 63, v1
	v_cmp_ne_u32_e32 vcc, 63, v7
	v_addc_co_u32_e32 v4, vcc, 0, v1, vcc
	v_and_b32_e32 v6, 0xffff, v10
	v_lshlrev_b32_e32 v5, 2, v4
	ds_bpermute_b32 v11, v5, v6
	ds_bpermute_b32 v4, v5, v2
	;; [unrolled: 1-line block ×3, first 2 shown]
	s_min_u32 s8, s30, 0x100
	v_and_b32_e32 v8, 0xc0, v0
	v_sub_u32_e64 v9, s8, v8 clamp
	v_add_u32_e32 v8, 1, v7
	v_cmp_lt_u32_e32 vcc, v8, v9
	v_mov_b32_e32 v8, v6
	s_and_saveexec_b64 s[0:1], vcc
	s_xor_b64 s[2:3], exec, s[0:1]
	s_cbranch_execz .LBB131_109
; %bb.108:
	v_and_b32_e32 v8, 1, v10
	s_waitcnt lgkmcnt(2)
	v_and_b32_e32 v10, 1, v11
	s_waitcnt lgkmcnt(0)
	v_cmp_lt_i64_e32 vcc, v[4:5], v[2:3]
	v_cmp_eq_u32_e64 s[0:1], 1, v10
	s_and_b64 vcc, s[0:1], vcc
	v_cndmask_b32_e64 v6, v6, 1, s[0:1]
	v_cndmask_b32_e32 v2, v2, v4, vcc
	v_cndmask_b32_e32 v3, v3, v5, vcc
	v_cmp_eq_u32_e32 vcc, 1, v8
	v_cndmask_b32_e32 v8, v11, v6, vcc
	v_cndmask_b32_e32 v3, v5, v3, vcc
	;; [unrolled: 1-line block ×3, first 2 shown]
	v_and_b32_e32 v6, 0xff, v8
.LBB131_109:
	s_or_b64 exec, exec, s[2:3]
	v_cmp_gt_u32_e32 vcc, 62, v7
	s_waitcnt lgkmcnt(1)
	v_cndmask_b32_e64 v4, 0, 1, vcc
	v_lshlrev_b32_e32 v4, 1, v4
	s_waitcnt lgkmcnt(0)
	v_add_lshl_u32 v5, v4, v1, 2
	ds_bpermute_b32 v10, v5, v6
	ds_bpermute_b32 v4, v5, v2
	ds_bpermute_b32 v5, v5, v3
	v_add_u32_e32 v11, 2, v7
	v_cmp_lt_u32_e32 vcc, v11, v9
	s_and_saveexec_b64 s[2:3], vcc
	s_cbranch_execz .LBB131_111
; %bb.110:
	s_waitcnt lgkmcnt(2)
	v_and_b32_e32 v11, 1, v10
	s_waitcnt lgkmcnt(0)
	v_cmp_lt_i64_e32 vcc, v[4:5], v[2:3]
	v_cmp_eq_u32_e64 s[0:1], 1, v11
	v_and_b32_e32 v6, 1, v8
	s_and_b64 vcc, s[0:1], vcc
	v_cndmask_b32_e64 v8, v8, 1, s[0:1]
	v_cndmask_b32_e32 v2, v2, v4, vcc
	v_cndmask_b32_e32 v3, v3, v5, vcc
	v_cmp_eq_u32_e32 vcc, 1, v6
	v_cndmask_b32_e32 v8, v10, v8, vcc
	v_cndmask_b32_e32 v3, v5, v3, vcc
	v_cndmask_b32_e32 v2, v4, v2, vcc
	v_and_b32_e32 v6, 0xff, v8
.LBB131_111:
	s_or_b64 exec, exec, s[2:3]
	v_cmp_gt_u32_e32 vcc, 60, v7
	s_waitcnt lgkmcnt(1)
	v_cndmask_b32_e64 v4, 0, 1, vcc
	v_lshlrev_b32_e32 v4, 2, v4
	s_waitcnt lgkmcnt(0)
	v_add_lshl_u32 v5, v4, v1, 2
	ds_bpermute_b32 v10, v5, v6
	ds_bpermute_b32 v4, v5, v2
	ds_bpermute_b32 v5, v5, v3
	v_add_u32_e32 v11, 4, v7
	v_cmp_lt_u32_e32 vcc, v11, v9
	s_and_saveexec_b64 s[2:3], vcc
	s_cbranch_execz .LBB131_113
; %bb.112:
	s_waitcnt lgkmcnt(2)
	v_and_b32_e32 v11, 1, v10
	s_waitcnt lgkmcnt(0)
	v_cmp_lt_i64_e32 vcc, v[4:5], v[2:3]
	v_cmp_eq_u32_e64 s[0:1], 1, v11
	v_and_b32_e32 v6, 1, v8
	s_and_b64 vcc, s[0:1], vcc
	v_cndmask_b32_e64 v8, v8, 1, s[0:1]
	v_cndmask_b32_e32 v2, v2, v4, vcc
	v_cndmask_b32_e32 v3, v3, v5, vcc
	v_cmp_eq_u32_e32 vcc, 1, v6
	v_cndmask_b32_e32 v8, v10, v8, vcc
	v_cndmask_b32_e32 v3, v5, v3, vcc
	v_cndmask_b32_e32 v2, v4, v2, vcc
	v_and_b32_e32 v6, 0xff, v8
.LBB131_113:
	s_or_b64 exec, exec, s[2:3]
	v_cmp_gt_u32_e32 vcc, 56, v7
	s_waitcnt lgkmcnt(1)
	v_cndmask_b32_e64 v4, 0, 1, vcc
	v_lshlrev_b32_e32 v4, 3, v4
	s_waitcnt lgkmcnt(0)
	v_add_lshl_u32 v5, v4, v1, 2
	ds_bpermute_b32 v10, v5, v6
	ds_bpermute_b32 v4, v5, v2
	ds_bpermute_b32 v5, v5, v3
	v_add_u32_e32 v11, 8, v7
	v_cmp_lt_u32_e32 vcc, v11, v9
	s_and_saveexec_b64 s[2:3], vcc
	s_cbranch_execz .LBB131_115
; %bb.114:
	s_waitcnt lgkmcnt(2)
	v_and_b32_e32 v11, 1, v10
	s_waitcnt lgkmcnt(0)
	v_cmp_lt_i64_e32 vcc, v[4:5], v[2:3]
	v_cmp_eq_u32_e64 s[0:1], 1, v11
	v_and_b32_e32 v6, 1, v8
	s_and_b64 vcc, s[0:1], vcc
	v_cndmask_b32_e64 v8, v8, 1, s[0:1]
	v_cndmask_b32_e32 v2, v2, v4, vcc
	v_cndmask_b32_e32 v3, v3, v5, vcc
	v_cmp_eq_u32_e32 vcc, 1, v6
	v_cndmask_b32_e32 v8, v10, v8, vcc
	v_cndmask_b32_e32 v3, v5, v3, vcc
	v_cndmask_b32_e32 v2, v4, v2, vcc
	v_and_b32_e32 v6, 0xff, v8
.LBB131_115:
	s_or_b64 exec, exec, s[2:3]
	v_cmp_gt_u32_e32 vcc, 48, v7
	s_waitcnt lgkmcnt(1)
	v_cndmask_b32_e64 v4, 0, 1, vcc
	v_lshlrev_b32_e32 v4, 4, v4
	s_waitcnt lgkmcnt(0)
	v_add_lshl_u32 v5, v4, v1, 2
	ds_bpermute_b32 v10, v5, v6
	ds_bpermute_b32 v4, v5, v2
	ds_bpermute_b32 v5, v5, v3
	v_add_u32_e32 v11, 16, v7
	v_cmp_lt_u32_e32 vcc, v11, v9
	s_and_saveexec_b64 s[2:3], vcc
	s_cbranch_execz .LBB131_117
; %bb.116:
	s_waitcnt lgkmcnt(2)
	v_and_b32_e32 v11, 1, v10
	s_waitcnt lgkmcnt(0)
	v_cmp_lt_i64_e32 vcc, v[4:5], v[2:3]
	v_cmp_eq_u32_e64 s[0:1], 1, v11
	v_and_b32_e32 v6, 1, v8
	s_and_b64 vcc, s[0:1], vcc
	v_cndmask_b32_e64 v8, v8, 1, s[0:1]
	v_cndmask_b32_e32 v2, v2, v4, vcc
	v_cndmask_b32_e32 v3, v3, v5, vcc
	v_cmp_eq_u32_e32 vcc, 1, v6
	v_cndmask_b32_e32 v8, v10, v8, vcc
	v_cndmask_b32_e32 v3, v5, v3, vcc
	v_cndmask_b32_e32 v2, v4, v2, vcc
	v_and_b32_e32 v6, 0xff, v8
.LBB131_117:
	s_or_b64 exec, exec, s[2:3]
	v_cmp_gt_u32_e32 vcc, 32, v7
	s_waitcnt lgkmcnt(1)
	v_cndmask_b32_e64 v4, 0, 1, vcc
	v_lshlrev_b32_e32 v4, 5, v4
	s_waitcnt lgkmcnt(0)
	v_add_lshl_u32 v5, v4, v1, 2
	ds_bpermute_b32 v10, v5, v6
	ds_bpermute_b32 v4, v5, v2
	ds_bpermute_b32 v5, v5, v3
	v_add_u32_e32 v7, 32, v7
	v_cmp_lt_u32_e32 vcc, v7, v9
	s_and_saveexec_b64 s[2:3], vcc
	s_cbranch_execz .LBB131_119
; %bb.118:
	s_waitcnt lgkmcnt(2)
	v_and_b32_e32 v7, 1, v10
	s_waitcnt lgkmcnt(0)
	v_cmp_lt_i64_e32 vcc, v[4:5], v[2:3]
	v_cmp_eq_u32_e64 s[0:1], 1, v7
	v_and_b32_e32 v6, 1, v8
	s_and_b64 vcc, s[0:1], vcc
	v_cndmask_b32_e64 v7, v8, 1, s[0:1]
	v_cndmask_b32_e32 v2, v2, v4, vcc
	v_cndmask_b32_e32 v3, v3, v5, vcc
	v_cmp_eq_u32_e32 vcc, 1, v6
	v_cndmask_b32_e32 v8, v10, v7, vcc
	v_cndmask_b32_e32 v3, v5, v3, vcc
	v_cndmask_b32_e32 v2, v4, v2, vcc
	v_and_b32_e32 v6, 0xff, v8
.LBB131_119:
	s_or_b64 exec, exec, s[2:3]
	v_cmp_eq_u32_e32 vcc, 0, v1
	s_and_saveexec_b64 s[0:1], vcc
	s_cbranch_execz .LBB131_121
; %bb.120:
	s_waitcnt lgkmcnt(1)
	v_lshrrev_b32_e32 v4, 2, v0
	v_and_b32_e32 v4, 48, v4
	ds_write_b8 v4, v8 offset:256
	ds_write_b64 v4, v[2:3] offset:264
.LBB131_121:
	s_or_b64 exec, exec, s[0:1]
	v_cmp_gt_u32_e32 vcc, 4, v0
	s_waitcnt lgkmcnt(0)
	s_barrier
	s_and_saveexec_b64 s[2:3], vcc
	s_cbranch_execz .LBB131_127
; %bb.122:
	v_lshlrev_b32_e32 v2, 4, v1
	ds_read_u8 v7, v2 offset:256
	ds_read_b64 v[2:3], v2 offset:264
	v_and_b32_e32 v8, 3, v1
	v_cmp_ne_u32_e32 vcc, 3, v8
	v_addc_co_u32_e32 v4, vcc, 0, v1, vcc
	s_waitcnt lgkmcnt(1)
	v_and_b32_e32 v6, 0xff, v7
	v_lshlrev_b32_e32 v5, 2, v4
	ds_bpermute_b32 v9, v5, v6
	s_waitcnt lgkmcnt(1)
	ds_bpermute_b32 v4, v5, v2
	ds_bpermute_b32 v5, v5, v3
	s_add_i32 s8, s8, 63
	s_lshr_b32 s12, s8, 6
	v_add_u32_e32 v10, 1, v8
	v_cmp_gt_u32_e32 vcc, s12, v10
	s_and_saveexec_b64 s[8:9], vcc
	s_cbranch_execz .LBB131_124
; %bb.123:
	s_waitcnt lgkmcnt(2)
	v_and_b32_e32 v10, 1, v9
	s_waitcnt lgkmcnt(0)
	v_cmp_lt_i64_e32 vcc, v[4:5], v[2:3]
	v_cmp_eq_u32_e64 s[0:1], 1, v10
	v_and_b32_e32 v6, 1, v7
	s_and_b64 vcc, s[0:1], vcc
	v_cndmask_b32_e64 v7, v7, 1, s[0:1]
	v_cndmask_b32_e32 v2, v2, v4, vcc
	v_cndmask_b32_e32 v3, v3, v5, vcc
	v_cmp_eq_u32_e32 vcc, 1, v6
	v_cndmask_b32_e32 v7, v9, v7, vcc
	v_cndmask_b32_e32 v3, v5, v3, vcc
	;; [unrolled: 1-line block ×3, first 2 shown]
	v_and_b32_e32 v6, 0xff, v7
.LBB131_124:
	s_or_b64 exec, exec, s[8:9]
	v_cmp_gt_u32_e32 vcc, 2, v8
	s_waitcnt lgkmcnt(1)
	v_cndmask_b32_e64 v4, 0, 1, vcc
	v_lshlrev_b32_e32 v4, 1, v4
	s_waitcnt lgkmcnt(0)
	v_add_lshl_u32 v5, v4, v1, 2
	ds_bpermute_b32 v1, v5, v6
	ds_bpermute_b32 v4, v5, v2
	ds_bpermute_b32 v5, v5, v3
	v_add_u32_e32 v8, 2, v8
	v_cmp_gt_u32_e32 vcc, s12, v8
	s_and_saveexec_b64 s[8:9], vcc
	s_cbranch_execz .LBB131_126
; %bb.125:
	s_waitcnt lgkmcnt(2)
	v_and_b32_e32 v8, 1, v1
	s_waitcnt lgkmcnt(0)
	v_cmp_lt_i64_e32 vcc, v[4:5], v[2:3]
	v_cmp_eq_u32_e64 s[0:1], 1, v8
	v_and_b32_e32 v6, 1, v7
	s_and_b64 vcc, s[0:1], vcc
	v_cndmask_b32_e64 v7, v7, 1, s[0:1]
	v_cndmask_b32_e32 v2, v2, v4, vcc
	v_cndmask_b32_e32 v3, v3, v5, vcc
	v_cmp_eq_u32_e32 vcc, 1, v6
	v_cndmask_b32_e32 v1, v1, v7, vcc
	v_cndmask_b32_e32 v3, v5, v3, vcc
	;; [unrolled: 1-line block ×3, first 2 shown]
	v_and_b32_e32 v6, 0xff, v1
.LBB131_126:
	s_or_b64 exec, exec, s[8:9]
.LBB131_127:
	s_or_b64 exec, exec, s[2:3]
.LBB131_128:
	v_cmp_eq_u32_e32 vcc, 0, v0
                                        ; implicit-def: $vgpr4_vgpr5
                                        ; implicit-def: $vgpr1
	s_and_saveexec_b64 s[0:1], vcc
	s_xor_b64 s[8:9], exec, s[0:1]
	s_cbranch_execz .LBB131_132
; %bb.129:
	s_cmp_eq_u64 s[22:23], 0
	s_waitcnt lgkmcnt(0)
	v_pk_mov_b32 v[4:5], s[18:19], s[18:19] op_sel:[0,1]
	v_mov_b32_e32 v1, s33
	s_cbranch_scc1 .LBB131_131
; %bb.130:
	v_and_b32_e32 v1, 1, v6
	s_bitcmp1_b32 s33, 0
	v_mov_b32_e32 v4, s33
	v_cmp_eq_u32_e32 vcc, 1, v1
	v_cmp_gt_i64_e64 s[2:3], s[18:19], v[2:3]
	v_cndmask_b32_e64 v1, v4, 1, vcc
	s_cselect_b64 s[0:1], -1, 0
	v_mov_b32_e32 v4, s18
	s_and_b64 vcc, vcc, s[2:3]
	v_mov_b32_e32 v5, s19
	v_cndmask_b32_e32 v4, v4, v2, vcc
	v_cndmask_b32_e32 v5, v5, v3, vcc
	v_cndmask_b32_e64 v1, v6, v1, s[0:1]
	v_cndmask_b32_e64 v5, v3, v5, s[0:1]
	;; [unrolled: 1-line block ×3, first 2 shown]
.LBB131_131:
	s_or_b64 s[10:11], s[10:11], exec
.LBB131_132:
	s_or_b64 exec, exec, s[8:9]
	s_branch .LBB131_208
.LBB131_133:
	s_cmp_gt_i32 s36, 1
	s_cbranch_scc0 .LBB131_153
; %bb.134:
	s_cmp_eq_u32 s36, 2
	s_cbranch_scc0 .LBB131_154
; %bb.135:
	s_mov_b32 s7, 0
	s_lshl_b32 s12, s6, 9
	s_mov_b32 s13, s7
	s_lshr_b64 s[0:1], s[22:23], 9
	s_lshl_b64 s[8:9], s[12:13], 2
	s_add_u32 s2, s24, s8
	s_addc_u32 s3, s25, s9
	s_add_u32 s8, s26, s8
	s_addc_u32 s9, s27, s9
	;; [unrolled: 2-line block ×3, first 2 shown]
	s_cmp_lg_u64 s[0:1], s[6:7]
	s_cbranch_scc0 .LBB131_155
; %bb.136:
	s_waitcnt lgkmcnt(2)
	v_lshlrev_b32_e32 v1, 2, v0
	global_load_dword v2, v1, s[8:9] offset:1024
	global_load_dword v3, v1, s[8:9]
	s_waitcnt lgkmcnt(1)
	global_load_dword v4, v1, s[2:3] offset:1024
	s_waitcnt lgkmcnt(0)
	global_load_dword v5, v1, s[2:3]
	v_mov_b32_e32 v1, s17
	v_add_co_u32_e32 v6, vcc, s16, v0
	v_addc_co_u32_e32 v1, vcc, 0, v1, vcc
	v_add_co_u32_e32 v7, vcc, 0x100, v6
	v_addc_co_u32_e32 v8, vcc, 0, v1, vcc
	s_waitcnt vmcnt(1)
	v_cmp_ne_u32_e32 vcc, v4, v2
	s_waitcnt vmcnt(0)
	v_cmp_ne_u32_e64 s[0:1], v5, v3
	v_cndmask_b32_e64 v3, v8, v1, s[0:1]
	v_cndmask_b32_e64 v2, v7, v6, s[0:1]
	s_or_b64 s[0:1], s[0:1], vcc
	v_cndmask_b32_e64 v1, 0, 1, s[0:1]
	v_mov_b32_dpp v4, v2 quad_perm:[1,0,3,2] row_mask:0xf bank_mask:0xf bound_ctrl:1
	v_mov_b32_dpp v5, v3 quad_perm:[1,0,3,2] row_mask:0xf bank_mask:0xf bound_ctrl:1
	;; [unrolled: 1-line block ×3, first 2 shown]
	v_and_b32_e32 v7, 1, v6
	v_cmp_eq_u32_e32 vcc, 1, v7
	s_and_saveexec_b64 s[14:15], vcc
; %bb.137:
	v_cmp_lt_i64_e32 vcc, v[2:3], v[4:5]
	v_cndmask_b32_e64 v6, v6, 1, s[0:1]
	s_and_b64 vcc, s[0:1], vcc
	v_cndmask_b32_e32 v2, v4, v2, vcc
	v_and_b32_e32 v4, 1, v6
	v_cndmask_b32_e32 v3, v5, v3, vcc
	v_cmp_eq_u32_e32 vcc, 1, v4
	s_andn2_b64 s[0:1], s[0:1], exec
	s_and_b64 s[28:29], vcc, exec
	v_and_b32_e32 v1, 0xff, v6
	s_or_b64 s[0:1], s[0:1], s[28:29]
; %bb.138:
	s_or_b64 exec, exec, s[14:15]
	v_mov_b32_dpp v6, v1 quad_perm:[2,3,0,1] row_mask:0xf bank_mask:0xf bound_ctrl:1
	v_and_b32_e32 v7, 1, v6
	v_mov_b32_dpp v4, v2 quad_perm:[2,3,0,1] row_mask:0xf bank_mask:0xf bound_ctrl:1
	v_mov_b32_dpp v5, v3 quad_perm:[2,3,0,1] row_mask:0xf bank_mask:0xf bound_ctrl:1
	v_cmp_eq_u32_e32 vcc, 1, v7
	s_and_saveexec_b64 s[14:15], vcc
; %bb.139:
	v_cmp_lt_i64_e32 vcc, v[2:3], v[4:5]
	v_cndmask_b32_e64 v6, v6, 1, s[0:1]
	s_and_b64 vcc, s[0:1], vcc
	v_cndmask_b32_e32 v2, v4, v2, vcc
	v_and_b32_e32 v4, 1, v6
	v_cndmask_b32_e32 v3, v5, v3, vcc
	v_cmp_eq_u32_e32 vcc, 1, v4
	s_andn2_b64 s[0:1], s[0:1], exec
	s_and_b64 s[28:29], vcc, exec
	v_and_b32_e32 v1, 0xff, v6
	s_or_b64 s[0:1], s[0:1], s[28:29]
; %bb.140:
	s_or_b64 exec, exec, s[14:15]
	v_mov_b32_dpp v6, v1 row_ror:4 row_mask:0xf bank_mask:0xf bound_ctrl:1
	v_and_b32_e32 v7, 1, v6
	v_mov_b32_dpp v4, v2 row_ror:4 row_mask:0xf bank_mask:0xf bound_ctrl:1
	v_mov_b32_dpp v5, v3 row_ror:4 row_mask:0xf bank_mask:0xf bound_ctrl:1
	v_cmp_eq_u32_e32 vcc, 1, v7
	s_and_saveexec_b64 s[14:15], vcc
; %bb.141:
	v_cmp_lt_i64_e32 vcc, v[2:3], v[4:5]
	v_cndmask_b32_e64 v6, v6, 1, s[0:1]
	s_and_b64 vcc, s[0:1], vcc
	v_cndmask_b32_e32 v2, v4, v2, vcc
	v_and_b32_e32 v4, 1, v6
	v_cndmask_b32_e32 v3, v5, v3, vcc
	v_cmp_eq_u32_e32 vcc, 1, v4
	s_andn2_b64 s[0:1], s[0:1], exec
	s_and_b64 s[28:29], vcc, exec
	v_and_b32_e32 v1, 0xff, v6
	s_or_b64 s[0:1], s[0:1], s[28:29]
; %bb.142:
	s_or_b64 exec, exec, s[14:15]
	v_mov_b32_dpp v6, v1 row_ror:8 row_mask:0xf bank_mask:0xf bound_ctrl:1
	v_and_b32_e32 v7, 1, v6
	v_mov_b32_dpp v4, v2 row_ror:8 row_mask:0xf bank_mask:0xf bound_ctrl:1
	v_mov_b32_dpp v5, v3 row_ror:8 row_mask:0xf bank_mask:0xf bound_ctrl:1
	v_cmp_eq_u32_e32 vcc, 1, v7
	s_and_saveexec_b64 s[14:15], vcc
; %bb.143:
	v_cmp_lt_i64_e32 vcc, v[2:3], v[4:5]
	v_cndmask_b32_e64 v6, v6, 1, s[0:1]
	s_and_b64 vcc, s[0:1], vcc
	v_cndmask_b32_e32 v2, v4, v2, vcc
	v_and_b32_e32 v4, 1, v6
	v_cndmask_b32_e32 v3, v5, v3, vcc
	v_cmp_eq_u32_e32 vcc, 1, v4
	s_andn2_b64 s[0:1], s[0:1], exec
	s_and_b64 s[28:29], vcc, exec
	v_and_b32_e32 v1, 0xff, v6
	s_or_b64 s[0:1], s[0:1], s[28:29]
; %bb.144:
	s_or_b64 exec, exec, s[14:15]
	v_mov_b32_dpp v6, v1 row_bcast:15 row_mask:0xf bank_mask:0xf bound_ctrl:1
	v_and_b32_e32 v7, 1, v6
	v_mov_b32_dpp v4, v2 row_bcast:15 row_mask:0xf bank_mask:0xf bound_ctrl:1
	v_mov_b32_dpp v5, v3 row_bcast:15 row_mask:0xf bank_mask:0xf bound_ctrl:1
	v_cmp_eq_u32_e32 vcc, 1, v7
	s_and_saveexec_b64 s[14:15], vcc
; %bb.145:
	v_cmp_lt_i64_e32 vcc, v[2:3], v[4:5]
	v_cndmask_b32_e64 v6, v6, 1, s[0:1]
	s_and_b64 vcc, s[0:1], vcc
	v_cndmask_b32_e32 v2, v4, v2, vcc
	v_and_b32_e32 v4, 1, v6
	v_cndmask_b32_e32 v3, v5, v3, vcc
	v_cmp_eq_u32_e32 vcc, 1, v4
	s_andn2_b64 s[0:1], s[0:1], exec
	s_and_b64 s[28:29], vcc, exec
	v_and_b32_e32 v1, 0xff, v6
	s_or_b64 s[0:1], s[0:1], s[28:29]
; %bb.146:
	s_or_b64 exec, exec, s[14:15]
	v_mov_b32_dpp v6, v1 row_bcast:31 row_mask:0xf bank_mask:0xf bound_ctrl:1
	v_and_b32_e32 v7, 1, v6
	v_mov_b32_dpp v4, v2 row_bcast:31 row_mask:0xf bank_mask:0xf bound_ctrl:1
	v_mov_b32_dpp v5, v3 row_bcast:31 row_mask:0xf bank_mask:0xf bound_ctrl:1
	v_cmp_eq_u32_e32 vcc, 1, v7
	s_and_saveexec_b64 s[14:15], vcc
; %bb.147:
	v_cmp_lt_i64_e32 vcc, v[2:3], v[4:5]
	v_and_b32_e32 v1, 0xff, v6
	s_and_b64 vcc, s[0:1], vcc
	v_cndmask_b32_e32 v2, v4, v2, vcc
	v_cndmask_b32_e32 v3, v5, v3, vcc
	v_cndmask_b32_e64 v1, v1, 1, s[0:1]
; %bb.148:
	s_or_b64 exec, exec, s[14:15]
	v_mbcnt_lo_u32_b32 v4, -1, 0
	v_mbcnt_hi_u32_b32 v4, -1, v4
	v_bfrev_b32_e32 v5, 0.5
	v_lshl_or_b32 v5, v4, 2, v5
	ds_bpermute_b32 v6, v5, v1
	ds_bpermute_b32 v2, v5, v2
	;; [unrolled: 1-line block ×3, first 2 shown]
	v_cmp_eq_u32_e32 vcc, 0, v4
	s_and_saveexec_b64 s[0:1], vcc
	s_cbranch_execz .LBB131_150
; %bb.149:
	v_lshrrev_b32_e32 v1, 2, v0
	v_and_b32_e32 v1, 48, v1
	s_waitcnt lgkmcnt(2)
	ds_write_b8 v1, v6 offset:64
	s_waitcnt lgkmcnt(1)
	ds_write_b64 v1, v[2:3] offset:72
.LBB131_150:
	s_or_b64 exec, exec, s[0:1]
	v_cmp_gt_u32_e32 vcc, 64, v0
	s_waitcnt lgkmcnt(0)
	s_barrier
	s_and_saveexec_b64 s[14:15], vcc
	s_cbranch_execz .LBB131_152
; %bb.151:
	v_and_b32_e32 v1, 3, v4
	v_lshlrev_b32_e32 v2, 4, v1
	ds_read_u8 v5, v2 offset:64
	ds_read_b64 v[2:3], v2 offset:72
	v_cmp_ne_u32_e32 vcc, 3, v1
	v_addc_co_u32_e32 v6, vcc, 0, v4, vcc
	s_waitcnt lgkmcnt(1)
	v_and_b32_e32 v7, 0xff, v5
	v_lshlrev_b32_e32 v8, 2, v6
	ds_bpermute_b32 v9, v8, v7
	s_waitcnt lgkmcnt(1)
	ds_bpermute_b32 v6, v8, v2
	ds_bpermute_b32 v7, v8, v3
	v_and_b32_e32 v8, 1, v5
	s_waitcnt lgkmcnt(2)
	v_and_b32_e32 v10, 1, v9
	v_cmp_eq_u32_e64 s[0:1], 1, v10
	s_waitcnt lgkmcnt(0)
	v_cmp_lt_i64_e32 vcc, v[6:7], v[2:3]
	s_and_b64 vcc, s[0:1], vcc
	v_cndmask_b32_e64 v5, v5, 1, s[0:1]
	v_cndmask_b32_e32 v2, v2, v6, vcc
	v_cndmask_b32_e32 v3, v3, v7, vcc
	v_cmp_eq_u32_e32 vcc, 1, v8
	v_cndmask_b32_e32 v8, v9, v5, vcc
	v_cndmask_b32_e32 v3, v7, v3, vcc
	;; [unrolled: 1-line block ×3, first 2 shown]
	v_cmp_gt_u32_e32 vcc, 2, v1
	v_cndmask_b32_e64 v1, 0, 1, vcc
	v_lshlrev_b32_e32 v1, 1, v1
	v_and_b32_e32 v5, 0xff, v8
	v_add_lshl_u32 v1, v1, v4, 2
	ds_bpermute_b32 v6, v1, v5
	ds_bpermute_b32 v4, v1, v2
	;; [unrolled: 1-line block ×3, first 2 shown]
	v_and_b32_e32 v1, 1, v8
	s_waitcnt lgkmcnt(2)
	v_and_b32_e32 v7, 1, v6
	v_cmp_eq_u32_e64 s[0:1], 1, v7
	s_waitcnt lgkmcnt(0)
	v_cmp_lt_i64_e32 vcc, v[4:5], v[2:3]
	s_and_b64 vcc, s[0:1], vcc
	v_cndmask_b32_e64 v7, v8, 1, s[0:1]
	v_cndmask_b32_e32 v2, v2, v4, vcc
	v_cndmask_b32_e32 v3, v3, v5, vcc
	v_cmp_eq_u32_e32 vcc, 1, v1
	v_cndmask_b32_e32 v1, v6, v7, vcc
	v_cndmask_b32_e32 v3, v5, v3, vcc
	;; [unrolled: 1-line block ×3, first 2 shown]
	v_and_b32_e32 v6, 0xff, v1
.LBB131_152:
	s_or_b64 exec, exec, s[14:15]
	s_branch .LBB131_183
.LBB131_153:
                                        ; implicit-def: $vgpr4_vgpr5
                                        ; implicit-def: $vgpr1
	s_cbranch_execnz .LBB131_188
	s_branch .LBB131_208
.LBB131_154:
                                        ; implicit-def: $vgpr4_vgpr5
                                        ; implicit-def: $vgpr1
	s_branch .LBB131_208
.LBB131_155:
                                        ; implicit-def: $vgpr2_vgpr3
                                        ; implicit-def: $vgpr6
	s_cbranch_execz .LBB131_183
; %bb.156:
	s_sub_i32 s14, s22, s12
	s_waitcnt lgkmcnt(0)
	v_pk_mov_b32 v[4:5], 0, 0
	v_cmp_gt_u32_e32 vcc, s14, v0
	v_mov_b32_e32 v1, 0
	v_pk_mov_b32 v[2:3], v[4:5], v[4:5] op_sel:[0,1]
	v_mov_b32_e32 v7, 0
	s_and_saveexec_b64 s[0:1], vcc
	s_cbranch_execz .LBB131_158
; %bb.157:
	v_lshlrev_b32_e32 v2, 2, v0
	global_load_dword v6, v2, s[2:3]
	global_load_dword v7, v2, s[8:9]
	v_mov_b32_e32 v3, s17
	v_add_co_u32_e32 v2, vcc, s16, v0
	v_addc_co_u32_e32 v3, vcc, 0, v3, vcc
	s_waitcnt vmcnt(0)
	v_cmp_ne_u32_e32 vcc, v6, v7
	v_cndmask_b32_e64 v7, 0, 1, vcc
.LBB131_158:
	s_or_b64 exec, exec, s[0:1]
	v_or_b32_e32 v6, 0x100, v0
	v_cmp_gt_u32_e32 vcc, s14, v6
	s_and_saveexec_b64 s[12:13], vcc
	s_cbranch_execz .LBB131_160
; %bb.159:
	v_lshlrev_b32_e32 v1, 2, v0
	global_load_dword v8, v1, s[2:3] offset:1024
	global_load_dword v9, v1, s[8:9] offset:1024
	v_mov_b32_e32 v1, s17
	v_add_co_u32_e64 v4, s[0:1], s16, v6
	v_addc_co_u32_e64 v5, s[0:1], 0, v1, s[0:1]
	s_waitcnt vmcnt(0)
	v_cmp_ne_u32_e64 s[0:1], v8, v9
	v_cndmask_b32_e64 v1, 0, 1, s[0:1]
.LBB131_160:
	s_or_b64 exec, exec, s[12:13]
	s_and_saveexec_b64 s[2:3], vcc
	s_cbranch_execz .LBB131_162
; %bb.161:
	v_and_b32_e32 v8, 1, v1
	v_cmp_lt_i64_e32 vcc, v[4:5], v[2:3]
	v_cmp_eq_u32_e64 s[0:1], 1, v8
	v_and_b32_e32 v6, 1, v7
	s_and_b64 vcc, s[0:1], vcc
	v_cndmask_b32_e64 v7, v7, 1, s[0:1]
	v_cndmask_b32_e32 v2, v2, v4, vcc
	v_cndmask_b32_e32 v3, v3, v5, vcc
	v_cmp_eq_u32_e32 vcc, 1, v6
	v_cndmask_b32_e32 v7, v1, v7, vcc
	v_cndmask_b32_e32 v3, v5, v3, vcc
	;; [unrolled: 1-line block ×3, first 2 shown]
.LBB131_162:
	s_or_b64 exec, exec, s[2:3]
	v_mbcnt_lo_u32_b32 v1, -1, 0
	v_mbcnt_hi_u32_b32 v1, -1, v1
	v_and_b32_e32 v8, 63, v1
	v_cmp_ne_u32_e32 vcc, 63, v8
	v_addc_co_u32_e32 v4, vcc, 0, v1, vcc
	v_and_b32_e32 v6, 0xffff, v7
	v_lshlrev_b32_e32 v5, 2, v4
	ds_bpermute_b32 v10, v5, v6
	ds_bpermute_b32 v4, v5, v2
	;; [unrolled: 1-line block ×3, first 2 shown]
	s_min_u32 s8, s14, 0x100
	v_and_b32_e32 v9, 0xc0, v0
	v_sub_u32_e64 v9, s8, v9 clamp
	v_add_u32_e32 v11, 1, v8
	v_cmp_lt_u32_e32 vcc, v11, v9
	s_and_saveexec_b64 s[2:3], vcc
	s_cbranch_execz .LBB131_164
; %bb.163:
	s_waitcnt lgkmcnt(2)
	v_and_b32_e32 v11, 1, v10
	s_waitcnt lgkmcnt(0)
	v_cmp_lt_i64_e32 vcc, v[4:5], v[2:3]
	v_cmp_eq_u32_e64 s[0:1], 1, v11
	v_and_b32_e32 v6, 1, v7
	s_and_b64 vcc, s[0:1], vcc
	v_cndmask_b32_e64 v7, v7, 1, s[0:1]
	v_cndmask_b32_e32 v2, v2, v4, vcc
	v_cndmask_b32_e32 v3, v3, v5, vcc
	v_cmp_eq_u32_e32 vcc, 1, v6
	v_cndmask_b32_e32 v7, v10, v7, vcc
	v_cndmask_b32_e32 v3, v5, v3, vcc
	v_cndmask_b32_e32 v2, v4, v2, vcc
	v_and_b32_e32 v6, 0xff, v7
.LBB131_164:
	s_or_b64 exec, exec, s[2:3]
	v_cmp_gt_u32_e32 vcc, 62, v8
	s_waitcnt lgkmcnt(1)
	v_cndmask_b32_e64 v4, 0, 1, vcc
	v_lshlrev_b32_e32 v4, 1, v4
	s_waitcnt lgkmcnt(0)
	v_add_lshl_u32 v5, v4, v1, 2
	ds_bpermute_b32 v10, v5, v6
	ds_bpermute_b32 v4, v5, v2
	ds_bpermute_b32 v5, v5, v3
	v_add_u32_e32 v11, 2, v8
	v_cmp_lt_u32_e32 vcc, v11, v9
	s_and_saveexec_b64 s[2:3], vcc
	s_cbranch_execz .LBB131_166
; %bb.165:
	s_waitcnt lgkmcnt(2)
	v_and_b32_e32 v11, 1, v10
	s_waitcnt lgkmcnt(0)
	v_cmp_lt_i64_e32 vcc, v[4:5], v[2:3]
	v_cmp_eq_u32_e64 s[0:1], 1, v11
	v_and_b32_e32 v6, 1, v7
	s_and_b64 vcc, s[0:1], vcc
	v_cndmask_b32_e64 v7, v7, 1, s[0:1]
	v_cndmask_b32_e32 v2, v2, v4, vcc
	v_cndmask_b32_e32 v3, v3, v5, vcc
	v_cmp_eq_u32_e32 vcc, 1, v6
	v_cndmask_b32_e32 v7, v10, v7, vcc
	v_cndmask_b32_e32 v3, v5, v3, vcc
	v_cndmask_b32_e32 v2, v4, v2, vcc
	v_and_b32_e32 v6, 0xff, v7
.LBB131_166:
	s_or_b64 exec, exec, s[2:3]
	v_cmp_gt_u32_e32 vcc, 60, v8
	s_waitcnt lgkmcnt(1)
	v_cndmask_b32_e64 v4, 0, 1, vcc
	v_lshlrev_b32_e32 v4, 2, v4
	s_waitcnt lgkmcnt(0)
	v_add_lshl_u32 v5, v4, v1, 2
	ds_bpermute_b32 v10, v5, v6
	ds_bpermute_b32 v4, v5, v2
	ds_bpermute_b32 v5, v5, v3
	;; [unrolled: 31-line block ×5, first 2 shown]
	v_add_u32_e32 v8, 32, v8
	v_cmp_lt_u32_e32 vcc, v8, v9
	s_and_saveexec_b64 s[2:3], vcc
	s_cbranch_execz .LBB131_174
; %bb.173:
	s_waitcnt lgkmcnt(2)
	v_and_b32_e32 v8, 1, v10
	s_waitcnt lgkmcnt(0)
	v_cmp_lt_i64_e32 vcc, v[4:5], v[2:3]
	v_cmp_eq_u32_e64 s[0:1], 1, v8
	v_and_b32_e32 v6, 1, v7
	s_and_b64 vcc, s[0:1], vcc
	v_cndmask_b32_e64 v7, v7, 1, s[0:1]
	v_cndmask_b32_e32 v2, v2, v4, vcc
	v_cndmask_b32_e32 v3, v3, v5, vcc
	v_cmp_eq_u32_e32 vcc, 1, v6
	v_cndmask_b32_e32 v7, v10, v7, vcc
	v_cndmask_b32_e32 v3, v5, v3, vcc
	;; [unrolled: 1-line block ×3, first 2 shown]
	v_and_b32_e32 v6, 0xff, v7
.LBB131_174:
	s_or_b64 exec, exec, s[2:3]
	v_cmp_eq_u32_e32 vcc, 0, v1
	s_and_saveexec_b64 s[0:1], vcc
	s_cbranch_execz .LBB131_176
; %bb.175:
	s_waitcnt lgkmcnt(1)
	v_lshrrev_b32_e32 v4, 2, v0
	v_and_b32_e32 v4, 48, v4
	ds_write_b8 v4, v7 offset:256
	ds_write_b64 v4, v[2:3] offset:264
.LBB131_176:
	s_or_b64 exec, exec, s[0:1]
	v_cmp_gt_u32_e32 vcc, 4, v0
	s_waitcnt lgkmcnt(0)
	s_barrier
	s_and_saveexec_b64 s[2:3], vcc
	s_cbranch_execz .LBB131_182
; %bb.177:
	v_lshlrev_b32_e32 v2, 4, v1
	ds_read_u8 v7, v2 offset:256
	ds_read_b64 v[2:3], v2 offset:264
	v_and_b32_e32 v8, 3, v1
	v_cmp_ne_u32_e32 vcc, 3, v8
	v_addc_co_u32_e32 v4, vcc, 0, v1, vcc
	s_waitcnt lgkmcnt(1)
	v_and_b32_e32 v6, 0xff, v7
	v_lshlrev_b32_e32 v5, 2, v4
	ds_bpermute_b32 v9, v5, v6
	s_waitcnt lgkmcnt(1)
	ds_bpermute_b32 v4, v5, v2
	ds_bpermute_b32 v5, v5, v3
	s_add_i32 s8, s8, 63
	s_lshr_b32 s12, s8, 6
	v_add_u32_e32 v10, 1, v8
	v_cmp_gt_u32_e32 vcc, s12, v10
	s_and_saveexec_b64 s[8:9], vcc
	s_cbranch_execz .LBB131_179
; %bb.178:
	s_waitcnt lgkmcnt(2)
	v_and_b32_e32 v10, 1, v9
	s_waitcnt lgkmcnt(0)
	v_cmp_lt_i64_e32 vcc, v[4:5], v[2:3]
	v_cmp_eq_u32_e64 s[0:1], 1, v10
	v_and_b32_e32 v6, 1, v7
	s_and_b64 vcc, s[0:1], vcc
	v_cndmask_b32_e64 v7, v7, 1, s[0:1]
	v_cndmask_b32_e32 v2, v2, v4, vcc
	v_cndmask_b32_e32 v3, v3, v5, vcc
	v_cmp_eq_u32_e32 vcc, 1, v6
	v_cndmask_b32_e32 v7, v9, v7, vcc
	v_cndmask_b32_e32 v3, v5, v3, vcc
	;; [unrolled: 1-line block ×3, first 2 shown]
	v_and_b32_e32 v6, 0xff, v7
.LBB131_179:
	s_or_b64 exec, exec, s[8:9]
	v_cmp_gt_u32_e32 vcc, 2, v8
	s_waitcnt lgkmcnt(1)
	v_cndmask_b32_e64 v4, 0, 1, vcc
	v_lshlrev_b32_e32 v4, 1, v4
	s_waitcnt lgkmcnt(0)
	v_add_lshl_u32 v5, v4, v1, 2
	ds_bpermute_b32 v1, v5, v6
	ds_bpermute_b32 v4, v5, v2
	;; [unrolled: 1-line block ×3, first 2 shown]
	v_add_u32_e32 v8, 2, v8
	v_cmp_gt_u32_e32 vcc, s12, v8
	s_and_saveexec_b64 s[8:9], vcc
	s_cbranch_execz .LBB131_181
; %bb.180:
	s_waitcnt lgkmcnt(2)
	v_and_b32_e32 v8, 1, v1
	s_waitcnt lgkmcnt(0)
	v_cmp_lt_i64_e32 vcc, v[4:5], v[2:3]
	v_cmp_eq_u32_e64 s[0:1], 1, v8
	v_and_b32_e32 v6, 1, v7
	s_and_b64 vcc, s[0:1], vcc
	v_cndmask_b32_e64 v7, v7, 1, s[0:1]
	v_cndmask_b32_e32 v2, v2, v4, vcc
	v_cndmask_b32_e32 v3, v3, v5, vcc
	v_cmp_eq_u32_e32 vcc, 1, v6
	v_cndmask_b32_e32 v1, v1, v7, vcc
	v_cndmask_b32_e32 v3, v5, v3, vcc
	v_cndmask_b32_e32 v2, v4, v2, vcc
	v_and_b32_e32 v6, 0xff, v1
.LBB131_181:
	s_or_b64 exec, exec, s[8:9]
.LBB131_182:
	s_or_b64 exec, exec, s[2:3]
.LBB131_183:
	v_cmp_eq_u32_e32 vcc, 0, v0
                                        ; implicit-def: $vgpr4_vgpr5
                                        ; implicit-def: $vgpr1
	s_and_saveexec_b64 s[0:1], vcc
	s_xor_b64 s[8:9], exec, s[0:1]
	s_cbranch_execz .LBB131_187
; %bb.184:
	s_cmp_eq_u64 s[22:23], 0
	s_waitcnt lgkmcnt(0)
	v_pk_mov_b32 v[4:5], s[18:19], s[18:19] op_sel:[0,1]
	v_mov_b32_e32 v1, s33
	s_cbranch_scc1 .LBB131_186
; %bb.185:
	v_and_b32_e32 v1, 1, v6
	s_bitcmp1_b32 s33, 0
	v_mov_b32_e32 v4, s33
	v_cmp_eq_u32_e32 vcc, 1, v1
	v_cmp_gt_i64_e64 s[2:3], s[18:19], v[2:3]
	v_cndmask_b32_e64 v1, v4, 1, vcc
	s_cselect_b64 s[0:1], -1, 0
	v_mov_b32_e32 v4, s18
	s_and_b64 vcc, vcc, s[2:3]
	v_mov_b32_e32 v5, s19
	v_cndmask_b32_e32 v4, v4, v2, vcc
	v_cndmask_b32_e32 v5, v5, v3, vcc
	v_cndmask_b32_e64 v1, v6, v1, s[0:1]
	v_cndmask_b32_e64 v5, v3, v5, s[0:1]
	;; [unrolled: 1-line block ×3, first 2 shown]
.LBB131_186:
	s_or_b64 s[10:11], s[10:11], exec
.LBB131_187:
	s_or_b64 exec, exec, s[8:9]
	s_branch .LBB131_208
.LBB131_188:
	s_cmp_eq_u32 s36, 1
	s_cbranch_scc0 .LBB131_207
; %bb.189:
	s_mov_b32 s3, 0
	s_lshl_b32 s2, s6, 8
	s_mov_b32 s7, s3
	s_lshr_b64 s[0:1], s[22:23], 8
	s_cmp_lg_u64 s[0:1], s[6:7]
	s_cbranch_scc0 .LBB131_211
; %bb.190:
	s_lshl_b64 s[0:1], s[2:3], 2
	s_add_u32 s8, s24, s0
	s_addc_u32 s9, s25, s1
	s_add_u32 s0, s26, s0
	s_waitcnt lgkmcnt(2)
	v_lshlrev_b32_e32 v1, 2, v0
	s_addc_u32 s1, s27, s1
	s_waitcnt lgkmcnt(0)
	global_load_dword v5, v1, s[8:9]
	global_load_dword v6, v1, s[0:1]
	s_add_u32 s0, s20, s2
	s_addc_u32 s1, s21, 0
	v_mov_b32_e32 v1, s1
	v_add_co_u32_e32 v2, vcc, s0, v0
	v_addc_co_u32_e32 v3, vcc, 0, v1, vcc
	s_nop 0
	v_mov_b32_dpp v4, v2 quad_perm:[1,0,3,2] row_mask:0xf bank_mask:0xf bound_ctrl:1
	s_waitcnt vmcnt(0)
	v_cmp_ne_u32_e32 vcc, v5, v6
	v_cndmask_b32_e64 v1, 0, 1, vcc
	v_cndmask_b32_e64 v6, 0, 1, vcc
	v_mov_b32_dpp v5, v3 quad_perm:[1,0,3,2] row_mask:0xf bank_mask:0xf bound_ctrl:1
	v_mov_b32_dpp v1, v1 quad_perm:[1,0,3,2] row_mask:0xf bank_mask:0xf bound_ctrl:1
	v_and_b32_e32 v7, 1, v1
	v_cmp_eq_u32_e64 s[0:1], 1, v7
	s_and_saveexec_b64 s[8:9], s[0:1]
; %bb.191:
	v_cmp_lt_i64_e64 s[0:1], v[2:3], v[4:5]
	v_cndmask_b32_e64 v6, v1, 1, vcc
	s_and_b64 vcc, vcc, s[0:1]
	v_cndmask_b32_e32 v3, v5, v3, vcc
	v_cndmask_b32_e32 v2, v4, v2, vcc
; %bb.192:
	s_or_b64 exec, exec, s[8:9]
	v_and_b32_e32 v1, 0xff, v6
	v_and_b32_e32 v6, 1, v6
	v_mov_b32_dpp v4, v2 quad_perm:[2,3,0,1] row_mask:0xf bank_mask:0xf bound_ctrl:1
	v_mov_b32_dpp v7, v1 quad_perm:[2,3,0,1] row_mask:0xf bank_mask:0xf bound_ctrl:1
	v_and_b32_e32 v8, 1, v7
	v_mov_b32_dpp v5, v3 quad_perm:[2,3,0,1] row_mask:0xf bank_mask:0xf bound_ctrl:1
	v_cmp_eq_u32_e32 vcc, 1, v8
	v_cmp_eq_u32_e64 s[0:1], 1, v6
	s_and_saveexec_b64 s[8:9], vcc
; %bb.193:
	v_cmp_lt_i64_e32 vcc, v[2:3], v[4:5]
	v_cndmask_b32_e64 v6, v7, 1, s[0:1]
	s_and_b64 vcc, s[0:1], vcc
	v_cndmask_b32_e32 v2, v4, v2, vcc
	v_and_b32_e32 v4, 1, v6
	v_cndmask_b32_e32 v3, v5, v3, vcc
	v_cmp_eq_u32_e32 vcc, 1, v4
	s_andn2_b64 s[0:1], s[0:1], exec
	s_and_b64 s[12:13], vcc, exec
	v_and_b32_e32 v1, 0xff, v6
	s_or_b64 s[0:1], s[0:1], s[12:13]
; %bb.194:
	s_or_b64 exec, exec, s[8:9]
	v_mov_b32_dpp v6, v1 row_ror:4 row_mask:0xf bank_mask:0xf bound_ctrl:1
	v_and_b32_e32 v7, 1, v6
	v_mov_b32_dpp v4, v2 row_ror:4 row_mask:0xf bank_mask:0xf bound_ctrl:1
	v_mov_b32_dpp v5, v3 row_ror:4 row_mask:0xf bank_mask:0xf bound_ctrl:1
	v_cmp_eq_u32_e32 vcc, 1, v7
	s_and_saveexec_b64 s[8:9], vcc
; %bb.195:
	v_cmp_lt_i64_e32 vcc, v[2:3], v[4:5]
	v_cndmask_b32_e64 v6, v6, 1, s[0:1]
	s_and_b64 vcc, s[0:1], vcc
	v_cndmask_b32_e32 v2, v4, v2, vcc
	v_and_b32_e32 v4, 1, v6
	v_cndmask_b32_e32 v3, v5, v3, vcc
	v_cmp_eq_u32_e32 vcc, 1, v4
	s_andn2_b64 s[0:1], s[0:1], exec
	s_and_b64 s[12:13], vcc, exec
	v_and_b32_e32 v1, 0xff, v6
	s_or_b64 s[0:1], s[0:1], s[12:13]
; %bb.196:
	s_or_b64 exec, exec, s[8:9]
	v_mov_b32_dpp v6, v1 row_ror:8 row_mask:0xf bank_mask:0xf bound_ctrl:1
	v_and_b32_e32 v7, 1, v6
	v_mov_b32_dpp v4, v2 row_ror:8 row_mask:0xf bank_mask:0xf bound_ctrl:1
	v_mov_b32_dpp v5, v3 row_ror:8 row_mask:0xf bank_mask:0xf bound_ctrl:1
	v_cmp_eq_u32_e32 vcc, 1, v7
	s_and_saveexec_b64 s[8:9], vcc
; %bb.197:
	v_cmp_lt_i64_e32 vcc, v[2:3], v[4:5]
	v_cndmask_b32_e64 v6, v6, 1, s[0:1]
	s_and_b64 vcc, s[0:1], vcc
	v_cndmask_b32_e32 v2, v4, v2, vcc
	v_and_b32_e32 v4, 1, v6
	v_cndmask_b32_e32 v3, v5, v3, vcc
	v_cmp_eq_u32_e32 vcc, 1, v4
	s_andn2_b64 s[0:1], s[0:1], exec
	s_and_b64 s[12:13], vcc, exec
	v_and_b32_e32 v1, 0xff, v6
	s_or_b64 s[0:1], s[0:1], s[12:13]
; %bb.198:
	s_or_b64 exec, exec, s[8:9]
	v_mov_b32_dpp v6, v1 row_bcast:15 row_mask:0xf bank_mask:0xf bound_ctrl:1
	v_and_b32_e32 v7, 1, v6
	v_mov_b32_dpp v4, v2 row_bcast:15 row_mask:0xf bank_mask:0xf bound_ctrl:1
	v_mov_b32_dpp v5, v3 row_bcast:15 row_mask:0xf bank_mask:0xf bound_ctrl:1
	v_cmp_eq_u32_e32 vcc, 1, v7
	s_and_saveexec_b64 s[8:9], vcc
; %bb.199:
	v_cmp_lt_i64_e32 vcc, v[2:3], v[4:5]
	v_cndmask_b32_e64 v6, v6, 1, s[0:1]
	s_and_b64 vcc, s[0:1], vcc
	v_cndmask_b32_e32 v2, v4, v2, vcc
	v_and_b32_e32 v4, 1, v6
	v_cndmask_b32_e32 v3, v5, v3, vcc
	v_cmp_eq_u32_e32 vcc, 1, v4
	s_andn2_b64 s[0:1], s[0:1], exec
	s_and_b64 s[12:13], vcc, exec
	v_and_b32_e32 v1, 0xff, v6
	s_or_b64 s[0:1], s[0:1], s[12:13]
; %bb.200:
	s_or_b64 exec, exec, s[8:9]
	v_mov_b32_dpp v6, v1 row_bcast:31 row_mask:0xf bank_mask:0xf bound_ctrl:1
	v_and_b32_e32 v7, 1, v6
	v_mov_b32_dpp v4, v2 row_bcast:31 row_mask:0xf bank_mask:0xf bound_ctrl:1
	v_mov_b32_dpp v5, v3 row_bcast:31 row_mask:0xf bank_mask:0xf bound_ctrl:1
	v_cmp_eq_u32_e32 vcc, 1, v7
	s_and_saveexec_b64 s[8:9], vcc
; %bb.201:
	v_cmp_lt_i64_e32 vcc, v[2:3], v[4:5]
	v_and_b32_e32 v1, 0xff, v6
	s_and_b64 vcc, s[0:1], vcc
	v_cndmask_b32_e32 v2, v4, v2, vcc
	v_cndmask_b32_e32 v3, v5, v3, vcc
	v_cndmask_b32_e64 v1, v1, 1, s[0:1]
; %bb.202:
	s_or_b64 exec, exec, s[8:9]
	v_mbcnt_lo_u32_b32 v4, -1, 0
	v_mbcnt_hi_u32_b32 v4, -1, v4
	v_bfrev_b32_e32 v5, 0.5
	v_lshl_or_b32 v5, v4, 2, v5
	ds_bpermute_b32 v6, v5, v1
	ds_bpermute_b32 v2, v5, v2
	;; [unrolled: 1-line block ×3, first 2 shown]
	v_cmp_eq_u32_e32 vcc, 0, v4
	s_and_saveexec_b64 s[0:1], vcc
	s_cbranch_execz .LBB131_204
; %bb.203:
	v_lshrrev_b32_e32 v1, 2, v0
	v_and_b32_e32 v1, 48, v1
	s_waitcnt lgkmcnt(2)
	ds_write_b8 v1, v6
	s_waitcnt lgkmcnt(1)
	ds_write_b64 v1, v[2:3] offset:8
.LBB131_204:
	s_or_b64 exec, exec, s[0:1]
	v_cmp_gt_u32_e32 vcc, 64, v0
	s_waitcnt lgkmcnt(0)
	s_barrier
	s_and_saveexec_b64 s[8:9], vcc
	s_cbranch_execz .LBB131_206
; %bb.205:
	v_and_b32_e32 v1, 3, v4
	v_lshlrev_b32_e32 v2, 4, v1
	ds_read_u8 v5, v2
	ds_read_b64 v[2:3], v2 offset:8
	v_cmp_ne_u32_e32 vcc, 3, v1
	v_addc_co_u32_e32 v6, vcc, 0, v4, vcc
	s_waitcnt lgkmcnt(1)
	v_and_b32_e32 v7, 0xff, v5
	v_lshlrev_b32_e32 v8, 2, v6
	ds_bpermute_b32 v9, v8, v7
	s_waitcnt lgkmcnt(1)
	ds_bpermute_b32 v6, v8, v2
	ds_bpermute_b32 v7, v8, v3
	v_and_b32_e32 v8, 1, v5
	s_waitcnt lgkmcnt(2)
	v_and_b32_e32 v10, 1, v9
	v_cmp_eq_u32_e64 s[0:1], 1, v10
	s_waitcnt lgkmcnt(0)
	v_cmp_lt_i64_e32 vcc, v[6:7], v[2:3]
	s_and_b64 vcc, s[0:1], vcc
	v_cndmask_b32_e64 v5, v5, 1, s[0:1]
	v_cndmask_b32_e32 v2, v2, v6, vcc
	v_cndmask_b32_e32 v3, v3, v7, vcc
	v_cmp_eq_u32_e32 vcc, 1, v8
	v_cndmask_b32_e32 v8, v9, v5, vcc
	v_cndmask_b32_e32 v3, v7, v3, vcc
	;; [unrolled: 1-line block ×3, first 2 shown]
	v_cmp_gt_u32_e32 vcc, 2, v1
	v_cndmask_b32_e64 v1, 0, 1, vcc
	v_lshlrev_b32_e32 v1, 1, v1
	v_and_b32_e32 v5, 0xff, v8
	v_add_lshl_u32 v1, v1, v4, 2
	ds_bpermute_b32 v6, v1, v5
	ds_bpermute_b32 v4, v1, v2
	;; [unrolled: 1-line block ×3, first 2 shown]
	v_and_b32_e32 v1, 1, v8
	s_waitcnt lgkmcnt(2)
	v_and_b32_e32 v7, 1, v6
	v_cmp_eq_u32_e64 s[0:1], 1, v7
	s_waitcnt lgkmcnt(0)
	v_cmp_lt_i64_e32 vcc, v[4:5], v[2:3]
	s_and_b64 vcc, s[0:1], vcc
	v_cndmask_b32_e64 v7, v8, 1, s[0:1]
	v_cndmask_b32_e32 v2, v2, v4, vcc
	v_cndmask_b32_e32 v3, v3, v5, vcc
	v_cmp_eq_u32_e32 vcc, 1, v1
	v_cndmask_b32_e32 v1, v6, v7, vcc
	v_cndmask_b32_e32 v3, v5, v3, vcc
	v_cndmask_b32_e32 v2, v4, v2, vcc
	v_and_b32_e32 v6, 0xff, v1
.LBB131_206:
	s_or_b64 exec, exec, s[8:9]
	s_branch .LBB131_235
.LBB131_207:
                                        ; implicit-def: $vgpr4_vgpr5
                                        ; implicit-def: $vgpr1
                                        ; implicit-def: $sgpr6_sgpr7
.LBB131_208:
	s_and_saveexec_b64 s[0:1], s[10:11]
	s_cbranch_execz .LBB131_210
.LBB131_209:
	s_load_dwordx2 s[0:1], s[4:5], 0x38
	s_lshl_b64 s[2:3], s[6:7], 4
	v_mov_b32_e32 v0, 0
	s_waitcnt lgkmcnt(0)
	s_add_u32 s0, s0, s2
	s_addc_u32 s1, s1, s3
	global_store_byte v0, v1, s[0:1]
	global_store_dwordx2 v0, v[4:5], s[0:1] offset:8
.LBB131_210:
	s_endpgm
.LBB131_211:
                                        ; implicit-def: $vgpr2_vgpr3
                                        ; implicit-def: $vgpr6
	s_cbranch_execz .LBB131_235
; %bb.212:
	s_sub_i32 s8, s22, s2
	v_cmp_gt_u32_e32 vcc, s8, v0
	v_pk_mov_b32 v[2:3], 0, 0
	v_mov_b32_e32 v7, 0
	s_and_saveexec_b64 s[0:1], vcc
	s_cbranch_execz .LBB131_214
; %bb.213:
	s_lshl_b64 s[12:13], s[2:3], 2
	s_add_u32 s14, s26, s12
	s_addc_u32 s15, s27, s13
	s_add_u32 s12, s24, s12
	s_addc_u32 s13, s25, s13
	s_waitcnt lgkmcnt(2)
	v_lshlrev_b32_e32 v1, 2, v0
	s_waitcnt lgkmcnt(1)
	global_load_dword v4, v1, s[12:13]
	s_waitcnt lgkmcnt(0)
	global_load_dword v5, v1, s[14:15]
	s_add_u32 s2, s20, s2
	s_addc_u32 s3, s21, 0
	v_mov_b32_e32 v1, s3
	v_add_co_u32_e32 v2, vcc, s2, v0
	v_addc_co_u32_e32 v3, vcc, 0, v1, vcc
	s_waitcnt vmcnt(0)
	v_cmp_ne_u32_e32 vcc, v4, v5
	v_cndmask_b32_e64 v7, 0, 1, vcc
.LBB131_214:
	s_or_b64 exec, exec, s[0:1]
	s_waitcnt lgkmcnt(2)
	v_mbcnt_lo_u32_b32 v1, -1, 0
	v_mbcnt_hi_u32_b32 v1, -1, v1
	v_and_b32_e32 v8, 63, v1
	v_cmp_ne_u32_e32 vcc, 63, v8
	s_waitcnt lgkmcnt(1)
	v_addc_co_u32_e32 v4, vcc, 0, v1, vcc
	v_and_b32_e32 v6, 0xffff, v7
	s_waitcnt lgkmcnt(0)
	v_lshlrev_b32_e32 v5, 2, v4
	ds_bpermute_b32 v10, v5, v6
	ds_bpermute_b32 v4, v5, v2
	;; [unrolled: 1-line block ×3, first 2 shown]
	s_min_u32 s8, s8, 0x100
	v_and_b32_e32 v9, 0xc0, v0
	v_sub_u32_e64 v9, s8, v9 clamp
	v_add_u32_e32 v11, 1, v8
	v_cmp_lt_u32_e32 vcc, v11, v9
	s_and_saveexec_b64 s[2:3], vcc
	s_cbranch_execz .LBB131_216
; %bb.215:
	s_waitcnt lgkmcnt(2)
	v_and_b32_e32 v11, 1, v10
	s_waitcnt lgkmcnt(0)
	v_cmp_lt_i64_e32 vcc, v[4:5], v[2:3]
	v_cmp_eq_u32_e64 s[0:1], 1, v11
	v_and_b32_e32 v6, 1, v7
	s_and_b64 vcc, s[0:1], vcc
	v_cndmask_b32_e64 v7, v7, 1, s[0:1]
	v_cndmask_b32_e32 v2, v2, v4, vcc
	v_cndmask_b32_e32 v3, v3, v5, vcc
	v_cmp_eq_u32_e32 vcc, 1, v6
	v_cndmask_b32_e32 v7, v10, v7, vcc
	v_cndmask_b32_e32 v3, v5, v3, vcc
	v_cndmask_b32_e32 v2, v4, v2, vcc
	v_and_b32_e32 v6, 0xff, v7
.LBB131_216:
	s_or_b64 exec, exec, s[2:3]
	v_cmp_gt_u32_e32 vcc, 62, v8
	s_waitcnt lgkmcnt(1)
	v_cndmask_b32_e64 v4, 0, 1, vcc
	v_lshlrev_b32_e32 v4, 1, v4
	s_waitcnt lgkmcnt(0)
	v_add_lshl_u32 v5, v4, v1, 2
	ds_bpermute_b32 v10, v5, v6
	ds_bpermute_b32 v4, v5, v2
	ds_bpermute_b32 v5, v5, v3
	v_add_u32_e32 v11, 2, v8
	v_cmp_lt_u32_e32 vcc, v11, v9
	s_and_saveexec_b64 s[2:3], vcc
	s_cbranch_execz .LBB131_218
; %bb.217:
	s_waitcnt lgkmcnt(2)
	v_and_b32_e32 v11, 1, v10
	s_waitcnt lgkmcnt(0)
	v_cmp_lt_i64_e32 vcc, v[4:5], v[2:3]
	v_cmp_eq_u32_e64 s[0:1], 1, v11
	v_and_b32_e32 v6, 1, v7
	s_and_b64 vcc, s[0:1], vcc
	v_cndmask_b32_e64 v7, v7, 1, s[0:1]
	v_cndmask_b32_e32 v2, v2, v4, vcc
	v_cndmask_b32_e32 v3, v3, v5, vcc
	v_cmp_eq_u32_e32 vcc, 1, v6
	v_cndmask_b32_e32 v7, v10, v7, vcc
	v_cndmask_b32_e32 v3, v5, v3, vcc
	v_cndmask_b32_e32 v2, v4, v2, vcc
	v_and_b32_e32 v6, 0xff, v7
.LBB131_218:
	s_or_b64 exec, exec, s[2:3]
	v_cmp_gt_u32_e32 vcc, 60, v8
	s_waitcnt lgkmcnt(1)
	v_cndmask_b32_e64 v4, 0, 1, vcc
	v_lshlrev_b32_e32 v4, 2, v4
	s_waitcnt lgkmcnt(0)
	v_add_lshl_u32 v5, v4, v1, 2
	ds_bpermute_b32 v10, v5, v6
	ds_bpermute_b32 v4, v5, v2
	ds_bpermute_b32 v5, v5, v3
	;; [unrolled: 31-line block ×5, first 2 shown]
	v_add_u32_e32 v8, 32, v8
	v_cmp_lt_u32_e32 vcc, v8, v9
	s_and_saveexec_b64 s[2:3], vcc
	s_cbranch_execz .LBB131_226
; %bb.225:
	s_waitcnt lgkmcnt(2)
	v_and_b32_e32 v8, 1, v10
	s_waitcnt lgkmcnt(0)
	v_cmp_lt_i64_e32 vcc, v[4:5], v[2:3]
	v_cmp_eq_u32_e64 s[0:1], 1, v8
	v_and_b32_e32 v6, 1, v7
	s_and_b64 vcc, s[0:1], vcc
	v_cndmask_b32_e64 v7, v7, 1, s[0:1]
	v_cndmask_b32_e32 v2, v2, v4, vcc
	v_cndmask_b32_e32 v3, v3, v5, vcc
	v_cmp_eq_u32_e32 vcc, 1, v6
	v_cndmask_b32_e32 v7, v10, v7, vcc
	v_cndmask_b32_e32 v3, v5, v3, vcc
	;; [unrolled: 1-line block ×3, first 2 shown]
	v_and_b32_e32 v6, 0xff, v7
.LBB131_226:
	s_or_b64 exec, exec, s[2:3]
	v_cmp_eq_u32_e32 vcc, 0, v1
	s_and_saveexec_b64 s[0:1], vcc
	s_cbranch_execz .LBB131_228
; %bb.227:
	s_waitcnt lgkmcnt(1)
	v_lshrrev_b32_e32 v4, 2, v0
	v_and_b32_e32 v4, 48, v4
	ds_write_b8 v4, v7 offset:256
	ds_write_b64 v4, v[2:3] offset:264
.LBB131_228:
	s_or_b64 exec, exec, s[0:1]
	v_cmp_gt_u32_e32 vcc, 4, v0
	s_waitcnt lgkmcnt(0)
	s_barrier
	s_and_saveexec_b64 s[2:3], vcc
	s_cbranch_execz .LBB131_234
; %bb.229:
	v_lshlrev_b32_e32 v2, 4, v1
	ds_read_u8 v7, v2 offset:256
	ds_read_b64 v[2:3], v2 offset:264
	v_and_b32_e32 v8, 3, v1
	v_cmp_ne_u32_e32 vcc, 3, v8
	v_addc_co_u32_e32 v4, vcc, 0, v1, vcc
	s_waitcnt lgkmcnt(1)
	v_and_b32_e32 v6, 0xff, v7
	v_lshlrev_b32_e32 v5, 2, v4
	ds_bpermute_b32 v9, v5, v6
	s_waitcnt lgkmcnt(1)
	ds_bpermute_b32 v4, v5, v2
	ds_bpermute_b32 v5, v5, v3
	s_add_i32 s8, s8, 63
	s_lshr_b32 s12, s8, 6
	v_add_u32_e32 v10, 1, v8
	v_cmp_gt_u32_e32 vcc, s12, v10
	s_and_saveexec_b64 s[8:9], vcc
	s_cbranch_execz .LBB131_231
; %bb.230:
	s_waitcnt lgkmcnt(2)
	v_and_b32_e32 v10, 1, v9
	s_waitcnt lgkmcnt(0)
	v_cmp_lt_i64_e32 vcc, v[4:5], v[2:3]
	v_cmp_eq_u32_e64 s[0:1], 1, v10
	v_and_b32_e32 v6, 1, v7
	s_and_b64 vcc, s[0:1], vcc
	v_cndmask_b32_e64 v7, v7, 1, s[0:1]
	v_cndmask_b32_e32 v2, v2, v4, vcc
	v_cndmask_b32_e32 v3, v3, v5, vcc
	v_cmp_eq_u32_e32 vcc, 1, v6
	v_cndmask_b32_e32 v7, v9, v7, vcc
	v_cndmask_b32_e32 v3, v5, v3, vcc
	;; [unrolled: 1-line block ×3, first 2 shown]
	v_and_b32_e32 v6, 0xff, v7
.LBB131_231:
	s_or_b64 exec, exec, s[8:9]
	v_cmp_gt_u32_e32 vcc, 2, v8
	s_waitcnt lgkmcnt(1)
	v_cndmask_b32_e64 v4, 0, 1, vcc
	v_lshlrev_b32_e32 v4, 1, v4
	s_waitcnt lgkmcnt(0)
	v_add_lshl_u32 v5, v4, v1, 2
	ds_bpermute_b32 v1, v5, v6
	ds_bpermute_b32 v4, v5, v2
	;; [unrolled: 1-line block ×3, first 2 shown]
	v_add_u32_e32 v8, 2, v8
	v_cmp_gt_u32_e32 vcc, s12, v8
	s_and_saveexec_b64 s[8:9], vcc
	s_cbranch_execz .LBB131_233
; %bb.232:
	s_waitcnt lgkmcnt(2)
	v_and_b32_e32 v8, 1, v1
	s_waitcnt lgkmcnt(0)
	v_cmp_lt_i64_e32 vcc, v[4:5], v[2:3]
	v_cmp_eq_u32_e64 s[0:1], 1, v8
	v_and_b32_e32 v6, 1, v7
	s_and_b64 vcc, s[0:1], vcc
	v_cndmask_b32_e64 v7, v7, 1, s[0:1]
	v_cndmask_b32_e32 v2, v2, v4, vcc
	v_cndmask_b32_e32 v3, v3, v5, vcc
	v_cmp_eq_u32_e32 vcc, 1, v6
	v_cndmask_b32_e32 v1, v1, v7, vcc
	v_cndmask_b32_e32 v3, v5, v3, vcc
	;; [unrolled: 1-line block ×3, first 2 shown]
	v_and_b32_e32 v6, 0xff, v1
.LBB131_233:
	s_or_b64 exec, exec, s[8:9]
.LBB131_234:
	s_or_b64 exec, exec, s[2:3]
.LBB131_235:
	v_cmp_eq_u32_e32 vcc, 0, v0
                                        ; implicit-def: $vgpr4_vgpr5
                                        ; implicit-def: $vgpr1
	s_and_saveexec_b64 s[8:9], vcc
	s_cbranch_execz .LBB131_239
; %bb.236:
	s_cmp_eq_u64 s[22:23], 0
	s_waitcnt lgkmcnt(0)
	v_pk_mov_b32 v[4:5], s[18:19], s[18:19] op_sel:[0,1]
	v_mov_b32_e32 v1, s33
	s_cbranch_scc1 .LBB131_238
; %bb.237:
	v_and_b32_e32 v0, 1, v6
	s_bitcmp1_b32 s33, 0
	v_mov_b32_e32 v1, s33
	v_cmp_eq_u32_e32 vcc, 1, v0
	v_cmp_gt_i64_e64 s[2:3], s[18:19], v[2:3]
	v_cndmask_b32_e64 v0, v1, 1, vcc
	s_cselect_b64 s[0:1], -1, 0
	v_mov_b32_e32 v1, s18
	s_and_b64 vcc, vcc, s[2:3]
	v_cndmask_b32_e32 v4, v1, v2, vcc
	v_mov_b32_e32 v1, s19
	v_cndmask_b32_e32 v5, v1, v3, vcc
	v_cndmask_b32_e64 v1, v6, v0, s[0:1]
	v_cndmask_b32_e64 v5, v3, v5, s[0:1]
	;; [unrolled: 1-line block ×3, first 2 shown]
.LBB131_238:
	s_or_b64 s[10:11], s[10:11], exec
.LBB131_239:
	s_or_b64 exec, exec, s[8:9]
	s_and_saveexec_b64 s[0:1], s[10:11]
	s_cbranch_execnz .LBB131_209
	s_branch .LBB131_210
.LBB131_240:
	v_lshlrev_b32_e32 v10, 2, v25
	global_load_dword v21, v10, s[16:17]
	global_load_dword v26, v10, s[30:31]
	v_mov_b32_e32 v11, s38
	v_add_co_u32_e64 v10, s[16:17], s37, v25
	v_addc_co_u32_e64 v11, s[16:17], 0, v11, s[16:17]
	s_waitcnt vmcnt(0)
	v_cmp_ne_u32_e64 s[16:17], v21, v26
	v_cndmask_b32_e64 v21, 0, 1, s[16:17]
	s_or_b64 exec, exec, s[34:35]
	s_and_saveexec_b64 s[30:31], s[8:9]
	s_cbranch_execz .LBB131_61
.LBB131_241:
	v_and_b32_e32 v26, 1, v18
	v_cmp_lt_i64_e64 s[8:9], v[4:5], v[2:3]
	v_cmp_eq_u32_e64 s[16:17], 1, v26
	v_and_b32_e32 v25, 1, v1
	s_and_b64 s[8:9], s[16:17], s[8:9]
	v_cndmask_b32_e64 v1, v1, 1, s[16:17]
	v_cndmask_b32_e64 v2, v2, v4, s[8:9]
	;; [unrolled: 1-line block ×3, first 2 shown]
	v_cmp_eq_u32_e64 s[8:9], 1, v25
	v_cndmask_b32_e64 v1, v18, v1, s[8:9]
	v_cndmask_b32_e64 v3, v5, v3, s[8:9]
	v_cndmask_b32_e64 v2, v4, v2, s[8:9]
	s_or_b64 exec, exec, s[30:31]
	s_and_saveexec_b64 s[16:17], vcc
	s_cbranch_execz .LBB131_62
.LBB131_242:
	v_and_b32_e32 v5, 1, v23
	v_cmp_lt_i64_e32 vcc, v[12:13], v[2:3]
	v_cmp_eq_u32_e64 s[8:9], 1, v5
	v_and_b32_e32 v4, 1, v1
	s_and_b64 vcc, s[8:9], vcc
	v_cndmask_b32_e64 v1, v1, 1, s[8:9]
	v_cndmask_b32_e32 v2, v2, v12, vcc
	v_cndmask_b32_e32 v3, v3, v13, vcc
	v_cmp_eq_u32_e32 vcc, 1, v4
	v_cndmask_b32_e32 v1, v23, v1, vcc
	v_cndmask_b32_e32 v3, v13, v3, vcc
	;; [unrolled: 1-line block ×3, first 2 shown]
	s_or_b64 exec, exec, s[16:17]
	s_and_saveexec_b64 s[16:17], s[10:11]
	s_cbranch_execz .LBB131_63
.LBB131_243:
	v_and_b32_e32 v5, 1, v19
	v_cmp_lt_i64_e32 vcc, v[6:7], v[2:3]
	v_cmp_eq_u32_e64 s[8:9], 1, v5
	v_and_b32_e32 v4, 1, v1
	s_and_b64 vcc, s[8:9], vcc
	v_cndmask_b32_e64 v1, v1, 1, s[8:9]
	v_cndmask_b32_e32 v2, v2, v6, vcc
	v_cndmask_b32_e32 v3, v3, v7, vcc
	v_cmp_eq_u32_e32 vcc, 1, v4
	v_cndmask_b32_e32 v1, v19, v1, vcc
	v_cndmask_b32_e32 v3, v7, v3, vcc
	;; [unrolled: 1-line block ×3, first 2 shown]
	s_or_b64 exec, exec, s[16:17]
	s_and_saveexec_b64 s[8:9], s[0:1]
	s_cbranch_execz .LBB131_64
.LBB131_244:
	v_and_b32_e32 v5, 1, v24
	v_cmp_lt_i64_e32 vcc, v[14:15], v[2:3]
	v_cmp_eq_u32_e64 s[0:1], 1, v5
	v_and_b32_e32 v4, 1, v1
	s_and_b64 vcc, s[0:1], vcc
	v_cndmask_b32_e64 v1, v1, 1, s[0:1]
	v_cndmask_b32_e32 v2, v2, v14, vcc
	v_cndmask_b32_e32 v3, v3, v15, vcc
	v_cmp_eq_u32_e32 vcc, 1, v4
	v_cndmask_b32_e32 v1, v24, v1, vcc
	v_cndmask_b32_e32 v3, v15, v3, vcc
	;; [unrolled: 1-line block ×3, first 2 shown]
	s_or_b64 exec, exec, s[8:9]
	s_and_saveexec_b64 s[8:9], s[12:13]
	s_cbranch_execz .LBB131_65
.LBB131_245:
	v_and_b32_e32 v5, 1, v20
	v_cmp_lt_i64_e32 vcc, v[8:9], v[2:3]
	v_cmp_eq_u32_e64 s[0:1], 1, v5
	v_and_b32_e32 v4, 1, v1
	s_and_b64 vcc, s[0:1], vcc
	v_cndmask_b32_e64 v1, v1, 1, s[0:1]
	v_cndmask_b32_e32 v2, v2, v8, vcc
	v_cndmask_b32_e32 v3, v3, v9, vcc
	v_cmp_eq_u32_e32 vcc, 1, v4
	v_cndmask_b32_e32 v1, v20, v1, vcc
	v_cndmask_b32_e32 v3, v9, v3, vcc
	;; [unrolled: 1-line block ×3, first 2 shown]
	s_or_b64 exec, exec, s[8:9]
	s_and_saveexec_b64 s[8:9], s[2:3]
	s_cbranch_execz .LBB131_66
.LBB131_246:
	v_and_b32_e32 v5, 1, v22
	v_cmp_lt_i64_e32 vcc, v[16:17], v[2:3]
	v_cmp_eq_u32_e64 s[0:1], 1, v5
	v_and_b32_e32 v4, 1, v1
	s_and_b64 vcc, s[0:1], vcc
	v_cndmask_b32_e64 v1, v1, 1, s[0:1]
	v_cndmask_b32_e32 v2, v2, v16, vcc
	v_cndmask_b32_e32 v3, v3, v17, vcc
	v_cmp_eq_u32_e32 vcc, 1, v4
	v_cndmask_b32_e32 v1, v22, v1, vcc
	v_cndmask_b32_e32 v3, v17, v3, vcc
	v_cndmask_b32_e32 v2, v16, v2, vcc
	s_or_b64 exec, exec, s[8:9]
	s_and_saveexec_b64 s[2:3], s[14:15]
	s_cbranch_execnz .LBB131_67
	s_branch .LBB131_68
.LBB131_247:
	v_lshlrev_b32_e32 v6, 2, v0
	global_load_dword v11, v6, s[12:13] offset:3072
	global_load_dword v14, v6, s[14:15] offset:3072
	v_mov_b32_e32 v7, s29
	v_add_co_u32_e64 v6, s[8:9], s28, v13
	v_addc_co_u32_e64 v7, s[8:9], 0, v7, s[8:9]
	s_waitcnt vmcnt(0)
	v_cmp_ne_u32_e64 s[8:9], v11, v14
	v_cndmask_b32_e64 v11, 0, 1, s[8:9]
	s_or_b64 exec, exec, s[16:17]
	s_and_saveexec_b64 s[12:13], s[0:1]
	s_cbranch_execz .LBB131_104
.LBB131_248:
	v_and_b32_e32 v14, 1, v1
	v_cmp_lt_i64_e64 s[0:1], v[4:5], v[2:3]
	v_cmp_eq_u32_e64 s[8:9], 1, v14
	v_and_b32_e32 v13, 1, v10
	s_and_b64 s[0:1], s[8:9], s[0:1]
	v_cndmask_b32_e64 v10, v10, 1, s[8:9]
	v_cndmask_b32_e64 v2, v2, v4, s[0:1]
	;; [unrolled: 1-line block ×3, first 2 shown]
	v_cmp_eq_u32_e64 s[0:1], 1, v13
	v_cndmask_b32_e64 v10, v1, v10, s[0:1]
	v_cndmask_b32_e64 v3, v5, v3, s[0:1]
	;; [unrolled: 1-line block ×3, first 2 shown]
	s_or_b64 exec, exec, s[12:13]
	s_and_saveexec_b64 s[8:9], vcc
	s_cbranch_execz .LBB131_105
.LBB131_249:
	v_and_b32_e32 v4, 1, v12
	v_cmp_lt_i64_e32 vcc, v[8:9], v[2:3]
	v_cmp_eq_u32_e64 s[0:1], 1, v4
	v_and_b32_e32 v1, 1, v10
	s_and_b64 vcc, s[0:1], vcc
	v_cndmask_b32_e64 v4, v10, 1, s[0:1]
	v_cndmask_b32_e32 v2, v2, v8, vcc
	v_cndmask_b32_e32 v3, v3, v9, vcc
	v_cmp_eq_u32_e32 vcc, 1, v1
	v_cndmask_b32_e32 v10, v12, v4, vcc
	v_cndmask_b32_e32 v3, v9, v3, vcc
	v_cndmask_b32_e32 v2, v8, v2, vcc
	s_or_b64 exec, exec, s[8:9]
	s_and_saveexec_b64 s[8:9], s[2:3]
	s_cbranch_execnz .LBB131_106
	s_branch .LBB131_107
	.section	.rodata,"a",@progbits
	.p2align	6, 0x0
	.amdhsa_kernel _ZN7rocprim17ROCPRIM_400000_NS6detail17trampoline_kernelINS0_14default_configENS1_22reduce_config_selectorIN6thrust23THRUST_200600_302600_NS5tupleIblNS6_9null_typeES8_S8_S8_S8_S8_S8_S8_EEEEZNS1_11reduce_implILb1ES3_NS6_12zip_iteratorINS7_INS6_11hip_rocprim26transform_input_iterator_tIbNSD_35transform_pair_of_input_iterators_tIbNS6_6detail15normal_iteratorINS6_10device_ptrIKiEEEESL_NS6_8equal_toIiEEEENSG_9not_fun_tINSD_8identityEEEEENSD_19counting_iterator_tIlEES8_S8_S8_S8_S8_S8_S8_S8_EEEEPS9_S9_NSD_9__find_if7functorIS9_EEEE10hipError_tPvRmT1_T2_T3_mT4_P12ihipStream_tbEUlT_E1_NS1_11comp_targetILNS1_3genE4ELNS1_11target_archE910ELNS1_3gpuE8ELNS1_3repE0EEENS1_30default_config_static_selectorELNS0_4arch9wavefront6targetE1EEEvS14_
		.amdhsa_group_segment_fixed_size 320
		.amdhsa_private_segment_fixed_size 0
		.amdhsa_kernarg_size 88
		.amdhsa_user_sgpr_count 6
		.amdhsa_user_sgpr_private_segment_buffer 1
		.amdhsa_user_sgpr_dispatch_ptr 0
		.amdhsa_user_sgpr_queue_ptr 0
		.amdhsa_user_sgpr_kernarg_segment_ptr 1
		.amdhsa_user_sgpr_dispatch_id 0
		.amdhsa_user_sgpr_flat_scratch_init 0
		.amdhsa_user_sgpr_kernarg_preload_length 0
		.amdhsa_user_sgpr_kernarg_preload_offset 0
		.amdhsa_user_sgpr_private_segment_size 0
		.amdhsa_uses_dynamic_stack 0
		.amdhsa_system_sgpr_private_segment_wavefront_offset 0
		.amdhsa_system_sgpr_workgroup_id_x 1
		.amdhsa_system_sgpr_workgroup_id_y 0
		.amdhsa_system_sgpr_workgroup_id_z 0
		.amdhsa_system_sgpr_workgroup_info 0
		.amdhsa_system_vgpr_workitem_id 0
		.amdhsa_next_free_vgpr 27
		.amdhsa_next_free_sgpr 40
		.amdhsa_accum_offset 28
		.amdhsa_reserve_vcc 1
		.amdhsa_reserve_flat_scratch 0
		.amdhsa_float_round_mode_32 0
		.amdhsa_float_round_mode_16_64 0
		.amdhsa_float_denorm_mode_32 3
		.amdhsa_float_denorm_mode_16_64 3
		.amdhsa_dx10_clamp 1
		.amdhsa_ieee_mode 1
		.amdhsa_fp16_overflow 0
		.amdhsa_tg_split 0
		.amdhsa_exception_fp_ieee_invalid_op 0
		.amdhsa_exception_fp_denorm_src 0
		.amdhsa_exception_fp_ieee_div_zero 0
		.amdhsa_exception_fp_ieee_overflow 0
		.amdhsa_exception_fp_ieee_underflow 0
		.amdhsa_exception_fp_ieee_inexact 0
		.amdhsa_exception_int_div_zero 0
	.end_amdhsa_kernel
	.section	.text._ZN7rocprim17ROCPRIM_400000_NS6detail17trampoline_kernelINS0_14default_configENS1_22reduce_config_selectorIN6thrust23THRUST_200600_302600_NS5tupleIblNS6_9null_typeES8_S8_S8_S8_S8_S8_S8_EEEEZNS1_11reduce_implILb1ES3_NS6_12zip_iteratorINS7_INS6_11hip_rocprim26transform_input_iterator_tIbNSD_35transform_pair_of_input_iterators_tIbNS6_6detail15normal_iteratorINS6_10device_ptrIKiEEEESL_NS6_8equal_toIiEEEENSG_9not_fun_tINSD_8identityEEEEENSD_19counting_iterator_tIlEES8_S8_S8_S8_S8_S8_S8_S8_EEEEPS9_S9_NSD_9__find_if7functorIS9_EEEE10hipError_tPvRmT1_T2_T3_mT4_P12ihipStream_tbEUlT_E1_NS1_11comp_targetILNS1_3genE4ELNS1_11target_archE910ELNS1_3gpuE8ELNS1_3repE0EEENS1_30default_config_static_selectorELNS0_4arch9wavefront6targetE1EEEvS14_,"axG",@progbits,_ZN7rocprim17ROCPRIM_400000_NS6detail17trampoline_kernelINS0_14default_configENS1_22reduce_config_selectorIN6thrust23THRUST_200600_302600_NS5tupleIblNS6_9null_typeES8_S8_S8_S8_S8_S8_S8_EEEEZNS1_11reduce_implILb1ES3_NS6_12zip_iteratorINS7_INS6_11hip_rocprim26transform_input_iterator_tIbNSD_35transform_pair_of_input_iterators_tIbNS6_6detail15normal_iteratorINS6_10device_ptrIKiEEEESL_NS6_8equal_toIiEEEENSG_9not_fun_tINSD_8identityEEEEENSD_19counting_iterator_tIlEES8_S8_S8_S8_S8_S8_S8_S8_EEEEPS9_S9_NSD_9__find_if7functorIS9_EEEE10hipError_tPvRmT1_T2_T3_mT4_P12ihipStream_tbEUlT_E1_NS1_11comp_targetILNS1_3genE4ELNS1_11target_archE910ELNS1_3gpuE8ELNS1_3repE0EEENS1_30default_config_static_selectorELNS0_4arch9wavefront6targetE1EEEvS14_,comdat
.Lfunc_end131:
	.size	_ZN7rocprim17ROCPRIM_400000_NS6detail17trampoline_kernelINS0_14default_configENS1_22reduce_config_selectorIN6thrust23THRUST_200600_302600_NS5tupleIblNS6_9null_typeES8_S8_S8_S8_S8_S8_S8_EEEEZNS1_11reduce_implILb1ES3_NS6_12zip_iteratorINS7_INS6_11hip_rocprim26transform_input_iterator_tIbNSD_35transform_pair_of_input_iterators_tIbNS6_6detail15normal_iteratorINS6_10device_ptrIKiEEEESL_NS6_8equal_toIiEEEENSG_9not_fun_tINSD_8identityEEEEENSD_19counting_iterator_tIlEES8_S8_S8_S8_S8_S8_S8_S8_EEEEPS9_S9_NSD_9__find_if7functorIS9_EEEE10hipError_tPvRmT1_T2_T3_mT4_P12ihipStream_tbEUlT_E1_NS1_11comp_targetILNS1_3genE4ELNS1_11target_archE910ELNS1_3gpuE8ELNS1_3repE0EEENS1_30default_config_static_selectorELNS0_4arch9wavefront6targetE1EEEvS14_, .Lfunc_end131-_ZN7rocprim17ROCPRIM_400000_NS6detail17trampoline_kernelINS0_14default_configENS1_22reduce_config_selectorIN6thrust23THRUST_200600_302600_NS5tupleIblNS6_9null_typeES8_S8_S8_S8_S8_S8_S8_EEEEZNS1_11reduce_implILb1ES3_NS6_12zip_iteratorINS7_INS6_11hip_rocprim26transform_input_iterator_tIbNSD_35transform_pair_of_input_iterators_tIbNS6_6detail15normal_iteratorINS6_10device_ptrIKiEEEESL_NS6_8equal_toIiEEEENSG_9not_fun_tINSD_8identityEEEEENSD_19counting_iterator_tIlEES8_S8_S8_S8_S8_S8_S8_S8_EEEEPS9_S9_NSD_9__find_if7functorIS9_EEEE10hipError_tPvRmT1_T2_T3_mT4_P12ihipStream_tbEUlT_E1_NS1_11comp_targetILNS1_3genE4ELNS1_11target_archE910ELNS1_3gpuE8ELNS1_3repE0EEENS1_30default_config_static_selectorELNS0_4arch9wavefront6targetE1EEEvS14_
                                        ; -- End function
	.section	.AMDGPU.csdata,"",@progbits
; Kernel info:
; codeLenInByte = 13144
; NumSgprs: 44
; NumVgprs: 27
; NumAgprs: 0
; TotalNumVgprs: 27
; ScratchSize: 0
; MemoryBound: 0
; FloatMode: 240
; IeeeMode: 1
; LDSByteSize: 320 bytes/workgroup (compile time only)
; SGPRBlocks: 5
; VGPRBlocks: 3
; NumSGPRsForWavesPerEU: 44
; NumVGPRsForWavesPerEU: 27
; AccumOffset: 28
; Occupancy: 8
; WaveLimiterHint : 0
; COMPUTE_PGM_RSRC2:SCRATCH_EN: 0
; COMPUTE_PGM_RSRC2:USER_SGPR: 6
; COMPUTE_PGM_RSRC2:TRAP_HANDLER: 0
; COMPUTE_PGM_RSRC2:TGID_X_EN: 1
; COMPUTE_PGM_RSRC2:TGID_Y_EN: 0
; COMPUTE_PGM_RSRC2:TGID_Z_EN: 0
; COMPUTE_PGM_RSRC2:TIDIG_COMP_CNT: 0
; COMPUTE_PGM_RSRC3_GFX90A:ACCUM_OFFSET: 6
; COMPUTE_PGM_RSRC3_GFX90A:TG_SPLIT: 0
	.section	.text._ZN7rocprim17ROCPRIM_400000_NS6detail17trampoline_kernelINS0_14default_configENS1_22reduce_config_selectorIN6thrust23THRUST_200600_302600_NS5tupleIblNS6_9null_typeES8_S8_S8_S8_S8_S8_S8_EEEEZNS1_11reduce_implILb1ES3_NS6_12zip_iteratorINS7_INS6_11hip_rocprim26transform_input_iterator_tIbNSD_35transform_pair_of_input_iterators_tIbNS6_6detail15normal_iteratorINS6_10device_ptrIKiEEEESL_NS6_8equal_toIiEEEENSG_9not_fun_tINSD_8identityEEEEENSD_19counting_iterator_tIlEES8_S8_S8_S8_S8_S8_S8_S8_EEEEPS9_S9_NSD_9__find_if7functorIS9_EEEE10hipError_tPvRmT1_T2_T3_mT4_P12ihipStream_tbEUlT_E1_NS1_11comp_targetILNS1_3genE3ELNS1_11target_archE908ELNS1_3gpuE7ELNS1_3repE0EEENS1_30default_config_static_selectorELNS0_4arch9wavefront6targetE1EEEvS14_,"axG",@progbits,_ZN7rocprim17ROCPRIM_400000_NS6detail17trampoline_kernelINS0_14default_configENS1_22reduce_config_selectorIN6thrust23THRUST_200600_302600_NS5tupleIblNS6_9null_typeES8_S8_S8_S8_S8_S8_S8_EEEEZNS1_11reduce_implILb1ES3_NS6_12zip_iteratorINS7_INS6_11hip_rocprim26transform_input_iterator_tIbNSD_35transform_pair_of_input_iterators_tIbNS6_6detail15normal_iteratorINS6_10device_ptrIKiEEEESL_NS6_8equal_toIiEEEENSG_9not_fun_tINSD_8identityEEEEENSD_19counting_iterator_tIlEES8_S8_S8_S8_S8_S8_S8_S8_EEEEPS9_S9_NSD_9__find_if7functorIS9_EEEE10hipError_tPvRmT1_T2_T3_mT4_P12ihipStream_tbEUlT_E1_NS1_11comp_targetILNS1_3genE3ELNS1_11target_archE908ELNS1_3gpuE7ELNS1_3repE0EEENS1_30default_config_static_selectorELNS0_4arch9wavefront6targetE1EEEvS14_,comdat
	.protected	_ZN7rocprim17ROCPRIM_400000_NS6detail17trampoline_kernelINS0_14default_configENS1_22reduce_config_selectorIN6thrust23THRUST_200600_302600_NS5tupleIblNS6_9null_typeES8_S8_S8_S8_S8_S8_S8_EEEEZNS1_11reduce_implILb1ES3_NS6_12zip_iteratorINS7_INS6_11hip_rocprim26transform_input_iterator_tIbNSD_35transform_pair_of_input_iterators_tIbNS6_6detail15normal_iteratorINS6_10device_ptrIKiEEEESL_NS6_8equal_toIiEEEENSG_9not_fun_tINSD_8identityEEEEENSD_19counting_iterator_tIlEES8_S8_S8_S8_S8_S8_S8_S8_EEEEPS9_S9_NSD_9__find_if7functorIS9_EEEE10hipError_tPvRmT1_T2_T3_mT4_P12ihipStream_tbEUlT_E1_NS1_11comp_targetILNS1_3genE3ELNS1_11target_archE908ELNS1_3gpuE7ELNS1_3repE0EEENS1_30default_config_static_selectorELNS0_4arch9wavefront6targetE1EEEvS14_ ; -- Begin function _ZN7rocprim17ROCPRIM_400000_NS6detail17trampoline_kernelINS0_14default_configENS1_22reduce_config_selectorIN6thrust23THRUST_200600_302600_NS5tupleIblNS6_9null_typeES8_S8_S8_S8_S8_S8_S8_EEEEZNS1_11reduce_implILb1ES3_NS6_12zip_iteratorINS7_INS6_11hip_rocprim26transform_input_iterator_tIbNSD_35transform_pair_of_input_iterators_tIbNS6_6detail15normal_iteratorINS6_10device_ptrIKiEEEESL_NS6_8equal_toIiEEEENSG_9not_fun_tINSD_8identityEEEEENSD_19counting_iterator_tIlEES8_S8_S8_S8_S8_S8_S8_S8_EEEEPS9_S9_NSD_9__find_if7functorIS9_EEEE10hipError_tPvRmT1_T2_T3_mT4_P12ihipStream_tbEUlT_E1_NS1_11comp_targetILNS1_3genE3ELNS1_11target_archE908ELNS1_3gpuE7ELNS1_3repE0EEENS1_30default_config_static_selectorELNS0_4arch9wavefront6targetE1EEEvS14_
	.globl	_ZN7rocprim17ROCPRIM_400000_NS6detail17trampoline_kernelINS0_14default_configENS1_22reduce_config_selectorIN6thrust23THRUST_200600_302600_NS5tupleIblNS6_9null_typeES8_S8_S8_S8_S8_S8_S8_EEEEZNS1_11reduce_implILb1ES3_NS6_12zip_iteratorINS7_INS6_11hip_rocprim26transform_input_iterator_tIbNSD_35transform_pair_of_input_iterators_tIbNS6_6detail15normal_iteratorINS6_10device_ptrIKiEEEESL_NS6_8equal_toIiEEEENSG_9not_fun_tINSD_8identityEEEEENSD_19counting_iterator_tIlEES8_S8_S8_S8_S8_S8_S8_S8_EEEEPS9_S9_NSD_9__find_if7functorIS9_EEEE10hipError_tPvRmT1_T2_T3_mT4_P12ihipStream_tbEUlT_E1_NS1_11comp_targetILNS1_3genE3ELNS1_11target_archE908ELNS1_3gpuE7ELNS1_3repE0EEENS1_30default_config_static_selectorELNS0_4arch9wavefront6targetE1EEEvS14_
	.p2align	8
	.type	_ZN7rocprim17ROCPRIM_400000_NS6detail17trampoline_kernelINS0_14default_configENS1_22reduce_config_selectorIN6thrust23THRUST_200600_302600_NS5tupleIblNS6_9null_typeES8_S8_S8_S8_S8_S8_S8_EEEEZNS1_11reduce_implILb1ES3_NS6_12zip_iteratorINS7_INS6_11hip_rocprim26transform_input_iterator_tIbNSD_35transform_pair_of_input_iterators_tIbNS6_6detail15normal_iteratorINS6_10device_ptrIKiEEEESL_NS6_8equal_toIiEEEENSG_9not_fun_tINSD_8identityEEEEENSD_19counting_iterator_tIlEES8_S8_S8_S8_S8_S8_S8_S8_EEEEPS9_S9_NSD_9__find_if7functorIS9_EEEE10hipError_tPvRmT1_T2_T3_mT4_P12ihipStream_tbEUlT_E1_NS1_11comp_targetILNS1_3genE3ELNS1_11target_archE908ELNS1_3gpuE7ELNS1_3repE0EEENS1_30default_config_static_selectorELNS0_4arch9wavefront6targetE1EEEvS14_,@function
_ZN7rocprim17ROCPRIM_400000_NS6detail17trampoline_kernelINS0_14default_configENS1_22reduce_config_selectorIN6thrust23THRUST_200600_302600_NS5tupleIblNS6_9null_typeES8_S8_S8_S8_S8_S8_S8_EEEEZNS1_11reduce_implILb1ES3_NS6_12zip_iteratorINS7_INS6_11hip_rocprim26transform_input_iterator_tIbNSD_35transform_pair_of_input_iterators_tIbNS6_6detail15normal_iteratorINS6_10device_ptrIKiEEEESL_NS6_8equal_toIiEEEENSG_9not_fun_tINSD_8identityEEEEENSD_19counting_iterator_tIlEES8_S8_S8_S8_S8_S8_S8_S8_EEEEPS9_S9_NSD_9__find_if7functorIS9_EEEE10hipError_tPvRmT1_T2_T3_mT4_P12ihipStream_tbEUlT_E1_NS1_11comp_targetILNS1_3genE3ELNS1_11target_archE908ELNS1_3gpuE7ELNS1_3repE0EEENS1_30default_config_static_selectorELNS0_4arch9wavefront6targetE1EEEvS14_: ; @_ZN7rocprim17ROCPRIM_400000_NS6detail17trampoline_kernelINS0_14default_configENS1_22reduce_config_selectorIN6thrust23THRUST_200600_302600_NS5tupleIblNS6_9null_typeES8_S8_S8_S8_S8_S8_S8_EEEEZNS1_11reduce_implILb1ES3_NS6_12zip_iteratorINS7_INS6_11hip_rocprim26transform_input_iterator_tIbNSD_35transform_pair_of_input_iterators_tIbNS6_6detail15normal_iteratorINS6_10device_ptrIKiEEEESL_NS6_8equal_toIiEEEENSG_9not_fun_tINSD_8identityEEEEENSD_19counting_iterator_tIlEES8_S8_S8_S8_S8_S8_S8_S8_EEEEPS9_S9_NSD_9__find_if7functorIS9_EEEE10hipError_tPvRmT1_T2_T3_mT4_P12ihipStream_tbEUlT_E1_NS1_11comp_targetILNS1_3genE3ELNS1_11target_archE908ELNS1_3gpuE7ELNS1_3repE0EEENS1_30default_config_static_selectorELNS0_4arch9wavefront6targetE1EEEvS14_
; %bb.0:
	.section	.rodata,"a",@progbits
	.p2align	6, 0x0
	.amdhsa_kernel _ZN7rocprim17ROCPRIM_400000_NS6detail17trampoline_kernelINS0_14default_configENS1_22reduce_config_selectorIN6thrust23THRUST_200600_302600_NS5tupleIblNS6_9null_typeES8_S8_S8_S8_S8_S8_S8_EEEEZNS1_11reduce_implILb1ES3_NS6_12zip_iteratorINS7_INS6_11hip_rocprim26transform_input_iterator_tIbNSD_35transform_pair_of_input_iterators_tIbNS6_6detail15normal_iteratorINS6_10device_ptrIKiEEEESL_NS6_8equal_toIiEEEENSG_9not_fun_tINSD_8identityEEEEENSD_19counting_iterator_tIlEES8_S8_S8_S8_S8_S8_S8_S8_EEEEPS9_S9_NSD_9__find_if7functorIS9_EEEE10hipError_tPvRmT1_T2_T3_mT4_P12ihipStream_tbEUlT_E1_NS1_11comp_targetILNS1_3genE3ELNS1_11target_archE908ELNS1_3gpuE7ELNS1_3repE0EEENS1_30default_config_static_selectorELNS0_4arch9wavefront6targetE1EEEvS14_
		.amdhsa_group_segment_fixed_size 0
		.amdhsa_private_segment_fixed_size 0
		.amdhsa_kernarg_size 88
		.amdhsa_user_sgpr_count 6
		.amdhsa_user_sgpr_private_segment_buffer 1
		.amdhsa_user_sgpr_dispatch_ptr 0
		.amdhsa_user_sgpr_queue_ptr 0
		.amdhsa_user_sgpr_kernarg_segment_ptr 1
		.amdhsa_user_sgpr_dispatch_id 0
		.amdhsa_user_sgpr_flat_scratch_init 0
		.amdhsa_user_sgpr_kernarg_preload_length 0
		.amdhsa_user_sgpr_kernarg_preload_offset 0
		.amdhsa_user_sgpr_private_segment_size 0
		.amdhsa_uses_dynamic_stack 0
		.amdhsa_system_sgpr_private_segment_wavefront_offset 0
		.amdhsa_system_sgpr_workgroup_id_x 1
		.amdhsa_system_sgpr_workgroup_id_y 0
		.amdhsa_system_sgpr_workgroup_id_z 0
		.amdhsa_system_sgpr_workgroup_info 0
		.amdhsa_system_vgpr_workitem_id 0
		.amdhsa_next_free_vgpr 1
		.amdhsa_next_free_sgpr 0
		.amdhsa_accum_offset 4
		.amdhsa_reserve_vcc 0
		.amdhsa_reserve_flat_scratch 0
		.amdhsa_float_round_mode_32 0
		.amdhsa_float_round_mode_16_64 0
		.amdhsa_float_denorm_mode_32 3
		.amdhsa_float_denorm_mode_16_64 3
		.amdhsa_dx10_clamp 1
		.amdhsa_ieee_mode 1
		.amdhsa_fp16_overflow 0
		.amdhsa_tg_split 0
		.amdhsa_exception_fp_ieee_invalid_op 0
		.amdhsa_exception_fp_denorm_src 0
		.amdhsa_exception_fp_ieee_div_zero 0
		.amdhsa_exception_fp_ieee_overflow 0
		.amdhsa_exception_fp_ieee_underflow 0
		.amdhsa_exception_fp_ieee_inexact 0
		.amdhsa_exception_int_div_zero 0
	.end_amdhsa_kernel
	.section	.text._ZN7rocprim17ROCPRIM_400000_NS6detail17trampoline_kernelINS0_14default_configENS1_22reduce_config_selectorIN6thrust23THRUST_200600_302600_NS5tupleIblNS6_9null_typeES8_S8_S8_S8_S8_S8_S8_EEEEZNS1_11reduce_implILb1ES3_NS6_12zip_iteratorINS7_INS6_11hip_rocprim26transform_input_iterator_tIbNSD_35transform_pair_of_input_iterators_tIbNS6_6detail15normal_iteratorINS6_10device_ptrIKiEEEESL_NS6_8equal_toIiEEEENSG_9not_fun_tINSD_8identityEEEEENSD_19counting_iterator_tIlEES8_S8_S8_S8_S8_S8_S8_S8_EEEEPS9_S9_NSD_9__find_if7functorIS9_EEEE10hipError_tPvRmT1_T2_T3_mT4_P12ihipStream_tbEUlT_E1_NS1_11comp_targetILNS1_3genE3ELNS1_11target_archE908ELNS1_3gpuE7ELNS1_3repE0EEENS1_30default_config_static_selectorELNS0_4arch9wavefront6targetE1EEEvS14_,"axG",@progbits,_ZN7rocprim17ROCPRIM_400000_NS6detail17trampoline_kernelINS0_14default_configENS1_22reduce_config_selectorIN6thrust23THRUST_200600_302600_NS5tupleIblNS6_9null_typeES8_S8_S8_S8_S8_S8_S8_EEEEZNS1_11reduce_implILb1ES3_NS6_12zip_iteratorINS7_INS6_11hip_rocprim26transform_input_iterator_tIbNSD_35transform_pair_of_input_iterators_tIbNS6_6detail15normal_iteratorINS6_10device_ptrIKiEEEESL_NS6_8equal_toIiEEEENSG_9not_fun_tINSD_8identityEEEEENSD_19counting_iterator_tIlEES8_S8_S8_S8_S8_S8_S8_S8_EEEEPS9_S9_NSD_9__find_if7functorIS9_EEEE10hipError_tPvRmT1_T2_T3_mT4_P12ihipStream_tbEUlT_E1_NS1_11comp_targetILNS1_3genE3ELNS1_11target_archE908ELNS1_3gpuE7ELNS1_3repE0EEENS1_30default_config_static_selectorELNS0_4arch9wavefront6targetE1EEEvS14_,comdat
.Lfunc_end132:
	.size	_ZN7rocprim17ROCPRIM_400000_NS6detail17trampoline_kernelINS0_14default_configENS1_22reduce_config_selectorIN6thrust23THRUST_200600_302600_NS5tupleIblNS6_9null_typeES8_S8_S8_S8_S8_S8_S8_EEEEZNS1_11reduce_implILb1ES3_NS6_12zip_iteratorINS7_INS6_11hip_rocprim26transform_input_iterator_tIbNSD_35transform_pair_of_input_iterators_tIbNS6_6detail15normal_iteratorINS6_10device_ptrIKiEEEESL_NS6_8equal_toIiEEEENSG_9not_fun_tINSD_8identityEEEEENSD_19counting_iterator_tIlEES8_S8_S8_S8_S8_S8_S8_S8_EEEEPS9_S9_NSD_9__find_if7functorIS9_EEEE10hipError_tPvRmT1_T2_T3_mT4_P12ihipStream_tbEUlT_E1_NS1_11comp_targetILNS1_3genE3ELNS1_11target_archE908ELNS1_3gpuE7ELNS1_3repE0EEENS1_30default_config_static_selectorELNS0_4arch9wavefront6targetE1EEEvS14_, .Lfunc_end132-_ZN7rocprim17ROCPRIM_400000_NS6detail17trampoline_kernelINS0_14default_configENS1_22reduce_config_selectorIN6thrust23THRUST_200600_302600_NS5tupleIblNS6_9null_typeES8_S8_S8_S8_S8_S8_S8_EEEEZNS1_11reduce_implILb1ES3_NS6_12zip_iteratorINS7_INS6_11hip_rocprim26transform_input_iterator_tIbNSD_35transform_pair_of_input_iterators_tIbNS6_6detail15normal_iteratorINS6_10device_ptrIKiEEEESL_NS6_8equal_toIiEEEENSG_9not_fun_tINSD_8identityEEEEENSD_19counting_iterator_tIlEES8_S8_S8_S8_S8_S8_S8_S8_EEEEPS9_S9_NSD_9__find_if7functorIS9_EEEE10hipError_tPvRmT1_T2_T3_mT4_P12ihipStream_tbEUlT_E1_NS1_11comp_targetILNS1_3genE3ELNS1_11target_archE908ELNS1_3gpuE7ELNS1_3repE0EEENS1_30default_config_static_selectorELNS0_4arch9wavefront6targetE1EEEvS14_
                                        ; -- End function
	.section	.AMDGPU.csdata,"",@progbits
; Kernel info:
; codeLenInByte = 0
; NumSgprs: 4
; NumVgprs: 0
; NumAgprs: 0
; TotalNumVgprs: 0
; ScratchSize: 0
; MemoryBound: 0
; FloatMode: 240
; IeeeMode: 1
; LDSByteSize: 0 bytes/workgroup (compile time only)
; SGPRBlocks: 0
; VGPRBlocks: 0
; NumSGPRsForWavesPerEU: 4
; NumVGPRsForWavesPerEU: 1
; AccumOffset: 4
; Occupancy: 8
; WaveLimiterHint : 0
; COMPUTE_PGM_RSRC2:SCRATCH_EN: 0
; COMPUTE_PGM_RSRC2:USER_SGPR: 6
; COMPUTE_PGM_RSRC2:TRAP_HANDLER: 0
; COMPUTE_PGM_RSRC2:TGID_X_EN: 1
; COMPUTE_PGM_RSRC2:TGID_Y_EN: 0
; COMPUTE_PGM_RSRC2:TGID_Z_EN: 0
; COMPUTE_PGM_RSRC2:TIDIG_COMP_CNT: 0
; COMPUTE_PGM_RSRC3_GFX90A:ACCUM_OFFSET: 0
; COMPUTE_PGM_RSRC3_GFX90A:TG_SPLIT: 0
	.section	.text._ZN7rocprim17ROCPRIM_400000_NS6detail17trampoline_kernelINS0_14default_configENS1_22reduce_config_selectorIN6thrust23THRUST_200600_302600_NS5tupleIblNS6_9null_typeES8_S8_S8_S8_S8_S8_S8_EEEEZNS1_11reduce_implILb1ES3_NS6_12zip_iteratorINS7_INS6_11hip_rocprim26transform_input_iterator_tIbNSD_35transform_pair_of_input_iterators_tIbNS6_6detail15normal_iteratorINS6_10device_ptrIKiEEEESL_NS6_8equal_toIiEEEENSG_9not_fun_tINSD_8identityEEEEENSD_19counting_iterator_tIlEES8_S8_S8_S8_S8_S8_S8_S8_EEEEPS9_S9_NSD_9__find_if7functorIS9_EEEE10hipError_tPvRmT1_T2_T3_mT4_P12ihipStream_tbEUlT_E1_NS1_11comp_targetILNS1_3genE2ELNS1_11target_archE906ELNS1_3gpuE6ELNS1_3repE0EEENS1_30default_config_static_selectorELNS0_4arch9wavefront6targetE1EEEvS14_,"axG",@progbits,_ZN7rocprim17ROCPRIM_400000_NS6detail17trampoline_kernelINS0_14default_configENS1_22reduce_config_selectorIN6thrust23THRUST_200600_302600_NS5tupleIblNS6_9null_typeES8_S8_S8_S8_S8_S8_S8_EEEEZNS1_11reduce_implILb1ES3_NS6_12zip_iteratorINS7_INS6_11hip_rocprim26transform_input_iterator_tIbNSD_35transform_pair_of_input_iterators_tIbNS6_6detail15normal_iteratorINS6_10device_ptrIKiEEEESL_NS6_8equal_toIiEEEENSG_9not_fun_tINSD_8identityEEEEENSD_19counting_iterator_tIlEES8_S8_S8_S8_S8_S8_S8_S8_EEEEPS9_S9_NSD_9__find_if7functorIS9_EEEE10hipError_tPvRmT1_T2_T3_mT4_P12ihipStream_tbEUlT_E1_NS1_11comp_targetILNS1_3genE2ELNS1_11target_archE906ELNS1_3gpuE6ELNS1_3repE0EEENS1_30default_config_static_selectorELNS0_4arch9wavefront6targetE1EEEvS14_,comdat
	.protected	_ZN7rocprim17ROCPRIM_400000_NS6detail17trampoline_kernelINS0_14default_configENS1_22reduce_config_selectorIN6thrust23THRUST_200600_302600_NS5tupleIblNS6_9null_typeES8_S8_S8_S8_S8_S8_S8_EEEEZNS1_11reduce_implILb1ES3_NS6_12zip_iteratorINS7_INS6_11hip_rocprim26transform_input_iterator_tIbNSD_35transform_pair_of_input_iterators_tIbNS6_6detail15normal_iteratorINS6_10device_ptrIKiEEEESL_NS6_8equal_toIiEEEENSG_9not_fun_tINSD_8identityEEEEENSD_19counting_iterator_tIlEES8_S8_S8_S8_S8_S8_S8_S8_EEEEPS9_S9_NSD_9__find_if7functorIS9_EEEE10hipError_tPvRmT1_T2_T3_mT4_P12ihipStream_tbEUlT_E1_NS1_11comp_targetILNS1_3genE2ELNS1_11target_archE906ELNS1_3gpuE6ELNS1_3repE0EEENS1_30default_config_static_selectorELNS0_4arch9wavefront6targetE1EEEvS14_ ; -- Begin function _ZN7rocprim17ROCPRIM_400000_NS6detail17trampoline_kernelINS0_14default_configENS1_22reduce_config_selectorIN6thrust23THRUST_200600_302600_NS5tupleIblNS6_9null_typeES8_S8_S8_S8_S8_S8_S8_EEEEZNS1_11reduce_implILb1ES3_NS6_12zip_iteratorINS7_INS6_11hip_rocprim26transform_input_iterator_tIbNSD_35transform_pair_of_input_iterators_tIbNS6_6detail15normal_iteratorINS6_10device_ptrIKiEEEESL_NS6_8equal_toIiEEEENSG_9not_fun_tINSD_8identityEEEEENSD_19counting_iterator_tIlEES8_S8_S8_S8_S8_S8_S8_S8_EEEEPS9_S9_NSD_9__find_if7functorIS9_EEEE10hipError_tPvRmT1_T2_T3_mT4_P12ihipStream_tbEUlT_E1_NS1_11comp_targetILNS1_3genE2ELNS1_11target_archE906ELNS1_3gpuE6ELNS1_3repE0EEENS1_30default_config_static_selectorELNS0_4arch9wavefront6targetE1EEEvS14_
	.globl	_ZN7rocprim17ROCPRIM_400000_NS6detail17trampoline_kernelINS0_14default_configENS1_22reduce_config_selectorIN6thrust23THRUST_200600_302600_NS5tupleIblNS6_9null_typeES8_S8_S8_S8_S8_S8_S8_EEEEZNS1_11reduce_implILb1ES3_NS6_12zip_iteratorINS7_INS6_11hip_rocprim26transform_input_iterator_tIbNSD_35transform_pair_of_input_iterators_tIbNS6_6detail15normal_iteratorINS6_10device_ptrIKiEEEESL_NS6_8equal_toIiEEEENSG_9not_fun_tINSD_8identityEEEEENSD_19counting_iterator_tIlEES8_S8_S8_S8_S8_S8_S8_S8_EEEEPS9_S9_NSD_9__find_if7functorIS9_EEEE10hipError_tPvRmT1_T2_T3_mT4_P12ihipStream_tbEUlT_E1_NS1_11comp_targetILNS1_3genE2ELNS1_11target_archE906ELNS1_3gpuE6ELNS1_3repE0EEENS1_30default_config_static_selectorELNS0_4arch9wavefront6targetE1EEEvS14_
	.p2align	8
	.type	_ZN7rocprim17ROCPRIM_400000_NS6detail17trampoline_kernelINS0_14default_configENS1_22reduce_config_selectorIN6thrust23THRUST_200600_302600_NS5tupleIblNS6_9null_typeES8_S8_S8_S8_S8_S8_S8_EEEEZNS1_11reduce_implILb1ES3_NS6_12zip_iteratorINS7_INS6_11hip_rocprim26transform_input_iterator_tIbNSD_35transform_pair_of_input_iterators_tIbNS6_6detail15normal_iteratorINS6_10device_ptrIKiEEEESL_NS6_8equal_toIiEEEENSG_9not_fun_tINSD_8identityEEEEENSD_19counting_iterator_tIlEES8_S8_S8_S8_S8_S8_S8_S8_EEEEPS9_S9_NSD_9__find_if7functorIS9_EEEE10hipError_tPvRmT1_T2_T3_mT4_P12ihipStream_tbEUlT_E1_NS1_11comp_targetILNS1_3genE2ELNS1_11target_archE906ELNS1_3gpuE6ELNS1_3repE0EEENS1_30default_config_static_selectorELNS0_4arch9wavefront6targetE1EEEvS14_,@function
_ZN7rocprim17ROCPRIM_400000_NS6detail17trampoline_kernelINS0_14default_configENS1_22reduce_config_selectorIN6thrust23THRUST_200600_302600_NS5tupleIblNS6_9null_typeES8_S8_S8_S8_S8_S8_S8_EEEEZNS1_11reduce_implILb1ES3_NS6_12zip_iteratorINS7_INS6_11hip_rocprim26transform_input_iterator_tIbNSD_35transform_pair_of_input_iterators_tIbNS6_6detail15normal_iteratorINS6_10device_ptrIKiEEEESL_NS6_8equal_toIiEEEENSG_9not_fun_tINSD_8identityEEEEENSD_19counting_iterator_tIlEES8_S8_S8_S8_S8_S8_S8_S8_EEEEPS9_S9_NSD_9__find_if7functorIS9_EEEE10hipError_tPvRmT1_T2_T3_mT4_P12ihipStream_tbEUlT_E1_NS1_11comp_targetILNS1_3genE2ELNS1_11target_archE906ELNS1_3gpuE6ELNS1_3repE0EEENS1_30default_config_static_selectorELNS0_4arch9wavefront6targetE1EEEvS14_: ; @_ZN7rocprim17ROCPRIM_400000_NS6detail17trampoline_kernelINS0_14default_configENS1_22reduce_config_selectorIN6thrust23THRUST_200600_302600_NS5tupleIblNS6_9null_typeES8_S8_S8_S8_S8_S8_S8_EEEEZNS1_11reduce_implILb1ES3_NS6_12zip_iteratorINS7_INS6_11hip_rocprim26transform_input_iterator_tIbNSD_35transform_pair_of_input_iterators_tIbNS6_6detail15normal_iteratorINS6_10device_ptrIKiEEEESL_NS6_8equal_toIiEEEENSG_9not_fun_tINSD_8identityEEEEENSD_19counting_iterator_tIlEES8_S8_S8_S8_S8_S8_S8_S8_EEEEPS9_S9_NSD_9__find_if7functorIS9_EEEE10hipError_tPvRmT1_T2_T3_mT4_P12ihipStream_tbEUlT_E1_NS1_11comp_targetILNS1_3genE2ELNS1_11target_archE906ELNS1_3gpuE6ELNS1_3repE0EEENS1_30default_config_static_selectorELNS0_4arch9wavefront6targetE1EEEvS14_
; %bb.0:
	.section	.rodata,"a",@progbits
	.p2align	6, 0x0
	.amdhsa_kernel _ZN7rocprim17ROCPRIM_400000_NS6detail17trampoline_kernelINS0_14default_configENS1_22reduce_config_selectorIN6thrust23THRUST_200600_302600_NS5tupleIblNS6_9null_typeES8_S8_S8_S8_S8_S8_S8_EEEEZNS1_11reduce_implILb1ES3_NS6_12zip_iteratorINS7_INS6_11hip_rocprim26transform_input_iterator_tIbNSD_35transform_pair_of_input_iterators_tIbNS6_6detail15normal_iteratorINS6_10device_ptrIKiEEEESL_NS6_8equal_toIiEEEENSG_9not_fun_tINSD_8identityEEEEENSD_19counting_iterator_tIlEES8_S8_S8_S8_S8_S8_S8_S8_EEEEPS9_S9_NSD_9__find_if7functorIS9_EEEE10hipError_tPvRmT1_T2_T3_mT4_P12ihipStream_tbEUlT_E1_NS1_11comp_targetILNS1_3genE2ELNS1_11target_archE906ELNS1_3gpuE6ELNS1_3repE0EEENS1_30default_config_static_selectorELNS0_4arch9wavefront6targetE1EEEvS14_
		.amdhsa_group_segment_fixed_size 0
		.amdhsa_private_segment_fixed_size 0
		.amdhsa_kernarg_size 88
		.amdhsa_user_sgpr_count 6
		.amdhsa_user_sgpr_private_segment_buffer 1
		.amdhsa_user_sgpr_dispatch_ptr 0
		.amdhsa_user_sgpr_queue_ptr 0
		.amdhsa_user_sgpr_kernarg_segment_ptr 1
		.amdhsa_user_sgpr_dispatch_id 0
		.amdhsa_user_sgpr_flat_scratch_init 0
		.amdhsa_user_sgpr_kernarg_preload_length 0
		.amdhsa_user_sgpr_kernarg_preload_offset 0
		.amdhsa_user_sgpr_private_segment_size 0
		.amdhsa_uses_dynamic_stack 0
		.amdhsa_system_sgpr_private_segment_wavefront_offset 0
		.amdhsa_system_sgpr_workgroup_id_x 1
		.amdhsa_system_sgpr_workgroup_id_y 0
		.amdhsa_system_sgpr_workgroup_id_z 0
		.amdhsa_system_sgpr_workgroup_info 0
		.amdhsa_system_vgpr_workitem_id 0
		.amdhsa_next_free_vgpr 1
		.amdhsa_next_free_sgpr 0
		.amdhsa_accum_offset 4
		.amdhsa_reserve_vcc 0
		.amdhsa_reserve_flat_scratch 0
		.amdhsa_float_round_mode_32 0
		.amdhsa_float_round_mode_16_64 0
		.amdhsa_float_denorm_mode_32 3
		.amdhsa_float_denorm_mode_16_64 3
		.amdhsa_dx10_clamp 1
		.amdhsa_ieee_mode 1
		.amdhsa_fp16_overflow 0
		.amdhsa_tg_split 0
		.amdhsa_exception_fp_ieee_invalid_op 0
		.amdhsa_exception_fp_denorm_src 0
		.amdhsa_exception_fp_ieee_div_zero 0
		.amdhsa_exception_fp_ieee_overflow 0
		.amdhsa_exception_fp_ieee_underflow 0
		.amdhsa_exception_fp_ieee_inexact 0
		.amdhsa_exception_int_div_zero 0
	.end_amdhsa_kernel
	.section	.text._ZN7rocprim17ROCPRIM_400000_NS6detail17trampoline_kernelINS0_14default_configENS1_22reduce_config_selectorIN6thrust23THRUST_200600_302600_NS5tupleIblNS6_9null_typeES8_S8_S8_S8_S8_S8_S8_EEEEZNS1_11reduce_implILb1ES3_NS6_12zip_iteratorINS7_INS6_11hip_rocprim26transform_input_iterator_tIbNSD_35transform_pair_of_input_iterators_tIbNS6_6detail15normal_iteratorINS6_10device_ptrIKiEEEESL_NS6_8equal_toIiEEEENSG_9not_fun_tINSD_8identityEEEEENSD_19counting_iterator_tIlEES8_S8_S8_S8_S8_S8_S8_S8_EEEEPS9_S9_NSD_9__find_if7functorIS9_EEEE10hipError_tPvRmT1_T2_T3_mT4_P12ihipStream_tbEUlT_E1_NS1_11comp_targetILNS1_3genE2ELNS1_11target_archE906ELNS1_3gpuE6ELNS1_3repE0EEENS1_30default_config_static_selectorELNS0_4arch9wavefront6targetE1EEEvS14_,"axG",@progbits,_ZN7rocprim17ROCPRIM_400000_NS6detail17trampoline_kernelINS0_14default_configENS1_22reduce_config_selectorIN6thrust23THRUST_200600_302600_NS5tupleIblNS6_9null_typeES8_S8_S8_S8_S8_S8_S8_EEEEZNS1_11reduce_implILb1ES3_NS6_12zip_iteratorINS7_INS6_11hip_rocprim26transform_input_iterator_tIbNSD_35transform_pair_of_input_iterators_tIbNS6_6detail15normal_iteratorINS6_10device_ptrIKiEEEESL_NS6_8equal_toIiEEEENSG_9not_fun_tINSD_8identityEEEEENSD_19counting_iterator_tIlEES8_S8_S8_S8_S8_S8_S8_S8_EEEEPS9_S9_NSD_9__find_if7functorIS9_EEEE10hipError_tPvRmT1_T2_T3_mT4_P12ihipStream_tbEUlT_E1_NS1_11comp_targetILNS1_3genE2ELNS1_11target_archE906ELNS1_3gpuE6ELNS1_3repE0EEENS1_30default_config_static_selectorELNS0_4arch9wavefront6targetE1EEEvS14_,comdat
.Lfunc_end133:
	.size	_ZN7rocprim17ROCPRIM_400000_NS6detail17trampoline_kernelINS0_14default_configENS1_22reduce_config_selectorIN6thrust23THRUST_200600_302600_NS5tupleIblNS6_9null_typeES8_S8_S8_S8_S8_S8_S8_EEEEZNS1_11reduce_implILb1ES3_NS6_12zip_iteratorINS7_INS6_11hip_rocprim26transform_input_iterator_tIbNSD_35transform_pair_of_input_iterators_tIbNS6_6detail15normal_iteratorINS6_10device_ptrIKiEEEESL_NS6_8equal_toIiEEEENSG_9not_fun_tINSD_8identityEEEEENSD_19counting_iterator_tIlEES8_S8_S8_S8_S8_S8_S8_S8_EEEEPS9_S9_NSD_9__find_if7functorIS9_EEEE10hipError_tPvRmT1_T2_T3_mT4_P12ihipStream_tbEUlT_E1_NS1_11comp_targetILNS1_3genE2ELNS1_11target_archE906ELNS1_3gpuE6ELNS1_3repE0EEENS1_30default_config_static_selectorELNS0_4arch9wavefront6targetE1EEEvS14_, .Lfunc_end133-_ZN7rocprim17ROCPRIM_400000_NS6detail17trampoline_kernelINS0_14default_configENS1_22reduce_config_selectorIN6thrust23THRUST_200600_302600_NS5tupleIblNS6_9null_typeES8_S8_S8_S8_S8_S8_S8_EEEEZNS1_11reduce_implILb1ES3_NS6_12zip_iteratorINS7_INS6_11hip_rocprim26transform_input_iterator_tIbNSD_35transform_pair_of_input_iterators_tIbNS6_6detail15normal_iteratorINS6_10device_ptrIKiEEEESL_NS6_8equal_toIiEEEENSG_9not_fun_tINSD_8identityEEEEENSD_19counting_iterator_tIlEES8_S8_S8_S8_S8_S8_S8_S8_EEEEPS9_S9_NSD_9__find_if7functorIS9_EEEE10hipError_tPvRmT1_T2_T3_mT4_P12ihipStream_tbEUlT_E1_NS1_11comp_targetILNS1_3genE2ELNS1_11target_archE906ELNS1_3gpuE6ELNS1_3repE0EEENS1_30default_config_static_selectorELNS0_4arch9wavefront6targetE1EEEvS14_
                                        ; -- End function
	.section	.AMDGPU.csdata,"",@progbits
; Kernel info:
; codeLenInByte = 0
; NumSgprs: 4
; NumVgprs: 0
; NumAgprs: 0
; TotalNumVgprs: 0
; ScratchSize: 0
; MemoryBound: 0
; FloatMode: 240
; IeeeMode: 1
; LDSByteSize: 0 bytes/workgroup (compile time only)
; SGPRBlocks: 0
; VGPRBlocks: 0
; NumSGPRsForWavesPerEU: 4
; NumVGPRsForWavesPerEU: 1
; AccumOffset: 4
; Occupancy: 8
; WaveLimiterHint : 0
; COMPUTE_PGM_RSRC2:SCRATCH_EN: 0
; COMPUTE_PGM_RSRC2:USER_SGPR: 6
; COMPUTE_PGM_RSRC2:TRAP_HANDLER: 0
; COMPUTE_PGM_RSRC2:TGID_X_EN: 1
; COMPUTE_PGM_RSRC2:TGID_Y_EN: 0
; COMPUTE_PGM_RSRC2:TGID_Z_EN: 0
; COMPUTE_PGM_RSRC2:TIDIG_COMP_CNT: 0
; COMPUTE_PGM_RSRC3_GFX90A:ACCUM_OFFSET: 0
; COMPUTE_PGM_RSRC3_GFX90A:TG_SPLIT: 0
	.section	.text._ZN7rocprim17ROCPRIM_400000_NS6detail17trampoline_kernelINS0_14default_configENS1_22reduce_config_selectorIN6thrust23THRUST_200600_302600_NS5tupleIblNS6_9null_typeES8_S8_S8_S8_S8_S8_S8_EEEEZNS1_11reduce_implILb1ES3_NS6_12zip_iteratorINS7_INS6_11hip_rocprim26transform_input_iterator_tIbNSD_35transform_pair_of_input_iterators_tIbNS6_6detail15normal_iteratorINS6_10device_ptrIKiEEEESL_NS6_8equal_toIiEEEENSG_9not_fun_tINSD_8identityEEEEENSD_19counting_iterator_tIlEES8_S8_S8_S8_S8_S8_S8_S8_EEEEPS9_S9_NSD_9__find_if7functorIS9_EEEE10hipError_tPvRmT1_T2_T3_mT4_P12ihipStream_tbEUlT_E1_NS1_11comp_targetILNS1_3genE10ELNS1_11target_archE1201ELNS1_3gpuE5ELNS1_3repE0EEENS1_30default_config_static_selectorELNS0_4arch9wavefront6targetE1EEEvS14_,"axG",@progbits,_ZN7rocprim17ROCPRIM_400000_NS6detail17trampoline_kernelINS0_14default_configENS1_22reduce_config_selectorIN6thrust23THRUST_200600_302600_NS5tupleIblNS6_9null_typeES8_S8_S8_S8_S8_S8_S8_EEEEZNS1_11reduce_implILb1ES3_NS6_12zip_iteratorINS7_INS6_11hip_rocprim26transform_input_iterator_tIbNSD_35transform_pair_of_input_iterators_tIbNS6_6detail15normal_iteratorINS6_10device_ptrIKiEEEESL_NS6_8equal_toIiEEEENSG_9not_fun_tINSD_8identityEEEEENSD_19counting_iterator_tIlEES8_S8_S8_S8_S8_S8_S8_S8_EEEEPS9_S9_NSD_9__find_if7functorIS9_EEEE10hipError_tPvRmT1_T2_T3_mT4_P12ihipStream_tbEUlT_E1_NS1_11comp_targetILNS1_3genE10ELNS1_11target_archE1201ELNS1_3gpuE5ELNS1_3repE0EEENS1_30default_config_static_selectorELNS0_4arch9wavefront6targetE1EEEvS14_,comdat
	.protected	_ZN7rocprim17ROCPRIM_400000_NS6detail17trampoline_kernelINS0_14default_configENS1_22reduce_config_selectorIN6thrust23THRUST_200600_302600_NS5tupleIblNS6_9null_typeES8_S8_S8_S8_S8_S8_S8_EEEEZNS1_11reduce_implILb1ES3_NS6_12zip_iteratorINS7_INS6_11hip_rocprim26transform_input_iterator_tIbNSD_35transform_pair_of_input_iterators_tIbNS6_6detail15normal_iteratorINS6_10device_ptrIKiEEEESL_NS6_8equal_toIiEEEENSG_9not_fun_tINSD_8identityEEEEENSD_19counting_iterator_tIlEES8_S8_S8_S8_S8_S8_S8_S8_EEEEPS9_S9_NSD_9__find_if7functorIS9_EEEE10hipError_tPvRmT1_T2_T3_mT4_P12ihipStream_tbEUlT_E1_NS1_11comp_targetILNS1_3genE10ELNS1_11target_archE1201ELNS1_3gpuE5ELNS1_3repE0EEENS1_30default_config_static_selectorELNS0_4arch9wavefront6targetE1EEEvS14_ ; -- Begin function _ZN7rocprim17ROCPRIM_400000_NS6detail17trampoline_kernelINS0_14default_configENS1_22reduce_config_selectorIN6thrust23THRUST_200600_302600_NS5tupleIblNS6_9null_typeES8_S8_S8_S8_S8_S8_S8_EEEEZNS1_11reduce_implILb1ES3_NS6_12zip_iteratorINS7_INS6_11hip_rocprim26transform_input_iterator_tIbNSD_35transform_pair_of_input_iterators_tIbNS6_6detail15normal_iteratorINS6_10device_ptrIKiEEEESL_NS6_8equal_toIiEEEENSG_9not_fun_tINSD_8identityEEEEENSD_19counting_iterator_tIlEES8_S8_S8_S8_S8_S8_S8_S8_EEEEPS9_S9_NSD_9__find_if7functorIS9_EEEE10hipError_tPvRmT1_T2_T3_mT4_P12ihipStream_tbEUlT_E1_NS1_11comp_targetILNS1_3genE10ELNS1_11target_archE1201ELNS1_3gpuE5ELNS1_3repE0EEENS1_30default_config_static_selectorELNS0_4arch9wavefront6targetE1EEEvS14_
	.globl	_ZN7rocprim17ROCPRIM_400000_NS6detail17trampoline_kernelINS0_14default_configENS1_22reduce_config_selectorIN6thrust23THRUST_200600_302600_NS5tupleIblNS6_9null_typeES8_S8_S8_S8_S8_S8_S8_EEEEZNS1_11reduce_implILb1ES3_NS6_12zip_iteratorINS7_INS6_11hip_rocprim26transform_input_iterator_tIbNSD_35transform_pair_of_input_iterators_tIbNS6_6detail15normal_iteratorINS6_10device_ptrIKiEEEESL_NS6_8equal_toIiEEEENSG_9not_fun_tINSD_8identityEEEEENSD_19counting_iterator_tIlEES8_S8_S8_S8_S8_S8_S8_S8_EEEEPS9_S9_NSD_9__find_if7functorIS9_EEEE10hipError_tPvRmT1_T2_T3_mT4_P12ihipStream_tbEUlT_E1_NS1_11comp_targetILNS1_3genE10ELNS1_11target_archE1201ELNS1_3gpuE5ELNS1_3repE0EEENS1_30default_config_static_selectorELNS0_4arch9wavefront6targetE1EEEvS14_
	.p2align	8
	.type	_ZN7rocprim17ROCPRIM_400000_NS6detail17trampoline_kernelINS0_14default_configENS1_22reduce_config_selectorIN6thrust23THRUST_200600_302600_NS5tupleIblNS6_9null_typeES8_S8_S8_S8_S8_S8_S8_EEEEZNS1_11reduce_implILb1ES3_NS6_12zip_iteratorINS7_INS6_11hip_rocprim26transform_input_iterator_tIbNSD_35transform_pair_of_input_iterators_tIbNS6_6detail15normal_iteratorINS6_10device_ptrIKiEEEESL_NS6_8equal_toIiEEEENSG_9not_fun_tINSD_8identityEEEEENSD_19counting_iterator_tIlEES8_S8_S8_S8_S8_S8_S8_S8_EEEEPS9_S9_NSD_9__find_if7functorIS9_EEEE10hipError_tPvRmT1_T2_T3_mT4_P12ihipStream_tbEUlT_E1_NS1_11comp_targetILNS1_3genE10ELNS1_11target_archE1201ELNS1_3gpuE5ELNS1_3repE0EEENS1_30default_config_static_selectorELNS0_4arch9wavefront6targetE1EEEvS14_,@function
_ZN7rocprim17ROCPRIM_400000_NS6detail17trampoline_kernelINS0_14default_configENS1_22reduce_config_selectorIN6thrust23THRUST_200600_302600_NS5tupleIblNS6_9null_typeES8_S8_S8_S8_S8_S8_S8_EEEEZNS1_11reduce_implILb1ES3_NS6_12zip_iteratorINS7_INS6_11hip_rocprim26transform_input_iterator_tIbNSD_35transform_pair_of_input_iterators_tIbNS6_6detail15normal_iteratorINS6_10device_ptrIKiEEEESL_NS6_8equal_toIiEEEENSG_9not_fun_tINSD_8identityEEEEENSD_19counting_iterator_tIlEES8_S8_S8_S8_S8_S8_S8_S8_EEEEPS9_S9_NSD_9__find_if7functorIS9_EEEE10hipError_tPvRmT1_T2_T3_mT4_P12ihipStream_tbEUlT_E1_NS1_11comp_targetILNS1_3genE10ELNS1_11target_archE1201ELNS1_3gpuE5ELNS1_3repE0EEENS1_30default_config_static_selectorELNS0_4arch9wavefront6targetE1EEEvS14_: ; @_ZN7rocprim17ROCPRIM_400000_NS6detail17trampoline_kernelINS0_14default_configENS1_22reduce_config_selectorIN6thrust23THRUST_200600_302600_NS5tupleIblNS6_9null_typeES8_S8_S8_S8_S8_S8_S8_EEEEZNS1_11reduce_implILb1ES3_NS6_12zip_iteratorINS7_INS6_11hip_rocprim26transform_input_iterator_tIbNSD_35transform_pair_of_input_iterators_tIbNS6_6detail15normal_iteratorINS6_10device_ptrIKiEEEESL_NS6_8equal_toIiEEEENSG_9not_fun_tINSD_8identityEEEEENSD_19counting_iterator_tIlEES8_S8_S8_S8_S8_S8_S8_S8_EEEEPS9_S9_NSD_9__find_if7functorIS9_EEEE10hipError_tPvRmT1_T2_T3_mT4_P12ihipStream_tbEUlT_E1_NS1_11comp_targetILNS1_3genE10ELNS1_11target_archE1201ELNS1_3gpuE5ELNS1_3repE0EEENS1_30default_config_static_selectorELNS0_4arch9wavefront6targetE1EEEvS14_
; %bb.0:
	.section	.rodata,"a",@progbits
	.p2align	6, 0x0
	.amdhsa_kernel _ZN7rocprim17ROCPRIM_400000_NS6detail17trampoline_kernelINS0_14default_configENS1_22reduce_config_selectorIN6thrust23THRUST_200600_302600_NS5tupleIblNS6_9null_typeES8_S8_S8_S8_S8_S8_S8_EEEEZNS1_11reduce_implILb1ES3_NS6_12zip_iteratorINS7_INS6_11hip_rocprim26transform_input_iterator_tIbNSD_35transform_pair_of_input_iterators_tIbNS6_6detail15normal_iteratorINS6_10device_ptrIKiEEEESL_NS6_8equal_toIiEEEENSG_9not_fun_tINSD_8identityEEEEENSD_19counting_iterator_tIlEES8_S8_S8_S8_S8_S8_S8_S8_EEEEPS9_S9_NSD_9__find_if7functorIS9_EEEE10hipError_tPvRmT1_T2_T3_mT4_P12ihipStream_tbEUlT_E1_NS1_11comp_targetILNS1_3genE10ELNS1_11target_archE1201ELNS1_3gpuE5ELNS1_3repE0EEENS1_30default_config_static_selectorELNS0_4arch9wavefront6targetE1EEEvS14_
		.amdhsa_group_segment_fixed_size 0
		.amdhsa_private_segment_fixed_size 0
		.amdhsa_kernarg_size 88
		.amdhsa_user_sgpr_count 6
		.amdhsa_user_sgpr_private_segment_buffer 1
		.amdhsa_user_sgpr_dispatch_ptr 0
		.amdhsa_user_sgpr_queue_ptr 0
		.amdhsa_user_sgpr_kernarg_segment_ptr 1
		.amdhsa_user_sgpr_dispatch_id 0
		.amdhsa_user_sgpr_flat_scratch_init 0
		.amdhsa_user_sgpr_kernarg_preload_length 0
		.amdhsa_user_sgpr_kernarg_preload_offset 0
		.amdhsa_user_sgpr_private_segment_size 0
		.amdhsa_uses_dynamic_stack 0
		.amdhsa_system_sgpr_private_segment_wavefront_offset 0
		.amdhsa_system_sgpr_workgroup_id_x 1
		.amdhsa_system_sgpr_workgroup_id_y 0
		.amdhsa_system_sgpr_workgroup_id_z 0
		.amdhsa_system_sgpr_workgroup_info 0
		.amdhsa_system_vgpr_workitem_id 0
		.amdhsa_next_free_vgpr 1
		.amdhsa_next_free_sgpr 0
		.amdhsa_accum_offset 4
		.amdhsa_reserve_vcc 0
		.amdhsa_reserve_flat_scratch 0
		.amdhsa_float_round_mode_32 0
		.amdhsa_float_round_mode_16_64 0
		.amdhsa_float_denorm_mode_32 3
		.amdhsa_float_denorm_mode_16_64 3
		.amdhsa_dx10_clamp 1
		.amdhsa_ieee_mode 1
		.amdhsa_fp16_overflow 0
		.amdhsa_tg_split 0
		.amdhsa_exception_fp_ieee_invalid_op 0
		.amdhsa_exception_fp_denorm_src 0
		.amdhsa_exception_fp_ieee_div_zero 0
		.amdhsa_exception_fp_ieee_overflow 0
		.amdhsa_exception_fp_ieee_underflow 0
		.amdhsa_exception_fp_ieee_inexact 0
		.amdhsa_exception_int_div_zero 0
	.end_amdhsa_kernel
	.section	.text._ZN7rocprim17ROCPRIM_400000_NS6detail17trampoline_kernelINS0_14default_configENS1_22reduce_config_selectorIN6thrust23THRUST_200600_302600_NS5tupleIblNS6_9null_typeES8_S8_S8_S8_S8_S8_S8_EEEEZNS1_11reduce_implILb1ES3_NS6_12zip_iteratorINS7_INS6_11hip_rocprim26transform_input_iterator_tIbNSD_35transform_pair_of_input_iterators_tIbNS6_6detail15normal_iteratorINS6_10device_ptrIKiEEEESL_NS6_8equal_toIiEEEENSG_9not_fun_tINSD_8identityEEEEENSD_19counting_iterator_tIlEES8_S8_S8_S8_S8_S8_S8_S8_EEEEPS9_S9_NSD_9__find_if7functorIS9_EEEE10hipError_tPvRmT1_T2_T3_mT4_P12ihipStream_tbEUlT_E1_NS1_11comp_targetILNS1_3genE10ELNS1_11target_archE1201ELNS1_3gpuE5ELNS1_3repE0EEENS1_30default_config_static_selectorELNS0_4arch9wavefront6targetE1EEEvS14_,"axG",@progbits,_ZN7rocprim17ROCPRIM_400000_NS6detail17trampoline_kernelINS0_14default_configENS1_22reduce_config_selectorIN6thrust23THRUST_200600_302600_NS5tupleIblNS6_9null_typeES8_S8_S8_S8_S8_S8_S8_EEEEZNS1_11reduce_implILb1ES3_NS6_12zip_iteratorINS7_INS6_11hip_rocprim26transform_input_iterator_tIbNSD_35transform_pair_of_input_iterators_tIbNS6_6detail15normal_iteratorINS6_10device_ptrIKiEEEESL_NS6_8equal_toIiEEEENSG_9not_fun_tINSD_8identityEEEEENSD_19counting_iterator_tIlEES8_S8_S8_S8_S8_S8_S8_S8_EEEEPS9_S9_NSD_9__find_if7functorIS9_EEEE10hipError_tPvRmT1_T2_T3_mT4_P12ihipStream_tbEUlT_E1_NS1_11comp_targetILNS1_3genE10ELNS1_11target_archE1201ELNS1_3gpuE5ELNS1_3repE0EEENS1_30default_config_static_selectorELNS0_4arch9wavefront6targetE1EEEvS14_,comdat
.Lfunc_end134:
	.size	_ZN7rocprim17ROCPRIM_400000_NS6detail17trampoline_kernelINS0_14default_configENS1_22reduce_config_selectorIN6thrust23THRUST_200600_302600_NS5tupleIblNS6_9null_typeES8_S8_S8_S8_S8_S8_S8_EEEEZNS1_11reduce_implILb1ES3_NS6_12zip_iteratorINS7_INS6_11hip_rocprim26transform_input_iterator_tIbNSD_35transform_pair_of_input_iterators_tIbNS6_6detail15normal_iteratorINS6_10device_ptrIKiEEEESL_NS6_8equal_toIiEEEENSG_9not_fun_tINSD_8identityEEEEENSD_19counting_iterator_tIlEES8_S8_S8_S8_S8_S8_S8_S8_EEEEPS9_S9_NSD_9__find_if7functorIS9_EEEE10hipError_tPvRmT1_T2_T3_mT4_P12ihipStream_tbEUlT_E1_NS1_11comp_targetILNS1_3genE10ELNS1_11target_archE1201ELNS1_3gpuE5ELNS1_3repE0EEENS1_30default_config_static_selectorELNS0_4arch9wavefront6targetE1EEEvS14_, .Lfunc_end134-_ZN7rocprim17ROCPRIM_400000_NS6detail17trampoline_kernelINS0_14default_configENS1_22reduce_config_selectorIN6thrust23THRUST_200600_302600_NS5tupleIblNS6_9null_typeES8_S8_S8_S8_S8_S8_S8_EEEEZNS1_11reduce_implILb1ES3_NS6_12zip_iteratorINS7_INS6_11hip_rocprim26transform_input_iterator_tIbNSD_35transform_pair_of_input_iterators_tIbNS6_6detail15normal_iteratorINS6_10device_ptrIKiEEEESL_NS6_8equal_toIiEEEENSG_9not_fun_tINSD_8identityEEEEENSD_19counting_iterator_tIlEES8_S8_S8_S8_S8_S8_S8_S8_EEEEPS9_S9_NSD_9__find_if7functorIS9_EEEE10hipError_tPvRmT1_T2_T3_mT4_P12ihipStream_tbEUlT_E1_NS1_11comp_targetILNS1_3genE10ELNS1_11target_archE1201ELNS1_3gpuE5ELNS1_3repE0EEENS1_30default_config_static_selectorELNS0_4arch9wavefront6targetE1EEEvS14_
                                        ; -- End function
	.section	.AMDGPU.csdata,"",@progbits
; Kernel info:
; codeLenInByte = 0
; NumSgprs: 4
; NumVgprs: 0
; NumAgprs: 0
; TotalNumVgprs: 0
; ScratchSize: 0
; MemoryBound: 0
; FloatMode: 240
; IeeeMode: 1
; LDSByteSize: 0 bytes/workgroup (compile time only)
; SGPRBlocks: 0
; VGPRBlocks: 0
; NumSGPRsForWavesPerEU: 4
; NumVGPRsForWavesPerEU: 1
; AccumOffset: 4
; Occupancy: 8
; WaveLimiterHint : 0
; COMPUTE_PGM_RSRC2:SCRATCH_EN: 0
; COMPUTE_PGM_RSRC2:USER_SGPR: 6
; COMPUTE_PGM_RSRC2:TRAP_HANDLER: 0
; COMPUTE_PGM_RSRC2:TGID_X_EN: 1
; COMPUTE_PGM_RSRC2:TGID_Y_EN: 0
; COMPUTE_PGM_RSRC2:TGID_Z_EN: 0
; COMPUTE_PGM_RSRC2:TIDIG_COMP_CNT: 0
; COMPUTE_PGM_RSRC3_GFX90A:ACCUM_OFFSET: 0
; COMPUTE_PGM_RSRC3_GFX90A:TG_SPLIT: 0
	.section	.text._ZN7rocprim17ROCPRIM_400000_NS6detail17trampoline_kernelINS0_14default_configENS1_22reduce_config_selectorIN6thrust23THRUST_200600_302600_NS5tupleIblNS6_9null_typeES8_S8_S8_S8_S8_S8_S8_EEEEZNS1_11reduce_implILb1ES3_NS6_12zip_iteratorINS7_INS6_11hip_rocprim26transform_input_iterator_tIbNSD_35transform_pair_of_input_iterators_tIbNS6_6detail15normal_iteratorINS6_10device_ptrIKiEEEESL_NS6_8equal_toIiEEEENSG_9not_fun_tINSD_8identityEEEEENSD_19counting_iterator_tIlEES8_S8_S8_S8_S8_S8_S8_S8_EEEEPS9_S9_NSD_9__find_if7functorIS9_EEEE10hipError_tPvRmT1_T2_T3_mT4_P12ihipStream_tbEUlT_E1_NS1_11comp_targetILNS1_3genE10ELNS1_11target_archE1200ELNS1_3gpuE4ELNS1_3repE0EEENS1_30default_config_static_selectorELNS0_4arch9wavefront6targetE1EEEvS14_,"axG",@progbits,_ZN7rocprim17ROCPRIM_400000_NS6detail17trampoline_kernelINS0_14default_configENS1_22reduce_config_selectorIN6thrust23THRUST_200600_302600_NS5tupleIblNS6_9null_typeES8_S8_S8_S8_S8_S8_S8_EEEEZNS1_11reduce_implILb1ES3_NS6_12zip_iteratorINS7_INS6_11hip_rocprim26transform_input_iterator_tIbNSD_35transform_pair_of_input_iterators_tIbNS6_6detail15normal_iteratorINS6_10device_ptrIKiEEEESL_NS6_8equal_toIiEEEENSG_9not_fun_tINSD_8identityEEEEENSD_19counting_iterator_tIlEES8_S8_S8_S8_S8_S8_S8_S8_EEEEPS9_S9_NSD_9__find_if7functorIS9_EEEE10hipError_tPvRmT1_T2_T3_mT4_P12ihipStream_tbEUlT_E1_NS1_11comp_targetILNS1_3genE10ELNS1_11target_archE1200ELNS1_3gpuE4ELNS1_3repE0EEENS1_30default_config_static_selectorELNS0_4arch9wavefront6targetE1EEEvS14_,comdat
	.protected	_ZN7rocprim17ROCPRIM_400000_NS6detail17trampoline_kernelINS0_14default_configENS1_22reduce_config_selectorIN6thrust23THRUST_200600_302600_NS5tupleIblNS6_9null_typeES8_S8_S8_S8_S8_S8_S8_EEEEZNS1_11reduce_implILb1ES3_NS6_12zip_iteratorINS7_INS6_11hip_rocprim26transform_input_iterator_tIbNSD_35transform_pair_of_input_iterators_tIbNS6_6detail15normal_iteratorINS6_10device_ptrIKiEEEESL_NS6_8equal_toIiEEEENSG_9not_fun_tINSD_8identityEEEEENSD_19counting_iterator_tIlEES8_S8_S8_S8_S8_S8_S8_S8_EEEEPS9_S9_NSD_9__find_if7functorIS9_EEEE10hipError_tPvRmT1_T2_T3_mT4_P12ihipStream_tbEUlT_E1_NS1_11comp_targetILNS1_3genE10ELNS1_11target_archE1200ELNS1_3gpuE4ELNS1_3repE0EEENS1_30default_config_static_selectorELNS0_4arch9wavefront6targetE1EEEvS14_ ; -- Begin function _ZN7rocprim17ROCPRIM_400000_NS6detail17trampoline_kernelINS0_14default_configENS1_22reduce_config_selectorIN6thrust23THRUST_200600_302600_NS5tupleIblNS6_9null_typeES8_S8_S8_S8_S8_S8_S8_EEEEZNS1_11reduce_implILb1ES3_NS6_12zip_iteratorINS7_INS6_11hip_rocprim26transform_input_iterator_tIbNSD_35transform_pair_of_input_iterators_tIbNS6_6detail15normal_iteratorINS6_10device_ptrIKiEEEESL_NS6_8equal_toIiEEEENSG_9not_fun_tINSD_8identityEEEEENSD_19counting_iterator_tIlEES8_S8_S8_S8_S8_S8_S8_S8_EEEEPS9_S9_NSD_9__find_if7functorIS9_EEEE10hipError_tPvRmT1_T2_T3_mT4_P12ihipStream_tbEUlT_E1_NS1_11comp_targetILNS1_3genE10ELNS1_11target_archE1200ELNS1_3gpuE4ELNS1_3repE0EEENS1_30default_config_static_selectorELNS0_4arch9wavefront6targetE1EEEvS14_
	.globl	_ZN7rocprim17ROCPRIM_400000_NS6detail17trampoline_kernelINS0_14default_configENS1_22reduce_config_selectorIN6thrust23THRUST_200600_302600_NS5tupleIblNS6_9null_typeES8_S8_S8_S8_S8_S8_S8_EEEEZNS1_11reduce_implILb1ES3_NS6_12zip_iteratorINS7_INS6_11hip_rocprim26transform_input_iterator_tIbNSD_35transform_pair_of_input_iterators_tIbNS6_6detail15normal_iteratorINS6_10device_ptrIKiEEEESL_NS6_8equal_toIiEEEENSG_9not_fun_tINSD_8identityEEEEENSD_19counting_iterator_tIlEES8_S8_S8_S8_S8_S8_S8_S8_EEEEPS9_S9_NSD_9__find_if7functorIS9_EEEE10hipError_tPvRmT1_T2_T3_mT4_P12ihipStream_tbEUlT_E1_NS1_11comp_targetILNS1_3genE10ELNS1_11target_archE1200ELNS1_3gpuE4ELNS1_3repE0EEENS1_30default_config_static_selectorELNS0_4arch9wavefront6targetE1EEEvS14_
	.p2align	8
	.type	_ZN7rocprim17ROCPRIM_400000_NS6detail17trampoline_kernelINS0_14default_configENS1_22reduce_config_selectorIN6thrust23THRUST_200600_302600_NS5tupleIblNS6_9null_typeES8_S8_S8_S8_S8_S8_S8_EEEEZNS1_11reduce_implILb1ES3_NS6_12zip_iteratorINS7_INS6_11hip_rocprim26transform_input_iterator_tIbNSD_35transform_pair_of_input_iterators_tIbNS6_6detail15normal_iteratorINS6_10device_ptrIKiEEEESL_NS6_8equal_toIiEEEENSG_9not_fun_tINSD_8identityEEEEENSD_19counting_iterator_tIlEES8_S8_S8_S8_S8_S8_S8_S8_EEEEPS9_S9_NSD_9__find_if7functorIS9_EEEE10hipError_tPvRmT1_T2_T3_mT4_P12ihipStream_tbEUlT_E1_NS1_11comp_targetILNS1_3genE10ELNS1_11target_archE1200ELNS1_3gpuE4ELNS1_3repE0EEENS1_30default_config_static_selectorELNS0_4arch9wavefront6targetE1EEEvS14_,@function
_ZN7rocprim17ROCPRIM_400000_NS6detail17trampoline_kernelINS0_14default_configENS1_22reduce_config_selectorIN6thrust23THRUST_200600_302600_NS5tupleIblNS6_9null_typeES8_S8_S8_S8_S8_S8_S8_EEEEZNS1_11reduce_implILb1ES3_NS6_12zip_iteratorINS7_INS6_11hip_rocprim26transform_input_iterator_tIbNSD_35transform_pair_of_input_iterators_tIbNS6_6detail15normal_iteratorINS6_10device_ptrIKiEEEESL_NS6_8equal_toIiEEEENSG_9not_fun_tINSD_8identityEEEEENSD_19counting_iterator_tIlEES8_S8_S8_S8_S8_S8_S8_S8_EEEEPS9_S9_NSD_9__find_if7functorIS9_EEEE10hipError_tPvRmT1_T2_T3_mT4_P12ihipStream_tbEUlT_E1_NS1_11comp_targetILNS1_3genE10ELNS1_11target_archE1200ELNS1_3gpuE4ELNS1_3repE0EEENS1_30default_config_static_selectorELNS0_4arch9wavefront6targetE1EEEvS14_: ; @_ZN7rocprim17ROCPRIM_400000_NS6detail17trampoline_kernelINS0_14default_configENS1_22reduce_config_selectorIN6thrust23THRUST_200600_302600_NS5tupleIblNS6_9null_typeES8_S8_S8_S8_S8_S8_S8_EEEEZNS1_11reduce_implILb1ES3_NS6_12zip_iteratorINS7_INS6_11hip_rocprim26transform_input_iterator_tIbNSD_35transform_pair_of_input_iterators_tIbNS6_6detail15normal_iteratorINS6_10device_ptrIKiEEEESL_NS6_8equal_toIiEEEENSG_9not_fun_tINSD_8identityEEEEENSD_19counting_iterator_tIlEES8_S8_S8_S8_S8_S8_S8_S8_EEEEPS9_S9_NSD_9__find_if7functorIS9_EEEE10hipError_tPvRmT1_T2_T3_mT4_P12ihipStream_tbEUlT_E1_NS1_11comp_targetILNS1_3genE10ELNS1_11target_archE1200ELNS1_3gpuE4ELNS1_3repE0EEENS1_30default_config_static_selectorELNS0_4arch9wavefront6targetE1EEEvS14_
; %bb.0:
	.section	.rodata,"a",@progbits
	.p2align	6, 0x0
	.amdhsa_kernel _ZN7rocprim17ROCPRIM_400000_NS6detail17trampoline_kernelINS0_14default_configENS1_22reduce_config_selectorIN6thrust23THRUST_200600_302600_NS5tupleIblNS6_9null_typeES8_S8_S8_S8_S8_S8_S8_EEEEZNS1_11reduce_implILb1ES3_NS6_12zip_iteratorINS7_INS6_11hip_rocprim26transform_input_iterator_tIbNSD_35transform_pair_of_input_iterators_tIbNS6_6detail15normal_iteratorINS6_10device_ptrIKiEEEESL_NS6_8equal_toIiEEEENSG_9not_fun_tINSD_8identityEEEEENSD_19counting_iterator_tIlEES8_S8_S8_S8_S8_S8_S8_S8_EEEEPS9_S9_NSD_9__find_if7functorIS9_EEEE10hipError_tPvRmT1_T2_T3_mT4_P12ihipStream_tbEUlT_E1_NS1_11comp_targetILNS1_3genE10ELNS1_11target_archE1200ELNS1_3gpuE4ELNS1_3repE0EEENS1_30default_config_static_selectorELNS0_4arch9wavefront6targetE1EEEvS14_
		.amdhsa_group_segment_fixed_size 0
		.amdhsa_private_segment_fixed_size 0
		.amdhsa_kernarg_size 88
		.amdhsa_user_sgpr_count 6
		.amdhsa_user_sgpr_private_segment_buffer 1
		.amdhsa_user_sgpr_dispatch_ptr 0
		.amdhsa_user_sgpr_queue_ptr 0
		.amdhsa_user_sgpr_kernarg_segment_ptr 1
		.amdhsa_user_sgpr_dispatch_id 0
		.amdhsa_user_sgpr_flat_scratch_init 0
		.amdhsa_user_sgpr_kernarg_preload_length 0
		.amdhsa_user_sgpr_kernarg_preload_offset 0
		.amdhsa_user_sgpr_private_segment_size 0
		.amdhsa_uses_dynamic_stack 0
		.amdhsa_system_sgpr_private_segment_wavefront_offset 0
		.amdhsa_system_sgpr_workgroup_id_x 1
		.amdhsa_system_sgpr_workgroup_id_y 0
		.amdhsa_system_sgpr_workgroup_id_z 0
		.amdhsa_system_sgpr_workgroup_info 0
		.amdhsa_system_vgpr_workitem_id 0
		.amdhsa_next_free_vgpr 1
		.amdhsa_next_free_sgpr 0
		.amdhsa_accum_offset 4
		.amdhsa_reserve_vcc 0
		.amdhsa_reserve_flat_scratch 0
		.amdhsa_float_round_mode_32 0
		.amdhsa_float_round_mode_16_64 0
		.amdhsa_float_denorm_mode_32 3
		.amdhsa_float_denorm_mode_16_64 3
		.amdhsa_dx10_clamp 1
		.amdhsa_ieee_mode 1
		.amdhsa_fp16_overflow 0
		.amdhsa_tg_split 0
		.amdhsa_exception_fp_ieee_invalid_op 0
		.amdhsa_exception_fp_denorm_src 0
		.amdhsa_exception_fp_ieee_div_zero 0
		.amdhsa_exception_fp_ieee_overflow 0
		.amdhsa_exception_fp_ieee_underflow 0
		.amdhsa_exception_fp_ieee_inexact 0
		.amdhsa_exception_int_div_zero 0
	.end_amdhsa_kernel
	.section	.text._ZN7rocprim17ROCPRIM_400000_NS6detail17trampoline_kernelINS0_14default_configENS1_22reduce_config_selectorIN6thrust23THRUST_200600_302600_NS5tupleIblNS6_9null_typeES8_S8_S8_S8_S8_S8_S8_EEEEZNS1_11reduce_implILb1ES3_NS6_12zip_iteratorINS7_INS6_11hip_rocprim26transform_input_iterator_tIbNSD_35transform_pair_of_input_iterators_tIbNS6_6detail15normal_iteratorINS6_10device_ptrIKiEEEESL_NS6_8equal_toIiEEEENSG_9not_fun_tINSD_8identityEEEEENSD_19counting_iterator_tIlEES8_S8_S8_S8_S8_S8_S8_S8_EEEEPS9_S9_NSD_9__find_if7functorIS9_EEEE10hipError_tPvRmT1_T2_T3_mT4_P12ihipStream_tbEUlT_E1_NS1_11comp_targetILNS1_3genE10ELNS1_11target_archE1200ELNS1_3gpuE4ELNS1_3repE0EEENS1_30default_config_static_selectorELNS0_4arch9wavefront6targetE1EEEvS14_,"axG",@progbits,_ZN7rocprim17ROCPRIM_400000_NS6detail17trampoline_kernelINS0_14default_configENS1_22reduce_config_selectorIN6thrust23THRUST_200600_302600_NS5tupleIblNS6_9null_typeES8_S8_S8_S8_S8_S8_S8_EEEEZNS1_11reduce_implILb1ES3_NS6_12zip_iteratorINS7_INS6_11hip_rocprim26transform_input_iterator_tIbNSD_35transform_pair_of_input_iterators_tIbNS6_6detail15normal_iteratorINS6_10device_ptrIKiEEEESL_NS6_8equal_toIiEEEENSG_9not_fun_tINSD_8identityEEEEENSD_19counting_iterator_tIlEES8_S8_S8_S8_S8_S8_S8_S8_EEEEPS9_S9_NSD_9__find_if7functorIS9_EEEE10hipError_tPvRmT1_T2_T3_mT4_P12ihipStream_tbEUlT_E1_NS1_11comp_targetILNS1_3genE10ELNS1_11target_archE1200ELNS1_3gpuE4ELNS1_3repE0EEENS1_30default_config_static_selectorELNS0_4arch9wavefront6targetE1EEEvS14_,comdat
.Lfunc_end135:
	.size	_ZN7rocprim17ROCPRIM_400000_NS6detail17trampoline_kernelINS0_14default_configENS1_22reduce_config_selectorIN6thrust23THRUST_200600_302600_NS5tupleIblNS6_9null_typeES8_S8_S8_S8_S8_S8_S8_EEEEZNS1_11reduce_implILb1ES3_NS6_12zip_iteratorINS7_INS6_11hip_rocprim26transform_input_iterator_tIbNSD_35transform_pair_of_input_iterators_tIbNS6_6detail15normal_iteratorINS6_10device_ptrIKiEEEESL_NS6_8equal_toIiEEEENSG_9not_fun_tINSD_8identityEEEEENSD_19counting_iterator_tIlEES8_S8_S8_S8_S8_S8_S8_S8_EEEEPS9_S9_NSD_9__find_if7functorIS9_EEEE10hipError_tPvRmT1_T2_T3_mT4_P12ihipStream_tbEUlT_E1_NS1_11comp_targetILNS1_3genE10ELNS1_11target_archE1200ELNS1_3gpuE4ELNS1_3repE0EEENS1_30default_config_static_selectorELNS0_4arch9wavefront6targetE1EEEvS14_, .Lfunc_end135-_ZN7rocprim17ROCPRIM_400000_NS6detail17trampoline_kernelINS0_14default_configENS1_22reduce_config_selectorIN6thrust23THRUST_200600_302600_NS5tupleIblNS6_9null_typeES8_S8_S8_S8_S8_S8_S8_EEEEZNS1_11reduce_implILb1ES3_NS6_12zip_iteratorINS7_INS6_11hip_rocprim26transform_input_iterator_tIbNSD_35transform_pair_of_input_iterators_tIbNS6_6detail15normal_iteratorINS6_10device_ptrIKiEEEESL_NS6_8equal_toIiEEEENSG_9not_fun_tINSD_8identityEEEEENSD_19counting_iterator_tIlEES8_S8_S8_S8_S8_S8_S8_S8_EEEEPS9_S9_NSD_9__find_if7functorIS9_EEEE10hipError_tPvRmT1_T2_T3_mT4_P12ihipStream_tbEUlT_E1_NS1_11comp_targetILNS1_3genE10ELNS1_11target_archE1200ELNS1_3gpuE4ELNS1_3repE0EEENS1_30default_config_static_selectorELNS0_4arch9wavefront6targetE1EEEvS14_
                                        ; -- End function
	.section	.AMDGPU.csdata,"",@progbits
; Kernel info:
; codeLenInByte = 0
; NumSgprs: 4
; NumVgprs: 0
; NumAgprs: 0
; TotalNumVgprs: 0
; ScratchSize: 0
; MemoryBound: 0
; FloatMode: 240
; IeeeMode: 1
; LDSByteSize: 0 bytes/workgroup (compile time only)
; SGPRBlocks: 0
; VGPRBlocks: 0
; NumSGPRsForWavesPerEU: 4
; NumVGPRsForWavesPerEU: 1
; AccumOffset: 4
; Occupancy: 8
; WaveLimiterHint : 0
; COMPUTE_PGM_RSRC2:SCRATCH_EN: 0
; COMPUTE_PGM_RSRC2:USER_SGPR: 6
; COMPUTE_PGM_RSRC2:TRAP_HANDLER: 0
; COMPUTE_PGM_RSRC2:TGID_X_EN: 1
; COMPUTE_PGM_RSRC2:TGID_Y_EN: 0
; COMPUTE_PGM_RSRC2:TGID_Z_EN: 0
; COMPUTE_PGM_RSRC2:TIDIG_COMP_CNT: 0
; COMPUTE_PGM_RSRC3_GFX90A:ACCUM_OFFSET: 0
; COMPUTE_PGM_RSRC3_GFX90A:TG_SPLIT: 0
	.section	.text._ZN7rocprim17ROCPRIM_400000_NS6detail17trampoline_kernelINS0_14default_configENS1_22reduce_config_selectorIN6thrust23THRUST_200600_302600_NS5tupleIblNS6_9null_typeES8_S8_S8_S8_S8_S8_S8_EEEEZNS1_11reduce_implILb1ES3_NS6_12zip_iteratorINS7_INS6_11hip_rocprim26transform_input_iterator_tIbNSD_35transform_pair_of_input_iterators_tIbNS6_6detail15normal_iteratorINS6_10device_ptrIKiEEEESL_NS6_8equal_toIiEEEENSG_9not_fun_tINSD_8identityEEEEENSD_19counting_iterator_tIlEES8_S8_S8_S8_S8_S8_S8_S8_EEEEPS9_S9_NSD_9__find_if7functorIS9_EEEE10hipError_tPvRmT1_T2_T3_mT4_P12ihipStream_tbEUlT_E1_NS1_11comp_targetILNS1_3genE9ELNS1_11target_archE1100ELNS1_3gpuE3ELNS1_3repE0EEENS1_30default_config_static_selectorELNS0_4arch9wavefront6targetE1EEEvS14_,"axG",@progbits,_ZN7rocprim17ROCPRIM_400000_NS6detail17trampoline_kernelINS0_14default_configENS1_22reduce_config_selectorIN6thrust23THRUST_200600_302600_NS5tupleIblNS6_9null_typeES8_S8_S8_S8_S8_S8_S8_EEEEZNS1_11reduce_implILb1ES3_NS6_12zip_iteratorINS7_INS6_11hip_rocprim26transform_input_iterator_tIbNSD_35transform_pair_of_input_iterators_tIbNS6_6detail15normal_iteratorINS6_10device_ptrIKiEEEESL_NS6_8equal_toIiEEEENSG_9not_fun_tINSD_8identityEEEEENSD_19counting_iterator_tIlEES8_S8_S8_S8_S8_S8_S8_S8_EEEEPS9_S9_NSD_9__find_if7functorIS9_EEEE10hipError_tPvRmT1_T2_T3_mT4_P12ihipStream_tbEUlT_E1_NS1_11comp_targetILNS1_3genE9ELNS1_11target_archE1100ELNS1_3gpuE3ELNS1_3repE0EEENS1_30default_config_static_selectorELNS0_4arch9wavefront6targetE1EEEvS14_,comdat
	.protected	_ZN7rocprim17ROCPRIM_400000_NS6detail17trampoline_kernelINS0_14default_configENS1_22reduce_config_selectorIN6thrust23THRUST_200600_302600_NS5tupleIblNS6_9null_typeES8_S8_S8_S8_S8_S8_S8_EEEEZNS1_11reduce_implILb1ES3_NS6_12zip_iteratorINS7_INS6_11hip_rocprim26transform_input_iterator_tIbNSD_35transform_pair_of_input_iterators_tIbNS6_6detail15normal_iteratorINS6_10device_ptrIKiEEEESL_NS6_8equal_toIiEEEENSG_9not_fun_tINSD_8identityEEEEENSD_19counting_iterator_tIlEES8_S8_S8_S8_S8_S8_S8_S8_EEEEPS9_S9_NSD_9__find_if7functorIS9_EEEE10hipError_tPvRmT1_T2_T3_mT4_P12ihipStream_tbEUlT_E1_NS1_11comp_targetILNS1_3genE9ELNS1_11target_archE1100ELNS1_3gpuE3ELNS1_3repE0EEENS1_30default_config_static_selectorELNS0_4arch9wavefront6targetE1EEEvS14_ ; -- Begin function _ZN7rocprim17ROCPRIM_400000_NS6detail17trampoline_kernelINS0_14default_configENS1_22reduce_config_selectorIN6thrust23THRUST_200600_302600_NS5tupleIblNS6_9null_typeES8_S8_S8_S8_S8_S8_S8_EEEEZNS1_11reduce_implILb1ES3_NS6_12zip_iteratorINS7_INS6_11hip_rocprim26transform_input_iterator_tIbNSD_35transform_pair_of_input_iterators_tIbNS6_6detail15normal_iteratorINS6_10device_ptrIKiEEEESL_NS6_8equal_toIiEEEENSG_9not_fun_tINSD_8identityEEEEENSD_19counting_iterator_tIlEES8_S8_S8_S8_S8_S8_S8_S8_EEEEPS9_S9_NSD_9__find_if7functorIS9_EEEE10hipError_tPvRmT1_T2_T3_mT4_P12ihipStream_tbEUlT_E1_NS1_11comp_targetILNS1_3genE9ELNS1_11target_archE1100ELNS1_3gpuE3ELNS1_3repE0EEENS1_30default_config_static_selectorELNS0_4arch9wavefront6targetE1EEEvS14_
	.globl	_ZN7rocprim17ROCPRIM_400000_NS6detail17trampoline_kernelINS0_14default_configENS1_22reduce_config_selectorIN6thrust23THRUST_200600_302600_NS5tupleIblNS6_9null_typeES8_S8_S8_S8_S8_S8_S8_EEEEZNS1_11reduce_implILb1ES3_NS6_12zip_iteratorINS7_INS6_11hip_rocprim26transform_input_iterator_tIbNSD_35transform_pair_of_input_iterators_tIbNS6_6detail15normal_iteratorINS6_10device_ptrIKiEEEESL_NS6_8equal_toIiEEEENSG_9not_fun_tINSD_8identityEEEEENSD_19counting_iterator_tIlEES8_S8_S8_S8_S8_S8_S8_S8_EEEEPS9_S9_NSD_9__find_if7functorIS9_EEEE10hipError_tPvRmT1_T2_T3_mT4_P12ihipStream_tbEUlT_E1_NS1_11comp_targetILNS1_3genE9ELNS1_11target_archE1100ELNS1_3gpuE3ELNS1_3repE0EEENS1_30default_config_static_selectorELNS0_4arch9wavefront6targetE1EEEvS14_
	.p2align	8
	.type	_ZN7rocprim17ROCPRIM_400000_NS6detail17trampoline_kernelINS0_14default_configENS1_22reduce_config_selectorIN6thrust23THRUST_200600_302600_NS5tupleIblNS6_9null_typeES8_S8_S8_S8_S8_S8_S8_EEEEZNS1_11reduce_implILb1ES3_NS6_12zip_iteratorINS7_INS6_11hip_rocprim26transform_input_iterator_tIbNSD_35transform_pair_of_input_iterators_tIbNS6_6detail15normal_iteratorINS6_10device_ptrIKiEEEESL_NS6_8equal_toIiEEEENSG_9not_fun_tINSD_8identityEEEEENSD_19counting_iterator_tIlEES8_S8_S8_S8_S8_S8_S8_S8_EEEEPS9_S9_NSD_9__find_if7functorIS9_EEEE10hipError_tPvRmT1_T2_T3_mT4_P12ihipStream_tbEUlT_E1_NS1_11comp_targetILNS1_3genE9ELNS1_11target_archE1100ELNS1_3gpuE3ELNS1_3repE0EEENS1_30default_config_static_selectorELNS0_4arch9wavefront6targetE1EEEvS14_,@function
_ZN7rocprim17ROCPRIM_400000_NS6detail17trampoline_kernelINS0_14default_configENS1_22reduce_config_selectorIN6thrust23THRUST_200600_302600_NS5tupleIblNS6_9null_typeES8_S8_S8_S8_S8_S8_S8_EEEEZNS1_11reduce_implILb1ES3_NS6_12zip_iteratorINS7_INS6_11hip_rocprim26transform_input_iterator_tIbNSD_35transform_pair_of_input_iterators_tIbNS6_6detail15normal_iteratorINS6_10device_ptrIKiEEEESL_NS6_8equal_toIiEEEENSG_9not_fun_tINSD_8identityEEEEENSD_19counting_iterator_tIlEES8_S8_S8_S8_S8_S8_S8_S8_EEEEPS9_S9_NSD_9__find_if7functorIS9_EEEE10hipError_tPvRmT1_T2_T3_mT4_P12ihipStream_tbEUlT_E1_NS1_11comp_targetILNS1_3genE9ELNS1_11target_archE1100ELNS1_3gpuE3ELNS1_3repE0EEENS1_30default_config_static_selectorELNS0_4arch9wavefront6targetE1EEEvS14_: ; @_ZN7rocprim17ROCPRIM_400000_NS6detail17trampoline_kernelINS0_14default_configENS1_22reduce_config_selectorIN6thrust23THRUST_200600_302600_NS5tupleIblNS6_9null_typeES8_S8_S8_S8_S8_S8_S8_EEEEZNS1_11reduce_implILb1ES3_NS6_12zip_iteratorINS7_INS6_11hip_rocprim26transform_input_iterator_tIbNSD_35transform_pair_of_input_iterators_tIbNS6_6detail15normal_iteratorINS6_10device_ptrIKiEEEESL_NS6_8equal_toIiEEEENSG_9not_fun_tINSD_8identityEEEEENSD_19counting_iterator_tIlEES8_S8_S8_S8_S8_S8_S8_S8_EEEEPS9_S9_NSD_9__find_if7functorIS9_EEEE10hipError_tPvRmT1_T2_T3_mT4_P12ihipStream_tbEUlT_E1_NS1_11comp_targetILNS1_3genE9ELNS1_11target_archE1100ELNS1_3gpuE3ELNS1_3repE0EEENS1_30default_config_static_selectorELNS0_4arch9wavefront6targetE1EEEvS14_
; %bb.0:
	.section	.rodata,"a",@progbits
	.p2align	6, 0x0
	.amdhsa_kernel _ZN7rocprim17ROCPRIM_400000_NS6detail17trampoline_kernelINS0_14default_configENS1_22reduce_config_selectorIN6thrust23THRUST_200600_302600_NS5tupleIblNS6_9null_typeES8_S8_S8_S8_S8_S8_S8_EEEEZNS1_11reduce_implILb1ES3_NS6_12zip_iteratorINS7_INS6_11hip_rocprim26transform_input_iterator_tIbNSD_35transform_pair_of_input_iterators_tIbNS6_6detail15normal_iteratorINS6_10device_ptrIKiEEEESL_NS6_8equal_toIiEEEENSG_9not_fun_tINSD_8identityEEEEENSD_19counting_iterator_tIlEES8_S8_S8_S8_S8_S8_S8_S8_EEEEPS9_S9_NSD_9__find_if7functorIS9_EEEE10hipError_tPvRmT1_T2_T3_mT4_P12ihipStream_tbEUlT_E1_NS1_11comp_targetILNS1_3genE9ELNS1_11target_archE1100ELNS1_3gpuE3ELNS1_3repE0EEENS1_30default_config_static_selectorELNS0_4arch9wavefront6targetE1EEEvS14_
		.amdhsa_group_segment_fixed_size 0
		.amdhsa_private_segment_fixed_size 0
		.amdhsa_kernarg_size 88
		.amdhsa_user_sgpr_count 6
		.amdhsa_user_sgpr_private_segment_buffer 1
		.amdhsa_user_sgpr_dispatch_ptr 0
		.amdhsa_user_sgpr_queue_ptr 0
		.amdhsa_user_sgpr_kernarg_segment_ptr 1
		.amdhsa_user_sgpr_dispatch_id 0
		.amdhsa_user_sgpr_flat_scratch_init 0
		.amdhsa_user_sgpr_kernarg_preload_length 0
		.amdhsa_user_sgpr_kernarg_preload_offset 0
		.amdhsa_user_sgpr_private_segment_size 0
		.amdhsa_uses_dynamic_stack 0
		.amdhsa_system_sgpr_private_segment_wavefront_offset 0
		.amdhsa_system_sgpr_workgroup_id_x 1
		.amdhsa_system_sgpr_workgroup_id_y 0
		.amdhsa_system_sgpr_workgroup_id_z 0
		.amdhsa_system_sgpr_workgroup_info 0
		.amdhsa_system_vgpr_workitem_id 0
		.amdhsa_next_free_vgpr 1
		.amdhsa_next_free_sgpr 0
		.amdhsa_accum_offset 4
		.amdhsa_reserve_vcc 0
		.amdhsa_reserve_flat_scratch 0
		.amdhsa_float_round_mode_32 0
		.amdhsa_float_round_mode_16_64 0
		.amdhsa_float_denorm_mode_32 3
		.amdhsa_float_denorm_mode_16_64 3
		.amdhsa_dx10_clamp 1
		.amdhsa_ieee_mode 1
		.amdhsa_fp16_overflow 0
		.amdhsa_tg_split 0
		.amdhsa_exception_fp_ieee_invalid_op 0
		.amdhsa_exception_fp_denorm_src 0
		.amdhsa_exception_fp_ieee_div_zero 0
		.amdhsa_exception_fp_ieee_overflow 0
		.amdhsa_exception_fp_ieee_underflow 0
		.amdhsa_exception_fp_ieee_inexact 0
		.amdhsa_exception_int_div_zero 0
	.end_amdhsa_kernel
	.section	.text._ZN7rocprim17ROCPRIM_400000_NS6detail17trampoline_kernelINS0_14default_configENS1_22reduce_config_selectorIN6thrust23THRUST_200600_302600_NS5tupleIblNS6_9null_typeES8_S8_S8_S8_S8_S8_S8_EEEEZNS1_11reduce_implILb1ES3_NS6_12zip_iteratorINS7_INS6_11hip_rocprim26transform_input_iterator_tIbNSD_35transform_pair_of_input_iterators_tIbNS6_6detail15normal_iteratorINS6_10device_ptrIKiEEEESL_NS6_8equal_toIiEEEENSG_9not_fun_tINSD_8identityEEEEENSD_19counting_iterator_tIlEES8_S8_S8_S8_S8_S8_S8_S8_EEEEPS9_S9_NSD_9__find_if7functorIS9_EEEE10hipError_tPvRmT1_T2_T3_mT4_P12ihipStream_tbEUlT_E1_NS1_11comp_targetILNS1_3genE9ELNS1_11target_archE1100ELNS1_3gpuE3ELNS1_3repE0EEENS1_30default_config_static_selectorELNS0_4arch9wavefront6targetE1EEEvS14_,"axG",@progbits,_ZN7rocprim17ROCPRIM_400000_NS6detail17trampoline_kernelINS0_14default_configENS1_22reduce_config_selectorIN6thrust23THRUST_200600_302600_NS5tupleIblNS6_9null_typeES8_S8_S8_S8_S8_S8_S8_EEEEZNS1_11reduce_implILb1ES3_NS6_12zip_iteratorINS7_INS6_11hip_rocprim26transform_input_iterator_tIbNSD_35transform_pair_of_input_iterators_tIbNS6_6detail15normal_iteratorINS6_10device_ptrIKiEEEESL_NS6_8equal_toIiEEEENSG_9not_fun_tINSD_8identityEEEEENSD_19counting_iterator_tIlEES8_S8_S8_S8_S8_S8_S8_S8_EEEEPS9_S9_NSD_9__find_if7functorIS9_EEEE10hipError_tPvRmT1_T2_T3_mT4_P12ihipStream_tbEUlT_E1_NS1_11comp_targetILNS1_3genE9ELNS1_11target_archE1100ELNS1_3gpuE3ELNS1_3repE0EEENS1_30default_config_static_selectorELNS0_4arch9wavefront6targetE1EEEvS14_,comdat
.Lfunc_end136:
	.size	_ZN7rocprim17ROCPRIM_400000_NS6detail17trampoline_kernelINS0_14default_configENS1_22reduce_config_selectorIN6thrust23THRUST_200600_302600_NS5tupleIblNS6_9null_typeES8_S8_S8_S8_S8_S8_S8_EEEEZNS1_11reduce_implILb1ES3_NS6_12zip_iteratorINS7_INS6_11hip_rocprim26transform_input_iterator_tIbNSD_35transform_pair_of_input_iterators_tIbNS6_6detail15normal_iteratorINS6_10device_ptrIKiEEEESL_NS6_8equal_toIiEEEENSG_9not_fun_tINSD_8identityEEEEENSD_19counting_iterator_tIlEES8_S8_S8_S8_S8_S8_S8_S8_EEEEPS9_S9_NSD_9__find_if7functorIS9_EEEE10hipError_tPvRmT1_T2_T3_mT4_P12ihipStream_tbEUlT_E1_NS1_11comp_targetILNS1_3genE9ELNS1_11target_archE1100ELNS1_3gpuE3ELNS1_3repE0EEENS1_30default_config_static_selectorELNS0_4arch9wavefront6targetE1EEEvS14_, .Lfunc_end136-_ZN7rocprim17ROCPRIM_400000_NS6detail17trampoline_kernelINS0_14default_configENS1_22reduce_config_selectorIN6thrust23THRUST_200600_302600_NS5tupleIblNS6_9null_typeES8_S8_S8_S8_S8_S8_S8_EEEEZNS1_11reduce_implILb1ES3_NS6_12zip_iteratorINS7_INS6_11hip_rocprim26transform_input_iterator_tIbNSD_35transform_pair_of_input_iterators_tIbNS6_6detail15normal_iteratorINS6_10device_ptrIKiEEEESL_NS6_8equal_toIiEEEENSG_9not_fun_tINSD_8identityEEEEENSD_19counting_iterator_tIlEES8_S8_S8_S8_S8_S8_S8_S8_EEEEPS9_S9_NSD_9__find_if7functorIS9_EEEE10hipError_tPvRmT1_T2_T3_mT4_P12ihipStream_tbEUlT_E1_NS1_11comp_targetILNS1_3genE9ELNS1_11target_archE1100ELNS1_3gpuE3ELNS1_3repE0EEENS1_30default_config_static_selectorELNS0_4arch9wavefront6targetE1EEEvS14_
                                        ; -- End function
	.section	.AMDGPU.csdata,"",@progbits
; Kernel info:
; codeLenInByte = 0
; NumSgprs: 4
; NumVgprs: 0
; NumAgprs: 0
; TotalNumVgprs: 0
; ScratchSize: 0
; MemoryBound: 0
; FloatMode: 240
; IeeeMode: 1
; LDSByteSize: 0 bytes/workgroup (compile time only)
; SGPRBlocks: 0
; VGPRBlocks: 0
; NumSGPRsForWavesPerEU: 4
; NumVGPRsForWavesPerEU: 1
; AccumOffset: 4
; Occupancy: 8
; WaveLimiterHint : 0
; COMPUTE_PGM_RSRC2:SCRATCH_EN: 0
; COMPUTE_PGM_RSRC2:USER_SGPR: 6
; COMPUTE_PGM_RSRC2:TRAP_HANDLER: 0
; COMPUTE_PGM_RSRC2:TGID_X_EN: 1
; COMPUTE_PGM_RSRC2:TGID_Y_EN: 0
; COMPUTE_PGM_RSRC2:TGID_Z_EN: 0
; COMPUTE_PGM_RSRC2:TIDIG_COMP_CNT: 0
; COMPUTE_PGM_RSRC3_GFX90A:ACCUM_OFFSET: 0
; COMPUTE_PGM_RSRC3_GFX90A:TG_SPLIT: 0
	.section	.text._ZN7rocprim17ROCPRIM_400000_NS6detail17trampoline_kernelINS0_14default_configENS1_22reduce_config_selectorIN6thrust23THRUST_200600_302600_NS5tupleIblNS6_9null_typeES8_S8_S8_S8_S8_S8_S8_EEEEZNS1_11reduce_implILb1ES3_NS6_12zip_iteratorINS7_INS6_11hip_rocprim26transform_input_iterator_tIbNSD_35transform_pair_of_input_iterators_tIbNS6_6detail15normal_iteratorINS6_10device_ptrIKiEEEESL_NS6_8equal_toIiEEEENSG_9not_fun_tINSD_8identityEEEEENSD_19counting_iterator_tIlEES8_S8_S8_S8_S8_S8_S8_S8_EEEEPS9_S9_NSD_9__find_if7functorIS9_EEEE10hipError_tPvRmT1_T2_T3_mT4_P12ihipStream_tbEUlT_E1_NS1_11comp_targetILNS1_3genE8ELNS1_11target_archE1030ELNS1_3gpuE2ELNS1_3repE0EEENS1_30default_config_static_selectorELNS0_4arch9wavefront6targetE1EEEvS14_,"axG",@progbits,_ZN7rocprim17ROCPRIM_400000_NS6detail17trampoline_kernelINS0_14default_configENS1_22reduce_config_selectorIN6thrust23THRUST_200600_302600_NS5tupleIblNS6_9null_typeES8_S8_S8_S8_S8_S8_S8_EEEEZNS1_11reduce_implILb1ES3_NS6_12zip_iteratorINS7_INS6_11hip_rocprim26transform_input_iterator_tIbNSD_35transform_pair_of_input_iterators_tIbNS6_6detail15normal_iteratorINS6_10device_ptrIKiEEEESL_NS6_8equal_toIiEEEENSG_9not_fun_tINSD_8identityEEEEENSD_19counting_iterator_tIlEES8_S8_S8_S8_S8_S8_S8_S8_EEEEPS9_S9_NSD_9__find_if7functorIS9_EEEE10hipError_tPvRmT1_T2_T3_mT4_P12ihipStream_tbEUlT_E1_NS1_11comp_targetILNS1_3genE8ELNS1_11target_archE1030ELNS1_3gpuE2ELNS1_3repE0EEENS1_30default_config_static_selectorELNS0_4arch9wavefront6targetE1EEEvS14_,comdat
	.protected	_ZN7rocprim17ROCPRIM_400000_NS6detail17trampoline_kernelINS0_14default_configENS1_22reduce_config_selectorIN6thrust23THRUST_200600_302600_NS5tupleIblNS6_9null_typeES8_S8_S8_S8_S8_S8_S8_EEEEZNS1_11reduce_implILb1ES3_NS6_12zip_iteratorINS7_INS6_11hip_rocprim26transform_input_iterator_tIbNSD_35transform_pair_of_input_iterators_tIbNS6_6detail15normal_iteratorINS6_10device_ptrIKiEEEESL_NS6_8equal_toIiEEEENSG_9not_fun_tINSD_8identityEEEEENSD_19counting_iterator_tIlEES8_S8_S8_S8_S8_S8_S8_S8_EEEEPS9_S9_NSD_9__find_if7functorIS9_EEEE10hipError_tPvRmT1_T2_T3_mT4_P12ihipStream_tbEUlT_E1_NS1_11comp_targetILNS1_3genE8ELNS1_11target_archE1030ELNS1_3gpuE2ELNS1_3repE0EEENS1_30default_config_static_selectorELNS0_4arch9wavefront6targetE1EEEvS14_ ; -- Begin function _ZN7rocprim17ROCPRIM_400000_NS6detail17trampoline_kernelINS0_14default_configENS1_22reduce_config_selectorIN6thrust23THRUST_200600_302600_NS5tupleIblNS6_9null_typeES8_S8_S8_S8_S8_S8_S8_EEEEZNS1_11reduce_implILb1ES3_NS6_12zip_iteratorINS7_INS6_11hip_rocprim26transform_input_iterator_tIbNSD_35transform_pair_of_input_iterators_tIbNS6_6detail15normal_iteratorINS6_10device_ptrIKiEEEESL_NS6_8equal_toIiEEEENSG_9not_fun_tINSD_8identityEEEEENSD_19counting_iterator_tIlEES8_S8_S8_S8_S8_S8_S8_S8_EEEEPS9_S9_NSD_9__find_if7functorIS9_EEEE10hipError_tPvRmT1_T2_T3_mT4_P12ihipStream_tbEUlT_E1_NS1_11comp_targetILNS1_3genE8ELNS1_11target_archE1030ELNS1_3gpuE2ELNS1_3repE0EEENS1_30default_config_static_selectorELNS0_4arch9wavefront6targetE1EEEvS14_
	.globl	_ZN7rocprim17ROCPRIM_400000_NS6detail17trampoline_kernelINS0_14default_configENS1_22reduce_config_selectorIN6thrust23THRUST_200600_302600_NS5tupleIblNS6_9null_typeES8_S8_S8_S8_S8_S8_S8_EEEEZNS1_11reduce_implILb1ES3_NS6_12zip_iteratorINS7_INS6_11hip_rocprim26transform_input_iterator_tIbNSD_35transform_pair_of_input_iterators_tIbNS6_6detail15normal_iteratorINS6_10device_ptrIKiEEEESL_NS6_8equal_toIiEEEENSG_9not_fun_tINSD_8identityEEEEENSD_19counting_iterator_tIlEES8_S8_S8_S8_S8_S8_S8_S8_EEEEPS9_S9_NSD_9__find_if7functorIS9_EEEE10hipError_tPvRmT1_T2_T3_mT4_P12ihipStream_tbEUlT_E1_NS1_11comp_targetILNS1_3genE8ELNS1_11target_archE1030ELNS1_3gpuE2ELNS1_3repE0EEENS1_30default_config_static_selectorELNS0_4arch9wavefront6targetE1EEEvS14_
	.p2align	8
	.type	_ZN7rocprim17ROCPRIM_400000_NS6detail17trampoline_kernelINS0_14default_configENS1_22reduce_config_selectorIN6thrust23THRUST_200600_302600_NS5tupleIblNS6_9null_typeES8_S8_S8_S8_S8_S8_S8_EEEEZNS1_11reduce_implILb1ES3_NS6_12zip_iteratorINS7_INS6_11hip_rocprim26transform_input_iterator_tIbNSD_35transform_pair_of_input_iterators_tIbNS6_6detail15normal_iteratorINS6_10device_ptrIKiEEEESL_NS6_8equal_toIiEEEENSG_9not_fun_tINSD_8identityEEEEENSD_19counting_iterator_tIlEES8_S8_S8_S8_S8_S8_S8_S8_EEEEPS9_S9_NSD_9__find_if7functorIS9_EEEE10hipError_tPvRmT1_T2_T3_mT4_P12ihipStream_tbEUlT_E1_NS1_11comp_targetILNS1_3genE8ELNS1_11target_archE1030ELNS1_3gpuE2ELNS1_3repE0EEENS1_30default_config_static_selectorELNS0_4arch9wavefront6targetE1EEEvS14_,@function
_ZN7rocprim17ROCPRIM_400000_NS6detail17trampoline_kernelINS0_14default_configENS1_22reduce_config_selectorIN6thrust23THRUST_200600_302600_NS5tupleIblNS6_9null_typeES8_S8_S8_S8_S8_S8_S8_EEEEZNS1_11reduce_implILb1ES3_NS6_12zip_iteratorINS7_INS6_11hip_rocprim26transform_input_iterator_tIbNSD_35transform_pair_of_input_iterators_tIbNS6_6detail15normal_iteratorINS6_10device_ptrIKiEEEESL_NS6_8equal_toIiEEEENSG_9not_fun_tINSD_8identityEEEEENSD_19counting_iterator_tIlEES8_S8_S8_S8_S8_S8_S8_S8_EEEEPS9_S9_NSD_9__find_if7functorIS9_EEEE10hipError_tPvRmT1_T2_T3_mT4_P12ihipStream_tbEUlT_E1_NS1_11comp_targetILNS1_3genE8ELNS1_11target_archE1030ELNS1_3gpuE2ELNS1_3repE0EEENS1_30default_config_static_selectorELNS0_4arch9wavefront6targetE1EEEvS14_: ; @_ZN7rocprim17ROCPRIM_400000_NS6detail17trampoline_kernelINS0_14default_configENS1_22reduce_config_selectorIN6thrust23THRUST_200600_302600_NS5tupleIblNS6_9null_typeES8_S8_S8_S8_S8_S8_S8_EEEEZNS1_11reduce_implILb1ES3_NS6_12zip_iteratorINS7_INS6_11hip_rocprim26transform_input_iterator_tIbNSD_35transform_pair_of_input_iterators_tIbNS6_6detail15normal_iteratorINS6_10device_ptrIKiEEEESL_NS6_8equal_toIiEEEENSG_9not_fun_tINSD_8identityEEEEENSD_19counting_iterator_tIlEES8_S8_S8_S8_S8_S8_S8_S8_EEEEPS9_S9_NSD_9__find_if7functorIS9_EEEE10hipError_tPvRmT1_T2_T3_mT4_P12ihipStream_tbEUlT_E1_NS1_11comp_targetILNS1_3genE8ELNS1_11target_archE1030ELNS1_3gpuE2ELNS1_3repE0EEENS1_30default_config_static_selectorELNS0_4arch9wavefront6targetE1EEEvS14_
; %bb.0:
	.section	.rodata,"a",@progbits
	.p2align	6, 0x0
	.amdhsa_kernel _ZN7rocprim17ROCPRIM_400000_NS6detail17trampoline_kernelINS0_14default_configENS1_22reduce_config_selectorIN6thrust23THRUST_200600_302600_NS5tupleIblNS6_9null_typeES8_S8_S8_S8_S8_S8_S8_EEEEZNS1_11reduce_implILb1ES3_NS6_12zip_iteratorINS7_INS6_11hip_rocprim26transform_input_iterator_tIbNSD_35transform_pair_of_input_iterators_tIbNS6_6detail15normal_iteratorINS6_10device_ptrIKiEEEESL_NS6_8equal_toIiEEEENSG_9not_fun_tINSD_8identityEEEEENSD_19counting_iterator_tIlEES8_S8_S8_S8_S8_S8_S8_S8_EEEEPS9_S9_NSD_9__find_if7functorIS9_EEEE10hipError_tPvRmT1_T2_T3_mT4_P12ihipStream_tbEUlT_E1_NS1_11comp_targetILNS1_3genE8ELNS1_11target_archE1030ELNS1_3gpuE2ELNS1_3repE0EEENS1_30default_config_static_selectorELNS0_4arch9wavefront6targetE1EEEvS14_
		.amdhsa_group_segment_fixed_size 0
		.amdhsa_private_segment_fixed_size 0
		.amdhsa_kernarg_size 88
		.amdhsa_user_sgpr_count 6
		.amdhsa_user_sgpr_private_segment_buffer 1
		.amdhsa_user_sgpr_dispatch_ptr 0
		.amdhsa_user_sgpr_queue_ptr 0
		.amdhsa_user_sgpr_kernarg_segment_ptr 1
		.amdhsa_user_sgpr_dispatch_id 0
		.amdhsa_user_sgpr_flat_scratch_init 0
		.amdhsa_user_sgpr_kernarg_preload_length 0
		.amdhsa_user_sgpr_kernarg_preload_offset 0
		.amdhsa_user_sgpr_private_segment_size 0
		.amdhsa_uses_dynamic_stack 0
		.amdhsa_system_sgpr_private_segment_wavefront_offset 0
		.amdhsa_system_sgpr_workgroup_id_x 1
		.amdhsa_system_sgpr_workgroup_id_y 0
		.amdhsa_system_sgpr_workgroup_id_z 0
		.amdhsa_system_sgpr_workgroup_info 0
		.amdhsa_system_vgpr_workitem_id 0
		.amdhsa_next_free_vgpr 1
		.amdhsa_next_free_sgpr 0
		.amdhsa_accum_offset 4
		.amdhsa_reserve_vcc 0
		.amdhsa_reserve_flat_scratch 0
		.amdhsa_float_round_mode_32 0
		.amdhsa_float_round_mode_16_64 0
		.amdhsa_float_denorm_mode_32 3
		.amdhsa_float_denorm_mode_16_64 3
		.amdhsa_dx10_clamp 1
		.amdhsa_ieee_mode 1
		.amdhsa_fp16_overflow 0
		.amdhsa_tg_split 0
		.amdhsa_exception_fp_ieee_invalid_op 0
		.amdhsa_exception_fp_denorm_src 0
		.amdhsa_exception_fp_ieee_div_zero 0
		.amdhsa_exception_fp_ieee_overflow 0
		.amdhsa_exception_fp_ieee_underflow 0
		.amdhsa_exception_fp_ieee_inexact 0
		.amdhsa_exception_int_div_zero 0
	.end_amdhsa_kernel
	.section	.text._ZN7rocprim17ROCPRIM_400000_NS6detail17trampoline_kernelINS0_14default_configENS1_22reduce_config_selectorIN6thrust23THRUST_200600_302600_NS5tupleIblNS6_9null_typeES8_S8_S8_S8_S8_S8_S8_EEEEZNS1_11reduce_implILb1ES3_NS6_12zip_iteratorINS7_INS6_11hip_rocprim26transform_input_iterator_tIbNSD_35transform_pair_of_input_iterators_tIbNS6_6detail15normal_iteratorINS6_10device_ptrIKiEEEESL_NS6_8equal_toIiEEEENSG_9not_fun_tINSD_8identityEEEEENSD_19counting_iterator_tIlEES8_S8_S8_S8_S8_S8_S8_S8_EEEEPS9_S9_NSD_9__find_if7functorIS9_EEEE10hipError_tPvRmT1_T2_T3_mT4_P12ihipStream_tbEUlT_E1_NS1_11comp_targetILNS1_3genE8ELNS1_11target_archE1030ELNS1_3gpuE2ELNS1_3repE0EEENS1_30default_config_static_selectorELNS0_4arch9wavefront6targetE1EEEvS14_,"axG",@progbits,_ZN7rocprim17ROCPRIM_400000_NS6detail17trampoline_kernelINS0_14default_configENS1_22reduce_config_selectorIN6thrust23THRUST_200600_302600_NS5tupleIblNS6_9null_typeES8_S8_S8_S8_S8_S8_S8_EEEEZNS1_11reduce_implILb1ES3_NS6_12zip_iteratorINS7_INS6_11hip_rocprim26transform_input_iterator_tIbNSD_35transform_pair_of_input_iterators_tIbNS6_6detail15normal_iteratorINS6_10device_ptrIKiEEEESL_NS6_8equal_toIiEEEENSG_9not_fun_tINSD_8identityEEEEENSD_19counting_iterator_tIlEES8_S8_S8_S8_S8_S8_S8_S8_EEEEPS9_S9_NSD_9__find_if7functorIS9_EEEE10hipError_tPvRmT1_T2_T3_mT4_P12ihipStream_tbEUlT_E1_NS1_11comp_targetILNS1_3genE8ELNS1_11target_archE1030ELNS1_3gpuE2ELNS1_3repE0EEENS1_30default_config_static_selectorELNS0_4arch9wavefront6targetE1EEEvS14_,comdat
.Lfunc_end137:
	.size	_ZN7rocprim17ROCPRIM_400000_NS6detail17trampoline_kernelINS0_14default_configENS1_22reduce_config_selectorIN6thrust23THRUST_200600_302600_NS5tupleIblNS6_9null_typeES8_S8_S8_S8_S8_S8_S8_EEEEZNS1_11reduce_implILb1ES3_NS6_12zip_iteratorINS7_INS6_11hip_rocprim26transform_input_iterator_tIbNSD_35transform_pair_of_input_iterators_tIbNS6_6detail15normal_iteratorINS6_10device_ptrIKiEEEESL_NS6_8equal_toIiEEEENSG_9not_fun_tINSD_8identityEEEEENSD_19counting_iterator_tIlEES8_S8_S8_S8_S8_S8_S8_S8_EEEEPS9_S9_NSD_9__find_if7functorIS9_EEEE10hipError_tPvRmT1_T2_T3_mT4_P12ihipStream_tbEUlT_E1_NS1_11comp_targetILNS1_3genE8ELNS1_11target_archE1030ELNS1_3gpuE2ELNS1_3repE0EEENS1_30default_config_static_selectorELNS0_4arch9wavefront6targetE1EEEvS14_, .Lfunc_end137-_ZN7rocprim17ROCPRIM_400000_NS6detail17trampoline_kernelINS0_14default_configENS1_22reduce_config_selectorIN6thrust23THRUST_200600_302600_NS5tupleIblNS6_9null_typeES8_S8_S8_S8_S8_S8_S8_EEEEZNS1_11reduce_implILb1ES3_NS6_12zip_iteratorINS7_INS6_11hip_rocprim26transform_input_iterator_tIbNSD_35transform_pair_of_input_iterators_tIbNS6_6detail15normal_iteratorINS6_10device_ptrIKiEEEESL_NS6_8equal_toIiEEEENSG_9not_fun_tINSD_8identityEEEEENSD_19counting_iterator_tIlEES8_S8_S8_S8_S8_S8_S8_S8_EEEEPS9_S9_NSD_9__find_if7functorIS9_EEEE10hipError_tPvRmT1_T2_T3_mT4_P12ihipStream_tbEUlT_E1_NS1_11comp_targetILNS1_3genE8ELNS1_11target_archE1030ELNS1_3gpuE2ELNS1_3repE0EEENS1_30default_config_static_selectorELNS0_4arch9wavefront6targetE1EEEvS14_
                                        ; -- End function
	.section	.AMDGPU.csdata,"",@progbits
; Kernel info:
; codeLenInByte = 0
; NumSgprs: 4
; NumVgprs: 0
; NumAgprs: 0
; TotalNumVgprs: 0
; ScratchSize: 0
; MemoryBound: 0
; FloatMode: 240
; IeeeMode: 1
; LDSByteSize: 0 bytes/workgroup (compile time only)
; SGPRBlocks: 0
; VGPRBlocks: 0
; NumSGPRsForWavesPerEU: 4
; NumVGPRsForWavesPerEU: 1
; AccumOffset: 4
; Occupancy: 8
; WaveLimiterHint : 0
; COMPUTE_PGM_RSRC2:SCRATCH_EN: 0
; COMPUTE_PGM_RSRC2:USER_SGPR: 6
; COMPUTE_PGM_RSRC2:TRAP_HANDLER: 0
; COMPUTE_PGM_RSRC2:TGID_X_EN: 1
; COMPUTE_PGM_RSRC2:TGID_Y_EN: 0
; COMPUTE_PGM_RSRC2:TGID_Z_EN: 0
; COMPUTE_PGM_RSRC2:TIDIG_COMP_CNT: 0
; COMPUTE_PGM_RSRC3_GFX90A:ACCUM_OFFSET: 0
; COMPUTE_PGM_RSRC3_GFX90A:TG_SPLIT: 0
	.section	.text._ZN6thrust23THRUST_200600_302600_NS11hip_rocprim14__parallel_for6kernelILj256ENS1_20__uninitialized_fill7functorINS0_10device_ptrIsEEsEEmLj1EEEvT0_T1_SA_,"axG",@progbits,_ZN6thrust23THRUST_200600_302600_NS11hip_rocprim14__parallel_for6kernelILj256ENS1_20__uninitialized_fill7functorINS0_10device_ptrIsEEsEEmLj1EEEvT0_T1_SA_,comdat
	.protected	_ZN6thrust23THRUST_200600_302600_NS11hip_rocprim14__parallel_for6kernelILj256ENS1_20__uninitialized_fill7functorINS0_10device_ptrIsEEsEEmLj1EEEvT0_T1_SA_ ; -- Begin function _ZN6thrust23THRUST_200600_302600_NS11hip_rocprim14__parallel_for6kernelILj256ENS1_20__uninitialized_fill7functorINS0_10device_ptrIsEEsEEmLj1EEEvT0_T1_SA_
	.globl	_ZN6thrust23THRUST_200600_302600_NS11hip_rocprim14__parallel_for6kernelILj256ENS1_20__uninitialized_fill7functorINS0_10device_ptrIsEEsEEmLj1EEEvT0_T1_SA_
	.p2align	8
	.type	_ZN6thrust23THRUST_200600_302600_NS11hip_rocprim14__parallel_for6kernelILj256ENS1_20__uninitialized_fill7functorINS0_10device_ptrIsEEsEEmLj1EEEvT0_T1_SA_,@function
_ZN6thrust23THRUST_200600_302600_NS11hip_rocprim14__parallel_for6kernelILj256ENS1_20__uninitialized_fill7functorINS0_10device_ptrIsEEsEEmLj1EEEvT0_T1_SA_: ; @_ZN6thrust23THRUST_200600_302600_NS11hip_rocprim14__parallel_for6kernelILj256ENS1_20__uninitialized_fill7functorINS0_10device_ptrIsEEsEEmLj1EEEvT0_T1_SA_
; %bb.0:
	s_load_dwordx4 s[8:11], s[4:5], 0x10
	s_lshl_b32 s0, s6, 8
	v_mov_b32_e32 v2, 0x100
	v_mov_b32_e32 v3, 0
	s_waitcnt lgkmcnt(0)
	s_add_u32 s0, s0, s10
	s_addc_u32 s1, 0, s11
	s_sub_u32 s2, s8, s0
	s_subb_u32 s3, s9, s1
	v_cmp_lt_u64_e32 vcc, s[2:3], v[2:3]
	s_cbranch_vccz .LBB138_2
; %bb.1:
	v_cmp_gt_u32_e32 vcc, s2, v0
	s_and_b64 s[2:3], vcc, exec
	s_cbranch_execz .LBB138_3
	s_branch .LBB138_4
.LBB138_2:
	s_mov_b64 s[2:3], 0
.LBB138_3:
	s_or_b64 s[2:3], s[2:3], exec
.LBB138_4:
	s_and_saveexec_b64 s[6:7], s[2:3]
	s_cbranch_execnz .LBB138_6
; %bb.5:
	s_endpgm
.LBB138_6:
	s_load_dwordx2 s[2:3], s[4:5], 0x0
	s_load_dword s6, s[4:5], 0x8
	s_lshl_b64 s[0:1], s[0:1], 1
	v_mov_b32_e32 v1, 0
	v_lshlrev_b64 v[0:1], 1, v[0:1]
	s_waitcnt lgkmcnt(0)
	s_add_u32 s0, s2, s0
	s_addc_u32 s1, s3, s1
	v_mov_b32_e32 v2, s1
	v_add_co_u32_e32 v0, vcc, s0, v0
	v_addc_co_u32_e32 v1, vcc, v2, v1, vcc
	v_mov_b32_e32 v2, s6
	flat_store_short v[0:1], v2
	s_endpgm
	.section	.rodata,"a",@progbits
	.p2align	6, 0x0
	.amdhsa_kernel _ZN6thrust23THRUST_200600_302600_NS11hip_rocprim14__parallel_for6kernelILj256ENS1_20__uninitialized_fill7functorINS0_10device_ptrIsEEsEEmLj1EEEvT0_T1_SA_
		.amdhsa_group_segment_fixed_size 0
		.amdhsa_private_segment_fixed_size 0
		.amdhsa_kernarg_size 32
		.amdhsa_user_sgpr_count 6
		.amdhsa_user_sgpr_private_segment_buffer 1
		.amdhsa_user_sgpr_dispatch_ptr 0
		.amdhsa_user_sgpr_queue_ptr 0
		.amdhsa_user_sgpr_kernarg_segment_ptr 1
		.amdhsa_user_sgpr_dispatch_id 0
		.amdhsa_user_sgpr_flat_scratch_init 0
		.amdhsa_user_sgpr_kernarg_preload_length 0
		.amdhsa_user_sgpr_kernarg_preload_offset 0
		.amdhsa_user_sgpr_private_segment_size 0
		.amdhsa_uses_dynamic_stack 0
		.amdhsa_system_sgpr_private_segment_wavefront_offset 0
		.amdhsa_system_sgpr_workgroup_id_x 1
		.amdhsa_system_sgpr_workgroup_id_y 0
		.amdhsa_system_sgpr_workgroup_id_z 0
		.amdhsa_system_sgpr_workgroup_info 0
		.amdhsa_system_vgpr_workitem_id 0
		.amdhsa_next_free_vgpr 4
		.amdhsa_next_free_sgpr 12
		.amdhsa_accum_offset 4
		.amdhsa_reserve_vcc 1
		.amdhsa_reserve_flat_scratch 0
		.amdhsa_float_round_mode_32 0
		.amdhsa_float_round_mode_16_64 0
		.amdhsa_float_denorm_mode_32 3
		.amdhsa_float_denorm_mode_16_64 3
		.amdhsa_dx10_clamp 1
		.amdhsa_ieee_mode 1
		.amdhsa_fp16_overflow 0
		.amdhsa_tg_split 0
		.amdhsa_exception_fp_ieee_invalid_op 0
		.amdhsa_exception_fp_denorm_src 0
		.amdhsa_exception_fp_ieee_div_zero 0
		.amdhsa_exception_fp_ieee_overflow 0
		.amdhsa_exception_fp_ieee_underflow 0
		.amdhsa_exception_fp_ieee_inexact 0
		.amdhsa_exception_int_div_zero 0
	.end_amdhsa_kernel
	.section	.text._ZN6thrust23THRUST_200600_302600_NS11hip_rocprim14__parallel_for6kernelILj256ENS1_20__uninitialized_fill7functorINS0_10device_ptrIsEEsEEmLj1EEEvT0_T1_SA_,"axG",@progbits,_ZN6thrust23THRUST_200600_302600_NS11hip_rocprim14__parallel_for6kernelILj256ENS1_20__uninitialized_fill7functorINS0_10device_ptrIsEEsEEmLj1EEEvT0_T1_SA_,comdat
.Lfunc_end138:
	.size	_ZN6thrust23THRUST_200600_302600_NS11hip_rocprim14__parallel_for6kernelILj256ENS1_20__uninitialized_fill7functorINS0_10device_ptrIsEEsEEmLj1EEEvT0_T1_SA_, .Lfunc_end138-_ZN6thrust23THRUST_200600_302600_NS11hip_rocprim14__parallel_for6kernelILj256ENS1_20__uninitialized_fill7functorINS0_10device_ptrIsEEsEEmLj1EEEvT0_T1_SA_
                                        ; -- End function
	.section	.AMDGPU.csdata,"",@progbits
; Kernel info:
; codeLenInByte = 160
; NumSgprs: 16
; NumVgprs: 4
; NumAgprs: 0
; TotalNumVgprs: 4
; ScratchSize: 0
; MemoryBound: 0
; FloatMode: 240
; IeeeMode: 1
; LDSByteSize: 0 bytes/workgroup (compile time only)
; SGPRBlocks: 1
; VGPRBlocks: 0
; NumSGPRsForWavesPerEU: 16
; NumVGPRsForWavesPerEU: 4
; AccumOffset: 4
; Occupancy: 8
; WaveLimiterHint : 0
; COMPUTE_PGM_RSRC2:SCRATCH_EN: 0
; COMPUTE_PGM_RSRC2:USER_SGPR: 6
; COMPUTE_PGM_RSRC2:TRAP_HANDLER: 0
; COMPUTE_PGM_RSRC2:TGID_X_EN: 1
; COMPUTE_PGM_RSRC2:TGID_Y_EN: 0
; COMPUTE_PGM_RSRC2:TGID_Z_EN: 0
; COMPUTE_PGM_RSRC2:TIDIG_COMP_CNT: 0
; COMPUTE_PGM_RSRC3_GFX90A:ACCUM_OFFSET: 0
; COMPUTE_PGM_RSRC3_GFX90A:TG_SPLIT: 0
	.section	.text._ZN6thrust23THRUST_200600_302600_NS11hip_rocprim14__parallel_for6kernelILj256ENS1_20__uninitialized_copy7functorINS0_6detail15normal_iteratorINS0_10device_ptrIsEEEENS7_INS0_7pointerIsNS1_3tagENS0_11use_defaultESD_EEEEEElLj1EEEvT0_T1_SI_,"axG",@progbits,_ZN6thrust23THRUST_200600_302600_NS11hip_rocprim14__parallel_for6kernelILj256ENS1_20__uninitialized_copy7functorINS0_6detail15normal_iteratorINS0_10device_ptrIsEEEENS7_INS0_7pointerIsNS1_3tagENS0_11use_defaultESD_EEEEEElLj1EEEvT0_T1_SI_,comdat
	.protected	_ZN6thrust23THRUST_200600_302600_NS11hip_rocprim14__parallel_for6kernelILj256ENS1_20__uninitialized_copy7functorINS0_6detail15normal_iteratorINS0_10device_ptrIsEEEENS7_INS0_7pointerIsNS1_3tagENS0_11use_defaultESD_EEEEEElLj1EEEvT0_T1_SI_ ; -- Begin function _ZN6thrust23THRUST_200600_302600_NS11hip_rocprim14__parallel_for6kernelILj256ENS1_20__uninitialized_copy7functorINS0_6detail15normal_iteratorINS0_10device_ptrIsEEEENS7_INS0_7pointerIsNS1_3tagENS0_11use_defaultESD_EEEEEElLj1EEEvT0_T1_SI_
	.globl	_ZN6thrust23THRUST_200600_302600_NS11hip_rocprim14__parallel_for6kernelILj256ENS1_20__uninitialized_copy7functorINS0_6detail15normal_iteratorINS0_10device_ptrIsEEEENS7_INS0_7pointerIsNS1_3tagENS0_11use_defaultESD_EEEEEElLj1EEEvT0_T1_SI_
	.p2align	8
	.type	_ZN6thrust23THRUST_200600_302600_NS11hip_rocprim14__parallel_for6kernelILj256ENS1_20__uninitialized_copy7functorINS0_6detail15normal_iteratorINS0_10device_ptrIsEEEENS7_INS0_7pointerIsNS1_3tagENS0_11use_defaultESD_EEEEEElLj1EEEvT0_T1_SI_,@function
_ZN6thrust23THRUST_200600_302600_NS11hip_rocprim14__parallel_for6kernelILj256ENS1_20__uninitialized_copy7functorINS0_6detail15normal_iteratorINS0_10device_ptrIsEEEENS7_INS0_7pointerIsNS1_3tagENS0_11use_defaultESD_EEEEEElLj1EEEvT0_T1_SI_: ; @_ZN6thrust23THRUST_200600_302600_NS11hip_rocprim14__parallel_for6kernelILj256ENS1_20__uninitialized_copy7functorINS0_6detail15normal_iteratorINS0_10device_ptrIsEEEENS7_INS0_7pointerIsNS1_3tagENS0_11use_defaultESD_EEEEEElLj1EEEvT0_T1_SI_
; %bb.0:
	s_load_dwordx8 s[8:15], s[4:5], 0x0
	s_lshl_b32 s0, s6, 8
	v_mov_b32_e32 v2, 0x100
	v_mov_b32_e32 v3, 0
	s_waitcnt lgkmcnt(0)
	s_add_u32 s6, s0, s14
	s_addc_u32 s7, 0, s15
	s_sub_u32 s0, s12, s6
	s_subb_u32 s1, s13, s7
	v_cmp_lt_i64_e32 vcc, s[0:1], v[2:3]
	s_and_b64 s[2:3], vcc, exec
	s_cselect_b32 s0, s0, 0x100
	s_cmpk_lg_i32 s0, 0x100
	s_cbranch_scc0 .LBB139_4
; %bb.1:
	v_cmp_gt_u32_e32 vcc, s0, v0
	s_mov_b64 s[2:3], 0
	s_mov_b64 s[0:1], 0
                                        ; implicit-def: $vgpr2_vgpr3
                                        ; implicit-def: $vgpr4_vgpr5
	s_and_saveexec_b64 s[4:5], vcc
	s_xor_b64 s[4:5], exec, s[4:5]
; %bb.2:
	v_mov_b32_e32 v1, s7
	v_add_co_u32_e32 v2, vcc, s6, v0
	v_addc_co_u32_e32 v3, vcc, 0, v1, vcc
	v_lshlrev_b64 v[4:5], 1, v[2:3]
	v_mov_b32_e32 v1, s11
	v_add_co_u32_e32 v2, vcc, s10, v4
	v_addc_co_u32_e32 v3, vcc, v1, v5, vcc
	v_mov_b32_e32 v1, s9
	v_add_co_u32_e32 v4, vcc, s8, v4
	s_mov_b64 s[0:1], exec
	v_addc_co_u32_e32 v5, vcc, v1, v5, vcc
; %bb.3:
	s_or_b64 exec, exec, s[4:5]
	s_and_b64 vcc, exec, s[2:3]
	s_cbranch_vccnz .LBB139_5
	s_branch .LBB139_6
.LBB139_4:
	s_mov_b64 s[0:1], 0
                                        ; implicit-def: $vgpr2_vgpr3
                                        ; implicit-def: $vgpr4_vgpr5
	s_cbranch_execz .LBB139_6
.LBB139_5:
	v_mov_b32_e32 v1, s7
	v_add_co_u32_e32 v0, vcc, s6, v0
	v_addc_co_u32_e32 v1, vcc, 0, v1, vcc
	v_lshlrev_b64 v[0:1], 1, v[0:1]
	v_mov_b32_e32 v2, s9
	v_add_co_u32_e32 v4, vcc, s8, v0
	v_addc_co_u32_e32 v5, vcc, v2, v1, vcc
	v_mov_b32_e32 v3, s11
	v_add_co_u32_e32 v2, vcc, s10, v0
	v_addc_co_u32_e32 v3, vcc, v3, v1, vcc
	s_or_b64 s[0:1], s[0:1], exec
.LBB139_6:
	s_and_saveexec_b64 s[2:3], s[0:1]
	s_cbranch_execnz .LBB139_8
; %bb.7:
	s_endpgm
.LBB139_8:
	flat_load_ushort v0, v[4:5]
	s_waitcnt vmcnt(0) lgkmcnt(0)
	flat_store_short v[2:3], v0
	s_endpgm
	.section	.rodata,"a",@progbits
	.p2align	6, 0x0
	.amdhsa_kernel _ZN6thrust23THRUST_200600_302600_NS11hip_rocprim14__parallel_for6kernelILj256ENS1_20__uninitialized_copy7functorINS0_6detail15normal_iteratorINS0_10device_ptrIsEEEENS7_INS0_7pointerIsNS1_3tagENS0_11use_defaultESD_EEEEEElLj1EEEvT0_T1_SI_
		.amdhsa_group_segment_fixed_size 0
		.amdhsa_private_segment_fixed_size 0
		.amdhsa_kernarg_size 32
		.amdhsa_user_sgpr_count 6
		.amdhsa_user_sgpr_private_segment_buffer 1
		.amdhsa_user_sgpr_dispatch_ptr 0
		.amdhsa_user_sgpr_queue_ptr 0
		.amdhsa_user_sgpr_kernarg_segment_ptr 1
		.amdhsa_user_sgpr_dispatch_id 0
		.amdhsa_user_sgpr_flat_scratch_init 0
		.amdhsa_user_sgpr_kernarg_preload_length 0
		.amdhsa_user_sgpr_kernarg_preload_offset 0
		.amdhsa_user_sgpr_private_segment_size 0
		.amdhsa_uses_dynamic_stack 0
		.amdhsa_system_sgpr_private_segment_wavefront_offset 0
		.amdhsa_system_sgpr_workgroup_id_x 1
		.amdhsa_system_sgpr_workgroup_id_y 0
		.amdhsa_system_sgpr_workgroup_id_z 0
		.amdhsa_system_sgpr_workgroup_info 0
		.amdhsa_system_vgpr_workitem_id 0
		.amdhsa_next_free_vgpr 6
		.amdhsa_next_free_sgpr 16
		.amdhsa_accum_offset 8
		.amdhsa_reserve_vcc 1
		.amdhsa_reserve_flat_scratch 0
		.amdhsa_float_round_mode_32 0
		.amdhsa_float_round_mode_16_64 0
		.amdhsa_float_denorm_mode_32 3
		.amdhsa_float_denorm_mode_16_64 3
		.amdhsa_dx10_clamp 1
		.amdhsa_ieee_mode 1
		.amdhsa_fp16_overflow 0
		.amdhsa_tg_split 0
		.amdhsa_exception_fp_ieee_invalid_op 0
		.amdhsa_exception_fp_denorm_src 0
		.amdhsa_exception_fp_ieee_div_zero 0
		.amdhsa_exception_fp_ieee_overflow 0
		.amdhsa_exception_fp_ieee_underflow 0
		.amdhsa_exception_fp_ieee_inexact 0
		.amdhsa_exception_int_div_zero 0
	.end_amdhsa_kernel
	.section	.text._ZN6thrust23THRUST_200600_302600_NS11hip_rocprim14__parallel_for6kernelILj256ENS1_20__uninitialized_copy7functorINS0_6detail15normal_iteratorINS0_10device_ptrIsEEEENS7_INS0_7pointerIsNS1_3tagENS0_11use_defaultESD_EEEEEElLj1EEEvT0_T1_SI_,"axG",@progbits,_ZN6thrust23THRUST_200600_302600_NS11hip_rocprim14__parallel_for6kernelILj256ENS1_20__uninitialized_copy7functorINS0_6detail15normal_iteratorINS0_10device_ptrIsEEEENS7_INS0_7pointerIsNS1_3tagENS0_11use_defaultESD_EEEEEElLj1EEEvT0_T1_SI_,comdat
.Lfunc_end139:
	.size	_ZN6thrust23THRUST_200600_302600_NS11hip_rocprim14__parallel_for6kernelILj256ENS1_20__uninitialized_copy7functorINS0_6detail15normal_iteratorINS0_10device_ptrIsEEEENS7_INS0_7pointerIsNS1_3tagENS0_11use_defaultESD_EEEEEElLj1EEEvT0_T1_SI_, .Lfunc_end139-_ZN6thrust23THRUST_200600_302600_NS11hip_rocprim14__parallel_for6kernelILj256ENS1_20__uninitialized_copy7functorINS0_6detail15normal_iteratorINS0_10device_ptrIsEEEENS7_INS0_7pointerIsNS1_3tagENS0_11use_defaultESD_EEEEEElLj1EEEvT0_T1_SI_
                                        ; -- End function
	.section	.AMDGPU.csdata,"",@progbits
; Kernel info:
; codeLenInByte = 244
; NumSgprs: 20
; NumVgprs: 6
; NumAgprs: 0
; TotalNumVgprs: 6
; ScratchSize: 0
; MemoryBound: 0
; FloatMode: 240
; IeeeMode: 1
; LDSByteSize: 0 bytes/workgroup (compile time only)
; SGPRBlocks: 2
; VGPRBlocks: 0
; NumSGPRsForWavesPerEU: 20
; NumVGPRsForWavesPerEU: 6
; AccumOffset: 8
; Occupancy: 8
; WaveLimiterHint : 0
; COMPUTE_PGM_RSRC2:SCRATCH_EN: 0
; COMPUTE_PGM_RSRC2:USER_SGPR: 6
; COMPUTE_PGM_RSRC2:TRAP_HANDLER: 0
; COMPUTE_PGM_RSRC2:TGID_X_EN: 1
; COMPUTE_PGM_RSRC2:TGID_Y_EN: 0
; COMPUTE_PGM_RSRC2:TGID_Z_EN: 0
; COMPUTE_PGM_RSRC2:TIDIG_COMP_CNT: 0
; COMPUTE_PGM_RSRC3_GFX90A:ACCUM_OFFSET: 1
; COMPUTE_PGM_RSRC3_GFX90A:TG_SPLIT: 0
	.section	.text._ZN7rocprim17ROCPRIM_400000_NS6detail17trampoline_kernelINS0_14default_configENS1_25partition_config_selectorILNS1_17partition_subalgoE3EsNS0_10empty_typeEbEEZZNS1_14partition_implILS5_3ELb0ES3_jN6thrust23THRUST_200600_302600_NS6detail15normal_iteratorINSA_7pointerIsNSA_11hip_rocprim3tagENSA_11use_defaultESG_EEEEPS6_SJ_NS0_5tupleIJPsSJ_EEENSK_IJSJ_SJ_EEES6_PlJ7is_evenIsEEEE10hipError_tPvRmT3_T4_T5_T6_T7_T9_mT8_P12ihipStream_tbDpT10_ENKUlT_T0_E_clISt17integral_constantIbLb0EES1A_EEDaS15_S16_EUlS15_E_NS1_11comp_targetILNS1_3genE0ELNS1_11target_archE4294967295ELNS1_3gpuE0ELNS1_3repE0EEENS1_30default_config_static_selectorELNS0_4arch9wavefront6targetE1EEEvT1_,"axG",@progbits,_ZN7rocprim17ROCPRIM_400000_NS6detail17trampoline_kernelINS0_14default_configENS1_25partition_config_selectorILNS1_17partition_subalgoE3EsNS0_10empty_typeEbEEZZNS1_14partition_implILS5_3ELb0ES3_jN6thrust23THRUST_200600_302600_NS6detail15normal_iteratorINSA_7pointerIsNSA_11hip_rocprim3tagENSA_11use_defaultESG_EEEEPS6_SJ_NS0_5tupleIJPsSJ_EEENSK_IJSJ_SJ_EEES6_PlJ7is_evenIsEEEE10hipError_tPvRmT3_T4_T5_T6_T7_T9_mT8_P12ihipStream_tbDpT10_ENKUlT_T0_E_clISt17integral_constantIbLb0EES1A_EEDaS15_S16_EUlS15_E_NS1_11comp_targetILNS1_3genE0ELNS1_11target_archE4294967295ELNS1_3gpuE0ELNS1_3repE0EEENS1_30default_config_static_selectorELNS0_4arch9wavefront6targetE1EEEvT1_,comdat
	.protected	_ZN7rocprim17ROCPRIM_400000_NS6detail17trampoline_kernelINS0_14default_configENS1_25partition_config_selectorILNS1_17partition_subalgoE3EsNS0_10empty_typeEbEEZZNS1_14partition_implILS5_3ELb0ES3_jN6thrust23THRUST_200600_302600_NS6detail15normal_iteratorINSA_7pointerIsNSA_11hip_rocprim3tagENSA_11use_defaultESG_EEEEPS6_SJ_NS0_5tupleIJPsSJ_EEENSK_IJSJ_SJ_EEES6_PlJ7is_evenIsEEEE10hipError_tPvRmT3_T4_T5_T6_T7_T9_mT8_P12ihipStream_tbDpT10_ENKUlT_T0_E_clISt17integral_constantIbLb0EES1A_EEDaS15_S16_EUlS15_E_NS1_11comp_targetILNS1_3genE0ELNS1_11target_archE4294967295ELNS1_3gpuE0ELNS1_3repE0EEENS1_30default_config_static_selectorELNS0_4arch9wavefront6targetE1EEEvT1_ ; -- Begin function _ZN7rocprim17ROCPRIM_400000_NS6detail17trampoline_kernelINS0_14default_configENS1_25partition_config_selectorILNS1_17partition_subalgoE3EsNS0_10empty_typeEbEEZZNS1_14partition_implILS5_3ELb0ES3_jN6thrust23THRUST_200600_302600_NS6detail15normal_iteratorINSA_7pointerIsNSA_11hip_rocprim3tagENSA_11use_defaultESG_EEEEPS6_SJ_NS0_5tupleIJPsSJ_EEENSK_IJSJ_SJ_EEES6_PlJ7is_evenIsEEEE10hipError_tPvRmT3_T4_T5_T6_T7_T9_mT8_P12ihipStream_tbDpT10_ENKUlT_T0_E_clISt17integral_constantIbLb0EES1A_EEDaS15_S16_EUlS15_E_NS1_11comp_targetILNS1_3genE0ELNS1_11target_archE4294967295ELNS1_3gpuE0ELNS1_3repE0EEENS1_30default_config_static_selectorELNS0_4arch9wavefront6targetE1EEEvT1_
	.globl	_ZN7rocprim17ROCPRIM_400000_NS6detail17trampoline_kernelINS0_14default_configENS1_25partition_config_selectorILNS1_17partition_subalgoE3EsNS0_10empty_typeEbEEZZNS1_14partition_implILS5_3ELb0ES3_jN6thrust23THRUST_200600_302600_NS6detail15normal_iteratorINSA_7pointerIsNSA_11hip_rocprim3tagENSA_11use_defaultESG_EEEEPS6_SJ_NS0_5tupleIJPsSJ_EEENSK_IJSJ_SJ_EEES6_PlJ7is_evenIsEEEE10hipError_tPvRmT3_T4_T5_T6_T7_T9_mT8_P12ihipStream_tbDpT10_ENKUlT_T0_E_clISt17integral_constantIbLb0EES1A_EEDaS15_S16_EUlS15_E_NS1_11comp_targetILNS1_3genE0ELNS1_11target_archE4294967295ELNS1_3gpuE0ELNS1_3repE0EEENS1_30default_config_static_selectorELNS0_4arch9wavefront6targetE1EEEvT1_
	.p2align	8
	.type	_ZN7rocprim17ROCPRIM_400000_NS6detail17trampoline_kernelINS0_14default_configENS1_25partition_config_selectorILNS1_17partition_subalgoE3EsNS0_10empty_typeEbEEZZNS1_14partition_implILS5_3ELb0ES3_jN6thrust23THRUST_200600_302600_NS6detail15normal_iteratorINSA_7pointerIsNSA_11hip_rocprim3tagENSA_11use_defaultESG_EEEEPS6_SJ_NS0_5tupleIJPsSJ_EEENSK_IJSJ_SJ_EEES6_PlJ7is_evenIsEEEE10hipError_tPvRmT3_T4_T5_T6_T7_T9_mT8_P12ihipStream_tbDpT10_ENKUlT_T0_E_clISt17integral_constantIbLb0EES1A_EEDaS15_S16_EUlS15_E_NS1_11comp_targetILNS1_3genE0ELNS1_11target_archE4294967295ELNS1_3gpuE0ELNS1_3repE0EEENS1_30default_config_static_selectorELNS0_4arch9wavefront6targetE1EEEvT1_,@function
_ZN7rocprim17ROCPRIM_400000_NS6detail17trampoline_kernelINS0_14default_configENS1_25partition_config_selectorILNS1_17partition_subalgoE3EsNS0_10empty_typeEbEEZZNS1_14partition_implILS5_3ELb0ES3_jN6thrust23THRUST_200600_302600_NS6detail15normal_iteratorINSA_7pointerIsNSA_11hip_rocprim3tagENSA_11use_defaultESG_EEEEPS6_SJ_NS0_5tupleIJPsSJ_EEENSK_IJSJ_SJ_EEES6_PlJ7is_evenIsEEEE10hipError_tPvRmT3_T4_T5_T6_T7_T9_mT8_P12ihipStream_tbDpT10_ENKUlT_T0_E_clISt17integral_constantIbLb0EES1A_EEDaS15_S16_EUlS15_E_NS1_11comp_targetILNS1_3genE0ELNS1_11target_archE4294967295ELNS1_3gpuE0ELNS1_3repE0EEENS1_30default_config_static_selectorELNS0_4arch9wavefront6targetE1EEEvT1_: ; @_ZN7rocprim17ROCPRIM_400000_NS6detail17trampoline_kernelINS0_14default_configENS1_25partition_config_selectorILNS1_17partition_subalgoE3EsNS0_10empty_typeEbEEZZNS1_14partition_implILS5_3ELb0ES3_jN6thrust23THRUST_200600_302600_NS6detail15normal_iteratorINSA_7pointerIsNSA_11hip_rocprim3tagENSA_11use_defaultESG_EEEEPS6_SJ_NS0_5tupleIJPsSJ_EEENSK_IJSJ_SJ_EEES6_PlJ7is_evenIsEEEE10hipError_tPvRmT3_T4_T5_T6_T7_T9_mT8_P12ihipStream_tbDpT10_ENKUlT_T0_E_clISt17integral_constantIbLb0EES1A_EEDaS15_S16_EUlS15_E_NS1_11comp_targetILNS1_3genE0ELNS1_11target_archE4294967295ELNS1_3gpuE0ELNS1_3repE0EEENS1_30default_config_static_selectorELNS0_4arch9wavefront6targetE1EEEvT1_
; %bb.0:
	.section	.rodata,"a",@progbits
	.p2align	6, 0x0
	.amdhsa_kernel _ZN7rocprim17ROCPRIM_400000_NS6detail17trampoline_kernelINS0_14default_configENS1_25partition_config_selectorILNS1_17partition_subalgoE3EsNS0_10empty_typeEbEEZZNS1_14partition_implILS5_3ELb0ES3_jN6thrust23THRUST_200600_302600_NS6detail15normal_iteratorINSA_7pointerIsNSA_11hip_rocprim3tagENSA_11use_defaultESG_EEEEPS6_SJ_NS0_5tupleIJPsSJ_EEENSK_IJSJ_SJ_EEES6_PlJ7is_evenIsEEEE10hipError_tPvRmT3_T4_T5_T6_T7_T9_mT8_P12ihipStream_tbDpT10_ENKUlT_T0_E_clISt17integral_constantIbLb0EES1A_EEDaS15_S16_EUlS15_E_NS1_11comp_targetILNS1_3genE0ELNS1_11target_archE4294967295ELNS1_3gpuE0ELNS1_3repE0EEENS1_30default_config_static_selectorELNS0_4arch9wavefront6targetE1EEEvT1_
		.amdhsa_group_segment_fixed_size 0
		.amdhsa_private_segment_fixed_size 0
		.amdhsa_kernarg_size 120
		.amdhsa_user_sgpr_count 6
		.amdhsa_user_sgpr_private_segment_buffer 1
		.amdhsa_user_sgpr_dispatch_ptr 0
		.amdhsa_user_sgpr_queue_ptr 0
		.amdhsa_user_sgpr_kernarg_segment_ptr 1
		.amdhsa_user_sgpr_dispatch_id 0
		.amdhsa_user_sgpr_flat_scratch_init 0
		.amdhsa_user_sgpr_kernarg_preload_length 0
		.amdhsa_user_sgpr_kernarg_preload_offset 0
		.amdhsa_user_sgpr_private_segment_size 0
		.amdhsa_uses_dynamic_stack 0
		.amdhsa_system_sgpr_private_segment_wavefront_offset 0
		.amdhsa_system_sgpr_workgroup_id_x 1
		.amdhsa_system_sgpr_workgroup_id_y 0
		.amdhsa_system_sgpr_workgroup_id_z 0
		.amdhsa_system_sgpr_workgroup_info 0
		.amdhsa_system_vgpr_workitem_id 0
		.amdhsa_next_free_vgpr 1
		.amdhsa_next_free_sgpr 0
		.amdhsa_accum_offset 4
		.amdhsa_reserve_vcc 0
		.amdhsa_reserve_flat_scratch 0
		.amdhsa_float_round_mode_32 0
		.amdhsa_float_round_mode_16_64 0
		.amdhsa_float_denorm_mode_32 3
		.amdhsa_float_denorm_mode_16_64 3
		.amdhsa_dx10_clamp 1
		.amdhsa_ieee_mode 1
		.amdhsa_fp16_overflow 0
		.amdhsa_tg_split 0
		.amdhsa_exception_fp_ieee_invalid_op 0
		.amdhsa_exception_fp_denorm_src 0
		.amdhsa_exception_fp_ieee_div_zero 0
		.amdhsa_exception_fp_ieee_overflow 0
		.amdhsa_exception_fp_ieee_underflow 0
		.amdhsa_exception_fp_ieee_inexact 0
		.amdhsa_exception_int_div_zero 0
	.end_amdhsa_kernel
	.section	.text._ZN7rocprim17ROCPRIM_400000_NS6detail17trampoline_kernelINS0_14default_configENS1_25partition_config_selectorILNS1_17partition_subalgoE3EsNS0_10empty_typeEbEEZZNS1_14partition_implILS5_3ELb0ES3_jN6thrust23THRUST_200600_302600_NS6detail15normal_iteratorINSA_7pointerIsNSA_11hip_rocprim3tagENSA_11use_defaultESG_EEEEPS6_SJ_NS0_5tupleIJPsSJ_EEENSK_IJSJ_SJ_EEES6_PlJ7is_evenIsEEEE10hipError_tPvRmT3_T4_T5_T6_T7_T9_mT8_P12ihipStream_tbDpT10_ENKUlT_T0_E_clISt17integral_constantIbLb0EES1A_EEDaS15_S16_EUlS15_E_NS1_11comp_targetILNS1_3genE0ELNS1_11target_archE4294967295ELNS1_3gpuE0ELNS1_3repE0EEENS1_30default_config_static_selectorELNS0_4arch9wavefront6targetE1EEEvT1_,"axG",@progbits,_ZN7rocprim17ROCPRIM_400000_NS6detail17trampoline_kernelINS0_14default_configENS1_25partition_config_selectorILNS1_17partition_subalgoE3EsNS0_10empty_typeEbEEZZNS1_14partition_implILS5_3ELb0ES3_jN6thrust23THRUST_200600_302600_NS6detail15normal_iteratorINSA_7pointerIsNSA_11hip_rocprim3tagENSA_11use_defaultESG_EEEEPS6_SJ_NS0_5tupleIJPsSJ_EEENSK_IJSJ_SJ_EEES6_PlJ7is_evenIsEEEE10hipError_tPvRmT3_T4_T5_T6_T7_T9_mT8_P12ihipStream_tbDpT10_ENKUlT_T0_E_clISt17integral_constantIbLb0EES1A_EEDaS15_S16_EUlS15_E_NS1_11comp_targetILNS1_3genE0ELNS1_11target_archE4294967295ELNS1_3gpuE0ELNS1_3repE0EEENS1_30default_config_static_selectorELNS0_4arch9wavefront6targetE1EEEvT1_,comdat
.Lfunc_end140:
	.size	_ZN7rocprim17ROCPRIM_400000_NS6detail17trampoline_kernelINS0_14default_configENS1_25partition_config_selectorILNS1_17partition_subalgoE3EsNS0_10empty_typeEbEEZZNS1_14partition_implILS5_3ELb0ES3_jN6thrust23THRUST_200600_302600_NS6detail15normal_iteratorINSA_7pointerIsNSA_11hip_rocprim3tagENSA_11use_defaultESG_EEEEPS6_SJ_NS0_5tupleIJPsSJ_EEENSK_IJSJ_SJ_EEES6_PlJ7is_evenIsEEEE10hipError_tPvRmT3_T4_T5_T6_T7_T9_mT8_P12ihipStream_tbDpT10_ENKUlT_T0_E_clISt17integral_constantIbLb0EES1A_EEDaS15_S16_EUlS15_E_NS1_11comp_targetILNS1_3genE0ELNS1_11target_archE4294967295ELNS1_3gpuE0ELNS1_3repE0EEENS1_30default_config_static_selectorELNS0_4arch9wavefront6targetE1EEEvT1_, .Lfunc_end140-_ZN7rocprim17ROCPRIM_400000_NS6detail17trampoline_kernelINS0_14default_configENS1_25partition_config_selectorILNS1_17partition_subalgoE3EsNS0_10empty_typeEbEEZZNS1_14partition_implILS5_3ELb0ES3_jN6thrust23THRUST_200600_302600_NS6detail15normal_iteratorINSA_7pointerIsNSA_11hip_rocprim3tagENSA_11use_defaultESG_EEEEPS6_SJ_NS0_5tupleIJPsSJ_EEENSK_IJSJ_SJ_EEES6_PlJ7is_evenIsEEEE10hipError_tPvRmT3_T4_T5_T6_T7_T9_mT8_P12ihipStream_tbDpT10_ENKUlT_T0_E_clISt17integral_constantIbLb0EES1A_EEDaS15_S16_EUlS15_E_NS1_11comp_targetILNS1_3genE0ELNS1_11target_archE4294967295ELNS1_3gpuE0ELNS1_3repE0EEENS1_30default_config_static_selectorELNS0_4arch9wavefront6targetE1EEEvT1_
                                        ; -- End function
	.section	.AMDGPU.csdata,"",@progbits
; Kernel info:
; codeLenInByte = 0
; NumSgprs: 4
; NumVgprs: 0
; NumAgprs: 0
; TotalNumVgprs: 0
; ScratchSize: 0
; MemoryBound: 0
; FloatMode: 240
; IeeeMode: 1
; LDSByteSize: 0 bytes/workgroup (compile time only)
; SGPRBlocks: 0
; VGPRBlocks: 0
; NumSGPRsForWavesPerEU: 4
; NumVGPRsForWavesPerEU: 1
; AccumOffset: 4
; Occupancy: 8
; WaveLimiterHint : 0
; COMPUTE_PGM_RSRC2:SCRATCH_EN: 0
; COMPUTE_PGM_RSRC2:USER_SGPR: 6
; COMPUTE_PGM_RSRC2:TRAP_HANDLER: 0
; COMPUTE_PGM_RSRC2:TGID_X_EN: 1
; COMPUTE_PGM_RSRC2:TGID_Y_EN: 0
; COMPUTE_PGM_RSRC2:TGID_Z_EN: 0
; COMPUTE_PGM_RSRC2:TIDIG_COMP_CNT: 0
; COMPUTE_PGM_RSRC3_GFX90A:ACCUM_OFFSET: 0
; COMPUTE_PGM_RSRC3_GFX90A:TG_SPLIT: 0
	.section	.text._ZN7rocprim17ROCPRIM_400000_NS6detail17trampoline_kernelINS0_14default_configENS1_25partition_config_selectorILNS1_17partition_subalgoE3EsNS0_10empty_typeEbEEZZNS1_14partition_implILS5_3ELb0ES3_jN6thrust23THRUST_200600_302600_NS6detail15normal_iteratorINSA_7pointerIsNSA_11hip_rocprim3tagENSA_11use_defaultESG_EEEEPS6_SJ_NS0_5tupleIJPsSJ_EEENSK_IJSJ_SJ_EEES6_PlJ7is_evenIsEEEE10hipError_tPvRmT3_T4_T5_T6_T7_T9_mT8_P12ihipStream_tbDpT10_ENKUlT_T0_E_clISt17integral_constantIbLb0EES1A_EEDaS15_S16_EUlS15_E_NS1_11comp_targetILNS1_3genE5ELNS1_11target_archE942ELNS1_3gpuE9ELNS1_3repE0EEENS1_30default_config_static_selectorELNS0_4arch9wavefront6targetE1EEEvT1_,"axG",@progbits,_ZN7rocprim17ROCPRIM_400000_NS6detail17trampoline_kernelINS0_14default_configENS1_25partition_config_selectorILNS1_17partition_subalgoE3EsNS0_10empty_typeEbEEZZNS1_14partition_implILS5_3ELb0ES3_jN6thrust23THRUST_200600_302600_NS6detail15normal_iteratorINSA_7pointerIsNSA_11hip_rocprim3tagENSA_11use_defaultESG_EEEEPS6_SJ_NS0_5tupleIJPsSJ_EEENSK_IJSJ_SJ_EEES6_PlJ7is_evenIsEEEE10hipError_tPvRmT3_T4_T5_T6_T7_T9_mT8_P12ihipStream_tbDpT10_ENKUlT_T0_E_clISt17integral_constantIbLb0EES1A_EEDaS15_S16_EUlS15_E_NS1_11comp_targetILNS1_3genE5ELNS1_11target_archE942ELNS1_3gpuE9ELNS1_3repE0EEENS1_30default_config_static_selectorELNS0_4arch9wavefront6targetE1EEEvT1_,comdat
	.protected	_ZN7rocprim17ROCPRIM_400000_NS6detail17trampoline_kernelINS0_14default_configENS1_25partition_config_selectorILNS1_17partition_subalgoE3EsNS0_10empty_typeEbEEZZNS1_14partition_implILS5_3ELb0ES3_jN6thrust23THRUST_200600_302600_NS6detail15normal_iteratorINSA_7pointerIsNSA_11hip_rocprim3tagENSA_11use_defaultESG_EEEEPS6_SJ_NS0_5tupleIJPsSJ_EEENSK_IJSJ_SJ_EEES6_PlJ7is_evenIsEEEE10hipError_tPvRmT3_T4_T5_T6_T7_T9_mT8_P12ihipStream_tbDpT10_ENKUlT_T0_E_clISt17integral_constantIbLb0EES1A_EEDaS15_S16_EUlS15_E_NS1_11comp_targetILNS1_3genE5ELNS1_11target_archE942ELNS1_3gpuE9ELNS1_3repE0EEENS1_30default_config_static_selectorELNS0_4arch9wavefront6targetE1EEEvT1_ ; -- Begin function _ZN7rocprim17ROCPRIM_400000_NS6detail17trampoline_kernelINS0_14default_configENS1_25partition_config_selectorILNS1_17partition_subalgoE3EsNS0_10empty_typeEbEEZZNS1_14partition_implILS5_3ELb0ES3_jN6thrust23THRUST_200600_302600_NS6detail15normal_iteratorINSA_7pointerIsNSA_11hip_rocprim3tagENSA_11use_defaultESG_EEEEPS6_SJ_NS0_5tupleIJPsSJ_EEENSK_IJSJ_SJ_EEES6_PlJ7is_evenIsEEEE10hipError_tPvRmT3_T4_T5_T6_T7_T9_mT8_P12ihipStream_tbDpT10_ENKUlT_T0_E_clISt17integral_constantIbLb0EES1A_EEDaS15_S16_EUlS15_E_NS1_11comp_targetILNS1_3genE5ELNS1_11target_archE942ELNS1_3gpuE9ELNS1_3repE0EEENS1_30default_config_static_selectorELNS0_4arch9wavefront6targetE1EEEvT1_
	.globl	_ZN7rocprim17ROCPRIM_400000_NS6detail17trampoline_kernelINS0_14default_configENS1_25partition_config_selectorILNS1_17partition_subalgoE3EsNS0_10empty_typeEbEEZZNS1_14partition_implILS5_3ELb0ES3_jN6thrust23THRUST_200600_302600_NS6detail15normal_iteratorINSA_7pointerIsNSA_11hip_rocprim3tagENSA_11use_defaultESG_EEEEPS6_SJ_NS0_5tupleIJPsSJ_EEENSK_IJSJ_SJ_EEES6_PlJ7is_evenIsEEEE10hipError_tPvRmT3_T4_T5_T6_T7_T9_mT8_P12ihipStream_tbDpT10_ENKUlT_T0_E_clISt17integral_constantIbLb0EES1A_EEDaS15_S16_EUlS15_E_NS1_11comp_targetILNS1_3genE5ELNS1_11target_archE942ELNS1_3gpuE9ELNS1_3repE0EEENS1_30default_config_static_selectorELNS0_4arch9wavefront6targetE1EEEvT1_
	.p2align	8
	.type	_ZN7rocprim17ROCPRIM_400000_NS6detail17trampoline_kernelINS0_14default_configENS1_25partition_config_selectorILNS1_17partition_subalgoE3EsNS0_10empty_typeEbEEZZNS1_14partition_implILS5_3ELb0ES3_jN6thrust23THRUST_200600_302600_NS6detail15normal_iteratorINSA_7pointerIsNSA_11hip_rocprim3tagENSA_11use_defaultESG_EEEEPS6_SJ_NS0_5tupleIJPsSJ_EEENSK_IJSJ_SJ_EEES6_PlJ7is_evenIsEEEE10hipError_tPvRmT3_T4_T5_T6_T7_T9_mT8_P12ihipStream_tbDpT10_ENKUlT_T0_E_clISt17integral_constantIbLb0EES1A_EEDaS15_S16_EUlS15_E_NS1_11comp_targetILNS1_3genE5ELNS1_11target_archE942ELNS1_3gpuE9ELNS1_3repE0EEENS1_30default_config_static_selectorELNS0_4arch9wavefront6targetE1EEEvT1_,@function
_ZN7rocprim17ROCPRIM_400000_NS6detail17trampoline_kernelINS0_14default_configENS1_25partition_config_selectorILNS1_17partition_subalgoE3EsNS0_10empty_typeEbEEZZNS1_14partition_implILS5_3ELb0ES3_jN6thrust23THRUST_200600_302600_NS6detail15normal_iteratorINSA_7pointerIsNSA_11hip_rocprim3tagENSA_11use_defaultESG_EEEEPS6_SJ_NS0_5tupleIJPsSJ_EEENSK_IJSJ_SJ_EEES6_PlJ7is_evenIsEEEE10hipError_tPvRmT3_T4_T5_T6_T7_T9_mT8_P12ihipStream_tbDpT10_ENKUlT_T0_E_clISt17integral_constantIbLb0EES1A_EEDaS15_S16_EUlS15_E_NS1_11comp_targetILNS1_3genE5ELNS1_11target_archE942ELNS1_3gpuE9ELNS1_3repE0EEENS1_30default_config_static_selectorELNS0_4arch9wavefront6targetE1EEEvT1_: ; @_ZN7rocprim17ROCPRIM_400000_NS6detail17trampoline_kernelINS0_14default_configENS1_25partition_config_selectorILNS1_17partition_subalgoE3EsNS0_10empty_typeEbEEZZNS1_14partition_implILS5_3ELb0ES3_jN6thrust23THRUST_200600_302600_NS6detail15normal_iteratorINSA_7pointerIsNSA_11hip_rocprim3tagENSA_11use_defaultESG_EEEEPS6_SJ_NS0_5tupleIJPsSJ_EEENSK_IJSJ_SJ_EEES6_PlJ7is_evenIsEEEE10hipError_tPvRmT3_T4_T5_T6_T7_T9_mT8_P12ihipStream_tbDpT10_ENKUlT_T0_E_clISt17integral_constantIbLb0EES1A_EEDaS15_S16_EUlS15_E_NS1_11comp_targetILNS1_3genE5ELNS1_11target_archE942ELNS1_3gpuE9ELNS1_3repE0EEENS1_30default_config_static_selectorELNS0_4arch9wavefront6targetE1EEEvT1_
; %bb.0:
	.section	.rodata,"a",@progbits
	.p2align	6, 0x0
	.amdhsa_kernel _ZN7rocprim17ROCPRIM_400000_NS6detail17trampoline_kernelINS0_14default_configENS1_25partition_config_selectorILNS1_17partition_subalgoE3EsNS0_10empty_typeEbEEZZNS1_14partition_implILS5_3ELb0ES3_jN6thrust23THRUST_200600_302600_NS6detail15normal_iteratorINSA_7pointerIsNSA_11hip_rocprim3tagENSA_11use_defaultESG_EEEEPS6_SJ_NS0_5tupleIJPsSJ_EEENSK_IJSJ_SJ_EEES6_PlJ7is_evenIsEEEE10hipError_tPvRmT3_T4_T5_T6_T7_T9_mT8_P12ihipStream_tbDpT10_ENKUlT_T0_E_clISt17integral_constantIbLb0EES1A_EEDaS15_S16_EUlS15_E_NS1_11comp_targetILNS1_3genE5ELNS1_11target_archE942ELNS1_3gpuE9ELNS1_3repE0EEENS1_30default_config_static_selectorELNS0_4arch9wavefront6targetE1EEEvT1_
		.amdhsa_group_segment_fixed_size 0
		.amdhsa_private_segment_fixed_size 0
		.amdhsa_kernarg_size 120
		.amdhsa_user_sgpr_count 6
		.amdhsa_user_sgpr_private_segment_buffer 1
		.amdhsa_user_sgpr_dispatch_ptr 0
		.amdhsa_user_sgpr_queue_ptr 0
		.amdhsa_user_sgpr_kernarg_segment_ptr 1
		.amdhsa_user_sgpr_dispatch_id 0
		.amdhsa_user_sgpr_flat_scratch_init 0
		.amdhsa_user_sgpr_kernarg_preload_length 0
		.amdhsa_user_sgpr_kernarg_preload_offset 0
		.amdhsa_user_sgpr_private_segment_size 0
		.amdhsa_uses_dynamic_stack 0
		.amdhsa_system_sgpr_private_segment_wavefront_offset 0
		.amdhsa_system_sgpr_workgroup_id_x 1
		.amdhsa_system_sgpr_workgroup_id_y 0
		.amdhsa_system_sgpr_workgroup_id_z 0
		.amdhsa_system_sgpr_workgroup_info 0
		.amdhsa_system_vgpr_workitem_id 0
		.amdhsa_next_free_vgpr 1
		.amdhsa_next_free_sgpr 0
		.amdhsa_accum_offset 4
		.amdhsa_reserve_vcc 0
		.amdhsa_reserve_flat_scratch 0
		.amdhsa_float_round_mode_32 0
		.amdhsa_float_round_mode_16_64 0
		.amdhsa_float_denorm_mode_32 3
		.amdhsa_float_denorm_mode_16_64 3
		.amdhsa_dx10_clamp 1
		.amdhsa_ieee_mode 1
		.amdhsa_fp16_overflow 0
		.amdhsa_tg_split 0
		.amdhsa_exception_fp_ieee_invalid_op 0
		.amdhsa_exception_fp_denorm_src 0
		.amdhsa_exception_fp_ieee_div_zero 0
		.amdhsa_exception_fp_ieee_overflow 0
		.amdhsa_exception_fp_ieee_underflow 0
		.amdhsa_exception_fp_ieee_inexact 0
		.amdhsa_exception_int_div_zero 0
	.end_amdhsa_kernel
	.section	.text._ZN7rocprim17ROCPRIM_400000_NS6detail17trampoline_kernelINS0_14default_configENS1_25partition_config_selectorILNS1_17partition_subalgoE3EsNS0_10empty_typeEbEEZZNS1_14partition_implILS5_3ELb0ES3_jN6thrust23THRUST_200600_302600_NS6detail15normal_iteratorINSA_7pointerIsNSA_11hip_rocprim3tagENSA_11use_defaultESG_EEEEPS6_SJ_NS0_5tupleIJPsSJ_EEENSK_IJSJ_SJ_EEES6_PlJ7is_evenIsEEEE10hipError_tPvRmT3_T4_T5_T6_T7_T9_mT8_P12ihipStream_tbDpT10_ENKUlT_T0_E_clISt17integral_constantIbLb0EES1A_EEDaS15_S16_EUlS15_E_NS1_11comp_targetILNS1_3genE5ELNS1_11target_archE942ELNS1_3gpuE9ELNS1_3repE0EEENS1_30default_config_static_selectorELNS0_4arch9wavefront6targetE1EEEvT1_,"axG",@progbits,_ZN7rocprim17ROCPRIM_400000_NS6detail17trampoline_kernelINS0_14default_configENS1_25partition_config_selectorILNS1_17partition_subalgoE3EsNS0_10empty_typeEbEEZZNS1_14partition_implILS5_3ELb0ES3_jN6thrust23THRUST_200600_302600_NS6detail15normal_iteratorINSA_7pointerIsNSA_11hip_rocprim3tagENSA_11use_defaultESG_EEEEPS6_SJ_NS0_5tupleIJPsSJ_EEENSK_IJSJ_SJ_EEES6_PlJ7is_evenIsEEEE10hipError_tPvRmT3_T4_T5_T6_T7_T9_mT8_P12ihipStream_tbDpT10_ENKUlT_T0_E_clISt17integral_constantIbLb0EES1A_EEDaS15_S16_EUlS15_E_NS1_11comp_targetILNS1_3genE5ELNS1_11target_archE942ELNS1_3gpuE9ELNS1_3repE0EEENS1_30default_config_static_selectorELNS0_4arch9wavefront6targetE1EEEvT1_,comdat
.Lfunc_end141:
	.size	_ZN7rocprim17ROCPRIM_400000_NS6detail17trampoline_kernelINS0_14default_configENS1_25partition_config_selectorILNS1_17partition_subalgoE3EsNS0_10empty_typeEbEEZZNS1_14partition_implILS5_3ELb0ES3_jN6thrust23THRUST_200600_302600_NS6detail15normal_iteratorINSA_7pointerIsNSA_11hip_rocprim3tagENSA_11use_defaultESG_EEEEPS6_SJ_NS0_5tupleIJPsSJ_EEENSK_IJSJ_SJ_EEES6_PlJ7is_evenIsEEEE10hipError_tPvRmT3_T4_T5_T6_T7_T9_mT8_P12ihipStream_tbDpT10_ENKUlT_T0_E_clISt17integral_constantIbLb0EES1A_EEDaS15_S16_EUlS15_E_NS1_11comp_targetILNS1_3genE5ELNS1_11target_archE942ELNS1_3gpuE9ELNS1_3repE0EEENS1_30default_config_static_selectorELNS0_4arch9wavefront6targetE1EEEvT1_, .Lfunc_end141-_ZN7rocprim17ROCPRIM_400000_NS6detail17trampoline_kernelINS0_14default_configENS1_25partition_config_selectorILNS1_17partition_subalgoE3EsNS0_10empty_typeEbEEZZNS1_14partition_implILS5_3ELb0ES3_jN6thrust23THRUST_200600_302600_NS6detail15normal_iteratorINSA_7pointerIsNSA_11hip_rocprim3tagENSA_11use_defaultESG_EEEEPS6_SJ_NS0_5tupleIJPsSJ_EEENSK_IJSJ_SJ_EEES6_PlJ7is_evenIsEEEE10hipError_tPvRmT3_T4_T5_T6_T7_T9_mT8_P12ihipStream_tbDpT10_ENKUlT_T0_E_clISt17integral_constantIbLb0EES1A_EEDaS15_S16_EUlS15_E_NS1_11comp_targetILNS1_3genE5ELNS1_11target_archE942ELNS1_3gpuE9ELNS1_3repE0EEENS1_30default_config_static_selectorELNS0_4arch9wavefront6targetE1EEEvT1_
                                        ; -- End function
	.section	.AMDGPU.csdata,"",@progbits
; Kernel info:
; codeLenInByte = 0
; NumSgprs: 4
; NumVgprs: 0
; NumAgprs: 0
; TotalNumVgprs: 0
; ScratchSize: 0
; MemoryBound: 0
; FloatMode: 240
; IeeeMode: 1
; LDSByteSize: 0 bytes/workgroup (compile time only)
; SGPRBlocks: 0
; VGPRBlocks: 0
; NumSGPRsForWavesPerEU: 4
; NumVGPRsForWavesPerEU: 1
; AccumOffset: 4
; Occupancy: 8
; WaveLimiterHint : 0
; COMPUTE_PGM_RSRC2:SCRATCH_EN: 0
; COMPUTE_PGM_RSRC2:USER_SGPR: 6
; COMPUTE_PGM_RSRC2:TRAP_HANDLER: 0
; COMPUTE_PGM_RSRC2:TGID_X_EN: 1
; COMPUTE_PGM_RSRC2:TGID_Y_EN: 0
; COMPUTE_PGM_RSRC2:TGID_Z_EN: 0
; COMPUTE_PGM_RSRC2:TIDIG_COMP_CNT: 0
; COMPUTE_PGM_RSRC3_GFX90A:ACCUM_OFFSET: 0
; COMPUTE_PGM_RSRC3_GFX90A:TG_SPLIT: 0
	.section	.text._ZN7rocprim17ROCPRIM_400000_NS6detail17trampoline_kernelINS0_14default_configENS1_25partition_config_selectorILNS1_17partition_subalgoE3EsNS0_10empty_typeEbEEZZNS1_14partition_implILS5_3ELb0ES3_jN6thrust23THRUST_200600_302600_NS6detail15normal_iteratorINSA_7pointerIsNSA_11hip_rocprim3tagENSA_11use_defaultESG_EEEEPS6_SJ_NS0_5tupleIJPsSJ_EEENSK_IJSJ_SJ_EEES6_PlJ7is_evenIsEEEE10hipError_tPvRmT3_T4_T5_T6_T7_T9_mT8_P12ihipStream_tbDpT10_ENKUlT_T0_E_clISt17integral_constantIbLb0EES1A_EEDaS15_S16_EUlS15_E_NS1_11comp_targetILNS1_3genE4ELNS1_11target_archE910ELNS1_3gpuE8ELNS1_3repE0EEENS1_30default_config_static_selectorELNS0_4arch9wavefront6targetE1EEEvT1_,"axG",@progbits,_ZN7rocprim17ROCPRIM_400000_NS6detail17trampoline_kernelINS0_14default_configENS1_25partition_config_selectorILNS1_17partition_subalgoE3EsNS0_10empty_typeEbEEZZNS1_14partition_implILS5_3ELb0ES3_jN6thrust23THRUST_200600_302600_NS6detail15normal_iteratorINSA_7pointerIsNSA_11hip_rocprim3tagENSA_11use_defaultESG_EEEEPS6_SJ_NS0_5tupleIJPsSJ_EEENSK_IJSJ_SJ_EEES6_PlJ7is_evenIsEEEE10hipError_tPvRmT3_T4_T5_T6_T7_T9_mT8_P12ihipStream_tbDpT10_ENKUlT_T0_E_clISt17integral_constantIbLb0EES1A_EEDaS15_S16_EUlS15_E_NS1_11comp_targetILNS1_3genE4ELNS1_11target_archE910ELNS1_3gpuE8ELNS1_3repE0EEENS1_30default_config_static_selectorELNS0_4arch9wavefront6targetE1EEEvT1_,comdat
	.protected	_ZN7rocprim17ROCPRIM_400000_NS6detail17trampoline_kernelINS0_14default_configENS1_25partition_config_selectorILNS1_17partition_subalgoE3EsNS0_10empty_typeEbEEZZNS1_14partition_implILS5_3ELb0ES3_jN6thrust23THRUST_200600_302600_NS6detail15normal_iteratorINSA_7pointerIsNSA_11hip_rocprim3tagENSA_11use_defaultESG_EEEEPS6_SJ_NS0_5tupleIJPsSJ_EEENSK_IJSJ_SJ_EEES6_PlJ7is_evenIsEEEE10hipError_tPvRmT3_T4_T5_T6_T7_T9_mT8_P12ihipStream_tbDpT10_ENKUlT_T0_E_clISt17integral_constantIbLb0EES1A_EEDaS15_S16_EUlS15_E_NS1_11comp_targetILNS1_3genE4ELNS1_11target_archE910ELNS1_3gpuE8ELNS1_3repE0EEENS1_30default_config_static_selectorELNS0_4arch9wavefront6targetE1EEEvT1_ ; -- Begin function _ZN7rocprim17ROCPRIM_400000_NS6detail17trampoline_kernelINS0_14default_configENS1_25partition_config_selectorILNS1_17partition_subalgoE3EsNS0_10empty_typeEbEEZZNS1_14partition_implILS5_3ELb0ES3_jN6thrust23THRUST_200600_302600_NS6detail15normal_iteratorINSA_7pointerIsNSA_11hip_rocprim3tagENSA_11use_defaultESG_EEEEPS6_SJ_NS0_5tupleIJPsSJ_EEENSK_IJSJ_SJ_EEES6_PlJ7is_evenIsEEEE10hipError_tPvRmT3_T4_T5_T6_T7_T9_mT8_P12ihipStream_tbDpT10_ENKUlT_T0_E_clISt17integral_constantIbLb0EES1A_EEDaS15_S16_EUlS15_E_NS1_11comp_targetILNS1_3genE4ELNS1_11target_archE910ELNS1_3gpuE8ELNS1_3repE0EEENS1_30default_config_static_selectorELNS0_4arch9wavefront6targetE1EEEvT1_
	.globl	_ZN7rocprim17ROCPRIM_400000_NS6detail17trampoline_kernelINS0_14default_configENS1_25partition_config_selectorILNS1_17partition_subalgoE3EsNS0_10empty_typeEbEEZZNS1_14partition_implILS5_3ELb0ES3_jN6thrust23THRUST_200600_302600_NS6detail15normal_iteratorINSA_7pointerIsNSA_11hip_rocprim3tagENSA_11use_defaultESG_EEEEPS6_SJ_NS0_5tupleIJPsSJ_EEENSK_IJSJ_SJ_EEES6_PlJ7is_evenIsEEEE10hipError_tPvRmT3_T4_T5_T6_T7_T9_mT8_P12ihipStream_tbDpT10_ENKUlT_T0_E_clISt17integral_constantIbLb0EES1A_EEDaS15_S16_EUlS15_E_NS1_11comp_targetILNS1_3genE4ELNS1_11target_archE910ELNS1_3gpuE8ELNS1_3repE0EEENS1_30default_config_static_selectorELNS0_4arch9wavefront6targetE1EEEvT1_
	.p2align	8
	.type	_ZN7rocprim17ROCPRIM_400000_NS6detail17trampoline_kernelINS0_14default_configENS1_25partition_config_selectorILNS1_17partition_subalgoE3EsNS0_10empty_typeEbEEZZNS1_14partition_implILS5_3ELb0ES3_jN6thrust23THRUST_200600_302600_NS6detail15normal_iteratorINSA_7pointerIsNSA_11hip_rocprim3tagENSA_11use_defaultESG_EEEEPS6_SJ_NS0_5tupleIJPsSJ_EEENSK_IJSJ_SJ_EEES6_PlJ7is_evenIsEEEE10hipError_tPvRmT3_T4_T5_T6_T7_T9_mT8_P12ihipStream_tbDpT10_ENKUlT_T0_E_clISt17integral_constantIbLb0EES1A_EEDaS15_S16_EUlS15_E_NS1_11comp_targetILNS1_3genE4ELNS1_11target_archE910ELNS1_3gpuE8ELNS1_3repE0EEENS1_30default_config_static_selectorELNS0_4arch9wavefront6targetE1EEEvT1_,@function
_ZN7rocprim17ROCPRIM_400000_NS6detail17trampoline_kernelINS0_14default_configENS1_25partition_config_selectorILNS1_17partition_subalgoE3EsNS0_10empty_typeEbEEZZNS1_14partition_implILS5_3ELb0ES3_jN6thrust23THRUST_200600_302600_NS6detail15normal_iteratorINSA_7pointerIsNSA_11hip_rocprim3tagENSA_11use_defaultESG_EEEEPS6_SJ_NS0_5tupleIJPsSJ_EEENSK_IJSJ_SJ_EEES6_PlJ7is_evenIsEEEE10hipError_tPvRmT3_T4_T5_T6_T7_T9_mT8_P12ihipStream_tbDpT10_ENKUlT_T0_E_clISt17integral_constantIbLb0EES1A_EEDaS15_S16_EUlS15_E_NS1_11comp_targetILNS1_3genE4ELNS1_11target_archE910ELNS1_3gpuE8ELNS1_3repE0EEENS1_30default_config_static_selectorELNS0_4arch9wavefront6targetE1EEEvT1_: ; @_ZN7rocprim17ROCPRIM_400000_NS6detail17trampoline_kernelINS0_14default_configENS1_25partition_config_selectorILNS1_17partition_subalgoE3EsNS0_10empty_typeEbEEZZNS1_14partition_implILS5_3ELb0ES3_jN6thrust23THRUST_200600_302600_NS6detail15normal_iteratorINSA_7pointerIsNSA_11hip_rocprim3tagENSA_11use_defaultESG_EEEEPS6_SJ_NS0_5tupleIJPsSJ_EEENSK_IJSJ_SJ_EEES6_PlJ7is_evenIsEEEE10hipError_tPvRmT3_T4_T5_T6_T7_T9_mT8_P12ihipStream_tbDpT10_ENKUlT_T0_E_clISt17integral_constantIbLb0EES1A_EEDaS15_S16_EUlS15_E_NS1_11comp_targetILNS1_3genE4ELNS1_11target_archE910ELNS1_3gpuE8ELNS1_3repE0EEENS1_30default_config_static_selectorELNS0_4arch9wavefront6targetE1EEEvT1_
; %bb.0:
	s_load_dwordx4 s[20:23], s[4:5], 0x8
	s_load_dwordx4 s[24:27], s[4:5], 0x48
	s_load_dwordx2 s[28:29], s[4:5], 0x58
	s_load_dword s2, s[4:5], 0x70
	s_mul_i32 s30, s6, 0x1400
	s_waitcnt lgkmcnt(0)
	s_lshl_b64 s[0:1], s[22:23], 1
	s_add_u32 s7, s20, s0
	s_addc_u32 s8, s21, s1
	s_mul_i32 s0, s2, 0x1400
	s_add_i32 s1, s0, s22
	s_sub_i32 s33, s28, s1
	s_add_i32 s3, s2, -1
	s_addk_i32 s33, 0x1400
	s_add_u32 s0, s22, s0
	s_addc_u32 s1, s23, 0
	s_cmp_eq_u32 s6, s3
	s_load_dwordx2 s[34:35], s[26:27], 0x0
	v_pk_mov_b32 v[2:3], s[28:29], s[28:29] op_sel:[0,1]
	s_cselect_b64 s[26:27], -1, 0
	s_cmp_lg_u32 s6, s3
	s_mov_b32 s31, 0
	v_cmp_lt_u64_e32 vcc, s[0:1], v[2:3]
	s_cselect_b64 s[0:1], -1, 0
	s_or_b64 s[2:3], s[0:1], vcc
	s_lshl_b64 s[0:1], s[30:31], 1
	s_add_u32 s7, s7, s0
	s_addc_u32 s10, s8, s1
	s_mov_b64 s[0:1], -1
	s_and_b64 vcc, exec, s[2:3]
	v_lshlrev_b32_e32 v1, 1, v0
	s_cbranch_vccz .LBB142_2
; %bb.1:
	v_mov_b32_e32 v3, s10
	v_add_co_u32_e32 v2, vcc, s7, v1
	v_addc_co_u32_e32 v3, vcc, 0, v3, vcc
	v_add_co_u32_e32 v4, vcc, 0x1000, v2
	v_addc_co_u32_e32 v5, vcc, 0, v3, vcc
	flat_load_ushort v6, v[2:3]
	flat_load_ushort v7, v[2:3] offset:512
	flat_load_ushort v8, v[2:3] offset:1024
	;; [unrolled: 1-line block ×7, first 2 shown]
	v_add_co_u32_e32 v2, vcc, 0x2000, v2
	v_addc_co_u32_e32 v3, vcc, 0, v3, vcc
	flat_load_ushort v14, v[4:5]
	flat_load_ushort v15, v[4:5] offset:512
	flat_load_ushort v16, v[4:5] offset:1024
	flat_load_ushort v17, v[4:5] offset:1536
	flat_load_ushort v18, v[4:5] offset:2048
	flat_load_ushort v19, v[4:5] offset:2560
	flat_load_ushort v20, v[4:5] offset:3072
	flat_load_ushort v21, v[4:5] offset:3584
	s_nop 0
	flat_load_ushort v4, v[2:3]
	flat_load_ushort v5, v[2:3] offset:512
	flat_load_ushort v22, v[2:3] offset:1024
	;; [unrolled: 1-line block ×3, first 2 shown]
	s_mov_b64 s[0:1], 0
	s_waitcnt vmcnt(0) lgkmcnt(0)
	ds_write_b16 v1, v6
	ds_write_b16 v1, v7 offset:512
	ds_write_b16 v1, v8 offset:1024
	;; [unrolled: 1-line block ×19, first 2 shown]
	s_waitcnt lgkmcnt(0)
	s_barrier
.LBB142_2:
	s_andn2_b64 vcc, exec, s[0:1]
	v_cmp_gt_u32_e64 s[0:1], s33, v0
	s_cbranch_vccnz .LBB142_44
; %bb.3:
                                        ; implicit-def: $vgpr2
	s_and_saveexec_b64 s[8:9], s[0:1]
	s_cbranch_execz .LBB142_5
; %bb.4:
	v_mov_b32_e32 v3, s10
	v_add_co_u32_e32 v2, vcc, s7, v1
	v_addc_co_u32_e32 v3, vcc, 0, v3, vcc
	flat_load_ushort v2, v[2:3]
.LBB142_5:
	s_or_b64 exec, exec, s[8:9]
	v_or_b32_e32 v3, 0x100, v0
	v_cmp_gt_u32_e32 vcc, s33, v3
                                        ; implicit-def: $vgpr3
	s_and_saveexec_b64 s[0:1], vcc
	s_cbranch_execz .LBB142_7
; %bb.6:
	v_mov_b32_e32 v3, s10
	v_add_co_u32_e32 v4, vcc, s7, v1
	v_addc_co_u32_e32 v5, vcc, 0, v3, vcc
	flat_load_ushort v3, v[4:5] offset:512
.LBB142_7:
	s_or_b64 exec, exec, s[0:1]
	v_or_b32_e32 v4, 0x200, v0
	v_cmp_gt_u32_e32 vcc, s33, v4
                                        ; implicit-def: $vgpr4
	s_and_saveexec_b64 s[0:1], vcc
	s_cbranch_execz .LBB142_9
; %bb.8:
	v_mov_b32_e32 v5, s10
	v_add_co_u32_e32 v4, vcc, s7, v1
	v_addc_co_u32_e32 v5, vcc, 0, v5, vcc
	flat_load_ushort v4, v[4:5] offset:1024
.LBB142_9:
	s_or_b64 exec, exec, s[0:1]
	v_or_b32_e32 v5, 0x300, v0
	v_cmp_gt_u32_e32 vcc, s33, v5
                                        ; implicit-def: $vgpr5
	s_and_saveexec_b64 s[0:1], vcc
	s_cbranch_execz .LBB142_11
; %bb.10:
	v_mov_b32_e32 v5, s10
	v_add_co_u32_e32 v6, vcc, s7, v1
	v_addc_co_u32_e32 v7, vcc, 0, v5, vcc
	flat_load_ushort v5, v[6:7] offset:1536
.LBB142_11:
	s_or_b64 exec, exec, s[0:1]
	v_or_b32_e32 v6, 0x400, v0
	v_cmp_gt_u32_e32 vcc, s33, v6
                                        ; implicit-def: $vgpr6
	s_and_saveexec_b64 s[0:1], vcc
	s_cbranch_execz .LBB142_13
; %bb.12:
	v_mov_b32_e32 v7, s10
	v_add_co_u32_e32 v6, vcc, s7, v1
	v_addc_co_u32_e32 v7, vcc, 0, v7, vcc
	flat_load_ushort v6, v[6:7] offset:2048
.LBB142_13:
	s_or_b64 exec, exec, s[0:1]
	v_or_b32_e32 v7, 0x500, v0
	v_cmp_gt_u32_e32 vcc, s33, v7
                                        ; implicit-def: $vgpr7
	s_and_saveexec_b64 s[0:1], vcc
	s_cbranch_execz .LBB142_15
; %bb.14:
	v_mov_b32_e32 v7, s10
	v_add_co_u32_e32 v8, vcc, s7, v1
	v_addc_co_u32_e32 v9, vcc, 0, v7, vcc
	flat_load_ushort v7, v[8:9] offset:2560
.LBB142_15:
	s_or_b64 exec, exec, s[0:1]
	v_or_b32_e32 v8, 0x600, v0
	v_cmp_gt_u32_e32 vcc, s33, v8
                                        ; implicit-def: $vgpr8
	s_and_saveexec_b64 s[0:1], vcc
	s_cbranch_execz .LBB142_17
; %bb.16:
	v_mov_b32_e32 v9, s10
	v_add_co_u32_e32 v8, vcc, s7, v1
	v_addc_co_u32_e32 v9, vcc, 0, v9, vcc
	flat_load_ushort v8, v[8:9] offset:3072
.LBB142_17:
	s_or_b64 exec, exec, s[0:1]
	v_or_b32_e32 v9, 0x700, v0
	v_cmp_gt_u32_e32 vcc, s33, v9
                                        ; implicit-def: $vgpr9
	s_and_saveexec_b64 s[0:1], vcc
	s_cbranch_execz .LBB142_19
; %bb.18:
	v_mov_b32_e32 v9, s10
	v_add_co_u32_e32 v10, vcc, s7, v1
	v_addc_co_u32_e32 v11, vcc, 0, v9, vcc
	flat_load_ushort v9, v[10:11] offset:3584
.LBB142_19:
	s_or_b64 exec, exec, s[0:1]
	v_or_b32_e32 v11, 0x800, v0
	v_cmp_gt_u32_e32 vcc, s33, v11
                                        ; implicit-def: $vgpr10
	s_and_saveexec_b64 s[0:1], vcc
	s_cbranch_execz .LBB142_21
; %bb.20:
	v_lshlrev_b32_e32 v10, 1, v11
	v_mov_b32_e32 v11, s10
	v_add_co_u32_e32 v10, vcc, s7, v10
	v_addc_co_u32_e32 v11, vcc, 0, v11, vcc
	flat_load_ushort v10, v[10:11]
.LBB142_21:
	s_or_b64 exec, exec, s[0:1]
	v_or_b32_e32 v12, 0x900, v0
	v_cmp_gt_u32_e32 vcc, s33, v12
                                        ; implicit-def: $vgpr11
	s_and_saveexec_b64 s[0:1], vcc
	s_cbranch_execz .LBB142_23
; %bb.22:
	v_lshlrev_b32_e32 v11, 1, v12
	v_mov_b32_e32 v13, s10
	v_add_co_u32_e32 v12, vcc, s7, v11
	v_addc_co_u32_e32 v13, vcc, 0, v13, vcc
	flat_load_ushort v11, v[12:13]
.LBB142_23:
	s_or_b64 exec, exec, s[0:1]
	v_or_b32_e32 v13, 0xa00, v0
	v_cmp_gt_u32_e32 vcc, s33, v13
                                        ; implicit-def: $vgpr12
	s_and_saveexec_b64 s[0:1], vcc
	s_cbranch_execz .LBB142_25
; %bb.24:
	v_lshlrev_b32_e32 v12, 1, v13
	v_mov_b32_e32 v13, s10
	v_add_co_u32_e32 v12, vcc, s7, v12
	v_addc_co_u32_e32 v13, vcc, 0, v13, vcc
	flat_load_ushort v12, v[12:13]
.LBB142_25:
	s_or_b64 exec, exec, s[0:1]
	v_or_b32_e32 v14, 0xb00, v0
	v_cmp_gt_u32_e32 vcc, s33, v14
                                        ; implicit-def: $vgpr13
	s_and_saveexec_b64 s[0:1], vcc
	s_cbranch_execz .LBB142_27
; %bb.26:
	v_lshlrev_b32_e32 v13, 1, v14
	v_mov_b32_e32 v15, s10
	v_add_co_u32_e32 v14, vcc, s7, v13
	v_addc_co_u32_e32 v15, vcc, 0, v15, vcc
	flat_load_ushort v13, v[14:15]
.LBB142_27:
	s_or_b64 exec, exec, s[0:1]
	v_or_b32_e32 v15, 0xc00, v0
	v_cmp_gt_u32_e32 vcc, s33, v15
                                        ; implicit-def: $vgpr14
	s_and_saveexec_b64 s[0:1], vcc
	s_cbranch_execz .LBB142_29
; %bb.28:
	v_lshlrev_b32_e32 v14, 1, v15
	v_mov_b32_e32 v15, s10
	v_add_co_u32_e32 v14, vcc, s7, v14
	v_addc_co_u32_e32 v15, vcc, 0, v15, vcc
	flat_load_ushort v14, v[14:15]
.LBB142_29:
	s_or_b64 exec, exec, s[0:1]
	v_or_b32_e32 v16, 0xd00, v0
	v_cmp_gt_u32_e32 vcc, s33, v16
                                        ; implicit-def: $vgpr15
	s_and_saveexec_b64 s[0:1], vcc
	s_cbranch_execz .LBB142_31
; %bb.30:
	v_lshlrev_b32_e32 v15, 1, v16
	v_mov_b32_e32 v17, s10
	v_add_co_u32_e32 v16, vcc, s7, v15
	v_addc_co_u32_e32 v17, vcc, 0, v17, vcc
	flat_load_ushort v15, v[16:17]
.LBB142_31:
	s_or_b64 exec, exec, s[0:1]
	v_or_b32_e32 v17, 0xe00, v0
	v_cmp_gt_u32_e32 vcc, s33, v17
                                        ; implicit-def: $vgpr16
	s_and_saveexec_b64 s[0:1], vcc
	s_cbranch_execz .LBB142_33
; %bb.32:
	v_lshlrev_b32_e32 v16, 1, v17
	v_mov_b32_e32 v17, s10
	v_add_co_u32_e32 v16, vcc, s7, v16
	v_addc_co_u32_e32 v17, vcc, 0, v17, vcc
	flat_load_ushort v16, v[16:17]
.LBB142_33:
	s_or_b64 exec, exec, s[0:1]
	v_or_b32_e32 v18, 0xf00, v0
	v_cmp_gt_u32_e32 vcc, s33, v18
                                        ; implicit-def: $vgpr17
	s_and_saveexec_b64 s[0:1], vcc
	s_cbranch_execz .LBB142_35
; %bb.34:
	v_lshlrev_b32_e32 v17, 1, v18
	v_mov_b32_e32 v19, s10
	v_add_co_u32_e32 v18, vcc, s7, v17
	v_addc_co_u32_e32 v19, vcc, 0, v19, vcc
	flat_load_ushort v17, v[18:19]
.LBB142_35:
	s_or_b64 exec, exec, s[0:1]
	v_or_b32_e32 v19, 0x1000, v0
	v_cmp_gt_u32_e32 vcc, s33, v19
                                        ; implicit-def: $vgpr18
	s_and_saveexec_b64 s[0:1], vcc
	s_cbranch_execz .LBB142_37
; %bb.36:
	v_lshlrev_b32_e32 v18, 1, v19
	v_mov_b32_e32 v19, s10
	v_add_co_u32_e32 v18, vcc, s7, v18
	v_addc_co_u32_e32 v19, vcc, 0, v19, vcc
	flat_load_ushort v18, v[18:19]
.LBB142_37:
	s_or_b64 exec, exec, s[0:1]
	v_or_b32_e32 v20, 0x1100, v0
	v_cmp_gt_u32_e32 vcc, s33, v20
                                        ; implicit-def: $vgpr19
	s_and_saveexec_b64 s[0:1], vcc
	s_cbranch_execz .LBB142_39
; %bb.38:
	v_lshlrev_b32_e32 v19, 1, v20
	v_mov_b32_e32 v21, s10
	v_add_co_u32_e32 v20, vcc, s7, v19
	v_addc_co_u32_e32 v21, vcc, 0, v21, vcc
	flat_load_ushort v19, v[20:21]
.LBB142_39:
	s_or_b64 exec, exec, s[0:1]
	v_or_b32_e32 v21, 0x1200, v0
	v_cmp_gt_u32_e32 vcc, s33, v21
                                        ; implicit-def: $vgpr20
	s_and_saveexec_b64 s[0:1], vcc
	s_cbranch_execz .LBB142_41
; %bb.40:
	v_lshlrev_b32_e32 v20, 1, v21
	v_mov_b32_e32 v21, s10
	v_add_co_u32_e32 v20, vcc, s7, v20
	v_addc_co_u32_e32 v21, vcc, 0, v21, vcc
	flat_load_ushort v20, v[20:21]
.LBB142_41:
	s_or_b64 exec, exec, s[0:1]
	v_or_b32_e32 v22, 0x1300, v0
	v_cmp_gt_u32_e32 vcc, s33, v22
                                        ; implicit-def: $vgpr21
	s_and_saveexec_b64 s[0:1], vcc
	s_cbranch_execz .LBB142_43
; %bb.42:
	v_lshlrev_b32_e32 v21, 1, v22
	v_mov_b32_e32 v23, s10
	v_add_co_u32_e32 v22, vcc, s7, v21
	v_addc_co_u32_e32 v23, vcc, 0, v23, vcc
	flat_load_ushort v21, v[22:23]
.LBB142_43:
	s_or_b64 exec, exec, s[0:1]
	s_waitcnt vmcnt(0) lgkmcnt(0)
	ds_write_b16 v1, v2
	ds_write_b16 v1, v3 offset:512
	ds_write_b16 v1, v4 offset:1024
	;; [unrolled: 1-line block ×19, first 2 shown]
	s_waitcnt lgkmcnt(0)
	s_barrier
.LBB142_44:
	v_mul_u32_u24_e32 v31, 20, v0
	v_lshlrev_b32_e32 v6, 1, v31
	s_waitcnt lgkmcnt(0)
	ds_read_b64 v[12:13], v6 offset:32
	ds_read2_b64 v[2:5], v6 offset0:2 offset1:3
	ds_read2_b64 v[6:9], v6 offset1:1
	v_cndmask_b32_e64 v10, 0, 1, s[2:3]
	v_cmp_ne_u32_e64 s[0:1], 1, v10
	s_waitcnt lgkmcnt(2)
	v_lshrrev_b32_e32 v23, 16, v12
	v_lshrrev_b32_e32 v22, 16, v13
	s_waitcnt lgkmcnt(1)
	v_lshrrev_b32_e32 v27, 16, v2
	v_lshrrev_b32_e32 v26, 16, v3
	;; [unrolled: 1-line block ×4, first 2 shown]
	s_waitcnt lgkmcnt(0)
	v_lshrrev_b32_e32 v32, 16, v6
	v_lshrrev_b32_e32 v30, 16, v7
	;; [unrolled: 1-line block ×4, first 2 shown]
	s_andn2_b64 vcc, exec, s[2:3]
	v_xor_b32_e32 v62, -1, v6
	v_xor_b32_e32 v61, -1, v32
	v_xor_b32_e32 v60, -1, v7
	v_xor_b32_e32 v59, -1, v30
	v_xor_b32_e32 v58, -1, v8
	v_xor_b32_e32 v57, -1, v29
	v_xor_b32_e32 v56, -1, v9
	v_xor_b32_e32 v55, -1, v28
	v_xor_b32_e32 v54, -1, v2
	v_xor_b32_e32 v53, -1, v27
	v_xor_b32_e32 v21, -1, v3
	v_xor_b32_e32 v20, -1, v26
	v_xor_b32_e32 v19, -1, v4
	v_xor_b32_e32 v18, -1, v25
	v_xor_b32_e32 v17, -1, v5
	v_xor_b32_e32 v16, -1, v24
	v_xor_b32_e32 v15, -1, v12
	v_xor_b32_e32 v14, -1, v23
	v_xor_b32_e32 v11, -1, v13
	v_xor_b32_e32 v10, -1, v22
	s_barrier
	s_cbranch_vccnz .LBB142_46
; %bb.45:
	v_and_b32_e32 v52, 1, v62
	v_and_b32_e32 v51, 1, v61
	;; [unrolled: 1-line block ×20, first 2 shown]
	s_load_dwordx2 s[36:37], s[4:5], 0x68
	s_cbranch_execz .LBB142_47
	s_branch .LBB142_48
.LBB142_46:
                                        ; implicit-def: $vgpr52
                                        ; implicit-def: $vgpr51
                                        ; implicit-def: $vgpr50
                                        ; implicit-def: $vgpr49
                                        ; implicit-def: $vgpr48
                                        ; implicit-def: $vgpr47
                                        ; implicit-def: $vgpr46
                                        ; implicit-def: $vgpr45
                                        ; implicit-def: $vgpr44
                                        ; implicit-def: $vgpr43
                                        ; implicit-def: $vgpr42
                                        ; implicit-def: $vgpr41
                                        ; implicit-def: $vgpr40
                                        ; implicit-def: $vgpr39
                                        ; implicit-def: $vgpr38
                                        ; implicit-def: $vgpr37
                                        ; implicit-def: $vgpr36
                                        ; implicit-def: $vgpr35
                                        ; implicit-def: $vgpr33
                                        ; implicit-def: $vgpr34
	s_load_dwordx2 s[36:37], s[4:5], 0x68
.LBB142_47:
	v_or_b32_e32 v42, 1, v31
	v_cmp_gt_u32_e32 vcc, s33, v31
	v_or_b32_e32 v43, 2, v31
	v_cndmask_b32_e64 v47, 0, 1, vcc
	v_cmp_gt_u32_e32 vcc, s33, v42
	v_or_b32_e32 v44, 3, v31
	v_cndmask_b32_e64 v42, 0, 1, vcc
	v_cmp_gt_u32_e32 vcc, s33, v43
	v_add_u32_e32 v45, 4, v31
	v_and_b32_e32 v51, v42, v61
	v_cndmask_b32_e64 v42, 0, 1, vcc
	v_cmp_gt_u32_e32 vcc, s33, v44
	v_add_u32_e32 v46, 5, v31
	v_and_b32_e32 v50, v42, v60
	;; [unrolled: 4-line block ×5, first 2 shown]
	v_and_b32_e32 v47, v42, v57
	v_cndmask_b32_e64 v42, 0, 1, vcc
	v_cmp_gt_u32_e32 vcc, s33, v64
	v_add_u32_e32 v66, 9, v31
	v_and_b32_e32 v46, v42, v56
	v_cndmask_b32_e64 v42, 0, 1, vcc
	v_cmp_gt_u32_e32 vcc, s33, v65
	v_add_u32_e32 v67, 10, v31
	;; [unrolled: 4-line block ×11, first 2 shown]
	v_and_b32_e32 v36, v16, v15
	v_cndmask_b32_e64 v15, 0, 1, vcc
	v_cmp_gt_u32_e32 vcc, s33, v33
	v_and_b32_e32 v35, v15, v14
	v_cndmask_b32_e64 v14, 0, 1, vcc
	v_cmp_gt_u32_e32 vcc, s33, v34
	v_and_b32_e32 v33, v14, v11
	v_cndmask_b32_e64 v11, 0, 1, vcc
	v_and_b32_e32 v34, v11, v10
.LBB142_48:
	v_and_b32_e32 v69, 0xff, v36
	v_and_b32_e32 v70, 0xff, v35
	v_add_u32_sdwa v10, v33, v34 dst_sel:DWORD dst_unused:UNUSED_PAD src0_sel:BYTE_0 src1_sel:BYTE_0
	v_and_b32_e32 v67, 0xff, v38
	v_and_b32_e32 v68, 0xff, v37
	v_add3_u32 v10, v10, v70, v69
	v_and_b32_e32 v65, 0xff, v40
	v_and_b32_e32 v66, 0xff, v39
	v_add3_u32 v10, v10, v68, v67
	v_and_b32_e32 v63, 0xff, v42
	v_and_b32_e32 v64, 0xff, v41
	v_add3_u32 v10, v10, v66, v65
	v_and_b32_e32 v61, 0xff, v44
	v_and_b32_e32 v62, 0xff, v43
	v_add3_u32 v10, v10, v64, v63
	v_and_b32_e32 v59, 0xff, v46
	v_and_b32_e32 v60, 0xff, v45
	v_add3_u32 v10, v10, v62, v61
	v_and_b32_e32 v57, 0xff, v48
	v_and_b32_e32 v58, 0xff, v47
	v_add3_u32 v10, v10, v60, v59
	v_and_b32_e32 v55, 0xff, v50
	v_and_b32_e32 v56, 0xff, v49
	v_add3_u32 v10, v10, v58, v57
	v_and_b32_e32 v53, 0xff, v52
	v_and_b32_e32 v54, 0xff, v51
	v_add3_u32 v10, v10, v56, v55
	v_add3_u32 v73, v10, v54, v53
	v_mbcnt_lo_u32_b32 v10, -1, 0
	v_mbcnt_hi_u32_b32 v71, -1, v10
	v_and_b32_e32 v10, 15, v71
	v_cmp_eq_u32_e64 s[16:17], 0, v10
	v_cmp_lt_u32_e64 s[14:15], 1, v10
	v_cmp_lt_u32_e64 s[12:13], 3, v10
	;; [unrolled: 1-line block ×3, first 2 shown]
	v_and_b32_e32 v10, 16, v71
	v_cmp_eq_u32_e64 s[8:9], 0, v10
	v_or_b32_e32 v10, 63, v0
	s_cmp_lg_u32 s6, 0
	v_cmp_lt_u32_e64 s[2:3], 31, v71
	v_lshrrev_b32_e32 v72, 6, v0
	v_cmp_eq_u32_e64 s[20:21], v10, v0
	s_cbranch_scc0 .LBB142_75
; %bb.49:
	v_mov_b32_dpp v10, v73 row_shr:1 row_mask:0xf bank_mask:0xf
	v_cndmask_b32_e64 v10, v10, 0, s[16:17]
	v_add_u32_e32 v10, v10, v73
	s_nop 1
	v_mov_b32_dpp v11, v10 row_shr:2 row_mask:0xf bank_mask:0xf
	v_cndmask_b32_e64 v11, 0, v11, s[14:15]
	v_add_u32_e32 v10, v10, v11
	s_nop 1
	;; [unrolled: 4-line block ×4, first 2 shown]
	v_mov_b32_dpp v11, v10 row_bcast:15 row_mask:0xf bank_mask:0xf
	v_cndmask_b32_e64 v11, v11, 0, s[8:9]
	v_add_u32_e32 v10, v10, v11
	s_nop 1
	v_mov_b32_dpp v11, v10 row_bcast:31 row_mask:0xf bank_mask:0xf
	v_cndmask_b32_e64 v11, 0, v11, s[2:3]
	v_add_u32_e32 v10, v10, v11
	s_and_saveexec_b64 s[18:19], s[20:21]
	s_cbranch_execz .LBB142_51
; %bb.50:
	v_lshlrev_b32_e32 v11, 2, v72
	ds_write_b32 v11, v10
.LBB142_51:
	s_or_b64 exec, exec, s[18:19]
	v_cmp_gt_u32_e32 vcc, 4, v0
	s_waitcnt lgkmcnt(0)
	s_barrier
	s_and_saveexec_b64 s[18:19], vcc
	s_cbranch_execz .LBB142_53
; %bb.52:
	v_lshlrev_b32_e32 v11, 2, v0
	ds_read_b32 v14, v11
	v_and_b32_e32 v15, 3, v71
	v_cmp_ne_u32_e32 vcc, 0, v15
	s_waitcnt lgkmcnt(0)
	v_mov_b32_dpp v16, v14 row_shr:1 row_mask:0xf bank_mask:0xf
	v_cndmask_b32_e32 v16, 0, v16, vcc
	v_add_u32_e32 v14, v16, v14
	v_cmp_lt_u32_e32 vcc, 1, v15
	s_nop 0
	v_mov_b32_dpp v16, v14 row_shr:2 row_mask:0xf bank_mask:0xf
	v_cndmask_b32_e32 v15, 0, v16, vcc
	v_add_u32_e32 v14, v14, v15
	ds_write_b32 v11, v14
.LBB142_53:
	s_or_b64 exec, exec, s[18:19]
	v_cmp_gt_u32_e32 vcc, 64, v0
	v_cmp_lt_u32_e64 s[18:19], 63, v0
	s_waitcnt lgkmcnt(0)
	s_barrier
	s_waitcnt lgkmcnt(0)
                                        ; implicit-def: $vgpr74
	s_and_saveexec_b64 s[38:39], s[18:19]
	s_cbranch_execz .LBB142_55
; %bb.54:
	v_lshl_add_u32 v11, v72, 2, -4
	ds_read_b32 v74, v11
	s_waitcnt lgkmcnt(0)
	v_add_u32_e32 v10, v74, v10
.LBB142_55:
	s_or_b64 exec, exec, s[38:39]
	v_add_u32_e32 v11, -1, v71
	v_and_b32_e32 v14, 64, v71
	v_cmp_lt_i32_e64 s[18:19], v11, v14
	v_cndmask_b32_e64 v11, v11, v71, s[18:19]
	v_lshlrev_b32_e32 v11, 2, v11
	ds_bpermute_b32 v75, v11, v10
	v_cmp_eq_u32_e64 s[18:19], 0, v71
	s_and_saveexec_b64 s[38:39], vcc
	s_cbranch_execz .LBB142_74
; %bb.56:
	v_mov_b32_e32 v19, 0
	ds_read_b32 v10, v19 offset:12
	s_and_saveexec_b64 s[40:41], s[18:19]
	s_cbranch_execz .LBB142_58
; %bb.57:
	s_add_i32 s42, s6, 64
	s_mov_b32 s43, 0
	s_lshl_b64 s[42:43], s[42:43], 3
	s_add_u32 s42, s36, s42
	v_mov_b32_e32 v11, 1
	s_addc_u32 s43, s37, s43
	s_waitcnt lgkmcnt(0)
	global_store_dwordx2 v19, v[10:11], s[42:43]
.LBB142_58:
	s_or_b64 exec, exec, s[40:41]
	v_xad_u32 v14, v71, -1, s6
	v_add_u32_e32 v18, 64, v14
	v_lshlrev_b64 v[16:17], 3, v[18:19]
	v_mov_b32_e32 v11, s37
	v_add_co_u32_e32 v20, vcc, s36, v16
	v_addc_co_u32_e32 v21, vcc, v11, v17, vcc
	global_load_dwordx2 v[16:17], v[20:21], off glc
	s_waitcnt vmcnt(0)
	v_cmp_eq_u16_sdwa s[42:43], v17, v19 src0_sel:BYTE_0 src1_sel:DWORD
	s_and_saveexec_b64 s[40:41], s[42:43]
	s_cbranch_execz .LBB142_62
; %bb.59:
	s_mov_b64 s[42:43], 0
	v_mov_b32_e32 v11, 0
.LBB142_60:                             ; =>This Inner Loop Header: Depth=1
	global_load_dwordx2 v[16:17], v[20:21], off glc
	s_waitcnt vmcnt(0)
	v_cmp_ne_u16_sdwa s[44:45], v17, v11 src0_sel:BYTE_0 src1_sel:DWORD
	s_or_b64 s[42:43], s[44:45], s[42:43]
	s_andn2_b64 exec, exec, s[42:43]
	s_cbranch_execnz .LBB142_60
; %bb.61:
	s_or_b64 exec, exec, s[42:43]
.LBB142_62:
	s_or_b64 exec, exec, s[40:41]
	v_and_b32_e32 v77, 63, v71
	v_mov_b32_e32 v76, 2
	v_cmp_ne_u32_e32 vcc, 63, v77
	v_cmp_eq_u16_sdwa s[40:41], v17, v76 src0_sel:BYTE_0 src1_sel:DWORD
	v_lshlrev_b64 v[18:19], v71, -1
	v_addc_co_u32_e32 v20, vcc, 0, v71, vcc
	v_and_b32_e32 v11, s41, v19
	v_lshlrev_b32_e32 v78, 2, v20
	v_or_b32_e32 v11, 0x80000000, v11
	ds_bpermute_b32 v20, v78, v16
	v_and_b32_e32 v15, s40, v18
	v_ffbl_b32_e32 v11, v11
	v_add_u32_e32 v11, 32, v11
	v_ffbl_b32_e32 v15, v15
	v_min_u32_e32 v11, v15, v11
	v_cmp_lt_u32_e32 vcc, v77, v11
	s_waitcnt lgkmcnt(0)
	v_cndmask_b32_e32 v15, 0, v20, vcc
	v_cmp_gt_u32_e32 vcc, 62, v77
	v_add_u32_e32 v15, v15, v16
	v_cndmask_b32_e64 v16, 0, 1, vcc
	v_lshlrev_b32_e32 v16, 1, v16
	v_add_lshl_u32 v79, v16, v71, 2
	ds_bpermute_b32 v16, v79, v15
	v_add_u32_e32 v80, 2, v77
	v_cmp_le_u32_e32 vcc, v80, v11
	v_add_u32_e32 v82, 4, v77
	v_add_u32_e32 v84, 8, v77
	s_waitcnt lgkmcnt(0)
	v_cndmask_b32_e32 v16, 0, v16, vcc
	v_cmp_gt_u32_e32 vcc, 60, v77
	v_add_u32_e32 v15, v15, v16
	v_cndmask_b32_e64 v16, 0, 1, vcc
	v_lshlrev_b32_e32 v16, 2, v16
	v_add_lshl_u32 v81, v16, v71, 2
	ds_bpermute_b32 v16, v81, v15
	v_cmp_le_u32_e32 vcc, v82, v11
	v_add_u32_e32 v86, 16, v77
	v_add_u32_e32 v88, 32, v77
	s_waitcnt lgkmcnt(0)
	v_cndmask_b32_e32 v16, 0, v16, vcc
	v_cmp_gt_u32_e32 vcc, 56, v77
	v_add_u32_e32 v15, v15, v16
	v_cndmask_b32_e64 v16, 0, 1, vcc
	v_lshlrev_b32_e32 v16, 3, v16
	v_add_lshl_u32 v83, v16, v71, 2
	ds_bpermute_b32 v16, v83, v15
	v_cmp_le_u32_e32 vcc, v84, v11
	s_waitcnt lgkmcnt(0)
	v_cndmask_b32_e32 v16, 0, v16, vcc
	v_cmp_gt_u32_e32 vcc, 48, v77
	v_add_u32_e32 v15, v15, v16
	v_cndmask_b32_e64 v16, 0, 1, vcc
	v_lshlrev_b32_e32 v16, 4, v16
	v_add_lshl_u32 v85, v16, v71, 2
	ds_bpermute_b32 v16, v85, v15
	v_cmp_le_u32_e32 vcc, v86, v11
	;; [unrolled: 9-line block ×3, first 2 shown]
	s_waitcnt lgkmcnt(0)
	v_cndmask_b32_e32 v11, 0, v16, vcc
	v_add_u32_e32 v16, v15, v11
	v_mov_b32_e32 v15, 0
	s_branch .LBB142_64
.LBB142_63:                             ;   in Loop: Header=BB142_64 Depth=1
	s_or_b64 exec, exec, s[40:41]
	v_cmp_eq_u16_sdwa s[40:41], v17, v76 src0_sel:BYTE_0 src1_sel:DWORD
	v_and_b32_e32 v20, s41, v19
	v_or_b32_e32 v20, 0x80000000, v20
	ds_bpermute_b32 v89, v78, v16
	v_and_b32_e32 v21, s40, v18
	v_ffbl_b32_e32 v20, v20
	v_add_u32_e32 v20, 32, v20
	v_ffbl_b32_e32 v21, v21
	v_min_u32_e32 v20, v21, v20
	v_cmp_lt_u32_e32 vcc, v77, v20
	s_waitcnt lgkmcnt(0)
	v_cndmask_b32_e32 v21, 0, v89, vcc
	v_add_u32_e32 v16, v21, v16
	ds_bpermute_b32 v21, v79, v16
	v_cmp_le_u32_e32 vcc, v80, v20
	v_subrev_u32_e32 v14, 64, v14
	s_waitcnt lgkmcnt(0)
	v_cndmask_b32_e32 v21, 0, v21, vcc
	v_add_u32_e32 v16, v16, v21
	ds_bpermute_b32 v21, v81, v16
	v_cmp_le_u32_e32 vcc, v82, v20
	s_waitcnt lgkmcnt(0)
	v_cndmask_b32_e32 v21, 0, v21, vcc
	v_add_u32_e32 v16, v16, v21
	ds_bpermute_b32 v21, v83, v16
	v_cmp_le_u32_e32 vcc, v84, v20
	;; [unrolled: 5-line block ×4, first 2 shown]
	s_waitcnt lgkmcnt(0)
	v_cndmask_b32_e32 v20, 0, v21, vcc
	v_add3_u32 v16, v20, v11, v16
.LBB142_64:                             ; =>This Loop Header: Depth=1
                                        ;     Child Loop BB142_67 Depth 2
	v_cmp_ne_u16_sdwa s[40:41], v17, v76 src0_sel:BYTE_0 src1_sel:DWORD
	v_cndmask_b32_e64 v11, 0, 1, s[40:41]
	;;#ASMSTART
	;;#ASMEND
	v_cmp_ne_u32_e32 vcc, 0, v11
	s_cmp_lg_u64 vcc, exec
	v_mov_b32_e32 v11, v16
	s_cbranch_scc1 .LBB142_69
; %bb.65:                               ;   in Loop: Header=BB142_64 Depth=1
	v_lshlrev_b64 v[16:17], 3, v[14:15]
	v_mov_b32_e32 v21, s37
	v_add_co_u32_e32 v20, vcc, s36, v16
	v_addc_co_u32_e32 v21, vcc, v21, v17, vcc
	global_load_dwordx2 v[16:17], v[20:21], off glc
	s_waitcnt vmcnt(0)
	v_cmp_eq_u16_sdwa s[42:43], v17, v15 src0_sel:BYTE_0 src1_sel:DWORD
	s_and_saveexec_b64 s[40:41], s[42:43]
	s_cbranch_execz .LBB142_63
; %bb.66:                               ;   in Loop: Header=BB142_64 Depth=1
	s_mov_b64 s[42:43], 0
.LBB142_67:                             ;   Parent Loop BB142_64 Depth=1
                                        ; =>  This Inner Loop Header: Depth=2
	global_load_dwordx2 v[16:17], v[20:21], off glc
	s_waitcnt vmcnt(0)
	v_cmp_ne_u16_sdwa s[44:45], v17, v15 src0_sel:BYTE_0 src1_sel:DWORD
	s_or_b64 s[42:43], s[44:45], s[42:43]
	s_andn2_b64 exec, exec, s[42:43]
	s_cbranch_execnz .LBB142_67
; %bb.68:                               ;   in Loop: Header=BB142_64 Depth=1
	s_or_b64 exec, exec, s[42:43]
	s_branch .LBB142_63
.LBB142_69:                             ;   in Loop: Header=BB142_64 Depth=1
                                        ; implicit-def: $vgpr16
                                        ; implicit-def: $vgpr17
	s_cbranch_execz .LBB142_64
; %bb.70:
	s_and_saveexec_b64 s[40:41], s[18:19]
	s_cbranch_execz .LBB142_72
; %bb.71:
	s_add_i32 s6, s6, 64
	s_mov_b32 s7, 0
	s_lshl_b64 s[6:7], s[6:7], 3
	s_add_u32 s6, s36, s6
	v_add_u32_e32 v14, v11, v10
	v_mov_b32_e32 v15, 2
	s_addc_u32 s7, s37, s7
	v_mov_b32_e32 v16, 0
	global_store_dwordx2 v16, v[14:15], s[6:7]
	ds_write_b64 v16, v[10:11] offset:10240
.LBB142_72:
	s_or_b64 exec, exec, s[40:41]
	v_cmp_eq_u32_e32 vcc, 0, v0
	s_and_b64 exec, exec, vcc
	s_cbranch_execz .LBB142_74
; %bb.73:
	v_mov_b32_e32 v10, 0
	ds_write_b32 v10, v11 offset:12
.LBB142_74:
	s_or_b64 exec, exec, s[38:39]
	v_mov_b32_e32 v10, 0
	s_waitcnt lgkmcnt(0)
	s_barrier
	ds_read_b32 v15, v10 offset:12
	s_waitcnt lgkmcnt(0)
	s_barrier
	ds_read_b64 v[10:11], v10 offset:10240
	v_cndmask_b32_e64 v14, v75, v74, s[18:19]
	v_cmp_ne_u32_e32 vcc, 0, v0
	v_cndmask_b32_e32 v14, 0, v14, vcc
	v_add_u32_e32 v14, v15, v14
	s_load_dwordx2 s[4:5], s[4:5], 0x28
	s_branch .LBB142_85
.LBB142_75:
                                        ; implicit-def: $vgpr11
                                        ; implicit-def: $vgpr14
	s_load_dwordx2 s[4:5], s[4:5], 0x28
	s_cbranch_execz .LBB142_85
; %bb.76:
	s_waitcnt lgkmcnt(0)
	v_mov_b32_dpp v10, v73 row_shr:1 row_mask:0xf bank_mask:0xf
	v_cndmask_b32_e64 v10, v10, 0, s[16:17]
	v_add_u32_e32 v10, v10, v73
	s_nop 1
	v_mov_b32_dpp v11, v10 row_shr:2 row_mask:0xf bank_mask:0xf
	v_cndmask_b32_e64 v11, 0, v11, s[14:15]
	v_add_u32_e32 v10, v10, v11
	s_nop 1
	;; [unrolled: 4-line block ×4, first 2 shown]
	v_mov_b32_dpp v11, v10 row_bcast:15 row_mask:0xf bank_mask:0xf
	v_cndmask_b32_e64 v11, v11, 0, s[8:9]
	v_add_u32_e32 v10, v10, v11
	s_nop 1
	v_mov_b32_dpp v11, v10 row_bcast:31 row_mask:0xf bank_mask:0xf
	v_cndmask_b32_e64 v11, 0, v11, s[2:3]
	v_add_u32_e32 v10, v10, v11
	s_and_saveexec_b64 s[2:3], s[20:21]
	s_cbranch_execz .LBB142_78
; %bb.77:
	v_lshlrev_b32_e32 v11, 2, v72
	ds_write_b32 v11, v10
.LBB142_78:
	s_or_b64 exec, exec, s[2:3]
	v_cmp_gt_u32_e32 vcc, 4, v0
	s_waitcnt lgkmcnt(0)
	s_barrier
	s_and_saveexec_b64 s[2:3], vcc
	s_cbranch_execz .LBB142_80
; %bb.79:
	v_lshlrev_b32_e32 v11, 2, v0
	ds_read_b32 v14, v11
	v_and_b32_e32 v15, 3, v71
	v_cmp_ne_u32_e32 vcc, 0, v15
	s_waitcnt lgkmcnt(0)
	v_mov_b32_dpp v16, v14 row_shr:1 row_mask:0xf bank_mask:0xf
	v_cndmask_b32_e32 v16, 0, v16, vcc
	v_add_u32_e32 v14, v16, v14
	v_cmp_lt_u32_e32 vcc, 1, v15
	s_nop 0
	v_mov_b32_dpp v16, v14 row_shr:2 row_mask:0xf bank_mask:0xf
	v_cndmask_b32_e32 v15, 0, v16, vcc
	v_add_u32_e32 v14, v14, v15
	ds_write_b32 v11, v14
.LBB142_80:
	s_or_b64 exec, exec, s[2:3]
	v_cmp_lt_u32_e32 vcc, 63, v0
	v_mov_b32_e32 v11, 0
	v_mov_b32_e32 v14, 0
	s_waitcnt lgkmcnt(0)
	s_barrier
	s_and_saveexec_b64 s[2:3], vcc
	s_cbranch_execz .LBB142_82
; %bb.81:
	v_lshl_add_u32 v14, v72, 2, -4
	ds_read_b32 v14, v14
.LBB142_82:
	s_or_b64 exec, exec, s[2:3]
	v_add_u32_e32 v15, -1, v71
	v_and_b32_e32 v16, 64, v71
	v_cmp_lt_i32_e32 vcc, v15, v16
	v_cndmask_b32_e32 v15, v15, v71, vcc
	s_waitcnt lgkmcnt(0)
	v_add_u32_e32 v10, v14, v10
	v_lshlrev_b32_e32 v15, 2, v15
	ds_bpermute_b32 v15, v15, v10
	ds_read_b32 v10, v11 offset:12
	v_cmp_eq_u32_e32 vcc, 0, v0
	s_and_saveexec_b64 s[2:3], vcc
	s_cbranch_execz .LBB142_84
; %bb.83:
	v_mov_b32_e32 v16, 0
	v_mov_b32_e32 v11, 2
	s_waitcnt lgkmcnt(0)
	global_store_dwordx2 v16, v[10:11], s[36:37] offset:512
.LBB142_84:
	s_or_b64 exec, exec, s[2:3]
	v_cmp_eq_u32_e64 s[2:3], 0, v71
	s_waitcnt lgkmcnt(1)
	v_cndmask_b32_e64 v14, v15, v14, s[2:3]
	v_mov_b32_e32 v11, 0
	v_cndmask_b32_e64 v14, v14, 0, vcc
	s_waitcnt lgkmcnt(0)
	s_barrier
.LBB142_85:
	v_add_u32_e32 v15, v14, v53
	v_add_u32_e32 v16, v15, v54
	;; [unrolled: 1-line block ×11, first 2 shown]
	s_waitcnt lgkmcnt(0)
	v_add_u32_e32 v31, v10, v31
	v_sub_u32_e32 v14, v14, v11
	v_and_b32_e32 v52, 1, v52
	v_add_u32_e32 v57, v56, v64
	v_sub_u32_e32 v64, v31, v14
	v_cmp_eq_u32_e32 vcc, 1, v52
	v_cndmask_b32_e32 v14, v64, v14, vcc
	v_lshlrev_b32_e32 v14, 1, v14
	ds_write_b16 v14, v6
	v_sub_u32_e32 v6, v15, v11
	v_sub_u32_e32 v14, v31, v6
	v_and_b32_e32 v15, 1, v51
	v_add_u32_e32 v14, 1, v14
	v_cmp_eq_u32_e32 vcc, 1, v15
	v_cndmask_b32_e32 v6, v14, v6, vcc
	v_lshlrev_b32_e32 v6, 1, v6
	ds_write_b16 v6, v32
	v_sub_u32_e32 v6, v16, v11
	v_sub_u32_e32 v14, v31, v6
	v_and_b32_e32 v15, 1, v50
	v_add_u32_e32 v14, 2, v14
	;; [unrolled: 8-line block ×12, first 2 shown]
	v_cmp_eq_u32_e32 vcc, 1, v6
	v_cndmask_b32_e32 v2, v3, v2, vcc
	v_add_u32_e32 v58, v57, v65
	v_lshlrev_b32_e32 v2, 1, v2
	ds_write_b16 v2, v4
	v_sub_u32_e32 v2, v58, v11
	v_sub_u32_e32 v3, v31, v2
	v_and_b32_e32 v4, 1, v39
	v_add_u32_e32 v3, 13, v3
	v_cmp_eq_u32_e32 vcc, 1, v4
	v_cndmask_b32_e32 v2, v3, v2, vcc
	v_add_u32_e32 v59, v58, v66
	v_lshlrev_b32_e32 v2, 1, v2
	ds_write_b16 v2, v25
	v_sub_u32_e32 v2, v59, v11
	v_sub_u32_e32 v3, v31, v2
	v_and_b32_e32 v4, 1, v38
	v_add_u32_e32 v3, 14, v3
	v_cmp_eq_u32_e32 vcc, 1, v4
	v_cndmask_b32_e32 v2, v3, v2, vcc
	v_add_u32_e32 v60, v59, v67
	v_lshlrev_b32_e32 v2, 1, v2
	ds_write_b16 v2, v5
	v_sub_u32_e32 v2, v60, v11
	v_sub_u32_e32 v3, v31, v2
	v_and_b32_e32 v4, 1, v37
	v_add_u32_e32 v3, 15, v3
	v_cmp_eq_u32_e32 vcc, 1, v4
	v_cndmask_b32_e32 v2, v3, v2, vcc
	v_add_u32_e32 v61, v60, v68
	v_lshlrev_b32_e32 v2, 1, v2
	ds_write_b16 v2, v24
	v_sub_u32_e32 v2, v61, v11
	v_sub_u32_e32 v3, v31, v2
	v_and_b32_e32 v4, 1, v36
	v_add_u32_e32 v3, 16, v3
	v_cmp_eq_u32_e32 vcc, 1, v4
	v_cndmask_b32_e32 v2, v3, v2, vcc
	v_add_u32_e32 v62, v61, v69
	v_lshlrev_b32_e32 v2, 1, v2
	ds_write_b16 v2, v12
	v_sub_u32_e32 v2, v62, v11
	v_sub_u32_e32 v3, v31, v2
	v_and_b32_e32 v4, 1, v35
	v_add_u32_e32 v3, 17, v3
	v_cmp_eq_u32_e32 vcc, 1, v4
	v_cndmask_b32_e32 v2, v3, v2, vcc
	v_add_u32_e32 v63, v62, v70
	v_lshlrev_b32_e32 v2, 1, v2
	ds_write_b16 v2, v23
	v_sub_u32_e32 v2, v63, v11
	v_sub_u32_e32 v3, v31, v2
	v_and_b32_e32 v4, 1, v33
	v_add_u32_e32 v3, 18, v3
	v_cmp_eq_u32_e32 vcc, 1, v4
	v_cndmask_b32_e32 v2, v3, v2, vcc
	v_lshlrev_b32_e32 v2, 1, v2
	ds_write_b16 v2, v13
	v_sub_u32_sdwa v2, v33, v11 dst_sel:DWORD dst_unused:UNUSED_PAD src0_sel:BYTE_0 src1_sel:DWORD
	v_add_u32_e32 v2, v63, v2
	v_sub_u32_e32 v3, v31, v2
	v_and_b32_e32 v4, 1, v34
	v_add_u32_e32 v3, 19, v3
	v_cmp_eq_u32_e32 vcc, 1, v4
	v_cndmask_b32_e32 v2, v3, v2, vcc
	v_lshlrev_b32_e32 v2, 1, v2
	ds_write_b16 v2, v22
	s_waitcnt lgkmcnt(0)
	s_barrier
	ds_read_u16 v47, v1
	ds_read_u16 v45, v1 offset:512
	ds_read_u16 v43, v1 offset:1024
	;; [unrolled: 1-line block ×15, first 2 shown]
	s_add_u32 s2, s22, s30
	ds_read_u16 v15, v1 offset:8192
	ds_read_u16 v13, v1 offset:8704
	;; [unrolled: 1-line block ×4, first 2 shown]
	s_addc_u32 s3, s23, 0
	v_mov_b32_e32 v2, s35
	v_add_co_u32_e32 v1, vcc, s34, v11
	s_sub_u32 s2, s28, s2
	v_addc_co_u32_e32 v4, vcc, 0, v2, vcc
	s_subb_u32 s3, s29, s3
	v_mov_b32_e32 v2, s3
	v_add_co_u32_e32 v3, vcc, s2, v10
	v_addc_co_u32_e32 v2, vcc, 0, v2, vcc
	s_and_b64 vcc, exec, s[0:1]
	v_add_co_u32_e64 v7, s[0:1], v3, v1
	v_or_b32_e32 v46, 0x100, v0
	v_or_b32_e32 v44, 0x200, v0
	v_or_b32_e32 v42, 0x300, v0
	v_or_b32_e32 v40, 0x400, v0
	v_or_b32_e32 v38, 0x500, v0
	v_or_b32_e32 v36, 0x600, v0
	v_or_b32_e32 v34, 0x700, v0
	v_or_b32_e32 v32, 0x800, v0
	v_or_b32_e32 v30, 0x900, v0
	v_or_b32_e32 v28, 0xa00, v0
	v_or_b32_e32 v26, 0xb00, v0
	v_or_b32_e32 v24, 0xc00, v0
	v_or_b32_e32 v22, 0xd00, v0
	v_or_b32_e32 v20, 0xe00, v0
	v_or_b32_e32 v18, 0xf00, v0
	v_or_b32_e32 v16, 0x1000, v0
	v_or_b32_e32 v14, 0x1100, v0
	v_or_b32_e32 v12, 0x1200, v0
	v_or_b32_e32 v6, 0x1300, v0
	v_addc_co_u32_e64 v8, s[0:1], v2, v4, s[0:1]
	s_cbranch_vccnz .LBB142_167
; %bb.86:
	v_cmp_ge_u32_e32 vcc, v0, v10
                                        ; implicit-def: $vgpr2_vgpr3
	s_and_saveexec_b64 s[0:1], vcc
	s_xor_b64 s[0:1], exec, s[0:1]
; %bb.87:
	v_not_b32_e32 v2, v0
	v_ashrrev_i32_e32 v3, 31, v2
	v_add_co_u32_e32 v2, vcc, v7, v2
	v_addc_co_u32_e32 v3, vcc, v8, v3, vcc
; %bb.88:
	s_andn2_saveexec_b64 s[0:1], s[0:1]
; %bb.89:
	v_add_co_u32_e32 v2, vcc, v1, v0
	v_addc_co_u32_e32 v3, vcc, 0, v4, vcc
; %bb.90:
	s_or_b64 exec, exec, s[0:1]
	v_lshlrev_b64 v[2:3], 1, v[2:3]
	v_mov_b32_e32 v11, s5
	v_add_co_u32_e32 v2, vcc, s4, v2
	v_addc_co_u32_e32 v3, vcc, v11, v3, vcc
	v_cmp_ge_u32_e32 vcc, v46, v10
	s_waitcnt lgkmcnt(14)
	global_store_short v[2:3], v47, off
                                        ; implicit-def: $vgpr2_vgpr3
	s_and_saveexec_b64 s[0:1], vcc
	s_xor_b64 s[0:1], exec, s[0:1]
; %bb.91:
	v_xor_b32_e32 v2, 0xfffffeff, v0
	v_ashrrev_i32_e32 v3, 31, v2
	v_add_co_u32_e32 v2, vcc, v7, v2
	v_addc_co_u32_e32 v3, vcc, v8, v3, vcc
; %bb.92:
	s_andn2_saveexec_b64 s[0:1], s[0:1]
; %bb.93:
	v_add_co_u32_e32 v2, vcc, v1, v46
	v_addc_co_u32_e32 v3, vcc, 0, v4, vcc
; %bb.94:
	s_or_b64 exec, exec, s[0:1]
	v_lshlrev_b64 v[2:3], 1, v[2:3]
	v_mov_b32_e32 v11, s5
	v_add_co_u32_e32 v2, vcc, s4, v2
	v_addc_co_u32_e32 v3, vcc, v11, v3, vcc
	v_cmp_ge_u32_e32 vcc, v44, v10
	global_store_short v[2:3], v45, off
                                        ; implicit-def: $vgpr2_vgpr3
	s_and_saveexec_b64 s[0:1], vcc
	s_xor_b64 s[0:1], exec, s[0:1]
; %bb.95:
	v_xor_b32_e32 v2, 0xfffffdff, v0
	v_ashrrev_i32_e32 v3, 31, v2
	v_add_co_u32_e32 v2, vcc, v7, v2
	v_addc_co_u32_e32 v3, vcc, v8, v3, vcc
; %bb.96:
	s_andn2_saveexec_b64 s[0:1], s[0:1]
; %bb.97:
	v_add_co_u32_e32 v2, vcc, v1, v44
	v_addc_co_u32_e32 v3, vcc, 0, v4, vcc
; %bb.98:
	s_or_b64 exec, exec, s[0:1]
	v_lshlrev_b64 v[2:3], 1, v[2:3]
	v_mov_b32_e32 v11, s5
	v_add_co_u32_e32 v2, vcc, s4, v2
	v_addc_co_u32_e32 v3, vcc, v11, v3, vcc
	v_cmp_ge_u32_e32 vcc, v42, v10
	global_store_short v[2:3], v43, off
                                        ; implicit-def: $vgpr2_vgpr3
	s_and_saveexec_b64 s[0:1], vcc
	s_xor_b64 s[0:1], exec, s[0:1]
; %bb.99:
	v_xor_b32_e32 v2, 0xfffffcff, v0
	v_ashrrev_i32_e32 v3, 31, v2
	v_add_co_u32_e32 v2, vcc, v7, v2
	v_addc_co_u32_e32 v3, vcc, v8, v3, vcc
; %bb.100:
	s_andn2_saveexec_b64 s[0:1], s[0:1]
; %bb.101:
	v_add_co_u32_e32 v2, vcc, v1, v42
	v_addc_co_u32_e32 v3, vcc, 0, v4, vcc
; %bb.102:
	s_or_b64 exec, exec, s[0:1]
	v_lshlrev_b64 v[2:3], 1, v[2:3]
	v_mov_b32_e32 v11, s5
	v_add_co_u32_e32 v2, vcc, s4, v2
	v_addc_co_u32_e32 v3, vcc, v11, v3, vcc
	v_cmp_ge_u32_e32 vcc, v40, v10
	global_store_short v[2:3], v41, off
                                        ; implicit-def: $vgpr2_vgpr3
	s_and_saveexec_b64 s[0:1], vcc
	s_xor_b64 s[0:1], exec, s[0:1]
; %bb.103:
	v_xor_b32_e32 v2, 0xfffffbff, v0
	v_ashrrev_i32_e32 v3, 31, v2
	v_add_co_u32_e32 v2, vcc, v7, v2
	v_addc_co_u32_e32 v3, vcc, v8, v3, vcc
; %bb.104:
	s_andn2_saveexec_b64 s[0:1], s[0:1]
; %bb.105:
	v_add_co_u32_e32 v2, vcc, v1, v40
	v_addc_co_u32_e32 v3, vcc, 0, v4, vcc
; %bb.106:
	s_or_b64 exec, exec, s[0:1]
	v_lshlrev_b64 v[2:3], 1, v[2:3]
	v_mov_b32_e32 v11, s5
	v_add_co_u32_e32 v2, vcc, s4, v2
	v_addc_co_u32_e32 v3, vcc, v11, v3, vcc
	v_cmp_ge_u32_e32 vcc, v38, v10
	global_store_short v[2:3], v39, off
                                        ; implicit-def: $vgpr2_vgpr3
	s_and_saveexec_b64 s[0:1], vcc
	s_xor_b64 s[0:1], exec, s[0:1]
; %bb.107:
	v_xor_b32_e32 v2, 0xfffffaff, v0
	v_ashrrev_i32_e32 v3, 31, v2
	v_add_co_u32_e32 v2, vcc, v7, v2
	v_addc_co_u32_e32 v3, vcc, v8, v3, vcc
; %bb.108:
	s_andn2_saveexec_b64 s[0:1], s[0:1]
; %bb.109:
	v_add_co_u32_e32 v2, vcc, v1, v38
	v_addc_co_u32_e32 v3, vcc, 0, v4, vcc
; %bb.110:
	s_or_b64 exec, exec, s[0:1]
	v_lshlrev_b64 v[2:3], 1, v[2:3]
	v_mov_b32_e32 v11, s5
	v_add_co_u32_e32 v2, vcc, s4, v2
	v_addc_co_u32_e32 v3, vcc, v11, v3, vcc
	v_cmp_ge_u32_e32 vcc, v36, v10
	global_store_short v[2:3], v37, off
                                        ; implicit-def: $vgpr2_vgpr3
	s_and_saveexec_b64 s[0:1], vcc
	s_xor_b64 s[0:1], exec, s[0:1]
; %bb.111:
	v_xor_b32_e32 v2, 0xfffff9ff, v0
	v_ashrrev_i32_e32 v3, 31, v2
	v_add_co_u32_e32 v2, vcc, v7, v2
	v_addc_co_u32_e32 v3, vcc, v8, v3, vcc
; %bb.112:
	s_andn2_saveexec_b64 s[0:1], s[0:1]
; %bb.113:
	v_add_co_u32_e32 v2, vcc, v1, v36
	v_addc_co_u32_e32 v3, vcc, 0, v4, vcc
; %bb.114:
	s_or_b64 exec, exec, s[0:1]
	v_lshlrev_b64 v[2:3], 1, v[2:3]
	v_mov_b32_e32 v11, s5
	v_add_co_u32_e32 v2, vcc, s4, v2
	v_addc_co_u32_e32 v3, vcc, v11, v3, vcc
	v_cmp_ge_u32_e32 vcc, v34, v10
	s_waitcnt lgkmcnt(13)
	global_store_short v[2:3], v35, off
                                        ; implicit-def: $vgpr2_vgpr3
	s_and_saveexec_b64 s[0:1], vcc
	s_xor_b64 s[0:1], exec, s[0:1]
; %bb.115:
	v_xor_b32_e32 v2, 0xfffff8ff, v0
	v_ashrrev_i32_e32 v3, 31, v2
	v_add_co_u32_e32 v2, vcc, v7, v2
	v_addc_co_u32_e32 v3, vcc, v8, v3, vcc
; %bb.116:
	s_andn2_saveexec_b64 s[0:1], s[0:1]
; %bb.117:
	v_add_co_u32_e32 v2, vcc, v1, v34
	v_addc_co_u32_e32 v3, vcc, 0, v4, vcc
; %bb.118:
	s_or_b64 exec, exec, s[0:1]
	v_lshlrev_b64 v[2:3], 1, v[2:3]
	v_mov_b32_e32 v11, s5
	v_add_co_u32_e32 v2, vcc, s4, v2
	v_addc_co_u32_e32 v3, vcc, v11, v3, vcc
	v_cmp_ge_u32_e32 vcc, v32, v10
	s_waitcnt lgkmcnt(12)
	global_store_short v[2:3], v33, off
                                        ; implicit-def: $vgpr2_vgpr3
	s_and_saveexec_b64 s[0:1], vcc
	s_xor_b64 s[0:1], exec, s[0:1]
; %bb.119:
	v_xor_b32_e32 v2, 0xfffff7ff, v0
	v_ashrrev_i32_e32 v3, 31, v2
	v_add_co_u32_e32 v2, vcc, v7, v2
	v_addc_co_u32_e32 v3, vcc, v8, v3, vcc
; %bb.120:
	s_andn2_saveexec_b64 s[0:1], s[0:1]
; %bb.121:
	v_add_co_u32_e32 v2, vcc, v1, v32
	v_addc_co_u32_e32 v3, vcc, 0, v4, vcc
; %bb.122:
	s_or_b64 exec, exec, s[0:1]
	v_lshlrev_b64 v[2:3], 1, v[2:3]
	v_mov_b32_e32 v11, s5
	v_add_co_u32_e32 v2, vcc, s4, v2
	v_addc_co_u32_e32 v3, vcc, v11, v3, vcc
	v_cmp_ge_u32_e32 vcc, v30, v10
	;; [unrolled: 22-line block ×12, first 2 shown]
	s_waitcnt lgkmcnt(1)
	global_store_short v[2:3], v9, off
                                        ; implicit-def: $vgpr2_vgpr3
	s_and_saveexec_b64 s[0:1], vcc
	s_xor_b64 s[0:1], exec, s[0:1]
; %bb.163:
	v_xor_b32_e32 v2, 0xffffecff, v0
	v_ashrrev_i32_e32 v3, 31, v2
	v_add_co_u32_e32 v2, vcc, v7, v2
	v_addc_co_u32_e32 v3, vcc, v8, v3, vcc
; %bb.164:
	s_andn2_saveexec_b64 s[0:1], s[0:1]
; %bb.165:
	v_add_co_u32_e32 v2, vcc, v1, v6
	v_addc_co_u32_e32 v3, vcc, 0, v4, vcc
; %bb.166:
	s_or_b64 exec, exec, s[0:1]
	s_mov_b64 s[0:1], -1
	s_branch .LBB142_289
.LBB142_167:
	s_mov_b64 s[0:1], 0
                                        ; implicit-def: $vgpr2_vgpr3
	s_cbranch_execz .LBB142_289
; %bb.168:
	v_cmp_gt_u32_e32 vcc, s33, v0
	s_and_saveexec_b64 s[2:3], vcc
	s_cbranch_execz .LBB142_224
; %bb.169:
	v_cmp_ge_u32_e32 vcc, v0, v10
                                        ; implicit-def: $vgpr2_vgpr3
	s_and_saveexec_b64 s[6:7], vcc
	s_xor_b64 s[6:7], exec, s[6:7]
; %bb.170:
	v_not_b32_e32 v2, v0
	v_ashrrev_i32_e32 v3, 31, v2
	v_add_co_u32_e32 v2, vcc, v7, v2
	v_addc_co_u32_e32 v3, vcc, v8, v3, vcc
; %bb.171:
	s_andn2_saveexec_b64 s[6:7], s[6:7]
; %bb.172:
	v_add_co_u32_e32 v2, vcc, v1, v0
	v_addc_co_u32_e32 v3, vcc, 0, v4, vcc
; %bb.173:
	s_or_b64 exec, exec, s[6:7]
	v_lshlrev_b64 v[2:3], 1, v[2:3]
	v_mov_b32_e32 v11, s5
	v_add_co_u32_e32 v2, vcc, s4, v2
	v_addc_co_u32_e32 v3, vcc, v11, v3, vcc
	s_waitcnt lgkmcnt(14)
	global_store_short v[2:3], v47, off
	s_or_b64 exec, exec, s[2:3]
	v_cmp_gt_u32_e32 vcc, s33, v46
	s_and_saveexec_b64 s[2:3], vcc
	s_cbranch_execnz .LBB142_225
.LBB142_174:
	s_or_b64 exec, exec, s[2:3]
	v_cmp_gt_u32_e32 vcc, s33, v44
	s_and_saveexec_b64 s[2:3], vcc
	s_cbranch_execz .LBB142_230
.LBB142_175:
	v_cmp_ge_u32_e32 vcc, v44, v10
                                        ; implicit-def: $vgpr2_vgpr3
	s_and_saveexec_b64 s[6:7], vcc
	s_xor_b64 s[6:7], exec, s[6:7]
; %bb.176:
	v_xor_b32_e32 v2, 0xfffffdff, v0
	v_ashrrev_i32_e32 v3, 31, v2
	v_add_co_u32_e32 v2, vcc, v7, v2
	v_addc_co_u32_e32 v3, vcc, v8, v3, vcc
                                        ; implicit-def: $vgpr44
; %bb.177:
	s_andn2_saveexec_b64 s[6:7], s[6:7]
; %bb.178:
	v_add_co_u32_e32 v2, vcc, v1, v44
	v_addc_co_u32_e32 v3, vcc, 0, v4, vcc
; %bb.179:
	s_or_b64 exec, exec, s[6:7]
	v_lshlrev_b64 v[2:3], 1, v[2:3]
	v_mov_b32_e32 v11, s5
	v_add_co_u32_e32 v2, vcc, s4, v2
	v_addc_co_u32_e32 v3, vcc, v11, v3, vcc
	s_waitcnt lgkmcnt(14)
	global_store_short v[2:3], v43, off
	s_or_b64 exec, exec, s[2:3]
	v_cmp_gt_u32_e32 vcc, s33, v42
	s_and_saveexec_b64 s[2:3], vcc
	s_cbranch_execnz .LBB142_231
.LBB142_180:
	s_or_b64 exec, exec, s[2:3]
	v_cmp_gt_u32_e32 vcc, s33, v40
	s_and_saveexec_b64 s[2:3], vcc
	s_cbranch_execz .LBB142_236
.LBB142_181:
	v_cmp_ge_u32_e32 vcc, v40, v10
                                        ; implicit-def: $vgpr2_vgpr3
	s_and_saveexec_b64 s[6:7], vcc
	s_xor_b64 s[6:7], exec, s[6:7]
; %bb.182:
	v_xor_b32_e32 v2, 0xfffffbff, v0
	v_ashrrev_i32_e32 v3, 31, v2
	v_add_co_u32_e32 v2, vcc, v7, v2
	v_addc_co_u32_e32 v3, vcc, v8, v3, vcc
                                        ; implicit-def: $vgpr40
; %bb.183:
	s_andn2_saveexec_b64 s[6:7], s[6:7]
; %bb.184:
	v_add_co_u32_e32 v2, vcc, v1, v40
	v_addc_co_u32_e32 v3, vcc, 0, v4, vcc
; %bb.185:
	s_or_b64 exec, exec, s[6:7]
	v_lshlrev_b64 v[2:3], 1, v[2:3]
	v_mov_b32_e32 v11, s5
	v_add_co_u32_e32 v2, vcc, s4, v2
	v_addc_co_u32_e32 v3, vcc, v11, v3, vcc
	s_waitcnt lgkmcnt(14)
	global_store_short v[2:3], v39, off
	s_or_b64 exec, exec, s[2:3]
	v_cmp_gt_u32_e32 vcc, s33, v38
	s_and_saveexec_b64 s[2:3], vcc
	s_cbranch_execnz .LBB142_237
.LBB142_186:
	s_or_b64 exec, exec, s[2:3]
	v_cmp_gt_u32_e32 vcc, s33, v36
	s_and_saveexec_b64 s[2:3], vcc
	s_cbranch_execz .LBB142_242
.LBB142_187:
	v_cmp_ge_u32_e32 vcc, v36, v10
                                        ; implicit-def: $vgpr2_vgpr3
	s_and_saveexec_b64 s[6:7], vcc
	s_xor_b64 s[6:7], exec, s[6:7]
; %bb.188:
	v_xor_b32_e32 v2, 0xfffff9ff, v0
	v_ashrrev_i32_e32 v3, 31, v2
	v_add_co_u32_e32 v2, vcc, v7, v2
	v_addc_co_u32_e32 v3, vcc, v8, v3, vcc
                                        ; implicit-def: $vgpr36
; %bb.189:
	s_andn2_saveexec_b64 s[6:7], s[6:7]
; %bb.190:
	v_add_co_u32_e32 v2, vcc, v1, v36
	v_addc_co_u32_e32 v3, vcc, 0, v4, vcc
; %bb.191:
	s_or_b64 exec, exec, s[6:7]
	v_lshlrev_b64 v[2:3], 1, v[2:3]
	v_mov_b32_e32 v11, s5
	v_add_co_u32_e32 v2, vcc, s4, v2
	v_addc_co_u32_e32 v3, vcc, v11, v3, vcc
	s_waitcnt lgkmcnt(13)
	global_store_short v[2:3], v35, off
	s_or_b64 exec, exec, s[2:3]
	v_cmp_gt_u32_e32 vcc, s33, v34
	s_and_saveexec_b64 s[2:3], vcc
	s_cbranch_execnz .LBB142_243
.LBB142_192:
	s_or_b64 exec, exec, s[2:3]
	v_cmp_gt_u32_e32 vcc, s33, v32
	s_and_saveexec_b64 s[2:3], vcc
	s_cbranch_execz .LBB142_248
.LBB142_193:
	v_cmp_ge_u32_e32 vcc, v32, v10
                                        ; implicit-def: $vgpr2_vgpr3
	s_and_saveexec_b64 s[6:7], vcc
	s_xor_b64 s[6:7], exec, s[6:7]
; %bb.194:
	v_xor_b32_e32 v2, 0xfffff7ff, v0
	v_ashrrev_i32_e32 v3, 31, v2
	v_add_co_u32_e32 v2, vcc, v7, v2
	v_addc_co_u32_e32 v3, vcc, v8, v3, vcc
                                        ; implicit-def: $vgpr32
; %bb.195:
	s_andn2_saveexec_b64 s[6:7], s[6:7]
; %bb.196:
	v_add_co_u32_e32 v2, vcc, v1, v32
	v_addc_co_u32_e32 v3, vcc, 0, v4, vcc
; %bb.197:
	s_or_b64 exec, exec, s[6:7]
	v_lshlrev_b64 v[2:3], 1, v[2:3]
	v_mov_b32_e32 v11, s5
	v_add_co_u32_e32 v2, vcc, s4, v2
	v_addc_co_u32_e32 v3, vcc, v11, v3, vcc
	s_waitcnt lgkmcnt(11)
	global_store_short v[2:3], v31, off
	s_or_b64 exec, exec, s[2:3]
	v_cmp_gt_u32_e32 vcc, s33, v30
	s_and_saveexec_b64 s[2:3], vcc
	s_cbranch_execnz .LBB142_249
.LBB142_198:
	s_or_b64 exec, exec, s[2:3]
	v_cmp_gt_u32_e32 vcc, s33, v28
	s_and_saveexec_b64 s[2:3], vcc
	s_cbranch_execz .LBB142_254
.LBB142_199:
	v_cmp_ge_u32_e32 vcc, v28, v10
                                        ; implicit-def: $vgpr2_vgpr3
	s_and_saveexec_b64 s[6:7], vcc
	s_xor_b64 s[6:7], exec, s[6:7]
; %bb.200:
	v_xor_b32_e32 v2, 0xfffff5ff, v0
	v_ashrrev_i32_e32 v3, 31, v2
	v_add_co_u32_e32 v2, vcc, v7, v2
	v_addc_co_u32_e32 v3, vcc, v8, v3, vcc
                                        ; implicit-def: $vgpr28
; %bb.201:
	s_andn2_saveexec_b64 s[6:7], s[6:7]
; %bb.202:
	v_add_co_u32_e32 v2, vcc, v1, v28
	v_addc_co_u32_e32 v3, vcc, 0, v4, vcc
; %bb.203:
	s_or_b64 exec, exec, s[6:7]
	v_lshlrev_b64 v[2:3], 1, v[2:3]
	v_mov_b32_e32 v11, s5
	v_add_co_u32_e32 v2, vcc, s4, v2
	v_addc_co_u32_e32 v3, vcc, v11, v3, vcc
	s_waitcnt lgkmcnt(9)
	global_store_short v[2:3], v27, off
	s_or_b64 exec, exec, s[2:3]
	v_cmp_gt_u32_e32 vcc, s33, v26
	s_and_saveexec_b64 s[2:3], vcc
	s_cbranch_execnz .LBB142_255
.LBB142_204:
	s_or_b64 exec, exec, s[2:3]
	v_cmp_gt_u32_e32 vcc, s33, v24
	s_and_saveexec_b64 s[2:3], vcc
	s_cbranch_execz .LBB142_260
.LBB142_205:
	v_cmp_ge_u32_e32 vcc, v24, v10
                                        ; implicit-def: $vgpr2_vgpr3
	s_and_saveexec_b64 s[6:7], vcc
	s_xor_b64 s[6:7], exec, s[6:7]
; %bb.206:
	v_xor_b32_e32 v2, 0xfffff3ff, v0
	v_ashrrev_i32_e32 v3, 31, v2
	v_add_co_u32_e32 v2, vcc, v7, v2
	v_addc_co_u32_e32 v3, vcc, v8, v3, vcc
                                        ; implicit-def: $vgpr24
; %bb.207:
	s_andn2_saveexec_b64 s[6:7], s[6:7]
; %bb.208:
	v_add_co_u32_e32 v2, vcc, v1, v24
	v_addc_co_u32_e32 v3, vcc, 0, v4, vcc
; %bb.209:
	s_or_b64 exec, exec, s[6:7]
	v_lshlrev_b64 v[2:3], 1, v[2:3]
	v_mov_b32_e32 v11, s5
	v_add_co_u32_e32 v2, vcc, s4, v2
	v_addc_co_u32_e32 v3, vcc, v11, v3, vcc
	s_waitcnt lgkmcnt(7)
	global_store_short v[2:3], v23, off
	s_or_b64 exec, exec, s[2:3]
	v_cmp_gt_u32_e32 vcc, s33, v22
	s_and_saveexec_b64 s[2:3], vcc
	s_cbranch_execnz .LBB142_261
.LBB142_210:
	s_or_b64 exec, exec, s[2:3]
	v_cmp_gt_u32_e32 vcc, s33, v20
	s_and_saveexec_b64 s[2:3], vcc
	s_cbranch_execz .LBB142_266
.LBB142_211:
	v_cmp_ge_u32_e32 vcc, v20, v10
                                        ; implicit-def: $vgpr2_vgpr3
	s_and_saveexec_b64 s[6:7], vcc
	s_xor_b64 s[6:7], exec, s[6:7]
; %bb.212:
	v_xor_b32_e32 v2, 0xfffff1ff, v0
	v_ashrrev_i32_e32 v3, 31, v2
	v_add_co_u32_e32 v2, vcc, v7, v2
	v_addc_co_u32_e32 v3, vcc, v8, v3, vcc
                                        ; implicit-def: $vgpr20
; %bb.213:
	s_andn2_saveexec_b64 s[6:7], s[6:7]
; %bb.214:
	v_add_co_u32_e32 v2, vcc, v1, v20
	v_addc_co_u32_e32 v3, vcc, 0, v4, vcc
; %bb.215:
	s_or_b64 exec, exec, s[6:7]
	v_lshlrev_b64 v[2:3], 1, v[2:3]
	v_mov_b32_e32 v11, s5
	v_add_co_u32_e32 v2, vcc, s4, v2
	v_addc_co_u32_e32 v3, vcc, v11, v3, vcc
	s_waitcnt lgkmcnt(5)
	global_store_short v[2:3], v19, off
	s_or_b64 exec, exec, s[2:3]
	v_cmp_gt_u32_e32 vcc, s33, v18
	s_and_saveexec_b64 s[2:3], vcc
	s_cbranch_execnz .LBB142_267
.LBB142_216:
	s_or_b64 exec, exec, s[2:3]
	v_cmp_gt_u32_e32 vcc, s33, v16
	s_and_saveexec_b64 s[2:3], vcc
	s_cbranch_execz .LBB142_272
.LBB142_217:
	v_cmp_ge_u32_e32 vcc, v16, v10
                                        ; implicit-def: $vgpr2_vgpr3
	s_and_saveexec_b64 s[6:7], vcc
	s_xor_b64 s[6:7], exec, s[6:7]
; %bb.218:
	v_xor_b32_e32 v2, 0xffffefff, v0
	v_ashrrev_i32_e32 v3, 31, v2
	v_add_co_u32_e32 v2, vcc, v7, v2
	v_addc_co_u32_e32 v3, vcc, v8, v3, vcc
                                        ; implicit-def: $vgpr16
; %bb.219:
	s_andn2_saveexec_b64 s[6:7], s[6:7]
; %bb.220:
	v_add_co_u32_e32 v2, vcc, v1, v16
	v_addc_co_u32_e32 v3, vcc, 0, v4, vcc
; %bb.221:
	s_or_b64 exec, exec, s[6:7]
	v_lshlrev_b64 v[2:3], 1, v[2:3]
	v_mov_b32_e32 v11, s5
	v_add_co_u32_e32 v2, vcc, s4, v2
	v_addc_co_u32_e32 v3, vcc, v11, v3, vcc
	s_waitcnt lgkmcnt(3)
	global_store_short v[2:3], v15, off
	s_or_b64 exec, exec, s[2:3]
	v_cmp_gt_u32_e32 vcc, s33, v14
	s_and_saveexec_b64 s[2:3], vcc
	s_cbranch_execnz .LBB142_273
.LBB142_222:
	s_or_b64 exec, exec, s[2:3]
	v_cmp_gt_u32_e32 vcc, s33, v12
	s_and_saveexec_b64 s[2:3], vcc
	s_cbranch_execnz .LBB142_278
.LBB142_223:
	s_or_b64 exec, exec, s[2:3]
	v_cmp_gt_u32_e32 vcc, s33, v6
                                        ; implicit-def: $vgpr2_vgpr3
	s_and_saveexec_b64 s[2:3], vcc
	s_cbranch_execz .LBB142_288
	s_branch .LBB142_283
.LBB142_224:
	s_or_b64 exec, exec, s[2:3]
	v_cmp_gt_u32_e32 vcc, s33, v46
	s_and_saveexec_b64 s[2:3], vcc
	s_cbranch_execz .LBB142_174
.LBB142_225:
	v_cmp_ge_u32_e32 vcc, v46, v10
                                        ; implicit-def: $vgpr2_vgpr3
	s_and_saveexec_b64 s[6:7], vcc
	s_xor_b64 s[6:7], exec, s[6:7]
; %bb.226:
	v_xor_b32_e32 v2, 0xfffffeff, v0
	v_ashrrev_i32_e32 v3, 31, v2
	v_add_co_u32_e32 v2, vcc, v7, v2
	v_addc_co_u32_e32 v3, vcc, v8, v3, vcc
                                        ; implicit-def: $vgpr46
; %bb.227:
	s_andn2_saveexec_b64 s[6:7], s[6:7]
; %bb.228:
	v_add_co_u32_e32 v2, vcc, v1, v46
	v_addc_co_u32_e32 v3, vcc, 0, v4, vcc
; %bb.229:
	s_or_b64 exec, exec, s[6:7]
	v_lshlrev_b64 v[2:3], 1, v[2:3]
	v_mov_b32_e32 v11, s5
	v_add_co_u32_e32 v2, vcc, s4, v2
	v_addc_co_u32_e32 v3, vcc, v11, v3, vcc
	s_waitcnt lgkmcnt(14)
	global_store_short v[2:3], v45, off
	s_or_b64 exec, exec, s[2:3]
	v_cmp_gt_u32_e32 vcc, s33, v44
	s_and_saveexec_b64 s[2:3], vcc
	s_cbranch_execnz .LBB142_175
.LBB142_230:
	s_or_b64 exec, exec, s[2:3]
	v_cmp_gt_u32_e32 vcc, s33, v42
	s_and_saveexec_b64 s[2:3], vcc
	s_cbranch_execz .LBB142_180
.LBB142_231:
	v_cmp_ge_u32_e32 vcc, v42, v10
                                        ; implicit-def: $vgpr2_vgpr3
	s_and_saveexec_b64 s[6:7], vcc
	s_xor_b64 s[6:7], exec, s[6:7]
; %bb.232:
	v_xor_b32_e32 v2, 0xfffffcff, v0
	v_ashrrev_i32_e32 v3, 31, v2
	v_add_co_u32_e32 v2, vcc, v7, v2
	v_addc_co_u32_e32 v3, vcc, v8, v3, vcc
                                        ; implicit-def: $vgpr42
; %bb.233:
	s_andn2_saveexec_b64 s[6:7], s[6:7]
; %bb.234:
	v_add_co_u32_e32 v2, vcc, v1, v42
	v_addc_co_u32_e32 v3, vcc, 0, v4, vcc
; %bb.235:
	s_or_b64 exec, exec, s[6:7]
	v_lshlrev_b64 v[2:3], 1, v[2:3]
	v_mov_b32_e32 v11, s5
	v_add_co_u32_e32 v2, vcc, s4, v2
	v_addc_co_u32_e32 v3, vcc, v11, v3, vcc
	s_waitcnt lgkmcnt(14)
	global_store_short v[2:3], v41, off
	s_or_b64 exec, exec, s[2:3]
	v_cmp_gt_u32_e32 vcc, s33, v40
	s_and_saveexec_b64 s[2:3], vcc
	s_cbranch_execnz .LBB142_181
.LBB142_236:
	s_or_b64 exec, exec, s[2:3]
	v_cmp_gt_u32_e32 vcc, s33, v38
	s_and_saveexec_b64 s[2:3], vcc
	s_cbranch_execz .LBB142_186
.LBB142_237:
	v_cmp_ge_u32_e32 vcc, v38, v10
                                        ; implicit-def: $vgpr2_vgpr3
	s_and_saveexec_b64 s[6:7], vcc
	s_xor_b64 s[6:7], exec, s[6:7]
; %bb.238:
	v_xor_b32_e32 v2, 0xfffffaff, v0
	v_ashrrev_i32_e32 v3, 31, v2
	v_add_co_u32_e32 v2, vcc, v7, v2
	v_addc_co_u32_e32 v3, vcc, v8, v3, vcc
                                        ; implicit-def: $vgpr38
; %bb.239:
	s_andn2_saveexec_b64 s[6:7], s[6:7]
; %bb.240:
	v_add_co_u32_e32 v2, vcc, v1, v38
	v_addc_co_u32_e32 v3, vcc, 0, v4, vcc
; %bb.241:
	s_or_b64 exec, exec, s[6:7]
	v_lshlrev_b64 v[2:3], 1, v[2:3]
	v_mov_b32_e32 v11, s5
	v_add_co_u32_e32 v2, vcc, s4, v2
	v_addc_co_u32_e32 v3, vcc, v11, v3, vcc
	s_waitcnt lgkmcnt(14)
	global_store_short v[2:3], v37, off
	s_or_b64 exec, exec, s[2:3]
	v_cmp_gt_u32_e32 vcc, s33, v36
	s_and_saveexec_b64 s[2:3], vcc
	s_cbranch_execnz .LBB142_187
.LBB142_242:
	s_or_b64 exec, exec, s[2:3]
	v_cmp_gt_u32_e32 vcc, s33, v34
	s_and_saveexec_b64 s[2:3], vcc
	s_cbranch_execz .LBB142_192
.LBB142_243:
	v_cmp_ge_u32_e32 vcc, v34, v10
                                        ; implicit-def: $vgpr2_vgpr3
	s_and_saveexec_b64 s[6:7], vcc
	s_xor_b64 s[6:7], exec, s[6:7]
; %bb.244:
	v_xor_b32_e32 v2, 0xfffff8ff, v0
	v_ashrrev_i32_e32 v3, 31, v2
	v_add_co_u32_e32 v2, vcc, v7, v2
	v_addc_co_u32_e32 v3, vcc, v8, v3, vcc
                                        ; implicit-def: $vgpr34
; %bb.245:
	s_andn2_saveexec_b64 s[6:7], s[6:7]
; %bb.246:
	v_add_co_u32_e32 v2, vcc, v1, v34
	v_addc_co_u32_e32 v3, vcc, 0, v4, vcc
; %bb.247:
	s_or_b64 exec, exec, s[6:7]
	v_lshlrev_b64 v[2:3], 1, v[2:3]
	v_mov_b32_e32 v11, s5
	v_add_co_u32_e32 v2, vcc, s4, v2
	v_addc_co_u32_e32 v3, vcc, v11, v3, vcc
	s_waitcnt lgkmcnt(12)
	global_store_short v[2:3], v33, off
	s_or_b64 exec, exec, s[2:3]
	v_cmp_gt_u32_e32 vcc, s33, v32
	s_and_saveexec_b64 s[2:3], vcc
	s_cbranch_execnz .LBB142_193
.LBB142_248:
	s_or_b64 exec, exec, s[2:3]
	v_cmp_gt_u32_e32 vcc, s33, v30
	s_and_saveexec_b64 s[2:3], vcc
	s_cbranch_execz .LBB142_198
.LBB142_249:
	v_cmp_ge_u32_e32 vcc, v30, v10
                                        ; implicit-def: $vgpr2_vgpr3
	s_and_saveexec_b64 s[6:7], vcc
	s_xor_b64 s[6:7], exec, s[6:7]
; %bb.250:
	v_xor_b32_e32 v2, 0xfffff6ff, v0
	v_ashrrev_i32_e32 v3, 31, v2
	v_add_co_u32_e32 v2, vcc, v7, v2
	v_addc_co_u32_e32 v3, vcc, v8, v3, vcc
                                        ; implicit-def: $vgpr30
; %bb.251:
	s_andn2_saveexec_b64 s[6:7], s[6:7]
; %bb.252:
	v_add_co_u32_e32 v2, vcc, v1, v30
	v_addc_co_u32_e32 v3, vcc, 0, v4, vcc
; %bb.253:
	s_or_b64 exec, exec, s[6:7]
	v_lshlrev_b64 v[2:3], 1, v[2:3]
	v_mov_b32_e32 v11, s5
	v_add_co_u32_e32 v2, vcc, s4, v2
	v_addc_co_u32_e32 v3, vcc, v11, v3, vcc
	s_waitcnt lgkmcnt(10)
	global_store_short v[2:3], v29, off
	s_or_b64 exec, exec, s[2:3]
	v_cmp_gt_u32_e32 vcc, s33, v28
	s_and_saveexec_b64 s[2:3], vcc
	s_cbranch_execnz .LBB142_199
.LBB142_254:
	s_or_b64 exec, exec, s[2:3]
	v_cmp_gt_u32_e32 vcc, s33, v26
	s_and_saveexec_b64 s[2:3], vcc
	s_cbranch_execz .LBB142_204
.LBB142_255:
	v_cmp_ge_u32_e32 vcc, v26, v10
                                        ; implicit-def: $vgpr2_vgpr3
	s_and_saveexec_b64 s[6:7], vcc
	s_xor_b64 s[6:7], exec, s[6:7]
; %bb.256:
	v_xor_b32_e32 v2, 0xfffff4ff, v0
	v_ashrrev_i32_e32 v3, 31, v2
	v_add_co_u32_e32 v2, vcc, v7, v2
	v_addc_co_u32_e32 v3, vcc, v8, v3, vcc
                                        ; implicit-def: $vgpr26
; %bb.257:
	s_andn2_saveexec_b64 s[6:7], s[6:7]
; %bb.258:
	v_add_co_u32_e32 v2, vcc, v1, v26
	v_addc_co_u32_e32 v3, vcc, 0, v4, vcc
; %bb.259:
	s_or_b64 exec, exec, s[6:7]
	v_lshlrev_b64 v[2:3], 1, v[2:3]
	v_mov_b32_e32 v11, s5
	v_add_co_u32_e32 v2, vcc, s4, v2
	v_addc_co_u32_e32 v3, vcc, v11, v3, vcc
	s_waitcnt lgkmcnt(8)
	global_store_short v[2:3], v25, off
	s_or_b64 exec, exec, s[2:3]
	v_cmp_gt_u32_e32 vcc, s33, v24
	s_and_saveexec_b64 s[2:3], vcc
	s_cbranch_execnz .LBB142_205
.LBB142_260:
	s_or_b64 exec, exec, s[2:3]
	v_cmp_gt_u32_e32 vcc, s33, v22
	s_and_saveexec_b64 s[2:3], vcc
	s_cbranch_execz .LBB142_210
.LBB142_261:
	v_cmp_ge_u32_e32 vcc, v22, v10
                                        ; implicit-def: $vgpr2_vgpr3
	s_and_saveexec_b64 s[6:7], vcc
	s_xor_b64 s[6:7], exec, s[6:7]
; %bb.262:
	v_xor_b32_e32 v2, 0xfffff2ff, v0
	v_ashrrev_i32_e32 v3, 31, v2
	v_add_co_u32_e32 v2, vcc, v7, v2
	v_addc_co_u32_e32 v3, vcc, v8, v3, vcc
                                        ; implicit-def: $vgpr22
; %bb.263:
	s_andn2_saveexec_b64 s[6:7], s[6:7]
; %bb.264:
	v_add_co_u32_e32 v2, vcc, v1, v22
	v_addc_co_u32_e32 v3, vcc, 0, v4, vcc
; %bb.265:
	s_or_b64 exec, exec, s[6:7]
	v_lshlrev_b64 v[2:3], 1, v[2:3]
	v_mov_b32_e32 v11, s5
	v_add_co_u32_e32 v2, vcc, s4, v2
	v_addc_co_u32_e32 v3, vcc, v11, v3, vcc
	s_waitcnt lgkmcnt(6)
	global_store_short v[2:3], v21, off
	s_or_b64 exec, exec, s[2:3]
	v_cmp_gt_u32_e32 vcc, s33, v20
	s_and_saveexec_b64 s[2:3], vcc
	s_cbranch_execnz .LBB142_211
.LBB142_266:
	s_or_b64 exec, exec, s[2:3]
	v_cmp_gt_u32_e32 vcc, s33, v18
	s_and_saveexec_b64 s[2:3], vcc
	s_cbranch_execz .LBB142_216
.LBB142_267:
	v_cmp_ge_u32_e32 vcc, v18, v10
                                        ; implicit-def: $vgpr2_vgpr3
	s_and_saveexec_b64 s[6:7], vcc
	s_xor_b64 s[6:7], exec, s[6:7]
; %bb.268:
	v_xor_b32_e32 v2, 0xfffff0ff, v0
	v_ashrrev_i32_e32 v3, 31, v2
	v_add_co_u32_e32 v2, vcc, v7, v2
	v_addc_co_u32_e32 v3, vcc, v8, v3, vcc
                                        ; implicit-def: $vgpr18
; %bb.269:
	s_andn2_saveexec_b64 s[6:7], s[6:7]
; %bb.270:
	v_add_co_u32_e32 v2, vcc, v1, v18
	v_addc_co_u32_e32 v3, vcc, 0, v4, vcc
; %bb.271:
	s_or_b64 exec, exec, s[6:7]
	v_lshlrev_b64 v[2:3], 1, v[2:3]
	v_mov_b32_e32 v11, s5
	v_add_co_u32_e32 v2, vcc, s4, v2
	v_addc_co_u32_e32 v3, vcc, v11, v3, vcc
	s_waitcnt lgkmcnt(4)
	global_store_short v[2:3], v17, off
	s_or_b64 exec, exec, s[2:3]
	v_cmp_gt_u32_e32 vcc, s33, v16
	s_and_saveexec_b64 s[2:3], vcc
	s_cbranch_execnz .LBB142_217
.LBB142_272:
	s_or_b64 exec, exec, s[2:3]
	v_cmp_gt_u32_e32 vcc, s33, v14
	s_and_saveexec_b64 s[2:3], vcc
	s_cbranch_execz .LBB142_222
.LBB142_273:
	v_cmp_ge_u32_e32 vcc, v14, v10
                                        ; implicit-def: $vgpr2_vgpr3
	s_and_saveexec_b64 s[6:7], vcc
	s_xor_b64 s[6:7], exec, s[6:7]
; %bb.274:
	v_xor_b32_e32 v2, 0xffffeeff, v0
	v_ashrrev_i32_e32 v3, 31, v2
	v_add_co_u32_e32 v2, vcc, v7, v2
	v_addc_co_u32_e32 v3, vcc, v8, v3, vcc
                                        ; implicit-def: $vgpr14
; %bb.275:
	s_andn2_saveexec_b64 s[6:7], s[6:7]
; %bb.276:
	v_add_co_u32_e32 v2, vcc, v1, v14
	v_addc_co_u32_e32 v3, vcc, 0, v4, vcc
; %bb.277:
	s_or_b64 exec, exec, s[6:7]
	v_lshlrev_b64 v[2:3], 1, v[2:3]
	v_mov_b32_e32 v11, s5
	v_add_co_u32_e32 v2, vcc, s4, v2
	v_addc_co_u32_e32 v3, vcc, v11, v3, vcc
	s_waitcnt lgkmcnt(2)
	global_store_short v[2:3], v13, off
	s_or_b64 exec, exec, s[2:3]
	v_cmp_gt_u32_e32 vcc, s33, v12
	s_and_saveexec_b64 s[2:3], vcc
	s_cbranch_execz .LBB142_223
.LBB142_278:
	v_cmp_ge_u32_e32 vcc, v12, v10
                                        ; implicit-def: $vgpr2_vgpr3
	s_and_saveexec_b64 s[6:7], vcc
	s_xor_b64 s[6:7], exec, s[6:7]
; %bb.279:
	v_xor_b32_e32 v2, 0xffffedff, v0
	v_ashrrev_i32_e32 v3, 31, v2
	v_add_co_u32_e32 v2, vcc, v7, v2
	v_addc_co_u32_e32 v3, vcc, v8, v3, vcc
                                        ; implicit-def: $vgpr12
; %bb.280:
	s_andn2_saveexec_b64 s[6:7], s[6:7]
; %bb.281:
	v_add_co_u32_e32 v2, vcc, v1, v12
	v_addc_co_u32_e32 v3, vcc, 0, v4, vcc
; %bb.282:
	s_or_b64 exec, exec, s[6:7]
	v_lshlrev_b64 v[2:3], 1, v[2:3]
	v_mov_b32_e32 v11, s5
	v_add_co_u32_e32 v2, vcc, s4, v2
	v_addc_co_u32_e32 v3, vcc, v11, v3, vcc
	s_waitcnt lgkmcnt(1)
	global_store_short v[2:3], v9, off
	s_or_b64 exec, exec, s[2:3]
	v_cmp_gt_u32_e32 vcc, s33, v6
                                        ; implicit-def: $vgpr2_vgpr3
	s_and_saveexec_b64 s[2:3], vcc
	s_cbranch_execz .LBB142_288
.LBB142_283:
	v_cmp_ge_u32_e32 vcc, v6, v10
                                        ; implicit-def: $vgpr2_vgpr3
	s_and_saveexec_b64 s[6:7], vcc
	s_xor_b64 s[6:7], exec, s[6:7]
; %bb.284:
	v_xor_b32_e32 v2, 0xffffecff, v0
	v_ashrrev_i32_e32 v3, 31, v2
	v_add_co_u32_e32 v2, vcc, v7, v2
	v_addc_co_u32_e32 v3, vcc, v8, v3, vcc
                                        ; implicit-def: $vgpr6
; %bb.285:
	s_andn2_saveexec_b64 s[6:7], s[6:7]
; %bb.286:
	v_add_co_u32_e32 v2, vcc, v1, v6
	v_addc_co_u32_e32 v3, vcc, 0, v4, vcc
; %bb.287:
	s_or_b64 exec, exec, s[6:7]
	s_or_b64 s[0:1], s[0:1], exec
.LBB142_288:
	s_or_b64 exec, exec, s[2:3]
.LBB142_289:
	s_and_saveexec_b64 s[2:3], s[0:1]
	s_cbranch_execz .LBB142_291
; %bb.290:
	v_lshlrev_b64 v[2:3], 1, v[2:3]
	v_mov_b32_e32 v6, s5
	v_add_co_u32_e32 v2, vcc, s4, v2
	v_addc_co_u32_e32 v3, vcc, v6, v3, vcc
	s_waitcnt lgkmcnt(0)
	global_store_short v[2:3], v5, off
.LBB142_291:
	s_or_b64 exec, exec, s[2:3]
	v_cmp_eq_u32_e32 vcc, 0, v0
	s_and_b64 s[0:1], vcc, s[26:27]
	s_and_saveexec_b64 s[2:3], s[0:1]
	s_cbranch_execz .LBB142_293
; %bb.292:
	v_add_co_u32_e32 v0, vcc, v1, v10
	v_mov_b32_e32 v2, 0
	v_addc_co_u32_e32 v1, vcc, 0, v4, vcc
	global_store_dwordx2 v2, v[0:1], s[24:25]
.LBB142_293:
	s_endpgm
	.section	.rodata,"a",@progbits
	.p2align	6, 0x0
	.amdhsa_kernel _ZN7rocprim17ROCPRIM_400000_NS6detail17trampoline_kernelINS0_14default_configENS1_25partition_config_selectorILNS1_17partition_subalgoE3EsNS0_10empty_typeEbEEZZNS1_14partition_implILS5_3ELb0ES3_jN6thrust23THRUST_200600_302600_NS6detail15normal_iteratorINSA_7pointerIsNSA_11hip_rocprim3tagENSA_11use_defaultESG_EEEEPS6_SJ_NS0_5tupleIJPsSJ_EEENSK_IJSJ_SJ_EEES6_PlJ7is_evenIsEEEE10hipError_tPvRmT3_T4_T5_T6_T7_T9_mT8_P12ihipStream_tbDpT10_ENKUlT_T0_E_clISt17integral_constantIbLb0EES1A_EEDaS15_S16_EUlS15_E_NS1_11comp_targetILNS1_3genE4ELNS1_11target_archE910ELNS1_3gpuE8ELNS1_3repE0EEENS1_30default_config_static_selectorELNS0_4arch9wavefront6targetE1EEEvT1_
		.amdhsa_group_segment_fixed_size 10248
		.amdhsa_private_segment_fixed_size 0
		.amdhsa_kernarg_size 120
		.amdhsa_user_sgpr_count 6
		.amdhsa_user_sgpr_private_segment_buffer 1
		.amdhsa_user_sgpr_dispatch_ptr 0
		.amdhsa_user_sgpr_queue_ptr 0
		.amdhsa_user_sgpr_kernarg_segment_ptr 1
		.amdhsa_user_sgpr_dispatch_id 0
		.amdhsa_user_sgpr_flat_scratch_init 0
		.amdhsa_user_sgpr_kernarg_preload_length 0
		.amdhsa_user_sgpr_kernarg_preload_offset 0
		.amdhsa_user_sgpr_private_segment_size 0
		.amdhsa_uses_dynamic_stack 0
		.amdhsa_system_sgpr_private_segment_wavefront_offset 0
		.amdhsa_system_sgpr_workgroup_id_x 1
		.amdhsa_system_sgpr_workgroup_id_y 0
		.amdhsa_system_sgpr_workgroup_id_z 0
		.amdhsa_system_sgpr_workgroup_info 0
		.amdhsa_system_vgpr_workitem_id 0
		.amdhsa_next_free_vgpr 90
		.amdhsa_next_free_sgpr 46
		.amdhsa_accum_offset 92
		.amdhsa_reserve_vcc 1
		.amdhsa_reserve_flat_scratch 0
		.amdhsa_float_round_mode_32 0
		.amdhsa_float_round_mode_16_64 0
		.amdhsa_float_denorm_mode_32 3
		.amdhsa_float_denorm_mode_16_64 3
		.amdhsa_dx10_clamp 1
		.amdhsa_ieee_mode 1
		.amdhsa_fp16_overflow 0
		.amdhsa_tg_split 0
		.amdhsa_exception_fp_ieee_invalid_op 0
		.amdhsa_exception_fp_denorm_src 0
		.amdhsa_exception_fp_ieee_div_zero 0
		.amdhsa_exception_fp_ieee_overflow 0
		.amdhsa_exception_fp_ieee_underflow 0
		.amdhsa_exception_fp_ieee_inexact 0
		.amdhsa_exception_int_div_zero 0
	.end_amdhsa_kernel
	.section	.text._ZN7rocprim17ROCPRIM_400000_NS6detail17trampoline_kernelINS0_14default_configENS1_25partition_config_selectorILNS1_17partition_subalgoE3EsNS0_10empty_typeEbEEZZNS1_14partition_implILS5_3ELb0ES3_jN6thrust23THRUST_200600_302600_NS6detail15normal_iteratorINSA_7pointerIsNSA_11hip_rocprim3tagENSA_11use_defaultESG_EEEEPS6_SJ_NS0_5tupleIJPsSJ_EEENSK_IJSJ_SJ_EEES6_PlJ7is_evenIsEEEE10hipError_tPvRmT3_T4_T5_T6_T7_T9_mT8_P12ihipStream_tbDpT10_ENKUlT_T0_E_clISt17integral_constantIbLb0EES1A_EEDaS15_S16_EUlS15_E_NS1_11comp_targetILNS1_3genE4ELNS1_11target_archE910ELNS1_3gpuE8ELNS1_3repE0EEENS1_30default_config_static_selectorELNS0_4arch9wavefront6targetE1EEEvT1_,"axG",@progbits,_ZN7rocprim17ROCPRIM_400000_NS6detail17trampoline_kernelINS0_14default_configENS1_25partition_config_selectorILNS1_17partition_subalgoE3EsNS0_10empty_typeEbEEZZNS1_14partition_implILS5_3ELb0ES3_jN6thrust23THRUST_200600_302600_NS6detail15normal_iteratorINSA_7pointerIsNSA_11hip_rocprim3tagENSA_11use_defaultESG_EEEEPS6_SJ_NS0_5tupleIJPsSJ_EEENSK_IJSJ_SJ_EEES6_PlJ7is_evenIsEEEE10hipError_tPvRmT3_T4_T5_T6_T7_T9_mT8_P12ihipStream_tbDpT10_ENKUlT_T0_E_clISt17integral_constantIbLb0EES1A_EEDaS15_S16_EUlS15_E_NS1_11comp_targetILNS1_3genE4ELNS1_11target_archE910ELNS1_3gpuE8ELNS1_3repE0EEENS1_30default_config_static_selectorELNS0_4arch9wavefront6targetE1EEEvT1_,comdat
.Lfunc_end142:
	.size	_ZN7rocprim17ROCPRIM_400000_NS6detail17trampoline_kernelINS0_14default_configENS1_25partition_config_selectorILNS1_17partition_subalgoE3EsNS0_10empty_typeEbEEZZNS1_14partition_implILS5_3ELb0ES3_jN6thrust23THRUST_200600_302600_NS6detail15normal_iteratorINSA_7pointerIsNSA_11hip_rocprim3tagENSA_11use_defaultESG_EEEEPS6_SJ_NS0_5tupleIJPsSJ_EEENSK_IJSJ_SJ_EEES6_PlJ7is_evenIsEEEE10hipError_tPvRmT3_T4_T5_T6_T7_T9_mT8_P12ihipStream_tbDpT10_ENKUlT_T0_E_clISt17integral_constantIbLb0EES1A_EEDaS15_S16_EUlS15_E_NS1_11comp_targetILNS1_3genE4ELNS1_11target_archE910ELNS1_3gpuE8ELNS1_3repE0EEENS1_30default_config_static_selectorELNS0_4arch9wavefront6targetE1EEEvT1_, .Lfunc_end142-_ZN7rocprim17ROCPRIM_400000_NS6detail17trampoline_kernelINS0_14default_configENS1_25partition_config_selectorILNS1_17partition_subalgoE3EsNS0_10empty_typeEbEEZZNS1_14partition_implILS5_3ELb0ES3_jN6thrust23THRUST_200600_302600_NS6detail15normal_iteratorINSA_7pointerIsNSA_11hip_rocprim3tagENSA_11use_defaultESG_EEEEPS6_SJ_NS0_5tupleIJPsSJ_EEENSK_IJSJ_SJ_EEES6_PlJ7is_evenIsEEEE10hipError_tPvRmT3_T4_T5_T6_T7_T9_mT8_P12ihipStream_tbDpT10_ENKUlT_T0_E_clISt17integral_constantIbLb0EES1A_EEDaS15_S16_EUlS15_E_NS1_11comp_targetILNS1_3genE4ELNS1_11target_archE910ELNS1_3gpuE8ELNS1_3repE0EEENS1_30default_config_static_selectorELNS0_4arch9wavefront6targetE1EEEvT1_
                                        ; -- End function
	.section	.AMDGPU.csdata,"",@progbits
; Kernel info:
; codeLenInByte = 9508
; NumSgprs: 50
; NumVgprs: 90
; NumAgprs: 0
; TotalNumVgprs: 90
; ScratchSize: 0
; MemoryBound: 0
; FloatMode: 240
; IeeeMode: 1
; LDSByteSize: 10248 bytes/workgroup (compile time only)
; SGPRBlocks: 6
; VGPRBlocks: 11
; NumSGPRsForWavesPerEU: 50
; NumVGPRsForWavesPerEU: 90
; AccumOffset: 92
; Occupancy: 5
; WaveLimiterHint : 1
; COMPUTE_PGM_RSRC2:SCRATCH_EN: 0
; COMPUTE_PGM_RSRC2:USER_SGPR: 6
; COMPUTE_PGM_RSRC2:TRAP_HANDLER: 0
; COMPUTE_PGM_RSRC2:TGID_X_EN: 1
; COMPUTE_PGM_RSRC2:TGID_Y_EN: 0
; COMPUTE_PGM_RSRC2:TGID_Z_EN: 0
; COMPUTE_PGM_RSRC2:TIDIG_COMP_CNT: 0
; COMPUTE_PGM_RSRC3_GFX90A:ACCUM_OFFSET: 22
; COMPUTE_PGM_RSRC3_GFX90A:TG_SPLIT: 0
	.section	.text._ZN7rocprim17ROCPRIM_400000_NS6detail17trampoline_kernelINS0_14default_configENS1_25partition_config_selectorILNS1_17partition_subalgoE3EsNS0_10empty_typeEbEEZZNS1_14partition_implILS5_3ELb0ES3_jN6thrust23THRUST_200600_302600_NS6detail15normal_iteratorINSA_7pointerIsNSA_11hip_rocprim3tagENSA_11use_defaultESG_EEEEPS6_SJ_NS0_5tupleIJPsSJ_EEENSK_IJSJ_SJ_EEES6_PlJ7is_evenIsEEEE10hipError_tPvRmT3_T4_T5_T6_T7_T9_mT8_P12ihipStream_tbDpT10_ENKUlT_T0_E_clISt17integral_constantIbLb0EES1A_EEDaS15_S16_EUlS15_E_NS1_11comp_targetILNS1_3genE3ELNS1_11target_archE908ELNS1_3gpuE7ELNS1_3repE0EEENS1_30default_config_static_selectorELNS0_4arch9wavefront6targetE1EEEvT1_,"axG",@progbits,_ZN7rocprim17ROCPRIM_400000_NS6detail17trampoline_kernelINS0_14default_configENS1_25partition_config_selectorILNS1_17partition_subalgoE3EsNS0_10empty_typeEbEEZZNS1_14partition_implILS5_3ELb0ES3_jN6thrust23THRUST_200600_302600_NS6detail15normal_iteratorINSA_7pointerIsNSA_11hip_rocprim3tagENSA_11use_defaultESG_EEEEPS6_SJ_NS0_5tupleIJPsSJ_EEENSK_IJSJ_SJ_EEES6_PlJ7is_evenIsEEEE10hipError_tPvRmT3_T4_T5_T6_T7_T9_mT8_P12ihipStream_tbDpT10_ENKUlT_T0_E_clISt17integral_constantIbLb0EES1A_EEDaS15_S16_EUlS15_E_NS1_11comp_targetILNS1_3genE3ELNS1_11target_archE908ELNS1_3gpuE7ELNS1_3repE0EEENS1_30default_config_static_selectorELNS0_4arch9wavefront6targetE1EEEvT1_,comdat
	.protected	_ZN7rocprim17ROCPRIM_400000_NS6detail17trampoline_kernelINS0_14default_configENS1_25partition_config_selectorILNS1_17partition_subalgoE3EsNS0_10empty_typeEbEEZZNS1_14partition_implILS5_3ELb0ES3_jN6thrust23THRUST_200600_302600_NS6detail15normal_iteratorINSA_7pointerIsNSA_11hip_rocprim3tagENSA_11use_defaultESG_EEEEPS6_SJ_NS0_5tupleIJPsSJ_EEENSK_IJSJ_SJ_EEES6_PlJ7is_evenIsEEEE10hipError_tPvRmT3_T4_T5_T6_T7_T9_mT8_P12ihipStream_tbDpT10_ENKUlT_T0_E_clISt17integral_constantIbLb0EES1A_EEDaS15_S16_EUlS15_E_NS1_11comp_targetILNS1_3genE3ELNS1_11target_archE908ELNS1_3gpuE7ELNS1_3repE0EEENS1_30default_config_static_selectorELNS0_4arch9wavefront6targetE1EEEvT1_ ; -- Begin function _ZN7rocprim17ROCPRIM_400000_NS6detail17trampoline_kernelINS0_14default_configENS1_25partition_config_selectorILNS1_17partition_subalgoE3EsNS0_10empty_typeEbEEZZNS1_14partition_implILS5_3ELb0ES3_jN6thrust23THRUST_200600_302600_NS6detail15normal_iteratorINSA_7pointerIsNSA_11hip_rocprim3tagENSA_11use_defaultESG_EEEEPS6_SJ_NS0_5tupleIJPsSJ_EEENSK_IJSJ_SJ_EEES6_PlJ7is_evenIsEEEE10hipError_tPvRmT3_T4_T5_T6_T7_T9_mT8_P12ihipStream_tbDpT10_ENKUlT_T0_E_clISt17integral_constantIbLb0EES1A_EEDaS15_S16_EUlS15_E_NS1_11comp_targetILNS1_3genE3ELNS1_11target_archE908ELNS1_3gpuE7ELNS1_3repE0EEENS1_30default_config_static_selectorELNS0_4arch9wavefront6targetE1EEEvT1_
	.globl	_ZN7rocprim17ROCPRIM_400000_NS6detail17trampoline_kernelINS0_14default_configENS1_25partition_config_selectorILNS1_17partition_subalgoE3EsNS0_10empty_typeEbEEZZNS1_14partition_implILS5_3ELb0ES3_jN6thrust23THRUST_200600_302600_NS6detail15normal_iteratorINSA_7pointerIsNSA_11hip_rocprim3tagENSA_11use_defaultESG_EEEEPS6_SJ_NS0_5tupleIJPsSJ_EEENSK_IJSJ_SJ_EEES6_PlJ7is_evenIsEEEE10hipError_tPvRmT3_T4_T5_T6_T7_T9_mT8_P12ihipStream_tbDpT10_ENKUlT_T0_E_clISt17integral_constantIbLb0EES1A_EEDaS15_S16_EUlS15_E_NS1_11comp_targetILNS1_3genE3ELNS1_11target_archE908ELNS1_3gpuE7ELNS1_3repE0EEENS1_30default_config_static_selectorELNS0_4arch9wavefront6targetE1EEEvT1_
	.p2align	8
	.type	_ZN7rocprim17ROCPRIM_400000_NS6detail17trampoline_kernelINS0_14default_configENS1_25partition_config_selectorILNS1_17partition_subalgoE3EsNS0_10empty_typeEbEEZZNS1_14partition_implILS5_3ELb0ES3_jN6thrust23THRUST_200600_302600_NS6detail15normal_iteratorINSA_7pointerIsNSA_11hip_rocprim3tagENSA_11use_defaultESG_EEEEPS6_SJ_NS0_5tupleIJPsSJ_EEENSK_IJSJ_SJ_EEES6_PlJ7is_evenIsEEEE10hipError_tPvRmT3_T4_T5_T6_T7_T9_mT8_P12ihipStream_tbDpT10_ENKUlT_T0_E_clISt17integral_constantIbLb0EES1A_EEDaS15_S16_EUlS15_E_NS1_11comp_targetILNS1_3genE3ELNS1_11target_archE908ELNS1_3gpuE7ELNS1_3repE0EEENS1_30default_config_static_selectorELNS0_4arch9wavefront6targetE1EEEvT1_,@function
_ZN7rocprim17ROCPRIM_400000_NS6detail17trampoline_kernelINS0_14default_configENS1_25partition_config_selectorILNS1_17partition_subalgoE3EsNS0_10empty_typeEbEEZZNS1_14partition_implILS5_3ELb0ES3_jN6thrust23THRUST_200600_302600_NS6detail15normal_iteratorINSA_7pointerIsNSA_11hip_rocprim3tagENSA_11use_defaultESG_EEEEPS6_SJ_NS0_5tupleIJPsSJ_EEENSK_IJSJ_SJ_EEES6_PlJ7is_evenIsEEEE10hipError_tPvRmT3_T4_T5_T6_T7_T9_mT8_P12ihipStream_tbDpT10_ENKUlT_T0_E_clISt17integral_constantIbLb0EES1A_EEDaS15_S16_EUlS15_E_NS1_11comp_targetILNS1_3genE3ELNS1_11target_archE908ELNS1_3gpuE7ELNS1_3repE0EEENS1_30default_config_static_selectorELNS0_4arch9wavefront6targetE1EEEvT1_: ; @_ZN7rocprim17ROCPRIM_400000_NS6detail17trampoline_kernelINS0_14default_configENS1_25partition_config_selectorILNS1_17partition_subalgoE3EsNS0_10empty_typeEbEEZZNS1_14partition_implILS5_3ELb0ES3_jN6thrust23THRUST_200600_302600_NS6detail15normal_iteratorINSA_7pointerIsNSA_11hip_rocprim3tagENSA_11use_defaultESG_EEEEPS6_SJ_NS0_5tupleIJPsSJ_EEENSK_IJSJ_SJ_EEES6_PlJ7is_evenIsEEEE10hipError_tPvRmT3_T4_T5_T6_T7_T9_mT8_P12ihipStream_tbDpT10_ENKUlT_T0_E_clISt17integral_constantIbLb0EES1A_EEDaS15_S16_EUlS15_E_NS1_11comp_targetILNS1_3genE3ELNS1_11target_archE908ELNS1_3gpuE7ELNS1_3repE0EEENS1_30default_config_static_selectorELNS0_4arch9wavefront6targetE1EEEvT1_
; %bb.0:
	.section	.rodata,"a",@progbits
	.p2align	6, 0x0
	.amdhsa_kernel _ZN7rocprim17ROCPRIM_400000_NS6detail17trampoline_kernelINS0_14default_configENS1_25partition_config_selectorILNS1_17partition_subalgoE3EsNS0_10empty_typeEbEEZZNS1_14partition_implILS5_3ELb0ES3_jN6thrust23THRUST_200600_302600_NS6detail15normal_iteratorINSA_7pointerIsNSA_11hip_rocprim3tagENSA_11use_defaultESG_EEEEPS6_SJ_NS0_5tupleIJPsSJ_EEENSK_IJSJ_SJ_EEES6_PlJ7is_evenIsEEEE10hipError_tPvRmT3_T4_T5_T6_T7_T9_mT8_P12ihipStream_tbDpT10_ENKUlT_T0_E_clISt17integral_constantIbLb0EES1A_EEDaS15_S16_EUlS15_E_NS1_11comp_targetILNS1_3genE3ELNS1_11target_archE908ELNS1_3gpuE7ELNS1_3repE0EEENS1_30default_config_static_selectorELNS0_4arch9wavefront6targetE1EEEvT1_
		.amdhsa_group_segment_fixed_size 0
		.amdhsa_private_segment_fixed_size 0
		.amdhsa_kernarg_size 120
		.amdhsa_user_sgpr_count 6
		.amdhsa_user_sgpr_private_segment_buffer 1
		.amdhsa_user_sgpr_dispatch_ptr 0
		.amdhsa_user_sgpr_queue_ptr 0
		.amdhsa_user_sgpr_kernarg_segment_ptr 1
		.amdhsa_user_sgpr_dispatch_id 0
		.amdhsa_user_sgpr_flat_scratch_init 0
		.amdhsa_user_sgpr_kernarg_preload_length 0
		.amdhsa_user_sgpr_kernarg_preload_offset 0
		.amdhsa_user_sgpr_private_segment_size 0
		.amdhsa_uses_dynamic_stack 0
		.amdhsa_system_sgpr_private_segment_wavefront_offset 0
		.amdhsa_system_sgpr_workgroup_id_x 1
		.amdhsa_system_sgpr_workgroup_id_y 0
		.amdhsa_system_sgpr_workgroup_id_z 0
		.amdhsa_system_sgpr_workgroup_info 0
		.amdhsa_system_vgpr_workitem_id 0
		.amdhsa_next_free_vgpr 1
		.amdhsa_next_free_sgpr 0
		.amdhsa_accum_offset 4
		.amdhsa_reserve_vcc 0
		.amdhsa_reserve_flat_scratch 0
		.amdhsa_float_round_mode_32 0
		.amdhsa_float_round_mode_16_64 0
		.amdhsa_float_denorm_mode_32 3
		.amdhsa_float_denorm_mode_16_64 3
		.amdhsa_dx10_clamp 1
		.amdhsa_ieee_mode 1
		.amdhsa_fp16_overflow 0
		.amdhsa_tg_split 0
		.amdhsa_exception_fp_ieee_invalid_op 0
		.amdhsa_exception_fp_denorm_src 0
		.amdhsa_exception_fp_ieee_div_zero 0
		.amdhsa_exception_fp_ieee_overflow 0
		.amdhsa_exception_fp_ieee_underflow 0
		.amdhsa_exception_fp_ieee_inexact 0
		.amdhsa_exception_int_div_zero 0
	.end_amdhsa_kernel
	.section	.text._ZN7rocprim17ROCPRIM_400000_NS6detail17trampoline_kernelINS0_14default_configENS1_25partition_config_selectorILNS1_17partition_subalgoE3EsNS0_10empty_typeEbEEZZNS1_14partition_implILS5_3ELb0ES3_jN6thrust23THRUST_200600_302600_NS6detail15normal_iteratorINSA_7pointerIsNSA_11hip_rocprim3tagENSA_11use_defaultESG_EEEEPS6_SJ_NS0_5tupleIJPsSJ_EEENSK_IJSJ_SJ_EEES6_PlJ7is_evenIsEEEE10hipError_tPvRmT3_T4_T5_T6_T7_T9_mT8_P12ihipStream_tbDpT10_ENKUlT_T0_E_clISt17integral_constantIbLb0EES1A_EEDaS15_S16_EUlS15_E_NS1_11comp_targetILNS1_3genE3ELNS1_11target_archE908ELNS1_3gpuE7ELNS1_3repE0EEENS1_30default_config_static_selectorELNS0_4arch9wavefront6targetE1EEEvT1_,"axG",@progbits,_ZN7rocprim17ROCPRIM_400000_NS6detail17trampoline_kernelINS0_14default_configENS1_25partition_config_selectorILNS1_17partition_subalgoE3EsNS0_10empty_typeEbEEZZNS1_14partition_implILS5_3ELb0ES3_jN6thrust23THRUST_200600_302600_NS6detail15normal_iteratorINSA_7pointerIsNSA_11hip_rocprim3tagENSA_11use_defaultESG_EEEEPS6_SJ_NS0_5tupleIJPsSJ_EEENSK_IJSJ_SJ_EEES6_PlJ7is_evenIsEEEE10hipError_tPvRmT3_T4_T5_T6_T7_T9_mT8_P12ihipStream_tbDpT10_ENKUlT_T0_E_clISt17integral_constantIbLb0EES1A_EEDaS15_S16_EUlS15_E_NS1_11comp_targetILNS1_3genE3ELNS1_11target_archE908ELNS1_3gpuE7ELNS1_3repE0EEENS1_30default_config_static_selectorELNS0_4arch9wavefront6targetE1EEEvT1_,comdat
.Lfunc_end143:
	.size	_ZN7rocprim17ROCPRIM_400000_NS6detail17trampoline_kernelINS0_14default_configENS1_25partition_config_selectorILNS1_17partition_subalgoE3EsNS0_10empty_typeEbEEZZNS1_14partition_implILS5_3ELb0ES3_jN6thrust23THRUST_200600_302600_NS6detail15normal_iteratorINSA_7pointerIsNSA_11hip_rocprim3tagENSA_11use_defaultESG_EEEEPS6_SJ_NS0_5tupleIJPsSJ_EEENSK_IJSJ_SJ_EEES6_PlJ7is_evenIsEEEE10hipError_tPvRmT3_T4_T5_T6_T7_T9_mT8_P12ihipStream_tbDpT10_ENKUlT_T0_E_clISt17integral_constantIbLb0EES1A_EEDaS15_S16_EUlS15_E_NS1_11comp_targetILNS1_3genE3ELNS1_11target_archE908ELNS1_3gpuE7ELNS1_3repE0EEENS1_30default_config_static_selectorELNS0_4arch9wavefront6targetE1EEEvT1_, .Lfunc_end143-_ZN7rocprim17ROCPRIM_400000_NS6detail17trampoline_kernelINS0_14default_configENS1_25partition_config_selectorILNS1_17partition_subalgoE3EsNS0_10empty_typeEbEEZZNS1_14partition_implILS5_3ELb0ES3_jN6thrust23THRUST_200600_302600_NS6detail15normal_iteratorINSA_7pointerIsNSA_11hip_rocprim3tagENSA_11use_defaultESG_EEEEPS6_SJ_NS0_5tupleIJPsSJ_EEENSK_IJSJ_SJ_EEES6_PlJ7is_evenIsEEEE10hipError_tPvRmT3_T4_T5_T6_T7_T9_mT8_P12ihipStream_tbDpT10_ENKUlT_T0_E_clISt17integral_constantIbLb0EES1A_EEDaS15_S16_EUlS15_E_NS1_11comp_targetILNS1_3genE3ELNS1_11target_archE908ELNS1_3gpuE7ELNS1_3repE0EEENS1_30default_config_static_selectorELNS0_4arch9wavefront6targetE1EEEvT1_
                                        ; -- End function
	.section	.AMDGPU.csdata,"",@progbits
; Kernel info:
; codeLenInByte = 0
; NumSgprs: 4
; NumVgprs: 0
; NumAgprs: 0
; TotalNumVgprs: 0
; ScratchSize: 0
; MemoryBound: 0
; FloatMode: 240
; IeeeMode: 1
; LDSByteSize: 0 bytes/workgroup (compile time only)
; SGPRBlocks: 0
; VGPRBlocks: 0
; NumSGPRsForWavesPerEU: 4
; NumVGPRsForWavesPerEU: 1
; AccumOffset: 4
; Occupancy: 8
; WaveLimiterHint : 0
; COMPUTE_PGM_RSRC2:SCRATCH_EN: 0
; COMPUTE_PGM_RSRC2:USER_SGPR: 6
; COMPUTE_PGM_RSRC2:TRAP_HANDLER: 0
; COMPUTE_PGM_RSRC2:TGID_X_EN: 1
; COMPUTE_PGM_RSRC2:TGID_Y_EN: 0
; COMPUTE_PGM_RSRC2:TGID_Z_EN: 0
; COMPUTE_PGM_RSRC2:TIDIG_COMP_CNT: 0
; COMPUTE_PGM_RSRC3_GFX90A:ACCUM_OFFSET: 0
; COMPUTE_PGM_RSRC3_GFX90A:TG_SPLIT: 0
	.section	.text._ZN7rocprim17ROCPRIM_400000_NS6detail17trampoline_kernelINS0_14default_configENS1_25partition_config_selectorILNS1_17partition_subalgoE3EsNS0_10empty_typeEbEEZZNS1_14partition_implILS5_3ELb0ES3_jN6thrust23THRUST_200600_302600_NS6detail15normal_iteratorINSA_7pointerIsNSA_11hip_rocprim3tagENSA_11use_defaultESG_EEEEPS6_SJ_NS0_5tupleIJPsSJ_EEENSK_IJSJ_SJ_EEES6_PlJ7is_evenIsEEEE10hipError_tPvRmT3_T4_T5_T6_T7_T9_mT8_P12ihipStream_tbDpT10_ENKUlT_T0_E_clISt17integral_constantIbLb0EES1A_EEDaS15_S16_EUlS15_E_NS1_11comp_targetILNS1_3genE2ELNS1_11target_archE906ELNS1_3gpuE6ELNS1_3repE0EEENS1_30default_config_static_selectorELNS0_4arch9wavefront6targetE1EEEvT1_,"axG",@progbits,_ZN7rocprim17ROCPRIM_400000_NS6detail17trampoline_kernelINS0_14default_configENS1_25partition_config_selectorILNS1_17partition_subalgoE3EsNS0_10empty_typeEbEEZZNS1_14partition_implILS5_3ELb0ES3_jN6thrust23THRUST_200600_302600_NS6detail15normal_iteratorINSA_7pointerIsNSA_11hip_rocprim3tagENSA_11use_defaultESG_EEEEPS6_SJ_NS0_5tupleIJPsSJ_EEENSK_IJSJ_SJ_EEES6_PlJ7is_evenIsEEEE10hipError_tPvRmT3_T4_T5_T6_T7_T9_mT8_P12ihipStream_tbDpT10_ENKUlT_T0_E_clISt17integral_constantIbLb0EES1A_EEDaS15_S16_EUlS15_E_NS1_11comp_targetILNS1_3genE2ELNS1_11target_archE906ELNS1_3gpuE6ELNS1_3repE0EEENS1_30default_config_static_selectorELNS0_4arch9wavefront6targetE1EEEvT1_,comdat
	.protected	_ZN7rocprim17ROCPRIM_400000_NS6detail17trampoline_kernelINS0_14default_configENS1_25partition_config_selectorILNS1_17partition_subalgoE3EsNS0_10empty_typeEbEEZZNS1_14partition_implILS5_3ELb0ES3_jN6thrust23THRUST_200600_302600_NS6detail15normal_iteratorINSA_7pointerIsNSA_11hip_rocprim3tagENSA_11use_defaultESG_EEEEPS6_SJ_NS0_5tupleIJPsSJ_EEENSK_IJSJ_SJ_EEES6_PlJ7is_evenIsEEEE10hipError_tPvRmT3_T4_T5_T6_T7_T9_mT8_P12ihipStream_tbDpT10_ENKUlT_T0_E_clISt17integral_constantIbLb0EES1A_EEDaS15_S16_EUlS15_E_NS1_11comp_targetILNS1_3genE2ELNS1_11target_archE906ELNS1_3gpuE6ELNS1_3repE0EEENS1_30default_config_static_selectorELNS0_4arch9wavefront6targetE1EEEvT1_ ; -- Begin function _ZN7rocprim17ROCPRIM_400000_NS6detail17trampoline_kernelINS0_14default_configENS1_25partition_config_selectorILNS1_17partition_subalgoE3EsNS0_10empty_typeEbEEZZNS1_14partition_implILS5_3ELb0ES3_jN6thrust23THRUST_200600_302600_NS6detail15normal_iteratorINSA_7pointerIsNSA_11hip_rocprim3tagENSA_11use_defaultESG_EEEEPS6_SJ_NS0_5tupleIJPsSJ_EEENSK_IJSJ_SJ_EEES6_PlJ7is_evenIsEEEE10hipError_tPvRmT3_T4_T5_T6_T7_T9_mT8_P12ihipStream_tbDpT10_ENKUlT_T0_E_clISt17integral_constantIbLb0EES1A_EEDaS15_S16_EUlS15_E_NS1_11comp_targetILNS1_3genE2ELNS1_11target_archE906ELNS1_3gpuE6ELNS1_3repE0EEENS1_30default_config_static_selectorELNS0_4arch9wavefront6targetE1EEEvT1_
	.globl	_ZN7rocprim17ROCPRIM_400000_NS6detail17trampoline_kernelINS0_14default_configENS1_25partition_config_selectorILNS1_17partition_subalgoE3EsNS0_10empty_typeEbEEZZNS1_14partition_implILS5_3ELb0ES3_jN6thrust23THRUST_200600_302600_NS6detail15normal_iteratorINSA_7pointerIsNSA_11hip_rocprim3tagENSA_11use_defaultESG_EEEEPS6_SJ_NS0_5tupleIJPsSJ_EEENSK_IJSJ_SJ_EEES6_PlJ7is_evenIsEEEE10hipError_tPvRmT3_T4_T5_T6_T7_T9_mT8_P12ihipStream_tbDpT10_ENKUlT_T0_E_clISt17integral_constantIbLb0EES1A_EEDaS15_S16_EUlS15_E_NS1_11comp_targetILNS1_3genE2ELNS1_11target_archE906ELNS1_3gpuE6ELNS1_3repE0EEENS1_30default_config_static_selectorELNS0_4arch9wavefront6targetE1EEEvT1_
	.p2align	8
	.type	_ZN7rocprim17ROCPRIM_400000_NS6detail17trampoline_kernelINS0_14default_configENS1_25partition_config_selectorILNS1_17partition_subalgoE3EsNS0_10empty_typeEbEEZZNS1_14partition_implILS5_3ELb0ES3_jN6thrust23THRUST_200600_302600_NS6detail15normal_iteratorINSA_7pointerIsNSA_11hip_rocprim3tagENSA_11use_defaultESG_EEEEPS6_SJ_NS0_5tupleIJPsSJ_EEENSK_IJSJ_SJ_EEES6_PlJ7is_evenIsEEEE10hipError_tPvRmT3_T4_T5_T6_T7_T9_mT8_P12ihipStream_tbDpT10_ENKUlT_T0_E_clISt17integral_constantIbLb0EES1A_EEDaS15_S16_EUlS15_E_NS1_11comp_targetILNS1_3genE2ELNS1_11target_archE906ELNS1_3gpuE6ELNS1_3repE0EEENS1_30default_config_static_selectorELNS0_4arch9wavefront6targetE1EEEvT1_,@function
_ZN7rocprim17ROCPRIM_400000_NS6detail17trampoline_kernelINS0_14default_configENS1_25partition_config_selectorILNS1_17partition_subalgoE3EsNS0_10empty_typeEbEEZZNS1_14partition_implILS5_3ELb0ES3_jN6thrust23THRUST_200600_302600_NS6detail15normal_iteratorINSA_7pointerIsNSA_11hip_rocprim3tagENSA_11use_defaultESG_EEEEPS6_SJ_NS0_5tupleIJPsSJ_EEENSK_IJSJ_SJ_EEES6_PlJ7is_evenIsEEEE10hipError_tPvRmT3_T4_T5_T6_T7_T9_mT8_P12ihipStream_tbDpT10_ENKUlT_T0_E_clISt17integral_constantIbLb0EES1A_EEDaS15_S16_EUlS15_E_NS1_11comp_targetILNS1_3genE2ELNS1_11target_archE906ELNS1_3gpuE6ELNS1_3repE0EEENS1_30default_config_static_selectorELNS0_4arch9wavefront6targetE1EEEvT1_: ; @_ZN7rocprim17ROCPRIM_400000_NS6detail17trampoline_kernelINS0_14default_configENS1_25partition_config_selectorILNS1_17partition_subalgoE3EsNS0_10empty_typeEbEEZZNS1_14partition_implILS5_3ELb0ES3_jN6thrust23THRUST_200600_302600_NS6detail15normal_iteratorINSA_7pointerIsNSA_11hip_rocprim3tagENSA_11use_defaultESG_EEEEPS6_SJ_NS0_5tupleIJPsSJ_EEENSK_IJSJ_SJ_EEES6_PlJ7is_evenIsEEEE10hipError_tPvRmT3_T4_T5_T6_T7_T9_mT8_P12ihipStream_tbDpT10_ENKUlT_T0_E_clISt17integral_constantIbLb0EES1A_EEDaS15_S16_EUlS15_E_NS1_11comp_targetILNS1_3genE2ELNS1_11target_archE906ELNS1_3gpuE6ELNS1_3repE0EEENS1_30default_config_static_selectorELNS0_4arch9wavefront6targetE1EEEvT1_
; %bb.0:
	.section	.rodata,"a",@progbits
	.p2align	6, 0x0
	.amdhsa_kernel _ZN7rocprim17ROCPRIM_400000_NS6detail17trampoline_kernelINS0_14default_configENS1_25partition_config_selectorILNS1_17partition_subalgoE3EsNS0_10empty_typeEbEEZZNS1_14partition_implILS5_3ELb0ES3_jN6thrust23THRUST_200600_302600_NS6detail15normal_iteratorINSA_7pointerIsNSA_11hip_rocprim3tagENSA_11use_defaultESG_EEEEPS6_SJ_NS0_5tupleIJPsSJ_EEENSK_IJSJ_SJ_EEES6_PlJ7is_evenIsEEEE10hipError_tPvRmT3_T4_T5_T6_T7_T9_mT8_P12ihipStream_tbDpT10_ENKUlT_T0_E_clISt17integral_constantIbLb0EES1A_EEDaS15_S16_EUlS15_E_NS1_11comp_targetILNS1_3genE2ELNS1_11target_archE906ELNS1_3gpuE6ELNS1_3repE0EEENS1_30default_config_static_selectorELNS0_4arch9wavefront6targetE1EEEvT1_
		.amdhsa_group_segment_fixed_size 0
		.amdhsa_private_segment_fixed_size 0
		.amdhsa_kernarg_size 120
		.amdhsa_user_sgpr_count 6
		.amdhsa_user_sgpr_private_segment_buffer 1
		.amdhsa_user_sgpr_dispatch_ptr 0
		.amdhsa_user_sgpr_queue_ptr 0
		.amdhsa_user_sgpr_kernarg_segment_ptr 1
		.amdhsa_user_sgpr_dispatch_id 0
		.amdhsa_user_sgpr_flat_scratch_init 0
		.amdhsa_user_sgpr_kernarg_preload_length 0
		.amdhsa_user_sgpr_kernarg_preload_offset 0
		.amdhsa_user_sgpr_private_segment_size 0
		.amdhsa_uses_dynamic_stack 0
		.amdhsa_system_sgpr_private_segment_wavefront_offset 0
		.amdhsa_system_sgpr_workgroup_id_x 1
		.amdhsa_system_sgpr_workgroup_id_y 0
		.amdhsa_system_sgpr_workgroup_id_z 0
		.amdhsa_system_sgpr_workgroup_info 0
		.amdhsa_system_vgpr_workitem_id 0
		.amdhsa_next_free_vgpr 1
		.amdhsa_next_free_sgpr 0
		.amdhsa_accum_offset 4
		.amdhsa_reserve_vcc 0
		.amdhsa_reserve_flat_scratch 0
		.amdhsa_float_round_mode_32 0
		.amdhsa_float_round_mode_16_64 0
		.amdhsa_float_denorm_mode_32 3
		.amdhsa_float_denorm_mode_16_64 3
		.amdhsa_dx10_clamp 1
		.amdhsa_ieee_mode 1
		.amdhsa_fp16_overflow 0
		.amdhsa_tg_split 0
		.amdhsa_exception_fp_ieee_invalid_op 0
		.amdhsa_exception_fp_denorm_src 0
		.amdhsa_exception_fp_ieee_div_zero 0
		.amdhsa_exception_fp_ieee_overflow 0
		.amdhsa_exception_fp_ieee_underflow 0
		.amdhsa_exception_fp_ieee_inexact 0
		.amdhsa_exception_int_div_zero 0
	.end_amdhsa_kernel
	.section	.text._ZN7rocprim17ROCPRIM_400000_NS6detail17trampoline_kernelINS0_14default_configENS1_25partition_config_selectorILNS1_17partition_subalgoE3EsNS0_10empty_typeEbEEZZNS1_14partition_implILS5_3ELb0ES3_jN6thrust23THRUST_200600_302600_NS6detail15normal_iteratorINSA_7pointerIsNSA_11hip_rocprim3tagENSA_11use_defaultESG_EEEEPS6_SJ_NS0_5tupleIJPsSJ_EEENSK_IJSJ_SJ_EEES6_PlJ7is_evenIsEEEE10hipError_tPvRmT3_T4_T5_T6_T7_T9_mT8_P12ihipStream_tbDpT10_ENKUlT_T0_E_clISt17integral_constantIbLb0EES1A_EEDaS15_S16_EUlS15_E_NS1_11comp_targetILNS1_3genE2ELNS1_11target_archE906ELNS1_3gpuE6ELNS1_3repE0EEENS1_30default_config_static_selectorELNS0_4arch9wavefront6targetE1EEEvT1_,"axG",@progbits,_ZN7rocprim17ROCPRIM_400000_NS6detail17trampoline_kernelINS0_14default_configENS1_25partition_config_selectorILNS1_17partition_subalgoE3EsNS0_10empty_typeEbEEZZNS1_14partition_implILS5_3ELb0ES3_jN6thrust23THRUST_200600_302600_NS6detail15normal_iteratorINSA_7pointerIsNSA_11hip_rocprim3tagENSA_11use_defaultESG_EEEEPS6_SJ_NS0_5tupleIJPsSJ_EEENSK_IJSJ_SJ_EEES6_PlJ7is_evenIsEEEE10hipError_tPvRmT3_T4_T5_T6_T7_T9_mT8_P12ihipStream_tbDpT10_ENKUlT_T0_E_clISt17integral_constantIbLb0EES1A_EEDaS15_S16_EUlS15_E_NS1_11comp_targetILNS1_3genE2ELNS1_11target_archE906ELNS1_3gpuE6ELNS1_3repE0EEENS1_30default_config_static_selectorELNS0_4arch9wavefront6targetE1EEEvT1_,comdat
.Lfunc_end144:
	.size	_ZN7rocprim17ROCPRIM_400000_NS6detail17trampoline_kernelINS0_14default_configENS1_25partition_config_selectorILNS1_17partition_subalgoE3EsNS0_10empty_typeEbEEZZNS1_14partition_implILS5_3ELb0ES3_jN6thrust23THRUST_200600_302600_NS6detail15normal_iteratorINSA_7pointerIsNSA_11hip_rocprim3tagENSA_11use_defaultESG_EEEEPS6_SJ_NS0_5tupleIJPsSJ_EEENSK_IJSJ_SJ_EEES6_PlJ7is_evenIsEEEE10hipError_tPvRmT3_T4_T5_T6_T7_T9_mT8_P12ihipStream_tbDpT10_ENKUlT_T0_E_clISt17integral_constantIbLb0EES1A_EEDaS15_S16_EUlS15_E_NS1_11comp_targetILNS1_3genE2ELNS1_11target_archE906ELNS1_3gpuE6ELNS1_3repE0EEENS1_30default_config_static_selectorELNS0_4arch9wavefront6targetE1EEEvT1_, .Lfunc_end144-_ZN7rocprim17ROCPRIM_400000_NS6detail17trampoline_kernelINS0_14default_configENS1_25partition_config_selectorILNS1_17partition_subalgoE3EsNS0_10empty_typeEbEEZZNS1_14partition_implILS5_3ELb0ES3_jN6thrust23THRUST_200600_302600_NS6detail15normal_iteratorINSA_7pointerIsNSA_11hip_rocprim3tagENSA_11use_defaultESG_EEEEPS6_SJ_NS0_5tupleIJPsSJ_EEENSK_IJSJ_SJ_EEES6_PlJ7is_evenIsEEEE10hipError_tPvRmT3_T4_T5_T6_T7_T9_mT8_P12ihipStream_tbDpT10_ENKUlT_T0_E_clISt17integral_constantIbLb0EES1A_EEDaS15_S16_EUlS15_E_NS1_11comp_targetILNS1_3genE2ELNS1_11target_archE906ELNS1_3gpuE6ELNS1_3repE0EEENS1_30default_config_static_selectorELNS0_4arch9wavefront6targetE1EEEvT1_
                                        ; -- End function
	.section	.AMDGPU.csdata,"",@progbits
; Kernel info:
; codeLenInByte = 0
; NumSgprs: 4
; NumVgprs: 0
; NumAgprs: 0
; TotalNumVgprs: 0
; ScratchSize: 0
; MemoryBound: 0
; FloatMode: 240
; IeeeMode: 1
; LDSByteSize: 0 bytes/workgroup (compile time only)
; SGPRBlocks: 0
; VGPRBlocks: 0
; NumSGPRsForWavesPerEU: 4
; NumVGPRsForWavesPerEU: 1
; AccumOffset: 4
; Occupancy: 8
; WaveLimiterHint : 0
; COMPUTE_PGM_RSRC2:SCRATCH_EN: 0
; COMPUTE_PGM_RSRC2:USER_SGPR: 6
; COMPUTE_PGM_RSRC2:TRAP_HANDLER: 0
; COMPUTE_PGM_RSRC2:TGID_X_EN: 1
; COMPUTE_PGM_RSRC2:TGID_Y_EN: 0
; COMPUTE_PGM_RSRC2:TGID_Z_EN: 0
; COMPUTE_PGM_RSRC2:TIDIG_COMP_CNT: 0
; COMPUTE_PGM_RSRC3_GFX90A:ACCUM_OFFSET: 0
; COMPUTE_PGM_RSRC3_GFX90A:TG_SPLIT: 0
	.section	.text._ZN7rocprim17ROCPRIM_400000_NS6detail17trampoline_kernelINS0_14default_configENS1_25partition_config_selectorILNS1_17partition_subalgoE3EsNS0_10empty_typeEbEEZZNS1_14partition_implILS5_3ELb0ES3_jN6thrust23THRUST_200600_302600_NS6detail15normal_iteratorINSA_7pointerIsNSA_11hip_rocprim3tagENSA_11use_defaultESG_EEEEPS6_SJ_NS0_5tupleIJPsSJ_EEENSK_IJSJ_SJ_EEES6_PlJ7is_evenIsEEEE10hipError_tPvRmT3_T4_T5_T6_T7_T9_mT8_P12ihipStream_tbDpT10_ENKUlT_T0_E_clISt17integral_constantIbLb0EES1A_EEDaS15_S16_EUlS15_E_NS1_11comp_targetILNS1_3genE10ELNS1_11target_archE1200ELNS1_3gpuE4ELNS1_3repE0EEENS1_30default_config_static_selectorELNS0_4arch9wavefront6targetE1EEEvT1_,"axG",@progbits,_ZN7rocprim17ROCPRIM_400000_NS6detail17trampoline_kernelINS0_14default_configENS1_25partition_config_selectorILNS1_17partition_subalgoE3EsNS0_10empty_typeEbEEZZNS1_14partition_implILS5_3ELb0ES3_jN6thrust23THRUST_200600_302600_NS6detail15normal_iteratorINSA_7pointerIsNSA_11hip_rocprim3tagENSA_11use_defaultESG_EEEEPS6_SJ_NS0_5tupleIJPsSJ_EEENSK_IJSJ_SJ_EEES6_PlJ7is_evenIsEEEE10hipError_tPvRmT3_T4_T5_T6_T7_T9_mT8_P12ihipStream_tbDpT10_ENKUlT_T0_E_clISt17integral_constantIbLb0EES1A_EEDaS15_S16_EUlS15_E_NS1_11comp_targetILNS1_3genE10ELNS1_11target_archE1200ELNS1_3gpuE4ELNS1_3repE0EEENS1_30default_config_static_selectorELNS0_4arch9wavefront6targetE1EEEvT1_,comdat
	.protected	_ZN7rocprim17ROCPRIM_400000_NS6detail17trampoline_kernelINS0_14default_configENS1_25partition_config_selectorILNS1_17partition_subalgoE3EsNS0_10empty_typeEbEEZZNS1_14partition_implILS5_3ELb0ES3_jN6thrust23THRUST_200600_302600_NS6detail15normal_iteratorINSA_7pointerIsNSA_11hip_rocprim3tagENSA_11use_defaultESG_EEEEPS6_SJ_NS0_5tupleIJPsSJ_EEENSK_IJSJ_SJ_EEES6_PlJ7is_evenIsEEEE10hipError_tPvRmT3_T4_T5_T6_T7_T9_mT8_P12ihipStream_tbDpT10_ENKUlT_T0_E_clISt17integral_constantIbLb0EES1A_EEDaS15_S16_EUlS15_E_NS1_11comp_targetILNS1_3genE10ELNS1_11target_archE1200ELNS1_3gpuE4ELNS1_3repE0EEENS1_30default_config_static_selectorELNS0_4arch9wavefront6targetE1EEEvT1_ ; -- Begin function _ZN7rocprim17ROCPRIM_400000_NS6detail17trampoline_kernelINS0_14default_configENS1_25partition_config_selectorILNS1_17partition_subalgoE3EsNS0_10empty_typeEbEEZZNS1_14partition_implILS5_3ELb0ES3_jN6thrust23THRUST_200600_302600_NS6detail15normal_iteratorINSA_7pointerIsNSA_11hip_rocprim3tagENSA_11use_defaultESG_EEEEPS6_SJ_NS0_5tupleIJPsSJ_EEENSK_IJSJ_SJ_EEES6_PlJ7is_evenIsEEEE10hipError_tPvRmT3_T4_T5_T6_T7_T9_mT8_P12ihipStream_tbDpT10_ENKUlT_T0_E_clISt17integral_constantIbLb0EES1A_EEDaS15_S16_EUlS15_E_NS1_11comp_targetILNS1_3genE10ELNS1_11target_archE1200ELNS1_3gpuE4ELNS1_3repE0EEENS1_30default_config_static_selectorELNS0_4arch9wavefront6targetE1EEEvT1_
	.globl	_ZN7rocprim17ROCPRIM_400000_NS6detail17trampoline_kernelINS0_14default_configENS1_25partition_config_selectorILNS1_17partition_subalgoE3EsNS0_10empty_typeEbEEZZNS1_14partition_implILS5_3ELb0ES3_jN6thrust23THRUST_200600_302600_NS6detail15normal_iteratorINSA_7pointerIsNSA_11hip_rocprim3tagENSA_11use_defaultESG_EEEEPS6_SJ_NS0_5tupleIJPsSJ_EEENSK_IJSJ_SJ_EEES6_PlJ7is_evenIsEEEE10hipError_tPvRmT3_T4_T5_T6_T7_T9_mT8_P12ihipStream_tbDpT10_ENKUlT_T0_E_clISt17integral_constantIbLb0EES1A_EEDaS15_S16_EUlS15_E_NS1_11comp_targetILNS1_3genE10ELNS1_11target_archE1200ELNS1_3gpuE4ELNS1_3repE0EEENS1_30default_config_static_selectorELNS0_4arch9wavefront6targetE1EEEvT1_
	.p2align	8
	.type	_ZN7rocprim17ROCPRIM_400000_NS6detail17trampoline_kernelINS0_14default_configENS1_25partition_config_selectorILNS1_17partition_subalgoE3EsNS0_10empty_typeEbEEZZNS1_14partition_implILS5_3ELb0ES3_jN6thrust23THRUST_200600_302600_NS6detail15normal_iteratorINSA_7pointerIsNSA_11hip_rocprim3tagENSA_11use_defaultESG_EEEEPS6_SJ_NS0_5tupleIJPsSJ_EEENSK_IJSJ_SJ_EEES6_PlJ7is_evenIsEEEE10hipError_tPvRmT3_T4_T5_T6_T7_T9_mT8_P12ihipStream_tbDpT10_ENKUlT_T0_E_clISt17integral_constantIbLb0EES1A_EEDaS15_S16_EUlS15_E_NS1_11comp_targetILNS1_3genE10ELNS1_11target_archE1200ELNS1_3gpuE4ELNS1_3repE0EEENS1_30default_config_static_selectorELNS0_4arch9wavefront6targetE1EEEvT1_,@function
_ZN7rocprim17ROCPRIM_400000_NS6detail17trampoline_kernelINS0_14default_configENS1_25partition_config_selectorILNS1_17partition_subalgoE3EsNS0_10empty_typeEbEEZZNS1_14partition_implILS5_3ELb0ES3_jN6thrust23THRUST_200600_302600_NS6detail15normal_iteratorINSA_7pointerIsNSA_11hip_rocprim3tagENSA_11use_defaultESG_EEEEPS6_SJ_NS0_5tupleIJPsSJ_EEENSK_IJSJ_SJ_EEES6_PlJ7is_evenIsEEEE10hipError_tPvRmT3_T4_T5_T6_T7_T9_mT8_P12ihipStream_tbDpT10_ENKUlT_T0_E_clISt17integral_constantIbLb0EES1A_EEDaS15_S16_EUlS15_E_NS1_11comp_targetILNS1_3genE10ELNS1_11target_archE1200ELNS1_3gpuE4ELNS1_3repE0EEENS1_30default_config_static_selectorELNS0_4arch9wavefront6targetE1EEEvT1_: ; @_ZN7rocprim17ROCPRIM_400000_NS6detail17trampoline_kernelINS0_14default_configENS1_25partition_config_selectorILNS1_17partition_subalgoE3EsNS0_10empty_typeEbEEZZNS1_14partition_implILS5_3ELb0ES3_jN6thrust23THRUST_200600_302600_NS6detail15normal_iteratorINSA_7pointerIsNSA_11hip_rocprim3tagENSA_11use_defaultESG_EEEEPS6_SJ_NS0_5tupleIJPsSJ_EEENSK_IJSJ_SJ_EEES6_PlJ7is_evenIsEEEE10hipError_tPvRmT3_T4_T5_T6_T7_T9_mT8_P12ihipStream_tbDpT10_ENKUlT_T0_E_clISt17integral_constantIbLb0EES1A_EEDaS15_S16_EUlS15_E_NS1_11comp_targetILNS1_3genE10ELNS1_11target_archE1200ELNS1_3gpuE4ELNS1_3repE0EEENS1_30default_config_static_selectorELNS0_4arch9wavefront6targetE1EEEvT1_
; %bb.0:
	.section	.rodata,"a",@progbits
	.p2align	6, 0x0
	.amdhsa_kernel _ZN7rocprim17ROCPRIM_400000_NS6detail17trampoline_kernelINS0_14default_configENS1_25partition_config_selectorILNS1_17partition_subalgoE3EsNS0_10empty_typeEbEEZZNS1_14partition_implILS5_3ELb0ES3_jN6thrust23THRUST_200600_302600_NS6detail15normal_iteratorINSA_7pointerIsNSA_11hip_rocprim3tagENSA_11use_defaultESG_EEEEPS6_SJ_NS0_5tupleIJPsSJ_EEENSK_IJSJ_SJ_EEES6_PlJ7is_evenIsEEEE10hipError_tPvRmT3_T4_T5_T6_T7_T9_mT8_P12ihipStream_tbDpT10_ENKUlT_T0_E_clISt17integral_constantIbLb0EES1A_EEDaS15_S16_EUlS15_E_NS1_11comp_targetILNS1_3genE10ELNS1_11target_archE1200ELNS1_3gpuE4ELNS1_3repE0EEENS1_30default_config_static_selectorELNS0_4arch9wavefront6targetE1EEEvT1_
		.amdhsa_group_segment_fixed_size 0
		.amdhsa_private_segment_fixed_size 0
		.amdhsa_kernarg_size 120
		.amdhsa_user_sgpr_count 6
		.amdhsa_user_sgpr_private_segment_buffer 1
		.amdhsa_user_sgpr_dispatch_ptr 0
		.amdhsa_user_sgpr_queue_ptr 0
		.amdhsa_user_sgpr_kernarg_segment_ptr 1
		.amdhsa_user_sgpr_dispatch_id 0
		.amdhsa_user_sgpr_flat_scratch_init 0
		.amdhsa_user_sgpr_kernarg_preload_length 0
		.amdhsa_user_sgpr_kernarg_preload_offset 0
		.amdhsa_user_sgpr_private_segment_size 0
		.amdhsa_uses_dynamic_stack 0
		.amdhsa_system_sgpr_private_segment_wavefront_offset 0
		.amdhsa_system_sgpr_workgroup_id_x 1
		.amdhsa_system_sgpr_workgroup_id_y 0
		.amdhsa_system_sgpr_workgroup_id_z 0
		.amdhsa_system_sgpr_workgroup_info 0
		.amdhsa_system_vgpr_workitem_id 0
		.amdhsa_next_free_vgpr 1
		.amdhsa_next_free_sgpr 0
		.amdhsa_accum_offset 4
		.amdhsa_reserve_vcc 0
		.amdhsa_reserve_flat_scratch 0
		.amdhsa_float_round_mode_32 0
		.amdhsa_float_round_mode_16_64 0
		.amdhsa_float_denorm_mode_32 3
		.amdhsa_float_denorm_mode_16_64 3
		.amdhsa_dx10_clamp 1
		.amdhsa_ieee_mode 1
		.amdhsa_fp16_overflow 0
		.amdhsa_tg_split 0
		.amdhsa_exception_fp_ieee_invalid_op 0
		.amdhsa_exception_fp_denorm_src 0
		.amdhsa_exception_fp_ieee_div_zero 0
		.amdhsa_exception_fp_ieee_overflow 0
		.amdhsa_exception_fp_ieee_underflow 0
		.amdhsa_exception_fp_ieee_inexact 0
		.amdhsa_exception_int_div_zero 0
	.end_amdhsa_kernel
	.section	.text._ZN7rocprim17ROCPRIM_400000_NS6detail17trampoline_kernelINS0_14default_configENS1_25partition_config_selectorILNS1_17partition_subalgoE3EsNS0_10empty_typeEbEEZZNS1_14partition_implILS5_3ELb0ES3_jN6thrust23THRUST_200600_302600_NS6detail15normal_iteratorINSA_7pointerIsNSA_11hip_rocprim3tagENSA_11use_defaultESG_EEEEPS6_SJ_NS0_5tupleIJPsSJ_EEENSK_IJSJ_SJ_EEES6_PlJ7is_evenIsEEEE10hipError_tPvRmT3_T4_T5_T6_T7_T9_mT8_P12ihipStream_tbDpT10_ENKUlT_T0_E_clISt17integral_constantIbLb0EES1A_EEDaS15_S16_EUlS15_E_NS1_11comp_targetILNS1_3genE10ELNS1_11target_archE1200ELNS1_3gpuE4ELNS1_3repE0EEENS1_30default_config_static_selectorELNS0_4arch9wavefront6targetE1EEEvT1_,"axG",@progbits,_ZN7rocprim17ROCPRIM_400000_NS6detail17trampoline_kernelINS0_14default_configENS1_25partition_config_selectorILNS1_17partition_subalgoE3EsNS0_10empty_typeEbEEZZNS1_14partition_implILS5_3ELb0ES3_jN6thrust23THRUST_200600_302600_NS6detail15normal_iteratorINSA_7pointerIsNSA_11hip_rocprim3tagENSA_11use_defaultESG_EEEEPS6_SJ_NS0_5tupleIJPsSJ_EEENSK_IJSJ_SJ_EEES6_PlJ7is_evenIsEEEE10hipError_tPvRmT3_T4_T5_T6_T7_T9_mT8_P12ihipStream_tbDpT10_ENKUlT_T0_E_clISt17integral_constantIbLb0EES1A_EEDaS15_S16_EUlS15_E_NS1_11comp_targetILNS1_3genE10ELNS1_11target_archE1200ELNS1_3gpuE4ELNS1_3repE0EEENS1_30default_config_static_selectorELNS0_4arch9wavefront6targetE1EEEvT1_,comdat
.Lfunc_end145:
	.size	_ZN7rocprim17ROCPRIM_400000_NS6detail17trampoline_kernelINS0_14default_configENS1_25partition_config_selectorILNS1_17partition_subalgoE3EsNS0_10empty_typeEbEEZZNS1_14partition_implILS5_3ELb0ES3_jN6thrust23THRUST_200600_302600_NS6detail15normal_iteratorINSA_7pointerIsNSA_11hip_rocprim3tagENSA_11use_defaultESG_EEEEPS6_SJ_NS0_5tupleIJPsSJ_EEENSK_IJSJ_SJ_EEES6_PlJ7is_evenIsEEEE10hipError_tPvRmT3_T4_T5_T6_T7_T9_mT8_P12ihipStream_tbDpT10_ENKUlT_T0_E_clISt17integral_constantIbLb0EES1A_EEDaS15_S16_EUlS15_E_NS1_11comp_targetILNS1_3genE10ELNS1_11target_archE1200ELNS1_3gpuE4ELNS1_3repE0EEENS1_30default_config_static_selectorELNS0_4arch9wavefront6targetE1EEEvT1_, .Lfunc_end145-_ZN7rocprim17ROCPRIM_400000_NS6detail17trampoline_kernelINS0_14default_configENS1_25partition_config_selectorILNS1_17partition_subalgoE3EsNS0_10empty_typeEbEEZZNS1_14partition_implILS5_3ELb0ES3_jN6thrust23THRUST_200600_302600_NS6detail15normal_iteratorINSA_7pointerIsNSA_11hip_rocprim3tagENSA_11use_defaultESG_EEEEPS6_SJ_NS0_5tupleIJPsSJ_EEENSK_IJSJ_SJ_EEES6_PlJ7is_evenIsEEEE10hipError_tPvRmT3_T4_T5_T6_T7_T9_mT8_P12ihipStream_tbDpT10_ENKUlT_T0_E_clISt17integral_constantIbLb0EES1A_EEDaS15_S16_EUlS15_E_NS1_11comp_targetILNS1_3genE10ELNS1_11target_archE1200ELNS1_3gpuE4ELNS1_3repE0EEENS1_30default_config_static_selectorELNS0_4arch9wavefront6targetE1EEEvT1_
                                        ; -- End function
	.section	.AMDGPU.csdata,"",@progbits
; Kernel info:
; codeLenInByte = 0
; NumSgprs: 4
; NumVgprs: 0
; NumAgprs: 0
; TotalNumVgprs: 0
; ScratchSize: 0
; MemoryBound: 0
; FloatMode: 240
; IeeeMode: 1
; LDSByteSize: 0 bytes/workgroup (compile time only)
; SGPRBlocks: 0
; VGPRBlocks: 0
; NumSGPRsForWavesPerEU: 4
; NumVGPRsForWavesPerEU: 1
; AccumOffset: 4
; Occupancy: 8
; WaveLimiterHint : 0
; COMPUTE_PGM_RSRC2:SCRATCH_EN: 0
; COMPUTE_PGM_RSRC2:USER_SGPR: 6
; COMPUTE_PGM_RSRC2:TRAP_HANDLER: 0
; COMPUTE_PGM_RSRC2:TGID_X_EN: 1
; COMPUTE_PGM_RSRC2:TGID_Y_EN: 0
; COMPUTE_PGM_RSRC2:TGID_Z_EN: 0
; COMPUTE_PGM_RSRC2:TIDIG_COMP_CNT: 0
; COMPUTE_PGM_RSRC3_GFX90A:ACCUM_OFFSET: 0
; COMPUTE_PGM_RSRC3_GFX90A:TG_SPLIT: 0
	.section	.text._ZN7rocprim17ROCPRIM_400000_NS6detail17trampoline_kernelINS0_14default_configENS1_25partition_config_selectorILNS1_17partition_subalgoE3EsNS0_10empty_typeEbEEZZNS1_14partition_implILS5_3ELb0ES3_jN6thrust23THRUST_200600_302600_NS6detail15normal_iteratorINSA_7pointerIsNSA_11hip_rocprim3tagENSA_11use_defaultESG_EEEEPS6_SJ_NS0_5tupleIJPsSJ_EEENSK_IJSJ_SJ_EEES6_PlJ7is_evenIsEEEE10hipError_tPvRmT3_T4_T5_T6_T7_T9_mT8_P12ihipStream_tbDpT10_ENKUlT_T0_E_clISt17integral_constantIbLb0EES1A_EEDaS15_S16_EUlS15_E_NS1_11comp_targetILNS1_3genE9ELNS1_11target_archE1100ELNS1_3gpuE3ELNS1_3repE0EEENS1_30default_config_static_selectorELNS0_4arch9wavefront6targetE1EEEvT1_,"axG",@progbits,_ZN7rocprim17ROCPRIM_400000_NS6detail17trampoline_kernelINS0_14default_configENS1_25partition_config_selectorILNS1_17partition_subalgoE3EsNS0_10empty_typeEbEEZZNS1_14partition_implILS5_3ELb0ES3_jN6thrust23THRUST_200600_302600_NS6detail15normal_iteratorINSA_7pointerIsNSA_11hip_rocprim3tagENSA_11use_defaultESG_EEEEPS6_SJ_NS0_5tupleIJPsSJ_EEENSK_IJSJ_SJ_EEES6_PlJ7is_evenIsEEEE10hipError_tPvRmT3_T4_T5_T6_T7_T9_mT8_P12ihipStream_tbDpT10_ENKUlT_T0_E_clISt17integral_constantIbLb0EES1A_EEDaS15_S16_EUlS15_E_NS1_11comp_targetILNS1_3genE9ELNS1_11target_archE1100ELNS1_3gpuE3ELNS1_3repE0EEENS1_30default_config_static_selectorELNS0_4arch9wavefront6targetE1EEEvT1_,comdat
	.protected	_ZN7rocprim17ROCPRIM_400000_NS6detail17trampoline_kernelINS0_14default_configENS1_25partition_config_selectorILNS1_17partition_subalgoE3EsNS0_10empty_typeEbEEZZNS1_14partition_implILS5_3ELb0ES3_jN6thrust23THRUST_200600_302600_NS6detail15normal_iteratorINSA_7pointerIsNSA_11hip_rocprim3tagENSA_11use_defaultESG_EEEEPS6_SJ_NS0_5tupleIJPsSJ_EEENSK_IJSJ_SJ_EEES6_PlJ7is_evenIsEEEE10hipError_tPvRmT3_T4_T5_T6_T7_T9_mT8_P12ihipStream_tbDpT10_ENKUlT_T0_E_clISt17integral_constantIbLb0EES1A_EEDaS15_S16_EUlS15_E_NS1_11comp_targetILNS1_3genE9ELNS1_11target_archE1100ELNS1_3gpuE3ELNS1_3repE0EEENS1_30default_config_static_selectorELNS0_4arch9wavefront6targetE1EEEvT1_ ; -- Begin function _ZN7rocprim17ROCPRIM_400000_NS6detail17trampoline_kernelINS0_14default_configENS1_25partition_config_selectorILNS1_17partition_subalgoE3EsNS0_10empty_typeEbEEZZNS1_14partition_implILS5_3ELb0ES3_jN6thrust23THRUST_200600_302600_NS6detail15normal_iteratorINSA_7pointerIsNSA_11hip_rocprim3tagENSA_11use_defaultESG_EEEEPS6_SJ_NS0_5tupleIJPsSJ_EEENSK_IJSJ_SJ_EEES6_PlJ7is_evenIsEEEE10hipError_tPvRmT3_T4_T5_T6_T7_T9_mT8_P12ihipStream_tbDpT10_ENKUlT_T0_E_clISt17integral_constantIbLb0EES1A_EEDaS15_S16_EUlS15_E_NS1_11comp_targetILNS1_3genE9ELNS1_11target_archE1100ELNS1_3gpuE3ELNS1_3repE0EEENS1_30default_config_static_selectorELNS0_4arch9wavefront6targetE1EEEvT1_
	.globl	_ZN7rocprim17ROCPRIM_400000_NS6detail17trampoline_kernelINS0_14default_configENS1_25partition_config_selectorILNS1_17partition_subalgoE3EsNS0_10empty_typeEbEEZZNS1_14partition_implILS5_3ELb0ES3_jN6thrust23THRUST_200600_302600_NS6detail15normal_iteratorINSA_7pointerIsNSA_11hip_rocprim3tagENSA_11use_defaultESG_EEEEPS6_SJ_NS0_5tupleIJPsSJ_EEENSK_IJSJ_SJ_EEES6_PlJ7is_evenIsEEEE10hipError_tPvRmT3_T4_T5_T6_T7_T9_mT8_P12ihipStream_tbDpT10_ENKUlT_T0_E_clISt17integral_constantIbLb0EES1A_EEDaS15_S16_EUlS15_E_NS1_11comp_targetILNS1_3genE9ELNS1_11target_archE1100ELNS1_3gpuE3ELNS1_3repE0EEENS1_30default_config_static_selectorELNS0_4arch9wavefront6targetE1EEEvT1_
	.p2align	8
	.type	_ZN7rocprim17ROCPRIM_400000_NS6detail17trampoline_kernelINS0_14default_configENS1_25partition_config_selectorILNS1_17partition_subalgoE3EsNS0_10empty_typeEbEEZZNS1_14partition_implILS5_3ELb0ES3_jN6thrust23THRUST_200600_302600_NS6detail15normal_iteratorINSA_7pointerIsNSA_11hip_rocprim3tagENSA_11use_defaultESG_EEEEPS6_SJ_NS0_5tupleIJPsSJ_EEENSK_IJSJ_SJ_EEES6_PlJ7is_evenIsEEEE10hipError_tPvRmT3_T4_T5_T6_T7_T9_mT8_P12ihipStream_tbDpT10_ENKUlT_T0_E_clISt17integral_constantIbLb0EES1A_EEDaS15_S16_EUlS15_E_NS1_11comp_targetILNS1_3genE9ELNS1_11target_archE1100ELNS1_3gpuE3ELNS1_3repE0EEENS1_30default_config_static_selectorELNS0_4arch9wavefront6targetE1EEEvT1_,@function
_ZN7rocprim17ROCPRIM_400000_NS6detail17trampoline_kernelINS0_14default_configENS1_25partition_config_selectorILNS1_17partition_subalgoE3EsNS0_10empty_typeEbEEZZNS1_14partition_implILS5_3ELb0ES3_jN6thrust23THRUST_200600_302600_NS6detail15normal_iteratorINSA_7pointerIsNSA_11hip_rocprim3tagENSA_11use_defaultESG_EEEEPS6_SJ_NS0_5tupleIJPsSJ_EEENSK_IJSJ_SJ_EEES6_PlJ7is_evenIsEEEE10hipError_tPvRmT3_T4_T5_T6_T7_T9_mT8_P12ihipStream_tbDpT10_ENKUlT_T0_E_clISt17integral_constantIbLb0EES1A_EEDaS15_S16_EUlS15_E_NS1_11comp_targetILNS1_3genE9ELNS1_11target_archE1100ELNS1_3gpuE3ELNS1_3repE0EEENS1_30default_config_static_selectorELNS0_4arch9wavefront6targetE1EEEvT1_: ; @_ZN7rocprim17ROCPRIM_400000_NS6detail17trampoline_kernelINS0_14default_configENS1_25partition_config_selectorILNS1_17partition_subalgoE3EsNS0_10empty_typeEbEEZZNS1_14partition_implILS5_3ELb0ES3_jN6thrust23THRUST_200600_302600_NS6detail15normal_iteratorINSA_7pointerIsNSA_11hip_rocprim3tagENSA_11use_defaultESG_EEEEPS6_SJ_NS0_5tupleIJPsSJ_EEENSK_IJSJ_SJ_EEES6_PlJ7is_evenIsEEEE10hipError_tPvRmT3_T4_T5_T6_T7_T9_mT8_P12ihipStream_tbDpT10_ENKUlT_T0_E_clISt17integral_constantIbLb0EES1A_EEDaS15_S16_EUlS15_E_NS1_11comp_targetILNS1_3genE9ELNS1_11target_archE1100ELNS1_3gpuE3ELNS1_3repE0EEENS1_30default_config_static_selectorELNS0_4arch9wavefront6targetE1EEEvT1_
; %bb.0:
	.section	.rodata,"a",@progbits
	.p2align	6, 0x0
	.amdhsa_kernel _ZN7rocprim17ROCPRIM_400000_NS6detail17trampoline_kernelINS0_14default_configENS1_25partition_config_selectorILNS1_17partition_subalgoE3EsNS0_10empty_typeEbEEZZNS1_14partition_implILS5_3ELb0ES3_jN6thrust23THRUST_200600_302600_NS6detail15normal_iteratorINSA_7pointerIsNSA_11hip_rocprim3tagENSA_11use_defaultESG_EEEEPS6_SJ_NS0_5tupleIJPsSJ_EEENSK_IJSJ_SJ_EEES6_PlJ7is_evenIsEEEE10hipError_tPvRmT3_T4_T5_T6_T7_T9_mT8_P12ihipStream_tbDpT10_ENKUlT_T0_E_clISt17integral_constantIbLb0EES1A_EEDaS15_S16_EUlS15_E_NS1_11comp_targetILNS1_3genE9ELNS1_11target_archE1100ELNS1_3gpuE3ELNS1_3repE0EEENS1_30default_config_static_selectorELNS0_4arch9wavefront6targetE1EEEvT1_
		.amdhsa_group_segment_fixed_size 0
		.amdhsa_private_segment_fixed_size 0
		.amdhsa_kernarg_size 120
		.amdhsa_user_sgpr_count 6
		.amdhsa_user_sgpr_private_segment_buffer 1
		.amdhsa_user_sgpr_dispatch_ptr 0
		.amdhsa_user_sgpr_queue_ptr 0
		.amdhsa_user_sgpr_kernarg_segment_ptr 1
		.amdhsa_user_sgpr_dispatch_id 0
		.amdhsa_user_sgpr_flat_scratch_init 0
		.amdhsa_user_sgpr_kernarg_preload_length 0
		.amdhsa_user_sgpr_kernarg_preload_offset 0
		.amdhsa_user_sgpr_private_segment_size 0
		.amdhsa_uses_dynamic_stack 0
		.amdhsa_system_sgpr_private_segment_wavefront_offset 0
		.amdhsa_system_sgpr_workgroup_id_x 1
		.amdhsa_system_sgpr_workgroup_id_y 0
		.amdhsa_system_sgpr_workgroup_id_z 0
		.amdhsa_system_sgpr_workgroup_info 0
		.amdhsa_system_vgpr_workitem_id 0
		.amdhsa_next_free_vgpr 1
		.amdhsa_next_free_sgpr 0
		.amdhsa_accum_offset 4
		.amdhsa_reserve_vcc 0
		.amdhsa_reserve_flat_scratch 0
		.amdhsa_float_round_mode_32 0
		.amdhsa_float_round_mode_16_64 0
		.amdhsa_float_denorm_mode_32 3
		.amdhsa_float_denorm_mode_16_64 3
		.amdhsa_dx10_clamp 1
		.amdhsa_ieee_mode 1
		.amdhsa_fp16_overflow 0
		.amdhsa_tg_split 0
		.amdhsa_exception_fp_ieee_invalid_op 0
		.amdhsa_exception_fp_denorm_src 0
		.amdhsa_exception_fp_ieee_div_zero 0
		.amdhsa_exception_fp_ieee_overflow 0
		.amdhsa_exception_fp_ieee_underflow 0
		.amdhsa_exception_fp_ieee_inexact 0
		.amdhsa_exception_int_div_zero 0
	.end_amdhsa_kernel
	.section	.text._ZN7rocprim17ROCPRIM_400000_NS6detail17trampoline_kernelINS0_14default_configENS1_25partition_config_selectorILNS1_17partition_subalgoE3EsNS0_10empty_typeEbEEZZNS1_14partition_implILS5_3ELb0ES3_jN6thrust23THRUST_200600_302600_NS6detail15normal_iteratorINSA_7pointerIsNSA_11hip_rocprim3tagENSA_11use_defaultESG_EEEEPS6_SJ_NS0_5tupleIJPsSJ_EEENSK_IJSJ_SJ_EEES6_PlJ7is_evenIsEEEE10hipError_tPvRmT3_T4_T5_T6_T7_T9_mT8_P12ihipStream_tbDpT10_ENKUlT_T0_E_clISt17integral_constantIbLb0EES1A_EEDaS15_S16_EUlS15_E_NS1_11comp_targetILNS1_3genE9ELNS1_11target_archE1100ELNS1_3gpuE3ELNS1_3repE0EEENS1_30default_config_static_selectorELNS0_4arch9wavefront6targetE1EEEvT1_,"axG",@progbits,_ZN7rocprim17ROCPRIM_400000_NS6detail17trampoline_kernelINS0_14default_configENS1_25partition_config_selectorILNS1_17partition_subalgoE3EsNS0_10empty_typeEbEEZZNS1_14partition_implILS5_3ELb0ES3_jN6thrust23THRUST_200600_302600_NS6detail15normal_iteratorINSA_7pointerIsNSA_11hip_rocprim3tagENSA_11use_defaultESG_EEEEPS6_SJ_NS0_5tupleIJPsSJ_EEENSK_IJSJ_SJ_EEES6_PlJ7is_evenIsEEEE10hipError_tPvRmT3_T4_T5_T6_T7_T9_mT8_P12ihipStream_tbDpT10_ENKUlT_T0_E_clISt17integral_constantIbLb0EES1A_EEDaS15_S16_EUlS15_E_NS1_11comp_targetILNS1_3genE9ELNS1_11target_archE1100ELNS1_3gpuE3ELNS1_3repE0EEENS1_30default_config_static_selectorELNS0_4arch9wavefront6targetE1EEEvT1_,comdat
.Lfunc_end146:
	.size	_ZN7rocprim17ROCPRIM_400000_NS6detail17trampoline_kernelINS0_14default_configENS1_25partition_config_selectorILNS1_17partition_subalgoE3EsNS0_10empty_typeEbEEZZNS1_14partition_implILS5_3ELb0ES3_jN6thrust23THRUST_200600_302600_NS6detail15normal_iteratorINSA_7pointerIsNSA_11hip_rocprim3tagENSA_11use_defaultESG_EEEEPS6_SJ_NS0_5tupleIJPsSJ_EEENSK_IJSJ_SJ_EEES6_PlJ7is_evenIsEEEE10hipError_tPvRmT3_T4_T5_T6_T7_T9_mT8_P12ihipStream_tbDpT10_ENKUlT_T0_E_clISt17integral_constantIbLb0EES1A_EEDaS15_S16_EUlS15_E_NS1_11comp_targetILNS1_3genE9ELNS1_11target_archE1100ELNS1_3gpuE3ELNS1_3repE0EEENS1_30default_config_static_selectorELNS0_4arch9wavefront6targetE1EEEvT1_, .Lfunc_end146-_ZN7rocprim17ROCPRIM_400000_NS6detail17trampoline_kernelINS0_14default_configENS1_25partition_config_selectorILNS1_17partition_subalgoE3EsNS0_10empty_typeEbEEZZNS1_14partition_implILS5_3ELb0ES3_jN6thrust23THRUST_200600_302600_NS6detail15normal_iteratorINSA_7pointerIsNSA_11hip_rocprim3tagENSA_11use_defaultESG_EEEEPS6_SJ_NS0_5tupleIJPsSJ_EEENSK_IJSJ_SJ_EEES6_PlJ7is_evenIsEEEE10hipError_tPvRmT3_T4_T5_T6_T7_T9_mT8_P12ihipStream_tbDpT10_ENKUlT_T0_E_clISt17integral_constantIbLb0EES1A_EEDaS15_S16_EUlS15_E_NS1_11comp_targetILNS1_3genE9ELNS1_11target_archE1100ELNS1_3gpuE3ELNS1_3repE0EEENS1_30default_config_static_selectorELNS0_4arch9wavefront6targetE1EEEvT1_
                                        ; -- End function
	.section	.AMDGPU.csdata,"",@progbits
; Kernel info:
; codeLenInByte = 0
; NumSgprs: 4
; NumVgprs: 0
; NumAgprs: 0
; TotalNumVgprs: 0
; ScratchSize: 0
; MemoryBound: 0
; FloatMode: 240
; IeeeMode: 1
; LDSByteSize: 0 bytes/workgroup (compile time only)
; SGPRBlocks: 0
; VGPRBlocks: 0
; NumSGPRsForWavesPerEU: 4
; NumVGPRsForWavesPerEU: 1
; AccumOffset: 4
; Occupancy: 8
; WaveLimiterHint : 0
; COMPUTE_PGM_RSRC2:SCRATCH_EN: 0
; COMPUTE_PGM_RSRC2:USER_SGPR: 6
; COMPUTE_PGM_RSRC2:TRAP_HANDLER: 0
; COMPUTE_PGM_RSRC2:TGID_X_EN: 1
; COMPUTE_PGM_RSRC2:TGID_Y_EN: 0
; COMPUTE_PGM_RSRC2:TGID_Z_EN: 0
; COMPUTE_PGM_RSRC2:TIDIG_COMP_CNT: 0
; COMPUTE_PGM_RSRC3_GFX90A:ACCUM_OFFSET: 0
; COMPUTE_PGM_RSRC3_GFX90A:TG_SPLIT: 0
	.section	.text._ZN7rocprim17ROCPRIM_400000_NS6detail17trampoline_kernelINS0_14default_configENS1_25partition_config_selectorILNS1_17partition_subalgoE3EsNS0_10empty_typeEbEEZZNS1_14partition_implILS5_3ELb0ES3_jN6thrust23THRUST_200600_302600_NS6detail15normal_iteratorINSA_7pointerIsNSA_11hip_rocprim3tagENSA_11use_defaultESG_EEEEPS6_SJ_NS0_5tupleIJPsSJ_EEENSK_IJSJ_SJ_EEES6_PlJ7is_evenIsEEEE10hipError_tPvRmT3_T4_T5_T6_T7_T9_mT8_P12ihipStream_tbDpT10_ENKUlT_T0_E_clISt17integral_constantIbLb0EES1A_EEDaS15_S16_EUlS15_E_NS1_11comp_targetILNS1_3genE8ELNS1_11target_archE1030ELNS1_3gpuE2ELNS1_3repE0EEENS1_30default_config_static_selectorELNS0_4arch9wavefront6targetE1EEEvT1_,"axG",@progbits,_ZN7rocprim17ROCPRIM_400000_NS6detail17trampoline_kernelINS0_14default_configENS1_25partition_config_selectorILNS1_17partition_subalgoE3EsNS0_10empty_typeEbEEZZNS1_14partition_implILS5_3ELb0ES3_jN6thrust23THRUST_200600_302600_NS6detail15normal_iteratorINSA_7pointerIsNSA_11hip_rocprim3tagENSA_11use_defaultESG_EEEEPS6_SJ_NS0_5tupleIJPsSJ_EEENSK_IJSJ_SJ_EEES6_PlJ7is_evenIsEEEE10hipError_tPvRmT3_T4_T5_T6_T7_T9_mT8_P12ihipStream_tbDpT10_ENKUlT_T0_E_clISt17integral_constantIbLb0EES1A_EEDaS15_S16_EUlS15_E_NS1_11comp_targetILNS1_3genE8ELNS1_11target_archE1030ELNS1_3gpuE2ELNS1_3repE0EEENS1_30default_config_static_selectorELNS0_4arch9wavefront6targetE1EEEvT1_,comdat
	.protected	_ZN7rocprim17ROCPRIM_400000_NS6detail17trampoline_kernelINS0_14default_configENS1_25partition_config_selectorILNS1_17partition_subalgoE3EsNS0_10empty_typeEbEEZZNS1_14partition_implILS5_3ELb0ES3_jN6thrust23THRUST_200600_302600_NS6detail15normal_iteratorINSA_7pointerIsNSA_11hip_rocprim3tagENSA_11use_defaultESG_EEEEPS6_SJ_NS0_5tupleIJPsSJ_EEENSK_IJSJ_SJ_EEES6_PlJ7is_evenIsEEEE10hipError_tPvRmT3_T4_T5_T6_T7_T9_mT8_P12ihipStream_tbDpT10_ENKUlT_T0_E_clISt17integral_constantIbLb0EES1A_EEDaS15_S16_EUlS15_E_NS1_11comp_targetILNS1_3genE8ELNS1_11target_archE1030ELNS1_3gpuE2ELNS1_3repE0EEENS1_30default_config_static_selectorELNS0_4arch9wavefront6targetE1EEEvT1_ ; -- Begin function _ZN7rocprim17ROCPRIM_400000_NS6detail17trampoline_kernelINS0_14default_configENS1_25partition_config_selectorILNS1_17partition_subalgoE3EsNS0_10empty_typeEbEEZZNS1_14partition_implILS5_3ELb0ES3_jN6thrust23THRUST_200600_302600_NS6detail15normal_iteratorINSA_7pointerIsNSA_11hip_rocprim3tagENSA_11use_defaultESG_EEEEPS6_SJ_NS0_5tupleIJPsSJ_EEENSK_IJSJ_SJ_EEES6_PlJ7is_evenIsEEEE10hipError_tPvRmT3_T4_T5_T6_T7_T9_mT8_P12ihipStream_tbDpT10_ENKUlT_T0_E_clISt17integral_constantIbLb0EES1A_EEDaS15_S16_EUlS15_E_NS1_11comp_targetILNS1_3genE8ELNS1_11target_archE1030ELNS1_3gpuE2ELNS1_3repE0EEENS1_30default_config_static_selectorELNS0_4arch9wavefront6targetE1EEEvT1_
	.globl	_ZN7rocprim17ROCPRIM_400000_NS6detail17trampoline_kernelINS0_14default_configENS1_25partition_config_selectorILNS1_17partition_subalgoE3EsNS0_10empty_typeEbEEZZNS1_14partition_implILS5_3ELb0ES3_jN6thrust23THRUST_200600_302600_NS6detail15normal_iteratorINSA_7pointerIsNSA_11hip_rocprim3tagENSA_11use_defaultESG_EEEEPS6_SJ_NS0_5tupleIJPsSJ_EEENSK_IJSJ_SJ_EEES6_PlJ7is_evenIsEEEE10hipError_tPvRmT3_T4_T5_T6_T7_T9_mT8_P12ihipStream_tbDpT10_ENKUlT_T0_E_clISt17integral_constantIbLb0EES1A_EEDaS15_S16_EUlS15_E_NS1_11comp_targetILNS1_3genE8ELNS1_11target_archE1030ELNS1_3gpuE2ELNS1_3repE0EEENS1_30default_config_static_selectorELNS0_4arch9wavefront6targetE1EEEvT1_
	.p2align	8
	.type	_ZN7rocprim17ROCPRIM_400000_NS6detail17trampoline_kernelINS0_14default_configENS1_25partition_config_selectorILNS1_17partition_subalgoE3EsNS0_10empty_typeEbEEZZNS1_14partition_implILS5_3ELb0ES3_jN6thrust23THRUST_200600_302600_NS6detail15normal_iteratorINSA_7pointerIsNSA_11hip_rocprim3tagENSA_11use_defaultESG_EEEEPS6_SJ_NS0_5tupleIJPsSJ_EEENSK_IJSJ_SJ_EEES6_PlJ7is_evenIsEEEE10hipError_tPvRmT3_T4_T5_T6_T7_T9_mT8_P12ihipStream_tbDpT10_ENKUlT_T0_E_clISt17integral_constantIbLb0EES1A_EEDaS15_S16_EUlS15_E_NS1_11comp_targetILNS1_3genE8ELNS1_11target_archE1030ELNS1_3gpuE2ELNS1_3repE0EEENS1_30default_config_static_selectorELNS0_4arch9wavefront6targetE1EEEvT1_,@function
_ZN7rocprim17ROCPRIM_400000_NS6detail17trampoline_kernelINS0_14default_configENS1_25partition_config_selectorILNS1_17partition_subalgoE3EsNS0_10empty_typeEbEEZZNS1_14partition_implILS5_3ELb0ES3_jN6thrust23THRUST_200600_302600_NS6detail15normal_iteratorINSA_7pointerIsNSA_11hip_rocprim3tagENSA_11use_defaultESG_EEEEPS6_SJ_NS0_5tupleIJPsSJ_EEENSK_IJSJ_SJ_EEES6_PlJ7is_evenIsEEEE10hipError_tPvRmT3_T4_T5_T6_T7_T9_mT8_P12ihipStream_tbDpT10_ENKUlT_T0_E_clISt17integral_constantIbLb0EES1A_EEDaS15_S16_EUlS15_E_NS1_11comp_targetILNS1_3genE8ELNS1_11target_archE1030ELNS1_3gpuE2ELNS1_3repE0EEENS1_30default_config_static_selectorELNS0_4arch9wavefront6targetE1EEEvT1_: ; @_ZN7rocprim17ROCPRIM_400000_NS6detail17trampoline_kernelINS0_14default_configENS1_25partition_config_selectorILNS1_17partition_subalgoE3EsNS0_10empty_typeEbEEZZNS1_14partition_implILS5_3ELb0ES3_jN6thrust23THRUST_200600_302600_NS6detail15normal_iteratorINSA_7pointerIsNSA_11hip_rocprim3tagENSA_11use_defaultESG_EEEEPS6_SJ_NS0_5tupleIJPsSJ_EEENSK_IJSJ_SJ_EEES6_PlJ7is_evenIsEEEE10hipError_tPvRmT3_T4_T5_T6_T7_T9_mT8_P12ihipStream_tbDpT10_ENKUlT_T0_E_clISt17integral_constantIbLb0EES1A_EEDaS15_S16_EUlS15_E_NS1_11comp_targetILNS1_3genE8ELNS1_11target_archE1030ELNS1_3gpuE2ELNS1_3repE0EEENS1_30default_config_static_selectorELNS0_4arch9wavefront6targetE1EEEvT1_
; %bb.0:
	.section	.rodata,"a",@progbits
	.p2align	6, 0x0
	.amdhsa_kernel _ZN7rocprim17ROCPRIM_400000_NS6detail17trampoline_kernelINS0_14default_configENS1_25partition_config_selectorILNS1_17partition_subalgoE3EsNS0_10empty_typeEbEEZZNS1_14partition_implILS5_3ELb0ES3_jN6thrust23THRUST_200600_302600_NS6detail15normal_iteratorINSA_7pointerIsNSA_11hip_rocprim3tagENSA_11use_defaultESG_EEEEPS6_SJ_NS0_5tupleIJPsSJ_EEENSK_IJSJ_SJ_EEES6_PlJ7is_evenIsEEEE10hipError_tPvRmT3_T4_T5_T6_T7_T9_mT8_P12ihipStream_tbDpT10_ENKUlT_T0_E_clISt17integral_constantIbLb0EES1A_EEDaS15_S16_EUlS15_E_NS1_11comp_targetILNS1_3genE8ELNS1_11target_archE1030ELNS1_3gpuE2ELNS1_3repE0EEENS1_30default_config_static_selectorELNS0_4arch9wavefront6targetE1EEEvT1_
		.amdhsa_group_segment_fixed_size 0
		.amdhsa_private_segment_fixed_size 0
		.amdhsa_kernarg_size 120
		.amdhsa_user_sgpr_count 6
		.amdhsa_user_sgpr_private_segment_buffer 1
		.amdhsa_user_sgpr_dispatch_ptr 0
		.amdhsa_user_sgpr_queue_ptr 0
		.amdhsa_user_sgpr_kernarg_segment_ptr 1
		.amdhsa_user_sgpr_dispatch_id 0
		.amdhsa_user_sgpr_flat_scratch_init 0
		.amdhsa_user_sgpr_kernarg_preload_length 0
		.amdhsa_user_sgpr_kernarg_preload_offset 0
		.amdhsa_user_sgpr_private_segment_size 0
		.amdhsa_uses_dynamic_stack 0
		.amdhsa_system_sgpr_private_segment_wavefront_offset 0
		.amdhsa_system_sgpr_workgroup_id_x 1
		.amdhsa_system_sgpr_workgroup_id_y 0
		.amdhsa_system_sgpr_workgroup_id_z 0
		.amdhsa_system_sgpr_workgroup_info 0
		.amdhsa_system_vgpr_workitem_id 0
		.amdhsa_next_free_vgpr 1
		.amdhsa_next_free_sgpr 0
		.amdhsa_accum_offset 4
		.amdhsa_reserve_vcc 0
		.amdhsa_reserve_flat_scratch 0
		.amdhsa_float_round_mode_32 0
		.amdhsa_float_round_mode_16_64 0
		.amdhsa_float_denorm_mode_32 3
		.amdhsa_float_denorm_mode_16_64 3
		.amdhsa_dx10_clamp 1
		.amdhsa_ieee_mode 1
		.amdhsa_fp16_overflow 0
		.amdhsa_tg_split 0
		.amdhsa_exception_fp_ieee_invalid_op 0
		.amdhsa_exception_fp_denorm_src 0
		.amdhsa_exception_fp_ieee_div_zero 0
		.amdhsa_exception_fp_ieee_overflow 0
		.amdhsa_exception_fp_ieee_underflow 0
		.amdhsa_exception_fp_ieee_inexact 0
		.amdhsa_exception_int_div_zero 0
	.end_amdhsa_kernel
	.section	.text._ZN7rocprim17ROCPRIM_400000_NS6detail17trampoline_kernelINS0_14default_configENS1_25partition_config_selectorILNS1_17partition_subalgoE3EsNS0_10empty_typeEbEEZZNS1_14partition_implILS5_3ELb0ES3_jN6thrust23THRUST_200600_302600_NS6detail15normal_iteratorINSA_7pointerIsNSA_11hip_rocprim3tagENSA_11use_defaultESG_EEEEPS6_SJ_NS0_5tupleIJPsSJ_EEENSK_IJSJ_SJ_EEES6_PlJ7is_evenIsEEEE10hipError_tPvRmT3_T4_T5_T6_T7_T9_mT8_P12ihipStream_tbDpT10_ENKUlT_T0_E_clISt17integral_constantIbLb0EES1A_EEDaS15_S16_EUlS15_E_NS1_11comp_targetILNS1_3genE8ELNS1_11target_archE1030ELNS1_3gpuE2ELNS1_3repE0EEENS1_30default_config_static_selectorELNS0_4arch9wavefront6targetE1EEEvT1_,"axG",@progbits,_ZN7rocprim17ROCPRIM_400000_NS6detail17trampoline_kernelINS0_14default_configENS1_25partition_config_selectorILNS1_17partition_subalgoE3EsNS0_10empty_typeEbEEZZNS1_14partition_implILS5_3ELb0ES3_jN6thrust23THRUST_200600_302600_NS6detail15normal_iteratorINSA_7pointerIsNSA_11hip_rocprim3tagENSA_11use_defaultESG_EEEEPS6_SJ_NS0_5tupleIJPsSJ_EEENSK_IJSJ_SJ_EEES6_PlJ7is_evenIsEEEE10hipError_tPvRmT3_T4_T5_T6_T7_T9_mT8_P12ihipStream_tbDpT10_ENKUlT_T0_E_clISt17integral_constantIbLb0EES1A_EEDaS15_S16_EUlS15_E_NS1_11comp_targetILNS1_3genE8ELNS1_11target_archE1030ELNS1_3gpuE2ELNS1_3repE0EEENS1_30default_config_static_selectorELNS0_4arch9wavefront6targetE1EEEvT1_,comdat
.Lfunc_end147:
	.size	_ZN7rocprim17ROCPRIM_400000_NS6detail17trampoline_kernelINS0_14default_configENS1_25partition_config_selectorILNS1_17partition_subalgoE3EsNS0_10empty_typeEbEEZZNS1_14partition_implILS5_3ELb0ES3_jN6thrust23THRUST_200600_302600_NS6detail15normal_iteratorINSA_7pointerIsNSA_11hip_rocprim3tagENSA_11use_defaultESG_EEEEPS6_SJ_NS0_5tupleIJPsSJ_EEENSK_IJSJ_SJ_EEES6_PlJ7is_evenIsEEEE10hipError_tPvRmT3_T4_T5_T6_T7_T9_mT8_P12ihipStream_tbDpT10_ENKUlT_T0_E_clISt17integral_constantIbLb0EES1A_EEDaS15_S16_EUlS15_E_NS1_11comp_targetILNS1_3genE8ELNS1_11target_archE1030ELNS1_3gpuE2ELNS1_3repE0EEENS1_30default_config_static_selectorELNS0_4arch9wavefront6targetE1EEEvT1_, .Lfunc_end147-_ZN7rocprim17ROCPRIM_400000_NS6detail17trampoline_kernelINS0_14default_configENS1_25partition_config_selectorILNS1_17partition_subalgoE3EsNS0_10empty_typeEbEEZZNS1_14partition_implILS5_3ELb0ES3_jN6thrust23THRUST_200600_302600_NS6detail15normal_iteratorINSA_7pointerIsNSA_11hip_rocprim3tagENSA_11use_defaultESG_EEEEPS6_SJ_NS0_5tupleIJPsSJ_EEENSK_IJSJ_SJ_EEES6_PlJ7is_evenIsEEEE10hipError_tPvRmT3_T4_T5_T6_T7_T9_mT8_P12ihipStream_tbDpT10_ENKUlT_T0_E_clISt17integral_constantIbLb0EES1A_EEDaS15_S16_EUlS15_E_NS1_11comp_targetILNS1_3genE8ELNS1_11target_archE1030ELNS1_3gpuE2ELNS1_3repE0EEENS1_30default_config_static_selectorELNS0_4arch9wavefront6targetE1EEEvT1_
                                        ; -- End function
	.section	.AMDGPU.csdata,"",@progbits
; Kernel info:
; codeLenInByte = 0
; NumSgprs: 4
; NumVgprs: 0
; NumAgprs: 0
; TotalNumVgprs: 0
; ScratchSize: 0
; MemoryBound: 0
; FloatMode: 240
; IeeeMode: 1
; LDSByteSize: 0 bytes/workgroup (compile time only)
; SGPRBlocks: 0
; VGPRBlocks: 0
; NumSGPRsForWavesPerEU: 4
; NumVGPRsForWavesPerEU: 1
; AccumOffset: 4
; Occupancy: 8
; WaveLimiterHint : 0
; COMPUTE_PGM_RSRC2:SCRATCH_EN: 0
; COMPUTE_PGM_RSRC2:USER_SGPR: 6
; COMPUTE_PGM_RSRC2:TRAP_HANDLER: 0
; COMPUTE_PGM_RSRC2:TGID_X_EN: 1
; COMPUTE_PGM_RSRC2:TGID_Y_EN: 0
; COMPUTE_PGM_RSRC2:TGID_Z_EN: 0
; COMPUTE_PGM_RSRC2:TIDIG_COMP_CNT: 0
; COMPUTE_PGM_RSRC3_GFX90A:ACCUM_OFFSET: 0
; COMPUTE_PGM_RSRC3_GFX90A:TG_SPLIT: 0
	.section	.text._ZN7rocprim17ROCPRIM_400000_NS6detail17trampoline_kernelINS0_14default_configENS1_25partition_config_selectorILNS1_17partition_subalgoE3EsNS0_10empty_typeEbEEZZNS1_14partition_implILS5_3ELb0ES3_jN6thrust23THRUST_200600_302600_NS6detail15normal_iteratorINSA_7pointerIsNSA_11hip_rocprim3tagENSA_11use_defaultESG_EEEEPS6_SJ_NS0_5tupleIJPsSJ_EEENSK_IJSJ_SJ_EEES6_PlJ7is_evenIsEEEE10hipError_tPvRmT3_T4_T5_T6_T7_T9_mT8_P12ihipStream_tbDpT10_ENKUlT_T0_E_clISt17integral_constantIbLb1EES1A_EEDaS15_S16_EUlS15_E_NS1_11comp_targetILNS1_3genE0ELNS1_11target_archE4294967295ELNS1_3gpuE0ELNS1_3repE0EEENS1_30default_config_static_selectorELNS0_4arch9wavefront6targetE1EEEvT1_,"axG",@progbits,_ZN7rocprim17ROCPRIM_400000_NS6detail17trampoline_kernelINS0_14default_configENS1_25partition_config_selectorILNS1_17partition_subalgoE3EsNS0_10empty_typeEbEEZZNS1_14partition_implILS5_3ELb0ES3_jN6thrust23THRUST_200600_302600_NS6detail15normal_iteratorINSA_7pointerIsNSA_11hip_rocprim3tagENSA_11use_defaultESG_EEEEPS6_SJ_NS0_5tupleIJPsSJ_EEENSK_IJSJ_SJ_EEES6_PlJ7is_evenIsEEEE10hipError_tPvRmT3_T4_T5_T6_T7_T9_mT8_P12ihipStream_tbDpT10_ENKUlT_T0_E_clISt17integral_constantIbLb1EES1A_EEDaS15_S16_EUlS15_E_NS1_11comp_targetILNS1_3genE0ELNS1_11target_archE4294967295ELNS1_3gpuE0ELNS1_3repE0EEENS1_30default_config_static_selectorELNS0_4arch9wavefront6targetE1EEEvT1_,comdat
	.protected	_ZN7rocprim17ROCPRIM_400000_NS6detail17trampoline_kernelINS0_14default_configENS1_25partition_config_selectorILNS1_17partition_subalgoE3EsNS0_10empty_typeEbEEZZNS1_14partition_implILS5_3ELb0ES3_jN6thrust23THRUST_200600_302600_NS6detail15normal_iteratorINSA_7pointerIsNSA_11hip_rocprim3tagENSA_11use_defaultESG_EEEEPS6_SJ_NS0_5tupleIJPsSJ_EEENSK_IJSJ_SJ_EEES6_PlJ7is_evenIsEEEE10hipError_tPvRmT3_T4_T5_T6_T7_T9_mT8_P12ihipStream_tbDpT10_ENKUlT_T0_E_clISt17integral_constantIbLb1EES1A_EEDaS15_S16_EUlS15_E_NS1_11comp_targetILNS1_3genE0ELNS1_11target_archE4294967295ELNS1_3gpuE0ELNS1_3repE0EEENS1_30default_config_static_selectorELNS0_4arch9wavefront6targetE1EEEvT1_ ; -- Begin function _ZN7rocprim17ROCPRIM_400000_NS6detail17trampoline_kernelINS0_14default_configENS1_25partition_config_selectorILNS1_17partition_subalgoE3EsNS0_10empty_typeEbEEZZNS1_14partition_implILS5_3ELb0ES3_jN6thrust23THRUST_200600_302600_NS6detail15normal_iteratorINSA_7pointerIsNSA_11hip_rocprim3tagENSA_11use_defaultESG_EEEEPS6_SJ_NS0_5tupleIJPsSJ_EEENSK_IJSJ_SJ_EEES6_PlJ7is_evenIsEEEE10hipError_tPvRmT3_T4_T5_T6_T7_T9_mT8_P12ihipStream_tbDpT10_ENKUlT_T0_E_clISt17integral_constantIbLb1EES1A_EEDaS15_S16_EUlS15_E_NS1_11comp_targetILNS1_3genE0ELNS1_11target_archE4294967295ELNS1_3gpuE0ELNS1_3repE0EEENS1_30default_config_static_selectorELNS0_4arch9wavefront6targetE1EEEvT1_
	.globl	_ZN7rocprim17ROCPRIM_400000_NS6detail17trampoline_kernelINS0_14default_configENS1_25partition_config_selectorILNS1_17partition_subalgoE3EsNS0_10empty_typeEbEEZZNS1_14partition_implILS5_3ELb0ES3_jN6thrust23THRUST_200600_302600_NS6detail15normal_iteratorINSA_7pointerIsNSA_11hip_rocprim3tagENSA_11use_defaultESG_EEEEPS6_SJ_NS0_5tupleIJPsSJ_EEENSK_IJSJ_SJ_EEES6_PlJ7is_evenIsEEEE10hipError_tPvRmT3_T4_T5_T6_T7_T9_mT8_P12ihipStream_tbDpT10_ENKUlT_T0_E_clISt17integral_constantIbLb1EES1A_EEDaS15_S16_EUlS15_E_NS1_11comp_targetILNS1_3genE0ELNS1_11target_archE4294967295ELNS1_3gpuE0ELNS1_3repE0EEENS1_30default_config_static_selectorELNS0_4arch9wavefront6targetE1EEEvT1_
	.p2align	8
	.type	_ZN7rocprim17ROCPRIM_400000_NS6detail17trampoline_kernelINS0_14default_configENS1_25partition_config_selectorILNS1_17partition_subalgoE3EsNS0_10empty_typeEbEEZZNS1_14partition_implILS5_3ELb0ES3_jN6thrust23THRUST_200600_302600_NS6detail15normal_iteratorINSA_7pointerIsNSA_11hip_rocprim3tagENSA_11use_defaultESG_EEEEPS6_SJ_NS0_5tupleIJPsSJ_EEENSK_IJSJ_SJ_EEES6_PlJ7is_evenIsEEEE10hipError_tPvRmT3_T4_T5_T6_T7_T9_mT8_P12ihipStream_tbDpT10_ENKUlT_T0_E_clISt17integral_constantIbLb1EES1A_EEDaS15_S16_EUlS15_E_NS1_11comp_targetILNS1_3genE0ELNS1_11target_archE4294967295ELNS1_3gpuE0ELNS1_3repE0EEENS1_30default_config_static_selectorELNS0_4arch9wavefront6targetE1EEEvT1_,@function
_ZN7rocprim17ROCPRIM_400000_NS6detail17trampoline_kernelINS0_14default_configENS1_25partition_config_selectorILNS1_17partition_subalgoE3EsNS0_10empty_typeEbEEZZNS1_14partition_implILS5_3ELb0ES3_jN6thrust23THRUST_200600_302600_NS6detail15normal_iteratorINSA_7pointerIsNSA_11hip_rocprim3tagENSA_11use_defaultESG_EEEEPS6_SJ_NS0_5tupleIJPsSJ_EEENSK_IJSJ_SJ_EEES6_PlJ7is_evenIsEEEE10hipError_tPvRmT3_T4_T5_T6_T7_T9_mT8_P12ihipStream_tbDpT10_ENKUlT_T0_E_clISt17integral_constantIbLb1EES1A_EEDaS15_S16_EUlS15_E_NS1_11comp_targetILNS1_3genE0ELNS1_11target_archE4294967295ELNS1_3gpuE0ELNS1_3repE0EEENS1_30default_config_static_selectorELNS0_4arch9wavefront6targetE1EEEvT1_: ; @_ZN7rocprim17ROCPRIM_400000_NS6detail17trampoline_kernelINS0_14default_configENS1_25partition_config_selectorILNS1_17partition_subalgoE3EsNS0_10empty_typeEbEEZZNS1_14partition_implILS5_3ELb0ES3_jN6thrust23THRUST_200600_302600_NS6detail15normal_iteratorINSA_7pointerIsNSA_11hip_rocprim3tagENSA_11use_defaultESG_EEEEPS6_SJ_NS0_5tupleIJPsSJ_EEENSK_IJSJ_SJ_EEES6_PlJ7is_evenIsEEEE10hipError_tPvRmT3_T4_T5_T6_T7_T9_mT8_P12ihipStream_tbDpT10_ENKUlT_T0_E_clISt17integral_constantIbLb1EES1A_EEDaS15_S16_EUlS15_E_NS1_11comp_targetILNS1_3genE0ELNS1_11target_archE4294967295ELNS1_3gpuE0ELNS1_3repE0EEENS1_30default_config_static_selectorELNS0_4arch9wavefront6targetE1EEEvT1_
; %bb.0:
	.section	.rodata,"a",@progbits
	.p2align	6, 0x0
	.amdhsa_kernel _ZN7rocprim17ROCPRIM_400000_NS6detail17trampoline_kernelINS0_14default_configENS1_25partition_config_selectorILNS1_17partition_subalgoE3EsNS0_10empty_typeEbEEZZNS1_14partition_implILS5_3ELb0ES3_jN6thrust23THRUST_200600_302600_NS6detail15normal_iteratorINSA_7pointerIsNSA_11hip_rocprim3tagENSA_11use_defaultESG_EEEEPS6_SJ_NS0_5tupleIJPsSJ_EEENSK_IJSJ_SJ_EEES6_PlJ7is_evenIsEEEE10hipError_tPvRmT3_T4_T5_T6_T7_T9_mT8_P12ihipStream_tbDpT10_ENKUlT_T0_E_clISt17integral_constantIbLb1EES1A_EEDaS15_S16_EUlS15_E_NS1_11comp_targetILNS1_3genE0ELNS1_11target_archE4294967295ELNS1_3gpuE0ELNS1_3repE0EEENS1_30default_config_static_selectorELNS0_4arch9wavefront6targetE1EEEvT1_
		.amdhsa_group_segment_fixed_size 0
		.amdhsa_private_segment_fixed_size 0
		.amdhsa_kernarg_size 136
		.amdhsa_user_sgpr_count 6
		.amdhsa_user_sgpr_private_segment_buffer 1
		.amdhsa_user_sgpr_dispatch_ptr 0
		.amdhsa_user_sgpr_queue_ptr 0
		.amdhsa_user_sgpr_kernarg_segment_ptr 1
		.amdhsa_user_sgpr_dispatch_id 0
		.amdhsa_user_sgpr_flat_scratch_init 0
		.amdhsa_user_sgpr_kernarg_preload_length 0
		.amdhsa_user_sgpr_kernarg_preload_offset 0
		.amdhsa_user_sgpr_private_segment_size 0
		.amdhsa_uses_dynamic_stack 0
		.amdhsa_system_sgpr_private_segment_wavefront_offset 0
		.amdhsa_system_sgpr_workgroup_id_x 1
		.amdhsa_system_sgpr_workgroup_id_y 0
		.amdhsa_system_sgpr_workgroup_id_z 0
		.amdhsa_system_sgpr_workgroup_info 0
		.amdhsa_system_vgpr_workitem_id 0
		.amdhsa_next_free_vgpr 1
		.amdhsa_next_free_sgpr 0
		.amdhsa_accum_offset 4
		.amdhsa_reserve_vcc 0
		.amdhsa_reserve_flat_scratch 0
		.amdhsa_float_round_mode_32 0
		.amdhsa_float_round_mode_16_64 0
		.amdhsa_float_denorm_mode_32 3
		.amdhsa_float_denorm_mode_16_64 3
		.amdhsa_dx10_clamp 1
		.amdhsa_ieee_mode 1
		.amdhsa_fp16_overflow 0
		.amdhsa_tg_split 0
		.amdhsa_exception_fp_ieee_invalid_op 0
		.amdhsa_exception_fp_denorm_src 0
		.amdhsa_exception_fp_ieee_div_zero 0
		.amdhsa_exception_fp_ieee_overflow 0
		.amdhsa_exception_fp_ieee_underflow 0
		.amdhsa_exception_fp_ieee_inexact 0
		.amdhsa_exception_int_div_zero 0
	.end_amdhsa_kernel
	.section	.text._ZN7rocprim17ROCPRIM_400000_NS6detail17trampoline_kernelINS0_14default_configENS1_25partition_config_selectorILNS1_17partition_subalgoE3EsNS0_10empty_typeEbEEZZNS1_14partition_implILS5_3ELb0ES3_jN6thrust23THRUST_200600_302600_NS6detail15normal_iteratorINSA_7pointerIsNSA_11hip_rocprim3tagENSA_11use_defaultESG_EEEEPS6_SJ_NS0_5tupleIJPsSJ_EEENSK_IJSJ_SJ_EEES6_PlJ7is_evenIsEEEE10hipError_tPvRmT3_T4_T5_T6_T7_T9_mT8_P12ihipStream_tbDpT10_ENKUlT_T0_E_clISt17integral_constantIbLb1EES1A_EEDaS15_S16_EUlS15_E_NS1_11comp_targetILNS1_3genE0ELNS1_11target_archE4294967295ELNS1_3gpuE0ELNS1_3repE0EEENS1_30default_config_static_selectorELNS0_4arch9wavefront6targetE1EEEvT1_,"axG",@progbits,_ZN7rocprim17ROCPRIM_400000_NS6detail17trampoline_kernelINS0_14default_configENS1_25partition_config_selectorILNS1_17partition_subalgoE3EsNS0_10empty_typeEbEEZZNS1_14partition_implILS5_3ELb0ES3_jN6thrust23THRUST_200600_302600_NS6detail15normal_iteratorINSA_7pointerIsNSA_11hip_rocprim3tagENSA_11use_defaultESG_EEEEPS6_SJ_NS0_5tupleIJPsSJ_EEENSK_IJSJ_SJ_EEES6_PlJ7is_evenIsEEEE10hipError_tPvRmT3_T4_T5_T6_T7_T9_mT8_P12ihipStream_tbDpT10_ENKUlT_T0_E_clISt17integral_constantIbLb1EES1A_EEDaS15_S16_EUlS15_E_NS1_11comp_targetILNS1_3genE0ELNS1_11target_archE4294967295ELNS1_3gpuE0ELNS1_3repE0EEENS1_30default_config_static_selectorELNS0_4arch9wavefront6targetE1EEEvT1_,comdat
.Lfunc_end148:
	.size	_ZN7rocprim17ROCPRIM_400000_NS6detail17trampoline_kernelINS0_14default_configENS1_25partition_config_selectorILNS1_17partition_subalgoE3EsNS0_10empty_typeEbEEZZNS1_14partition_implILS5_3ELb0ES3_jN6thrust23THRUST_200600_302600_NS6detail15normal_iteratorINSA_7pointerIsNSA_11hip_rocprim3tagENSA_11use_defaultESG_EEEEPS6_SJ_NS0_5tupleIJPsSJ_EEENSK_IJSJ_SJ_EEES6_PlJ7is_evenIsEEEE10hipError_tPvRmT3_T4_T5_T6_T7_T9_mT8_P12ihipStream_tbDpT10_ENKUlT_T0_E_clISt17integral_constantIbLb1EES1A_EEDaS15_S16_EUlS15_E_NS1_11comp_targetILNS1_3genE0ELNS1_11target_archE4294967295ELNS1_3gpuE0ELNS1_3repE0EEENS1_30default_config_static_selectorELNS0_4arch9wavefront6targetE1EEEvT1_, .Lfunc_end148-_ZN7rocprim17ROCPRIM_400000_NS6detail17trampoline_kernelINS0_14default_configENS1_25partition_config_selectorILNS1_17partition_subalgoE3EsNS0_10empty_typeEbEEZZNS1_14partition_implILS5_3ELb0ES3_jN6thrust23THRUST_200600_302600_NS6detail15normal_iteratorINSA_7pointerIsNSA_11hip_rocprim3tagENSA_11use_defaultESG_EEEEPS6_SJ_NS0_5tupleIJPsSJ_EEENSK_IJSJ_SJ_EEES6_PlJ7is_evenIsEEEE10hipError_tPvRmT3_T4_T5_T6_T7_T9_mT8_P12ihipStream_tbDpT10_ENKUlT_T0_E_clISt17integral_constantIbLb1EES1A_EEDaS15_S16_EUlS15_E_NS1_11comp_targetILNS1_3genE0ELNS1_11target_archE4294967295ELNS1_3gpuE0ELNS1_3repE0EEENS1_30default_config_static_selectorELNS0_4arch9wavefront6targetE1EEEvT1_
                                        ; -- End function
	.section	.AMDGPU.csdata,"",@progbits
; Kernel info:
; codeLenInByte = 0
; NumSgprs: 4
; NumVgprs: 0
; NumAgprs: 0
; TotalNumVgprs: 0
; ScratchSize: 0
; MemoryBound: 0
; FloatMode: 240
; IeeeMode: 1
; LDSByteSize: 0 bytes/workgroup (compile time only)
; SGPRBlocks: 0
; VGPRBlocks: 0
; NumSGPRsForWavesPerEU: 4
; NumVGPRsForWavesPerEU: 1
; AccumOffset: 4
; Occupancy: 8
; WaveLimiterHint : 0
; COMPUTE_PGM_RSRC2:SCRATCH_EN: 0
; COMPUTE_PGM_RSRC2:USER_SGPR: 6
; COMPUTE_PGM_RSRC2:TRAP_HANDLER: 0
; COMPUTE_PGM_RSRC2:TGID_X_EN: 1
; COMPUTE_PGM_RSRC2:TGID_Y_EN: 0
; COMPUTE_PGM_RSRC2:TGID_Z_EN: 0
; COMPUTE_PGM_RSRC2:TIDIG_COMP_CNT: 0
; COMPUTE_PGM_RSRC3_GFX90A:ACCUM_OFFSET: 0
; COMPUTE_PGM_RSRC3_GFX90A:TG_SPLIT: 0
	.section	.text._ZN7rocprim17ROCPRIM_400000_NS6detail17trampoline_kernelINS0_14default_configENS1_25partition_config_selectorILNS1_17partition_subalgoE3EsNS0_10empty_typeEbEEZZNS1_14partition_implILS5_3ELb0ES3_jN6thrust23THRUST_200600_302600_NS6detail15normal_iteratorINSA_7pointerIsNSA_11hip_rocprim3tagENSA_11use_defaultESG_EEEEPS6_SJ_NS0_5tupleIJPsSJ_EEENSK_IJSJ_SJ_EEES6_PlJ7is_evenIsEEEE10hipError_tPvRmT3_T4_T5_T6_T7_T9_mT8_P12ihipStream_tbDpT10_ENKUlT_T0_E_clISt17integral_constantIbLb1EES1A_EEDaS15_S16_EUlS15_E_NS1_11comp_targetILNS1_3genE5ELNS1_11target_archE942ELNS1_3gpuE9ELNS1_3repE0EEENS1_30default_config_static_selectorELNS0_4arch9wavefront6targetE1EEEvT1_,"axG",@progbits,_ZN7rocprim17ROCPRIM_400000_NS6detail17trampoline_kernelINS0_14default_configENS1_25partition_config_selectorILNS1_17partition_subalgoE3EsNS0_10empty_typeEbEEZZNS1_14partition_implILS5_3ELb0ES3_jN6thrust23THRUST_200600_302600_NS6detail15normal_iteratorINSA_7pointerIsNSA_11hip_rocprim3tagENSA_11use_defaultESG_EEEEPS6_SJ_NS0_5tupleIJPsSJ_EEENSK_IJSJ_SJ_EEES6_PlJ7is_evenIsEEEE10hipError_tPvRmT3_T4_T5_T6_T7_T9_mT8_P12ihipStream_tbDpT10_ENKUlT_T0_E_clISt17integral_constantIbLb1EES1A_EEDaS15_S16_EUlS15_E_NS1_11comp_targetILNS1_3genE5ELNS1_11target_archE942ELNS1_3gpuE9ELNS1_3repE0EEENS1_30default_config_static_selectorELNS0_4arch9wavefront6targetE1EEEvT1_,comdat
	.protected	_ZN7rocprim17ROCPRIM_400000_NS6detail17trampoline_kernelINS0_14default_configENS1_25partition_config_selectorILNS1_17partition_subalgoE3EsNS0_10empty_typeEbEEZZNS1_14partition_implILS5_3ELb0ES3_jN6thrust23THRUST_200600_302600_NS6detail15normal_iteratorINSA_7pointerIsNSA_11hip_rocprim3tagENSA_11use_defaultESG_EEEEPS6_SJ_NS0_5tupleIJPsSJ_EEENSK_IJSJ_SJ_EEES6_PlJ7is_evenIsEEEE10hipError_tPvRmT3_T4_T5_T6_T7_T9_mT8_P12ihipStream_tbDpT10_ENKUlT_T0_E_clISt17integral_constantIbLb1EES1A_EEDaS15_S16_EUlS15_E_NS1_11comp_targetILNS1_3genE5ELNS1_11target_archE942ELNS1_3gpuE9ELNS1_3repE0EEENS1_30default_config_static_selectorELNS0_4arch9wavefront6targetE1EEEvT1_ ; -- Begin function _ZN7rocprim17ROCPRIM_400000_NS6detail17trampoline_kernelINS0_14default_configENS1_25partition_config_selectorILNS1_17partition_subalgoE3EsNS0_10empty_typeEbEEZZNS1_14partition_implILS5_3ELb0ES3_jN6thrust23THRUST_200600_302600_NS6detail15normal_iteratorINSA_7pointerIsNSA_11hip_rocprim3tagENSA_11use_defaultESG_EEEEPS6_SJ_NS0_5tupleIJPsSJ_EEENSK_IJSJ_SJ_EEES6_PlJ7is_evenIsEEEE10hipError_tPvRmT3_T4_T5_T6_T7_T9_mT8_P12ihipStream_tbDpT10_ENKUlT_T0_E_clISt17integral_constantIbLb1EES1A_EEDaS15_S16_EUlS15_E_NS1_11comp_targetILNS1_3genE5ELNS1_11target_archE942ELNS1_3gpuE9ELNS1_3repE0EEENS1_30default_config_static_selectorELNS0_4arch9wavefront6targetE1EEEvT1_
	.globl	_ZN7rocprim17ROCPRIM_400000_NS6detail17trampoline_kernelINS0_14default_configENS1_25partition_config_selectorILNS1_17partition_subalgoE3EsNS0_10empty_typeEbEEZZNS1_14partition_implILS5_3ELb0ES3_jN6thrust23THRUST_200600_302600_NS6detail15normal_iteratorINSA_7pointerIsNSA_11hip_rocprim3tagENSA_11use_defaultESG_EEEEPS6_SJ_NS0_5tupleIJPsSJ_EEENSK_IJSJ_SJ_EEES6_PlJ7is_evenIsEEEE10hipError_tPvRmT3_T4_T5_T6_T7_T9_mT8_P12ihipStream_tbDpT10_ENKUlT_T0_E_clISt17integral_constantIbLb1EES1A_EEDaS15_S16_EUlS15_E_NS1_11comp_targetILNS1_3genE5ELNS1_11target_archE942ELNS1_3gpuE9ELNS1_3repE0EEENS1_30default_config_static_selectorELNS0_4arch9wavefront6targetE1EEEvT1_
	.p2align	8
	.type	_ZN7rocprim17ROCPRIM_400000_NS6detail17trampoline_kernelINS0_14default_configENS1_25partition_config_selectorILNS1_17partition_subalgoE3EsNS0_10empty_typeEbEEZZNS1_14partition_implILS5_3ELb0ES3_jN6thrust23THRUST_200600_302600_NS6detail15normal_iteratorINSA_7pointerIsNSA_11hip_rocprim3tagENSA_11use_defaultESG_EEEEPS6_SJ_NS0_5tupleIJPsSJ_EEENSK_IJSJ_SJ_EEES6_PlJ7is_evenIsEEEE10hipError_tPvRmT3_T4_T5_T6_T7_T9_mT8_P12ihipStream_tbDpT10_ENKUlT_T0_E_clISt17integral_constantIbLb1EES1A_EEDaS15_S16_EUlS15_E_NS1_11comp_targetILNS1_3genE5ELNS1_11target_archE942ELNS1_3gpuE9ELNS1_3repE0EEENS1_30default_config_static_selectorELNS0_4arch9wavefront6targetE1EEEvT1_,@function
_ZN7rocprim17ROCPRIM_400000_NS6detail17trampoline_kernelINS0_14default_configENS1_25partition_config_selectorILNS1_17partition_subalgoE3EsNS0_10empty_typeEbEEZZNS1_14partition_implILS5_3ELb0ES3_jN6thrust23THRUST_200600_302600_NS6detail15normal_iteratorINSA_7pointerIsNSA_11hip_rocprim3tagENSA_11use_defaultESG_EEEEPS6_SJ_NS0_5tupleIJPsSJ_EEENSK_IJSJ_SJ_EEES6_PlJ7is_evenIsEEEE10hipError_tPvRmT3_T4_T5_T6_T7_T9_mT8_P12ihipStream_tbDpT10_ENKUlT_T0_E_clISt17integral_constantIbLb1EES1A_EEDaS15_S16_EUlS15_E_NS1_11comp_targetILNS1_3genE5ELNS1_11target_archE942ELNS1_3gpuE9ELNS1_3repE0EEENS1_30default_config_static_selectorELNS0_4arch9wavefront6targetE1EEEvT1_: ; @_ZN7rocprim17ROCPRIM_400000_NS6detail17trampoline_kernelINS0_14default_configENS1_25partition_config_selectorILNS1_17partition_subalgoE3EsNS0_10empty_typeEbEEZZNS1_14partition_implILS5_3ELb0ES3_jN6thrust23THRUST_200600_302600_NS6detail15normal_iteratorINSA_7pointerIsNSA_11hip_rocprim3tagENSA_11use_defaultESG_EEEEPS6_SJ_NS0_5tupleIJPsSJ_EEENSK_IJSJ_SJ_EEES6_PlJ7is_evenIsEEEE10hipError_tPvRmT3_T4_T5_T6_T7_T9_mT8_P12ihipStream_tbDpT10_ENKUlT_T0_E_clISt17integral_constantIbLb1EES1A_EEDaS15_S16_EUlS15_E_NS1_11comp_targetILNS1_3genE5ELNS1_11target_archE942ELNS1_3gpuE9ELNS1_3repE0EEENS1_30default_config_static_selectorELNS0_4arch9wavefront6targetE1EEEvT1_
; %bb.0:
	.section	.rodata,"a",@progbits
	.p2align	6, 0x0
	.amdhsa_kernel _ZN7rocprim17ROCPRIM_400000_NS6detail17trampoline_kernelINS0_14default_configENS1_25partition_config_selectorILNS1_17partition_subalgoE3EsNS0_10empty_typeEbEEZZNS1_14partition_implILS5_3ELb0ES3_jN6thrust23THRUST_200600_302600_NS6detail15normal_iteratorINSA_7pointerIsNSA_11hip_rocprim3tagENSA_11use_defaultESG_EEEEPS6_SJ_NS0_5tupleIJPsSJ_EEENSK_IJSJ_SJ_EEES6_PlJ7is_evenIsEEEE10hipError_tPvRmT3_T4_T5_T6_T7_T9_mT8_P12ihipStream_tbDpT10_ENKUlT_T0_E_clISt17integral_constantIbLb1EES1A_EEDaS15_S16_EUlS15_E_NS1_11comp_targetILNS1_3genE5ELNS1_11target_archE942ELNS1_3gpuE9ELNS1_3repE0EEENS1_30default_config_static_selectorELNS0_4arch9wavefront6targetE1EEEvT1_
		.amdhsa_group_segment_fixed_size 0
		.amdhsa_private_segment_fixed_size 0
		.amdhsa_kernarg_size 136
		.amdhsa_user_sgpr_count 6
		.amdhsa_user_sgpr_private_segment_buffer 1
		.amdhsa_user_sgpr_dispatch_ptr 0
		.amdhsa_user_sgpr_queue_ptr 0
		.amdhsa_user_sgpr_kernarg_segment_ptr 1
		.amdhsa_user_sgpr_dispatch_id 0
		.amdhsa_user_sgpr_flat_scratch_init 0
		.amdhsa_user_sgpr_kernarg_preload_length 0
		.amdhsa_user_sgpr_kernarg_preload_offset 0
		.amdhsa_user_sgpr_private_segment_size 0
		.amdhsa_uses_dynamic_stack 0
		.amdhsa_system_sgpr_private_segment_wavefront_offset 0
		.amdhsa_system_sgpr_workgroup_id_x 1
		.amdhsa_system_sgpr_workgroup_id_y 0
		.amdhsa_system_sgpr_workgroup_id_z 0
		.amdhsa_system_sgpr_workgroup_info 0
		.amdhsa_system_vgpr_workitem_id 0
		.amdhsa_next_free_vgpr 1
		.amdhsa_next_free_sgpr 0
		.amdhsa_accum_offset 4
		.amdhsa_reserve_vcc 0
		.amdhsa_reserve_flat_scratch 0
		.amdhsa_float_round_mode_32 0
		.amdhsa_float_round_mode_16_64 0
		.amdhsa_float_denorm_mode_32 3
		.amdhsa_float_denorm_mode_16_64 3
		.amdhsa_dx10_clamp 1
		.amdhsa_ieee_mode 1
		.amdhsa_fp16_overflow 0
		.amdhsa_tg_split 0
		.amdhsa_exception_fp_ieee_invalid_op 0
		.amdhsa_exception_fp_denorm_src 0
		.amdhsa_exception_fp_ieee_div_zero 0
		.amdhsa_exception_fp_ieee_overflow 0
		.amdhsa_exception_fp_ieee_underflow 0
		.amdhsa_exception_fp_ieee_inexact 0
		.amdhsa_exception_int_div_zero 0
	.end_amdhsa_kernel
	.section	.text._ZN7rocprim17ROCPRIM_400000_NS6detail17trampoline_kernelINS0_14default_configENS1_25partition_config_selectorILNS1_17partition_subalgoE3EsNS0_10empty_typeEbEEZZNS1_14partition_implILS5_3ELb0ES3_jN6thrust23THRUST_200600_302600_NS6detail15normal_iteratorINSA_7pointerIsNSA_11hip_rocprim3tagENSA_11use_defaultESG_EEEEPS6_SJ_NS0_5tupleIJPsSJ_EEENSK_IJSJ_SJ_EEES6_PlJ7is_evenIsEEEE10hipError_tPvRmT3_T4_T5_T6_T7_T9_mT8_P12ihipStream_tbDpT10_ENKUlT_T0_E_clISt17integral_constantIbLb1EES1A_EEDaS15_S16_EUlS15_E_NS1_11comp_targetILNS1_3genE5ELNS1_11target_archE942ELNS1_3gpuE9ELNS1_3repE0EEENS1_30default_config_static_selectorELNS0_4arch9wavefront6targetE1EEEvT1_,"axG",@progbits,_ZN7rocprim17ROCPRIM_400000_NS6detail17trampoline_kernelINS0_14default_configENS1_25partition_config_selectorILNS1_17partition_subalgoE3EsNS0_10empty_typeEbEEZZNS1_14partition_implILS5_3ELb0ES3_jN6thrust23THRUST_200600_302600_NS6detail15normal_iteratorINSA_7pointerIsNSA_11hip_rocprim3tagENSA_11use_defaultESG_EEEEPS6_SJ_NS0_5tupleIJPsSJ_EEENSK_IJSJ_SJ_EEES6_PlJ7is_evenIsEEEE10hipError_tPvRmT3_T4_T5_T6_T7_T9_mT8_P12ihipStream_tbDpT10_ENKUlT_T0_E_clISt17integral_constantIbLb1EES1A_EEDaS15_S16_EUlS15_E_NS1_11comp_targetILNS1_3genE5ELNS1_11target_archE942ELNS1_3gpuE9ELNS1_3repE0EEENS1_30default_config_static_selectorELNS0_4arch9wavefront6targetE1EEEvT1_,comdat
.Lfunc_end149:
	.size	_ZN7rocprim17ROCPRIM_400000_NS6detail17trampoline_kernelINS0_14default_configENS1_25partition_config_selectorILNS1_17partition_subalgoE3EsNS0_10empty_typeEbEEZZNS1_14partition_implILS5_3ELb0ES3_jN6thrust23THRUST_200600_302600_NS6detail15normal_iteratorINSA_7pointerIsNSA_11hip_rocprim3tagENSA_11use_defaultESG_EEEEPS6_SJ_NS0_5tupleIJPsSJ_EEENSK_IJSJ_SJ_EEES6_PlJ7is_evenIsEEEE10hipError_tPvRmT3_T4_T5_T6_T7_T9_mT8_P12ihipStream_tbDpT10_ENKUlT_T0_E_clISt17integral_constantIbLb1EES1A_EEDaS15_S16_EUlS15_E_NS1_11comp_targetILNS1_3genE5ELNS1_11target_archE942ELNS1_3gpuE9ELNS1_3repE0EEENS1_30default_config_static_selectorELNS0_4arch9wavefront6targetE1EEEvT1_, .Lfunc_end149-_ZN7rocprim17ROCPRIM_400000_NS6detail17trampoline_kernelINS0_14default_configENS1_25partition_config_selectorILNS1_17partition_subalgoE3EsNS0_10empty_typeEbEEZZNS1_14partition_implILS5_3ELb0ES3_jN6thrust23THRUST_200600_302600_NS6detail15normal_iteratorINSA_7pointerIsNSA_11hip_rocprim3tagENSA_11use_defaultESG_EEEEPS6_SJ_NS0_5tupleIJPsSJ_EEENSK_IJSJ_SJ_EEES6_PlJ7is_evenIsEEEE10hipError_tPvRmT3_T4_T5_T6_T7_T9_mT8_P12ihipStream_tbDpT10_ENKUlT_T0_E_clISt17integral_constantIbLb1EES1A_EEDaS15_S16_EUlS15_E_NS1_11comp_targetILNS1_3genE5ELNS1_11target_archE942ELNS1_3gpuE9ELNS1_3repE0EEENS1_30default_config_static_selectorELNS0_4arch9wavefront6targetE1EEEvT1_
                                        ; -- End function
	.section	.AMDGPU.csdata,"",@progbits
; Kernel info:
; codeLenInByte = 0
; NumSgprs: 4
; NumVgprs: 0
; NumAgprs: 0
; TotalNumVgprs: 0
; ScratchSize: 0
; MemoryBound: 0
; FloatMode: 240
; IeeeMode: 1
; LDSByteSize: 0 bytes/workgroup (compile time only)
; SGPRBlocks: 0
; VGPRBlocks: 0
; NumSGPRsForWavesPerEU: 4
; NumVGPRsForWavesPerEU: 1
; AccumOffset: 4
; Occupancy: 8
; WaveLimiterHint : 0
; COMPUTE_PGM_RSRC2:SCRATCH_EN: 0
; COMPUTE_PGM_RSRC2:USER_SGPR: 6
; COMPUTE_PGM_RSRC2:TRAP_HANDLER: 0
; COMPUTE_PGM_RSRC2:TGID_X_EN: 1
; COMPUTE_PGM_RSRC2:TGID_Y_EN: 0
; COMPUTE_PGM_RSRC2:TGID_Z_EN: 0
; COMPUTE_PGM_RSRC2:TIDIG_COMP_CNT: 0
; COMPUTE_PGM_RSRC3_GFX90A:ACCUM_OFFSET: 0
; COMPUTE_PGM_RSRC3_GFX90A:TG_SPLIT: 0
	.section	.text._ZN7rocprim17ROCPRIM_400000_NS6detail17trampoline_kernelINS0_14default_configENS1_25partition_config_selectorILNS1_17partition_subalgoE3EsNS0_10empty_typeEbEEZZNS1_14partition_implILS5_3ELb0ES3_jN6thrust23THRUST_200600_302600_NS6detail15normal_iteratorINSA_7pointerIsNSA_11hip_rocprim3tagENSA_11use_defaultESG_EEEEPS6_SJ_NS0_5tupleIJPsSJ_EEENSK_IJSJ_SJ_EEES6_PlJ7is_evenIsEEEE10hipError_tPvRmT3_T4_T5_T6_T7_T9_mT8_P12ihipStream_tbDpT10_ENKUlT_T0_E_clISt17integral_constantIbLb1EES1A_EEDaS15_S16_EUlS15_E_NS1_11comp_targetILNS1_3genE4ELNS1_11target_archE910ELNS1_3gpuE8ELNS1_3repE0EEENS1_30default_config_static_selectorELNS0_4arch9wavefront6targetE1EEEvT1_,"axG",@progbits,_ZN7rocprim17ROCPRIM_400000_NS6detail17trampoline_kernelINS0_14default_configENS1_25partition_config_selectorILNS1_17partition_subalgoE3EsNS0_10empty_typeEbEEZZNS1_14partition_implILS5_3ELb0ES3_jN6thrust23THRUST_200600_302600_NS6detail15normal_iteratorINSA_7pointerIsNSA_11hip_rocprim3tagENSA_11use_defaultESG_EEEEPS6_SJ_NS0_5tupleIJPsSJ_EEENSK_IJSJ_SJ_EEES6_PlJ7is_evenIsEEEE10hipError_tPvRmT3_T4_T5_T6_T7_T9_mT8_P12ihipStream_tbDpT10_ENKUlT_T0_E_clISt17integral_constantIbLb1EES1A_EEDaS15_S16_EUlS15_E_NS1_11comp_targetILNS1_3genE4ELNS1_11target_archE910ELNS1_3gpuE8ELNS1_3repE0EEENS1_30default_config_static_selectorELNS0_4arch9wavefront6targetE1EEEvT1_,comdat
	.protected	_ZN7rocprim17ROCPRIM_400000_NS6detail17trampoline_kernelINS0_14default_configENS1_25partition_config_selectorILNS1_17partition_subalgoE3EsNS0_10empty_typeEbEEZZNS1_14partition_implILS5_3ELb0ES3_jN6thrust23THRUST_200600_302600_NS6detail15normal_iteratorINSA_7pointerIsNSA_11hip_rocprim3tagENSA_11use_defaultESG_EEEEPS6_SJ_NS0_5tupleIJPsSJ_EEENSK_IJSJ_SJ_EEES6_PlJ7is_evenIsEEEE10hipError_tPvRmT3_T4_T5_T6_T7_T9_mT8_P12ihipStream_tbDpT10_ENKUlT_T0_E_clISt17integral_constantIbLb1EES1A_EEDaS15_S16_EUlS15_E_NS1_11comp_targetILNS1_3genE4ELNS1_11target_archE910ELNS1_3gpuE8ELNS1_3repE0EEENS1_30default_config_static_selectorELNS0_4arch9wavefront6targetE1EEEvT1_ ; -- Begin function _ZN7rocprim17ROCPRIM_400000_NS6detail17trampoline_kernelINS0_14default_configENS1_25partition_config_selectorILNS1_17partition_subalgoE3EsNS0_10empty_typeEbEEZZNS1_14partition_implILS5_3ELb0ES3_jN6thrust23THRUST_200600_302600_NS6detail15normal_iteratorINSA_7pointerIsNSA_11hip_rocprim3tagENSA_11use_defaultESG_EEEEPS6_SJ_NS0_5tupleIJPsSJ_EEENSK_IJSJ_SJ_EEES6_PlJ7is_evenIsEEEE10hipError_tPvRmT3_T4_T5_T6_T7_T9_mT8_P12ihipStream_tbDpT10_ENKUlT_T0_E_clISt17integral_constantIbLb1EES1A_EEDaS15_S16_EUlS15_E_NS1_11comp_targetILNS1_3genE4ELNS1_11target_archE910ELNS1_3gpuE8ELNS1_3repE0EEENS1_30default_config_static_selectorELNS0_4arch9wavefront6targetE1EEEvT1_
	.globl	_ZN7rocprim17ROCPRIM_400000_NS6detail17trampoline_kernelINS0_14default_configENS1_25partition_config_selectorILNS1_17partition_subalgoE3EsNS0_10empty_typeEbEEZZNS1_14partition_implILS5_3ELb0ES3_jN6thrust23THRUST_200600_302600_NS6detail15normal_iteratorINSA_7pointerIsNSA_11hip_rocprim3tagENSA_11use_defaultESG_EEEEPS6_SJ_NS0_5tupleIJPsSJ_EEENSK_IJSJ_SJ_EEES6_PlJ7is_evenIsEEEE10hipError_tPvRmT3_T4_T5_T6_T7_T9_mT8_P12ihipStream_tbDpT10_ENKUlT_T0_E_clISt17integral_constantIbLb1EES1A_EEDaS15_S16_EUlS15_E_NS1_11comp_targetILNS1_3genE4ELNS1_11target_archE910ELNS1_3gpuE8ELNS1_3repE0EEENS1_30default_config_static_selectorELNS0_4arch9wavefront6targetE1EEEvT1_
	.p2align	8
	.type	_ZN7rocprim17ROCPRIM_400000_NS6detail17trampoline_kernelINS0_14default_configENS1_25partition_config_selectorILNS1_17partition_subalgoE3EsNS0_10empty_typeEbEEZZNS1_14partition_implILS5_3ELb0ES3_jN6thrust23THRUST_200600_302600_NS6detail15normal_iteratorINSA_7pointerIsNSA_11hip_rocprim3tagENSA_11use_defaultESG_EEEEPS6_SJ_NS0_5tupleIJPsSJ_EEENSK_IJSJ_SJ_EEES6_PlJ7is_evenIsEEEE10hipError_tPvRmT3_T4_T5_T6_T7_T9_mT8_P12ihipStream_tbDpT10_ENKUlT_T0_E_clISt17integral_constantIbLb1EES1A_EEDaS15_S16_EUlS15_E_NS1_11comp_targetILNS1_3genE4ELNS1_11target_archE910ELNS1_3gpuE8ELNS1_3repE0EEENS1_30default_config_static_selectorELNS0_4arch9wavefront6targetE1EEEvT1_,@function
_ZN7rocprim17ROCPRIM_400000_NS6detail17trampoline_kernelINS0_14default_configENS1_25partition_config_selectorILNS1_17partition_subalgoE3EsNS0_10empty_typeEbEEZZNS1_14partition_implILS5_3ELb0ES3_jN6thrust23THRUST_200600_302600_NS6detail15normal_iteratorINSA_7pointerIsNSA_11hip_rocprim3tagENSA_11use_defaultESG_EEEEPS6_SJ_NS0_5tupleIJPsSJ_EEENSK_IJSJ_SJ_EEES6_PlJ7is_evenIsEEEE10hipError_tPvRmT3_T4_T5_T6_T7_T9_mT8_P12ihipStream_tbDpT10_ENKUlT_T0_E_clISt17integral_constantIbLb1EES1A_EEDaS15_S16_EUlS15_E_NS1_11comp_targetILNS1_3genE4ELNS1_11target_archE910ELNS1_3gpuE8ELNS1_3repE0EEENS1_30default_config_static_selectorELNS0_4arch9wavefront6targetE1EEEvT1_: ; @_ZN7rocprim17ROCPRIM_400000_NS6detail17trampoline_kernelINS0_14default_configENS1_25partition_config_selectorILNS1_17partition_subalgoE3EsNS0_10empty_typeEbEEZZNS1_14partition_implILS5_3ELb0ES3_jN6thrust23THRUST_200600_302600_NS6detail15normal_iteratorINSA_7pointerIsNSA_11hip_rocprim3tagENSA_11use_defaultESG_EEEEPS6_SJ_NS0_5tupleIJPsSJ_EEENSK_IJSJ_SJ_EEES6_PlJ7is_evenIsEEEE10hipError_tPvRmT3_T4_T5_T6_T7_T9_mT8_P12ihipStream_tbDpT10_ENKUlT_T0_E_clISt17integral_constantIbLb1EES1A_EEDaS15_S16_EUlS15_E_NS1_11comp_targetILNS1_3genE4ELNS1_11target_archE910ELNS1_3gpuE8ELNS1_3repE0EEENS1_30default_config_static_selectorELNS0_4arch9wavefront6targetE1EEEvT1_
; %bb.0:
	s_load_dwordx2 s[28:29], s[4:5], 0x28
	s_load_dwordx4 s[20:23], s[4:5], 0x48
	s_load_dwordx2 s[30:31], s[4:5], 0x58
	s_load_dwordx2 s[34:35], s[4:5], 0x68
	v_cmp_eq_u32_e64 s[0:1], 0, v0
	s_and_saveexec_b64 s[2:3], s[0:1]
	s_cbranch_execz .LBB150_4
; %bb.1:
	s_mov_b64 s[8:9], exec
	v_mbcnt_lo_u32_b32 v1, s8, 0
	v_mbcnt_hi_u32_b32 v1, s9, v1
	v_cmp_eq_u32_e32 vcc, 0, v1
                                        ; implicit-def: $vgpr2
	s_and_saveexec_b64 s[6:7], vcc
	s_cbranch_execz .LBB150_3
; %bb.2:
	s_load_dwordx2 s[10:11], s[4:5], 0x78
	s_bcnt1_i32_b64 s8, s[8:9]
	v_mov_b32_e32 v2, 0
	v_mov_b32_e32 v3, s8
	s_waitcnt lgkmcnt(0)
	global_atomic_add v2, v2, v3, s[10:11] glc
.LBB150_3:
	s_or_b64 exec, exec, s[6:7]
	s_waitcnt vmcnt(0)
	v_readfirstlane_b32 s6, v2
	v_add_u32_e32 v1, s6, v1
	v_mov_b32_e32 v2, 0
	ds_write_b32 v2, v1
.LBB150_4:
	s_or_b64 exec, exec, s[2:3]
	v_mov_b32_e32 v13, 0
	s_load_dwordx4 s[24:27], s[4:5], 0x8
	s_load_dword s2, s[4:5], 0x70
	s_waitcnt lgkmcnt(0)
	s_barrier
	ds_read_b32 v1, v13
	s_waitcnt lgkmcnt(0)
	s_barrier
	global_load_dwordx2 v[14:15], v13, s[22:23]
	s_lshl_b64 s[4:5], s[26:27], 1
	s_add_u32 s6, s24, s4
	s_addc_u32 s7, s25, s5
	s_movk_i32 s3, 0x1400
	s_add_i32 s4, s2, -1
	s_mulk_i32 s2, 0x1400
	v_mul_lo_u32 v12, v1, s3
	s_add_i32 s3, s2, s26
	s_sub_i32 s33, s30, s3
	s_addk_i32 s33, 0x1400
	s_add_u32 s2, s26, s2
	v_readfirstlane_b32 s40, v1
	s_addc_u32 s3, s27, 0
	s_cmp_eq_u32 s40, s4
	v_pk_mov_b32 v[2:3], s[30:31], s[30:31] op_sel:[0,1]
	s_cselect_b64 s[22:23], -1, 0
	s_cmp_lg_u32 s40, s4
	v_cmp_lt_u64_e32 vcc, s[2:3], v[2:3]
	s_cselect_b64 s[2:3], -1, 0
	v_lshlrev_b64 v[2:3], 1, v[12:13]
	s_or_b64 s[4:5], vcc, s[2:3]
	v_mov_b32_e32 v1, s7
	v_add_co_u32_e32 v2, vcc, s6, v2
	v_addc_co_u32_e32 v3, vcc, v1, v3, vcc
	s_mov_b64 s[2:3], -1
	s_and_b64 vcc, exec, s[4:5]
	v_lshlrev_b32_e32 v1, 1, v0
	s_cbranch_vccz .LBB150_6
; %bb.5:
	v_add_co_u32_e32 v4, vcc, v2, v1
	v_addc_co_u32_e32 v5, vcc, 0, v3, vcc
	v_add_co_u32_e32 v6, vcc, 0x1000, v4
	v_addc_co_u32_e32 v7, vcc, 0, v5, vcc
	flat_load_ushort v8, v[4:5]
	flat_load_ushort v9, v[4:5] offset:512
	flat_load_ushort v10, v[4:5] offset:1024
	;; [unrolled: 1-line block ×7, first 2 shown]
	v_add_co_u32_e32 v4, vcc, 0x2000, v4
	v_addc_co_u32_e32 v5, vcc, 0, v5, vcc
	flat_load_ushort v19, v[6:7]
	flat_load_ushort v20, v[6:7] offset:512
	flat_load_ushort v21, v[6:7] offset:1024
	;; [unrolled: 1-line block ×7, first 2 shown]
	s_nop 0
	flat_load_ushort v6, v[4:5]
	flat_load_ushort v7, v[4:5] offset:512
	flat_load_ushort v27, v[4:5] offset:1024
	;; [unrolled: 1-line block ×3, first 2 shown]
	s_mov_b64 s[2:3], 0
	s_waitcnt vmcnt(0) lgkmcnt(0)
	ds_write_b16 v1, v8
	ds_write_b16 v1, v9 offset:512
	ds_write_b16 v1, v10 offset:1024
	;; [unrolled: 1-line block ×19, first 2 shown]
	s_waitcnt lgkmcnt(0)
	s_barrier
.LBB150_6:
	s_andn2_b64 vcc, exec, s[2:3]
	v_cmp_gt_u32_e64 s[2:3], s33, v0
	s_cbranch_vccnz .LBB150_48
; %bb.7:
                                        ; implicit-def: $vgpr4
	s_and_saveexec_b64 s[6:7], s[2:3]
	s_cbranch_execz .LBB150_9
; %bb.8:
	v_add_co_u32_e32 v4, vcc, v2, v1
	v_addc_co_u32_e32 v5, vcc, 0, v3, vcc
	flat_load_ushort v4, v[4:5]
.LBB150_9:
	s_or_b64 exec, exec, s[6:7]
	v_or_b32_e32 v5, 0x100, v0
	v_cmp_gt_u32_e32 vcc, s33, v5
                                        ; implicit-def: $vgpr5
	s_and_saveexec_b64 s[2:3], vcc
	s_cbranch_execz .LBB150_11
; %bb.10:
	v_add_co_u32_e32 v6, vcc, v2, v1
	v_addc_co_u32_e32 v7, vcc, 0, v3, vcc
	flat_load_ushort v5, v[6:7] offset:512
.LBB150_11:
	s_or_b64 exec, exec, s[2:3]
	v_or_b32_e32 v6, 0x200, v0
	v_cmp_gt_u32_e32 vcc, s33, v6
                                        ; implicit-def: $vgpr6
	s_and_saveexec_b64 s[2:3], vcc
	s_cbranch_execz .LBB150_13
; %bb.12:
	v_add_co_u32_e32 v6, vcc, v2, v1
	v_addc_co_u32_e32 v7, vcc, 0, v3, vcc
	flat_load_ushort v6, v[6:7] offset:1024
.LBB150_13:
	s_or_b64 exec, exec, s[2:3]
	v_or_b32_e32 v7, 0x300, v0
	v_cmp_gt_u32_e32 vcc, s33, v7
                                        ; implicit-def: $vgpr7
	s_and_saveexec_b64 s[2:3], vcc
	s_cbranch_execz .LBB150_15
; %bb.14:
	v_add_co_u32_e32 v8, vcc, v2, v1
	v_addc_co_u32_e32 v9, vcc, 0, v3, vcc
	flat_load_ushort v7, v[8:9] offset:1536
.LBB150_15:
	s_or_b64 exec, exec, s[2:3]
	v_or_b32_e32 v8, 0x400, v0
	v_cmp_gt_u32_e32 vcc, s33, v8
                                        ; implicit-def: $vgpr8
	s_and_saveexec_b64 s[2:3], vcc
	s_cbranch_execz .LBB150_17
; %bb.16:
	v_add_co_u32_e32 v8, vcc, v2, v1
	v_addc_co_u32_e32 v9, vcc, 0, v3, vcc
	flat_load_ushort v8, v[8:9] offset:2048
.LBB150_17:
	s_or_b64 exec, exec, s[2:3]
	v_or_b32_e32 v9, 0x500, v0
	v_cmp_gt_u32_e32 vcc, s33, v9
                                        ; implicit-def: $vgpr9
	s_and_saveexec_b64 s[2:3], vcc
	s_cbranch_execz .LBB150_19
; %bb.18:
	v_add_co_u32_e32 v10, vcc, v2, v1
	v_addc_co_u32_e32 v11, vcc, 0, v3, vcc
	flat_load_ushort v9, v[10:11] offset:2560
.LBB150_19:
	s_or_b64 exec, exec, s[2:3]
	v_or_b32_e32 v10, 0x600, v0
	v_cmp_gt_u32_e32 vcc, s33, v10
                                        ; implicit-def: $vgpr10
	s_and_saveexec_b64 s[2:3], vcc
	s_cbranch_execz .LBB150_21
; %bb.20:
	v_add_co_u32_e32 v10, vcc, v2, v1
	v_addc_co_u32_e32 v11, vcc, 0, v3, vcc
	flat_load_ushort v10, v[10:11] offset:3072
.LBB150_21:
	s_or_b64 exec, exec, s[2:3]
	v_or_b32_e32 v11, 0x700, v0
	v_cmp_gt_u32_e32 vcc, s33, v11
                                        ; implicit-def: $vgpr11
	s_and_saveexec_b64 s[2:3], vcc
	s_cbranch_execz .LBB150_23
; %bb.22:
	v_add_co_u32_e32 v16, vcc, v2, v1
	v_addc_co_u32_e32 v17, vcc, 0, v3, vcc
	flat_load_ushort v11, v[16:17] offset:3584
.LBB150_23:
	s_or_b64 exec, exec, s[2:3]
	v_or_b32_e32 v16, 0x800, v0
	v_cmp_gt_u32_e32 vcc, s33, v16
                                        ; implicit-def: $vgpr13
	s_and_saveexec_b64 s[2:3], vcc
	s_cbranch_execz .LBB150_25
; %bb.24:
	v_lshlrev_b32_e32 v13, 1, v16
	v_add_co_u32_e32 v16, vcc, v2, v13
	v_addc_co_u32_e32 v17, vcc, 0, v3, vcc
	flat_load_ushort v13, v[16:17]
.LBB150_25:
	s_or_b64 exec, exec, s[2:3]
	v_or_b32_e32 v17, 0x900, v0
	v_cmp_gt_u32_e32 vcc, s33, v17
                                        ; implicit-def: $vgpr16
	s_and_saveexec_b64 s[2:3], vcc
	s_cbranch_execz .LBB150_27
; %bb.26:
	v_lshlrev_b32_e32 v16, 1, v17
	v_add_co_u32_e32 v16, vcc, v2, v16
	v_addc_co_u32_e32 v17, vcc, 0, v3, vcc
	flat_load_ushort v16, v[16:17]
.LBB150_27:
	s_or_b64 exec, exec, s[2:3]
	v_or_b32_e32 v18, 0xa00, v0
	v_cmp_gt_u32_e32 vcc, s33, v18
                                        ; implicit-def: $vgpr17
	s_and_saveexec_b64 s[2:3], vcc
	s_cbranch_execz .LBB150_29
; %bb.28:
	v_lshlrev_b32_e32 v17, 1, v18
	v_add_co_u32_e32 v18, vcc, v2, v17
	v_addc_co_u32_e32 v19, vcc, 0, v3, vcc
	flat_load_ushort v17, v[18:19]
.LBB150_29:
	s_or_b64 exec, exec, s[2:3]
	v_or_b32_e32 v19, 0xb00, v0
	v_cmp_gt_u32_e32 vcc, s33, v19
                                        ; implicit-def: $vgpr18
	s_and_saveexec_b64 s[2:3], vcc
	s_cbranch_execz .LBB150_31
; %bb.30:
	v_lshlrev_b32_e32 v18, 1, v19
	v_add_co_u32_e32 v18, vcc, v2, v18
	v_addc_co_u32_e32 v19, vcc, 0, v3, vcc
	flat_load_ushort v18, v[18:19]
.LBB150_31:
	s_or_b64 exec, exec, s[2:3]
	v_or_b32_e32 v20, 0xc00, v0
	v_cmp_gt_u32_e32 vcc, s33, v20
                                        ; implicit-def: $vgpr19
	s_and_saveexec_b64 s[2:3], vcc
	s_cbranch_execz .LBB150_33
; %bb.32:
	v_lshlrev_b32_e32 v19, 1, v20
	v_add_co_u32_e32 v20, vcc, v2, v19
	v_addc_co_u32_e32 v21, vcc, 0, v3, vcc
	flat_load_ushort v19, v[20:21]
.LBB150_33:
	s_or_b64 exec, exec, s[2:3]
	v_or_b32_e32 v21, 0xd00, v0
	v_cmp_gt_u32_e32 vcc, s33, v21
                                        ; implicit-def: $vgpr20
	s_and_saveexec_b64 s[2:3], vcc
	s_cbranch_execz .LBB150_35
; %bb.34:
	v_lshlrev_b32_e32 v20, 1, v21
	v_add_co_u32_e32 v20, vcc, v2, v20
	v_addc_co_u32_e32 v21, vcc, 0, v3, vcc
	flat_load_ushort v20, v[20:21]
.LBB150_35:
	s_or_b64 exec, exec, s[2:3]
	v_or_b32_e32 v22, 0xe00, v0
	v_cmp_gt_u32_e32 vcc, s33, v22
                                        ; implicit-def: $vgpr21
	s_and_saveexec_b64 s[2:3], vcc
	s_cbranch_execz .LBB150_37
; %bb.36:
	v_lshlrev_b32_e32 v21, 1, v22
	v_add_co_u32_e32 v22, vcc, v2, v21
	v_addc_co_u32_e32 v23, vcc, 0, v3, vcc
	flat_load_ushort v21, v[22:23]
.LBB150_37:
	s_or_b64 exec, exec, s[2:3]
	v_or_b32_e32 v23, 0xf00, v0
	v_cmp_gt_u32_e32 vcc, s33, v23
                                        ; implicit-def: $vgpr22
	s_and_saveexec_b64 s[2:3], vcc
	s_cbranch_execz .LBB150_39
; %bb.38:
	v_lshlrev_b32_e32 v22, 1, v23
	v_add_co_u32_e32 v22, vcc, v2, v22
	v_addc_co_u32_e32 v23, vcc, 0, v3, vcc
	flat_load_ushort v22, v[22:23]
.LBB150_39:
	s_or_b64 exec, exec, s[2:3]
	v_or_b32_e32 v24, 0x1000, v0
	v_cmp_gt_u32_e32 vcc, s33, v24
                                        ; implicit-def: $vgpr23
	s_and_saveexec_b64 s[2:3], vcc
	s_cbranch_execz .LBB150_41
; %bb.40:
	v_lshlrev_b32_e32 v23, 1, v24
	v_add_co_u32_e32 v24, vcc, v2, v23
	v_addc_co_u32_e32 v25, vcc, 0, v3, vcc
	flat_load_ushort v23, v[24:25]
.LBB150_41:
	s_or_b64 exec, exec, s[2:3]
	v_or_b32_e32 v25, 0x1100, v0
	v_cmp_gt_u32_e32 vcc, s33, v25
                                        ; implicit-def: $vgpr24
	s_and_saveexec_b64 s[2:3], vcc
	s_cbranch_execz .LBB150_43
; %bb.42:
	v_lshlrev_b32_e32 v24, 1, v25
	v_add_co_u32_e32 v24, vcc, v2, v24
	v_addc_co_u32_e32 v25, vcc, 0, v3, vcc
	flat_load_ushort v24, v[24:25]
.LBB150_43:
	s_or_b64 exec, exec, s[2:3]
	v_or_b32_e32 v26, 0x1200, v0
	v_cmp_gt_u32_e32 vcc, s33, v26
                                        ; implicit-def: $vgpr25
	s_and_saveexec_b64 s[2:3], vcc
	s_cbranch_execz .LBB150_45
; %bb.44:
	v_lshlrev_b32_e32 v25, 1, v26
	v_add_co_u32_e32 v26, vcc, v2, v25
	v_addc_co_u32_e32 v27, vcc, 0, v3, vcc
	flat_load_ushort v25, v[26:27]
.LBB150_45:
	s_or_b64 exec, exec, s[2:3]
	v_or_b32_e32 v27, 0x1300, v0
	v_cmp_gt_u32_e32 vcc, s33, v27
                                        ; implicit-def: $vgpr26
	s_and_saveexec_b64 s[2:3], vcc
	s_cbranch_execz .LBB150_47
; %bb.46:
	v_lshlrev_b32_e32 v26, 1, v27
	v_add_co_u32_e32 v2, vcc, v2, v26
	v_addc_co_u32_e32 v3, vcc, 0, v3, vcc
	flat_load_ushort v26, v[2:3]
.LBB150_47:
	s_or_b64 exec, exec, s[2:3]
	s_waitcnt vmcnt(0) lgkmcnt(0)
	ds_write_b16 v1, v4
	ds_write_b16 v1, v5 offset:512
	ds_write_b16 v1, v6 offset:1024
	;; [unrolled: 1-line block ×19, first 2 shown]
	s_waitcnt lgkmcnt(0)
	s_barrier
.LBB150_48:
	v_mul_u32_u24_e32 v34, 20, v0
	v_lshlrev_b32_e32 v6, 1, v34
	ds_read_b64 v[16:17], v6 offset:32
	ds_read2_b64 v[2:5], v6 offset0:2 offset1:3
	ds_read2_b64 v[6:9], v6 offset1:1
	v_cndmask_b32_e64 v10, 0, 1, s[4:5]
	v_cmp_ne_u32_e64 s[2:3], 1, v10
	s_waitcnt lgkmcnt(2)
	v_lshrrev_b32_e32 v26, 16, v16
	v_lshrrev_b32_e32 v13, 16, v17
	s_waitcnt lgkmcnt(1)
	v_lshrrev_b32_e32 v30, 16, v2
	v_lshrrev_b32_e32 v29, 16, v3
	;; [unrolled: 1-line block ×4, first 2 shown]
	s_waitcnt lgkmcnt(0)
	v_lshrrev_b32_e32 v35, 16, v6
	v_lshrrev_b32_e32 v33, 16, v7
	;; [unrolled: 1-line block ×4, first 2 shown]
	s_andn2_b64 vcc, exec, s[4:5]
	v_xor_b32_e32 v65, -1, v6
	v_xor_b32_e32 v64, -1, v35
	;; [unrolled: 1-line block ×20, first 2 shown]
	s_barrier
	s_cbranch_vccnz .LBB150_50
; %bb.49:
	v_and_b32_e32 v55, 1, v65
	v_and_b32_e32 v54, 1, v64
	;; [unrolled: 1-line block ×20, first 2 shown]
	s_cbranch_execz .LBB150_51
	s_branch .LBB150_52
.LBB150_50:
                                        ; implicit-def: $vgpr55
                                        ; implicit-def: $vgpr54
                                        ; implicit-def: $vgpr53
                                        ; implicit-def: $vgpr52
                                        ; implicit-def: $vgpr51
                                        ; implicit-def: $vgpr50
                                        ; implicit-def: $vgpr49
                                        ; implicit-def: $vgpr48
                                        ; implicit-def: $vgpr47
                                        ; implicit-def: $vgpr46
                                        ; implicit-def: $vgpr45
                                        ; implicit-def: $vgpr44
                                        ; implicit-def: $vgpr43
                                        ; implicit-def: $vgpr42
                                        ; implicit-def: $vgpr41
                                        ; implicit-def: $vgpr40
                                        ; implicit-def: $vgpr39
                                        ; implicit-def: $vgpr38
                                        ; implicit-def: $vgpr36
                                        ; implicit-def: $vgpr37
.LBB150_51:
	v_or_b32_e32 v45, 1, v34
	v_cmp_gt_u32_e32 vcc, s33, v34
	v_or_b32_e32 v46, 2, v34
	v_cndmask_b32_e64 v50, 0, 1, vcc
	v_cmp_gt_u32_e32 vcc, s33, v45
	v_or_b32_e32 v47, 3, v34
	v_cndmask_b32_e64 v45, 0, 1, vcc
	v_cmp_gt_u32_e32 vcc, s33, v46
	v_add_u32_e32 v48, 4, v34
	v_and_b32_e32 v54, v45, v64
	v_cndmask_b32_e64 v45, 0, 1, vcc
	v_cmp_gt_u32_e32 vcc, s33, v47
	v_add_u32_e32 v49, 5, v34
	v_and_b32_e32 v53, v45, v63
	;; [unrolled: 4-line block ×5, first 2 shown]
	v_and_b32_e32 v50, v45, v60
	v_cndmask_b32_e64 v45, 0, 1, vcc
	v_cmp_gt_u32_e32 vcc, s33, v67
	v_add_u32_e32 v69, 9, v34
	v_and_b32_e32 v49, v45, v59
	v_cndmask_b32_e64 v45, 0, 1, vcc
	v_cmp_gt_u32_e32 vcc, s33, v68
	v_add_u32_e32 v70, 10, v34
	;; [unrolled: 4-line block ×11, first 2 shown]
	v_and_b32_e32 v39, v20, v19
	v_cndmask_b32_e64 v19, 0, 1, vcc
	v_cmp_gt_u32_e32 vcc, s33, v36
	v_and_b32_e32 v38, v19, v18
	v_cndmask_b32_e64 v18, 0, 1, vcc
	v_cmp_gt_u32_e32 vcc, s33, v37
	v_and_b32_e32 v36, v18, v11
	v_cndmask_b32_e64 v11, 0, 1, vcc
	v_and_b32_e32 v37, v11, v10
.LBB150_52:
	v_and_b32_e32 v72, 0xff, v39
	v_and_b32_e32 v73, 0xff, v38
	v_add_u32_sdwa v10, v36, v37 dst_sel:DWORD dst_unused:UNUSED_PAD src0_sel:BYTE_0 src1_sel:BYTE_0
	v_and_b32_e32 v70, 0xff, v41
	v_and_b32_e32 v71, 0xff, v40
	v_add3_u32 v10, v10, v73, v72
	v_and_b32_e32 v68, 0xff, v43
	v_and_b32_e32 v69, 0xff, v42
	v_add3_u32 v10, v10, v71, v70
	;; [unrolled: 3-line block ×8, first 2 shown]
	v_add3_u32 v76, v10, v57, v56
	v_mbcnt_lo_u32_b32 v10, -1, 0
	v_mbcnt_hi_u32_b32 v74, -1, v10
	v_and_b32_e32 v10, 15, v74
	v_cmp_eq_u32_e64 s[16:17], 0, v10
	v_cmp_lt_u32_e64 s[14:15], 1, v10
	v_cmp_lt_u32_e64 s[12:13], 3, v10
	;; [unrolled: 1-line block ×3, first 2 shown]
	v_and_b32_e32 v10, 16, v74
	v_cmp_eq_u32_e64 s[8:9], 0, v10
	v_or_b32_e32 v10, 63, v0
	s_cmp_lg_u32 s40, 0
	v_cmp_lt_u32_e64 s[4:5], 31, v74
	v_lshrrev_b32_e32 v75, 6, v0
	v_cmp_eq_u32_e64 s[6:7], v10, v0
	s_cbranch_scc0 .LBB150_83
; %bb.53:
	v_mov_b32_dpp v10, v76 row_shr:1 row_mask:0xf bank_mask:0xf
	v_cndmask_b32_e64 v10, v10, 0, s[16:17]
	v_add_u32_e32 v10, v10, v76
	s_nop 1
	v_mov_b32_dpp v11, v10 row_shr:2 row_mask:0xf bank_mask:0xf
	v_cndmask_b32_e64 v11, 0, v11, s[14:15]
	v_add_u32_e32 v10, v10, v11
	s_nop 1
	;; [unrolled: 4-line block ×4, first 2 shown]
	v_mov_b32_dpp v11, v10 row_bcast:15 row_mask:0xf bank_mask:0xf
	v_cndmask_b32_e64 v11, v11, 0, s[8:9]
	v_add_u32_e32 v10, v10, v11
	s_nop 1
	v_mov_b32_dpp v11, v10 row_bcast:31 row_mask:0xf bank_mask:0xf
	v_cndmask_b32_e64 v11, 0, v11, s[4:5]
	v_add_u32_e32 v10, v10, v11
	s_and_saveexec_b64 s[18:19], s[6:7]
	s_cbranch_execz .LBB150_55
; %bb.54:
	v_lshlrev_b32_e32 v11, 2, v75
	ds_write_b32 v11, v10
.LBB150_55:
	s_or_b64 exec, exec, s[18:19]
	v_cmp_gt_u32_e32 vcc, 4, v0
	s_waitcnt lgkmcnt(0)
	s_barrier
	s_and_saveexec_b64 s[18:19], vcc
	s_cbranch_execz .LBB150_57
; %bb.56:
	v_lshlrev_b32_e32 v11, 2, v0
	ds_read_b32 v18, v11
	v_and_b32_e32 v19, 3, v74
	v_cmp_ne_u32_e32 vcc, 0, v19
	s_waitcnt lgkmcnt(0)
	v_mov_b32_dpp v20, v18 row_shr:1 row_mask:0xf bank_mask:0xf
	v_cndmask_b32_e32 v20, 0, v20, vcc
	v_add_u32_e32 v18, v20, v18
	v_cmp_lt_u32_e32 vcc, 1, v19
	s_nop 0
	v_mov_b32_dpp v20, v18 row_shr:2 row_mask:0xf bank_mask:0xf
	v_cndmask_b32_e32 v19, 0, v20, vcc
	v_add_u32_e32 v18, v18, v19
	ds_write_b32 v11, v18
.LBB150_57:
	s_or_b64 exec, exec, s[18:19]
	v_cmp_gt_u32_e32 vcc, 64, v0
	v_cmp_lt_u32_e64 s[18:19], 63, v0
	s_waitcnt lgkmcnt(0)
	s_barrier
	s_waitcnt lgkmcnt(0)
                                        ; implicit-def: $vgpr77
	s_and_saveexec_b64 s[24:25], s[18:19]
	s_cbranch_execz .LBB150_59
; %bb.58:
	v_lshl_add_u32 v11, v75, 2, -4
	ds_read_b32 v77, v11
	s_waitcnt lgkmcnt(0)
	v_add_u32_e32 v10, v77, v10
.LBB150_59:
	s_or_b64 exec, exec, s[24:25]
	v_add_u32_e32 v11, -1, v74
	v_and_b32_e32 v18, 64, v74
	v_cmp_lt_i32_e64 s[18:19], v11, v18
	v_cndmask_b32_e64 v11, v11, v74, s[18:19]
	v_lshlrev_b32_e32 v11, 2, v11
	ds_bpermute_b32 v78, v11, v10
	v_cmp_eq_u32_e64 s[18:19], 0, v74
	s_and_saveexec_b64 s[24:25], vcc
	s_cbranch_execz .LBB150_82
; %bb.60:
	v_mov_b32_e32 v25, 0
	ds_read_b32 v10, v25 offset:12
	s_and_saveexec_b64 s[36:37], s[18:19]
	s_cbranch_execz .LBB150_62
; %bb.61:
	s_add_i32 s38, s40, 64
	s_mov_b32 s39, 0
	s_lshl_b64 s[38:39], s[38:39], 3
	s_add_u32 s38, s34, s38
	v_mov_b32_e32 v11, 1
	s_addc_u32 s39, s35, s39
	s_waitcnt lgkmcnt(0)
	global_store_dwordx2 v25, v[10:11], s[38:39]
.LBB150_62:
	s_or_b64 exec, exec, s[36:37]
	v_xad_u32 v18, v74, -1, s40
	v_add_u32_e32 v24, 64, v18
	v_lshlrev_b64 v[20:21], 3, v[24:25]
	v_mov_b32_e32 v11, s35
	v_add_co_u32_e32 v20, vcc, s34, v20
	v_addc_co_u32_e32 v21, vcc, v11, v21, vcc
	global_load_dwordx2 v[22:23], v[20:21], off glc
	s_waitcnt vmcnt(0)
	v_cmp_eq_u16_sdwa s[38:39], v23, v25 src0_sel:BYTE_0 src1_sel:DWORD
	s_and_saveexec_b64 s[36:37], s[38:39]
	s_cbranch_execz .LBB150_68
; %bb.63:
	s_mov_b32 s41, 1
	s_mov_b64 s[38:39], 0
	v_mov_b32_e32 v11, 0
.LBB150_64:                             ; =>This Loop Header: Depth=1
                                        ;     Child Loop BB150_65 Depth 2
	s_max_u32 s42, s41, 1
.LBB150_65:                             ;   Parent Loop BB150_64 Depth=1
                                        ; =>  This Inner Loop Header: Depth=2
	s_add_i32 s42, s42, -1
	s_cmp_eq_u32 s42, 0
	s_sleep 1
	s_cbranch_scc0 .LBB150_65
; %bb.66:                               ;   in Loop: Header=BB150_64 Depth=1
	global_load_dwordx2 v[22:23], v[20:21], off glc
	s_cmp_lt_u32 s41, 32
	s_cselect_b64 s[42:43], -1, 0
	s_cmp_lg_u64 s[42:43], 0
	s_addc_u32 s41, s41, 0
	s_waitcnt vmcnt(0)
	v_cmp_ne_u16_sdwa s[42:43], v23, v11 src0_sel:BYTE_0 src1_sel:DWORD
	s_or_b64 s[38:39], s[42:43], s[38:39]
	s_andn2_b64 exec, exec, s[38:39]
	s_cbranch_execnz .LBB150_64
; %bb.67:
	s_or_b64 exec, exec, s[38:39]
.LBB150_68:
	s_or_b64 exec, exec, s[36:37]
	v_and_b32_e32 v80, 63, v74
	v_mov_b32_e32 v79, 2
	v_cmp_ne_u32_e32 vcc, 63, v80
	v_cmp_eq_u16_sdwa s[36:37], v23, v79 src0_sel:BYTE_0 src1_sel:DWORD
	v_lshlrev_b64 v[20:21], v74, -1
	v_addc_co_u32_e32 v24, vcc, 0, v74, vcc
	v_and_b32_e32 v11, s37, v21
	v_lshlrev_b32_e32 v81, 2, v24
	v_or_b32_e32 v11, 0x80000000, v11
	ds_bpermute_b32 v24, v81, v22
	v_and_b32_e32 v19, s36, v20
	v_ffbl_b32_e32 v11, v11
	v_add_u32_e32 v11, 32, v11
	v_ffbl_b32_e32 v19, v19
	v_min_u32_e32 v11, v19, v11
	v_cmp_lt_u32_e32 vcc, v80, v11
	s_waitcnt lgkmcnt(0)
	v_cndmask_b32_e32 v19, 0, v24, vcc
	v_cmp_gt_u32_e32 vcc, 62, v80
	v_add_u32_e32 v19, v19, v22
	v_cndmask_b32_e64 v22, 0, 1, vcc
	v_lshlrev_b32_e32 v22, 1, v22
	v_add_lshl_u32 v82, v22, v74, 2
	ds_bpermute_b32 v22, v82, v19
	v_add_u32_e32 v83, 2, v80
	v_cmp_le_u32_e32 vcc, v83, v11
	v_add_u32_e32 v85, 4, v80
	v_add_u32_e32 v87, 8, v80
	s_waitcnt lgkmcnt(0)
	v_cndmask_b32_e32 v22, 0, v22, vcc
	v_cmp_gt_u32_e32 vcc, 60, v80
	v_add_u32_e32 v19, v19, v22
	v_cndmask_b32_e64 v22, 0, 1, vcc
	v_lshlrev_b32_e32 v22, 2, v22
	v_add_lshl_u32 v84, v22, v74, 2
	ds_bpermute_b32 v22, v84, v19
	v_cmp_le_u32_e32 vcc, v85, v11
	v_add_u32_e32 v89, 16, v80
	v_add_u32_e32 v91, 32, v80
	s_waitcnt lgkmcnt(0)
	v_cndmask_b32_e32 v22, 0, v22, vcc
	v_cmp_gt_u32_e32 vcc, 56, v80
	v_add_u32_e32 v19, v19, v22
	v_cndmask_b32_e64 v22, 0, 1, vcc
	v_lshlrev_b32_e32 v22, 3, v22
	v_add_lshl_u32 v86, v22, v74, 2
	ds_bpermute_b32 v22, v86, v19
	v_cmp_le_u32_e32 vcc, v87, v11
	s_waitcnt lgkmcnt(0)
	v_cndmask_b32_e32 v22, 0, v22, vcc
	v_cmp_gt_u32_e32 vcc, 48, v80
	v_add_u32_e32 v19, v19, v22
	v_cndmask_b32_e64 v22, 0, 1, vcc
	v_lshlrev_b32_e32 v22, 4, v22
	v_add_lshl_u32 v88, v22, v74, 2
	ds_bpermute_b32 v22, v88, v19
	v_cmp_le_u32_e32 vcc, v89, v11
	;; [unrolled: 9-line block ×3, first 2 shown]
	s_waitcnt lgkmcnt(0)
	v_cndmask_b32_e32 v11, 0, v22, vcc
	v_add_u32_e32 v22, v19, v11
	v_mov_b32_e32 v19, 0
	s_branch .LBB150_70
.LBB150_69:                             ;   in Loop: Header=BB150_70 Depth=1
	s_or_b64 exec, exec, s[36:37]
	v_cmp_eq_u16_sdwa s[36:37], v23, v79 src0_sel:BYTE_0 src1_sel:DWORD
	v_and_b32_e32 v24, s37, v21
	v_or_b32_e32 v24, 0x80000000, v24
	ds_bpermute_b32 v92, v81, v22
	v_and_b32_e32 v25, s36, v20
	v_ffbl_b32_e32 v24, v24
	v_add_u32_e32 v24, 32, v24
	v_ffbl_b32_e32 v25, v25
	v_min_u32_e32 v24, v25, v24
	v_cmp_lt_u32_e32 vcc, v80, v24
	s_waitcnt lgkmcnt(0)
	v_cndmask_b32_e32 v25, 0, v92, vcc
	v_add_u32_e32 v22, v25, v22
	ds_bpermute_b32 v25, v82, v22
	v_cmp_le_u32_e32 vcc, v83, v24
	v_subrev_u32_e32 v18, 64, v18
	s_waitcnt lgkmcnt(0)
	v_cndmask_b32_e32 v25, 0, v25, vcc
	v_add_u32_e32 v22, v22, v25
	ds_bpermute_b32 v25, v84, v22
	v_cmp_le_u32_e32 vcc, v85, v24
	s_waitcnt lgkmcnt(0)
	v_cndmask_b32_e32 v25, 0, v25, vcc
	v_add_u32_e32 v22, v22, v25
	ds_bpermute_b32 v25, v86, v22
	v_cmp_le_u32_e32 vcc, v87, v24
	;; [unrolled: 5-line block ×4, first 2 shown]
	s_waitcnt lgkmcnt(0)
	v_cndmask_b32_e32 v24, 0, v25, vcc
	v_add3_u32 v22, v24, v11, v22
.LBB150_70:                             ; =>This Loop Header: Depth=1
                                        ;     Child Loop BB150_73 Depth 2
                                        ;       Child Loop BB150_74 Depth 3
	v_cmp_ne_u16_sdwa s[36:37], v23, v79 src0_sel:BYTE_0 src1_sel:DWORD
	v_cndmask_b32_e64 v11, 0, 1, s[36:37]
	;;#ASMSTART
	;;#ASMEND
	v_cmp_ne_u32_e32 vcc, 0, v11
	s_cmp_lg_u64 vcc, exec
	v_mov_b32_e32 v11, v22
	s_cbranch_scc1 .LBB150_77
; %bb.71:                               ;   in Loop: Header=BB150_70 Depth=1
	v_lshlrev_b64 v[22:23], 3, v[18:19]
	v_mov_b32_e32 v25, s35
	v_add_co_u32_e32 v24, vcc, s34, v22
	v_addc_co_u32_e32 v25, vcc, v25, v23, vcc
	global_load_dwordx2 v[22:23], v[24:25], off glc
	s_waitcnt vmcnt(0)
	v_cmp_eq_u16_sdwa s[38:39], v23, v19 src0_sel:BYTE_0 src1_sel:DWORD
	s_and_saveexec_b64 s[36:37], s[38:39]
	s_cbranch_execz .LBB150_69
; %bb.72:                               ;   in Loop: Header=BB150_70 Depth=1
	s_mov_b32 s41, 1
	s_mov_b64 s[38:39], 0
.LBB150_73:                             ;   Parent Loop BB150_70 Depth=1
                                        ; =>  This Loop Header: Depth=2
                                        ;       Child Loop BB150_74 Depth 3
	s_max_u32 s42, s41, 1
.LBB150_74:                             ;   Parent Loop BB150_70 Depth=1
                                        ;     Parent Loop BB150_73 Depth=2
                                        ; =>    This Inner Loop Header: Depth=3
	s_add_i32 s42, s42, -1
	s_cmp_eq_u32 s42, 0
	s_sleep 1
	s_cbranch_scc0 .LBB150_74
; %bb.75:                               ;   in Loop: Header=BB150_73 Depth=2
	global_load_dwordx2 v[22:23], v[24:25], off glc
	s_cmp_lt_u32 s41, 32
	s_cselect_b64 s[42:43], -1, 0
	s_cmp_lg_u64 s[42:43], 0
	s_addc_u32 s41, s41, 0
	s_waitcnt vmcnt(0)
	v_cmp_ne_u16_sdwa s[42:43], v23, v19 src0_sel:BYTE_0 src1_sel:DWORD
	s_or_b64 s[38:39], s[42:43], s[38:39]
	s_andn2_b64 exec, exec, s[38:39]
	s_cbranch_execnz .LBB150_73
; %bb.76:                               ;   in Loop: Header=BB150_70 Depth=1
	s_or_b64 exec, exec, s[38:39]
	s_branch .LBB150_69
.LBB150_77:                             ;   in Loop: Header=BB150_70 Depth=1
                                        ; implicit-def: $vgpr22
                                        ; implicit-def: $vgpr23
	s_cbranch_execz .LBB150_70
; %bb.78:
	s_and_saveexec_b64 s[36:37], s[18:19]
	s_cbranch_execz .LBB150_80
; %bb.79:
	s_add_i32 s38, s40, 64
	s_mov_b32 s39, 0
	s_lshl_b64 s[38:39], s[38:39], 3
	s_add_u32 s38, s34, s38
	v_add_u32_e32 v18, v11, v10
	v_mov_b32_e32 v19, 2
	s_addc_u32 s39, s35, s39
	v_mov_b32_e32 v20, 0
	global_store_dwordx2 v20, v[18:19], s[38:39]
	ds_write_b64 v20, v[10:11] offset:10240
.LBB150_80:
	s_or_b64 exec, exec, s[36:37]
	s_and_b64 exec, exec, s[0:1]
	s_cbranch_execz .LBB150_82
; %bb.81:
	v_mov_b32_e32 v10, 0
	ds_write_b32 v10, v11 offset:12
.LBB150_82:
	s_or_b64 exec, exec, s[24:25]
	v_mov_b32_e32 v10, 0
	s_waitcnt lgkmcnt(0)
	s_barrier
	ds_read_b32 v18, v10 offset:12
	s_waitcnt lgkmcnt(0)
	s_barrier
	ds_read_b64 v[10:11], v10 offset:10240
	v_cndmask_b32_e64 v19, v78, v77, s[18:19]
	v_cndmask_b32_e64 v19, v19, 0, s[0:1]
	v_add_u32_e32 v18, v18, v19
	s_branch .LBB150_93
.LBB150_83:
                                        ; implicit-def: $vgpr11
                                        ; implicit-def: $vgpr18
	s_cbranch_execz .LBB150_93
; %bb.84:
	s_waitcnt lgkmcnt(0)
	v_mov_b32_dpp v10, v76 row_shr:1 row_mask:0xf bank_mask:0xf
	v_cndmask_b32_e64 v10, v10, 0, s[16:17]
	v_add_u32_e32 v10, v10, v76
	s_nop 1
	v_mov_b32_dpp v11, v10 row_shr:2 row_mask:0xf bank_mask:0xf
	v_cndmask_b32_e64 v11, 0, v11, s[14:15]
	v_add_u32_e32 v10, v10, v11
	s_nop 1
	;; [unrolled: 4-line block ×4, first 2 shown]
	v_mov_b32_dpp v11, v10 row_bcast:15 row_mask:0xf bank_mask:0xf
	v_cndmask_b32_e64 v11, v11, 0, s[8:9]
	v_add_u32_e32 v10, v10, v11
	s_nop 1
	v_mov_b32_dpp v11, v10 row_bcast:31 row_mask:0xf bank_mask:0xf
	v_cndmask_b32_e64 v11, 0, v11, s[4:5]
	v_add_u32_e32 v10, v10, v11
	s_and_saveexec_b64 s[4:5], s[6:7]
	s_cbranch_execz .LBB150_86
; %bb.85:
	v_lshlrev_b32_e32 v11, 2, v75
	ds_write_b32 v11, v10
.LBB150_86:
	s_or_b64 exec, exec, s[4:5]
	v_cmp_gt_u32_e32 vcc, 4, v0
	s_waitcnt lgkmcnt(0)
	s_barrier
	s_and_saveexec_b64 s[4:5], vcc
	s_cbranch_execz .LBB150_88
; %bb.87:
	v_lshlrev_b32_e32 v11, 2, v0
	ds_read_b32 v18, v11
	v_and_b32_e32 v19, 3, v74
	v_cmp_ne_u32_e32 vcc, 0, v19
	s_waitcnt lgkmcnt(0)
	v_mov_b32_dpp v20, v18 row_shr:1 row_mask:0xf bank_mask:0xf
	v_cndmask_b32_e32 v20, 0, v20, vcc
	v_add_u32_e32 v18, v20, v18
	v_cmp_lt_u32_e32 vcc, 1, v19
	s_nop 0
	v_mov_b32_dpp v20, v18 row_shr:2 row_mask:0xf bank_mask:0xf
	v_cndmask_b32_e32 v19, 0, v20, vcc
	v_add_u32_e32 v18, v18, v19
	ds_write_b32 v11, v18
.LBB150_88:
	s_or_b64 exec, exec, s[4:5]
	v_cmp_lt_u32_e32 vcc, 63, v0
	v_mov_b32_e32 v11, 0
	v_mov_b32_e32 v18, 0
	s_waitcnt lgkmcnt(0)
	s_barrier
	s_and_saveexec_b64 s[4:5], vcc
	s_cbranch_execz .LBB150_90
; %bb.89:
	v_lshl_add_u32 v18, v75, 2, -4
	ds_read_b32 v18, v18
.LBB150_90:
	s_or_b64 exec, exec, s[4:5]
	v_add_u32_e32 v19, -1, v74
	v_and_b32_e32 v20, 64, v74
	v_cmp_lt_i32_e32 vcc, v19, v20
	v_cndmask_b32_e32 v19, v19, v74, vcc
	s_waitcnt lgkmcnt(0)
	v_add_u32_e32 v10, v18, v10
	v_lshlrev_b32_e32 v19, 2, v19
	ds_bpermute_b32 v19, v19, v10
	ds_read_b32 v10, v11 offset:12
	s_and_saveexec_b64 s[4:5], s[0:1]
	s_cbranch_execz .LBB150_92
; %bb.91:
	v_mov_b32_e32 v20, 0
	v_mov_b32_e32 v11, 2
	s_waitcnt lgkmcnt(0)
	global_store_dwordx2 v20, v[10:11], s[34:35] offset:512
.LBB150_92:
	s_or_b64 exec, exec, s[4:5]
	v_cmp_eq_u32_e32 vcc, 0, v74
	s_waitcnt lgkmcnt(1)
	v_cndmask_b32_e32 v18, v19, v18, vcc
	v_mov_b32_e32 v11, 0
	v_cndmask_b32_e64 v18, v18, 0, s[0:1]
	s_waitcnt lgkmcnt(0)
	s_barrier
.LBB150_93:
	v_add_u32_e32 v19, v18, v56
	v_add_u32_e32 v20, v19, v57
	;; [unrolled: 1-line block ×11, first 2 shown]
	s_waitcnt lgkmcnt(0)
	v_add_u32_e32 v34, v10, v34
	v_sub_u32_e32 v18, v18, v11
	v_and_b32_e32 v55, 1, v55
	v_add_u32_e32 v60, v59, v67
	v_sub_u32_e32 v67, v34, v18
	v_cmp_eq_u32_e32 vcc, 1, v55
	v_cndmask_b32_e32 v18, v67, v18, vcc
	v_lshlrev_b32_e32 v18, 1, v18
	ds_write_b16 v18, v6
	v_sub_u32_e32 v6, v19, v11
	v_sub_u32_e32 v18, v34, v6
	v_and_b32_e32 v19, 1, v54
	v_add_u32_e32 v18, 1, v18
	v_cmp_eq_u32_e32 vcc, 1, v19
	v_cndmask_b32_e32 v6, v18, v6, vcc
	v_lshlrev_b32_e32 v6, 1, v6
	ds_write_b16 v6, v35
	v_sub_u32_e32 v6, v20, v11
	v_sub_u32_e32 v18, v34, v6
	v_and_b32_e32 v19, 1, v53
	v_add_u32_e32 v18, 2, v18
	;; [unrolled: 8-line block ×12, first 2 shown]
	v_cmp_eq_u32_e32 vcc, 1, v6
	v_cndmask_b32_e32 v2, v3, v2, vcc
	v_add_u32_e32 v61, v60, v68
	v_lshlrev_b32_e32 v2, 1, v2
	ds_write_b16 v2, v4
	v_sub_u32_e32 v2, v61, v11
	v_sub_u32_e32 v3, v34, v2
	v_and_b32_e32 v4, 1, v42
	v_add_u32_e32 v3, 13, v3
	v_cmp_eq_u32_e32 vcc, 1, v4
	v_cndmask_b32_e32 v2, v3, v2, vcc
	v_add_u32_e32 v62, v61, v69
	v_lshlrev_b32_e32 v2, 1, v2
	ds_write_b16 v2, v28
	v_sub_u32_e32 v2, v62, v11
	v_sub_u32_e32 v3, v34, v2
	v_and_b32_e32 v4, 1, v41
	v_add_u32_e32 v3, 14, v3
	;; [unrolled: 9-line block ×6, first 2 shown]
	v_cmp_eq_u32_e32 vcc, 1, v4
	v_cndmask_b32_e32 v2, v3, v2, vcc
	v_lshlrev_b32_e32 v2, 1, v2
	ds_write_b16 v2, v17
	v_sub_u32_sdwa v2, v36, v11 dst_sel:DWORD dst_unused:UNUSED_PAD src0_sel:BYTE_0 src1_sel:DWORD
	v_add_u32_e32 v2, v66, v2
	v_sub_u32_e32 v3, v34, v2
	v_and_b32_e32 v4, 1, v37
	v_add_u32_e32 v3, 19, v3
	v_cmp_eq_u32_e32 vcc, 1, v4
	v_cndmask_b32_e32 v2, v3, v2, vcc
	v_lshlrev_b32_e32 v2, 1, v2
	ds_write_b16 v2, v13
	s_waitcnt lgkmcnt(0)
	s_barrier
	ds_read_u16 v50, v1
	ds_read_u16 v48, v1 offset:512
	ds_read_u16 v46, v1 offset:1024
	;; [unrolled: 1-line block ×19, first 2 shown]
	s_waitcnt vmcnt(0)
	v_add_co_u32_e32 v1, vcc, v14, v11
	v_addc_co_u32_e32 v4, vcc, 0, v15, vcc
	v_mov_b32_e32 v2, s27
	v_add_co_u32_e32 v3, vcc, s26, v12
	v_addc_co_u32_e32 v2, vcc, 0, v2, vcc
	v_mov_b32_e32 v7, s31
	v_sub_co_u32_e32 v3, vcc, s30, v3
	v_subb_co_u32_e32 v2, vcc, v7, v2, vcc
	v_add_co_u32_e32 v3, vcc, v3, v10
	v_addc_co_u32_e32 v2, vcc, 0, v2, vcc
	s_and_b64 vcc, exec, s[2:3]
	v_add_co_u32_e64 v7, s[2:3], v3, v1
	v_or_b32_e32 v49, 0x100, v0
	v_or_b32_e32 v47, 0x200, v0
	;; [unrolled: 1-line block ×19, first 2 shown]
	v_addc_co_u32_e64 v8, s[2:3], v2, v4, s[2:3]
	s_cbranch_vccnz .LBB150_178
; %bb.94:
	v_cmp_ge_u32_e32 vcc, v0, v10
                                        ; implicit-def: $vgpr2_vgpr3
	s_and_saveexec_b64 s[2:3], vcc
	s_xor_b64 s[2:3], exec, s[2:3]
; %bb.95:
	v_not_b32_e32 v2, v0
	v_ashrrev_i32_e32 v3, 31, v2
	v_add_co_u32_e32 v2, vcc, v7, v2
	v_addc_co_u32_e32 v3, vcc, v8, v3, vcc
; %bb.96:
	s_andn2_saveexec_b64 s[2:3], s[2:3]
; %bb.97:
	v_add_co_u32_e32 v2, vcc, v1, v0
	v_addc_co_u32_e32 v3, vcc, 0, v4, vcc
; %bb.98:
	s_or_b64 exec, exec, s[2:3]
	v_lshlrev_b64 v[2:3], 1, v[2:3]
	v_mov_b32_e32 v11, s29
	v_add_co_u32_e32 v2, vcc, s28, v2
	v_addc_co_u32_e32 v3, vcc, v11, v3, vcc
	v_cmp_ge_u32_e32 vcc, v49, v10
	s_waitcnt lgkmcnt(14)
	global_store_short v[2:3], v50, off
                                        ; implicit-def: $vgpr2_vgpr3
	s_and_saveexec_b64 s[2:3], vcc
	s_xor_b64 s[2:3], exec, s[2:3]
; %bb.99:
	v_xor_b32_e32 v2, 0xfffffeff, v0
	v_ashrrev_i32_e32 v3, 31, v2
	v_add_co_u32_e32 v2, vcc, v7, v2
	v_addc_co_u32_e32 v3, vcc, v8, v3, vcc
; %bb.100:
	s_andn2_saveexec_b64 s[2:3], s[2:3]
; %bb.101:
	v_add_co_u32_e32 v2, vcc, v1, v49
	v_addc_co_u32_e32 v3, vcc, 0, v4, vcc
; %bb.102:
	s_or_b64 exec, exec, s[2:3]
	v_lshlrev_b64 v[2:3], 1, v[2:3]
	v_mov_b32_e32 v11, s29
	v_add_co_u32_e32 v2, vcc, s28, v2
	v_addc_co_u32_e32 v3, vcc, v11, v3, vcc
	v_cmp_ge_u32_e32 vcc, v47, v10
	global_store_short v[2:3], v48, off
                                        ; implicit-def: $vgpr2_vgpr3
	s_and_saveexec_b64 s[2:3], vcc
	s_xor_b64 s[2:3], exec, s[2:3]
; %bb.103:
	v_xor_b32_e32 v2, 0xfffffdff, v0
	v_ashrrev_i32_e32 v3, 31, v2
	v_add_co_u32_e32 v2, vcc, v7, v2
	v_addc_co_u32_e32 v3, vcc, v8, v3, vcc
; %bb.104:
	s_andn2_saveexec_b64 s[2:3], s[2:3]
; %bb.105:
	v_add_co_u32_e32 v2, vcc, v1, v47
	v_addc_co_u32_e32 v3, vcc, 0, v4, vcc
; %bb.106:
	s_or_b64 exec, exec, s[2:3]
	v_lshlrev_b64 v[2:3], 1, v[2:3]
	v_mov_b32_e32 v11, s29
	v_add_co_u32_e32 v2, vcc, s28, v2
	v_addc_co_u32_e32 v3, vcc, v11, v3, vcc
	v_cmp_ge_u32_e32 vcc, v45, v10
	;; [unrolled: 21-line block ×6, first 2 shown]
	s_waitcnt lgkmcnt(13)
	global_store_short v[2:3], v38, off
                                        ; implicit-def: $vgpr2_vgpr3
	s_and_saveexec_b64 s[2:3], vcc
	s_xor_b64 s[2:3], exec, s[2:3]
; %bb.123:
	v_xor_b32_e32 v2, 0xfffff8ff, v0
	v_ashrrev_i32_e32 v3, 31, v2
	v_add_co_u32_e32 v2, vcc, v7, v2
	v_addc_co_u32_e32 v3, vcc, v8, v3, vcc
; %bb.124:
	s_andn2_saveexec_b64 s[2:3], s[2:3]
; %bb.125:
	v_add_co_u32_e32 v2, vcc, v1, v37
	v_addc_co_u32_e32 v3, vcc, 0, v4, vcc
; %bb.126:
	s_or_b64 exec, exec, s[2:3]
	v_lshlrev_b64 v[2:3], 1, v[2:3]
	v_mov_b32_e32 v11, s29
	v_add_co_u32_e32 v2, vcc, s28, v2
	v_addc_co_u32_e32 v3, vcc, v11, v3, vcc
	v_cmp_ge_u32_e32 vcc, v35, v10
	s_waitcnt lgkmcnt(12)
	global_store_short v[2:3], v36, off
                                        ; implicit-def: $vgpr2_vgpr3
	s_and_saveexec_b64 s[2:3], vcc
	s_xor_b64 s[2:3], exec, s[2:3]
; %bb.127:
	v_xor_b32_e32 v2, 0xfffff7ff, v0
	v_ashrrev_i32_e32 v3, 31, v2
	v_add_co_u32_e32 v2, vcc, v7, v2
	v_addc_co_u32_e32 v3, vcc, v8, v3, vcc
; %bb.128:
	s_andn2_saveexec_b64 s[2:3], s[2:3]
; %bb.129:
	v_add_co_u32_e32 v2, vcc, v1, v35
	v_addc_co_u32_e32 v3, vcc, 0, v4, vcc
; %bb.130:
	s_or_b64 exec, exec, s[2:3]
	v_lshlrev_b64 v[2:3], 1, v[2:3]
	v_mov_b32_e32 v11, s29
	v_add_co_u32_e32 v2, vcc, s28, v2
	v_addc_co_u32_e32 v3, vcc, v11, v3, vcc
	v_cmp_ge_u32_e32 vcc, v33, v10
	;; [unrolled: 22-line block ×12, first 2 shown]
	s_waitcnt lgkmcnt(1)
	global_store_short v[2:3], v9, off
                                        ; implicit-def: $vgpr2_vgpr3
	s_and_saveexec_b64 s[2:3], vcc
	s_xor_b64 s[2:3], exec, s[2:3]
; %bb.171:
	v_xor_b32_e32 v2, 0xffffecff, v0
	v_ashrrev_i32_e32 v3, 31, v2
	v_add_co_u32_e32 v2, vcc, v7, v2
	v_addc_co_u32_e32 v3, vcc, v8, v3, vcc
; %bb.172:
	s_andn2_saveexec_b64 s[2:3], s[2:3]
; %bb.173:
	v_add_co_u32_e32 v2, vcc, v1, v6
	v_addc_co_u32_e32 v3, vcc, 0, v4, vcc
; %bb.174:
	s_or_b64 exec, exec, s[2:3]
	s_mov_b64 s[2:3], -1
.LBB150_175:
	s_and_saveexec_b64 s[4:5], s[2:3]
	s_cbranch_execz .LBB150_236
.LBB150_176:
	v_lshlrev_b64 v[2:3], 1, v[2:3]
	v_mov_b32_e32 v0, s29
	v_add_co_u32_e32 v2, vcc, s28, v2
	v_addc_co_u32_e32 v3, vcc, v0, v3, vcc
	s_waitcnt lgkmcnt(0)
	global_store_short v[2:3], v5, off
	s_or_b64 exec, exec, s[4:5]
	s_and_b64 s[0:1], s[0:1], s[22:23]
	s_and_saveexec_b64 s[2:3], s[0:1]
	s_cbranch_execnz .LBB150_237
.LBB150_177:
	s_endpgm
.LBB150_178:
	s_mov_b64 s[2:3], 0
                                        ; implicit-def: $vgpr2_vgpr3
	s_cbranch_execz .LBB150_175
; %bb.179:
	v_cmp_gt_u32_e32 vcc, s33, v0
	s_and_saveexec_b64 s[4:5], vcc
	s_cbranch_execz .LBB150_238
; %bb.180:
	v_cmp_ge_u32_e32 vcc, v0, v10
                                        ; implicit-def: $vgpr2_vgpr3
	s_and_saveexec_b64 s[6:7], vcc
	s_xor_b64 s[6:7], exec, s[6:7]
; %bb.181:
	v_not_b32_e32 v2, v0
	v_ashrrev_i32_e32 v3, 31, v2
	v_add_co_u32_e32 v2, vcc, v7, v2
	v_addc_co_u32_e32 v3, vcc, v8, v3, vcc
; %bb.182:
	s_andn2_saveexec_b64 s[6:7], s[6:7]
; %bb.183:
	v_add_co_u32_e32 v2, vcc, v1, v0
	v_addc_co_u32_e32 v3, vcc, 0, v4, vcc
; %bb.184:
	s_or_b64 exec, exec, s[6:7]
	v_lshlrev_b64 v[2:3], 1, v[2:3]
	v_mov_b32_e32 v11, s29
	v_add_co_u32_e32 v2, vcc, s28, v2
	v_addc_co_u32_e32 v3, vcc, v11, v3, vcc
	s_waitcnt lgkmcnt(14)
	global_store_short v[2:3], v50, off
	s_or_b64 exec, exec, s[4:5]
	v_cmp_gt_u32_e32 vcc, s33, v49
	s_and_saveexec_b64 s[4:5], vcc
	s_cbranch_execnz .LBB150_239
.LBB150_185:
	s_or_b64 exec, exec, s[4:5]
	v_cmp_gt_u32_e32 vcc, s33, v47
	s_and_saveexec_b64 s[4:5], vcc
	s_cbranch_execz .LBB150_244
.LBB150_186:
	v_cmp_ge_u32_e32 vcc, v47, v10
                                        ; implicit-def: $vgpr2_vgpr3
	s_and_saveexec_b64 s[6:7], vcc
	s_xor_b64 s[6:7], exec, s[6:7]
; %bb.187:
	v_xor_b32_e32 v2, 0xfffffdff, v0
	v_ashrrev_i32_e32 v3, 31, v2
	v_add_co_u32_e32 v2, vcc, v7, v2
	v_addc_co_u32_e32 v3, vcc, v8, v3, vcc
                                        ; implicit-def: $vgpr47
; %bb.188:
	s_andn2_saveexec_b64 s[6:7], s[6:7]
; %bb.189:
	v_add_co_u32_e32 v2, vcc, v1, v47
	v_addc_co_u32_e32 v3, vcc, 0, v4, vcc
; %bb.190:
	s_or_b64 exec, exec, s[6:7]
	v_lshlrev_b64 v[2:3], 1, v[2:3]
	v_mov_b32_e32 v11, s29
	v_add_co_u32_e32 v2, vcc, s28, v2
	v_addc_co_u32_e32 v3, vcc, v11, v3, vcc
	s_waitcnt lgkmcnt(14)
	global_store_short v[2:3], v46, off
	s_or_b64 exec, exec, s[4:5]
	v_cmp_gt_u32_e32 vcc, s33, v45
	s_and_saveexec_b64 s[4:5], vcc
	s_cbranch_execnz .LBB150_245
.LBB150_191:
	s_or_b64 exec, exec, s[4:5]
	v_cmp_gt_u32_e32 vcc, s33, v43
	s_and_saveexec_b64 s[4:5], vcc
	s_cbranch_execz .LBB150_250
.LBB150_192:
	v_cmp_ge_u32_e32 vcc, v43, v10
                                        ; implicit-def: $vgpr2_vgpr3
	s_and_saveexec_b64 s[6:7], vcc
	s_xor_b64 s[6:7], exec, s[6:7]
; %bb.193:
	v_xor_b32_e32 v2, 0xfffffbff, v0
	v_ashrrev_i32_e32 v3, 31, v2
	v_add_co_u32_e32 v2, vcc, v7, v2
	v_addc_co_u32_e32 v3, vcc, v8, v3, vcc
                                        ; implicit-def: $vgpr43
; %bb.194:
	s_andn2_saveexec_b64 s[6:7], s[6:7]
; %bb.195:
	v_add_co_u32_e32 v2, vcc, v1, v43
	v_addc_co_u32_e32 v3, vcc, 0, v4, vcc
; %bb.196:
	s_or_b64 exec, exec, s[6:7]
	v_lshlrev_b64 v[2:3], 1, v[2:3]
	v_mov_b32_e32 v11, s29
	v_add_co_u32_e32 v2, vcc, s28, v2
	v_addc_co_u32_e32 v3, vcc, v11, v3, vcc
	s_waitcnt lgkmcnt(14)
	global_store_short v[2:3], v42, off
	s_or_b64 exec, exec, s[4:5]
	v_cmp_gt_u32_e32 vcc, s33, v41
	s_and_saveexec_b64 s[4:5], vcc
	s_cbranch_execnz .LBB150_251
.LBB150_197:
	s_or_b64 exec, exec, s[4:5]
	v_cmp_gt_u32_e32 vcc, s33, v39
	s_and_saveexec_b64 s[4:5], vcc
	s_cbranch_execz .LBB150_256
.LBB150_198:
	v_cmp_ge_u32_e32 vcc, v39, v10
                                        ; implicit-def: $vgpr2_vgpr3
	s_and_saveexec_b64 s[6:7], vcc
	s_xor_b64 s[6:7], exec, s[6:7]
; %bb.199:
	v_xor_b32_e32 v2, 0xfffff9ff, v0
	v_ashrrev_i32_e32 v3, 31, v2
	v_add_co_u32_e32 v2, vcc, v7, v2
	v_addc_co_u32_e32 v3, vcc, v8, v3, vcc
                                        ; implicit-def: $vgpr39
; %bb.200:
	s_andn2_saveexec_b64 s[6:7], s[6:7]
; %bb.201:
	v_add_co_u32_e32 v2, vcc, v1, v39
	v_addc_co_u32_e32 v3, vcc, 0, v4, vcc
; %bb.202:
	s_or_b64 exec, exec, s[6:7]
	v_lshlrev_b64 v[2:3], 1, v[2:3]
	v_mov_b32_e32 v11, s29
	v_add_co_u32_e32 v2, vcc, s28, v2
	v_addc_co_u32_e32 v3, vcc, v11, v3, vcc
	s_waitcnt lgkmcnt(13)
	global_store_short v[2:3], v38, off
	s_or_b64 exec, exec, s[4:5]
	v_cmp_gt_u32_e32 vcc, s33, v37
	s_and_saveexec_b64 s[4:5], vcc
	s_cbranch_execnz .LBB150_257
.LBB150_203:
	s_or_b64 exec, exec, s[4:5]
	v_cmp_gt_u32_e32 vcc, s33, v35
	s_and_saveexec_b64 s[4:5], vcc
	s_cbranch_execz .LBB150_262
.LBB150_204:
	v_cmp_ge_u32_e32 vcc, v35, v10
                                        ; implicit-def: $vgpr2_vgpr3
	s_and_saveexec_b64 s[6:7], vcc
	s_xor_b64 s[6:7], exec, s[6:7]
; %bb.205:
	v_xor_b32_e32 v2, 0xfffff7ff, v0
	v_ashrrev_i32_e32 v3, 31, v2
	v_add_co_u32_e32 v2, vcc, v7, v2
	v_addc_co_u32_e32 v3, vcc, v8, v3, vcc
                                        ; implicit-def: $vgpr35
; %bb.206:
	s_andn2_saveexec_b64 s[6:7], s[6:7]
; %bb.207:
	v_add_co_u32_e32 v2, vcc, v1, v35
	v_addc_co_u32_e32 v3, vcc, 0, v4, vcc
; %bb.208:
	s_or_b64 exec, exec, s[6:7]
	v_lshlrev_b64 v[2:3], 1, v[2:3]
	v_mov_b32_e32 v11, s29
	v_add_co_u32_e32 v2, vcc, s28, v2
	v_addc_co_u32_e32 v3, vcc, v11, v3, vcc
	s_waitcnt lgkmcnt(11)
	global_store_short v[2:3], v34, off
	s_or_b64 exec, exec, s[4:5]
	v_cmp_gt_u32_e32 vcc, s33, v33
	s_and_saveexec_b64 s[4:5], vcc
	s_cbranch_execnz .LBB150_263
.LBB150_209:
	s_or_b64 exec, exec, s[4:5]
	v_cmp_gt_u32_e32 vcc, s33, v31
	s_and_saveexec_b64 s[4:5], vcc
	s_cbranch_execz .LBB150_268
.LBB150_210:
	v_cmp_ge_u32_e32 vcc, v31, v10
                                        ; implicit-def: $vgpr2_vgpr3
	s_and_saveexec_b64 s[6:7], vcc
	s_xor_b64 s[6:7], exec, s[6:7]
; %bb.211:
	v_xor_b32_e32 v2, 0xfffff5ff, v0
	v_ashrrev_i32_e32 v3, 31, v2
	v_add_co_u32_e32 v2, vcc, v7, v2
	v_addc_co_u32_e32 v3, vcc, v8, v3, vcc
                                        ; implicit-def: $vgpr31
; %bb.212:
	s_andn2_saveexec_b64 s[6:7], s[6:7]
; %bb.213:
	v_add_co_u32_e32 v2, vcc, v1, v31
	v_addc_co_u32_e32 v3, vcc, 0, v4, vcc
; %bb.214:
	s_or_b64 exec, exec, s[6:7]
	v_lshlrev_b64 v[2:3], 1, v[2:3]
	v_mov_b32_e32 v11, s29
	v_add_co_u32_e32 v2, vcc, s28, v2
	v_addc_co_u32_e32 v3, vcc, v11, v3, vcc
	s_waitcnt lgkmcnt(9)
	global_store_short v[2:3], v30, off
	s_or_b64 exec, exec, s[4:5]
	v_cmp_gt_u32_e32 vcc, s33, v29
	s_and_saveexec_b64 s[4:5], vcc
	s_cbranch_execnz .LBB150_269
.LBB150_215:
	s_or_b64 exec, exec, s[4:5]
	v_cmp_gt_u32_e32 vcc, s33, v27
	s_and_saveexec_b64 s[4:5], vcc
	s_cbranch_execz .LBB150_274
.LBB150_216:
	v_cmp_ge_u32_e32 vcc, v27, v10
                                        ; implicit-def: $vgpr2_vgpr3
	s_and_saveexec_b64 s[6:7], vcc
	s_xor_b64 s[6:7], exec, s[6:7]
; %bb.217:
	v_xor_b32_e32 v2, 0xfffff3ff, v0
	v_ashrrev_i32_e32 v3, 31, v2
	v_add_co_u32_e32 v2, vcc, v7, v2
	v_addc_co_u32_e32 v3, vcc, v8, v3, vcc
                                        ; implicit-def: $vgpr27
; %bb.218:
	s_andn2_saveexec_b64 s[6:7], s[6:7]
; %bb.219:
	v_add_co_u32_e32 v2, vcc, v1, v27
	v_addc_co_u32_e32 v3, vcc, 0, v4, vcc
; %bb.220:
	s_or_b64 exec, exec, s[6:7]
	v_lshlrev_b64 v[2:3], 1, v[2:3]
	v_mov_b32_e32 v11, s29
	v_add_co_u32_e32 v2, vcc, s28, v2
	v_addc_co_u32_e32 v3, vcc, v11, v3, vcc
	s_waitcnt lgkmcnt(7)
	global_store_short v[2:3], v26, off
	s_or_b64 exec, exec, s[4:5]
	v_cmp_gt_u32_e32 vcc, s33, v25
	s_and_saveexec_b64 s[4:5], vcc
	s_cbranch_execnz .LBB150_275
.LBB150_221:
	s_or_b64 exec, exec, s[4:5]
	v_cmp_gt_u32_e32 vcc, s33, v23
	s_and_saveexec_b64 s[4:5], vcc
	s_cbranch_execz .LBB150_280
.LBB150_222:
	v_cmp_ge_u32_e32 vcc, v23, v10
                                        ; implicit-def: $vgpr2_vgpr3
	s_and_saveexec_b64 s[6:7], vcc
	s_xor_b64 s[6:7], exec, s[6:7]
; %bb.223:
	v_xor_b32_e32 v2, 0xfffff1ff, v0
	v_ashrrev_i32_e32 v3, 31, v2
	v_add_co_u32_e32 v2, vcc, v7, v2
	v_addc_co_u32_e32 v3, vcc, v8, v3, vcc
                                        ; implicit-def: $vgpr23
; %bb.224:
	s_andn2_saveexec_b64 s[6:7], s[6:7]
; %bb.225:
	v_add_co_u32_e32 v2, vcc, v1, v23
	v_addc_co_u32_e32 v3, vcc, 0, v4, vcc
; %bb.226:
	s_or_b64 exec, exec, s[6:7]
	v_lshlrev_b64 v[2:3], 1, v[2:3]
	v_mov_b32_e32 v11, s29
	v_add_co_u32_e32 v2, vcc, s28, v2
	v_addc_co_u32_e32 v3, vcc, v11, v3, vcc
	s_waitcnt lgkmcnt(5)
	global_store_short v[2:3], v22, off
	s_or_b64 exec, exec, s[4:5]
	v_cmp_gt_u32_e32 vcc, s33, v21
	s_and_saveexec_b64 s[4:5], vcc
	s_cbranch_execnz .LBB150_281
.LBB150_227:
	s_or_b64 exec, exec, s[4:5]
	v_cmp_gt_u32_e32 vcc, s33, v19
	s_and_saveexec_b64 s[4:5], vcc
	s_cbranch_execz .LBB150_286
.LBB150_228:
	v_cmp_ge_u32_e32 vcc, v19, v10
                                        ; implicit-def: $vgpr2_vgpr3
	s_and_saveexec_b64 s[6:7], vcc
	s_xor_b64 s[6:7], exec, s[6:7]
; %bb.229:
	v_xor_b32_e32 v2, 0xffffefff, v0
	v_ashrrev_i32_e32 v3, 31, v2
	v_add_co_u32_e32 v2, vcc, v7, v2
	v_addc_co_u32_e32 v3, vcc, v8, v3, vcc
                                        ; implicit-def: $vgpr19
; %bb.230:
	s_andn2_saveexec_b64 s[6:7], s[6:7]
; %bb.231:
	v_add_co_u32_e32 v2, vcc, v1, v19
	v_addc_co_u32_e32 v3, vcc, 0, v4, vcc
; %bb.232:
	s_or_b64 exec, exec, s[6:7]
	v_lshlrev_b64 v[2:3], 1, v[2:3]
	v_mov_b32_e32 v11, s29
	v_add_co_u32_e32 v2, vcc, s28, v2
	v_addc_co_u32_e32 v3, vcc, v11, v3, vcc
	s_waitcnt lgkmcnt(3)
	global_store_short v[2:3], v18, off
	s_or_b64 exec, exec, s[4:5]
	v_cmp_gt_u32_e32 vcc, s33, v17
	s_and_saveexec_b64 s[4:5], vcc
	s_cbranch_execnz .LBB150_287
.LBB150_233:
	s_or_b64 exec, exec, s[4:5]
	v_cmp_gt_u32_e32 vcc, s33, v13
	s_and_saveexec_b64 s[4:5], vcc
	s_cbranch_execnz .LBB150_292
.LBB150_234:
	s_or_b64 exec, exec, s[4:5]
	v_cmp_gt_u32_e32 vcc, s33, v6
                                        ; implicit-def: $vgpr2_vgpr3
	s_and_saveexec_b64 s[4:5], vcc
	s_cbranch_execnz .LBB150_297
.LBB150_235:
	s_or_b64 exec, exec, s[4:5]
	s_and_saveexec_b64 s[4:5], s[2:3]
	s_cbranch_execnz .LBB150_176
.LBB150_236:
	s_or_b64 exec, exec, s[4:5]
	s_and_b64 s[0:1], s[0:1], s[22:23]
	s_and_saveexec_b64 s[2:3], s[0:1]
	s_cbranch_execz .LBB150_177
.LBB150_237:
	v_add_co_u32_e32 v0, vcc, v1, v10
	v_mov_b32_e32 v2, 0
	v_addc_co_u32_e32 v1, vcc, 0, v4, vcc
	global_store_dwordx2 v2, v[0:1], s[20:21]
	s_endpgm
.LBB150_238:
	s_or_b64 exec, exec, s[4:5]
	v_cmp_gt_u32_e32 vcc, s33, v49
	s_and_saveexec_b64 s[4:5], vcc
	s_cbranch_execz .LBB150_185
.LBB150_239:
	v_cmp_ge_u32_e32 vcc, v49, v10
                                        ; implicit-def: $vgpr2_vgpr3
	s_and_saveexec_b64 s[6:7], vcc
	s_xor_b64 s[6:7], exec, s[6:7]
; %bb.240:
	v_xor_b32_e32 v2, 0xfffffeff, v0
	v_ashrrev_i32_e32 v3, 31, v2
	v_add_co_u32_e32 v2, vcc, v7, v2
	v_addc_co_u32_e32 v3, vcc, v8, v3, vcc
                                        ; implicit-def: $vgpr49
; %bb.241:
	s_andn2_saveexec_b64 s[6:7], s[6:7]
; %bb.242:
	v_add_co_u32_e32 v2, vcc, v1, v49
	v_addc_co_u32_e32 v3, vcc, 0, v4, vcc
; %bb.243:
	s_or_b64 exec, exec, s[6:7]
	v_lshlrev_b64 v[2:3], 1, v[2:3]
	v_mov_b32_e32 v11, s29
	v_add_co_u32_e32 v2, vcc, s28, v2
	v_addc_co_u32_e32 v3, vcc, v11, v3, vcc
	s_waitcnt lgkmcnt(14)
	global_store_short v[2:3], v48, off
	s_or_b64 exec, exec, s[4:5]
	v_cmp_gt_u32_e32 vcc, s33, v47
	s_and_saveexec_b64 s[4:5], vcc
	s_cbranch_execnz .LBB150_186
.LBB150_244:
	s_or_b64 exec, exec, s[4:5]
	v_cmp_gt_u32_e32 vcc, s33, v45
	s_and_saveexec_b64 s[4:5], vcc
	s_cbranch_execz .LBB150_191
.LBB150_245:
	v_cmp_ge_u32_e32 vcc, v45, v10
                                        ; implicit-def: $vgpr2_vgpr3
	s_and_saveexec_b64 s[6:7], vcc
	s_xor_b64 s[6:7], exec, s[6:7]
; %bb.246:
	v_xor_b32_e32 v2, 0xfffffcff, v0
	v_ashrrev_i32_e32 v3, 31, v2
	v_add_co_u32_e32 v2, vcc, v7, v2
	v_addc_co_u32_e32 v3, vcc, v8, v3, vcc
                                        ; implicit-def: $vgpr45
; %bb.247:
	s_andn2_saveexec_b64 s[6:7], s[6:7]
; %bb.248:
	v_add_co_u32_e32 v2, vcc, v1, v45
	v_addc_co_u32_e32 v3, vcc, 0, v4, vcc
; %bb.249:
	s_or_b64 exec, exec, s[6:7]
	v_lshlrev_b64 v[2:3], 1, v[2:3]
	v_mov_b32_e32 v11, s29
	v_add_co_u32_e32 v2, vcc, s28, v2
	v_addc_co_u32_e32 v3, vcc, v11, v3, vcc
	s_waitcnt lgkmcnt(14)
	global_store_short v[2:3], v44, off
	s_or_b64 exec, exec, s[4:5]
	v_cmp_gt_u32_e32 vcc, s33, v43
	s_and_saveexec_b64 s[4:5], vcc
	s_cbranch_execnz .LBB150_192
.LBB150_250:
	s_or_b64 exec, exec, s[4:5]
	v_cmp_gt_u32_e32 vcc, s33, v41
	s_and_saveexec_b64 s[4:5], vcc
	s_cbranch_execz .LBB150_197
.LBB150_251:
	v_cmp_ge_u32_e32 vcc, v41, v10
                                        ; implicit-def: $vgpr2_vgpr3
	s_and_saveexec_b64 s[6:7], vcc
	s_xor_b64 s[6:7], exec, s[6:7]
; %bb.252:
	v_xor_b32_e32 v2, 0xfffffaff, v0
	v_ashrrev_i32_e32 v3, 31, v2
	v_add_co_u32_e32 v2, vcc, v7, v2
	v_addc_co_u32_e32 v3, vcc, v8, v3, vcc
                                        ; implicit-def: $vgpr41
; %bb.253:
	s_andn2_saveexec_b64 s[6:7], s[6:7]
; %bb.254:
	v_add_co_u32_e32 v2, vcc, v1, v41
	v_addc_co_u32_e32 v3, vcc, 0, v4, vcc
; %bb.255:
	s_or_b64 exec, exec, s[6:7]
	v_lshlrev_b64 v[2:3], 1, v[2:3]
	v_mov_b32_e32 v11, s29
	v_add_co_u32_e32 v2, vcc, s28, v2
	v_addc_co_u32_e32 v3, vcc, v11, v3, vcc
	s_waitcnt lgkmcnt(14)
	global_store_short v[2:3], v40, off
	s_or_b64 exec, exec, s[4:5]
	v_cmp_gt_u32_e32 vcc, s33, v39
	s_and_saveexec_b64 s[4:5], vcc
	s_cbranch_execnz .LBB150_198
.LBB150_256:
	s_or_b64 exec, exec, s[4:5]
	v_cmp_gt_u32_e32 vcc, s33, v37
	s_and_saveexec_b64 s[4:5], vcc
	s_cbranch_execz .LBB150_203
.LBB150_257:
	v_cmp_ge_u32_e32 vcc, v37, v10
                                        ; implicit-def: $vgpr2_vgpr3
	s_and_saveexec_b64 s[6:7], vcc
	s_xor_b64 s[6:7], exec, s[6:7]
; %bb.258:
	v_xor_b32_e32 v2, 0xfffff8ff, v0
	v_ashrrev_i32_e32 v3, 31, v2
	v_add_co_u32_e32 v2, vcc, v7, v2
	v_addc_co_u32_e32 v3, vcc, v8, v3, vcc
                                        ; implicit-def: $vgpr37
; %bb.259:
	s_andn2_saveexec_b64 s[6:7], s[6:7]
; %bb.260:
	v_add_co_u32_e32 v2, vcc, v1, v37
	v_addc_co_u32_e32 v3, vcc, 0, v4, vcc
; %bb.261:
	s_or_b64 exec, exec, s[6:7]
	v_lshlrev_b64 v[2:3], 1, v[2:3]
	v_mov_b32_e32 v11, s29
	v_add_co_u32_e32 v2, vcc, s28, v2
	v_addc_co_u32_e32 v3, vcc, v11, v3, vcc
	s_waitcnt lgkmcnt(12)
	global_store_short v[2:3], v36, off
	s_or_b64 exec, exec, s[4:5]
	v_cmp_gt_u32_e32 vcc, s33, v35
	s_and_saveexec_b64 s[4:5], vcc
	s_cbranch_execnz .LBB150_204
.LBB150_262:
	s_or_b64 exec, exec, s[4:5]
	v_cmp_gt_u32_e32 vcc, s33, v33
	s_and_saveexec_b64 s[4:5], vcc
	s_cbranch_execz .LBB150_209
.LBB150_263:
	v_cmp_ge_u32_e32 vcc, v33, v10
                                        ; implicit-def: $vgpr2_vgpr3
	s_and_saveexec_b64 s[6:7], vcc
	s_xor_b64 s[6:7], exec, s[6:7]
; %bb.264:
	v_xor_b32_e32 v2, 0xfffff6ff, v0
	v_ashrrev_i32_e32 v3, 31, v2
	v_add_co_u32_e32 v2, vcc, v7, v2
	v_addc_co_u32_e32 v3, vcc, v8, v3, vcc
                                        ; implicit-def: $vgpr33
; %bb.265:
	s_andn2_saveexec_b64 s[6:7], s[6:7]
; %bb.266:
	v_add_co_u32_e32 v2, vcc, v1, v33
	v_addc_co_u32_e32 v3, vcc, 0, v4, vcc
; %bb.267:
	s_or_b64 exec, exec, s[6:7]
	v_lshlrev_b64 v[2:3], 1, v[2:3]
	v_mov_b32_e32 v11, s29
	v_add_co_u32_e32 v2, vcc, s28, v2
	v_addc_co_u32_e32 v3, vcc, v11, v3, vcc
	s_waitcnt lgkmcnt(10)
	global_store_short v[2:3], v32, off
	s_or_b64 exec, exec, s[4:5]
	v_cmp_gt_u32_e32 vcc, s33, v31
	s_and_saveexec_b64 s[4:5], vcc
	s_cbranch_execnz .LBB150_210
.LBB150_268:
	s_or_b64 exec, exec, s[4:5]
	v_cmp_gt_u32_e32 vcc, s33, v29
	s_and_saveexec_b64 s[4:5], vcc
	s_cbranch_execz .LBB150_215
.LBB150_269:
	v_cmp_ge_u32_e32 vcc, v29, v10
                                        ; implicit-def: $vgpr2_vgpr3
	s_and_saveexec_b64 s[6:7], vcc
	s_xor_b64 s[6:7], exec, s[6:7]
; %bb.270:
	v_xor_b32_e32 v2, 0xfffff4ff, v0
	v_ashrrev_i32_e32 v3, 31, v2
	v_add_co_u32_e32 v2, vcc, v7, v2
	v_addc_co_u32_e32 v3, vcc, v8, v3, vcc
                                        ; implicit-def: $vgpr29
; %bb.271:
	s_andn2_saveexec_b64 s[6:7], s[6:7]
; %bb.272:
	v_add_co_u32_e32 v2, vcc, v1, v29
	v_addc_co_u32_e32 v3, vcc, 0, v4, vcc
; %bb.273:
	s_or_b64 exec, exec, s[6:7]
	v_lshlrev_b64 v[2:3], 1, v[2:3]
	v_mov_b32_e32 v11, s29
	v_add_co_u32_e32 v2, vcc, s28, v2
	v_addc_co_u32_e32 v3, vcc, v11, v3, vcc
	s_waitcnt lgkmcnt(8)
	global_store_short v[2:3], v28, off
	s_or_b64 exec, exec, s[4:5]
	v_cmp_gt_u32_e32 vcc, s33, v27
	s_and_saveexec_b64 s[4:5], vcc
	s_cbranch_execnz .LBB150_216
.LBB150_274:
	s_or_b64 exec, exec, s[4:5]
	v_cmp_gt_u32_e32 vcc, s33, v25
	s_and_saveexec_b64 s[4:5], vcc
	s_cbranch_execz .LBB150_221
.LBB150_275:
	v_cmp_ge_u32_e32 vcc, v25, v10
                                        ; implicit-def: $vgpr2_vgpr3
	s_and_saveexec_b64 s[6:7], vcc
	s_xor_b64 s[6:7], exec, s[6:7]
; %bb.276:
	v_xor_b32_e32 v2, 0xfffff2ff, v0
	v_ashrrev_i32_e32 v3, 31, v2
	v_add_co_u32_e32 v2, vcc, v7, v2
	v_addc_co_u32_e32 v3, vcc, v8, v3, vcc
                                        ; implicit-def: $vgpr25
; %bb.277:
	s_andn2_saveexec_b64 s[6:7], s[6:7]
; %bb.278:
	v_add_co_u32_e32 v2, vcc, v1, v25
	v_addc_co_u32_e32 v3, vcc, 0, v4, vcc
; %bb.279:
	s_or_b64 exec, exec, s[6:7]
	v_lshlrev_b64 v[2:3], 1, v[2:3]
	v_mov_b32_e32 v11, s29
	v_add_co_u32_e32 v2, vcc, s28, v2
	v_addc_co_u32_e32 v3, vcc, v11, v3, vcc
	s_waitcnt lgkmcnt(6)
	global_store_short v[2:3], v24, off
	s_or_b64 exec, exec, s[4:5]
	v_cmp_gt_u32_e32 vcc, s33, v23
	s_and_saveexec_b64 s[4:5], vcc
	s_cbranch_execnz .LBB150_222
.LBB150_280:
	s_or_b64 exec, exec, s[4:5]
	v_cmp_gt_u32_e32 vcc, s33, v21
	s_and_saveexec_b64 s[4:5], vcc
	s_cbranch_execz .LBB150_227
.LBB150_281:
	v_cmp_ge_u32_e32 vcc, v21, v10
                                        ; implicit-def: $vgpr2_vgpr3
	s_and_saveexec_b64 s[6:7], vcc
	s_xor_b64 s[6:7], exec, s[6:7]
; %bb.282:
	v_xor_b32_e32 v2, 0xfffff0ff, v0
	v_ashrrev_i32_e32 v3, 31, v2
	v_add_co_u32_e32 v2, vcc, v7, v2
	v_addc_co_u32_e32 v3, vcc, v8, v3, vcc
                                        ; implicit-def: $vgpr21
; %bb.283:
	s_andn2_saveexec_b64 s[6:7], s[6:7]
; %bb.284:
	v_add_co_u32_e32 v2, vcc, v1, v21
	v_addc_co_u32_e32 v3, vcc, 0, v4, vcc
; %bb.285:
	s_or_b64 exec, exec, s[6:7]
	v_lshlrev_b64 v[2:3], 1, v[2:3]
	v_mov_b32_e32 v11, s29
	v_add_co_u32_e32 v2, vcc, s28, v2
	v_addc_co_u32_e32 v3, vcc, v11, v3, vcc
	s_waitcnt lgkmcnt(4)
	global_store_short v[2:3], v20, off
	s_or_b64 exec, exec, s[4:5]
	v_cmp_gt_u32_e32 vcc, s33, v19
	s_and_saveexec_b64 s[4:5], vcc
	s_cbranch_execnz .LBB150_228
.LBB150_286:
	s_or_b64 exec, exec, s[4:5]
	v_cmp_gt_u32_e32 vcc, s33, v17
	s_and_saveexec_b64 s[4:5], vcc
	s_cbranch_execz .LBB150_233
.LBB150_287:
	v_cmp_ge_u32_e32 vcc, v17, v10
                                        ; implicit-def: $vgpr2_vgpr3
	s_and_saveexec_b64 s[6:7], vcc
	s_xor_b64 s[6:7], exec, s[6:7]
; %bb.288:
	v_xor_b32_e32 v2, 0xffffeeff, v0
	v_ashrrev_i32_e32 v3, 31, v2
	v_add_co_u32_e32 v2, vcc, v7, v2
	v_addc_co_u32_e32 v3, vcc, v8, v3, vcc
                                        ; implicit-def: $vgpr17
; %bb.289:
	s_andn2_saveexec_b64 s[6:7], s[6:7]
; %bb.290:
	v_add_co_u32_e32 v2, vcc, v1, v17
	v_addc_co_u32_e32 v3, vcc, 0, v4, vcc
; %bb.291:
	s_or_b64 exec, exec, s[6:7]
	v_lshlrev_b64 v[2:3], 1, v[2:3]
	v_mov_b32_e32 v11, s29
	v_add_co_u32_e32 v2, vcc, s28, v2
	v_addc_co_u32_e32 v3, vcc, v11, v3, vcc
	s_waitcnt lgkmcnt(2)
	global_store_short v[2:3], v16, off
	s_or_b64 exec, exec, s[4:5]
	v_cmp_gt_u32_e32 vcc, s33, v13
	s_and_saveexec_b64 s[4:5], vcc
	s_cbranch_execz .LBB150_234
.LBB150_292:
	v_cmp_ge_u32_e32 vcc, v13, v10
                                        ; implicit-def: $vgpr2_vgpr3
	s_and_saveexec_b64 s[6:7], vcc
	s_xor_b64 s[6:7], exec, s[6:7]
; %bb.293:
	v_xor_b32_e32 v2, 0xffffedff, v0
	v_ashrrev_i32_e32 v3, 31, v2
	v_add_co_u32_e32 v2, vcc, v7, v2
	v_addc_co_u32_e32 v3, vcc, v8, v3, vcc
                                        ; implicit-def: $vgpr13
; %bb.294:
	s_andn2_saveexec_b64 s[6:7], s[6:7]
; %bb.295:
	v_add_co_u32_e32 v2, vcc, v1, v13
	v_addc_co_u32_e32 v3, vcc, 0, v4, vcc
; %bb.296:
	s_or_b64 exec, exec, s[6:7]
	v_lshlrev_b64 v[2:3], 1, v[2:3]
	v_mov_b32_e32 v11, s29
	v_add_co_u32_e32 v2, vcc, s28, v2
	v_addc_co_u32_e32 v3, vcc, v11, v3, vcc
	s_waitcnt lgkmcnt(1)
	global_store_short v[2:3], v9, off
	s_or_b64 exec, exec, s[4:5]
	v_cmp_gt_u32_e32 vcc, s33, v6
                                        ; implicit-def: $vgpr2_vgpr3
	s_and_saveexec_b64 s[4:5], vcc
	s_cbranch_execz .LBB150_235
.LBB150_297:
	v_cmp_ge_u32_e32 vcc, v6, v10
                                        ; implicit-def: $vgpr2_vgpr3
	s_and_saveexec_b64 s[6:7], vcc
	s_xor_b64 s[6:7], exec, s[6:7]
; %bb.298:
	v_xor_b32_e32 v0, 0xffffecff, v0
	v_ashrrev_i32_e32 v3, 31, v0
	v_add_co_u32_e32 v2, vcc, v7, v0
	v_addc_co_u32_e32 v3, vcc, v8, v3, vcc
                                        ; implicit-def: $vgpr6
; %bb.299:
	s_andn2_saveexec_b64 s[6:7], s[6:7]
; %bb.300:
	v_add_co_u32_e32 v2, vcc, v1, v6
	v_addc_co_u32_e32 v3, vcc, 0, v4, vcc
; %bb.301:
	s_or_b64 exec, exec, s[6:7]
	s_or_b64 s[2:3], s[2:3], exec
	s_or_b64 exec, exec, s[4:5]
	s_and_saveexec_b64 s[4:5], s[2:3]
	s_cbranch_execnz .LBB150_176
	s_branch .LBB150_236
	.section	.rodata,"a",@progbits
	.p2align	6, 0x0
	.amdhsa_kernel _ZN7rocprim17ROCPRIM_400000_NS6detail17trampoline_kernelINS0_14default_configENS1_25partition_config_selectorILNS1_17partition_subalgoE3EsNS0_10empty_typeEbEEZZNS1_14partition_implILS5_3ELb0ES3_jN6thrust23THRUST_200600_302600_NS6detail15normal_iteratorINSA_7pointerIsNSA_11hip_rocprim3tagENSA_11use_defaultESG_EEEEPS6_SJ_NS0_5tupleIJPsSJ_EEENSK_IJSJ_SJ_EEES6_PlJ7is_evenIsEEEE10hipError_tPvRmT3_T4_T5_T6_T7_T9_mT8_P12ihipStream_tbDpT10_ENKUlT_T0_E_clISt17integral_constantIbLb1EES1A_EEDaS15_S16_EUlS15_E_NS1_11comp_targetILNS1_3genE4ELNS1_11target_archE910ELNS1_3gpuE8ELNS1_3repE0EEENS1_30default_config_static_selectorELNS0_4arch9wavefront6targetE1EEEvT1_
		.amdhsa_group_segment_fixed_size 10248
		.amdhsa_private_segment_fixed_size 0
		.amdhsa_kernarg_size 136
		.amdhsa_user_sgpr_count 6
		.amdhsa_user_sgpr_private_segment_buffer 1
		.amdhsa_user_sgpr_dispatch_ptr 0
		.amdhsa_user_sgpr_queue_ptr 0
		.amdhsa_user_sgpr_kernarg_segment_ptr 1
		.amdhsa_user_sgpr_dispatch_id 0
		.amdhsa_user_sgpr_flat_scratch_init 0
		.amdhsa_user_sgpr_kernarg_preload_length 0
		.amdhsa_user_sgpr_kernarg_preload_offset 0
		.amdhsa_user_sgpr_private_segment_size 0
		.amdhsa_uses_dynamic_stack 0
		.amdhsa_system_sgpr_private_segment_wavefront_offset 0
		.amdhsa_system_sgpr_workgroup_id_x 1
		.amdhsa_system_sgpr_workgroup_id_y 0
		.amdhsa_system_sgpr_workgroup_id_z 0
		.amdhsa_system_sgpr_workgroup_info 0
		.amdhsa_system_vgpr_workitem_id 0
		.amdhsa_next_free_vgpr 93
		.amdhsa_next_free_sgpr 44
		.amdhsa_accum_offset 96
		.amdhsa_reserve_vcc 1
		.amdhsa_reserve_flat_scratch 0
		.amdhsa_float_round_mode_32 0
		.amdhsa_float_round_mode_16_64 0
		.amdhsa_float_denorm_mode_32 3
		.amdhsa_float_denorm_mode_16_64 3
		.amdhsa_dx10_clamp 1
		.amdhsa_ieee_mode 1
		.amdhsa_fp16_overflow 0
		.amdhsa_tg_split 0
		.amdhsa_exception_fp_ieee_invalid_op 0
		.amdhsa_exception_fp_denorm_src 0
		.amdhsa_exception_fp_ieee_div_zero 0
		.amdhsa_exception_fp_ieee_overflow 0
		.amdhsa_exception_fp_ieee_underflow 0
		.amdhsa_exception_fp_ieee_inexact 0
		.amdhsa_exception_int_div_zero 0
	.end_amdhsa_kernel
	.section	.text._ZN7rocprim17ROCPRIM_400000_NS6detail17trampoline_kernelINS0_14default_configENS1_25partition_config_selectorILNS1_17partition_subalgoE3EsNS0_10empty_typeEbEEZZNS1_14partition_implILS5_3ELb0ES3_jN6thrust23THRUST_200600_302600_NS6detail15normal_iteratorINSA_7pointerIsNSA_11hip_rocprim3tagENSA_11use_defaultESG_EEEEPS6_SJ_NS0_5tupleIJPsSJ_EEENSK_IJSJ_SJ_EEES6_PlJ7is_evenIsEEEE10hipError_tPvRmT3_T4_T5_T6_T7_T9_mT8_P12ihipStream_tbDpT10_ENKUlT_T0_E_clISt17integral_constantIbLb1EES1A_EEDaS15_S16_EUlS15_E_NS1_11comp_targetILNS1_3genE4ELNS1_11target_archE910ELNS1_3gpuE8ELNS1_3repE0EEENS1_30default_config_static_selectorELNS0_4arch9wavefront6targetE1EEEvT1_,"axG",@progbits,_ZN7rocprim17ROCPRIM_400000_NS6detail17trampoline_kernelINS0_14default_configENS1_25partition_config_selectorILNS1_17partition_subalgoE3EsNS0_10empty_typeEbEEZZNS1_14partition_implILS5_3ELb0ES3_jN6thrust23THRUST_200600_302600_NS6detail15normal_iteratorINSA_7pointerIsNSA_11hip_rocprim3tagENSA_11use_defaultESG_EEEEPS6_SJ_NS0_5tupleIJPsSJ_EEENSK_IJSJ_SJ_EEES6_PlJ7is_evenIsEEEE10hipError_tPvRmT3_T4_T5_T6_T7_T9_mT8_P12ihipStream_tbDpT10_ENKUlT_T0_E_clISt17integral_constantIbLb1EES1A_EEDaS15_S16_EUlS15_E_NS1_11comp_targetILNS1_3genE4ELNS1_11target_archE910ELNS1_3gpuE8ELNS1_3repE0EEENS1_30default_config_static_selectorELNS0_4arch9wavefront6targetE1EEEvT1_,comdat
.Lfunc_end150:
	.size	_ZN7rocprim17ROCPRIM_400000_NS6detail17trampoline_kernelINS0_14default_configENS1_25partition_config_selectorILNS1_17partition_subalgoE3EsNS0_10empty_typeEbEEZZNS1_14partition_implILS5_3ELb0ES3_jN6thrust23THRUST_200600_302600_NS6detail15normal_iteratorINSA_7pointerIsNSA_11hip_rocprim3tagENSA_11use_defaultESG_EEEEPS6_SJ_NS0_5tupleIJPsSJ_EEENSK_IJSJ_SJ_EEES6_PlJ7is_evenIsEEEE10hipError_tPvRmT3_T4_T5_T6_T7_T9_mT8_P12ihipStream_tbDpT10_ENKUlT_T0_E_clISt17integral_constantIbLb1EES1A_EEDaS15_S16_EUlS15_E_NS1_11comp_targetILNS1_3genE4ELNS1_11target_archE910ELNS1_3gpuE8ELNS1_3repE0EEENS1_30default_config_static_selectorELNS0_4arch9wavefront6targetE1EEEvT1_, .Lfunc_end150-_ZN7rocprim17ROCPRIM_400000_NS6detail17trampoline_kernelINS0_14default_configENS1_25partition_config_selectorILNS1_17partition_subalgoE3EsNS0_10empty_typeEbEEZZNS1_14partition_implILS5_3ELb0ES3_jN6thrust23THRUST_200600_302600_NS6detail15normal_iteratorINSA_7pointerIsNSA_11hip_rocprim3tagENSA_11use_defaultESG_EEEEPS6_SJ_NS0_5tupleIJPsSJ_EEENSK_IJSJ_SJ_EEES6_PlJ7is_evenIsEEEE10hipError_tPvRmT3_T4_T5_T6_T7_T9_mT8_P12ihipStream_tbDpT10_ENKUlT_T0_E_clISt17integral_constantIbLb1EES1A_EEDaS15_S16_EUlS15_E_NS1_11comp_targetILNS1_3genE4ELNS1_11target_archE910ELNS1_3gpuE8ELNS1_3repE0EEENS1_30default_config_static_selectorELNS0_4arch9wavefront6targetE1EEEvT1_
                                        ; -- End function
	.section	.AMDGPU.csdata,"",@progbits
; Kernel info:
; codeLenInByte = 9648
; NumSgprs: 48
; NumVgprs: 93
; NumAgprs: 0
; TotalNumVgprs: 93
; ScratchSize: 0
; MemoryBound: 0
; FloatMode: 240
; IeeeMode: 1
; LDSByteSize: 10248 bytes/workgroup (compile time only)
; SGPRBlocks: 5
; VGPRBlocks: 11
; NumSGPRsForWavesPerEU: 48
; NumVGPRsForWavesPerEU: 93
; AccumOffset: 96
; Occupancy: 5
; WaveLimiterHint : 1
; COMPUTE_PGM_RSRC2:SCRATCH_EN: 0
; COMPUTE_PGM_RSRC2:USER_SGPR: 6
; COMPUTE_PGM_RSRC2:TRAP_HANDLER: 0
; COMPUTE_PGM_RSRC2:TGID_X_EN: 1
; COMPUTE_PGM_RSRC2:TGID_Y_EN: 0
; COMPUTE_PGM_RSRC2:TGID_Z_EN: 0
; COMPUTE_PGM_RSRC2:TIDIG_COMP_CNT: 0
; COMPUTE_PGM_RSRC3_GFX90A:ACCUM_OFFSET: 23
; COMPUTE_PGM_RSRC3_GFX90A:TG_SPLIT: 0
	.section	.text._ZN7rocprim17ROCPRIM_400000_NS6detail17trampoline_kernelINS0_14default_configENS1_25partition_config_selectorILNS1_17partition_subalgoE3EsNS0_10empty_typeEbEEZZNS1_14partition_implILS5_3ELb0ES3_jN6thrust23THRUST_200600_302600_NS6detail15normal_iteratorINSA_7pointerIsNSA_11hip_rocprim3tagENSA_11use_defaultESG_EEEEPS6_SJ_NS0_5tupleIJPsSJ_EEENSK_IJSJ_SJ_EEES6_PlJ7is_evenIsEEEE10hipError_tPvRmT3_T4_T5_T6_T7_T9_mT8_P12ihipStream_tbDpT10_ENKUlT_T0_E_clISt17integral_constantIbLb1EES1A_EEDaS15_S16_EUlS15_E_NS1_11comp_targetILNS1_3genE3ELNS1_11target_archE908ELNS1_3gpuE7ELNS1_3repE0EEENS1_30default_config_static_selectorELNS0_4arch9wavefront6targetE1EEEvT1_,"axG",@progbits,_ZN7rocprim17ROCPRIM_400000_NS6detail17trampoline_kernelINS0_14default_configENS1_25partition_config_selectorILNS1_17partition_subalgoE3EsNS0_10empty_typeEbEEZZNS1_14partition_implILS5_3ELb0ES3_jN6thrust23THRUST_200600_302600_NS6detail15normal_iteratorINSA_7pointerIsNSA_11hip_rocprim3tagENSA_11use_defaultESG_EEEEPS6_SJ_NS0_5tupleIJPsSJ_EEENSK_IJSJ_SJ_EEES6_PlJ7is_evenIsEEEE10hipError_tPvRmT3_T4_T5_T6_T7_T9_mT8_P12ihipStream_tbDpT10_ENKUlT_T0_E_clISt17integral_constantIbLb1EES1A_EEDaS15_S16_EUlS15_E_NS1_11comp_targetILNS1_3genE3ELNS1_11target_archE908ELNS1_3gpuE7ELNS1_3repE0EEENS1_30default_config_static_selectorELNS0_4arch9wavefront6targetE1EEEvT1_,comdat
	.protected	_ZN7rocprim17ROCPRIM_400000_NS6detail17trampoline_kernelINS0_14default_configENS1_25partition_config_selectorILNS1_17partition_subalgoE3EsNS0_10empty_typeEbEEZZNS1_14partition_implILS5_3ELb0ES3_jN6thrust23THRUST_200600_302600_NS6detail15normal_iteratorINSA_7pointerIsNSA_11hip_rocprim3tagENSA_11use_defaultESG_EEEEPS6_SJ_NS0_5tupleIJPsSJ_EEENSK_IJSJ_SJ_EEES6_PlJ7is_evenIsEEEE10hipError_tPvRmT3_T4_T5_T6_T7_T9_mT8_P12ihipStream_tbDpT10_ENKUlT_T0_E_clISt17integral_constantIbLb1EES1A_EEDaS15_S16_EUlS15_E_NS1_11comp_targetILNS1_3genE3ELNS1_11target_archE908ELNS1_3gpuE7ELNS1_3repE0EEENS1_30default_config_static_selectorELNS0_4arch9wavefront6targetE1EEEvT1_ ; -- Begin function _ZN7rocprim17ROCPRIM_400000_NS6detail17trampoline_kernelINS0_14default_configENS1_25partition_config_selectorILNS1_17partition_subalgoE3EsNS0_10empty_typeEbEEZZNS1_14partition_implILS5_3ELb0ES3_jN6thrust23THRUST_200600_302600_NS6detail15normal_iteratorINSA_7pointerIsNSA_11hip_rocprim3tagENSA_11use_defaultESG_EEEEPS6_SJ_NS0_5tupleIJPsSJ_EEENSK_IJSJ_SJ_EEES6_PlJ7is_evenIsEEEE10hipError_tPvRmT3_T4_T5_T6_T7_T9_mT8_P12ihipStream_tbDpT10_ENKUlT_T0_E_clISt17integral_constantIbLb1EES1A_EEDaS15_S16_EUlS15_E_NS1_11comp_targetILNS1_3genE3ELNS1_11target_archE908ELNS1_3gpuE7ELNS1_3repE0EEENS1_30default_config_static_selectorELNS0_4arch9wavefront6targetE1EEEvT1_
	.globl	_ZN7rocprim17ROCPRIM_400000_NS6detail17trampoline_kernelINS0_14default_configENS1_25partition_config_selectorILNS1_17partition_subalgoE3EsNS0_10empty_typeEbEEZZNS1_14partition_implILS5_3ELb0ES3_jN6thrust23THRUST_200600_302600_NS6detail15normal_iteratorINSA_7pointerIsNSA_11hip_rocprim3tagENSA_11use_defaultESG_EEEEPS6_SJ_NS0_5tupleIJPsSJ_EEENSK_IJSJ_SJ_EEES6_PlJ7is_evenIsEEEE10hipError_tPvRmT3_T4_T5_T6_T7_T9_mT8_P12ihipStream_tbDpT10_ENKUlT_T0_E_clISt17integral_constantIbLb1EES1A_EEDaS15_S16_EUlS15_E_NS1_11comp_targetILNS1_3genE3ELNS1_11target_archE908ELNS1_3gpuE7ELNS1_3repE0EEENS1_30default_config_static_selectorELNS0_4arch9wavefront6targetE1EEEvT1_
	.p2align	8
	.type	_ZN7rocprim17ROCPRIM_400000_NS6detail17trampoline_kernelINS0_14default_configENS1_25partition_config_selectorILNS1_17partition_subalgoE3EsNS0_10empty_typeEbEEZZNS1_14partition_implILS5_3ELb0ES3_jN6thrust23THRUST_200600_302600_NS6detail15normal_iteratorINSA_7pointerIsNSA_11hip_rocprim3tagENSA_11use_defaultESG_EEEEPS6_SJ_NS0_5tupleIJPsSJ_EEENSK_IJSJ_SJ_EEES6_PlJ7is_evenIsEEEE10hipError_tPvRmT3_T4_T5_T6_T7_T9_mT8_P12ihipStream_tbDpT10_ENKUlT_T0_E_clISt17integral_constantIbLb1EES1A_EEDaS15_S16_EUlS15_E_NS1_11comp_targetILNS1_3genE3ELNS1_11target_archE908ELNS1_3gpuE7ELNS1_3repE0EEENS1_30default_config_static_selectorELNS0_4arch9wavefront6targetE1EEEvT1_,@function
_ZN7rocprim17ROCPRIM_400000_NS6detail17trampoline_kernelINS0_14default_configENS1_25partition_config_selectorILNS1_17partition_subalgoE3EsNS0_10empty_typeEbEEZZNS1_14partition_implILS5_3ELb0ES3_jN6thrust23THRUST_200600_302600_NS6detail15normal_iteratorINSA_7pointerIsNSA_11hip_rocprim3tagENSA_11use_defaultESG_EEEEPS6_SJ_NS0_5tupleIJPsSJ_EEENSK_IJSJ_SJ_EEES6_PlJ7is_evenIsEEEE10hipError_tPvRmT3_T4_T5_T6_T7_T9_mT8_P12ihipStream_tbDpT10_ENKUlT_T0_E_clISt17integral_constantIbLb1EES1A_EEDaS15_S16_EUlS15_E_NS1_11comp_targetILNS1_3genE3ELNS1_11target_archE908ELNS1_3gpuE7ELNS1_3repE0EEENS1_30default_config_static_selectorELNS0_4arch9wavefront6targetE1EEEvT1_: ; @_ZN7rocprim17ROCPRIM_400000_NS6detail17trampoline_kernelINS0_14default_configENS1_25partition_config_selectorILNS1_17partition_subalgoE3EsNS0_10empty_typeEbEEZZNS1_14partition_implILS5_3ELb0ES3_jN6thrust23THRUST_200600_302600_NS6detail15normal_iteratorINSA_7pointerIsNSA_11hip_rocprim3tagENSA_11use_defaultESG_EEEEPS6_SJ_NS0_5tupleIJPsSJ_EEENSK_IJSJ_SJ_EEES6_PlJ7is_evenIsEEEE10hipError_tPvRmT3_T4_T5_T6_T7_T9_mT8_P12ihipStream_tbDpT10_ENKUlT_T0_E_clISt17integral_constantIbLb1EES1A_EEDaS15_S16_EUlS15_E_NS1_11comp_targetILNS1_3genE3ELNS1_11target_archE908ELNS1_3gpuE7ELNS1_3repE0EEENS1_30default_config_static_selectorELNS0_4arch9wavefront6targetE1EEEvT1_
; %bb.0:
	.section	.rodata,"a",@progbits
	.p2align	6, 0x0
	.amdhsa_kernel _ZN7rocprim17ROCPRIM_400000_NS6detail17trampoline_kernelINS0_14default_configENS1_25partition_config_selectorILNS1_17partition_subalgoE3EsNS0_10empty_typeEbEEZZNS1_14partition_implILS5_3ELb0ES3_jN6thrust23THRUST_200600_302600_NS6detail15normal_iteratorINSA_7pointerIsNSA_11hip_rocprim3tagENSA_11use_defaultESG_EEEEPS6_SJ_NS0_5tupleIJPsSJ_EEENSK_IJSJ_SJ_EEES6_PlJ7is_evenIsEEEE10hipError_tPvRmT3_T4_T5_T6_T7_T9_mT8_P12ihipStream_tbDpT10_ENKUlT_T0_E_clISt17integral_constantIbLb1EES1A_EEDaS15_S16_EUlS15_E_NS1_11comp_targetILNS1_3genE3ELNS1_11target_archE908ELNS1_3gpuE7ELNS1_3repE0EEENS1_30default_config_static_selectorELNS0_4arch9wavefront6targetE1EEEvT1_
		.amdhsa_group_segment_fixed_size 0
		.amdhsa_private_segment_fixed_size 0
		.amdhsa_kernarg_size 136
		.amdhsa_user_sgpr_count 6
		.amdhsa_user_sgpr_private_segment_buffer 1
		.amdhsa_user_sgpr_dispatch_ptr 0
		.amdhsa_user_sgpr_queue_ptr 0
		.amdhsa_user_sgpr_kernarg_segment_ptr 1
		.amdhsa_user_sgpr_dispatch_id 0
		.amdhsa_user_sgpr_flat_scratch_init 0
		.amdhsa_user_sgpr_kernarg_preload_length 0
		.amdhsa_user_sgpr_kernarg_preload_offset 0
		.amdhsa_user_sgpr_private_segment_size 0
		.amdhsa_uses_dynamic_stack 0
		.amdhsa_system_sgpr_private_segment_wavefront_offset 0
		.amdhsa_system_sgpr_workgroup_id_x 1
		.amdhsa_system_sgpr_workgroup_id_y 0
		.amdhsa_system_sgpr_workgroup_id_z 0
		.amdhsa_system_sgpr_workgroup_info 0
		.amdhsa_system_vgpr_workitem_id 0
		.amdhsa_next_free_vgpr 1
		.amdhsa_next_free_sgpr 0
		.amdhsa_accum_offset 4
		.amdhsa_reserve_vcc 0
		.amdhsa_reserve_flat_scratch 0
		.amdhsa_float_round_mode_32 0
		.amdhsa_float_round_mode_16_64 0
		.amdhsa_float_denorm_mode_32 3
		.amdhsa_float_denorm_mode_16_64 3
		.amdhsa_dx10_clamp 1
		.amdhsa_ieee_mode 1
		.amdhsa_fp16_overflow 0
		.amdhsa_tg_split 0
		.amdhsa_exception_fp_ieee_invalid_op 0
		.amdhsa_exception_fp_denorm_src 0
		.amdhsa_exception_fp_ieee_div_zero 0
		.amdhsa_exception_fp_ieee_overflow 0
		.amdhsa_exception_fp_ieee_underflow 0
		.amdhsa_exception_fp_ieee_inexact 0
		.amdhsa_exception_int_div_zero 0
	.end_amdhsa_kernel
	.section	.text._ZN7rocprim17ROCPRIM_400000_NS6detail17trampoline_kernelINS0_14default_configENS1_25partition_config_selectorILNS1_17partition_subalgoE3EsNS0_10empty_typeEbEEZZNS1_14partition_implILS5_3ELb0ES3_jN6thrust23THRUST_200600_302600_NS6detail15normal_iteratorINSA_7pointerIsNSA_11hip_rocprim3tagENSA_11use_defaultESG_EEEEPS6_SJ_NS0_5tupleIJPsSJ_EEENSK_IJSJ_SJ_EEES6_PlJ7is_evenIsEEEE10hipError_tPvRmT3_T4_T5_T6_T7_T9_mT8_P12ihipStream_tbDpT10_ENKUlT_T0_E_clISt17integral_constantIbLb1EES1A_EEDaS15_S16_EUlS15_E_NS1_11comp_targetILNS1_3genE3ELNS1_11target_archE908ELNS1_3gpuE7ELNS1_3repE0EEENS1_30default_config_static_selectorELNS0_4arch9wavefront6targetE1EEEvT1_,"axG",@progbits,_ZN7rocprim17ROCPRIM_400000_NS6detail17trampoline_kernelINS0_14default_configENS1_25partition_config_selectorILNS1_17partition_subalgoE3EsNS0_10empty_typeEbEEZZNS1_14partition_implILS5_3ELb0ES3_jN6thrust23THRUST_200600_302600_NS6detail15normal_iteratorINSA_7pointerIsNSA_11hip_rocprim3tagENSA_11use_defaultESG_EEEEPS6_SJ_NS0_5tupleIJPsSJ_EEENSK_IJSJ_SJ_EEES6_PlJ7is_evenIsEEEE10hipError_tPvRmT3_T4_T5_T6_T7_T9_mT8_P12ihipStream_tbDpT10_ENKUlT_T0_E_clISt17integral_constantIbLb1EES1A_EEDaS15_S16_EUlS15_E_NS1_11comp_targetILNS1_3genE3ELNS1_11target_archE908ELNS1_3gpuE7ELNS1_3repE0EEENS1_30default_config_static_selectorELNS0_4arch9wavefront6targetE1EEEvT1_,comdat
.Lfunc_end151:
	.size	_ZN7rocprim17ROCPRIM_400000_NS6detail17trampoline_kernelINS0_14default_configENS1_25partition_config_selectorILNS1_17partition_subalgoE3EsNS0_10empty_typeEbEEZZNS1_14partition_implILS5_3ELb0ES3_jN6thrust23THRUST_200600_302600_NS6detail15normal_iteratorINSA_7pointerIsNSA_11hip_rocprim3tagENSA_11use_defaultESG_EEEEPS6_SJ_NS0_5tupleIJPsSJ_EEENSK_IJSJ_SJ_EEES6_PlJ7is_evenIsEEEE10hipError_tPvRmT3_T4_T5_T6_T7_T9_mT8_P12ihipStream_tbDpT10_ENKUlT_T0_E_clISt17integral_constantIbLb1EES1A_EEDaS15_S16_EUlS15_E_NS1_11comp_targetILNS1_3genE3ELNS1_11target_archE908ELNS1_3gpuE7ELNS1_3repE0EEENS1_30default_config_static_selectorELNS0_4arch9wavefront6targetE1EEEvT1_, .Lfunc_end151-_ZN7rocprim17ROCPRIM_400000_NS6detail17trampoline_kernelINS0_14default_configENS1_25partition_config_selectorILNS1_17partition_subalgoE3EsNS0_10empty_typeEbEEZZNS1_14partition_implILS5_3ELb0ES3_jN6thrust23THRUST_200600_302600_NS6detail15normal_iteratorINSA_7pointerIsNSA_11hip_rocprim3tagENSA_11use_defaultESG_EEEEPS6_SJ_NS0_5tupleIJPsSJ_EEENSK_IJSJ_SJ_EEES6_PlJ7is_evenIsEEEE10hipError_tPvRmT3_T4_T5_T6_T7_T9_mT8_P12ihipStream_tbDpT10_ENKUlT_T0_E_clISt17integral_constantIbLb1EES1A_EEDaS15_S16_EUlS15_E_NS1_11comp_targetILNS1_3genE3ELNS1_11target_archE908ELNS1_3gpuE7ELNS1_3repE0EEENS1_30default_config_static_selectorELNS0_4arch9wavefront6targetE1EEEvT1_
                                        ; -- End function
	.section	.AMDGPU.csdata,"",@progbits
; Kernel info:
; codeLenInByte = 0
; NumSgprs: 4
; NumVgprs: 0
; NumAgprs: 0
; TotalNumVgprs: 0
; ScratchSize: 0
; MemoryBound: 0
; FloatMode: 240
; IeeeMode: 1
; LDSByteSize: 0 bytes/workgroup (compile time only)
; SGPRBlocks: 0
; VGPRBlocks: 0
; NumSGPRsForWavesPerEU: 4
; NumVGPRsForWavesPerEU: 1
; AccumOffset: 4
; Occupancy: 8
; WaveLimiterHint : 0
; COMPUTE_PGM_RSRC2:SCRATCH_EN: 0
; COMPUTE_PGM_RSRC2:USER_SGPR: 6
; COMPUTE_PGM_RSRC2:TRAP_HANDLER: 0
; COMPUTE_PGM_RSRC2:TGID_X_EN: 1
; COMPUTE_PGM_RSRC2:TGID_Y_EN: 0
; COMPUTE_PGM_RSRC2:TGID_Z_EN: 0
; COMPUTE_PGM_RSRC2:TIDIG_COMP_CNT: 0
; COMPUTE_PGM_RSRC3_GFX90A:ACCUM_OFFSET: 0
; COMPUTE_PGM_RSRC3_GFX90A:TG_SPLIT: 0
	.section	.text._ZN7rocprim17ROCPRIM_400000_NS6detail17trampoline_kernelINS0_14default_configENS1_25partition_config_selectorILNS1_17partition_subalgoE3EsNS0_10empty_typeEbEEZZNS1_14partition_implILS5_3ELb0ES3_jN6thrust23THRUST_200600_302600_NS6detail15normal_iteratorINSA_7pointerIsNSA_11hip_rocprim3tagENSA_11use_defaultESG_EEEEPS6_SJ_NS0_5tupleIJPsSJ_EEENSK_IJSJ_SJ_EEES6_PlJ7is_evenIsEEEE10hipError_tPvRmT3_T4_T5_T6_T7_T9_mT8_P12ihipStream_tbDpT10_ENKUlT_T0_E_clISt17integral_constantIbLb1EES1A_EEDaS15_S16_EUlS15_E_NS1_11comp_targetILNS1_3genE2ELNS1_11target_archE906ELNS1_3gpuE6ELNS1_3repE0EEENS1_30default_config_static_selectorELNS0_4arch9wavefront6targetE1EEEvT1_,"axG",@progbits,_ZN7rocprim17ROCPRIM_400000_NS6detail17trampoline_kernelINS0_14default_configENS1_25partition_config_selectorILNS1_17partition_subalgoE3EsNS0_10empty_typeEbEEZZNS1_14partition_implILS5_3ELb0ES3_jN6thrust23THRUST_200600_302600_NS6detail15normal_iteratorINSA_7pointerIsNSA_11hip_rocprim3tagENSA_11use_defaultESG_EEEEPS6_SJ_NS0_5tupleIJPsSJ_EEENSK_IJSJ_SJ_EEES6_PlJ7is_evenIsEEEE10hipError_tPvRmT3_T4_T5_T6_T7_T9_mT8_P12ihipStream_tbDpT10_ENKUlT_T0_E_clISt17integral_constantIbLb1EES1A_EEDaS15_S16_EUlS15_E_NS1_11comp_targetILNS1_3genE2ELNS1_11target_archE906ELNS1_3gpuE6ELNS1_3repE0EEENS1_30default_config_static_selectorELNS0_4arch9wavefront6targetE1EEEvT1_,comdat
	.protected	_ZN7rocprim17ROCPRIM_400000_NS6detail17trampoline_kernelINS0_14default_configENS1_25partition_config_selectorILNS1_17partition_subalgoE3EsNS0_10empty_typeEbEEZZNS1_14partition_implILS5_3ELb0ES3_jN6thrust23THRUST_200600_302600_NS6detail15normal_iteratorINSA_7pointerIsNSA_11hip_rocprim3tagENSA_11use_defaultESG_EEEEPS6_SJ_NS0_5tupleIJPsSJ_EEENSK_IJSJ_SJ_EEES6_PlJ7is_evenIsEEEE10hipError_tPvRmT3_T4_T5_T6_T7_T9_mT8_P12ihipStream_tbDpT10_ENKUlT_T0_E_clISt17integral_constantIbLb1EES1A_EEDaS15_S16_EUlS15_E_NS1_11comp_targetILNS1_3genE2ELNS1_11target_archE906ELNS1_3gpuE6ELNS1_3repE0EEENS1_30default_config_static_selectorELNS0_4arch9wavefront6targetE1EEEvT1_ ; -- Begin function _ZN7rocprim17ROCPRIM_400000_NS6detail17trampoline_kernelINS0_14default_configENS1_25partition_config_selectorILNS1_17partition_subalgoE3EsNS0_10empty_typeEbEEZZNS1_14partition_implILS5_3ELb0ES3_jN6thrust23THRUST_200600_302600_NS6detail15normal_iteratorINSA_7pointerIsNSA_11hip_rocprim3tagENSA_11use_defaultESG_EEEEPS6_SJ_NS0_5tupleIJPsSJ_EEENSK_IJSJ_SJ_EEES6_PlJ7is_evenIsEEEE10hipError_tPvRmT3_T4_T5_T6_T7_T9_mT8_P12ihipStream_tbDpT10_ENKUlT_T0_E_clISt17integral_constantIbLb1EES1A_EEDaS15_S16_EUlS15_E_NS1_11comp_targetILNS1_3genE2ELNS1_11target_archE906ELNS1_3gpuE6ELNS1_3repE0EEENS1_30default_config_static_selectorELNS0_4arch9wavefront6targetE1EEEvT1_
	.globl	_ZN7rocprim17ROCPRIM_400000_NS6detail17trampoline_kernelINS0_14default_configENS1_25partition_config_selectorILNS1_17partition_subalgoE3EsNS0_10empty_typeEbEEZZNS1_14partition_implILS5_3ELb0ES3_jN6thrust23THRUST_200600_302600_NS6detail15normal_iteratorINSA_7pointerIsNSA_11hip_rocprim3tagENSA_11use_defaultESG_EEEEPS6_SJ_NS0_5tupleIJPsSJ_EEENSK_IJSJ_SJ_EEES6_PlJ7is_evenIsEEEE10hipError_tPvRmT3_T4_T5_T6_T7_T9_mT8_P12ihipStream_tbDpT10_ENKUlT_T0_E_clISt17integral_constantIbLb1EES1A_EEDaS15_S16_EUlS15_E_NS1_11comp_targetILNS1_3genE2ELNS1_11target_archE906ELNS1_3gpuE6ELNS1_3repE0EEENS1_30default_config_static_selectorELNS0_4arch9wavefront6targetE1EEEvT1_
	.p2align	8
	.type	_ZN7rocprim17ROCPRIM_400000_NS6detail17trampoline_kernelINS0_14default_configENS1_25partition_config_selectorILNS1_17partition_subalgoE3EsNS0_10empty_typeEbEEZZNS1_14partition_implILS5_3ELb0ES3_jN6thrust23THRUST_200600_302600_NS6detail15normal_iteratorINSA_7pointerIsNSA_11hip_rocprim3tagENSA_11use_defaultESG_EEEEPS6_SJ_NS0_5tupleIJPsSJ_EEENSK_IJSJ_SJ_EEES6_PlJ7is_evenIsEEEE10hipError_tPvRmT3_T4_T5_T6_T7_T9_mT8_P12ihipStream_tbDpT10_ENKUlT_T0_E_clISt17integral_constantIbLb1EES1A_EEDaS15_S16_EUlS15_E_NS1_11comp_targetILNS1_3genE2ELNS1_11target_archE906ELNS1_3gpuE6ELNS1_3repE0EEENS1_30default_config_static_selectorELNS0_4arch9wavefront6targetE1EEEvT1_,@function
_ZN7rocprim17ROCPRIM_400000_NS6detail17trampoline_kernelINS0_14default_configENS1_25partition_config_selectorILNS1_17partition_subalgoE3EsNS0_10empty_typeEbEEZZNS1_14partition_implILS5_3ELb0ES3_jN6thrust23THRUST_200600_302600_NS6detail15normal_iteratorINSA_7pointerIsNSA_11hip_rocprim3tagENSA_11use_defaultESG_EEEEPS6_SJ_NS0_5tupleIJPsSJ_EEENSK_IJSJ_SJ_EEES6_PlJ7is_evenIsEEEE10hipError_tPvRmT3_T4_T5_T6_T7_T9_mT8_P12ihipStream_tbDpT10_ENKUlT_T0_E_clISt17integral_constantIbLb1EES1A_EEDaS15_S16_EUlS15_E_NS1_11comp_targetILNS1_3genE2ELNS1_11target_archE906ELNS1_3gpuE6ELNS1_3repE0EEENS1_30default_config_static_selectorELNS0_4arch9wavefront6targetE1EEEvT1_: ; @_ZN7rocprim17ROCPRIM_400000_NS6detail17trampoline_kernelINS0_14default_configENS1_25partition_config_selectorILNS1_17partition_subalgoE3EsNS0_10empty_typeEbEEZZNS1_14partition_implILS5_3ELb0ES3_jN6thrust23THRUST_200600_302600_NS6detail15normal_iteratorINSA_7pointerIsNSA_11hip_rocprim3tagENSA_11use_defaultESG_EEEEPS6_SJ_NS0_5tupleIJPsSJ_EEENSK_IJSJ_SJ_EEES6_PlJ7is_evenIsEEEE10hipError_tPvRmT3_T4_T5_T6_T7_T9_mT8_P12ihipStream_tbDpT10_ENKUlT_T0_E_clISt17integral_constantIbLb1EES1A_EEDaS15_S16_EUlS15_E_NS1_11comp_targetILNS1_3genE2ELNS1_11target_archE906ELNS1_3gpuE6ELNS1_3repE0EEENS1_30default_config_static_selectorELNS0_4arch9wavefront6targetE1EEEvT1_
; %bb.0:
	.section	.rodata,"a",@progbits
	.p2align	6, 0x0
	.amdhsa_kernel _ZN7rocprim17ROCPRIM_400000_NS6detail17trampoline_kernelINS0_14default_configENS1_25partition_config_selectorILNS1_17partition_subalgoE3EsNS0_10empty_typeEbEEZZNS1_14partition_implILS5_3ELb0ES3_jN6thrust23THRUST_200600_302600_NS6detail15normal_iteratorINSA_7pointerIsNSA_11hip_rocprim3tagENSA_11use_defaultESG_EEEEPS6_SJ_NS0_5tupleIJPsSJ_EEENSK_IJSJ_SJ_EEES6_PlJ7is_evenIsEEEE10hipError_tPvRmT3_T4_T5_T6_T7_T9_mT8_P12ihipStream_tbDpT10_ENKUlT_T0_E_clISt17integral_constantIbLb1EES1A_EEDaS15_S16_EUlS15_E_NS1_11comp_targetILNS1_3genE2ELNS1_11target_archE906ELNS1_3gpuE6ELNS1_3repE0EEENS1_30default_config_static_selectorELNS0_4arch9wavefront6targetE1EEEvT1_
		.amdhsa_group_segment_fixed_size 0
		.amdhsa_private_segment_fixed_size 0
		.amdhsa_kernarg_size 136
		.amdhsa_user_sgpr_count 6
		.amdhsa_user_sgpr_private_segment_buffer 1
		.amdhsa_user_sgpr_dispatch_ptr 0
		.amdhsa_user_sgpr_queue_ptr 0
		.amdhsa_user_sgpr_kernarg_segment_ptr 1
		.amdhsa_user_sgpr_dispatch_id 0
		.amdhsa_user_sgpr_flat_scratch_init 0
		.amdhsa_user_sgpr_kernarg_preload_length 0
		.amdhsa_user_sgpr_kernarg_preload_offset 0
		.amdhsa_user_sgpr_private_segment_size 0
		.amdhsa_uses_dynamic_stack 0
		.amdhsa_system_sgpr_private_segment_wavefront_offset 0
		.amdhsa_system_sgpr_workgroup_id_x 1
		.amdhsa_system_sgpr_workgroup_id_y 0
		.amdhsa_system_sgpr_workgroup_id_z 0
		.amdhsa_system_sgpr_workgroup_info 0
		.amdhsa_system_vgpr_workitem_id 0
		.amdhsa_next_free_vgpr 1
		.amdhsa_next_free_sgpr 0
		.amdhsa_accum_offset 4
		.amdhsa_reserve_vcc 0
		.amdhsa_reserve_flat_scratch 0
		.amdhsa_float_round_mode_32 0
		.amdhsa_float_round_mode_16_64 0
		.amdhsa_float_denorm_mode_32 3
		.amdhsa_float_denorm_mode_16_64 3
		.amdhsa_dx10_clamp 1
		.amdhsa_ieee_mode 1
		.amdhsa_fp16_overflow 0
		.amdhsa_tg_split 0
		.amdhsa_exception_fp_ieee_invalid_op 0
		.amdhsa_exception_fp_denorm_src 0
		.amdhsa_exception_fp_ieee_div_zero 0
		.amdhsa_exception_fp_ieee_overflow 0
		.amdhsa_exception_fp_ieee_underflow 0
		.amdhsa_exception_fp_ieee_inexact 0
		.amdhsa_exception_int_div_zero 0
	.end_amdhsa_kernel
	.section	.text._ZN7rocprim17ROCPRIM_400000_NS6detail17trampoline_kernelINS0_14default_configENS1_25partition_config_selectorILNS1_17partition_subalgoE3EsNS0_10empty_typeEbEEZZNS1_14partition_implILS5_3ELb0ES3_jN6thrust23THRUST_200600_302600_NS6detail15normal_iteratorINSA_7pointerIsNSA_11hip_rocprim3tagENSA_11use_defaultESG_EEEEPS6_SJ_NS0_5tupleIJPsSJ_EEENSK_IJSJ_SJ_EEES6_PlJ7is_evenIsEEEE10hipError_tPvRmT3_T4_T5_T6_T7_T9_mT8_P12ihipStream_tbDpT10_ENKUlT_T0_E_clISt17integral_constantIbLb1EES1A_EEDaS15_S16_EUlS15_E_NS1_11comp_targetILNS1_3genE2ELNS1_11target_archE906ELNS1_3gpuE6ELNS1_3repE0EEENS1_30default_config_static_selectorELNS0_4arch9wavefront6targetE1EEEvT1_,"axG",@progbits,_ZN7rocprim17ROCPRIM_400000_NS6detail17trampoline_kernelINS0_14default_configENS1_25partition_config_selectorILNS1_17partition_subalgoE3EsNS0_10empty_typeEbEEZZNS1_14partition_implILS5_3ELb0ES3_jN6thrust23THRUST_200600_302600_NS6detail15normal_iteratorINSA_7pointerIsNSA_11hip_rocprim3tagENSA_11use_defaultESG_EEEEPS6_SJ_NS0_5tupleIJPsSJ_EEENSK_IJSJ_SJ_EEES6_PlJ7is_evenIsEEEE10hipError_tPvRmT3_T4_T5_T6_T7_T9_mT8_P12ihipStream_tbDpT10_ENKUlT_T0_E_clISt17integral_constantIbLb1EES1A_EEDaS15_S16_EUlS15_E_NS1_11comp_targetILNS1_3genE2ELNS1_11target_archE906ELNS1_3gpuE6ELNS1_3repE0EEENS1_30default_config_static_selectorELNS0_4arch9wavefront6targetE1EEEvT1_,comdat
.Lfunc_end152:
	.size	_ZN7rocprim17ROCPRIM_400000_NS6detail17trampoline_kernelINS0_14default_configENS1_25partition_config_selectorILNS1_17partition_subalgoE3EsNS0_10empty_typeEbEEZZNS1_14partition_implILS5_3ELb0ES3_jN6thrust23THRUST_200600_302600_NS6detail15normal_iteratorINSA_7pointerIsNSA_11hip_rocprim3tagENSA_11use_defaultESG_EEEEPS6_SJ_NS0_5tupleIJPsSJ_EEENSK_IJSJ_SJ_EEES6_PlJ7is_evenIsEEEE10hipError_tPvRmT3_T4_T5_T6_T7_T9_mT8_P12ihipStream_tbDpT10_ENKUlT_T0_E_clISt17integral_constantIbLb1EES1A_EEDaS15_S16_EUlS15_E_NS1_11comp_targetILNS1_3genE2ELNS1_11target_archE906ELNS1_3gpuE6ELNS1_3repE0EEENS1_30default_config_static_selectorELNS0_4arch9wavefront6targetE1EEEvT1_, .Lfunc_end152-_ZN7rocprim17ROCPRIM_400000_NS6detail17trampoline_kernelINS0_14default_configENS1_25partition_config_selectorILNS1_17partition_subalgoE3EsNS0_10empty_typeEbEEZZNS1_14partition_implILS5_3ELb0ES3_jN6thrust23THRUST_200600_302600_NS6detail15normal_iteratorINSA_7pointerIsNSA_11hip_rocprim3tagENSA_11use_defaultESG_EEEEPS6_SJ_NS0_5tupleIJPsSJ_EEENSK_IJSJ_SJ_EEES6_PlJ7is_evenIsEEEE10hipError_tPvRmT3_T4_T5_T6_T7_T9_mT8_P12ihipStream_tbDpT10_ENKUlT_T0_E_clISt17integral_constantIbLb1EES1A_EEDaS15_S16_EUlS15_E_NS1_11comp_targetILNS1_3genE2ELNS1_11target_archE906ELNS1_3gpuE6ELNS1_3repE0EEENS1_30default_config_static_selectorELNS0_4arch9wavefront6targetE1EEEvT1_
                                        ; -- End function
	.section	.AMDGPU.csdata,"",@progbits
; Kernel info:
; codeLenInByte = 0
; NumSgprs: 4
; NumVgprs: 0
; NumAgprs: 0
; TotalNumVgprs: 0
; ScratchSize: 0
; MemoryBound: 0
; FloatMode: 240
; IeeeMode: 1
; LDSByteSize: 0 bytes/workgroup (compile time only)
; SGPRBlocks: 0
; VGPRBlocks: 0
; NumSGPRsForWavesPerEU: 4
; NumVGPRsForWavesPerEU: 1
; AccumOffset: 4
; Occupancy: 8
; WaveLimiterHint : 0
; COMPUTE_PGM_RSRC2:SCRATCH_EN: 0
; COMPUTE_PGM_RSRC2:USER_SGPR: 6
; COMPUTE_PGM_RSRC2:TRAP_HANDLER: 0
; COMPUTE_PGM_RSRC2:TGID_X_EN: 1
; COMPUTE_PGM_RSRC2:TGID_Y_EN: 0
; COMPUTE_PGM_RSRC2:TGID_Z_EN: 0
; COMPUTE_PGM_RSRC2:TIDIG_COMP_CNT: 0
; COMPUTE_PGM_RSRC3_GFX90A:ACCUM_OFFSET: 0
; COMPUTE_PGM_RSRC3_GFX90A:TG_SPLIT: 0
	.section	.text._ZN7rocprim17ROCPRIM_400000_NS6detail17trampoline_kernelINS0_14default_configENS1_25partition_config_selectorILNS1_17partition_subalgoE3EsNS0_10empty_typeEbEEZZNS1_14partition_implILS5_3ELb0ES3_jN6thrust23THRUST_200600_302600_NS6detail15normal_iteratorINSA_7pointerIsNSA_11hip_rocprim3tagENSA_11use_defaultESG_EEEEPS6_SJ_NS0_5tupleIJPsSJ_EEENSK_IJSJ_SJ_EEES6_PlJ7is_evenIsEEEE10hipError_tPvRmT3_T4_T5_T6_T7_T9_mT8_P12ihipStream_tbDpT10_ENKUlT_T0_E_clISt17integral_constantIbLb1EES1A_EEDaS15_S16_EUlS15_E_NS1_11comp_targetILNS1_3genE10ELNS1_11target_archE1200ELNS1_3gpuE4ELNS1_3repE0EEENS1_30default_config_static_selectorELNS0_4arch9wavefront6targetE1EEEvT1_,"axG",@progbits,_ZN7rocprim17ROCPRIM_400000_NS6detail17trampoline_kernelINS0_14default_configENS1_25partition_config_selectorILNS1_17partition_subalgoE3EsNS0_10empty_typeEbEEZZNS1_14partition_implILS5_3ELb0ES3_jN6thrust23THRUST_200600_302600_NS6detail15normal_iteratorINSA_7pointerIsNSA_11hip_rocprim3tagENSA_11use_defaultESG_EEEEPS6_SJ_NS0_5tupleIJPsSJ_EEENSK_IJSJ_SJ_EEES6_PlJ7is_evenIsEEEE10hipError_tPvRmT3_T4_T5_T6_T7_T9_mT8_P12ihipStream_tbDpT10_ENKUlT_T0_E_clISt17integral_constantIbLb1EES1A_EEDaS15_S16_EUlS15_E_NS1_11comp_targetILNS1_3genE10ELNS1_11target_archE1200ELNS1_3gpuE4ELNS1_3repE0EEENS1_30default_config_static_selectorELNS0_4arch9wavefront6targetE1EEEvT1_,comdat
	.protected	_ZN7rocprim17ROCPRIM_400000_NS6detail17trampoline_kernelINS0_14default_configENS1_25partition_config_selectorILNS1_17partition_subalgoE3EsNS0_10empty_typeEbEEZZNS1_14partition_implILS5_3ELb0ES3_jN6thrust23THRUST_200600_302600_NS6detail15normal_iteratorINSA_7pointerIsNSA_11hip_rocprim3tagENSA_11use_defaultESG_EEEEPS6_SJ_NS0_5tupleIJPsSJ_EEENSK_IJSJ_SJ_EEES6_PlJ7is_evenIsEEEE10hipError_tPvRmT3_T4_T5_T6_T7_T9_mT8_P12ihipStream_tbDpT10_ENKUlT_T0_E_clISt17integral_constantIbLb1EES1A_EEDaS15_S16_EUlS15_E_NS1_11comp_targetILNS1_3genE10ELNS1_11target_archE1200ELNS1_3gpuE4ELNS1_3repE0EEENS1_30default_config_static_selectorELNS0_4arch9wavefront6targetE1EEEvT1_ ; -- Begin function _ZN7rocprim17ROCPRIM_400000_NS6detail17trampoline_kernelINS0_14default_configENS1_25partition_config_selectorILNS1_17partition_subalgoE3EsNS0_10empty_typeEbEEZZNS1_14partition_implILS5_3ELb0ES3_jN6thrust23THRUST_200600_302600_NS6detail15normal_iteratorINSA_7pointerIsNSA_11hip_rocprim3tagENSA_11use_defaultESG_EEEEPS6_SJ_NS0_5tupleIJPsSJ_EEENSK_IJSJ_SJ_EEES6_PlJ7is_evenIsEEEE10hipError_tPvRmT3_T4_T5_T6_T7_T9_mT8_P12ihipStream_tbDpT10_ENKUlT_T0_E_clISt17integral_constantIbLb1EES1A_EEDaS15_S16_EUlS15_E_NS1_11comp_targetILNS1_3genE10ELNS1_11target_archE1200ELNS1_3gpuE4ELNS1_3repE0EEENS1_30default_config_static_selectorELNS0_4arch9wavefront6targetE1EEEvT1_
	.globl	_ZN7rocprim17ROCPRIM_400000_NS6detail17trampoline_kernelINS0_14default_configENS1_25partition_config_selectorILNS1_17partition_subalgoE3EsNS0_10empty_typeEbEEZZNS1_14partition_implILS5_3ELb0ES3_jN6thrust23THRUST_200600_302600_NS6detail15normal_iteratorINSA_7pointerIsNSA_11hip_rocprim3tagENSA_11use_defaultESG_EEEEPS6_SJ_NS0_5tupleIJPsSJ_EEENSK_IJSJ_SJ_EEES6_PlJ7is_evenIsEEEE10hipError_tPvRmT3_T4_T5_T6_T7_T9_mT8_P12ihipStream_tbDpT10_ENKUlT_T0_E_clISt17integral_constantIbLb1EES1A_EEDaS15_S16_EUlS15_E_NS1_11comp_targetILNS1_3genE10ELNS1_11target_archE1200ELNS1_3gpuE4ELNS1_3repE0EEENS1_30default_config_static_selectorELNS0_4arch9wavefront6targetE1EEEvT1_
	.p2align	8
	.type	_ZN7rocprim17ROCPRIM_400000_NS6detail17trampoline_kernelINS0_14default_configENS1_25partition_config_selectorILNS1_17partition_subalgoE3EsNS0_10empty_typeEbEEZZNS1_14partition_implILS5_3ELb0ES3_jN6thrust23THRUST_200600_302600_NS6detail15normal_iteratorINSA_7pointerIsNSA_11hip_rocprim3tagENSA_11use_defaultESG_EEEEPS6_SJ_NS0_5tupleIJPsSJ_EEENSK_IJSJ_SJ_EEES6_PlJ7is_evenIsEEEE10hipError_tPvRmT3_T4_T5_T6_T7_T9_mT8_P12ihipStream_tbDpT10_ENKUlT_T0_E_clISt17integral_constantIbLb1EES1A_EEDaS15_S16_EUlS15_E_NS1_11comp_targetILNS1_3genE10ELNS1_11target_archE1200ELNS1_3gpuE4ELNS1_3repE0EEENS1_30default_config_static_selectorELNS0_4arch9wavefront6targetE1EEEvT1_,@function
_ZN7rocprim17ROCPRIM_400000_NS6detail17trampoline_kernelINS0_14default_configENS1_25partition_config_selectorILNS1_17partition_subalgoE3EsNS0_10empty_typeEbEEZZNS1_14partition_implILS5_3ELb0ES3_jN6thrust23THRUST_200600_302600_NS6detail15normal_iteratorINSA_7pointerIsNSA_11hip_rocprim3tagENSA_11use_defaultESG_EEEEPS6_SJ_NS0_5tupleIJPsSJ_EEENSK_IJSJ_SJ_EEES6_PlJ7is_evenIsEEEE10hipError_tPvRmT3_T4_T5_T6_T7_T9_mT8_P12ihipStream_tbDpT10_ENKUlT_T0_E_clISt17integral_constantIbLb1EES1A_EEDaS15_S16_EUlS15_E_NS1_11comp_targetILNS1_3genE10ELNS1_11target_archE1200ELNS1_3gpuE4ELNS1_3repE0EEENS1_30default_config_static_selectorELNS0_4arch9wavefront6targetE1EEEvT1_: ; @_ZN7rocprim17ROCPRIM_400000_NS6detail17trampoline_kernelINS0_14default_configENS1_25partition_config_selectorILNS1_17partition_subalgoE3EsNS0_10empty_typeEbEEZZNS1_14partition_implILS5_3ELb0ES3_jN6thrust23THRUST_200600_302600_NS6detail15normal_iteratorINSA_7pointerIsNSA_11hip_rocprim3tagENSA_11use_defaultESG_EEEEPS6_SJ_NS0_5tupleIJPsSJ_EEENSK_IJSJ_SJ_EEES6_PlJ7is_evenIsEEEE10hipError_tPvRmT3_T4_T5_T6_T7_T9_mT8_P12ihipStream_tbDpT10_ENKUlT_T0_E_clISt17integral_constantIbLb1EES1A_EEDaS15_S16_EUlS15_E_NS1_11comp_targetILNS1_3genE10ELNS1_11target_archE1200ELNS1_3gpuE4ELNS1_3repE0EEENS1_30default_config_static_selectorELNS0_4arch9wavefront6targetE1EEEvT1_
; %bb.0:
	.section	.rodata,"a",@progbits
	.p2align	6, 0x0
	.amdhsa_kernel _ZN7rocprim17ROCPRIM_400000_NS6detail17trampoline_kernelINS0_14default_configENS1_25partition_config_selectorILNS1_17partition_subalgoE3EsNS0_10empty_typeEbEEZZNS1_14partition_implILS5_3ELb0ES3_jN6thrust23THRUST_200600_302600_NS6detail15normal_iteratorINSA_7pointerIsNSA_11hip_rocprim3tagENSA_11use_defaultESG_EEEEPS6_SJ_NS0_5tupleIJPsSJ_EEENSK_IJSJ_SJ_EEES6_PlJ7is_evenIsEEEE10hipError_tPvRmT3_T4_T5_T6_T7_T9_mT8_P12ihipStream_tbDpT10_ENKUlT_T0_E_clISt17integral_constantIbLb1EES1A_EEDaS15_S16_EUlS15_E_NS1_11comp_targetILNS1_3genE10ELNS1_11target_archE1200ELNS1_3gpuE4ELNS1_3repE0EEENS1_30default_config_static_selectorELNS0_4arch9wavefront6targetE1EEEvT1_
		.amdhsa_group_segment_fixed_size 0
		.amdhsa_private_segment_fixed_size 0
		.amdhsa_kernarg_size 136
		.amdhsa_user_sgpr_count 6
		.amdhsa_user_sgpr_private_segment_buffer 1
		.amdhsa_user_sgpr_dispatch_ptr 0
		.amdhsa_user_sgpr_queue_ptr 0
		.amdhsa_user_sgpr_kernarg_segment_ptr 1
		.amdhsa_user_sgpr_dispatch_id 0
		.amdhsa_user_sgpr_flat_scratch_init 0
		.amdhsa_user_sgpr_kernarg_preload_length 0
		.amdhsa_user_sgpr_kernarg_preload_offset 0
		.amdhsa_user_sgpr_private_segment_size 0
		.amdhsa_uses_dynamic_stack 0
		.amdhsa_system_sgpr_private_segment_wavefront_offset 0
		.amdhsa_system_sgpr_workgroup_id_x 1
		.amdhsa_system_sgpr_workgroup_id_y 0
		.amdhsa_system_sgpr_workgroup_id_z 0
		.amdhsa_system_sgpr_workgroup_info 0
		.amdhsa_system_vgpr_workitem_id 0
		.amdhsa_next_free_vgpr 1
		.amdhsa_next_free_sgpr 0
		.amdhsa_accum_offset 4
		.amdhsa_reserve_vcc 0
		.amdhsa_reserve_flat_scratch 0
		.amdhsa_float_round_mode_32 0
		.amdhsa_float_round_mode_16_64 0
		.amdhsa_float_denorm_mode_32 3
		.amdhsa_float_denorm_mode_16_64 3
		.amdhsa_dx10_clamp 1
		.amdhsa_ieee_mode 1
		.amdhsa_fp16_overflow 0
		.amdhsa_tg_split 0
		.amdhsa_exception_fp_ieee_invalid_op 0
		.amdhsa_exception_fp_denorm_src 0
		.amdhsa_exception_fp_ieee_div_zero 0
		.amdhsa_exception_fp_ieee_overflow 0
		.amdhsa_exception_fp_ieee_underflow 0
		.amdhsa_exception_fp_ieee_inexact 0
		.amdhsa_exception_int_div_zero 0
	.end_amdhsa_kernel
	.section	.text._ZN7rocprim17ROCPRIM_400000_NS6detail17trampoline_kernelINS0_14default_configENS1_25partition_config_selectorILNS1_17partition_subalgoE3EsNS0_10empty_typeEbEEZZNS1_14partition_implILS5_3ELb0ES3_jN6thrust23THRUST_200600_302600_NS6detail15normal_iteratorINSA_7pointerIsNSA_11hip_rocprim3tagENSA_11use_defaultESG_EEEEPS6_SJ_NS0_5tupleIJPsSJ_EEENSK_IJSJ_SJ_EEES6_PlJ7is_evenIsEEEE10hipError_tPvRmT3_T4_T5_T6_T7_T9_mT8_P12ihipStream_tbDpT10_ENKUlT_T0_E_clISt17integral_constantIbLb1EES1A_EEDaS15_S16_EUlS15_E_NS1_11comp_targetILNS1_3genE10ELNS1_11target_archE1200ELNS1_3gpuE4ELNS1_3repE0EEENS1_30default_config_static_selectorELNS0_4arch9wavefront6targetE1EEEvT1_,"axG",@progbits,_ZN7rocprim17ROCPRIM_400000_NS6detail17trampoline_kernelINS0_14default_configENS1_25partition_config_selectorILNS1_17partition_subalgoE3EsNS0_10empty_typeEbEEZZNS1_14partition_implILS5_3ELb0ES3_jN6thrust23THRUST_200600_302600_NS6detail15normal_iteratorINSA_7pointerIsNSA_11hip_rocprim3tagENSA_11use_defaultESG_EEEEPS6_SJ_NS0_5tupleIJPsSJ_EEENSK_IJSJ_SJ_EEES6_PlJ7is_evenIsEEEE10hipError_tPvRmT3_T4_T5_T6_T7_T9_mT8_P12ihipStream_tbDpT10_ENKUlT_T0_E_clISt17integral_constantIbLb1EES1A_EEDaS15_S16_EUlS15_E_NS1_11comp_targetILNS1_3genE10ELNS1_11target_archE1200ELNS1_3gpuE4ELNS1_3repE0EEENS1_30default_config_static_selectorELNS0_4arch9wavefront6targetE1EEEvT1_,comdat
.Lfunc_end153:
	.size	_ZN7rocprim17ROCPRIM_400000_NS6detail17trampoline_kernelINS0_14default_configENS1_25partition_config_selectorILNS1_17partition_subalgoE3EsNS0_10empty_typeEbEEZZNS1_14partition_implILS5_3ELb0ES3_jN6thrust23THRUST_200600_302600_NS6detail15normal_iteratorINSA_7pointerIsNSA_11hip_rocprim3tagENSA_11use_defaultESG_EEEEPS6_SJ_NS0_5tupleIJPsSJ_EEENSK_IJSJ_SJ_EEES6_PlJ7is_evenIsEEEE10hipError_tPvRmT3_T4_T5_T6_T7_T9_mT8_P12ihipStream_tbDpT10_ENKUlT_T0_E_clISt17integral_constantIbLb1EES1A_EEDaS15_S16_EUlS15_E_NS1_11comp_targetILNS1_3genE10ELNS1_11target_archE1200ELNS1_3gpuE4ELNS1_3repE0EEENS1_30default_config_static_selectorELNS0_4arch9wavefront6targetE1EEEvT1_, .Lfunc_end153-_ZN7rocprim17ROCPRIM_400000_NS6detail17trampoline_kernelINS0_14default_configENS1_25partition_config_selectorILNS1_17partition_subalgoE3EsNS0_10empty_typeEbEEZZNS1_14partition_implILS5_3ELb0ES3_jN6thrust23THRUST_200600_302600_NS6detail15normal_iteratorINSA_7pointerIsNSA_11hip_rocprim3tagENSA_11use_defaultESG_EEEEPS6_SJ_NS0_5tupleIJPsSJ_EEENSK_IJSJ_SJ_EEES6_PlJ7is_evenIsEEEE10hipError_tPvRmT3_T4_T5_T6_T7_T9_mT8_P12ihipStream_tbDpT10_ENKUlT_T0_E_clISt17integral_constantIbLb1EES1A_EEDaS15_S16_EUlS15_E_NS1_11comp_targetILNS1_3genE10ELNS1_11target_archE1200ELNS1_3gpuE4ELNS1_3repE0EEENS1_30default_config_static_selectorELNS0_4arch9wavefront6targetE1EEEvT1_
                                        ; -- End function
	.section	.AMDGPU.csdata,"",@progbits
; Kernel info:
; codeLenInByte = 0
; NumSgprs: 4
; NumVgprs: 0
; NumAgprs: 0
; TotalNumVgprs: 0
; ScratchSize: 0
; MemoryBound: 0
; FloatMode: 240
; IeeeMode: 1
; LDSByteSize: 0 bytes/workgroup (compile time only)
; SGPRBlocks: 0
; VGPRBlocks: 0
; NumSGPRsForWavesPerEU: 4
; NumVGPRsForWavesPerEU: 1
; AccumOffset: 4
; Occupancy: 8
; WaveLimiterHint : 0
; COMPUTE_PGM_RSRC2:SCRATCH_EN: 0
; COMPUTE_PGM_RSRC2:USER_SGPR: 6
; COMPUTE_PGM_RSRC2:TRAP_HANDLER: 0
; COMPUTE_PGM_RSRC2:TGID_X_EN: 1
; COMPUTE_PGM_RSRC2:TGID_Y_EN: 0
; COMPUTE_PGM_RSRC2:TGID_Z_EN: 0
; COMPUTE_PGM_RSRC2:TIDIG_COMP_CNT: 0
; COMPUTE_PGM_RSRC3_GFX90A:ACCUM_OFFSET: 0
; COMPUTE_PGM_RSRC3_GFX90A:TG_SPLIT: 0
	.section	.text._ZN7rocprim17ROCPRIM_400000_NS6detail17trampoline_kernelINS0_14default_configENS1_25partition_config_selectorILNS1_17partition_subalgoE3EsNS0_10empty_typeEbEEZZNS1_14partition_implILS5_3ELb0ES3_jN6thrust23THRUST_200600_302600_NS6detail15normal_iteratorINSA_7pointerIsNSA_11hip_rocprim3tagENSA_11use_defaultESG_EEEEPS6_SJ_NS0_5tupleIJPsSJ_EEENSK_IJSJ_SJ_EEES6_PlJ7is_evenIsEEEE10hipError_tPvRmT3_T4_T5_T6_T7_T9_mT8_P12ihipStream_tbDpT10_ENKUlT_T0_E_clISt17integral_constantIbLb1EES1A_EEDaS15_S16_EUlS15_E_NS1_11comp_targetILNS1_3genE9ELNS1_11target_archE1100ELNS1_3gpuE3ELNS1_3repE0EEENS1_30default_config_static_selectorELNS0_4arch9wavefront6targetE1EEEvT1_,"axG",@progbits,_ZN7rocprim17ROCPRIM_400000_NS6detail17trampoline_kernelINS0_14default_configENS1_25partition_config_selectorILNS1_17partition_subalgoE3EsNS0_10empty_typeEbEEZZNS1_14partition_implILS5_3ELb0ES3_jN6thrust23THRUST_200600_302600_NS6detail15normal_iteratorINSA_7pointerIsNSA_11hip_rocprim3tagENSA_11use_defaultESG_EEEEPS6_SJ_NS0_5tupleIJPsSJ_EEENSK_IJSJ_SJ_EEES6_PlJ7is_evenIsEEEE10hipError_tPvRmT3_T4_T5_T6_T7_T9_mT8_P12ihipStream_tbDpT10_ENKUlT_T0_E_clISt17integral_constantIbLb1EES1A_EEDaS15_S16_EUlS15_E_NS1_11comp_targetILNS1_3genE9ELNS1_11target_archE1100ELNS1_3gpuE3ELNS1_3repE0EEENS1_30default_config_static_selectorELNS0_4arch9wavefront6targetE1EEEvT1_,comdat
	.protected	_ZN7rocprim17ROCPRIM_400000_NS6detail17trampoline_kernelINS0_14default_configENS1_25partition_config_selectorILNS1_17partition_subalgoE3EsNS0_10empty_typeEbEEZZNS1_14partition_implILS5_3ELb0ES3_jN6thrust23THRUST_200600_302600_NS6detail15normal_iteratorINSA_7pointerIsNSA_11hip_rocprim3tagENSA_11use_defaultESG_EEEEPS6_SJ_NS0_5tupleIJPsSJ_EEENSK_IJSJ_SJ_EEES6_PlJ7is_evenIsEEEE10hipError_tPvRmT3_T4_T5_T6_T7_T9_mT8_P12ihipStream_tbDpT10_ENKUlT_T0_E_clISt17integral_constantIbLb1EES1A_EEDaS15_S16_EUlS15_E_NS1_11comp_targetILNS1_3genE9ELNS1_11target_archE1100ELNS1_3gpuE3ELNS1_3repE0EEENS1_30default_config_static_selectorELNS0_4arch9wavefront6targetE1EEEvT1_ ; -- Begin function _ZN7rocprim17ROCPRIM_400000_NS6detail17trampoline_kernelINS0_14default_configENS1_25partition_config_selectorILNS1_17partition_subalgoE3EsNS0_10empty_typeEbEEZZNS1_14partition_implILS5_3ELb0ES3_jN6thrust23THRUST_200600_302600_NS6detail15normal_iteratorINSA_7pointerIsNSA_11hip_rocprim3tagENSA_11use_defaultESG_EEEEPS6_SJ_NS0_5tupleIJPsSJ_EEENSK_IJSJ_SJ_EEES6_PlJ7is_evenIsEEEE10hipError_tPvRmT3_T4_T5_T6_T7_T9_mT8_P12ihipStream_tbDpT10_ENKUlT_T0_E_clISt17integral_constantIbLb1EES1A_EEDaS15_S16_EUlS15_E_NS1_11comp_targetILNS1_3genE9ELNS1_11target_archE1100ELNS1_3gpuE3ELNS1_3repE0EEENS1_30default_config_static_selectorELNS0_4arch9wavefront6targetE1EEEvT1_
	.globl	_ZN7rocprim17ROCPRIM_400000_NS6detail17trampoline_kernelINS0_14default_configENS1_25partition_config_selectorILNS1_17partition_subalgoE3EsNS0_10empty_typeEbEEZZNS1_14partition_implILS5_3ELb0ES3_jN6thrust23THRUST_200600_302600_NS6detail15normal_iteratorINSA_7pointerIsNSA_11hip_rocprim3tagENSA_11use_defaultESG_EEEEPS6_SJ_NS0_5tupleIJPsSJ_EEENSK_IJSJ_SJ_EEES6_PlJ7is_evenIsEEEE10hipError_tPvRmT3_T4_T5_T6_T7_T9_mT8_P12ihipStream_tbDpT10_ENKUlT_T0_E_clISt17integral_constantIbLb1EES1A_EEDaS15_S16_EUlS15_E_NS1_11comp_targetILNS1_3genE9ELNS1_11target_archE1100ELNS1_3gpuE3ELNS1_3repE0EEENS1_30default_config_static_selectorELNS0_4arch9wavefront6targetE1EEEvT1_
	.p2align	8
	.type	_ZN7rocprim17ROCPRIM_400000_NS6detail17trampoline_kernelINS0_14default_configENS1_25partition_config_selectorILNS1_17partition_subalgoE3EsNS0_10empty_typeEbEEZZNS1_14partition_implILS5_3ELb0ES3_jN6thrust23THRUST_200600_302600_NS6detail15normal_iteratorINSA_7pointerIsNSA_11hip_rocprim3tagENSA_11use_defaultESG_EEEEPS6_SJ_NS0_5tupleIJPsSJ_EEENSK_IJSJ_SJ_EEES6_PlJ7is_evenIsEEEE10hipError_tPvRmT3_T4_T5_T6_T7_T9_mT8_P12ihipStream_tbDpT10_ENKUlT_T0_E_clISt17integral_constantIbLb1EES1A_EEDaS15_S16_EUlS15_E_NS1_11comp_targetILNS1_3genE9ELNS1_11target_archE1100ELNS1_3gpuE3ELNS1_3repE0EEENS1_30default_config_static_selectorELNS0_4arch9wavefront6targetE1EEEvT1_,@function
_ZN7rocprim17ROCPRIM_400000_NS6detail17trampoline_kernelINS0_14default_configENS1_25partition_config_selectorILNS1_17partition_subalgoE3EsNS0_10empty_typeEbEEZZNS1_14partition_implILS5_3ELb0ES3_jN6thrust23THRUST_200600_302600_NS6detail15normal_iteratorINSA_7pointerIsNSA_11hip_rocprim3tagENSA_11use_defaultESG_EEEEPS6_SJ_NS0_5tupleIJPsSJ_EEENSK_IJSJ_SJ_EEES6_PlJ7is_evenIsEEEE10hipError_tPvRmT3_T4_T5_T6_T7_T9_mT8_P12ihipStream_tbDpT10_ENKUlT_T0_E_clISt17integral_constantIbLb1EES1A_EEDaS15_S16_EUlS15_E_NS1_11comp_targetILNS1_3genE9ELNS1_11target_archE1100ELNS1_3gpuE3ELNS1_3repE0EEENS1_30default_config_static_selectorELNS0_4arch9wavefront6targetE1EEEvT1_: ; @_ZN7rocprim17ROCPRIM_400000_NS6detail17trampoline_kernelINS0_14default_configENS1_25partition_config_selectorILNS1_17partition_subalgoE3EsNS0_10empty_typeEbEEZZNS1_14partition_implILS5_3ELb0ES3_jN6thrust23THRUST_200600_302600_NS6detail15normal_iteratorINSA_7pointerIsNSA_11hip_rocprim3tagENSA_11use_defaultESG_EEEEPS6_SJ_NS0_5tupleIJPsSJ_EEENSK_IJSJ_SJ_EEES6_PlJ7is_evenIsEEEE10hipError_tPvRmT3_T4_T5_T6_T7_T9_mT8_P12ihipStream_tbDpT10_ENKUlT_T0_E_clISt17integral_constantIbLb1EES1A_EEDaS15_S16_EUlS15_E_NS1_11comp_targetILNS1_3genE9ELNS1_11target_archE1100ELNS1_3gpuE3ELNS1_3repE0EEENS1_30default_config_static_selectorELNS0_4arch9wavefront6targetE1EEEvT1_
; %bb.0:
	.section	.rodata,"a",@progbits
	.p2align	6, 0x0
	.amdhsa_kernel _ZN7rocprim17ROCPRIM_400000_NS6detail17trampoline_kernelINS0_14default_configENS1_25partition_config_selectorILNS1_17partition_subalgoE3EsNS0_10empty_typeEbEEZZNS1_14partition_implILS5_3ELb0ES3_jN6thrust23THRUST_200600_302600_NS6detail15normal_iteratorINSA_7pointerIsNSA_11hip_rocprim3tagENSA_11use_defaultESG_EEEEPS6_SJ_NS0_5tupleIJPsSJ_EEENSK_IJSJ_SJ_EEES6_PlJ7is_evenIsEEEE10hipError_tPvRmT3_T4_T5_T6_T7_T9_mT8_P12ihipStream_tbDpT10_ENKUlT_T0_E_clISt17integral_constantIbLb1EES1A_EEDaS15_S16_EUlS15_E_NS1_11comp_targetILNS1_3genE9ELNS1_11target_archE1100ELNS1_3gpuE3ELNS1_3repE0EEENS1_30default_config_static_selectorELNS0_4arch9wavefront6targetE1EEEvT1_
		.amdhsa_group_segment_fixed_size 0
		.amdhsa_private_segment_fixed_size 0
		.amdhsa_kernarg_size 136
		.amdhsa_user_sgpr_count 6
		.amdhsa_user_sgpr_private_segment_buffer 1
		.amdhsa_user_sgpr_dispatch_ptr 0
		.amdhsa_user_sgpr_queue_ptr 0
		.amdhsa_user_sgpr_kernarg_segment_ptr 1
		.amdhsa_user_sgpr_dispatch_id 0
		.amdhsa_user_sgpr_flat_scratch_init 0
		.amdhsa_user_sgpr_kernarg_preload_length 0
		.amdhsa_user_sgpr_kernarg_preload_offset 0
		.amdhsa_user_sgpr_private_segment_size 0
		.amdhsa_uses_dynamic_stack 0
		.amdhsa_system_sgpr_private_segment_wavefront_offset 0
		.amdhsa_system_sgpr_workgroup_id_x 1
		.amdhsa_system_sgpr_workgroup_id_y 0
		.amdhsa_system_sgpr_workgroup_id_z 0
		.amdhsa_system_sgpr_workgroup_info 0
		.amdhsa_system_vgpr_workitem_id 0
		.amdhsa_next_free_vgpr 1
		.amdhsa_next_free_sgpr 0
		.amdhsa_accum_offset 4
		.amdhsa_reserve_vcc 0
		.amdhsa_reserve_flat_scratch 0
		.amdhsa_float_round_mode_32 0
		.amdhsa_float_round_mode_16_64 0
		.amdhsa_float_denorm_mode_32 3
		.amdhsa_float_denorm_mode_16_64 3
		.amdhsa_dx10_clamp 1
		.amdhsa_ieee_mode 1
		.amdhsa_fp16_overflow 0
		.amdhsa_tg_split 0
		.amdhsa_exception_fp_ieee_invalid_op 0
		.amdhsa_exception_fp_denorm_src 0
		.amdhsa_exception_fp_ieee_div_zero 0
		.amdhsa_exception_fp_ieee_overflow 0
		.amdhsa_exception_fp_ieee_underflow 0
		.amdhsa_exception_fp_ieee_inexact 0
		.amdhsa_exception_int_div_zero 0
	.end_amdhsa_kernel
	.section	.text._ZN7rocprim17ROCPRIM_400000_NS6detail17trampoline_kernelINS0_14default_configENS1_25partition_config_selectorILNS1_17partition_subalgoE3EsNS0_10empty_typeEbEEZZNS1_14partition_implILS5_3ELb0ES3_jN6thrust23THRUST_200600_302600_NS6detail15normal_iteratorINSA_7pointerIsNSA_11hip_rocprim3tagENSA_11use_defaultESG_EEEEPS6_SJ_NS0_5tupleIJPsSJ_EEENSK_IJSJ_SJ_EEES6_PlJ7is_evenIsEEEE10hipError_tPvRmT3_T4_T5_T6_T7_T9_mT8_P12ihipStream_tbDpT10_ENKUlT_T0_E_clISt17integral_constantIbLb1EES1A_EEDaS15_S16_EUlS15_E_NS1_11comp_targetILNS1_3genE9ELNS1_11target_archE1100ELNS1_3gpuE3ELNS1_3repE0EEENS1_30default_config_static_selectorELNS0_4arch9wavefront6targetE1EEEvT1_,"axG",@progbits,_ZN7rocprim17ROCPRIM_400000_NS6detail17trampoline_kernelINS0_14default_configENS1_25partition_config_selectorILNS1_17partition_subalgoE3EsNS0_10empty_typeEbEEZZNS1_14partition_implILS5_3ELb0ES3_jN6thrust23THRUST_200600_302600_NS6detail15normal_iteratorINSA_7pointerIsNSA_11hip_rocprim3tagENSA_11use_defaultESG_EEEEPS6_SJ_NS0_5tupleIJPsSJ_EEENSK_IJSJ_SJ_EEES6_PlJ7is_evenIsEEEE10hipError_tPvRmT3_T4_T5_T6_T7_T9_mT8_P12ihipStream_tbDpT10_ENKUlT_T0_E_clISt17integral_constantIbLb1EES1A_EEDaS15_S16_EUlS15_E_NS1_11comp_targetILNS1_3genE9ELNS1_11target_archE1100ELNS1_3gpuE3ELNS1_3repE0EEENS1_30default_config_static_selectorELNS0_4arch9wavefront6targetE1EEEvT1_,comdat
.Lfunc_end154:
	.size	_ZN7rocprim17ROCPRIM_400000_NS6detail17trampoline_kernelINS0_14default_configENS1_25partition_config_selectorILNS1_17partition_subalgoE3EsNS0_10empty_typeEbEEZZNS1_14partition_implILS5_3ELb0ES3_jN6thrust23THRUST_200600_302600_NS6detail15normal_iteratorINSA_7pointerIsNSA_11hip_rocprim3tagENSA_11use_defaultESG_EEEEPS6_SJ_NS0_5tupleIJPsSJ_EEENSK_IJSJ_SJ_EEES6_PlJ7is_evenIsEEEE10hipError_tPvRmT3_T4_T5_T6_T7_T9_mT8_P12ihipStream_tbDpT10_ENKUlT_T0_E_clISt17integral_constantIbLb1EES1A_EEDaS15_S16_EUlS15_E_NS1_11comp_targetILNS1_3genE9ELNS1_11target_archE1100ELNS1_3gpuE3ELNS1_3repE0EEENS1_30default_config_static_selectorELNS0_4arch9wavefront6targetE1EEEvT1_, .Lfunc_end154-_ZN7rocprim17ROCPRIM_400000_NS6detail17trampoline_kernelINS0_14default_configENS1_25partition_config_selectorILNS1_17partition_subalgoE3EsNS0_10empty_typeEbEEZZNS1_14partition_implILS5_3ELb0ES3_jN6thrust23THRUST_200600_302600_NS6detail15normal_iteratorINSA_7pointerIsNSA_11hip_rocprim3tagENSA_11use_defaultESG_EEEEPS6_SJ_NS0_5tupleIJPsSJ_EEENSK_IJSJ_SJ_EEES6_PlJ7is_evenIsEEEE10hipError_tPvRmT3_T4_T5_T6_T7_T9_mT8_P12ihipStream_tbDpT10_ENKUlT_T0_E_clISt17integral_constantIbLb1EES1A_EEDaS15_S16_EUlS15_E_NS1_11comp_targetILNS1_3genE9ELNS1_11target_archE1100ELNS1_3gpuE3ELNS1_3repE0EEENS1_30default_config_static_selectorELNS0_4arch9wavefront6targetE1EEEvT1_
                                        ; -- End function
	.section	.AMDGPU.csdata,"",@progbits
; Kernel info:
; codeLenInByte = 0
; NumSgprs: 4
; NumVgprs: 0
; NumAgprs: 0
; TotalNumVgprs: 0
; ScratchSize: 0
; MemoryBound: 0
; FloatMode: 240
; IeeeMode: 1
; LDSByteSize: 0 bytes/workgroup (compile time only)
; SGPRBlocks: 0
; VGPRBlocks: 0
; NumSGPRsForWavesPerEU: 4
; NumVGPRsForWavesPerEU: 1
; AccumOffset: 4
; Occupancy: 8
; WaveLimiterHint : 0
; COMPUTE_PGM_RSRC2:SCRATCH_EN: 0
; COMPUTE_PGM_RSRC2:USER_SGPR: 6
; COMPUTE_PGM_RSRC2:TRAP_HANDLER: 0
; COMPUTE_PGM_RSRC2:TGID_X_EN: 1
; COMPUTE_PGM_RSRC2:TGID_Y_EN: 0
; COMPUTE_PGM_RSRC2:TGID_Z_EN: 0
; COMPUTE_PGM_RSRC2:TIDIG_COMP_CNT: 0
; COMPUTE_PGM_RSRC3_GFX90A:ACCUM_OFFSET: 0
; COMPUTE_PGM_RSRC3_GFX90A:TG_SPLIT: 0
	.section	.text._ZN7rocprim17ROCPRIM_400000_NS6detail17trampoline_kernelINS0_14default_configENS1_25partition_config_selectorILNS1_17partition_subalgoE3EsNS0_10empty_typeEbEEZZNS1_14partition_implILS5_3ELb0ES3_jN6thrust23THRUST_200600_302600_NS6detail15normal_iteratorINSA_7pointerIsNSA_11hip_rocprim3tagENSA_11use_defaultESG_EEEEPS6_SJ_NS0_5tupleIJPsSJ_EEENSK_IJSJ_SJ_EEES6_PlJ7is_evenIsEEEE10hipError_tPvRmT3_T4_T5_T6_T7_T9_mT8_P12ihipStream_tbDpT10_ENKUlT_T0_E_clISt17integral_constantIbLb1EES1A_EEDaS15_S16_EUlS15_E_NS1_11comp_targetILNS1_3genE8ELNS1_11target_archE1030ELNS1_3gpuE2ELNS1_3repE0EEENS1_30default_config_static_selectorELNS0_4arch9wavefront6targetE1EEEvT1_,"axG",@progbits,_ZN7rocprim17ROCPRIM_400000_NS6detail17trampoline_kernelINS0_14default_configENS1_25partition_config_selectorILNS1_17partition_subalgoE3EsNS0_10empty_typeEbEEZZNS1_14partition_implILS5_3ELb0ES3_jN6thrust23THRUST_200600_302600_NS6detail15normal_iteratorINSA_7pointerIsNSA_11hip_rocprim3tagENSA_11use_defaultESG_EEEEPS6_SJ_NS0_5tupleIJPsSJ_EEENSK_IJSJ_SJ_EEES6_PlJ7is_evenIsEEEE10hipError_tPvRmT3_T4_T5_T6_T7_T9_mT8_P12ihipStream_tbDpT10_ENKUlT_T0_E_clISt17integral_constantIbLb1EES1A_EEDaS15_S16_EUlS15_E_NS1_11comp_targetILNS1_3genE8ELNS1_11target_archE1030ELNS1_3gpuE2ELNS1_3repE0EEENS1_30default_config_static_selectorELNS0_4arch9wavefront6targetE1EEEvT1_,comdat
	.protected	_ZN7rocprim17ROCPRIM_400000_NS6detail17trampoline_kernelINS0_14default_configENS1_25partition_config_selectorILNS1_17partition_subalgoE3EsNS0_10empty_typeEbEEZZNS1_14partition_implILS5_3ELb0ES3_jN6thrust23THRUST_200600_302600_NS6detail15normal_iteratorINSA_7pointerIsNSA_11hip_rocprim3tagENSA_11use_defaultESG_EEEEPS6_SJ_NS0_5tupleIJPsSJ_EEENSK_IJSJ_SJ_EEES6_PlJ7is_evenIsEEEE10hipError_tPvRmT3_T4_T5_T6_T7_T9_mT8_P12ihipStream_tbDpT10_ENKUlT_T0_E_clISt17integral_constantIbLb1EES1A_EEDaS15_S16_EUlS15_E_NS1_11comp_targetILNS1_3genE8ELNS1_11target_archE1030ELNS1_3gpuE2ELNS1_3repE0EEENS1_30default_config_static_selectorELNS0_4arch9wavefront6targetE1EEEvT1_ ; -- Begin function _ZN7rocprim17ROCPRIM_400000_NS6detail17trampoline_kernelINS0_14default_configENS1_25partition_config_selectorILNS1_17partition_subalgoE3EsNS0_10empty_typeEbEEZZNS1_14partition_implILS5_3ELb0ES3_jN6thrust23THRUST_200600_302600_NS6detail15normal_iteratorINSA_7pointerIsNSA_11hip_rocprim3tagENSA_11use_defaultESG_EEEEPS6_SJ_NS0_5tupleIJPsSJ_EEENSK_IJSJ_SJ_EEES6_PlJ7is_evenIsEEEE10hipError_tPvRmT3_T4_T5_T6_T7_T9_mT8_P12ihipStream_tbDpT10_ENKUlT_T0_E_clISt17integral_constantIbLb1EES1A_EEDaS15_S16_EUlS15_E_NS1_11comp_targetILNS1_3genE8ELNS1_11target_archE1030ELNS1_3gpuE2ELNS1_3repE0EEENS1_30default_config_static_selectorELNS0_4arch9wavefront6targetE1EEEvT1_
	.globl	_ZN7rocprim17ROCPRIM_400000_NS6detail17trampoline_kernelINS0_14default_configENS1_25partition_config_selectorILNS1_17partition_subalgoE3EsNS0_10empty_typeEbEEZZNS1_14partition_implILS5_3ELb0ES3_jN6thrust23THRUST_200600_302600_NS6detail15normal_iteratorINSA_7pointerIsNSA_11hip_rocprim3tagENSA_11use_defaultESG_EEEEPS6_SJ_NS0_5tupleIJPsSJ_EEENSK_IJSJ_SJ_EEES6_PlJ7is_evenIsEEEE10hipError_tPvRmT3_T4_T5_T6_T7_T9_mT8_P12ihipStream_tbDpT10_ENKUlT_T0_E_clISt17integral_constantIbLb1EES1A_EEDaS15_S16_EUlS15_E_NS1_11comp_targetILNS1_3genE8ELNS1_11target_archE1030ELNS1_3gpuE2ELNS1_3repE0EEENS1_30default_config_static_selectorELNS0_4arch9wavefront6targetE1EEEvT1_
	.p2align	8
	.type	_ZN7rocprim17ROCPRIM_400000_NS6detail17trampoline_kernelINS0_14default_configENS1_25partition_config_selectorILNS1_17partition_subalgoE3EsNS0_10empty_typeEbEEZZNS1_14partition_implILS5_3ELb0ES3_jN6thrust23THRUST_200600_302600_NS6detail15normal_iteratorINSA_7pointerIsNSA_11hip_rocprim3tagENSA_11use_defaultESG_EEEEPS6_SJ_NS0_5tupleIJPsSJ_EEENSK_IJSJ_SJ_EEES6_PlJ7is_evenIsEEEE10hipError_tPvRmT3_T4_T5_T6_T7_T9_mT8_P12ihipStream_tbDpT10_ENKUlT_T0_E_clISt17integral_constantIbLb1EES1A_EEDaS15_S16_EUlS15_E_NS1_11comp_targetILNS1_3genE8ELNS1_11target_archE1030ELNS1_3gpuE2ELNS1_3repE0EEENS1_30default_config_static_selectorELNS0_4arch9wavefront6targetE1EEEvT1_,@function
_ZN7rocprim17ROCPRIM_400000_NS6detail17trampoline_kernelINS0_14default_configENS1_25partition_config_selectorILNS1_17partition_subalgoE3EsNS0_10empty_typeEbEEZZNS1_14partition_implILS5_3ELb0ES3_jN6thrust23THRUST_200600_302600_NS6detail15normal_iteratorINSA_7pointerIsNSA_11hip_rocprim3tagENSA_11use_defaultESG_EEEEPS6_SJ_NS0_5tupleIJPsSJ_EEENSK_IJSJ_SJ_EEES6_PlJ7is_evenIsEEEE10hipError_tPvRmT3_T4_T5_T6_T7_T9_mT8_P12ihipStream_tbDpT10_ENKUlT_T0_E_clISt17integral_constantIbLb1EES1A_EEDaS15_S16_EUlS15_E_NS1_11comp_targetILNS1_3genE8ELNS1_11target_archE1030ELNS1_3gpuE2ELNS1_3repE0EEENS1_30default_config_static_selectorELNS0_4arch9wavefront6targetE1EEEvT1_: ; @_ZN7rocprim17ROCPRIM_400000_NS6detail17trampoline_kernelINS0_14default_configENS1_25partition_config_selectorILNS1_17partition_subalgoE3EsNS0_10empty_typeEbEEZZNS1_14partition_implILS5_3ELb0ES3_jN6thrust23THRUST_200600_302600_NS6detail15normal_iteratorINSA_7pointerIsNSA_11hip_rocprim3tagENSA_11use_defaultESG_EEEEPS6_SJ_NS0_5tupleIJPsSJ_EEENSK_IJSJ_SJ_EEES6_PlJ7is_evenIsEEEE10hipError_tPvRmT3_T4_T5_T6_T7_T9_mT8_P12ihipStream_tbDpT10_ENKUlT_T0_E_clISt17integral_constantIbLb1EES1A_EEDaS15_S16_EUlS15_E_NS1_11comp_targetILNS1_3genE8ELNS1_11target_archE1030ELNS1_3gpuE2ELNS1_3repE0EEENS1_30default_config_static_selectorELNS0_4arch9wavefront6targetE1EEEvT1_
; %bb.0:
	.section	.rodata,"a",@progbits
	.p2align	6, 0x0
	.amdhsa_kernel _ZN7rocprim17ROCPRIM_400000_NS6detail17trampoline_kernelINS0_14default_configENS1_25partition_config_selectorILNS1_17partition_subalgoE3EsNS0_10empty_typeEbEEZZNS1_14partition_implILS5_3ELb0ES3_jN6thrust23THRUST_200600_302600_NS6detail15normal_iteratorINSA_7pointerIsNSA_11hip_rocprim3tagENSA_11use_defaultESG_EEEEPS6_SJ_NS0_5tupleIJPsSJ_EEENSK_IJSJ_SJ_EEES6_PlJ7is_evenIsEEEE10hipError_tPvRmT3_T4_T5_T6_T7_T9_mT8_P12ihipStream_tbDpT10_ENKUlT_T0_E_clISt17integral_constantIbLb1EES1A_EEDaS15_S16_EUlS15_E_NS1_11comp_targetILNS1_3genE8ELNS1_11target_archE1030ELNS1_3gpuE2ELNS1_3repE0EEENS1_30default_config_static_selectorELNS0_4arch9wavefront6targetE1EEEvT1_
		.amdhsa_group_segment_fixed_size 0
		.amdhsa_private_segment_fixed_size 0
		.amdhsa_kernarg_size 136
		.amdhsa_user_sgpr_count 6
		.amdhsa_user_sgpr_private_segment_buffer 1
		.amdhsa_user_sgpr_dispatch_ptr 0
		.amdhsa_user_sgpr_queue_ptr 0
		.amdhsa_user_sgpr_kernarg_segment_ptr 1
		.amdhsa_user_sgpr_dispatch_id 0
		.amdhsa_user_sgpr_flat_scratch_init 0
		.amdhsa_user_sgpr_kernarg_preload_length 0
		.amdhsa_user_sgpr_kernarg_preload_offset 0
		.amdhsa_user_sgpr_private_segment_size 0
		.amdhsa_uses_dynamic_stack 0
		.amdhsa_system_sgpr_private_segment_wavefront_offset 0
		.amdhsa_system_sgpr_workgroup_id_x 1
		.amdhsa_system_sgpr_workgroup_id_y 0
		.amdhsa_system_sgpr_workgroup_id_z 0
		.amdhsa_system_sgpr_workgroup_info 0
		.amdhsa_system_vgpr_workitem_id 0
		.amdhsa_next_free_vgpr 1
		.amdhsa_next_free_sgpr 0
		.amdhsa_accum_offset 4
		.amdhsa_reserve_vcc 0
		.amdhsa_reserve_flat_scratch 0
		.amdhsa_float_round_mode_32 0
		.amdhsa_float_round_mode_16_64 0
		.amdhsa_float_denorm_mode_32 3
		.amdhsa_float_denorm_mode_16_64 3
		.amdhsa_dx10_clamp 1
		.amdhsa_ieee_mode 1
		.amdhsa_fp16_overflow 0
		.amdhsa_tg_split 0
		.amdhsa_exception_fp_ieee_invalid_op 0
		.amdhsa_exception_fp_denorm_src 0
		.amdhsa_exception_fp_ieee_div_zero 0
		.amdhsa_exception_fp_ieee_overflow 0
		.amdhsa_exception_fp_ieee_underflow 0
		.amdhsa_exception_fp_ieee_inexact 0
		.amdhsa_exception_int_div_zero 0
	.end_amdhsa_kernel
	.section	.text._ZN7rocprim17ROCPRIM_400000_NS6detail17trampoline_kernelINS0_14default_configENS1_25partition_config_selectorILNS1_17partition_subalgoE3EsNS0_10empty_typeEbEEZZNS1_14partition_implILS5_3ELb0ES3_jN6thrust23THRUST_200600_302600_NS6detail15normal_iteratorINSA_7pointerIsNSA_11hip_rocprim3tagENSA_11use_defaultESG_EEEEPS6_SJ_NS0_5tupleIJPsSJ_EEENSK_IJSJ_SJ_EEES6_PlJ7is_evenIsEEEE10hipError_tPvRmT3_T4_T5_T6_T7_T9_mT8_P12ihipStream_tbDpT10_ENKUlT_T0_E_clISt17integral_constantIbLb1EES1A_EEDaS15_S16_EUlS15_E_NS1_11comp_targetILNS1_3genE8ELNS1_11target_archE1030ELNS1_3gpuE2ELNS1_3repE0EEENS1_30default_config_static_selectorELNS0_4arch9wavefront6targetE1EEEvT1_,"axG",@progbits,_ZN7rocprim17ROCPRIM_400000_NS6detail17trampoline_kernelINS0_14default_configENS1_25partition_config_selectorILNS1_17partition_subalgoE3EsNS0_10empty_typeEbEEZZNS1_14partition_implILS5_3ELb0ES3_jN6thrust23THRUST_200600_302600_NS6detail15normal_iteratorINSA_7pointerIsNSA_11hip_rocprim3tagENSA_11use_defaultESG_EEEEPS6_SJ_NS0_5tupleIJPsSJ_EEENSK_IJSJ_SJ_EEES6_PlJ7is_evenIsEEEE10hipError_tPvRmT3_T4_T5_T6_T7_T9_mT8_P12ihipStream_tbDpT10_ENKUlT_T0_E_clISt17integral_constantIbLb1EES1A_EEDaS15_S16_EUlS15_E_NS1_11comp_targetILNS1_3genE8ELNS1_11target_archE1030ELNS1_3gpuE2ELNS1_3repE0EEENS1_30default_config_static_selectorELNS0_4arch9wavefront6targetE1EEEvT1_,comdat
.Lfunc_end155:
	.size	_ZN7rocprim17ROCPRIM_400000_NS6detail17trampoline_kernelINS0_14default_configENS1_25partition_config_selectorILNS1_17partition_subalgoE3EsNS0_10empty_typeEbEEZZNS1_14partition_implILS5_3ELb0ES3_jN6thrust23THRUST_200600_302600_NS6detail15normal_iteratorINSA_7pointerIsNSA_11hip_rocprim3tagENSA_11use_defaultESG_EEEEPS6_SJ_NS0_5tupleIJPsSJ_EEENSK_IJSJ_SJ_EEES6_PlJ7is_evenIsEEEE10hipError_tPvRmT3_T4_T5_T6_T7_T9_mT8_P12ihipStream_tbDpT10_ENKUlT_T0_E_clISt17integral_constantIbLb1EES1A_EEDaS15_S16_EUlS15_E_NS1_11comp_targetILNS1_3genE8ELNS1_11target_archE1030ELNS1_3gpuE2ELNS1_3repE0EEENS1_30default_config_static_selectorELNS0_4arch9wavefront6targetE1EEEvT1_, .Lfunc_end155-_ZN7rocprim17ROCPRIM_400000_NS6detail17trampoline_kernelINS0_14default_configENS1_25partition_config_selectorILNS1_17partition_subalgoE3EsNS0_10empty_typeEbEEZZNS1_14partition_implILS5_3ELb0ES3_jN6thrust23THRUST_200600_302600_NS6detail15normal_iteratorINSA_7pointerIsNSA_11hip_rocprim3tagENSA_11use_defaultESG_EEEEPS6_SJ_NS0_5tupleIJPsSJ_EEENSK_IJSJ_SJ_EEES6_PlJ7is_evenIsEEEE10hipError_tPvRmT3_T4_T5_T6_T7_T9_mT8_P12ihipStream_tbDpT10_ENKUlT_T0_E_clISt17integral_constantIbLb1EES1A_EEDaS15_S16_EUlS15_E_NS1_11comp_targetILNS1_3genE8ELNS1_11target_archE1030ELNS1_3gpuE2ELNS1_3repE0EEENS1_30default_config_static_selectorELNS0_4arch9wavefront6targetE1EEEvT1_
                                        ; -- End function
	.section	.AMDGPU.csdata,"",@progbits
; Kernel info:
; codeLenInByte = 0
; NumSgprs: 4
; NumVgprs: 0
; NumAgprs: 0
; TotalNumVgprs: 0
; ScratchSize: 0
; MemoryBound: 0
; FloatMode: 240
; IeeeMode: 1
; LDSByteSize: 0 bytes/workgroup (compile time only)
; SGPRBlocks: 0
; VGPRBlocks: 0
; NumSGPRsForWavesPerEU: 4
; NumVGPRsForWavesPerEU: 1
; AccumOffset: 4
; Occupancy: 8
; WaveLimiterHint : 0
; COMPUTE_PGM_RSRC2:SCRATCH_EN: 0
; COMPUTE_PGM_RSRC2:USER_SGPR: 6
; COMPUTE_PGM_RSRC2:TRAP_HANDLER: 0
; COMPUTE_PGM_RSRC2:TGID_X_EN: 1
; COMPUTE_PGM_RSRC2:TGID_Y_EN: 0
; COMPUTE_PGM_RSRC2:TGID_Z_EN: 0
; COMPUTE_PGM_RSRC2:TIDIG_COMP_CNT: 0
; COMPUTE_PGM_RSRC3_GFX90A:ACCUM_OFFSET: 0
; COMPUTE_PGM_RSRC3_GFX90A:TG_SPLIT: 0
	.section	.text._ZN7rocprim17ROCPRIM_400000_NS6detail17trampoline_kernelINS0_14default_configENS1_25partition_config_selectorILNS1_17partition_subalgoE3EsNS0_10empty_typeEbEEZZNS1_14partition_implILS5_3ELb0ES3_jN6thrust23THRUST_200600_302600_NS6detail15normal_iteratorINSA_7pointerIsNSA_11hip_rocprim3tagENSA_11use_defaultESG_EEEEPS6_SJ_NS0_5tupleIJPsSJ_EEENSK_IJSJ_SJ_EEES6_PlJ7is_evenIsEEEE10hipError_tPvRmT3_T4_T5_T6_T7_T9_mT8_P12ihipStream_tbDpT10_ENKUlT_T0_E_clISt17integral_constantIbLb1EES19_IbLb0EEEEDaS15_S16_EUlS15_E_NS1_11comp_targetILNS1_3genE0ELNS1_11target_archE4294967295ELNS1_3gpuE0ELNS1_3repE0EEENS1_30default_config_static_selectorELNS0_4arch9wavefront6targetE1EEEvT1_,"axG",@progbits,_ZN7rocprim17ROCPRIM_400000_NS6detail17trampoline_kernelINS0_14default_configENS1_25partition_config_selectorILNS1_17partition_subalgoE3EsNS0_10empty_typeEbEEZZNS1_14partition_implILS5_3ELb0ES3_jN6thrust23THRUST_200600_302600_NS6detail15normal_iteratorINSA_7pointerIsNSA_11hip_rocprim3tagENSA_11use_defaultESG_EEEEPS6_SJ_NS0_5tupleIJPsSJ_EEENSK_IJSJ_SJ_EEES6_PlJ7is_evenIsEEEE10hipError_tPvRmT3_T4_T5_T6_T7_T9_mT8_P12ihipStream_tbDpT10_ENKUlT_T0_E_clISt17integral_constantIbLb1EES19_IbLb0EEEEDaS15_S16_EUlS15_E_NS1_11comp_targetILNS1_3genE0ELNS1_11target_archE4294967295ELNS1_3gpuE0ELNS1_3repE0EEENS1_30default_config_static_selectorELNS0_4arch9wavefront6targetE1EEEvT1_,comdat
	.protected	_ZN7rocprim17ROCPRIM_400000_NS6detail17trampoline_kernelINS0_14default_configENS1_25partition_config_selectorILNS1_17partition_subalgoE3EsNS0_10empty_typeEbEEZZNS1_14partition_implILS5_3ELb0ES3_jN6thrust23THRUST_200600_302600_NS6detail15normal_iteratorINSA_7pointerIsNSA_11hip_rocprim3tagENSA_11use_defaultESG_EEEEPS6_SJ_NS0_5tupleIJPsSJ_EEENSK_IJSJ_SJ_EEES6_PlJ7is_evenIsEEEE10hipError_tPvRmT3_T4_T5_T6_T7_T9_mT8_P12ihipStream_tbDpT10_ENKUlT_T0_E_clISt17integral_constantIbLb1EES19_IbLb0EEEEDaS15_S16_EUlS15_E_NS1_11comp_targetILNS1_3genE0ELNS1_11target_archE4294967295ELNS1_3gpuE0ELNS1_3repE0EEENS1_30default_config_static_selectorELNS0_4arch9wavefront6targetE1EEEvT1_ ; -- Begin function _ZN7rocprim17ROCPRIM_400000_NS6detail17trampoline_kernelINS0_14default_configENS1_25partition_config_selectorILNS1_17partition_subalgoE3EsNS0_10empty_typeEbEEZZNS1_14partition_implILS5_3ELb0ES3_jN6thrust23THRUST_200600_302600_NS6detail15normal_iteratorINSA_7pointerIsNSA_11hip_rocprim3tagENSA_11use_defaultESG_EEEEPS6_SJ_NS0_5tupleIJPsSJ_EEENSK_IJSJ_SJ_EEES6_PlJ7is_evenIsEEEE10hipError_tPvRmT3_T4_T5_T6_T7_T9_mT8_P12ihipStream_tbDpT10_ENKUlT_T0_E_clISt17integral_constantIbLb1EES19_IbLb0EEEEDaS15_S16_EUlS15_E_NS1_11comp_targetILNS1_3genE0ELNS1_11target_archE4294967295ELNS1_3gpuE0ELNS1_3repE0EEENS1_30default_config_static_selectorELNS0_4arch9wavefront6targetE1EEEvT1_
	.globl	_ZN7rocprim17ROCPRIM_400000_NS6detail17trampoline_kernelINS0_14default_configENS1_25partition_config_selectorILNS1_17partition_subalgoE3EsNS0_10empty_typeEbEEZZNS1_14partition_implILS5_3ELb0ES3_jN6thrust23THRUST_200600_302600_NS6detail15normal_iteratorINSA_7pointerIsNSA_11hip_rocprim3tagENSA_11use_defaultESG_EEEEPS6_SJ_NS0_5tupleIJPsSJ_EEENSK_IJSJ_SJ_EEES6_PlJ7is_evenIsEEEE10hipError_tPvRmT3_T4_T5_T6_T7_T9_mT8_P12ihipStream_tbDpT10_ENKUlT_T0_E_clISt17integral_constantIbLb1EES19_IbLb0EEEEDaS15_S16_EUlS15_E_NS1_11comp_targetILNS1_3genE0ELNS1_11target_archE4294967295ELNS1_3gpuE0ELNS1_3repE0EEENS1_30default_config_static_selectorELNS0_4arch9wavefront6targetE1EEEvT1_
	.p2align	8
	.type	_ZN7rocprim17ROCPRIM_400000_NS6detail17trampoline_kernelINS0_14default_configENS1_25partition_config_selectorILNS1_17partition_subalgoE3EsNS0_10empty_typeEbEEZZNS1_14partition_implILS5_3ELb0ES3_jN6thrust23THRUST_200600_302600_NS6detail15normal_iteratorINSA_7pointerIsNSA_11hip_rocprim3tagENSA_11use_defaultESG_EEEEPS6_SJ_NS0_5tupleIJPsSJ_EEENSK_IJSJ_SJ_EEES6_PlJ7is_evenIsEEEE10hipError_tPvRmT3_T4_T5_T6_T7_T9_mT8_P12ihipStream_tbDpT10_ENKUlT_T0_E_clISt17integral_constantIbLb1EES19_IbLb0EEEEDaS15_S16_EUlS15_E_NS1_11comp_targetILNS1_3genE0ELNS1_11target_archE4294967295ELNS1_3gpuE0ELNS1_3repE0EEENS1_30default_config_static_selectorELNS0_4arch9wavefront6targetE1EEEvT1_,@function
_ZN7rocprim17ROCPRIM_400000_NS6detail17trampoline_kernelINS0_14default_configENS1_25partition_config_selectorILNS1_17partition_subalgoE3EsNS0_10empty_typeEbEEZZNS1_14partition_implILS5_3ELb0ES3_jN6thrust23THRUST_200600_302600_NS6detail15normal_iteratorINSA_7pointerIsNSA_11hip_rocprim3tagENSA_11use_defaultESG_EEEEPS6_SJ_NS0_5tupleIJPsSJ_EEENSK_IJSJ_SJ_EEES6_PlJ7is_evenIsEEEE10hipError_tPvRmT3_T4_T5_T6_T7_T9_mT8_P12ihipStream_tbDpT10_ENKUlT_T0_E_clISt17integral_constantIbLb1EES19_IbLb0EEEEDaS15_S16_EUlS15_E_NS1_11comp_targetILNS1_3genE0ELNS1_11target_archE4294967295ELNS1_3gpuE0ELNS1_3repE0EEENS1_30default_config_static_selectorELNS0_4arch9wavefront6targetE1EEEvT1_: ; @_ZN7rocprim17ROCPRIM_400000_NS6detail17trampoline_kernelINS0_14default_configENS1_25partition_config_selectorILNS1_17partition_subalgoE3EsNS0_10empty_typeEbEEZZNS1_14partition_implILS5_3ELb0ES3_jN6thrust23THRUST_200600_302600_NS6detail15normal_iteratorINSA_7pointerIsNSA_11hip_rocprim3tagENSA_11use_defaultESG_EEEEPS6_SJ_NS0_5tupleIJPsSJ_EEENSK_IJSJ_SJ_EEES6_PlJ7is_evenIsEEEE10hipError_tPvRmT3_T4_T5_T6_T7_T9_mT8_P12ihipStream_tbDpT10_ENKUlT_T0_E_clISt17integral_constantIbLb1EES19_IbLb0EEEEDaS15_S16_EUlS15_E_NS1_11comp_targetILNS1_3genE0ELNS1_11target_archE4294967295ELNS1_3gpuE0ELNS1_3repE0EEENS1_30default_config_static_selectorELNS0_4arch9wavefront6targetE1EEEvT1_
; %bb.0:
	.section	.rodata,"a",@progbits
	.p2align	6, 0x0
	.amdhsa_kernel _ZN7rocprim17ROCPRIM_400000_NS6detail17trampoline_kernelINS0_14default_configENS1_25partition_config_selectorILNS1_17partition_subalgoE3EsNS0_10empty_typeEbEEZZNS1_14partition_implILS5_3ELb0ES3_jN6thrust23THRUST_200600_302600_NS6detail15normal_iteratorINSA_7pointerIsNSA_11hip_rocprim3tagENSA_11use_defaultESG_EEEEPS6_SJ_NS0_5tupleIJPsSJ_EEENSK_IJSJ_SJ_EEES6_PlJ7is_evenIsEEEE10hipError_tPvRmT3_T4_T5_T6_T7_T9_mT8_P12ihipStream_tbDpT10_ENKUlT_T0_E_clISt17integral_constantIbLb1EES19_IbLb0EEEEDaS15_S16_EUlS15_E_NS1_11comp_targetILNS1_3genE0ELNS1_11target_archE4294967295ELNS1_3gpuE0ELNS1_3repE0EEENS1_30default_config_static_selectorELNS0_4arch9wavefront6targetE1EEEvT1_
		.amdhsa_group_segment_fixed_size 0
		.amdhsa_private_segment_fixed_size 0
		.amdhsa_kernarg_size 120
		.amdhsa_user_sgpr_count 6
		.amdhsa_user_sgpr_private_segment_buffer 1
		.amdhsa_user_sgpr_dispatch_ptr 0
		.amdhsa_user_sgpr_queue_ptr 0
		.amdhsa_user_sgpr_kernarg_segment_ptr 1
		.amdhsa_user_sgpr_dispatch_id 0
		.amdhsa_user_sgpr_flat_scratch_init 0
		.amdhsa_user_sgpr_kernarg_preload_length 0
		.amdhsa_user_sgpr_kernarg_preload_offset 0
		.amdhsa_user_sgpr_private_segment_size 0
		.amdhsa_uses_dynamic_stack 0
		.amdhsa_system_sgpr_private_segment_wavefront_offset 0
		.amdhsa_system_sgpr_workgroup_id_x 1
		.amdhsa_system_sgpr_workgroup_id_y 0
		.amdhsa_system_sgpr_workgroup_id_z 0
		.amdhsa_system_sgpr_workgroup_info 0
		.amdhsa_system_vgpr_workitem_id 0
		.amdhsa_next_free_vgpr 1
		.amdhsa_next_free_sgpr 0
		.amdhsa_accum_offset 4
		.amdhsa_reserve_vcc 0
		.amdhsa_reserve_flat_scratch 0
		.amdhsa_float_round_mode_32 0
		.amdhsa_float_round_mode_16_64 0
		.amdhsa_float_denorm_mode_32 3
		.amdhsa_float_denorm_mode_16_64 3
		.amdhsa_dx10_clamp 1
		.amdhsa_ieee_mode 1
		.amdhsa_fp16_overflow 0
		.amdhsa_tg_split 0
		.amdhsa_exception_fp_ieee_invalid_op 0
		.amdhsa_exception_fp_denorm_src 0
		.amdhsa_exception_fp_ieee_div_zero 0
		.amdhsa_exception_fp_ieee_overflow 0
		.amdhsa_exception_fp_ieee_underflow 0
		.amdhsa_exception_fp_ieee_inexact 0
		.amdhsa_exception_int_div_zero 0
	.end_amdhsa_kernel
	.section	.text._ZN7rocprim17ROCPRIM_400000_NS6detail17trampoline_kernelINS0_14default_configENS1_25partition_config_selectorILNS1_17partition_subalgoE3EsNS0_10empty_typeEbEEZZNS1_14partition_implILS5_3ELb0ES3_jN6thrust23THRUST_200600_302600_NS6detail15normal_iteratorINSA_7pointerIsNSA_11hip_rocprim3tagENSA_11use_defaultESG_EEEEPS6_SJ_NS0_5tupleIJPsSJ_EEENSK_IJSJ_SJ_EEES6_PlJ7is_evenIsEEEE10hipError_tPvRmT3_T4_T5_T6_T7_T9_mT8_P12ihipStream_tbDpT10_ENKUlT_T0_E_clISt17integral_constantIbLb1EES19_IbLb0EEEEDaS15_S16_EUlS15_E_NS1_11comp_targetILNS1_3genE0ELNS1_11target_archE4294967295ELNS1_3gpuE0ELNS1_3repE0EEENS1_30default_config_static_selectorELNS0_4arch9wavefront6targetE1EEEvT1_,"axG",@progbits,_ZN7rocprim17ROCPRIM_400000_NS6detail17trampoline_kernelINS0_14default_configENS1_25partition_config_selectorILNS1_17partition_subalgoE3EsNS0_10empty_typeEbEEZZNS1_14partition_implILS5_3ELb0ES3_jN6thrust23THRUST_200600_302600_NS6detail15normal_iteratorINSA_7pointerIsNSA_11hip_rocprim3tagENSA_11use_defaultESG_EEEEPS6_SJ_NS0_5tupleIJPsSJ_EEENSK_IJSJ_SJ_EEES6_PlJ7is_evenIsEEEE10hipError_tPvRmT3_T4_T5_T6_T7_T9_mT8_P12ihipStream_tbDpT10_ENKUlT_T0_E_clISt17integral_constantIbLb1EES19_IbLb0EEEEDaS15_S16_EUlS15_E_NS1_11comp_targetILNS1_3genE0ELNS1_11target_archE4294967295ELNS1_3gpuE0ELNS1_3repE0EEENS1_30default_config_static_selectorELNS0_4arch9wavefront6targetE1EEEvT1_,comdat
.Lfunc_end156:
	.size	_ZN7rocprim17ROCPRIM_400000_NS6detail17trampoline_kernelINS0_14default_configENS1_25partition_config_selectorILNS1_17partition_subalgoE3EsNS0_10empty_typeEbEEZZNS1_14partition_implILS5_3ELb0ES3_jN6thrust23THRUST_200600_302600_NS6detail15normal_iteratorINSA_7pointerIsNSA_11hip_rocprim3tagENSA_11use_defaultESG_EEEEPS6_SJ_NS0_5tupleIJPsSJ_EEENSK_IJSJ_SJ_EEES6_PlJ7is_evenIsEEEE10hipError_tPvRmT3_T4_T5_T6_T7_T9_mT8_P12ihipStream_tbDpT10_ENKUlT_T0_E_clISt17integral_constantIbLb1EES19_IbLb0EEEEDaS15_S16_EUlS15_E_NS1_11comp_targetILNS1_3genE0ELNS1_11target_archE4294967295ELNS1_3gpuE0ELNS1_3repE0EEENS1_30default_config_static_selectorELNS0_4arch9wavefront6targetE1EEEvT1_, .Lfunc_end156-_ZN7rocprim17ROCPRIM_400000_NS6detail17trampoline_kernelINS0_14default_configENS1_25partition_config_selectorILNS1_17partition_subalgoE3EsNS0_10empty_typeEbEEZZNS1_14partition_implILS5_3ELb0ES3_jN6thrust23THRUST_200600_302600_NS6detail15normal_iteratorINSA_7pointerIsNSA_11hip_rocprim3tagENSA_11use_defaultESG_EEEEPS6_SJ_NS0_5tupleIJPsSJ_EEENSK_IJSJ_SJ_EEES6_PlJ7is_evenIsEEEE10hipError_tPvRmT3_T4_T5_T6_T7_T9_mT8_P12ihipStream_tbDpT10_ENKUlT_T0_E_clISt17integral_constantIbLb1EES19_IbLb0EEEEDaS15_S16_EUlS15_E_NS1_11comp_targetILNS1_3genE0ELNS1_11target_archE4294967295ELNS1_3gpuE0ELNS1_3repE0EEENS1_30default_config_static_selectorELNS0_4arch9wavefront6targetE1EEEvT1_
                                        ; -- End function
	.section	.AMDGPU.csdata,"",@progbits
; Kernel info:
; codeLenInByte = 0
; NumSgprs: 4
; NumVgprs: 0
; NumAgprs: 0
; TotalNumVgprs: 0
; ScratchSize: 0
; MemoryBound: 0
; FloatMode: 240
; IeeeMode: 1
; LDSByteSize: 0 bytes/workgroup (compile time only)
; SGPRBlocks: 0
; VGPRBlocks: 0
; NumSGPRsForWavesPerEU: 4
; NumVGPRsForWavesPerEU: 1
; AccumOffset: 4
; Occupancy: 8
; WaveLimiterHint : 0
; COMPUTE_PGM_RSRC2:SCRATCH_EN: 0
; COMPUTE_PGM_RSRC2:USER_SGPR: 6
; COMPUTE_PGM_RSRC2:TRAP_HANDLER: 0
; COMPUTE_PGM_RSRC2:TGID_X_EN: 1
; COMPUTE_PGM_RSRC2:TGID_Y_EN: 0
; COMPUTE_PGM_RSRC2:TGID_Z_EN: 0
; COMPUTE_PGM_RSRC2:TIDIG_COMP_CNT: 0
; COMPUTE_PGM_RSRC3_GFX90A:ACCUM_OFFSET: 0
; COMPUTE_PGM_RSRC3_GFX90A:TG_SPLIT: 0
	.section	.text._ZN7rocprim17ROCPRIM_400000_NS6detail17trampoline_kernelINS0_14default_configENS1_25partition_config_selectorILNS1_17partition_subalgoE3EsNS0_10empty_typeEbEEZZNS1_14partition_implILS5_3ELb0ES3_jN6thrust23THRUST_200600_302600_NS6detail15normal_iteratorINSA_7pointerIsNSA_11hip_rocprim3tagENSA_11use_defaultESG_EEEEPS6_SJ_NS0_5tupleIJPsSJ_EEENSK_IJSJ_SJ_EEES6_PlJ7is_evenIsEEEE10hipError_tPvRmT3_T4_T5_T6_T7_T9_mT8_P12ihipStream_tbDpT10_ENKUlT_T0_E_clISt17integral_constantIbLb1EES19_IbLb0EEEEDaS15_S16_EUlS15_E_NS1_11comp_targetILNS1_3genE5ELNS1_11target_archE942ELNS1_3gpuE9ELNS1_3repE0EEENS1_30default_config_static_selectorELNS0_4arch9wavefront6targetE1EEEvT1_,"axG",@progbits,_ZN7rocprim17ROCPRIM_400000_NS6detail17trampoline_kernelINS0_14default_configENS1_25partition_config_selectorILNS1_17partition_subalgoE3EsNS0_10empty_typeEbEEZZNS1_14partition_implILS5_3ELb0ES3_jN6thrust23THRUST_200600_302600_NS6detail15normal_iteratorINSA_7pointerIsNSA_11hip_rocprim3tagENSA_11use_defaultESG_EEEEPS6_SJ_NS0_5tupleIJPsSJ_EEENSK_IJSJ_SJ_EEES6_PlJ7is_evenIsEEEE10hipError_tPvRmT3_T4_T5_T6_T7_T9_mT8_P12ihipStream_tbDpT10_ENKUlT_T0_E_clISt17integral_constantIbLb1EES19_IbLb0EEEEDaS15_S16_EUlS15_E_NS1_11comp_targetILNS1_3genE5ELNS1_11target_archE942ELNS1_3gpuE9ELNS1_3repE0EEENS1_30default_config_static_selectorELNS0_4arch9wavefront6targetE1EEEvT1_,comdat
	.protected	_ZN7rocprim17ROCPRIM_400000_NS6detail17trampoline_kernelINS0_14default_configENS1_25partition_config_selectorILNS1_17partition_subalgoE3EsNS0_10empty_typeEbEEZZNS1_14partition_implILS5_3ELb0ES3_jN6thrust23THRUST_200600_302600_NS6detail15normal_iteratorINSA_7pointerIsNSA_11hip_rocprim3tagENSA_11use_defaultESG_EEEEPS6_SJ_NS0_5tupleIJPsSJ_EEENSK_IJSJ_SJ_EEES6_PlJ7is_evenIsEEEE10hipError_tPvRmT3_T4_T5_T6_T7_T9_mT8_P12ihipStream_tbDpT10_ENKUlT_T0_E_clISt17integral_constantIbLb1EES19_IbLb0EEEEDaS15_S16_EUlS15_E_NS1_11comp_targetILNS1_3genE5ELNS1_11target_archE942ELNS1_3gpuE9ELNS1_3repE0EEENS1_30default_config_static_selectorELNS0_4arch9wavefront6targetE1EEEvT1_ ; -- Begin function _ZN7rocprim17ROCPRIM_400000_NS6detail17trampoline_kernelINS0_14default_configENS1_25partition_config_selectorILNS1_17partition_subalgoE3EsNS0_10empty_typeEbEEZZNS1_14partition_implILS5_3ELb0ES3_jN6thrust23THRUST_200600_302600_NS6detail15normal_iteratorINSA_7pointerIsNSA_11hip_rocprim3tagENSA_11use_defaultESG_EEEEPS6_SJ_NS0_5tupleIJPsSJ_EEENSK_IJSJ_SJ_EEES6_PlJ7is_evenIsEEEE10hipError_tPvRmT3_T4_T5_T6_T7_T9_mT8_P12ihipStream_tbDpT10_ENKUlT_T0_E_clISt17integral_constantIbLb1EES19_IbLb0EEEEDaS15_S16_EUlS15_E_NS1_11comp_targetILNS1_3genE5ELNS1_11target_archE942ELNS1_3gpuE9ELNS1_3repE0EEENS1_30default_config_static_selectorELNS0_4arch9wavefront6targetE1EEEvT1_
	.globl	_ZN7rocprim17ROCPRIM_400000_NS6detail17trampoline_kernelINS0_14default_configENS1_25partition_config_selectorILNS1_17partition_subalgoE3EsNS0_10empty_typeEbEEZZNS1_14partition_implILS5_3ELb0ES3_jN6thrust23THRUST_200600_302600_NS6detail15normal_iteratorINSA_7pointerIsNSA_11hip_rocprim3tagENSA_11use_defaultESG_EEEEPS6_SJ_NS0_5tupleIJPsSJ_EEENSK_IJSJ_SJ_EEES6_PlJ7is_evenIsEEEE10hipError_tPvRmT3_T4_T5_T6_T7_T9_mT8_P12ihipStream_tbDpT10_ENKUlT_T0_E_clISt17integral_constantIbLb1EES19_IbLb0EEEEDaS15_S16_EUlS15_E_NS1_11comp_targetILNS1_3genE5ELNS1_11target_archE942ELNS1_3gpuE9ELNS1_3repE0EEENS1_30default_config_static_selectorELNS0_4arch9wavefront6targetE1EEEvT1_
	.p2align	8
	.type	_ZN7rocprim17ROCPRIM_400000_NS6detail17trampoline_kernelINS0_14default_configENS1_25partition_config_selectorILNS1_17partition_subalgoE3EsNS0_10empty_typeEbEEZZNS1_14partition_implILS5_3ELb0ES3_jN6thrust23THRUST_200600_302600_NS6detail15normal_iteratorINSA_7pointerIsNSA_11hip_rocprim3tagENSA_11use_defaultESG_EEEEPS6_SJ_NS0_5tupleIJPsSJ_EEENSK_IJSJ_SJ_EEES6_PlJ7is_evenIsEEEE10hipError_tPvRmT3_T4_T5_T6_T7_T9_mT8_P12ihipStream_tbDpT10_ENKUlT_T0_E_clISt17integral_constantIbLb1EES19_IbLb0EEEEDaS15_S16_EUlS15_E_NS1_11comp_targetILNS1_3genE5ELNS1_11target_archE942ELNS1_3gpuE9ELNS1_3repE0EEENS1_30default_config_static_selectorELNS0_4arch9wavefront6targetE1EEEvT1_,@function
_ZN7rocprim17ROCPRIM_400000_NS6detail17trampoline_kernelINS0_14default_configENS1_25partition_config_selectorILNS1_17partition_subalgoE3EsNS0_10empty_typeEbEEZZNS1_14partition_implILS5_3ELb0ES3_jN6thrust23THRUST_200600_302600_NS6detail15normal_iteratorINSA_7pointerIsNSA_11hip_rocprim3tagENSA_11use_defaultESG_EEEEPS6_SJ_NS0_5tupleIJPsSJ_EEENSK_IJSJ_SJ_EEES6_PlJ7is_evenIsEEEE10hipError_tPvRmT3_T4_T5_T6_T7_T9_mT8_P12ihipStream_tbDpT10_ENKUlT_T0_E_clISt17integral_constantIbLb1EES19_IbLb0EEEEDaS15_S16_EUlS15_E_NS1_11comp_targetILNS1_3genE5ELNS1_11target_archE942ELNS1_3gpuE9ELNS1_3repE0EEENS1_30default_config_static_selectorELNS0_4arch9wavefront6targetE1EEEvT1_: ; @_ZN7rocprim17ROCPRIM_400000_NS6detail17trampoline_kernelINS0_14default_configENS1_25partition_config_selectorILNS1_17partition_subalgoE3EsNS0_10empty_typeEbEEZZNS1_14partition_implILS5_3ELb0ES3_jN6thrust23THRUST_200600_302600_NS6detail15normal_iteratorINSA_7pointerIsNSA_11hip_rocprim3tagENSA_11use_defaultESG_EEEEPS6_SJ_NS0_5tupleIJPsSJ_EEENSK_IJSJ_SJ_EEES6_PlJ7is_evenIsEEEE10hipError_tPvRmT3_T4_T5_T6_T7_T9_mT8_P12ihipStream_tbDpT10_ENKUlT_T0_E_clISt17integral_constantIbLb1EES19_IbLb0EEEEDaS15_S16_EUlS15_E_NS1_11comp_targetILNS1_3genE5ELNS1_11target_archE942ELNS1_3gpuE9ELNS1_3repE0EEENS1_30default_config_static_selectorELNS0_4arch9wavefront6targetE1EEEvT1_
; %bb.0:
	.section	.rodata,"a",@progbits
	.p2align	6, 0x0
	.amdhsa_kernel _ZN7rocprim17ROCPRIM_400000_NS6detail17trampoline_kernelINS0_14default_configENS1_25partition_config_selectorILNS1_17partition_subalgoE3EsNS0_10empty_typeEbEEZZNS1_14partition_implILS5_3ELb0ES3_jN6thrust23THRUST_200600_302600_NS6detail15normal_iteratorINSA_7pointerIsNSA_11hip_rocprim3tagENSA_11use_defaultESG_EEEEPS6_SJ_NS0_5tupleIJPsSJ_EEENSK_IJSJ_SJ_EEES6_PlJ7is_evenIsEEEE10hipError_tPvRmT3_T4_T5_T6_T7_T9_mT8_P12ihipStream_tbDpT10_ENKUlT_T0_E_clISt17integral_constantIbLb1EES19_IbLb0EEEEDaS15_S16_EUlS15_E_NS1_11comp_targetILNS1_3genE5ELNS1_11target_archE942ELNS1_3gpuE9ELNS1_3repE0EEENS1_30default_config_static_selectorELNS0_4arch9wavefront6targetE1EEEvT1_
		.amdhsa_group_segment_fixed_size 0
		.amdhsa_private_segment_fixed_size 0
		.amdhsa_kernarg_size 120
		.amdhsa_user_sgpr_count 6
		.amdhsa_user_sgpr_private_segment_buffer 1
		.amdhsa_user_sgpr_dispatch_ptr 0
		.amdhsa_user_sgpr_queue_ptr 0
		.amdhsa_user_sgpr_kernarg_segment_ptr 1
		.amdhsa_user_sgpr_dispatch_id 0
		.amdhsa_user_sgpr_flat_scratch_init 0
		.amdhsa_user_sgpr_kernarg_preload_length 0
		.amdhsa_user_sgpr_kernarg_preload_offset 0
		.amdhsa_user_sgpr_private_segment_size 0
		.amdhsa_uses_dynamic_stack 0
		.amdhsa_system_sgpr_private_segment_wavefront_offset 0
		.amdhsa_system_sgpr_workgroup_id_x 1
		.amdhsa_system_sgpr_workgroup_id_y 0
		.amdhsa_system_sgpr_workgroup_id_z 0
		.amdhsa_system_sgpr_workgroup_info 0
		.amdhsa_system_vgpr_workitem_id 0
		.amdhsa_next_free_vgpr 1
		.amdhsa_next_free_sgpr 0
		.amdhsa_accum_offset 4
		.amdhsa_reserve_vcc 0
		.amdhsa_reserve_flat_scratch 0
		.amdhsa_float_round_mode_32 0
		.amdhsa_float_round_mode_16_64 0
		.amdhsa_float_denorm_mode_32 3
		.amdhsa_float_denorm_mode_16_64 3
		.amdhsa_dx10_clamp 1
		.amdhsa_ieee_mode 1
		.amdhsa_fp16_overflow 0
		.amdhsa_tg_split 0
		.amdhsa_exception_fp_ieee_invalid_op 0
		.amdhsa_exception_fp_denorm_src 0
		.amdhsa_exception_fp_ieee_div_zero 0
		.amdhsa_exception_fp_ieee_overflow 0
		.amdhsa_exception_fp_ieee_underflow 0
		.amdhsa_exception_fp_ieee_inexact 0
		.amdhsa_exception_int_div_zero 0
	.end_amdhsa_kernel
	.section	.text._ZN7rocprim17ROCPRIM_400000_NS6detail17trampoline_kernelINS0_14default_configENS1_25partition_config_selectorILNS1_17partition_subalgoE3EsNS0_10empty_typeEbEEZZNS1_14partition_implILS5_3ELb0ES3_jN6thrust23THRUST_200600_302600_NS6detail15normal_iteratorINSA_7pointerIsNSA_11hip_rocprim3tagENSA_11use_defaultESG_EEEEPS6_SJ_NS0_5tupleIJPsSJ_EEENSK_IJSJ_SJ_EEES6_PlJ7is_evenIsEEEE10hipError_tPvRmT3_T4_T5_T6_T7_T9_mT8_P12ihipStream_tbDpT10_ENKUlT_T0_E_clISt17integral_constantIbLb1EES19_IbLb0EEEEDaS15_S16_EUlS15_E_NS1_11comp_targetILNS1_3genE5ELNS1_11target_archE942ELNS1_3gpuE9ELNS1_3repE0EEENS1_30default_config_static_selectorELNS0_4arch9wavefront6targetE1EEEvT1_,"axG",@progbits,_ZN7rocprim17ROCPRIM_400000_NS6detail17trampoline_kernelINS0_14default_configENS1_25partition_config_selectorILNS1_17partition_subalgoE3EsNS0_10empty_typeEbEEZZNS1_14partition_implILS5_3ELb0ES3_jN6thrust23THRUST_200600_302600_NS6detail15normal_iteratorINSA_7pointerIsNSA_11hip_rocprim3tagENSA_11use_defaultESG_EEEEPS6_SJ_NS0_5tupleIJPsSJ_EEENSK_IJSJ_SJ_EEES6_PlJ7is_evenIsEEEE10hipError_tPvRmT3_T4_T5_T6_T7_T9_mT8_P12ihipStream_tbDpT10_ENKUlT_T0_E_clISt17integral_constantIbLb1EES19_IbLb0EEEEDaS15_S16_EUlS15_E_NS1_11comp_targetILNS1_3genE5ELNS1_11target_archE942ELNS1_3gpuE9ELNS1_3repE0EEENS1_30default_config_static_selectorELNS0_4arch9wavefront6targetE1EEEvT1_,comdat
.Lfunc_end157:
	.size	_ZN7rocprim17ROCPRIM_400000_NS6detail17trampoline_kernelINS0_14default_configENS1_25partition_config_selectorILNS1_17partition_subalgoE3EsNS0_10empty_typeEbEEZZNS1_14partition_implILS5_3ELb0ES3_jN6thrust23THRUST_200600_302600_NS6detail15normal_iteratorINSA_7pointerIsNSA_11hip_rocprim3tagENSA_11use_defaultESG_EEEEPS6_SJ_NS0_5tupleIJPsSJ_EEENSK_IJSJ_SJ_EEES6_PlJ7is_evenIsEEEE10hipError_tPvRmT3_T4_T5_T6_T7_T9_mT8_P12ihipStream_tbDpT10_ENKUlT_T0_E_clISt17integral_constantIbLb1EES19_IbLb0EEEEDaS15_S16_EUlS15_E_NS1_11comp_targetILNS1_3genE5ELNS1_11target_archE942ELNS1_3gpuE9ELNS1_3repE0EEENS1_30default_config_static_selectorELNS0_4arch9wavefront6targetE1EEEvT1_, .Lfunc_end157-_ZN7rocprim17ROCPRIM_400000_NS6detail17trampoline_kernelINS0_14default_configENS1_25partition_config_selectorILNS1_17partition_subalgoE3EsNS0_10empty_typeEbEEZZNS1_14partition_implILS5_3ELb0ES3_jN6thrust23THRUST_200600_302600_NS6detail15normal_iteratorINSA_7pointerIsNSA_11hip_rocprim3tagENSA_11use_defaultESG_EEEEPS6_SJ_NS0_5tupleIJPsSJ_EEENSK_IJSJ_SJ_EEES6_PlJ7is_evenIsEEEE10hipError_tPvRmT3_T4_T5_T6_T7_T9_mT8_P12ihipStream_tbDpT10_ENKUlT_T0_E_clISt17integral_constantIbLb1EES19_IbLb0EEEEDaS15_S16_EUlS15_E_NS1_11comp_targetILNS1_3genE5ELNS1_11target_archE942ELNS1_3gpuE9ELNS1_3repE0EEENS1_30default_config_static_selectorELNS0_4arch9wavefront6targetE1EEEvT1_
                                        ; -- End function
	.section	.AMDGPU.csdata,"",@progbits
; Kernel info:
; codeLenInByte = 0
; NumSgprs: 4
; NumVgprs: 0
; NumAgprs: 0
; TotalNumVgprs: 0
; ScratchSize: 0
; MemoryBound: 0
; FloatMode: 240
; IeeeMode: 1
; LDSByteSize: 0 bytes/workgroup (compile time only)
; SGPRBlocks: 0
; VGPRBlocks: 0
; NumSGPRsForWavesPerEU: 4
; NumVGPRsForWavesPerEU: 1
; AccumOffset: 4
; Occupancy: 8
; WaveLimiterHint : 0
; COMPUTE_PGM_RSRC2:SCRATCH_EN: 0
; COMPUTE_PGM_RSRC2:USER_SGPR: 6
; COMPUTE_PGM_RSRC2:TRAP_HANDLER: 0
; COMPUTE_PGM_RSRC2:TGID_X_EN: 1
; COMPUTE_PGM_RSRC2:TGID_Y_EN: 0
; COMPUTE_PGM_RSRC2:TGID_Z_EN: 0
; COMPUTE_PGM_RSRC2:TIDIG_COMP_CNT: 0
; COMPUTE_PGM_RSRC3_GFX90A:ACCUM_OFFSET: 0
; COMPUTE_PGM_RSRC3_GFX90A:TG_SPLIT: 0
	.section	.text._ZN7rocprim17ROCPRIM_400000_NS6detail17trampoline_kernelINS0_14default_configENS1_25partition_config_selectorILNS1_17partition_subalgoE3EsNS0_10empty_typeEbEEZZNS1_14partition_implILS5_3ELb0ES3_jN6thrust23THRUST_200600_302600_NS6detail15normal_iteratorINSA_7pointerIsNSA_11hip_rocprim3tagENSA_11use_defaultESG_EEEEPS6_SJ_NS0_5tupleIJPsSJ_EEENSK_IJSJ_SJ_EEES6_PlJ7is_evenIsEEEE10hipError_tPvRmT3_T4_T5_T6_T7_T9_mT8_P12ihipStream_tbDpT10_ENKUlT_T0_E_clISt17integral_constantIbLb1EES19_IbLb0EEEEDaS15_S16_EUlS15_E_NS1_11comp_targetILNS1_3genE4ELNS1_11target_archE910ELNS1_3gpuE8ELNS1_3repE0EEENS1_30default_config_static_selectorELNS0_4arch9wavefront6targetE1EEEvT1_,"axG",@progbits,_ZN7rocprim17ROCPRIM_400000_NS6detail17trampoline_kernelINS0_14default_configENS1_25partition_config_selectorILNS1_17partition_subalgoE3EsNS0_10empty_typeEbEEZZNS1_14partition_implILS5_3ELb0ES3_jN6thrust23THRUST_200600_302600_NS6detail15normal_iteratorINSA_7pointerIsNSA_11hip_rocprim3tagENSA_11use_defaultESG_EEEEPS6_SJ_NS0_5tupleIJPsSJ_EEENSK_IJSJ_SJ_EEES6_PlJ7is_evenIsEEEE10hipError_tPvRmT3_T4_T5_T6_T7_T9_mT8_P12ihipStream_tbDpT10_ENKUlT_T0_E_clISt17integral_constantIbLb1EES19_IbLb0EEEEDaS15_S16_EUlS15_E_NS1_11comp_targetILNS1_3genE4ELNS1_11target_archE910ELNS1_3gpuE8ELNS1_3repE0EEENS1_30default_config_static_selectorELNS0_4arch9wavefront6targetE1EEEvT1_,comdat
	.protected	_ZN7rocprim17ROCPRIM_400000_NS6detail17trampoline_kernelINS0_14default_configENS1_25partition_config_selectorILNS1_17partition_subalgoE3EsNS0_10empty_typeEbEEZZNS1_14partition_implILS5_3ELb0ES3_jN6thrust23THRUST_200600_302600_NS6detail15normal_iteratorINSA_7pointerIsNSA_11hip_rocprim3tagENSA_11use_defaultESG_EEEEPS6_SJ_NS0_5tupleIJPsSJ_EEENSK_IJSJ_SJ_EEES6_PlJ7is_evenIsEEEE10hipError_tPvRmT3_T4_T5_T6_T7_T9_mT8_P12ihipStream_tbDpT10_ENKUlT_T0_E_clISt17integral_constantIbLb1EES19_IbLb0EEEEDaS15_S16_EUlS15_E_NS1_11comp_targetILNS1_3genE4ELNS1_11target_archE910ELNS1_3gpuE8ELNS1_3repE0EEENS1_30default_config_static_selectorELNS0_4arch9wavefront6targetE1EEEvT1_ ; -- Begin function _ZN7rocprim17ROCPRIM_400000_NS6detail17trampoline_kernelINS0_14default_configENS1_25partition_config_selectorILNS1_17partition_subalgoE3EsNS0_10empty_typeEbEEZZNS1_14partition_implILS5_3ELb0ES3_jN6thrust23THRUST_200600_302600_NS6detail15normal_iteratorINSA_7pointerIsNSA_11hip_rocprim3tagENSA_11use_defaultESG_EEEEPS6_SJ_NS0_5tupleIJPsSJ_EEENSK_IJSJ_SJ_EEES6_PlJ7is_evenIsEEEE10hipError_tPvRmT3_T4_T5_T6_T7_T9_mT8_P12ihipStream_tbDpT10_ENKUlT_T0_E_clISt17integral_constantIbLb1EES19_IbLb0EEEEDaS15_S16_EUlS15_E_NS1_11comp_targetILNS1_3genE4ELNS1_11target_archE910ELNS1_3gpuE8ELNS1_3repE0EEENS1_30default_config_static_selectorELNS0_4arch9wavefront6targetE1EEEvT1_
	.globl	_ZN7rocprim17ROCPRIM_400000_NS6detail17trampoline_kernelINS0_14default_configENS1_25partition_config_selectorILNS1_17partition_subalgoE3EsNS0_10empty_typeEbEEZZNS1_14partition_implILS5_3ELb0ES3_jN6thrust23THRUST_200600_302600_NS6detail15normal_iteratorINSA_7pointerIsNSA_11hip_rocprim3tagENSA_11use_defaultESG_EEEEPS6_SJ_NS0_5tupleIJPsSJ_EEENSK_IJSJ_SJ_EEES6_PlJ7is_evenIsEEEE10hipError_tPvRmT3_T4_T5_T6_T7_T9_mT8_P12ihipStream_tbDpT10_ENKUlT_T0_E_clISt17integral_constantIbLb1EES19_IbLb0EEEEDaS15_S16_EUlS15_E_NS1_11comp_targetILNS1_3genE4ELNS1_11target_archE910ELNS1_3gpuE8ELNS1_3repE0EEENS1_30default_config_static_selectorELNS0_4arch9wavefront6targetE1EEEvT1_
	.p2align	8
	.type	_ZN7rocprim17ROCPRIM_400000_NS6detail17trampoline_kernelINS0_14default_configENS1_25partition_config_selectorILNS1_17partition_subalgoE3EsNS0_10empty_typeEbEEZZNS1_14partition_implILS5_3ELb0ES3_jN6thrust23THRUST_200600_302600_NS6detail15normal_iteratorINSA_7pointerIsNSA_11hip_rocprim3tagENSA_11use_defaultESG_EEEEPS6_SJ_NS0_5tupleIJPsSJ_EEENSK_IJSJ_SJ_EEES6_PlJ7is_evenIsEEEE10hipError_tPvRmT3_T4_T5_T6_T7_T9_mT8_P12ihipStream_tbDpT10_ENKUlT_T0_E_clISt17integral_constantIbLb1EES19_IbLb0EEEEDaS15_S16_EUlS15_E_NS1_11comp_targetILNS1_3genE4ELNS1_11target_archE910ELNS1_3gpuE8ELNS1_3repE0EEENS1_30default_config_static_selectorELNS0_4arch9wavefront6targetE1EEEvT1_,@function
_ZN7rocprim17ROCPRIM_400000_NS6detail17trampoline_kernelINS0_14default_configENS1_25partition_config_selectorILNS1_17partition_subalgoE3EsNS0_10empty_typeEbEEZZNS1_14partition_implILS5_3ELb0ES3_jN6thrust23THRUST_200600_302600_NS6detail15normal_iteratorINSA_7pointerIsNSA_11hip_rocprim3tagENSA_11use_defaultESG_EEEEPS6_SJ_NS0_5tupleIJPsSJ_EEENSK_IJSJ_SJ_EEES6_PlJ7is_evenIsEEEE10hipError_tPvRmT3_T4_T5_T6_T7_T9_mT8_P12ihipStream_tbDpT10_ENKUlT_T0_E_clISt17integral_constantIbLb1EES19_IbLb0EEEEDaS15_S16_EUlS15_E_NS1_11comp_targetILNS1_3genE4ELNS1_11target_archE910ELNS1_3gpuE8ELNS1_3repE0EEENS1_30default_config_static_selectorELNS0_4arch9wavefront6targetE1EEEvT1_: ; @_ZN7rocprim17ROCPRIM_400000_NS6detail17trampoline_kernelINS0_14default_configENS1_25partition_config_selectorILNS1_17partition_subalgoE3EsNS0_10empty_typeEbEEZZNS1_14partition_implILS5_3ELb0ES3_jN6thrust23THRUST_200600_302600_NS6detail15normal_iteratorINSA_7pointerIsNSA_11hip_rocprim3tagENSA_11use_defaultESG_EEEEPS6_SJ_NS0_5tupleIJPsSJ_EEENSK_IJSJ_SJ_EEES6_PlJ7is_evenIsEEEE10hipError_tPvRmT3_T4_T5_T6_T7_T9_mT8_P12ihipStream_tbDpT10_ENKUlT_T0_E_clISt17integral_constantIbLb1EES19_IbLb0EEEEDaS15_S16_EUlS15_E_NS1_11comp_targetILNS1_3genE4ELNS1_11target_archE910ELNS1_3gpuE8ELNS1_3repE0EEENS1_30default_config_static_selectorELNS0_4arch9wavefront6targetE1EEEvT1_
; %bb.0:
	s_load_dwordx4 s[20:23], s[4:5], 0x8
	s_load_dwordx4 s[24:27], s[4:5], 0x48
	s_load_dwordx2 s[28:29], s[4:5], 0x58
	s_load_dword s2, s[4:5], 0x70
	s_mul_i32 s30, s6, 0x1400
	s_waitcnt lgkmcnt(0)
	s_lshl_b64 s[0:1], s[22:23], 1
	s_add_u32 s7, s20, s0
	s_addc_u32 s8, s21, s1
	s_mul_i32 s0, s2, 0x1400
	s_add_i32 s1, s0, s22
	s_sub_i32 s33, s28, s1
	s_add_i32 s3, s2, -1
	s_addk_i32 s33, 0x1400
	s_add_u32 s0, s22, s0
	s_addc_u32 s1, s23, 0
	s_cmp_eq_u32 s6, s3
	s_load_dwordx2 s[34:35], s[26:27], 0x0
	v_pk_mov_b32 v[2:3], s[28:29], s[28:29] op_sel:[0,1]
	s_cselect_b64 s[26:27], -1, 0
	s_cmp_lg_u32 s6, s3
	s_mov_b32 s31, 0
	v_cmp_lt_u64_e32 vcc, s[0:1], v[2:3]
	s_cselect_b64 s[0:1], -1, 0
	s_or_b64 s[2:3], s[0:1], vcc
	s_lshl_b64 s[0:1], s[30:31], 1
	s_add_u32 s7, s7, s0
	s_addc_u32 s10, s8, s1
	s_mov_b64 s[0:1], -1
	s_and_b64 vcc, exec, s[2:3]
	v_lshlrev_b32_e32 v1, 1, v0
	s_cbranch_vccz .LBB158_2
; %bb.1:
	v_mov_b32_e32 v3, s10
	v_add_co_u32_e32 v2, vcc, s7, v1
	v_addc_co_u32_e32 v3, vcc, 0, v3, vcc
	v_add_co_u32_e32 v4, vcc, 0x1000, v2
	v_addc_co_u32_e32 v5, vcc, 0, v3, vcc
	flat_load_ushort v6, v[2:3]
	flat_load_ushort v7, v[2:3] offset:512
	flat_load_ushort v8, v[2:3] offset:1024
	;; [unrolled: 1-line block ×7, first 2 shown]
	v_add_co_u32_e32 v2, vcc, 0x2000, v2
	v_addc_co_u32_e32 v3, vcc, 0, v3, vcc
	flat_load_ushort v14, v[4:5]
	flat_load_ushort v15, v[4:5] offset:512
	flat_load_ushort v16, v[4:5] offset:1024
	;; [unrolled: 1-line block ×7, first 2 shown]
	s_nop 0
	flat_load_ushort v4, v[2:3]
	flat_load_ushort v5, v[2:3] offset:512
	flat_load_ushort v22, v[2:3] offset:1024
	;; [unrolled: 1-line block ×3, first 2 shown]
	s_mov_b64 s[0:1], 0
	s_waitcnt vmcnt(0) lgkmcnt(0)
	ds_write_b16 v1, v6
	ds_write_b16 v1, v7 offset:512
	ds_write_b16 v1, v8 offset:1024
	;; [unrolled: 1-line block ×19, first 2 shown]
	s_waitcnt lgkmcnt(0)
	s_barrier
.LBB158_2:
	s_andn2_b64 vcc, exec, s[0:1]
	v_cmp_gt_u32_e64 s[0:1], s33, v0
	s_cbranch_vccnz .LBB158_44
; %bb.3:
                                        ; implicit-def: $vgpr2
	s_and_saveexec_b64 s[8:9], s[0:1]
	s_cbranch_execz .LBB158_5
; %bb.4:
	v_mov_b32_e32 v3, s10
	v_add_co_u32_e32 v2, vcc, s7, v1
	v_addc_co_u32_e32 v3, vcc, 0, v3, vcc
	flat_load_ushort v2, v[2:3]
.LBB158_5:
	s_or_b64 exec, exec, s[8:9]
	v_or_b32_e32 v3, 0x100, v0
	v_cmp_gt_u32_e32 vcc, s33, v3
                                        ; implicit-def: $vgpr3
	s_and_saveexec_b64 s[0:1], vcc
	s_cbranch_execz .LBB158_7
; %bb.6:
	v_mov_b32_e32 v3, s10
	v_add_co_u32_e32 v4, vcc, s7, v1
	v_addc_co_u32_e32 v5, vcc, 0, v3, vcc
	flat_load_ushort v3, v[4:5] offset:512
.LBB158_7:
	s_or_b64 exec, exec, s[0:1]
	v_or_b32_e32 v4, 0x200, v0
	v_cmp_gt_u32_e32 vcc, s33, v4
                                        ; implicit-def: $vgpr4
	s_and_saveexec_b64 s[0:1], vcc
	s_cbranch_execz .LBB158_9
; %bb.8:
	v_mov_b32_e32 v5, s10
	v_add_co_u32_e32 v4, vcc, s7, v1
	v_addc_co_u32_e32 v5, vcc, 0, v5, vcc
	flat_load_ushort v4, v[4:5] offset:1024
.LBB158_9:
	s_or_b64 exec, exec, s[0:1]
	v_or_b32_e32 v5, 0x300, v0
	v_cmp_gt_u32_e32 vcc, s33, v5
                                        ; implicit-def: $vgpr5
	s_and_saveexec_b64 s[0:1], vcc
	s_cbranch_execz .LBB158_11
; %bb.10:
	v_mov_b32_e32 v5, s10
	v_add_co_u32_e32 v6, vcc, s7, v1
	v_addc_co_u32_e32 v7, vcc, 0, v5, vcc
	flat_load_ushort v5, v[6:7] offset:1536
.LBB158_11:
	s_or_b64 exec, exec, s[0:1]
	v_or_b32_e32 v6, 0x400, v0
	v_cmp_gt_u32_e32 vcc, s33, v6
                                        ; implicit-def: $vgpr6
	s_and_saveexec_b64 s[0:1], vcc
	s_cbranch_execz .LBB158_13
; %bb.12:
	v_mov_b32_e32 v7, s10
	v_add_co_u32_e32 v6, vcc, s7, v1
	v_addc_co_u32_e32 v7, vcc, 0, v7, vcc
	flat_load_ushort v6, v[6:7] offset:2048
.LBB158_13:
	s_or_b64 exec, exec, s[0:1]
	v_or_b32_e32 v7, 0x500, v0
	v_cmp_gt_u32_e32 vcc, s33, v7
                                        ; implicit-def: $vgpr7
	s_and_saveexec_b64 s[0:1], vcc
	s_cbranch_execz .LBB158_15
; %bb.14:
	v_mov_b32_e32 v7, s10
	v_add_co_u32_e32 v8, vcc, s7, v1
	v_addc_co_u32_e32 v9, vcc, 0, v7, vcc
	flat_load_ushort v7, v[8:9] offset:2560
.LBB158_15:
	s_or_b64 exec, exec, s[0:1]
	v_or_b32_e32 v8, 0x600, v0
	v_cmp_gt_u32_e32 vcc, s33, v8
                                        ; implicit-def: $vgpr8
	s_and_saveexec_b64 s[0:1], vcc
	s_cbranch_execz .LBB158_17
; %bb.16:
	v_mov_b32_e32 v9, s10
	v_add_co_u32_e32 v8, vcc, s7, v1
	v_addc_co_u32_e32 v9, vcc, 0, v9, vcc
	flat_load_ushort v8, v[8:9] offset:3072
.LBB158_17:
	s_or_b64 exec, exec, s[0:1]
	v_or_b32_e32 v9, 0x700, v0
	v_cmp_gt_u32_e32 vcc, s33, v9
                                        ; implicit-def: $vgpr9
	s_and_saveexec_b64 s[0:1], vcc
	s_cbranch_execz .LBB158_19
; %bb.18:
	v_mov_b32_e32 v9, s10
	v_add_co_u32_e32 v10, vcc, s7, v1
	v_addc_co_u32_e32 v11, vcc, 0, v9, vcc
	flat_load_ushort v9, v[10:11] offset:3584
.LBB158_19:
	s_or_b64 exec, exec, s[0:1]
	v_or_b32_e32 v11, 0x800, v0
	v_cmp_gt_u32_e32 vcc, s33, v11
                                        ; implicit-def: $vgpr10
	s_and_saveexec_b64 s[0:1], vcc
	s_cbranch_execz .LBB158_21
; %bb.20:
	v_lshlrev_b32_e32 v10, 1, v11
	v_mov_b32_e32 v11, s10
	v_add_co_u32_e32 v10, vcc, s7, v10
	v_addc_co_u32_e32 v11, vcc, 0, v11, vcc
	flat_load_ushort v10, v[10:11]
.LBB158_21:
	s_or_b64 exec, exec, s[0:1]
	v_or_b32_e32 v12, 0x900, v0
	v_cmp_gt_u32_e32 vcc, s33, v12
                                        ; implicit-def: $vgpr11
	s_and_saveexec_b64 s[0:1], vcc
	s_cbranch_execz .LBB158_23
; %bb.22:
	v_lshlrev_b32_e32 v11, 1, v12
	v_mov_b32_e32 v13, s10
	v_add_co_u32_e32 v12, vcc, s7, v11
	v_addc_co_u32_e32 v13, vcc, 0, v13, vcc
	flat_load_ushort v11, v[12:13]
.LBB158_23:
	s_or_b64 exec, exec, s[0:1]
	v_or_b32_e32 v13, 0xa00, v0
	v_cmp_gt_u32_e32 vcc, s33, v13
                                        ; implicit-def: $vgpr12
	s_and_saveexec_b64 s[0:1], vcc
	s_cbranch_execz .LBB158_25
; %bb.24:
	v_lshlrev_b32_e32 v12, 1, v13
	v_mov_b32_e32 v13, s10
	v_add_co_u32_e32 v12, vcc, s7, v12
	v_addc_co_u32_e32 v13, vcc, 0, v13, vcc
	flat_load_ushort v12, v[12:13]
.LBB158_25:
	s_or_b64 exec, exec, s[0:1]
	v_or_b32_e32 v14, 0xb00, v0
	v_cmp_gt_u32_e32 vcc, s33, v14
                                        ; implicit-def: $vgpr13
	s_and_saveexec_b64 s[0:1], vcc
	s_cbranch_execz .LBB158_27
; %bb.26:
	v_lshlrev_b32_e32 v13, 1, v14
	v_mov_b32_e32 v15, s10
	v_add_co_u32_e32 v14, vcc, s7, v13
	v_addc_co_u32_e32 v15, vcc, 0, v15, vcc
	flat_load_ushort v13, v[14:15]
.LBB158_27:
	s_or_b64 exec, exec, s[0:1]
	v_or_b32_e32 v15, 0xc00, v0
	v_cmp_gt_u32_e32 vcc, s33, v15
                                        ; implicit-def: $vgpr14
	s_and_saveexec_b64 s[0:1], vcc
	s_cbranch_execz .LBB158_29
; %bb.28:
	v_lshlrev_b32_e32 v14, 1, v15
	v_mov_b32_e32 v15, s10
	v_add_co_u32_e32 v14, vcc, s7, v14
	v_addc_co_u32_e32 v15, vcc, 0, v15, vcc
	flat_load_ushort v14, v[14:15]
.LBB158_29:
	s_or_b64 exec, exec, s[0:1]
	v_or_b32_e32 v16, 0xd00, v0
	v_cmp_gt_u32_e32 vcc, s33, v16
                                        ; implicit-def: $vgpr15
	s_and_saveexec_b64 s[0:1], vcc
	s_cbranch_execz .LBB158_31
; %bb.30:
	v_lshlrev_b32_e32 v15, 1, v16
	v_mov_b32_e32 v17, s10
	v_add_co_u32_e32 v16, vcc, s7, v15
	v_addc_co_u32_e32 v17, vcc, 0, v17, vcc
	flat_load_ushort v15, v[16:17]
.LBB158_31:
	s_or_b64 exec, exec, s[0:1]
	v_or_b32_e32 v17, 0xe00, v0
	v_cmp_gt_u32_e32 vcc, s33, v17
                                        ; implicit-def: $vgpr16
	s_and_saveexec_b64 s[0:1], vcc
	s_cbranch_execz .LBB158_33
; %bb.32:
	v_lshlrev_b32_e32 v16, 1, v17
	v_mov_b32_e32 v17, s10
	v_add_co_u32_e32 v16, vcc, s7, v16
	v_addc_co_u32_e32 v17, vcc, 0, v17, vcc
	flat_load_ushort v16, v[16:17]
.LBB158_33:
	s_or_b64 exec, exec, s[0:1]
	v_or_b32_e32 v18, 0xf00, v0
	v_cmp_gt_u32_e32 vcc, s33, v18
                                        ; implicit-def: $vgpr17
	s_and_saveexec_b64 s[0:1], vcc
	s_cbranch_execz .LBB158_35
; %bb.34:
	v_lshlrev_b32_e32 v17, 1, v18
	v_mov_b32_e32 v19, s10
	v_add_co_u32_e32 v18, vcc, s7, v17
	v_addc_co_u32_e32 v19, vcc, 0, v19, vcc
	flat_load_ushort v17, v[18:19]
.LBB158_35:
	s_or_b64 exec, exec, s[0:1]
	v_or_b32_e32 v19, 0x1000, v0
	v_cmp_gt_u32_e32 vcc, s33, v19
                                        ; implicit-def: $vgpr18
	s_and_saveexec_b64 s[0:1], vcc
	s_cbranch_execz .LBB158_37
; %bb.36:
	v_lshlrev_b32_e32 v18, 1, v19
	v_mov_b32_e32 v19, s10
	v_add_co_u32_e32 v18, vcc, s7, v18
	v_addc_co_u32_e32 v19, vcc, 0, v19, vcc
	flat_load_ushort v18, v[18:19]
.LBB158_37:
	s_or_b64 exec, exec, s[0:1]
	v_or_b32_e32 v20, 0x1100, v0
	v_cmp_gt_u32_e32 vcc, s33, v20
                                        ; implicit-def: $vgpr19
	s_and_saveexec_b64 s[0:1], vcc
	s_cbranch_execz .LBB158_39
; %bb.38:
	v_lshlrev_b32_e32 v19, 1, v20
	v_mov_b32_e32 v21, s10
	v_add_co_u32_e32 v20, vcc, s7, v19
	v_addc_co_u32_e32 v21, vcc, 0, v21, vcc
	flat_load_ushort v19, v[20:21]
.LBB158_39:
	s_or_b64 exec, exec, s[0:1]
	v_or_b32_e32 v21, 0x1200, v0
	v_cmp_gt_u32_e32 vcc, s33, v21
                                        ; implicit-def: $vgpr20
	s_and_saveexec_b64 s[0:1], vcc
	s_cbranch_execz .LBB158_41
; %bb.40:
	v_lshlrev_b32_e32 v20, 1, v21
	v_mov_b32_e32 v21, s10
	v_add_co_u32_e32 v20, vcc, s7, v20
	v_addc_co_u32_e32 v21, vcc, 0, v21, vcc
	flat_load_ushort v20, v[20:21]
.LBB158_41:
	s_or_b64 exec, exec, s[0:1]
	v_or_b32_e32 v22, 0x1300, v0
	v_cmp_gt_u32_e32 vcc, s33, v22
                                        ; implicit-def: $vgpr21
	s_and_saveexec_b64 s[0:1], vcc
	s_cbranch_execz .LBB158_43
; %bb.42:
	v_lshlrev_b32_e32 v21, 1, v22
	v_mov_b32_e32 v23, s10
	v_add_co_u32_e32 v22, vcc, s7, v21
	v_addc_co_u32_e32 v23, vcc, 0, v23, vcc
	flat_load_ushort v21, v[22:23]
.LBB158_43:
	s_or_b64 exec, exec, s[0:1]
	s_waitcnt vmcnt(0) lgkmcnt(0)
	ds_write_b16 v1, v2
	ds_write_b16 v1, v3 offset:512
	ds_write_b16 v1, v4 offset:1024
	;; [unrolled: 1-line block ×19, first 2 shown]
	s_waitcnt lgkmcnt(0)
	s_barrier
.LBB158_44:
	v_mul_u32_u24_e32 v31, 20, v0
	v_lshlrev_b32_e32 v6, 1, v31
	s_waitcnt lgkmcnt(0)
	ds_read_b64 v[12:13], v6 offset:32
	ds_read2_b64 v[2:5], v6 offset0:2 offset1:3
	ds_read2_b64 v[6:9], v6 offset1:1
	v_cndmask_b32_e64 v10, 0, 1, s[2:3]
	v_cmp_ne_u32_e64 s[0:1], 1, v10
	s_waitcnt lgkmcnt(2)
	v_lshrrev_b32_e32 v23, 16, v12
	v_lshrrev_b32_e32 v22, 16, v13
	s_waitcnt lgkmcnt(1)
	v_lshrrev_b32_e32 v27, 16, v2
	v_lshrrev_b32_e32 v26, 16, v3
	;; [unrolled: 1-line block ×4, first 2 shown]
	s_waitcnt lgkmcnt(0)
	v_lshrrev_b32_e32 v32, 16, v6
	v_lshrrev_b32_e32 v30, 16, v7
	;; [unrolled: 1-line block ×4, first 2 shown]
	s_andn2_b64 vcc, exec, s[2:3]
	v_xor_b32_e32 v62, -1, v6
	v_xor_b32_e32 v61, -1, v32
	;; [unrolled: 1-line block ×20, first 2 shown]
	s_barrier
	s_cbranch_vccnz .LBB158_46
; %bb.45:
	v_and_b32_e32 v52, 1, v62
	v_and_b32_e32 v51, 1, v61
	;; [unrolled: 1-line block ×20, first 2 shown]
	s_load_dwordx2 s[36:37], s[4:5], 0x68
	s_cbranch_execz .LBB158_47
	s_branch .LBB158_48
.LBB158_46:
                                        ; implicit-def: $vgpr52
                                        ; implicit-def: $vgpr51
                                        ; implicit-def: $vgpr50
                                        ; implicit-def: $vgpr49
                                        ; implicit-def: $vgpr48
                                        ; implicit-def: $vgpr47
                                        ; implicit-def: $vgpr46
                                        ; implicit-def: $vgpr45
                                        ; implicit-def: $vgpr44
                                        ; implicit-def: $vgpr43
                                        ; implicit-def: $vgpr42
                                        ; implicit-def: $vgpr41
                                        ; implicit-def: $vgpr40
                                        ; implicit-def: $vgpr39
                                        ; implicit-def: $vgpr38
                                        ; implicit-def: $vgpr37
                                        ; implicit-def: $vgpr36
                                        ; implicit-def: $vgpr35
                                        ; implicit-def: $vgpr33
                                        ; implicit-def: $vgpr34
	s_load_dwordx2 s[36:37], s[4:5], 0x68
.LBB158_47:
	v_or_b32_e32 v42, 1, v31
	v_cmp_gt_u32_e32 vcc, s33, v31
	v_or_b32_e32 v43, 2, v31
	v_cndmask_b32_e64 v47, 0, 1, vcc
	v_cmp_gt_u32_e32 vcc, s33, v42
	v_or_b32_e32 v44, 3, v31
	v_cndmask_b32_e64 v42, 0, 1, vcc
	v_cmp_gt_u32_e32 vcc, s33, v43
	v_add_u32_e32 v45, 4, v31
	v_and_b32_e32 v51, v42, v61
	v_cndmask_b32_e64 v42, 0, 1, vcc
	v_cmp_gt_u32_e32 vcc, s33, v44
	v_add_u32_e32 v46, 5, v31
	v_and_b32_e32 v50, v42, v60
	;; [unrolled: 4-line block ×5, first 2 shown]
	v_and_b32_e32 v47, v42, v57
	v_cndmask_b32_e64 v42, 0, 1, vcc
	v_cmp_gt_u32_e32 vcc, s33, v64
	v_add_u32_e32 v66, 9, v31
	v_and_b32_e32 v46, v42, v56
	v_cndmask_b32_e64 v42, 0, 1, vcc
	v_cmp_gt_u32_e32 vcc, s33, v65
	v_add_u32_e32 v67, 10, v31
	;; [unrolled: 4-line block ×11, first 2 shown]
	v_and_b32_e32 v36, v16, v15
	v_cndmask_b32_e64 v15, 0, 1, vcc
	v_cmp_gt_u32_e32 vcc, s33, v33
	v_and_b32_e32 v35, v15, v14
	v_cndmask_b32_e64 v14, 0, 1, vcc
	v_cmp_gt_u32_e32 vcc, s33, v34
	v_and_b32_e32 v33, v14, v11
	v_cndmask_b32_e64 v11, 0, 1, vcc
	v_and_b32_e32 v34, v11, v10
.LBB158_48:
	v_and_b32_e32 v69, 0xff, v36
	v_and_b32_e32 v70, 0xff, v35
	v_add_u32_sdwa v10, v33, v34 dst_sel:DWORD dst_unused:UNUSED_PAD src0_sel:BYTE_0 src1_sel:BYTE_0
	v_and_b32_e32 v67, 0xff, v38
	v_and_b32_e32 v68, 0xff, v37
	v_add3_u32 v10, v10, v70, v69
	v_and_b32_e32 v65, 0xff, v40
	v_and_b32_e32 v66, 0xff, v39
	v_add3_u32 v10, v10, v68, v67
	;; [unrolled: 3-line block ×8, first 2 shown]
	v_add3_u32 v73, v10, v54, v53
	v_mbcnt_lo_u32_b32 v10, -1, 0
	v_mbcnt_hi_u32_b32 v71, -1, v10
	v_and_b32_e32 v10, 15, v71
	v_cmp_eq_u32_e64 s[16:17], 0, v10
	v_cmp_lt_u32_e64 s[14:15], 1, v10
	v_cmp_lt_u32_e64 s[12:13], 3, v10
	v_cmp_lt_u32_e64 s[10:11], 7, v10
	v_and_b32_e32 v10, 16, v71
	v_cmp_eq_u32_e64 s[8:9], 0, v10
	v_or_b32_e32 v10, 63, v0
	s_cmp_lg_u32 s6, 0
	v_cmp_lt_u32_e64 s[2:3], 31, v71
	v_lshrrev_b32_e32 v72, 6, v0
	v_cmp_eq_u32_e64 s[20:21], v10, v0
	s_cbranch_scc0 .LBB158_79
; %bb.49:
	v_mov_b32_dpp v10, v73 row_shr:1 row_mask:0xf bank_mask:0xf
	v_cndmask_b32_e64 v10, v10, 0, s[16:17]
	v_add_u32_e32 v10, v10, v73
	s_nop 1
	v_mov_b32_dpp v11, v10 row_shr:2 row_mask:0xf bank_mask:0xf
	v_cndmask_b32_e64 v11, 0, v11, s[14:15]
	v_add_u32_e32 v10, v10, v11
	s_nop 1
	;; [unrolled: 4-line block ×4, first 2 shown]
	v_mov_b32_dpp v11, v10 row_bcast:15 row_mask:0xf bank_mask:0xf
	v_cndmask_b32_e64 v11, v11, 0, s[8:9]
	v_add_u32_e32 v10, v10, v11
	s_nop 1
	v_mov_b32_dpp v11, v10 row_bcast:31 row_mask:0xf bank_mask:0xf
	v_cndmask_b32_e64 v11, 0, v11, s[2:3]
	v_add_u32_e32 v10, v10, v11
	s_and_saveexec_b64 s[18:19], s[20:21]
	s_cbranch_execz .LBB158_51
; %bb.50:
	v_lshlrev_b32_e32 v11, 2, v72
	ds_write_b32 v11, v10
.LBB158_51:
	s_or_b64 exec, exec, s[18:19]
	v_cmp_gt_u32_e32 vcc, 4, v0
	s_waitcnt lgkmcnt(0)
	s_barrier
	s_and_saveexec_b64 s[18:19], vcc
	s_cbranch_execz .LBB158_53
; %bb.52:
	v_lshlrev_b32_e32 v11, 2, v0
	ds_read_b32 v14, v11
	v_and_b32_e32 v15, 3, v71
	v_cmp_ne_u32_e32 vcc, 0, v15
	s_waitcnt lgkmcnt(0)
	v_mov_b32_dpp v16, v14 row_shr:1 row_mask:0xf bank_mask:0xf
	v_cndmask_b32_e32 v16, 0, v16, vcc
	v_add_u32_e32 v14, v16, v14
	v_cmp_lt_u32_e32 vcc, 1, v15
	s_nop 0
	v_mov_b32_dpp v16, v14 row_shr:2 row_mask:0xf bank_mask:0xf
	v_cndmask_b32_e32 v15, 0, v16, vcc
	v_add_u32_e32 v14, v14, v15
	ds_write_b32 v11, v14
.LBB158_53:
	s_or_b64 exec, exec, s[18:19]
	v_cmp_gt_u32_e32 vcc, 64, v0
	v_cmp_lt_u32_e64 s[18:19], 63, v0
	s_waitcnt lgkmcnt(0)
	s_barrier
	s_waitcnt lgkmcnt(0)
                                        ; implicit-def: $vgpr74
	s_and_saveexec_b64 s[38:39], s[18:19]
	s_cbranch_execz .LBB158_55
; %bb.54:
	v_lshl_add_u32 v11, v72, 2, -4
	ds_read_b32 v74, v11
	s_waitcnt lgkmcnt(0)
	v_add_u32_e32 v10, v74, v10
.LBB158_55:
	s_or_b64 exec, exec, s[38:39]
	v_add_u32_e32 v11, -1, v71
	v_and_b32_e32 v14, 64, v71
	v_cmp_lt_i32_e64 s[18:19], v11, v14
	v_cndmask_b32_e64 v11, v11, v71, s[18:19]
	v_lshlrev_b32_e32 v11, 2, v11
	ds_bpermute_b32 v75, v11, v10
	v_cmp_eq_u32_e64 s[18:19], 0, v71
	s_and_saveexec_b64 s[38:39], vcc
	s_cbranch_execz .LBB158_78
; %bb.56:
	v_mov_b32_e32 v21, 0
	ds_read_b32 v10, v21 offset:12
	s_and_saveexec_b64 s[40:41], s[18:19]
	s_cbranch_execz .LBB158_58
; %bb.57:
	s_add_i32 s42, s6, 64
	s_mov_b32 s43, 0
	s_lshl_b64 s[42:43], s[42:43], 3
	s_add_u32 s42, s36, s42
	v_mov_b32_e32 v11, 1
	s_addc_u32 s43, s37, s43
	s_waitcnt lgkmcnt(0)
	global_store_dwordx2 v21, v[10:11], s[42:43]
.LBB158_58:
	s_or_b64 exec, exec, s[40:41]
	v_xad_u32 v14, v71, -1, s6
	v_add_u32_e32 v20, 64, v14
	v_lshlrev_b64 v[16:17], 3, v[20:21]
	v_mov_b32_e32 v11, s37
	v_add_co_u32_e32 v16, vcc, s36, v16
	v_addc_co_u32_e32 v17, vcc, v11, v17, vcc
	global_load_dwordx2 v[18:19], v[16:17], off glc
	s_waitcnt vmcnt(0)
	v_cmp_eq_u16_sdwa s[42:43], v19, v21 src0_sel:BYTE_0 src1_sel:DWORD
	s_and_saveexec_b64 s[40:41], s[42:43]
	s_cbranch_execz .LBB158_64
; %bb.59:
	s_mov_b32 s7, 1
	s_mov_b64 s[42:43], 0
	v_mov_b32_e32 v11, 0
.LBB158_60:                             ; =>This Loop Header: Depth=1
                                        ;     Child Loop BB158_61 Depth 2
	s_max_u32 s31, s7, 1
.LBB158_61:                             ;   Parent Loop BB158_60 Depth=1
                                        ; =>  This Inner Loop Header: Depth=2
	s_add_i32 s31, s31, -1
	s_cmp_eq_u32 s31, 0
	s_sleep 1
	s_cbranch_scc0 .LBB158_61
; %bb.62:                               ;   in Loop: Header=BB158_60 Depth=1
	global_load_dwordx2 v[18:19], v[16:17], off glc
	s_cmp_lt_u32 s7, 32
	s_cselect_b64 s[44:45], -1, 0
	s_cmp_lg_u64 s[44:45], 0
	s_addc_u32 s7, s7, 0
	s_waitcnt vmcnt(0)
	v_cmp_ne_u16_sdwa s[44:45], v19, v11 src0_sel:BYTE_0 src1_sel:DWORD
	s_or_b64 s[42:43], s[44:45], s[42:43]
	s_andn2_b64 exec, exec, s[42:43]
	s_cbranch_execnz .LBB158_60
; %bb.63:
	s_or_b64 exec, exec, s[42:43]
.LBB158_64:
	s_or_b64 exec, exec, s[40:41]
	v_and_b32_e32 v77, 63, v71
	v_mov_b32_e32 v76, 2
	v_cmp_ne_u32_e32 vcc, 63, v77
	v_cmp_eq_u16_sdwa s[40:41], v19, v76 src0_sel:BYTE_0 src1_sel:DWORD
	v_lshlrev_b64 v[16:17], v71, -1
	v_addc_co_u32_e32 v20, vcc, 0, v71, vcc
	v_and_b32_e32 v11, s41, v17
	v_lshlrev_b32_e32 v78, 2, v20
	v_or_b32_e32 v11, 0x80000000, v11
	ds_bpermute_b32 v20, v78, v18
	v_and_b32_e32 v15, s40, v16
	v_ffbl_b32_e32 v11, v11
	v_add_u32_e32 v11, 32, v11
	v_ffbl_b32_e32 v15, v15
	v_min_u32_e32 v11, v15, v11
	v_cmp_lt_u32_e32 vcc, v77, v11
	s_waitcnt lgkmcnt(0)
	v_cndmask_b32_e32 v15, 0, v20, vcc
	v_cmp_gt_u32_e32 vcc, 62, v77
	v_add_u32_e32 v15, v15, v18
	v_cndmask_b32_e64 v18, 0, 1, vcc
	v_lshlrev_b32_e32 v18, 1, v18
	v_add_lshl_u32 v79, v18, v71, 2
	ds_bpermute_b32 v18, v79, v15
	v_add_u32_e32 v80, 2, v77
	v_cmp_le_u32_e32 vcc, v80, v11
	v_add_u32_e32 v82, 4, v77
	v_add_u32_e32 v84, 8, v77
	s_waitcnt lgkmcnt(0)
	v_cndmask_b32_e32 v18, 0, v18, vcc
	v_cmp_gt_u32_e32 vcc, 60, v77
	v_add_u32_e32 v15, v15, v18
	v_cndmask_b32_e64 v18, 0, 1, vcc
	v_lshlrev_b32_e32 v18, 2, v18
	v_add_lshl_u32 v81, v18, v71, 2
	ds_bpermute_b32 v18, v81, v15
	v_cmp_le_u32_e32 vcc, v82, v11
	v_add_u32_e32 v86, 16, v77
	v_add_u32_e32 v88, 32, v77
	s_waitcnt lgkmcnt(0)
	v_cndmask_b32_e32 v18, 0, v18, vcc
	v_cmp_gt_u32_e32 vcc, 56, v77
	v_add_u32_e32 v15, v15, v18
	v_cndmask_b32_e64 v18, 0, 1, vcc
	v_lshlrev_b32_e32 v18, 3, v18
	v_add_lshl_u32 v83, v18, v71, 2
	ds_bpermute_b32 v18, v83, v15
	v_cmp_le_u32_e32 vcc, v84, v11
	s_waitcnt lgkmcnt(0)
	v_cndmask_b32_e32 v18, 0, v18, vcc
	v_cmp_gt_u32_e32 vcc, 48, v77
	v_add_u32_e32 v15, v15, v18
	v_cndmask_b32_e64 v18, 0, 1, vcc
	v_lshlrev_b32_e32 v18, 4, v18
	v_add_lshl_u32 v85, v18, v71, 2
	ds_bpermute_b32 v18, v85, v15
	v_cmp_le_u32_e32 vcc, v86, v11
	;; [unrolled: 9-line block ×3, first 2 shown]
	s_waitcnt lgkmcnt(0)
	v_cndmask_b32_e32 v11, 0, v18, vcc
	v_add_u32_e32 v18, v15, v11
	v_mov_b32_e32 v15, 0
	s_branch .LBB158_66
.LBB158_65:                             ;   in Loop: Header=BB158_66 Depth=1
	s_or_b64 exec, exec, s[40:41]
	v_cmp_eq_u16_sdwa s[40:41], v19, v76 src0_sel:BYTE_0 src1_sel:DWORD
	v_and_b32_e32 v20, s41, v17
	v_or_b32_e32 v20, 0x80000000, v20
	ds_bpermute_b32 v89, v78, v18
	v_and_b32_e32 v21, s40, v16
	v_ffbl_b32_e32 v20, v20
	v_add_u32_e32 v20, 32, v20
	v_ffbl_b32_e32 v21, v21
	v_min_u32_e32 v20, v21, v20
	v_cmp_lt_u32_e32 vcc, v77, v20
	s_waitcnt lgkmcnt(0)
	v_cndmask_b32_e32 v21, 0, v89, vcc
	v_add_u32_e32 v18, v21, v18
	ds_bpermute_b32 v21, v79, v18
	v_cmp_le_u32_e32 vcc, v80, v20
	v_subrev_u32_e32 v14, 64, v14
	s_waitcnt lgkmcnt(0)
	v_cndmask_b32_e32 v21, 0, v21, vcc
	v_add_u32_e32 v18, v18, v21
	ds_bpermute_b32 v21, v81, v18
	v_cmp_le_u32_e32 vcc, v82, v20
	s_waitcnt lgkmcnt(0)
	v_cndmask_b32_e32 v21, 0, v21, vcc
	v_add_u32_e32 v18, v18, v21
	ds_bpermute_b32 v21, v83, v18
	v_cmp_le_u32_e32 vcc, v84, v20
	;; [unrolled: 5-line block ×4, first 2 shown]
	s_waitcnt lgkmcnt(0)
	v_cndmask_b32_e32 v20, 0, v21, vcc
	v_add3_u32 v18, v20, v11, v18
.LBB158_66:                             ; =>This Loop Header: Depth=1
                                        ;     Child Loop BB158_69 Depth 2
                                        ;       Child Loop BB158_70 Depth 3
	v_cmp_ne_u16_sdwa s[40:41], v19, v76 src0_sel:BYTE_0 src1_sel:DWORD
	v_cndmask_b32_e64 v11, 0, 1, s[40:41]
	;;#ASMSTART
	;;#ASMEND
	v_cmp_ne_u32_e32 vcc, 0, v11
	s_cmp_lg_u64 vcc, exec
	v_mov_b32_e32 v11, v18
	s_cbranch_scc1 .LBB158_73
; %bb.67:                               ;   in Loop: Header=BB158_66 Depth=1
	v_lshlrev_b64 v[18:19], 3, v[14:15]
	v_mov_b32_e32 v21, s37
	v_add_co_u32_e32 v20, vcc, s36, v18
	v_addc_co_u32_e32 v21, vcc, v21, v19, vcc
	global_load_dwordx2 v[18:19], v[20:21], off glc
	s_waitcnt vmcnt(0)
	v_cmp_eq_u16_sdwa s[42:43], v19, v15 src0_sel:BYTE_0 src1_sel:DWORD
	s_and_saveexec_b64 s[40:41], s[42:43]
	s_cbranch_execz .LBB158_65
; %bb.68:                               ;   in Loop: Header=BB158_66 Depth=1
	s_mov_b32 s7, 1
	s_mov_b64 s[42:43], 0
.LBB158_69:                             ;   Parent Loop BB158_66 Depth=1
                                        ; =>  This Loop Header: Depth=2
                                        ;       Child Loop BB158_70 Depth 3
	s_max_u32 s31, s7, 1
.LBB158_70:                             ;   Parent Loop BB158_66 Depth=1
                                        ;     Parent Loop BB158_69 Depth=2
                                        ; =>    This Inner Loop Header: Depth=3
	s_add_i32 s31, s31, -1
	s_cmp_eq_u32 s31, 0
	s_sleep 1
	s_cbranch_scc0 .LBB158_70
; %bb.71:                               ;   in Loop: Header=BB158_69 Depth=2
	global_load_dwordx2 v[18:19], v[20:21], off glc
	s_cmp_lt_u32 s7, 32
	s_cselect_b64 s[44:45], -1, 0
	s_cmp_lg_u64 s[44:45], 0
	s_addc_u32 s7, s7, 0
	s_waitcnt vmcnt(0)
	v_cmp_ne_u16_sdwa s[44:45], v19, v15 src0_sel:BYTE_0 src1_sel:DWORD
	s_or_b64 s[42:43], s[44:45], s[42:43]
	s_andn2_b64 exec, exec, s[42:43]
	s_cbranch_execnz .LBB158_69
; %bb.72:                               ;   in Loop: Header=BB158_66 Depth=1
	s_or_b64 exec, exec, s[42:43]
	s_branch .LBB158_65
.LBB158_73:                             ;   in Loop: Header=BB158_66 Depth=1
                                        ; implicit-def: $vgpr18
                                        ; implicit-def: $vgpr19
	s_cbranch_execz .LBB158_66
; %bb.74:
	s_and_saveexec_b64 s[40:41], s[18:19]
	s_cbranch_execz .LBB158_76
; %bb.75:
	s_add_i32 s6, s6, 64
	s_mov_b32 s7, 0
	s_lshl_b64 s[6:7], s[6:7], 3
	s_add_u32 s6, s36, s6
	v_add_u32_e32 v14, v11, v10
	v_mov_b32_e32 v15, 2
	s_addc_u32 s7, s37, s7
	v_mov_b32_e32 v16, 0
	global_store_dwordx2 v16, v[14:15], s[6:7]
	ds_write_b64 v16, v[10:11] offset:10240
.LBB158_76:
	s_or_b64 exec, exec, s[40:41]
	v_cmp_eq_u32_e32 vcc, 0, v0
	s_and_b64 exec, exec, vcc
	s_cbranch_execz .LBB158_78
; %bb.77:
	v_mov_b32_e32 v10, 0
	ds_write_b32 v10, v11 offset:12
.LBB158_78:
	s_or_b64 exec, exec, s[38:39]
	v_mov_b32_e32 v10, 0
	s_waitcnt lgkmcnt(0)
	s_barrier
	ds_read_b32 v15, v10 offset:12
	s_waitcnt lgkmcnt(0)
	s_barrier
	ds_read_b64 v[10:11], v10 offset:10240
	v_cndmask_b32_e64 v14, v75, v74, s[18:19]
	v_cmp_ne_u32_e32 vcc, 0, v0
	v_cndmask_b32_e32 v14, 0, v14, vcc
	v_add_u32_e32 v14, v15, v14
	s_load_dwordx2 s[4:5], s[4:5], 0x28
	s_branch .LBB158_89
.LBB158_79:
                                        ; implicit-def: $vgpr11
                                        ; implicit-def: $vgpr14
	s_load_dwordx2 s[4:5], s[4:5], 0x28
	s_cbranch_execz .LBB158_89
; %bb.80:
	s_waitcnt lgkmcnt(0)
	v_mov_b32_dpp v10, v73 row_shr:1 row_mask:0xf bank_mask:0xf
	v_cndmask_b32_e64 v10, v10, 0, s[16:17]
	v_add_u32_e32 v10, v10, v73
	s_nop 1
	v_mov_b32_dpp v11, v10 row_shr:2 row_mask:0xf bank_mask:0xf
	v_cndmask_b32_e64 v11, 0, v11, s[14:15]
	v_add_u32_e32 v10, v10, v11
	s_nop 1
	;; [unrolled: 4-line block ×4, first 2 shown]
	v_mov_b32_dpp v11, v10 row_bcast:15 row_mask:0xf bank_mask:0xf
	v_cndmask_b32_e64 v11, v11, 0, s[8:9]
	v_add_u32_e32 v10, v10, v11
	s_nop 1
	v_mov_b32_dpp v11, v10 row_bcast:31 row_mask:0xf bank_mask:0xf
	v_cndmask_b32_e64 v11, 0, v11, s[2:3]
	v_add_u32_e32 v10, v10, v11
	s_and_saveexec_b64 s[2:3], s[20:21]
	s_cbranch_execz .LBB158_82
; %bb.81:
	v_lshlrev_b32_e32 v11, 2, v72
	ds_write_b32 v11, v10
.LBB158_82:
	s_or_b64 exec, exec, s[2:3]
	v_cmp_gt_u32_e32 vcc, 4, v0
	s_waitcnt lgkmcnt(0)
	s_barrier
	s_and_saveexec_b64 s[2:3], vcc
	s_cbranch_execz .LBB158_84
; %bb.83:
	v_lshlrev_b32_e32 v11, 2, v0
	ds_read_b32 v14, v11
	v_and_b32_e32 v15, 3, v71
	v_cmp_ne_u32_e32 vcc, 0, v15
	s_waitcnt lgkmcnt(0)
	v_mov_b32_dpp v16, v14 row_shr:1 row_mask:0xf bank_mask:0xf
	v_cndmask_b32_e32 v16, 0, v16, vcc
	v_add_u32_e32 v14, v16, v14
	v_cmp_lt_u32_e32 vcc, 1, v15
	s_nop 0
	v_mov_b32_dpp v16, v14 row_shr:2 row_mask:0xf bank_mask:0xf
	v_cndmask_b32_e32 v15, 0, v16, vcc
	v_add_u32_e32 v14, v14, v15
	ds_write_b32 v11, v14
.LBB158_84:
	s_or_b64 exec, exec, s[2:3]
	v_cmp_lt_u32_e32 vcc, 63, v0
	v_mov_b32_e32 v11, 0
	v_mov_b32_e32 v14, 0
	s_waitcnt lgkmcnt(0)
	s_barrier
	s_and_saveexec_b64 s[2:3], vcc
	s_cbranch_execz .LBB158_86
; %bb.85:
	v_lshl_add_u32 v14, v72, 2, -4
	ds_read_b32 v14, v14
.LBB158_86:
	s_or_b64 exec, exec, s[2:3]
	v_add_u32_e32 v15, -1, v71
	v_and_b32_e32 v16, 64, v71
	v_cmp_lt_i32_e32 vcc, v15, v16
	v_cndmask_b32_e32 v15, v15, v71, vcc
	s_waitcnt lgkmcnt(0)
	v_add_u32_e32 v10, v14, v10
	v_lshlrev_b32_e32 v15, 2, v15
	ds_bpermute_b32 v15, v15, v10
	ds_read_b32 v10, v11 offset:12
	v_cmp_eq_u32_e32 vcc, 0, v0
	s_and_saveexec_b64 s[2:3], vcc
	s_cbranch_execz .LBB158_88
; %bb.87:
	v_mov_b32_e32 v16, 0
	v_mov_b32_e32 v11, 2
	s_waitcnt lgkmcnt(0)
	global_store_dwordx2 v16, v[10:11], s[36:37] offset:512
.LBB158_88:
	s_or_b64 exec, exec, s[2:3]
	v_cmp_eq_u32_e64 s[2:3], 0, v71
	s_waitcnt lgkmcnt(1)
	v_cndmask_b32_e64 v14, v15, v14, s[2:3]
	v_mov_b32_e32 v11, 0
	v_cndmask_b32_e64 v14, v14, 0, vcc
	s_waitcnt lgkmcnt(0)
	s_barrier
.LBB158_89:
	v_add_u32_e32 v15, v14, v53
	v_add_u32_e32 v16, v15, v54
	;; [unrolled: 1-line block ×11, first 2 shown]
	s_waitcnt lgkmcnt(0)
	v_add_u32_e32 v31, v10, v31
	v_sub_u32_e32 v14, v14, v11
	v_and_b32_e32 v52, 1, v52
	v_add_u32_e32 v57, v56, v64
	v_sub_u32_e32 v64, v31, v14
	v_cmp_eq_u32_e32 vcc, 1, v52
	v_cndmask_b32_e32 v14, v64, v14, vcc
	v_lshlrev_b32_e32 v14, 1, v14
	ds_write_b16 v14, v6
	v_sub_u32_e32 v6, v15, v11
	v_sub_u32_e32 v14, v31, v6
	v_and_b32_e32 v15, 1, v51
	v_add_u32_e32 v14, 1, v14
	v_cmp_eq_u32_e32 vcc, 1, v15
	v_cndmask_b32_e32 v6, v14, v6, vcc
	v_lshlrev_b32_e32 v6, 1, v6
	ds_write_b16 v6, v32
	v_sub_u32_e32 v6, v16, v11
	v_sub_u32_e32 v14, v31, v6
	v_and_b32_e32 v15, 1, v50
	v_add_u32_e32 v14, 2, v14
	;; [unrolled: 8-line block ×12, first 2 shown]
	v_cmp_eq_u32_e32 vcc, 1, v6
	v_cndmask_b32_e32 v2, v3, v2, vcc
	v_add_u32_e32 v58, v57, v65
	v_lshlrev_b32_e32 v2, 1, v2
	ds_write_b16 v2, v4
	v_sub_u32_e32 v2, v58, v11
	v_sub_u32_e32 v3, v31, v2
	v_and_b32_e32 v4, 1, v39
	v_add_u32_e32 v3, 13, v3
	v_cmp_eq_u32_e32 vcc, 1, v4
	v_cndmask_b32_e32 v2, v3, v2, vcc
	v_add_u32_e32 v59, v58, v66
	v_lshlrev_b32_e32 v2, 1, v2
	ds_write_b16 v2, v25
	v_sub_u32_e32 v2, v59, v11
	v_sub_u32_e32 v3, v31, v2
	v_and_b32_e32 v4, 1, v38
	v_add_u32_e32 v3, 14, v3
	;; [unrolled: 9-line block ×6, first 2 shown]
	v_cmp_eq_u32_e32 vcc, 1, v4
	v_cndmask_b32_e32 v2, v3, v2, vcc
	v_lshlrev_b32_e32 v2, 1, v2
	ds_write_b16 v2, v13
	v_sub_u32_sdwa v2, v33, v11 dst_sel:DWORD dst_unused:UNUSED_PAD src0_sel:BYTE_0 src1_sel:DWORD
	v_add_u32_e32 v2, v63, v2
	v_sub_u32_e32 v3, v31, v2
	v_and_b32_e32 v4, 1, v34
	v_add_u32_e32 v3, 19, v3
	v_cmp_eq_u32_e32 vcc, 1, v4
	v_cndmask_b32_e32 v2, v3, v2, vcc
	v_lshlrev_b32_e32 v2, 1, v2
	ds_write_b16 v2, v22
	s_waitcnt lgkmcnt(0)
	s_barrier
	ds_read_u16 v47, v1
	ds_read_u16 v45, v1 offset:512
	ds_read_u16 v43, v1 offset:1024
	;; [unrolled: 1-line block ×15, first 2 shown]
	s_add_u32 s2, s22, s30
	ds_read_u16 v15, v1 offset:8192
	ds_read_u16 v13, v1 offset:8704
	;; [unrolled: 1-line block ×4, first 2 shown]
	s_addc_u32 s3, s23, 0
	v_mov_b32_e32 v2, s35
	v_add_co_u32_e32 v1, vcc, s34, v11
	s_sub_u32 s2, s28, s2
	v_addc_co_u32_e32 v4, vcc, 0, v2, vcc
	s_subb_u32 s3, s29, s3
	v_mov_b32_e32 v2, s3
	v_add_co_u32_e32 v3, vcc, s2, v10
	v_addc_co_u32_e32 v2, vcc, 0, v2, vcc
	s_and_b64 vcc, exec, s[0:1]
	v_add_co_u32_e64 v7, s[0:1], v3, v1
	v_or_b32_e32 v46, 0x100, v0
	v_or_b32_e32 v44, 0x200, v0
	;; [unrolled: 1-line block ×19, first 2 shown]
	v_addc_co_u32_e64 v8, s[0:1], v2, v4, s[0:1]
	s_cbranch_vccnz .LBB158_171
; %bb.90:
	v_cmp_ge_u32_e32 vcc, v0, v10
                                        ; implicit-def: $vgpr2_vgpr3
	s_and_saveexec_b64 s[0:1], vcc
	s_xor_b64 s[0:1], exec, s[0:1]
; %bb.91:
	v_not_b32_e32 v2, v0
	v_ashrrev_i32_e32 v3, 31, v2
	v_add_co_u32_e32 v2, vcc, v7, v2
	v_addc_co_u32_e32 v3, vcc, v8, v3, vcc
; %bb.92:
	s_andn2_saveexec_b64 s[0:1], s[0:1]
; %bb.93:
	v_add_co_u32_e32 v2, vcc, v1, v0
	v_addc_co_u32_e32 v3, vcc, 0, v4, vcc
; %bb.94:
	s_or_b64 exec, exec, s[0:1]
	v_lshlrev_b64 v[2:3], 1, v[2:3]
	v_mov_b32_e32 v11, s5
	v_add_co_u32_e32 v2, vcc, s4, v2
	v_addc_co_u32_e32 v3, vcc, v11, v3, vcc
	v_cmp_ge_u32_e32 vcc, v46, v10
	s_waitcnt lgkmcnt(14)
	global_store_short v[2:3], v47, off
                                        ; implicit-def: $vgpr2_vgpr3
	s_and_saveexec_b64 s[0:1], vcc
	s_xor_b64 s[0:1], exec, s[0:1]
; %bb.95:
	v_xor_b32_e32 v2, 0xfffffeff, v0
	v_ashrrev_i32_e32 v3, 31, v2
	v_add_co_u32_e32 v2, vcc, v7, v2
	v_addc_co_u32_e32 v3, vcc, v8, v3, vcc
; %bb.96:
	s_andn2_saveexec_b64 s[0:1], s[0:1]
; %bb.97:
	v_add_co_u32_e32 v2, vcc, v1, v46
	v_addc_co_u32_e32 v3, vcc, 0, v4, vcc
; %bb.98:
	s_or_b64 exec, exec, s[0:1]
	v_lshlrev_b64 v[2:3], 1, v[2:3]
	v_mov_b32_e32 v11, s5
	v_add_co_u32_e32 v2, vcc, s4, v2
	v_addc_co_u32_e32 v3, vcc, v11, v3, vcc
	v_cmp_ge_u32_e32 vcc, v44, v10
	global_store_short v[2:3], v45, off
                                        ; implicit-def: $vgpr2_vgpr3
	s_and_saveexec_b64 s[0:1], vcc
	s_xor_b64 s[0:1], exec, s[0:1]
; %bb.99:
	v_xor_b32_e32 v2, 0xfffffdff, v0
	v_ashrrev_i32_e32 v3, 31, v2
	v_add_co_u32_e32 v2, vcc, v7, v2
	v_addc_co_u32_e32 v3, vcc, v8, v3, vcc
; %bb.100:
	s_andn2_saveexec_b64 s[0:1], s[0:1]
; %bb.101:
	v_add_co_u32_e32 v2, vcc, v1, v44
	v_addc_co_u32_e32 v3, vcc, 0, v4, vcc
; %bb.102:
	s_or_b64 exec, exec, s[0:1]
	v_lshlrev_b64 v[2:3], 1, v[2:3]
	v_mov_b32_e32 v11, s5
	v_add_co_u32_e32 v2, vcc, s4, v2
	v_addc_co_u32_e32 v3, vcc, v11, v3, vcc
	v_cmp_ge_u32_e32 vcc, v42, v10
	;; [unrolled: 21-line block ×6, first 2 shown]
	s_waitcnt lgkmcnt(13)
	global_store_short v[2:3], v35, off
                                        ; implicit-def: $vgpr2_vgpr3
	s_and_saveexec_b64 s[0:1], vcc
	s_xor_b64 s[0:1], exec, s[0:1]
; %bb.119:
	v_xor_b32_e32 v2, 0xfffff8ff, v0
	v_ashrrev_i32_e32 v3, 31, v2
	v_add_co_u32_e32 v2, vcc, v7, v2
	v_addc_co_u32_e32 v3, vcc, v8, v3, vcc
; %bb.120:
	s_andn2_saveexec_b64 s[0:1], s[0:1]
; %bb.121:
	v_add_co_u32_e32 v2, vcc, v1, v34
	v_addc_co_u32_e32 v3, vcc, 0, v4, vcc
; %bb.122:
	s_or_b64 exec, exec, s[0:1]
	v_lshlrev_b64 v[2:3], 1, v[2:3]
	v_mov_b32_e32 v11, s5
	v_add_co_u32_e32 v2, vcc, s4, v2
	v_addc_co_u32_e32 v3, vcc, v11, v3, vcc
	v_cmp_ge_u32_e32 vcc, v32, v10
	s_waitcnt lgkmcnt(12)
	global_store_short v[2:3], v33, off
                                        ; implicit-def: $vgpr2_vgpr3
	s_and_saveexec_b64 s[0:1], vcc
	s_xor_b64 s[0:1], exec, s[0:1]
; %bb.123:
	v_xor_b32_e32 v2, 0xfffff7ff, v0
	v_ashrrev_i32_e32 v3, 31, v2
	v_add_co_u32_e32 v2, vcc, v7, v2
	v_addc_co_u32_e32 v3, vcc, v8, v3, vcc
; %bb.124:
	s_andn2_saveexec_b64 s[0:1], s[0:1]
; %bb.125:
	v_add_co_u32_e32 v2, vcc, v1, v32
	v_addc_co_u32_e32 v3, vcc, 0, v4, vcc
; %bb.126:
	s_or_b64 exec, exec, s[0:1]
	v_lshlrev_b64 v[2:3], 1, v[2:3]
	v_mov_b32_e32 v11, s5
	v_add_co_u32_e32 v2, vcc, s4, v2
	v_addc_co_u32_e32 v3, vcc, v11, v3, vcc
	v_cmp_ge_u32_e32 vcc, v30, v10
	;; [unrolled: 22-line block ×12, first 2 shown]
	s_waitcnt lgkmcnt(1)
	global_store_short v[2:3], v9, off
                                        ; implicit-def: $vgpr2_vgpr3
	s_and_saveexec_b64 s[0:1], vcc
	s_xor_b64 s[0:1], exec, s[0:1]
; %bb.167:
	v_xor_b32_e32 v2, 0xffffecff, v0
	v_ashrrev_i32_e32 v3, 31, v2
	v_add_co_u32_e32 v2, vcc, v7, v2
	v_addc_co_u32_e32 v3, vcc, v8, v3, vcc
; %bb.168:
	s_andn2_saveexec_b64 s[0:1], s[0:1]
; %bb.169:
	v_add_co_u32_e32 v2, vcc, v1, v6
	v_addc_co_u32_e32 v3, vcc, 0, v4, vcc
; %bb.170:
	s_or_b64 exec, exec, s[0:1]
	s_mov_b64 s[0:1], -1
	s_branch .LBB158_293
.LBB158_171:
	s_mov_b64 s[0:1], 0
                                        ; implicit-def: $vgpr2_vgpr3
	s_cbranch_execz .LBB158_293
; %bb.172:
	v_cmp_gt_u32_e32 vcc, s33, v0
	s_and_saveexec_b64 s[2:3], vcc
	s_cbranch_execz .LBB158_228
; %bb.173:
	v_cmp_ge_u32_e32 vcc, v0, v10
                                        ; implicit-def: $vgpr2_vgpr3
	s_and_saveexec_b64 s[6:7], vcc
	s_xor_b64 s[6:7], exec, s[6:7]
; %bb.174:
	v_not_b32_e32 v2, v0
	v_ashrrev_i32_e32 v3, 31, v2
	v_add_co_u32_e32 v2, vcc, v7, v2
	v_addc_co_u32_e32 v3, vcc, v8, v3, vcc
; %bb.175:
	s_andn2_saveexec_b64 s[6:7], s[6:7]
; %bb.176:
	v_add_co_u32_e32 v2, vcc, v1, v0
	v_addc_co_u32_e32 v3, vcc, 0, v4, vcc
; %bb.177:
	s_or_b64 exec, exec, s[6:7]
	v_lshlrev_b64 v[2:3], 1, v[2:3]
	v_mov_b32_e32 v11, s5
	v_add_co_u32_e32 v2, vcc, s4, v2
	v_addc_co_u32_e32 v3, vcc, v11, v3, vcc
	s_waitcnt lgkmcnt(14)
	global_store_short v[2:3], v47, off
	s_or_b64 exec, exec, s[2:3]
	v_cmp_gt_u32_e32 vcc, s33, v46
	s_and_saveexec_b64 s[2:3], vcc
	s_cbranch_execnz .LBB158_229
.LBB158_178:
	s_or_b64 exec, exec, s[2:3]
	v_cmp_gt_u32_e32 vcc, s33, v44
	s_and_saveexec_b64 s[2:3], vcc
	s_cbranch_execz .LBB158_234
.LBB158_179:
	v_cmp_ge_u32_e32 vcc, v44, v10
                                        ; implicit-def: $vgpr2_vgpr3
	s_and_saveexec_b64 s[6:7], vcc
	s_xor_b64 s[6:7], exec, s[6:7]
; %bb.180:
	v_xor_b32_e32 v2, 0xfffffdff, v0
	v_ashrrev_i32_e32 v3, 31, v2
	v_add_co_u32_e32 v2, vcc, v7, v2
	v_addc_co_u32_e32 v3, vcc, v8, v3, vcc
                                        ; implicit-def: $vgpr44
; %bb.181:
	s_andn2_saveexec_b64 s[6:7], s[6:7]
; %bb.182:
	v_add_co_u32_e32 v2, vcc, v1, v44
	v_addc_co_u32_e32 v3, vcc, 0, v4, vcc
; %bb.183:
	s_or_b64 exec, exec, s[6:7]
	v_lshlrev_b64 v[2:3], 1, v[2:3]
	v_mov_b32_e32 v11, s5
	v_add_co_u32_e32 v2, vcc, s4, v2
	v_addc_co_u32_e32 v3, vcc, v11, v3, vcc
	s_waitcnt lgkmcnt(14)
	global_store_short v[2:3], v43, off
	s_or_b64 exec, exec, s[2:3]
	v_cmp_gt_u32_e32 vcc, s33, v42
	s_and_saveexec_b64 s[2:3], vcc
	s_cbranch_execnz .LBB158_235
.LBB158_184:
	s_or_b64 exec, exec, s[2:3]
	v_cmp_gt_u32_e32 vcc, s33, v40
	s_and_saveexec_b64 s[2:3], vcc
	s_cbranch_execz .LBB158_240
.LBB158_185:
	v_cmp_ge_u32_e32 vcc, v40, v10
                                        ; implicit-def: $vgpr2_vgpr3
	s_and_saveexec_b64 s[6:7], vcc
	s_xor_b64 s[6:7], exec, s[6:7]
; %bb.186:
	v_xor_b32_e32 v2, 0xfffffbff, v0
	v_ashrrev_i32_e32 v3, 31, v2
	v_add_co_u32_e32 v2, vcc, v7, v2
	v_addc_co_u32_e32 v3, vcc, v8, v3, vcc
                                        ; implicit-def: $vgpr40
; %bb.187:
	s_andn2_saveexec_b64 s[6:7], s[6:7]
; %bb.188:
	v_add_co_u32_e32 v2, vcc, v1, v40
	v_addc_co_u32_e32 v3, vcc, 0, v4, vcc
; %bb.189:
	s_or_b64 exec, exec, s[6:7]
	v_lshlrev_b64 v[2:3], 1, v[2:3]
	v_mov_b32_e32 v11, s5
	v_add_co_u32_e32 v2, vcc, s4, v2
	v_addc_co_u32_e32 v3, vcc, v11, v3, vcc
	s_waitcnt lgkmcnt(14)
	global_store_short v[2:3], v39, off
	s_or_b64 exec, exec, s[2:3]
	v_cmp_gt_u32_e32 vcc, s33, v38
	s_and_saveexec_b64 s[2:3], vcc
	s_cbranch_execnz .LBB158_241
.LBB158_190:
	s_or_b64 exec, exec, s[2:3]
	v_cmp_gt_u32_e32 vcc, s33, v36
	s_and_saveexec_b64 s[2:3], vcc
	s_cbranch_execz .LBB158_246
.LBB158_191:
	v_cmp_ge_u32_e32 vcc, v36, v10
                                        ; implicit-def: $vgpr2_vgpr3
	s_and_saveexec_b64 s[6:7], vcc
	s_xor_b64 s[6:7], exec, s[6:7]
; %bb.192:
	v_xor_b32_e32 v2, 0xfffff9ff, v0
	v_ashrrev_i32_e32 v3, 31, v2
	v_add_co_u32_e32 v2, vcc, v7, v2
	v_addc_co_u32_e32 v3, vcc, v8, v3, vcc
                                        ; implicit-def: $vgpr36
; %bb.193:
	s_andn2_saveexec_b64 s[6:7], s[6:7]
; %bb.194:
	v_add_co_u32_e32 v2, vcc, v1, v36
	v_addc_co_u32_e32 v3, vcc, 0, v4, vcc
; %bb.195:
	s_or_b64 exec, exec, s[6:7]
	v_lshlrev_b64 v[2:3], 1, v[2:3]
	v_mov_b32_e32 v11, s5
	v_add_co_u32_e32 v2, vcc, s4, v2
	v_addc_co_u32_e32 v3, vcc, v11, v3, vcc
	s_waitcnt lgkmcnt(13)
	global_store_short v[2:3], v35, off
	s_or_b64 exec, exec, s[2:3]
	v_cmp_gt_u32_e32 vcc, s33, v34
	s_and_saveexec_b64 s[2:3], vcc
	s_cbranch_execnz .LBB158_247
.LBB158_196:
	s_or_b64 exec, exec, s[2:3]
	v_cmp_gt_u32_e32 vcc, s33, v32
	s_and_saveexec_b64 s[2:3], vcc
	s_cbranch_execz .LBB158_252
.LBB158_197:
	v_cmp_ge_u32_e32 vcc, v32, v10
                                        ; implicit-def: $vgpr2_vgpr3
	s_and_saveexec_b64 s[6:7], vcc
	s_xor_b64 s[6:7], exec, s[6:7]
; %bb.198:
	v_xor_b32_e32 v2, 0xfffff7ff, v0
	v_ashrrev_i32_e32 v3, 31, v2
	v_add_co_u32_e32 v2, vcc, v7, v2
	v_addc_co_u32_e32 v3, vcc, v8, v3, vcc
                                        ; implicit-def: $vgpr32
; %bb.199:
	s_andn2_saveexec_b64 s[6:7], s[6:7]
; %bb.200:
	v_add_co_u32_e32 v2, vcc, v1, v32
	v_addc_co_u32_e32 v3, vcc, 0, v4, vcc
; %bb.201:
	s_or_b64 exec, exec, s[6:7]
	v_lshlrev_b64 v[2:3], 1, v[2:3]
	v_mov_b32_e32 v11, s5
	v_add_co_u32_e32 v2, vcc, s4, v2
	v_addc_co_u32_e32 v3, vcc, v11, v3, vcc
	s_waitcnt lgkmcnt(11)
	global_store_short v[2:3], v31, off
	s_or_b64 exec, exec, s[2:3]
	v_cmp_gt_u32_e32 vcc, s33, v30
	s_and_saveexec_b64 s[2:3], vcc
	s_cbranch_execnz .LBB158_253
.LBB158_202:
	s_or_b64 exec, exec, s[2:3]
	v_cmp_gt_u32_e32 vcc, s33, v28
	s_and_saveexec_b64 s[2:3], vcc
	s_cbranch_execz .LBB158_258
.LBB158_203:
	v_cmp_ge_u32_e32 vcc, v28, v10
                                        ; implicit-def: $vgpr2_vgpr3
	s_and_saveexec_b64 s[6:7], vcc
	s_xor_b64 s[6:7], exec, s[6:7]
; %bb.204:
	v_xor_b32_e32 v2, 0xfffff5ff, v0
	v_ashrrev_i32_e32 v3, 31, v2
	v_add_co_u32_e32 v2, vcc, v7, v2
	v_addc_co_u32_e32 v3, vcc, v8, v3, vcc
                                        ; implicit-def: $vgpr28
; %bb.205:
	s_andn2_saveexec_b64 s[6:7], s[6:7]
; %bb.206:
	v_add_co_u32_e32 v2, vcc, v1, v28
	v_addc_co_u32_e32 v3, vcc, 0, v4, vcc
; %bb.207:
	s_or_b64 exec, exec, s[6:7]
	v_lshlrev_b64 v[2:3], 1, v[2:3]
	v_mov_b32_e32 v11, s5
	v_add_co_u32_e32 v2, vcc, s4, v2
	v_addc_co_u32_e32 v3, vcc, v11, v3, vcc
	s_waitcnt lgkmcnt(9)
	global_store_short v[2:3], v27, off
	s_or_b64 exec, exec, s[2:3]
	v_cmp_gt_u32_e32 vcc, s33, v26
	s_and_saveexec_b64 s[2:3], vcc
	s_cbranch_execnz .LBB158_259
.LBB158_208:
	s_or_b64 exec, exec, s[2:3]
	v_cmp_gt_u32_e32 vcc, s33, v24
	s_and_saveexec_b64 s[2:3], vcc
	s_cbranch_execz .LBB158_264
.LBB158_209:
	v_cmp_ge_u32_e32 vcc, v24, v10
                                        ; implicit-def: $vgpr2_vgpr3
	s_and_saveexec_b64 s[6:7], vcc
	s_xor_b64 s[6:7], exec, s[6:7]
; %bb.210:
	v_xor_b32_e32 v2, 0xfffff3ff, v0
	v_ashrrev_i32_e32 v3, 31, v2
	v_add_co_u32_e32 v2, vcc, v7, v2
	v_addc_co_u32_e32 v3, vcc, v8, v3, vcc
                                        ; implicit-def: $vgpr24
; %bb.211:
	s_andn2_saveexec_b64 s[6:7], s[6:7]
; %bb.212:
	v_add_co_u32_e32 v2, vcc, v1, v24
	v_addc_co_u32_e32 v3, vcc, 0, v4, vcc
; %bb.213:
	s_or_b64 exec, exec, s[6:7]
	v_lshlrev_b64 v[2:3], 1, v[2:3]
	v_mov_b32_e32 v11, s5
	v_add_co_u32_e32 v2, vcc, s4, v2
	v_addc_co_u32_e32 v3, vcc, v11, v3, vcc
	s_waitcnt lgkmcnt(7)
	global_store_short v[2:3], v23, off
	s_or_b64 exec, exec, s[2:3]
	v_cmp_gt_u32_e32 vcc, s33, v22
	s_and_saveexec_b64 s[2:3], vcc
	s_cbranch_execnz .LBB158_265
.LBB158_214:
	s_or_b64 exec, exec, s[2:3]
	v_cmp_gt_u32_e32 vcc, s33, v20
	s_and_saveexec_b64 s[2:3], vcc
	s_cbranch_execz .LBB158_270
.LBB158_215:
	v_cmp_ge_u32_e32 vcc, v20, v10
                                        ; implicit-def: $vgpr2_vgpr3
	s_and_saveexec_b64 s[6:7], vcc
	s_xor_b64 s[6:7], exec, s[6:7]
; %bb.216:
	v_xor_b32_e32 v2, 0xfffff1ff, v0
	v_ashrrev_i32_e32 v3, 31, v2
	v_add_co_u32_e32 v2, vcc, v7, v2
	v_addc_co_u32_e32 v3, vcc, v8, v3, vcc
                                        ; implicit-def: $vgpr20
; %bb.217:
	s_andn2_saveexec_b64 s[6:7], s[6:7]
; %bb.218:
	v_add_co_u32_e32 v2, vcc, v1, v20
	v_addc_co_u32_e32 v3, vcc, 0, v4, vcc
; %bb.219:
	s_or_b64 exec, exec, s[6:7]
	v_lshlrev_b64 v[2:3], 1, v[2:3]
	v_mov_b32_e32 v11, s5
	v_add_co_u32_e32 v2, vcc, s4, v2
	v_addc_co_u32_e32 v3, vcc, v11, v3, vcc
	s_waitcnt lgkmcnt(5)
	global_store_short v[2:3], v19, off
	s_or_b64 exec, exec, s[2:3]
	v_cmp_gt_u32_e32 vcc, s33, v18
	s_and_saveexec_b64 s[2:3], vcc
	s_cbranch_execnz .LBB158_271
.LBB158_220:
	s_or_b64 exec, exec, s[2:3]
	v_cmp_gt_u32_e32 vcc, s33, v16
	s_and_saveexec_b64 s[2:3], vcc
	s_cbranch_execz .LBB158_276
.LBB158_221:
	v_cmp_ge_u32_e32 vcc, v16, v10
                                        ; implicit-def: $vgpr2_vgpr3
	s_and_saveexec_b64 s[6:7], vcc
	s_xor_b64 s[6:7], exec, s[6:7]
; %bb.222:
	v_xor_b32_e32 v2, 0xffffefff, v0
	v_ashrrev_i32_e32 v3, 31, v2
	v_add_co_u32_e32 v2, vcc, v7, v2
	v_addc_co_u32_e32 v3, vcc, v8, v3, vcc
                                        ; implicit-def: $vgpr16
; %bb.223:
	s_andn2_saveexec_b64 s[6:7], s[6:7]
; %bb.224:
	v_add_co_u32_e32 v2, vcc, v1, v16
	v_addc_co_u32_e32 v3, vcc, 0, v4, vcc
; %bb.225:
	s_or_b64 exec, exec, s[6:7]
	v_lshlrev_b64 v[2:3], 1, v[2:3]
	v_mov_b32_e32 v11, s5
	v_add_co_u32_e32 v2, vcc, s4, v2
	v_addc_co_u32_e32 v3, vcc, v11, v3, vcc
	s_waitcnt lgkmcnt(3)
	global_store_short v[2:3], v15, off
	s_or_b64 exec, exec, s[2:3]
	v_cmp_gt_u32_e32 vcc, s33, v14
	s_and_saveexec_b64 s[2:3], vcc
	s_cbranch_execnz .LBB158_277
.LBB158_226:
	s_or_b64 exec, exec, s[2:3]
	v_cmp_gt_u32_e32 vcc, s33, v12
	s_and_saveexec_b64 s[2:3], vcc
	s_cbranch_execnz .LBB158_282
.LBB158_227:
	s_or_b64 exec, exec, s[2:3]
	v_cmp_gt_u32_e32 vcc, s33, v6
                                        ; implicit-def: $vgpr2_vgpr3
	s_and_saveexec_b64 s[2:3], vcc
	s_cbranch_execz .LBB158_292
	s_branch .LBB158_287
.LBB158_228:
	s_or_b64 exec, exec, s[2:3]
	v_cmp_gt_u32_e32 vcc, s33, v46
	s_and_saveexec_b64 s[2:3], vcc
	s_cbranch_execz .LBB158_178
.LBB158_229:
	v_cmp_ge_u32_e32 vcc, v46, v10
                                        ; implicit-def: $vgpr2_vgpr3
	s_and_saveexec_b64 s[6:7], vcc
	s_xor_b64 s[6:7], exec, s[6:7]
; %bb.230:
	v_xor_b32_e32 v2, 0xfffffeff, v0
	v_ashrrev_i32_e32 v3, 31, v2
	v_add_co_u32_e32 v2, vcc, v7, v2
	v_addc_co_u32_e32 v3, vcc, v8, v3, vcc
                                        ; implicit-def: $vgpr46
; %bb.231:
	s_andn2_saveexec_b64 s[6:7], s[6:7]
; %bb.232:
	v_add_co_u32_e32 v2, vcc, v1, v46
	v_addc_co_u32_e32 v3, vcc, 0, v4, vcc
; %bb.233:
	s_or_b64 exec, exec, s[6:7]
	v_lshlrev_b64 v[2:3], 1, v[2:3]
	v_mov_b32_e32 v11, s5
	v_add_co_u32_e32 v2, vcc, s4, v2
	v_addc_co_u32_e32 v3, vcc, v11, v3, vcc
	s_waitcnt lgkmcnt(14)
	global_store_short v[2:3], v45, off
	s_or_b64 exec, exec, s[2:3]
	v_cmp_gt_u32_e32 vcc, s33, v44
	s_and_saveexec_b64 s[2:3], vcc
	s_cbranch_execnz .LBB158_179
.LBB158_234:
	s_or_b64 exec, exec, s[2:3]
	v_cmp_gt_u32_e32 vcc, s33, v42
	s_and_saveexec_b64 s[2:3], vcc
	s_cbranch_execz .LBB158_184
.LBB158_235:
	v_cmp_ge_u32_e32 vcc, v42, v10
                                        ; implicit-def: $vgpr2_vgpr3
	s_and_saveexec_b64 s[6:7], vcc
	s_xor_b64 s[6:7], exec, s[6:7]
; %bb.236:
	v_xor_b32_e32 v2, 0xfffffcff, v0
	v_ashrrev_i32_e32 v3, 31, v2
	v_add_co_u32_e32 v2, vcc, v7, v2
	v_addc_co_u32_e32 v3, vcc, v8, v3, vcc
                                        ; implicit-def: $vgpr42
; %bb.237:
	s_andn2_saveexec_b64 s[6:7], s[6:7]
; %bb.238:
	v_add_co_u32_e32 v2, vcc, v1, v42
	v_addc_co_u32_e32 v3, vcc, 0, v4, vcc
; %bb.239:
	s_or_b64 exec, exec, s[6:7]
	v_lshlrev_b64 v[2:3], 1, v[2:3]
	v_mov_b32_e32 v11, s5
	v_add_co_u32_e32 v2, vcc, s4, v2
	v_addc_co_u32_e32 v3, vcc, v11, v3, vcc
	s_waitcnt lgkmcnt(14)
	global_store_short v[2:3], v41, off
	s_or_b64 exec, exec, s[2:3]
	v_cmp_gt_u32_e32 vcc, s33, v40
	s_and_saveexec_b64 s[2:3], vcc
	s_cbranch_execnz .LBB158_185
.LBB158_240:
	s_or_b64 exec, exec, s[2:3]
	v_cmp_gt_u32_e32 vcc, s33, v38
	s_and_saveexec_b64 s[2:3], vcc
	s_cbranch_execz .LBB158_190
.LBB158_241:
	v_cmp_ge_u32_e32 vcc, v38, v10
                                        ; implicit-def: $vgpr2_vgpr3
	s_and_saveexec_b64 s[6:7], vcc
	s_xor_b64 s[6:7], exec, s[6:7]
; %bb.242:
	v_xor_b32_e32 v2, 0xfffffaff, v0
	v_ashrrev_i32_e32 v3, 31, v2
	v_add_co_u32_e32 v2, vcc, v7, v2
	v_addc_co_u32_e32 v3, vcc, v8, v3, vcc
                                        ; implicit-def: $vgpr38
; %bb.243:
	s_andn2_saveexec_b64 s[6:7], s[6:7]
; %bb.244:
	v_add_co_u32_e32 v2, vcc, v1, v38
	v_addc_co_u32_e32 v3, vcc, 0, v4, vcc
; %bb.245:
	s_or_b64 exec, exec, s[6:7]
	v_lshlrev_b64 v[2:3], 1, v[2:3]
	v_mov_b32_e32 v11, s5
	v_add_co_u32_e32 v2, vcc, s4, v2
	v_addc_co_u32_e32 v3, vcc, v11, v3, vcc
	s_waitcnt lgkmcnt(14)
	global_store_short v[2:3], v37, off
	s_or_b64 exec, exec, s[2:3]
	v_cmp_gt_u32_e32 vcc, s33, v36
	s_and_saveexec_b64 s[2:3], vcc
	s_cbranch_execnz .LBB158_191
.LBB158_246:
	s_or_b64 exec, exec, s[2:3]
	v_cmp_gt_u32_e32 vcc, s33, v34
	s_and_saveexec_b64 s[2:3], vcc
	s_cbranch_execz .LBB158_196
.LBB158_247:
	v_cmp_ge_u32_e32 vcc, v34, v10
                                        ; implicit-def: $vgpr2_vgpr3
	s_and_saveexec_b64 s[6:7], vcc
	s_xor_b64 s[6:7], exec, s[6:7]
; %bb.248:
	v_xor_b32_e32 v2, 0xfffff8ff, v0
	v_ashrrev_i32_e32 v3, 31, v2
	v_add_co_u32_e32 v2, vcc, v7, v2
	v_addc_co_u32_e32 v3, vcc, v8, v3, vcc
                                        ; implicit-def: $vgpr34
; %bb.249:
	s_andn2_saveexec_b64 s[6:7], s[6:7]
; %bb.250:
	v_add_co_u32_e32 v2, vcc, v1, v34
	v_addc_co_u32_e32 v3, vcc, 0, v4, vcc
; %bb.251:
	s_or_b64 exec, exec, s[6:7]
	v_lshlrev_b64 v[2:3], 1, v[2:3]
	v_mov_b32_e32 v11, s5
	v_add_co_u32_e32 v2, vcc, s4, v2
	v_addc_co_u32_e32 v3, vcc, v11, v3, vcc
	s_waitcnt lgkmcnt(12)
	global_store_short v[2:3], v33, off
	s_or_b64 exec, exec, s[2:3]
	v_cmp_gt_u32_e32 vcc, s33, v32
	s_and_saveexec_b64 s[2:3], vcc
	s_cbranch_execnz .LBB158_197
.LBB158_252:
	s_or_b64 exec, exec, s[2:3]
	v_cmp_gt_u32_e32 vcc, s33, v30
	s_and_saveexec_b64 s[2:3], vcc
	s_cbranch_execz .LBB158_202
.LBB158_253:
	v_cmp_ge_u32_e32 vcc, v30, v10
                                        ; implicit-def: $vgpr2_vgpr3
	s_and_saveexec_b64 s[6:7], vcc
	s_xor_b64 s[6:7], exec, s[6:7]
; %bb.254:
	v_xor_b32_e32 v2, 0xfffff6ff, v0
	v_ashrrev_i32_e32 v3, 31, v2
	v_add_co_u32_e32 v2, vcc, v7, v2
	v_addc_co_u32_e32 v3, vcc, v8, v3, vcc
                                        ; implicit-def: $vgpr30
; %bb.255:
	s_andn2_saveexec_b64 s[6:7], s[6:7]
; %bb.256:
	v_add_co_u32_e32 v2, vcc, v1, v30
	v_addc_co_u32_e32 v3, vcc, 0, v4, vcc
; %bb.257:
	s_or_b64 exec, exec, s[6:7]
	v_lshlrev_b64 v[2:3], 1, v[2:3]
	v_mov_b32_e32 v11, s5
	v_add_co_u32_e32 v2, vcc, s4, v2
	v_addc_co_u32_e32 v3, vcc, v11, v3, vcc
	s_waitcnt lgkmcnt(10)
	global_store_short v[2:3], v29, off
	s_or_b64 exec, exec, s[2:3]
	v_cmp_gt_u32_e32 vcc, s33, v28
	s_and_saveexec_b64 s[2:3], vcc
	s_cbranch_execnz .LBB158_203
.LBB158_258:
	s_or_b64 exec, exec, s[2:3]
	v_cmp_gt_u32_e32 vcc, s33, v26
	s_and_saveexec_b64 s[2:3], vcc
	s_cbranch_execz .LBB158_208
.LBB158_259:
	v_cmp_ge_u32_e32 vcc, v26, v10
                                        ; implicit-def: $vgpr2_vgpr3
	s_and_saveexec_b64 s[6:7], vcc
	s_xor_b64 s[6:7], exec, s[6:7]
; %bb.260:
	v_xor_b32_e32 v2, 0xfffff4ff, v0
	v_ashrrev_i32_e32 v3, 31, v2
	v_add_co_u32_e32 v2, vcc, v7, v2
	v_addc_co_u32_e32 v3, vcc, v8, v3, vcc
                                        ; implicit-def: $vgpr26
; %bb.261:
	s_andn2_saveexec_b64 s[6:7], s[6:7]
; %bb.262:
	v_add_co_u32_e32 v2, vcc, v1, v26
	v_addc_co_u32_e32 v3, vcc, 0, v4, vcc
; %bb.263:
	s_or_b64 exec, exec, s[6:7]
	v_lshlrev_b64 v[2:3], 1, v[2:3]
	v_mov_b32_e32 v11, s5
	v_add_co_u32_e32 v2, vcc, s4, v2
	v_addc_co_u32_e32 v3, vcc, v11, v3, vcc
	s_waitcnt lgkmcnt(8)
	global_store_short v[2:3], v25, off
	s_or_b64 exec, exec, s[2:3]
	v_cmp_gt_u32_e32 vcc, s33, v24
	s_and_saveexec_b64 s[2:3], vcc
	s_cbranch_execnz .LBB158_209
.LBB158_264:
	s_or_b64 exec, exec, s[2:3]
	v_cmp_gt_u32_e32 vcc, s33, v22
	s_and_saveexec_b64 s[2:3], vcc
	s_cbranch_execz .LBB158_214
.LBB158_265:
	v_cmp_ge_u32_e32 vcc, v22, v10
                                        ; implicit-def: $vgpr2_vgpr3
	s_and_saveexec_b64 s[6:7], vcc
	s_xor_b64 s[6:7], exec, s[6:7]
; %bb.266:
	v_xor_b32_e32 v2, 0xfffff2ff, v0
	v_ashrrev_i32_e32 v3, 31, v2
	v_add_co_u32_e32 v2, vcc, v7, v2
	v_addc_co_u32_e32 v3, vcc, v8, v3, vcc
                                        ; implicit-def: $vgpr22
; %bb.267:
	s_andn2_saveexec_b64 s[6:7], s[6:7]
; %bb.268:
	v_add_co_u32_e32 v2, vcc, v1, v22
	v_addc_co_u32_e32 v3, vcc, 0, v4, vcc
; %bb.269:
	s_or_b64 exec, exec, s[6:7]
	v_lshlrev_b64 v[2:3], 1, v[2:3]
	v_mov_b32_e32 v11, s5
	v_add_co_u32_e32 v2, vcc, s4, v2
	v_addc_co_u32_e32 v3, vcc, v11, v3, vcc
	s_waitcnt lgkmcnt(6)
	global_store_short v[2:3], v21, off
	s_or_b64 exec, exec, s[2:3]
	v_cmp_gt_u32_e32 vcc, s33, v20
	s_and_saveexec_b64 s[2:3], vcc
	s_cbranch_execnz .LBB158_215
.LBB158_270:
	s_or_b64 exec, exec, s[2:3]
	v_cmp_gt_u32_e32 vcc, s33, v18
	s_and_saveexec_b64 s[2:3], vcc
	s_cbranch_execz .LBB158_220
.LBB158_271:
	v_cmp_ge_u32_e32 vcc, v18, v10
                                        ; implicit-def: $vgpr2_vgpr3
	s_and_saveexec_b64 s[6:7], vcc
	s_xor_b64 s[6:7], exec, s[6:7]
; %bb.272:
	v_xor_b32_e32 v2, 0xfffff0ff, v0
	v_ashrrev_i32_e32 v3, 31, v2
	v_add_co_u32_e32 v2, vcc, v7, v2
	v_addc_co_u32_e32 v3, vcc, v8, v3, vcc
                                        ; implicit-def: $vgpr18
; %bb.273:
	s_andn2_saveexec_b64 s[6:7], s[6:7]
; %bb.274:
	v_add_co_u32_e32 v2, vcc, v1, v18
	v_addc_co_u32_e32 v3, vcc, 0, v4, vcc
; %bb.275:
	s_or_b64 exec, exec, s[6:7]
	v_lshlrev_b64 v[2:3], 1, v[2:3]
	v_mov_b32_e32 v11, s5
	v_add_co_u32_e32 v2, vcc, s4, v2
	v_addc_co_u32_e32 v3, vcc, v11, v3, vcc
	s_waitcnt lgkmcnt(4)
	global_store_short v[2:3], v17, off
	s_or_b64 exec, exec, s[2:3]
	v_cmp_gt_u32_e32 vcc, s33, v16
	s_and_saveexec_b64 s[2:3], vcc
	s_cbranch_execnz .LBB158_221
.LBB158_276:
	s_or_b64 exec, exec, s[2:3]
	v_cmp_gt_u32_e32 vcc, s33, v14
	s_and_saveexec_b64 s[2:3], vcc
	s_cbranch_execz .LBB158_226
.LBB158_277:
	v_cmp_ge_u32_e32 vcc, v14, v10
                                        ; implicit-def: $vgpr2_vgpr3
	s_and_saveexec_b64 s[6:7], vcc
	s_xor_b64 s[6:7], exec, s[6:7]
; %bb.278:
	v_xor_b32_e32 v2, 0xffffeeff, v0
	v_ashrrev_i32_e32 v3, 31, v2
	v_add_co_u32_e32 v2, vcc, v7, v2
	v_addc_co_u32_e32 v3, vcc, v8, v3, vcc
                                        ; implicit-def: $vgpr14
; %bb.279:
	s_andn2_saveexec_b64 s[6:7], s[6:7]
; %bb.280:
	v_add_co_u32_e32 v2, vcc, v1, v14
	v_addc_co_u32_e32 v3, vcc, 0, v4, vcc
; %bb.281:
	s_or_b64 exec, exec, s[6:7]
	v_lshlrev_b64 v[2:3], 1, v[2:3]
	v_mov_b32_e32 v11, s5
	v_add_co_u32_e32 v2, vcc, s4, v2
	v_addc_co_u32_e32 v3, vcc, v11, v3, vcc
	s_waitcnt lgkmcnt(2)
	global_store_short v[2:3], v13, off
	s_or_b64 exec, exec, s[2:3]
	v_cmp_gt_u32_e32 vcc, s33, v12
	s_and_saveexec_b64 s[2:3], vcc
	s_cbranch_execz .LBB158_227
.LBB158_282:
	v_cmp_ge_u32_e32 vcc, v12, v10
                                        ; implicit-def: $vgpr2_vgpr3
	s_and_saveexec_b64 s[6:7], vcc
	s_xor_b64 s[6:7], exec, s[6:7]
; %bb.283:
	v_xor_b32_e32 v2, 0xffffedff, v0
	v_ashrrev_i32_e32 v3, 31, v2
	v_add_co_u32_e32 v2, vcc, v7, v2
	v_addc_co_u32_e32 v3, vcc, v8, v3, vcc
                                        ; implicit-def: $vgpr12
; %bb.284:
	s_andn2_saveexec_b64 s[6:7], s[6:7]
; %bb.285:
	v_add_co_u32_e32 v2, vcc, v1, v12
	v_addc_co_u32_e32 v3, vcc, 0, v4, vcc
; %bb.286:
	s_or_b64 exec, exec, s[6:7]
	v_lshlrev_b64 v[2:3], 1, v[2:3]
	v_mov_b32_e32 v11, s5
	v_add_co_u32_e32 v2, vcc, s4, v2
	v_addc_co_u32_e32 v3, vcc, v11, v3, vcc
	s_waitcnt lgkmcnt(1)
	global_store_short v[2:3], v9, off
	s_or_b64 exec, exec, s[2:3]
	v_cmp_gt_u32_e32 vcc, s33, v6
                                        ; implicit-def: $vgpr2_vgpr3
	s_and_saveexec_b64 s[2:3], vcc
	s_cbranch_execz .LBB158_292
.LBB158_287:
	v_cmp_ge_u32_e32 vcc, v6, v10
                                        ; implicit-def: $vgpr2_vgpr3
	s_and_saveexec_b64 s[6:7], vcc
	s_xor_b64 s[6:7], exec, s[6:7]
; %bb.288:
	v_xor_b32_e32 v2, 0xffffecff, v0
	v_ashrrev_i32_e32 v3, 31, v2
	v_add_co_u32_e32 v2, vcc, v7, v2
	v_addc_co_u32_e32 v3, vcc, v8, v3, vcc
                                        ; implicit-def: $vgpr6
; %bb.289:
	s_andn2_saveexec_b64 s[6:7], s[6:7]
; %bb.290:
	v_add_co_u32_e32 v2, vcc, v1, v6
	v_addc_co_u32_e32 v3, vcc, 0, v4, vcc
; %bb.291:
	s_or_b64 exec, exec, s[6:7]
	s_or_b64 s[0:1], s[0:1], exec
.LBB158_292:
	s_or_b64 exec, exec, s[2:3]
.LBB158_293:
	s_and_saveexec_b64 s[2:3], s[0:1]
	s_cbranch_execz .LBB158_295
; %bb.294:
	v_lshlrev_b64 v[2:3], 1, v[2:3]
	v_mov_b32_e32 v6, s5
	v_add_co_u32_e32 v2, vcc, s4, v2
	v_addc_co_u32_e32 v3, vcc, v6, v3, vcc
	s_waitcnt lgkmcnt(0)
	global_store_short v[2:3], v5, off
.LBB158_295:
	s_or_b64 exec, exec, s[2:3]
	v_cmp_eq_u32_e32 vcc, 0, v0
	s_and_b64 s[0:1], vcc, s[26:27]
	s_and_saveexec_b64 s[2:3], s[0:1]
	s_cbranch_execz .LBB158_297
; %bb.296:
	v_add_co_u32_e32 v0, vcc, v1, v10
	v_mov_b32_e32 v2, 0
	v_addc_co_u32_e32 v1, vcc, 0, v4, vcc
	global_store_dwordx2 v2, v[0:1], s[24:25]
.LBB158_297:
	s_endpgm
	.section	.rodata,"a",@progbits
	.p2align	6, 0x0
	.amdhsa_kernel _ZN7rocprim17ROCPRIM_400000_NS6detail17trampoline_kernelINS0_14default_configENS1_25partition_config_selectorILNS1_17partition_subalgoE3EsNS0_10empty_typeEbEEZZNS1_14partition_implILS5_3ELb0ES3_jN6thrust23THRUST_200600_302600_NS6detail15normal_iteratorINSA_7pointerIsNSA_11hip_rocprim3tagENSA_11use_defaultESG_EEEEPS6_SJ_NS0_5tupleIJPsSJ_EEENSK_IJSJ_SJ_EEES6_PlJ7is_evenIsEEEE10hipError_tPvRmT3_T4_T5_T6_T7_T9_mT8_P12ihipStream_tbDpT10_ENKUlT_T0_E_clISt17integral_constantIbLb1EES19_IbLb0EEEEDaS15_S16_EUlS15_E_NS1_11comp_targetILNS1_3genE4ELNS1_11target_archE910ELNS1_3gpuE8ELNS1_3repE0EEENS1_30default_config_static_selectorELNS0_4arch9wavefront6targetE1EEEvT1_
		.amdhsa_group_segment_fixed_size 10248
		.amdhsa_private_segment_fixed_size 0
		.amdhsa_kernarg_size 120
		.amdhsa_user_sgpr_count 6
		.amdhsa_user_sgpr_private_segment_buffer 1
		.amdhsa_user_sgpr_dispatch_ptr 0
		.amdhsa_user_sgpr_queue_ptr 0
		.amdhsa_user_sgpr_kernarg_segment_ptr 1
		.amdhsa_user_sgpr_dispatch_id 0
		.amdhsa_user_sgpr_flat_scratch_init 0
		.amdhsa_user_sgpr_kernarg_preload_length 0
		.amdhsa_user_sgpr_kernarg_preload_offset 0
		.amdhsa_user_sgpr_private_segment_size 0
		.amdhsa_uses_dynamic_stack 0
		.amdhsa_system_sgpr_private_segment_wavefront_offset 0
		.amdhsa_system_sgpr_workgroup_id_x 1
		.amdhsa_system_sgpr_workgroup_id_y 0
		.amdhsa_system_sgpr_workgroup_id_z 0
		.amdhsa_system_sgpr_workgroup_info 0
		.amdhsa_system_vgpr_workitem_id 0
		.amdhsa_next_free_vgpr 90
		.amdhsa_next_free_sgpr 46
		.amdhsa_accum_offset 92
		.amdhsa_reserve_vcc 1
		.amdhsa_reserve_flat_scratch 0
		.amdhsa_float_round_mode_32 0
		.amdhsa_float_round_mode_16_64 0
		.amdhsa_float_denorm_mode_32 3
		.amdhsa_float_denorm_mode_16_64 3
		.amdhsa_dx10_clamp 1
		.amdhsa_ieee_mode 1
		.amdhsa_fp16_overflow 0
		.amdhsa_tg_split 0
		.amdhsa_exception_fp_ieee_invalid_op 0
		.amdhsa_exception_fp_denorm_src 0
		.amdhsa_exception_fp_ieee_div_zero 0
		.amdhsa_exception_fp_ieee_overflow 0
		.amdhsa_exception_fp_ieee_underflow 0
		.amdhsa_exception_fp_ieee_inexact 0
		.amdhsa_exception_int_div_zero 0
	.end_amdhsa_kernel
	.section	.text._ZN7rocprim17ROCPRIM_400000_NS6detail17trampoline_kernelINS0_14default_configENS1_25partition_config_selectorILNS1_17partition_subalgoE3EsNS0_10empty_typeEbEEZZNS1_14partition_implILS5_3ELb0ES3_jN6thrust23THRUST_200600_302600_NS6detail15normal_iteratorINSA_7pointerIsNSA_11hip_rocprim3tagENSA_11use_defaultESG_EEEEPS6_SJ_NS0_5tupleIJPsSJ_EEENSK_IJSJ_SJ_EEES6_PlJ7is_evenIsEEEE10hipError_tPvRmT3_T4_T5_T6_T7_T9_mT8_P12ihipStream_tbDpT10_ENKUlT_T0_E_clISt17integral_constantIbLb1EES19_IbLb0EEEEDaS15_S16_EUlS15_E_NS1_11comp_targetILNS1_3genE4ELNS1_11target_archE910ELNS1_3gpuE8ELNS1_3repE0EEENS1_30default_config_static_selectorELNS0_4arch9wavefront6targetE1EEEvT1_,"axG",@progbits,_ZN7rocprim17ROCPRIM_400000_NS6detail17trampoline_kernelINS0_14default_configENS1_25partition_config_selectorILNS1_17partition_subalgoE3EsNS0_10empty_typeEbEEZZNS1_14partition_implILS5_3ELb0ES3_jN6thrust23THRUST_200600_302600_NS6detail15normal_iteratorINSA_7pointerIsNSA_11hip_rocprim3tagENSA_11use_defaultESG_EEEEPS6_SJ_NS0_5tupleIJPsSJ_EEENSK_IJSJ_SJ_EEES6_PlJ7is_evenIsEEEE10hipError_tPvRmT3_T4_T5_T6_T7_T9_mT8_P12ihipStream_tbDpT10_ENKUlT_T0_E_clISt17integral_constantIbLb1EES19_IbLb0EEEEDaS15_S16_EUlS15_E_NS1_11comp_targetILNS1_3genE4ELNS1_11target_archE910ELNS1_3gpuE8ELNS1_3repE0EEENS1_30default_config_static_selectorELNS0_4arch9wavefront6targetE1EEEvT1_,comdat
.Lfunc_end158:
	.size	_ZN7rocprim17ROCPRIM_400000_NS6detail17trampoline_kernelINS0_14default_configENS1_25partition_config_selectorILNS1_17partition_subalgoE3EsNS0_10empty_typeEbEEZZNS1_14partition_implILS5_3ELb0ES3_jN6thrust23THRUST_200600_302600_NS6detail15normal_iteratorINSA_7pointerIsNSA_11hip_rocprim3tagENSA_11use_defaultESG_EEEEPS6_SJ_NS0_5tupleIJPsSJ_EEENSK_IJSJ_SJ_EEES6_PlJ7is_evenIsEEEE10hipError_tPvRmT3_T4_T5_T6_T7_T9_mT8_P12ihipStream_tbDpT10_ENKUlT_T0_E_clISt17integral_constantIbLb1EES19_IbLb0EEEEDaS15_S16_EUlS15_E_NS1_11comp_targetILNS1_3genE4ELNS1_11target_archE910ELNS1_3gpuE8ELNS1_3repE0EEENS1_30default_config_static_selectorELNS0_4arch9wavefront6targetE1EEEvT1_, .Lfunc_end158-_ZN7rocprim17ROCPRIM_400000_NS6detail17trampoline_kernelINS0_14default_configENS1_25partition_config_selectorILNS1_17partition_subalgoE3EsNS0_10empty_typeEbEEZZNS1_14partition_implILS5_3ELb0ES3_jN6thrust23THRUST_200600_302600_NS6detail15normal_iteratorINSA_7pointerIsNSA_11hip_rocprim3tagENSA_11use_defaultESG_EEEEPS6_SJ_NS0_5tupleIJPsSJ_EEENSK_IJSJ_SJ_EEES6_PlJ7is_evenIsEEEE10hipError_tPvRmT3_T4_T5_T6_T7_T9_mT8_P12ihipStream_tbDpT10_ENKUlT_T0_E_clISt17integral_constantIbLb1EES19_IbLb0EEEEDaS15_S16_EUlS15_E_NS1_11comp_targetILNS1_3genE4ELNS1_11target_archE910ELNS1_3gpuE8ELNS1_3repE0EEENS1_30default_config_static_selectorELNS0_4arch9wavefront6targetE1EEEvT1_
                                        ; -- End function
	.section	.AMDGPU.csdata,"",@progbits
; Kernel info:
; codeLenInByte = 9588
; NumSgprs: 50
; NumVgprs: 90
; NumAgprs: 0
; TotalNumVgprs: 90
; ScratchSize: 0
; MemoryBound: 0
; FloatMode: 240
; IeeeMode: 1
; LDSByteSize: 10248 bytes/workgroup (compile time only)
; SGPRBlocks: 6
; VGPRBlocks: 11
; NumSGPRsForWavesPerEU: 50
; NumVGPRsForWavesPerEU: 90
; AccumOffset: 92
; Occupancy: 5
; WaveLimiterHint : 1
; COMPUTE_PGM_RSRC2:SCRATCH_EN: 0
; COMPUTE_PGM_RSRC2:USER_SGPR: 6
; COMPUTE_PGM_RSRC2:TRAP_HANDLER: 0
; COMPUTE_PGM_RSRC2:TGID_X_EN: 1
; COMPUTE_PGM_RSRC2:TGID_Y_EN: 0
; COMPUTE_PGM_RSRC2:TGID_Z_EN: 0
; COMPUTE_PGM_RSRC2:TIDIG_COMP_CNT: 0
; COMPUTE_PGM_RSRC3_GFX90A:ACCUM_OFFSET: 22
; COMPUTE_PGM_RSRC3_GFX90A:TG_SPLIT: 0
	.section	.text._ZN7rocprim17ROCPRIM_400000_NS6detail17trampoline_kernelINS0_14default_configENS1_25partition_config_selectorILNS1_17partition_subalgoE3EsNS0_10empty_typeEbEEZZNS1_14partition_implILS5_3ELb0ES3_jN6thrust23THRUST_200600_302600_NS6detail15normal_iteratorINSA_7pointerIsNSA_11hip_rocprim3tagENSA_11use_defaultESG_EEEEPS6_SJ_NS0_5tupleIJPsSJ_EEENSK_IJSJ_SJ_EEES6_PlJ7is_evenIsEEEE10hipError_tPvRmT3_T4_T5_T6_T7_T9_mT8_P12ihipStream_tbDpT10_ENKUlT_T0_E_clISt17integral_constantIbLb1EES19_IbLb0EEEEDaS15_S16_EUlS15_E_NS1_11comp_targetILNS1_3genE3ELNS1_11target_archE908ELNS1_3gpuE7ELNS1_3repE0EEENS1_30default_config_static_selectorELNS0_4arch9wavefront6targetE1EEEvT1_,"axG",@progbits,_ZN7rocprim17ROCPRIM_400000_NS6detail17trampoline_kernelINS0_14default_configENS1_25partition_config_selectorILNS1_17partition_subalgoE3EsNS0_10empty_typeEbEEZZNS1_14partition_implILS5_3ELb0ES3_jN6thrust23THRUST_200600_302600_NS6detail15normal_iteratorINSA_7pointerIsNSA_11hip_rocprim3tagENSA_11use_defaultESG_EEEEPS6_SJ_NS0_5tupleIJPsSJ_EEENSK_IJSJ_SJ_EEES6_PlJ7is_evenIsEEEE10hipError_tPvRmT3_T4_T5_T6_T7_T9_mT8_P12ihipStream_tbDpT10_ENKUlT_T0_E_clISt17integral_constantIbLb1EES19_IbLb0EEEEDaS15_S16_EUlS15_E_NS1_11comp_targetILNS1_3genE3ELNS1_11target_archE908ELNS1_3gpuE7ELNS1_3repE0EEENS1_30default_config_static_selectorELNS0_4arch9wavefront6targetE1EEEvT1_,comdat
	.protected	_ZN7rocprim17ROCPRIM_400000_NS6detail17trampoline_kernelINS0_14default_configENS1_25partition_config_selectorILNS1_17partition_subalgoE3EsNS0_10empty_typeEbEEZZNS1_14partition_implILS5_3ELb0ES3_jN6thrust23THRUST_200600_302600_NS6detail15normal_iteratorINSA_7pointerIsNSA_11hip_rocprim3tagENSA_11use_defaultESG_EEEEPS6_SJ_NS0_5tupleIJPsSJ_EEENSK_IJSJ_SJ_EEES6_PlJ7is_evenIsEEEE10hipError_tPvRmT3_T4_T5_T6_T7_T9_mT8_P12ihipStream_tbDpT10_ENKUlT_T0_E_clISt17integral_constantIbLb1EES19_IbLb0EEEEDaS15_S16_EUlS15_E_NS1_11comp_targetILNS1_3genE3ELNS1_11target_archE908ELNS1_3gpuE7ELNS1_3repE0EEENS1_30default_config_static_selectorELNS0_4arch9wavefront6targetE1EEEvT1_ ; -- Begin function _ZN7rocprim17ROCPRIM_400000_NS6detail17trampoline_kernelINS0_14default_configENS1_25partition_config_selectorILNS1_17partition_subalgoE3EsNS0_10empty_typeEbEEZZNS1_14partition_implILS5_3ELb0ES3_jN6thrust23THRUST_200600_302600_NS6detail15normal_iteratorINSA_7pointerIsNSA_11hip_rocprim3tagENSA_11use_defaultESG_EEEEPS6_SJ_NS0_5tupleIJPsSJ_EEENSK_IJSJ_SJ_EEES6_PlJ7is_evenIsEEEE10hipError_tPvRmT3_T4_T5_T6_T7_T9_mT8_P12ihipStream_tbDpT10_ENKUlT_T0_E_clISt17integral_constantIbLb1EES19_IbLb0EEEEDaS15_S16_EUlS15_E_NS1_11comp_targetILNS1_3genE3ELNS1_11target_archE908ELNS1_3gpuE7ELNS1_3repE0EEENS1_30default_config_static_selectorELNS0_4arch9wavefront6targetE1EEEvT1_
	.globl	_ZN7rocprim17ROCPRIM_400000_NS6detail17trampoline_kernelINS0_14default_configENS1_25partition_config_selectorILNS1_17partition_subalgoE3EsNS0_10empty_typeEbEEZZNS1_14partition_implILS5_3ELb0ES3_jN6thrust23THRUST_200600_302600_NS6detail15normal_iteratorINSA_7pointerIsNSA_11hip_rocprim3tagENSA_11use_defaultESG_EEEEPS6_SJ_NS0_5tupleIJPsSJ_EEENSK_IJSJ_SJ_EEES6_PlJ7is_evenIsEEEE10hipError_tPvRmT3_T4_T5_T6_T7_T9_mT8_P12ihipStream_tbDpT10_ENKUlT_T0_E_clISt17integral_constantIbLb1EES19_IbLb0EEEEDaS15_S16_EUlS15_E_NS1_11comp_targetILNS1_3genE3ELNS1_11target_archE908ELNS1_3gpuE7ELNS1_3repE0EEENS1_30default_config_static_selectorELNS0_4arch9wavefront6targetE1EEEvT1_
	.p2align	8
	.type	_ZN7rocprim17ROCPRIM_400000_NS6detail17trampoline_kernelINS0_14default_configENS1_25partition_config_selectorILNS1_17partition_subalgoE3EsNS0_10empty_typeEbEEZZNS1_14partition_implILS5_3ELb0ES3_jN6thrust23THRUST_200600_302600_NS6detail15normal_iteratorINSA_7pointerIsNSA_11hip_rocprim3tagENSA_11use_defaultESG_EEEEPS6_SJ_NS0_5tupleIJPsSJ_EEENSK_IJSJ_SJ_EEES6_PlJ7is_evenIsEEEE10hipError_tPvRmT3_T4_T5_T6_T7_T9_mT8_P12ihipStream_tbDpT10_ENKUlT_T0_E_clISt17integral_constantIbLb1EES19_IbLb0EEEEDaS15_S16_EUlS15_E_NS1_11comp_targetILNS1_3genE3ELNS1_11target_archE908ELNS1_3gpuE7ELNS1_3repE0EEENS1_30default_config_static_selectorELNS0_4arch9wavefront6targetE1EEEvT1_,@function
_ZN7rocprim17ROCPRIM_400000_NS6detail17trampoline_kernelINS0_14default_configENS1_25partition_config_selectorILNS1_17partition_subalgoE3EsNS0_10empty_typeEbEEZZNS1_14partition_implILS5_3ELb0ES3_jN6thrust23THRUST_200600_302600_NS6detail15normal_iteratorINSA_7pointerIsNSA_11hip_rocprim3tagENSA_11use_defaultESG_EEEEPS6_SJ_NS0_5tupleIJPsSJ_EEENSK_IJSJ_SJ_EEES6_PlJ7is_evenIsEEEE10hipError_tPvRmT3_T4_T5_T6_T7_T9_mT8_P12ihipStream_tbDpT10_ENKUlT_T0_E_clISt17integral_constantIbLb1EES19_IbLb0EEEEDaS15_S16_EUlS15_E_NS1_11comp_targetILNS1_3genE3ELNS1_11target_archE908ELNS1_3gpuE7ELNS1_3repE0EEENS1_30default_config_static_selectorELNS0_4arch9wavefront6targetE1EEEvT1_: ; @_ZN7rocprim17ROCPRIM_400000_NS6detail17trampoline_kernelINS0_14default_configENS1_25partition_config_selectorILNS1_17partition_subalgoE3EsNS0_10empty_typeEbEEZZNS1_14partition_implILS5_3ELb0ES3_jN6thrust23THRUST_200600_302600_NS6detail15normal_iteratorINSA_7pointerIsNSA_11hip_rocprim3tagENSA_11use_defaultESG_EEEEPS6_SJ_NS0_5tupleIJPsSJ_EEENSK_IJSJ_SJ_EEES6_PlJ7is_evenIsEEEE10hipError_tPvRmT3_T4_T5_T6_T7_T9_mT8_P12ihipStream_tbDpT10_ENKUlT_T0_E_clISt17integral_constantIbLb1EES19_IbLb0EEEEDaS15_S16_EUlS15_E_NS1_11comp_targetILNS1_3genE3ELNS1_11target_archE908ELNS1_3gpuE7ELNS1_3repE0EEENS1_30default_config_static_selectorELNS0_4arch9wavefront6targetE1EEEvT1_
; %bb.0:
	.section	.rodata,"a",@progbits
	.p2align	6, 0x0
	.amdhsa_kernel _ZN7rocprim17ROCPRIM_400000_NS6detail17trampoline_kernelINS0_14default_configENS1_25partition_config_selectorILNS1_17partition_subalgoE3EsNS0_10empty_typeEbEEZZNS1_14partition_implILS5_3ELb0ES3_jN6thrust23THRUST_200600_302600_NS6detail15normal_iteratorINSA_7pointerIsNSA_11hip_rocprim3tagENSA_11use_defaultESG_EEEEPS6_SJ_NS0_5tupleIJPsSJ_EEENSK_IJSJ_SJ_EEES6_PlJ7is_evenIsEEEE10hipError_tPvRmT3_T4_T5_T6_T7_T9_mT8_P12ihipStream_tbDpT10_ENKUlT_T0_E_clISt17integral_constantIbLb1EES19_IbLb0EEEEDaS15_S16_EUlS15_E_NS1_11comp_targetILNS1_3genE3ELNS1_11target_archE908ELNS1_3gpuE7ELNS1_3repE0EEENS1_30default_config_static_selectorELNS0_4arch9wavefront6targetE1EEEvT1_
		.amdhsa_group_segment_fixed_size 0
		.amdhsa_private_segment_fixed_size 0
		.amdhsa_kernarg_size 120
		.amdhsa_user_sgpr_count 6
		.amdhsa_user_sgpr_private_segment_buffer 1
		.amdhsa_user_sgpr_dispatch_ptr 0
		.amdhsa_user_sgpr_queue_ptr 0
		.amdhsa_user_sgpr_kernarg_segment_ptr 1
		.amdhsa_user_sgpr_dispatch_id 0
		.amdhsa_user_sgpr_flat_scratch_init 0
		.amdhsa_user_sgpr_kernarg_preload_length 0
		.amdhsa_user_sgpr_kernarg_preload_offset 0
		.amdhsa_user_sgpr_private_segment_size 0
		.amdhsa_uses_dynamic_stack 0
		.amdhsa_system_sgpr_private_segment_wavefront_offset 0
		.amdhsa_system_sgpr_workgroup_id_x 1
		.amdhsa_system_sgpr_workgroup_id_y 0
		.amdhsa_system_sgpr_workgroup_id_z 0
		.amdhsa_system_sgpr_workgroup_info 0
		.amdhsa_system_vgpr_workitem_id 0
		.amdhsa_next_free_vgpr 1
		.amdhsa_next_free_sgpr 0
		.amdhsa_accum_offset 4
		.amdhsa_reserve_vcc 0
		.amdhsa_reserve_flat_scratch 0
		.amdhsa_float_round_mode_32 0
		.amdhsa_float_round_mode_16_64 0
		.amdhsa_float_denorm_mode_32 3
		.amdhsa_float_denorm_mode_16_64 3
		.amdhsa_dx10_clamp 1
		.amdhsa_ieee_mode 1
		.amdhsa_fp16_overflow 0
		.amdhsa_tg_split 0
		.amdhsa_exception_fp_ieee_invalid_op 0
		.amdhsa_exception_fp_denorm_src 0
		.amdhsa_exception_fp_ieee_div_zero 0
		.amdhsa_exception_fp_ieee_overflow 0
		.amdhsa_exception_fp_ieee_underflow 0
		.amdhsa_exception_fp_ieee_inexact 0
		.amdhsa_exception_int_div_zero 0
	.end_amdhsa_kernel
	.section	.text._ZN7rocprim17ROCPRIM_400000_NS6detail17trampoline_kernelINS0_14default_configENS1_25partition_config_selectorILNS1_17partition_subalgoE3EsNS0_10empty_typeEbEEZZNS1_14partition_implILS5_3ELb0ES3_jN6thrust23THRUST_200600_302600_NS6detail15normal_iteratorINSA_7pointerIsNSA_11hip_rocprim3tagENSA_11use_defaultESG_EEEEPS6_SJ_NS0_5tupleIJPsSJ_EEENSK_IJSJ_SJ_EEES6_PlJ7is_evenIsEEEE10hipError_tPvRmT3_T4_T5_T6_T7_T9_mT8_P12ihipStream_tbDpT10_ENKUlT_T0_E_clISt17integral_constantIbLb1EES19_IbLb0EEEEDaS15_S16_EUlS15_E_NS1_11comp_targetILNS1_3genE3ELNS1_11target_archE908ELNS1_3gpuE7ELNS1_3repE0EEENS1_30default_config_static_selectorELNS0_4arch9wavefront6targetE1EEEvT1_,"axG",@progbits,_ZN7rocprim17ROCPRIM_400000_NS6detail17trampoline_kernelINS0_14default_configENS1_25partition_config_selectorILNS1_17partition_subalgoE3EsNS0_10empty_typeEbEEZZNS1_14partition_implILS5_3ELb0ES3_jN6thrust23THRUST_200600_302600_NS6detail15normal_iteratorINSA_7pointerIsNSA_11hip_rocprim3tagENSA_11use_defaultESG_EEEEPS6_SJ_NS0_5tupleIJPsSJ_EEENSK_IJSJ_SJ_EEES6_PlJ7is_evenIsEEEE10hipError_tPvRmT3_T4_T5_T6_T7_T9_mT8_P12ihipStream_tbDpT10_ENKUlT_T0_E_clISt17integral_constantIbLb1EES19_IbLb0EEEEDaS15_S16_EUlS15_E_NS1_11comp_targetILNS1_3genE3ELNS1_11target_archE908ELNS1_3gpuE7ELNS1_3repE0EEENS1_30default_config_static_selectorELNS0_4arch9wavefront6targetE1EEEvT1_,comdat
.Lfunc_end159:
	.size	_ZN7rocprim17ROCPRIM_400000_NS6detail17trampoline_kernelINS0_14default_configENS1_25partition_config_selectorILNS1_17partition_subalgoE3EsNS0_10empty_typeEbEEZZNS1_14partition_implILS5_3ELb0ES3_jN6thrust23THRUST_200600_302600_NS6detail15normal_iteratorINSA_7pointerIsNSA_11hip_rocprim3tagENSA_11use_defaultESG_EEEEPS6_SJ_NS0_5tupleIJPsSJ_EEENSK_IJSJ_SJ_EEES6_PlJ7is_evenIsEEEE10hipError_tPvRmT3_T4_T5_T6_T7_T9_mT8_P12ihipStream_tbDpT10_ENKUlT_T0_E_clISt17integral_constantIbLb1EES19_IbLb0EEEEDaS15_S16_EUlS15_E_NS1_11comp_targetILNS1_3genE3ELNS1_11target_archE908ELNS1_3gpuE7ELNS1_3repE0EEENS1_30default_config_static_selectorELNS0_4arch9wavefront6targetE1EEEvT1_, .Lfunc_end159-_ZN7rocprim17ROCPRIM_400000_NS6detail17trampoline_kernelINS0_14default_configENS1_25partition_config_selectorILNS1_17partition_subalgoE3EsNS0_10empty_typeEbEEZZNS1_14partition_implILS5_3ELb0ES3_jN6thrust23THRUST_200600_302600_NS6detail15normal_iteratorINSA_7pointerIsNSA_11hip_rocprim3tagENSA_11use_defaultESG_EEEEPS6_SJ_NS0_5tupleIJPsSJ_EEENSK_IJSJ_SJ_EEES6_PlJ7is_evenIsEEEE10hipError_tPvRmT3_T4_T5_T6_T7_T9_mT8_P12ihipStream_tbDpT10_ENKUlT_T0_E_clISt17integral_constantIbLb1EES19_IbLb0EEEEDaS15_S16_EUlS15_E_NS1_11comp_targetILNS1_3genE3ELNS1_11target_archE908ELNS1_3gpuE7ELNS1_3repE0EEENS1_30default_config_static_selectorELNS0_4arch9wavefront6targetE1EEEvT1_
                                        ; -- End function
	.section	.AMDGPU.csdata,"",@progbits
; Kernel info:
; codeLenInByte = 0
; NumSgprs: 4
; NumVgprs: 0
; NumAgprs: 0
; TotalNumVgprs: 0
; ScratchSize: 0
; MemoryBound: 0
; FloatMode: 240
; IeeeMode: 1
; LDSByteSize: 0 bytes/workgroup (compile time only)
; SGPRBlocks: 0
; VGPRBlocks: 0
; NumSGPRsForWavesPerEU: 4
; NumVGPRsForWavesPerEU: 1
; AccumOffset: 4
; Occupancy: 8
; WaveLimiterHint : 0
; COMPUTE_PGM_RSRC2:SCRATCH_EN: 0
; COMPUTE_PGM_RSRC2:USER_SGPR: 6
; COMPUTE_PGM_RSRC2:TRAP_HANDLER: 0
; COMPUTE_PGM_RSRC2:TGID_X_EN: 1
; COMPUTE_PGM_RSRC2:TGID_Y_EN: 0
; COMPUTE_PGM_RSRC2:TGID_Z_EN: 0
; COMPUTE_PGM_RSRC2:TIDIG_COMP_CNT: 0
; COMPUTE_PGM_RSRC3_GFX90A:ACCUM_OFFSET: 0
; COMPUTE_PGM_RSRC3_GFX90A:TG_SPLIT: 0
	.section	.text._ZN7rocprim17ROCPRIM_400000_NS6detail17trampoline_kernelINS0_14default_configENS1_25partition_config_selectorILNS1_17partition_subalgoE3EsNS0_10empty_typeEbEEZZNS1_14partition_implILS5_3ELb0ES3_jN6thrust23THRUST_200600_302600_NS6detail15normal_iteratorINSA_7pointerIsNSA_11hip_rocprim3tagENSA_11use_defaultESG_EEEEPS6_SJ_NS0_5tupleIJPsSJ_EEENSK_IJSJ_SJ_EEES6_PlJ7is_evenIsEEEE10hipError_tPvRmT3_T4_T5_T6_T7_T9_mT8_P12ihipStream_tbDpT10_ENKUlT_T0_E_clISt17integral_constantIbLb1EES19_IbLb0EEEEDaS15_S16_EUlS15_E_NS1_11comp_targetILNS1_3genE2ELNS1_11target_archE906ELNS1_3gpuE6ELNS1_3repE0EEENS1_30default_config_static_selectorELNS0_4arch9wavefront6targetE1EEEvT1_,"axG",@progbits,_ZN7rocprim17ROCPRIM_400000_NS6detail17trampoline_kernelINS0_14default_configENS1_25partition_config_selectorILNS1_17partition_subalgoE3EsNS0_10empty_typeEbEEZZNS1_14partition_implILS5_3ELb0ES3_jN6thrust23THRUST_200600_302600_NS6detail15normal_iteratorINSA_7pointerIsNSA_11hip_rocprim3tagENSA_11use_defaultESG_EEEEPS6_SJ_NS0_5tupleIJPsSJ_EEENSK_IJSJ_SJ_EEES6_PlJ7is_evenIsEEEE10hipError_tPvRmT3_T4_T5_T6_T7_T9_mT8_P12ihipStream_tbDpT10_ENKUlT_T0_E_clISt17integral_constantIbLb1EES19_IbLb0EEEEDaS15_S16_EUlS15_E_NS1_11comp_targetILNS1_3genE2ELNS1_11target_archE906ELNS1_3gpuE6ELNS1_3repE0EEENS1_30default_config_static_selectorELNS0_4arch9wavefront6targetE1EEEvT1_,comdat
	.protected	_ZN7rocprim17ROCPRIM_400000_NS6detail17trampoline_kernelINS0_14default_configENS1_25partition_config_selectorILNS1_17partition_subalgoE3EsNS0_10empty_typeEbEEZZNS1_14partition_implILS5_3ELb0ES3_jN6thrust23THRUST_200600_302600_NS6detail15normal_iteratorINSA_7pointerIsNSA_11hip_rocprim3tagENSA_11use_defaultESG_EEEEPS6_SJ_NS0_5tupleIJPsSJ_EEENSK_IJSJ_SJ_EEES6_PlJ7is_evenIsEEEE10hipError_tPvRmT3_T4_T5_T6_T7_T9_mT8_P12ihipStream_tbDpT10_ENKUlT_T0_E_clISt17integral_constantIbLb1EES19_IbLb0EEEEDaS15_S16_EUlS15_E_NS1_11comp_targetILNS1_3genE2ELNS1_11target_archE906ELNS1_3gpuE6ELNS1_3repE0EEENS1_30default_config_static_selectorELNS0_4arch9wavefront6targetE1EEEvT1_ ; -- Begin function _ZN7rocprim17ROCPRIM_400000_NS6detail17trampoline_kernelINS0_14default_configENS1_25partition_config_selectorILNS1_17partition_subalgoE3EsNS0_10empty_typeEbEEZZNS1_14partition_implILS5_3ELb0ES3_jN6thrust23THRUST_200600_302600_NS6detail15normal_iteratorINSA_7pointerIsNSA_11hip_rocprim3tagENSA_11use_defaultESG_EEEEPS6_SJ_NS0_5tupleIJPsSJ_EEENSK_IJSJ_SJ_EEES6_PlJ7is_evenIsEEEE10hipError_tPvRmT3_T4_T5_T6_T7_T9_mT8_P12ihipStream_tbDpT10_ENKUlT_T0_E_clISt17integral_constantIbLb1EES19_IbLb0EEEEDaS15_S16_EUlS15_E_NS1_11comp_targetILNS1_3genE2ELNS1_11target_archE906ELNS1_3gpuE6ELNS1_3repE0EEENS1_30default_config_static_selectorELNS0_4arch9wavefront6targetE1EEEvT1_
	.globl	_ZN7rocprim17ROCPRIM_400000_NS6detail17trampoline_kernelINS0_14default_configENS1_25partition_config_selectorILNS1_17partition_subalgoE3EsNS0_10empty_typeEbEEZZNS1_14partition_implILS5_3ELb0ES3_jN6thrust23THRUST_200600_302600_NS6detail15normal_iteratorINSA_7pointerIsNSA_11hip_rocprim3tagENSA_11use_defaultESG_EEEEPS6_SJ_NS0_5tupleIJPsSJ_EEENSK_IJSJ_SJ_EEES6_PlJ7is_evenIsEEEE10hipError_tPvRmT3_T4_T5_T6_T7_T9_mT8_P12ihipStream_tbDpT10_ENKUlT_T0_E_clISt17integral_constantIbLb1EES19_IbLb0EEEEDaS15_S16_EUlS15_E_NS1_11comp_targetILNS1_3genE2ELNS1_11target_archE906ELNS1_3gpuE6ELNS1_3repE0EEENS1_30default_config_static_selectorELNS0_4arch9wavefront6targetE1EEEvT1_
	.p2align	8
	.type	_ZN7rocprim17ROCPRIM_400000_NS6detail17trampoline_kernelINS0_14default_configENS1_25partition_config_selectorILNS1_17partition_subalgoE3EsNS0_10empty_typeEbEEZZNS1_14partition_implILS5_3ELb0ES3_jN6thrust23THRUST_200600_302600_NS6detail15normal_iteratorINSA_7pointerIsNSA_11hip_rocprim3tagENSA_11use_defaultESG_EEEEPS6_SJ_NS0_5tupleIJPsSJ_EEENSK_IJSJ_SJ_EEES6_PlJ7is_evenIsEEEE10hipError_tPvRmT3_T4_T5_T6_T7_T9_mT8_P12ihipStream_tbDpT10_ENKUlT_T0_E_clISt17integral_constantIbLb1EES19_IbLb0EEEEDaS15_S16_EUlS15_E_NS1_11comp_targetILNS1_3genE2ELNS1_11target_archE906ELNS1_3gpuE6ELNS1_3repE0EEENS1_30default_config_static_selectorELNS0_4arch9wavefront6targetE1EEEvT1_,@function
_ZN7rocprim17ROCPRIM_400000_NS6detail17trampoline_kernelINS0_14default_configENS1_25partition_config_selectorILNS1_17partition_subalgoE3EsNS0_10empty_typeEbEEZZNS1_14partition_implILS5_3ELb0ES3_jN6thrust23THRUST_200600_302600_NS6detail15normal_iteratorINSA_7pointerIsNSA_11hip_rocprim3tagENSA_11use_defaultESG_EEEEPS6_SJ_NS0_5tupleIJPsSJ_EEENSK_IJSJ_SJ_EEES6_PlJ7is_evenIsEEEE10hipError_tPvRmT3_T4_T5_T6_T7_T9_mT8_P12ihipStream_tbDpT10_ENKUlT_T0_E_clISt17integral_constantIbLb1EES19_IbLb0EEEEDaS15_S16_EUlS15_E_NS1_11comp_targetILNS1_3genE2ELNS1_11target_archE906ELNS1_3gpuE6ELNS1_3repE0EEENS1_30default_config_static_selectorELNS0_4arch9wavefront6targetE1EEEvT1_: ; @_ZN7rocprim17ROCPRIM_400000_NS6detail17trampoline_kernelINS0_14default_configENS1_25partition_config_selectorILNS1_17partition_subalgoE3EsNS0_10empty_typeEbEEZZNS1_14partition_implILS5_3ELb0ES3_jN6thrust23THRUST_200600_302600_NS6detail15normal_iteratorINSA_7pointerIsNSA_11hip_rocprim3tagENSA_11use_defaultESG_EEEEPS6_SJ_NS0_5tupleIJPsSJ_EEENSK_IJSJ_SJ_EEES6_PlJ7is_evenIsEEEE10hipError_tPvRmT3_T4_T5_T6_T7_T9_mT8_P12ihipStream_tbDpT10_ENKUlT_T0_E_clISt17integral_constantIbLb1EES19_IbLb0EEEEDaS15_S16_EUlS15_E_NS1_11comp_targetILNS1_3genE2ELNS1_11target_archE906ELNS1_3gpuE6ELNS1_3repE0EEENS1_30default_config_static_selectorELNS0_4arch9wavefront6targetE1EEEvT1_
; %bb.0:
	.section	.rodata,"a",@progbits
	.p2align	6, 0x0
	.amdhsa_kernel _ZN7rocprim17ROCPRIM_400000_NS6detail17trampoline_kernelINS0_14default_configENS1_25partition_config_selectorILNS1_17partition_subalgoE3EsNS0_10empty_typeEbEEZZNS1_14partition_implILS5_3ELb0ES3_jN6thrust23THRUST_200600_302600_NS6detail15normal_iteratorINSA_7pointerIsNSA_11hip_rocprim3tagENSA_11use_defaultESG_EEEEPS6_SJ_NS0_5tupleIJPsSJ_EEENSK_IJSJ_SJ_EEES6_PlJ7is_evenIsEEEE10hipError_tPvRmT3_T4_T5_T6_T7_T9_mT8_P12ihipStream_tbDpT10_ENKUlT_T0_E_clISt17integral_constantIbLb1EES19_IbLb0EEEEDaS15_S16_EUlS15_E_NS1_11comp_targetILNS1_3genE2ELNS1_11target_archE906ELNS1_3gpuE6ELNS1_3repE0EEENS1_30default_config_static_selectorELNS0_4arch9wavefront6targetE1EEEvT1_
		.amdhsa_group_segment_fixed_size 0
		.amdhsa_private_segment_fixed_size 0
		.amdhsa_kernarg_size 120
		.amdhsa_user_sgpr_count 6
		.amdhsa_user_sgpr_private_segment_buffer 1
		.amdhsa_user_sgpr_dispatch_ptr 0
		.amdhsa_user_sgpr_queue_ptr 0
		.amdhsa_user_sgpr_kernarg_segment_ptr 1
		.amdhsa_user_sgpr_dispatch_id 0
		.amdhsa_user_sgpr_flat_scratch_init 0
		.amdhsa_user_sgpr_kernarg_preload_length 0
		.amdhsa_user_sgpr_kernarg_preload_offset 0
		.amdhsa_user_sgpr_private_segment_size 0
		.amdhsa_uses_dynamic_stack 0
		.amdhsa_system_sgpr_private_segment_wavefront_offset 0
		.amdhsa_system_sgpr_workgroup_id_x 1
		.amdhsa_system_sgpr_workgroup_id_y 0
		.amdhsa_system_sgpr_workgroup_id_z 0
		.amdhsa_system_sgpr_workgroup_info 0
		.amdhsa_system_vgpr_workitem_id 0
		.amdhsa_next_free_vgpr 1
		.amdhsa_next_free_sgpr 0
		.amdhsa_accum_offset 4
		.amdhsa_reserve_vcc 0
		.amdhsa_reserve_flat_scratch 0
		.amdhsa_float_round_mode_32 0
		.amdhsa_float_round_mode_16_64 0
		.amdhsa_float_denorm_mode_32 3
		.amdhsa_float_denorm_mode_16_64 3
		.amdhsa_dx10_clamp 1
		.amdhsa_ieee_mode 1
		.amdhsa_fp16_overflow 0
		.amdhsa_tg_split 0
		.amdhsa_exception_fp_ieee_invalid_op 0
		.amdhsa_exception_fp_denorm_src 0
		.amdhsa_exception_fp_ieee_div_zero 0
		.amdhsa_exception_fp_ieee_overflow 0
		.amdhsa_exception_fp_ieee_underflow 0
		.amdhsa_exception_fp_ieee_inexact 0
		.amdhsa_exception_int_div_zero 0
	.end_amdhsa_kernel
	.section	.text._ZN7rocprim17ROCPRIM_400000_NS6detail17trampoline_kernelINS0_14default_configENS1_25partition_config_selectorILNS1_17partition_subalgoE3EsNS0_10empty_typeEbEEZZNS1_14partition_implILS5_3ELb0ES3_jN6thrust23THRUST_200600_302600_NS6detail15normal_iteratorINSA_7pointerIsNSA_11hip_rocprim3tagENSA_11use_defaultESG_EEEEPS6_SJ_NS0_5tupleIJPsSJ_EEENSK_IJSJ_SJ_EEES6_PlJ7is_evenIsEEEE10hipError_tPvRmT3_T4_T5_T6_T7_T9_mT8_P12ihipStream_tbDpT10_ENKUlT_T0_E_clISt17integral_constantIbLb1EES19_IbLb0EEEEDaS15_S16_EUlS15_E_NS1_11comp_targetILNS1_3genE2ELNS1_11target_archE906ELNS1_3gpuE6ELNS1_3repE0EEENS1_30default_config_static_selectorELNS0_4arch9wavefront6targetE1EEEvT1_,"axG",@progbits,_ZN7rocprim17ROCPRIM_400000_NS6detail17trampoline_kernelINS0_14default_configENS1_25partition_config_selectorILNS1_17partition_subalgoE3EsNS0_10empty_typeEbEEZZNS1_14partition_implILS5_3ELb0ES3_jN6thrust23THRUST_200600_302600_NS6detail15normal_iteratorINSA_7pointerIsNSA_11hip_rocprim3tagENSA_11use_defaultESG_EEEEPS6_SJ_NS0_5tupleIJPsSJ_EEENSK_IJSJ_SJ_EEES6_PlJ7is_evenIsEEEE10hipError_tPvRmT3_T4_T5_T6_T7_T9_mT8_P12ihipStream_tbDpT10_ENKUlT_T0_E_clISt17integral_constantIbLb1EES19_IbLb0EEEEDaS15_S16_EUlS15_E_NS1_11comp_targetILNS1_3genE2ELNS1_11target_archE906ELNS1_3gpuE6ELNS1_3repE0EEENS1_30default_config_static_selectorELNS0_4arch9wavefront6targetE1EEEvT1_,comdat
.Lfunc_end160:
	.size	_ZN7rocprim17ROCPRIM_400000_NS6detail17trampoline_kernelINS0_14default_configENS1_25partition_config_selectorILNS1_17partition_subalgoE3EsNS0_10empty_typeEbEEZZNS1_14partition_implILS5_3ELb0ES3_jN6thrust23THRUST_200600_302600_NS6detail15normal_iteratorINSA_7pointerIsNSA_11hip_rocprim3tagENSA_11use_defaultESG_EEEEPS6_SJ_NS0_5tupleIJPsSJ_EEENSK_IJSJ_SJ_EEES6_PlJ7is_evenIsEEEE10hipError_tPvRmT3_T4_T5_T6_T7_T9_mT8_P12ihipStream_tbDpT10_ENKUlT_T0_E_clISt17integral_constantIbLb1EES19_IbLb0EEEEDaS15_S16_EUlS15_E_NS1_11comp_targetILNS1_3genE2ELNS1_11target_archE906ELNS1_3gpuE6ELNS1_3repE0EEENS1_30default_config_static_selectorELNS0_4arch9wavefront6targetE1EEEvT1_, .Lfunc_end160-_ZN7rocprim17ROCPRIM_400000_NS6detail17trampoline_kernelINS0_14default_configENS1_25partition_config_selectorILNS1_17partition_subalgoE3EsNS0_10empty_typeEbEEZZNS1_14partition_implILS5_3ELb0ES3_jN6thrust23THRUST_200600_302600_NS6detail15normal_iteratorINSA_7pointerIsNSA_11hip_rocprim3tagENSA_11use_defaultESG_EEEEPS6_SJ_NS0_5tupleIJPsSJ_EEENSK_IJSJ_SJ_EEES6_PlJ7is_evenIsEEEE10hipError_tPvRmT3_T4_T5_T6_T7_T9_mT8_P12ihipStream_tbDpT10_ENKUlT_T0_E_clISt17integral_constantIbLb1EES19_IbLb0EEEEDaS15_S16_EUlS15_E_NS1_11comp_targetILNS1_3genE2ELNS1_11target_archE906ELNS1_3gpuE6ELNS1_3repE0EEENS1_30default_config_static_selectorELNS0_4arch9wavefront6targetE1EEEvT1_
                                        ; -- End function
	.section	.AMDGPU.csdata,"",@progbits
; Kernel info:
; codeLenInByte = 0
; NumSgprs: 4
; NumVgprs: 0
; NumAgprs: 0
; TotalNumVgprs: 0
; ScratchSize: 0
; MemoryBound: 0
; FloatMode: 240
; IeeeMode: 1
; LDSByteSize: 0 bytes/workgroup (compile time only)
; SGPRBlocks: 0
; VGPRBlocks: 0
; NumSGPRsForWavesPerEU: 4
; NumVGPRsForWavesPerEU: 1
; AccumOffset: 4
; Occupancy: 8
; WaveLimiterHint : 0
; COMPUTE_PGM_RSRC2:SCRATCH_EN: 0
; COMPUTE_PGM_RSRC2:USER_SGPR: 6
; COMPUTE_PGM_RSRC2:TRAP_HANDLER: 0
; COMPUTE_PGM_RSRC2:TGID_X_EN: 1
; COMPUTE_PGM_RSRC2:TGID_Y_EN: 0
; COMPUTE_PGM_RSRC2:TGID_Z_EN: 0
; COMPUTE_PGM_RSRC2:TIDIG_COMP_CNT: 0
; COMPUTE_PGM_RSRC3_GFX90A:ACCUM_OFFSET: 0
; COMPUTE_PGM_RSRC3_GFX90A:TG_SPLIT: 0
	.section	.text._ZN7rocprim17ROCPRIM_400000_NS6detail17trampoline_kernelINS0_14default_configENS1_25partition_config_selectorILNS1_17partition_subalgoE3EsNS0_10empty_typeEbEEZZNS1_14partition_implILS5_3ELb0ES3_jN6thrust23THRUST_200600_302600_NS6detail15normal_iteratorINSA_7pointerIsNSA_11hip_rocprim3tagENSA_11use_defaultESG_EEEEPS6_SJ_NS0_5tupleIJPsSJ_EEENSK_IJSJ_SJ_EEES6_PlJ7is_evenIsEEEE10hipError_tPvRmT3_T4_T5_T6_T7_T9_mT8_P12ihipStream_tbDpT10_ENKUlT_T0_E_clISt17integral_constantIbLb1EES19_IbLb0EEEEDaS15_S16_EUlS15_E_NS1_11comp_targetILNS1_3genE10ELNS1_11target_archE1200ELNS1_3gpuE4ELNS1_3repE0EEENS1_30default_config_static_selectorELNS0_4arch9wavefront6targetE1EEEvT1_,"axG",@progbits,_ZN7rocprim17ROCPRIM_400000_NS6detail17trampoline_kernelINS0_14default_configENS1_25partition_config_selectorILNS1_17partition_subalgoE3EsNS0_10empty_typeEbEEZZNS1_14partition_implILS5_3ELb0ES3_jN6thrust23THRUST_200600_302600_NS6detail15normal_iteratorINSA_7pointerIsNSA_11hip_rocprim3tagENSA_11use_defaultESG_EEEEPS6_SJ_NS0_5tupleIJPsSJ_EEENSK_IJSJ_SJ_EEES6_PlJ7is_evenIsEEEE10hipError_tPvRmT3_T4_T5_T6_T7_T9_mT8_P12ihipStream_tbDpT10_ENKUlT_T0_E_clISt17integral_constantIbLb1EES19_IbLb0EEEEDaS15_S16_EUlS15_E_NS1_11comp_targetILNS1_3genE10ELNS1_11target_archE1200ELNS1_3gpuE4ELNS1_3repE0EEENS1_30default_config_static_selectorELNS0_4arch9wavefront6targetE1EEEvT1_,comdat
	.protected	_ZN7rocprim17ROCPRIM_400000_NS6detail17trampoline_kernelINS0_14default_configENS1_25partition_config_selectorILNS1_17partition_subalgoE3EsNS0_10empty_typeEbEEZZNS1_14partition_implILS5_3ELb0ES3_jN6thrust23THRUST_200600_302600_NS6detail15normal_iteratorINSA_7pointerIsNSA_11hip_rocprim3tagENSA_11use_defaultESG_EEEEPS6_SJ_NS0_5tupleIJPsSJ_EEENSK_IJSJ_SJ_EEES6_PlJ7is_evenIsEEEE10hipError_tPvRmT3_T4_T5_T6_T7_T9_mT8_P12ihipStream_tbDpT10_ENKUlT_T0_E_clISt17integral_constantIbLb1EES19_IbLb0EEEEDaS15_S16_EUlS15_E_NS1_11comp_targetILNS1_3genE10ELNS1_11target_archE1200ELNS1_3gpuE4ELNS1_3repE0EEENS1_30default_config_static_selectorELNS0_4arch9wavefront6targetE1EEEvT1_ ; -- Begin function _ZN7rocprim17ROCPRIM_400000_NS6detail17trampoline_kernelINS0_14default_configENS1_25partition_config_selectorILNS1_17partition_subalgoE3EsNS0_10empty_typeEbEEZZNS1_14partition_implILS5_3ELb0ES3_jN6thrust23THRUST_200600_302600_NS6detail15normal_iteratorINSA_7pointerIsNSA_11hip_rocprim3tagENSA_11use_defaultESG_EEEEPS6_SJ_NS0_5tupleIJPsSJ_EEENSK_IJSJ_SJ_EEES6_PlJ7is_evenIsEEEE10hipError_tPvRmT3_T4_T5_T6_T7_T9_mT8_P12ihipStream_tbDpT10_ENKUlT_T0_E_clISt17integral_constantIbLb1EES19_IbLb0EEEEDaS15_S16_EUlS15_E_NS1_11comp_targetILNS1_3genE10ELNS1_11target_archE1200ELNS1_3gpuE4ELNS1_3repE0EEENS1_30default_config_static_selectorELNS0_4arch9wavefront6targetE1EEEvT1_
	.globl	_ZN7rocprim17ROCPRIM_400000_NS6detail17trampoline_kernelINS0_14default_configENS1_25partition_config_selectorILNS1_17partition_subalgoE3EsNS0_10empty_typeEbEEZZNS1_14partition_implILS5_3ELb0ES3_jN6thrust23THRUST_200600_302600_NS6detail15normal_iteratorINSA_7pointerIsNSA_11hip_rocprim3tagENSA_11use_defaultESG_EEEEPS6_SJ_NS0_5tupleIJPsSJ_EEENSK_IJSJ_SJ_EEES6_PlJ7is_evenIsEEEE10hipError_tPvRmT3_T4_T5_T6_T7_T9_mT8_P12ihipStream_tbDpT10_ENKUlT_T0_E_clISt17integral_constantIbLb1EES19_IbLb0EEEEDaS15_S16_EUlS15_E_NS1_11comp_targetILNS1_3genE10ELNS1_11target_archE1200ELNS1_3gpuE4ELNS1_3repE0EEENS1_30default_config_static_selectorELNS0_4arch9wavefront6targetE1EEEvT1_
	.p2align	8
	.type	_ZN7rocprim17ROCPRIM_400000_NS6detail17trampoline_kernelINS0_14default_configENS1_25partition_config_selectorILNS1_17partition_subalgoE3EsNS0_10empty_typeEbEEZZNS1_14partition_implILS5_3ELb0ES3_jN6thrust23THRUST_200600_302600_NS6detail15normal_iteratorINSA_7pointerIsNSA_11hip_rocprim3tagENSA_11use_defaultESG_EEEEPS6_SJ_NS0_5tupleIJPsSJ_EEENSK_IJSJ_SJ_EEES6_PlJ7is_evenIsEEEE10hipError_tPvRmT3_T4_T5_T6_T7_T9_mT8_P12ihipStream_tbDpT10_ENKUlT_T0_E_clISt17integral_constantIbLb1EES19_IbLb0EEEEDaS15_S16_EUlS15_E_NS1_11comp_targetILNS1_3genE10ELNS1_11target_archE1200ELNS1_3gpuE4ELNS1_3repE0EEENS1_30default_config_static_selectorELNS0_4arch9wavefront6targetE1EEEvT1_,@function
_ZN7rocprim17ROCPRIM_400000_NS6detail17trampoline_kernelINS0_14default_configENS1_25partition_config_selectorILNS1_17partition_subalgoE3EsNS0_10empty_typeEbEEZZNS1_14partition_implILS5_3ELb0ES3_jN6thrust23THRUST_200600_302600_NS6detail15normal_iteratorINSA_7pointerIsNSA_11hip_rocprim3tagENSA_11use_defaultESG_EEEEPS6_SJ_NS0_5tupleIJPsSJ_EEENSK_IJSJ_SJ_EEES6_PlJ7is_evenIsEEEE10hipError_tPvRmT3_T4_T5_T6_T7_T9_mT8_P12ihipStream_tbDpT10_ENKUlT_T0_E_clISt17integral_constantIbLb1EES19_IbLb0EEEEDaS15_S16_EUlS15_E_NS1_11comp_targetILNS1_3genE10ELNS1_11target_archE1200ELNS1_3gpuE4ELNS1_3repE0EEENS1_30default_config_static_selectorELNS0_4arch9wavefront6targetE1EEEvT1_: ; @_ZN7rocprim17ROCPRIM_400000_NS6detail17trampoline_kernelINS0_14default_configENS1_25partition_config_selectorILNS1_17partition_subalgoE3EsNS0_10empty_typeEbEEZZNS1_14partition_implILS5_3ELb0ES3_jN6thrust23THRUST_200600_302600_NS6detail15normal_iteratorINSA_7pointerIsNSA_11hip_rocprim3tagENSA_11use_defaultESG_EEEEPS6_SJ_NS0_5tupleIJPsSJ_EEENSK_IJSJ_SJ_EEES6_PlJ7is_evenIsEEEE10hipError_tPvRmT3_T4_T5_T6_T7_T9_mT8_P12ihipStream_tbDpT10_ENKUlT_T0_E_clISt17integral_constantIbLb1EES19_IbLb0EEEEDaS15_S16_EUlS15_E_NS1_11comp_targetILNS1_3genE10ELNS1_11target_archE1200ELNS1_3gpuE4ELNS1_3repE0EEENS1_30default_config_static_selectorELNS0_4arch9wavefront6targetE1EEEvT1_
; %bb.0:
	.section	.rodata,"a",@progbits
	.p2align	6, 0x0
	.amdhsa_kernel _ZN7rocprim17ROCPRIM_400000_NS6detail17trampoline_kernelINS0_14default_configENS1_25partition_config_selectorILNS1_17partition_subalgoE3EsNS0_10empty_typeEbEEZZNS1_14partition_implILS5_3ELb0ES3_jN6thrust23THRUST_200600_302600_NS6detail15normal_iteratorINSA_7pointerIsNSA_11hip_rocprim3tagENSA_11use_defaultESG_EEEEPS6_SJ_NS0_5tupleIJPsSJ_EEENSK_IJSJ_SJ_EEES6_PlJ7is_evenIsEEEE10hipError_tPvRmT3_T4_T5_T6_T7_T9_mT8_P12ihipStream_tbDpT10_ENKUlT_T0_E_clISt17integral_constantIbLb1EES19_IbLb0EEEEDaS15_S16_EUlS15_E_NS1_11comp_targetILNS1_3genE10ELNS1_11target_archE1200ELNS1_3gpuE4ELNS1_3repE0EEENS1_30default_config_static_selectorELNS0_4arch9wavefront6targetE1EEEvT1_
		.amdhsa_group_segment_fixed_size 0
		.amdhsa_private_segment_fixed_size 0
		.amdhsa_kernarg_size 120
		.amdhsa_user_sgpr_count 6
		.amdhsa_user_sgpr_private_segment_buffer 1
		.amdhsa_user_sgpr_dispatch_ptr 0
		.amdhsa_user_sgpr_queue_ptr 0
		.amdhsa_user_sgpr_kernarg_segment_ptr 1
		.amdhsa_user_sgpr_dispatch_id 0
		.amdhsa_user_sgpr_flat_scratch_init 0
		.amdhsa_user_sgpr_kernarg_preload_length 0
		.amdhsa_user_sgpr_kernarg_preload_offset 0
		.amdhsa_user_sgpr_private_segment_size 0
		.amdhsa_uses_dynamic_stack 0
		.amdhsa_system_sgpr_private_segment_wavefront_offset 0
		.amdhsa_system_sgpr_workgroup_id_x 1
		.amdhsa_system_sgpr_workgroup_id_y 0
		.amdhsa_system_sgpr_workgroup_id_z 0
		.amdhsa_system_sgpr_workgroup_info 0
		.amdhsa_system_vgpr_workitem_id 0
		.amdhsa_next_free_vgpr 1
		.amdhsa_next_free_sgpr 0
		.amdhsa_accum_offset 4
		.amdhsa_reserve_vcc 0
		.amdhsa_reserve_flat_scratch 0
		.amdhsa_float_round_mode_32 0
		.amdhsa_float_round_mode_16_64 0
		.amdhsa_float_denorm_mode_32 3
		.amdhsa_float_denorm_mode_16_64 3
		.amdhsa_dx10_clamp 1
		.amdhsa_ieee_mode 1
		.amdhsa_fp16_overflow 0
		.amdhsa_tg_split 0
		.amdhsa_exception_fp_ieee_invalid_op 0
		.amdhsa_exception_fp_denorm_src 0
		.amdhsa_exception_fp_ieee_div_zero 0
		.amdhsa_exception_fp_ieee_overflow 0
		.amdhsa_exception_fp_ieee_underflow 0
		.amdhsa_exception_fp_ieee_inexact 0
		.amdhsa_exception_int_div_zero 0
	.end_amdhsa_kernel
	.section	.text._ZN7rocprim17ROCPRIM_400000_NS6detail17trampoline_kernelINS0_14default_configENS1_25partition_config_selectorILNS1_17partition_subalgoE3EsNS0_10empty_typeEbEEZZNS1_14partition_implILS5_3ELb0ES3_jN6thrust23THRUST_200600_302600_NS6detail15normal_iteratorINSA_7pointerIsNSA_11hip_rocprim3tagENSA_11use_defaultESG_EEEEPS6_SJ_NS0_5tupleIJPsSJ_EEENSK_IJSJ_SJ_EEES6_PlJ7is_evenIsEEEE10hipError_tPvRmT3_T4_T5_T6_T7_T9_mT8_P12ihipStream_tbDpT10_ENKUlT_T0_E_clISt17integral_constantIbLb1EES19_IbLb0EEEEDaS15_S16_EUlS15_E_NS1_11comp_targetILNS1_3genE10ELNS1_11target_archE1200ELNS1_3gpuE4ELNS1_3repE0EEENS1_30default_config_static_selectorELNS0_4arch9wavefront6targetE1EEEvT1_,"axG",@progbits,_ZN7rocprim17ROCPRIM_400000_NS6detail17trampoline_kernelINS0_14default_configENS1_25partition_config_selectorILNS1_17partition_subalgoE3EsNS0_10empty_typeEbEEZZNS1_14partition_implILS5_3ELb0ES3_jN6thrust23THRUST_200600_302600_NS6detail15normal_iteratorINSA_7pointerIsNSA_11hip_rocprim3tagENSA_11use_defaultESG_EEEEPS6_SJ_NS0_5tupleIJPsSJ_EEENSK_IJSJ_SJ_EEES6_PlJ7is_evenIsEEEE10hipError_tPvRmT3_T4_T5_T6_T7_T9_mT8_P12ihipStream_tbDpT10_ENKUlT_T0_E_clISt17integral_constantIbLb1EES19_IbLb0EEEEDaS15_S16_EUlS15_E_NS1_11comp_targetILNS1_3genE10ELNS1_11target_archE1200ELNS1_3gpuE4ELNS1_3repE0EEENS1_30default_config_static_selectorELNS0_4arch9wavefront6targetE1EEEvT1_,comdat
.Lfunc_end161:
	.size	_ZN7rocprim17ROCPRIM_400000_NS6detail17trampoline_kernelINS0_14default_configENS1_25partition_config_selectorILNS1_17partition_subalgoE3EsNS0_10empty_typeEbEEZZNS1_14partition_implILS5_3ELb0ES3_jN6thrust23THRUST_200600_302600_NS6detail15normal_iteratorINSA_7pointerIsNSA_11hip_rocprim3tagENSA_11use_defaultESG_EEEEPS6_SJ_NS0_5tupleIJPsSJ_EEENSK_IJSJ_SJ_EEES6_PlJ7is_evenIsEEEE10hipError_tPvRmT3_T4_T5_T6_T7_T9_mT8_P12ihipStream_tbDpT10_ENKUlT_T0_E_clISt17integral_constantIbLb1EES19_IbLb0EEEEDaS15_S16_EUlS15_E_NS1_11comp_targetILNS1_3genE10ELNS1_11target_archE1200ELNS1_3gpuE4ELNS1_3repE0EEENS1_30default_config_static_selectorELNS0_4arch9wavefront6targetE1EEEvT1_, .Lfunc_end161-_ZN7rocprim17ROCPRIM_400000_NS6detail17trampoline_kernelINS0_14default_configENS1_25partition_config_selectorILNS1_17partition_subalgoE3EsNS0_10empty_typeEbEEZZNS1_14partition_implILS5_3ELb0ES3_jN6thrust23THRUST_200600_302600_NS6detail15normal_iteratorINSA_7pointerIsNSA_11hip_rocprim3tagENSA_11use_defaultESG_EEEEPS6_SJ_NS0_5tupleIJPsSJ_EEENSK_IJSJ_SJ_EEES6_PlJ7is_evenIsEEEE10hipError_tPvRmT3_T4_T5_T6_T7_T9_mT8_P12ihipStream_tbDpT10_ENKUlT_T0_E_clISt17integral_constantIbLb1EES19_IbLb0EEEEDaS15_S16_EUlS15_E_NS1_11comp_targetILNS1_3genE10ELNS1_11target_archE1200ELNS1_3gpuE4ELNS1_3repE0EEENS1_30default_config_static_selectorELNS0_4arch9wavefront6targetE1EEEvT1_
                                        ; -- End function
	.section	.AMDGPU.csdata,"",@progbits
; Kernel info:
; codeLenInByte = 0
; NumSgprs: 4
; NumVgprs: 0
; NumAgprs: 0
; TotalNumVgprs: 0
; ScratchSize: 0
; MemoryBound: 0
; FloatMode: 240
; IeeeMode: 1
; LDSByteSize: 0 bytes/workgroup (compile time only)
; SGPRBlocks: 0
; VGPRBlocks: 0
; NumSGPRsForWavesPerEU: 4
; NumVGPRsForWavesPerEU: 1
; AccumOffset: 4
; Occupancy: 8
; WaveLimiterHint : 0
; COMPUTE_PGM_RSRC2:SCRATCH_EN: 0
; COMPUTE_PGM_RSRC2:USER_SGPR: 6
; COMPUTE_PGM_RSRC2:TRAP_HANDLER: 0
; COMPUTE_PGM_RSRC2:TGID_X_EN: 1
; COMPUTE_PGM_RSRC2:TGID_Y_EN: 0
; COMPUTE_PGM_RSRC2:TGID_Z_EN: 0
; COMPUTE_PGM_RSRC2:TIDIG_COMP_CNT: 0
; COMPUTE_PGM_RSRC3_GFX90A:ACCUM_OFFSET: 0
; COMPUTE_PGM_RSRC3_GFX90A:TG_SPLIT: 0
	.section	.text._ZN7rocprim17ROCPRIM_400000_NS6detail17trampoline_kernelINS0_14default_configENS1_25partition_config_selectorILNS1_17partition_subalgoE3EsNS0_10empty_typeEbEEZZNS1_14partition_implILS5_3ELb0ES3_jN6thrust23THRUST_200600_302600_NS6detail15normal_iteratorINSA_7pointerIsNSA_11hip_rocprim3tagENSA_11use_defaultESG_EEEEPS6_SJ_NS0_5tupleIJPsSJ_EEENSK_IJSJ_SJ_EEES6_PlJ7is_evenIsEEEE10hipError_tPvRmT3_T4_T5_T6_T7_T9_mT8_P12ihipStream_tbDpT10_ENKUlT_T0_E_clISt17integral_constantIbLb1EES19_IbLb0EEEEDaS15_S16_EUlS15_E_NS1_11comp_targetILNS1_3genE9ELNS1_11target_archE1100ELNS1_3gpuE3ELNS1_3repE0EEENS1_30default_config_static_selectorELNS0_4arch9wavefront6targetE1EEEvT1_,"axG",@progbits,_ZN7rocprim17ROCPRIM_400000_NS6detail17trampoline_kernelINS0_14default_configENS1_25partition_config_selectorILNS1_17partition_subalgoE3EsNS0_10empty_typeEbEEZZNS1_14partition_implILS5_3ELb0ES3_jN6thrust23THRUST_200600_302600_NS6detail15normal_iteratorINSA_7pointerIsNSA_11hip_rocprim3tagENSA_11use_defaultESG_EEEEPS6_SJ_NS0_5tupleIJPsSJ_EEENSK_IJSJ_SJ_EEES6_PlJ7is_evenIsEEEE10hipError_tPvRmT3_T4_T5_T6_T7_T9_mT8_P12ihipStream_tbDpT10_ENKUlT_T0_E_clISt17integral_constantIbLb1EES19_IbLb0EEEEDaS15_S16_EUlS15_E_NS1_11comp_targetILNS1_3genE9ELNS1_11target_archE1100ELNS1_3gpuE3ELNS1_3repE0EEENS1_30default_config_static_selectorELNS0_4arch9wavefront6targetE1EEEvT1_,comdat
	.protected	_ZN7rocprim17ROCPRIM_400000_NS6detail17trampoline_kernelINS0_14default_configENS1_25partition_config_selectorILNS1_17partition_subalgoE3EsNS0_10empty_typeEbEEZZNS1_14partition_implILS5_3ELb0ES3_jN6thrust23THRUST_200600_302600_NS6detail15normal_iteratorINSA_7pointerIsNSA_11hip_rocprim3tagENSA_11use_defaultESG_EEEEPS6_SJ_NS0_5tupleIJPsSJ_EEENSK_IJSJ_SJ_EEES6_PlJ7is_evenIsEEEE10hipError_tPvRmT3_T4_T5_T6_T7_T9_mT8_P12ihipStream_tbDpT10_ENKUlT_T0_E_clISt17integral_constantIbLb1EES19_IbLb0EEEEDaS15_S16_EUlS15_E_NS1_11comp_targetILNS1_3genE9ELNS1_11target_archE1100ELNS1_3gpuE3ELNS1_3repE0EEENS1_30default_config_static_selectorELNS0_4arch9wavefront6targetE1EEEvT1_ ; -- Begin function _ZN7rocprim17ROCPRIM_400000_NS6detail17trampoline_kernelINS0_14default_configENS1_25partition_config_selectorILNS1_17partition_subalgoE3EsNS0_10empty_typeEbEEZZNS1_14partition_implILS5_3ELb0ES3_jN6thrust23THRUST_200600_302600_NS6detail15normal_iteratorINSA_7pointerIsNSA_11hip_rocprim3tagENSA_11use_defaultESG_EEEEPS6_SJ_NS0_5tupleIJPsSJ_EEENSK_IJSJ_SJ_EEES6_PlJ7is_evenIsEEEE10hipError_tPvRmT3_T4_T5_T6_T7_T9_mT8_P12ihipStream_tbDpT10_ENKUlT_T0_E_clISt17integral_constantIbLb1EES19_IbLb0EEEEDaS15_S16_EUlS15_E_NS1_11comp_targetILNS1_3genE9ELNS1_11target_archE1100ELNS1_3gpuE3ELNS1_3repE0EEENS1_30default_config_static_selectorELNS0_4arch9wavefront6targetE1EEEvT1_
	.globl	_ZN7rocprim17ROCPRIM_400000_NS6detail17trampoline_kernelINS0_14default_configENS1_25partition_config_selectorILNS1_17partition_subalgoE3EsNS0_10empty_typeEbEEZZNS1_14partition_implILS5_3ELb0ES3_jN6thrust23THRUST_200600_302600_NS6detail15normal_iteratorINSA_7pointerIsNSA_11hip_rocprim3tagENSA_11use_defaultESG_EEEEPS6_SJ_NS0_5tupleIJPsSJ_EEENSK_IJSJ_SJ_EEES6_PlJ7is_evenIsEEEE10hipError_tPvRmT3_T4_T5_T6_T7_T9_mT8_P12ihipStream_tbDpT10_ENKUlT_T0_E_clISt17integral_constantIbLb1EES19_IbLb0EEEEDaS15_S16_EUlS15_E_NS1_11comp_targetILNS1_3genE9ELNS1_11target_archE1100ELNS1_3gpuE3ELNS1_3repE0EEENS1_30default_config_static_selectorELNS0_4arch9wavefront6targetE1EEEvT1_
	.p2align	8
	.type	_ZN7rocprim17ROCPRIM_400000_NS6detail17trampoline_kernelINS0_14default_configENS1_25partition_config_selectorILNS1_17partition_subalgoE3EsNS0_10empty_typeEbEEZZNS1_14partition_implILS5_3ELb0ES3_jN6thrust23THRUST_200600_302600_NS6detail15normal_iteratorINSA_7pointerIsNSA_11hip_rocprim3tagENSA_11use_defaultESG_EEEEPS6_SJ_NS0_5tupleIJPsSJ_EEENSK_IJSJ_SJ_EEES6_PlJ7is_evenIsEEEE10hipError_tPvRmT3_T4_T5_T6_T7_T9_mT8_P12ihipStream_tbDpT10_ENKUlT_T0_E_clISt17integral_constantIbLb1EES19_IbLb0EEEEDaS15_S16_EUlS15_E_NS1_11comp_targetILNS1_3genE9ELNS1_11target_archE1100ELNS1_3gpuE3ELNS1_3repE0EEENS1_30default_config_static_selectorELNS0_4arch9wavefront6targetE1EEEvT1_,@function
_ZN7rocprim17ROCPRIM_400000_NS6detail17trampoline_kernelINS0_14default_configENS1_25partition_config_selectorILNS1_17partition_subalgoE3EsNS0_10empty_typeEbEEZZNS1_14partition_implILS5_3ELb0ES3_jN6thrust23THRUST_200600_302600_NS6detail15normal_iteratorINSA_7pointerIsNSA_11hip_rocprim3tagENSA_11use_defaultESG_EEEEPS6_SJ_NS0_5tupleIJPsSJ_EEENSK_IJSJ_SJ_EEES6_PlJ7is_evenIsEEEE10hipError_tPvRmT3_T4_T5_T6_T7_T9_mT8_P12ihipStream_tbDpT10_ENKUlT_T0_E_clISt17integral_constantIbLb1EES19_IbLb0EEEEDaS15_S16_EUlS15_E_NS1_11comp_targetILNS1_3genE9ELNS1_11target_archE1100ELNS1_3gpuE3ELNS1_3repE0EEENS1_30default_config_static_selectorELNS0_4arch9wavefront6targetE1EEEvT1_: ; @_ZN7rocprim17ROCPRIM_400000_NS6detail17trampoline_kernelINS0_14default_configENS1_25partition_config_selectorILNS1_17partition_subalgoE3EsNS0_10empty_typeEbEEZZNS1_14partition_implILS5_3ELb0ES3_jN6thrust23THRUST_200600_302600_NS6detail15normal_iteratorINSA_7pointerIsNSA_11hip_rocprim3tagENSA_11use_defaultESG_EEEEPS6_SJ_NS0_5tupleIJPsSJ_EEENSK_IJSJ_SJ_EEES6_PlJ7is_evenIsEEEE10hipError_tPvRmT3_T4_T5_T6_T7_T9_mT8_P12ihipStream_tbDpT10_ENKUlT_T0_E_clISt17integral_constantIbLb1EES19_IbLb0EEEEDaS15_S16_EUlS15_E_NS1_11comp_targetILNS1_3genE9ELNS1_11target_archE1100ELNS1_3gpuE3ELNS1_3repE0EEENS1_30default_config_static_selectorELNS0_4arch9wavefront6targetE1EEEvT1_
; %bb.0:
	.section	.rodata,"a",@progbits
	.p2align	6, 0x0
	.amdhsa_kernel _ZN7rocprim17ROCPRIM_400000_NS6detail17trampoline_kernelINS0_14default_configENS1_25partition_config_selectorILNS1_17partition_subalgoE3EsNS0_10empty_typeEbEEZZNS1_14partition_implILS5_3ELb0ES3_jN6thrust23THRUST_200600_302600_NS6detail15normal_iteratorINSA_7pointerIsNSA_11hip_rocprim3tagENSA_11use_defaultESG_EEEEPS6_SJ_NS0_5tupleIJPsSJ_EEENSK_IJSJ_SJ_EEES6_PlJ7is_evenIsEEEE10hipError_tPvRmT3_T4_T5_T6_T7_T9_mT8_P12ihipStream_tbDpT10_ENKUlT_T0_E_clISt17integral_constantIbLb1EES19_IbLb0EEEEDaS15_S16_EUlS15_E_NS1_11comp_targetILNS1_3genE9ELNS1_11target_archE1100ELNS1_3gpuE3ELNS1_3repE0EEENS1_30default_config_static_selectorELNS0_4arch9wavefront6targetE1EEEvT1_
		.amdhsa_group_segment_fixed_size 0
		.amdhsa_private_segment_fixed_size 0
		.amdhsa_kernarg_size 120
		.amdhsa_user_sgpr_count 6
		.amdhsa_user_sgpr_private_segment_buffer 1
		.amdhsa_user_sgpr_dispatch_ptr 0
		.amdhsa_user_sgpr_queue_ptr 0
		.amdhsa_user_sgpr_kernarg_segment_ptr 1
		.amdhsa_user_sgpr_dispatch_id 0
		.amdhsa_user_sgpr_flat_scratch_init 0
		.amdhsa_user_sgpr_kernarg_preload_length 0
		.amdhsa_user_sgpr_kernarg_preload_offset 0
		.amdhsa_user_sgpr_private_segment_size 0
		.amdhsa_uses_dynamic_stack 0
		.amdhsa_system_sgpr_private_segment_wavefront_offset 0
		.amdhsa_system_sgpr_workgroup_id_x 1
		.amdhsa_system_sgpr_workgroup_id_y 0
		.amdhsa_system_sgpr_workgroup_id_z 0
		.amdhsa_system_sgpr_workgroup_info 0
		.amdhsa_system_vgpr_workitem_id 0
		.amdhsa_next_free_vgpr 1
		.amdhsa_next_free_sgpr 0
		.amdhsa_accum_offset 4
		.amdhsa_reserve_vcc 0
		.amdhsa_reserve_flat_scratch 0
		.amdhsa_float_round_mode_32 0
		.amdhsa_float_round_mode_16_64 0
		.amdhsa_float_denorm_mode_32 3
		.amdhsa_float_denorm_mode_16_64 3
		.amdhsa_dx10_clamp 1
		.amdhsa_ieee_mode 1
		.amdhsa_fp16_overflow 0
		.amdhsa_tg_split 0
		.amdhsa_exception_fp_ieee_invalid_op 0
		.amdhsa_exception_fp_denorm_src 0
		.amdhsa_exception_fp_ieee_div_zero 0
		.amdhsa_exception_fp_ieee_overflow 0
		.amdhsa_exception_fp_ieee_underflow 0
		.amdhsa_exception_fp_ieee_inexact 0
		.amdhsa_exception_int_div_zero 0
	.end_amdhsa_kernel
	.section	.text._ZN7rocprim17ROCPRIM_400000_NS6detail17trampoline_kernelINS0_14default_configENS1_25partition_config_selectorILNS1_17partition_subalgoE3EsNS0_10empty_typeEbEEZZNS1_14partition_implILS5_3ELb0ES3_jN6thrust23THRUST_200600_302600_NS6detail15normal_iteratorINSA_7pointerIsNSA_11hip_rocprim3tagENSA_11use_defaultESG_EEEEPS6_SJ_NS0_5tupleIJPsSJ_EEENSK_IJSJ_SJ_EEES6_PlJ7is_evenIsEEEE10hipError_tPvRmT3_T4_T5_T6_T7_T9_mT8_P12ihipStream_tbDpT10_ENKUlT_T0_E_clISt17integral_constantIbLb1EES19_IbLb0EEEEDaS15_S16_EUlS15_E_NS1_11comp_targetILNS1_3genE9ELNS1_11target_archE1100ELNS1_3gpuE3ELNS1_3repE0EEENS1_30default_config_static_selectorELNS0_4arch9wavefront6targetE1EEEvT1_,"axG",@progbits,_ZN7rocprim17ROCPRIM_400000_NS6detail17trampoline_kernelINS0_14default_configENS1_25partition_config_selectorILNS1_17partition_subalgoE3EsNS0_10empty_typeEbEEZZNS1_14partition_implILS5_3ELb0ES3_jN6thrust23THRUST_200600_302600_NS6detail15normal_iteratorINSA_7pointerIsNSA_11hip_rocprim3tagENSA_11use_defaultESG_EEEEPS6_SJ_NS0_5tupleIJPsSJ_EEENSK_IJSJ_SJ_EEES6_PlJ7is_evenIsEEEE10hipError_tPvRmT3_T4_T5_T6_T7_T9_mT8_P12ihipStream_tbDpT10_ENKUlT_T0_E_clISt17integral_constantIbLb1EES19_IbLb0EEEEDaS15_S16_EUlS15_E_NS1_11comp_targetILNS1_3genE9ELNS1_11target_archE1100ELNS1_3gpuE3ELNS1_3repE0EEENS1_30default_config_static_selectorELNS0_4arch9wavefront6targetE1EEEvT1_,comdat
.Lfunc_end162:
	.size	_ZN7rocprim17ROCPRIM_400000_NS6detail17trampoline_kernelINS0_14default_configENS1_25partition_config_selectorILNS1_17partition_subalgoE3EsNS0_10empty_typeEbEEZZNS1_14partition_implILS5_3ELb0ES3_jN6thrust23THRUST_200600_302600_NS6detail15normal_iteratorINSA_7pointerIsNSA_11hip_rocprim3tagENSA_11use_defaultESG_EEEEPS6_SJ_NS0_5tupleIJPsSJ_EEENSK_IJSJ_SJ_EEES6_PlJ7is_evenIsEEEE10hipError_tPvRmT3_T4_T5_T6_T7_T9_mT8_P12ihipStream_tbDpT10_ENKUlT_T0_E_clISt17integral_constantIbLb1EES19_IbLb0EEEEDaS15_S16_EUlS15_E_NS1_11comp_targetILNS1_3genE9ELNS1_11target_archE1100ELNS1_3gpuE3ELNS1_3repE0EEENS1_30default_config_static_selectorELNS0_4arch9wavefront6targetE1EEEvT1_, .Lfunc_end162-_ZN7rocprim17ROCPRIM_400000_NS6detail17trampoline_kernelINS0_14default_configENS1_25partition_config_selectorILNS1_17partition_subalgoE3EsNS0_10empty_typeEbEEZZNS1_14partition_implILS5_3ELb0ES3_jN6thrust23THRUST_200600_302600_NS6detail15normal_iteratorINSA_7pointerIsNSA_11hip_rocprim3tagENSA_11use_defaultESG_EEEEPS6_SJ_NS0_5tupleIJPsSJ_EEENSK_IJSJ_SJ_EEES6_PlJ7is_evenIsEEEE10hipError_tPvRmT3_T4_T5_T6_T7_T9_mT8_P12ihipStream_tbDpT10_ENKUlT_T0_E_clISt17integral_constantIbLb1EES19_IbLb0EEEEDaS15_S16_EUlS15_E_NS1_11comp_targetILNS1_3genE9ELNS1_11target_archE1100ELNS1_3gpuE3ELNS1_3repE0EEENS1_30default_config_static_selectorELNS0_4arch9wavefront6targetE1EEEvT1_
                                        ; -- End function
	.section	.AMDGPU.csdata,"",@progbits
; Kernel info:
; codeLenInByte = 0
; NumSgprs: 4
; NumVgprs: 0
; NumAgprs: 0
; TotalNumVgprs: 0
; ScratchSize: 0
; MemoryBound: 0
; FloatMode: 240
; IeeeMode: 1
; LDSByteSize: 0 bytes/workgroup (compile time only)
; SGPRBlocks: 0
; VGPRBlocks: 0
; NumSGPRsForWavesPerEU: 4
; NumVGPRsForWavesPerEU: 1
; AccumOffset: 4
; Occupancy: 8
; WaveLimiterHint : 0
; COMPUTE_PGM_RSRC2:SCRATCH_EN: 0
; COMPUTE_PGM_RSRC2:USER_SGPR: 6
; COMPUTE_PGM_RSRC2:TRAP_HANDLER: 0
; COMPUTE_PGM_RSRC2:TGID_X_EN: 1
; COMPUTE_PGM_RSRC2:TGID_Y_EN: 0
; COMPUTE_PGM_RSRC2:TGID_Z_EN: 0
; COMPUTE_PGM_RSRC2:TIDIG_COMP_CNT: 0
; COMPUTE_PGM_RSRC3_GFX90A:ACCUM_OFFSET: 0
; COMPUTE_PGM_RSRC3_GFX90A:TG_SPLIT: 0
	.section	.text._ZN7rocprim17ROCPRIM_400000_NS6detail17trampoline_kernelINS0_14default_configENS1_25partition_config_selectorILNS1_17partition_subalgoE3EsNS0_10empty_typeEbEEZZNS1_14partition_implILS5_3ELb0ES3_jN6thrust23THRUST_200600_302600_NS6detail15normal_iteratorINSA_7pointerIsNSA_11hip_rocprim3tagENSA_11use_defaultESG_EEEEPS6_SJ_NS0_5tupleIJPsSJ_EEENSK_IJSJ_SJ_EEES6_PlJ7is_evenIsEEEE10hipError_tPvRmT3_T4_T5_T6_T7_T9_mT8_P12ihipStream_tbDpT10_ENKUlT_T0_E_clISt17integral_constantIbLb1EES19_IbLb0EEEEDaS15_S16_EUlS15_E_NS1_11comp_targetILNS1_3genE8ELNS1_11target_archE1030ELNS1_3gpuE2ELNS1_3repE0EEENS1_30default_config_static_selectorELNS0_4arch9wavefront6targetE1EEEvT1_,"axG",@progbits,_ZN7rocprim17ROCPRIM_400000_NS6detail17trampoline_kernelINS0_14default_configENS1_25partition_config_selectorILNS1_17partition_subalgoE3EsNS0_10empty_typeEbEEZZNS1_14partition_implILS5_3ELb0ES3_jN6thrust23THRUST_200600_302600_NS6detail15normal_iteratorINSA_7pointerIsNSA_11hip_rocprim3tagENSA_11use_defaultESG_EEEEPS6_SJ_NS0_5tupleIJPsSJ_EEENSK_IJSJ_SJ_EEES6_PlJ7is_evenIsEEEE10hipError_tPvRmT3_T4_T5_T6_T7_T9_mT8_P12ihipStream_tbDpT10_ENKUlT_T0_E_clISt17integral_constantIbLb1EES19_IbLb0EEEEDaS15_S16_EUlS15_E_NS1_11comp_targetILNS1_3genE8ELNS1_11target_archE1030ELNS1_3gpuE2ELNS1_3repE0EEENS1_30default_config_static_selectorELNS0_4arch9wavefront6targetE1EEEvT1_,comdat
	.protected	_ZN7rocprim17ROCPRIM_400000_NS6detail17trampoline_kernelINS0_14default_configENS1_25partition_config_selectorILNS1_17partition_subalgoE3EsNS0_10empty_typeEbEEZZNS1_14partition_implILS5_3ELb0ES3_jN6thrust23THRUST_200600_302600_NS6detail15normal_iteratorINSA_7pointerIsNSA_11hip_rocprim3tagENSA_11use_defaultESG_EEEEPS6_SJ_NS0_5tupleIJPsSJ_EEENSK_IJSJ_SJ_EEES6_PlJ7is_evenIsEEEE10hipError_tPvRmT3_T4_T5_T6_T7_T9_mT8_P12ihipStream_tbDpT10_ENKUlT_T0_E_clISt17integral_constantIbLb1EES19_IbLb0EEEEDaS15_S16_EUlS15_E_NS1_11comp_targetILNS1_3genE8ELNS1_11target_archE1030ELNS1_3gpuE2ELNS1_3repE0EEENS1_30default_config_static_selectorELNS0_4arch9wavefront6targetE1EEEvT1_ ; -- Begin function _ZN7rocprim17ROCPRIM_400000_NS6detail17trampoline_kernelINS0_14default_configENS1_25partition_config_selectorILNS1_17partition_subalgoE3EsNS0_10empty_typeEbEEZZNS1_14partition_implILS5_3ELb0ES3_jN6thrust23THRUST_200600_302600_NS6detail15normal_iteratorINSA_7pointerIsNSA_11hip_rocprim3tagENSA_11use_defaultESG_EEEEPS6_SJ_NS0_5tupleIJPsSJ_EEENSK_IJSJ_SJ_EEES6_PlJ7is_evenIsEEEE10hipError_tPvRmT3_T4_T5_T6_T7_T9_mT8_P12ihipStream_tbDpT10_ENKUlT_T0_E_clISt17integral_constantIbLb1EES19_IbLb0EEEEDaS15_S16_EUlS15_E_NS1_11comp_targetILNS1_3genE8ELNS1_11target_archE1030ELNS1_3gpuE2ELNS1_3repE0EEENS1_30default_config_static_selectorELNS0_4arch9wavefront6targetE1EEEvT1_
	.globl	_ZN7rocprim17ROCPRIM_400000_NS6detail17trampoline_kernelINS0_14default_configENS1_25partition_config_selectorILNS1_17partition_subalgoE3EsNS0_10empty_typeEbEEZZNS1_14partition_implILS5_3ELb0ES3_jN6thrust23THRUST_200600_302600_NS6detail15normal_iteratorINSA_7pointerIsNSA_11hip_rocprim3tagENSA_11use_defaultESG_EEEEPS6_SJ_NS0_5tupleIJPsSJ_EEENSK_IJSJ_SJ_EEES6_PlJ7is_evenIsEEEE10hipError_tPvRmT3_T4_T5_T6_T7_T9_mT8_P12ihipStream_tbDpT10_ENKUlT_T0_E_clISt17integral_constantIbLb1EES19_IbLb0EEEEDaS15_S16_EUlS15_E_NS1_11comp_targetILNS1_3genE8ELNS1_11target_archE1030ELNS1_3gpuE2ELNS1_3repE0EEENS1_30default_config_static_selectorELNS0_4arch9wavefront6targetE1EEEvT1_
	.p2align	8
	.type	_ZN7rocprim17ROCPRIM_400000_NS6detail17trampoline_kernelINS0_14default_configENS1_25partition_config_selectorILNS1_17partition_subalgoE3EsNS0_10empty_typeEbEEZZNS1_14partition_implILS5_3ELb0ES3_jN6thrust23THRUST_200600_302600_NS6detail15normal_iteratorINSA_7pointerIsNSA_11hip_rocprim3tagENSA_11use_defaultESG_EEEEPS6_SJ_NS0_5tupleIJPsSJ_EEENSK_IJSJ_SJ_EEES6_PlJ7is_evenIsEEEE10hipError_tPvRmT3_T4_T5_T6_T7_T9_mT8_P12ihipStream_tbDpT10_ENKUlT_T0_E_clISt17integral_constantIbLb1EES19_IbLb0EEEEDaS15_S16_EUlS15_E_NS1_11comp_targetILNS1_3genE8ELNS1_11target_archE1030ELNS1_3gpuE2ELNS1_3repE0EEENS1_30default_config_static_selectorELNS0_4arch9wavefront6targetE1EEEvT1_,@function
_ZN7rocprim17ROCPRIM_400000_NS6detail17trampoline_kernelINS0_14default_configENS1_25partition_config_selectorILNS1_17partition_subalgoE3EsNS0_10empty_typeEbEEZZNS1_14partition_implILS5_3ELb0ES3_jN6thrust23THRUST_200600_302600_NS6detail15normal_iteratorINSA_7pointerIsNSA_11hip_rocprim3tagENSA_11use_defaultESG_EEEEPS6_SJ_NS0_5tupleIJPsSJ_EEENSK_IJSJ_SJ_EEES6_PlJ7is_evenIsEEEE10hipError_tPvRmT3_T4_T5_T6_T7_T9_mT8_P12ihipStream_tbDpT10_ENKUlT_T0_E_clISt17integral_constantIbLb1EES19_IbLb0EEEEDaS15_S16_EUlS15_E_NS1_11comp_targetILNS1_3genE8ELNS1_11target_archE1030ELNS1_3gpuE2ELNS1_3repE0EEENS1_30default_config_static_selectorELNS0_4arch9wavefront6targetE1EEEvT1_: ; @_ZN7rocprim17ROCPRIM_400000_NS6detail17trampoline_kernelINS0_14default_configENS1_25partition_config_selectorILNS1_17partition_subalgoE3EsNS0_10empty_typeEbEEZZNS1_14partition_implILS5_3ELb0ES3_jN6thrust23THRUST_200600_302600_NS6detail15normal_iteratorINSA_7pointerIsNSA_11hip_rocprim3tagENSA_11use_defaultESG_EEEEPS6_SJ_NS0_5tupleIJPsSJ_EEENSK_IJSJ_SJ_EEES6_PlJ7is_evenIsEEEE10hipError_tPvRmT3_T4_T5_T6_T7_T9_mT8_P12ihipStream_tbDpT10_ENKUlT_T0_E_clISt17integral_constantIbLb1EES19_IbLb0EEEEDaS15_S16_EUlS15_E_NS1_11comp_targetILNS1_3genE8ELNS1_11target_archE1030ELNS1_3gpuE2ELNS1_3repE0EEENS1_30default_config_static_selectorELNS0_4arch9wavefront6targetE1EEEvT1_
; %bb.0:
	.section	.rodata,"a",@progbits
	.p2align	6, 0x0
	.amdhsa_kernel _ZN7rocprim17ROCPRIM_400000_NS6detail17trampoline_kernelINS0_14default_configENS1_25partition_config_selectorILNS1_17partition_subalgoE3EsNS0_10empty_typeEbEEZZNS1_14partition_implILS5_3ELb0ES3_jN6thrust23THRUST_200600_302600_NS6detail15normal_iteratorINSA_7pointerIsNSA_11hip_rocprim3tagENSA_11use_defaultESG_EEEEPS6_SJ_NS0_5tupleIJPsSJ_EEENSK_IJSJ_SJ_EEES6_PlJ7is_evenIsEEEE10hipError_tPvRmT3_T4_T5_T6_T7_T9_mT8_P12ihipStream_tbDpT10_ENKUlT_T0_E_clISt17integral_constantIbLb1EES19_IbLb0EEEEDaS15_S16_EUlS15_E_NS1_11comp_targetILNS1_3genE8ELNS1_11target_archE1030ELNS1_3gpuE2ELNS1_3repE0EEENS1_30default_config_static_selectorELNS0_4arch9wavefront6targetE1EEEvT1_
		.amdhsa_group_segment_fixed_size 0
		.amdhsa_private_segment_fixed_size 0
		.amdhsa_kernarg_size 120
		.amdhsa_user_sgpr_count 6
		.amdhsa_user_sgpr_private_segment_buffer 1
		.amdhsa_user_sgpr_dispatch_ptr 0
		.amdhsa_user_sgpr_queue_ptr 0
		.amdhsa_user_sgpr_kernarg_segment_ptr 1
		.amdhsa_user_sgpr_dispatch_id 0
		.amdhsa_user_sgpr_flat_scratch_init 0
		.amdhsa_user_sgpr_kernarg_preload_length 0
		.amdhsa_user_sgpr_kernarg_preload_offset 0
		.amdhsa_user_sgpr_private_segment_size 0
		.amdhsa_uses_dynamic_stack 0
		.amdhsa_system_sgpr_private_segment_wavefront_offset 0
		.amdhsa_system_sgpr_workgroup_id_x 1
		.amdhsa_system_sgpr_workgroup_id_y 0
		.amdhsa_system_sgpr_workgroup_id_z 0
		.amdhsa_system_sgpr_workgroup_info 0
		.amdhsa_system_vgpr_workitem_id 0
		.amdhsa_next_free_vgpr 1
		.amdhsa_next_free_sgpr 0
		.amdhsa_accum_offset 4
		.amdhsa_reserve_vcc 0
		.amdhsa_reserve_flat_scratch 0
		.amdhsa_float_round_mode_32 0
		.amdhsa_float_round_mode_16_64 0
		.amdhsa_float_denorm_mode_32 3
		.amdhsa_float_denorm_mode_16_64 3
		.amdhsa_dx10_clamp 1
		.amdhsa_ieee_mode 1
		.amdhsa_fp16_overflow 0
		.amdhsa_tg_split 0
		.amdhsa_exception_fp_ieee_invalid_op 0
		.amdhsa_exception_fp_denorm_src 0
		.amdhsa_exception_fp_ieee_div_zero 0
		.amdhsa_exception_fp_ieee_overflow 0
		.amdhsa_exception_fp_ieee_underflow 0
		.amdhsa_exception_fp_ieee_inexact 0
		.amdhsa_exception_int_div_zero 0
	.end_amdhsa_kernel
	.section	.text._ZN7rocprim17ROCPRIM_400000_NS6detail17trampoline_kernelINS0_14default_configENS1_25partition_config_selectorILNS1_17partition_subalgoE3EsNS0_10empty_typeEbEEZZNS1_14partition_implILS5_3ELb0ES3_jN6thrust23THRUST_200600_302600_NS6detail15normal_iteratorINSA_7pointerIsNSA_11hip_rocprim3tagENSA_11use_defaultESG_EEEEPS6_SJ_NS0_5tupleIJPsSJ_EEENSK_IJSJ_SJ_EEES6_PlJ7is_evenIsEEEE10hipError_tPvRmT3_T4_T5_T6_T7_T9_mT8_P12ihipStream_tbDpT10_ENKUlT_T0_E_clISt17integral_constantIbLb1EES19_IbLb0EEEEDaS15_S16_EUlS15_E_NS1_11comp_targetILNS1_3genE8ELNS1_11target_archE1030ELNS1_3gpuE2ELNS1_3repE0EEENS1_30default_config_static_selectorELNS0_4arch9wavefront6targetE1EEEvT1_,"axG",@progbits,_ZN7rocprim17ROCPRIM_400000_NS6detail17trampoline_kernelINS0_14default_configENS1_25partition_config_selectorILNS1_17partition_subalgoE3EsNS0_10empty_typeEbEEZZNS1_14partition_implILS5_3ELb0ES3_jN6thrust23THRUST_200600_302600_NS6detail15normal_iteratorINSA_7pointerIsNSA_11hip_rocprim3tagENSA_11use_defaultESG_EEEEPS6_SJ_NS0_5tupleIJPsSJ_EEENSK_IJSJ_SJ_EEES6_PlJ7is_evenIsEEEE10hipError_tPvRmT3_T4_T5_T6_T7_T9_mT8_P12ihipStream_tbDpT10_ENKUlT_T0_E_clISt17integral_constantIbLb1EES19_IbLb0EEEEDaS15_S16_EUlS15_E_NS1_11comp_targetILNS1_3genE8ELNS1_11target_archE1030ELNS1_3gpuE2ELNS1_3repE0EEENS1_30default_config_static_selectorELNS0_4arch9wavefront6targetE1EEEvT1_,comdat
.Lfunc_end163:
	.size	_ZN7rocprim17ROCPRIM_400000_NS6detail17trampoline_kernelINS0_14default_configENS1_25partition_config_selectorILNS1_17partition_subalgoE3EsNS0_10empty_typeEbEEZZNS1_14partition_implILS5_3ELb0ES3_jN6thrust23THRUST_200600_302600_NS6detail15normal_iteratorINSA_7pointerIsNSA_11hip_rocprim3tagENSA_11use_defaultESG_EEEEPS6_SJ_NS0_5tupleIJPsSJ_EEENSK_IJSJ_SJ_EEES6_PlJ7is_evenIsEEEE10hipError_tPvRmT3_T4_T5_T6_T7_T9_mT8_P12ihipStream_tbDpT10_ENKUlT_T0_E_clISt17integral_constantIbLb1EES19_IbLb0EEEEDaS15_S16_EUlS15_E_NS1_11comp_targetILNS1_3genE8ELNS1_11target_archE1030ELNS1_3gpuE2ELNS1_3repE0EEENS1_30default_config_static_selectorELNS0_4arch9wavefront6targetE1EEEvT1_, .Lfunc_end163-_ZN7rocprim17ROCPRIM_400000_NS6detail17trampoline_kernelINS0_14default_configENS1_25partition_config_selectorILNS1_17partition_subalgoE3EsNS0_10empty_typeEbEEZZNS1_14partition_implILS5_3ELb0ES3_jN6thrust23THRUST_200600_302600_NS6detail15normal_iteratorINSA_7pointerIsNSA_11hip_rocprim3tagENSA_11use_defaultESG_EEEEPS6_SJ_NS0_5tupleIJPsSJ_EEENSK_IJSJ_SJ_EEES6_PlJ7is_evenIsEEEE10hipError_tPvRmT3_T4_T5_T6_T7_T9_mT8_P12ihipStream_tbDpT10_ENKUlT_T0_E_clISt17integral_constantIbLb1EES19_IbLb0EEEEDaS15_S16_EUlS15_E_NS1_11comp_targetILNS1_3genE8ELNS1_11target_archE1030ELNS1_3gpuE2ELNS1_3repE0EEENS1_30default_config_static_selectorELNS0_4arch9wavefront6targetE1EEEvT1_
                                        ; -- End function
	.section	.AMDGPU.csdata,"",@progbits
; Kernel info:
; codeLenInByte = 0
; NumSgprs: 4
; NumVgprs: 0
; NumAgprs: 0
; TotalNumVgprs: 0
; ScratchSize: 0
; MemoryBound: 0
; FloatMode: 240
; IeeeMode: 1
; LDSByteSize: 0 bytes/workgroup (compile time only)
; SGPRBlocks: 0
; VGPRBlocks: 0
; NumSGPRsForWavesPerEU: 4
; NumVGPRsForWavesPerEU: 1
; AccumOffset: 4
; Occupancy: 8
; WaveLimiterHint : 0
; COMPUTE_PGM_RSRC2:SCRATCH_EN: 0
; COMPUTE_PGM_RSRC2:USER_SGPR: 6
; COMPUTE_PGM_RSRC2:TRAP_HANDLER: 0
; COMPUTE_PGM_RSRC2:TGID_X_EN: 1
; COMPUTE_PGM_RSRC2:TGID_Y_EN: 0
; COMPUTE_PGM_RSRC2:TGID_Z_EN: 0
; COMPUTE_PGM_RSRC2:TIDIG_COMP_CNT: 0
; COMPUTE_PGM_RSRC3_GFX90A:ACCUM_OFFSET: 0
; COMPUTE_PGM_RSRC3_GFX90A:TG_SPLIT: 0
	.section	.text._ZN7rocprim17ROCPRIM_400000_NS6detail17trampoline_kernelINS0_14default_configENS1_25partition_config_selectorILNS1_17partition_subalgoE3EsNS0_10empty_typeEbEEZZNS1_14partition_implILS5_3ELb0ES3_jN6thrust23THRUST_200600_302600_NS6detail15normal_iteratorINSA_7pointerIsNSA_11hip_rocprim3tagENSA_11use_defaultESG_EEEEPS6_SJ_NS0_5tupleIJPsSJ_EEENSK_IJSJ_SJ_EEES6_PlJ7is_evenIsEEEE10hipError_tPvRmT3_T4_T5_T6_T7_T9_mT8_P12ihipStream_tbDpT10_ENKUlT_T0_E_clISt17integral_constantIbLb0EES19_IbLb1EEEEDaS15_S16_EUlS15_E_NS1_11comp_targetILNS1_3genE0ELNS1_11target_archE4294967295ELNS1_3gpuE0ELNS1_3repE0EEENS1_30default_config_static_selectorELNS0_4arch9wavefront6targetE1EEEvT1_,"axG",@progbits,_ZN7rocprim17ROCPRIM_400000_NS6detail17trampoline_kernelINS0_14default_configENS1_25partition_config_selectorILNS1_17partition_subalgoE3EsNS0_10empty_typeEbEEZZNS1_14partition_implILS5_3ELb0ES3_jN6thrust23THRUST_200600_302600_NS6detail15normal_iteratorINSA_7pointerIsNSA_11hip_rocprim3tagENSA_11use_defaultESG_EEEEPS6_SJ_NS0_5tupleIJPsSJ_EEENSK_IJSJ_SJ_EEES6_PlJ7is_evenIsEEEE10hipError_tPvRmT3_T4_T5_T6_T7_T9_mT8_P12ihipStream_tbDpT10_ENKUlT_T0_E_clISt17integral_constantIbLb0EES19_IbLb1EEEEDaS15_S16_EUlS15_E_NS1_11comp_targetILNS1_3genE0ELNS1_11target_archE4294967295ELNS1_3gpuE0ELNS1_3repE0EEENS1_30default_config_static_selectorELNS0_4arch9wavefront6targetE1EEEvT1_,comdat
	.protected	_ZN7rocprim17ROCPRIM_400000_NS6detail17trampoline_kernelINS0_14default_configENS1_25partition_config_selectorILNS1_17partition_subalgoE3EsNS0_10empty_typeEbEEZZNS1_14partition_implILS5_3ELb0ES3_jN6thrust23THRUST_200600_302600_NS6detail15normal_iteratorINSA_7pointerIsNSA_11hip_rocprim3tagENSA_11use_defaultESG_EEEEPS6_SJ_NS0_5tupleIJPsSJ_EEENSK_IJSJ_SJ_EEES6_PlJ7is_evenIsEEEE10hipError_tPvRmT3_T4_T5_T6_T7_T9_mT8_P12ihipStream_tbDpT10_ENKUlT_T0_E_clISt17integral_constantIbLb0EES19_IbLb1EEEEDaS15_S16_EUlS15_E_NS1_11comp_targetILNS1_3genE0ELNS1_11target_archE4294967295ELNS1_3gpuE0ELNS1_3repE0EEENS1_30default_config_static_selectorELNS0_4arch9wavefront6targetE1EEEvT1_ ; -- Begin function _ZN7rocprim17ROCPRIM_400000_NS6detail17trampoline_kernelINS0_14default_configENS1_25partition_config_selectorILNS1_17partition_subalgoE3EsNS0_10empty_typeEbEEZZNS1_14partition_implILS5_3ELb0ES3_jN6thrust23THRUST_200600_302600_NS6detail15normal_iteratorINSA_7pointerIsNSA_11hip_rocprim3tagENSA_11use_defaultESG_EEEEPS6_SJ_NS0_5tupleIJPsSJ_EEENSK_IJSJ_SJ_EEES6_PlJ7is_evenIsEEEE10hipError_tPvRmT3_T4_T5_T6_T7_T9_mT8_P12ihipStream_tbDpT10_ENKUlT_T0_E_clISt17integral_constantIbLb0EES19_IbLb1EEEEDaS15_S16_EUlS15_E_NS1_11comp_targetILNS1_3genE0ELNS1_11target_archE4294967295ELNS1_3gpuE0ELNS1_3repE0EEENS1_30default_config_static_selectorELNS0_4arch9wavefront6targetE1EEEvT1_
	.globl	_ZN7rocprim17ROCPRIM_400000_NS6detail17trampoline_kernelINS0_14default_configENS1_25partition_config_selectorILNS1_17partition_subalgoE3EsNS0_10empty_typeEbEEZZNS1_14partition_implILS5_3ELb0ES3_jN6thrust23THRUST_200600_302600_NS6detail15normal_iteratorINSA_7pointerIsNSA_11hip_rocprim3tagENSA_11use_defaultESG_EEEEPS6_SJ_NS0_5tupleIJPsSJ_EEENSK_IJSJ_SJ_EEES6_PlJ7is_evenIsEEEE10hipError_tPvRmT3_T4_T5_T6_T7_T9_mT8_P12ihipStream_tbDpT10_ENKUlT_T0_E_clISt17integral_constantIbLb0EES19_IbLb1EEEEDaS15_S16_EUlS15_E_NS1_11comp_targetILNS1_3genE0ELNS1_11target_archE4294967295ELNS1_3gpuE0ELNS1_3repE0EEENS1_30default_config_static_selectorELNS0_4arch9wavefront6targetE1EEEvT1_
	.p2align	8
	.type	_ZN7rocprim17ROCPRIM_400000_NS6detail17trampoline_kernelINS0_14default_configENS1_25partition_config_selectorILNS1_17partition_subalgoE3EsNS0_10empty_typeEbEEZZNS1_14partition_implILS5_3ELb0ES3_jN6thrust23THRUST_200600_302600_NS6detail15normal_iteratorINSA_7pointerIsNSA_11hip_rocprim3tagENSA_11use_defaultESG_EEEEPS6_SJ_NS0_5tupleIJPsSJ_EEENSK_IJSJ_SJ_EEES6_PlJ7is_evenIsEEEE10hipError_tPvRmT3_T4_T5_T6_T7_T9_mT8_P12ihipStream_tbDpT10_ENKUlT_T0_E_clISt17integral_constantIbLb0EES19_IbLb1EEEEDaS15_S16_EUlS15_E_NS1_11comp_targetILNS1_3genE0ELNS1_11target_archE4294967295ELNS1_3gpuE0ELNS1_3repE0EEENS1_30default_config_static_selectorELNS0_4arch9wavefront6targetE1EEEvT1_,@function
_ZN7rocprim17ROCPRIM_400000_NS6detail17trampoline_kernelINS0_14default_configENS1_25partition_config_selectorILNS1_17partition_subalgoE3EsNS0_10empty_typeEbEEZZNS1_14partition_implILS5_3ELb0ES3_jN6thrust23THRUST_200600_302600_NS6detail15normal_iteratorINSA_7pointerIsNSA_11hip_rocprim3tagENSA_11use_defaultESG_EEEEPS6_SJ_NS0_5tupleIJPsSJ_EEENSK_IJSJ_SJ_EEES6_PlJ7is_evenIsEEEE10hipError_tPvRmT3_T4_T5_T6_T7_T9_mT8_P12ihipStream_tbDpT10_ENKUlT_T0_E_clISt17integral_constantIbLb0EES19_IbLb1EEEEDaS15_S16_EUlS15_E_NS1_11comp_targetILNS1_3genE0ELNS1_11target_archE4294967295ELNS1_3gpuE0ELNS1_3repE0EEENS1_30default_config_static_selectorELNS0_4arch9wavefront6targetE1EEEvT1_: ; @_ZN7rocprim17ROCPRIM_400000_NS6detail17trampoline_kernelINS0_14default_configENS1_25partition_config_selectorILNS1_17partition_subalgoE3EsNS0_10empty_typeEbEEZZNS1_14partition_implILS5_3ELb0ES3_jN6thrust23THRUST_200600_302600_NS6detail15normal_iteratorINSA_7pointerIsNSA_11hip_rocprim3tagENSA_11use_defaultESG_EEEEPS6_SJ_NS0_5tupleIJPsSJ_EEENSK_IJSJ_SJ_EEES6_PlJ7is_evenIsEEEE10hipError_tPvRmT3_T4_T5_T6_T7_T9_mT8_P12ihipStream_tbDpT10_ENKUlT_T0_E_clISt17integral_constantIbLb0EES19_IbLb1EEEEDaS15_S16_EUlS15_E_NS1_11comp_targetILNS1_3genE0ELNS1_11target_archE4294967295ELNS1_3gpuE0ELNS1_3repE0EEENS1_30default_config_static_selectorELNS0_4arch9wavefront6targetE1EEEvT1_
; %bb.0:
	.section	.rodata,"a",@progbits
	.p2align	6, 0x0
	.amdhsa_kernel _ZN7rocprim17ROCPRIM_400000_NS6detail17trampoline_kernelINS0_14default_configENS1_25partition_config_selectorILNS1_17partition_subalgoE3EsNS0_10empty_typeEbEEZZNS1_14partition_implILS5_3ELb0ES3_jN6thrust23THRUST_200600_302600_NS6detail15normal_iteratorINSA_7pointerIsNSA_11hip_rocprim3tagENSA_11use_defaultESG_EEEEPS6_SJ_NS0_5tupleIJPsSJ_EEENSK_IJSJ_SJ_EEES6_PlJ7is_evenIsEEEE10hipError_tPvRmT3_T4_T5_T6_T7_T9_mT8_P12ihipStream_tbDpT10_ENKUlT_T0_E_clISt17integral_constantIbLb0EES19_IbLb1EEEEDaS15_S16_EUlS15_E_NS1_11comp_targetILNS1_3genE0ELNS1_11target_archE4294967295ELNS1_3gpuE0ELNS1_3repE0EEENS1_30default_config_static_selectorELNS0_4arch9wavefront6targetE1EEEvT1_
		.amdhsa_group_segment_fixed_size 0
		.amdhsa_private_segment_fixed_size 0
		.amdhsa_kernarg_size 136
		.amdhsa_user_sgpr_count 6
		.amdhsa_user_sgpr_private_segment_buffer 1
		.amdhsa_user_sgpr_dispatch_ptr 0
		.amdhsa_user_sgpr_queue_ptr 0
		.amdhsa_user_sgpr_kernarg_segment_ptr 1
		.amdhsa_user_sgpr_dispatch_id 0
		.amdhsa_user_sgpr_flat_scratch_init 0
		.amdhsa_user_sgpr_kernarg_preload_length 0
		.amdhsa_user_sgpr_kernarg_preload_offset 0
		.amdhsa_user_sgpr_private_segment_size 0
		.amdhsa_uses_dynamic_stack 0
		.amdhsa_system_sgpr_private_segment_wavefront_offset 0
		.amdhsa_system_sgpr_workgroup_id_x 1
		.amdhsa_system_sgpr_workgroup_id_y 0
		.amdhsa_system_sgpr_workgroup_id_z 0
		.amdhsa_system_sgpr_workgroup_info 0
		.amdhsa_system_vgpr_workitem_id 0
		.amdhsa_next_free_vgpr 1
		.amdhsa_next_free_sgpr 0
		.amdhsa_accum_offset 4
		.amdhsa_reserve_vcc 0
		.amdhsa_reserve_flat_scratch 0
		.amdhsa_float_round_mode_32 0
		.amdhsa_float_round_mode_16_64 0
		.amdhsa_float_denorm_mode_32 3
		.amdhsa_float_denorm_mode_16_64 3
		.amdhsa_dx10_clamp 1
		.amdhsa_ieee_mode 1
		.amdhsa_fp16_overflow 0
		.amdhsa_tg_split 0
		.amdhsa_exception_fp_ieee_invalid_op 0
		.amdhsa_exception_fp_denorm_src 0
		.amdhsa_exception_fp_ieee_div_zero 0
		.amdhsa_exception_fp_ieee_overflow 0
		.amdhsa_exception_fp_ieee_underflow 0
		.amdhsa_exception_fp_ieee_inexact 0
		.amdhsa_exception_int_div_zero 0
	.end_amdhsa_kernel
	.section	.text._ZN7rocprim17ROCPRIM_400000_NS6detail17trampoline_kernelINS0_14default_configENS1_25partition_config_selectorILNS1_17partition_subalgoE3EsNS0_10empty_typeEbEEZZNS1_14partition_implILS5_3ELb0ES3_jN6thrust23THRUST_200600_302600_NS6detail15normal_iteratorINSA_7pointerIsNSA_11hip_rocprim3tagENSA_11use_defaultESG_EEEEPS6_SJ_NS0_5tupleIJPsSJ_EEENSK_IJSJ_SJ_EEES6_PlJ7is_evenIsEEEE10hipError_tPvRmT3_T4_T5_T6_T7_T9_mT8_P12ihipStream_tbDpT10_ENKUlT_T0_E_clISt17integral_constantIbLb0EES19_IbLb1EEEEDaS15_S16_EUlS15_E_NS1_11comp_targetILNS1_3genE0ELNS1_11target_archE4294967295ELNS1_3gpuE0ELNS1_3repE0EEENS1_30default_config_static_selectorELNS0_4arch9wavefront6targetE1EEEvT1_,"axG",@progbits,_ZN7rocprim17ROCPRIM_400000_NS6detail17trampoline_kernelINS0_14default_configENS1_25partition_config_selectorILNS1_17partition_subalgoE3EsNS0_10empty_typeEbEEZZNS1_14partition_implILS5_3ELb0ES3_jN6thrust23THRUST_200600_302600_NS6detail15normal_iteratorINSA_7pointerIsNSA_11hip_rocprim3tagENSA_11use_defaultESG_EEEEPS6_SJ_NS0_5tupleIJPsSJ_EEENSK_IJSJ_SJ_EEES6_PlJ7is_evenIsEEEE10hipError_tPvRmT3_T4_T5_T6_T7_T9_mT8_P12ihipStream_tbDpT10_ENKUlT_T0_E_clISt17integral_constantIbLb0EES19_IbLb1EEEEDaS15_S16_EUlS15_E_NS1_11comp_targetILNS1_3genE0ELNS1_11target_archE4294967295ELNS1_3gpuE0ELNS1_3repE0EEENS1_30default_config_static_selectorELNS0_4arch9wavefront6targetE1EEEvT1_,comdat
.Lfunc_end164:
	.size	_ZN7rocprim17ROCPRIM_400000_NS6detail17trampoline_kernelINS0_14default_configENS1_25partition_config_selectorILNS1_17partition_subalgoE3EsNS0_10empty_typeEbEEZZNS1_14partition_implILS5_3ELb0ES3_jN6thrust23THRUST_200600_302600_NS6detail15normal_iteratorINSA_7pointerIsNSA_11hip_rocprim3tagENSA_11use_defaultESG_EEEEPS6_SJ_NS0_5tupleIJPsSJ_EEENSK_IJSJ_SJ_EEES6_PlJ7is_evenIsEEEE10hipError_tPvRmT3_T4_T5_T6_T7_T9_mT8_P12ihipStream_tbDpT10_ENKUlT_T0_E_clISt17integral_constantIbLb0EES19_IbLb1EEEEDaS15_S16_EUlS15_E_NS1_11comp_targetILNS1_3genE0ELNS1_11target_archE4294967295ELNS1_3gpuE0ELNS1_3repE0EEENS1_30default_config_static_selectorELNS0_4arch9wavefront6targetE1EEEvT1_, .Lfunc_end164-_ZN7rocprim17ROCPRIM_400000_NS6detail17trampoline_kernelINS0_14default_configENS1_25partition_config_selectorILNS1_17partition_subalgoE3EsNS0_10empty_typeEbEEZZNS1_14partition_implILS5_3ELb0ES3_jN6thrust23THRUST_200600_302600_NS6detail15normal_iteratorINSA_7pointerIsNSA_11hip_rocprim3tagENSA_11use_defaultESG_EEEEPS6_SJ_NS0_5tupleIJPsSJ_EEENSK_IJSJ_SJ_EEES6_PlJ7is_evenIsEEEE10hipError_tPvRmT3_T4_T5_T6_T7_T9_mT8_P12ihipStream_tbDpT10_ENKUlT_T0_E_clISt17integral_constantIbLb0EES19_IbLb1EEEEDaS15_S16_EUlS15_E_NS1_11comp_targetILNS1_3genE0ELNS1_11target_archE4294967295ELNS1_3gpuE0ELNS1_3repE0EEENS1_30default_config_static_selectorELNS0_4arch9wavefront6targetE1EEEvT1_
                                        ; -- End function
	.section	.AMDGPU.csdata,"",@progbits
; Kernel info:
; codeLenInByte = 0
; NumSgprs: 4
; NumVgprs: 0
; NumAgprs: 0
; TotalNumVgprs: 0
; ScratchSize: 0
; MemoryBound: 0
; FloatMode: 240
; IeeeMode: 1
; LDSByteSize: 0 bytes/workgroup (compile time only)
; SGPRBlocks: 0
; VGPRBlocks: 0
; NumSGPRsForWavesPerEU: 4
; NumVGPRsForWavesPerEU: 1
; AccumOffset: 4
; Occupancy: 8
; WaveLimiterHint : 0
; COMPUTE_PGM_RSRC2:SCRATCH_EN: 0
; COMPUTE_PGM_RSRC2:USER_SGPR: 6
; COMPUTE_PGM_RSRC2:TRAP_HANDLER: 0
; COMPUTE_PGM_RSRC2:TGID_X_EN: 1
; COMPUTE_PGM_RSRC2:TGID_Y_EN: 0
; COMPUTE_PGM_RSRC2:TGID_Z_EN: 0
; COMPUTE_PGM_RSRC2:TIDIG_COMP_CNT: 0
; COMPUTE_PGM_RSRC3_GFX90A:ACCUM_OFFSET: 0
; COMPUTE_PGM_RSRC3_GFX90A:TG_SPLIT: 0
	.section	.text._ZN7rocprim17ROCPRIM_400000_NS6detail17trampoline_kernelINS0_14default_configENS1_25partition_config_selectorILNS1_17partition_subalgoE3EsNS0_10empty_typeEbEEZZNS1_14partition_implILS5_3ELb0ES3_jN6thrust23THRUST_200600_302600_NS6detail15normal_iteratorINSA_7pointerIsNSA_11hip_rocprim3tagENSA_11use_defaultESG_EEEEPS6_SJ_NS0_5tupleIJPsSJ_EEENSK_IJSJ_SJ_EEES6_PlJ7is_evenIsEEEE10hipError_tPvRmT3_T4_T5_T6_T7_T9_mT8_P12ihipStream_tbDpT10_ENKUlT_T0_E_clISt17integral_constantIbLb0EES19_IbLb1EEEEDaS15_S16_EUlS15_E_NS1_11comp_targetILNS1_3genE5ELNS1_11target_archE942ELNS1_3gpuE9ELNS1_3repE0EEENS1_30default_config_static_selectorELNS0_4arch9wavefront6targetE1EEEvT1_,"axG",@progbits,_ZN7rocprim17ROCPRIM_400000_NS6detail17trampoline_kernelINS0_14default_configENS1_25partition_config_selectorILNS1_17partition_subalgoE3EsNS0_10empty_typeEbEEZZNS1_14partition_implILS5_3ELb0ES3_jN6thrust23THRUST_200600_302600_NS6detail15normal_iteratorINSA_7pointerIsNSA_11hip_rocprim3tagENSA_11use_defaultESG_EEEEPS6_SJ_NS0_5tupleIJPsSJ_EEENSK_IJSJ_SJ_EEES6_PlJ7is_evenIsEEEE10hipError_tPvRmT3_T4_T5_T6_T7_T9_mT8_P12ihipStream_tbDpT10_ENKUlT_T0_E_clISt17integral_constantIbLb0EES19_IbLb1EEEEDaS15_S16_EUlS15_E_NS1_11comp_targetILNS1_3genE5ELNS1_11target_archE942ELNS1_3gpuE9ELNS1_3repE0EEENS1_30default_config_static_selectorELNS0_4arch9wavefront6targetE1EEEvT1_,comdat
	.protected	_ZN7rocprim17ROCPRIM_400000_NS6detail17trampoline_kernelINS0_14default_configENS1_25partition_config_selectorILNS1_17partition_subalgoE3EsNS0_10empty_typeEbEEZZNS1_14partition_implILS5_3ELb0ES3_jN6thrust23THRUST_200600_302600_NS6detail15normal_iteratorINSA_7pointerIsNSA_11hip_rocprim3tagENSA_11use_defaultESG_EEEEPS6_SJ_NS0_5tupleIJPsSJ_EEENSK_IJSJ_SJ_EEES6_PlJ7is_evenIsEEEE10hipError_tPvRmT3_T4_T5_T6_T7_T9_mT8_P12ihipStream_tbDpT10_ENKUlT_T0_E_clISt17integral_constantIbLb0EES19_IbLb1EEEEDaS15_S16_EUlS15_E_NS1_11comp_targetILNS1_3genE5ELNS1_11target_archE942ELNS1_3gpuE9ELNS1_3repE0EEENS1_30default_config_static_selectorELNS0_4arch9wavefront6targetE1EEEvT1_ ; -- Begin function _ZN7rocprim17ROCPRIM_400000_NS6detail17trampoline_kernelINS0_14default_configENS1_25partition_config_selectorILNS1_17partition_subalgoE3EsNS0_10empty_typeEbEEZZNS1_14partition_implILS5_3ELb0ES3_jN6thrust23THRUST_200600_302600_NS6detail15normal_iteratorINSA_7pointerIsNSA_11hip_rocprim3tagENSA_11use_defaultESG_EEEEPS6_SJ_NS0_5tupleIJPsSJ_EEENSK_IJSJ_SJ_EEES6_PlJ7is_evenIsEEEE10hipError_tPvRmT3_T4_T5_T6_T7_T9_mT8_P12ihipStream_tbDpT10_ENKUlT_T0_E_clISt17integral_constantIbLb0EES19_IbLb1EEEEDaS15_S16_EUlS15_E_NS1_11comp_targetILNS1_3genE5ELNS1_11target_archE942ELNS1_3gpuE9ELNS1_3repE0EEENS1_30default_config_static_selectorELNS0_4arch9wavefront6targetE1EEEvT1_
	.globl	_ZN7rocprim17ROCPRIM_400000_NS6detail17trampoline_kernelINS0_14default_configENS1_25partition_config_selectorILNS1_17partition_subalgoE3EsNS0_10empty_typeEbEEZZNS1_14partition_implILS5_3ELb0ES3_jN6thrust23THRUST_200600_302600_NS6detail15normal_iteratorINSA_7pointerIsNSA_11hip_rocprim3tagENSA_11use_defaultESG_EEEEPS6_SJ_NS0_5tupleIJPsSJ_EEENSK_IJSJ_SJ_EEES6_PlJ7is_evenIsEEEE10hipError_tPvRmT3_T4_T5_T6_T7_T9_mT8_P12ihipStream_tbDpT10_ENKUlT_T0_E_clISt17integral_constantIbLb0EES19_IbLb1EEEEDaS15_S16_EUlS15_E_NS1_11comp_targetILNS1_3genE5ELNS1_11target_archE942ELNS1_3gpuE9ELNS1_3repE0EEENS1_30default_config_static_selectorELNS0_4arch9wavefront6targetE1EEEvT1_
	.p2align	8
	.type	_ZN7rocprim17ROCPRIM_400000_NS6detail17trampoline_kernelINS0_14default_configENS1_25partition_config_selectorILNS1_17partition_subalgoE3EsNS0_10empty_typeEbEEZZNS1_14partition_implILS5_3ELb0ES3_jN6thrust23THRUST_200600_302600_NS6detail15normal_iteratorINSA_7pointerIsNSA_11hip_rocprim3tagENSA_11use_defaultESG_EEEEPS6_SJ_NS0_5tupleIJPsSJ_EEENSK_IJSJ_SJ_EEES6_PlJ7is_evenIsEEEE10hipError_tPvRmT3_T4_T5_T6_T7_T9_mT8_P12ihipStream_tbDpT10_ENKUlT_T0_E_clISt17integral_constantIbLb0EES19_IbLb1EEEEDaS15_S16_EUlS15_E_NS1_11comp_targetILNS1_3genE5ELNS1_11target_archE942ELNS1_3gpuE9ELNS1_3repE0EEENS1_30default_config_static_selectorELNS0_4arch9wavefront6targetE1EEEvT1_,@function
_ZN7rocprim17ROCPRIM_400000_NS6detail17trampoline_kernelINS0_14default_configENS1_25partition_config_selectorILNS1_17partition_subalgoE3EsNS0_10empty_typeEbEEZZNS1_14partition_implILS5_3ELb0ES3_jN6thrust23THRUST_200600_302600_NS6detail15normal_iteratorINSA_7pointerIsNSA_11hip_rocprim3tagENSA_11use_defaultESG_EEEEPS6_SJ_NS0_5tupleIJPsSJ_EEENSK_IJSJ_SJ_EEES6_PlJ7is_evenIsEEEE10hipError_tPvRmT3_T4_T5_T6_T7_T9_mT8_P12ihipStream_tbDpT10_ENKUlT_T0_E_clISt17integral_constantIbLb0EES19_IbLb1EEEEDaS15_S16_EUlS15_E_NS1_11comp_targetILNS1_3genE5ELNS1_11target_archE942ELNS1_3gpuE9ELNS1_3repE0EEENS1_30default_config_static_selectorELNS0_4arch9wavefront6targetE1EEEvT1_: ; @_ZN7rocprim17ROCPRIM_400000_NS6detail17trampoline_kernelINS0_14default_configENS1_25partition_config_selectorILNS1_17partition_subalgoE3EsNS0_10empty_typeEbEEZZNS1_14partition_implILS5_3ELb0ES3_jN6thrust23THRUST_200600_302600_NS6detail15normal_iteratorINSA_7pointerIsNSA_11hip_rocprim3tagENSA_11use_defaultESG_EEEEPS6_SJ_NS0_5tupleIJPsSJ_EEENSK_IJSJ_SJ_EEES6_PlJ7is_evenIsEEEE10hipError_tPvRmT3_T4_T5_T6_T7_T9_mT8_P12ihipStream_tbDpT10_ENKUlT_T0_E_clISt17integral_constantIbLb0EES19_IbLb1EEEEDaS15_S16_EUlS15_E_NS1_11comp_targetILNS1_3genE5ELNS1_11target_archE942ELNS1_3gpuE9ELNS1_3repE0EEENS1_30default_config_static_selectorELNS0_4arch9wavefront6targetE1EEEvT1_
; %bb.0:
	.section	.rodata,"a",@progbits
	.p2align	6, 0x0
	.amdhsa_kernel _ZN7rocprim17ROCPRIM_400000_NS6detail17trampoline_kernelINS0_14default_configENS1_25partition_config_selectorILNS1_17partition_subalgoE3EsNS0_10empty_typeEbEEZZNS1_14partition_implILS5_3ELb0ES3_jN6thrust23THRUST_200600_302600_NS6detail15normal_iteratorINSA_7pointerIsNSA_11hip_rocprim3tagENSA_11use_defaultESG_EEEEPS6_SJ_NS0_5tupleIJPsSJ_EEENSK_IJSJ_SJ_EEES6_PlJ7is_evenIsEEEE10hipError_tPvRmT3_T4_T5_T6_T7_T9_mT8_P12ihipStream_tbDpT10_ENKUlT_T0_E_clISt17integral_constantIbLb0EES19_IbLb1EEEEDaS15_S16_EUlS15_E_NS1_11comp_targetILNS1_3genE5ELNS1_11target_archE942ELNS1_3gpuE9ELNS1_3repE0EEENS1_30default_config_static_selectorELNS0_4arch9wavefront6targetE1EEEvT1_
		.amdhsa_group_segment_fixed_size 0
		.amdhsa_private_segment_fixed_size 0
		.amdhsa_kernarg_size 136
		.amdhsa_user_sgpr_count 6
		.amdhsa_user_sgpr_private_segment_buffer 1
		.amdhsa_user_sgpr_dispatch_ptr 0
		.amdhsa_user_sgpr_queue_ptr 0
		.amdhsa_user_sgpr_kernarg_segment_ptr 1
		.amdhsa_user_sgpr_dispatch_id 0
		.amdhsa_user_sgpr_flat_scratch_init 0
		.amdhsa_user_sgpr_kernarg_preload_length 0
		.amdhsa_user_sgpr_kernarg_preload_offset 0
		.amdhsa_user_sgpr_private_segment_size 0
		.amdhsa_uses_dynamic_stack 0
		.amdhsa_system_sgpr_private_segment_wavefront_offset 0
		.amdhsa_system_sgpr_workgroup_id_x 1
		.amdhsa_system_sgpr_workgroup_id_y 0
		.amdhsa_system_sgpr_workgroup_id_z 0
		.amdhsa_system_sgpr_workgroup_info 0
		.amdhsa_system_vgpr_workitem_id 0
		.amdhsa_next_free_vgpr 1
		.amdhsa_next_free_sgpr 0
		.amdhsa_accum_offset 4
		.amdhsa_reserve_vcc 0
		.amdhsa_reserve_flat_scratch 0
		.amdhsa_float_round_mode_32 0
		.amdhsa_float_round_mode_16_64 0
		.amdhsa_float_denorm_mode_32 3
		.amdhsa_float_denorm_mode_16_64 3
		.amdhsa_dx10_clamp 1
		.amdhsa_ieee_mode 1
		.amdhsa_fp16_overflow 0
		.amdhsa_tg_split 0
		.amdhsa_exception_fp_ieee_invalid_op 0
		.amdhsa_exception_fp_denorm_src 0
		.amdhsa_exception_fp_ieee_div_zero 0
		.amdhsa_exception_fp_ieee_overflow 0
		.amdhsa_exception_fp_ieee_underflow 0
		.amdhsa_exception_fp_ieee_inexact 0
		.amdhsa_exception_int_div_zero 0
	.end_amdhsa_kernel
	.section	.text._ZN7rocprim17ROCPRIM_400000_NS6detail17trampoline_kernelINS0_14default_configENS1_25partition_config_selectorILNS1_17partition_subalgoE3EsNS0_10empty_typeEbEEZZNS1_14partition_implILS5_3ELb0ES3_jN6thrust23THRUST_200600_302600_NS6detail15normal_iteratorINSA_7pointerIsNSA_11hip_rocprim3tagENSA_11use_defaultESG_EEEEPS6_SJ_NS0_5tupleIJPsSJ_EEENSK_IJSJ_SJ_EEES6_PlJ7is_evenIsEEEE10hipError_tPvRmT3_T4_T5_T6_T7_T9_mT8_P12ihipStream_tbDpT10_ENKUlT_T0_E_clISt17integral_constantIbLb0EES19_IbLb1EEEEDaS15_S16_EUlS15_E_NS1_11comp_targetILNS1_3genE5ELNS1_11target_archE942ELNS1_3gpuE9ELNS1_3repE0EEENS1_30default_config_static_selectorELNS0_4arch9wavefront6targetE1EEEvT1_,"axG",@progbits,_ZN7rocprim17ROCPRIM_400000_NS6detail17trampoline_kernelINS0_14default_configENS1_25partition_config_selectorILNS1_17partition_subalgoE3EsNS0_10empty_typeEbEEZZNS1_14partition_implILS5_3ELb0ES3_jN6thrust23THRUST_200600_302600_NS6detail15normal_iteratorINSA_7pointerIsNSA_11hip_rocprim3tagENSA_11use_defaultESG_EEEEPS6_SJ_NS0_5tupleIJPsSJ_EEENSK_IJSJ_SJ_EEES6_PlJ7is_evenIsEEEE10hipError_tPvRmT3_T4_T5_T6_T7_T9_mT8_P12ihipStream_tbDpT10_ENKUlT_T0_E_clISt17integral_constantIbLb0EES19_IbLb1EEEEDaS15_S16_EUlS15_E_NS1_11comp_targetILNS1_3genE5ELNS1_11target_archE942ELNS1_3gpuE9ELNS1_3repE0EEENS1_30default_config_static_selectorELNS0_4arch9wavefront6targetE1EEEvT1_,comdat
.Lfunc_end165:
	.size	_ZN7rocprim17ROCPRIM_400000_NS6detail17trampoline_kernelINS0_14default_configENS1_25partition_config_selectorILNS1_17partition_subalgoE3EsNS0_10empty_typeEbEEZZNS1_14partition_implILS5_3ELb0ES3_jN6thrust23THRUST_200600_302600_NS6detail15normal_iteratorINSA_7pointerIsNSA_11hip_rocprim3tagENSA_11use_defaultESG_EEEEPS6_SJ_NS0_5tupleIJPsSJ_EEENSK_IJSJ_SJ_EEES6_PlJ7is_evenIsEEEE10hipError_tPvRmT3_T4_T5_T6_T7_T9_mT8_P12ihipStream_tbDpT10_ENKUlT_T0_E_clISt17integral_constantIbLb0EES19_IbLb1EEEEDaS15_S16_EUlS15_E_NS1_11comp_targetILNS1_3genE5ELNS1_11target_archE942ELNS1_3gpuE9ELNS1_3repE0EEENS1_30default_config_static_selectorELNS0_4arch9wavefront6targetE1EEEvT1_, .Lfunc_end165-_ZN7rocprim17ROCPRIM_400000_NS6detail17trampoline_kernelINS0_14default_configENS1_25partition_config_selectorILNS1_17partition_subalgoE3EsNS0_10empty_typeEbEEZZNS1_14partition_implILS5_3ELb0ES3_jN6thrust23THRUST_200600_302600_NS6detail15normal_iteratorINSA_7pointerIsNSA_11hip_rocprim3tagENSA_11use_defaultESG_EEEEPS6_SJ_NS0_5tupleIJPsSJ_EEENSK_IJSJ_SJ_EEES6_PlJ7is_evenIsEEEE10hipError_tPvRmT3_T4_T5_T6_T7_T9_mT8_P12ihipStream_tbDpT10_ENKUlT_T0_E_clISt17integral_constantIbLb0EES19_IbLb1EEEEDaS15_S16_EUlS15_E_NS1_11comp_targetILNS1_3genE5ELNS1_11target_archE942ELNS1_3gpuE9ELNS1_3repE0EEENS1_30default_config_static_selectorELNS0_4arch9wavefront6targetE1EEEvT1_
                                        ; -- End function
	.section	.AMDGPU.csdata,"",@progbits
; Kernel info:
; codeLenInByte = 0
; NumSgprs: 4
; NumVgprs: 0
; NumAgprs: 0
; TotalNumVgprs: 0
; ScratchSize: 0
; MemoryBound: 0
; FloatMode: 240
; IeeeMode: 1
; LDSByteSize: 0 bytes/workgroup (compile time only)
; SGPRBlocks: 0
; VGPRBlocks: 0
; NumSGPRsForWavesPerEU: 4
; NumVGPRsForWavesPerEU: 1
; AccumOffset: 4
; Occupancy: 8
; WaveLimiterHint : 0
; COMPUTE_PGM_RSRC2:SCRATCH_EN: 0
; COMPUTE_PGM_RSRC2:USER_SGPR: 6
; COMPUTE_PGM_RSRC2:TRAP_HANDLER: 0
; COMPUTE_PGM_RSRC2:TGID_X_EN: 1
; COMPUTE_PGM_RSRC2:TGID_Y_EN: 0
; COMPUTE_PGM_RSRC2:TGID_Z_EN: 0
; COMPUTE_PGM_RSRC2:TIDIG_COMP_CNT: 0
; COMPUTE_PGM_RSRC3_GFX90A:ACCUM_OFFSET: 0
; COMPUTE_PGM_RSRC3_GFX90A:TG_SPLIT: 0
	.section	.text._ZN7rocprim17ROCPRIM_400000_NS6detail17trampoline_kernelINS0_14default_configENS1_25partition_config_selectorILNS1_17partition_subalgoE3EsNS0_10empty_typeEbEEZZNS1_14partition_implILS5_3ELb0ES3_jN6thrust23THRUST_200600_302600_NS6detail15normal_iteratorINSA_7pointerIsNSA_11hip_rocprim3tagENSA_11use_defaultESG_EEEEPS6_SJ_NS0_5tupleIJPsSJ_EEENSK_IJSJ_SJ_EEES6_PlJ7is_evenIsEEEE10hipError_tPvRmT3_T4_T5_T6_T7_T9_mT8_P12ihipStream_tbDpT10_ENKUlT_T0_E_clISt17integral_constantIbLb0EES19_IbLb1EEEEDaS15_S16_EUlS15_E_NS1_11comp_targetILNS1_3genE4ELNS1_11target_archE910ELNS1_3gpuE8ELNS1_3repE0EEENS1_30default_config_static_selectorELNS0_4arch9wavefront6targetE1EEEvT1_,"axG",@progbits,_ZN7rocprim17ROCPRIM_400000_NS6detail17trampoline_kernelINS0_14default_configENS1_25partition_config_selectorILNS1_17partition_subalgoE3EsNS0_10empty_typeEbEEZZNS1_14partition_implILS5_3ELb0ES3_jN6thrust23THRUST_200600_302600_NS6detail15normal_iteratorINSA_7pointerIsNSA_11hip_rocprim3tagENSA_11use_defaultESG_EEEEPS6_SJ_NS0_5tupleIJPsSJ_EEENSK_IJSJ_SJ_EEES6_PlJ7is_evenIsEEEE10hipError_tPvRmT3_T4_T5_T6_T7_T9_mT8_P12ihipStream_tbDpT10_ENKUlT_T0_E_clISt17integral_constantIbLb0EES19_IbLb1EEEEDaS15_S16_EUlS15_E_NS1_11comp_targetILNS1_3genE4ELNS1_11target_archE910ELNS1_3gpuE8ELNS1_3repE0EEENS1_30default_config_static_selectorELNS0_4arch9wavefront6targetE1EEEvT1_,comdat
	.protected	_ZN7rocprim17ROCPRIM_400000_NS6detail17trampoline_kernelINS0_14default_configENS1_25partition_config_selectorILNS1_17partition_subalgoE3EsNS0_10empty_typeEbEEZZNS1_14partition_implILS5_3ELb0ES3_jN6thrust23THRUST_200600_302600_NS6detail15normal_iteratorINSA_7pointerIsNSA_11hip_rocprim3tagENSA_11use_defaultESG_EEEEPS6_SJ_NS0_5tupleIJPsSJ_EEENSK_IJSJ_SJ_EEES6_PlJ7is_evenIsEEEE10hipError_tPvRmT3_T4_T5_T6_T7_T9_mT8_P12ihipStream_tbDpT10_ENKUlT_T0_E_clISt17integral_constantIbLb0EES19_IbLb1EEEEDaS15_S16_EUlS15_E_NS1_11comp_targetILNS1_3genE4ELNS1_11target_archE910ELNS1_3gpuE8ELNS1_3repE0EEENS1_30default_config_static_selectorELNS0_4arch9wavefront6targetE1EEEvT1_ ; -- Begin function _ZN7rocprim17ROCPRIM_400000_NS6detail17trampoline_kernelINS0_14default_configENS1_25partition_config_selectorILNS1_17partition_subalgoE3EsNS0_10empty_typeEbEEZZNS1_14partition_implILS5_3ELb0ES3_jN6thrust23THRUST_200600_302600_NS6detail15normal_iteratorINSA_7pointerIsNSA_11hip_rocprim3tagENSA_11use_defaultESG_EEEEPS6_SJ_NS0_5tupleIJPsSJ_EEENSK_IJSJ_SJ_EEES6_PlJ7is_evenIsEEEE10hipError_tPvRmT3_T4_T5_T6_T7_T9_mT8_P12ihipStream_tbDpT10_ENKUlT_T0_E_clISt17integral_constantIbLb0EES19_IbLb1EEEEDaS15_S16_EUlS15_E_NS1_11comp_targetILNS1_3genE4ELNS1_11target_archE910ELNS1_3gpuE8ELNS1_3repE0EEENS1_30default_config_static_selectorELNS0_4arch9wavefront6targetE1EEEvT1_
	.globl	_ZN7rocprim17ROCPRIM_400000_NS6detail17trampoline_kernelINS0_14default_configENS1_25partition_config_selectorILNS1_17partition_subalgoE3EsNS0_10empty_typeEbEEZZNS1_14partition_implILS5_3ELb0ES3_jN6thrust23THRUST_200600_302600_NS6detail15normal_iteratorINSA_7pointerIsNSA_11hip_rocprim3tagENSA_11use_defaultESG_EEEEPS6_SJ_NS0_5tupleIJPsSJ_EEENSK_IJSJ_SJ_EEES6_PlJ7is_evenIsEEEE10hipError_tPvRmT3_T4_T5_T6_T7_T9_mT8_P12ihipStream_tbDpT10_ENKUlT_T0_E_clISt17integral_constantIbLb0EES19_IbLb1EEEEDaS15_S16_EUlS15_E_NS1_11comp_targetILNS1_3genE4ELNS1_11target_archE910ELNS1_3gpuE8ELNS1_3repE0EEENS1_30default_config_static_selectorELNS0_4arch9wavefront6targetE1EEEvT1_
	.p2align	8
	.type	_ZN7rocprim17ROCPRIM_400000_NS6detail17trampoline_kernelINS0_14default_configENS1_25partition_config_selectorILNS1_17partition_subalgoE3EsNS0_10empty_typeEbEEZZNS1_14partition_implILS5_3ELb0ES3_jN6thrust23THRUST_200600_302600_NS6detail15normal_iteratorINSA_7pointerIsNSA_11hip_rocprim3tagENSA_11use_defaultESG_EEEEPS6_SJ_NS0_5tupleIJPsSJ_EEENSK_IJSJ_SJ_EEES6_PlJ7is_evenIsEEEE10hipError_tPvRmT3_T4_T5_T6_T7_T9_mT8_P12ihipStream_tbDpT10_ENKUlT_T0_E_clISt17integral_constantIbLb0EES19_IbLb1EEEEDaS15_S16_EUlS15_E_NS1_11comp_targetILNS1_3genE4ELNS1_11target_archE910ELNS1_3gpuE8ELNS1_3repE0EEENS1_30default_config_static_selectorELNS0_4arch9wavefront6targetE1EEEvT1_,@function
_ZN7rocprim17ROCPRIM_400000_NS6detail17trampoline_kernelINS0_14default_configENS1_25partition_config_selectorILNS1_17partition_subalgoE3EsNS0_10empty_typeEbEEZZNS1_14partition_implILS5_3ELb0ES3_jN6thrust23THRUST_200600_302600_NS6detail15normal_iteratorINSA_7pointerIsNSA_11hip_rocprim3tagENSA_11use_defaultESG_EEEEPS6_SJ_NS0_5tupleIJPsSJ_EEENSK_IJSJ_SJ_EEES6_PlJ7is_evenIsEEEE10hipError_tPvRmT3_T4_T5_T6_T7_T9_mT8_P12ihipStream_tbDpT10_ENKUlT_T0_E_clISt17integral_constantIbLb0EES19_IbLb1EEEEDaS15_S16_EUlS15_E_NS1_11comp_targetILNS1_3genE4ELNS1_11target_archE910ELNS1_3gpuE8ELNS1_3repE0EEENS1_30default_config_static_selectorELNS0_4arch9wavefront6targetE1EEEvT1_: ; @_ZN7rocprim17ROCPRIM_400000_NS6detail17trampoline_kernelINS0_14default_configENS1_25partition_config_selectorILNS1_17partition_subalgoE3EsNS0_10empty_typeEbEEZZNS1_14partition_implILS5_3ELb0ES3_jN6thrust23THRUST_200600_302600_NS6detail15normal_iteratorINSA_7pointerIsNSA_11hip_rocprim3tagENSA_11use_defaultESG_EEEEPS6_SJ_NS0_5tupleIJPsSJ_EEENSK_IJSJ_SJ_EEES6_PlJ7is_evenIsEEEE10hipError_tPvRmT3_T4_T5_T6_T7_T9_mT8_P12ihipStream_tbDpT10_ENKUlT_T0_E_clISt17integral_constantIbLb0EES19_IbLb1EEEEDaS15_S16_EUlS15_E_NS1_11comp_targetILNS1_3genE4ELNS1_11target_archE910ELNS1_3gpuE8ELNS1_3repE0EEENS1_30default_config_static_selectorELNS0_4arch9wavefront6targetE1EEEvT1_
; %bb.0:
	s_load_dwordx2 s[28:29], s[4:5], 0x28
	s_load_dwordx4 s[20:23], s[4:5], 0x48
	s_load_dwordx2 s[30:31], s[4:5], 0x58
	s_load_dwordx2 s[34:35], s[4:5], 0x68
	v_cmp_eq_u32_e64 s[0:1], 0, v0
	s_and_saveexec_b64 s[2:3], s[0:1]
	s_cbranch_execz .LBB166_4
; %bb.1:
	s_mov_b64 s[8:9], exec
	v_mbcnt_lo_u32_b32 v1, s8, 0
	v_mbcnt_hi_u32_b32 v1, s9, v1
	v_cmp_eq_u32_e32 vcc, 0, v1
                                        ; implicit-def: $vgpr2
	s_and_saveexec_b64 s[6:7], vcc
	s_cbranch_execz .LBB166_3
; %bb.2:
	s_load_dwordx2 s[10:11], s[4:5], 0x78
	s_bcnt1_i32_b64 s8, s[8:9]
	v_mov_b32_e32 v2, 0
	v_mov_b32_e32 v3, s8
	s_waitcnt lgkmcnt(0)
	global_atomic_add v2, v2, v3, s[10:11] glc
.LBB166_3:
	s_or_b64 exec, exec, s[6:7]
	s_waitcnt vmcnt(0)
	v_readfirstlane_b32 s6, v2
	v_add_u32_e32 v1, s6, v1
	v_mov_b32_e32 v2, 0
	ds_write_b32 v2, v1
.LBB166_4:
	s_or_b64 exec, exec, s[2:3]
	v_mov_b32_e32 v13, 0
	s_load_dwordx4 s[24:27], s[4:5], 0x8
	s_load_dword s2, s[4:5], 0x70
	s_waitcnt lgkmcnt(0)
	s_barrier
	ds_read_b32 v1, v13
	s_waitcnt lgkmcnt(0)
	s_barrier
	global_load_dwordx2 v[14:15], v13, s[22:23]
	s_lshl_b64 s[4:5], s[26:27], 1
	s_add_u32 s6, s24, s4
	s_addc_u32 s7, s25, s5
	s_movk_i32 s3, 0x1400
	s_add_i32 s4, s2, -1
	s_mulk_i32 s2, 0x1400
	v_mul_lo_u32 v12, v1, s3
	s_add_i32 s3, s2, s26
	s_sub_i32 s33, s30, s3
	s_addk_i32 s33, 0x1400
	s_add_u32 s2, s26, s2
	v_readfirstlane_b32 s40, v1
	s_addc_u32 s3, s27, 0
	s_cmp_eq_u32 s40, s4
	v_pk_mov_b32 v[2:3], s[30:31], s[30:31] op_sel:[0,1]
	s_cselect_b64 s[22:23], -1, 0
	s_cmp_lg_u32 s40, s4
	v_cmp_lt_u64_e32 vcc, s[2:3], v[2:3]
	s_cselect_b64 s[2:3], -1, 0
	v_lshlrev_b64 v[2:3], 1, v[12:13]
	s_or_b64 s[4:5], vcc, s[2:3]
	v_mov_b32_e32 v1, s7
	v_add_co_u32_e32 v2, vcc, s6, v2
	v_addc_co_u32_e32 v3, vcc, v1, v3, vcc
	s_mov_b64 s[2:3], -1
	s_and_b64 vcc, exec, s[4:5]
	v_lshlrev_b32_e32 v1, 1, v0
	s_cbranch_vccz .LBB166_6
; %bb.5:
	v_add_co_u32_e32 v4, vcc, v2, v1
	v_addc_co_u32_e32 v5, vcc, 0, v3, vcc
	v_add_co_u32_e32 v6, vcc, 0x1000, v4
	v_addc_co_u32_e32 v7, vcc, 0, v5, vcc
	flat_load_ushort v8, v[4:5]
	flat_load_ushort v9, v[4:5] offset:512
	flat_load_ushort v10, v[4:5] offset:1024
	;; [unrolled: 1-line block ×7, first 2 shown]
	v_add_co_u32_e32 v4, vcc, 0x2000, v4
	v_addc_co_u32_e32 v5, vcc, 0, v5, vcc
	flat_load_ushort v19, v[6:7]
	flat_load_ushort v20, v[6:7] offset:512
	flat_load_ushort v21, v[6:7] offset:1024
	;; [unrolled: 1-line block ×7, first 2 shown]
	s_nop 0
	flat_load_ushort v6, v[4:5]
	flat_load_ushort v7, v[4:5] offset:512
	flat_load_ushort v27, v[4:5] offset:1024
	;; [unrolled: 1-line block ×3, first 2 shown]
	s_mov_b64 s[2:3], 0
	s_waitcnt vmcnt(0) lgkmcnt(0)
	ds_write_b16 v1, v8
	ds_write_b16 v1, v9 offset:512
	ds_write_b16 v1, v10 offset:1024
	;; [unrolled: 1-line block ×19, first 2 shown]
	s_waitcnt lgkmcnt(0)
	s_barrier
.LBB166_6:
	s_andn2_b64 vcc, exec, s[2:3]
	v_cmp_gt_u32_e64 s[2:3], s33, v0
	s_cbranch_vccnz .LBB166_48
; %bb.7:
                                        ; implicit-def: $vgpr4
	s_and_saveexec_b64 s[6:7], s[2:3]
	s_cbranch_execz .LBB166_9
; %bb.8:
	v_add_co_u32_e32 v4, vcc, v2, v1
	v_addc_co_u32_e32 v5, vcc, 0, v3, vcc
	flat_load_ushort v4, v[4:5]
.LBB166_9:
	s_or_b64 exec, exec, s[6:7]
	v_or_b32_e32 v5, 0x100, v0
	v_cmp_gt_u32_e32 vcc, s33, v5
                                        ; implicit-def: $vgpr5
	s_and_saveexec_b64 s[2:3], vcc
	s_cbranch_execz .LBB166_11
; %bb.10:
	v_add_co_u32_e32 v6, vcc, v2, v1
	v_addc_co_u32_e32 v7, vcc, 0, v3, vcc
	flat_load_ushort v5, v[6:7] offset:512
.LBB166_11:
	s_or_b64 exec, exec, s[2:3]
	v_or_b32_e32 v6, 0x200, v0
	v_cmp_gt_u32_e32 vcc, s33, v6
                                        ; implicit-def: $vgpr6
	s_and_saveexec_b64 s[2:3], vcc
	s_cbranch_execz .LBB166_13
; %bb.12:
	v_add_co_u32_e32 v6, vcc, v2, v1
	v_addc_co_u32_e32 v7, vcc, 0, v3, vcc
	flat_load_ushort v6, v[6:7] offset:1024
.LBB166_13:
	s_or_b64 exec, exec, s[2:3]
	v_or_b32_e32 v7, 0x300, v0
	v_cmp_gt_u32_e32 vcc, s33, v7
                                        ; implicit-def: $vgpr7
	s_and_saveexec_b64 s[2:3], vcc
	s_cbranch_execz .LBB166_15
; %bb.14:
	v_add_co_u32_e32 v8, vcc, v2, v1
	v_addc_co_u32_e32 v9, vcc, 0, v3, vcc
	flat_load_ushort v7, v[8:9] offset:1536
.LBB166_15:
	s_or_b64 exec, exec, s[2:3]
	v_or_b32_e32 v8, 0x400, v0
	v_cmp_gt_u32_e32 vcc, s33, v8
                                        ; implicit-def: $vgpr8
	s_and_saveexec_b64 s[2:3], vcc
	s_cbranch_execz .LBB166_17
; %bb.16:
	v_add_co_u32_e32 v8, vcc, v2, v1
	v_addc_co_u32_e32 v9, vcc, 0, v3, vcc
	flat_load_ushort v8, v[8:9] offset:2048
.LBB166_17:
	s_or_b64 exec, exec, s[2:3]
	v_or_b32_e32 v9, 0x500, v0
	v_cmp_gt_u32_e32 vcc, s33, v9
                                        ; implicit-def: $vgpr9
	s_and_saveexec_b64 s[2:3], vcc
	s_cbranch_execz .LBB166_19
; %bb.18:
	v_add_co_u32_e32 v10, vcc, v2, v1
	v_addc_co_u32_e32 v11, vcc, 0, v3, vcc
	flat_load_ushort v9, v[10:11] offset:2560
.LBB166_19:
	s_or_b64 exec, exec, s[2:3]
	v_or_b32_e32 v10, 0x600, v0
	v_cmp_gt_u32_e32 vcc, s33, v10
                                        ; implicit-def: $vgpr10
	s_and_saveexec_b64 s[2:3], vcc
	s_cbranch_execz .LBB166_21
; %bb.20:
	v_add_co_u32_e32 v10, vcc, v2, v1
	v_addc_co_u32_e32 v11, vcc, 0, v3, vcc
	flat_load_ushort v10, v[10:11] offset:3072
.LBB166_21:
	s_or_b64 exec, exec, s[2:3]
	v_or_b32_e32 v11, 0x700, v0
	v_cmp_gt_u32_e32 vcc, s33, v11
                                        ; implicit-def: $vgpr11
	s_and_saveexec_b64 s[2:3], vcc
	s_cbranch_execz .LBB166_23
; %bb.22:
	v_add_co_u32_e32 v16, vcc, v2, v1
	v_addc_co_u32_e32 v17, vcc, 0, v3, vcc
	flat_load_ushort v11, v[16:17] offset:3584
.LBB166_23:
	s_or_b64 exec, exec, s[2:3]
	v_or_b32_e32 v16, 0x800, v0
	v_cmp_gt_u32_e32 vcc, s33, v16
                                        ; implicit-def: $vgpr13
	s_and_saveexec_b64 s[2:3], vcc
	s_cbranch_execz .LBB166_25
; %bb.24:
	v_lshlrev_b32_e32 v13, 1, v16
	v_add_co_u32_e32 v16, vcc, v2, v13
	v_addc_co_u32_e32 v17, vcc, 0, v3, vcc
	flat_load_ushort v13, v[16:17]
.LBB166_25:
	s_or_b64 exec, exec, s[2:3]
	v_or_b32_e32 v17, 0x900, v0
	v_cmp_gt_u32_e32 vcc, s33, v17
                                        ; implicit-def: $vgpr16
	s_and_saveexec_b64 s[2:3], vcc
	s_cbranch_execz .LBB166_27
; %bb.26:
	v_lshlrev_b32_e32 v16, 1, v17
	v_add_co_u32_e32 v16, vcc, v2, v16
	v_addc_co_u32_e32 v17, vcc, 0, v3, vcc
	flat_load_ushort v16, v[16:17]
.LBB166_27:
	s_or_b64 exec, exec, s[2:3]
	v_or_b32_e32 v18, 0xa00, v0
	v_cmp_gt_u32_e32 vcc, s33, v18
                                        ; implicit-def: $vgpr17
	s_and_saveexec_b64 s[2:3], vcc
	s_cbranch_execz .LBB166_29
; %bb.28:
	v_lshlrev_b32_e32 v17, 1, v18
	v_add_co_u32_e32 v18, vcc, v2, v17
	v_addc_co_u32_e32 v19, vcc, 0, v3, vcc
	flat_load_ushort v17, v[18:19]
.LBB166_29:
	s_or_b64 exec, exec, s[2:3]
	v_or_b32_e32 v19, 0xb00, v0
	v_cmp_gt_u32_e32 vcc, s33, v19
                                        ; implicit-def: $vgpr18
	s_and_saveexec_b64 s[2:3], vcc
	s_cbranch_execz .LBB166_31
; %bb.30:
	v_lshlrev_b32_e32 v18, 1, v19
	v_add_co_u32_e32 v18, vcc, v2, v18
	v_addc_co_u32_e32 v19, vcc, 0, v3, vcc
	flat_load_ushort v18, v[18:19]
.LBB166_31:
	s_or_b64 exec, exec, s[2:3]
	v_or_b32_e32 v20, 0xc00, v0
	v_cmp_gt_u32_e32 vcc, s33, v20
                                        ; implicit-def: $vgpr19
	s_and_saveexec_b64 s[2:3], vcc
	s_cbranch_execz .LBB166_33
; %bb.32:
	v_lshlrev_b32_e32 v19, 1, v20
	v_add_co_u32_e32 v20, vcc, v2, v19
	v_addc_co_u32_e32 v21, vcc, 0, v3, vcc
	flat_load_ushort v19, v[20:21]
.LBB166_33:
	s_or_b64 exec, exec, s[2:3]
	v_or_b32_e32 v21, 0xd00, v0
	v_cmp_gt_u32_e32 vcc, s33, v21
                                        ; implicit-def: $vgpr20
	s_and_saveexec_b64 s[2:3], vcc
	s_cbranch_execz .LBB166_35
; %bb.34:
	v_lshlrev_b32_e32 v20, 1, v21
	v_add_co_u32_e32 v20, vcc, v2, v20
	v_addc_co_u32_e32 v21, vcc, 0, v3, vcc
	flat_load_ushort v20, v[20:21]
.LBB166_35:
	s_or_b64 exec, exec, s[2:3]
	v_or_b32_e32 v22, 0xe00, v0
	v_cmp_gt_u32_e32 vcc, s33, v22
                                        ; implicit-def: $vgpr21
	s_and_saveexec_b64 s[2:3], vcc
	s_cbranch_execz .LBB166_37
; %bb.36:
	v_lshlrev_b32_e32 v21, 1, v22
	v_add_co_u32_e32 v22, vcc, v2, v21
	v_addc_co_u32_e32 v23, vcc, 0, v3, vcc
	flat_load_ushort v21, v[22:23]
.LBB166_37:
	s_or_b64 exec, exec, s[2:3]
	v_or_b32_e32 v23, 0xf00, v0
	v_cmp_gt_u32_e32 vcc, s33, v23
                                        ; implicit-def: $vgpr22
	s_and_saveexec_b64 s[2:3], vcc
	s_cbranch_execz .LBB166_39
; %bb.38:
	v_lshlrev_b32_e32 v22, 1, v23
	v_add_co_u32_e32 v22, vcc, v2, v22
	v_addc_co_u32_e32 v23, vcc, 0, v3, vcc
	flat_load_ushort v22, v[22:23]
.LBB166_39:
	s_or_b64 exec, exec, s[2:3]
	v_or_b32_e32 v24, 0x1000, v0
	v_cmp_gt_u32_e32 vcc, s33, v24
                                        ; implicit-def: $vgpr23
	s_and_saveexec_b64 s[2:3], vcc
	s_cbranch_execz .LBB166_41
; %bb.40:
	v_lshlrev_b32_e32 v23, 1, v24
	v_add_co_u32_e32 v24, vcc, v2, v23
	v_addc_co_u32_e32 v25, vcc, 0, v3, vcc
	flat_load_ushort v23, v[24:25]
.LBB166_41:
	s_or_b64 exec, exec, s[2:3]
	v_or_b32_e32 v25, 0x1100, v0
	v_cmp_gt_u32_e32 vcc, s33, v25
                                        ; implicit-def: $vgpr24
	s_and_saveexec_b64 s[2:3], vcc
	s_cbranch_execz .LBB166_43
; %bb.42:
	v_lshlrev_b32_e32 v24, 1, v25
	v_add_co_u32_e32 v24, vcc, v2, v24
	v_addc_co_u32_e32 v25, vcc, 0, v3, vcc
	flat_load_ushort v24, v[24:25]
.LBB166_43:
	s_or_b64 exec, exec, s[2:3]
	v_or_b32_e32 v26, 0x1200, v0
	v_cmp_gt_u32_e32 vcc, s33, v26
                                        ; implicit-def: $vgpr25
	s_and_saveexec_b64 s[2:3], vcc
	s_cbranch_execz .LBB166_45
; %bb.44:
	v_lshlrev_b32_e32 v25, 1, v26
	v_add_co_u32_e32 v26, vcc, v2, v25
	v_addc_co_u32_e32 v27, vcc, 0, v3, vcc
	flat_load_ushort v25, v[26:27]
.LBB166_45:
	s_or_b64 exec, exec, s[2:3]
	v_or_b32_e32 v27, 0x1300, v0
	v_cmp_gt_u32_e32 vcc, s33, v27
                                        ; implicit-def: $vgpr26
	s_and_saveexec_b64 s[2:3], vcc
	s_cbranch_execz .LBB166_47
; %bb.46:
	v_lshlrev_b32_e32 v26, 1, v27
	v_add_co_u32_e32 v2, vcc, v2, v26
	v_addc_co_u32_e32 v3, vcc, 0, v3, vcc
	flat_load_ushort v26, v[2:3]
.LBB166_47:
	s_or_b64 exec, exec, s[2:3]
	s_waitcnt vmcnt(0) lgkmcnt(0)
	ds_write_b16 v1, v4
	ds_write_b16 v1, v5 offset:512
	ds_write_b16 v1, v6 offset:1024
	;; [unrolled: 1-line block ×19, first 2 shown]
	s_waitcnt lgkmcnt(0)
	s_barrier
.LBB166_48:
	v_mul_u32_u24_e32 v34, 20, v0
	v_lshlrev_b32_e32 v6, 1, v34
	ds_read_b64 v[16:17], v6 offset:32
	ds_read2_b64 v[2:5], v6 offset0:2 offset1:3
	ds_read2_b64 v[6:9], v6 offset1:1
	v_cndmask_b32_e64 v10, 0, 1, s[4:5]
	v_cmp_ne_u32_e64 s[2:3], 1, v10
	s_waitcnt lgkmcnt(2)
	v_lshrrev_b32_e32 v26, 16, v16
	v_lshrrev_b32_e32 v13, 16, v17
	s_waitcnt lgkmcnt(1)
	v_lshrrev_b32_e32 v30, 16, v2
	v_lshrrev_b32_e32 v29, 16, v3
	;; [unrolled: 1-line block ×4, first 2 shown]
	s_waitcnt lgkmcnt(0)
	v_lshrrev_b32_e32 v35, 16, v6
	v_lshrrev_b32_e32 v33, 16, v7
	;; [unrolled: 1-line block ×4, first 2 shown]
	s_andn2_b64 vcc, exec, s[4:5]
	v_xor_b32_e32 v65, -1, v6
	v_xor_b32_e32 v64, -1, v35
	v_xor_b32_e32 v63, -1, v7
	v_xor_b32_e32 v62, -1, v33
	v_xor_b32_e32 v61, -1, v8
	v_xor_b32_e32 v60, -1, v32
	v_xor_b32_e32 v59, -1, v9
	v_xor_b32_e32 v58, -1, v31
	v_xor_b32_e32 v57, -1, v2
	v_xor_b32_e32 v56, -1, v30
	v_xor_b32_e32 v25, -1, v3
	v_xor_b32_e32 v24, -1, v29
	v_xor_b32_e32 v23, -1, v4
	v_xor_b32_e32 v22, -1, v28
	v_xor_b32_e32 v21, -1, v5
	v_xor_b32_e32 v20, -1, v27
	v_xor_b32_e32 v19, -1, v16
	v_xor_b32_e32 v18, -1, v26
	v_xor_b32_e32 v11, -1, v17
	v_xor_b32_e32 v10, -1, v13
	s_barrier
	s_cbranch_vccnz .LBB166_50
; %bb.49:
	v_and_b32_e32 v55, 1, v65
	v_and_b32_e32 v54, 1, v64
	;; [unrolled: 1-line block ×20, first 2 shown]
	s_cbranch_execz .LBB166_51
	s_branch .LBB166_52
.LBB166_50:
                                        ; implicit-def: $vgpr55
                                        ; implicit-def: $vgpr54
                                        ; implicit-def: $vgpr53
                                        ; implicit-def: $vgpr52
                                        ; implicit-def: $vgpr51
                                        ; implicit-def: $vgpr50
                                        ; implicit-def: $vgpr49
                                        ; implicit-def: $vgpr48
                                        ; implicit-def: $vgpr47
                                        ; implicit-def: $vgpr46
                                        ; implicit-def: $vgpr45
                                        ; implicit-def: $vgpr44
                                        ; implicit-def: $vgpr43
                                        ; implicit-def: $vgpr42
                                        ; implicit-def: $vgpr41
                                        ; implicit-def: $vgpr40
                                        ; implicit-def: $vgpr39
                                        ; implicit-def: $vgpr38
                                        ; implicit-def: $vgpr36
                                        ; implicit-def: $vgpr37
.LBB166_51:
	v_or_b32_e32 v45, 1, v34
	v_cmp_gt_u32_e32 vcc, s33, v34
	v_or_b32_e32 v46, 2, v34
	v_cndmask_b32_e64 v50, 0, 1, vcc
	v_cmp_gt_u32_e32 vcc, s33, v45
	v_or_b32_e32 v47, 3, v34
	v_cndmask_b32_e64 v45, 0, 1, vcc
	v_cmp_gt_u32_e32 vcc, s33, v46
	v_add_u32_e32 v48, 4, v34
	v_and_b32_e32 v54, v45, v64
	v_cndmask_b32_e64 v45, 0, 1, vcc
	v_cmp_gt_u32_e32 vcc, s33, v47
	v_add_u32_e32 v49, 5, v34
	v_and_b32_e32 v53, v45, v63
	;; [unrolled: 4-line block ×5, first 2 shown]
	v_and_b32_e32 v50, v45, v60
	v_cndmask_b32_e64 v45, 0, 1, vcc
	v_cmp_gt_u32_e32 vcc, s33, v67
	v_add_u32_e32 v69, 9, v34
	v_and_b32_e32 v49, v45, v59
	v_cndmask_b32_e64 v45, 0, 1, vcc
	v_cmp_gt_u32_e32 vcc, s33, v68
	v_add_u32_e32 v70, 10, v34
	;; [unrolled: 4-line block ×11, first 2 shown]
	v_and_b32_e32 v39, v20, v19
	v_cndmask_b32_e64 v19, 0, 1, vcc
	v_cmp_gt_u32_e32 vcc, s33, v36
	v_and_b32_e32 v38, v19, v18
	v_cndmask_b32_e64 v18, 0, 1, vcc
	v_cmp_gt_u32_e32 vcc, s33, v37
	v_and_b32_e32 v36, v18, v11
	v_cndmask_b32_e64 v11, 0, 1, vcc
	v_and_b32_e32 v37, v11, v10
.LBB166_52:
	v_and_b32_e32 v72, 0xff, v39
	v_and_b32_e32 v73, 0xff, v38
	v_add_u32_sdwa v10, v36, v37 dst_sel:DWORD dst_unused:UNUSED_PAD src0_sel:BYTE_0 src1_sel:BYTE_0
	v_and_b32_e32 v70, 0xff, v41
	v_and_b32_e32 v71, 0xff, v40
	v_add3_u32 v10, v10, v73, v72
	v_and_b32_e32 v68, 0xff, v43
	v_and_b32_e32 v69, 0xff, v42
	v_add3_u32 v10, v10, v71, v70
	;; [unrolled: 3-line block ×8, first 2 shown]
	v_add3_u32 v76, v10, v57, v56
	v_mbcnt_lo_u32_b32 v10, -1, 0
	v_mbcnt_hi_u32_b32 v74, -1, v10
	v_and_b32_e32 v10, 15, v74
	v_cmp_eq_u32_e64 s[16:17], 0, v10
	v_cmp_lt_u32_e64 s[14:15], 1, v10
	v_cmp_lt_u32_e64 s[12:13], 3, v10
	;; [unrolled: 1-line block ×3, first 2 shown]
	v_and_b32_e32 v10, 16, v74
	v_cmp_eq_u32_e64 s[8:9], 0, v10
	v_or_b32_e32 v10, 63, v0
	s_cmp_lg_u32 s40, 0
	v_cmp_lt_u32_e64 s[4:5], 31, v74
	v_lshrrev_b32_e32 v75, 6, v0
	v_cmp_eq_u32_e64 s[6:7], v10, v0
	s_cbranch_scc0 .LBB166_79
; %bb.53:
	v_mov_b32_dpp v10, v76 row_shr:1 row_mask:0xf bank_mask:0xf
	v_cndmask_b32_e64 v10, v10, 0, s[16:17]
	v_add_u32_e32 v10, v10, v76
	s_nop 1
	v_mov_b32_dpp v11, v10 row_shr:2 row_mask:0xf bank_mask:0xf
	v_cndmask_b32_e64 v11, 0, v11, s[14:15]
	v_add_u32_e32 v10, v10, v11
	s_nop 1
	;; [unrolled: 4-line block ×4, first 2 shown]
	v_mov_b32_dpp v11, v10 row_bcast:15 row_mask:0xf bank_mask:0xf
	v_cndmask_b32_e64 v11, v11, 0, s[8:9]
	v_add_u32_e32 v10, v10, v11
	s_nop 1
	v_mov_b32_dpp v11, v10 row_bcast:31 row_mask:0xf bank_mask:0xf
	v_cndmask_b32_e64 v11, 0, v11, s[4:5]
	v_add_u32_e32 v10, v10, v11
	s_and_saveexec_b64 s[18:19], s[6:7]
	s_cbranch_execz .LBB166_55
; %bb.54:
	v_lshlrev_b32_e32 v11, 2, v75
	ds_write_b32 v11, v10
.LBB166_55:
	s_or_b64 exec, exec, s[18:19]
	v_cmp_gt_u32_e32 vcc, 4, v0
	s_waitcnt lgkmcnt(0)
	s_barrier
	s_and_saveexec_b64 s[18:19], vcc
	s_cbranch_execz .LBB166_57
; %bb.56:
	v_lshlrev_b32_e32 v11, 2, v0
	ds_read_b32 v18, v11
	v_and_b32_e32 v19, 3, v74
	v_cmp_ne_u32_e32 vcc, 0, v19
	s_waitcnt lgkmcnt(0)
	v_mov_b32_dpp v20, v18 row_shr:1 row_mask:0xf bank_mask:0xf
	v_cndmask_b32_e32 v20, 0, v20, vcc
	v_add_u32_e32 v18, v20, v18
	v_cmp_lt_u32_e32 vcc, 1, v19
	s_nop 0
	v_mov_b32_dpp v20, v18 row_shr:2 row_mask:0xf bank_mask:0xf
	v_cndmask_b32_e32 v19, 0, v20, vcc
	v_add_u32_e32 v18, v18, v19
	ds_write_b32 v11, v18
.LBB166_57:
	s_or_b64 exec, exec, s[18:19]
	v_cmp_gt_u32_e32 vcc, 64, v0
	v_cmp_lt_u32_e64 s[18:19], 63, v0
	s_waitcnt lgkmcnt(0)
	s_barrier
	s_waitcnt lgkmcnt(0)
                                        ; implicit-def: $vgpr77
	s_and_saveexec_b64 s[24:25], s[18:19]
	s_cbranch_execz .LBB166_59
; %bb.58:
	v_lshl_add_u32 v11, v75, 2, -4
	ds_read_b32 v77, v11
	s_waitcnt lgkmcnt(0)
	v_add_u32_e32 v10, v77, v10
.LBB166_59:
	s_or_b64 exec, exec, s[24:25]
	v_add_u32_e32 v11, -1, v74
	v_and_b32_e32 v18, 64, v74
	v_cmp_lt_i32_e64 s[18:19], v11, v18
	v_cndmask_b32_e64 v11, v11, v74, s[18:19]
	v_lshlrev_b32_e32 v11, 2, v11
	ds_bpermute_b32 v78, v11, v10
	v_cmp_eq_u32_e64 s[18:19], 0, v74
	s_and_saveexec_b64 s[24:25], vcc
	s_cbranch_execz .LBB166_78
; %bb.60:
	v_mov_b32_e32 v23, 0
	ds_read_b32 v10, v23 offset:12
	s_and_saveexec_b64 s[36:37], s[18:19]
	s_cbranch_execz .LBB166_62
; %bb.61:
	s_add_i32 s38, s40, 64
	s_mov_b32 s39, 0
	s_lshl_b64 s[38:39], s[38:39], 3
	s_add_u32 s38, s34, s38
	v_mov_b32_e32 v11, 1
	s_addc_u32 s39, s35, s39
	s_waitcnt lgkmcnt(0)
	global_store_dwordx2 v23, v[10:11], s[38:39]
.LBB166_62:
	s_or_b64 exec, exec, s[36:37]
	v_xad_u32 v18, v74, -1, s40
	v_add_u32_e32 v22, 64, v18
	v_lshlrev_b64 v[20:21], 3, v[22:23]
	v_mov_b32_e32 v11, s35
	v_add_co_u32_e32 v24, vcc, s34, v20
	v_addc_co_u32_e32 v25, vcc, v11, v21, vcc
	global_load_dwordx2 v[20:21], v[24:25], off glc
	s_waitcnt vmcnt(0)
	v_cmp_eq_u16_sdwa s[38:39], v21, v23 src0_sel:BYTE_0 src1_sel:DWORD
	s_and_saveexec_b64 s[36:37], s[38:39]
	s_cbranch_execz .LBB166_66
; %bb.63:
	s_mov_b64 s[38:39], 0
	v_mov_b32_e32 v11, 0
.LBB166_64:                             ; =>This Inner Loop Header: Depth=1
	global_load_dwordx2 v[20:21], v[24:25], off glc
	s_waitcnt vmcnt(0)
	v_cmp_ne_u16_sdwa s[42:43], v21, v11 src0_sel:BYTE_0 src1_sel:DWORD
	s_or_b64 s[38:39], s[42:43], s[38:39]
	s_andn2_b64 exec, exec, s[38:39]
	s_cbranch_execnz .LBB166_64
; %bb.65:
	s_or_b64 exec, exec, s[38:39]
.LBB166_66:
	s_or_b64 exec, exec, s[36:37]
	v_and_b32_e32 v80, 63, v74
	v_mov_b32_e32 v79, 2
	v_cmp_ne_u32_e32 vcc, 63, v80
	v_cmp_eq_u16_sdwa s[36:37], v21, v79 src0_sel:BYTE_0 src1_sel:DWORD
	v_lshlrev_b64 v[22:23], v74, -1
	v_addc_co_u32_e32 v24, vcc, 0, v74, vcc
	v_and_b32_e32 v11, s37, v23
	v_lshlrev_b32_e32 v81, 2, v24
	v_or_b32_e32 v11, 0x80000000, v11
	ds_bpermute_b32 v24, v81, v20
	v_and_b32_e32 v19, s36, v22
	v_ffbl_b32_e32 v11, v11
	v_add_u32_e32 v11, 32, v11
	v_ffbl_b32_e32 v19, v19
	v_min_u32_e32 v11, v19, v11
	v_cmp_lt_u32_e32 vcc, v80, v11
	s_waitcnt lgkmcnt(0)
	v_cndmask_b32_e32 v19, 0, v24, vcc
	v_cmp_gt_u32_e32 vcc, 62, v80
	v_add_u32_e32 v19, v19, v20
	v_cndmask_b32_e64 v20, 0, 1, vcc
	v_lshlrev_b32_e32 v20, 1, v20
	v_add_lshl_u32 v82, v20, v74, 2
	ds_bpermute_b32 v20, v82, v19
	v_add_u32_e32 v83, 2, v80
	v_cmp_le_u32_e32 vcc, v83, v11
	v_add_u32_e32 v85, 4, v80
	v_add_u32_e32 v87, 8, v80
	s_waitcnt lgkmcnt(0)
	v_cndmask_b32_e32 v20, 0, v20, vcc
	v_cmp_gt_u32_e32 vcc, 60, v80
	v_add_u32_e32 v19, v19, v20
	v_cndmask_b32_e64 v20, 0, 1, vcc
	v_lshlrev_b32_e32 v20, 2, v20
	v_add_lshl_u32 v84, v20, v74, 2
	ds_bpermute_b32 v20, v84, v19
	v_cmp_le_u32_e32 vcc, v85, v11
	v_add_u32_e32 v89, 16, v80
	v_add_u32_e32 v91, 32, v80
	s_waitcnt lgkmcnt(0)
	v_cndmask_b32_e32 v20, 0, v20, vcc
	v_cmp_gt_u32_e32 vcc, 56, v80
	v_add_u32_e32 v19, v19, v20
	v_cndmask_b32_e64 v20, 0, 1, vcc
	v_lshlrev_b32_e32 v20, 3, v20
	v_add_lshl_u32 v86, v20, v74, 2
	ds_bpermute_b32 v20, v86, v19
	v_cmp_le_u32_e32 vcc, v87, v11
	s_waitcnt lgkmcnt(0)
	v_cndmask_b32_e32 v20, 0, v20, vcc
	v_cmp_gt_u32_e32 vcc, 48, v80
	v_add_u32_e32 v19, v19, v20
	v_cndmask_b32_e64 v20, 0, 1, vcc
	v_lshlrev_b32_e32 v20, 4, v20
	v_add_lshl_u32 v88, v20, v74, 2
	ds_bpermute_b32 v20, v88, v19
	v_cmp_le_u32_e32 vcc, v89, v11
	;; [unrolled: 9-line block ×3, first 2 shown]
	s_waitcnt lgkmcnt(0)
	v_cndmask_b32_e32 v11, 0, v20, vcc
	v_add_u32_e32 v20, v19, v11
	v_mov_b32_e32 v19, 0
	s_branch .LBB166_68
.LBB166_67:                             ;   in Loop: Header=BB166_68 Depth=1
	s_or_b64 exec, exec, s[36:37]
	v_cmp_eq_u16_sdwa s[36:37], v21, v79 src0_sel:BYTE_0 src1_sel:DWORD
	v_and_b32_e32 v24, s37, v23
	v_or_b32_e32 v24, 0x80000000, v24
	ds_bpermute_b32 v92, v81, v20
	v_and_b32_e32 v25, s36, v22
	v_ffbl_b32_e32 v24, v24
	v_add_u32_e32 v24, 32, v24
	v_ffbl_b32_e32 v25, v25
	v_min_u32_e32 v24, v25, v24
	v_cmp_lt_u32_e32 vcc, v80, v24
	s_waitcnt lgkmcnt(0)
	v_cndmask_b32_e32 v25, 0, v92, vcc
	v_add_u32_e32 v20, v25, v20
	ds_bpermute_b32 v25, v82, v20
	v_cmp_le_u32_e32 vcc, v83, v24
	v_subrev_u32_e32 v18, 64, v18
	s_waitcnt lgkmcnt(0)
	v_cndmask_b32_e32 v25, 0, v25, vcc
	v_add_u32_e32 v20, v20, v25
	ds_bpermute_b32 v25, v84, v20
	v_cmp_le_u32_e32 vcc, v85, v24
	s_waitcnt lgkmcnt(0)
	v_cndmask_b32_e32 v25, 0, v25, vcc
	v_add_u32_e32 v20, v20, v25
	ds_bpermute_b32 v25, v86, v20
	v_cmp_le_u32_e32 vcc, v87, v24
	;; [unrolled: 5-line block ×4, first 2 shown]
	s_waitcnt lgkmcnt(0)
	v_cndmask_b32_e32 v24, 0, v25, vcc
	v_add3_u32 v20, v24, v11, v20
.LBB166_68:                             ; =>This Loop Header: Depth=1
                                        ;     Child Loop BB166_71 Depth 2
	v_cmp_ne_u16_sdwa s[36:37], v21, v79 src0_sel:BYTE_0 src1_sel:DWORD
	v_cndmask_b32_e64 v11, 0, 1, s[36:37]
	;;#ASMSTART
	;;#ASMEND
	v_cmp_ne_u32_e32 vcc, 0, v11
	s_cmp_lg_u64 vcc, exec
	v_mov_b32_e32 v11, v20
	s_cbranch_scc1 .LBB166_73
; %bb.69:                               ;   in Loop: Header=BB166_68 Depth=1
	v_lshlrev_b64 v[20:21], 3, v[18:19]
	v_mov_b32_e32 v25, s35
	v_add_co_u32_e32 v24, vcc, s34, v20
	v_addc_co_u32_e32 v25, vcc, v25, v21, vcc
	global_load_dwordx2 v[20:21], v[24:25], off glc
	s_waitcnt vmcnt(0)
	v_cmp_eq_u16_sdwa s[38:39], v21, v19 src0_sel:BYTE_0 src1_sel:DWORD
	s_and_saveexec_b64 s[36:37], s[38:39]
	s_cbranch_execz .LBB166_67
; %bb.70:                               ;   in Loop: Header=BB166_68 Depth=1
	s_mov_b64 s[38:39], 0
.LBB166_71:                             ;   Parent Loop BB166_68 Depth=1
                                        ; =>  This Inner Loop Header: Depth=2
	global_load_dwordx2 v[20:21], v[24:25], off glc
	s_waitcnt vmcnt(0)
	v_cmp_ne_u16_sdwa s[42:43], v21, v19 src0_sel:BYTE_0 src1_sel:DWORD
	s_or_b64 s[38:39], s[42:43], s[38:39]
	s_andn2_b64 exec, exec, s[38:39]
	s_cbranch_execnz .LBB166_71
; %bb.72:                               ;   in Loop: Header=BB166_68 Depth=1
	s_or_b64 exec, exec, s[38:39]
	s_branch .LBB166_67
.LBB166_73:                             ;   in Loop: Header=BB166_68 Depth=1
                                        ; implicit-def: $vgpr20
                                        ; implicit-def: $vgpr21
	s_cbranch_execz .LBB166_68
; %bb.74:
	s_and_saveexec_b64 s[36:37], s[18:19]
	s_cbranch_execz .LBB166_76
; %bb.75:
	s_add_i32 s38, s40, 64
	s_mov_b32 s39, 0
	s_lshl_b64 s[38:39], s[38:39], 3
	s_add_u32 s38, s34, s38
	v_add_u32_e32 v18, v11, v10
	v_mov_b32_e32 v19, 2
	s_addc_u32 s39, s35, s39
	v_mov_b32_e32 v20, 0
	global_store_dwordx2 v20, v[18:19], s[38:39]
	ds_write_b64 v20, v[10:11] offset:10240
.LBB166_76:
	s_or_b64 exec, exec, s[36:37]
	s_and_b64 exec, exec, s[0:1]
	s_cbranch_execz .LBB166_78
; %bb.77:
	v_mov_b32_e32 v10, 0
	ds_write_b32 v10, v11 offset:12
.LBB166_78:
	s_or_b64 exec, exec, s[24:25]
	v_mov_b32_e32 v10, 0
	s_waitcnt lgkmcnt(0)
	s_barrier
	ds_read_b32 v18, v10 offset:12
	s_waitcnt lgkmcnt(0)
	s_barrier
	ds_read_b64 v[10:11], v10 offset:10240
	v_cndmask_b32_e64 v19, v78, v77, s[18:19]
	v_cndmask_b32_e64 v19, v19, 0, s[0:1]
	v_add_u32_e32 v18, v18, v19
	s_branch .LBB166_89
.LBB166_79:
                                        ; implicit-def: $vgpr11
                                        ; implicit-def: $vgpr18
	s_cbranch_execz .LBB166_89
; %bb.80:
	s_waitcnt lgkmcnt(0)
	v_mov_b32_dpp v10, v76 row_shr:1 row_mask:0xf bank_mask:0xf
	v_cndmask_b32_e64 v10, v10, 0, s[16:17]
	v_add_u32_e32 v10, v10, v76
	s_nop 1
	v_mov_b32_dpp v11, v10 row_shr:2 row_mask:0xf bank_mask:0xf
	v_cndmask_b32_e64 v11, 0, v11, s[14:15]
	v_add_u32_e32 v10, v10, v11
	s_nop 1
	;; [unrolled: 4-line block ×4, first 2 shown]
	v_mov_b32_dpp v11, v10 row_bcast:15 row_mask:0xf bank_mask:0xf
	v_cndmask_b32_e64 v11, v11, 0, s[8:9]
	v_add_u32_e32 v10, v10, v11
	s_nop 1
	v_mov_b32_dpp v11, v10 row_bcast:31 row_mask:0xf bank_mask:0xf
	v_cndmask_b32_e64 v11, 0, v11, s[4:5]
	v_add_u32_e32 v10, v10, v11
	s_and_saveexec_b64 s[4:5], s[6:7]
	s_cbranch_execz .LBB166_82
; %bb.81:
	v_lshlrev_b32_e32 v11, 2, v75
	ds_write_b32 v11, v10
.LBB166_82:
	s_or_b64 exec, exec, s[4:5]
	v_cmp_gt_u32_e32 vcc, 4, v0
	s_waitcnt lgkmcnt(0)
	s_barrier
	s_and_saveexec_b64 s[4:5], vcc
	s_cbranch_execz .LBB166_84
; %bb.83:
	v_lshlrev_b32_e32 v11, 2, v0
	ds_read_b32 v18, v11
	v_and_b32_e32 v19, 3, v74
	v_cmp_ne_u32_e32 vcc, 0, v19
	s_waitcnt lgkmcnt(0)
	v_mov_b32_dpp v20, v18 row_shr:1 row_mask:0xf bank_mask:0xf
	v_cndmask_b32_e32 v20, 0, v20, vcc
	v_add_u32_e32 v18, v20, v18
	v_cmp_lt_u32_e32 vcc, 1, v19
	s_nop 0
	v_mov_b32_dpp v20, v18 row_shr:2 row_mask:0xf bank_mask:0xf
	v_cndmask_b32_e32 v19, 0, v20, vcc
	v_add_u32_e32 v18, v18, v19
	ds_write_b32 v11, v18
.LBB166_84:
	s_or_b64 exec, exec, s[4:5]
	v_cmp_lt_u32_e32 vcc, 63, v0
	v_mov_b32_e32 v11, 0
	v_mov_b32_e32 v18, 0
	s_waitcnt lgkmcnt(0)
	s_barrier
	s_and_saveexec_b64 s[4:5], vcc
	s_cbranch_execz .LBB166_86
; %bb.85:
	v_lshl_add_u32 v18, v75, 2, -4
	ds_read_b32 v18, v18
.LBB166_86:
	s_or_b64 exec, exec, s[4:5]
	v_add_u32_e32 v19, -1, v74
	v_and_b32_e32 v20, 64, v74
	v_cmp_lt_i32_e32 vcc, v19, v20
	v_cndmask_b32_e32 v19, v19, v74, vcc
	s_waitcnt lgkmcnt(0)
	v_add_u32_e32 v10, v18, v10
	v_lshlrev_b32_e32 v19, 2, v19
	ds_bpermute_b32 v19, v19, v10
	ds_read_b32 v10, v11 offset:12
	s_and_saveexec_b64 s[4:5], s[0:1]
	s_cbranch_execz .LBB166_88
; %bb.87:
	v_mov_b32_e32 v20, 0
	v_mov_b32_e32 v11, 2
	s_waitcnt lgkmcnt(0)
	global_store_dwordx2 v20, v[10:11], s[34:35] offset:512
.LBB166_88:
	s_or_b64 exec, exec, s[4:5]
	v_cmp_eq_u32_e32 vcc, 0, v74
	s_waitcnt lgkmcnt(1)
	v_cndmask_b32_e32 v18, v19, v18, vcc
	v_mov_b32_e32 v11, 0
	v_cndmask_b32_e64 v18, v18, 0, s[0:1]
	s_waitcnt lgkmcnt(0)
	s_barrier
.LBB166_89:
	v_add_u32_e32 v19, v18, v56
	v_add_u32_e32 v20, v19, v57
	;; [unrolled: 1-line block ×11, first 2 shown]
	s_waitcnt lgkmcnt(0)
	v_add_u32_e32 v34, v10, v34
	v_sub_u32_e32 v18, v18, v11
	v_and_b32_e32 v55, 1, v55
	v_add_u32_e32 v60, v59, v67
	v_sub_u32_e32 v67, v34, v18
	v_cmp_eq_u32_e32 vcc, 1, v55
	v_cndmask_b32_e32 v18, v67, v18, vcc
	v_lshlrev_b32_e32 v18, 1, v18
	ds_write_b16 v18, v6
	v_sub_u32_e32 v6, v19, v11
	v_sub_u32_e32 v18, v34, v6
	v_and_b32_e32 v19, 1, v54
	v_add_u32_e32 v18, 1, v18
	v_cmp_eq_u32_e32 vcc, 1, v19
	v_cndmask_b32_e32 v6, v18, v6, vcc
	v_lshlrev_b32_e32 v6, 1, v6
	ds_write_b16 v6, v35
	v_sub_u32_e32 v6, v20, v11
	v_sub_u32_e32 v18, v34, v6
	v_and_b32_e32 v19, 1, v53
	v_add_u32_e32 v18, 2, v18
	v_cmp_eq_u32_e32 vcc, 1, v19
	v_cndmask_b32_e32 v6, v18, v6, vcc
	v_lshlrev_b32_e32 v6, 1, v6
	ds_write_b16 v6, v7
	v_sub_u32_e32 v6, v21, v11
	v_sub_u32_e32 v7, v34, v6
	v_and_b32_e32 v18, 1, v52
	v_add_u32_e32 v7, 3, v7
	v_cmp_eq_u32_e32 vcc, 1, v18
	v_cndmask_b32_e32 v6, v7, v6, vcc
	v_lshlrev_b32_e32 v6, 1, v6
	ds_write_b16 v6, v33
	v_sub_u32_e32 v6, v22, v11
	v_sub_u32_e32 v7, v34, v6
	v_and_b32_e32 v18, 1, v51
	v_add_u32_e32 v7, 4, v7
	v_cmp_eq_u32_e32 vcc, 1, v18
	v_cndmask_b32_e32 v6, v7, v6, vcc
	v_lshlrev_b32_e32 v6, 1, v6
	ds_write_b16 v6, v8
	v_sub_u32_e32 v6, v23, v11
	v_sub_u32_e32 v7, v34, v6
	v_and_b32_e32 v8, 1, v50
	v_add_u32_e32 v7, 5, v7
	v_cmp_eq_u32_e32 vcc, 1, v8
	v_cndmask_b32_e32 v6, v7, v6, vcc
	v_lshlrev_b32_e32 v6, 1, v6
	ds_write_b16 v6, v32
	v_sub_u32_e32 v6, v24, v11
	v_sub_u32_e32 v7, v34, v6
	v_and_b32_e32 v8, 1, v49
	v_add_u32_e32 v7, 6, v7
	v_cmp_eq_u32_e32 vcc, 1, v8
	v_cndmask_b32_e32 v6, v7, v6, vcc
	v_lshlrev_b32_e32 v6, 1, v6
	ds_write_b16 v6, v9
	v_sub_u32_e32 v6, v25, v11
	v_sub_u32_e32 v7, v34, v6
	v_and_b32_e32 v8, 1, v48
	v_add_u32_e32 v7, 7, v7
	v_cmp_eq_u32_e32 vcc, 1, v8
	v_cndmask_b32_e32 v6, v7, v6, vcc
	v_lshlrev_b32_e32 v6, 1, v6
	ds_write_b16 v6, v31
	v_sub_u32_e32 v6, v56, v11
	v_sub_u32_e32 v7, v34, v6
	v_and_b32_e32 v8, 1, v47
	v_add_u32_e32 v7, 8, v7
	v_cmp_eq_u32_e32 vcc, 1, v8
	v_cndmask_b32_e32 v6, v7, v6, vcc
	v_lshlrev_b32_e32 v6, 1, v6
	ds_write_b16 v6, v2
	v_sub_u32_e32 v2, v57, v11
	v_sub_u32_e32 v6, v34, v2
	v_and_b32_e32 v7, 1, v46
	v_add_u32_e32 v6, 9, v6
	v_cmp_eq_u32_e32 vcc, 1, v7
	v_cndmask_b32_e32 v2, v6, v2, vcc
	v_lshlrev_b32_e32 v2, 1, v2
	ds_write_b16 v2, v30
	v_sub_u32_e32 v2, v58, v11
	v_sub_u32_e32 v6, v34, v2
	v_and_b32_e32 v7, 1, v45
	v_add_u32_e32 v6, 10, v6
	v_cmp_eq_u32_e32 vcc, 1, v7
	v_cndmask_b32_e32 v2, v6, v2, vcc
	v_lshlrev_b32_e32 v2, 1, v2
	ds_write_b16 v2, v3
	v_sub_u32_e32 v2, v59, v11
	v_sub_u32_e32 v3, v34, v2
	v_and_b32_e32 v6, 1, v44
	v_add_u32_e32 v3, 11, v3
	v_cmp_eq_u32_e32 vcc, 1, v6
	v_cndmask_b32_e32 v2, v3, v2, vcc
	v_lshlrev_b32_e32 v2, 1, v2
	ds_write_b16 v2, v29
	v_sub_u32_e32 v2, v60, v11
	v_sub_u32_e32 v3, v34, v2
	v_and_b32_e32 v6, 1, v43
	v_add_u32_e32 v3, 12, v3
	v_cmp_eq_u32_e32 vcc, 1, v6
	v_cndmask_b32_e32 v2, v3, v2, vcc
	v_add_u32_e32 v61, v60, v68
	v_lshlrev_b32_e32 v2, 1, v2
	ds_write_b16 v2, v4
	v_sub_u32_e32 v2, v61, v11
	v_sub_u32_e32 v3, v34, v2
	v_and_b32_e32 v4, 1, v42
	v_add_u32_e32 v3, 13, v3
	v_cmp_eq_u32_e32 vcc, 1, v4
	v_cndmask_b32_e32 v2, v3, v2, vcc
	v_add_u32_e32 v62, v61, v69
	v_lshlrev_b32_e32 v2, 1, v2
	ds_write_b16 v2, v28
	v_sub_u32_e32 v2, v62, v11
	v_sub_u32_e32 v3, v34, v2
	v_and_b32_e32 v4, 1, v41
	v_add_u32_e32 v3, 14, v3
	;; [unrolled: 9-line block ×6, first 2 shown]
	v_cmp_eq_u32_e32 vcc, 1, v4
	v_cndmask_b32_e32 v2, v3, v2, vcc
	v_lshlrev_b32_e32 v2, 1, v2
	ds_write_b16 v2, v17
	v_sub_u32_sdwa v2, v36, v11 dst_sel:DWORD dst_unused:UNUSED_PAD src0_sel:BYTE_0 src1_sel:DWORD
	v_add_u32_e32 v2, v66, v2
	v_sub_u32_e32 v3, v34, v2
	v_and_b32_e32 v4, 1, v37
	v_add_u32_e32 v3, 19, v3
	v_cmp_eq_u32_e32 vcc, 1, v4
	v_cndmask_b32_e32 v2, v3, v2, vcc
	v_lshlrev_b32_e32 v2, 1, v2
	ds_write_b16 v2, v13
	s_waitcnt lgkmcnt(0)
	s_barrier
	ds_read_u16 v50, v1
	ds_read_u16 v48, v1 offset:512
	ds_read_u16 v46, v1 offset:1024
	;; [unrolled: 1-line block ×19, first 2 shown]
	s_waitcnt vmcnt(0)
	v_add_co_u32_e32 v1, vcc, v14, v11
	v_addc_co_u32_e32 v4, vcc, 0, v15, vcc
	v_mov_b32_e32 v2, s27
	v_add_co_u32_e32 v3, vcc, s26, v12
	v_addc_co_u32_e32 v2, vcc, 0, v2, vcc
	v_mov_b32_e32 v7, s31
	v_sub_co_u32_e32 v3, vcc, s30, v3
	v_subb_co_u32_e32 v2, vcc, v7, v2, vcc
	v_add_co_u32_e32 v3, vcc, v3, v10
	v_addc_co_u32_e32 v2, vcc, 0, v2, vcc
	s_and_b64 vcc, exec, s[2:3]
	v_add_co_u32_e64 v7, s[2:3], v3, v1
	v_or_b32_e32 v49, 0x100, v0
	v_or_b32_e32 v47, 0x200, v0
	v_or_b32_e32 v45, 0x300, v0
	v_or_b32_e32 v43, 0x400, v0
	v_or_b32_e32 v41, 0x500, v0
	v_or_b32_e32 v39, 0x600, v0
	v_or_b32_e32 v37, 0x700, v0
	v_or_b32_e32 v35, 0x800, v0
	v_or_b32_e32 v33, 0x900, v0
	v_or_b32_e32 v31, 0xa00, v0
	v_or_b32_e32 v29, 0xb00, v0
	v_or_b32_e32 v27, 0xc00, v0
	v_or_b32_e32 v25, 0xd00, v0
	v_or_b32_e32 v23, 0xe00, v0
	v_or_b32_e32 v21, 0xf00, v0
	v_or_b32_e32 v19, 0x1000, v0
	v_or_b32_e32 v17, 0x1100, v0
	v_or_b32_e32 v13, 0x1200, v0
	v_or_b32_e32 v6, 0x1300, v0
	v_addc_co_u32_e64 v8, s[2:3], v2, v4, s[2:3]
	s_cbranch_vccnz .LBB166_174
; %bb.90:
	v_cmp_ge_u32_e32 vcc, v0, v10
                                        ; implicit-def: $vgpr2_vgpr3
	s_and_saveexec_b64 s[2:3], vcc
	s_xor_b64 s[2:3], exec, s[2:3]
; %bb.91:
	v_not_b32_e32 v2, v0
	v_ashrrev_i32_e32 v3, 31, v2
	v_add_co_u32_e32 v2, vcc, v7, v2
	v_addc_co_u32_e32 v3, vcc, v8, v3, vcc
; %bb.92:
	s_andn2_saveexec_b64 s[2:3], s[2:3]
; %bb.93:
	v_add_co_u32_e32 v2, vcc, v1, v0
	v_addc_co_u32_e32 v3, vcc, 0, v4, vcc
; %bb.94:
	s_or_b64 exec, exec, s[2:3]
	v_lshlrev_b64 v[2:3], 1, v[2:3]
	v_mov_b32_e32 v11, s29
	v_add_co_u32_e32 v2, vcc, s28, v2
	v_addc_co_u32_e32 v3, vcc, v11, v3, vcc
	v_cmp_ge_u32_e32 vcc, v49, v10
	s_waitcnt lgkmcnt(14)
	global_store_short v[2:3], v50, off
                                        ; implicit-def: $vgpr2_vgpr3
	s_and_saveexec_b64 s[2:3], vcc
	s_xor_b64 s[2:3], exec, s[2:3]
; %bb.95:
	v_xor_b32_e32 v2, 0xfffffeff, v0
	v_ashrrev_i32_e32 v3, 31, v2
	v_add_co_u32_e32 v2, vcc, v7, v2
	v_addc_co_u32_e32 v3, vcc, v8, v3, vcc
; %bb.96:
	s_andn2_saveexec_b64 s[2:3], s[2:3]
; %bb.97:
	v_add_co_u32_e32 v2, vcc, v1, v49
	v_addc_co_u32_e32 v3, vcc, 0, v4, vcc
; %bb.98:
	s_or_b64 exec, exec, s[2:3]
	v_lshlrev_b64 v[2:3], 1, v[2:3]
	v_mov_b32_e32 v11, s29
	v_add_co_u32_e32 v2, vcc, s28, v2
	v_addc_co_u32_e32 v3, vcc, v11, v3, vcc
	v_cmp_ge_u32_e32 vcc, v47, v10
	global_store_short v[2:3], v48, off
                                        ; implicit-def: $vgpr2_vgpr3
	s_and_saveexec_b64 s[2:3], vcc
	s_xor_b64 s[2:3], exec, s[2:3]
; %bb.99:
	v_xor_b32_e32 v2, 0xfffffdff, v0
	v_ashrrev_i32_e32 v3, 31, v2
	v_add_co_u32_e32 v2, vcc, v7, v2
	v_addc_co_u32_e32 v3, vcc, v8, v3, vcc
; %bb.100:
	s_andn2_saveexec_b64 s[2:3], s[2:3]
; %bb.101:
	v_add_co_u32_e32 v2, vcc, v1, v47
	v_addc_co_u32_e32 v3, vcc, 0, v4, vcc
; %bb.102:
	s_or_b64 exec, exec, s[2:3]
	v_lshlrev_b64 v[2:3], 1, v[2:3]
	v_mov_b32_e32 v11, s29
	v_add_co_u32_e32 v2, vcc, s28, v2
	v_addc_co_u32_e32 v3, vcc, v11, v3, vcc
	v_cmp_ge_u32_e32 vcc, v45, v10
	global_store_short v[2:3], v46, off
                                        ; implicit-def: $vgpr2_vgpr3
	s_and_saveexec_b64 s[2:3], vcc
	s_xor_b64 s[2:3], exec, s[2:3]
; %bb.103:
	v_xor_b32_e32 v2, 0xfffffcff, v0
	v_ashrrev_i32_e32 v3, 31, v2
	v_add_co_u32_e32 v2, vcc, v7, v2
	v_addc_co_u32_e32 v3, vcc, v8, v3, vcc
; %bb.104:
	s_andn2_saveexec_b64 s[2:3], s[2:3]
; %bb.105:
	v_add_co_u32_e32 v2, vcc, v1, v45
	v_addc_co_u32_e32 v3, vcc, 0, v4, vcc
; %bb.106:
	s_or_b64 exec, exec, s[2:3]
	v_lshlrev_b64 v[2:3], 1, v[2:3]
	v_mov_b32_e32 v11, s29
	v_add_co_u32_e32 v2, vcc, s28, v2
	v_addc_co_u32_e32 v3, vcc, v11, v3, vcc
	v_cmp_ge_u32_e32 vcc, v43, v10
	global_store_short v[2:3], v44, off
                                        ; implicit-def: $vgpr2_vgpr3
	s_and_saveexec_b64 s[2:3], vcc
	s_xor_b64 s[2:3], exec, s[2:3]
; %bb.107:
	v_xor_b32_e32 v2, 0xfffffbff, v0
	v_ashrrev_i32_e32 v3, 31, v2
	v_add_co_u32_e32 v2, vcc, v7, v2
	v_addc_co_u32_e32 v3, vcc, v8, v3, vcc
; %bb.108:
	s_andn2_saveexec_b64 s[2:3], s[2:3]
; %bb.109:
	v_add_co_u32_e32 v2, vcc, v1, v43
	v_addc_co_u32_e32 v3, vcc, 0, v4, vcc
; %bb.110:
	s_or_b64 exec, exec, s[2:3]
	v_lshlrev_b64 v[2:3], 1, v[2:3]
	v_mov_b32_e32 v11, s29
	v_add_co_u32_e32 v2, vcc, s28, v2
	v_addc_co_u32_e32 v3, vcc, v11, v3, vcc
	v_cmp_ge_u32_e32 vcc, v41, v10
	global_store_short v[2:3], v42, off
                                        ; implicit-def: $vgpr2_vgpr3
	s_and_saveexec_b64 s[2:3], vcc
	s_xor_b64 s[2:3], exec, s[2:3]
; %bb.111:
	v_xor_b32_e32 v2, 0xfffffaff, v0
	v_ashrrev_i32_e32 v3, 31, v2
	v_add_co_u32_e32 v2, vcc, v7, v2
	v_addc_co_u32_e32 v3, vcc, v8, v3, vcc
; %bb.112:
	s_andn2_saveexec_b64 s[2:3], s[2:3]
; %bb.113:
	v_add_co_u32_e32 v2, vcc, v1, v41
	v_addc_co_u32_e32 v3, vcc, 0, v4, vcc
; %bb.114:
	s_or_b64 exec, exec, s[2:3]
	v_lshlrev_b64 v[2:3], 1, v[2:3]
	v_mov_b32_e32 v11, s29
	v_add_co_u32_e32 v2, vcc, s28, v2
	v_addc_co_u32_e32 v3, vcc, v11, v3, vcc
	v_cmp_ge_u32_e32 vcc, v39, v10
	global_store_short v[2:3], v40, off
                                        ; implicit-def: $vgpr2_vgpr3
	s_and_saveexec_b64 s[2:3], vcc
	s_xor_b64 s[2:3], exec, s[2:3]
; %bb.115:
	v_xor_b32_e32 v2, 0xfffff9ff, v0
	v_ashrrev_i32_e32 v3, 31, v2
	v_add_co_u32_e32 v2, vcc, v7, v2
	v_addc_co_u32_e32 v3, vcc, v8, v3, vcc
; %bb.116:
	s_andn2_saveexec_b64 s[2:3], s[2:3]
; %bb.117:
	v_add_co_u32_e32 v2, vcc, v1, v39
	v_addc_co_u32_e32 v3, vcc, 0, v4, vcc
; %bb.118:
	s_or_b64 exec, exec, s[2:3]
	v_lshlrev_b64 v[2:3], 1, v[2:3]
	v_mov_b32_e32 v11, s29
	v_add_co_u32_e32 v2, vcc, s28, v2
	v_addc_co_u32_e32 v3, vcc, v11, v3, vcc
	v_cmp_ge_u32_e32 vcc, v37, v10
	s_waitcnt lgkmcnt(13)
	global_store_short v[2:3], v38, off
                                        ; implicit-def: $vgpr2_vgpr3
	s_and_saveexec_b64 s[2:3], vcc
	s_xor_b64 s[2:3], exec, s[2:3]
; %bb.119:
	v_xor_b32_e32 v2, 0xfffff8ff, v0
	v_ashrrev_i32_e32 v3, 31, v2
	v_add_co_u32_e32 v2, vcc, v7, v2
	v_addc_co_u32_e32 v3, vcc, v8, v3, vcc
; %bb.120:
	s_andn2_saveexec_b64 s[2:3], s[2:3]
; %bb.121:
	v_add_co_u32_e32 v2, vcc, v1, v37
	v_addc_co_u32_e32 v3, vcc, 0, v4, vcc
; %bb.122:
	s_or_b64 exec, exec, s[2:3]
	v_lshlrev_b64 v[2:3], 1, v[2:3]
	v_mov_b32_e32 v11, s29
	v_add_co_u32_e32 v2, vcc, s28, v2
	v_addc_co_u32_e32 v3, vcc, v11, v3, vcc
	v_cmp_ge_u32_e32 vcc, v35, v10
	s_waitcnt lgkmcnt(12)
	global_store_short v[2:3], v36, off
                                        ; implicit-def: $vgpr2_vgpr3
	s_and_saveexec_b64 s[2:3], vcc
	s_xor_b64 s[2:3], exec, s[2:3]
; %bb.123:
	v_xor_b32_e32 v2, 0xfffff7ff, v0
	v_ashrrev_i32_e32 v3, 31, v2
	v_add_co_u32_e32 v2, vcc, v7, v2
	v_addc_co_u32_e32 v3, vcc, v8, v3, vcc
; %bb.124:
	s_andn2_saveexec_b64 s[2:3], s[2:3]
; %bb.125:
	v_add_co_u32_e32 v2, vcc, v1, v35
	v_addc_co_u32_e32 v3, vcc, 0, v4, vcc
; %bb.126:
	s_or_b64 exec, exec, s[2:3]
	v_lshlrev_b64 v[2:3], 1, v[2:3]
	v_mov_b32_e32 v11, s29
	v_add_co_u32_e32 v2, vcc, s28, v2
	v_addc_co_u32_e32 v3, vcc, v11, v3, vcc
	v_cmp_ge_u32_e32 vcc, v33, v10
	;; [unrolled: 22-line block ×12, first 2 shown]
	s_waitcnt lgkmcnt(1)
	global_store_short v[2:3], v9, off
                                        ; implicit-def: $vgpr2_vgpr3
	s_and_saveexec_b64 s[2:3], vcc
	s_xor_b64 s[2:3], exec, s[2:3]
; %bb.167:
	v_xor_b32_e32 v2, 0xffffecff, v0
	v_ashrrev_i32_e32 v3, 31, v2
	v_add_co_u32_e32 v2, vcc, v7, v2
	v_addc_co_u32_e32 v3, vcc, v8, v3, vcc
; %bb.168:
	s_andn2_saveexec_b64 s[2:3], s[2:3]
; %bb.169:
	v_add_co_u32_e32 v2, vcc, v1, v6
	v_addc_co_u32_e32 v3, vcc, 0, v4, vcc
; %bb.170:
	s_or_b64 exec, exec, s[2:3]
	s_mov_b64 s[2:3], -1
.LBB166_171:
	s_and_saveexec_b64 s[4:5], s[2:3]
	s_cbranch_execz .LBB166_232
.LBB166_172:
	v_lshlrev_b64 v[2:3], 1, v[2:3]
	v_mov_b32_e32 v0, s29
	v_add_co_u32_e32 v2, vcc, s28, v2
	v_addc_co_u32_e32 v3, vcc, v0, v3, vcc
	s_waitcnt lgkmcnt(0)
	global_store_short v[2:3], v5, off
	s_or_b64 exec, exec, s[4:5]
	s_and_b64 s[0:1], s[0:1], s[22:23]
	s_and_saveexec_b64 s[2:3], s[0:1]
	s_cbranch_execnz .LBB166_233
.LBB166_173:
	s_endpgm
.LBB166_174:
	s_mov_b64 s[2:3], 0
                                        ; implicit-def: $vgpr2_vgpr3
	s_cbranch_execz .LBB166_171
; %bb.175:
	v_cmp_gt_u32_e32 vcc, s33, v0
	s_and_saveexec_b64 s[4:5], vcc
	s_cbranch_execz .LBB166_234
; %bb.176:
	v_cmp_ge_u32_e32 vcc, v0, v10
                                        ; implicit-def: $vgpr2_vgpr3
	s_and_saveexec_b64 s[6:7], vcc
	s_xor_b64 s[6:7], exec, s[6:7]
; %bb.177:
	v_not_b32_e32 v2, v0
	v_ashrrev_i32_e32 v3, 31, v2
	v_add_co_u32_e32 v2, vcc, v7, v2
	v_addc_co_u32_e32 v3, vcc, v8, v3, vcc
; %bb.178:
	s_andn2_saveexec_b64 s[6:7], s[6:7]
; %bb.179:
	v_add_co_u32_e32 v2, vcc, v1, v0
	v_addc_co_u32_e32 v3, vcc, 0, v4, vcc
; %bb.180:
	s_or_b64 exec, exec, s[6:7]
	v_lshlrev_b64 v[2:3], 1, v[2:3]
	v_mov_b32_e32 v11, s29
	v_add_co_u32_e32 v2, vcc, s28, v2
	v_addc_co_u32_e32 v3, vcc, v11, v3, vcc
	s_waitcnt lgkmcnt(14)
	global_store_short v[2:3], v50, off
	s_or_b64 exec, exec, s[4:5]
	v_cmp_gt_u32_e32 vcc, s33, v49
	s_and_saveexec_b64 s[4:5], vcc
	s_cbranch_execnz .LBB166_235
.LBB166_181:
	s_or_b64 exec, exec, s[4:5]
	v_cmp_gt_u32_e32 vcc, s33, v47
	s_and_saveexec_b64 s[4:5], vcc
	s_cbranch_execz .LBB166_240
.LBB166_182:
	v_cmp_ge_u32_e32 vcc, v47, v10
                                        ; implicit-def: $vgpr2_vgpr3
	s_and_saveexec_b64 s[6:7], vcc
	s_xor_b64 s[6:7], exec, s[6:7]
; %bb.183:
	v_xor_b32_e32 v2, 0xfffffdff, v0
	v_ashrrev_i32_e32 v3, 31, v2
	v_add_co_u32_e32 v2, vcc, v7, v2
	v_addc_co_u32_e32 v3, vcc, v8, v3, vcc
                                        ; implicit-def: $vgpr47
; %bb.184:
	s_andn2_saveexec_b64 s[6:7], s[6:7]
; %bb.185:
	v_add_co_u32_e32 v2, vcc, v1, v47
	v_addc_co_u32_e32 v3, vcc, 0, v4, vcc
; %bb.186:
	s_or_b64 exec, exec, s[6:7]
	v_lshlrev_b64 v[2:3], 1, v[2:3]
	v_mov_b32_e32 v11, s29
	v_add_co_u32_e32 v2, vcc, s28, v2
	v_addc_co_u32_e32 v3, vcc, v11, v3, vcc
	s_waitcnt lgkmcnt(14)
	global_store_short v[2:3], v46, off
	s_or_b64 exec, exec, s[4:5]
	v_cmp_gt_u32_e32 vcc, s33, v45
	s_and_saveexec_b64 s[4:5], vcc
	s_cbranch_execnz .LBB166_241
.LBB166_187:
	s_or_b64 exec, exec, s[4:5]
	v_cmp_gt_u32_e32 vcc, s33, v43
	s_and_saveexec_b64 s[4:5], vcc
	s_cbranch_execz .LBB166_246
.LBB166_188:
	v_cmp_ge_u32_e32 vcc, v43, v10
                                        ; implicit-def: $vgpr2_vgpr3
	s_and_saveexec_b64 s[6:7], vcc
	s_xor_b64 s[6:7], exec, s[6:7]
; %bb.189:
	v_xor_b32_e32 v2, 0xfffffbff, v0
	v_ashrrev_i32_e32 v3, 31, v2
	v_add_co_u32_e32 v2, vcc, v7, v2
	v_addc_co_u32_e32 v3, vcc, v8, v3, vcc
                                        ; implicit-def: $vgpr43
; %bb.190:
	s_andn2_saveexec_b64 s[6:7], s[6:7]
; %bb.191:
	v_add_co_u32_e32 v2, vcc, v1, v43
	v_addc_co_u32_e32 v3, vcc, 0, v4, vcc
; %bb.192:
	s_or_b64 exec, exec, s[6:7]
	v_lshlrev_b64 v[2:3], 1, v[2:3]
	v_mov_b32_e32 v11, s29
	v_add_co_u32_e32 v2, vcc, s28, v2
	v_addc_co_u32_e32 v3, vcc, v11, v3, vcc
	s_waitcnt lgkmcnt(14)
	global_store_short v[2:3], v42, off
	s_or_b64 exec, exec, s[4:5]
	v_cmp_gt_u32_e32 vcc, s33, v41
	s_and_saveexec_b64 s[4:5], vcc
	s_cbranch_execnz .LBB166_247
.LBB166_193:
	s_or_b64 exec, exec, s[4:5]
	v_cmp_gt_u32_e32 vcc, s33, v39
	s_and_saveexec_b64 s[4:5], vcc
	s_cbranch_execz .LBB166_252
.LBB166_194:
	v_cmp_ge_u32_e32 vcc, v39, v10
                                        ; implicit-def: $vgpr2_vgpr3
	s_and_saveexec_b64 s[6:7], vcc
	s_xor_b64 s[6:7], exec, s[6:7]
; %bb.195:
	v_xor_b32_e32 v2, 0xfffff9ff, v0
	v_ashrrev_i32_e32 v3, 31, v2
	v_add_co_u32_e32 v2, vcc, v7, v2
	v_addc_co_u32_e32 v3, vcc, v8, v3, vcc
                                        ; implicit-def: $vgpr39
; %bb.196:
	s_andn2_saveexec_b64 s[6:7], s[6:7]
; %bb.197:
	v_add_co_u32_e32 v2, vcc, v1, v39
	v_addc_co_u32_e32 v3, vcc, 0, v4, vcc
; %bb.198:
	s_or_b64 exec, exec, s[6:7]
	v_lshlrev_b64 v[2:3], 1, v[2:3]
	v_mov_b32_e32 v11, s29
	v_add_co_u32_e32 v2, vcc, s28, v2
	v_addc_co_u32_e32 v3, vcc, v11, v3, vcc
	s_waitcnt lgkmcnt(13)
	global_store_short v[2:3], v38, off
	s_or_b64 exec, exec, s[4:5]
	v_cmp_gt_u32_e32 vcc, s33, v37
	s_and_saveexec_b64 s[4:5], vcc
	s_cbranch_execnz .LBB166_253
.LBB166_199:
	s_or_b64 exec, exec, s[4:5]
	v_cmp_gt_u32_e32 vcc, s33, v35
	s_and_saveexec_b64 s[4:5], vcc
	s_cbranch_execz .LBB166_258
.LBB166_200:
	v_cmp_ge_u32_e32 vcc, v35, v10
                                        ; implicit-def: $vgpr2_vgpr3
	s_and_saveexec_b64 s[6:7], vcc
	s_xor_b64 s[6:7], exec, s[6:7]
; %bb.201:
	v_xor_b32_e32 v2, 0xfffff7ff, v0
	v_ashrrev_i32_e32 v3, 31, v2
	v_add_co_u32_e32 v2, vcc, v7, v2
	v_addc_co_u32_e32 v3, vcc, v8, v3, vcc
                                        ; implicit-def: $vgpr35
; %bb.202:
	s_andn2_saveexec_b64 s[6:7], s[6:7]
; %bb.203:
	v_add_co_u32_e32 v2, vcc, v1, v35
	v_addc_co_u32_e32 v3, vcc, 0, v4, vcc
; %bb.204:
	s_or_b64 exec, exec, s[6:7]
	v_lshlrev_b64 v[2:3], 1, v[2:3]
	v_mov_b32_e32 v11, s29
	v_add_co_u32_e32 v2, vcc, s28, v2
	v_addc_co_u32_e32 v3, vcc, v11, v3, vcc
	s_waitcnt lgkmcnt(11)
	global_store_short v[2:3], v34, off
	s_or_b64 exec, exec, s[4:5]
	v_cmp_gt_u32_e32 vcc, s33, v33
	s_and_saveexec_b64 s[4:5], vcc
	s_cbranch_execnz .LBB166_259
.LBB166_205:
	s_or_b64 exec, exec, s[4:5]
	v_cmp_gt_u32_e32 vcc, s33, v31
	s_and_saveexec_b64 s[4:5], vcc
	s_cbranch_execz .LBB166_264
.LBB166_206:
	v_cmp_ge_u32_e32 vcc, v31, v10
                                        ; implicit-def: $vgpr2_vgpr3
	s_and_saveexec_b64 s[6:7], vcc
	s_xor_b64 s[6:7], exec, s[6:7]
; %bb.207:
	v_xor_b32_e32 v2, 0xfffff5ff, v0
	v_ashrrev_i32_e32 v3, 31, v2
	v_add_co_u32_e32 v2, vcc, v7, v2
	v_addc_co_u32_e32 v3, vcc, v8, v3, vcc
                                        ; implicit-def: $vgpr31
; %bb.208:
	s_andn2_saveexec_b64 s[6:7], s[6:7]
; %bb.209:
	v_add_co_u32_e32 v2, vcc, v1, v31
	v_addc_co_u32_e32 v3, vcc, 0, v4, vcc
; %bb.210:
	s_or_b64 exec, exec, s[6:7]
	v_lshlrev_b64 v[2:3], 1, v[2:3]
	v_mov_b32_e32 v11, s29
	v_add_co_u32_e32 v2, vcc, s28, v2
	v_addc_co_u32_e32 v3, vcc, v11, v3, vcc
	s_waitcnt lgkmcnt(9)
	global_store_short v[2:3], v30, off
	s_or_b64 exec, exec, s[4:5]
	v_cmp_gt_u32_e32 vcc, s33, v29
	s_and_saveexec_b64 s[4:5], vcc
	s_cbranch_execnz .LBB166_265
.LBB166_211:
	s_or_b64 exec, exec, s[4:5]
	v_cmp_gt_u32_e32 vcc, s33, v27
	s_and_saveexec_b64 s[4:5], vcc
	s_cbranch_execz .LBB166_270
.LBB166_212:
	v_cmp_ge_u32_e32 vcc, v27, v10
                                        ; implicit-def: $vgpr2_vgpr3
	s_and_saveexec_b64 s[6:7], vcc
	s_xor_b64 s[6:7], exec, s[6:7]
; %bb.213:
	v_xor_b32_e32 v2, 0xfffff3ff, v0
	v_ashrrev_i32_e32 v3, 31, v2
	v_add_co_u32_e32 v2, vcc, v7, v2
	v_addc_co_u32_e32 v3, vcc, v8, v3, vcc
                                        ; implicit-def: $vgpr27
; %bb.214:
	s_andn2_saveexec_b64 s[6:7], s[6:7]
; %bb.215:
	v_add_co_u32_e32 v2, vcc, v1, v27
	v_addc_co_u32_e32 v3, vcc, 0, v4, vcc
; %bb.216:
	s_or_b64 exec, exec, s[6:7]
	v_lshlrev_b64 v[2:3], 1, v[2:3]
	v_mov_b32_e32 v11, s29
	v_add_co_u32_e32 v2, vcc, s28, v2
	v_addc_co_u32_e32 v3, vcc, v11, v3, vcc
	s_waitcnt lgkmcnt(7)
	global_store_short v[2:3], v26, off
	s_or_b64 exec, exec, s[4:5]
	v_cmp_gt_u32_e32 vcc, s33, v25
	s_and_saveexec_b64 s[4:5], vcc
	s_cbranch_execnz .LBB166_271
.LBB166_217:
	s_or_b64 exec, exec, s[4:5]
	v_cmp_gt_u32_e32 vcc, s33, v23
	s_and_saveexec_b64 s[4:5], vcc
	s_cbranch_execz .LBB166_276
.LBB166_218:
	v_cmp_ge_u32_e32 vcc, v23, v10
                                        ; implicit-def: $vgpr2_vgpr3
	s_and_saveexec_b64 s[6:7], vcc
	s_xor_b64 s[6:7], exec, s[6:7]
; %bb.219:
	v_xor_b32_e32 v2, 0xfffff1ff, v0
	v_ashrrev_i32_e32 v3, 31, v2
	v_add_co_u32_e32 v2, vcc, v7, v2
	v_addc_co_u32_e32 v3, vcc, v8, v3, vcc
                                        ; implicit-def: $vgpr23
; %bb.220:
	s_andn2_saveexec_b64 s[6:7], s[6:7]
; %bb.221:
	v_add_co_u32_e32 v2, vcc, v1, v23
	v_addc_co_u32_e32 v3, vcc, 0, v4, vcc
; %bb.222:
	s_or_b64 exec, exec, s[6:7]
	v_lshlrev_b64 v[2:3], 1, v[2:3]
	v_mov_b32_e32 v11, s29
	v_add_co_u32_e32 v2, vcc, s28, v2
	v_addc_co_u32_e32 v3, vcc, v11, v3, vcc
	s_waitcnt lgkmcnt(5)
	global_store_short v[2:3], v22, off
	s_or_b64 exec, exec, s[4:5]
	v_cmp_gt_u32_e32 vcc, s33, v21
	s_and_saveexec_b64 s[4:5], vcc
	s_cbranch_execnz .LBB166_277
.LBB166_223:
	s_or_b64 exec, exec, s[4:5]
	v_cmp_gt_u32_e32 vcc, s33, v19
	s_and_saveexec_b64 s[4:5], vcc
	s_cbranch_execz .LBB166_282
.LBB166_224:
	v_cmp_ge_u32_e32 vcc, v19, v10
                                        ; implicit-def: $vgpr2_vgpr3
	s_and_saveexec_b64 s[6:7], vcc
	s_xor_b64 s[6:7], exec, s[6:7]
; %bb.225:
	v_xor_b32_e32 v2, 0xffffefff, v0
	v_ashrrev_i32_e32 v3, 31, v2
	v_add_co_u32_e32 v2, vcc, v7, v2
	v_addc_co_u32_e32 v3, vcc, v8, v3, vcc
                                        ; implicit-def: $vgpr19
; %bb.226:
	s_andn2_saveexec_b64 s[6:7], s[6:7]
; %bb.227:
	v_add_co_u32_e32 v2, vcc, v1, v19
	v_addc_co_u32_e32 v3, vcc, 0, v4, vcc
; %bb.228:
	s_or_b64 exec, exec, s[6:7]
	v_lshlrev_b64 v[2:3], 1, v[2:3]
	v_mov_b32_e32 v11, s29
	v_add_co_u32_e32 v2, vcc, s28, v2
	v_addc_co_u32_e32 v3, vcc, v11, v3, vcc
	s_waitcnt lgkmcnt(3)
	global_store_short v[2:3], v18, off
	s_or_b64 exec, exec, s[4:5]
	v_cmp_gt_u32_e32 vcc, s33, v17
	s_and_saveexec_b64 s[4:5], vcc
	s_cbranch_execnz .LBB166_283
.LBB166_229:
	s_or_b64 exec, exec, s[4:5]
	v_cmp_gt_u32_e32 vcc, s33, v13
	s_and_saveexec_b64 s[4:5], vcc
	s_cbranch_execnz .LBB166_288
.LBB166_230:
	s_or_b64 exec, exec, s[4:5]
	v_cmp_gt_u32_e32 vcc, s33, v6
                                        ; implicit-def: $vgpr2_vgpr3
	s_and_saveexec_b64 s[4:5], vcc
	s_cbranch_execnz .LBB166_293
.LBB166_231:
	s_or_b64 exec, exec, s[4:5]
	s_and_saveexec_b64 s[4:5], s[2:3]
	s_cbranch_execnz .LBB166_172
.LBB166_232:
	s_or_b64 exec, exec, s[4:5]
	s_and_b64 s[0:1], s[0:1], s[22:23]
	s_and_saveexec_b64 s[2:3], s[0:1]
	s_cbranch_execz .LBB166_173
.LBB166_233:
	v_add_co_u32_e32 v0, vcc, v1, v10
	v_mov_b32_e32 v2, 0
	v_addc_co_u32_e32 v1, vcc, 0, v4, vcc
	global_store_dwordx2 v2, v[0:1], s[20:21]
	s_endpgm
.LBB166_234:
	s_or_b64 exec, exec, s[4:5]
	v_cmp_gt_u32_e32 vcc, s33, v49
	s_and_saveexec_b64 s[4:5], vcc
	s_cbranch_execz .LBB166_181
.LBB166_235:
	v_cmp_ge_u32_e32 vcc, v49, v10
                                        ; implicit-def: $vgpr2_vgpr3
	s_and_saveexec_b64 s[6:7], vcc
	s_xor_b64 s[6:7], exec, s[6:7]
; %bb.236:
	v_xor_b32_e32 v2, 0xfffffeff, v0
	v_ashrrev_i32_e32 v3, 31, v2
	v_add_co_u32_e32 v2, vcc, v7, v2
	v_addc_co_u32_e32 v3, vcc, v8, v3, vcc
                                        ; implicit-def: $vgpr49
; %bb.237:
	s_andn2_saveexec_b64 s[6:7], s[6:7]
; %bb.238:
	v_add_co_u32_e32 v2, vcc, v1, v49
	v_addc_co_u32_e32 v3, vcc, 0, v4, vcc
; %bb.239:
	s_or_b64 exec, exec, s[6:7]
	v_lshlrev_b64 v[2:3], 1, v[2:3]
	v_mov_b32_e32 v11, s29
	v_add_co_u32_e32 v2, vcc, s28, v2
	v_addc_co_u32_e32 v3, vcc, v11, v3, vcc
	s_waitcnt lgkmcnt(14)
	global_store_short v[2:3], v48, off
	s_or_b64 exec, exec, s[4:5]
	v_cmp_gt_u32_e32 vcc, s33, v47
	s_and_saveexec_b64 s[4:5], vcc
	s_cbranch_execnz .LBB166_182
.LBB166_240:
	s_or_b64 exec, exec, s[4:5]
	v_cmp_gt_u32_e32 vcc, s33, v45
	s_and_saveexec_b64 s[4:5], vcc
	s_cbranch_execz .LBB166_187
.LBB166_241:
	v_cmp_ge_u32_e32 vcc, v45, v10
                                        ; implicit-def: $vgpr2_vgpr3
	s_and_saveexec_b64 s[6:7], vcc
	s_xor_b64 s[6:7], exec, s[6:7]
; %bb.242:
	v_xor_b32_e32 v2, 0xfffffcff, v0
	v_ashrrev_i32_e32 v3, 31, v2
	v_add_co_u32_e32 v2, vcc, v7, v2
	v_addc_co_u32_e32 v3, vcc, v8, v3, vcc
                                        ; implicit-def: $vgpr45
; %bb.243:
	s_andn2_saveexec_b64 s[6:7], s[6:7]
; %bb.244:
	v_add_co_u32_e32 v2, vcc, v1, v45
	v_addc_co_u32_e32 v3, vcc, 0, v4, vcc
; %bb.245:
	s_or_b64 exec, exec, s[6:7]
	v_lshlrev_b64 v[2:3], 1, v[2:3]
	v_mov_b32_e32 v11, s29
	v_add_co_u32_e32 v2, vcc, s28, v2
	v_addc_co_u32_e32 v3, vcc, v11, v3, vcc
	s_waitcnt lgkmcnt(14)
	global_store_short v[2:3], v44, off
	s_or_b64 exec, exec, s[4:5]
	v_cmp_gt_u32_e32 vcc, s33, v43
	s_and_saveexec_b64 s[4:5], vcc
	s_cbranch_execnz .LBB166_188
.LBB166_246:
	s_or_b64 exec, exec, s[4:5]
	v_cmp_gt_u32_e32 vcc, s33, v41
	s_and_saveexec_b64 s[4:5], vcc
	s_cbranch_execz .LBB166_193
.LBB166_247:
	v_cmp_ge_u32_e32 vcc, v41, v10
                                        ; implicit-def: $vgpr2_vgpr3
	s_and_saveexec_b64 s[6:7], vcc
	s_xor_b64 s[6:7], exec, s[6:7]
; %bb.248:
	v_xor_b32_e32 v2, 0xfffffaff, v0
	v_ashrrev_i32_e32 v3, 31, v2
	v_add_co_u32_e32 v2, vcc, v7, v2
	v_addc_co_u32_e32 v3, vcc, v8, v3, vcc
                                        ; implicit-def: $vgpr41
; %bb.249:
	s_andn2_saveexec_b64 s[6:7], s[6:7]
; %bb.250:
	v_add_co_u32_e32 v2, vcc, v1, v41
	v_addc_co_u32_e32 v3, vcc, 0, v4, vcc
; %bb.251:
	s_or_b64 exec, exec, s[6:7]
	v_lshlrev_b64 v[2:3], 1, v[2:3]
	v_mov_b32_e32 v11, s29
	v_add_co_u32_e32 v2, vcc, s28, v2
	v_addc_co_u32_e32 v3, vcc, v11, v3, vcc
	s_waitcnt lgkmcnt(14)
	global_store_short v[2:3], v40, off
	s_or_b64 exec, exec, s[4:5]
	v_cmp_gt_u32_e32 vcc, s33, v39
	s_and_saveexec_b64 s[4:5], vcc
	s_cbranch_execnz .LBB166_194
.LBB166_252:
	s_or_b64 exec, exec, s[4:5]
	v_cmp_gt_u32_e32 vcc, s33, v37
	s_and_saveexec_b64 s[4:5], vcc
	s_cbranch_execz .LBB166_199
.LBB166_253:
	v_cmp_ge_u32_e32 vcc, v37, v10
                                        ; implicit-def: $vgpr2_vgpr3
	s_and_saveexec_b64 s[6:7], vcc
	s_xor_b64 s[6:7], exec, s[6:7]
; %bb.254:
	v_xor_b32_e32 v2, 0xfffff8ff, v0
	v_ashrrev_i32_e32 v3, 31, v2
	v_add_co_u32_e32 v2, vcc, v7, v2
	v_addc_co_u32_e32 v3, vcc, v8, v3, vcc
                                        ; implicit-def: $vgpr37
; %bb.255:
	s_andn2_saveexec_b64 s[6:7], s[6:7]
; %bb.256:
	v_add_co_u32_e32 v2, vcc, v1, v37
	v_addc_co_u32_e32 v3, vcc, 0, v4, vcc
; %bb.257:
	s_or_b64 exec, exec, s[6:7]
	v_lshlrev_b64 v[2:3], 1, v[2:3]
	v_mov_b32_e32 v11, s29
	v_add_co_u32_e32 v2, vcc, s28, v2
	v_addc_co_u32_e32 v3, vcc, v11, v3, vcc
	s_waitcnt lgkmcnt(12)
	global_store_short v[2:3], v36, off
	s_or_b64 exec, exec, s[4:5]
	v_cmp_gt_u32_e32 vcc, s33, v35
	s_and_saveexec_b64 s[4:5], vcc
	s_cbranch_execnz .LBB166_200
.LBB166_258:
	s_or_b64 exec, exec, s[4:5]
	v_cmp_gt_u32_e32 vcc, s33, v33
	s_and_saveexec_b64 s[4:5], vcc
	s_cbranch_execz .LBB166_205
.LBB166_259:
	v_cmp_ge_u32_e32 vcc, v33, v10
                                        ; implicit-def: $vgpr2_vgpr3
	s_and_saveexec_b64 s[6:7], vcc
	s_xor_b64 s[6:7], exec, s[6:7]
; %bb.260:
	v_xor_b32_e32 v2, 0xfffff6ff, v0
	v_ashrrev_i32_e32 v3, 31, v2
	v_add_co_u32_e32 v2, vcc, v7, v2
	v_addc_co_u32_e32 v3, vcc, v8, v3, vcc
                                        ; implicit-def: $vgpr33
; %bb.261:
	s_andn2_saveexec_b64 s[6:7], s[6:7]
; %bb.262:
	v_add_co_u32_e32 v2, vcc, v1, v33
	v_addc_co_u32_e32 v3, vcc, 0, v4, vcc
; %bb.263:
	s_or_b64 exec, exec, s[6:7]
	v_lshlrev_b64 v[2:3], 1, v[2:3]
	v_mov_b32_e32 v11, s29
	v_add_co_u32_e32 v2, vcc, s28, v2
	v_addc_co_u32_e32 v3, vcc, v11, v3, vcc
	s_waitcnt lgkmcnt(10)
	global_store_short v[2:3], v32, off
	s_or_b64 exec, exec, s[4:5]
	v_cmp_gt_u32_e32 vcc, s33, v31
	s_and_saveexec_b64 s[4:5], vcc
	s_cbranch_execnz .LBB166_206
.LBB166_264:
	s_or_b64 exec, exec, s[4:5]
	v_cmp_gt_u32_e32 vcc, s33, v29
	s_and_saveexec_b64 s[4:5], vcc
	s_cbranch_execz .LBB166_211
.LBB166_265:
	v_cmp_ge_u32_e32 vcc, v29, v10
                                        ; implicit-def: $vgpr2_vgpr3
	s_and_saveexec_b64 s[6:7], vcc
	s_xor_b64 s[6:7], exec, s[6:7]
; %bb.266:
	v_xor_b32_e32 v2, 0xfffff4ff, v0
	v_ashrrev_i32_e32 v3, 31, v2
	v_add_co_u32_e32 v2, vcc, v7, v2
	v_addc_co_u32_e32 v3, vcc, v8, v3, vcc
                                        ; implicit-def: $vgpr29
; %bb.267:
	s_andn2_saveexec_b64 s[6:7], s[6:7]
; %bb.268:
	v_add_co_u32_e32 v2, vcc, v1, v29
	v_addc_co_u32_e32 v3, vcc, 0, v4, vcc
; %bb.269:
	s_or_b64 exec, exec, s[6:7]
	v_lshlrev_b64 v[2:3], 1, v[2:3]
	v_mov_b32_e32 v11, s29
	v_add_co_u32_e32 v2, vcc, s28, v2
	v_addc_co_u32_e32 v3, vcc, v11, v3, vcc
	s_waitcnt lgkmcnt(8)
	global_store_short v[2:3], v28, off
	s_or_b64 exec, exec, s[4:5]
	v_cmp_gt_u32_e32 vcc, s33, v27
	s_and_saveexec_b64 s[4:5], vcc
	s_cbranch_execnz .LBB166_212
.LBB166_270:
	s_or_b64 exec, exec, s[4:5]
	v_cmp_gt_u32_e32 vcc, s33, v25
	s_and_saveexec_b64 s[4:5], vcc
	s_cbranch_execz .LBB166_217
.LBB166_271:
	v_cmp_ge_u32_e32 vcc, v25, v10
                                        ; implicit-def: $vgpr2_vgpr3
	s_and_saveexec_b64 s[6:7], vcc
	s_xor_b64 s[6:7], exec, s[6:7]
; %bb.272:
	v_xor_b32_e32 v2, 0xfffff2ff, v0
	v_ashrrev_i32_e32 v3, 31, v2
	v_add_co_u32_e32 v2, vcc, v7, v2
	v_addc_co_u32_e32 v3, vcc, v8, v3, vcc
                                        ; implicit-def: $vgpr25
; %bb.273:
	s_andn2_saveexec_b64 s[6:7], s[6:7]
; %bb.274:
	v_add_co_u32_e32 v2, vcc, v1, v25
	v_addc_co_u32_e32 v3, vcc, 0, v4, vcc
; %bb.275:
	s_or_b64 exec, exec, s[6:7]
	v_lshlrev_b64 v[2:3], 1, v[2:3]
	v_mov_b32_e32 v11, s29
	v_add_co_u32_e32 v2, vcc, s28, v2
	v_addc_co_u32_e32 v3, vcc, v11, v3, vcc
	s_waitcnt lgkmcnt(6)
	global_store_short v[2:3], v24, off
	s_or_b64 exec, exec, s[4:5]
	v_cmp_gt_u32_e32 vcc, s33, v23
	s_and_saveexec_b64 s[4:5], vcc
	s_cbranch_execnz .LBB166_218
.LBB166_276:
	s_or_b64 exec, exec, s[4:5]
	v_cmp_gt_u32_e32 vcc, s33, v21
	s_and_saveexec_b64 s[4:5], vcc
	s_cbranch_execz .LBB166_223
.LBB166_277:
	v_cmp_ge_u32_e32 vcc, v21, v10
                                        ; implicit-def: $vgpr2_vgpr3
	s_and_saveexec_b64 s[6:7], vcc
	s_xor_b64 s[6:7], exec, s[6:7]
; %bb.278:
	v_xor_b32_e32 v2, 0xfffff0ff, v0
	v_ashrrev_i32_e32 v3, 31, v2
	v_add_co_u32_e32 v2, vcc, v7, v2
	v_addc_co_u32_e32 v3, vcc, v8, v3, vcc
                                        ; implicit-def: $vgpr21
; %bb.279:
	s_andn2_saveexec_b64 s[6:7], s[6:7]
; %bb.280:
	v_add_co_u32_e32 v2, vcc, v1, v21
	v_addc_co_u32_e32 v3, vcc, 0, v4, vcc
; %bb.281:
	s_or_b64 exec, exec, s[6:7]
	v_lshlrev_b64 v[2:3], 1, v[2:3]
	v_mov_b32_e32 v11, s29
	v_add_co_u32_e32 v2, vcc, s28, v2
	v_addc_co_u32_e32 v3, vcc, v11, v3, vcc
	s_waitcnt lgkmcnt(4)
	global_store_short v[2:3], v20, off
	s_or_b64 exec, exec, s[4:5]
	v_cmp_gt_u32_e32 vcc, s33, v19
	s_and_saveexec_b64 s[4:5], vcc
	s_cbranch_execnz .LBB166_224
.LBB166_282:
	s_or_b64 exec, exec, s[4:5]
	v_cmp_gt_u32_e32 vcc, s33, v17
	s_and_saveexec_b64 s[4:5], vcc
	s_cbranch_execz .LBB166_229
.LBB166_283:
	v_cmp_ge_u32_e32 vcc, v17, v10
                                        ; implicit-def: $vgpr2_vgpr3
	s_and_saveexec_b64 s[6:7], vcc
	s_xor_b64 s[6:7], exec, s[6:7]
; %bb.284:
	v_xor_b32_e32 v2, 0xffffeeff, v0
	v_ashrrev_i32_e32 v3, 31, v2
	v_add_co_u32_e32 v2, vcc, v7, v2
	v_addc_co_u32_e32 v3, vcc, v8, v3, vcc
                                        ; implicit-def: $vgpr17
; %bb.285:
	s_andn2_saveexec_b64 s[6:7], s[6:7]
; %bb.286:
	v_add_co_u32_e32 v2, vcc, v1, v17
	v_addc_co_u32_e32 v3, vcc, 0, v4, vcc
; %bb.287:
	s_or_b64 exec, exec, s[6:7]
	v_lshlrev_b64 v[2:3], 1, v[2:3]
	v_mov_b32_e32 v11, s29
	v_add_co_u32_e32 v2, vcc, s28, v2
	v_addc_co_u32_e32 v3, vcc, v11, v3, vcc
	s_waitcnt lgkmcnt(2)
	global_store_short v[2:3], v16, off
	s_or_b64 exec, exec, s[4:5]
	v_cmp_gt_u32_e32 vcc, s33, v13
	s_and_saveexec_b64 s[4:5], vcc
	s_cbranch_execz .LBB166_230
.LBB166_288:
	v_cmp_ge_u32_e32 vcc, v13, v10
                                        ; implicit-def: $vgpr2_vgpr3
	s_and_saveexec_b64 s[6:7], vcc
	s_xor_b64 s[6:7], exec, s[6:7]
; %bb.289:
	v_xor_b32_e32 v2, 0xffffedff, v0
	v_ashrrev_i32_e32 v3, 31, v2
	v_add_co_u32_e32 v2, vcc, v7, v2
	v_addc_co_u32_e32 v3, vcc, v8, v3, vcc
                                        ; implicit-def: $vgpr13
; %bb.290:
	s_andn2_saveexec_b64 s[6:7], s[6:7]
; %bb.291:
	v_add_co_u32_e32 v2, vcc, v1, v13
	v_addc_co_u32_e32 v3, vcc, 0, v4, vcc
; %bb.292:
	s_or_b64 exec, exec, s[6:7]
	v_lshlrev_b64 v[2:3], 1, v[2:3]
	v_mov_b32_e32 v11, s29
	v_add_co_u32_e32 v2, vcc, s28, v2
	v_addc_co_u32_e32 v3, vcc, v11, v3, vcc
	s_waitcnt lgkmcnt(1)
	global_store_short v[2:3], v9, off
	s_or_b64 exec, exec, s[4:5]
	v_cmp_gt_u32_e32 vcc, s33, v6
                                        ; implicit-def: $vgpr2_vgpr3
	s_and_saveexec_b64 s[4:5], vcc
	s_cbranch_execz .LBB166_231
.LBB166_293:
	v_cmp_ge_u32_e32 vcc, v6, v10
                                        ; implicit-def: $vgpr2_vgpr3
	s_and_saveexec_b64 s[6:7], vcc
	s_xor_b64 s[6:7], exec, s[6:7]
; %bb.294:
	v_xor_b32_e32 v0, 0xffffecff, v0
	v_ashrrev_i32_e32 v3, 31, v0
	v_add_co_u32_e32 v2, vcc, v7, v0
	v_addc_co_u32_e32 v3, vcc, v8, v3, vcc
                                        ; implicit-def: $vgpr6
; %bb.295:
	s_andn2_saveexec_b64 s[6:7], s[6:7]
; %bb.296:
	v_add_co_u32_e32 v2, vcc, v1, v6
	v_addc_co_u32_e32 v3, vcc, 0, v4, vcc
; %bb.297:
	s_or_b64 exec, exec, s[6:7]
	s_or_b64 s[2:3], s[2:3], exec
	s_or_b64 exec, exec, s[4:5]
	s_and_saveexec_b64 s[4:5], s[2:3]
	s_cbranch_execnz .LBB166_172
	s_branch .LBB166_232
	.section	.rodata,"a",@progbits
	.p2align	6, 0x0
	.amdhsa_kernel _ZN7rocprim17ROCPRIM_400000_NS6detail17trampoline_kernelINS0_14default_configENS1_25partition_config_selectorILNS1_17partition_subalgoE3EsNS0_10empty_typeEbEEZZNS1_14partition_implILS5_3ELb0ES3_jN6thrust23THRUST_200600_302600_NS6detail15normal_iteratorINSA_7pointerIsNSA_11hip_rocprim3tagENSA_11use_defaultESG_EEEEPS6_SJ_NS0_5tupleIJPsSJ_EEENSK_IJSJ_SJ_EEES6_PlJ7is_evenIsEEEE10hipError_tPvRmT3_T4_T5_T6_T7_T9_mT8_P12ihipStream_tbDpT10_ENKUlT_T0_E_clISt17integral_constantIbLb0EES19_IbLb1EEEEDaS15_S16_EUlS15_E_NS1_11comp_targetILNS1_3genE4ELNS1_11target_archE910ELNS1_3gpuE8ELNS1_3repE0EEENS1_30default_config_static_selectorELNS0_4arch9wavefront6targetE1EEEvT1_
		.amdhsa_group_segment_fixed_size 10248
		.amdhsa_private_segment_fixed_size 0
		.amdhsa_kernarg_size 136
		.amdhsa_user_sgpr_count 6
		.amdhsa_user_sgpr_private_segment_buffer 1
		.amdhsa_user_sgpr_dispatch_ptr 0
		.amdhsa_user_sgpr_queue_ptr 0
		.amdhsa_user_sgpr_kernarg_segment_ptr 1
		.amdhsa_user_sgpr_dispatch_id 0
		.amdhsa_user_sgpr_flat_scratch_init 0
		.amdhsa_user_sgpr_kernarg_preload_length 0
		.amdhsa_user_sgpr_kernarg_preload_offset 0
		.amdhsa_user_sgpr_private_segment_size 0
		.amdhsa_uses_dynamic_stack 0
		.amdhsa_system_sgpr_private_segment_wavefront_offset 0
		.amdhsa_system_sgpr_workgroup_id_x 1
		.amdhsa_system_sgpr_workgroup_id_y 0
		.amdhsa_system_sgpr_workgroup_id_z 0
		.amdhsa_system_sgpr_workgroup_info 0
		.amdhsa_system_vgpr_workitem_id 0
		.amdhsa_next_free_vgpr 93
		.amdhsa_next_free_sgpr 44
		.amdhsa_accum_offset 96
		.amdhsa_reserve_vcc 1
		.amdhsa_reserve_flat_scratch 0
		.amdhsa_float_round_mode_32 0
		.amdhsa_float_round_mode_16_64 0
		.amdhsa_float_denorm_mode_32 3
		.amdhsa_float_denorm_mode_16_64 3
		.amdhsa_dx10_clamp 1
		.amdhsa_ieee_mode 1
		.amdhsa_fp16_overflow 0
		.amdhsa_tg_split 0
		.amdhsa_exception_fp_ieee_invalid_op 0
		.amdhsa_exception_fp_denorm_src 0
		.amdhsa_exception_fp_ieee_div_zero 0
		.amdhsa_exception_fp_ieee_overflow 0
		.amdhsa_exception_fp_ieee_underflow 0
		.amdhsa_exception_fp_ieee_inexact 0
		.amdhsa_exception_int_div_zero 0
	.end_amdhsa_kernel
	.section	.text._ZN7rocprim17ROCPRIM_400000_NS6detail17trampoline_kernelINS0_14default_configENS1_25partition_config_selectorILNS1_17partition_subalgoE3EsNS0_10empty_typeEbEEZZNS1_14partition_implILS5_3ELb0ES3_jN6thrust23THRUST_200600_302600_NS6detail15normal_iteratorINSA_7pointerIsNSA_11hip_rocprim3tagENSA_11use_defaultESG_EEEEPS6_SJ_NS0_5tupleIJPsSJ_EEENSK_IJSJ_SJ_EEES6_PlJ7is_evenIsEEEE10hipError_tPvRmT3_T4_T5_T6_T7_T9_mT8_P12ihipStream_tbDpT10_ENKUlT_T0_E_clISt17integral_constantIbLb0EES19_IbLb1EEEEDaS15_S16_EUlS15_E_NS1_11comp_targetILNS1_3genE4ELNS1_11target_archE910ELNS1_3gpuE8ELNS1_3repE0EEENS1_30default_config_static_selectorELNS0_4arch9wavefront6targetE1EEEvT1_,"axG",@progbits,_ZN7rocprim17ROCPRIM_400000_NS6detail17trampoline_kernelINS0_14default_configENS1_25partition_config_selectorILNS1_17partition_subalgoE3EsNS0_10empty_typeEbEEZZNS1_14partition_implILS5_3ELb0ES3_jN6thrust23THRUST_200600_302600_NS6detail15normal_iteratorINSA_7pointerIsNSA_11hip_rocprim3tagENSA_11use_defaultESG_EEEEPS6_SJ_NS0_5tupleIJPsSJ_EEENSK_IJSJ_SJ_EEES6_PlJ7is_evenIsEEEE10hipError_tPvRmT3_T4_T5_T6_T7_T9_mT8_P12ihipStream_tbDpT10_ENKUlT_T0_E_clISt17integral_constantIbLb0EES19_IbLb1EEEEDaS15_S16_EUlS15_E_NS1_11comp_targetILNS1_3genE4ELNS1_11target_archE910ELNS1_3gpuE8ELNS1_3repE0EEENS1_30default_config_static_selectorELNS0_4arch9wavefront6targetE1EEEvT1_,comdat
.Lfunc_end166:
	.size	_ZN7rocprim17ROCPRIM_400000_NS6detail17trampoline_kernelINS0_14default_configENS1_25partition_config_selectorILNS1_17partition_subalgoE3EsNS0_10empty_typeEbEEZZNS1_14partition_implILS5_3ELb0ES3_jN6thrust23THRUST_200600_302600_NS6detail15normal_iteratorINSA_7pointerIsNSA_11hip_rocprim3tagENSA_11use_defaultESG_EEEEPS6_SJ_NS0_5tupleIJPsSJ_EEENSK_IJSJ_SJ_EEES6_PlJ7is_evenIsEEEE10hipError_tPvRmT3_T4_T5_T6_T7_T9_mT8_P12ihipStream_tbDpT10_ENKUlT_T0_E_clISt17integral_constantIbLb0EES19_IbLb1EEEEDaS15_S16_EUlS15_E_NS1_11comp_targetILNS1_3genE4ELNS1_11target_archE910ELNS1_3gpuE8ELNS1_3repE0EEENS1_30default_config_static_selectorELNS0_4arch9wavefront6targetE1EEEvT1_, .Lfunc_end166-_ZN7rocprim17ROCPRIM_400000_NS6detail17trampoline_kernelINS0_14default_configENS1_25partition_config_selectorILNS1_17partition_subalgoE3EsNS0_10empty_typeEbEEZZNS1_14partition_implILS5_3ELb0ES3_jN6thrust23THRUST_200600_302600_NS6detail15normal_iteratorINSA_7pointerIsNSA_11hip_rocprim3tagENSA_11use_defaultESG_EEEEPS6_SJ_NS0_5tupleIJPsSJ_EEENSK_IJSJ_SJ_EEES6_PlJ7is_evenIsEEEE10hipError_tPvRmT3_T4_T5_T6_T7_T9_mT8_P12ihipStream_tbDpT10_ENKUlT_T0_E_clISt17integral_constantIbLb0EES19_IbLb1EEEEDaS15_S16_EUlS15_E_NS1_11comp_targetILNS1_3genE4ELNS1_11target_archE910ELNS1_3gpuE8ELNS1_3repE0EEENS1_30default_config_static_selectorELNS0_4arch9wavefront6targetE1EEEvT1_
                                        ; -- End function
	.section	.AMDGPU.csdata,"",@progbits
; Kernel info:
; codeLenInByte = 9568
; NumSgprs: 48
; NumVgprs: 93
; NumAgprs: 0
; TotalNumVgprs: 93
; ScratchSize: 0
; MemoryBound: 0
; FloatMode: 240
; IeeeMode: 1
; LDSByteSize: 10248 bytes/workgroup (compile time only)
; SGPRBlocks: 5
; VGPRBlocks: 11
; NumSGPRsForWavesPerEU: 48
; NumVGPRsForWavesPerEU: 93
; AccumOffset: 96
; Occupancy: 5
; WaveLimiterHint : 1
; COMPUTE_PGM_RSRC2:SCRATCH_EN: 0
; COMPUTE_PGM_RSRC2:USER_SGPR: 6
; COMPUTE_PGM_RSRC2:TRAP_HANDLER: 0
; COMPUTE_PGM_RSRC2:TGID_X_EN: 1
; COMPUTE_PGM_RSRC2:TGID_Y_EN: 0
; COMPUTE_PGM_RSRC2:TGID_Z_EN: 0
; COMPUTE_PGM_RSRC2:TIDIG_COMP_CNT: 0
; COMPUTE_PGM_RSRC3_GFX90A:ACCUM_OFFSET: 23
; COMPUTE_PGM_RSRC3_GFX90A:TG_SPLIT: 0
	.section	.text._ZN7rocprim17ROCPRIM_400000_NS6detail17trampoline_kernelINS0_14default_configENS1_25partition_config_selectorILNS1_17partition_subalgoE3EsNS0_10empty_typeEbEEZZNS1_14partition_implILS5_3ELb0ES3_jN6thrust23THRUST_200600_302600_NS6detail15normal_iteratorINSA_7pointerIsNSA_11hip_rocprim3tagENSA_11use_defaultESG_EEEEPS6_SJ_NS0_5tupleIJPsSJ_EEENSK_IJSJ_SJ_EEES6_PlJ7is_evenIsEEEE10hipError_tPvRmT3_T4_T5_T6_T7_T9_mT8_P12ihipStream_tbDpT10_ENKUlT_T0_E_clISt17integral_constantIbLb0EES19_IbLb1EEEEDaS15_S16_EUlS15_E_NS1_11comp_targetILNS1_3genE3ELNS1_11target_archE908ELNS1_3gpuE7ELNS1_3repE0EEENS1_30default_config_static_selectorELNS0_4arch9wavefront6targetE1EEEvT1_,"axG",@progbits,_ZN7rocprim17ROCPRIM_400000_NS6detail17trampoline_kernelINS0_14default_configENS1_25partition_config_selectorILNS1_17partition_subalgoE3EsNS0_10empty_typeEbEEZZNS1_14partition_implILS5_3ELb0ES3_jN6thrust23THRUST_200600_302600_NS6detail15normal_iteratorINSA_7pointerIsNSA_11hip_rocprim3tagENSA_11use_defaultESG_EEEEPS6_SJ_NS0_5tupleIJPsSJ_EEENSK_IJSJ_SJ_EEES6_PlJ7is_evenIsEEEE10hipError_tPvRmT3_T4_T5_T6_T7_T9_mT8_P12ihipStream_tbDpT10_ENKUlT_T0_E_clISt17integral_constantIbLb0EES19_IbLb1EEEEDaS15_S16_EUlS15_E_NS1_11comp_targetILNS1_3genE3ELNS1_11target_archE908ELNS1_3gpuE7ELNS1_3repE0EEENS1_30default_config_static_selectorELNS0_4arch9wavefront6targetE1EEEvT1_,comdat
	.protected	_ZN7rocprim17ROCPRIM_400000_NS6detail17trampoline_kernelINS0_14default_configENS1_25partition_config_selectorILNS1_17partition_subalgoE3EsNS0_10empty_typeEbEEZZNS1_14partition_implILS5_3ELb0ES3_jN6thrust23THRUST_200600_302600_NS6detail15normal_iteratorINSA_7pointerIsNSA_11hip_rocprim3tagENSA_11use_defaultESG_EEEEPS6_SJ_NS0_5tupleIJPsSJ_EEENSK_IJSJ_SJ_EEES6_PlJ7is_evenIsEEEE10hipError_tPvRmT3_T4_T5_T6_T7_T9_mT8_P12ihipStream_tbDpT10_ENKUlT_T0_E_clISt17integral_constantIbLb0EES19_IbLb1EEEEDaS15_S16_EUlS15_E_NS1_11comp_targetILNS1_3genE3ELNS1_11target_archE908ELNS1_3gpuE7ELNS1_3repE0EEENS1_30default_config_static_selectorELNS0_4arch9wavefront6targetE1EEEvT1_ ; -- Begin function _ZN7rocprim17ROCPRIM_400000_NS6detail17trampoline_kernelINS0_14default_configENS1_25partition_config_selectorILNS1_17partition_subalgoE3EsNS0_10empty_typeEbEEZZNS1_14partition_implILS5_3ELb0ES3_jN6thrust23THRUST_200600_302600_NS6detail15normal_iteratorINSA_7pointerIsNSA_11hip_rocprim3tagENSA_11use_defaultESG_EEEEPS6_SJ_NS0_5tupleIJPsSJ_EEENSK_IJSJ_SJ_EEES6_PlJ7is_evenIsEEEE10hipError_tPvRmT3_T4_T5_T6_T7_T9_mT8_P12ihipStream_tbDpT10_ENKUlT_T0_E_clISt17integral_constantIbLb0EES19_IbLb1EEEEDaS15_S16_EUlS15_E_NS1_11comp_targetILNS1_3genE3ELNS1_11target_archE908ELNS1_3gpuE7ELNS1_3repE0EEENS1_30default_config_static_selectorELNS0_4arch9wavefront6targetE1EEEvT1_
	.globl	_ZN7rocprim17ROCPRIM_400000_NS6detail17trampoline_kernelINS0_14default_configENS1_25partition_config_selectorILNS1_17partition_subalgoE3EsNS0_10empty_typeEbEEZZNS1_14partition_implILS5_3ELb0ES3_jN6thrust23THRUST_200600_302600_NS6detail15normal_iteratorINSA_7pointerIsNSA_11hip_rocprim3tagENSA_11use_defaultESG_EEEEPS6_SJ_NS0_5tupleIJPsSJ_EEENSK_IJSJ_SJ_EEES6_PlJ7is_evenIsEEEE10hipError_tPvRmT3_T4_T5_T6_T7_T9_mT8_P12ihipStream_tbDpT10_ENKUlT_T0_E_clISt17integral_constantIbLb0EES19_IbLb1EEEEDaS15_S16_EUlS15_E_NS1_11comp_targetILNS1_3genE3ELNS1_11target_archE908ELNS1_3gpuE7ELNS1_3repE0EEENS1_30default_config_static_selectorELNS0_4arch9wavefront6targetE1EEEvT1_
	.p2align	8
	.type	_ZN7rocprim17ROCPRIM_400000_NS6detail17trampoline_kernelINS0_14default_configENS1_25partition_config_selectorILNS1_17partition_subalgoE3EsNS0_10empty_typeEbEEZZNS1_14partition_implILS5_3ELb0ES3_jN6thrust23THRUST_200600_302600_NS6detail15normal_iteratorINSA_7pointerIsNSA_11hip_rocprim3tagENSA_11use_defaultESG_EEEEPS6_SJ_NS0_5tupleIJPsSJ_EEENSK_IJSJ_SJ_EEES6_PlJ7is_evenIsEEEE10hipError_tPvRmT3_T4_T5_T6_T7_T9_mT8_P12ihipStream_tbDpT10_ENKUlT_T0_E_clISt17integral_constantIbLb0EES19_IbLb1EEEEDaS15_S16_EUlS15_E_NS1_11comp_targetILNS1_3genE3ELNS1_11target_archE908ELNS1_3gpuE7ELNS1_3repE0EEENS1_30default_config_static_selectorELNS0_4arch9wavefront6targetE1EEEvT1_,@function
_ZN7rocprim17ROCPRIM_400000_NS6detail17trampoline_kernelINS0_14default_configENS1_25partition_config_selectorILNS1_17partition_subalgoE3EsNS0_10empty_typeEbEEZZNS1_14partition_implILS5_3ELb0ES3_jN6thrust23THRUST_200600_302600_NS6detail15normal_iteratorINSA_7pointerIsNSA_11hip_rocprim3tagENSA_11use_defaultESG_EEEEPS6_SJ_NS0_5tupleIJPsSJ_EEENSK_IJSJ_SJ_EEES6_PlJ7is_evenIsEEEE10hipError_tPvRmT3_T4_T5_T6_T7_T9_mT8_P12ihipStream_tbDpT10_ENKUlT_T0_E_clISt17integral_constantIbLb0EES19_IbLb1EEEEDaS15_S16_EUlS15_E_NS1_11comp_targetILNS1_3genE3ELNS1_11target_archE908ELNS1_3gpuE7ELNS1_3repE0EEENS1_30default_config_static_selectorELNS0_4arch9wavefront6targetE1EEEvT1_: ; @_ZN7rocprim17ROCPRIM_400000_NS6detail17trampoline_kernelINS0_14default_configENS1_25partition_config_selectorILNS1_17partition_subalgoE3EsNS0_10empty_typeEbEEZZNS1_14partition_implILS5_3ELb0ES3_jN6thrust23THRUST_200600_302600_NS6detail15normal_iteratorINSA_7pointerIsNSA_11hip_rocprim3tagENSA_11use_defaultESG_EEEEPS6_SJ_NS0_5tupleIJPsSJ_EEENSK_IJSJ_SJ_EEES6_PlJ7is_evenIsEEEE10hipError_tPvRmT3_T4_T5_T6_T7_T9_mT8_P12ihipStream_tbDpT10_ENKUlT_T0_E_clISt17integral_constantIbLb0EES19_IbLb1EEEEDaS15_S16_EUlS15_E_NS1_11comp_targetILNS1_3genE3ELNS1_11target_archE908ELNS1_3gpuE7ELNS1_3repE0EEENS1_30default_config_static_selectorELNS0_4arch9wavefront6targetE1EEEvT1_
; %bb.0:
	.section	.rodata,"a",@progbits
	.p2align	6, 0x0
	.amdhsa_kernel _ZN7rocprim17ROCPRIM_400000_NS6detail17trampoline_kernelINS0_14default_configENS1_25partition_config_selectorILNS1_17partition_subalgoE3EsNS0_10empty_typeEbEEZZNS1_14partition_implILS5_3ELb0ES3_jN6thrust23THRUST_200600_302600_NS6detail15normal_iteratorINSA_7pointerIsNSA_11hip_rocprim3tagENSA_11use_defaultESG_EEEEPS6_SJ_NS0_5tupleIJPsSJ_EEENSK_IJSJ_SJ_EEES6_PlJ7is_evenIsEEEE10hipError_tPvRmT3_T4_T5_T6_T7_T9_mT8_P12ihipStream_tbDpT10_ENKUlT_T0_E_clISt17integral_constantIbLb0EES19_IbLb1EEEEDaS15_S16_EUlS15_E_NS1_11comp_targetILNS1_3genE3ELNS1_11target_archE908ELNS1_3gpuE7ELNS1_3repE0EEENS1_30default_config_static_selectorELNS0_4arch9wavefront6targetE1EEEvT1_
		.amdhsa_group_segment_fixed_size 0
		.amdhsa_private_segment_fixed_size 0
		.amdhsa_kernarg_size 136
		.amdhsa_user_sgpr_count 6
		.amdhsa_user_sgpr_private_segment_buffer 1
		.amdhsa_user_sgpr_dispatch_ptr 0
		.amdhsa_user_sgpr_queue_ptr 0
		.amdhsa_user_sgpr_kernarg_segment_ptr 1
		.amdhsa_user_sgpr_dispatch_id 0
		.amdhsa_user_sgpr_flat_scratch_init 0
		.amdhsa_user_sgpr_kernarg_preload_length 0
		.amdhsa_user_sgpr_kernarg_preload_offset 0
		.amdhsa_user_sgpr_private_segment_size 0
		.amdhsa_uses_dynamic_stack 0
		.amdhsa_system_sgpr_private_segment_wavefront_offset 0
		.amdhsa_system_sgpr_workgroup_id_x 1
		.amdhsa_system_sgpr_workgroup_id_y 0
		.amdhsa_system_sgpr_workgroup_id_z 0
		.amdhsa_system_sgpr_workgroup_info 0
		.amdhsa_system_vgpr_workitem_id 0
		.amdhsa_next_free_vgpr 1
		.amdhsa_next_free_sgpr 0
		.amdhsa_accum_offset 4
		.amdhsa_reserve_vcc 0
		.amdhsa_reserve_flat_scratch 0
		.amdhsa_float_round_mode_32 0
		.amdhsa_float_round_mode_16_64 0
		.amdhsa_float_denorm_mode_32 3
		.amdhsa_float_denorm_mode_16_64 3
		.amdhsa_dx10_clamp 1
		.amdhsa_ieee_mode 1
		.amdhsa_fp16_overflow 0
		.amdhsa_tg_split 0
		.amdhsa_exception_fp_ieee_invalid_op 0
		.amdhsa_exception_fp_denorm_src 0
		.amdhsa_exception_fp_ieee_div_zero 0
		.amdhsa_exception_fp_ieee_overflow 0
		.amdhsa_exception_fp_ieee_underflow 0
		.amdhsa_exception_fp_ieee_inexact 0
		.amdhsa_exception_int_div_zero 0
	.end_amdhsa_kernel
	.section	.text._ZN7rocprim17ROCPRIM_400000_NS6detail17trampoline_kernelINS0_14default_configENS1_25partition_config_selectorILNS1_17partition_subalgoE3EsNS0_10empty_typeEbEEZZNS1_14partition_implILS5_3ELb0ES3_jN6thrust23THRUST_200600_302600_NS6detail15normal_iteratorINSA_7pointerIsNSA_11hip_rocprim3tagENSA_11use_defaultESG_EEEEPS6_SJ_NS0_5tupleIJPsSJ_EEENSK_IJSJ_SJ_EEES6_PlJ7is_evenIsEEEE10hipError_tPvRmT3_T4_T5_T6_T7_T9_mT8_P12ihipStream_tbDpT10_ENKUlT_T0_E_clISt17integral_constantIbLb0EES19_IbLb1EEEEDaS15_S16_EUlS15_E_NS1_11comp_targetILNS1_3genE3ELNS1_11target_archE908ELNS1_3gpuE7ELNS1_3repE0EEENS1_30default_config_static_selectorELNS0_4arch9wavefront6targetE1EEEvT1_,"axG",@progbits,_ZN7rocprim17ROCPRIM_400000_NS6detail17trampoline_kernelINS0_14default_configENS1_25partition_config_selectorILNS1_17partition_subalgoE3EsNS0_10empty_typeEbEEZZNS1_14partition_implILS5_3ELb0ES3_jN6thrust23THRUST_200600_302600_NS6detail15normal_iteratorINSA_7pointerIsNSA_11hip_rocprim3tagENSA_11use_defaultESG_EEEEPS6_SJ_NS0_5tupleIJPsSJ_EEENSK_IJSJ_SJ_EEES6_PlJ7is_evenIsEEEE10hipError_tPvRmT3_T4_T5_T6_T7_T9_mT8_P12ihipStream_tbDpT10_ENKUlT_T0_E_clISt17integral_constantIbLb0EES19_IbLb1EEEEDaS15_S16_EUlS15_E_NS1_11comp_targetILNS1_3genE3ELNS1_11target_archE908ELNS1_3gpuE7ELNS1_3repE0EEENS1_30default_config_static_selectorELNS0_4arch9wavefront6targetE1EEEvT1_,comdat
.Lfunc_end167:
	.size	_ZN7rocprim17ROCPRIM_400000_NS6detail17trampoline_kernelINS0_14default_configENS1_25partition_config_selectorILNS1_17partition_subalgoE3EsNS0_10empty_typeEbEEZZNS1_14partition_implILS5_3ELb0ES3_jN6thrust23THRUST_200600_302600_NS6detail15normal_iteratorINSA_7pointerIsNSA_11hip_rocprim3tagENSA_11use_defaultESG_EEEEPS6_SJ_NS0_5tupleIJPsSJ_EEENSK_IJSJ_SJ_EEES6_PlJ7is_evenIsEEEE10hipError_tPvRmT3_T4_T5_T6_T7_T9_mT8_P12ihipStream_tbDpT10_ENKUlT_T0_E_clISt17integral_constantIbLb0EES19_IbLb1EEEEDaS15_S16_EUlS15_E_NS1_11comp_targetILNS1_3genE3ELNS1_11target_archE908ELNS1_3gpuE7ELNS1_3repE0EEENS1_30default_config_static_selectorELNS0_4arch9wavefront6targetE1EEEvT1_, .Lfunc_end167-_ZN7rocprim17ROCPRIM_400000_NS6detail17trampoline_kernelINS0_14default_configENS1_25partition_config_selectorILNS1_17partition_subalgoE3EsNS0_10empty_typeEbEEZZNS1_14partition_implILS5_3ELb0ES3_jN6thrust23THRUST_200600_302600_NS6detail15normal_iteratorINSA_7pointerIsNSA_11hip_rocprim3tagENSA_11use_defaultESG_EEEEPS6_SJ_NS0_5tupleIJPsSJ_EEENSK_IJSJ_SJ_EEES6_PlJ7is_evenIsEEEE10hipError_tPvRmT3_T4_T5_T6_T7_T9_mT8_P12ihipStream_tbDpT10_ENKUlT_T0_E_clISt17integral_constantIbLb0EES19_IbLb1EEEEDaS15_S16_EUlS15_E_NS1_11comp_targetILNS1_3genE3ELNS1_11target_archE908ELNS1_3gpuE7ELNS1_3repE0EEENS1_30default_config_static_selectorELNS0_4arch9wavefront6targetE1EEEvT1_
                                        ; -- End function
	.section	.AMDGPU.csdata,"",@progbits
; Kernel info:
; codeLenInByte = 0
; NumSgprs: 4
; NumVgprs: 0
; NumAgprs: 0
; TotalNumVgprs: 0
; ScratchSize: 0
; MemoryBound: 0
; FloatMode: 240
; IeeeMode: 1
; LDSByteSize: 0 bytes/workgroup (compile time only)
; SGPRBlocks: 0
; VGPRBlocks: 0
; NumSGPRsForWavesPerEU: 4
; NumVGPRsForWavesPerEU: 1
; AccumOffset: 4
; Occupancy: 8
; WaveLimiterHint : 0
; COMPUTE_PGM_RSRC2:SCRATCH_EN: 0
; COMPUTE_PGM_RSRC2:USER_SGPR: 6
; COMPUTE_PGM_RSRC2:TRAP_HANDLER: 0
; COMPUTE_PGM_RSRC2:TGID_X_EN: 1
; COMPUTE_PGM_RSRC2:TGID_Y_EN: 0
; COMPUTE_PGM_RSRC2:TGID_Z_EN: 0
; COMPUTE_PGM_RSRC2:TIDIG_COMP_CNT: 0
; COMPUTE_PGM_RSRC3_GFX90A:ACCUM_OFFSET: 0
; COMPUTE_PGM_RSRC3_GFX90A:TG_SPLIT: 0
	.section	.text._ZN7rocprim17ROCPRIM_400000_NS6detail17trampoline_kernelINS0_14default_configENS1_25partition_config_selectorILNS1_17partition_subalgoE3EsNS0_10empty_typeEbEEZZNS1_14partition_implILS5_3ELb0ES3_jN6thrust23THRUST_200600_302600_NS6detail15normal_iteratorINSA_7pointerIsNSA_11hip_rocprim3tagENSA_11use_defaultESG_EEEEPS6_SJ_NS0_5tupleIJPsSJ_EEENSK_IJSJ_SJ_EEES6_PlJ7is_evenIsEEEE10hipError_tPvRmT3_T4_T5_T6_T7_T9_mT8_P12ihipStream_tbDpT10_ENKUlT_T0_E_clISt17integral_constantIbLb0EES19_IbLb1EEEEDaS15_S16_EUlS15_E_NS1_11comp_targetILNS1_3genE2ELNS1_11target_archE906ELNS1_3gpuE6ELNS1_3repE0EEENS1_30default_config_static_selectorELNS0_4arch9wavefront6targetE1EEEvT1_,"axG",@progbits,_ZN7rocprim17ROCPRIM_400000_NS6detail17trampoline_kernelINS0_14default_configENS1_25partition_config_selectorILNS1_17partition_subalgoE3EsNS0_10empty_typeEbEEZZNS1_14partition_implILS5_3ELb0ES3_jN6thrust23THRUST_200600_302600_NS6detail15normal_iteratorINSA_7pointerIsNSA_11hip_rocprim3tagENSA_11use_defaultESG_EEEEPS6_SJ_NS0_5tupleIJPsSJ_EEENSK_IJSJ_SJ_EEES6_PlJ7is_evenIsEEEE10hipError_tPvRmT3_T4_T5_T6_T7_T9_mT8_P12ihipStream_tbDpT10_ENKUlT_T0_E_clISt17integral_constantIbLb0EES19_IbLb1EEEEDaS15_S16_EUlS15_E_NS1_11comp_targetILNS1_3genE2ELNS1_11target_archE906ELNS1_3gpuE6ELNS1_3repE0EEENS1_30default_config_static_selectorELNS0_4arch9wavefront6targetE1EEEvT1_,comdat
	.protected	_ZN7rocprim17ROCPRIM_400000_NS6detail17trampoline_kernelINS0_14default_configENS1_25partition_config_selectorILNS1_17partition_subalgoE3EsNS0_10empty_typeEbEEZZNS1_14partition_implILS5_3ELb0ES3_jN6thrust23THRUST_200600_302600_NS6detail15normal_iteratorINSA_7pointerIsNSA_11hip_rocprim3tagENSA_11use_defaultESG_EEEEPS6_SJ_NS0_5tupleIJPsSJ_EEENSK_IJSJ_SJ_EEES6_PlJ7is_evenIsEEEE10hipError_tPvRmT3_T4_T5_T6_T7_T9_mT8_P12ihipStream_tbDpT10_ENKUlT_T0_E_clISt17integral_constantIbLb0EES19_IbLb1EEEEDaS15_S16_EUlS15_E_NS1_11comp_targetILNS1_3genE2ELNS1_11target_archE906ELNS1_3gpuE6ELNS1_3repE0EEENS1_30default_config_static_selectorELNS0_4arch9wavefront6targetE1EEEvT1_ ; -- Begin function _ZN7rocprim17ROCPRIM_400000_NS6detail17trampoline_kernelINS0_14default_configENS1_25partition_config_selectorILNS1_17partition_subalgoE3EsNS0_10empty_typeEbEEZZNS1_14partition_implILS5_3ELb0ES3_jN6thrust23THRUST_200600_302600_NS6detail15normal_iteratorINSA_7pointerIsNSA_11hip_rocprim3tagENSA_11use_defaultESG_EEEEPS6_SJ_NS0_5tupleIJPsSJ_EEENSK_IJSJ_SJ_EEES6_PlJ7is_evenIsEEEE10hipError_tPvRmT3_T4_T5_T6_T7_T9_mT8_P12ihipStream_tbDpT10_ENKUlT_T0_E_clISt17integral_constantIbLb0EES19_IbLb1EEEEDaS15_S16_EUlS15_E_NS1_11comp_targetILNS1_3genE2ELNS1_11target_archE906ELNS1_3gpuE6ELNS1_3repE0EEENS1_30default_config_static_selectorELNS0_4arch9wavefront6targetE1EEEvT1_
	.globl	_ZN7rocprim17ROCPRIM_400000_NS6detail17trampoline_kernelINS0_14default_configENS1_25partition_config_selectorILNS1_17partition_subalgoE3EsNS0_10empty_typeEbEEZZNS1_14partition_implILS5_3ELb0ES3_jN6thrust23THRUST_200600_302600_NS6detail15normal_iteratorINSA_7pointerIsNSA_11hip_rocprim3tagENSA_11use_defaultESG_EEEEPS6_SJ_NS0_5tupleIJPsSJ_EEENSK_IJSJ_SJ_EEES6_PlJ7is_evenIsEEEE10hipError_tPvRmT3_T4_T5_T6_T7_T9_mT8_P12ihipStream_tbDpT10_ENKUlT_T0_E_clISt17integral_constantIbLb0EES19_IbLb1EEEEDaS15_S16_EUlS15_E_NS1_11comp_targetILNS1_3genE2ELNS1_11target_archE906ELNS1_3gpuE6ELNS1_3repE0EEENS1_30default_config_static_selectorELNS0_4arch9wavefront6targetE1EEEvT1_
	.p2align	8
	.type	_ZN7rocprim17ROCPRIM_400000_NS6detail17trampoline_kernelINS0_14default_configENS1_25partition_config_selectorILNS1_17partition_subalgoE3EsNS0_10empty_typeEbEEZZNS1_14partition_implILS5_3ELb0ES3_jN6thrust23THRUST_200600_302600_NS6detail15normal_iteratorINSA_7pointerIsNSA_11hip_rocprim3tagENSA_11use_defaultESG_EEEEPS6_SJ_NS0_5tupleIJPsSJ_EEENSK_IJSJ_SJ_EEES6_PlJ7is_evenIsEEEE10hipError_tPvRmT3_T4_T5_T6_T7_T9_mT8_P12ihipStream_tbDpT10_ENKUlT_T0_E_clISt17integral_constantIbLb0EES19_IbLb1EEEEDaS15_S16_EUlS15_E_NS1_11comp_targetILNS1_3genE2ELNS1_11target_archE906ELNS1_3gpuE6ELNS1_3repE0EEENS1_30default_config_static_selectorELNS0_4arch9wavefront6targetE1EEEvT1_,@function
_ZN7rocprim17ROCPRIM_400000_NS6detail17trampoline_kernelINS0_14default_configENS1_25partition_config_selectorILNS1_17partition_subalgoE3EsNS0_10empty_typeEbEEZZNS1_14partition_implILS5_3ELb0ES3_jN6thrust23THRUST_200600_302600_NS6detail15normal_iteratorINSA_7pointerIsNSA_11hip_rocprim3tagENSA_11use_defaultESG_EEEEPS6_SJ_NS0_5tupleIJPsSJ_EEENSK_IJSJ_SJ_EEES6_PlJ7is_evenIsEEEE10hipError_tPvRmT3_T4_T5_T6_T7_T9_mT8_P12ihipStream_tbDpT10_ENKUlT_T0_E_clISt17integral_constantIbLb0EES19_IbLb1EEEEDaS15_S16_EUlS15_E_NS1_11comp_targetILNS1_3genE2ELNS1_11target_archE906ELNS1_3gpuE6ELNS1_3repE0EEENS1_30default_config_static_selectorELNS0_4arch9wavefront6targetE1EEEvT1_: ; @_ZN7rocprim17ROCPRIM_400000_NS6detail17trampoline_kernelINS0_14default_configENS1_25partition_config_selectorILNS1_17partition_subalgoE3EsNS0_10empty_typeEbEEZZNS1_14partition_implILS5_3ELb0ES3_jN6thrust23THRUST_200600_302600_NS6detail15normal_iteratorINSA_7pointerIsNSA_11hip_rocprim3tagENSA_11use_defaultESG_EEEEPS6_SJ_NS0_5tupleIJPsSJ_EEENSK_IJSJ_SJ_EEES6_PlJ7is_evenIsEEEE10hipError_tPvRmT3_T4_T5_T6_T7_T9_mT8_P12ihipStream_tbDpT10_ENKUlT_T0_E_clISt17integral_constantIbLb0EES19_IbLb1EEEEDaS15_S16_EUlS15_E_NS1_11comp_targetILNS1_3genE2ELNS1_11target_archE906ELNS1_3gpuE6ELNS1_3repE0EEENS1_30default_config_static_selectorELNS0_4arch9wavefront6targetE1EEEvT1_
; %bb.0:
	.section	.rodata,"a",@progbits
	.p2align	6, 0x0
	.amdhsa_kernel _ZN7rocprim17ROCPRIM_400000_NS6detail17trampoline_kernelINS0_14default_configENS1_25partition_config_selectorILNS1_17partition_subalgoE3EsNS0_10empty_typeEbEEZZNS1_14partition_implILS5_3ELb0ES3_jN6thrust23THRUST_200600_302600_NS6detail15normal_iteratorINSA_7pointerIsNSA_11hip_rocprim3tagENSA_11use_defaultESG_EEEEPS6_SJ_NS0_5tupleIJPsSJ_EEENSK_IJSJ_SJ_EEES6_PlJ7is_evenIsEEEE10hipError_tPvRmT3_T4_T5_T6_T7_T9_mT8_P12ihipStream_tbDpT10_ENKUlT_T0_E_clISt17integral_constantIbLb0EES19_IbLb1EEEEDaS15_S16_EUlS15_E_NS1_11comp_targetILNS1_3genE2ELNS1_11target_archE906ELNS1_3gpuE6ELNS1_3repE0EEENS1_30default_config_static_selectorELNS0_4arch9wavefront6targetE1EEEvT1_
		.amdhsa_group_segment_fixed_size 0
		.amdhsa_private_segment_fixed_size 0
		.amdhsa_kernarg_size 136
		.amdhsa_user_sgpr_count 6
		.amdhsa_user_sgpr_private_segment_buffer 1
		.amdhsa_user_sgpr_dispatch_ptr 0
		.amdhsa_user_sgpr_queue_ptr 0
		.amdhsa_user_sgpr_kernarg_segment_ptr 1
		.amdhsa_user_sgpr_dispatch_id 0
		.amdhsa_user_sgpr_flat_scratch_init 0
		.amdhsa_user_sgpr_kernarg_preload_length 0
		.amdhsa_user_sgpr_kernarg_preload_offset 0
		.amdhsa_user_sgpr_private_segment_size 0
		.amdhsa_uses_dynamic_stack 0
		.amdhsa_system_sgpr_private_segment_wavefront_offset 0
		.amdhsa_system_sgpr_workgroup_id_x 1
		.amdhsa_system_sgpr_workgroup_id_y 0
		.amdhsa_system_sgpr_workgroup_id_z 0
		.amdhsa_system_sgpr_workgroup_info 0
		.amdhsa_system_vgpr_workitem_id 0
		.amdhsa_next_free_vgpr 1
		.amdhsa_next_free_sgpr 0
		.amdhsa_accum_offset 4
		.amdhsa_reserve_vcc 0
		.amdhsa_reserve_flat_scratch 0
		.amdhsa_float_round_mode_32 0
		.amdhsa_float_round_mode_16_64 0
		.amdhsa_float_denorm_mode_32 3
		.amdhsa_float_denorm_mode_16_64 3
		.amdhsa_dx10_clamp 1
		.amdhsa_ieee_mode 1
		.amdhsa_fp16_overflow 0
		.amdhsa_tg_split 0
		.amdhsa_exception_fp_ieee_invalid_op 0
		.amdhsa_exception_fp_denorm_src 0
		.amdhsa_exception_fp_ieee_div_zero 0
		.amdhsa_exception_fp_ieee_overflow 0
		.amdhsa_exception_fp_ieee_underflow 0
		.amdhsa_exception_fp_ieee_inexact 0
		.amdhsa_exception_int_div_zero 0
	.end_amdhsa_kernel
	.section	.text._ZN7rocprim17ROCPRIM_400000_NS6detail17trampoline_kernelINS0_14default_configENS1_25partition_config_selectorILNS1_17partition_subalgoE3EsNS0_10empty_typeEbEEZZNS1_14partition_implILS5_3ELb0ES3_jN6thrust23THRUST_200600_302600_NS6detail15normal_iteratorINSA_7pointerIsNSA_11hip_rocprim3tagENSA_11use_defaultESG_EEEEPS6_SJ_NS0_5tupleIJPsSJ_EEENSK_IJSJ_SJ_EEES6_PlJ7is_evenIsEEEE10hipError_tPvRmT3_T4_T5_T6_T7_T9_mT8_P12ihipStream_tbDpT10_ENKUlT_T0_E_clISt17integral_constantIbLb0EES19_IbLb1EEEEDaS15_S16_EUlS15_E_NS1_11comp_targetILNS1_3genE2ELNS1_11target_archE906ELNS1_3gpuE6ELNS1_3repE0EEENS1_30default_config_static_selectorELNS0_4arch9wavefront6targetE1EEEvT1_,"axG",@progbits,_ZN7rocprim17ROCPRIM_400000_NS6detail17trampoline_kernelINS0_14default_configENS1_25partition_config_selectorILNS1_17partition_subalgoE3EsNS0_10empty_typeEbEEZZNS1_14partition_implILS5_3ELb0ES3_jN6thrust23THRUST_200600_302600_NS6detail15normal_iteratorINSA_7pointerIsNSA_11hip_rocprim3tagENSA_11use_defaultESG_EEEEPS6_SJ_NS0_5tupleIJPsSJ_EEENSK_IJSJ_SJ_EEES6_PlJ7is_evenIsEEEE10hipError_tPvRmT3_T4_T5_T6_T7_T9_mT8_P12ihipStream_tbDpT10_ENKUlT_T0_E_clISt17integral_constantIbLb0EES19_IbLb1EEEEDaS15_S16_EUlS15_E_NS1_11comp_targetILNS1_3genE2ELNS1_11target_archE906ELNS1_3gpuE6ELNS1_3repE0EEENS1_30default_config_static_selectorELNS0_4arch9wavefront6targetE1EEEvT1_,comdat
.Lfunc_end168:
	.size	_ZN7rocprim17ROCPRIM_400000_NS6detail17trampoline_kernelINS0_14default_configENS1_25partition_config_selectorILNS1_17partition_subalgoE3EsNS0_10empty_typeEbEEZZNS1_14partition_implILS5_3ELb0ES3_jN6thrust23THRUST_200600_302600_NS6detail15normal_iteratorINSA_7pointerIsNSA_11hip_rocprim3tagENSA_11use_defaultESG_EEEEPS6_SJ_NS0_5tupleIJPsSJ_EEENSK_IJSJ_SJ_EEES6_PlJ7is_evenIsEEEE10hipError_tPvRmT3_T4_T5_T6_T7_T9_mT8_P12ihipStream_tbDpT10_ENKUlT_T0_E_clISt17integral_constantIbLb0EES19_IbLb1EEEEDaS15_S16_EUlS15_E_NS1_11comp_targetILNS1_3genE2ELNS1_11target_archE906ELNS1_3gpuE6ELNS1_3repE0EEENS1_30default_config_static_selectorELNS0_4arch9wavefront6targetE1EEEvT1_, .Lfunc_end168-_ZN7rocprim17ROCPRIM_400000_NS6detail17trampoline_kernelINS0_14default_configENS1_25partition_config_selectorILNS1_17partition_subalgoE3EsNS0_10empty_typeEbEEZZNS1_14partition_implILS5_3ELb0ES3_jN6thrust23THRUST_200600_302600_NS6detail15normal_iteratorINSA_7pointerIsNSA_11hip_rocprim3tagENSA_11use_defaultESG_EEEEPS6_SJ_NS0_5tupleIJPsSJ_EEENSK_IJSJ_SJ_EEES6_PlJ7is_evenIsEEEE10hipError_tPvRmT3_T4_T5_T6_T7_T9_mT8_P12ihipStream_tbDpT10_ENKUlT_T0_E_clISt17integral_constantIbLb0EES19_IbLb1EEEEDaS15_S16_EUlS15_E_NS1_11comp_targetILNS1_3genE2ELNS1_11target_archE906ELNS1_3gpuE6ELNS1_3repE0EEENS1_30default_config_static_selectorELNS0_4arch9wavefront6targetE1EEEvT1_
                                        ; -- End function
	.section	.AMDGPU.csdata,"",@progbits
; Kernel info:
; codeLenInByte = 0
; NumSgprs: 4
; NumVgprs: 0
; NumAgprs: 0
; TotalNumVgprs: 0
; ScratchSize: 0
; MemoryBound: 0
; FloatMode: 240
; IeeeMode: 1
; LDSByteSize: 0 bytes/workgroup (compile time only)
; SGPRBlocks: 0
; VGPRBlocks: 0
; NumSGPRsForWavesPerEU: 4
; NumVGPRsForWavesPerEU: 1
; AccumOffset: 4
; Occupancy: 8
; WaveLimiterHint : 0
; COMPUTE_PGM_RSRC2:SCRATCH_EN: 0
; COMPUTE_PGM_RSRC2:USER_SGPR: 6
; COMPUTE_PGM_RSRC2:TRAP_HANDLER: 0
; COMPUTE_PGM_RSRC2:TGID_X_EN: 1
; COMPUTE_PGM_RSRC2:TGID_Y_EN: 0
; COMPUTE_PGM_RSRC2:TGID_Z_EN: 0
; COMPUTE_PGM_RSRC2:TIDIG_COMP_CNT: 0
; COMPUTE_PGM_RSRC3_GFX90A:ACCUM_OFFSET: 0
; COMPUTE_PGM_RSRC3_GFX90A:TG_SPLIT: 0
	.section	.text._ZN7rocprim17ROCPRIM_400000_NS6detail17trampoline_kernelINS0_14default_configENS1_25partition_config_selectorILNS1_17partition_subalgoE3EsNS0_10empty_typeEbEEZZNS1_14partition_implILS5_3ELb0ES3_jN6thrust23THRUST_200600_302600_NS6detail15normal_iteratorINSA_7pointerIsNSA_11hip_rocprim3tagENSA_11use_defaultESG_EEEEPS6_SJ_NS0_5tupleIJPsSJ_EEENSK_IJSJ_SJ_EEES6_PlJ7is_evenIsEEEE10hipError_tPvRmT3_T4_T5_T6_T7_T9_mT8_P12ihipStream_tbDpT10_ENKUlT_T0_E_clISt17integral_constantIbLb0EES19_IbLb1EEEEDaS15_S16_EUlS15_E_NS1_11comp_targetILNS1_3genE10ELNS1_11target_archE1200ELNS1_3gpuE4ELNS1_3repE0EEENS1_30default_config_static_selectorELNS0_4arch9wavefront6targetE1EEEvT1_,"axG",@progbits,_ZN7rocprim17ROCPRIM_400000_NS6detail17trampoline_kernelINS0_14default_configENS1_25partition_config_selectorILNS1_17partition_subalgoE3EsNS0_10empty_typeEbEEZZNS1_14partition_implILS5_3ELb0ES3_jN6thrust23THRUST_200600_302600_NS6detail15normal_iteratorINSA_7pointerIsNSA_11hip_rocprim3tagENSA_11use_defaultESG_EEEEPS6_SJ_NS0_5tupleIJPsSJ_EEENSK_IJSJ_SJ_EEES6_PlJ7is_evenIsEEEE10hipError_tPvRmT3_T4_T5_T6_T7_T9_mT8_P12ihipStream_tbDpT10_ENKUlT_T0_E_clISt17integral_constantIbLb0EES19_IbLb1EEEEDaS15_S16_EUlS15_E_NS1_11comp_targetILNS1_3genE10ELNS1_11target_archE1200ELNS1_3gpuE4ELNS1_3repE0EEENS1_30default_config_static_selectorELNS0_4arch9wavefront6targetE1EEEvT1_,comdat
	.protected	_ZN7rocprim17ROCPRIM_400000_NS6detail17trampoline_kernelINS0_14default_configENS1_25partition_config_selectorILNS1_17partition_subalgoE3EsNS0_10empty_typeEbEEZZNS1_14partition_implILS5_3ELb0ES3_jN6thrust23THRUST_200600_302600_NS6detail15normal_iteratorINSA_7pointerIsNSA_11hip_rocprim3tagENSA_11use_defaultESG_EEEEPS6_SJ_NS0_5tupleIJPsSJ_EEENSK_IJSJ_SJ_EEES6_PlJ7is_evenIsEEEE10hipError_tPvRmT3_T4_T5_T6_T7_T9_mT8_P12ihipStream_tbDpT10_ENKUlT_T0_E_clISt17integral_constantIbLb0EES19_IbLb1EEEEDaS15_S16_EUlS15_E_NS1_11comp_targetILNS1_3genE10ELNS1_11target_archE1200ELNS1_3gpuE4ELNS1_3repE0EEENS1_30default_config_static_selectorELNS0_4arch9wavefront6targetE1EEEvT1_ ; -- Begin function _ZN7rocprim17ROCPRIM_400000_NS6detail17trampoline_kernelINS0_14default_configENS1_25partition_config_selectorILNS1_17partition_subalgoE3EsNS0_10empty_typeEbEEZZNS1_14partition_implILS5_3ELb0ES3_jN6thrust23THRUST_200600_302600_NS6detail15normal_iteratorINSA_7pointerIsNSA_11hip_rocprim3tagENSA_11use_defaultESG_EEEEPS6_SJ_NS0_5tupleIJPsSJ_EEENSK_IJSJ_SJ_EEES6_PlJ7is_evenIsEEEE10hipError_tPvRmT3_T4_T5_T6_T7_T9_mT8_P12ihipStream_tbDpT10_ENKUlT_T0_E_clISt17integral_constantIbLb0EES19_IbLb1EEEEDaS15_S16_EUlS15_E_NS1_11comp_targetILNS1_3genE10ELNS1_11target_archE1200ELNS1_3gpuE4ELNS1_3repE0EEENS1_30default_config_static_selectorELNS0_4arch9wavefront6targetE1EEEvT1_
	.globl	_ZN7rocprim17ROCPRIM_400000_NS6detail17trampoline_kernelINS0_14default_configENS1_25partition_config_selectorILNS1_17partition_subalgoE3EsNS0_10empty_typeEbEEZZNS1_14partition_implILS5_3ELb0ES3_jN6thrust23THRUST_200600_302600_NS6detail15normal_iteratorINSA_7pointerIsNSA_11hip_rocprim3tagENSA_11use_defaultESG_EEEEPS6_SJ_NS0_5tupleIJPsSJ_EEENSK_IJSJ_SJ_EEES6_PlJ7is_evenIsEEEE10hipError_tPvRmT3_T4_T5_T6_T7_T9_mT8_P12ihipStream_tbDpT10_ENKUlT_T0_E_clISt17integral_constantIbLb0EES19_IbLb1EEEEDaS15_S16_EUlS15_E_NS1_11comp_targetILNS1_3genE10ELNS1_11target_archE1200ELNS1_3gpuE4ELNS1_3repE0EEENS1_30default_config_static_selectorELNS0_4arch9wavefront6targetE1EEEvT1_
	.p2align	8
	.type	_ZN7rocprim17ROCPRIM_400000_NS6detail17trampoline_kernelINS0_14default_configENS1_25partition_config_selectorILNS1_17partition_subalgoE3EsNS0_10empty_typeEbEEZZNS1_14partition_implILS5_3ELb0ES3_jN6thrust23THRUST_200600_302600_NS6detail15normal_iteratorINSA_7pointerIsNSA_11hip_rocprim3tagENSA_11use_defaultESG_EEEEPS6_SJ_NS0_5tupleIJPsSJ_EEENSK_IJSJ_SJ_EEES6_PlJ7is_evenIsEEEE10hipError_tPvRmT3_T4_T5_T6_T7_T9_mT8_P12ihipStream_tbDpT10_ENKUlT_T0_E_clISt17integral_constantIbLb0EES19_IbLb1EEEEDaS15_S16_EUlS15_E_NS1_11comp_targetILNS1_3genE10ELNS1_11target_archE1200ELNS1_3gpuE4ELNS1_3repE0EEENS1_30default_config_static_selectorELNS0_4arch9wavefront6targetE1EEEvT1_,@function
_ZN7rocprim17ROCPRIM_400000_NS6detail17trampoline_kernelINS0_14default_configENS1_25partition_config_selectorILNS1_17partition_subalgoE3EsNS0_10empty_typeEbEEZZNS1_14partition_implILS5_3ELb0ES3_jN6thrust23THRUST_200600_302600_NS6detail15normal_iteratorINSA_7pointerIsNSA_11hip_rocprim3tagENSA_11use_defaultESG_EEEEPS6_SJ_NS0_5tupleIJPsSJ_EEENSK_IJSJ_SJ_EEES6_PlJ7is_evenIsEEEE10hipError_tPvRmT3_T4_T5_T6_T7_T9_mT8_P12ihipStream_tbDpT10_ENKUlT_T0_E_clISt17integral_constantIbLb0EES19_IbLb1EEEEDaS15_S16_EUlS15_E_NS1_11comp_targetILNS1_3genE10ELNS1_11target_archE1200ELNS1_3gpuE4ELNS1_3repE0EEENS1_30default_config_static_selectorELNS0_4arch9wavefront6targetE1EEEvT1_: ; @_ZN7rocprim17ROCPRIM_400000_NS6detail17trampoline_kernelINS0_14default_configENS1_25partition_config_selectorILNS1_17partition_subalgoE3EsNS0_10empty_typeEbEEZZNS1_14partition_implILS5_3ELb0ES3_jN6thrust23THRUST_200600_302600_NS6detail15normal_iteratorINSA_7pointerIsNSA_11hip_rocprim3tagENSA_11use_defaultESG_EEEEPS6_SJ_NS0_5tupleIJPsSJ_EEENSK_IJSJ_SJ_EEES6_PlJ7is_evenIsEEEE10hipError_tPvRmT3_T4_T5_T6_T7_T9_mT8_P12ihipStream_tbDpT10_ENKUlT_T0_E_clISt17integral_constantIbLb0EES19_IbLb1EEEEDaS15_S16_EUlS15_E_NS1_11comp_targetILNS1_3genE10ELNS1_11target_archE1200ELNS1_3gpuE4ELNS1_3repE0EEENS1_30default_config_static_selectorELNS0_4arch9wavefront6targetE1EEEvT1_
; %bb.0:
	.section	.rodata,"a",@progbits
	.p2align	6, 0x0
	.amdhsa_kernel _ZN7rocprim17ROCPRIM_400000_NS6detail17trampoline_kernelINS0_14default_configENS1_25partition_config_selectorILNS1_17partition_subalgoE3EsNS0_10empty_typeEbEEZZNS1_14partition_implILS5_3ELb0ES3_jN6thrust23THRUST_200600_302600_NS6detail15normal_iteratorINSA_7pointerIsNSA_11hip_rocprim3tagENSA_11use_defaultESG_EEEEPS6_SJ_NS0_5tupleIJPsSJ_EEENSK_IJSJ_SJ_EEES6_PlJ7is_evenIsEEEE10hipError_tPvRmT3_T4_T5_T6_T7_T9_mT8_P12ihipStream_tbDpT10_ENKUlT_T0_E_clISt17integral_constantIbLb0EES19_IbLb1EEEEDaS15_S16_EUlS15_E_NS1_11comp_targetILNS1_3genE10ELNS1_11target_archE1200ELNS1_3gpuE4ELNS1_3repE0EEENS1_30default_config_static_selectorELNS0_4arch9wavefront6targetE1EEEvT1_
		.amdhsa_group_segment_fixed_size 0
		.amdhsa_private_segment_fixed_size 0
		.amdhsa_kernarg_size 136
		.amdhsa_user_sgpr_count 6
		.amdhsa_user_sgpr_private_segment_buffer 1
		.amdhsa_user_sgpr_dispatch_ptr 0
		.amdhsa_user_sgpr_queue_ptr 0
		.amdhsa_user_sgpr_kernarg_segment_ptr 1
		.amdhsa_user_sgpr_dispatch_id 0
		.amdhsa_user_sgpr_flat_scratch_init 0
		.amdhsa_user_sgpr_kernarg_preload_length 0
		.amdhsa_user_sgpr_kernarg_preload_offset 0
		.amdhsa_user_sgpr_private_segment_size 0
		.amdhsa_uses_dynamic_stack 0
		.amdhsa_system_sgpr_private_segment_wavefront_offset 0
		.amdhsa_system_sgpr_workgroup_id_x 1
		.amdhsa_system_sgpr_workgroup_id_y 0
		.amdhsa_system_sgpr_workgroup_id_z 0
		.amdhsa_system_sgpr_workgroup_info 0
		.amdhsa_system_vgpr_workitem_id 0
		.amdhsa_next_free_vgpr 1
		.amdhsa_next_free_sgpr 0
		.amdhsa_accum_offset 4
		.amdhsa_reserve_vcc 0
		.amdhsa_reserve_flat_scratch 0
		.amdhsa_float_round_mode_32 0
		.amdhsa_float_round_mode_16_64 0
		.amdhsa_float_denorm_mode_32 3
		.amdhsa_float_denorm_mode_16_64 3
		.amdhsa_dx10_clamp 1
		.amdhsa_ieee_mode 1
		.amdhsa_fp16_overflow 0
		.amdhsa_tg_split 0
		.amdhsa_exception_fp_ieee_invalid_op 0
		.amdhsa_exception_fp_denorm_src 0
		.amdhsa_exception_fp_ieee_div_zero 0
		.amdhsa_exception_fp_ieee_overflow 0
		.amdhsa_exception_fp_ieee_underflow 0
		.amdhsa_exception_fp_ieee_inexact 0
		.amdhsa_exception_int_div_zero 0
	.end_amdhsa_kernel
	.section	.text._ZN7rocprim17ROCPRIM_400000_NS6detail17trampoline_kernelINS0_14default_configENS1_25partition_config_selectorILNS1_17partition_subalgoE3EsNS0_10empty_typeEbEEZZNS1_14partition_implILS5_3ELb0ES3_jN6thrust23THRUST_200600_302600_NS6detail15normal_iteratorINSA_7pointerIsNSA_11hip_rocprim3tagENSA_11use_defaultESG_EEEEPS6_SJ_NS0_5tupleIJPsSJ_EEENSK_IJSJ_SJ_EEES6_PlJ7is_evenIsEEEE10hipError_tPvRmT3_T4_T5_T6_T7_T9_mT8_P12ihipStream_tbDpT10_ENKUlT_T0_E_clISt17integral_constantIbLb0EES19_IbLb1EEEEDaS15_S16_EUlS15_E_NS1_11comp_targetILNS1_3genE10ELNS1_11target_archE1200ELNS1_3gpuE4ELNS1_3repE0EEENS1_30default_config_static_selectorELNS0_4arch9wavefront6targetE1EEEvT1_,"axG",@progbits,_ZN7rocprim17ROCPRIM_400000_NS6detail17trampoline_kernelINS0_14default_configENS1_25partition_config_selectorILNS1_17partition_subalgoE3EsNS0_10empty_typeEbEEZZNS1_14partition_implILS5_3ELb0ES3_jN6thrust23THRUST_200600_302600_NS6detail15normal_iteratorINSA_7pointerIsNSA_11hip_rocprim3tagENSA_11use_defaultESG_EEEEPS6_SJ_NS0_5tupleIJPsSJ_EEENSK_IJSJ_SJ_EEES6_PlJ7is_evenIsEEEE10hipError_tPvRmT3_T4_T5_T6_T7_T9_mT8_P12ihipStream_tbDpT10_ENKUlT_T0_E_clISt17integral_constantIbLb0EES19_IbLb1EEEEDaS15_S16_EUlS15_E_NS1_11comp_targetILNS1_3genE10ELNS1_11target_archE1200ELNS1_3gpuE4ELNS1_3repE0EEENS1_30default_config_static_selectorELNS0_4arch9wavefront6targetE1EEEvT1_,comdat
.Lfunc_end169:
	.size	_ZN7rocprim17ROCPRIM_400000_NS6detail17trampoline_kernelINS0_14default_configENS1_25partition_config_selectorILNS1_17partition_subalgoE3EsNS0_10empty_typeEbEEZZNS1_14partition_implILS5_3ELb0ES3_jN6thrust23THRUST_200600_302600_NS6detail15normal_iteratorINSA_7pointerIsNSA_11hip_rocprim3tagENSA_11use_defaultESG_EEEEPS6_SJ_NS0_5tupleIJPsSJ_EEENSK_IJSJ_SJ_EEES6_PlJ7is_evenIsEEEE10hipError_tPvRmT3_T4_T5_T6_T7_T9_mT8_P12ihipStream_tbDpT10_ENKUlT_T0_E_clISt17integral_constantIbLb0EES19_IbLb1EEEEDaS15_S16_EUlS15_E_NS1_11comp_targetILNS1_3genE10ELNS1_11target_archE1200ELNS1_3gpuE4ELNS1_3repE0EEENS1_30default_config_static_selectorELNS0_4arch9wavefront6targetE1EEEvT1_, .Lfunc_end169-_ZN7rocprim17ROCPRIM_400000_NS6detail17trampoline_kernelINS0_14default_configENS1_25partition_config_selectorILNS1_17partition_subalgoE3EsNS0_10empty_typeEbEEZZNS1_14partition_implILS5_3ELb0ES3_jN6thrust23THRUST_200600_302600_NS6detail15normal_iteratorINSA_7pointerIsNSA_11hip_rocprim3tagENSA_11use_defaultESG_EEEEPS6_SJ_NS0_5tupleIJPsSJ_EEENSK_IJSJ_SJ_EEES6_PlJ7is_evenIsEEEE10hipError_tPvRmT3_T4_T5_T6_T7_T9_mT8_P12ihipStream_tbDpT10_ENKUlT_T0_E_clISt17integral_constantIbLb0EES19_IbLb1EEEEDaS15_S16_EUlS15_E_NS1_11comp_targetILNS1_3genE10ELNS1_11target_archE1200ELNS1_3gpuE4ELNS1_3repE0EEENS1_30default_config_static_selectorELNS0_4arch9wavefront6targetE1EEEvT1_
                                        ; -- End function
	.section	.AMDGPU.csdata,"",@progbits
; Kernel info:
; codeLenInByte = 0
; NumSgprs: 4
; NumVgprs: 0
; NumAgprs: 0
; TotalNumVgprs: 0
; ScratchSize: 0
; MemoryBound: 0
; FloatMode: 240
; IeeeMode: 1
; LDSByteSize: 0 bytes/workgroup (compile time only)
; SGPRBlocks: 0
; VGPRBlocks: 0
; NumSGPRsForWavesPerEU: 4
; NumVGPRsForWavesPerEU: 1
; AccumOffset: 4
; Occupancy: 8
; WaveLimiterHint : 0
; COMPUTE_PGM_RSRC2:SCRATCH_EN: 0
; COMPUTE_PGM_RSRC2:USER_SGPR: 6
; COMPUTE_PGM_RSRC2:TRAP_HANDLER: 0
; COMPUTE_PGM_RSRC2:TGID_X_EN: 1
; COMPUTE_PGM_RSRC2:TGID_Y_EN: 0
; COMPUTE_PGM_RSRC2:TGID_Z_EN: 0
; COMPUTE_PGM_RSRC2:TIDIG_COMP_CNT: 0
; COMPUTE_PGM_RSRC3_GFX90A:ACCUM_OFFSET: 0
; COMPUTE_PGM_RSRC3_GFX90A:TG_SPLIT: 0
	.section	.text._ZN7rocprim17ROCPRIM_400000_NS6detail17trampoline_kernelINS0_14default_configENS1_25partition_config_selectorILNS1_17partition_subalgoE3EsNS0_10empty_typeEbEEZZNS1_14partition_implILS5_3ELb0ES3_jN6thrust23THRUST_200600_302600_NS6detail15normal_iteratorINSA_7pointerIsNSA_11hip_rocprim3tagENSA_11use_defaultESG_EEEEPS6_SJ_NS0_5tupleIJPsSJ_EEENSK_IJSJ_SJ_EEES6_PlJ7is_evenIsEEEE10hipError_tPvRmT3_T4_T5_T6_T7_T9_mT8_P12ihipStream_tbDpT10_ENKUlT_T0_E_clISt17integral_constantIbLb0EES19_IbLb1EEEEDaS15_S16_EUlS15_E_NS1_11comp_targetILNS1_3genE9ELNS1_11target_archE1100ELNS1_3gpuE3ELNS1_3repE0EEENS1_30default_config_static_selectorELNS0_4arch9wavefront6targetE1EEEvT1_,"axG",@progbits,_ZN7rocprim17ROCPRIM_400000_NS6detail17trampoline_kernelINS0_14default_configENS1_25partition_config_selectorILNS1_17partition_subalgoE3EsNS0_10empty_typeEbEEZZNS1_14partition_implILS5_3ELb0ES3_jN6thrust23THRUST_200600_302600_NS6detail15normal_iteratorINSA_7pointerIsNSA_11hip_rocprim3tagENSA_11use_defaultESG_EEEEPS6_SJ_NS0_5tupleIJPsSJ_EEENSK_IJSJ_SJ_EEES6_PlJ7is_evenIsEEEE10hipError_tPvRmT3_T4_T5_T6_T7_T9_mT8_P12ihipStream_tbDpT10_ENKUlT_T0_E_clISt17integral_constantIbLb0EES19_IbLb1EEEEDaS15_S16_EUlS15_E_NS1_11comp_targetILNS1_3genE9ELNS1_11target_archE1100ELNS1_3gpuE3ELNS1_3repE0EEENS1_30default_config_static_selectorELNS0_4arch9wavefront6targetE1EEEvT1_,comdat
	.protected	_ZN7rocprim17ROCPRIM_400000_NS6detail17trampoline_kernelINS0_14default_configENS1_25partition_config_selectorILNS1_17partition_subalgoE3EsNS0_10empty_typeEbEEZZNS1_14partition_implILS5_3ELb0ES3_jN6thrust23THRUST_200600_302600_NS6detail15normal_iteratorINSA_7pointerIsNSA_11hip_rocprim3tagENSA_11use_defaultESG_EEEEPS6_SJ_NS0_5tupleIJPsSJ_EEENSK_IJSJ_SJ_EEES6_PlJ7is_evenIsEEEE10hipError_tPvRmT3_T4_T5_T6_T7_T9_mT8_P12ihipStream_tbDpT10_ENKUlT_T0_E_clISt17integral_constantIbLb0EES19_IbLb1EEEEDaS15_S16_EUlS15_E_NS1_11comp_targetILNS1_3genE9ELNS1_11target_archE1100ELNS1_3gpuE3ELNS1_3repE0EEENS1_30default_config_static_selectorELNS0_4arch9wavefront6targetE1EEEvT1_ ; -- Begin function _ZN7rocprim17ROCPRIM_400000_NS6detail17trampoline_kernelINS0_14default_configENS1_25partition_config_selectorILNS1_17partition_subalgoE3EsNS0_10empty_typeEbEEZZNS1_14partition_implILS5_3ELb0ES3_jN6thrust23THRUST_200600_302600_NS6detail15normal_iteratorINSA_7pointerIsNSA_11hip_rocprim3tagENSA_11use_defaultESG_EEEEPS6_SJ_NS0_5tupleIJPsSJ_EEENSK_IJSJ_SJ_EEES6_PlJ7is_evenIsEEEE10hipError_tPvRmT3_T4_T5_T6_T7_T9_mT8_P12ihipStream_tbDpT10_ENKUlT_T0_E_clISt17integral_constantIbLb0EES19_IbLb1EEEEDaS15_S16_EUlS15_E_NS1_11comp_targetILNS1_3genE9ELNS1_11target_archE1100ELNS1_3gpuE3ELNS1_3repE0EEENS1_30default_config_static_selectorELNS0_4arch9wavefront6targetE1EEEvT1_
	.globl	_ZN7rocprim17ROCPRIM_400000_NS6detail17trampoline_kernelINS0_14default_configENS1_25partition_config_selectorILNS1_17partition_subalgoE3EsNS0_10empty_typeEbEEZZNS1_14partition_implILS5_3ELb0ES3_jN6thrust23THRUST_200600_302600_NS6detail15normal_iteratorINSA_7pointerIsNSA_11hip_rocprim3tagENSA_11use_defaultESG_EEEEPS6_SJ_NS0_5tupleIJPsSJ_EEENSK_IJSJ_SJ_EEES6_PlJ7is_evenIsEEEE10hipError_tPvRmT3_T4_T5_T6_T7_T9_mT8_P12ihipStream_tbDpT10_ENKUlT_T0_E_clISt17integral_constantIbLb0EES19_IbLb1EEEEDaS15_S16_EUlS15_E_NS1_11comp_targetILNS1_3genE9ELNS1_11target_archE1100ELNS1_3gpuE3ELNS1_3repE0EEENS1_30default_config_static_selectorELNS0_4arch9wavefront6targetE1EEEvT1_
	.p2align	8
	.type	_ZN7rocprim17ROCPRIM_400000_NS6detail17trampoline_kernelINS0_14default_configENS1_25partition_config_selectorILNS1_17partition_subalgoE3EsNS0_10empty_typeEbEEZZNS1_14partition_implILS5_3ELb0ES3_jN6thrust23THRUST_200600_302600_NS6detail15normal_iteratorINSA_7pointerIsNSA_11hip_rocprim3tagENSA_11use_defaultESG_EEEEPS6_SJ_NS0_5tupleIJPsSJ_EEENSK_IJSJ_SJ_EEES6_PlJ7is_evenIsEEEE10hipError_tPvRmT3_T4_T5_T6_T7_T9_mT8_P12ihipStream_tbDpT10_ENKUlT_T0_E_clISt17integral_constantIbLb0EES19_IbLb1EEEEDaS15_S16_EUlS15_E_NS1_11comp_targetILNS1_3genE9ELNS1_11target_archE1100ELNS1_3gpuE3ELNS1_3repE0EEENS1_30default_config_static_selectorELNS0_4arch9wavefront6targetE1EEEvT1_,@function
_ZN7rocprim17ROCPRIM_400000_NS6detail17trampoline_kernelINS0_14default_configENS1_25partition_config_selectorILNS1_17partition_subalgoE3EsNS0_10empty_typeEbEEZZNS1_14partition_implILS5_3ELb0ES3_jN6thrust23THRUST_200600_302600_NS6detail15normal_iteratorINSA_7pointerIsNSA_11hip_rocprim3tagENSA_11use_defaultESG_EEEEPS6_SJ_NS0_5tupleIJPsSJ_EEENSK_IJSJ_SJ_EEES6_PlJ7is_evenIsEEEE10hipError_tPvRmT3_T4_T5_T6_T7_T9_mT8_P12ihipStream_tbDpT10_ENKUlT_T0_E_clISt17integral_constantIbLb0EES19_IbLb1EEEEDaS15_S16_EUlS15_E_NS1_11comp_targetILNS1_3genE9ELNS1_11target_archE1100ELNS1_3gpuE3ELNS1_3repE0EEENS1_30default_config_static_selectorELNS0_4arch9wavefront6targetE1EEEvT1_: ; @_ZN7rocprim17ROCPRIM_400000_NS6detail17trampoline_kernelINS0_14default_configENS1_25partition_config_selectorILNS1_17partition_subalgoE3EsNS0_10empty_typeEbEEZZNS1_14partition_implILS5_3ELb0ES3_jN6thrust23THRUST_200600_302600_NS6detail15normal_iteratorINSA_7pointerIsNSA_11hip_rocprim3tagENSA_11use_defaultESG_EEEEPS6_SJ_NS0_5tupleIJPsSJ_EEENSK_IJSJ_SJ_EEES6_PlJ7is_evenIsEEEE10hipError_tPvRmT3_T4_T5_T6_T7_T9_mT8_P12ihipStream_tbDpT10_ENKUlT_T0_E_clISt17integral_constantIbLb0EES19_IbLb1EEEEDaS15_S16_EUlS15_E_NS1_11comp_targetILNS1_3genE9ELNS1_11target_archE1100ELNS1_3gpuE3ELNS1_3repE0EEENS1_30default_config_static_selectorELNS0_4arch9wavefront6targetE1EEEvT1_
; %bb.0:
	.section	.rodata,"a",@progbits
	.p2align	6, 0x0
	.amdhsa_kernel _ZN7rocprim17ROCPRIM_400000_NS6detail17trampoline_kernelINS0_14default_configENS1_25partition_config_selectorILNS1_17partition_subalgoE3EsNS0_10empty_typeEbEEZZNS1_14partition_implILS5_3ELb0ES3_jN6thrust23THRUST_200600_302600_NS6detail15normal_iteratorINSA_7pointerIsNSA_11hip_rocprim3tagENSA_11use_defaultESG_EEEEPS6_SJ_NS0_5tupleIJPsSJ_EEENSK_IJSJ_SJ_EEES6_PlJ7is_evenIsEEEE10hipError_tPvRmT3_T4_T5_T6_T7_T9_mT8_P12ihipStream_tbDpT10_ENKUlT_T0_E_clISt17integral_constantIbLb0EES19_IbLb1EEEEDaS15_S16_EUlS15_E_NS1_11comp_targetILNS1_3genE9ELNS1_11target_archE1100ELNS1_3gpuE3ELNS1_3repE0EEENS1_30default_config_static_selectorELNS0_4arch9wavefront6targetE1EEEvT1_
		.amdhsa_group_segment_fixed_size 0
		.amdhsa_private_segment_fixed_size 0
		.amdhsa_kernarg_size 136
		.amdhsa_user_sgpr_count 6
		.amdhsa_user_sgpr_private_segment_buffer 1
		.amdhsa_user_sgpr_dispatch_ptr 0
		.amdhsa_user_sgpr_queue_ptr 0
		.amdhsa_user_sgpr_kernarg_segment_ptr 1
		.amdhsa_user_sgpr_dispatch_id 0
		.amdhsa_user_sgpr_flat_scratch_init 0
		.amdhsa_user_sgpr_kernarg_preload_length 0
		.amdhsa_user_sgpr_kernarg_preload_offset 0
		.amdhsa_user_sgpr_private_segment_size 0
		.amdhsa_uses_dynamic_stack 0
		.amdhsa_system_sgpr_private_segment_wavefront_offset 0
		.amdhsa_system_sgpr_workgroup_id_x 1
		.amdhsa_system_sgpr_workgroup_id_y 0
		.amdhsa_system_sgpr_workgroup_id_z 0
		.amdhsa_system_sgpr_workgroup_info 0
		.amdhsa_system_vgpr_workitem_id 0
		.amdhsa_next_free_vgpr 1
		.amdhsa_next_free_sgpr 0
		.amdhsa_accum_offset 4
		.amdhsa_reserve_vcc 0
		.amdhsa_reserve_flat_scratch 0
		.amdhsa_float_round_mode_32 0
		.amdhsa_float_round_mode_16_64 0
		.amdhsa_float_denorm_mode_32 3
		.amdhsa_float_denorm_mode_16_64 3
		.amdhsa_dx10_clamp 1
		.amdhsa_ieee_mode 1
		.amdhsa_fp16_overflow 0
		.amdhsa_tg_split 0
		.amdhsa_exception_fp_ieee_invalid_op 0
		.amdhsa_exception_fp_denorm_src 0
		.amdhsa_exception_fp_ieee_div_zero 0
		.amdhsa_exception_fp_ieee_overflow 0
		.amdhsa_exception_fp_ieee_underflow 0
		.amdhsa_exception_fp_ieee_inexact 0
		.amdhsa_exception_int_div_zero 0
	.end_amdhsa_kernel
	.section	.text._ZN7rocprim17ROCPRIM_400000_NS6detail17trampoline_kernelINS0_14default_configENS1_25partition_config_selectorILNS1_17partition_subalgoE3EsNS0_10empty_typeEbEEZZNS1_14partition_implILS5_3ELb0ES3_jN6thrust23THRUST_200600_302600_NS6detail15normal_iteratorINSA_7pointerIsNSA_11hip_rocprim3tagENSA_11use_defaultESG_EEEEPS6_SJ_NS0_5tupleIJPsSJ_EEENSK_IJSJ_SJ_EEES6_PlJ7is_evenIsEEEE10hipError_tPvRmT3_T4_T5_T6_T7_T9_mT8_P12ihipStream_tbDpT10_ENKUlT_T0_E_clISt17integral_constantIbLb0EES19_IbLb1EEEEDaS15_S16_EUlS15_E_NS1_11comp_targetILNS1_3genE9ELNS1_11target_archE1100ELNS1_3gpuE3ELNS1_3repE0EEENS1_30default_config_static_selectorELNS0_4arch9wavefront6targetE1EEEvT1_,"axG",@progbits,_ZN7rocprim17ROCPRIM_400000_NS6detail17trampoline_kernelINS0_14default_configENS1_25partition_config_selectorILNS1_17partition_subalgoE3EsNS0_10empty_typeEbEEZZNS1_14partition_implILS5_3ELb0ES3_jN6thrust23THRUST_200600_302600_NS6detail15normal_iteratorINSA_7pointerIsNSA_11hip_rocprim3tagENSA_11use_defaultESG_EEEEPS6_SJ_NS0_5tupleIJPsSJ_EEENSK_IJSJ_SJ_EEES6_PlJ7is_evenIsEEEE10hipError_tPvRmT3_T4_T5_T6_T7_T9_mT8_P12ihipStream_tbDpT10_ENKUlT_T0_E_clISt17integral_constantIbLb0EES19_IbLb1EEEEDaS15_S16_EUlS15_E_NS1_11comp_targetILNS1_3genE9ELNS1_11target_archE1100ELNS1_3gpuE3ELNS1_3repE0EEENS1_30default_config_static_selectorELNS0_4arch9wavefront6targetE1EEEvT1_,comdat
.Lfunc_end170:
	.size	_ZN7rocprim17ROCPRIM_400000_NS6detail17trampoline_kernelINS0_14default_configENS1_25partition_config_selectorILNS1_17partition_subalgoE3EsNS0_10empty_typeEbEEZZNS1_14partition_implILS5_3ELb0ES3_jN6thrust23THRUST_200600_302600_NS6detail15normal_iteratorINSA_7pointerIsNSA_11hip_rocprim3tagENSA_11use_defaultESG_EEEEPS6_SJ_NS0_5tupleIJPsSJ_EEENSK_IJSJ_SJ_EEES6_PlJ7is_evenIsEEEE10hipError_tPvRmT3_T4_T5_T6_T7_T9_mT8_P12ihipStream_tbDpT10_ENKUlT_T0_E_clISt17integral_constantIbLb0EES19_IbLb1EEEEDaS15_S16_EUlS15_E_NS1_11comp_targetILNS1_3genE9ELNS1_11target_archE1100ELNS1_3gpuE3ELNS1_3repE0EEENS1_30default_config_static_selectorELNS0_4arch9wavefront6targetE1EEEvT1_, .Lfunc_end170-_ZN7rocprim17ROCPRIM_400000_NS6detail17trampoline_kernelINS0_14default_configENS1_25partition_config_selectorILNS1_17partition_subalgoE3EsNS0_10empty_typeEbEEZZNS1_14partition_implILS5_3ELb0ES3_jN6thrust23THRUST_200600_302600_NS6detail15normal_iteratorINSA_7pointerIsNSA_11hip_rocprim3tagENSA_11use_defaultESG_EEEEPS6_SJ_NS0_5tupleIJPsSJ_EEENSK_IJSJ_SJ_EEES6_PlJ7is_evenIsEEEE10hipError_tPvRmT3_T4_T5_T6_T7_T9_mT8_P12ihipStream_tbDpT10_ENKUlT_T0_E_clISt17integral_constantIbLb0EES19_IbLb1EEEEDaS15_S16_EUlS15_E_NS1_11comp_targetILNS1_3genE9ELNS1_11target_archE1100ELNS1_3gpuE3ELNS1_3repE0EEENS1_30default_config_static_selectorELNS0_4arch9wavefront6targetE1EEEvT1_
                                        ; -- End function
	.section	.AMDGPU.csdata,"",@progbits
; Kernel info:
; codeLenInByte = 0
; NumSgprs: 4
; NumVgprs: 0
; NumAgprs: 0
; TotalNumVgprs: 0
; ScratchSize: 0
; MemoryBound: 0
; FloatMode: 240
; IeeeMode: 1
; LDSByteSize: 0 bytes/workgroup (compile time only)
; SGPRBlocks: 0
; VGPRBlocks: 0
; NumSGPRsForWavesPerEU: 4
; NumVGPRsForWavesPerEU: 1
; AccumOffset: 4
; Occupancy: 8
; WaveLimiterHint : 0
; COMPUTE_PGM_RSRC2:SCRATCH_EN: 0
; COMPUTE_PGM_RSRC2:USER_SGPR: 6
; COMPUTE_PGM_RSRC2:TRAP_HANDLER: 0
; COMPUTE_PGM_RSRC2:TGID_X_EN: 1
; COMPUTE_PGM_RSRC2:TGID_Y_EN: 0
; COMPUTE_PGM_RSRC2:TGID_Z_EN: 0
; COMPUTE_PGM_RSRC2:TIDIG_COMP_CNT: 0
; COMPUTE_PGM_RSRC3_GFX90A:ACCUM_OFFSET: 0
; COMPUTE_PGM_RSRC3_GFX90A:TG_SPLIT: 0
	.section	.text._ZN7rocprim17ROCPRIM_400000_NS6detail17trampoline_kernelINS0_14default_configENS1_25partition_config_selectorILNS1_17partition_subalgoE3EsNS0_10empty_typeEbEEZZNS1_14partition_implILS5_3ELb0ES3_jN6thrust23THRUST_200600_302600_NS6detail15normal_iteratorINSA_7pointerIsNSA_11hip_rocprim3tagENSA_11use_defaultESG_EEEEPS6_SJ_NS0_5tupleIJPsSJ_EEENSK_IJSJ_SJ_EEES6_PlJ7is_evenIsEEEE10hipError_tPvRmT3_T4_T5_T6_T7_T9_mT8_P12ihipStream_tbDpT10_ENKUlT_T0_E_clISt17integral_constantIbLb0EES19_IbLb1EEEEDaS15_S16_EUlS15_E_NS1_11comp_targetILNS1_3genE8ELNS1_11target_archE1030ELNS1_3gpuE2ELNS1_3repE0EEENS1_30default_config_static_selectorELNS0_4arch9wavefront6targetE1EEEvT1_,"axG",@progbits,_ZN7rocprim17ROCPRIM_400000_NS6detail17trampoline_kernelINS0_14default_configENS1_25partition_config_selectorILNS1_17partition_subalgoE3EsNS0_10empty_typeEbEEZZNS1_14partition_implILS5_3ELb0ES3_jN6thrust23THRUST_200600_302600_NS6detail15normal_iteratorINSA_7pointerIsNSA_11hip_rocprim3tagENSA_11use_defaultESG_EEEEPS6_SJ_NS0_5tupleIJPsSJ_EEENSK_IJSJ_SJ_EEES6_PlJ7is_evenIsEEEE10hipError_tPvRmT3_T4_T5_T6_T7_T9_mT8_P12ihipStream_tbDpT10_ENKUlT_T0_E_clISt17integral_constantIbLb0EES19_IbLb1EEEEDaS15_S16_EUlS15_E_NS1_11comp_targetILNS1_3genE8ELNS1_11target_archE1030ELNS1_3gpuE2ELNS1_3repE0EEENS1_30default_config_static_selectorELNS0_4arch9wavefront6targetE1EEEvT1_,comdat
	.protected	_ZN7rocprim17ROCPRIM_400000_NS6detail17trampoline_kernelINS0_14default_configENS1_25partition_config_selectorILNS1_17partition_subalgoE3EsNS0_10empty_typeEbEEZZNS1_14partition_implILS5_3ELb0ES3_jN6thrust23THRUST_200600_302600_NS6detail15normal_iteratorINSA_7pointerIsNSA_11hip_rocprim3tagENSA_11use_defaultESG_EEEEPS6_SJ_NS0_5tupleIJPsSJ_EEENSK_IJSJ_SJ_EEES6_PlJ7is_evenIsEEEE10hipError_tPvRmT3_T4_T5_T6_T7_T9_mT8_P12ihipStream_tbDpT10_ENKUlT_T0_E_clISt17integral_constantIbLb0EES19_IbLb1EEEEDaS15_S16_EUlS15_E_NS1_11comp_targetILNS1_3genE8ELNS1_11target_archE1030ELNS1_3gpuE2ELNS1_3repE0EEENS1_30default_config_static_selectorELNS0_4arch9wavefront6targetE1EEEvT1_ ; -- Begin function _ZN7rocprim17ROCPRIM_400000_NS6detail17trampoline_kernelINS0_14default_configENS1_25partition_config_selectorILNS1_17partition_subalgoE3EsNS0_10empty_typeEbEEZZNS1_14partition_implILS5_3ELb0ES3_jN6thrust23THRUST_200600_302600_NS6detail15normal_iteratorINSA_7pointerIsNSA_11hip_rocprim3tagENSA_11use_defaultESG_EEEEPS6_SJ_NS0_5tupleIJPsSJ_EEENSK_IJSJ_SJ_EEES6_PlJ7is_evenIsEEEE10hipError_tPvRmT3_T4_T5_T6_T7_T9_mT8_P12ihipStream_tbDpT10_ENKUlT_T0_E_clISt17integral_constantIbLb0EES19_IbLb1EEEEDaS15_S16_EUlS15_E_NS1_11comp_targetILNS1_3genE8ELNS1_11target_archE1030ELNS1_3gpuE2ELNS1_3repE0EEENS1_30default_config_static_selectorELNS0_4arch9wavefront6targetE1EEEvT1_
	.globl	_ZN7rocprim17ROCPRIM_400000_NS6detail17trampoline_kernelINS0_14default_configENS1_25partition_config_selectorILNS1_17partition_subalgoE3EsNS0_10empty_typeEbEEZZNS1_14partition_implILS5_3ELb0ES3_jN6thrust23THRUST_200600_302600_NS6detail15normal_iteratorINSA_7pointerIsNSA_11hip_rocprim3tagENSA_11use_defaultESG_EEEEPS6_SJ_NS0_5tupleIJPsSJ_EEENSK_IJSJ_SJ_EEES6_PlJ7is_evenIsEEEE10hipError_tPvRmT3_T4_T5_T6_T7_T9_mT8_P12ihipStream_tbDpT10_ENKUlT_T0_E_clISt17integral_constantIbLb0EES19_IbLb1EEEEDaS15_S16_EUlS15_E_NS1_11comp_targetILNS1_3genE8ELNS1_11target_archE1030ELNS1_3gpuE2ELNS1_3repE0EEENS1_30default_config_static_selectorELNS0_4arch9wavefront6targetE1EEEvT1_
	.p2align	8
	.type	_ZN7rocprim17ROCPRIM_400000_NS6detail17trampoline_kernelINS0_14default_configENS1_25partition_config_selectorILNS1_17partition_subalgoE3EsNS0_10empty_typeEbEEZZNS1_14partition_implILS5_3ELb0ES3_jN6thrust23THRUST_200600_302600_NS6detail15normal_iteratorINSA_7pointerIsNSA_11hip_rocprim3tagENSA_11use_defaultESG_EEEEPS6_SJ_NS0_5tupleIJPsSJ_EEENSK_IJSJ_SJ_EEES6_PlJ7is_evenIsEEEE10hipError_tPvRmT3_T4_T5_T6_T7_T9_mT8_P12ihipStream_tbDpT10_ENKUlT_T0_E_clISt17integral_constantIbLb0EES19_IbLb1EEEEDaS15_S16_EUlS15_E_NS1_11comp_targetILNS1_3genE8ELNS1_11target_archE1030ELNS1_3gpuE2ELNS1_3repE0EEENS1_30default_config_static_selectorELNS0_4arch9wavefront6targetE1EEEvT1_,@function
_ZN7rocprim17ROCPRIM_400000_NS6detail17trampoline_kernelINS0_14default_configENS1_25partition_config_selectorILNS1_17partition_subalgoE3EsNS0_10empty_typeEbEEZZNS1_14partition_implILS5_3ELb0ES3_jN6thrust23THRUST_200600_302600_NS6detail15normal_iteratorINSA_7pointerIsNSA_11hip_rocprim3tagENSA_11use_defaultESG_EEEEPS6_SJ_NS0_5tupleIJPsSJ_EEENSK_IJSJ_SJ_EEES6_PlJ7is_evenIsEEEE10hipError_tPvRmT3_T4_T5_T6_T7_T9_mT8_P12ihipStream_tbDpT10_ENKUlT_T0_E_clISt17integral_constantIbLb0EES19_IbLb1EEEEDaS15_S16_EUlS15_E_NS1_11comp_targetILNS1_3genE8ELNS1_11target_archE1030ELNS1_3gpuE2ELNS1_3repE0EEENS1_30default_config_static_selectorELNS0_4arch9wavefront6targetE1EEEvT1_: ; @_ZN7rocprim17ROCPRIM_400000_NS6detail17trampoline_kernelINS0_14default_configENS1_25partition_config_selectorILNS1_17partition_subalgoE3EsNS0_10empty_typeEbEEZZNS1_14partition_implILS5_3ELb0ES3_jN6thrust23THRUST_200600_302600_NS6detail15normal_iteratorINSA_7pointerIsNSA_11hip_rocprim3tagENSA_11use_defaultESG_EEEEPS6_SJ_NS0_5tupleIJPsSJ_EEENSK_IJSJ_SJ_EEES6_PlJ7is_evenIsEEEE10hipError_tPvRmT3_T4_T5_T6_T7_T9_mT8_P12ihipStream_tbDpT10_ENKUlT_T0_E_clISt17integral_constantIbLb0EES19_IbLb1EEEEDaS15_S16_EUlS15_E_NS1_11comp_targetILNS1_3genE8ELNS1_11target_archE1030ELNS1_3gpuE2ELNS1_3repE0EEENS1_30default_config_static_selectorELNS0_4arch9wavefront6targetE1EEEvT1_
; %bb.0:
	.section	.rodata,"a",@progbits
	.p2align	6, 0x0
	.amdhsa_kernel _ZN7rocprim17ROCPRIM_400000_NS6detail17trampoline_kernelINS0_14default_configENS1_25partition_config_selectorILNS1_17partition_subalgoE3EsNS0_10empty_typeEbEEZZNS1_14partition_implILS5_3ELb0ES3_jN6thrust23THRUST_200600_302600_NS6detail15normal_iteratorINSA_7pointerIsNSA_11hip_rocprim3tagENSA_11use_defaultESG_EEEEPS6_SJ_NS0_5tupleIJPsSJ_EEENSK_IJSJ_SJ_EEES6_PlJ7is_evenIsEEEE10hipError_tPvRmT3_T4_T5_T6_T7_T9_mT8_P12ihipStream_tbDpT10_ENKUlT_T0_E_clISt17integral_constantIbLb0EES19_IbLb1EEEEDaS15_S16_EUlS15_E_NS1_11comp_targetILNS1_3genE8ELNS1_11target_archE1030ELNS1_3gpuE2ELNS1_3repE0EEENS1_30default_config_static_selectorELNS0_4arch9wavefront6targetE1EEEvT1_
		.amdhsa_group_segment_fixed_size 0
		.amdhsa_private_segment_fixed_size 0
		.amdhsa_kernarg_size 136
		.amdhsa_user_sgpr_count 6
		.amdhsa_user_sgpr_private_segment_buffer 1
		.amdhsa_user_sgpr_dispatch_ptr 0
		.amdhsa_user_sgpr_queue_ptr 0
		.amdhsa_user_sgpr_kernarg_segment_ptr 1
		.amdhsa_user_sgpr_dispatch_id 0
		.amdhsa_user_sgpr_flat_scratch_init 0
		.amdhsa_user_sgpr_kernarg_preload_length 0
		.amdhsa_user_sgpr_kernarg_preload_offset 0
		.amdhsa_user_sgpr_private_segment_size 0
		.amdhsa_uses_dynamic_stack 0
		.amdhsa_system_sgpr_private_segment_wavefront_offset 0
		.amdhsa_system_sgpr_workgroup_id_x 1
		.amdhsa_system_sgpr_workgroup_id_y 0
		.amdhsa_system_sgpr_workgroup_id_z 0
		.amdhsa_system_sgpr_workgroup_info 0
		.amdhsa_system_vgpr_workitem_id 0
		.amdhsa_next_free_vgpr 1
		.amdhsa_next_free_sgpr 0
		.amdhsa_accum_offset 4
		.amdhsa_reserve_vcc 0
		.amdhsa_reserve_flat_scratch 0
		.amdhsa_float_round_mode_32 0
		.amdhsa_float_round_mode_16_64 0
		.amdhsa_float_denorm_mode_32 3
		.amdhsa_float_denorm_mode_16_64 3
		.amdhsa_dx10_clamp 1
		.amdhsa_ieee_mode 1
		.amdhsa_fp16_overflow 0
		.amdhsa_tg_split 0
		.amdhsa_exception_fp_ieee_invalid_op 0
		.amdhsa_exception_fp_denorm_src 0
		.amdhsa_exception_fp_ieee_div_zero 0
		.amdhsa_exception_fp_ieee_overflow 0
		.amdhsa_exception_fp_ieee_underflow 0
		.amdhsa_exception_fp_ieee_inexact 0
		.amdhsa_exception_int_div_zero 0
	.end_amdhsa_kernel
	.section	.text._ZN7rocprim17ROCPRIM_400000_NS6detail17trampoline_kernelINS0_14default_configENS1_25partition_config_selectorILNS1_17partition_subalgoE3EsNS0_10empty_typeEbEEZZNS1_14partition_implILS5_3ELb0ES3_jN6thrust23THRUST_200600_302600_NS6detail15normal_iteratorINSA_7pointerIsNSA_11hip_rocprim3tagENSA_11use_defaultESG_EEEEPS6_SJ_NS0_5tupleIJPsSJ_EEENSK_IJSJ_SJ_EEES6_PlJ7is_evenIsEEEE10hipError_tPvRmT3_T4_T5_T6_T7_T9_mT8_P12ihipStream_tbDpT10_ENKUlT_T0_E_clISt17integral_constantIbLb0EES19_IbLb1EEEEDaS15_S16_EUlS15_E_NS1_11comp_targetILNS1_3genE8ELNS1_11target_archE1030ELNS1_3gpuE2ELNS1_3repE0EEENS1_30default_config_static_selectorELNS0_4arch9wavefront6targetE1EEEvT1_,"axG",@progbits,_ZN7rocprim17ROCPRIM_400000_NS6detail17trampoline_kernelINS0_14default_configENS1_25partition_config_selectorILNS1_17partition_subalgoE3EsNS0_10empty_typeEbEEZZNS1_14partition_implILS5_3ELb0ES3_jN6thrust23THRUST_200600_302600_NS6detail15normal_iteratorINSA_7pointerIsNSA_11hip_rocprim3tagENSA_11use_defaultESG_EEEEPS6_SJ_NS0_5tupleIJPsSJ_EEENSK_IJSJ_SJ_EEES6_PlJ7is_evenIsEEEE10hipError_tPvRmT3_T4_T5_T6_T7_T9_mT8_P12ihipStream_tbDpT10_ENKUlT_T0_E_clISt17integral_constantIbLb0EES19_IbLb1EEEEDaS15_S16_EUlS15_E_NS1_11comp_targetILNS1_3genE8ELNS1_11target_archE1030ELNS1_3gpuE2ELNS1_3repE0EEENS1_30default_config_static_selectorELNS0_4arch9wavefront6targetE1EEEvT1_,comdat
.Lfunc_end171:
	.size	_ZN7rocprim17ROCPRIM_400000_NS6detail17trampoline_kernelINS0_14default_configENS1_25partition_config_selectorILNS1_17partition_subalgoE3EsNS0_10empty_typeEbEEZZNS1_14partition_implILS5_3ELb0ES3_jN6thrust23THRUST_200600_302600_NS6detail15normal_iteratorINSA_7pointerIsNSA_11hip_rocprim3tagENSA_11use_defaultESG_EEEEPS6_SJ_NS0_5tupleIJPsSJ_EEENSK_IJSJ_SJ_EEES6_PlJ7is_evenIsEEEE10hipError_tPvRmT3_T4_T5_T6_T7_T9_mT8_P12ihipStream_tbDpT10_ENKUlT_T0_E_clISt17integral_constantIbLb0EES19_IbLb1EEEEDaS15_S16_EUlS15_E_NS1_11comp_targetILNS1_3genE8ELNS1_11target_archE1030ELNS1_3gpuE2ELNS1_3repE0EEENS1_30default_config_static_selectorELNS0_4arch9wavefront6targetE1EEEvT1_, .Lfunc_end171-_ZN7rocprim17ROCPRIM_400000_NS6detail17trampoline_kernelINS0_14default_configENS1_25partition_config_selectorILNS1_17partition_subalgoE3EsNS0_10empty_typeEbEEZZNS1_14partition_implILS5_3ELb0ES3_jN6thrust23THRUST_200600_302600_NS6detail15normal_iteratorINSA_7pointerIsNSA_11hip_rocprim3tagENSA_11use_defaultESG_EEEEPS6_SJ_NS0_5tupleIJPsSJ_EEENSK_IJSJ_SJ_EEES6_PlJ7is_evenIsEEEE10hipError_tPvRmT3_T4_T5_T6_T7_T9_mT8_P12ihipStream_tbDpT10_ENKUlT_T0_E_clISt17integral_constantIbLb0EES19_IbLb1EEEEDaS15_S16_EUlS15_E_NS1_11comp_targetILNS1_3genE8ELNS1_11target_archE1030ELNS1_3gpuE2ELNS1_3repE0EEENS1_30default_config_static_selectorELNS0_4arch9wavefront6targetE1EEEvT1_
                                        ; -- End function
	.section	.AMDGPU.csdata,"",@progbits
; Kernel info:
; codeLenInByte = 0
; NumSgprs: 4
; NumVgprs: 0
; NumAgprs: 0
; TotalNumVgprs: 0
; ScratchSize: 0
; MemoryBound: 0
; FloatMode: 240
; IeeeMode: 1
; LDSByteSize: 0 bytes/workgroup (compile time only)
; SGPRBlocks: 0
; VGPRBlocks: 0
; NumSGPRsForWavesPerEU: 4
; NumVGPRsForWavesPerEU: 1
; AccumOffset: 4
; Occupancy: 8
; WaveLimiterHint : 0
; COMPUTE_PGM_RSRC2:SCRATCH_EN: 0
; COMPUTE_PGM_RSRC2:USER_SGPR: 6
; COMPUTE_PGM_RSRC2:TRAP_HANDLER: 0
; COMPUTE_PGM_RSRC2:TGID_X_EN: 1
; COMPUTE_PGM_RSRC2:TGID_Y_EN: 0
; COMPUTE_PGM_RSRC2:TGID_Z_EN: 0
; COMPUTE_PGM_RSRC2:TIDIG_COMP_CNT: 0
; COMPUTE_PGM_RSRC3_GFX90A:ACCUM_OFFSET: 0
; COMPUTE_PGM_RSRC3_GFX90A:TG_SPLIT: 0
	.section	.text._ZN7rocprim17ROCPRIM_400000_NS6detail17trampoline_kernelINS0_14default_configENS1_22reduce_config_selectorIN6thrust23THRUST_200600_302600_NS5tupleIblNS6_9null_typeES8_S8_S8_S8_S8_S8_S8_EEEEZNS1_11reduce_implILb1ES3_NS6_12zip_iteratorINS7_INS6_11hip_rocprim26transform_input_iterator_tIbNSD_35transform_pair_of_input_iterators_tIbNS6_6detail15normal_iteratorINS6_10device_ptrIKsEEEESL_NS6_8equal_toIsEEEENSG_9not_fun_tINSD_8identityEEEEENSD_19counting_iterator_tIlEES8_S8_S8_S8_S8_S8_S8_S8_EEEEPS9_S9_NSD_9__find_if7functorIS9_EEEE10hipError_tPvRmT1_T2_T3_mT4_P12ihipStream_tbEUlT_E0_NS1_11comp_targetILNS1_3genE0ELNS1_11target_archE4294967295ELNS1_3gpuE0ELNS1_3repE0EEENS1_30default_config_static_selectorELNS0_4arch9wavefront6targetE1EEEvS14_,"axG",@progbits,_ZN7rocprim17ROCPRIM_400000_NS6detail17trampoline_kernelINS0_14default_configENS1_22reduce_config_selectorIN6thrust23THRUST_200600_302600_NS5tupleIblNS6_9null_typeES8_S8_S8_S8_S8_S8_S8_EEEEZNS1_11reduce_implILb1ES3_NS6_12zip_iteratorINS7_INS6_11hip_rocprim26transform_input_iterator_tIbNSD_35transform_pair_of_input_iterators_tIbNS6_6detail15normal_iteratorINS6_10device_ptrIKsEEEESL_NS6_8equal_toIsEEEENSG_9not_fun_tINSD_8identityEEEEENSD_19counting_iterator_tIlEES8_S8_S8_S8_S8_S8_S8_S8_EEEEPS9_S9_NSD_9__find_if7functorIS9_EEEE10hipError_tPvRmT1_T2_T3_mT4_P12ihipStream_tbEUlT_E0_NS1_11comp_targetILNS1_3genE0ELNS1_11target_archE4294967295ELNS1_3gpuE0ELNS1_3repE0EEENS1_30default_config_static_selectorELNS0_4arch9wavefront6targetE1EEEvS14_,comdat
	.protected	_ZN7rocprim17ROCPRIM_400000_NS6detail17trampoline_kernelINS0_14default_configENS1_22reduce_config_selectorIN6thrust23THRUST_200600_302600_NS5tupleIblNS6_9null_typeES8_S8_S8_S8_S8_S8_S8_EEEEZNS1_11reduce_implILb1ES3_NS6_12zip_iteratorINS7_INS6_11hip_rocprim26transform_input_iterator_tIbNSD_35transform_pair_of_input_iterators_tIbNS6_6detail15normal_iteratorINS6_10device_ptrIKsEEEESL_NS6_8equal_toIsEEEENSG_9not_fun_tINSD_8identityEEEEENSD_19counting_iterator_tIlEES8_S8_S8_S8_S8_S8_S8_S8_EEEEPS9_S9_NSD_9__find_if7functorIS9_EEEE10hipError_tPvRmT1_T2_T3_mT4_P12ihipStream_tbEUlT_E0_NS1_11comp_targetILNS1_3genE0ELNS1_11target_archE4294967295ELNS1_3gpuE0ELNS1_3repE0EEENS1_30default_config_static_selectorELNS0_4arch9wavefront6targetE1EEEvS14_ ; -- Begin function _ZN7rocprim17ROCPRIM_400000_NS6detail17trampoline_kernelINS0_14default_configENS1_22reduce_config_selectorIN6thrust23THRUST_200600_302600_NS5tupleIblNS6_9null_typeES8_S8_S8_S8_S8_S8_S8_EEEEZNS1_11reduce_implILb1ES3_NS6_12zip_iteratorINS7_INS6_11hip_rocprim26transform_input_iterator_tIbNSD_35transform_pair_of_input_iterators_tIbNS6_6detail15normal_iteratorINS6_10device_ptrIKsEEEESL_NS6_8equal_toIsEEEENSG_9not_fun_tINSD_8identityEEEEENSD_19counting_iterator_tIlEES8_S8_S8_S8_S8_S8_S8_S8_EEEEPS9_S9_NSD_9__find_if7functorIS9_EEEE10hipError_tPvRmT1_T2_T3_mT4_P12ihipStream_tbEUlT_E0_NS1_11comp_targetILNS1_3genE0ELNS1_11target_archE4294967295ELNS1_3gpuE0ELNS1_3repE0EEENS1_30default_config_static_selectorELNS0_4arch9wavefront6targetE1EEEvS14_
	.globl	_ZN7rocprim17ROCPRIM_400000_NS6detail17trampoline_kernelINS0_14default_configENS1_22reduce_config_selectorIN6thrust23THRUST_200600_302600_NS5tupleIblNS6_9null_typeES8_S8_S8_S8_S8_S8_S8_EEEEZNS1_11reduce_implILb1ES3_NS6_12zip_iteratorINS7_INS6_11hip_rocprim26transform_input_iterator_tIbNSD_35transform_pair_of_input_iterators_tIbNS6_6detail15normal_iteratorINS6_10device_ptrIKsEEEESL_NS6_8equal_toIsEEEENSG_9not_fun_tINSD_8identityEEEEENSD_19counting_iterator_tIlEES8_S8_S8_S8_S8_S8_S8_S8_EEEEPS9_S9_NSD_9__find_if7functorIS9_EEEE10hipError_tPvRmT1_T2_T3_mT4_P12ihipStream_tbEUlT_E0_NS1_11comp_targetILNS1_3genE0ELNS1_11target_archE4294967295ELNS1_3gpuE0ELNS1_3repE0EEENS1_30default_config_static_selectorELNS0_4arch9wavefront6targetE1EEEvS14_
	.p2align	8
	.type	_ZN7rocprim17ROCPRIM_400000_NS6detail17trampoline_kernelINS0_14default_configENS1_22reduce_config_selectorIN6thrust23THRUST_200600_302600_NS5tupleIblNS6_9null_typeES8_S8_S8_S8_S8_S8_S8_EEEEZNS1_11reduce_implILb1ES3_NS6_12zip_iteratorINS7_INS6_11hip_rocprim26transform_input_iterator_tIbNSD_35transform_pair_of_input_iterators_tIbNS6_6detail15normal_iteratorINS6_10device_ptrIKsEEEESL_NS6_8equal_toIsEEEENSG_9not_fun_tINSD_8identityEEEEENSD_19counting_iterator_tIlEES8_S8_S8_S8_S8_S8_S8_S8_EEEEPS9_S9_NSD_9__find_if7functorIS9_EEEE10hipError_tPvRmT1_T2_T3_mT4_P12ihipStream_tbEUlT_E0_NS1_11comp_targetILNS1_3genE0ELNS1_11target_archE4294967295ELNS1_3gpuE0ELNS1_3repE0EEENS1_30default_config_static_selectorELNS0_4arch9wavefront6targetE1EEEvS14_,@function
_ZN7rocprim17ROCPRIM_400000_NS6detail17trampoline_kernelINS0_14default_configENS1_22reduce_config_selectorIN6thrust23THRUST_200600_302600_NS5tupleIblNS6_9null_typeES8_S8_S8_S8_S8_S8_S8_EEEEZNS1_11reduce_implILb1ES3_NS6_12zip_iteratorINS7_INS6_11hip_rocprim26transform_input_iterator_tIbNSD_35transform_pair_of_input_iterators_tIbNS6_6detail15normal_iteratorINS6_10device_ptrIKsEEEESL_NS6_8equal_toIsEEEENSG_9not_fun_tINSD_8identityEEEEENSD_19counting_iterator_tIlEES8_S8_S8_S8_S8_S8_S8_S8_EEEEPS9_S9_NSD_9__find_if7functorIS9_EEEE10hipError_tPvRmT1_T2_T3_mT4_P12ihipStream_tbEUlT_E0_NS1_11comp_targetILNS1_3genE0ELNS1_11target_archE4294967295ELNS1_3gpuE0ELNS1_3repE0EEENS1_30default_config_static_selectorELNS0_4arch9wavefront6targetE1EEEvS14_: ; @_ZN7rocprim17ROCPRIM_400000_NS6detail17trampoline_kernelINS0_14default_configENS1_22reduce_config_selectorIN6thrust23THRUST_200600_302600_NS5tupleIblNS6_9null_typeES8_S8_S8_S8_S8_S8_S8_EEEEZNS1_11reduce_implILb1ES3_NS6_12zip_iteratorINS7_INS6_11hip_rocprim26transform_input_iterator_tIbNSD_35transform_pair_of_input_iterators_tIbNS6_6detail15normal_iteratorINS6_10device_ptrIKsEEEESL_NS6_8equal_toIsEEEENSG_9not_fun_tINSD_8identityEEEEENSD_19counting_iterator_tIlEES8_S8_S8_S8_S8_S8_S8_S8_EEEEPS9_S9_NSD_9__find_if7functorIS9_EEEE10hipError_tPvRmT1_T2_T3_mT4_P12ihipStream_tbEUlT_E0_NS1_11comp_targetILNS1_3genE0ELNS1_11target_archE4294967295ELNS1_3gpuE0ELNS1_3repE0EEENS1_30default_config_static_selectorELNS0_4arch9wavefront6targetE1EEEvS14_
; %bb.0:
	.section	.rodata,"a",@progbits
	.p2align	6, 0x0
	.amdhsa_kernel _ZN7rocprim17ROCPRIM_400000_NS6detail17trampoline_kernelINS0_14default_configENS1_22reduce_config_selectorIN6thrust23THRUST_200600_302600_NS5tupleIblNS6_9null_typeES8_S8_S8_S8_S8_S8_S8_EEEEZNS1_11reduce_implILb1ES3_NS6_12zip_iteratorINS7_INS6_11hip_rocprim26transform_input_iterator_tIbNSD_35transform_pair_of_input_iterators_tIbNS6_6detail15normal_iteratorINS6_10device_ptrIKsEEEESL_NS6_8equal_toIsEEEENSG_9not_fun_tINSD_8identityEEEEENSD_19counting_iterator_tIlEES8_S8_S8_S8_S8_S8_S8_S8_EEEEPS9_S9_NSD_9__find_if7functorIS9_EEEE10hipError_tPvRmT1_T2_T3_mT4_P12ihipStream_tbEUlT_E0_NS1_11comp_targetILNS1_3genE0ELNS1_11target_archE4294967295ELNS1_3gpuE0ELNS1_3repE0EEENS1_30default_config_static_selectorELNS0_4arch9wavefront6targetE1EEEvS14_
		.amdhsa_group_segment_fixed_size 0
		.amdhsa_private_segment_fixed_size 0
		.amdhsa_kernarg_size 104
		.amdhsa_user_sgpr_count 6
		.amdhsa_user_sgpr_private_segment_buffer 1
		.amdhsa_user_sgpr_dispatch_ptr 0
		.amdhsa_user_sgpr_queue_ptr 0
		.amdhsa_user_sgpr_kernarg_segment_ptr 1
		.amdhsa_user_sgpr_dispatch_id 0
		.amdhsa_user_sgpr_flat_scratch_init 0
		.amdhsa_user_sgpr_kernarg_preload_length 0
		.amdhsa_user_sgpr_kernarg_preload_offset 0
		.amdhsa_user_sgpr_private_segment_size 0
		.amdhsa_uses_dynamic_stack 0
		.amdhsa_system_sgpr_private_segment_wavefront_offset 0
		.amdhsa_system_sgpr_workgroup_id_x 1
		.amdhsa_system_sgpr_workgroup_id_y 0
		.amdhsa_system_sgpr_workgroup_id_z 0
		.amdhsa_system_sgpr_workgroup_info 0
		.amdhsa_system_vgpr_workitem_id 0
		.amdhsa_next_free_vgpr 1
		.amdhsa_next_free_sgpr 0
		.amdhsa_accum_offset 4
		.amdhsa_reserve_vcc 0
		.amdhsa_reserve_flat_scratch 0
		.amdhsa_float_round_mode_32 0
		.amdhsa_float_round_mode_16_64 0
		.amdhsa_float_denorm_mode_32 3
		.amdhsa_float_denorm_mode_16_64 3
		.amdhsa_dx10_clamp 1
		.amdhsa_ieee_mode 1
		.amdhsa_fp16_overflow 0
		.amdhsa_tg_split 0
		.amdhsa_exception_fp_ieee_invalid_op 0
		.amdhsa_exception_fp_denorm_src 0
		.amdhsa_exception_fp_ieee_div_zero 0
		.amdhsa_exception_fp_ieee_overflow 0
		.amdhsa_exception_fp_ieee_underflow 0
		.amdhsa_exception_fp_ieee_inexact 0
		.amdhsa_exception_int_div_zero 0
	.end_amdhsa_kernel
	.section	.text._ZN7rocprim17ROCPRIM_400000_NS6detail17trampoline_kernelINS0_14default_configENS1_22reduce_config_selectorIN6thrust23THRUST_200600_302600_NS5tupleIblNS6_9null_typeES8_S8_S8_S8_S8_S8_S8_EEEEZNS1_11reduce_implILb1ES3_NS6_12zip_iteratorINS7_INS6_11hip_rocprim26transform_input_iterator_tIbNSD_35transform_pair_of_input_iterators_tIbNS6_6detail15normal_iteratorINS6_10device_ptrIKsEEEESL_NS6_8equal_toIsEEEENSG_9not_fun_tINSD_8identityEEEEENSD_19counting_iterator_tIlEES8_S8_S8_S8_S8_S8_S8_S8_EEEEPS9_S9_NSD_9__find_if7functorIS9_EEEE10hipError_tPvRmT1_T2_T3_mT4_P12ihipStream_tbEUlT_E0_NS1_11comp_targetILNS1_3genE0ELNS1_11target_archE4294967295ELNS1_3gpuE0ELNS1_3repE0EEENS1_30default_config_static_selectorELNS0_4arch9wavefront6targetE1EEEvS14_,"axG",@progbits,_ZN7rocprim17ROCPRIM_400000_NS6detail17trampoline_kernelINS0_14default_configENS1_22reduce_config_selectorIN6thrust23THRUST_200600_302600_NS5tupleIblNS6_9null_typeES8_S8_S8_S8_S8_S8_S8_EEEEZNS1_11reduce_implILb1ES3_NS6_12zip_iteratorINS7_INS6_11hip_rocprim26transform_input_iterator_tIbNSD_35transform_pair_of_input_iterators_tIbNS6_6detail15normal_iteratorINS6_10device_ptrIKsEEEESL_NS6_8equal_toIsEEEENSG_9not_fun_tINSD_8identityEEEEENSD_19counting_iterator_tIlEES8_S8_S8_S8_S8_S8_S8_S8_EEEEPS9_S9_NSD_9__find_if7functorIS9_EEEE10hipError_tPvRmT1_T2_T3_mT4_P12ihipStream_tbEUlT_E0_NS1_11comp_targetILNS1_3genE0ELNS1_11target_archE4294967295ELNS1_3gpuE0ELNS1_3repE0EEENS1_30default_config_static_selectorELNS0_4arch9wavefront6targetE1EEEvS14_,comdat
.Lfunc_end172:
	.size	_ZN7rocprim17ROCPRIM_400000_NS6detail17trampoline_kernelINS0_14default_configENS1_22reduce_config_selectorIN6thrust23THRUST_200600_302600_NS5tupleIblNS6_9null_typeES8_S8_S8_S8_S8_S8_S8_EEEEZNS1_11reduce_implILb1ES3_NS6_12zip_iteratorINS7_INS6_11hip_rocprim26transform_input_iterator_tIbNSD_35transform_pair_of_input_iterators_tIbNS6_6detail15normal_iteratorINS6_10device_ptrIKsEEEESL_NS6_8equal_toIsEEEENSG_9not_fun_tINSD_8identityEEEEENSD_19counting_iterator_tIlEES8_S8_S8_S8_S8_S8_S8_S8_EEEEPS9_S9_NSD_9__find_if7functorIS9_EEEE10hipError_tPvRmT1_T2_T3_mT4_P12ihipStream_tbEUlT_E0_NS1_11comp_targetILNS1_3genE0ELNS1_11target_archE4294967295ELNS1_3gpuE0ELNS1_3repE0EEENS1_30default_config_static_selectorELNS0_4arch9wavefront6targetE1EEEvS14_, .Lfunc_end172-_ZN7rocprim17ROCPRIM_400000_NS6detail17trampoline_kernelINS0_14default_configENS1_22reduce_config_selectorIN6thrust23THRUST_200600_302600_NS5tupleIblNS6_9null_typeES8_S8_S8_S8_S8_S8_S8_EEEEZNS1_11reduce_implILb1ES3_NS6_12zip_iteratorINS7_INS6_11hip_rocprim26transform_input_iterator_tIbNSD_35transform_pair_of_input_iterators_tIbNS6_6detail15normal_iteratorINS6_10device_ptrIKsEEEESL_NS6_8equal_toIsEEEENSG_9not_fun_tINSD_8identityEEEEENSD_19counting_iterator_tIlEES8_S8_S8_S8_S8_S8_S8_S8_EEEEPS9_S9_NSD_9__find_if7functorIS9_EEEE10hipError_tPvRmT1_T2_T3_mT4_P12ihipStream_tbEUlT_E0_NS1_11comp_targetILNS1_3genE0ELNS1_11target_archE4294967295ELNS1_3gpuE0ELNS1_3repE0EEENS1_30default_config_static_selectorELNS0_4arch9wavefront6targetE1EEEvS14_
                                        ; -- End function
	.section	.AMDGPU.csdata,"",@progbits
; Kernel info:
; codeLenInByte = 0
; NumSgprs: 4
; NumVgprs: 0
; NumAgprs: 0
; TotalNumVgprs: 0
; ScratchSize: 0
; MemoryBound: 0
; FloatMode: 240
; IeeeMode: 1
; LDSByteSize: 0 bytes/workgroup (compile time only)
; SGPRBlocks: 0
; VGPRBlocks: 0
; NumSGPRsForWavesPerEU: 4
; NumVGPRsForWavesPerEU: 1
; AccumOffset: 4
; Occupancy: 8
; WaveLimiterHint : 0
; COMPUTE_PGM_RSRC2:SCRATCH_EN: 0
; COMPUTE_PGM_RSRC2:USER_SGPR: 6
; COMPUTE_PGM_RSRC2:TRAP_HANDLER: 0
; COMPUTE_PGM_RSRC2:TGID_X_EN: 1
; COMPUTE_PGM_RSRC2:TGID_Y_EN: 0
; COMPUTE_PGM_RSRC2:TGID_Z_EN: 0
; COMPUTE_PGM_RSRC2:TIDIG_COMP_CNT: 0
; COMPUTE_PGM_RSRC3_GFX90A:ACCUM_OFFSET: 0
; COMPUTE_PGM_RSRC3_GFX90A:TG_SPLIT: 0
	.section	.text._ZN7rocprim17ROCPRIM_400000_NS6detail17trampoline_kernelINS0_14default_configENS1_22reduce_config_selectorIN6thrust23THRUST_200600_302600_NS5tupleIblNS6_9null_typeES8_S8_S8_S8_S8_S8_S8_EEEEZNS1_11reduce_implILb1ES3_NS6_12zip_iteratorINS7_INS6_11hip_rocprim26transform_input_iterator_tIbNSD_35transform_pair_of_input_iterators_tIbNS6_6detail15normal_iteratorINS6_10device_ptrIKsEEEESL_NS6_8equal_toIsEEEENSG_9not_fun_tINSD_8identityEEEEENSD_19counting_iterator_tIlEES8_S8_S8_S8_S8_S8_S8_S8_EEEEPS9_S9_NSD_9__find_if7functorIS9_EEEE10hipError_tPvRmT1_T2_T3_mT4_P12ihipStream_tbEUlT_E0_NS1_11comp_targetILNS1_3genE5ELNS1_11target_archE942ELNS1_3gpuE9ELNS1_3repE0EEENS1_30default_config_static_selectorELNS0_4arch9wavefront6targetE1EEEvS14_,"axG",@progbits,_ZN7rocprim17ROCPRIM_400000_NS6detail17trampoline_kernelINS0_14default_configENS1_22reduce_config_selectorIN6thrust23THRUST_200600_302600_NS5tupleIblNS6_9null_typeES8_S8_S8_S8_S8_S8_S8_EEEEZNS1_11reduce_implILb1ES3_NS6_12zip_iteratorINS7_INS6_11hip_rocprim26transform_input_iterator_tIbNSD_35transform_pair_of_input_iterators_tIbNS6_6detail15normal_iteratorINS6_10device_ptrIKsEEEESL_NS6_8equal_toIsEEEENSG_9not_fun_tINSD_8identityEEEEENSD_19counting_iterator_tIlEES8_S8_S8_S8_S8_S8_S8_S8_EEEEPS9_S9_NSD_9__find_if7functorIS9_EEEE10hipError_tPvRmT1_T2_T3_mT4_P12ihipStream_tbEUlT_E0_NS1_11comp_targetILNS1_3genE5ELNS1_11target_archE942ELNS1_3gpuE9ELNS1_3repE0EEENS1_30default_config_static_selectorELNS0_4arch9wavefront6targetE1EEEvS14_,comdat
	.protected	_ZN7rocprim17ROCPRIM_400000_NS6detail17trampoline_kernelINS0_14default_configENS1_22reduce_config_selectorIN6thrust23THRUST_200600_302600_NS5tupleIblNS6_9null_typeES8_S8_S8_S8_S8_S8_S8_EEEEZNS1_11reduce_implILb1ES3_NS6_12zip_iteratorINS7_INS6_11hip_rocprim26transform_input_iterator_tIbNSD_35transform_pair_of_input_iterators_tIbNS6_6detail15normal_iteratorINS6_10device_ptrIKsEEEESL_NS6_8equal_toIsEEEENSG_9not_fun_tINSD_8identityEEEEENSD_19counting_iterator_tIlEES8_S8_S8_S8_S8_S8_S8_S8_EEEEPS9_S9_NSD_9__find_if7functorIS9_EEEE10hipError_tPvRmT1_T2_T3_mT4_P12ihipStream_tbEUlT_E0_NS1_11comp_targetILNS1_3genE5ELNS1_11target_archE942ELNS1_3gpuE9ELNS1_3repE0EEENS1_30default_config_static_selectorELNS0_4arch9wavefront6targetE1EEEvS14_ ; -- Begin function _ZN7rocprim17ROCPRIM_400000_NS6detail17trampoline_kernelINS0_14default_configENS1_22reduce_config_selectorIN6thrust23THRUST_200600_302600_NS5tupleIblNS6_9null_typeES8_S8_S8_S8_S8_S8_S8_EEEEZNS1_11reduce_implILb1ES3_NS6_12zip_iteratorINS7_INS6_11hip_rocprim26transform_input_iterator_tIbNSD_35transform_pair_of_input_iterators_tIbNS6_6detail15normal_iteratorINS6_10device_ptrIKsEEEESL_NS6_8equal_toIsEEEENSG_9not_fun_tINSD_8identityEEEEENSD_19counting_iterator_tIlEES8_S8_S8_S8_S8_S8_S8_S8_EEEEPS9_S9_NSD_9__find_if7functorIS9_EEEE10hipError_tPvRmT1_T2_T3_mT4_P12ihipStream_tbEUlT_E0_NS1_11comp_targetILNS1_3genE5ELNS1_11target_archE942ELNS1_3gpuE9ELNS1_3repE0EEENS1_30default_config_static_selectorELNS0_4arch9wavefront6targetE1EEEvS14_
	.globl	_ZN7rocprim17ROCPRIM_400000_NS6detail17trampoline_kernelINS0_14default_configENS1_22reduce_config_selectorIN6thrust23THRUST_200600_302600_NS5tupleIblNS6_9null_typeES8_S8_S8_S8_S8_S8_S8_EEEEZNS1_11reduce_implILb1ES3_NS6_12zip_iteratorINS7_INS6_11hip_rocprim26transform_input_iterator_tIbNSD_35transform_pair_of_input_iterators_tIbNS6_6detail15normal_iteratorINS6_10device_ptrIKsEEEESL_NS6_8equal_toIsEEEENSG_9not_fun_tINSD_8identityEEEEENSD_19counting_iterator_tIlEES8_S8_S8_S8_S8_S8_S8_S8_EEEEPS9_S9_NSD_9__find_if7functorIS9_EEEE10hipError_tPvRmT1_T2_T3_mT4_P12ihipStream_tbEUlT_E0_NS1_11comp_targetILNS1_3genE5ELNS1_11target_archE942ELNS1_3gpuE9ELNS1_3repE0EEENS1_30default_config_static_selectorELNS0_4arch9wavefront6targetE1EEEvS14_
	.p2align	8
	.type	_ZN7rocprim17ROCPRIM_400000_NS6detail17trampoline_kernelINS0_14default_configENS1_22reduce_config_selectorIN6thrust23THRUST_200600_302600_NS5tupleIblNS6_9null_typeES8_S8_S8_S8_S8_S8_S8_EEEEZNS1_11reduce_implILb1ES3_NS6_12zip_iteratorINS7_INS6_11hip_rocprim26transform_input_iterator_tIbNSD_35transform_pair_of_input_iterators_tIbNS6_6detail15normal_iteratorINS6_10device_ptrIKsEEEESL_NS6_8equal_toIsEEEENSG_9not_fun_tINSD_8identityEEEEENSD_19counting_iterator_tIlEES8_S8_S8_S8_S8_S8_S8_S8_EEEEPS9_S9_NSD_9__find_if7functorIS9_EEEE10hipError_tPvRmT1_T2_T3_mT4_P12ihipStream_tbEUlT_E0_NS1_11comp_targetILNS1_3genE5ELNS1_11target_archE942ELNS1_3gpuE9ELNS1_3repE0EEENS1_30default_config_static_selectorELNS0_4arch9wavefront6targetE1EEEvS14_,@function
_ZN7rocprim17ROCPRIM_400000_NS6detail17trampoline_kernelINS0_14default_configENS1_22reduce_config_selectorIN6thrust23THRUST_200600_302600_NS5tupleIblNS6_9null_typeES8_S8_S8_S8_S8_S8_S8_EEEEZNS1_11reduce_implILb1ES3_NS6_12zip_iteratorINS7_INS6_11hip_rocprim26transform_input_iterator_tIbNSD_35transform_pair_of_input_iterators_tIbNS6_6detail15normal_iteratorINS6_10device_ptrIKsEEEESL_NS6_8equal_toIsEEEENSG_9not_fun_tINSD_8identityEEEEENSD_19counting_iterator_tIlEES8_S8_S8_S8_S8_S8_S8_S8_EEEEPS9_S9_NSD_9__find_if7functorIS9_EEEE10hipError_tPvRmT1_T2_T3_mT4_P12ihipStream_tbEUlT_E0_NS1_11comp_targetILNS1_3genE5ELNS1_11target_archE942ELNS1_3gpuE9ELNS1_3repE0EEENS1_30default_config_static_selectorELNS0_4arch9wavefront6targetE1EEEvS14_: ; @_ZN7rocprim17ROCPRIM_400000_NS6detail17trampoline_kernelINS0_14default_configENS1_22reduce_config_selectorIN6thrust23THRUST_200600_302600_NS5tupleIblNS6_9null_typeES8_S8_S8_S8_S8_S8_S8_EEEEZNS1_11reduce_implILb1ES3_NS6_12zip_iteratorINS7_INS6_11hip_rocprim26transform_input_iterator_tIbNSD_35transform_pair_of_input_iterators_tIbNS6_6detail15normal_iteratorINS6_10device_ptrIKsEEEESL_NS6_8equal_toIsEEEENSG_9not_fun_tINSD_8identityEEEEENSD_19counting_iterator_tIlEES8_S8_S8_S8_S8_S8_S8_S8_EEEEPS9_S9_NSD_9__find_if7functorIS9_EEEE10hipError_tPvRmT1_T2_T3_mT4_P12ihipStream_tbEUlT_E0_NS1_11comp_targetILNS1_3genE5ELNS1_11target_archE942ELNS1_3gpuE9ELNS1_3repE0EEENS1_30default_config_static_selectorELNS0_4arch9wavefront6targetE1EEEvS14_
; %bb.0:
	.section	.rodata,"a",@progbits
	.p2align	6, 0x0
	.amdhsa_kernel _ZN7rocprim17ROCPRIM_400000_NS6detail17trampoline_kernelINS0_14default_configENS1_22reduce_config_selectorIN6thrust23THRUST_200600_302600_NS5tupleIblNS6_9null_typeES8_S8_S8_S8_S8_S8_S8_EEEEZNS1_11reduce_implILb1ES3_NS6_12zip_iteratorINS7_INS6_11hip_rocprim26transform_input_iterator_tIbNSD_35transform_pair_of_input_iterators_tIbNS6_6detail15normal_iteratorINS6_10device_ptrIKsEEEESL_NS6_8equal_toIsEEEENSG_9not_fun_tINSD_8identityEEEEENSD_19counting_iterator_tIlEES8_S8_S8_S8_S8_S8_S8_S8_EEEEPS9_S9_NSD_9__find_if7functorIS9_EEEE10hipError_tPvRmT1_T2_T3_mT4_P12ihipStream_tbEUlT_E0_NS1_11comp_targetILNS1_3genE5ELNS1_11target_archE942ELNS1_3gpuE9ELNS1_3repE0EEENS1_30default_config_static_selectorELNS0_4arch9wavefront6targetE1EEEvS14_
		.amdhsa_group_segment_fixed_size 0
		.amdhsa_private_segment_fixed_size 0
		.amdhsa_kernarg_size 104
		.amdhsa_user_sgpr_count 6
		.amdhsa_user_sgpr_private_segment_buffer 1
		.amdhsa_user_sgpr_dispatch_ptr 0
		.amdhsa_user_sgpr_queue_ptr 0
		.amdhsa_user_sgpr_kernarg_segment_ptr 1
		.amdhsa_user_sgpr_dispatch_id 0
		.amdhsa_user_sgpr_flat_scratch_init 0
		.amdhsa_user_sgpr_kernarg_preload_length 0
		.amdhsa_user_sgpr_kernarg_preload_offset 0
		.amdhsa_user_sgpr_private_segment_size 0
		.amdhsa_uses_dynamic_stack 0
		.amdhsa_system_sgpr_private_segment_wavefront_offset 0
		.amdhsa_system_sgpr_workgroup_id_x 1
		.amdhsa_system_sgpr_workgroup_id_y 0
		.amdhsa_system_sgpr_workgroup_id_z 0
		.amdhsa_system_sgpr_workgroup_info 0
		.amdhsa_system_vgpr_workitem_id 0
		.amdhsa_next_free_vgpr 1
		.amdhsa_next_free_sgpr 0
		.amdhsa_accum_offset 4
		.amdhsa_reserve_vcc 0
		.amdhsa_reserve_flat_scratch 0
		.amdhsa_float_round_mode_32 0
		.amdhsa_float_round_mode_16_64 0
		.amdhsa_float_denorm_mode_32 3
		.amdhsa_float_denorm_mode_16_64 3
		.amdhsa_dx10_clamp 1
		.amdhsa_ieee_mode 1
		.amdhsa_fp16_overflow 0
		.amdhsa_tg_split 0
		.amdhsa_exception_fp_ieee_invalid_op 0
		.amdhsa_exception_fp_denorm_src 0
		.amdhsa_exception_fp_ieee_div_zero 0
		.amdhsa_exception_fp_ieee_overflow 0
		.amdhsa_exception_fp_ieee_underflow 0
		.amdhsa_exception_fp_ieee_inexact 0
		.amdhsa_exception_int_div_zero 0
	.end_amdhsa_kernel
	.section	.text._ZN7rocprim17ROCPRIM_400000_NS6detail17trampoline_kernelINS0_14default_configENS1_22reduce_config_selectorIN6thrust23THRUST_200600_302600_NS5tupleIblNS6_9null_typeES8_S8_S8_S8_S8_S8_S8_EEEEZNS1_11reduce_implILb1ES3_NS6_12zip_iteratorINS7_INS6_11hip_rocprim26transform_input_iterator_tIbNSD_35transform_pair_of_input_iterators_tIbNS6_6detail15normal_iteratorINS6_10device_ptrIKsEEEESL_NS6_8equal_toIsEEEENSG_9not_fun_tINSD_8identityEEEEENSD_19counting_iterator_tIlEES8_S8_S8_S8_S8_S8_S8_S8_EEEEPS9_S9_NSD_9__find_if7functorIS9_EEEE10hipError_tPvRmT1_T2_T3_mT4_P12ihipStream_tbEUlT_E0_NS1_11comp_targetILNS1_3genE5ELNS1_11target_archE942ELNS1_3gpuE9ELNS1_3repE0EEENS1_30default_config_static_selectorELNS0_4arch9wavefront6targetE1EEEvS14_,"axG",@progbits,_ZN7rocprim17ROCPRIM_400000_NS6detail17trampoline_kernelINS0_14default_configENS1_22reduce_config_selectorIN6thrust23THRUST_200600_302600_NS5tupleIblNS6_9null_typeES8_S8_S8_S8_S8_S8_S8_EEEEZNS1_11reduce_implILb1ES3_NS6_12zip_iteratorINS7_INS6_11hip_rocprim26transform_input_iterator_tIbNSD_35transform_pair_of_input_iterators_tIbNS6_6detail15normal_iteratorINS6_10device_ptrIKsEEEESL_NS6_8equal_toIsEEEENSG_9not_fun_tINSD_8identityEEEEENSD_19counting_iterator_tIlEES8_S8_S8_S8_S8_S8_S8_S8_EEEEPS9_S9_NSD_9__find_if7functorIS9_EEEE10hipError_tPvRmT1_T2_T3_mT4_P12ihipStream_tbEUlT_E0_NS1_11comp_targetILNS1_3genE5ELNS1_11target_archE942ELNS1_3gpuE9ELNS1_3repE0EEENS1_30default_config_static_selectorELNS0_4arch9wavefront6targetE1EEEvS14_,comdat
.Lfunc_end173:
	.size	_ZN7rocprim17ROCPRIM_400000_NS6detail17trampoline_kernelINS0_14default_configENS1_22reduce_config_selectorIN6thrust23THRUST_200600_302600_NS5tupleIblNS6_9null_typeES8_S8_S8_S8_S8_S8_S8_EEEEZNS1_11reduce_implILb1ES3_NS6_12zip_iteratorINS7_INS6_11hip_rocprim26transform_input_iterator_tIbNSD_35transform_pair_of_input_iterators_tIbNS6_6detail15normal_iteratorINS6_10device_ptrIKsEEEESL_NS6_8equal_toIsEEEENSG_9not_fun_tINSD_8identityEEEEENSD_19counting_iterator_tIlEES8_S8_S8_S8_S8_S8_S8_S8_EEEEPS9_S9_NSD_9__find_if7functorIS9_EEEE10hipError_tPvRmT1_T2_T3_mT4_P12ihipStream_tbEUlT_E0_NS1_11comp_targetILNS1_3genE5ELNS1_11target_archE942ELNS1_3gpuE9ELNS1_3repE0EEENS1_30default_config_static_selectorELNS0_4arch9wavefront6targetE1EEEvS14_, .Lfunc_end173-_ZN7rocprim17ROCPRIM_400000_NS6detail17trampoline_kernelINS0_14default_configENS1_22reduce_config_selectorIN6thrust23THRUST_200600_302600_NS5tupleIblNS6_9null_typeES8_S8_S8_S8_S8_S8_S8_EEEEZNS1_11reduce_implILb1ES3_NS6_12zip_iteratorINS7_INS6_11hip_rocprim26transform_input_iterator_tIbNSD_35transform_pair_of_input_iterators_tIbNS6_6detail15normal_iteratorINS6_10device_ptrIKsEEEESL_NS6_8equal_toIsEEEENSG_9not_fun_tINSD_8identityEEEEENSD_19counting_iterator_tIlEES8_S8_S8_S8_S8_S8_S8_S8_EEEEPS9_S9_NSD_9__find_if7functorIS9_EEEE10hipError_tPvRmT1_T2_T3_mT4_P12ihipStream_tbEUlT_E0_NS1_11comp_targetILNS1_3genE5ELNS1_11target_archE942ELNS1_3gpuE9ELNS1_3repE0EEENS1_30default_config_static_selectorELNS0_4arch9wavefront6targetE1EEEvS14_
                                        ; -- End function
	.section	.AMDGPU.csdata,"",@progbits
; Kernel info:
; codeLenInByte = 0
; NumSgprs: 4
; NumVgprs: 0
; NumAgprs: 0
; TotalNumVgprs: 0
; ScratchSize: 0
; MemoryBound: 0
; FloatMode: 240
; IeeeMode: 1
; LDSByteSize: 0 bytes/workgroup (compile time only)
; SGPRBlocks: 0
; VGPRBlocks: 0
; NumSGPRsForWavesPerEU: 4
; NumVGPRsForWavesPerEU: 1
; AccumOffset: 4
; Occupancy: 8
; WaveLimiterHint : 0
; COMPUTE_PGM_RSRC2:SCRATCH_EN: 0
; COMPUTE_PGM_RSRC2:USER_SGPR: 6
; COMPUTE_PGM_RSRC2:TRAP_HANDLER: 0
; COMPUTE_PGM_RSRC2:TGID_X_EN: 1
; COMPUTE_PGM_RSRC2:TGID_Y_EN: 0
; COMPUTE_PGM_RSRC2:TGID_Z_EN: 0
; COMPUTE_PGM_RSRC2:TIDIG_COMP_CNT: 0
; COMPUTE_PGM_RSRC3_GFX90A:ACCUM_OFFSET: 0
; COMPUTE_PGM_RSRC3_GFX90A:TG_SPLIT: 0
	.section	.text._ZN7rocprim17ROCPRIM_400000_NS6detail17trampoline_kernelINS0_14default_configENS1_22reduce_config_selectorIN6thrust23THRUST_200600_302600_NS5tupleIblNS6_9null_typeES8_S8_S8_S8_S8_S8_S8_EEEEZNS1_11reduce_implILb1ES3_NS6_12zip_iteratorINS7_INS6_11hip_rocprim26transform_input_iterator_tIbNSD_35transform_pair_of_input_iterators_tIbNS6_6detail15normal_iteratorINS6_10device_ptrIKsEEEESL_NS6_8equal_toIsEEEENSG_9not_fun_tINSD_8identityEEEEENSD_19counting_iterator_tIlEES8_S8_S8_S8_S8_S8_S8_S8_EEEEPS9_S9_NSD_9__find_if7functorIS9_EEEE10hipError_tPvRmT1_T2_T3_mT4_P12ihipStream_tbEUlT_E0_NS1_11comp_targetILNS1_3genE4ELNS1_11target_archE910ELNS1_3gpuE8ELNS1_3repE0EEENS1_30default_config_static_selectorELNS0_4arch9wavefront6targetE1EEEvS14_,"axG",@progbits,_ZN7rocprim17ROCPRIM_400000_NS6detail17trampoline_kernelINS0_14default_configENS1_22reduce_config_selectorIN6thrust23THRUST_200600_302600_NS5tupleIblNS6_9null_typeES8_S8_S8_S8_S8_S8_S8_EEEEZNS1_11reduce_implILb1ES3_NS6_12zip_iteratorINS7_INS6_11hip_rocprim26transform_input_iterator_tIbNSD_35transform_pair_of_input_iterators_tIbNS6_6detail15normal_iteratorINS6_10device_ptrIKsEEEESL_NS6_8equal_toIsEEEENSG_9not_fun_tINSD_8identityEEEEENSD_19counting_iterator_tIlEES8_S8_S8_S8_S8_S8_S8_S8_EEEEPS9_S9_NSD_9__find_if7functorIS9_EEEE10hipError_tPvRmT1_T2_T3_mT4_P12ihipStream_tbEUlT_E0_NS1_11comp_targetILNS1_3genE4ELNS1_11target_archE910ELNS1_3gpuE8ELNS1_3repE0EEENS1_30default_config_static_selectorELNS0_4arch9wavefront6targetE1EEEvS14_,comdat
	.protected	_ZN7rocprim17ROCPRIM_400000_NS6detail17trampoline_kernelINS0_14default_configENS1_22reduce_config_selectorIN6thrust23THRUST_200600_302600_NS5tupleIblNS6_9null_typeES8_S8_S8_S8_S8_S8_S8_EEEEZNS1_11reduce_implILb1ES3_NS6_12zip_iteratorINS7_INS6_11hip_rocprim26transform_input_iterator_tIbNSD_35transform_pair_of_input_iterators_tIbNS6_6detail15normal_iteratorINS6_10device_ptrIKsEEEESL_NS6_8equal_toIsEEEENSG_9not_fun_tINSD_8identityEEEEENSD_19counting_iterator_tIlEES8_S8_S8_S8_S8_S8_S8_S8_EEEEPS9_S9_NSD_9__find_if7functorIS9_EEEE10hipError_tPvRmT1_T2_T3_mT4_P12ihipStream_tbEUlT_E0_NS1_11comp_targetILNS1_3genE4ELNS1_11target_archE910ELNS1_3gpuE8ELNS1_3repE0EEENS1_30default_config_static_selectorELNS0_4arch9wavefront6targetE1EEEvS14_ ; -- Begin function _ZN7rocprim17ROCPRIM_400000_NS6detail17trampoline_kernelINS0_14default_configENS1_22reduce_config_selectorIN6thrust23THRUST_200600_302600_NS5tupleIblNS6_9null_typeES8_S8_S8_S8_S8_S8_S8_EEEEZNS1_11reduce_implILb1ES3_NS6_12zip_iteratorINS7_INS6_11hip_rocprim26transform_input_iterator_tIbNSD_35transform_pair_of_input_iterators_tIbNS6_6detail15normal_iteratorINS6_10device_ptrIKsEEEESL_NS6_8equal_toIsEEEENSG_9not_fun_tINSD_8identityEEEEENSD_19counting_iterator_tIlEES8_S8_S8_S8_S8_S8_S8_S8_EEEEPS9_S9_NSD_9__find_if7functorIS9_EEEE10hipError_tPvRmT1_T2_T3_mT4_P12ihipStream_tbEUlT_E0_NS1_11comp_targetILNS1_3genE4ELNS1_11target_archE910ELNS1_3gpuE8ELNS1_3repE0EEENS1_30default_config_static_selectorELNS0_4arch9wavefront6targetE1EEEvS14_
	.globl	_ZN7rocprim17ROCPRIM_400000_NS6detail17trampoline_kernelINS0_14default_configENS1_22reduce_config_selectorIN6thrust23THRUST_200600_302600_NS5tupleIblNS6_9null_typeES8_S8_S8_S8_S8_S8_S8_EEEEZNS1_11reduce_implILb1ES3_NS6_12zip_iteratorINS7_INS6_11hip_rocprim26transform_input_iterator_tIbNSD_35transform_pair_of_input_iterators_tIbNS6_6detail15normal_iteratorINS6_10device_ptrIKsEEEESL_NS6_8equal_toIsEEEENSG_9not_fun_tINSD_8identityEEEEENSD_19counting_iterator_tIlEES8_S8_S8_S8_S8_S8_S8_S8_EEEEPS9_S9_NSD_9__find_if7functorIS9_EEEE10hipError_tPvRmT1_T2_T3_mT4_P12ihipStream_tbEUlT_E0_NS1_11comp_targetILNS1_3genE4ELNS1_11target_archE910ELNS1_3gpuE8ELNS1_3repE0EEENS1_30default_config_static_selectorELNS0_4arch9wavefront6targetE1EEEvS14_
	.p2align	8
	.type	_ZN7rocprim17ROCPRIM_400000_NS6detail17trampoline_kernelINS0_14default_configENS1_22reduce_config_selectorIN6thrust23THRUST_200600_302600_NS5tupleIblNS6_9null_typeES8_S8_S8_S8_S8_S8_S8_EEEEZNS1_11reduce_implILb1ES3_NS6_12zip_iteratorINS7_INS6_11hip_rocprim26transform_input_iterator_tIbNSD_35transform_pair_of_input_iterators_tIbNS6_6detail15normal_iteratorINS6_10device_ptrIKsEEEESL_NS6_8equal_toIsEEEENSG_9not_fun_tINSD_8identityEEEEENSD_19counting_iterator_tIlEES8_S8_S8_S8_S8_S8_S8_S8_EEEEPS9_S9_NSD_9__find_if7functorIS9_EEEE10hipError_tPvRmT1_T2_T3_mT4_P12ihipStream_tbEUlT_E0_NS1_11comp_targetILNS1_3genE4ELNS1_11target_archE910ELNS1_3gpuE8ELNS1_3repE0EEENS1_30default_config_static_selectorELNS0_4arch9wavefront6targetE1EEEvS14_,@function
_ZN7rocprim17ROCPRIM_400000_NS6detail17trampoline_kernelINS0_14default_configENS1_22reduce_config_selectorIN6thrust23THRUST_200600_302600_NS5tupleIblNS6_9null_typeES8_S8_S8_S8_S8_S8_S8_EEEEZNS1_11reduce_implILb1ES3_NS6_12zip_iteratorINS7_INS6_11hip_rocprim26transform_input_iterator_tIbNSD_35transform_pair_of_input_iterators_tIbNS6_6detail15normal_iteratorINS6_10device_ptrIKsEEEESL_NS6_8equal_toIsEEEENSG_9not_fun_tINSD_8identityEEEEENSD_19counting_iterator_tIlEES8_S8_S8_S8_S8_S8_S8_S8_EEEEPS9_S9_NSD_9__find_if7functorIS9_EEEE10hipError_tPvRmT1_T2_T3_mT4_P12ihipStream_tbEUlT_E0_NS1_11comp_targetILNS1_3genE4ELNS1_11target_archE910ELNS1_3gpuE8ELNS1_3repE0EEENS1_30default_config_static_selectorELNS0_4arch9wavefront6targetE1EEEvS14_: ; @_ZN7rocprim17ROCPRIM_400000_NS6detail17trampoline_kernelINS0_14default_configENS1_22reduce_config_selectorIN6thrust23THRUST_200600_302600_NS5tupleIblNS6_9null_typeES8_S8_S8_S8_S8_S8_S8_EEEEZNS1_11reduce_implILb1ES3_NS6_12zip_iteratorINS7_INS6_11hip_rocprim26transform_input_iterator_tIbNSD_35transform_pair_of_input_iterators_tIbNS6_6detail15normal_iteratorINS6_10device_ptrIKsEEEESL_NS6_8equal_toIsEEEENSG_9not_fun_tINSD_8identityEEEEENSD_19counting_iterator_tIlEES8_S8_S8_S8_S8_S8_S8_S8_EEEEPS9_S9_NSD_9__find_if7functorIS9_EEEE10hipError_tPvRmT1_T2_T3_mT4_P12ihipStream_tbEUlT_E0_NS1_11comp_targetILNS1_3genE4ELNS1_11target_archE910ELNS1_3gpuE8ELNS1_3repE0EEENS1_30default_config_static_selectorELNS0_4arch9wavefront6targetE1EEEvS14_
; %bb.0:
	s_load_dwordx8 s[8:15], s[4:5], 0x20
	s_load_dwordx4 s[0:3], s[4:5], 0x0
	s_load_dwordx4 s[16:19], s[4:5], 0x40
	s_mov_b32 s25, 0
	s_mov_b32 s7, s25
	s_waitcnt lgkmcnt(0)
	s_lshl_b64 s[20:21], s[10:11], 1
	s_add_u32 s22, s0, s20
	s_addc_u32 s23, s1, s21
	s_add_u32 s26, s2, s20
	s_addc_u32 s27, s3, s21
	s_lshl_b32 s24, s6, 9
	s_lshr_b64 s[0:1], s[12:13], 9
	s_lshl_b64 s[2:3], s[24:25], 1
	s_add_u32 s20, s22, s2
	s_addc_u32 s21, s23, s3
	s_add_u32 s22, s26, s2
	s_addc_u32 s23, s27, s3
	;; [unrolled: 2-line block ×4, first 2 shown]
	s_cmp_lg_u64 s[0:1], s[6:7]
	v_lshlrev_b32_e32 v1, 1, v0
	s_cbranch_scc0 .LBB174_18
; %bb.1:
	global_load_ushort v2, v1, s[22:23] offset:512
	global_load_ushort v3, v1, s[22:23]
	global_load_ushort v4, v1, s[20:21] offset:512
	global_load_ushort v5, v1, s[20:21]
	v_mov_b32_e32 v6, s9
	v_add_co_u32_e32 v7, vcc, s8, v0
	v_addc_co_u32_e32 v6, vcc, 0, v6, vcc
	v_add_co_u32_e32 v8, vcc, 0x100, v7
	v_addc_co_u32_e32 v9, vcc, 0, v6, vcc
	s_waitcnt vmcnt(1)
	v_cmp_ne_u16_e32 vcc, v4, v2
	s_waitcnt vmcnt(0)
	v_cmp_ne_u16_e64 s[0:1], v5, v3
	v_cndmask_b32_e64 v3, v9, v6, s[0:1]
	v_cndmask_b32_e64 v2, v8, v7, s[0:1]
	s_or_b64 s[0:1], s[0:1], vcc
	v_cndmask_b32_e64 v6, 0, 1, s[0:1]
	v_mov_b32_dpp v4, v2 quad_perm:[1,0,3,2] row_mask:0xf bank_mask:0xf bound_ctrl:1
	v_mov_b32_dpp v5, v3 quad_perm:[1,0,3,2] row_mask:0xf bank_mask:0xf bound_ctrl:1
	;; [unrolled: 1-line block ×3, first 2 shown]
	v_and_b32_e32 v8, 1, v7
	v_cmp_eq_u32_e32 vcc, 1, v8
	s_and_saveexec_b64 s[2:3], vcc
; %bb.2:
	v_cmp_lt_i64_e32 vcc, v[2:3], v[4:5]
	v_cndmask_b32_e64 v7, v7, 1, s[0:1]
	s_and_b64 vcc, s[0:1], vcc
	v_cndmask_b32_e32 v2, v4, v2, vcc
	v_and_b32_e32 v4, 1, v7
	v_cndmask_b32_e32 v3, v5, v3, vcc
	v_cmp_eq_u32_e32 vcc, 1, v4
	s_andn2_b64 s[0:1], s[0:1], exec
	s_and_b64 s[10:11], vcc, exec
	v_and_b32_e32 v6, 0xff, v7
	s_or_b64 s[0:1], s[0:1], s[10:11]
; %bb.3:
	s_or_b64 exec, exec, s[2:3]
	v_mov_b32_dpp v7, v6 quad_perm:[2,3,0,1] row_mask:0xf bank_mask:0xf bound_ctrl:1
	v_and_b32_e32 v8, 1, v7
	v_mov_b32_dpp v4, v2 quad_perm:[2,3,0,1] row_mask:0xf bank_mask:0xf bound_ctrl:1
	v_mov_b32_dpp v5, v3 quad_perm:[2,3,0,1] row_mask:0xf bank_mask:0xf bound_ctrl:1
	v_cmp_eq_u32_e32 vcc, 1, v8
	s_and_saveexec_b64 s[2:3], vcc
; %bb.4:
	v_cmp_lt_i64_e32 vcc, v[2:3], v[4:5]
	v_cndmask_b32_e64 v7, v7, 1, s[0:1]
	s_and_b64 vcc, s[0:1], vcc
	v_cndmask_b32_e32 v2, v4, v2, vcc
	v_and_b32_e32 v4, 1, v7
	v_cndmask_b32_e32 v3, v5, v3, vcc
	v_cmp_eq_u32_e32 vcc, 1, v4
	s_andn2_b64 s[0:1], s[0:1], exec
	s_and_b64 s[10:11], vcc, exec
	v_and_b32_e32 v6, 0xff, v7
	s_or_b64 s[0:1], s[0:1], s[10:11]
; %bb.5:
	s_or_b64 exec, exec, s[2:3]
	v_mov_b32_dpp v7, v6 row_ror:4 row_mask:0xf bank_mask:0xf bound_ctrl:1
	v_and_b32_e32 v8, 1, v7
	v_mov_b32_dpp v4, v2 row_ror:4 row_mask:0xf bank_mask:0xf bound_ctrl:1
	v_mov_b32_dpp v5, v3 row_ror:4 row_mask:0xf bank_mask:0xf bound_ctrl:1
	v_cmp_eq_u32_e32 vcc, 1, v8
	s_and_saveexec_b64 s[2:3], vcc
; %bb.6:
	v_cmp_lt_i64_e32 vcc, v[2:3], v[4:5]
	v_cndmask_b32_e64 v7, v7, 1, s[0:1]
	s_and_b64 vcc, s[0:1], vcc
	v_cndmask_b32_e32 v2, v4, v2, vcc
	v_and_b32_e32 v4, 1, v7
	v_cndmask_b32_e32 v3, v5, v3, vcc
	v_cmp_eq_u32_e32 vcc, 1, v4
	s_andn2_b64 s[0:1], s[0:1], exec
	s_and_b64 s[10:11], vcc, exec
	v_and_b32_e32 v6, 0xff, v7
	s_or_b64 s[0:1], s[0:1], s[10:11]
; %bb.7:
	s_or_b64 exec, exec, s[2:3]
	v_mov_b32_dpp v7, v6 row_ror:8 row_mask:0xf bank_mask:0xf bound_ctrl:1
	v_and_b32_e32 v8, 1, v7
	v_mov_b32_dpp v4, v2 row_ror:8 row_mask:0xf bank_mask:0xf bound_ctrl:1
	v_mov_b32_dpp v5, v3 row_ror:8 row_mask:0xf bank_mask:0xf bound_ctrl:1
	v_cmp_eq_u32_e32 vcc, 1, v8
	s_and_saveexec_b64 s[2:3], vcc
; %bb.8:
	v_cmp_lt_i64_e32 vcc, v[2:3], v[4:5]
	v_cndmask_b32_e64 v7, v7, 1, s[0:1]
	s_and_b64 vcc, s[0:1], vcc
	v_cndmask_b32_e32 v2, v4, v2, vcc
	v_and_b32_e32 v4, 1, v7
	v_cndmask_b32_e32 v3, v5, v3, vcc
	v_cmp_eq_u32_e32 vcc, 1, v4
	s_andn2_b64 s[0:1], s[0:1], exec
	s_and_b64 s[10:11], vcc, exec
	v_and_b32_e32 v6, 0xff, v7
	s_or_b64 s[0:1], s[0:1], s[10:11]
; %bb.9:
	s_or_b64 exec, exec, s[2:3]
	v_mov_b32_dpp v7, v6 row_bcast:15 row_mask:0xf bank_mask:0xf bound_ctrl:1
	v_and_b32_e32 v8, 1, v7
	v_mov_b32_dpp v4, v2 row_bcast:15 row_mask:0xf bank_mask:0xf bound_ctrl:1
	v_mov_b32_dpp v5, v3 row_bcast:15 row_mask:0xf bank_mask:0xf bound_ctrl:1
	v_cmp_eq_u32_e32 vcc, 1, v8
	s_and_saveexec_b64 s[2:3], vcc
; %bb.10:
	v_cmp_lt_i64_e32 vcc, v[2:3], v[4:5]
	v_cndmask_b32_e64 v7, v7, 1, s[0:1]
	s_and_b64 vcc, s[0:1], vcc
	v_cndmask_b32_e32 v2, v4, v2, vcc
	v_and_b32_e32 v4, 1, v7
	v_cndmask_b32_e32 v3, v5, v3, vcc
	v_cmp_eq_u32_e32 vcc, 1, v4
	s_andn2_b64 s[0:1], s[0:1], exec
	s_and_b64 s[10:11], vcc, exec
	v_and_b32_e32 v6, 0xff, v7
	s_or_b64 s[0:1], s[0:1], s[10:11]
; %bb.11:
	s_or_b64 exec, exec, s[2:3]
	v_mov_b32_dpp v7, v6 row_bcast:31 row_mask:0xf bank_mask:0xf bound_ctrl:1
	v_and_b32_e32 v8, 1, v7
	v_mov_b32_dpp v4, v2 row_bcast:31 row_mask:0xf bank_mask:0xf bound_ctrl:1
	v_mov_b32_dpp v5, v3 row_bcast:31 row_mask:0xf bank_mask:0xf bound_ctrl:1
	v_cmp_eq_u32_e32 vcc, 1, v8
	s_and_saveexec_b64 s[2:3], vcc
; %bb.12:
	v_cmp_lt_i64_e32 vcc, v[2:3], v[4:5]
	v_and_b32_e32 v6, 0xff, v7
	s_and_b64 vcc, s[0:1], vcc
	v_cndmask_b32_e32 v2, v4, v2, vcc
	v_cndmask_b32_e32 v3, v5, v3, vcc
	v_cndmask_b32_e64 v6, v6, 1, s[0:1]
; %bb.13:
	s_or_b64 exec, exec, s[2:3]
	v_mbcnt_lo_u32_b32 v4, -1, 0
	v_mbcnt_hi_u32_b32 v4, -1, v4
	v_bfrev_b32_e32 v5, 0.5
	v_lshl_or_b32 v5, v4, 2, v5
	ds_bpermute_b32 v6, v5, v6
	ds_bpermute_b32 v2, v5, v2
	ds_bpermute_b32 v3, v5, v3
	v_cmp_eq_u32_e32 vcc, 0, v4
	s_and_saveexec_b64 s[0:1], vcc
	s_cbranch_execz .LBB174_15
; %bb.14:
	v_lshrrev_b32_e32 v5, 2, v0
	v_and_b32_e32 v5, 48, v5
	s_waitcnt lgkmcnt(2)
	ds_write_b8 v5, v6
	s_waitcnt lgkmcnt(1)
	ds_write_b64 v5, v[2:3] offset:8
.LBB174_15:
	s_or_b64 exec, exec, s[0:1]
	v_cmp_gt_u32_e32 vcc, 64, v0
	s_waitcnt lgkmcnt(0)
	s_barrier
	s_and_saveexec_b64 s[2:3], vcc
	s_cbranch_execz .LBB174_17
; %bb.16:
	v_and_b32_e32 v5, 3, v4
	v_lshlrev_b32_e32 v2, 4, v5
	ds_read_u8 v8, v2
	ds_read_b64 v[2:3], v2 offset:8
	v_cmp_ne_u32_e32 vcc, 3, v5
	v_addc_co_u32_e32 v6, vcc, 0, v4, vcc
	s_waitcnt lgkmcnt(1)
	v_and_b32_e32 v7, 0xff, v8
	v_lshlrev_b32_e32 v9, 2, v6
	ds_bpermute_b32 v10, v9, v7
	s_waitcnt lgkmcnt(1)
	ds_bpermute_b32 v6, v9, v2
	ds_bpermute_b32 v7, v9, v3
	v_and_b32_e32 v9, 1, v8
	s_waitcnt lgkmcnt(2)
	v_and_b32_e32 v11, 1, v10
	v_cmp_eq_u32_e64 s[0:1], 1, v11
	s_waitcnt lgkmcnt(0)
	v_cmp_lt_i64_e32 vcc, v[6:7], v[2:3]
	s_and_b64 vcc, s[0:1], vcc
	v_cndmask_b32_e64 v8, v8, 1, s[0:1]
	v_cndmask_b32_e32 v2, v2, v6, vcc
	v_cndmask_b32_e32 v3, v3, v7, vcc
	v_cmp_eq_u32_e32 vcc, 1, v9
	v_cndmask_b32_e32 v8, v10, v8, vcc
	v_cndmask_b32_e32 v3, v7, v3, vcc
	;; [unrolled: 1-line block ×3, first 2 shown]
	v_cmp_gt_u32_e32 vcc, 2, v5
	v_cndmask_b32_e64 v5, 0, 1, vcc
	v_lshlrev_b32_e32 v5, 1, v5
	v_and_b32_e32 v6, 0xff, v8
	v_add_lshl_u32 v5, v5, v4, 2
	ds_bpermute_b32 v6, v5, v6
	ds_bpermute_b32 v4, v5, v2
	;; [unrolled: 1-line block ×3, first 2 shown]
	v_and_b32_e32 v7, 1, v8
	s_waitcnt lgkmcnt(2)
	v_and_b32_e32 v9, 1, v6
	v_cmp_eq_u32_e64 s[0:1], 1, v9
	s_waitcnt lgkmcnt(0)
	v_cmp_lt_i64_e32 vcc, v[4:5], v[2:3]
	s_and_b64 vcc, s[0:1], vcc
	v_cndmask_b32_e64 v8, v8, 1, s[0:1]
	v_cndmask_b32_e32 v2, v2, v4, vcc
	v_cndmask_b32_e32 v3, v3, v5, vcc
	v_cmp_eq_u32_e32 vcc, 1, v7
	v_cndmask_b32_e32 v6, v6, v8, vcc
	v_cndmask_b32_e32 v3, v5, v3, vcc
	;; [unrolled: 1-line block ×3, first 2 shown]
	v_and_b32_e32 v6, 0xff, v6
.LBB174_17:
	s_or_b64 exec, exec, s[2:3]
	s_load_dword s10, s[4:5], 0x50
	s_load_dwordx2 s[2:3], s[4:5], 0x58
	s_branch .LBB174_46
.LBB174_18:
                                        ; implicit-def: $vgpr2_vgpr3
                                        ; implicit-def: $vgpr6
	s_load_dword s10, s[4:5], 0x50
	s_load_dwordx2 s[2:3], s[4:5], 0x58
	s_cbranch_execz .LBB174_46
; %bb.19:
	s_sub_i32 s11, s12, s24
	v_pk_mov_b32 v[4:5], 0, 0
	v_cmp_gt_u32_e32 vcc, s11, v0
	v_mov_b32_e32 v6, 0
	v_pk_mov_b32 v[2:3], v[4:5], v[4:5] op_sel:[0,1]
	v_mov_b32_e32 v7, 0
	s_and_saveexec_b64 s[0:1], vcc
	s_cbranch_execz .LBB174_21
; %bb.20:
	global_load_ushort v7, v1, s[20:21]
	global_load_ushort v8, v1, s[22:23]
	v_mov_b32_e32 v3, s9
	v_add_co_u32_e32 v2, vcc, s8, v0
	v_addc_co_u32_e32 v3, vcc, 0, v3, vcc
	s_waitcnt vmcnt(0)
	v_cmp_ne_u16_e32 vcc, v7, v8
	v_cndmask_b32_e64 v7, 0, 1, vcc
.LBB174_21:
	s_or_b64 exec, exec, s[0:1]
	v_or_b32_e32 v8, 0x100, v0
	v_cmp_gt_u32_e32 vcc, s11, v8
	s_and_saveexec_b64 s[4:5], vcc
	s_cbranch_execz .LBB174_23
; %bb.22:
	global_load_ushort v6, v1, s[20:21] offset:512
	global_load_ushort v9, v1, s[22:23] offset:512
	v_mov_b32_e32 v1, s9
	v_add_co_u32_e64 v4, s[0:1], s8, v8
	v_addc_co_u32_e64 v5, s[0:1], 0, v1, s[0:1]
	s_waitcnt vmcnt(0)
	v_cmp_ne_u16_e64 s[0:1], v6, v9
	v_cndmask_b32_e64 v6, 0, 1, s[0:1]
.LBB174_23:
	s_or_b64 exec, exec, s[4:5]
	s_and_saveexec_b64 s[4:5], vcc
	s_cbranch_execz .LBB174_25
; %bb.24:
	v_and_b32_e32 v8, 1, v6
	v_cmp_lt_i64_e32 vcc, v[4:5], v[2:3]
	v_cmp_eq_u32_e64 s[0:1], 1, v8
	v_and_b32_e32 v1, 1, v7
	s_and_b64 vcc, s[0:1], vcc
	v_cndmask_b32_e64 v7, v7, 1, s[0:1]
	v_cndmask_b32_e32 v2, v2, v4, vcc
	v_cndmask_b32_e32 v3, v3, v5, vcc
	v_cmp_eq_u32_e32 vcc, 1, v1
	v_cndmask_b32_e32 v7, v6, v7, vcc
	v_cndmask_b32_e32 v3, v5, v3, vcc
	;; [unrolled: 1-line block ×3, first 2 shown]
.LBB174_25:
	s_or_b64 exec, exec, s[4:5]
	v_mbcnt_lo_u32_b32 v1, -1, 0
	v_mbcnt_hi_u32_b32 v1, -1, v1
	v_and_b32_e32 v8, 63, v1
	v_cmp_ne_u32_e32 vcc, 63, v8
	v_addc_co_u32_e32 v4, vcc, 0, v1, vcc
	v_and_b32_e32 v6, 0xffff, v7
	v_lshlrev_b32_e32 v5, 2, v4
	ds_bpermute_b32 v10, v5, v6
	ds_bpermute_b32 v4, v5, v2
	;; [unrolled: 1-line block ×3, first 2 shown]
	s_min_u32 s8, s11, 0x100
	v_and_b32_e32 v9, 0xc0, v0
	v_sub_u32_e64 v9, s8, v9 clamp
	v_add_u32_e32 v11, 1, v8
	v_cmp_lt_u32_e32 vcc, v11, v9
	s_and_saveexec_b64 s[4:5], vcc
	s_cbranch_execz .LBB174_27
; %bb.26:
	s_waitcnt lgkmcnt(0)
	v_and_b32_e32 v11, 1, v10
	v_cmp_lt_i64_e32 vcc, v[4:5], v[2:3]
	v_cmp_eq_u32_e64 s[0:1], 1, v11
	v_and_b32_e32 v6, 1, v7
	s_and_b64 vcc, s[0:1], vcc
	v_cndmask_b32_e64 v7, v7, 1, s[0:1]
	v_cndmask_b32_e32 v2, v2, v4, vcc
	v_cndmask_b32_e32 v3, v3, v5, vcc
	v_cmp_eq_u32_e32 vcc, 1, v6
	v_cndmask_b32_e32 v7, v10, v7, vcc
	v_cndmask_b32_e32 v3, v5, v3, vcc
	;; [unrolled: 1-line block ×3, first 2 shown]
	v_and_b32_e32 v6, 0xff, v7
.LBB174_27:
	s_or_b64 exec, exec, s[4:5]
	v_cmp_gt_u32_e32 vcc, 62, v8
	s_waitcnt lgkmcnt(0)
	v_cndmask_b32_e64 v4, 0, 1, vcc
	v_lshlrev_b32_e32 v4, 1, v4
	v_add_lshl_u32 v5, v4, v1, 2
	ds_bpermute_b32 v10, v5, v6
	ds_bpermute_b32 v4, v5, v2
	ds_bpermute_b32 v5, v5, v3
	v_add_u32_e32 v11, 2, v8
	v_cmp_lt_u32_e32 vcc, v11, v9
	s_and_saveexec_b64 s[4:5], vcc
	s_cbranch_execz .LBB174_29
; %bb.28:
	s_waitcnt lgkmcnt(2)
	v_and_b32_e32 v11, 1, v10
	s_waitcnt lgkmcnt(0)
	v_cmp_lt_i64_e32 vcc, v[4:5], v[2:3]
	v_cmp_eq_u32_e64 s[0:1], 1, v11
	v_and_b32_e32 v6, 1, v7
	s_and_b64 vcc, s[0:1], vcc
	v_cndmask_b32_e64 v7, v7, 1, s[0:1]
	v_cndmask_b32_e32 v2, v2, v4, vcc
	v_cndmask_b32_e32 v3, v3, v5, vcc
	v_cmp_eq_u32_e32 vcc, 1, v6
	v_cndmask_b32_e32 v7, v10, v7, vcc
	v_cndmask_b32_e32 v3, v5, v3, vcc
	v_cndmask_b32_e32 v2, v4, v2, vcc
	v_and_b32_e32 v6, 0xff, v7
.LBB174_29:
	s_or_b64 exec, exec, s[4:5]
	v_cmp_gt_u32_e32 vcc, 60, v8
	s_waitcnt lgkmcnt(1)
	v_cndmask_b32_e64 v4, 0, 1, vcc
	v_lshlrev_b32_e32 v4, 2, v4
	s_waitcnt lgkmcnt(0)
	v_add_lshl_u32 v5, v4, v1, 2
	ds_bpermute_b32 v10, v5, v6
	ds_bpermute_b32 v4, v5, v2
	ds_bpermute_b32 v5, v5, v3
	v_add_u32_e32 v11, 4, v8
	v_cmp_lt_u32_e32 vcc, v11, v9
	s_and_saveexec_b64 s[4:5], vcc
	s_cbranch_execz .LBB174_31
; %bb.30:
	s_waitcnt lgkmcnt(2)
	v_and_b32_e32 v11, 1, v10
	s_waitcnt lgkmcnt(0)
	v_cmp_lt_i64_e32 vcc, v[4:5], v[2:3]
	v_cmp_eq_u32_e64 s[0:1], 1, v11
	v_and_b32_e32 v6, 1, v7
	s_and_b64 vcc, s[0:1], vcc
	v_cndmask_b32_e64 v7, v7, 1, s[0:1]
	v_cndmask_b32_e32 v2, v2, v4, vcc
	v_cndmask_b32_e32 v3, v3, v5, vcc
	v_cmp_eq_u32_e32 vcc, 1, v6
	v_cndmask_b32_e32 v7, v10, v7, vcc
	v_cndmask_b32_e32 v3, v5, v3, vcc
	v_cndmask_b32_e32 v2, v4, v2, vcc
	v_and_b32_e32 v6, 0xff, v7
.LBB174_31:
	s_or_b64 exec, exec, s[4:5]
	v_cmp_gt_u32_e32 vcc, 56, v8
	s_waitcnt lgkmcnt(1)
	v_cndmask_b32_e64 v4, 0, 1, vcc
	v_lshlrev_b32_e32 v4, 3, v4
	s_waitcnt lgkmcnt(0)
	;; [unrolled: 31-line block ×4, first 2 shown]
	v_add_lshl_u32 v5, v4, v1, 2
	ds_bpermute_b32 v10, v5, v6
	ds_bpermute_b32 v4, v5, v2
	;; [unrolled: 1-line block ×3, first 2 shown]
	v_add_u32_e32 v8, 32, v8
	v_cmp_lt_u32_e32 vcc, v8, v9
	s_and_saveexec_b64 s[4:5], vcc
	s_cbranch_execz .LBB174_37
; %bb.36:
	s_waitcnt lgkmcnt(2)
	v_and_b32_e32 v8, 1, v10
	s_waitcnt lgkmcnt(0)
	v_cmp_lt_i64_e32 vcc, v[4:5], v[2:3]
	v_cmp_eq_u32_e64 s[0:1], 1, v8
	v_and_b32_e32 v6, 1, v7
	s_and_b64 vcc, s[0:1], vcc
	v_cndmask_b32_e64 v7, v7, 1, s[0:1]
	v_cndmask_b32_e32 v2, v2, v4, vcc
	v_cndmask_b32_e32 v3, v3, v5, vcc
	v_cmp_eq_u32_e32 vcc, 1, v6
	v_cndmask_b32_e32 v7, v10, v7, vcc
	v_cndmask_b32_e32 v3, v5, v3, vcc
	;; [unrolled: 1-line block ×3, first 2 shown]
	v_and_b32_e32 v6, 0xff, v7
.LBB174_37:
	s_or_b64 exec, exec, s[4:5]
	v_cmp_eq_u32_e32 vcc, 0, v1
	s_and_saveexec_b64 s[0:1], vcc
	s_cbranch_execz .LBB174_39
; %bb.38:
	s_waitcnt lgkmcnt(1)
	v_lshrrev_b32_e32 v4, 2, v0
	v_and_b32_e32 v4, 48, v4
	ds_write_b8 v4, v7 offset:64
	ds_write_b64 v4, v[2:3] offset:72
.LBB174_39:
	s_or_b64 exec, exec, s[0:1]
	v_cmp_gt_u32_e32 vcc, 4, v0
	s_waitcnt lgkmcnt(0)
	s_barrier
	s_and_saveexec_b64 s[4:5], vcc
	s_cbranch_execz .LBB174_45
; %bb.40:
	v_lshlrev_b32_e32 v2, 4, v1
	ds_read_u8 v7, v2 offset:64
	ds_read_b64 v[2:3], v2 offset:72
	v_and_b32_e32 v8, 3, v1
	v_cmp_ne_u32_e32 vcc, 3, v8
	v_addc_co_u32_e32 v4, vcc, 0, v1, vcc
	s_waitcnt lgkmcnt(1)
	v_and_b32_e32 v6, 0xff, v7
	v_lshlrev_b32_e32 v5, 2, v4
	ds_bpermute_b32 v9, v5, v6
	s_waitcnt lgkmcnt(1)
	ds_bpermute_b32 v4, v5, v2
	ds_bpermute_b32 v5, v5, v3
	s_add_i32 s8, s8, 63
	s_lshr_b32 s11, s8, 6
	v_add_u32_e32 v10, 1, v8
	v_cmp_gt_u32_e32 vcc, s11, v10
	s_and_saveexec_b64 s[8:9], vcc
	s_cbranch_execz .LBB174_42
; %bb.41:
	s_waitcnt lgkmcnt(2)
	v_and_b32_e32 v10, 1, v9
	s_waitcnt lgkmcnt(0)
	v_cmp_lt_i64_e32 vcc, v[4:5], v[2:3]
	v_cmp_eq_u32_e64 s[0:1], 1, v10
	v_and_b32_e32 v6, 1, v7
	s_and_b64 vcc, s[0:1], vcc
	v_cndmask_b32_e64 v7, v7, 1, s[0:1]
	v_cndmask_b32_e32 v2, v2, v4, vcc
	v_cndmask_b32_e32 v3, v3, v5, vcc
	v_cmp_eq_u32_e32 vcc, 1, v6
	v_cndmask_b32_e32 v7, v9, v7, vcc
	v_cndmask_b32_e32 v3, v5, v3, vcc
	;; [unrolled: 1-line block ×3, first 2 shown]
	v_and_b32_e32 v6, 0xff, v7
.LBB174_42:
	s_or_b64 exec, exec, s[8:9]
	v_cmp_gt_u32_e32 vcc, 2, v8
	s_waitcnt lgkmcnt(1)
	v_cndmask_b32_e64 v4, 0, 1, vcc
	v_lshlrev_b32_e32 v4, 1, v4
	s_waitcnt lgkmcnt(0)
	v_add_lshl_u32 v5, v4, v1, 2
	ds_bpermute_b32 v1, v5, v6
	ds_bpermute_b32 v4, v5, v2
	;; [unrolled: 1-line block ×3, first 2 shown]
	v_add_u32_e32 v8, 2, v8
	v_cmp_gt_u32_e32 vcc, s11, v8
	s_and_saveexec_b64 s[8:9], vcc
	s_cbranch_execz .LBB174_44
; %bb.43:
	s_waitcnt lgkmcnt(2)
	v_and_b32_e32 v8, 1, v1
	s_waitcnt lgkmcnt(0)
	v_cmp_lt_i64_e32 vcc, v[4:5], v[2:3]
	v_cmp_eq_u32_e64 s[0:1], 1, v8
	v_and_b32_e32 v6, 1, v7
	s_and_b64 vcc, s[0:1], vcc
	v_cndmask_b32_e64 v7, v7, 1, s[0:1]
	v_cndmask_b32_e32 v2, v2, v4, vcc
	v_cndmask_b32_e32 v3, v3, v5, vcc
	v_cmp_eq_u32_e32 vcc, 1, v6
	v_cndmask_b32_e32 v1, v1, v7, vcc
	v_cndmask_b32_e32 v3, v5, v3, vcc
	;; [unrolled: 1-line block ×3, first 2 shown]
	v_and_b32_e32 v6, 0xff, v1
.LBB174_44:
	s_or_b64 exec, exec, s[8:9]
.LBB174_45:
	s_or_b64 exec, exec, s[4:5]
.LBB174_46:
	v_cmp_eq_u32_e32 vcc, 0, v0
	s_and_saveexec_b64 s[0:1], vcc
	s_cbranch_execnz .LBB174_48
; %bb.47:
	s_endpgm
.LBB174_48:
	s_mul_i32 s0, s18, s17
	s_mul_hi_u32 s1, s18, s16
	s_add_i32 s0, s1, s0
	s_mul_i32 s1, s19, s16
	s_add_i32 s1, s0, s1
	s_mul_i32 s0, s18, s16
	s_lshl_b64 s[0:1], s[0:1], 4
	s_add_u32 s4, s14, s0
	s_addc_u32 s5, s15, s1
	s_cmp_eq_u64 s[12:13], 0
	s_waitcnt lgkmcnt(0)
	v_mov_b32_e32 v0, s3
	s_cselect_b64 vcc, -1, 0
	v_cndmask_b32_e32 v1, v3, v0, vcc
	v_mov_b32_e32 v0, s2
	s_lshl_b64 s[0:1], s[6:7], 4
	v_cndmask_b32_e32 v0, v2, v0, vcc
	v_mov_b32_e32 v2, s10
	s_add_u32 s0, s4, s0
	v_cndmask_b32_e32 v2, v6, v2, vcc
	s_addc_u32 s1, s5, s1
	v_mov_b32_e32 v3, 0
	global_store_byte v3, v2, s[0:1]
	global_store_dwordx2 v3, v[0:1], s[0:1] offset:8
	s_endpgm
	.section	.rodata,"a",@progbits
	.p2align	6, 0x0
	.amdhsa_kernel _ZN7rocprim17ROCPRIM_400000_NS6detail17trampoline_kernelINS0_14default_configENS1_22reduce_config_selectorIN6thrust23THRUST_200600_302600_NS5tupleIblNS6_9null_typeES8_S8_S8_S8_S8_S8_S8_EEEEZNS1_11reduce_implILb1ES3_NS6_12zip_iteratorINS7_INS6_11hip_rocprim26transform_input_iterator_tIbNSD_35transform_pair_of_input_iterators_tIbNS6_6detail15normal_iteratorINS6_10device_ptrIKsEEEESL_NS6_8equal_toIsEEEENSG_9not_fun_tINSD_8identityEEEEENSD_19counting_iterator_tIlEES8_S8_S8_S8_S8_S8_S8_S8_EEEEPS9_S9_NSD_9__find_if7functorIS9_EEEE10hipError_tPvRmT1_T2_T3_mT4_P12ihipStream_tbEUlT_E0_NS1_11comp_targetILNS1_3genE4ELNS1_11target_archE910ELNS1_3gpuE8ELNS1_3repE0EEENS1_30default_config_static_selectorELNS0_4arch9wavefront6targetE1EEEvS14_
		.amdhsa_group_segment_fixed_size 128
		.amdhsa_private_segment_fixed_size 0
		.amdhsa_kernarg_size 104
		.amdhsa_user_sgpr_count 6
		.amdhsa_user_sgpr_private_segment_buffer 1
		.amdhsa_user_sgpr_dispatch_ptr 0
		.amdhsa_user_sgpr_queue_ptr 0
		.amdhsa_user_sgpr_kernarg_segment_ptr 1
		.amdhsa_user_sgpr_dispatch_id 0
		.amdhsa_user_sgpr_flat_scratch_init 0
		.amdhsa_user_sgpr_kernarg_preload_length 0
		.amdhsa_user_sgpr_kernarg_preload_offset 0
		.amdhsa_user_sgpr_private_segment_size 0
		.amdhsa_uses_dynamic_stack 0
		.amdhsa_system_sgpr_private_segment_wavefront_offset 0
		.amdhsa_system_sgpr_workgroup_id_x 1
		.amdhsa_system_sgpr_workgroup_id_y 0
		.amdhsa_system_sgpr_workgroup_id_z 0
		.amdhsa_system_sgpr_workgroup_info 0
		.amdhsa_system_vgpr_workitem_id 0
		.amdhsa_next_free_vgpr 12
		.amdhsa_next_free_sgpr 28
		.amdhsa_accum_offset 12
		.amdhsa_reserve_vcc 1
		.amdhsa_reserve_flat_scratch 0
		.amdhsa_float_round_mode_32 0
		.amdhsa_float_round_mode_16_64 0
		.amdhsa_float_denorm_mode_32 3
		.amdhsa_float_denorm_mode_16_64 3
		.amdhsa_dx10_clamp 1
		.amdhsa_ieee_mode 1
		.amdhsa_fp16_overflow 0
		.amdhsa_tg_split 0
		.amdhsa_exception_fp_ieee_invalid_op 0
		.amdhsa_exception_fp_denorm_src 0
		.amdhsa_exception_fp_ieee_div_zero 0
		.amdhsa_exception_fp_ieee_overflow 0
		.amdhsa_exception_fp_ieee_underflow 0
		.amdhsa_exception_fp_ieee_inexact 0
		.amdhsa_exception_int_div_zero 0
	.end_amdhsa_kernel
	.section	.text._ZN7rocprim17ROCPRIM_400000_NS6detail17trampoline_kernelINS0_14default_configENS1_22reduce_config_selectorIN6thrust23THRUST_200600_302600_NS5tupleIblNS6_9null_typeES8_S8_S8_S8_S8_S8_S8_EEEEZNS1_11reduce_implILb1ES3_NS6_12zip_iteratorINS7_INS6_11hip_rocprim26transform_input_iterator_tIbNSD_35transform_pair_of_input_iterators_tIbNS6_6detail15normal_iteratorINS6_10device_ptrIKsEEEESL_NS6_8equal_toIsEEEENSG_9not_fun_tINSD_8identityEEEEENSD_19counting_iterator_tIlEES8_S8_S8_S8_S8_S8_S8_S8_EEEEPS9_S9_NSD_9__find_if7functorIS9_EEEE10hipError_tPvRmT1_T2_T3_mT4_P12ihipStream_tbEUlT_E0_NS1_11comp_targetILNS1_3genE4ELNS1_11target_archE910ELNS1_3gpuE8ELNS1_3repE0EEENS1_30default_config_static_selectorELNS0_4arch9wavefront6targetE1EEEvS14_,"axG",@progbits,_ZN7rocprim17ROCPRIM_400000_NS6detail17trampoline_kernelINS0_14default_configENS1_22reduce_config_selectorIN6thrust23THRUST_200600_302600_NS5tupleIblNS6_9null_typeES8_S8_S8_S8_S8_S8_S8_EEEEZNS1_11reduce_implILb1ES3_NS6_12zip_iteratorINS7_INS6_11hip_rocprim26transform_input_iterator_tIbNSD_35transform_pair_of_input_iterators_tIbNS6_6detail15normal_iteratorINS6_10device_ptrIKsEEEESL_NS6_8equal_toIsEEEENSG_9not_fun_tINSD_8identityEEEEENSD_19counting_iterator_tIlEES8_S8_S8_S8_S8_S8_S8_S8_EEEEPS9_S9_NSD_9__find_if7functorIS9_EEEE10hipError_tPvRmT1_T2_T3_mT4_P12ihipStream_tbEUlT_E0_NS1_11comp_targetILNS1_3genE4ELNS1_11target_archE910ELNS1_3gpuE8ELNS1_3repE0EEENS1_30default_config_static_selectorELNS0_4arch9wavefront6targetE1EEEvS14_,comdat
.Lfunc_end174:
	.size	_ZN7rocprim17ROCPRIM_400000_NS6detail17trampoline_kernelINS0_14default_configENS1_22reduce_config_selectorIN6thrust23THRUST_200600_302600_NS5tupleIblNS6_9null_typeES8_S8_S8_S8_S8_S8_S8_EEEEZNS1_11reduce_implILb1ES3_NS6_12zip_iteratorINS7_INS6_11hip_rocprim26transform_input_iterator_tIbNSD_35transform_pair_of_input_iterators_tIbNS6_6detail15normal_iteratorINS6_10device_ptrIKsEEEESL_NS6_8equal_toIsEEEENSG_9not_fun_tINSD_8identityEEEEENSD_19counting_iterator_tIlEES8_S8_S8_S8_S8_S8_S8_S8_EEEEPS9_S9_NSD_9__find_if7functorIS9_EEEE10hipError_tPvRmT1_T2_T3_mT4_P12ihipStream_tbEUlT_E0_NS1_11comp_targetILNS1_3genE4ELNS1_11target_archE910ELNS1_3gpuE8ELNS1_3repE0EEENS1_30default_config_static_selectorELNS0_4arch9wavefront6targetE1EEEvS14_, .Lfunc_end174-_ZN7rocprim17ROCPRIM_400000_NS6detail17trampoline_kernelINS0_14default_configENS1_22reduce_config_selectorIN6thrust23THRUST_200600_302600_NS5tupleIblNS6_9null_typeES8_S8_S8_S8_S8_S8_S8_EEEEZNS1_11reduce_implILb1ES3_NS6_12zip_iteratorINS7_INS6_11hip_rocprim26transform_input_iterator_tIbNSD_35transform_pair_of_input_iterators_tIbNS6_6detail15normal_iteratorINS6_10device_ptrIKsEEEESL_NS6_8equal_toIsEEEENSG_9not_fun_tINSD_8identityEEEEENSD_19counting_iterator_tIlEES8_S8_S8_S8_S8_S8_S8_S8_EEEEPS9_S9_NSD_9__find_if7functorIS9_EEEE10hipError_tPvRmT1_T2_T3_mT4_P12ihipStream_tbEUlT_E0_NS1_11comp_targetILNS1_3genE4ELNS1_11target_archE910ELNS1_3gpuE8ELNS1_3repE0EEENS1_30default_config_static_selectorELNS0_4arch9wavefront6targetE1EEEvS14_
                                        ; -- End function
	.section	.AMDGPU.csdata,"",@progbits
; Kernel info:
; codeLenInByte = 2844
; NumSgprs: 32
; NumVgprs: 12
; NumAgprs: 0
; TotalNumVgprs: 12
; ScratchSize: 0
; MemoryBound: 0
; FloatMode: 240
; IeeeMode: 1
; LDSByteSize: 128 bytes/workgroup (compile time only)
; SGPRBlocks: 3
; VGPRBlocks: 1
; NumSGPRsForWavesPerEU: 32
; NumVGPRsForWavesPerEU: 12
; AccumOffset: 12
; Occupancy: 8
; WaveLimiterHint : 0
; COMPUTE_PGM_RSRC2:SCRATCH_EN: 0
; COMPUTE_PGM_RSRC2:USER_SGPR: 6
; COMPUTE_PGM_RSRC2:TRAP_HANDLER: 0
; COMPUTE_PGM_RSRC2:TGID_X_EN: 1
; COMPUTE_PGM_RSRC2:TGID_Y_EN: 0
; COMPUTE_PGM_RSRC2:TGID_Z_EN: 0
; COMPUTE_PGM_RSRC2:TIDIG_COMP_CNT: 0
; COMPUTE_PGM_RSRC3_GFX90A:ACCUM_OFFSET: 2
; COMPUTE_PGM_RSRC3_GFX90A:TG_SPLIT: 0
	.section	.text._ZN7rocprim17ROCPRIM_400000_NS6detail17trampoline_kernelINS0_14default_configENS1_22reduce_config_selectorIN6thrust23THRUST_200600_302600_NS5tupleIblNS6_9null_typeES8_S8_S8_S8_S8_S8_S8_EEEEZNS1_11reduce_implILb1ES3_NS6_12zip_iteratorINS7_INS6_11hip_rocprim26transform_input_iterator_tIbNSD_35transform_pair_of_input_iterators_tIbNS6_6detail15normal_iteratorINS6_10device_ptrIKsEEEESL_NS6_8equal_toIsEEEENSG_9not_fun_tINSD_8identityEEEEENSD_19counting_iterator_tIlEES8_S8_S8_S8_S8_S8_S8_S8_EEEEPS9_S9_NSD_9__find_if7functorIS9_EEEE10hipError_tPvRmT1_T2_T3_mT4_P12ihipStream_tbEUlT_E0_NS1_11comp_targetILNS1_3genE3ELNS1_11target_archE908ELNS1_3gpuE7ELNS1_3repE0EEENS1_30default_config_static_selectorELNS0_4arch9wavefront6targetE1EEEvS14_,"axG",@progbits,_ZN7rocprim17ROCPRIM_400000_NS6detail17trampoline_kernelINS0_14default_configENS1_22reduce_config_selectorIN6thrust23THRUST_200600_302600_NS5tupleIblNS6_9null_typeES8_S8_S8_S8_S8_S8_S8_EEEEZNS1_11reduce_implILb1ES3_NS6_12zip_iteratorINS7_INS6_11hip_rocprim26transform_input_iterator_tIbNSD_35transform_pair_of_input_iterators_tIbNS6_6detail15normal_iteratorINS6_10device_ptrIKsEEEESL_NS6_8equal_toIsEEEENSG_9not_fun_tINSD_8identityEEEEENSD_19counting_iterator_tIlEES8_S8_S8_S8_S8_S8_S8_S8_EEEEPS9_S9_NSD_9__find_if7functorIS9_EEEE10hipError_tPvRmT1_T2_T3_mT4_P12ihipStream_tbEUlT_E0_NS1_11comp_targetILNS1_3genE3ELNS1_11target_archE908ELNS1_3gpuE7ELNS1_3repE0EEENS1_30default_config_static_selectorELNS0_4arch9wavefront6targetE1EEEvS14_,comdat
	.protected	_ZN7rocprim17ROCPRIM_400000_NS6detail17trampoline_kernelINS0_14default_configENS1_22reduce_config_selectorIN6thrust23THRUST_200600_302600_NS5tupleIblNS6_9null_typeES8_S8_S8_S8_S8_S8_S8_EEEEZNS1_11reduce_implILb1ES3_NS6_12zip_iteratorINS7_INS6_11hip_rocprim26transform_input_iterator_tIbNSD_35transform_pair_of_input_iterators_tIbNS6_6detail15normal_iteratorINS6_10device_ptrIKsEEEESL_NS6_8equal_toIsEEEENSG_9not_fun_tINSD_8identityEEEEENSD_19counting_iterator_tIlEES8_S8_S8_S8_S8_S8_S8_S8_EEEEPS9_S9_NSD_9__find_if7functorIS9_EEEE10hipError_tPvRmT1_T2_T3_mT4_P12ihipStream_tbEUlT_E0_NS1_11comp_targetILNS1_3genE3ELNS1_11target_archE908ELNS1_3gpuE7ELNS1_3repE0EEENS1_30default_config_static_selectorELNS0_4arch9wavefront6targetE1EEEvS14_ ; -- Begin function _ZN7rocprim17ROCPRIM_400000_NS6detail17trampoline_kernelINS0_14default_configENS1_22reduce_config_selectorIN6thrust23THRUST_200600_302600_NS5tupleIblNS6_9null_typeES8_S8_S8_S8_S8_S8_S8_EEEEZNS1_11reduce_implILb1ES3_NS6_12zip_iteratorINS7_INS6_11hip_rocprim26transform_input_iterator_tIbNSD_35transform_pair_of_input_iterators_tIbNS6_6detail15normal_iteratorINS6_10device_ptrIKsEEEESL_NS6_8equal_toIsEEEENSG_9not_fun_tINSD_8identityEEEEENSD_19counting_iterator_tIlEES8_S8_S8_S8_S8_S8_S8_S8_EEEEPS9_S9_NSD_9__find_if7functorIS9_EEEE10hipError_tPvRmT1_T2_T3_mT4_P12ihipStream_tbEUlT_E0_NS1_11comp_targetILNS1_3genE3ELNS1_11target_archE908ELNS1_3gpuE7ELNS1_3repE0EEENS1_30default_config_static_selectorELNS0_4arch9wavefront6targetE1EEEvS14_
	.globl	_ZN7rocprim17ROCPRIM_400000_NS6detail17trampoline_kernelINS0_14default_configENS1_22reduce_config_selectorIN6thrust23THRUST_200600_302600_NS5tupleIblNS6_9null_typeES8_S8_S8_S8_S8_S8_S8_EEEEZNS1_11reduce_implILb1ES3_NS6_12zip_iteratorINS7_INS6_11hip_rocprim26transform_input_iterator_tIbNSD_35transform_pair_of_input_iterators_tIbNS6_6detail15normal_iteratorINS6_10device_ptrIKsEEEESL_NS6_8equal_toIsEEEENSG_9not_fun_tINSD_8identityEEEEENSD_19counting_iterator_tIlEES8_S8_S8_S8_S8_S8_S8_S8_EEEEPS9_S9_NSD_9__find_if7functorIS9_EEEE10hipError_tPvRmT1_T2_T3_mT4_P12ihipStream_tbEUlT_E0_NS1_11comp_targetILNS1_3genE3ELNS1_11target_archE908ELNS1_3gpuE7ELNS1_3repE0EEENS1_30default_config_static_selectorELNS0_4arch9wavefront6targetE1EEEvS14_
	.p2align	8
	.type	_ZN7rocprim17ROCPRIM_400000_NS6detail17trampoline_kernelINS0_14default_configENS1_22reduce_config_selectorIN6thrust23THRUST_200600_302600_NS5tupleIblNS6_9null_typeES8_S8_S8_S8_S8_S8_S8_EEEEZNS1_11reduce_implILb1ES3_NS6_12zip_iteratorINS7_INS6_11hip_rocprim26transform_input_iterator_tIbNSD_35transform_pair_of_input_iterators_tIbNS6_6detail15normal_iteratorINS6_10device_ptrIKsEEEESL_NS6_8equal_toIsEEEENSG_9not_fun_tINSD_8identityEEEEENSD_19counting_iterator_tIlEES8_S8_S8_S8_S8_S8_S8_S8_EEEEPS9_S9_NSD_9__find_if7functorIS9_EEEE10hipError_tPvRmT1_T2_T3_mT4_P12ihipStream_tbEUlT_E0_NS1_11comp_targetILNS1_3genE3ELNS1_11target_archE908ELNS1_3gpuE7ELNS1_3repE0EEENS1_30default_config_static_selectorELNS0_4arch9wavefront6targetE1EEEvS14_,@function
_ZN7rocprim17ROCPRIM_400000_NS6detail17trampoline_kernelINS0_14default_configENS1_22reduce_config_selectorIN6thrust23THRUST_200600_302600_NS5tupleIblNS6_9null_typeES8_S8_S8_S8_S8_S8_S8_EEEEZNS1_11reduce_implILb1ES3_NS6_12zip_iteratorINS7_INS6_11hip_rocprim26transform_input_iterator_tIbNSD_35transform_pair_of_input_iterators_tIbNS6_6detail15normal_iteratorINS6_10device_ptrIKsEEEESL_NS6_8equal_toIsEEEENSG_9not_fun_tINSD_8identityEEEEENSD_19counting_iterator_tIlEES8_S8_S8_S8_S8_S8_S8_S8_EEEEPS9_S9_NSD_9__find_if7functorIS9_EEEE10hipError_tPvRmT1_T2_T3_mT4_P12ihipStream_tbEUlT_E0_NS1_11comp_targetILNS1_3genE3ELNS1_11target_archE908ELNS1_3gpuE7ELNS1_3repE0EEENS1_30default_config_static_selectorELNS0_4arch9wavefront6targetE1EEEvS14_: ; @_ZN7rocprim17ROCPRIM_400000_NS6detail17trampoline_kernelINS0_14default_configENS1_22reduce_config_selectorIN6thrust23THRUST_200600_302600_NS5tupleIblNS6_9null_typeES8_S8_S8_S8_S8_S8_S8_EEEEZNS1_11reduce_implILb1ES3_NS6_12zip_iteratorINS7_INS6_11hip_rocprim26transform_input_iterator_tIbNSD_35transform_pair_of_input_iterators_tIbNS6_6detail15normal_iteratorINS6_10device_ptrIKsEEEESL_NS6_8equal_toIsEEEENSG_9not_fun_tINSD_8identityEEEEENSD_19counting_iterator_tIlEES8_S8_S8_S8_S8_S8_S8_S8_EEEEPS9_S9_NSD_9__find_if7functorIS9_EEEE10hipError_tPvRmT1_T2_T3_mT4_P12ihipStream_tbEUlT_E0_NS1_11comp_targetILNS1_3genE3ELNS1_11target_archE908ELNS1_3gpuE7ELNS1_3repE0EEENS1_30default_config_static_selectorELNS0_4arch9wavefront6targetE1EEEvS14_
; %bb.0:
	.section	.rodata,"a",@progbits
	.p2align	6, 0x0
	.amdhsa_kernel _ZN7rocprim17ROCPRIM_400000_NS6detail17trampoline_kernelINS0_14default_configENS1_22reduce_config_selectorIN6thrust23THRUST_200600_302600_NS5tupleIblNS6_9null_typeES8_S8_S8_S8_S8_S8_S8_EEEEZNS1_11reduce_implILb1ES3_NS6_12zip_iteratorINS7_INS6_11hip_rocprim26transform_input_iterator_tIbNSD_35transform_pair_of_input_iterators_tIbNS6_6detail15normal_iteratorINS6_10device_ptrIKsEEEESL_NS6_8equal_toIsEEEENSG_9not_fun_tINSD_8identityEEEEENSD_19counting_iterator_tIlEES8_S8_S8_S8_S8_S8_S8_S8_EEEEPS9_S9_NSD_9__find_if7functorIS9_EEEE10hipError_tPvRmT1_T2_T3_mT4_P12ihipStream_tbEUlT_E0_NS1_11comp_targetILNS1_3genE3ELNS1_11target_archE908ELNS1_3gpuE7ELNS1_3repE0EEENS1_30default_config_static_selectorELNS0_4arch9wavefront6targetE1EEEvS14_
		.amdhsa_group_segment_fixed_size 0
		.amdhsa_private_segment_fixed_size 0
		.amdhsa_kernarg_size 104
		.amdhsa_user_sgpr_count 6
		.amdhsa_user_sgpr_private_segment_buffer 1
		.amdhsa_user_sgpr_dispatch_ptr 0
		.amdhsa_user_sgpr_queue_ptr 0
		.amdhsa_user_sgpr_kernarg_segment_ptr 1
		.amdhsa_user_sgpr_dispatch_id 0
		.amdhsa_user_sgpr_flat_scratch_init 0
		.amdhsa_user_sgpr_kernarg_preload_length 0
		.amdhsa_user_sgpr_kernarg_preload_offset 0
		.amdhsa_user_sgpr_private_segment_size 0
		.amdhsa_uses_dynamic_stack 0
		.amdhsa_system_sgpr_private_segment_wavefront_offset 0
		.amdhsa_system_sgpr_workgroup_id_x 1
		.amdhsa_system_sgpr_workgroup_id_y 0
		.amdhsa_system_sgpr_workgroup_id_z 0
		.amdhsa_system_sgpr_workgroup_info 0
		.amdhsa_system_vgpr_workitem_id 0
		.amdhsa_next_free_vgpr 1
		.amdhsa_next_free_sgpr 0
		.amdhsa_accum_offset 4
		.amdhsa_reserve_vcc 0
		.amdhsa_reserve_flat_scratch 0
		.amdhsa_float_round_mode_32 0
		.amdhsa_float_round_mode_16_64 0
		.amdhsa_float_denorm_mode_32 3
		.amdhsa_float_denorm_mode_16_64 3
		.amdhsa_dx10_clamp 1
		.amdhsa_ieee_mode 1
		.amdhsa_fp16_overflow 0
		.amdhsa_tg_split 0
		.amdhsa_exception_fp_ieee_invalid_op 0
		.amdhsa_exception_fp_denorm_src 0
		.amdhsa_exception_fp_ieee_div_zero 0
		.amdhsa_exception_fp_ieee_overflow 0
		.amdhsa_exception_fp_ieee_underflow 0
		.amdhsa_exception_fp_ieee_inexact 0
		.amdhsa_exception_int_div_zero 0
	.end_amdhsa_kernel
	.section	.text._ZN7rocprim17ROCPRIM_400000_NS6detail17trampoline_kernelINS0_14default_configENS1_22reduce_config_selectorIN6thrust23THRUST_200600_302600_NS5tupleIblNS6_9null_typeES8_S8_S8_S8_S8_S8_S8_EEEEZNS1_11reduce_implILb1ES3_NS6_12zip_iteratorINS7_INS6_11hip_rocprim26transform_input_iterator_tIbNSD_35transform_pair_of_input_iterators_tIbNS6_6detail15normal_iteratorINS6_10device_ptrIKsEEEESL_NS6_8equal_toIsEEEENSG_9not_fun_tINSD_8identityEEEEENSD_19counting_iterator_tIlEES8_S8_S8_S8_S8_S8_S8_S8_EEEEPS9_S9_NSD_9__find_if7functorIS9_EEEE10hipError_tPvRmT1_T2_T3_mT4_P12ihipStream_tbEUlT_E0_NS1_11comp_targetILNS1_3genE3ELNS1_11target_archE908ELNS1_3gpuE7ELNS1_3repE0EEENS1_30default_config_static_selectorELNS0_4arch9wavefront6targetE1EEEvS14_,"axG",@progbits,_ZN7rocprim17ROCPRIM_400000_NS6detail17trampoline_kernelINS0_14default_configENS1_22reduce_config_selectorIN6thrust23THRUST_200600_302600_NS5tupleIblNS6_9null_typeES8_S8_S8_S8_S8_S8_S8_EEEEZNS1_11reduce_implILb1ES3_NS6_12zip_iteratorINS7_INS6_11hip_rocprim26transform_input_iterator_tIbNSD_35transform_pair_of_input_iterators_tIbNS6_6detail15normal_iteratorINS6_10device_ptrIKsEEEESL_NS6_8equal_toIsEEEENSG_9not_fun_tINSD_8identityEEEEENSD_19counting_iterator_tIlEES8_S8_S8_S8_S8_S8_S8_S8_EEEEPS9_S9_NSD_9__find_if7functorIS9_EEEE10hipError_tPvRmT1_T2_T3_mT4_P12ihipStream_tbEUlT_E0_NS1_11comp_targetILNS1_3genE3ELNS1_11target_archE908ELNS1_3gpuE7ELNS1_3repE0EEENS1_30default_config_static_selectorELNS0_4arch9wavefront6targetE1EEEvS14_,comdat
.Lfunc_end175:
	.size	_ZN7rocprim17ROCPRIM_400000_NS6detail17trampoline_kernelINS0_14default_configENS1_22reduce_config_selectorIN6thrust23THRUST_200600_302600_NS5tupleIblNS6_9null_typeES8_S8_S8_S8_S8_S8_S8_EEEEZNS1_11reduce_implILb1ES3_NS6_12zip_iteratorINS7_INS6_11hip_rocprim26transform_input_iterator_tIbNSD_35transform_pair_of_input_iterators_tIbNS6_6detail15normal_iteratorINS6_10device_ptrIKsEEEESL_NS6_8equal_toIsEEEENSG_9not_fun_tINSD_8identityEEEEENSD_19counting_iterator_tIlEES8_S8_S8_S8_S8_S8_S8_S8_EEEEPS9_S9_NSD_9__find_if7functorIS9_EEEE10hipError_tPvRmT1_T2_T3_mT4_P12ihipStream_tbEUlT_E0_NS1_11comp_targetILNS1_3genE3ELNS1_11target_archE908ELNS1_3gpuE7ELNS1_3repE0EEENS1_30default_config_static_selectorELNS0_4arch9wavefront6targetE1EEEvS14_, .Lfunc_end175-_ZN7rocprim17ROCPRIM_400000_NS6detail17trampoline_kernelINS0_14default_configENS1_22reduce_config_selectorIN6thrust23THRUST_200600_302600_NS5tupleIblNS6_9null_typeES8_S8_S8_S8_S8_S8_S8_EEEEZNS1_11reduce_implILb1ES3_NS6_12zip_iteratorINS7_INS6_11hip_rocprim26transform_input_iterator_tIbNSD_35transform_pair_of_input_iterators_tIbNS6_6detail15normal_iteratorINS6_10device_ptrIKsEEEESL_NS6_8equal_toIsEEEENSG_9not_fun_tINSD_8identityEEEEENSD_19counting_iterator_tIlEES8_S8_S8_S8_S8_S8_S8_S8_EEEEPS9_S9_NSD_9__find_if7functorIS9_EEEE10hipError_tPvRmT1_T2_T3_mT4_P12ihipStream_tbEUlT_E0_NS1_11comp_targetILNS1_3genE3ELNS1_11target_archE908ELNS1_3gpuE7ELNS1_3repE0EEENS1_30default_config_static_selectorELNS0_4arch9wavefront6targetE1EEEvS14_
                                        ; -- End function
	.section	.AMDGPU.csdata,"",@progbits
; Kernel info:
; codeLenInByte = 0
; NumSgprs: 4
; NumVgprs: 0
; NumAgprs: 0
; TotalNumVgprs: 0
; ScratchSize: 0
; MemoryBound: 0
; FloatMode: 240
; IeeeMode: 1
; LDSByteSize: 0 bytes/workgroup (compile time only)
; SGPRBlocks: 0
; VGPRBlocks: 0
; NumSGPRsForWavesPerEU: 4
; NumVGPRsForWavesPerEU: 1
; AccumOffset: 4
; Occupancy: 8
; WaveLimiterHint : 0
; COMPUTE_PGM_RSRC2:SCRATCH_EN: 0
; COMPUTE_PGM_RSRC2:USER_SGPR: 6
; COMPUTE_PGM_RSRC2:TRAP_HANDLER: 0
; COMPUTE_PGM_RSRC2:TGID_X_EN: 1
; COMPUTE_PGM_RSRC2:TGID_Y_EN: 0
; COMPUTE_PGM_RSRC2:TGID_Z_EN: 0
; COMPUTE_PGM_RSRC2:TIDIG_COMP_CNT: 0
; COMPUTE_PGM_RSRC3_GFX90A:ACCUM_OFFSET: 0
; COMPUTE_PGM_RSRC3_GFX90A:TG_SPLIT: 0
	.section	.text._ZN7rocprim17ROCPRIM_400000_NS6detail17trampoline_kernelINS0_14default_configENS1_22reduce_config_selectorIN6thrust23THRUST_200600_302600_NS5tupleIblNS6_9null_typeES8_S8_S8_S8_S8_S8_S8_EEEEZNS1_11reduce_implILb1ES3_NS6_12zip_iteratorINS7_INS6_11hip_rocprim26transform_input_iterator_tIbNSD_35transform_pair_of_input_iterators_tIbNS6_6detail15normal_iteratorINS6_10device_ptrIKsEEEESL_NS6_8equal_toIsEEEENSG_9not_fun_tINSD_8identityEEEEENSD_19counting_iterator_tIlEES8_S8_S8_S8_S8_S8_S8_S8_EEEEPS9_S9_NSD_9__find_if7functorIS9_EEEE10hipError_tPvRmT1_T2_T3_mT4_P12ihipStream_tbEUlT_E0_NS1_11comp_targetILNS1_3genE2ELNS1_11target_archE906ELNS1_3gpuE6ELNS1_3repE0EEENS1_30default_config_static_selectorELNS0_4arch9wavefront6targetE1EEEvS14_,"axG",@progbits,_ZN7rocprim17ROCPRIM_400000_NS6detail17trampoline_kernelINS0_14default_configENS1_22reduce_config_selectorIN6thrust23THRUST_200600_302600_NS5tupleIblNS6_9null_typeES8_S8_S8_S8_S8_S8_S8_EEEEZNS1_11reduce_implILb1ES3_NS6_12zip_iteratorINS7_INS6_11hip_rocprim26transform_input_iterator_tIbNSD_35transform_pair_of_input_iterators_tIbNS6_6detail15normal_iteratorINS6_10device_ptrIKsEEEESL_NS6_8equal_toIsEEEENSG_9not_fun_tINSD_8identityEEEEENSD_19counting_iterator_tIlEES8_S8_S8_S8_S8_S8_S8_S8_EEEEPS9_S9_NSD_9__find_if7functorIS9_EEEE10hipError_tPvRmT1_T2_T3_mT4_P12ihipStream_tbEUlT_E0_NS1_11comp_targetILNS1_3genE2ELNS1_11target_archE906ELNS1_3gpuE6ELNS1_3repE0EEENS1_30default_config_static_selectorELNS0_4arch9wavefront6targetE1EEEvS14_,comdat
	.protected	_ZN7rocprim17ROCPRIM_400000_NS6detail17trampoline_kernelINS0_14default_configENS1_22reduce_config_selectorIN6thrust23THRUST_200600_302600_NS5tupleIblNS6_9null_typeES8_S8_S8_S8_S8_S8_S8_EEEEZNS1_11reduce_implILb1ES3_NS6_12zip_iteratorINS7_INS6_11hip_rocprim26transform_input_iterator_tIbNSD_35transform_pair_of_input_iterators_tIbNS6_6detail15normal_iteratorINS6_10device_ptrIKsEEEESL_NS6_8equal_toIsEEEENSG_9not_fun_tINSD_8identityEEEEENSD_19counting_iterator_tIlEES8_S8_S8_S8_S8_S8_S8_S8_EEEEPS9_S9_NSD_9__find_if7functorIS9_EEEE10hipError_tPvRmT1_T2_T3_mT4_P12ihipStream_tbEUlT_E0_NS1_11comp_targetILNS1_3genE2ELNS1_11target_archE906ELNS1_3gpuE6ELNS1_3repE0EEENS1_30default_config_static_selectorELNS0_4arch9wavefront6targetE1EEEvS14_ ; -- Begin function _ZN7rocprim17ROCPRIM_400000_NS6detail17trampoline_kernelINS0_14default_configENS1_22reduce_config_selectorIN6thrust23THRUST_200600_302600_NS5tupleIblNS6_9null_typeES8_S8_S8_S8_S8_S8_S8_EEEEZNS1_11reduce_implILb1ES3_NS6_12zip_iteratorINS7_INS6_11hip_rocprim26transform_input_iterator_tIbNSD_35transform_pair_of_input_iterators_tIbNS6_6detail15normal_iteratorINS6_10device_ptrIKsEEEESL_NS6_8equal_toIsEEEENSG_9not_fun_tINSD_8identityEEEEENSD_19counting_iterator_tIlEES8_S8_S8_S8_S8_S8_S8_S8_EEEEPS9_S9_NSD_9__find_if7functorIS9_EEEE10hipError_tPvRmT1_T2_T3_mT4_P12ihipStream_tbEUlT_E0_NS1_11comp_targetILNS1_3genE2ELNS1_11target_archE906ELNS1_3gpuE6ELNS1_3repE0EEENS1_30default_config_static_selectorELNS0_4arch9wavefront6targetE1EEEvS14_
	.globl	_ZN7rocprim17ROCPRIM_400000_NS6detail17trampoline_kernelINS0_14default_configENS1_22reduce_config_selectorIN6thrust23THRUST_200600_302600_NS5tupleIblNS6_9null_typeES8_S8_S8_S8_S8_S8_S8_EEEEZNS1_11reduce_implILb1ES3_NS6_12zip_iteratorINS7_INS6_11hip_rocprim26transform_input_iterator_tIbNSD_35transform_pair_of_input_iterators_tIbNS6_6detail15normal_iteratorINS6_10device_ptrIKsEEEESL_NS6_8equal_toIsEEEENSG_9not_fun_tINSD_8identityEEEEENSD_19counting_iterator_tIlEES8_S8_S8_S8_S8_S8_S8_S8_EEEEPS9_S9_NSD_9__find_if7functorIS9_EEEE10hipError_tPvRmT1_T2_T3_mT4_P12ihipStream_tbEUlT_E0_NS1_11comp_targetILNS1_3genE2ELNS1_11target_archE906ELNS1_3gpuE6ELNS1_3repE0EEENS1_30default_config_static_selectorELNS0_4arch9wavefront6targetE1EEEvS14_
	.p2align	8
	.type	_ZN7rocprim17ROCPRIM_400000_NS6detail17trampoline_kernelINS0_14default_configENS1_22reduce_config_selectorIN6thrust23THRUST_200600_302600_NS5tupleIblNS6_9null_typeES8_S8_S8_S8_S8_S8_S8_EEEEZNS1_11reduce_implILb1ES3_NS6_12zip_iteratorINS7_INS6_11hip_rocprim26transform_input_iterator_tIbNSD_35transform_pair_of_input_iterators_tIbNS6_6detail15normal_iteratorINS6_10device_ptrIKsEEEESL_NS6_8equal_toIsEEEENSG_9not_fun_tINSD_8identityEEEEENSD_19counting_iterator_tIlEES8_S8_S8_S8_S8_S8_S8_S8_EEEEPS9_S9_NSD_9__find_if7functorIS9_EEEE10hipError_tPvRmT1_T2_T3_mT4_P12ihipStream_tbEUlT_E0_NS1_11comp_targetILNS1_3genE2ELNS1_11target_archE906ELNS1_3gpuE6ELNS1_3repE0EEENS1_30default_config_static_selectorELNS0_4arch9wavefront6targetE1EEEvS14_,@function
_ZN7rocprim17ROCPRIM_400000_NS6detail17trampoline_kernelINS0_14default_configENS1_22reduce_config_selectorIN6thrust23THRUST_200600_302600_NS5tupleIblNS6_9null_typeES8_S8_S8_S8_S8_S8_S8_EEEEZNS1_11reduce_implILb1ES3_NS6_12zip_iteratorINS7_INS6_11hip_rocprim26transform_input_iterator_tIbNSD_35transform_pair_of_input_iterators_tIbNS6_6detail15normal_iteratorINS6_10device_ptrIKsEEEESL_NS6_8equal_toIsEEEENSG_9not_fun_tINSD_8identityEEEEENSD_19counting_iterator_tIlEES8_S8_S8_S8_S8_S8_S8_S8_EEEEPS9_S9_NSD_9__find_if7functorIS9_EEEE10hipError_tPvRmT1_T2_T3_mT4_P12ihipStream_tbEUlT_E0_NS1_11comp_targetILNS1_3genE2ELNS1_11target_archE906ELNS1_3gpuE6ELNS1_3repE0EEENS1_30default_config_static_selectorELNS0_4arch9wavefront6targetE1EEEvS14_: ; @_ZN7rocprim17ROCPRIM_400000_NS6detail17trampoline_kernelINS0_14default_configENS1_22reduce_config_selectorIN6thrust23THRUST_200600_302600_NS5tupleIblNS6_9null_typeES8_S8_S8_S8_S8_S8_S8_EEEEZNS1_11reduce_implILb1ES3_NS6_12zip_iteratorINS7_INS6_11hip_rocprim26transform_input_iterator_tIbNSD_35transform_pair_of_input_iterators_tIbNS6_6detail15normal_iteratorINS6_10device_ptrIKsEEEESL_NS6_8equal_toIsEEEENSG_9not_fun_tINSD_8identityEEEEENSD_19counting_iterator_tIlEES8_S8_S8_S8_S8_S8_S8_S8_EEEEPS9_S9_NSD_9__find_if7functorIS9_EEEE10hipError_tPvRmT1_T2_T3_mT4_P12ihipStream_tbEUlT_E0_NS1_11comp_targetILNS1_3genE2ELNS1_11target_archE906ELNS1_3gpuE6ELNS1_3repE0EEENS1_30default_config_static_selectorELNS0_4arch9wavefront6targetE1EEEvS14_
; %bb.0:
	.section	.rodata,"a",@progbits
	.p2align	6, 0x0
	.amdhsa_kernel _ZN7rocprim17ROCPRIM_400000_NS6detail17trampoline_kernelINS0_14default_configENS1_22reduce_config_selectorIN6thrust23THRUST_200600_302600_NS5tupleIblNS6_9null_typeES8_S8_S8_S8_S8_S8_S8_EEEEZNS1_11reduce_implILb1ES3_NS6_12zip_iteratorINS7_INS6_11hip_rocprim26transform_input_iterator_tIbNSD_35transform_pair_of_input_iterators_tIbNS6_6detail15normal_iteratorINS6_10device_ptrIKsEEEESL_NS6_8equal_toIsEEEENSG_9not_fun_tINSD_8identityEEEEENSD_19counting_iterator_tIlEES8_S8_S8_S8_S8_S8_S8_S8_EEEEPS9_S9_NSD_9__find_if7functorIS9_EEEE10hipError_tPvRmT1_T2_T3_mT4_P12ihipStream_tbEUlT_E0_NS1_11comp_targetILNS1_3genE2ELNS1_11target_archE906ELNS1_3gpuE6ELNS1_3repE0EEENS1_30default_config_static_selectorELNS0_4arch9wavefront6targetE1EEEvS14_
		.amdhsa_group_segment_fixed_size 0
		.amdhsa_private_segment_fixed_size 0
		.amdhsa_kernarg_size 104
		.amdhsa_user_sgpr_count 6
		.amdhsa_user_sgpr_private_segment_buffer 1
		.amdhsa_user_sgpr_dispatch_ptr 0
		.amdhsa_user_sgpr_queue_ptr 0
		.amdhsa_user_sgpr_kernarg_segment_ptr 1
		.amdhsa_user_sgpr_dispatch_id 0
		.amdhsa_user_sgpr_flat_scratch_init 0
		.amdhsa_user_sgpr_kernarg_preload_length 0
		.amdhsa_user_sgpr_kernarg_preload_offset 0
		.amdhsa_user_sgpr_private_segment_size 0
		.amdhsa_uses_dynamic_stack 0
		.amdhsa_system_sgpr_private_segment_wavefront_offset 0
		.amdhsa_system_sgpr_workgroup_id_x 1
		.amdhsa_system_sgpr_workgroup_id_y 0
		.amdhsa_system_sgpr_workgroup_id_z 0
		.amdhsa_system_sgpr_workgroup_info 0
		.amdhsa_system_vgpr_workitem_id 0
		.amdhsa_next_free_vgpr 1
		.amdhsa_next_free_sgpr 0
		.amdhsa_accum_offset 4
		.amdhsa_reserve_vcc 0
		.amdhsa_reserve_flat_scratch 0
		.amdhsa_float_round_mode_32 0
		.amdhsa_float_round_mode_16_64 0
		.amdhsa_float_denorm_mode_32 3
		.amdhsa_float_denorm_mode_16_64 3
		.amdhsa_dx10_clamp 1
		.amdhsa_ieee_mode 1
		.amdhsa_fp16_overflow 0
		.amdhsa_tg_split 0
		.amdhsa_exception_fp_ieee_invalid_op 0
		.amdhsa_exception_fp_denorm_src 0
		.amdhsa_exception_fp_ieee_div_zero 0
		.amdhsa_exception_fp_ieee_overflow 0
		.amdhsa_exception_fp_ieee_underflow 0
		.amdhsa_exception_fp_ieee_inexact 0
		.amdhsa_exception_int_div_zero 0
	.end_amdhsa_kernel
	.section	.text._ZN7rocprim17ROCPRIM_400000_NS6detail17trampoline_kernelINS0_14default_configENS1_22reduce_config_selectorIN6thrust23THRUST_200600_302600_NS5tupleIblNS6_9null_typeES8_S8_S8_S8_S8_S8_S8_EEEEZNS1_11reduce_implILb1ES3_NS6_12zip_iteratorINS7_INS6_11hip_rocprim26transform_input_iterator_tIbNSD_35transform_pair_of_input_iterators_tIbNS6_6detail15normal_iteratorINS6_10device_ptrIKsEEEESL_NS6_8equal_toIsEEEENSG_9not_fun_tINSD_8identityEEEEENSD_19counting_iterator_tIlEES8_S8_S8_S8_S8_S8_S8_S8_EEEEPS9_S9_NSD_9__find_if7functorIS9_EEEE10hipError_tPvRmT1_T2_T3_mT4_P12ihipStream_tbEUlT_E0_NS1_11comp_targetILNS1_3genE2ELNS1_11target_archE906ELNS1_3gpuE6ELNS1_3repE0EEENS1_30default_config_static_selectorELNS0_4arch9wavefront6targetE1EEEvS14_,"axG",@progbits,_ZN7rocprim17ROCPRIM_400000_NS6detail17trampoline_kernelINS0_14default_configENS1_22reduce_config_selectorIN6thrust23THRUST_200600_302600_NS5tupleIblNS6_9null_typeES8_S8_S8_S8_S8_S8_S8_EEEEZNS1_11reduce_implILb1ES3_NS6_12zip_iteratorINS7_INS6_11hip_rocprim26transform_input_iterator_tIbNSD_35transform_pair_of_input_iterators_tIbNS6_6detail15normal_iteratorINS6_10device_ptrIKsEEEESL_NS6_8equal_toIsEEEENSG_9not_fun_tINSD_8identityEEEEENSD_19counting_iterator_tIlEES8_S8_S8_S8_S8_S8_S8_S8_EEEEPS9_S9_NSD_9__find_if7functorIS9_EEEE10hipError_tPvRmT1_T2_T3_mT4_P12ihipStream_tbEUlT_E0_NS1_11comp_targetILNS1_3genE2ELNS1_11target_archE906ELNS1_3gpuE6ELNS1_3repE0EEENS1_30default_config_static_selectorELNS0_4arch9wavefront6targetE1EEEvS14_,comdat
.Lfunc_end176:
	.size	_ZN7rocprim17ROCPRIM_400000_NS6detail17trampoline_kernelINS0_14default_configENS1_22reduce_config_selectorIN6thrust23THRUST_200600_302600_NS5tupleIblNS6_9null_typeES8_S8_S8_S8_S8_S8_S8_EEEEZNS1_11reduce_implILb1ES3_NS6_12zip_iteratorINS7_INS6_11hip_rocprim26transform_input_iterator_tIbNSD_35transform_pair_of_input_iterators_tIbNS6_6detail15normal_iteratorINS6_10device_ptrIKsEEEESL_NS6_8equal_toIsEEEENSG_9not_fun_tINSD_8identityEEEEENSD_19counting_iterator_tIlEES8_S8_S8_S8_S8_S8_S8_S8_EEEEPS9_S9_NSD_9__find_if7functorIS9_EEEE10hipError_tPvRmT1_T2_T3_mT4_P12ihipStream_tbEUlT_E0_NS1_11comp_targetILNS1_3genE2ELNS1_11target_archE906ELNS1_3gpuE6ELNS1_3repE0EEENS1_30default_config_static_selectorELNS0_4arch9wavefront6targetE1EEEvS14_, .Lfunc_end176-_ZN7rocprim17ROCPRIM_400000_NS6detail17trampoline_kernelINS0_14default_configENS1_22reduce_config_selectorIN6thrust23THRUST_200600_302600_NS5tupleIblNS6_9null_typeES8_S8_S8_S8_S8_S8_S8_EEEEZNS1_11reduce_implILb1ES3_NS6_12zip_iteratorINS7_INS6_11hip_rocprim26transform_input_iterator_tIbNSD_35transform_pair_of_input_iterators_tIbNS6_6detail15normal_iteratorINS6_10device_ptrIKsEEEESL_NS6_8equal_toIsEEEENSG_9not_fun_tINSD_8identityEEEEENSD_19counting_iterator_tIlEES8_S8_S8_S8_S8_S8_S8_S8_EEEEPS9_S9_NSD_9__find_if7functorIS9_EEEE10hipError_tPvRmT1_T2_T3_mT4_P12ihipStream_tbEUlT_E0_NS1_11comp_targetILNS1_3genE2ELNS1_11target_archE906ELNS1_3gpuE6ELNS1_3repE0EEENS1_30default_config_static_selectorELNS0_4arch9wavefront6targetE1EEEvS14_
                                        ; -- End function
	.section	.AMDGPU.csdata,"",@progbits
; Kernel info:
; codeLenInByte = 0
; NumSgprs: 4
; NumVgprs: 0
; NumAgprs: 0
; TotalNumVgprs: 0
; ScratchSize: 0
; MemoryBound: 0
; FloatMode: 240
; IeeeMode: 1
; LDSByteSize: 0 bytes/workgroup (compile time only)
; SGPRBlocks: 0
; VGPRBlocks: 0
; NumSGPRsForWavesPerEU: 4
; NumVGPRsForWavesPerEU: 1
; AccumOffset: 4
; Occupancy: 8
; WaveLimiterHint : 0
; COMPUTE_PGM_RSRC2:SCRATCH_EN: 0
; COMPUTE_PGM_RSRC2:USER_SGPR: 6
; COMPUTE_PGM_RSRC2:TRAP_HANDLER: 0
; COMPUTE_PGM_RSRC2:TGID_X_EN: 1
; COMPUTE_PGM_RSRC2:TGID_Y_EN: 0
; COMPUTE_PGM_RSRC2:TGID_Z_EN: 0
; COMPUTE_PGM_RSRC2:TIDIG_COMP_CNT: 0
; COMPUTE_PGM_RSRC3_GFX90A:ACCUM_OFFSET: 0
; COMPUTE_PGM_RSRC3_GFX90A:TG_SPLIT: 0
	.section	.text._ZN7rocprim17ROCPRIM_400000_NS6detail17trampoline_kernelINS0_14default_configENS1_22reduce_config_selectorIN6thrust23THRUST_200600_302600_NS5tupleIblNS6_9null_typeES8_S8_S8_S8_S8_S8_S8_EEEEZNS1_11reduce_implILb1ES3_NS6_12zip_iteratorINS7_INS6_11hip_rocprim26transform_input_iterator_tIbNSD_35transform_pair_of_input_iterators_tIbNS6_6detail15normal_iteratorINS6_10device_ptrIKsEEEESL_NS6_8equal_toIsEEEENSG_9not_fun_tINSD_8identityEEEEENSD_19counting_iterator_tIlEES8_S8_S8_S8_S8_S8_S8_S8_EEEEPS9_S9_NSD_9__find_if7functorIS9_EEEE10hipError_tPvRmT1_T2_T3_mT4_P12ihipStream_tbEUlT_E0_NS1_11comp_targetILNS1_3genE10ELNS1_11target_archE1201ELNS1_3gpuE5ELNS1_3repE0EEENS1_30default_config_static_selectorELNS0_4arch9wavefront6targetE1EEEvS14_,"axG",@progbits,_ZN7rocprim17ROCPRIM_400000_NS6detail17trampoline_kernelINS0_14default_configENS1_22reduce_config_selectorIN6thrust23THRUST_200600_302600_NS5tupleIblNS6_9null_typeES8_S8_S8_S8_S8_S8_S8_EEEEZNS1_11reduce_implILb1ES3_NS6_12zip_iteratorINS7_INS6_11hip_rocprim26transform_input_iterator_tIbNSD_35transform_pair_of_input_iterators_tIbNS6_6detail15normal_iteratorINS6_10device_ptrIKsEEEESL_NS6_8equal_toIsEEEENSG_9not_fun_tINSD_8identityEEEEENSD_19counting_iterator_tIlEES8_S8_S8_S8_S8_S8_S8_S8_EEEEPS9_S9_NSD_9__find_if7functorIS9_EEEE10hipError_tPvRmT1_T2_T3_mT4_P12ihipStream_tbEUlT_E0_NS1_11comp_targetILNS1_3genE10ELNS1_11target_archE1201ELNS1_3gpuE5ELNS1_3repE0EEENS1_30default_config_static_selectorELNS0_4arch9wavefront6targetE1EEEvS14_,comdat
	.protected	_ZN7rocprim17ROCPRIM_400000_NS6detail17trampoline_kernelINS0_14default_configENS1_22reduce_config_selectorIN6thrust23THRUST_200600_302600_NS5tupleIblNS6_9null_typeES8_S8_S8_S8_S8_S8_S8_EEEEZNS1_11reduce_implILb1ES3_NS6_12zip_iteratorINS7_INS6_11hip_rocprim26transform_input_iterator_tIbNSD_35transform_pair_of_input_iterators_tIbNS6_6detail15normal_iteratorINS6_10device_ptrIKsEEEESL_NS6_8equal_toIsEEEENSG_9not_fun_tINSD_8identityEEEEENSD_19counting_iterator_tIlEES8_S8_S8_S8_S8_S8_S8_S8_EEEEPS9_S9_NSD_9__find_if7functorIS9_EEEE10hipError_tPvRmT1_T2_T3_mT4_P12ihipStream_tbEUlT_E0_NS1_11comp_targetILNS1_3genE10ELNS1_11target_archE1201ELNS1_3gpuE5ELNS1_3repE0EEENS1_30default_config_static_selectorELNS0_4arch9wavefront6targetE1EEEvS14_ ; -- Begin function _ZN7rocprim17ROCPRIM_400000_NS6detail17trampoline_kernelINS0_14default_configENS1_22reduce_config_selectorIN6thrust23THRUST_200600_302600_NS5tupleIblNS6_9null_typeES8_S8_S8_S8_S8_S8_S8_EEEEZNS1_11reduce_implILb1ES3_NS6_12zip_iteratorINS7_INS6_11hip_rocprim26transform_input_iterator_tIbNSD_35transform_pair_of_input_iterators_tIbNS6_6detail15normal_iteratorINS6_10device_ptrIKsEEEESL_NS6_8equal_toIsEEEENSG_9not_fun_tINSD_8identityEEEEENSD_19counting_iterator_tIlEES8_S8_S8_S8_S8_S8_S8_S8_EEEEPS9_S9_NSD_9__find_if7functorIS9_EEEE10hipError_tPvRmT1_T2_T3_mT4_P12ihipStream_tbEUlT_E0_NS1_11comp_targetILNS1_3genE10ELNS1_11target_archE1201ELNS1_3gpuE5ELNS1_3repE0EEENS1_30default_config_static_selectorELNS0_4arch9wavefront6targetE1EEEvS14_
	.globl	_ZN7rocprim17ROCPRIM_400000_NS6detail17trampoline_kernelINS0_14default_configENS1_22reduce_config_selectorIN6thrust23THRUST_200600_302600_NS5tupleIblNS6_9null_typeES8_S8_S8_S8_S8_S8_S8_EEEEZNS1_11reduce_implILb1ES3_NS6_12zip_iteratorINS7_INS6_11hip_rocprim26transform_input_iterator_tIbNSD_35transform_pair_of_input_iterators_tIbNS6_6detail15normal_iteratorINS6_10device_ptrIKsEEEESL_NS6_8equal_toIsEEEENSG_9not_fun_tINSD_8identityEEEEENSD_19counting_iterator_tIlEES8_S8_S8_S8_S8_S8_S8_S8_EEEEPS9_S9_NSD_9__find_if7functorIS9_EEEE10hipError_tPvRmT1_T2_T3_mT4_P12ihipStream_tbEUlT_E0_NS1_11comp_targetILNS1_3genE10ELNS1_11target_archE1201ELNS1_3gpuE5ELNS1_3repE0EEENS1_30default_config_static_selectorELNS0_4arch9wavefront6targetE1EEEvS14_
	.p2align	8
	.type	_ZN7rocprim17ROCPRIM_400000_NS6detail17trampoline_kernelINS0_14default_configENS1_22reduce_config_selectorIN6thrust23THRUST_200600_302600_NS5tupleIblNS6_9null_typeES8_S8_S8_S8_S8_S8_S8_EEEEZNS1_11reduce_implILb1ES3_NS6_12zip_iteratorINS7_INS6_11hip_rocprim26transform_input_iterator_tIbNSD_35transform_pair_of_input_iterators_tIbNS6_6detail15normal_iteratorINS6_10device_ptrIKsEEEESL_NS6_8equal_toIsEEEENSG_9not_fun_tINSD_8identityEEEEENSD_19counting_iterator_tIlEES8_S8_S8_S8_S8_S8_S8_S8_EEEEPS9_S9_NSD_9__find_if7functorIS9_EEEE10hipError_tPvRmT1_T2_T3_mT4_P12ihipStream_tbEUlT_E0_NS1_11comp_targetILNS1_3genE10ELNS1_11target_archE1201ELNS1_3gpuE5ELNS1_3repE0EEENS1_30default_config_static_selectorELNS0_4arch9wavefront6targetE1EEEvS14_,@function
_ZN7rocprim17ROCPRIM_400000_NS6detail17trampoline_kernelINS0_14default_configENS1_22reduce_config_selectorIN6thrust23THRUST_200600_302600_NS5tupleIblNS6_9null_typeES8_S8_S8_S8_S8_S8_S8_EEEEZNS1_11reduce_implILb1ES3_NS6_12zip_iteratorINS7_INS6_11hip_rocprim26transform_input_iterator_tIbNSD_35transform_pair_of_input_iterators_tIbNS6_6detail15normal_iteratorINS6_10device_ptrIKsEEEESL_NS6_8equal_toIsEEEENSG_9not_fun_tINSD_8identityEEEEENSD_19counting_iterator_tIlEES8_S8_S8_S8_S8_S8_S8_S8_EEEEPS9_S9_NSD_9__find_if7functorIS9_EEEE10hipError_tPvRmT1_T2_T3_mT4_P12ihipStream_tbEUlT_E0_NS1_11comp_targetILNS1_3genE10ELNS1_11target_archE1201ELNS1_3gpuE5ELNS1_3repE0EEENS1_30default_config_static_selectorELNS0_4arch9wavefront6targetE1EEEvS14_: ; @_ZN7rocprim17ROCPRIM_400000_NS6detail17trampoline_kernelINS0_14default_configENS1_22reduce_config_selectorIN6thrust23THRUST_200600_302600_NS5tupleIblNS6_9null_typeES8_S8_S8_S8_S8_S8_S8_EEEEZNS1_11reduce_implILb1ES3_NS6_12zip_iteratorINS7_INS6_11hip_rocprim26transform_input_iterator_tIbNSD_35transform_pair_of_input_iterators_tIbNS6_6detail15normal_iteratorINS6_10device_ptrIKsEEEESL_NS6_8equal_toIsEEEENSG_9not_fun_tINSD_8identityEEEEENSD_19counting_iterator_tIlEES8_S8_S8_S8_S8_S8_S8_S8_EEEEPS9_S9_NSD_9__find_if7functorIS9_EEEE10hipError_tPvRmT1_T2_T3_mT4_P12ihipStream_tbEUlT_E0_NS1_11comp_targetILNS1_3genE10ELNS1_11target_archE1201ELNS1_3gpuE5ELNS1_3repE0EEENS1_30default_config_static_selectorELNS0_4arch9wavefront6targetE1EEEvS14_
; %bb.0:
	.section	.rodata,"a",@progbits
	.p2align	6, 0x0
	.amdhsa_kernel _ZN7rocprim17ROCPRIM_400000_NS6detail17trampoline_kernelINS0_14default_configENS1_22reduce_config_selectorIN6thrust23THRUST_200600_302600_NS5tupleIblNS6_9null_typeES8_S8_S8_S8_S8_S8_S8_EEEEZNS1_11reduce_implILb1ES3_NS6_12zip_iteratorINS7_INS6_11hip_rocprim26transform_input_iterator_tIbNSD_35transform_pair_of_input_iterators_tIbNS6_6detail15normal_iteratorINS6_10device_ptrIKsEEEESL_NS6_8equal_toIsEEEENSG_9not_fun_tINSD_8identityEEEEENSD_19counting_iterator_tIlEES8_S8_S8_S8_S8_S8_S8_S8_EEEEPS9_S9_NSD_9__find_if7functorIS9_EEEE10hipError_tPvRmT1_T2_T3_mT4_P12ihipStream_tbEUlT_E0_NS1_11comp_targetILNS1_3genE10ELNS1_11target_archE1201ELNS1_3gpuE5ELNS1_3repE0EEENS1_30default_config_static_selectorELNS0_4arch9wavefront6targetE1EEEvS14_
		.amdhsa_group_segment_fixed_size 0
		.amdhsa_private_segment_fixed_size 0
		.amdhsa_kernarg_size 104
		.amdhsa_user_sgpr_count 6
		.amdhsa_user_sgpr_private_segment_buffer 1
		.amdhsa_user_sgpr_dispatch_ptr 0
		.amdhsa_user_sgpr_queue_ptr 0
		.amdhsa_user_sgpr_kernarg_segment_ptr 1
		.amdhsa_user_sgpr_dispatch_id 0
		.amdhsa_user_sgpr_flat_scratch_init 0
		.amdhsa_user_sgpr_kernarg_preload_length 0
		.amdhsa_user_sgpr_kernarg_preload_offset 0
		.amdhsa_user_sgpr_private_segment_size 0
		.amdhsa_uses_dynamic_stack 0
		.amdhsa_system_sgpr_private_segment_wavefront_offset 0
		.amdhsa_system_sgpr_workgroup_id_x 1
		.amdhsa_system_sgpr_workgroup_id_y 0
		.amdhsa_system_sgpr_workgroup_id_z 0
		.amdhsa_system_sgpr_workgroup_info 0
		.amdhsa_system_vgpr_workitem_id 0
		.amdhsa_next_free_vgpr 1
		.amdhsa_next_free_sgpr 0
		.amdhsa_accum_offset 4
		.amdhsa_reserve_vcc 0
		.amdhsa_reserve_flat_scratch 0
		.amdhsa_float_round_mode_32 0
		.amdhsa_float_round_mode_16_64 0
		.amdhsa_float_denorm_mode_32 3
		.amdhsa_float_denorm_mode_16_64 3
		.amdhsa_dx10_clamp 1
		.amdhsa_ieee_mode 1
		.amdhsa_fp16_overflow 0
		.amdhsa_tg_split 0
		.amdhsa_exception_fp_ieee_invalid_op 0
		.amdhsa_exception_fp_denorm_src 0
		.amdhsa_exception_fp_ieee_div_zero 0
		.amdhsa_exception_fp_ieee_overflow 0
		.amdhsa_exception_fp_ieee_underflow 0
		.amdhsa_exception_fp_ieee_inexact 0
		.amdhsa_exception_int_div_zero 0
	.end_amdhsa_kernel
	.section	.text._ZN7rocprim17ROCPRIM_400000_NS6detail17trampoline_kernelINS0_14default_configENS1_22reduce_config_selectorIN6thrust23THRUST_200600_302600_NS5tupleIblNS6_9null_typeES8_S8_S8_S8_S8_S8_S8_EEEEZNS1_11reduce_implILb1ES3_NS6_12zip_iteratorINS7_INS6_11hip_rocprim26transform_input_iterator_tIbNSD_35transform_pair_of_input_iterators_tIbNS6_6detail15normal_iteratorINS6_10device_ptrIKsEEEESL_NS6_8equal_toIsEEEENSG_9not_fun_tINSD_8identityEEEEENSD_19counting_iterator_tIlEES8_S8_S8_S8_S8_S8_S8_S8_EEEEPS9_S9_NSD_9__find_if7functorIS9_EEEE10hipError_tPvRmT1_T2_T3_mT4_P12ihipStream_tbEUlT_E0_NS1_11comp_targetILNS1_3genE10ELNS1_11target_archE1201ELNS1_3gpuE5ELNS1_3repE0EEENS1_30default_config_static_selectorELNS0_4arch9wavefront6targetE1EEEvS14_,"axG",@progbits,_ZN7rocprim17ROCPRIM_400000_NS6detail17trampoline_kernelINS0_14default_configENS1_22reduce_config_selectorIN6thrust23THRUST_200600_302600_NS5tupleIblNS6_9null_typeES8_S8_S8_S8_S8_S8_S8_EEEEZNS1_11reduce_implILb1ES3_NS6_12zip_iteratorINS7_INS6_11hip_rocprim26transform_input_iterator_tIbNSD_35transform_pair_of_input_iterators_tIbNS6_6detail15normal_iteratorINS6_10device_ptrIKsEEEESL_NS6_8equal_toIsEEEENSG_9not_fun_tINSD_8identityEEEEENSD_19counting_iterator_tIlEES8_S8_S8_S8_S8_S8_S8_S8_EEEEPS9_S9_NSD_9__find_if7functorIS9_EEEE10hipError_tPvRmT1_T2_T3_mT4_P12ihipStream_tbEUlT_E0_NS1_11comp_targetILNS1_3genE10ELNS1_11target_archE1201ELNS1_3gpuE5ELNS1_3repE0EEENS1_30default_config_static_selectorELNS0_4arch9wavefront6targetE1EEEvS14_,comdat
.Lfunc_end177:
	.size	_ZN7rocprim17ROCPRIM_400000_NS6detail17trampoline_kernelINS0_14default_configENS1_22reduce_config_selectorIN6thrust23THRUST_200600_302600_NS5tupleIblNS6_9null_typeES8_S8_S8_S8_S8_S8_S8_EEEEZNS1_11reduce_implILb1ES3_NS6_12zip_iteratorINS7_INS6_11hip_rocprim26transform_input_iterator_tIbNSD_35transform_pair_of_input_iterators_tIbNS6_6detail15normal_iteratorINS6_10device_ptrIKsEEEESL_NS6_8equal_toIsEEEENSG_9not_fun_tINSD_8identityEEEEENSD_19counting_iterator_tIlEES8_S8_S8_S8_S8_S8_S8_S8_EEEEPS9_S9_NSD_9__find_if7functorIS9_EEEE10hipError_tPvRmT1_T2_T3_mT4_P12ihipStream_tbEUlT_E0_NS1_11comp_targetILNS1_3genE10ELNS1_11target_archE1201ELNS1_3gpuE5ELNS1_3repE0EEENS1_30default_config_static_selectorELNS0_4arch9wavefront6targetE1EEEvS14_, .Lfunc_end177-_ZN7rocprim17ROCPRIM_400000_NS6detail17trampoline_kernelINS0_14default_configENS1_22reduce_config_selectorIN6thrust23THRUST_200600_302600_NS5tupleIblNS6_9null_typeES8_S8_S8_S8_S8_S8_S8_EEEEZNS1_11reduce_implILb1ES3_NS6_12zip_iteratorINS7_INS6_11hip_rocprim26transform_input_iterator_tIbNSD_35transform_pair_of_input_iterators_tIbNS6_6detail15normal_iteratorINS6_10device_ptrIKsEEEESL_NS6_8equal_toIsEEEENSG_9not_fun_tINSD_8identityEEEEENSD_19counting_iterator_tIlEES8_S8_S8_S8_S8_S8_S8_S8_EEEEPS9_S9_NSD_9__find_if7functorIS9_EEEE10hipError_tPvRmT1_T2_T3_mT4_P12ihipStream_tbEUlT_E0_NS1_11comp_targetILNS1_3genE10ELNS1_11target_archE1201ELNS1_3gpuE5ELNS1_3repE0EEENS1_30default_config_static_selectorELNS0_4arch9wavefront6targetE1EEEvS14_
                                        ; -- End function
	.section	.AMDGPU.csdata,"",@progbits
; Kernel info:
; codeLenInByte = 0
; NumSgprs: 4
; NumVgprs: 0
; NumAgprs: 0
; TotalNumVgprs: 0
; ScratchSize: 0
; MemoryBound: 0
; FloatMode: 240
; IeeeMode: 1
; LDSByteSize: 0 bytes/workgroup (compile time only)
; SGPRBlocks: 0
; VGPRBlocks: 0
; NumSGPRsForWavesPerEU: 4
; NumVGPRsForWavesPerEU: 1
; AccumOffset: 4
; Occupancy: 8
; WaveLimiterHint : 0
; COMPUTE_PGM_RSRC2:SCRATCH_EN: 0
; COMPUTE_PGM_RSRC2:USER_SGPR: 6
; COMPUTE_PGM_RSRC2:TRAP_HANDLER: 0
; COMPUTE_PGM_RSRC2:TGID_X_EN: 1
; COMPUTE_PGM_RSRC2:TGID_Y_EN: 0
; COMPUTE_PGM_RSRC2:TGID_Z_EN: 0
; COMPUTE_PGM_RSRC2:TIDIG_COMP_CNT: 0
; COMPUTE_PGM_RSRC3_GFX90A:ACCUM_OFFSET: 0
; COMPUTE_PGM_RSRC3_GFX90A:TG_SPLIT: 0
	.section	.text._ZN7rocprim17ROCPRIM_400000_NS6detail17trampoline_kernelINS0_14default_configENS1_22reduce_config_selectorIN6thrust23THRUST_200600_302600_NS5tupleIblNS6_9null_typeES8_S8_S8_S8_S8_S8_S8_EEEEZNS1_11reduce_implILb1ES3_NS6_12zip_iteratorINS7_INS6_11hip_rocprim26transform_input_iterator_tIbNSD_35transform_pair_of_input_iterators_tIbNS6_6detail15normal_iteratorINS6_10device_ptrIKsEEEESL_NS6_8equal_toIsEEEENSG_9not_fun_tINSD_8identityEEEEENSD_19counting_iterator_tIlEES8_S8_S8_S8_S8_S8_S8_S8_EEEEPS9_S9_NSD_9__find_if7functorIS9_EEEE10hipError_tPvRmT1_T2_T3_mT4_P12ihipStream_tbEUlT_E0_NS1_11comp_targetILNS1_3genE10ELNS1_11target_archE1200ELNS1_3gpuE4ELNS1_3repE0EEENS1_30default_config_static_selectorELNS0_4arch9wavefront6targetE1EEEvS14_,"axG",@progbits,_ZN7rocprim17ROCPRIM_400000_NS6detail17trampoline_kernelINS0_14default_configENS1_22reduce_config_selectorIN6thrust23THRUST_200600_302600_NS5tupleIblNS6_9null_typeES8_S8_S8_S8_S8_S8_S8_EEEEZNS1_11reduce_implILb1ES3_NS6_12zip_iteratorINS7_INS6_11hip_rocprim26transform_input_iterator_tIbNSD_35transform_pair_of_input_iterators_tIbNS6_6detail15normal_iteratorINS6_10device_ptrIKsEEEESL_NS6_8equal_toIsEEEENSG_9not_fun_tINSD_8identityEEEEENSD_19counting_iterator_tIlEES8_S8_S8_S8_S8_S8_S8_S8_EEEEPS9_S9_NSD_9__find_if7functorIS9_EEEE10hipError_tPvRmT1_T2_T3_mT4_P12ihipStream_tbEUlT_E0_NS1_11comp_targetILNS1_3genE10ELNS1_11target_archE1200ELNS1_3gpuE4ELNS1_3repE0EEENS1_30default_config_static_selectorELNS0_4arch9wavefront6targetE1EEEvS14_,comdat
	.protected	_ZN7rocprim17ROCPRIM_400000_NS6detail17trampoline_kernelINS0_14default_configENS1_22reduce_config_selectorIN6thrust23THRUST_200600_302600_NS5tupleIblNS6_9null_typeES8_S8_S8_S8_S8_S8_S8_EEEEZNS1_11reduce_implILb1ES3_NS6_12zip_iteratorINS7_INS6_11hip_rocprim26transform_input_iterator_tIbNSD_35transform_pair_of_input_iterators_tIbNS6_6detail15normal_iteratorINS6_10device_ptrIKsEEEESL_NS6_8equal_toIsEEEENSG_9not_fun_tINSD_8identityEEEEENSD_19counting_iterator_tIlEES8_S8_S8_S8_S8_S8_S8_S8_EEEEPS9_S9_NSD_9__find_if7functorIS9_EEEE10hipError_tPvRmT1_T2_T3_mT4_P12ihipStream_tbEUlT_E0_NS1_11comp_targetILNS1_3genE10ELNS1_11target_archE1200ELNS1_3gpuE4ELNS1_3repE0EEENS1_30default_config_static_selectorELNS0_4arch9wavefront6targetE1EEEvS14_ ; -- Begin function _ZN7rocprim17ROCPRIM_400000_NS6detail17trampoline_kernelINS0_14default_configENS1_22reduce_config_selectorIN6thrust23THRUST_200600_302600_NS5tupleIblNS6_9null_typeES8_S8_S8_S8_S8_S8_S8_EEEEZNS1_11reduce_implILb1ES3_NS6_12zip_iteratorINS7_INS6_11hip_rocprim26transform_input_iterator_tIbNSD_35transform_pair_of_input_iterators_tIbNS6_6detail15normal_iteratorINS6_10device_ptrIKsEEEESL_NS6_8equal_toIsEEEENSG_9not_fun_tINSD_8identityEEEEENSD_19counting_iterator_tIlEES8_S8_S8_S8_S8_S8_S8_S8_EEEEPS9_S9_NSD_9__find_if7functorIS9_EEEE10hipError_tPvRmT1_T2_T3_mT4_P12ihipStream_tbEUlT_E0_NS1_11comp_targetILNS1_3genE10ELNS1_11target_archE1200ELNS1_3gpuE4ELNS1_3repE0EEENS1_30default_config_static_selectorELNS0_4arch9wavefront6targetE1EEEvS14_
	.globl	_ZN7rocprim17ROCPRIM_400000_NS6detail17trampoline_kernelINS0_14default_configENS1_22reduce_config_selectorIN6thrust23THRUST_200600_302600_NS5tupleIblNS6_9null_typeES8_S8_S8_S8_S8_S8_S8_EEEEZNS1_11reduce_implILb1ES3_NS6_12zip_iteratorINS7_INS6_11hip_rocprim26transform_input_iterator_tIbNSD_35transform_pair_of_input_iterators_tIbNS6_6detail15normal_iteratorINS6_10device_ptrIKsEEEESL_NS6_8equal_toIsEEEENSG_9not_fun_tINSD_8identityEEEEENSD_19counting_iterator_tIlEES8_S8_S8_S8_S8_S8_S8_S8_EEEEPS9_S9_NSD_9__find_if7functorIS9_EEEE10hipError_tPvRmT1_T2_T3_mT4_P12ihipStream_tbEUlT_E0_NS1_11comp_targetILNS1_3genE10ELNS1_11target_archE1200ELNS1_3gpuE4ELNS1_3repE0EEENS1_30default_config_static_selectorELNS0_4arch9wavefront6targetE1EEEvS14_
	.p2align	8
	.type	_ZN7rocprim17ROCPRIM_400000_NS6detail17trampoline_kernelINS0_14default_configENS1_22reduce_config_selectorIN6thrust23THRUST_200600_302600_NS5tupleIblNS6_9null_typeES8_S8_S8_S8_S8_S8_S8_EEEEZNS1_11reduce_implILb1ES3_NS6_12zip_iteratorINS7_INS6_11hip_rocprim26transform_input_iterator_tIbNSD_35transform_pair_of_input_iterators_tIbNS6_6detail15normal_iteratorINS6_10device_ptrIKsEEEESL_NS6_8equal_toIsEEEENSG_9not_fun_tINSD_8identityEEEEENSD_19counting_iterator_tIlEES8_S8_S8_S8_S8_S8_S8_S8_EEEEPS9_S9_NSD_9__find_if7functorIS9_EEEE10hipError_tPvRmT1_T2_T3_mT4_P12ihipStream_tbEUlT_E0_NS1_11comp_targetILNS1_3genE10ELNS1_11target_archE1200ELNS1_3gpuE4ELNS1_3repE0EEENS1_30default_config_static_selectorELNS0_4arch9wavefront6targetE1EEEvS14_,@function
_ZN7rocprim17ROCPRIM_400000_NS6detail17trampoline_kernelINS0_14default_configENS1_22reduce_config_selectorIN6thrust23THRUST_200600_302600_NS5tupleIblNS6_9null_typeES8_S8_S8_S8_S8_S8_S8_EEEEZNS1_11reduce_implILb1ES3_NS6_12zip_iteratorINS7_INS6_11hip_rocprim26transform_input_iterator_tIbNSD_35transform_pair_of_input_iterators_tIbNS6_6detail15normal_iteratorINS6_10device_ptrIKsEEEESL_NS6_8equal_toIsEEEENSG_9not_fun_tINSD_8identityEEEEENSD_19counting_iterator_tIlEES8_S8_S8_S8_S8_S8_S8_S8_EEEEPS9_S9_NSD_9__find_if7functorIS9_EEEE10hipError_tPvRmT1_T2_T3_mT4_P12ihipStream_tbEUlT_E0_NS1_11comp_targetILNS1_3genE10ELNS1_11target_archE1200ELNS1_3gpuE4ELNS1_3repE0EEENS1_30default_config_static_selectorELNS0_4arch9wavefront6targetE1EEEvS14_: ; @_ZN7rocprim17ROCPRIM_400000_NS6detail17trampoline_kernelINS0_14default_configENS1_22reduce_config_selectorIN6thrust23THRUST_200600_302600_NS5tupleIblNS6_9null_typeES8_S8_S8_S8_S8_S8_S8_EEEEZNS1_11reduce_implILb1ES3_NS6_12zip_iteratorINS7_INS6_11hip_rocprim26transform_input_iterator_tIbNSD_35transform_pair_of_input_iterators_tIbNS6_6detail15normal_iteratorINS6_10device_ptrIKsEEEESL_NS6_8equal_toIsEEEENSG_9not_fun_tINSD_8identityEEEEENSD_19counting_iterator_tIlEES8_S8_S8_S8_S8_S8_S8_S8_EEEEPS9_S9_NSD_9__find_if7functorIS9_EEEE10hipError_tPvRmT1_T2_T3_mT4_P12ihipStream_tbEUlT_E0_NS1_11comp_targetILNS1_3genE10ELNS1_11target_archE1200ELNS1_3gpuE4ELNS1_3repE0EEENS1_30default_config_static_selectorELNS0_4arch9wavefront6targetE1EEEvS14_
; %bb.0:
	.section	.rodata,"a",@progbits
	.p2align	6, 0x0
	.amdhsa_kernel _ZN7rocprim17ROCPRIM_400000_NS6detail17trampoline_kernelINS0_14default_configENS1_22reduce_config_selectorIN6thrust23THRUST_200600_302600_NS5tupleIblNS6_9null_typeES8_S8_S8_S8_S8_S8_S8_EEEEZNS1_11reduce_implILb1ES3_NS6_12zip_iteratorINS7_INS6_11hip_rocprim26transform_input_iterator_tIbNSD_35transform_pair_of_input_iterators_tIbNS6_6detail15normal_iteratorINS6_10device_ptrIKsEEEESL_NS6_8equal_toIsEEEENSG_9not_fun_tINSD_8identityEEEEENSD_19counting_iterator_tIlEES8_S8_S8_S8_S8_S8_S8_S8_EEEEPS9_S9_NSD_9__find_if7functorIS9_EEEE10hipError_tPvRmT1_T2_T3_mT4_P12ihipStream_tbEUlT_E0_NS1_11comp_targetILNS1_3genE10ELNS1_11target_archE1200ELNS1_3gpuE4ELNS1_3repE0EEENS1_30default_config_static_selectorELNS0_4arch9wavefront6targetE1EEEvS14_
		.amdhsa_group_segment_fixed_size 0
		.amdhsa_private_segment_fixed_size 0
		.amdhsa_kernarg_size 104
		.amdhsa_user_sgpr_count 6
		.amdhsa_user_sgpr_private_segment_buffer 1
		.amdhsa_user_sgpr_dispatch_ptr 0
		.amdhsa_user_sgpr_queue_ptr 0
		.amdhsa_user_sgpr_kernarg_segment_ptr 1
		.amdhsa_user_sgpr_dispatch_id 0
		.amdhsa_user_sgpr_flat_scratch_init 0
		.amdhsa_user_sgpr_kernarg_preload_length 0
		.amdhsa_user_sgpr_kernarg_preload_offset 0
		.amdhsa_user_sgpr_private_segment_size 0
		.amdhsa_uses_dynamic_stack 0
		.amdhsa_system_sgpr_private_segment_wavefront_offset 0
		.amdhsa_system_sgpr_workgroup_id_x 1
		.amdhsa_system_sgpr_workgroup_id_y 0
		.amdhsa_system_sgpr_workgroup_id_z 0
		.amdhsa_system_sgpr_workgroup_info 0
		.amdhsa_system_vgpr_workitem_id 0
		.amdhsa_next_free_vgpr 1
		.amdhsa_next_free_sgpr 0
		.amdhsa_accum_offset 4
		.amdhsa_reserve_vcc 0
		.amdhsa_reserve_flat_scratch 0
		.amdhsa_float_round_mode_32 0
		.amdhsa_float_round_mode_16_64 0
		.amdhsa_float_denorm_mode_32 3
		.amdhsa_float_denorm_mode_16_64 3
		.amdhsa_dx10_clamp 1
		.amdhsa_ieee_mode 1
		.amdhsa_fp16_overflow 0
		.amdhsa_tg_split 0
		.amdhsa_exception_fp_ieee_invalid_op 0
		.amdhsa_exception_fp_denorm_src 0
		.amdhsa_exception_fp_ieee_div_zero 0
		.amdhsa_exception_fp_ieee_overflow 0
		.amdhsa_exception_fp_ieee_underflow 0
		.amdhsa_exception_fp_ieee_inexact 0
		.amdhsa_exception_int_div_zero 0
	.end_amdhsa_kernel
	.section	.text._ZN7rocprim17ROCPRIM_400000_NS6detail17trampoline_kernelINS0_14default_configENS1_22reduce_config_selectorIN6thrust23THRUST_200600_302600_NS5tupleIblNS6_9null_typeES8_S8_S8_S8_S8_S8_S8_EEEEZNS1_11reduce_implILb1ES3_NS6_12zip_iteratorINS7_INS6_11hip_rocprim26transform_input_iterator_tIbNSD_35transform_pair_of_input_iterators_tIbNS6_6detail15normal_iteratorINS6_10device_ptrIKsEEEESL_NS6_8equal_toIsEEEENSG_9not_fun_tINSD_8identityEEEEENSD_19counting_iterator_tIlEES8_S8_S8_S8_S8_S8_S8_S8_EEEEPS9_S9_NSD_9__find_if7functorIS9_EEEE10hipError_tPvRmT1_T2_T3_mT4_P12ihipStream_tbEUlT_E0_NS1_11comp_targetILNS1_3genE10ELNS1_11target_archE1200ELNS1_3gpuE4ELNS1_3repE0EEENS1_30default_config_static_selectorELNS0_4arch9wavefront6targetE1EEEvS14_,"axG",@progbits,_ZN7rocprim17ROCPRIM_400000_NS6detail17trampoline_kernelINS0_14default_configENS1_22reduce_config_selectorIN6thrust23THRUST_200600_302600_NS5tupleIblNS6_9null_typeES8_S8_S8_S8_S8_S8_S8_EEEEZNS1_11reduce_implILb1ES3_NS6_12zip_iteratorINS7_INS6_11hip_rocprim26transform_input_iterator_tIbNSD_35transform_pair_of_input_iterators_tIbNS6_6detail15normal_iteratorINS6_10device_ptrIKsEEEESL_NS6_8equal_toIsEEEENSG_9not_fun_tINSD_8identityEEEEENSD_19counting_iterator_tIlEES8_S8_S8_S8_S8_S8_S8_S8_EEEEPS9_S9_NSD_9__find_if7functorIS9_EEEE10hipError_tPvRmT1_T2_T3_mT4_P12ihipStream_tbEUlT_E0_NS1_11comp_targetILNS1_3genE10ELNS1_11target_archE1200ELNS1_3gpuE4ELNS1_3repE0EEENS1_30default_config_static_selectorELNS0_4arch9wavefront6targetE1EEEvS14_,comdat
.Lfunc_end178:
	.size	_ZN7rocprim17ROCPRIM_400000_NS6detail17trampoline_kernelINS0_14default_configENS1_22reduce_config_selectorIN6thrust23THRUST_200600_302600_NS5tupleIblNS6_9null_typeES8_S8_S8_S8_S8_S8_S8_EEEEZNS1_11reduce_implILb1ES3_NS6_12zip_iteratorINS7_INS6_11hip_rocprim26transform_input_iterator_tIbNSD_35transform_pair_of_input_iterators_tIbNS6_6detail15normal_iteratorINS6_10device_ptrIKsEEEESL_NS6_8equal_toIsEEEENSG_9not_fun_tINSD_8identityEEEEENSD_19counting_iterator_tIlEES8_S8_S8_S8_S8_S8_S8_S8_EEEEPS9_S9_NSD_9__find_if7functorIS9_EEEE10hipError_tPvRmT1_T2_T3_mT4_P12ihipStream_tbEUlT_E0_NS1_11comp_targetILNS1_3genE10ELNS1_11target_archE1200ELNS1_3gpuE4ELNS1_3repE0EEENS1_30default_config_static_selectorELNS0_4arch9wavefront6targetE1EEEvS14_, .Lfunc_end178-_ZN7rocprim17ROCPRIM_400000_NS6detail17trampoline_kernelINS0_14default_configENS1_22reduce_config_selectorIN6thrust23THRUST_200600_302600_NS5tupleIblNS6_9null_typeES8_S8_S8_S8_S8_S8_S8_EEEEZNS1_11reduce_implILb1ES3_NS6_12zip_iteratorINS7_INS6_11hip_rocprim26transform_input_iterator_tIbNSD_35transform_pair_of_input_iterators_tIbNS6_6detail15normal_iteratorINS6_10device_ptrIKsEEEESL_NS6_8equal_toIsEEEENSG_9not_fun_tINSD_8identityEEEEENSD_19counting_iterator_tIlEES8_S8_S8_S8_S8_S8_S8_S8_EEEEPS9_S9_NSD_9__find_if7functorIS9_EEEE10hipError_tPvRmT1_T2_T3_mT4_P12ihipStream_tbEUlT_E0_NS1_11comp_targetILNS1_3genE10ELNS1_11target_archE1200ELNS1_3gpuE4ELNS1_3repE0EEENS1_30default_config_static_selectorELNS0_4arch9wavefront6targetE1EEEvS14_
                                        ; -- End function
	.section	.AMDGPU.csdata,"",@progbits
; Kernel info:
; codeLenInByte = 0
; NumSgprs: 4
; NumVgprs: 0
; NumAgprs: 0
; TotalNumVgprs: 0
; ScratchSize: 0
; MemoryBound: 0
; FloatMode: 240
; IeeeMode: 1
; LDSByteSize: 0 bytes/workgroup (compile time only)
; SGPRBlocks: 0
; VGPRBlocks: 0
; NumSGPRsForWavesPerEU: 4
; NumVGPRsForWavesPerEU: 1
; AccumOffset: 4
; Occupancy: 8
; WaveLimiterHint : 0
; COMPUTE_PGM_RSRC2:SCRATCH_EN: 0
; COMPUTE_PGM_RSRC2:USER_SGPR: 6
; COMPUTE_PGM_RSRC2:TRAP_HANDLER: 0
; COMPUTE_PGM_RSRC2:TGID_X_EN: 1
; COMPUTE_PGM_RSRC2:TGID_Y_EN: 0
; COMPUTE_PGM_RSRC2:TGID_Z_EN: 0
; COMPUTE_PGM_RSRC2:TIDIG_COMP_CNT: 0
; COMPUTE_PGM_RSRC3_GFX90A:ACCUM_OFFSET: 0
; COMPUTE_PGM_RSRC3_GFX90A:TG_SPLIT: 0
	.section	.text._ZN7rocprim17ROCPRIM_400000_NS6detail17trampoline_kernelINS0_14default_configENS1_22reduce_config_selectorIN6thrust23THRUST_200600_302600_NS5tupleIblNS6_9null_typeES8_S8_S8_S8_S8_S8_S8_EEEEZNS1_11reduce_implILb1ES3_NS6_12zip_iteratorINS7_INS6_11hip_rocprim26transform_input_iterator_tIbNSD_35transform_pair_of_input_iterators_tIbNS6_6detail15normal_iteratorINS6_10device_ptrIKsEEEESL_NS6_8equal_toIsEEEENSG_9not_fun_tINSD_8identityEEEEENSD_19counting_iterator_tIlEES8_S8_S8_S8_S8_S8_S8_S8_EEEEPS9_S9_NSD_9__find_if7functorIS9_EEEE10hipError_tPvRmT1_T2_T3_mT4_P12ihipStream_tbEUlT_E0_NS1_11comp_targetILNS1_3genE9ELNS1_11target_archE1100ELNS1_3gpuE3ELNS1_3repE0EEENS1_30default_config_static_selectorELNS0_4arch9wavefront6targetE1EEEvS14_,"axG",@progbits,_ZN7rocprim17ROCPRIM_400000_NS6detail17trampoline_kernelINS0_14default_configENS1_22reduce_config_selectorIN6thrust23THRUST_200600_302600_NS5tupleIblNS6_9null_typeES8_S8_S8_S8_S8_S8_S8_EEEEZNS1_11reduce_implILb1ES3_NS6_12zip_iteratorINS7_INS6_11hip_rocprim26transform_input_iterator_tIbNSD_35transform_pair_of_input_iterators_tIbNS6_6detail15normal_iteratorINS6_10device_ptrIKsEEEESL_NS6_8equal_toIsEEEENSG_9not_fun_tINSD_8identityEEEEENSD_19counting_iterator_tIlEES8_S8_S8_S8_S8_S8_S8_S8_EEEEPS9_S9_NSD_9__find_if7functorIS9_EEEE10hipError_tPvRmT1_T2_T3_mT4_P12ihipStream_tbEUlT_E0_NS1_11comp_targetILNS1_3genE9ELNS1_11target_archE1100ELNS1_3gpuE3ELNS1_3repE0EEENS1_30default_config_static_selectorELNS0_4arch9wavefront6targetE1EEEvS14_,comdat
	.protected	_ZN7rocprim17ROCPRIM_400000_NS6detail17trampoline_kernelINS0_14default_configENS1_22reduce_config_selectorIN6thrust23THRUST_200600_302600_NS5tupleIblNS6_9null_typeES8_S8_S8_S8_S8_S8_S8_EEEEZNS1_11reduce_implILb1ES3_NS6_12zip_iteratorINS7_INS6_11hip_rocprim26transform_input_iterator_tIbNSD_35transform_pair_of_input_iterators_tIbNS6_6detail15normal_iteratorINS6_10device_ptrIKsEEEESL_NS6_8equal_toIsEEEENSG_9not_fun_tINSD_8identityEEEEENSD_19counting_iterator_tIlEES8_S8_S8_S8_S8_S8_S8_S8_EEEEPS9_S9_NSD_9__find_if7functorIS9_EEEE10hipError_tPvRmT1_T2_T3_mT4_P12ihipStream_tbEUlT_E0_NS1_11comp_targetILNS1_3genE9ELNS1_11target_archE1100ELNS1_3gpuE3ELNS1_3repE0EEENS1_30default_config_static_selectorELNS0_4arch9wavefront6targetE1EEEvS14_ ; -- Begin function _ZN7rocprim17ROCPRIM_400000_NS6detail17trampoline_kernelINS0_14default_configENS1_22reduce_config_selectorIN6thrust23THRUST_200600_302600_NS5tupleIblNS6_9null_typeES8_S8_S8_S8_S8_S8_S8_EEEEZNS1_11reduce_implILb1ES3_NS6_12zip_iteratorINS7_INS6_11hip_rocprim26transform_input_iterator_tIbNSD_35transform_pair_of_input_iterators_tIbNS6_6detail15normal_iteratorINS6_10device_ptrIKsEEEESL_NS6_8equal_toIsEEEENSG_9not_fun_tINSD_8identityEEEEENSD_19counting_iterator_tIlEES8_S8_S8_S8_S8_S8_S8_S8_EEEEPS9_S9_NSD_9__find_if7functorIS9_EEEE10hipError_tPvRmT1_T2_T3_mT4_P12ihipStream_tbEUlT_E0_NS1_11comp_targetILNS1_3genE9ELNS1_11target_archE1100ELNS1_3gpuE3ELNS1_3repE0EEENS1_30default_config_static_selectorELNS0_4arch9wavefront6targetE1EEEvS14_
	.globl	_ZN7rocprim17ROCPRIM_400000_NS6detail17trampoline_kernelINS0_14default_configENS1_22reduce_config_selectorIN6thrust23THRUST_200600_302600_NS5tupleIblNS6_9null_typeES8_S8_S8_S8_S8_S8_S8_EEEEZNS1_11reduce_implILb1ES3_NS6_12zip_iteratorINS7_INS6_11hip_rocprim26transform_input_iterator_tIbNSD_35transform_pair_of_input_iterators_tIbNS6_6detail15normal_iteratorINS6_10device_ptrIKsEEEESL_NS6_8equal_toIsEEEENSG_9not_fun_tINSD_8identityEEEEENSD_19counting_iterator_tIlEES8_S8_S8_S8_S8_S8_S8_S8_EEEEPS9_S9_NSD_9__find_if7functorIS9_EEEE10hipError_tPvRmT1_T2_T3_mT4_P12ihipStream_tbEUlT_E0_NS1_11comp_targetILNS1_3genE9ELNS1_11target_archE1100ELNS1_3gpuE3ELNS1_3repE0EEENS1_30default_config_static_selectorELNS0_4arch9wavefront6targetE1EEEvS14_
	.p2align	8
	.type	_ZN7rocprim17ROCPRIM_400000_NS6detail17trampoline_kernelINS0_14default_configENS1_22reduce_config_selectorIN6thrust23THRUST_200600_302600_NS5tupleIblNS6_9null_typeES8_S8_S8_S8_S8_S8_S8_EEEEZNS1_11reduce_implILb1ES3_NS6_12zip_iteratorINS7_INS6_11hip_rocprim26transform_input_iterator_tIbNSD_35transform_pair_of_input_iterators_tIbNS6_6detail15normal_iteratorINS6_10device_ptrIKsEEEESL_NS6_8equal_toIsEEEENSG_9not_fun_tINSD_8identityEEEEENSD_19counting_iterator_tIlEES8_S8_S8_S8_S8_S8_S8_S8_EEEEPS9_S9_NSD_9__find_if7functorIS9_EEEE10hipError_tPvRmT1_T2_T3_mT4_P12ihipStream_tbEUlT_E0_NS1_11comp_targetILNS1_3genE9ELNS1_11target_archE1100ELNS1_3gpuE3ELNS1_3repE0EEENS1_30default_config_static_selectorELNS0_4arch9wavefront6targetE1EEEvS14_,@function
_ZN7rocprim17ROCPRIM_400000_NS6detail17trampoline_kernelINS0_14default_configENS1_22reduce_config_selectorIN6thrust23THRUST_200600_302600_NS5tupleIblNS6_9null_typeES8_S8_S8_S8_S8_S8_S8_EEEEZNS1_11reduce_implILb1ES3_NS6_12zip_iteratorINS7_INS6_11hip_rocprim26transform_input_iterator_tIbNSD_35transform_pair_of_input_iterators_tIbNS6_6detail15normal_iteratorINS6_10device_ptrIKsEEEESL_NS6_8equal_toIsEEEENSG_9not_fun_tINSD_8identityEEEEENSD_19counting_iterator_tIlEES8_S8_S8_S8_S8_S8_S8_S8_EEEEPS9_S9_NSD_9__find_if7functorIS9_EEEE10hipError_tPvRmT1_T2_T3_mT4_P12ihipStream_tbEUlT_E0_NS1_11comp_targetILNS1_3genE9ELNS1_11target_archE1100ELNS1_3gpuE3ELNS1_3repE0EEENS1_30default_config_static_selectorELNS0_4arch9wavefront6targetE1EEEvS14_: ; @_ZN7rocprim17ROCPRIM_400000_NS6detail17trampoline_kernelINS0_14default_configENS1_22reduce_config_selectorIN6thrust23THRUST_200600_302600_NS5tupleIblNS6_9null_typeES8_S8_S8_S8_S8_S8_S8_EEEEZNS1_11reduce_implILb1ES3_NS6_12zip_iteratorINS7_INS6_11hip_rocprim26transform_input_iterator_tIbNSD_35transform_pair_of_input_iterators_tIbNS6_6detail15normal_iteratorINS6_10device_ptrIKsEEEESL_NS6_8equal_toIsEEEENSG_9not_fun_tINSD_8identityEEEEENSD_19counting_iterator_tIlEES8_S8_S8_S8_S8_S8_S8_S8_EEEEPS9_S9_NSD_9__find_if7functorIS9_EEEE10hipError_tPvRmT1_T2_T3_mT4_P12ihipStream_tbEUlT_E0_NS1_11comp_targetILNS1_3genE9ELNS1_11target_archE1100ELNS1_3gpuE3ELNS1_3repE0EEENS1_30default_config_static_selectorELNS0_4arch9wavefront6targetE1EEEvS14_
; %bb.0:
	.section	.rodata,"a",@progbits
	.p2align	6, 0x0
	.amdhsa_kernel _ZN7rocprim17ROCPRIM_400000_NS6detail17trampoline_kernelINS0_14default_configENS1_22reduce_config_selectorIN6thrust23THRUST_200600_302600_NS5tupleIblNS6_9null_typeES8_S8_S8_S8_S8_S8_S8_EEEEZNS1_11reduce_implILb1ES3_NS6_12zip_iteratorINS7_INS6_11hip_rocprim26transform_input_iterator_tIbNSD_35transform_pair_of_input_iterators_tIbNS6_6detail15normal_iteratorINS6_10device_ptrIKsEEEESL_NS6_8equal_toIsEEEENSG_9not_fun_tINSD_8identityEEEEENSD_19counting_iterator_tIlEES8_S8_S8_S8_S8_S8_S8_S8_EEEEPS9_S9_NSD_9__find_if7functorIS9_EEEE10hipError_tPvRmT1_T2_T3_mT4_P12ihipStream_tbEUlT_E0_NS1_11comp_targetILNS1_3genE9ELNS1_11target_archE1100ELNS1_3gpuE3ELNS1_3repE0EEENS1_30default_config_static_selectorELNS0_4arch9wavefront6targetE1EEEvS14_
		.amdhsa_group_segment_fixed_size 0
		.amdhsa_private_segment_fixed_size 0
		.amdhsa_kernarg_size 104
		.amdhsa_user_sgpr_count 6
		.amdhsa_user_sgpr_private_segment_buffer 1
		.amdhsa_user_sgpr_dispatch_ptr 0
		.amdhsa_user_sgpr_queue_ptr 0
		.amdhsa_user_sgpr_kernarg_segment_ptr 1
		.amdhsa_user_sgpr_dispatch_id 0
		.amdhsa_user_sgpr_flat_scratch_init 0
		.amdhsa_user_sgpr_kernarg_preload_length 0
		.amdhsa_user_sgpr_kernarg_preload_offset 0
		.amdhsa_user_sgpr_private_segment_size 0
		.amdhsa_uses_dynamic_stack 0
		.amdhsa_system_sgpr_private_segment_wavefront_offset 0
		.amdhsa_system_sgpr_workgroup_id_x 1
		.amdhsa_system_sgpr_workgroup_id_y 0
		.amdhsa_system_sgpr_workgroup_id_z 0
		.amdhsa_system_sgpr_workgroup_info 0
		.amdhsa_system_vgpr_workitem_id 0
		.amdhsa_next_free_vgpr 1
		.amdhsa_next_free_sgpr 0
		.amdhsa_accum_offset 4
		.amdhsa_reserve_vcc 0
		.amdhsa_reserve_flat_scratch 0
		.amdhsa_float_round_mode_32 0
		.amdhsa_float_round_mode_16_64 0
		.amdhsa_float_denorm_mode_32 3
		.amdhsa_float_denorm_mode_16_64 3
		.amdhsa_dx10_clamp 1
		.amdhsa_ieee_mode 1
		.amdhsa_fp16_overflow 0
		.amdhsa_tg_split 0
		.amdhsa_exception_fp_ieee_invalid_op 0
		.amdhsa_exception_fp_denorm_src 0
		.amdhsa_exception_fp_ieee_div_zero 0
		.amdhsa_exception_fp_ieee_overflow 0
		.amdhsa_exception_fp_ieee_underflow 0
		.amdhsa_exception_fp_ieee_inexact 0
		.amdhsa_exception_int_div_zero 0
	.end_amdhsa_kernel
	.section	.text._ZN7rocprim17ROCPRIM_400000_NS6detail17trampoline_kernelINS0_14default_configENS1_22reduce_config_selectorIN6thrust23THRUST_200600_302600_NS5tupleIblNS6_9null_typeES8_S8_S8_S8_S8_S8_S8_EEEEZNS1_11reduce_implILb1ES3_NS6_12zip_iteratorINS7_INS6_11hip_rocprim26transform_input_iterator_tIbNSD_35transform_pair_of_input_iterators_tIbNS6_6detail15normal_iteratorINS6_10device_ptrIKsEEEESL_NS6_8equal_toIsEEEENSG_9not_fun_tINSD_8identityEEEEENSD_19counting_iterator_tIlEES8_S8_S8_S8_S8_S8_S8_S8_EEEEPS9_S9_NSD_9__find_if7functorIS9_EEEE10hipError_tPvRmT1_T2_T3_mT4_P12ihipStream_tbEUlT_E0_NS1_11comp_targetILNS1_3genE9ELNS1_11target_archE1100ELNS1_3gpuE3ELNS1_3repE0EEENS1_30default_config_static_selectorELNS0_4arch9wavefront6targetE1EEEvS14_,"axG",@progbits,_ZN7rocprim17ROCPRIM_400000_NS6detail17trampoline_kernelINS0_14default_configENS1_22reduce_config_selectorIN6thrust23THRUST_200600_302600_NS5tupleIblNS6_9null_typeES8_S8_S8_S8_S8_S8_S8_EEEEZNS1_11reduce_implILb1ES3_NS6_12zip_iteratorINS7_INS6_11hip_rocprim26transform_input_iterator_tIbNSD_35transform_pair_of_input_iterators_tIbNS6_6detail15normal_iteratorINS6_10device_ptrIKsEEEESL_NS6_8equal_toIsEEEENSG_9not_fun_tINSD_8identityEEEEENSD_19counting_iterator_tIlEES8_S8_S8_S8_S8_S8_S8_S8_EEEEPS9_S9_NSD_9__find_if7functorIS9_EEEE10hipError_tPvRmT1_T2_T3_mT4_P12ihipStream_tbEUlT_E0_NS1_11comp_targetILNS1_3genE9ELNS1_11target_archE1100ELNS1_3gpuE3ELNS1_3repE0EEENS1_30default_config_static_selectorELNS0_4arch9wavefront6targetE1EEEvS14_,comdat
.Lfunc_end179:
	.size	_ZN7rocprim17ROCPRIM_400000_NS6detail17trampoline_kernelINS0_14default_configENS1_22reduce_config_selectorIN6thrust23THRUST_200600_302600_NS5tupleIblNS6_9null_typeES8_S8_S8_S8_S8_S8_S8_EEEEZNS1_11reduce_implILb1ES3_NS6_12zip_iteratorINS7_INS6_11hip_rocprim26transform_input_iterator_tIbNSD_35transform_pair_of_input_iterators_tIbNS6_6detail15normal_iteratorINS6_10device_ptrIKsEEEESL_NS6_8equal_toIsEEEENSG_9not_fun_tINSD_8identityEEEEENSD_19counting_iterator_tIlEES8_S8_S8_S8_S8_S8_S8_S8_EEEEPS9_S9_NSD_9__find_if7functorIS9_EEEE10hipError_tPvRmT1_T2_T3_mT4_P12ihipStream_tbEUlT_E0_NS1_11comp_targetILNS1_3genE9ELNS1_11target_archE1100ELNS1_3gpuE3ELNS1_3repE0EEENS1_30default_config_static_selectorELNS0_4arch9wavefront6targetE1EEEvS14_, .Lfunc_end179-_ZN7rocprim17ROCPRIM_400000_NS6detail17trampoline_kernelINS0_14default_configENS1_22reduce_config_selectorIN6thrust23THRUST_200600_302600_NS5tupleIblNS6_9null_typeES8_S8_S8_S8_S8_S8_S8_EEEEZNS1_11reduce_implILb1ES3_NS6_12zip_iteratorINS7_INS6_11hip_rocprim26transform_input_iterator_tIbNSD_35transform_pair_of_input_iterators_tIbNS6_6detail15normal_iteratorINS6_10device_ptrIKsEEEESL_NS6_8equal_toIsEEEENSG_9not_fun_tINSD_8identityEEEEENSD_19counting_iterator_tIlEES8_S8_S8_S8_S8_S8_S8_S8_EEEEPS9_S9_NSD_9__find_if7functorIS9_EEEE10hipError_tPvRmT1_T2_T3_mT4_P12ihipStream_tbEUlT_E0_NS1_11comp_targetILNS1_3genE9ELNS1_11target_archE1100ELNS1_3gpuE3ELNS1_3repE0EEENS1_30default_config_static_selectorELNS0_4arch9wavefront6targetE1EEEvS14_
                                        ; -- End function
	.section	.AMDGPU.csdata,"",@progbits
; Kernel info:
; codeLenInByte = 0
; NumSgprs: 4
; NumVgprs: 0
; NumAgprs: 0
; TotalNumVgprs: 0
; ScratchSize: 0
; MemoryBound: 0
; FloatMode: 240
; IeeeMode: 1
; LDSByteSize: 0 bytes/workgroup (compile time only)
; SGPRBlocks: 0
; VGPRBlocks: 0
; NumSGPRsForWavesPerEU: 4
; NumVGPRsForWavesPerEU: 1
; AccumOffset: 4
; Occupancy: 8
; WaveLimiterHint : 0
; COMPUTE_PGM_RSRC2:SCRATCH_EN: 0
; COMPUTE_PGM_RSRC2:USER_SGPR: 6
; COMPUTE_PGM_RSRC2:TRAP_HANDLER: 0
; COMPUTE_PGM_RSRC2:TGID_X_EN: 1
; COMPUTE_PGM_RSRC2:TGID_Y_EN: 0
; COMPUTE_PGM_RSRC2:TGID_Z_EN: 0
; COMPUTE_PGM_RSRC2:TIDIG_COMP_CNT: 0
; COMPUTE_PGM_RSRC3_GFX90A:ACCUM_OFFSET: 0
; COMPUTE_PGM_RSRC3_GFX90A:TG_SPLIT: 0
	.section	.text._ZN7rocprim17ROCPRIM_400000_NS6detail17trampoline_kernelINS0_14default_configENS1_22reduce_config_selectorIN6thrust23THRUST_200600_302600_NS5tupleIblNS6_9null_typeES8_S8_S8_S8_S8_S8_S8_EEEEZNS1_11reduce_implILb1ES3_NS6_12zip_iteratorINS7_INS6_11hip_rocprim26transform_input_iterator_tIbNSD_35transform_pair_of_input_iterators_tIbNS6_6detail15normal_iteratorINS6_10device_ptrIKsEEEESL_NS6_8equal_toIsEEEENSG_9not_fun_tINSD_8identityEEEEENSD_19counting_iterator_tIlEES8_S8_S8_S8_S8_S8_S8_S8_EEEEPS9_S9_NSD_9__find_if7functorIS9_EEEE10hipError_tPvRmT1_T2_T3_mT4_P12ihipStream_tbEUlT_E0_NS1_11comp_targetILNS1_3genE8ELNS1_11target_archE1030ELNS1_3gpuE2ELNS1_3repE0EEENS1_30default_config_static_selectorELNS0_4arch9wavefront6targetE1EEEvS14_,"axG",@progbits,_ZN7rocprim17ROCPRIM_400000_NS6detail17trampoline_kernelINS0_14default_configENS1_22reduce_config_selectorIN6thrust23THRUST_200600_302600_NS5tupleIblNS6_9null_typeES8_S8_S8_S8_S8_S8_S8_EEEEZNS1_11reduce_implILb1ES3_NS6_12zip_iteratorINS7_INS6_11hip_rocprim26transform_input_iterator_tIbNSD_35transform_pair_of_input_iterators_tIbNS6_6detail15normal_iteratorINS6_10device_ptrIKsEEEESL_NS6_8equal_toIsEEEENSG_9not_fun_tINSD_8identityEEEEENSD_19counting_iterator_tIlEES8_S8_S8_S8_S8_S8_S8_S8_EEEEPS9_S9_NSD_9__find_if7functorIS9_EEEE10hipError_tPvRmT1_T2_T3_mT4_P12ihipStream_tbEUlT_E0_NS1_11comp_targetILNS1_3genE8ELNS1_11target_archE1030ELNS1_3gpuE2ELNS1_3repE0EEENS1_30default_config_static_selectorELNS0_4arch9wavefront6targetE1EEEvS14_,comdat
	.protected	_ZN7rocprim17ROCPRIM_400000_NS6detail17trampoline_kernelINS0_14default_configENS1_22reduce_config_selectorIN6thrust23THRUST_200600_302600_NS5tupleIblNS6_9null_typeES8_S8_S8_S8_S8_S8_S8_EEEEZNS1_11reduce_implILb1ES3_NS6_12zip_iteratorINS7_INS6_11hip_rocprim26transform_input_iterator_tIbNSD_35transform_pair_of_input_iterators_tIbNS6_6detail15normal_iteratorINS6_10device_ptrIKsEEEESL_NS6_8equal_toIsEEEENSG_9not_fun_tINSD_8identityEEEEENSD_19counting_iterator_tIlEES8_S8_S8_S8_S8_S8_S8_S8_EEEEPS9_S9_NSD_9__find_if7functorIS9_EEEE10hipError_tPvRmT1_T2_T3_mT4_P12ihipStream_tbEUlT_E0_NS1_11comp_targetILNS1_3genE8ELNS1_11target_archE1030ELNS1_3gpuE2ELNS1_3repE0EEENS1_30default_config_static_selectorELNS0_4arch9wavefront6targetE1EEEvS14_ ; -- Begin function _ZN7rocprim17ROCPRIM_400000_NS6detail17trampoline_kernelINS0_14default_configENS1_22reduce_config_selectorIN6thrust23THRUST_200600_302600_NS5tupleIblNS6_9null_typeES8_S8_S8_S8_S8_S8_S8_EEEEZNS1_11reduce_implILb1ES3_NS6_12zip_iteratorINS7_INS6_11hip_rocprim26transform_input_iterator_tIbNSD_35transform_pair_of_input_iterators_tIbNS6_6detail15normal_iteratorINS6_10device_ptrIKsEEEESL_NS6_8equal_toIsEEEENSG_9not_fun_tINSD_8identityEEEEENSD_19counting_iterator_tIlEES8_S8_S8_S8_S8_S8_S8_S8_EEEEPS9_S9_NSD_9__find_if7functorIS9_EEEE10hipError_tPvRmT1_T2_T3_mT4_P12ihipStream_tbEUlT_E0_NS1_11comp_targetILNS1_3genE8ELNS1_11target_archE1030ELNS1_3gpuE2ELNS1_3repE0EEENS1_30default_config_static_selectorELNS0_4arch9wavefront6targetE1EEEvS14_
	.globl	_ZN7rocprim17ROCPRIM_400000_NS6detail17trampoline_kernelINS0_14default_configENS1_22reduce_config_selectorIN6thrust23THRUST_200600_302600_NS5tupleIblNS6_9null_typeES8_S8_S8_S8_S8_S8_S8_EEEEZNS1_11reduce_implILb1ES3_NS6_12zip_iteratorINS7_INS6_11hip_rocprim26transform_input_iterator_tIbNSD_35transform_pair_of_input_iterators_tIbNS6_6detail15normal_iteratorINS6_10device_ptrIKsEEEESL_NS6_8equal_toIsEEEENSG_9not_fun_tINSD_8identityEEEEENSD_19counting_iterator_tIlEES8_S8_S8_S8_S8_S8_S8_S8_EEEEPS9_S9_NSD_9__find_if7functorIS9_EEEE10hipError_tPvRmT1_T2_T3_mT4_P12ihipStream_tbEUlT_E0_NS1_11comp_targetILNS1_3genE8ELNS1_11target_archE1030ELNS1_3gpuE2ELNS1_3repE0EEENS1_30default_config_static_selectorELNS0_4arch9wavefront6targetE1EEEvS14_
	.p2align	8
	.type	_ZN7rocprim17ROCPRIM_400000_NS6detail17trampoline_kernelINS0_14default_configENS1_22reduce_config_selectorIN6thrust23THRUST_200600_302600_NS5tupleIblNS6_9null_typeES8_S8_S8_S8_S8_S8_S8_EEEEZNS1_11reduce_implILb1ES3_NS6_12zip_iteratorINS7_INS6_11hip_rocprim26transform_input_iterator_tIbNSD_35transform_pair_of_input_iterators_tIbNS6_6detail15normal_iteratorINS6_10device_ptrIKsEEEESL_NS6_8equal_toIsEEEENSG_9not_fun_tINSD_8identityEEEEENSD_19counting_iterator_tIlEES8_S8_S8_S8_S8_S8_S8_S8_EEEEPS9_S9_NSD_9__find_if7functorIS9_EEEE10hipError_tPvRmT1_T2_T3_mT4_P12ihipStream_tbEUlT_E0_NS1_11comp_targetILNS1_3genE8ELNS1_11target_archE1030ELNS1_3gpuE2ELNS1_3repE0EEENS1_30default_config_static_selectorELNS0_4arch9wavefront6targetE1EEEvS14_,@function
_ZN7rocprim17ROCPRIM_400000_NS6detail17trampoline_kernelINS0_14default_configENS1_22reduce_config_selectorIN6thrust23THRUST_200600_302600_NS5tupleIblNS6_9null_typeES8_S8_S8_S8_S8_S8_S8_EEEEZNS1_11reduce_implILb1ES3_NS6_12zip_iteratorINS7_INS6_11hip_rocprim26transform_input_iterator_tIbNSD_35transform_pair_of_input_iterators_tIbNS6_6detail15normal_iteratorINS6_10device_ptrIKsEEEESL_NS6_8equal_toIsEEEENSG_9not_fun_tINSD_8identityEEEEENSD_19counting_iterator_tIlEES8_S8_S8_S8_S8_S8_S8_S8_EEEEPS9_S9_NSD_9__find_if7functorIS9_EEEE10hipError_tPvRmT1_T2_T3_mT4_P12ihipStream_tbEUlT_E0_NS1_11comp_targetILNS1_3genE8ELNS1_11target_archE1030ELNS1_3gpuE2ELNS1_3repE0EEENS1_30default_config_static_selectorELNS0_4arch9wavefront6targetE1EEEvS14_: ; @_ZN7rocprim17ROCPRIM_400000_NS6detail17trampoline_kernelINS0_14default_configENS1_22reduce_config_selectorIN6thrust23THRUST_200600_302600_NS5tupleIblNS6_9null_typeES8_S8_S8_S8_S8_S8_S8_EEEEZNS1_11reduce_implILb1ES3_NS6_12zip_iteratorINS7_INS6_11hip_rocprim26transform_input_iterator_tIbNSD_35transform_pair_of_input_iterators_tIbNS6_6detail15normal_iteratorINS6_10device_ptrIKsEEEESL_NS6_8equal_toIsEEEENSG_9not_fun_tINSD_8identityEEEEENSD_19counting_iterator_tIlEES8_S8_S8_S8_S8_S8_S8_S8_EEEEPS9_S9_NSD_9__find_if7functorIS9_EEEE10hipError_tPvRmT1_T2_T3_mT4_P12ihipStream_tbEUlT_E0_NS1_11comp_targetILNS1_3genE8ELNS1_11target_archE1030ELNS1_3gpuE2ELNS1_3repE0EEENS1_30default_config_static_selectorELNS0_4arch9wavefront6targetE1EEEvS14_
; %bb.0:
	.section	.rodata,"a",@progbits
	.p2align	6, 0x0
	.amdhsa_kernel _ZN7rocprim17ROCPRIM_400000_NS6detail17trampoline_kernelINS0_14default_configENS1_22reduce_config_selectorIN6thrust23THRUST_200600_302600_NS5tupleIblNS6_9null_typeES8_S8_S8_S8_S8_S8_S8_EEEEZNS1_11reduce_implILb1ES3_NS6_12zip_iteratorINS7_INS6_11hip_rocprim26transform_input_iterator_tIbNSD_35transform_pair_of_input_iterators_tIbNS6_6detail15normal_iteratorINS6_10device_ptrIKsEEEESL_NS6_8equal_toIsEEEENSG_9not_fun_tINSD_8identityEEEEENSD_19counting_iterator_tIlEES8_S8_S8_S8_S8_S8_S8_S8_EEEEPS9_S9_NSD_9__find_if7functorIS9_EEEE10hipError_tPvRmT1_T2_T3_mT4_P12ihipStream_tbEUlT_E0_NS1_11comp_targetILNS1_3genE8ELNS1_11target_archE1030ELNS1_3gpuE2ELNS1_3repE0EEENS1_30default_config_static_selectorELNS0_4arch9wavefront6targetE1EEEvS14_
		.amdhsa_group_segment_fixed_size 0
		.amdhsa_private_segment_fixed_size 0
		.amdhsa_kernarg_size 104
		.amdhsa_user_sgpr_count 6
		.amdhsa_user_sgpr_private_segment_buffer 1
		.amdhsa_user_sgpr_dispatch_ptr 0
		.amdhsa_user_sgpr_queue_ptr 0
		.amdhsa_user_sgpr_kernarg_segment_ptr 1
		.amdhsa_user_sgpr_dispatch_id 0
		.amdhsa_user_sgpr_flat_scratch_init 0
		.amdhsa_user_sgpr_kernarg_preload_length 0
		.amdhsa_user_sgpr_kernarg_preload_offset 0
		.amdhsa_user_sgpr_private_segment_size 0
		.amdhsa_uses_dynamic_stack 0
		.amdhsa_system_sgpr_private_segment_wavefront_offset 0
		.amdhsa_system_sgpr_workgroup_id_x 1
		.amdhsa_system_sgpr_workgroup_id_y 0
		.amdhsa_system_sgpr_workgroup_id_z 0
		.amdhsa_system_sgpr_workgroup_info 0
		.amdhsa_system_vgpr_workitem_id 0
		.amdhsa_next_free_vgpr 1
		.amdhsa_next_free_sgpr 0
		.amdhsa_accum_offset 4
		.amdhsa_reserve_vcc 0
		.amdhsa_reserve_flat_scratch 0
		.amdhsa_float_round_mode_32 0
		.amdhsa_float_round_mode_16_64 0
		.amdhsa_float_denorm_mode_32 3
		.amdhsa_float_denorm_mode_16_64 3
		.amdhsa_dx10_clamp 1
		.amdhsa_ieee_mode 1
		.amdhsa_fp16_overflow 0
		.amdhsa_tg_split 0
		.amdhsa_exception_fp_ieee_invalid_op 0
		.amdhsa_exception_fp_denorm_src 0
		.amdhsa_exception_fp_ieee_div_zero 0
		.amdhsa_exception_fp_ieee_overflow 0
		.amdhsa_exception_fp_ieee_underflow 0
		.amdhsa_exception_fp_ieee_inexact 0
		.amdhsa_exception_int_div_zero 0
	.end_amdhsa_kernel
	.section	.text._ZN7rocprim17ROCPRIM_400000_NS6detail17trampoline_kernelINS0_14default_configENS1_22reduce_config_selectorIN6thrust23THRUST_200600_302600_NS5tupleIblNS6_9null_typeES8_S8_S8_S8_S8_S8_S8_EEEEZNS1_11reduce_implILb1ES3_NS6_12zip_iteratorINS7_INS6_11hip_rocprim26transform_input_iterator_tIbNSD_35transform_pair_of_input_iterators_tIbNS6_6detail15normal_iteratorINS6_10device_ptrIKsEEEESL_NS6_8equal_toIsEEEENSG_9not_fun_tINSD_8identityEEEEENSD_19counting_iterator_tIlEES8_S8_S8_S8_S8_S8_S8_S8_EEEEPS9_S9_NSD_9__find_if7functorIS9_EEEE10hipError_tPvRmT1_T2_T3_mT4_P12ihipStream_tbEUlT_E0_NS1_11comp_targetILNS1_3genE8ELNS1_11target_archE1030ELNS1_3gpuE2ELNS1_3repE0EEENS1_30default_config_static_selectorELNS0_4arch9wavefront6targetE1EEEvS14_,"axG",@progbits,_ZN7rocprim17ROCPRIM_400000_NS6detail17trampoline_kernelINS0_14default_configENS1_22reduce_config_selectorIN6thrust23THRUST_200600_302600_NS5tupleIblNS6_9null_typeES8_S8_S8_S8_S8_S8_S8_EEEEZNS1_11reduce_implILb1ES3_NS6_12zip_iteratorINS7_INS6_11hip_rocprim26transform_input_iterator_tIbNSD_35transform_pair_of_input_iterators_tIbNS6_6detail15normal_iteratorINS6_10device_ptrIKsEEEESL_NS6_8equal_toIsEEEENSG_9not_fun_tINSD_8identityEEEEENSD_19counting_iterator_tIlEES8_S8_S8_S8_S8_S8_S8_S8_EEEEPS9_S9_NSD_9__find_if7functorIS9_EEEE10hipError_tPvRmT1_T2_T3_mT4_P12ihipStream_tbEUlT_E0_NS1_11comp_targetILNS1_3genE8ELNS1_11target_archE1030ELNS1_3gpuE2ELNS1_3repE0EEENS1_30default_config_static_selectorELNS0_4arch9wavefront6targetE1EEEvS14_,comdat
.Lfunc_end180:
	.size	_ZN7rocprim17ROCPRIM_400000_NS6detail17trampoline_kernelINS0_14default_configENS1_22reduce_config_selectorIN6thrust23THRUST_200600_302600_NS5tupleIblNS6_9null_typeES8_S8_S8_S8_S8_S8_S8_EEEEZNS1_11reduce_implILb1ES3_NS6_12zip_iteratorINS7_INS6_11hip_rocprim26transform_input_iterator_tIbNSD_35transform_pair_of_input_iterators_tIbNS6_6detail15normal_iteratorINS6_10device_ptrIKsEEEESL_NS6_8equal_toIsEEEENSG_9not_fun_tINSD_8identityEEEEENSD_19counting_iterator_tIlEES8_S8_S8_S8_S8_S8_S8_S8_EEEEPS9_S9_NSD_9__find_if7functorIS9_EEEE10hipError_tPvRmT1_T2_T3_mT4_P12ihipStream_tbEUlT_E0_NS1_11comp_targetILNS1_3genE8ELNS1_11target_archE1030ELNS1_3gpuE2ELNS1_3repE0EEENS1_30default_config_static_selectorELNS0_4arch9wavefront6targetE1EEEvS14_, .Lfunc_end180-_ZN7rocprim17ROCPRIM_400000_NS6detail17trampoline_kernelINS0_14default_configENS1_22reduce_config_selectorIN6thrust23THRUST_200600_302600_NS5tupleIblNS6_9null_typeES8_S8_S8_S8_S8_S8_S8_EEEEZNS1_11reduce_implILb1ES3_NS6_12zip_iteratorINS7_INS6_11hip_rocprim26transform_input_iterator_tIbNSD_35transform_pair_of_input_iterators_tIbNS6_6detail15normal_iteratorINS6_10device_ptrIKsEEEESL_NS6_8equal_toIsEEEENSG_9not_fun_tINSD_8identityEEEEENSD_19counting_iterator_tIlEES8_S8_S8_S8_S8_S8_S8_S8_EEEEPS9_S9_NSD_9__find_if7functorIS9_EEEE10hipError_tPvRmT1_T2_T3_mT4_P12ihipStream_tbEUlT_E0_NS1_11comp_targetILNS1_3genE8ELNS1_11target_archE1030ELNS1_3gpuE2ELNS1_3repE0EEENS1_30default_config_static_selectorELNS0_4arch9wavefront6targetE1EEEvS14_
                                        ; -- End function
	.section	.AMDGPU.csdata,"",@progbits
; Kernel info:
; codeLenInByte = 0
; NumSgprs: 4
; NumVgprs: 0
; NumAgprs: 0
; TotalNumVgprs: 0
; ScratchSize: 0
; MemoryBound: 0
; FloatMode: 240
; IeeeMode: 1
; LDSByteSize: 0 bytes/workgroup (compile time only)
; SGPRBlocks: 0
; VGPRBlocks: 0
; NumSGPRsForWavesPerEU: 4
; NumVGPRsForWavesPerEU: 1
; AccumOffset: 4
; Occupancy: 8
; WaveLimiterHint : 0
; COMPUTE_PGM_RSRC2:SCRATCH_EN: 0
; COMPUTE_PGM_RSRC2:USER_SGPR: 6
; COMPUTE_PGM_RSRC2:TRAP_HANDLER: 0
; COMPUTE_PGM_RSRC2:TGID_X_EN: 1
; COMPUTE_PGM_RSRC2:TGID_Y_EN: 0
; COMPUTE_PGM_RSRC2:TGID_Z_EN: 0
; COMPUTE_PGM_RSRC2:TIDIG_COMP_CNT: 0
; COMPUTE_PGM_RSRC3_GFX90A:ACCUM_OFFSET: 0
; COMPUTE_PGM_RSRC3_GFX90A:TG_SPLIT: 0
	.section	.text._ZN7rocprim17ROCPRIM_400000_NS6detail17trampoline_kernelINS0_14default_configENS1_22reduce_config_selectorIN6thrust23THRUST_200600_302600_NS5tupleIblNS6_9null_typeES8_S8_S8_S8_S8_S8_S8_EEEEZNS1_11reduce_implILb1ES3_NS6_12zip_iteratorINS7_INS6_11hip_rocprim26transform_input_iterator_tIbNSD_35transform_pair_of_input_iterators_tIbNS6_6detail15normal_iteratorINS6_10device_ptrIKsEEEESL_NS6_8equal_toIsEEEENSG_9not_fun_tINSD_8identityEEEEENSD_19counting_iterator_tIlEES8_S8_S8_S8_S8_S8_S8_S8_EEEEPS9_S9_NSD_9__find_if7functorIS9_EEEE10hipError_tPvRmT1_T2_T3_mT4_P12ihipStream_tbEUlT_E1_NS1_11comp_targetILNS1_3genE0ELNS1_11target_archE4294967295ELNS1_3gpuE0ELNS1_3repE0EEENS1_30default_config_static_selectorELNS0_4arch9wavefront6targetE1EEEvS14_,"axG",@progbits,_ZN7rocprim17ROCPRIM_400000_NS6detail17trampoline_kernelINS0_14default_configENS1_22reduce_config_selectorIN6thrust23THRUST_200600_302600_NS5tupleIblNS6_9null_typeES8_S8_S8_S8_S8_S8_S8_EEEEZNS1_11reduce_implILb1ES3_NS6_12zip_iteratorINS7_INS6_11hip_rocprim26transform_input_iterator_tIbNSD_35transform_pair_of_input_iterators_tIbNS6_6detail15normal_iteratorINS6_10device_ptrIKsEEEESL_NS6_8equal_toIsEEEENSG_9not_fun_tINSD_8identityEEEEENSD_19counting_iterator_tIlEES8_S8_S8_S8_S8_S8_S8_S8_EEEEPS9_S9_NSD_9__find_if7functorIS9_EEEE10hipError_tPvRmT1_T2_T3_mT4_P12ihipStream_tbEUlT_E1_NS1_11comp_targetILNS1_3genE0ELNS1_11target_archE4294967295ELNS1_3gpuE0ELNS1_3repE0EEENS1_30default_config_static_selectorELNS0_4arch9wavefront6targetE1EEEvS14_,comdat
	.protected	_ZN7rocprim17ROCPRIM_400000_NS6detail17trampoline_kernelINS0_14default_configENS1_22reduce_config_selectorIN6thrust23THRUST_200600_302600_NS5tupleIblNS6_9null_typeES8_S8_S8_S8_S8_S8_S8_EEEEZNS1_11reduce_implILb1ES3_NS6_12zip_iteratorINS7_INS6_11hip_rocprim26transform_input_iterator_tIbNSD_35transform_pair_of_input_iterators_tIbNS6_6detail15normal_iteratorINS6_10device_ptrIKsEEEESL_NS6_8equal_toIsEEEENSG_9not_fun_tINSD_8identityEEEEENSD_19counting_iterator_tIlEES8_S8_S8_S8_S8_S8_S8_S8_EEEEPS9_S9_NSD_9__find_if7functorIS9_EEEE10hipError_tPvRmT1_T2_T3_mT4_P12ihipStream_tbEUlT_E1_NS1_11comp_targetILNS1_3genE0ELNS1_11target_archE4294967295ELNS1_3gpuE0ELNS1_3repE0EEENS1_30default_config_static_selectorELNS0_4arch9wavefront6targetE1EEEvS14_ ; -- Begin function _ZN7rocprim17ROCPRIM_400000_NS6detail17trampoline_kernelINS0_14default_configENS1_22reduce_config_selectorIN6thrust23THRUST_200600_302600_NS5tupleIblNS6_9null_typeES8_S8_S8_S8_S8_S8_S8_EEEEZNS1_11reduce_implILb1ES3_NS6_12zip_iteratorINS7_INS6_11hip_rocprim26transform_input_iterator_tIbNSD_35transform_pair_of_input_iterators_tIbNS6_6detail15normal_iteratorINS6_10device_ptrIKsEEEESL_NS6_8equal_toIsEEEENSG_9not_fun_tINSD_8identityEEEEENSD_19counting_iterator_tIlEES8_S8_S8_S8_S8_S8_S8_S8_EEEEPS9_S9_NSD_9__find_if7functorIS9_EEEE10hipError_tPvRmT1_T2_T3_mT4_P12ihipStream_tbEUlT_E1_NS1_11comp_targetILNS1_3genE0ELNS1_11target_archE4294967295ELNS1_3gpuE0ELNS1_3repE0EEENS1_30default_config_static_selectorELNS0_4arch9wavefront6targetE1EEEvS14_
	.globl	_ZN7rocprim17ROCPRIM_400000_NS6detail17trampoline_kernelINS0_14default_configENS1_22reduce_config_selectorIN6thrust23THRUST_200600_302600_NS5tupleIblNS6_9null_typeES8_S8_S8_S8_S8_S8_S8_EEEEZNS1_11reduce_implILb1ES3_NS6_12zip_iteratorINS7_INS6_11hip_rocprim26transform_input_iterator_tIbNSD_35transform_pair_of_input_iterators_tIbNS6_6detail15normal_iteratorINS6_10device_ptrIKsEEEESL_NS6_8equal_toIsEEEENSG_9not_fun_tINSD_8identityEEEEENSD_19counting_iterator_tIlEES8_S8_S8_S8_S8_S8_S8_S8_EEEEPS9_S9_NSD_9__find_if7functorIS9_EEEE10hipError_tPvRmT1_T2_T3_mT4_P12ihipStream_tbEUlT_E1_NS1_11comp_targetILNS1_3genE0ELNS1_11target_archE4294967295ELNS1_3gpuE0ELNS1_3repE0EEENS1_30default_config_static_selectorELNS0_4arch9wavefront6targetE1EEEvS14_
	.p2align	8
	.type	_ZN7rocprim17ROCPRIM_400000_NS6detail17trampoline_kernelINS0_14default_configENS1_22reduce_config_selectorIN6thrust23THRUST_200600_302600_NS5tupleIblNS6_9null_typeES8_S8_S8_S8_S8_S8_S8_EEEEZNS1_11reduce_implILb1ES3_NS6_12zip_iteratorINS7_INS6_11hip_rocprim26transform_input_iterator_tIbNSD_35transform_pair_of_input_iterators_tIbNS6_6detail15normal_iteratorINS6_10device_ptrIKsEEEESL_NS6_8equal_toIsEEEENSG_9not_fun_tINSD_8identityEEEEENSD_19counting_iterator_tIlEES8_S8_S8_S8_S8_S8_S8_S8_EEEEPS9_S9_NSD_9__find_if7functorIS9_EEEE10hipError_tPvRmT1_T2_T3_mT4_P12ihipStream_tbEUlT_E1_NS1_11comp_targetILNS1_3genE0ELNS1_11target_archE4294967295ELNS1_3gpuE0ELNS1_3repE0EEENS1_30default_config_static_selectorELNS0_4arch9wavefront6targetE1EEEvS14_,@function
_ZN7rocprim17ROCPRIM_400000_NS6detail17trampoline_kernelINS0_14default_configENS1_22reduce_config_selectorIN6thrust23THRUST_200600_302600_NS5tupleIblNS6_9null_typeES8_S8_S8_S8_S8_S8_S8_EEEEZNS1_11reduce_implILb1ES3_NS6_12zip_iteratorINS7_INS6_11hip_rocprim26transform_input_iterator_tIbNSD_35transform_pair_of_input_iterators_tIbNS6_6detail15normal_iteratorINS6_10device_ptrIKsEEEESL_NS6_8equal_toIsEEEENSG_9not_fun_tINSD_8identityEEEEENSD_19counting_iterator_tIlEES8_S8_S8_S8_S8_S8_S8_S8_EEEEPS9_S9_NSD_9__find_if7functorIS9_EEEE10hipError_tPvRmT1_T2_T3_mT4_P12ihipStream_tbEUlT_E1_NS1_11comp_targetILNS1_3genE0ELNS1_11target_archE4294967295ELNS1_3gpuE0ELNS1_3repE0EEENS1_30default_config_static_selectorELNS0_4arch9wavefront6targetE1EEEvS14_: ; @_ZN7rocprim17ROCPRIM_400000_NS6detail17trampoline_kernelINS0_14default_configENS1_22reduce_config_selectorIN6thrust23THRUST_200600_302600_NS5tupleIblNS6_9null_typeES8_S8_S8_S8_S8_S8_S8_EEEEZNS1_11reduce_implILb1ES3_NS6_12zip_iteratorINS7_INS6_11hip_rocprim26transform_input_iterator_tIbNSD_35transform_pair_of_input_iterators_tIbNS6_6detail15normal_iteratorINS6_10device_ptrIKsEEEESL_NS6_8equal_toIsEEEENSG_9not_fun_tINSD_8identityEEEEENSD_19counting_iterator_tIlEES8_S8_S8_S8_S8_S8_S8_S8_EEEEPS9_S9_NSD_9__find_if7functorIS9_EEEE10hipError_tPvRmT1_T2_T3_mT4_P12ihipStream_tbEUlT_E1_NS1_11comp_targetILNS1_3genE0ELNS1_11target_archE4294967295ELNS1_3gpuE0ELNS1_3repE0EEENS1_30default_config_static_selectorELNS0_4arch9wavefront6targetE1EEEvS14_
; %bb.0:
	.section	.rodata,"a",@progbits
	.p2align	6, 0x0
	.amdhsa_kernel _ZN7rocprim17ROCPRIM_400000_NS6detail17trampoline_kernelINS0_14default_configENS1_22reduce_config_selectorIN6thrust23THRUST_200600_302600_NS5tupleIblNS6_9null_typeES8_S8_S8_S8_S8_S8_S8_EEEEZNS1_11reduce_implILb1ES3_NS6_12zip_iteratorINS7_INS6_11hip_rocprim26transform_input_iterator_tIbNSD_35transform_pair_of_input_iterators_tIbNS6_6detail15normal_iteratorINS6_10device_ptrIKsEEEESL_NS6_8equal_toIsEEEENSG_9not_fun_tINSD_8identityEEEEENSD_19counting_iterator_tIlEES8_S8_S8_S8_S8_S8_S8_S8_EEEEPS9_S9_NSD_9__find_if7functorIS9_EEEE10hipError_tPvRmT1_T2_T3_mT4_P12ihipStream_tbEUlT_E1_NS1_11comp_targetILNS1_3genE0ELNS1_11target_archE4294967295ELNS1_3gpuE0ELNS1_3repE0EEENS1_30default_config_static_selectorELNS0_4arch9wavefront6targetE1EEEvS14_
		.amdhsa_group_segment_fixed_size 0
		.amdhsa_private_segment_fixed_size 0
		.amdhsa_kernarg_size 88
		.amdhsa_user_sgpr_count 6
		.amdhsa_user_sgpr_private_segment_buffer 1
		.amdhsa_user_sgpr_dispatch_ptr 0
		.amdhsa_user_sgpr_queue_ptr 0
		.amdhsa_user_sgpr_kernarg_segment_ptr 1
		.amdhsa_user_sgpr_dispatch_id 0
		.amdhsa_user_sgpr_flat_scratch_init 0
		.amdhsa_user_sgpr_kernarg_preload_length 0
		.amdhsa_user_sgpr_kernarg_preload_offset 0
		.amdhsa_user_sgpr_private_segment_size 0
		.amdhsa_uses_dynamic_stack 0
		.amdhsa_system_sgpr_private_segment_wavefront_offset 0
		.amdhsa_system_sgpr_workgroup_id_x 1
		.amdhsa_system_sgpr_workgroup_id_y 0
		.amdhsa_system_sgpr_workgroup_id_z 0
		.amdhsa_system_sgpr_workgroup_info 0
		.amdhsa_system_vgpr_workitem_id 0
		.amdhsa_next_free_vgpr 1
		.amdhsa_next_free_sgpr 0
		.amdhsa_accum_offset 4
		.amdhsa_reserve_vcc 0
		.amdhsa_reserve_flat_scratch 0
		.amdhsa_float_round_mode_32 0
		.amdhsa_float_round_mode_16_64 0
		.amdhsa_float_denorm_mode_32 3
		.amdhsa_float_denorm_mode_16_64 3
		.amdhsa_dx10_clamp 1
		.amdhsa_ieee_mode 1
		.amdhsa_fp16_overflow 0
		.amdhsa_tg_split 0
		.amdhsa_exception_fp_ieee_invalid_op 0
		.amdhsa_exception_fp_denorm_src 0
		.amdhsa_exception_fp_ieee_div_zero 0
		.amdhsa_exception_fp_ieee_overflow 0
		.amdhsa_exception_fp_ieee_underflow 0
		.amdhsa_exception_fp_ieee_inexact 0
		.amdhsa_exception_int_div_zero 0
	.end_amdhsa_kernel
	.section	.text._ZN7rocprim17ROCPRIM_400000_NS6detail17trampoline_kernelINS0_14default_configENS1_22reduce_config_selectorIN6thrust23THRUST_200600_302600_NS5tupleIblNS6_9null_typeES8_S8_S8_S8_S8_S8_S8_EEEEZNS1_11reduce_implILb1ES3_NS6_12zip_iteratorINS7_INS6_11hip_rocprim26transform_input_iterator_tIbNSD_35transform_pair_of_input_iterators_tIbNS6_6detail15normal_iteratorINS6_10device_ptrIKsEEEESL_NS6_8equal_toIsEEEENSG_9not_fun_tINSD_8identityEEEEENSD_19counting_iterator_tIlEES8_S8_S8_S8_S8_S8_S8_S8_EEEEPS9_S9_NSD_9__find_if7functorIS9_EEEE10hipError_tPvRmT1_T2_T3_mT4_P12ihipStream_tbEUlT_E1_NS1_11comp_targetILNS1_3genE0ELNS1_11target_archE4294967295ELNS1_3gpuE0ELNS1_3repE0EEENS1_30default_config_static_selectorELNS0_4arch9wavefront6targetE1EEEvS14_,"axG",@progbits,_ZN7rocprim17ROCPRIM_400000_NS6detail17trampoline_kernelINS0_14default_configENS1_22reduce_config_selectorIN6thrust23THRUST_200600_302600_NS5tupleIblNS6_9null_typeES8_S8_S8_S8_S8_S8_S8_EEEEZNS1_11reduce_implILb1ES3_NS6_12zip_iteratorINS7_INS6_11hip_rocprim26transform_input_iterator_tIbNSD_35transform_pair_of_input_iterators_tIbNS6_6detail15normal_iteratorINS6_10device_ptrIKsEEEESL_NS6_8equal_toIsEEEENSG_9not_fun_tINSD_8identityEEEEENSD_19counting_iterator_tIlEES8_S8_S8_S8_S8_S8_S8_S8_EEEEPS9_S9_NSD_9__find_if7functorIS9_EEEE10hipError_tPvRmT1_T2_T3_mT4_P12ihipStream_tbEUlT_E1_NS1_11comp_targetILNS1_3genE0ELNS1_11target_archE4294967295ELNS1_3gpuE0ELNS1_3repE0EEENS1_30default_config_static_selectorELNS0_4arch9wavefront6targetE1EEEvS14_,comdat
.Lfunc_end181:
	.size	_ZN7rocprim17ROCPRIM_400000_NS6detail17trampoline_kernelINS0_14default_configENS1_22reduce_config_selectorIN6thrust23THRUST_200600_302600_NS5tupleIblNS6_9null_typeES8_S8_S8_S8_S8_S8_S8_EEEEZNS1_11reduce_implILb1ES3_NS6_12zip_iteratorINS7_INS6_11hip_rocprim26transform_input_iterator_tIbNSD_35transform_pair_of_input_iterators_tIbNS6_6detail15normal_iteratorINS6_10device_ptrIKsEEEESL_NS6_8equal_toIsEEEENSG_9not_fun_tINSD_8identityEEEEENSD_19counting_iterator_tIlEES8_S8_S8_S8_S8_S8_S8_S8_EEEEPS9_S9_NSD_9__find_if7functorIS9_EEEE10hipError_tPvRmT1_T2_T3_mT4_P12ihipStream_tbEUlT_E1_NS1_11comp_targetILNS1_3genE0ELNS1_11target_archE4294967295ELNS1_3gpuE0ELNS1_3repE0EEENS1_30default_config_static_selectorELNS0_4arch9wavefront6targetE1EEEvS14_, .Lfunc_end181-_ZN7rocprim17ROCPRIM_400000_NS6detail17trampoline_kernelINS0_14default_configENS1_22reduce_config_selectorIN6thrust23THRUST_200600_302600_NS5tupleIblNS6_9null_typeES8_S8_S8_S8_S8_S8_S8_EEEEZNS1_11reduce_implILb1ES3_NS6_12zip_iteratorINS7_INS6_11hip_rocprim26transform_input_iterator_tIbNSD_35transform_pair_of_input_iterators_tIbNS6_6detail15normal_iteratorINS6_10device_ptrIKsEEEESL_NS6_8equal_toIsEEEENSG_9not_fun_tINSD_8identityEEEEENSD_19counting_iterator_tIlEES8_S8_S8_S8_S8_S8_S8_S8_EEEEPS9_S9_NSD_9__find_if7functorIS9_EEEE10hipError_tPvRmT1_T2_T3_mT4_P12ihipStream_tbEUlT_E1_NS1_11comp_targetILNS1_3genE0ELNS1_11target_archE4294967295ELNS1_3gpuE0ELNS1_3repE0EEENS1_30default_config_static_selectorELNS0_4arch9wavefront6targetE1EEEvS14_
                                        ; -- End function
	.section	.AMDGPU.csdata,"",@progbits
; Kernel info:
; codeLenInByte = 0
; NumSgprs: 4
; NumVgprs: 0
; NumAgprs: 0
; TotalNumVgprs: 0
; ScratchSize: 0
; MemoryBound: 0
; FloatMode: 240
; IeeeMode: 1
; LDSByteSize: 0 bytes/workgroup (compile time only)
; SGPRBlocks: 0
; VGPRBlocks: 0
; NumSGPRsForWavesPerEU: 4
; NumVGPRsForWavesPerEU: 1
; AccumOffset: 4
; Occupancy: 8
; WaveLimiterHint : 0
; COMPUTE_PGM_RSRC2:SCRATCH_EN: 0
; COMPUTE_PGM_RSRC2:USER_SGPR: 6
; COMPUTE_PGM_RSRC2:TRAP_HANDLER: 0
; COMPUTE_PGM_RSRC2:TGID_X_EN: 1
; COMPUTE_PGM_RSRC2:TGID_Y_EN: 0
; COMPUTE_PGM_RSRC2:TGID_Z_EN: 0
; COMPUTE_PGM_RSRC2:TIDIG_COMP_CNT: 0
; COMPUTE_PGM_RSRC3_GFX90A:ACCUM_OFFSET: 0
; COMPUTE_PGM_RSRC3_GFX90A:TG_SPLIT: 0
	.section	.text._ZN7rocprim17ROCPRIM_400000_NS6detail17trampoline_kernelINS0_14default_configENS1_22reduce_config_selectorIN6thrust23THRUST_200600_302600_NS5tupleIblNS6_9null_typeES8_S8_S8_S8_S8_S8_S8_EEEEZNS1_11reduce_implILb1ES3_NS6_12zip_iteratorINS7_INS6_11hip_rocprim26transform_input_iterator_tIbNSD_35transform_pair_of_input_iterators_tIbNS6_6detail15normal_iteratorINS6_10device_ptrIKsEEEESL_NS6_8equal_toIsEEEENSG_9not_fun_tINSD_8identityEEEEENSD_19counting_iterator_tIlEES8_S8_S8_S8_S8_S8_S8_S8_EEEEPS9_S9_NSD_9__find_if7functorIS9_EEEE10hipError_tPvRmT1_T2_T3_mT4_P12ihipStream_tbEUlT_E1_NS1_11comp_targetILNS1_3genE5ELNS1_11target_archE942ELNS1_3gpuE9ELNS1_3repE0EEENS1_30default_config_static_selectorELNS0_4arch9wavefront6targetE1EEEvS14_,"axG",@progbits,_ZN7rocprim17ROCPRIM_400000_NS6detail17trampoline_kernelINS0_14default_configENS1_22reduce_config_selectorIN6thrust23THRUST_200600_302600_NS5tupleIblNS6_9null_typeES8_S8_S8_S8_S8_S8_S8_EEEEZNS1_11reduce_implILb1ES3_NS6_12zip_iteratorINS7_INS6_11hip_rocprim26transform_input_iterator_tIbNSD_35transform_pair_of_input_iterators_tIbNS6_6detail15normal_iteratorINS6_10device_ptrIKsEEEESL_NS6_8equal_toIsEEEENSG_9not_fun_tINSD_8identityEEEEENSD_19counting_iterator_tIlEES8_S8_S8_S8_S8_S8_S8_S8_EEEEPS9_S9_NSD_9__find_if7functorIS9_EEEE10hipError_tPvRmT1_T2_T3_mT4_P12ihipStream_tbEUlT_E1_NS1_11comp_targetILNS1_3genE5ELNS1_11target_archE942ELNS1_3gpuE9ELNS1_3repE0EEENS1_30default_config_static_selectorELNS0_4arch9wavefront6targetE1EEEvS14_,comdat
	.protected	_ZN7rocprim17ROCPRIM_400000_NS6detail17trampoline_kernelINS0_14default_configENS1_22reduce_config_selectorIN6thrust23THRUST_200600_302600_NS5tupleIblNS6_9null_typeES8_S8_S8_S8_S8_S8_S8_EEEEZNS1_11reduce_implILb1ES3_NS6_12zip_iteratorINS7_INS6_11hip_rocprim26transform_input_iterator_tIbNSD_35transform_pair_of_input_iterators_tIbNS6_6detail15normal_iteratorINS6_10device_ptrIKsEEEESL_NS6_8equal_toIsEEEENSG_9not_fun_tINSD_8identityEEEEENSD_19counting_iterator_tIlEES8_S8_S8_S8_S8_S8_S8_S8_EEEEPS9_S9_NSD_9__find_if7functorIS9_EEEE10hipError_tPvRmT1_T2_T3_mT4_P12ihipStream_tbEUlT_E1_NS1_11comp_targetILNS1_3genE5ELNS1_11target_archE942ELNS1_3gpuE9ELNS1_3repE0EEENS1_30default_config_static_selectorELNS0_4arch9wavefront6targetE1EEEvS14_ ; -- Begin function _ZN7rocprim17ROCPRIM_400000_NS6detail17trampoline_kernelINS0_14default_configENS1_22reduce_config_selectorIN6thrust23THRUST_200600_302600_NS5tupleIblNS6_9null_typeES8_S8_S8_S8_S8_S8_S8_EEEEZNS1_11reduce_implILb1ES3_NS6_12zip_iteratorINS7_INS6_11hip_rocprim26transform_input_iterator_tIbNSD_35transform_pair_of_input_iterators_tIbNS6_6detail15normal_iteratorINS6_10device_ptrIKsEEEESL_NS6_8equal_toIsEEEENSG_9not_fun_tINSD_8identityEEEEENSD_19counting_iterator_tIlEES8_S8_S8_S8_S8_S8_S8_S8_EEEEPS9_S9_NSD_9__find_if7functorIS9_EEEE10hipError_tPvRmT1_T2_T3_mT4_P12ihipStream_tbEUlT_E1_NS1_11comp_targetILNS1_3genE5ELNS1_11target_archE942ELNS1_3gpuE9ELNS1_3repE0EEENS1_30default_config_static_selectorELNS0_4arch9wavefront6targetE1EEEvS14_
	.globl	_ZN7rocprim17ROCPRIM_400000_NS6detail17trampoline_kernelINS0_14default_configENS1_22reduce_config_selectorIN6thrust23THRUST_200600_302600_NS5tupleIblNS6_9null_typeES8_S8_S8_S8_S8_S8_S8_EEEEZNS1_11reduce_implILb1ES3_NS6_12zip_iteratorINS7_INS6_11hip_rocprim26transform_input_iterator_tIbNSD_35transform_pair_of_input_iterators_tIbNS6_6detail15normal_iteratorINS6_10device_ptrIKsEEEESL_NS6_8equal_toIsEEEENSG_9not_fun_tINSD_8identityEEEEENSD_19counting_iterator_tIlEES8_S8_S8_S8_S8_S8_S8_S8_EEEEPS9_S9_NSD_9__find_if7functorIS9_EEEE10hipError_tPvRmT1_T2_T3_mT4_P12ihipStream_tbEUlT_E1_NS1_11comp_targetILNS1_3genE5ELNS1_11target_archE942ELNS1_3gpuE9ELNS1_3repE0EEENS1_30default_config_static_selectorELNS0_4arch9wavefront6targetE1EEEvS14_
	.p2align	8
	.type	_ZN7rocprim17ROCPRIM_400000_NS6detail17trampoline_kernelINS0_14default_configENS1_22reduce_config_selectorIN6thrust23THRUST_200600_302600_NS5tupleIblNS6_9null_typeES8_S8_S8_S8_S8_S8_S8_EEEEZNS1_11reduce_implILb1ES3_NS6_12zip_iteratorINS7_INS6_11hip_rocprim26transform_input_iterator_tIbNSD_35transform_pair_of_input_iterators_tIbNS6_6detail15normal_iteratorINS6_10device_ptrIKsEEEESL_NS6_8equal_toIsEEEENSG_9not_fun_tINSD_8identityEEEEENSD_19counting_iterator_tIlEES8_S8_S8_S8_S8_S8_S8_S8_EEEEPS9_S9_NSD_9__find_if7functorIS9_EEEE10hipError_tPvRmT1_T2_T3_mT4_P12ihipStream_tbEUlT_E1_NS1_11comp_targetILNS1_3genE5ELNS1_11target_archE942ELNS1_3gpuE9ELNS1_3repE0EEENS1_30default_config_static_selectorELNS0_4arch9wavefront6targetE1EEEvS14_,@function
_ZN7rocprim17ROCPRIM_400000_NS6detail17trampoline_kernelINS0_14default_configENS1_22reduce_config_selectorIN6thrust23THRUST_200600_302600_NS5tupleIblNS6_9null_typeES8_S8_S8_S8_S8_S8_S8_EEEEZNS1_11reduce_implILb1ES3_NS6_12zip_iteratorINS7_INS6_11hip_rocprim26transform_input_iterator_tIbNSD_35transform_pair_of_input_iterators_tIbNS6_6detail15normal_iteratorINS6_10device_ptrIKsEEEESL_NS6_8equal_toIsEEEENSG_9not_fun_tINSD_8identityEEEEENSD_19counting_iterator_tIlEES8_S8_S8_S8_S8_S8_S8_S8_EEEEPS9_S9_NSD_9__find_if7functorIS9_EEEE10hipError_tPvRmT1_T2_T3_mT4_P12ihipStream_tbEUlT_E1_NS1_11comp_targetILNS1_3genE5ELNS1_11target_archE942ELNS1_3gpuE9ELNS1_3repE0EEENS1_30default_config_static_selectorELNS0_4arch9wavefront6targetE1EEEvS14_: ; @_ZN7rocprim17ROCPRIM_400000_NS6detail17trampoline_kernelINS0_14default_configENS1_22reduce_config_selectorIN6thrust23THRUST_200600_302600_NS5tupleIblNS6_9null_typeES8_S8_S8_S8_S8_S8_S8_EEEEZNS1_11reduce_implILb1ES3_NS6_12zip_iteratorINS7_INS6_11hip_rocprim26transform_input_iterator_tIbNSD_35transform_pair_of_input_iterators_tIbNS6_6detail15normal_iteratorINS6_10device_ptrIKsEEEESL_NS6_8equal_toIsEEEENSG_9not_fun_tINSD_8identityEEEEENSD_19counting_iterator_tIlEES8_S8_S8_S8_S8_S8_S8_S8_EEEEPS9_S9_NSD_9__find_if7functorIS9_EEEE10hipError_tPvRmT1_T2_T3_mT4_P12ihipStream_tbEUlT_E1_NS1_11comp_targetILNS1_3genE5ELNS1_11target_archE942ELNS1_3gpuE9ELNS1_3repE0EEENS1_30default_config_static_selectorELNS0_4arch9wavefront6targetE1EEEvS14_
; %bb.0:
	.section	.rodata,"a",@progbits
	.p2align	6, 0x0
	.amdhsa_kernel _ZN7rocprim17ROCPRIM_400000_NS6detail17trampoline_kernelINS0_14default_configENS1_22reduce_config_selectorIN6thrust23THRUST_200600_302600_NS5tupleIblNS6_9null_typeES8_S8_S8_S8_S8_S8_S8_EEEEZNS1_11reduce_implILb1ES3_NS6_12zip_iteratorINS7_INS6_11hip_rocprim26transform_input_iterator_tIbNSD_35transform_pair_of_input_iterators_tIbNS6_6detail15normal_iteratorINS6_10device_ptrIKsEEEESL_NS6_8equal_toIsEEEENSG_9not_fun_tINSD_8identityEEEEENSD_19counting_iterator_tIlEES8_S8_S8_S8_S8_S8_S8_S8_EEEEPS9_S9_NSD_9__find_if7functorIS9_EEEE10hipError_tPvRmT1_T2_T3_mT4_P12ihipStream_tbEUlT_E1_NS1_11comp_targetILNS1_3genE5ELNS1_11target_archE942ELNS1_3gpuE9ELNS1_3repE0EEENS1_30default_config_static_selectorELNS0_4arch9wavefront6targetE1EEEvS14_
		.amdhsa_group_segment_fixed_size 0
		.amdhsa_private_segment_fixed_size 0
		.amdhsa_kernarg_size 88
		.amdhsa_user_sgpr_count 6
		.amdhsa_user_sgpr_private_segment_buffer 1
		.amdhsa_user_sgpr_dispatch_ptr 0
		.amdhsa_user_sgpr_queue_ptr 0
		.amdhsa_user_sgpr_kernarg_segment_ptr 1
		.amdhsa_user_sgpr_dispatch_id 0
		.amdhsa_user_sgpr_flat_scratch_init 0
		.amdhsa_user_sgpr_kernarg_preload_length 0
		.amdhsa_user_sgpr_kernarg_preload_offset 0
		.amdhsa_user_sgpr_private_segment_size 0
		.amdhsa_uses_dynamic_stack 0
		.amdhsa_system_sgpr_private_segment_wavefront_offset 0
		.amdhsa_system_sgpr_workgroup_id_x 1
		.amdhsa_system_sgpr_workgroup_id_y 0
		.amdhsa_system_sgpr_workgroup_id_z 0
		.amdhsa_system_sgpr_workgroup_info 0
		.amdhsa_system_vgpr_workitem_id 0
		.amdhsa_next_free_vgpr 1
		.amdhsa_next_free_sgpr 0
		.amdhsa_accum_offset 4
		.amdhsa_reserve_vcc 0
		.amdhsa_reserve_flat_scratch 0
		.amdhsa_float_round_mode_32 0
		.amdhsa_float_round_mode_16_64 0
		.amdhsa_float_denorm_mode_32 3
		.amdhsa_float_denorm_mode_16_64 3
		.amdhsa_dx10_clamp 1
		.amdhsa_ieee_mode 1
		.amdhsa_fp16_overflow 0
		.amdhsa_tg_split 0
		.amdhsa_exception_fp_ieee_invalid_op 0
		.amdhsa_exception_fp_denorm_src 0
		.amdhsa_exception_fp_ieee_div_zero 0
		.amdhsa_exception_fp_ieee_overflow 0
		.amdhsa_exception_fp_ieee_underflow 0
		.amdhsa_exception_fp_ieee_inexact 0
		.amdhsa_exception_int_div_zero 0
	.end_amdhsa_kernel
	.section	.text._ZN7rocprim17ROCPRIM_400000_NS6detail17trampoline_kernelINS0_14default_configENS1_22reduce_config_selectorIN6thrust23THRUST_200600_302600_NS5tupleIblNS6_9null_typeES8_S8_S8_S8_S8_S8_S8_EEEEZNS1_11reduce_implILb1ES3_NS6_12zip_iteratorINS7_INS6_11hip_rocprim26transform_input_iterator_tIbNSD_35transform_pair_of_input_iterators_tIbNS6_6detail15normal_iteratorINS6_10device_ptrIKsEEEESL_NS6_8equal_toIsEEEENSG_9not_fun_tINSD_8identityEEEEENSD_19counting_iterator_tIlEES8_S8_S8_S8_S8_S8_S8_S8_EEEEPS9_S9_NSD_9__find_if7functorIS9_EEEE10hipError_tPvRmT1_T2_T3_mT4_P12ihipStream_tbEUlT_E1_NS1_11comp_targetILNS1_3genE5ELNS1_11target_archE942ELNS1_3gpuE9ELNS1_3repE0EEENS1_30default_config_static_selectorELNS0_4arch9wavefront6targetE1EEEvS14_,"axG",@progbits,_ZN7rocprim17ROCPRIM_400000_NS6detail17trampoline_kernelINS0_14default_configENS1_22reduce_config_selectorIN6thrust23THRUST_200600_302600_NS5tupleIblNS6_9null_typeES8_S8_S8_S8_S8_S8_S8_EEEEZNS1_11reduce_implILb1ES3_NS6_12zip_iteratorINS7_INS6_11hip_rocprim26transform_input_iterator_tIbNSD_35transform_pair_of_input_iterators_tIbNS6_6detail15normal_iteratorINS6_10device_ptrIKsEEEESL_NS6_8equal_toIsEEEENSG_9not_fun_tINSD_8identityEEEEENSD_19counting_iterator_tIlEES8_S8_S8_S8_S8_S8_S8_S8_EEEEPS9_S9_NSD_9__find_if7functorIS9_EEEE10hipError_tPvRmT1_T2_T3_mT4_P12ihipStream_tbEUlT_E1_NS1_11comp_targetILNS1_3genE5ELNS1_11target_archE942ELNS1_3gpuE9ELNS1_3repE0EEENS1_30default_config_static_selectorELNS0_4arch9wavefront6targetE1EEEvS14_,comdat
.Lfunc_end182:
	.size	_ZN7rocprim17ROCPRIM_400000_NS6detail17trampoline_kernelINS0_14default_configENS1_22reduce_config_selectorIN6thrust23THRUST_200600_302600_NS5tupleIblNS6_9null_typeES8_S8_S8_S8_S8_S8_S8_EEEEZNS1_11reduce_implILb1ES3_NS6_12zip_iteratorINS7_INS6_11hip_rocprim26transform_input_iterator_tIbNSD_35transform_pair_of_input_iterators_tIbNS6_6detail15normal_iteratorINS6_10device_ptrIKsEEEESL_NS6_8equal_toIsEEEENSG_9not_fun_tINSD_8identityEEEEENSD_19counting_iterator_tIlEES8_S8_S8_S8_S8_S8_S8_S8_EEEEPS9_S9_NSD_9__find_if7functorIS9_EEEE10hipError_tPvRmT1_T2_T3_mT4_P12ihipStream_tbEUlT_E1_NS1_11comp_targetILNS1_3genE5ELNS1_11target_archE942ELNS1_3gpuE9ELNS1_3repE0EEENS1_30default_config_static_selectorELNS0_4arch9wavefront6targetE1EEEvS14_, .Lfunc_end182-_ZN7rocprim17ROCPRIM_400000_NS6detail17trampoline_kernelINS0_14default_configENS1_22reduce_config_selectorIN6thrust23THRUST_200600_302600_NS5tupleIblNS6_9null_typeES8_S8_S8_S8_S8_S8_S8_EEEEZNS1_11reduce_implILb1ES3_NS6_12zip_iteratorINS7_INS6_11hip_rocprim26transform_input_iterator_tIbNSD_35transform_pair_of_input_iterators_tIbNS6_6detail15normal_iteratorINS6_10device_ptrIKsEEEESL_NS6_8equal_toIsEEEENSG_9not_fun_tINSD_8identityEEEEENSD_19counting_iterator_tIlEES8_S8_S8_S8_S8_S8_S8_S8_EEEEPS9_S9_NSD_9__find_if7functorIS9_EEEE10hipError_tPvRmT1_T2_T3_mT4_P12ihipStream_tbEUlT_E1_NS1_11comp_targetILNS1_3genE5ELNS1_11target_archE942ELNS1_3gpuE9ELNS1_3repE0EEENS1_30default_config_static_selectorELNS0_4arch9wavefront6targetE1EEEvS14_
                                        ; -- End function
	.section	.AMDGPU.csdata,"",@progbits
; Kernel info:
; codeLenInByte = 0
; NumSgprs: 4
; NumVgprs: 0
; NumAgprs: 0
; TotalNumVgprs: 0
; ScratchSize: 0
; MemoryBound: 0
; FloatMode: 240
; IeeeMode: 1
; LDSByteSize: 0 bytes/workgroup (compile time only)
; SGPRBlocks: 0
; VGPRBlocks: 0
; NumSGPRsForWavesPerEU: 4
; NumVGPRsForWavesPerEU: 1
; AccumOffset: 4
; Occupancy: 8
; WaveLimiterHint : 0
; COMPUTE_PGM_RSRC2:SCRATCH_EN: 0
; COMPUTE_PGM_RSRC2:USER_SGPR: 6
; COMPUTE_PGM_RSRC2:TRAP_HANDLER: 0
; COMPUTE_PGM_RSRC2:TGID_X_EN: 1
; COMPUTE_PGM_RSRC2:TGID_Y_EN: 0
; COMPUTE_PGM_RSRC2:TGID_Z_EN: 0
; COMPUTE_PGM_RSRC2:TIDIG_COMP_CNT: 0
; COMPUTE_PGM_RSRC3_GFX90A:ACCUM_OFFSET: 0
; COMPUTE_PGM_RSRC3_GFX90A:TG_SPLIT: 0
	.section	.text._ZN7rocprim17ROCPRIM_400000_NS6detail17trampoline_kernelINS0_14default_configENS1_22reduce_config_selectorIN6thrust23THRUST_200600_302600_NS5tupleIblNS6_9null_typeES8_S8_S8_S8_S8_S8_S8_EEEEZNS1_11reduce_implILb1ES3_NS6_12zip_iteratorINS7_INS6_11hip_rocprim26transform_input_iterator_tIbNSD_35transform_pair_of_input_iterators_tIbNS6_6detail15normal_iteratorINS6_10device_ptrIKsEEEESL_NS6_8equal_toIsEEEENSG_9not_fun_tINSD_8identityEEEEENSD_19counting_iterator_tIlEES8_S8_S8_S8_S8_S8_S8_S8_EEEEPS9_S9_NSD_9__find_if7functorIS9_EEEE10hipError_tPvRmT1_T2_T3_mT4_P12ihipStream_tbEUlT_E1_NS1_11comp_targetILNS1_3genE4ELNS1_11target_archE910ELNS1_3gpuE8ELNS1_3repE0EEENS1_30default_config_static_selectorELNS0_4arch9wavefront6targetE1EEEvS14_,"axG",@progbits,_ZN7rocprim17ROCPRIM_400000_NS6detail17trampoline_kernelINS0_14default_configENS1_22reduce_config_selectorIN6thrust23THRUST_200600_302600_NS5tupleIblNS6_9null_typeES8_S8_S8_S8_S8_S8_S8_EEEEZNS1_11reduce_implILb1ES3_NS6_12zip_iteratorINS7_INS6_11hip_rocprim26transform_input_iterator_tIbNSD_35transform_pair_of_input_iterators_tIbNS6_6detail15normal_iteratorINS6_10device_ptrIKsEEEESL_NS6_8equal_toIsEEEENSG_9not_fun_tINSD_8identityEEEEENSD_19counting_iterator_tIlEES8_S8_S8_S8_S8_S8_S8_S8_EEEEPS9_S9_NSD_9__find_if7functorIS9_EEEE10hipError_tPvRmT1_T2_T3_mT4_P12ihipStream_tbEUlT_E1_NS1_11comp_targetILNS1_3genE4ELNS1_11target_archE910ELNS1_3gpuE8ELNS1_3repE0EEENS1_30default_config_static_selectorELNS0_4arch9wavefront6targetE1EEEvS14_,comdat
	.protected	_ZN7rocprim17ROCPRIM_400000_NS6detail17trampoline_kernelINS0_14default_configENS1_22reduce_config_selectorIN6thrust23THRUST_200600_302600_NS5tupleIblNS6_9null_typeES8_S8_S8_S8_S8_S8_S8_EEEEZNS1_11reduce_implILb1ES3_NS6_12zip_iteratorINS7_INS6_11hip_rocprim26transform_input_iterator_tIbNSD_35transform_pair_of_input_iterators_tIbNS6_6detail15normal_iteratorINS6_10device_ptrIKsEEEESL_NS6_8equal_toIsEEEENSG_9not_fun_tINSD_8identityEEEEENSD_19counting_iterator_tIlEES8_S8_S8_S8_S8_S8_S8_S8_EEEEPS9_S9_NSD_9__find_if7functorIS9_EEEE10hipError_tPvRmT1_T2_T3_mT4_P12ihipStream_tbEUlT_E1_NS1_11comp_targetILNS1_3genE4ELNS1_11target_archE910ELNS1_3gpuE8ELNS1_3repE0EEENS1_30default_config_static_selectorELNS0_4arch9wavefront6targetE1EEEvS14_ ; -- Begin function _ZN7rocprim17ROCPRIM_400000_NS6detail17trampoline_kernelINS0_14default_configENS1_22reduce_config_selectorIN6thrust23THRUST_200600_302600_NS5tupleIblNS6_9null_typeES8_S8_S8_S8_S8_S8_S8_EEEEZNS1_11reduce_implILb1ES3_NS6_12zip_iteratorINS7_INS6_11hip_rocprim26transform_input_iterator_tIbNSD_35transform_pair_of_input_iterators_tIbNS6_6detail15normal_iteratorINS6_10device_ptrIKsEEEESL_NS6_8equal_toIsEEEENSG_9not_fun_tINSD_8identityEEEEENSD_19counting_iterator_tIlEES8_S8_S8_S8_S8_S8_S8_S8_EEEEPS9_S9_NSD_9__find_if7functorIS9_EEEE10hipError_tPvRmT1_T2_T3_mT4_P12ihipStream_tbEUlT_E1_NS1_11comp_targetILNS1_3genE4ELNS1_11target_archE910ELNS1_3gpuE8ELNS1_3repE0EEENS1_30default_config_static_selectorELNS0_4arch9wavefront6targetE1EEEvS14_
	.globl	_ZN7rocprim17ROCPRIM_400000_NS6detail17trampoline_kernelINS0_14default_configENS1_22reduce_config_selectorIN6thrust23THRUST_200600_302600_NS5tupleIblNS6_9null_typeES8_S8_S8_S8_S8_S8_S8_EEEEZNS1_11reduce_implILb1ES3_NS6_12zip_iteratorINS7_INS6_11hip_rocprim26transform_input_iterator_tIbNSD_35transform_pair_of_input_iterators_tIbNS6_6detail15normal_iteratorINS6_10device_ptrIKsEEEESL_NS6_8equal_toIsEEEENSG_9not_fun_tINSD_8identityEEEEENSD_19counting_iterator_tIlEES8_S8_S8_S8_S8_S8_S8_S8_EEEEPS9_S9_NSD_9__find_if7functorIS9_EEEE10hipError_tPvRmT1_T2_T3_mT4_P12ihipStream_tbEUlT_E1_NS1_11comp_targetILNS1_3genE4ELNS1_11target_archE910ELNS1_3gpuE8ELNS1_3repE0EEENS1_30default_config_static_selectorELNS0_4arch9wavefront6targetE1EEEvS14_
	.p2align	8
	.type	_ZN7rocprim17ROCPRIM_400000_NS6detail17trampoline_kernelINS0_14default_configENS1_22reduce_config_selectorIN6thrust23THRUST_200600_302600_NS5tupleIblNS6_9null_typeES8_S8_S8_S8_S8_S8_S8_EEEEZNS1_11reduce_implILb1ES3_NS6_12zip_iteratorINS7_INS6_11hip_rocprim26transform_input_iterator_tIbNSD_35transform_pair_of_input_iterators_tIbNS6_6detail15normal_iteratorINS6_10device_ptrIKsEEEESL_NS6_8equal_toIsEEEENSG_9not_fun_tINSD_8identityEEEEENSD_19counting_iterator_tIlEES8_S8_S8_S8_S8_S8_S8_S8_EEEEPS9_S9_NSD_9__find_if7functorIS9_EEEE10hipError_tPvRmT1_T2_T3_mT4_P12ihipStream_tbEUlT_E1_NS1_11comp_targetILNS1_3genE4ELNS1_11target_archE910ELNS1_3gpuE8ELNS1_3repE0EEENS1_30default_config_static_selectorELNS0_4arch9wavefront6targetE1EEEvS14_,@function
_ZN7rocprim17ROCPRIM_400000_NS6detail17trampoline_kernelINS0_14default_configENS1_22reduce_config_selectorIN6thrust23THRUST_200600_302600_NS5tupleIblNS6_9null_typeES8_S8_S8_S8_S8_S8_S8_EEEEZNS1_11reduce_implILb1ES3_NS6_12zip_iteratorINS7_INS6_11hip_rocprim26transform_input_iterator_tIbNSD_35transform_pair_of_input_iterators_tIbNS6_6detail15normal_iteratorINS6_10device_ptrIKsEEEESL_NS6_8equal_toIsEEEENSG_9not_fun_tINSD_8identityEEEEENSD_19counting_iterator_tIlEES8_S8_S8_S8_S8_S8_S8_S8_EEEEPS9_S9_NSD_9__find_if7functorIS9_EEEE10hipError_tPvRmT1_T2_T3_mT4_P12ihipStream_tbEUlT_E1_NS1_11comp_targetILNS1_3genE4ELNS1_11target_archE910ELNS1_3gpuE8ELNS1_3repE0EEENS1_30default_config_static_selectorELNS0_4arch9wavefront6targetE1EEEvS14_: ; @_ZN7rocprim17ROCPRIM_400000_NS6detail17trampoline_kernelINS0_14default_configENS1_22reduce_config_selectorIN6thrust23THRUST_200600_302600_NS5tupleIblNS6_9null_typeES8_S8_S8_S8_S8_S8_S8_EEEEZNS1_11reduce_implILb1ES3_NS6_12zip_iteratorINS7_INS6_11hip_rocprim26transform_input_iterator_tIbNSD_35transform_pair_of_input_iterators_tIbNS6_6detail15normal_iteratorINS6_10device_ptrIKsEEEESL_NS6_8equal_toIsEEEENSG_9not_fun_tINSD_8identityEEEEENSD_19counting_iterator_tIlEES8_S8_S8_S8_S8_S8_S8_S8_EEEEPS9_S9_NSD_9__find_if7functorIS9_EEEE10hipError_tPvRmT1_T2_T3_mT4_P12ihipStream_tbEUlT_E1_NS1_11comp_targetILNS1_3genE4ELNS1_11target_archE910ELNS1_3gpuE8ELNS1_3repE0EEENS1_30default_config_static_selectorELNS0_4arch9wavefront6targetE1EEEvS14_
; %bb.0:
	s_load_dword s38, s[4:5], 0x4
	s_load_dwordx4 s[24:27], s[4:5], 0x8
	s_load_dwordx4 s[20:23], s[4:5], 0x28
	s_load_dword s33, s[4:5], 0x40
	s_load_dwordx2 s[18:19], s[4:5], 0x48
	s_waitcnt lgkmcnt(0)
	s_cmp_lt_i32 s38, 4
	s_cbranch_scc1 .LBB183_21
; %bb.1:
	s_cmp_gt_i32 s38, 7
	s_cbranch_scc0 .LBB183_22
; %bb.2:
	s_cmp_eq_u32 s38, 8
	s_mov_b64 s[28:29], 0
	s_cbranch_scc0 .LBB183_23
; %bb.3:
	s_mov_b32 s7, 0
	s_lshl_b32 s36, s6, 11
	s_mov_b32 s37, s7
	s_lshr_b64 s[0:1], s[22:23], 11
	s_lshl_b64 s[2:3], s[36:37], 1
	s_add_u32 s30, s24, s2
	s_addc_u32 s31, s25, s3
	s_add_u32 s34, s26, s2
	s_addc_u32 s35, s27, s3
	;; [unrolled: 2-line block ×3, first 2 shown]
	s_cmp_lg_u64 s[0:1], s[6:7]
	s_cbranch_scc0 .LBB183_44
; %bb.4:
	v_lshlrev_b32_e32 v1, 1, v0
	global_load_ushort v2, v1, s[30:31] offset:512
	global_load_ushort v3, v1, s[30:31] offset:1024
	;; [unrolled: 1-line block ×14, first 2 shown]
	global_load_ushort v16, v1, s[30:31]
	s_nop 0
	global_load_ushort v1, v1, s[34:35]
	v_mov_b32_e32 v17, s40
	v_add_co_u32_e32 v25, vcc, s39, v0
	v_mov_b32_e32 v18, 0x200
	v_mov_b32_e32 v19, 0x100
	v_addc_co_u32_e32 v17, vcc, 0, v17, vcc
	v_mov_b32_e32 v20, 0x400
	v_mov_b32_e32 v21, 0x300
	;; [unrolled: 1-line block ×5, first 2 shown]
	s_waitcnt vmcnt(13)
	v_cmp_ne_u16_e32 vcc, v3, v4
	s_waitcnt vmcnt(11)
	v_cmp_ne_u16_e64 s[0:1], v5, v6
	s_waitcnt vmcnt(8)
	v_cmp_ne_u16_e64 s[2:3], v7, v9
	;; [unrolled: 2-line block ×4, first 2 shown]
	v_cndmask_b32_e64 v2, v18, v19, s[10:11]
	s_waitcnt vmcnt(4)
	v_cmp_ne_u16_e64 s[12:13], v12, v13
	v_cndmask_b32_e64 v3, v20, v21, s[12:13]
	s_waitcnt vmcnt(2)
	v_cmp_ne_u16_e64 s[14:15], v14, v15
	;; [unrolled: 3-line block ×3, first 2 shown]
	s_or_b64 s[10:11], s[16:17], s[10:11]
	s_or_b64 vcc, s[10:11], vcc
	v_cndmask_b32_e64 v1, v2, 0, s[16:17]
	s_or_b64 s[10:11], vcc, s[12:13]
	v_cndmask_b32_e32 v1, v3, v1, vcc
	s_or_b64 vcc, s[10:11], s[0:1]
	s_or_b64 s[0:1], vcc, s[14:15]
	v_cndmask_b32_e32 v1, v4, v1, vcc
	s_or_b64 vcc, s[0:1], s[2:3]
	v_cndmask_b32_e32 v1, v24, v1, vcc
	v_add_co_u32_e64 v2, s[0:1], v25, v1
	v_addc_co_u32_e64 v3, s[0:1], 0, v17, s[0:1]
	s_or_b64 s[0:1], vcc, s[8:9]
	v_cndmask_b32_e64 v1, 0, 1, s[0:1]
	v_mov_b32_dpp v4, v2 quad_perm:[1,0,3,2] row_mask:0xf bank_mask:0xf bound_ctrl:1
	v_mov_b32_dpp v5, v3 quad_perm:[1,0,3,2] row_mask:0xf bank_mask:0xf bound_ctrl:1
	;; [unrolled: 1-line block ×3, first 2 shown]
	v_and_b32_e32 v7, 1, v6
	v_cmp_eq_u32_e32 vcc, 1, v7
	s_and_saveexec_b64 s[2:3], vcc
; %bb.5:
	v_cmp_lt_i64_e32 vcc, v[2:3], v[4:5]
	v_cndmask_b32_e64 v6, v6, 1, s[0:1]
	s_and_b64 vcc, s[0:1], vcc
	v_cndmask_b32_e32 v2, v4, v2, vcc
	v_and_b32_e32 v4, 1, v6
	v_cndmask_b32_e32 v3, v5, v3, vcc
	v_cmp_eq_u32_e32 vcc, 1, v4
	s_andn2_b64 s[0:1], s[0:1], exec
	s_and_b64 s[8:9], vcc, exec
	v_and_b32_e32 v1, 0xff, v6
	s_or_b64 s[0:1], s[0:1], s[8:9]
; %bb.6:
	s_or_b64 exec, exec, s[2:3]
	v_mov_b32_dpp v6, v1 quad_perm:[2,3,0,1] row_mask:0xf bank_mask:0xf bound_ctrl:1
	v_and_b32_e32 v7, 1, v6
	v_mov_b32_dpp v4, v2 quad_perm:[2,3,0,1] row_mask:0xf bank_mask:0xf bound_ctrl:1
	v_mov_b32_dpp v5, v3 quad_perm:[2,3,0,1] row_mask:0xf bank_mask:0xf bound_ctrl:1
	v_cmp_eq_u32_e32 vcc, 1, v7
	s_and_saveexec_b64 s[2:3], vcc
; %bb.7:
	v_cmp_lt_i64_e32 vcc, v[2:3], v[4:5]
	v_cndmask_b32_e64 v6, v6, 1, s[0:1]
	s_and_b64 vcc, s[0:1], vcc
	v_cndmask_b32_e32 v2, v4, v2, vcc
	v_and_b32_e32 v4, 1, v6
	v_cndmask_b32_e32 v3, v5, v3, vcc
	v_cmp_eq_u32_e32 vcc, 1, v4
	s_andn2_b64 s[0:1], s[0:1], exec
	s_and_b64 s[8:9], vcc, exec
	v_and_b32_e32 v1, 0xff, v6
	s_or_b64 s[0:1], s[0:1], s[8:9]
; %bb.8:
	s_or_b64 exec, exec, s[2:3]
	v_mov_b32_dpp v6, v1 row_ror:4 row_mask:0xf bank_mask:0xf bound_ctrl:1
	v_and_b32_e32 v7, 1, v6
	v_mov_b32_dpp v4, v2 row_ror:4 row_mask:0xf bank_mask:0xf bound_ctrl:1
	v_mov_b32_dpp v5, v3 row_ror:4 row_mask:0xf bank_mask:0xf bound_ctrl:1
	v_cmp_eq_u32_e32 vcc, 1, v7
	s_and_saveexec_b64 s[2:3], vcc
; %bb.9:
	v_cmp_lt_i64_e32 vcc, v[2:3], v[4:5]
	v_cndmask_b32_e64 v6, v6, 1, s[0:1]
	s_and_b64 vcc, s[0:1], vcc
	v_cndmask_b32_e32 v2, v4, v2, vcc
	v_and_b32_e32 v4, 1, v6
	v_cndmask_b32_e32 v3, v5, v3, vcc
	v_cmp_eq_u32_e32 vcc, 1, v4
	s_andn2_b64 s[0:1], s[0:1], exec
	s_and_b64 s[8:9], vcc, exec
	v_and_b32_e32 v1, 0xff, v6
	s_or_b64 s[0:1], s[0:1], s[8:9]
; %bb.10:
	s_or_b64 exec, exec, s[2:3]
	v_mov_b32_dpp v6, v1 row_ror:8 row_mask:0xf bank_mask:0xf bound_ctrl:1
	v_and_b32_e32 v7, 1, v6
	v_mov_b32_dpp v4, v2 row_ror:8 row_mask:0xf bank_mask:0xf bound_ctrl:1
	v_mov_b32_dpp v5, v3 row_ror:8 row_mask:0xf bank_mask:0xf bound_ctrl:1
	v_cmp_eq_u32_e32 vcc, 1, v7
	s_and_saveexec_b64 s[2:3], vcc
; %bb.11:
	v_cmp_lt_i64_e32 vcc, v[2:3], v[4:5]
	v_cndmask_b32_e64 v6, v6, 1, s[0:1]
	s_and_b64 vcc, s[0:1], vcc
	v_cndmask_b32_e32 v2, v4, v2, vcc
	v_and_b32_e32 v4, 1, v6
	v_cndmask_b32_e32 v3, v5, v3, vcc
	v_cmp_eq_u32_e32 vcc, 1, v4
	s_andn2_b64 s[0:1], s[0:1], exec
	s_and_b64 s[8:9], vcc, exec
	v_and_b32_e32 v1, 0xff, v6
	s_or_b64 s[0:1], s[0:1], s[8:9]
; %bb.12:
	s_or_b64 exec, exec, s[2:3]
	v_mov_b32_dpp v6, v1 row_bcast:15 row_mask:0xf bank_mask:0xf bound_ctrl:1
	v_and_b32_e32 v7, 1, v6
	v_mov_b32_dpp v4, v2 row_bcast:15 row_mask:0xf bank_mask:0xf bound_ctrl:1
	v_mov_b32_dpp v5, v3 row_bcast:15 row_mask:0xf bank_mask:0xf bound_ctrl:1
	v_cmp_eq_u32_e32 vcc, 1, v7
	s_and_saveexec_b64 s[2:3], vcc
; %bb.13:
	v_cmp_lt_i64_e32 vcc, v[2:3], v[4:5]
	v_cndmask_b32_e64 v6, v6, 1, s[0:1]
	s_and_b64 vcc, s[0:1], vcc
	v_cndmask_b32_e32 v2, v4, v2, vcc
	v_and_b32_e32 v4, 1, v6
	v_cndmask_b32_e32 v3, v5, v3, vcc
	v_cmp_eq_u32_e32 vcc, 1, v4
	s_andn2_b64 s[0:1], s[0:1], exec
	s_and_b64 s[8:9], vcc, exec
	v_and_b32_e32 v1, 0xff, v6
	s_or_b64 s[0:1], s[0:1], s[8:9]
; %bb.14:
	s_or_b64 exec, exec, s[2:3]
	v_mov_b32_dpp v6, v1 row_bcast:31 row_mask:0xf bank_mask:0xf bound_ctrl:1
	v_and_b32_e32 v7, 1, v6
	v_mov_b32_dpp v4, v2 row_bcast:31 row_mask:0xf bank_mask:0xf bound_ctrl:1
	v_mov_b32_dpp v5, v3 row_bcast:31 row_mask:0xf bank_mask:0xf bound_ctrl:1
	v_cmp_eq_u32_e32 vcc, 1, v7
	s_and_saveexec_b64 s[2:3], vcc
; %bb.15:
	v_cmp_lt_i64_e32 vcc, v[2:3], v[4:5]
	v_and_b32_e32 v1, 0xff, v6
	s_and_b64 vcc, s[0:1], vcc
	v_cndmask_b32_e32 v2, v4, v2, vcc
	v_cndmask_b32_e32 v3, v5, v3, vcc
	v_cndmask_b32_e64 v1, v1, 1, s[0:1]
; %bb.16:
	s_or_b64 exec, exec, s[2:3]
	v_mbcnt_lo_u32_b32 v4, -1, 0
	v_mbcnt_hi_u32_b32 v4, -1, v4
	v_bfrev_b32_e32 v5, 0.5
	v_lshl_or_b32 v5, v4, 2, v5
	ds_bpermute_b32 v7, v5, v1
	ds_bpermute_b32 v2, v5, v2
	;; [unrolled: 1-line block ×3, first 2 shown]
	v_cmp_eq_u32_e32 vcc, 0, v4
	s_and_saveexec_b64 s[0:1], vcc
	s_cbranch_execz .LBB183_18
; %bb.17:
	v_lshrrev_b32_e32 v1, 2, v0
	v_and_b32_e32 v1, 48, v1
	s_waitcnt lgkmcnt(2)
	ds_write_b8 v1, v7 offset:192
	s_waitcnt lgkmcnt(1)
	ds_write_b64 v1, v[2:3] offset:200
.LBB183_18:
	s_or_b64 exec, exec, s[0:1]
	v_cmp_gt_u32_e32 vcc, 64, v0
	s_waitcnt lgkmcnt(0)
	s_barrier
	s_and_saveexec_b64 s[2:3], vcc
	s_cbranch_execz .LBB183_20
; %bb.19:
	v_and_b32_e32 v1, 3, v4
	v_lshlrev_b32_e32 v2, 4, v1
	ds_read_u8 v5, v2 offset:192
	ds_read_b64 v[2:3], v2 offset:200
	v_cmp_ne_u32_e32 vcc, 3, v1
	v_addc_co_u32_e32 v6, vcc, 0, v4, vcc
	s_waitcnt lgkmcnt(1)
	v_and_b32_e32 v7, 0xff, v5
	v_lshlrev_b32_e32 v8, 2, v6
	ds_bpermute_b32 v9, v8, v7
	s_waitcnt lgkmcnt(1)
	ds_bpermute_b32 v6, v8, v2
	ds_bpermute_b32 v7, v8, v3
	v_and_b32_e32 v8, 1, v5
	s_waitcnt lgkmcnt(2)
	v_and_b32_e32 v10, 1, v9
	v_cmp_eq_u32_e64 s[0:1], 1, v10
	s_waitcnt lgkmcnt(0)
	v_cmp_lt_i64_e32 vcc, v[6:7], v[2:3]
	s_and_b64 vcc, s[0:1], vcc
	v_cndmask_b32_e64 v5, v5, 1, s[0:1]
	v_cndmask_b32_e32 v2, v2, v6, vcc
	v_cndmask_b32_e32 v3, v3, v7, vcc
	v_cmp_eq_u32_e32 vcc, 1, v8
	v_cndmask_b32_e32 v8, v9, v5, vcc
	v_cndmask_b32_e32 v3, v7, v3, vcc
	;; [unrolled: 1-line block ×3, first 2 shown]
	v_cmp_gt_u32_e32 vcc, 2, v1
	v_cndmask_b32_e64 v1, 0, 1, vcc
	v_lshlrev_b32_e32 v1, 1, v1
	v_and_b32_e32 v5, 0xff, v8
	v_add_lshl_u32 v1, v1, v4, 2
	ds_bpermute_b32 v6, v1, v5
	ds_bpermute_b32 v4, v1, v2
	;; [unrolled: 1-line block ×3, first 2 shown]
	v_and_b32_e32 v1, 1, v8
	s_waitcnt lgkmcnt(2)
	v_and_b32_e32 v7, 1, v6
	v_cmp_eq_u32_e64 s[0:1], 1, v7
	s_waitcnt lgkmcnt(0)
	v_cmp_lt_i64_e32 vcc, v[4:5], v[2:3]
	s_and_b64 vcc, s[0:1], vcc
	v_cndmask_b32_e64 v7, v8, 1, s[0:1]
	v_cndmask_b32_e32 v2, v2, v4, vcc
	v_cndmask_b32_e32 v3, v3, v5, vcc
	v_cmp_eq_u32_e32 vcc, 1, v1
	v_cndmask_b32_e32 v1, v6, v7, vcc
	v_cndmask_b32_e32 v3, v5, v3, vcc
	;; [unrolled: 1-line block ×3, first 2 shown]
	v_and_b32_e32 v7, 0xff, v1
.LBB183_20:
	s_or_b64 exec, exec, s[2:3]
	s_branch .LBB183_89
.LBB183_21:
	s_mov_b64 s[10:11], 0
                                        ; implicit-def: $vgpr4_vgpr5
                                        ; implicit-def: $vgpr1
	s_cbranch_execnz .LBB183_133
	s_branch .LBB183_208
.LBB183_22:
	s_mov_b64 s[28:29], -1
.LBB183_23:
	s_mov_b64 s[10:11], 0
                                        ; implicit-def: $vgpr4_vgpr5
                                        ; implicit-def: $vgpr1
	s_and_b64 vcc, exec, s[28:29]
	s_cbranch_vccz .LBB183_94
.LBB183_24:
	s_cmp_eq_u32 s38, 4
	s_cbranch_scc0 .LBB183_43
; %bb.25:
	s_mov_b32 s7, 0
	s_lshl_b32 s16, s6, 10
	s_mov_b32 s17, s7
	s_lshr_b64 s[0:1], s[22:23], 10
	s_lshl_b64 s[2:3], s[16:17], 1
	s_add_u32 s12, s24, s2
	s_addc_u32 s13, s25, s3
	s_add_u32 s14, s26, s2
	s_addc_u32 s15, s27, s3
	s_add_u32 s28, s20, s16
	s_addc_u32 s29, s21, 0
	s_cmp_lg_u64 s[0:1], s[6:7]
	s_cbranch_scc0 .LBB183_95
; %bb.26:
	v_lshlrev_b32_e32 v1, 1, v0
	global_load_ushort v2, v1, s[12:13] offset:1024
	global_load_ushort v3, v1, s[14:15] offset:512
	s_waitcnt lgkmcnt(1)
	global_load_ushort v4, v1, s[14:15] offset:1024
	s_waitcnt lgkmcnt(0)
	global_load_ushort v5, v1, s[14:15] offset:1536
	global_load_ushort v6, v1, s[12:13] offset:1536
	;; [unrolled: 1-line block ×3, first 2 shown]
	global_load_ushort v8, v1, s[14:15]
	global_load_ushort v9, v1, s[12:13]
	v_mov_b32_e32 v1, s29
	v_add_co_u32_e32 v13, vcc, s28, v0
	v_mov_b32_e32 v10, 0x200
	v_mov_b32_e32 v11, 0x100
	v_addc_co_u32_e32 v1, vcc, 0, v1, vcc
	v_mov_b32_e32 v12, 0x300
	s_waitcnt vmcnt(5)
	v_cmp_ne_u16_e32 vcc, v2, v4
	s_waitcnt vmcnt(3)
	v_cmp_ne_u16_e64 s[0:1], v6, v5
	s_waitcnt vmcnt(2)
	v_cmp_ne_u16_e64 s[2:3], v7, v3
	v_cndmask_b32_e64 v2, v10, v11, s[2:3]
	s_waitcnt vmcnt(0)
	v_cmp_ne_u16_e64 s[8:9], v9, v8
	s_or_b64 s[2:3], s[8:9], s[2:3]
	v_cndmask_b32_e64 v2, v2, 0, s[8:9]
	s_or_b64 vcc, s[2:3], vcc
	v_cndmask_b32_e32 v2, v12, v2, vcc
	v_add_co_u32_e64 v2, s[2:3], v13, v2
	s_or_b64 s[0:1], vcc, s[0:1]
	v_addc_co_u32_e64 v3, s[2:3], 0, v1, s[2:3]
	v_cndmask_b32_e64 v1, 0, 1, s[0:1]
	v_mov_b32_dpp v4, v2 quad_perm:[1,0,3,2] row_mask:0xf bank_mask:0xf bound_ctrl:1
	v_mov_b32_dpp v5, v3 quad_perm:[1,0,3,2] row_mask:0xf bank_mask:0xf bound_ctrl:1
	v_mov_b32_dpp v6, v1 quad_perm:[1,0,3,2] row_mask:0xf bank_mask:0xf bound_ctrl:1
	v_and_b32_e32 v7, 1, v6
	v_cmp_eq_u32_e32 vcc, 1, v7
	s_and_saveexec_b64 s[2:3], vcc
; %bb.27:
	v_cmp_lt_i64_e32 vcc, v[2:3], v[4:5]
	v_cndmask_b32_e64 v6, v6, 1, s[0:1]
	s_and_b64 vcc, s[0:1], vcc
	v_cndmask_b32_e32 v2, v4, v2, vcc
	v_and_b32_e32 v4, 1, v6
	v_cndmask_b32_e32 v3, v5, v3, vcc
	v_cmp_eq_u32_e32 vcc, 1, v4
	s_andn2_b64 s[0:1], s[0:1], exec
	s_and_b64 s[8:9], vcc, exec
	v_and_b32_e32 v1, 0xff, v6
	s_or_b64 s[0:1], s[0:1], s[8:9]
; %bb.28:
	s_or_b64 exec, exec, s[2:3]
	v_mov_b32_dpp v6, v1 quad_perm:[2,3,0,1] row_mask:0xf bank_mask:0xf bound_ctrl:1
	v_and_b32_e32 v7, 1, v6
	v_mov_b32_dpp v4, v2 quad_perm:[2,3,0,1] row_mask:0xf bank_mask:0xf bound_ctrl:1
	v_mov_b32_dpp v5, v3 quad_perm:[2,3,0,1] row_mask:0xf bank_mask:0xf bound_ctrl:1
	v_cmp_eq_u32_e32 vcc, 1, v7
	s_and_saveexec_b64 s[2:3], vcc
; %bb.29:
	v_cmp_lt_i64_e32 vcc, v[2:3], v[4:5]
	v_cndmask_b32_e64 v6, v6, 1, s[0:1]
	s_and_b64 vcc, s[0:1], vcc
	v_cndmask_b32_e32 v2, v4, v2, vcc
	v_and_b32_e32 v4, 1, v6
	v_cndmask_b32_e32 v3, v5, v3, vcc
	v_cmp_eq_u32_e32 vcc, 1, v4
	s_andn2_b64 s[0:1], s[0:1], exec
	s_and_b64 s[8:9], vcc, exec
	v_and_b32_e32 v1, 0xff, v6
	s_or_b64 s[0:1], s[0:1], s[8:9]
; %bb.30:
	s_or_b64 exec, exec, s[2:3]
	v_mov_b32_dpp v6, v1 row_ror:4 row_mask:0xf bank_mask:0xf bound_ctrl:1
	v_and_b32_e32 v7, 1, v6
	v_mov_b32_dpp v4, v2 row_ror:4 row_mask:0xf bank_mask:0xf bound_ctrl:1
	v_mov_b32_dpp v5, v3 row_ror:4 row_mask:0xf bank_mask:0xf bound_ctrl:1
	v_cmp_eq_u32_e32 vcc, 1, v7
	s_and_saveexec_b64 s[2:3], vcc
; %bb.31:
	v_cmp_lt_i64_e32 vcc, v[2:3], v[4:5]
	v_cndmask_b32_e64 v6, v6, 1, s[0:1]
	s_and_b64 vcc, s[0:1], vcc
	v_cndmask_b32_e32 v2, v4, v2, vcc
	v_and_b32_e32 v4, 1, v6
	v_cndmask_b32_e32 v3, v5, v3, vcc
	v_cmp_eq_u32_e32 vcc, 1, v4
	s_andn2_b64 s[0:1], s[0:1], exec
	s_and_b64 s[8:9], vcc, exec
	v_and_b32_e32 v1, 0xff, v6
	s_or_b64 s[0:1], s[0:1], s[8:9]
; %bb.32:
	s_or_b64 exec, exec, s[2:3]
	v_mov_b32_dpp v6, v1 row_ror:8 row_mask:0xf bank_mask:0xf bound_ctrl:1
	v_and_b32_e32 v7, 1, v6
	v_mov_b32_dpp v4, v2 row_ror:8 row_mask:0xf bank_mask:0xf bound_ctrl:1
	v_mov_b32_dpp v5, v3 row_ror:8 row_mask:0xf bank_mask:0xf bound_ctrl:1
	v_cmp_eq_u32_e32 vcc, 1, v7
	s_and_saveexec_b64 s[2:3], vcc
; %bb.33:
	v_cmp_lt_i64_e32 vcc, v[2:3], v[4:5]
	v_cndmask_b32_e64 v6, v6, 1, s[0:1]
	s_and_b64 vcc, s[0:1], vcc
	v_cndmask_b32_e32 v2, v4, v2, vcc
	v_and_b32_e32 v4, 1, v6
	v_cndmask_b32_e32 v3, v5, v3, vcc
	v_cmp_eq_u32_e32 vcc, 1, v4
	s_andn2_b64 s[0:1], s[0:1], exec
	s_and_b64 s[8:9], vcc, exec
	v_and_b32_e32 v1, 0xff, v6
	s_or_b64 s[0:1], s[0:1], s[8:9]
; %bb.34:
	s_or_b64 exec, exec, s[2:3]
	v_mov_b32_dpp v6, v1 row_bcast:15 row_mask:0xf bank_mask:0xf bound_ctrl:1
	v_and_b32_e32 v7, 1, v6
	v_mov_b32_dpp v4, v2 row_bcast:15 row_mask:0xf bank_mask:0xf bound_ctrl:1
	v_mov_b32_dpp v5, v3 row_bcast:15 row_mask:0xf bank_mask:0xf bound_ctrl:1
	v_cmp_eq_u32_e32 vcc, 1, v7
	s_and_saveexec_b64 s[2:3], vcc
; %bb.35:
	v_cmp_lt_i64_e32 vcc, v[2:3], v[4:5]
	v_cndmask_b32_e64 v6, v6, 1, s[0:1]
	s_and_b64 vcc, s[0:1], vcc
	v_cndmask_b32_e32 v2, v4, v2, vcc
	v_and_b32_e32 v4, 1, v6
	v_cndmask_b32_e32 v3, v5, v3, vcc
	v_cmp_eq_u32_e32 vcc, 1, v4
	s_andn2_b64 s[0:1], s[0:1], exec
	s_and_b64 s[8:9], vcc, exec
	v_and_b32_e32 v1, 0xff, v6
	s_or_b64 s[0:1], s[0:1], s[8:9]
; %bb.36:
	s_or_b64 exec, exec, s[2:3]
	v_mov_b32_dpp v6, v1 row_bcast:31 row_mask:0xf bank_mask:0xf bound_ctrl:1
	v_and_b32_e32 v7, 1, v6
	v_mov_b32_dpp v4, v2 row_bcast:31 row_mask:0xf bank_mask:0xf bound_ctrl:1
	v_mov_b32_dpp v5, v3 row_bcast:31 row_mask:0xf bank_mask:0xf bound_ctrl:1
	v_cmp_eq_u32_e32 vcc, 1, v7
	s_and_saveexec_b64 s[2:3], vcc
; %bb.37:
	v_cmp_lt_i64_e32 vcc, v[2:3], v[4:5]
	v_and_b32_e32 v1, 0xff, v6
	s_and_b64 vcc, s[0:1], vcc
	v_cndmask_b32_e32 v2, v4, v2, vcc
	v_cndmask_b32_e32 v3, v5, v3, vcc
	v_cndmask_b32_e64 v1, v1, 1, s[0:1]
; %bb.38:
	s_or_b64 exec, exec, s[2:3]
	v_mbcnt_lo_u32_b32 v4, -1, 0
	v_mbcnt_hi_u32_b32 v4, -1, v4
	v_bfrev_b32_e32 v5, 0.5
	v_lshl_or_b32 v5, v4, 2, v5
	ds_bpermute_b32 v6, v5, v1
	ds_bpermute_b32 v2, v5, v2
	ds_bpermute_b32 v3, v5, v3
	v_cmp_eq_u32_e32 vcc, 0, v4
	s_and_saveexec_b64 s[0:1], vcc
	s_cbranch_execz .LBB183_40
; %bb.39:
	v_lshrrev_b32_e32 v1, 2, v0
	v_and_b32_e32 v1, 48, v1
	s_waitcnt lgkmcnt(2)
	ds_write_b8 v1, v6 offset:128
	s_waitcnt lgkmcnt(1)
	ds_write_b64 v1, v[2:3] offset:136
.LBB183_40:
	s_or_b64 exec, exec, s[0:1]
	v_cmp_gt_u32_e32 vcc, 64, v0
	s_waitcnt lgkmcnt(0)
	s_barrier
	s_and_saveexec_b64 s[2:3], vcc
	s_cbranch_execz .LBB183_42
; %bb.41:
	v_and_b32_e32 v1, 3, v4
	v_lshlrev_b32_e32 v2, 4, v1
	ds_read_u8 v5, v2 offset:128
	ds_read_b64 v[2:3], v2 offset:136
	v_cmp_ne_u32_e32 vcc, 3, v1
	v_addc_co_u32_e32 v6, vcc, 0, v4, vcc
	s_waitcnt lgkmcnt(1)
	v_and_b32_e32 v7, 0xff, v5
	v_lshlrev_b32_e32 v8, 2, v6
	ds_bpermute_b32 v9, v8, v7
	s_waitcnt lgkmcnt(1)
	ds_bpermute_b32 v6, v8, v2
	ds_bpermute_b32 v7, v8, v3
	v_and_b32_e32 v8, 1, v5
	s_waitcnt lgkmcnt(2)
	v_and_b32_e32 v10, 1, v9
	v_cmp_eq_u32_e64 s[0:1], 1, v10
	s_waitcnt lgkmcnt(0)
	v_cmp_lt_i64_e32 vcc, v[6:7], v[2:3]
	s_and_b64 vcc, s[0:1], vcc
	v_cndmask_b32_e64 v5, v5, 1, s[0:1]
	v_cndmask_b32_e32 v2, v2, v6, vcc
	v_cndmask_b32_e32 v3, v3, v7, vcc
	v_cmp_eq_u32_e32 vcc, 1, v8
	v_cndmask_b32_e32 v8, v9, v5, vcc
	v_cndmask_b32_e32 v3, v7, v3, vcc
	;; [unrolled: 1-line block ×3, first 2 shown]
	v_cmp_gt_u32_e32 vcc, 2, v1
	v_cndmask_b32_e64 v1, 0, 1, vcc
	v_lshlrev_b32_e32 v1, 1, v1
	v_and_b32_e32 v5, 0xff, v8
	v_add_lshl_u32 v1, v1, v4, 2
	ds_bpermute_b32 v6, v1, v5
	ds_bpermute_b32 v4, v1, v2
	;; [unrolled: 1-line block ×3, first 2 shown]
	v_and_b32_e32 v1, 1, v8
	s_waitcnt lgkmcnt(2)
	v_and_b32_e32 v7, 1, v6
	v_cmp_eq_u32_e64 s[0:1], 1, v7
	s_waitcnt lgkmcnt(0)
	v_cmp_lt_i64_e32 vcc, v[4:5], v[2:3]
	s_and_b64 vcc, s[0:1], vcc
	v_cndmask_b32_e64 v7, v8, 1, s[0:1]
	v_cndmask_b32_e32 v2, v2, v4, vcc
	v_cndmask_b32_e32 v3, v3, v5, vcc
	v_cmp_eq_u32_e32 vcc, 1, v1
	v_cndmask_b32_e32 v1, v6, v7, vcc
	v_cndmask_b32_e32 v3, v5, v3, vcc
	;; [unrolled: 1-line block ×3, first 2 shown]
	v_and_b32_e32 v6, 0xff, v1
.LBB183_42:
	s_or_b64 exec, exec, s[2:3]
	s_branch .LBB183_128
.LBB183_43:
                                        ; implicit-def: $vgpr4_vgpr5
                                        ; implicit-def: $vgpr1
	s_branch .LBB183_208
.LBB183_44:
                                        ; implicit-def: $vgpr2_vgpr3
                                        ; implicit-def: $vgpr7
	s_cbranch_execz .LBB183_89
; %bb.45:
	s_sub_i32 s41, s22, s36
	v_pk_mov_b32 v[4:5], 0, 0
	v_cmp_gt_u32_e32 vcc, s41, v0
	v_mov_b32_e32 v18, 0
	v_pk_mov_b32 v[2:3], v[4:5], v[4:5] op_sel:[0,1]
	v_mov_b32_e32 v1, 0
	s_and_saveexec_b64 s[0:1], vcc
	s_cbranch_execz .LBB183_47
; %bb.46:
	v_lshlrev_b32_e32 v1, 1, v0
	global_load_ushort v6, v1, s[30:31]
	global_load_ushort v7, v1, s[34:35]
	v_mov_b32_e32 v1, s40
	v_add_co_u32_e32 v2, vcc, s39, v0
	v_addc_co_u32_e32 v3, vcc, 0, v1, vcc
	s_waitcnt vmcnt(0)
	v_cmp_ne_u16_e32 vcc, v6, v7
	v_cndmask_b32_e64 v1, 0, 1, vcc
.LBB183_47:
	s_or_b64 exec, exec, s[0:1]
	v_or_b32_e32 v6, 0x100, v0
	v_cmp_gt_u32_e64 s[8:9], s41, v6
	s_and_saveexec_b64 s[0:1], s[8:9]
	s_cbranch_execz .LBB183_49
; %bb.48:
	v_lshlrev_b32_e32 v4, 1, v0
	global_load_ushort v7, v4, s[30:31] offset:512
	global_load_ushort v8, v4, s[34:35] offset:512
	v_mov_b32_e32 v5, s40
	v_add_co_u32_e32 v4, vcc, s39, v6
	v_addc_co_u32_e32 v5, vcc, 0, v5, vcc
	s_waitcnt vmcnt(0)
	v_cmp_ne_u16_e32 vcc, v7, v8
	v_cndmask_b32_e64 v18, 0, 1, vcc
.LBB183_49:
	s_or_b64 exec, exec, s[0:1]
	v_or_b32_e32 v8, 0x200, v0
	v_pk_mov_b32 v[6:7], 0, 0
	v_cmp_gt_u32_e32 vcc, s41, v8
	v_mov_b32_e32 v19, 0
	v_pk_mov_b32 v[12:13], v[6:7], v[6:7] op_sel:[0,1]
	v_mov_b32_e32 v23, 0
	s_and_saveexec_b64 s[2:3], vcc
	s_cbranch_execz .LBB183_51
; %bb.50:
	v_lshlrev_b32_e32 v9, 1, v0
	global_load_ushort v10, v9, s[30:31] offset:1024
	global_load_ushort v11, v9, s[34:35] offset:1024
	v_mov_b32_e32 v9, s40
	v_add_co_u32_e64 v12, s[0:1], s39, v8
	v_addc_co_u32_e64 v13, s[0:1], 0, v9, s[0:1]
	s_waitcnt vmcnt(0)
	v_cmp_ne_u16_e64 s[0:1], v10, v11
	v_cndmask_b32_e64 v23, 0, 1, s[0:1]
.LBB183_51:
	s_or_b64 exec, exec, s[2:3]
	v_or_b32_e32 v8, 0x300, v0
	v_cmp_gt_u32_e64 s[10:11], s41, v8
	s_and_saveexec_b64 s[2:3], s[10:11]
	s_cbranch_execz .LBB183_53
; %bb.52:
	v_lshlrev_b32_e32 v6, 1, v0
	global_load_ushort v9, v6, s[30:31] offset:1536
	global_load_ushort v10, v6, s[34:35] offset:1536
	v_mov_b32_e32 v7, s40
	v_add_co_u32_e64 v6, s[0:1], s39, v8
	v_addc_co_u32_e64 v7, s[0:1], 0, v7, s[0:1]
	s_waitcnt vmcnt(0)
	v_cmp_ne_u16_e64 s[0:1], v9, v10
	v_cndmask_b32_e64 v19, 0, 1, s[0:1]
.LBB183_53:
	s_or_b64 exec, exec, s[2:3]
	v_or_b32_e32 v10, 0x400, v0
	v_pk_mov_b32 v[8:9], 0, 0
	v_cmp_gt_u32_e64 s[0:1], s41, v10
	v_mov_b32_e32 v20, 0
	v_pk_mov_b32 v[14:15], v[8:9], v[8:9] op_sel:[0,1]
	v_mov_b32_e32 v24, 0
	s_and_saveexec_b64 s[12:13], s[0:1]
	s_cbranch_execz .LBB183_55
; %bb.54:
	v_lshlrev_b32_e32 v11, 1, v0
	global_load_ushort v16, v11, s[30:31] offset:2048
	global_load_ushort v17, v11, s[34:35] offset:2048
	v_mov_b32_e32 v11, s40
	v_add_co_u32_e64 v14, s[2:3], s39, v10
	v_addc_co_u32_e64 v15, s[2:3], 0, v11, s[2:3]
	s_waitcnt vmcnt(0)
	v_cmp_ne_u16_e64 s[2:3], v16, v17
	v_cndmask_b32_e64 v24, 0, 1, s[2:3]
.LBB183_55:
	s_or_b64 exec, exec, s[12:13]
	v_or_b32_e32 v10, 0x500, v0
	v_cmp_gt_u32_e64 s[12:13], s41, v10
	s_and_saveexec_b64 s[14:15], s[12:13]
	s_cbranch_execz .LBB183_57
; %bb.56:
	v_lshlrev_b32_e32 v8, 1, v0
	global_load_ushort v11, v8, s[30:31] offset:2560
	global_load_ushort v16, v8, s[34:35] offset:2560
	v_mov_b32_e32 v9, s40
	v_add_co_u32_e64 v8, s[2:3], s39, v10
	v_addc_co_u32_e64 v9, s[2:3], 0, v9, s[2:3]
	s_waitcnt vmcnt(0)
	v_cmp_ne_u16_e64 s[2:3], v11, v16
	v_cndmask_b32_e64 v20, 0, 1, s[2:3]
.LBB183_57:
	s_or_b64 exec, exec, s[14:15]
	v_or_b32_e32 v25, 0x600, v0
	v_pk_mov_b32 v[10:11], 0, 0
	v_cmp_gt_u32_e64 s[2:3], s41, v25
	v_mov_b32_e32 v21, 0
	v_mov_b32_e32 v22, 0
	v_pk_mov_b32 v[16:17], v[10:11], v[10:11] op_sel:[0,1]
	s_and_saveexec_b64 s[16:17], s[2:3]
	s_cbranch_execz .LBB183_59
; %bb.58:
	v_lshlrev_b32_e32 v16, 1, v0
	global_load_ushort v22, v16, s[30:31] offset:3072
	global_load_ushort v26, v16, s[34:35] offset:3072
	v_mov_b32_e32 v17, s40
	v_add_co_u32_e64 v16, s[14:15], s39, v25
	v_addc_co_u32_e64 v17, s[14:15], 0, v17, s[14:15]
	s_waitcnt vmcnt(0)
	v_cmp_ne_u16_e64 s[14:15], v22, v26
	v_cndmask_b32_e64 v22, 0, 1, s[14:15]
.LBB183_59:
	s_or_b64 exec, exec, s[16:17]
	v_or_b32_e32 v25, 0x700, v0
	v_cmp_gt_u32_e64 s[14:15], s41, v25
	s_and_saveexec_b64 s[36:37], s[14:15]
	s_cbranch_execnz .LBB183_240
; %bb.60:
	s_or_b64 exec, exec, s[36:37]
	s_and_saveexec_b64 s[30:31], s[8:9]
	s_cbranch_execnz .LBB183_241
.LBB183_61:
	s_or_b64 exec, exec, s[30:31]
	s_and_saveexec_b64 s[16:17], vcc
	s_cbranch_execnz .LBB183_242
.LBB183_62:
	s_or_b64 exec, exec, s[16:17]
	s_and_saveexec_b64 s[16:17], s[10:11]
	s_cbranch_execnz .LBB183_243
.LBB183_63:
	s_or_b64 exec, exec, s[16:17]
	s_and_saveexec_b64 s[8:9], s[0:1]
	s_cbranch_execnz .LBB183_244
.LBB183_64:
	s_or_b64 exec, exec, s[8:9]
	s_and_saveexec_b64 s[8:9], s[12:13]
	s_cbranch_execnz .LBB183_245
.LBB183_65:
	s_or_b64 exec, exec, s[8:9]
	s_and_saveexec_b64 s[8:9], s[2:3]
	s_cbranch_execnz .LBB183_246
.LBB183_66:
	s_or_b64 exec, exec, s[8:9]
	s_and_saveexec_b64 s[2:3], s[14:15]
	s_cbranch_execz .LBB183_68
.LBB183_67:
	v_and_b32_e32 v5, 1, v21
	v_cmp_lt_i64_e32 vcc, v[10:11], v[2:3]
	v_cmp_eq_u32_e64 s[0:1], 1, v5
	v_and_b32_e32 v4, 1, v1
	s_and_b64 vcc, s[0:1], vcc
	v_cndmask_b32_e64 v1, v1, 1, s[0:1]
	v_cndmask_b32_e32 v2, v2, v10, vcc
	v_cndmask_b32_e32 v3, v3, v11, vcc
	v_cmp_eq_u32_e32 vcc, 1, v4
	v_cndmask_b32_e32 v1, v21, v1, vcc
	v_cndmask_b32_e32 v3, v11, v3, vcc
	;; [unrolled: 1-line block ×3, first 2 shown]
.LBB183_68:
	s_or_b64 exec, exec, s[2:3]
	v_mbcnt_lo_u32_b32 v4, -1, 0
	v_mbcnt_hi_u32_b32 v6, -1, v4
	v_and_b32_e32 v8, 63, v6
	v_cmp_ne_u32_e32 vcc, 63, v8
	v_addc_co_u32_e32 v4, vcc, 0, v6, vcc
	v_and_b32_e32 v7, 0xffff, v1
	v_lshlrev_b32_e32 v5, 2, v4
	ds_bpermute_b32 v11, v5, v7
	ds_bpermute_b32 v4, v5, v2
	;; [unrolled: 1-line block ×3, first 2 shown]
	s_min_u32 s8, s41, 0x100
	v_and_b32_e32 v9, 0xc0, v0
	v_sub_u32_e64 v10, s8, v9 clamp
	v_add_u32_e32 v9, 1, v8
	v_cmp_lt_u32_e32 vcc, v9, v10
	v_mov_b32_e32 v9, v7
	s_and_saveexec_b64 s[0:1], vcc
	s_xor_b64 s[2:3], exec, s[0:1]
	s_cbranch_execz .LBB183_70
; %bb.69:
	s_waitcnt lgkmcnt(2)
	v_and_b32_e32 v9, 1, v11
	s_waitcnt lgkmcnt(0)
	v_cmp_lt_i64_e32 vcc, v[4:5], v[2:3]
	v_cmp_eq_u32_e64 s[0:1], 1, v9
	v_and_b32_e32 v1, 1, v1
	s_and_b64 vcc, s[0:1], vcc
	v_cndmask_b32_e64 v7, v7, 1, s[0:1]
	v_cndmask_b32_e32 v2, v2, v4, vcc
	v_cndmask_b32_e32 v3, v3, v5, vcc
	v_cmp_eq_u32_e32 vcc, 1, v1
	v_cndmask_b32_e32 v9, v11, v7, vcc
	v_cndmask_b32_e32 v3, v5, v3, vcc
	;; [unrolled: 1-line block ×3, first 2 shown]
	v_and_b32_e32 v7, 0xff, v9
.LBB183_70:
	s_or_b64 exec, exec, s[2:3]
	v_cmp_gt_u32_e32 vcc, 62, v8
	v_cndmask_b32_e64 v1, 0, 1, vcc
	v_lshlrev_b32_e32 v1, 1, v1
	s_waitcnt lgkmcnt(0)
	v_add_lshl_u32 v5, v1, v6, 2
	ds_bpermute_b32 v1, v5, v7
	ds_bpermute_b32 v4, v5, v2
	ds_bpermute_b32 v5, v5, v3
	v_add_u32_e32 v11, 2, v8
	v_cmp_lt_u32_e32 vcc, v11, v10
	s_and_saveexec_b64 s[2:3], vcc
	s_cbranch_execz .LBB183_72
; %bb.71:
	s_waitcnt lgkmcnt(2)
	v_and_b32_e32 v11, 1, v1
	s_waitcnt lgkmcnt(0)
	v_cmp_lt_i64_e32 vcc, v[4:5], v[2:3]
	v_cmp_eq_u32_e64 s[0:1], 1, v11
	v_and_b32_e32 v7, 1, v9
	s_and_b64 vcc, s[0:1], vcc
	v_cndmask_b32_e64 v9, v9, 1, s[0:1]
	v_cndmask_b32_e32 v2, v2, v4, vcc
	v_cndmask_b32_e32 v3, v3, v5, vcc
	v_cmp_eq_u32_e32 vcc, 1, v7
	v_cndmask_b32_e32 v9, v1, v9, vcc
	v_cndmask_b32_e32 v3, v5, v3, vcc
	v_cndmask_b32_e32 v2, v4, v2, vcc
	v_and_b32_e32 v7, 0xff, v9
.LBB183_72:
	s_or_b64 exec, exec, s[2:3]
	v_cmp_gt_u32_e32 vcc, 60, v8
	s_waitcnt lgkmcnt(2)
	v_cndmask_b32_e64 v1, 0, 1, vcc
	v_lshlrev_b32_e32 v1, 2, v1
	s_waitcnt lgkmcnt(0)
	v_add_lshl_u32 v5, v1, v6, 2
	ds_bpermute_b32 v1, v5, v7
	ds_bpermute_b32 v4, v5, v2
	ds_bpermute_b32 v5, v5, v3
	v_add_u32_e32 v11, 4, v8
	v_cmp_lt_u32_e32 vcc, v11, v10
	s_and_saveexec_b64 s[2:3], vcc
	s_cbranch_execz .LBB183_74
; %bb.73:
	s_waitcnt lgkmcnt(2)
	v_and_b32_e32 v11, 1, v1
	s_waitcnt lgkmcnt(0)
	v_cmp_lt_i64_e32 vcc, v[4:5], v[2:3]
	v_cmp_eq_u32_e64 s[0:1], 1, v11
	v_and_b32_e32 v7, 1, v9
	s_and_b64 vcc, s[0:1], vcc
	v_cndmask_b32_e64 v9, v9, 1, s[0:1]
	v_cndmask_b32_e32 v2, v2, v4, vcc
	v_cndmask_b32_e32 v3, v3, v5, vcc
	v_cmp_eq_u32_e32 vcc, 1, v7
	v_cndmask_b32_e32 v9, v1, v9, vcc
	v_cndmask_b32_e32 v3, v5, v3, vcc
	v_cndmask_b32_e32 v2, v4, v2, vcc
	v_and_b32_e32 v7, 0xff, v9
.LBB183_74:
	s_or_b64 exec, exec, s[2:3]
	v_cmp_gt_u32_e32 vcc, 56, v8
	s_waitcnt lgkmcnt(2)
	;; [unrolled: 31-line block ×4, first 2 shown]
	v_cndmask_b32_e64 v1, 0, 1, vcc
	v_lshlrev_b32_e32 v1, 5, v1
	s_waitcnt lgkmcnt(0)
	v_add_lshl_u32 v5, v1, v6, 2
	ds_bpermute_b32 v1, v5, v7
	ds_bpermute_b32 v4, v5, v2
	;; [unrolled: 1-line block ×3, first 2 shown]
	v_add_u32_e32 v8, 32, v8
	v_cmp_lt_u32_e32 vcc, v8, v10
	s_and_saveexec_b64 s[2:3], vcc
	s_cbranch_execz .LBB183_80
; %bb.79:
	s_waitcnt lgkmcnt(2)
	v_and_b32_e32 v8, 1, v1
	s_waitcnt lgkmcnt(0)
	v_cmp_lt_i64_e32 vcc, v[4:5], v[2:3]
	v_cmp_eq_u32_e64 s[0:1], 1, v8
	v_and_b32_e32 v7, 1, v9
	s_and_b64 vcc, s[0:1], vcc
	v_cndmask_b32_e64 v8, v9, 1, s[0:1]
	v_cndmask_b32_e32 v2, v2, v4, vcc
	v_cndmask_b32_e32 v3, v3, v5, vcc
	v_cmp_eq_u32_e32 vcc, 1, v7
	v_cndmask_b32_e32 v9, v1, v8, vcc
	v_cndmask_b32_e32 v3, v5, v3, vcc
	;; [unrolled: 1-line block ×3, first 2 shown]
	v_and_b32_e32 v7, 0xff, v9
.LBB183_80:
	s_or_b64 exec, exec, s[2:3]
	v_cmp_eq_u32_e32 vcc, 0, v6
	s_and_saveexec_b64 s[0:1], vcc
	s_cbranch_execz .LBB183_82
; %bb.81:
	s_waitcnt lgkmcnt(2)
	v_lshrrev_b32_e32 v1, 2, v0
	v_and_b32_e32 v1, 48, v1
	ds_write_b8 v1, v9 offset:256
	ds_write_b64 v1, v[2:3] offset:264
.LBB183_82:
	s_or_b64 exec, exec, s[0:1]
	v_cmp_gt_u32_e32 vcc, 4, v0
	s_waitcnt lgkmcnt(0)
	s_barrier
	s_and_saveexec_b64 s[2:3], vcc
	s_cbranch_execz .LBB183_88
; %bb.83:
	v_lshlrev_b32_e32 v2, 4, v6
	ds_read_u8 v1, v2 offset:256
	ds_read_b64 v[2:3], v2 offset:264
	v_and_b32_e32 v8, 3, v6
	v_cmp_ne_u32_e32 vcc, 3, v8
	v_addc_co_u32_e32 v4, vcc, 0, v6, vcc
	s_waitcnt lgkmcnt(1)
	v_and_b32_e32 v7, 0xff, v1
	v_lshlrev_b32_e32 v5, 2, v4
	ds_bpermute_b32 v9, v5, v7
	s_waitcnt lgkmcnt(1)
	ds_bpermute_b32 v4, v5, v2
	ds_bpermute_b32 v5, v5, v3
	s_add_i32 s8, s8, 63
	s_lshr_b32 s10, s8, 6
	v_add_u32_e32 v10, 1, v8
	v_cmp_gt_u32_e32 vcc, s10, v10
	s_and_saveexec_b64 s[8:9], vcc
	s_cbranch_execz .LBB183_85
; %bb.84:
	s_waitcnt lgkmcnt(2)
	v_and_b32_e32 v10, 1, v9
	s_waitcnt lgkmcnt(0)
	v_cmp_lt_i64_e32 vcc, v[4:5], v[2:3]
	v_cmp_eq_u32_e64 s[0:1], 1, v10
	v_and_b32_e32 v7, 1, v1
	s_and_b64 vcc, s[0:1], vcc
	v_cndmask_b32_e64 v1, v1, 1, s[0:1]
	v_cndmask_b32_e32 v2, v2, v4, vcc
	v_cndmask_b32_e32 v3, v3, v5, vcc
	v_cmp_eq_u32_e32 vcc, 1, v7
	v_cndmask_b32_e32 v1, v9, v1, vcc
	v_cndmask_b32_e32 v3, v5, v3, vcc
	;; [unrolled: 1-line block ×3, first 2 shown]
	v_and_b32_e32 v7, 0xff, v1
.LBB183_85:
	s_or_b64 exec, exec, s[8:9]
	v_cmp_gt_u32_e32 vcc, 2, v8
	s_waitcnt lgkmcnt(1)
	v_cndmask_b32_e64 v4, 0, 1, vcc
	v_lshlrev_b32_e32 v4, 1, v4
	s_waitcnt lgkmcnt(0)
	v_add_lshl_u32 v5, v4, v6, 2
	ds_bpermute_b32 v6, v5, v7
	ds_bpermute_b32 v4, v5, v2
	;; [unrolled: 1-line block ×3, first 2 shown]
	v_add_u32_e32 v8, 2, v8
	v_cmp_gt_u32_e32 vcc, s10, v8
	s_and_saveexec_b64 s[8:9], vcc
	s_cbranch_execz .LBB183_87
; %bb.86:
	s_waitcnt lgkmcnt(2)
	v_and_b32_e32 v8, 1, v6
	s_waitcnt lgkmcnt(0)
	v_cmp_lt_i64_e32 vcc, v[4:5], v[2:3]
	v_cmp_eq_u32_e64 s[0:1], 1, v8
	v_and_b32_e32 v7, 1, v1
	s_and_b64 vcc, s[0:1], vcc
	v_cndmask_b32_e64 v1, v1, 1, s[0:1]
	v_cndmask_b32_e32 v2, v2, v4, vcc
	v_cndmask_b32_e32 v3, v3, v5, vcc
	v_cmp_eq_u32_e32 vcc, 1, v7
	v_cndmask_b32_e32 v1, v6, v1, vcc
	v_cndmask_b32_e32 v3, v5, v3, vcc
	;; [unrolled: 1-line block ×3, first 2 shown]
	v_and_b32_e32 v7, 0xff, v1
.LBB183_87:
	s_or_b64 exec, exec, s[8:9]
.LBB183_88:
	s_or_b64 exec, exec, s[2:3]
.LBB183_89:
	v_cmp_eq_u32_e32 vcc, 0, v0
	s_mov_b64 s[10:11], 0
                                        ; implicit-def: $vgpr4_vgpr5
                                        ; implicit-def: $vgpr1
	s_and_saveexec_b64 s[0:1], vcc
	s_xor_b64 s[8:9], exec, s[0:1]
	s_cbranch_execz .LBB183_93
; %bb.90:
	s_cmp_eq_u64 s[22:23], 0
	s_waitcnt lgkmcnt(0)
	v_pk_mov_b32 v[4:5], s[18:19], s[18:19] op_sel:[0,1]
	v_mov_b32_e32 v1, s33
	s_cbranch_scc1 .LBB183_92
; %bb.91:
	v_and_b32_e32 v1, 1, v7
	s_bitcmp1_b32 s33, 0
	v_mov_b32_e32 v4, s33
	v_cmp_eq_u32_e32 vcc, 1, v1
	v_cmp_gt_i64_e64 s[2:3], s[18:19], v[2:3]
	v_cndmask_b32_e64 v1, v4, 1, vcc
	s_cselect_b64 s[0:1], -1, 0
	v_mov_b32_e32 v4, s18
	s_and_b64 vcc, vcc, s[2:3]
	v_mov_b32_e32 v5, s19
	v_cndmask_b32_e32 v4, v4, v2, vcc
	v_cndmask_b32_e32 v5, v5, v3, vcc
	v_cndmask_b32_e64 v1, v7, v1, s[0:1]
	v_cndmask_b32_e64 v5, v3, v5, s[0:1]
	;; [unrolled: 1-line block ×3, first 2 shown]
.LBB183_92:
	s_mov_b64 s[10:11], exec
.LBB183_93:
	s_or_b64 exec, exec, s[8:9]
	s_and_b64 vcc, exec, s[28:29]
	s_cbranch_vccnz .LBB183_24
.LBB183_94:
	s_branch .LBB183_208
.LBB183_95:
                                        ; implicit-def: $vgpr2_vgpr3
                                        ; implicit-def: $vgpr6
	s_cbranch_execz .LBB183_128
; %bb.96:
	s_sub_i32 s30, s22, s16
	s_waitcnt lgkmcnt(0)
	v_pk_mov_b32 v[4:5], 0, 0
	v_cmp_gt_u32_e32 vcc, s30, v0
	v_mov_b32_e32 v1, 0
	v_pk_mov_b32 v[2:3], v[4:5], v[4:5] op_sel:[0,1]
	v_mov_b32_e32 v10, 0
	s_and_saveexec_b64 s[0:1], vcc
	s_cbranch_execz .LBB183_98
; %bb.97:
	v_lshlrev_b32_e32 v2, 1, v0
	global_load_ushort v6, v2, s[12:13]
	global_load_ushort v7, v2, s[14:15]
	v_mov_b32_e32 v3, s29
	v_add_co_u32_e32 v2, vcc, s28, v0
	v_addc_co_u32_e32 v3, vcc, 0, v3, vcc
	s_waitcnt vmcnt(0)
	v_cmp_ne_u16_e32 vcc, v6, v7
	v_cndmask_b32_e64 v10, 0, 1, vcc
.LBB183_98:
	s_or_b64 exec, exec, s[0:1]
	v_or_b32_e32 v6, 0x100, v0
	v_cmp_gt_u32_e64 s[0:1], s30, v6
	s_and_saveexec_b64 s[2:3], s[0:1]
	s_cbranch_execz .LBB183_100
; %bb.99:
	v_lshlrev_b32_e32 v1, 1, v0
	global_load_ushort v7, v1, s[12:13] offset:512
	global_load_ushort v8, v1, s[14:15] offset:512
	v_mov_b32_e32 v1, s29
	v_add_co_u32_e32 v4, vcc, s28, v6
	v_addc_co_u32_e32 v5, vcc, 0, v1, vcc
	s_waitcnt vmcnt(0)
	v_cmp_ne_u16_e32 vcc, v7, v8
	v_cndmask_b32_e64 v1, 0, 1, vcc
.LBB183_100:
	s_or_b64 exec, exec, s[2:3]
	v_or_b32_e32 v13, 0x200, v0
	v_pk_mov_b32 v[6:7], 0, 0
	v_cmp_gt_u32_e32 vcc, s30, v13
	v_mov_b32_e32 v11, 0
	v_pk_mov_b32 v[8:9], v[6:7], v[6:7] op_sel:[0,1]
	v_mov_b32_e32 v12, 0
	s_and_saveexec_b64 s[8:9], vcc
	s_cbranch_execz .LBB183_102
; %bb.101:
	v_lshlrev_b32_e32 v8, 1, v0
	global_load_ushort v12, v8, s[12:13] offset:1024
	global_load_ushort v14, v8, s[14:15] offset:1024
	v_mov_b32_e32 v9, s29
	v_add_co_u32_e64 v8, s[2:3], s28, v13
	v_addc_co_u32_e64 v9, s[2:3], 0, v9, s[2:3]
	s_waitcnt vmcnt(0)
	v_cmp_ne_u16_e64 s[2:3], v12, v14
	v_cndmask_b32_e64 v12, 0, 1, s[2:3]
.LBB183_102:
	s_or_b64 exec, exec, s[8:9]
	v_or_b32_e32 v13, 0x300, v0
	v_cmp_gt_u32_e64 s[2:3], s30, v13
	s_and_saveexec_b64 s[16:17], s[2:3]
	s_cbranch_execnz .LBB183_247
; %bb.103:
	s_or_b64 exec, exec, s[16:17]
	s_and_saveexec_b64 s[12:13], s[0:1]
	s_cbranch_execnz .LBB183_248
.LBB183_104:
	s_or_b64 exec, exec, s[12:13]
	s_and_saveexec_b64 s[8:9], vcc
	s_cbranch_execnz .LBB183_249
.LBB183_105:
	s_or_b64 exec, exec, s[8:9]
	s_and_saveexec_b64 s[8:9], s[2:3]
	s_cbranch_execz .LBB183_107
.LBB183_106:
	v_and_b32_e32 v4, 1, v11
	v_cmp_lt_i64_e32 vcc, v[6:7], v[2:3]
	v_cmp_eq_u32_e64 s[0:1], 1, v4
	v_and_b32_e32 v1, 1, v10
	s_and_b64 vcc, s[0:1], vcc
	v_cndmask_b32_e64 v4, v10, 1, s[0:1]
	v_cndmask_b32_e32 v2, v2, v6, vcc
	v_cndmask_b32_e32 v3, v3, v7, vcc
	v_cmp_eq_u32_e32 vcc, 1, v1
	v_cndmask_b32_e32 v10, v11, v4, vcc
	v_cndmask_b32_e32 v3, v7, v3, vcc
	;; [unrolled: 1-line block ×3, first 2 shown]
.LBB183_107:
	s_or_b64 exec, exec, s[8:9]
	v_mbcnt_lo_u32_b32 v1, -1, 0
	v_mbcnt_hi_u32_b32 v1, -1, v1
	v_and_b32_e32 v7, 63, v1
	v_cmp_ne_u32_e32 vcc, 63, v7
	v_addc_co_u32_e32 v4, vcc, 0, v1, vcc
	v_and_b32_e32 v6, 0xffff, v10
	v_lshlrev_b32_e32 v5, 2, v4
	ds_bpermute_b32 v11, v5, v6
	ds_bpermute_b32 v4, v5, v2
	;; [unrolled: 1-line block ×3, first 2 shown]
	s_min_u32 s8, s30, 0x100
	v_and_b32_e32 v8, 0xc0, v0
	v_sub_u32_e64 v9, s8, v8 clamp
	v_add_u32_e32 v8, 1, v7
	v_cmp_lt_u32_e32 vcc, v8, v9
	v_mov_b32_e32 v8, v6
	s_and_saveexec_b64 s[0:1], vcc
	s_xor_b64 s[2:3], exec, s[0:1]
	s_cbranch_execz .LBB183_109
; %bb.108:
	v_and_b32_e32 v8, 1, v10
	s_waitcnt lgkmcnt(2)
	v_and_b32_e32 v10, 1, v11
	s_waitcnt lgkmcnt(0)
	v_cmp_lt_i64_e32 vcc, v[4:5], v[2:3]
	v_cmp_eq_u32_e64 s[0:1], 1, v10
	s_and_b64 vcc, s[0:1], vcc
	v_cndmask_b32_e64 v6, v6, 1, s[0:1]
	v_cndmask_b32_e32 v2, v2, v4, vcc
	v_cndmask_b32_e32 v3, v3, v5, vcc
	v_cmp_eq_u32_e32 vcc, 1, v8
	v_cndmask_b32_e32 v8, v11, v6, vcc
	v_cndmask_b32_e32 v3, v5, v3, vcc
	;; [unrolled: 1-line block ×3, first 2 shown]
	v_and_b32_e32 v6, 0xff, v8
.LBB183_109:
	s_or_b64 exec, exec, s[2:3]
	v_cmp_gt_u32_e32 vcc, 62, v7
	s_waitcnt lgkmcnt(1)
	v_cndmask_b32_e64 v4, 0, 1, vcc
	v_lshlrev_b32_e32 v4, 1, v4
	s_waitcnt lgkmcnt(0)
	v_add_lshl_u32 v5, v4, v1, 2
	ds_bpermute_b32 v10, v5, v6
	ds_bpermute_b32 v4, v5, v2
	ds_bpermute_b32 v5, v5, v3
	v_add_u32_e32 v11, 2, v7
	v_cmp_lt_u32_e32 vcc, v11, v9
	s_and_saveexec_b64 s[2:3], vcc
	s_cbranch_execz .LBB183_111
; %bb.110:
	s_waitcnt lgkmcnt(2)
	v_and_b32_e32 v11, 1, v10
	s_waitcnt lgkmcnt(0)
	v_cmp_lt_i64_e32 vcc, v[4:5], v[2:3]
	v_cmp_eq_u32_e64 s[0:1], 1, v11
	v_and_b32_e32 v6, 1, v8
	s_and_b64 vcc, s[0:1], vcc
	v_cndmask_b32_e64 v8, v8, 1, s[0:1]
	v_cndmask_b32_e32 v2, v2, v4, vcc
	v_cndmask_b32_e32 v3, v3, v5, vcc
	v_cmp_eq_u32_e32 vcc, 1, v6
	v_cndmask_b32_e32 v8, v10, v8, vcc
	v_cndmask_b32_e32 v3, v5, v3, vcc
	v_cndmask_b32_e32 v2, v4, v2, vcc
	v_and_b32_e32 v6, 0xff, v8
.LBB183_111:
	s_or_b64 exec, exec, s[2:3]
	v_cmp_gt_u32_e32 vcc, 60, v7
	s_waitcnt lgkmcnt(1)
	v_cndmask_b32_e64 v4, 0, 1, vcc
	v_lshlrev_b32_e32 v4, 2, v4
	s_waitcnt lgkmcnt(0)
	v_add_lshl_u32 v5, v4, v1, 2
	ds_bpermute_b32 v10, v5, v6
	ds_bpermute_b32 v4, v5, v2
	ds_bpermute_b32 v5, v5, v3
	v_add_u32_e32 v11, 4, v7
	v_cmp_lt_u32_e32 vcc, v11, v9
	s_and_saveexec_b64 s[2:3], vcc
	s_cbranch_execz .LBB183_113
; %bb.112:
	s_waitcnt lgkmcnt(2)
	v_and_b32_e32 v11, 1, v10
	s_waitcnt lgkmcnt(0)
	v_cmp_lt_i64_e32 vcc, v[4:5], v[2:3]
	v_cmp_eq_u32_e64 s[0:1], 1, v11
	v_and_b32_e32 v6, 1, v8
	s_and_b64 vcc, s[0:1], vcc
	v_cndmask_b32_e64 v8, v8, 1, s[0:1]
	v_cndmask_b32_e32 v2, v2, v4, vcc
	v_cndmask_b32_e32 v3, v3, v5, vcc
	v_cmp_eq_u32_e32 vcc, 1, v6
	v_cndmask_b32_e32 v8, v10, v8, vcc
	v_cndmask_b32_e32 v3, v5, v3, vcc
	v_cndmask_b32_e32 v2, v4, v2, vcc
	v_and_b32_e32 v6, 0xff, v8
.LBB183_113:
	;; [unrolled: 31-line block ×5, first 2 shown]
	s_or_b64 exec, exec, s[2:3]
	v_cmp_eq_u32_e32 vcc, 0, v1
	s_and_saveexec_b64 s[0:1], vcc
	s_cbranch_execz .LBB183_121
; %bb.120:
	s_waitcnt lgkmcnt(1)
	v_lshrrev_b32_e32 v4, 2, v0
	v_and_b32_e32 v4, 48, v4
	ds_write_b8 v4, v8 offset:256
	ds_write_b64 v4, v[2:3] offset:264
.LBB183_121:
	s_or_b64 exec, exec, s[0:1]
	v_cmp_gt_u32_e32 vcc, 4, v0
	s_waitcnt lgkmcnt(0)
	s_barrier
	s_and_saveexec_b64 s[2:3], vcc
	s_cbranch_execz .LBB183_127
; %bb.122:
	v_lshlrev_b32_e32 v2, 4, v1
	ds_read_u8 v7, v2 offset:256
	ds_read_b64 v[2:3], v2 offset:264
	v_and_b32_e32 v8, 3, v1
	v_cmp_ne_u32_e32 vcc, 3, v8
	v_addc_co_u32_e32 v4, vcc, 0, v1, vcc
	s_waitcnt lgkmcnt(1)
	v_and_b32_e32 v6, 0xff, v7
	v_lshlrev_b32_e32 v5, 2, v4
	ds_bpermute_b32 v9, v5, v6
	s_waitcnt lgkmcnt(1)
	ds_bpermute_b32 v4, v5, v2
	ds_bpermute_b32 v5, v5, v3
	s_add_i32 s8, s8, 63
	s_lshr_b32 s12, s8, 6
	v_add_u32_e32 v10, 1, v8
	v_cmp_gt_u32_e32 vcc, s12, v10
	s_and_saveexec_b64 s[8:9], vcc
	s_cbranch_execz .LBB183_124
; %bb.123:
	s_waitcnt lgkmcnt(2)
	v_and_b32_e32 v10, 1, v9
	s_waitcnt lgkmcnt(0)
	v_cmp_lt_i64_e32 vcc, v[4:5], v[2:3]
	v_cmp_eq_u32_e64 s[0:1], 1, v10
	v_and_b32_e32 v6, 1, v7
	s_and_b64 vcc, s[0:1], vcc
	v_cndmask_b32_e64 v7, v7, 1, s[0:1]
	v_cndmask_b32_e32 v2, v2, v4, vcc
	v_cndmask_b32_e32 v3, v3, v5, vcc
	v_cmp_eq_u32_e32 vcc, 1, v6
	v_cndmask_b32_e32 v7, v9, v7, vcc
	v_cndmask_b32_e32 v3, v5, v3, vcc
	;; [unrolled: 1-line block ×3, first 2 shown]
	v_and_b32_e32 v6, 0xff, v7
.LBB183_124:
	s_or_b64 exec, exec, s[8:9]
	v_cmp_gt_u32_e32 vcc, 2, v8
	s_waitcnt lgkmcnt(1)
	v_cndmask_b32_e64 v4, 0, 1, vcc
	v_lshlrev_b32_e32 v4, 1, v4
	s_waitcnt lgkmcnt(0)
	v_add_lshl_u32 v5, v4, v1, 2
	ds_bpermute_b32 v1, v5, v6
	ds_bpermute_b32 v4, v5, v2
	;; [unrolled: 1-line block ×3, first 2 shown]
	v_add_u32_e32 v8, 2, v8
	v_cmp_gt_u32_e32 vcc, s12, v8
	s_and_saveexec_b64 s[8:9], vcc
	s_cbranch_execz .LBB183_126
; %bb.125:
	s_waitcnt lgkmcnt(2)
	v_and_b32_e32 v8, 1, v1
	s_waitcnt lgkmcnt(0)
	v_cmp_lt_i64_e32 vcc, v[4:5], v[2:3]
	v_cmp_eq_u32_e64 s[0:1], 1, v8
	v_and_b32_e32 v6, 1, v7
	s_and_b64 vcc, s[0:1], vcc
	v_cndmask_b32_e64 v7, v7, 1, s[0:1]
	v_cndmask_b32_e32 v2, v2, v4, vcc
	v_cndmask_b32_e32 v3, v3, v5, vcc
	v_cmp_eq_u32_e32 vcc, 1, v6
	v_cndmask_b32_e32 v1, v1, v7, vcc
	v_cndmask_b32_e32 v3, v5, v3, vcc
	;; [unrolled: 1-line block ×3, first 2 shown]
	v_and_b32_e32 v6, 0xff, v1
.LBB183_126:
	s_or_b64 exec, exec, s[8:9]
.LBB183_127:
	s_or_b64 exec, exec, s[2:3]
.LBB183_128:
	v_cmp_eq_u32_e32 vcc, 0, v0
                                        ; implicit-def: $vgpr4_vgpr5
                                        ; implicit-def: $vgpr1
	s_and_saveexec_b64 s[0:1], vcc
	s_xor_b64 s[8:9], exec, s[0:1]
	s_cbranch_execz .LBB183_132
; %bb.129:
	s_cmp_eq_u64 s[22:23], 0
	s_waitcnt lgkmcnt(0)
	v_pk_mov_b32 v[4:5], s[18:19], s[18:19] op_sel:[0,1]
	v_mov_b32_e32 v1, s33
	s_cbranch_scc1 .LBB183_131
; %bb.130:
	v_and_b32_e32 v1, 1, v6
	s_bitcmp1_b32 s33, 0
	v_mov_b32_e32 v4, s33
	v_cmp_eq_u32_e32 vcc, 1, v1
	v_cmp_gt_i64_e64 s[2:3], s[18:19], v[2:3]
	v_cndmask_b32_e64 v1, v4, 1, vcc
	s_cselect_b64 s[0:1], -1, 0
	v_mov_b32_e32 v4, s18
	s_and_b64 vcc, vcc, s[2:3]
	v_mov_b32_e32 v5, s19
	v_cndmask_b32_e32 v4, v4, v2, vcc
	v_cndmask_b32_e32 v5, v5, v3, vcc
	v_cndmask_b32_e64 v1, v6, v1, s[0:1]
	v_cndmask_b32_e64 v5, v3, v5, s[0:1]
	;; [unrolled: 1-line block ×3, first 2 shown]
.LBB183_131:
	s_or_b64 s[10:11], s[10:11], exec
.LBB183_132:
	s_or_b64 exec, exec, s[8:9]
	s_branch .LBB183_208
.LBB183_133:
	s_cmp_gt_i32 s38, 1
	s_cbranch_scc0 .LBB183_153
; %bb.134:
	s_cmp_eq_u32 s38, 2
	s_cbranch_scc0 .LBB183_154
; %bb.135:
	s_mov_b32 s7, 0
	s_lshl_b32 s12, s6, 9
	s_mov_b32 s13, s7
	s_lshr_b64 s[0:1], s[22:23], 9
	s_lshl_b64 s[8:9], s[12:13], 1
	s_add_u32 s2, s24, s8
	s_addc_u32 s3, s25, s9
	s_add_u32 s8, s26, s8
	s_addc_u32 s9, s27, s9
	;; [unrolled: 2-line block ×3, first 2 shown]
	s_cmp_lg_u64 s[0:1], s[6:7]
	s_cbranch_scc0 .LBB183_155
; %bb.136:
	s_waitcnt lgkmcnt(2)
	v_lshlrev_b32_e32 v1, 1, v0
	global_load_ushort v2, v1, s[8:9] offset:512
	global_load_ushort v3, v1, s[8:9]
	s_waitcnt lgkmcnt(1)
	global_load_ushort v4, v1, s[2:3] offset:512
	s_waitcnt lgkmcnt(0)
	global_load_ushort v5, v1, s[2:3]
	v_mov_b32_e32 v1, s17
	v_add_co_u32_e32 v6, vcc, s16, v0
	v_addc_co_u32_e32 v1, vcc, 0, v1, vcc
	v_add_co_u32_e32 v7, vcc, 0x100, v6
	v_addc_co_u32_e32 v8, vcc, 0, v1, vcc
	s_waitcnt vmcnt(1)
	v_cmp_ne_u16_e32 vcc, v4, v2
	s_waitcnt vmcnt(0)
	v_cmp_ne_u16_e64 s[0:1], v5, v3
	v_cndmask_b32_e64 v3, v8, v1, s[0:1]
	v_cndmask_b32_e64 v2, v7, v6, s[0:1]
	s_or_b64 s[0:1], s[0:1], vcc
	v_cndmask_b32_e64 v1, 0, 1, s[0:1]
	v_mov_b32_dpp v4, v2 quad_perm:[1,0,3,2] row_mask:0xf bank_mask:0xf bound_ctrl:1
	v_mov_b32_dpp v5, v3 quad_perm:[1,0,3,2] row_mask:0xf bank_mask:0xf bound_ctrl:1
	;; [unrolled: 1-line block ×3, first 2 shown]
	v_and_b32_e32 v7, 1, v6
	v_cmp_eq_u32_e32 vcc, 1, v7
	s_and_saveexec_b64 s[14:15], vcc
; %bb.137:
	v_cmp_lt_i64_e32 vcc, v[2:3], v[4:5]
	v_cndmask_b32_e64 v6, v6, 1, s[0:1]
	s_and_b64 vcc, s[0:1], vcc
	v_cndmask_b32_e32 v2, v4, v2, vcc
	v_and_b32_e32 v4, 1, v6
	v_cndmask_b32_e32 v3, v5, v3, vcc
	v_cmp_eq_u32_e32 vcc, 1, v4
	s_andn2_b64 s[0:1], s[0:1], exec
	s_and_b64 s[28:29], vcc, exec
	v_and_b32_e32 v1, 0xff, v6
	s_or_b64 s[0:1], s[0:1], s[28:29]
; %bb.138:
	s_or_b64 exec, exec, s[14:15]
	v_mov_b32_dpp v6, v1 quad_perm:[2,3,0,1] row_mask:0xf bank_mask:0xf bound_ctrl:1
	v_and_b32_e32 v7, 1, v6
	v_mov_b32_dpp v4, v2 quad_perm:[2,3,0,1] row_mask:0xf bank_mask:0xf bound_ctrl:1
	v_mov_b32_dpp v5, v3 quad_perm:[2,3,0,1] row_mask:0xf bank_mask:0xf bound_ctrl:1
	v_cmp_eq_u32_e32 vcc, 1, v7
	s_and_saveexec_b64 s[14:15], vcc
; %bb.139:
	v_cmp_lt_i64_e32 vcc, v[2:3], v[4:5]
	v_cndmask_b32_e64 v6, v6, 1, s[0:1]
	s_and_b64 vcc, s[0:1], vcc
	v_cndmask_b32_e32 v2, v4, v2, vcc
	v_and_b32_e32 v4, 1, v6
	v_cndmask_b32_e32 v3, v5, v3, vcc
	v_cmp_eq_u32_e32 vcc, 1, v4
	s_andn2_b64 s[0:1], s[0:1], exec
	s_and_b64 s[28:29], vcc, exec
	v_and_b32_e32 v1, 0xff, v6
	s_or_b64 s[0:1], s[0:1], s[28:29]
; %bb.140:
	s_or_b64 exec, exec, s[14:15]
	v_mov_b32_dpp v6, v1 row_ror:4 row_mask:0xf bank_mask:0xf bound_ctrl:1
	v_and_b32_e32 v7, 1, v6
	v_mov_b32_dpp v4, v2 row_ror:4 row_mask:0xf bank_mask:0xf bound_ctrl:1
	v_mov_b32_dpp v5, v3 row_ror:4 row_mask:0xf bank_mask:0xf bound_ctrl:1
	v_cmp_eq_u32_e32 vcc, 1, v7
	s_and_saveexec_b64 s[14:15], vcc
; %bb.141:
	v_cmp_lt_i64_e32 vcc, v[2:3], v[4:5]
	v_cndmask_b32_e64 v6, v6, 1, s[0:1]
	s_and_b64 vcc, s[0:1], vcc
	v_cndmask_b32_e32 v2, v4, v2, vcc
	v_and_b32_e32 v4, 1, v6
	v_cndmask_b32_e32 v3, v5, v3, vcc
	v_cmp_eq_u32_e32 vcc, 1, v4
	s_andn2_b64 s[0:1], s[0:1], exec
	s_and_b64 s[28:29], vcc, exec
	v_and_b32_e32 v1, 0xff, v6
	s_or_b64 s[0:1], s[0:1], s[28:29]
; %bb.142:
	s_or_b64 exec, exec, s[14:15]
	v_mov_b32_dpp v6, v1 row_ror:8 row_mask:0xf bank_mask:0xf bound_ctrl:1
	v_and_b32_e32 v7, 1, v6
	v_mov_b32_dpp v4, v2 row_ror:8 row_mask:0xf bank_mask:0xf bound_ctrl:1
	v_mov_b32_dpp v5, v3 row_ror:8 row_mask:0xf bank_mask:0xf bound_ctrl:1
	v_cmp_eq_u32_e32 vcc, 1, v7
	s_and_saveexec_b64 s[14:15], vcc
; %bb.143:
	v_cmp_lt_i64_e32 vcc, v[2:3], v[4:5]
	v_cndmask_b32_e64 v6, v6, 1, s[0:1]
	s_and_b64 vcc, s[0:1], vcc
	v_cndmask_b32_e32 v2, v4, v2, vcc
	v_and_b32_e32 v4, 1, v6
	v_cndmask_b32_e32 v3, v5, v3, vcc
	v_cmp_eq_u32_e32 vcc, 1, v4
	s_andn2_b64 s[0:1], s[0:1], exec
	s_and_b64 s[28:29], vcc, exec
	v_and_b32_e32 v1, 0xff, v6
	s_or_b64 s[0:1], s[0:1], s[28:29]
; %bb.144:
	s_or_b64 exec, exec, s[14:15]
	v_mov_b32_dpp v6, v1 row_bcast:15 row_mask:0xf bank_mask:0xf bound_ctrl:1
	v_and_b32_e32 v7, 1, v6
	v_mov_b32_dpp v4, v2 row_bcast:15 row_mask:0xf bank_mask:0xf bound_ctrl:1
	v_mov_b32_dpp v5, v3 row_bcast:15 row_mask:0xf bank_mask:0xf bound_ctrl:1
	v_cmp_eq_u32_e32 vcc, 1, v7
	s_and_saveexec_b64 s[14:15], vcc
; %bb.145:
	v_cmp_lt_i64_e32 vcc, v[2:3], v[4:5]
	v_cndmask_b32_e64 v6, v6, 1, s[0:1]
	s_and_b64 vcc, s[0:1], vcc
	v_cndmask_b32_e32 v2, v4, v2, vcc
	v_and_b32_e32 v4, 1, v6
	v_cndmask_b32_e32 v3, v5, v3, vcc
	v_cmp_eq_u32_e32 vcc, 1, v4
	s_andn2_b64 s[0:1], s[0:1], exec
	s_and_b64 s[28:29], vcc, exec
	v_and_b32_e32 v1, 0xff, v6
	s_or_b64 s[0:1], s[0:1], s[28:29]
; %bb.146:
	s_or_b64 exec, exec, s[14:15]
	v_mov_b32_dpp v6, v1 row_bcast:31 row_mask:0xf bank_mask:0xf bound_ctrl:1
	v_and_b32_e32 v7, 1, v6
	v_mov_b32_dpp v4, v2 row_bcast:31 row_mask:0xf bank_mask:0xf bound_ctrl:1
	v_mov_b32_dpp v5, v3 row_bcast:31 row_mask:0xf bank_mask:0xf bound_ctrl:1
	v_cmp_eq_u32_e32 vcc, 1, v7
	s_and_saveexec_b64 s[14:15], vcc
; %bb.147:
	v_cmp_lt_i64_e32 vcc, v[2:3], v[4:5]
	v_and_b32_e32 v1, 0xff, v6
	s_and_b64 vcc, s[0:1], vcc
	v_cndmask_b32_e32 v2, v4, v2, vcc
	v_cndmask_b32_e32 v3, v5, v3, vcc
	v_cndmask_b32_e64 v1, v1, 1, s[0:1]
; %bb.148:
	s_or_b64 exec, exec, s[14:15]
	v_mbcnt_lo_u32_b32 v4, -1, 0
	v_mbcnt_hi_u32_b32 v4, -1, v4
	v_bfrev_b32_e32 v5, 0.5
	v_lshl_or_b32 v5, v4, 2, v5
	ds_bpermute_b32 v6, v5, v1
	ds_bpermute_b32 v2, v5, v2
	ds_bpermute_b32 v3, v5, v3
	v_cmp_eq_u32_e32 vcc, 0, v4
	s_and_saveexec_b64 s[0:1], vcc
	s_cbranch_execz .LBB183_150
; %bb.149:
	v_lshrrev_b32_e32 v1, 2, v0
	v_and_b32_e32 v1, 48, v1
	s_waitcnt lgkmcnt(2)
	ds_write_b8 v1, v6 offset:64
	s_waitcnt lgkmcnt(1)
	ds_write_b64 v1, v[2:3] offset:72
.LBB183_150:
	s_or_b64 exec, exec, s[0:1]
	v_cmp_gt_u32_e32 vcc, 64, v0
	s_waitcnt lgkmcnt(0)
	s_barrier
	s_and_saveexec_b64 s[14:15], vcc
	s_cbranch_execz .LBB183_152
; %bb.151:
	v_and_b32_e32 v1, 3, v4
	v_lshlrev_b32_e32 v2, 4, v1
	ds_read_u8 v5, v2 offset:64
	ds_read_b64 v[2:3], v2 offset:72
	v_cmp_ne_u32_e32 vcc, 3, v1
	v_addc_co_u32_e32 v6, vcc, 0, v4, vcc
	s_waitcnt lgkmcnt(1)
	v_and_b32_e32 v7, 0xff, v5
	v_lshlrev_b32_e32 v8, 2, v6
	ds_bpermute_b32 v9, v8, v7
	s_waitcnt lgkmcnt(1)
	ds_bpermute_b32 v6, v8, v2
	ds_bpermute_b32 v7, v8, v3
	v_and_b32_e32 v8, 1, v5
	s_waitcnt lgkmcnt(2)
	v_and_b32_e32 v10, 1, v9
	v_cmp_eq_u32_e64 s[0:1], 1, v10
	s_waitcnt lgkmcnt(0)
	v_cmp_lt_i64_e32 vcc, v[6:7], v[2:3]
	s_and_b64 vcc, s[0:1], vcc
	v_cndmask_b32_e64 v5, v5, 1, s[0:1]
	v_cndmask_b32_e32 v2, v2, v6, vcc
	v_cndmask_b32_e32 v3, v3, v7, vcc
	v_cmp_eq_u32_e32 vcc, 1, v8
	v_cndmask_b32_e32 v8, v9, v5, vcc
	v_cndmask_b32_e32 v3, v7, v3, vcc
	;; [unrolled: 1-line block ×3, first 2 shown]
	v_cmp_gt_u32_e32 vcc, 2, v1
	v_cndmask_b32_e64 v1, 0, 1, vcc
	v_lshlrev_b32_e32 v1, 1, v1
	v_and_b32_e32 v5, 0xff, v8
	v_add_lshl_u32 v1, v1, v4, 2
	ds_bpermute_b32 v6, v1, v5
	ds_bpermute_b32 v4, v1, v2
	;; [unrolled: 1-line block ×3, first 2 shown]
	v_and_b32_e32 v1, 1, v8
	s_waitcnt lgkmcnt(2)
	v_and_b32_e32 v7, 1, v6
	v_cmp_eq_u32_e64 s[0:1], 1, v7
	s_waitcnt lgkmcnt(0)
	v_cmp_lt_i64_e32 vcc, v[4:5], v[2:3]
	s_and_b64 vcc, s[0:1], vcc
	v_cndmask_b32_e64 v7, v8, 1, s[0:1]
	v_cndmask_b32_e32 v2, v2, v4, vcc
	v_cndmask_b32_e32 v3, v3, v5, vcc
	v_cmp_eq_u32_e32 vcc, 1, v1
	v_cndmask_b32_e32 v1, v6, v7, vcc
	v_cndmask_b32_e32 v3, v5, v3, vcc
	;; [unrolled: 1-line block ×3, first 2 shown]
	v_and_b32_e32 v6, 0xff, v1
.LBB183_152:
	s_or_b64 exec, exec, s[14:15]
	s_branch .LBB183_183
.LBB183_153:
                                        ; implicit-def: $vgpr4_vgpr5
                                        ; implicit-def: $vgpr1
	s_cbranch_execnz .LBB183_188
	s_branch .LBB183_208
.LBB183_154:
                                        ; implicit-def: $vgpr4_vgpr5
                                        ; implicit-def: $vgpr1
	s_branch .LBB183_208
.LBB183_155:
                                        ; implicit-def: $vgpr2_vgpr3
                                        ; implicit-def: $vgpr6
	s_cbranch_execz .LBB183_183
; %bb.156:
	s_sub_i32 s14, s22, s12
	s_waitcnt lgkmcnt(0)
	v_pk_mov_b32 v[4:5], 0, 0
	v_cmp_gt_u32_e32 vcc, s14, v0
	v_mov_b32_e32 v1, 0
	v_pk_mov_b32 v[2:3], v[4:5], v[4:5] op_sel:[0,1]
	v_mov_b32_e32 v7, 0
	s_and_saveexec_b64 s[0:1], vcc
	s_cbranch_execz .LBB183_158
; %bb.157:
	v_lshlrev_b32_e32 v2, 1, v0
	global_load_ushort v6, v2, s[2:3]
	global_load_ushort v7, v2, s[8:9]
	v_mov_b32_e32 v3, s17
	v_add_co_u32_e32 v2, vcc, s16, v0
	v_addc_co_u32_e32 v3, vcc, 0, v3, vcc
	s_waitcnt vmcnt(0)
	v_cmp_ne_u16_e32 vcc, v6, v7
	v_cndmask_b32_e64 v7, 0, 1, vcc
.LBB183_158:
	s_or_b64 exec, exec, s[0:1]
	v_or_b32_e32 v6, 0x100, v0
	v_cmp_gt_u32_e32 vcc, s14, v6
	s_and_saveexec_b64 s[12:13], vcc
	s_cbranch_execz .LBB183_160
; %bb.159:
	v_lshlrev_b32_e32 v1, 1, v0
	global_load_ushort v8, v1, s[2:3] offset:512
	global_load_ushort v9, v1, s[8:9] offset:512
	v_mov_b32_e32 v1, s17
	v_add_co_u32_e64 v4, s[0:1], s16, v6
	v_addc_co_u32_e64 v5, s[0:1], 0, v1, s[0:1]
	s_waitcnt vmcnt(0)
	v_cmp_ne_u16_e64 s[0:1], v8, v9
	v_cndmask_b32_e64 v1, 0, 1, s[0:1]
.LBB183_160:
	s_or_b64 exec, exec, s[12:13]
	s_and_saveexec_b64 s[2:3], vcc
	s_cbranch_execz .LBB183_162
; %bb.161:
	v_and_b32_e32 v8, 1, v1
	v_cmp_lt_i64_e32 vcc, v[4:5], v[2:3]
	v_cmp_eq_u32_e64 s[0:1], 1, v8
	v_and_b32_e32 v6, 1, v7
	s_and_b64 vcc, s[0:1], vcc
	v_cndmask_b32_e64 v7, v7, 1, s[0:1]
	v_cndmask_b32_e32 v2, v2, v4, vcc
	v_cndmask_b32_e32 v3, v3, v5, vcc
	v_cmp_eq_u32_e32 vcc, 1, v6
	v_cndmask_b32_e32 v7, v1, v7, vcc
	v_cndmask_b32_e32 v3, v5, v3, vcc
	;; [unrolled: 1-line block ×3, first 2 shown]
.LBB183_162:
	s_or_b64 exec, exec, s[2:3]
	v_mbcnt_lo_u32_b32 v1, -1, 0
	v_mbcnt_hi_u32_b32 v1, -1, v1
	v_and_b32_e32 v8, 63, v1
	v_cmp_ne_u32_e32 vcc, 63, v8
	v_addc_co_u32_e32 v4, vcc, 0, v1, vcc
	v_and_b32_e32 v6, 0xffff, v7
	v_lshlrev_b32_e32 v5, 2, v4
	ds_bpermute_b32 v10, v5, v6
	ds_bpermute_b32 v4, v5, v2
	;; [unrolled: 1-line block ×3, first 2 shown]
	s_min_u32 s8, s14, 0x100
	v_and_b32_e32 v9, 0xc0, v0
	v_sub_u32_e64 v9, s8, v9 clamp
	v_add_u32_e32 v11, 1, v8
	v_cmp_lt_u32_e32 vcc, v11, v9
	s_and_saveexec_b64 s[2:3], vcc
	s_cbranch_execz .LBB183_164
; %bb.163:
	s_waitcnt lgkmcnt(2)
	v_and_b32_e32 v11, 1, v10
	s_waitcnt lgkmcnt(0)
	v_cmp_lt_i64_e32 vcc, v[4:5], v[2:3]
	v_cmp_eq_u32_e64 s[0:1], 1, v11
	v_and_b32_e32 v6, 1, v7
	s_and_b64 vcc, s[0:1], vcc
	v_cndmask_b32_e64 v7, v7, 1, s[0:1]
	v_cndmask_b32_e32 v2, v2, v4, vcc
	v_cndmask_b32_e32 v3, v3, v5, vcc
	v_cmp_eq_u32_e32 vcc, 1, v6
	v_cndmask_b32_e32 v7, v10, v7, vcc
	v_cndmask_b32_e32 v3, v5, v3, vcc
	v_cndmask_b32_e32 v2, v4, v2, vcc
	v_and_b32_e32 v6, 0xff, v7
.LBB183_164:
	s_or_b64 exec, exec, s[2:3]
	v_cmp_gt_u32_e32 vcc, 62, v8
	s_waitcnt lgkmcnt(1)
	v_cndmask_b32_e64 v4, 0, 1, vcc
	v_lshlrev_b32_e32 v4, 1, v4
	s_waitcnt lgkmcnt(0)
	v_add_lshl_u32 v5, v4, v1, 2
	ds_bpermute_b32 v10, v5, v6
	ds_bpermute_b32 v4, v5, v2
	ds_bpermute_b32 v5, v5, v3
	v_add_u32_e32 v11, 2, v8
	v_cmp_lt_u32_e32 vcc, v11, v9
	s_and_saveexec_b64 s[2:3], vcc
	s_cbranch_execz .LBB183_166
; %bb.165:
	s_waitcnt lgkmcnt(2)
	v_and_b32_e32 v11, 1, v10
	s_waitcnt lgkmcnt(0)
	v_cmp_lt_i64_e32 vcc, v[4:5], v[2:3]
	v_cmp_eq_u32_e64 s[0:1], 1, v11
	v_and_b32_e32 v6, 1, v7
	s_and_b64 vcc, s[0:1], vcc
	v_cndmask_b32_e64 v7, v7, 1, s[0:1]
	v_cndmask_b32_e32 v2, v2, v4, vcc
	v_cndmask_b32_e32 v3, v3, v5, vcc
	v_cmp_eq_u32_e32 vcc, 1, v6
	v_cndmask_b32_e32 v7, v10, v7, vcc
	v_cndmask_b32_e32 v3, v5, v3, vcc
	v_cndmask_b32_e32 v2, v4, v2, vcc
	v_and_b32_e32 v6, 0xff, v7
.LBB183_166:
	s_or_b64 exec, exec, s[2:3]
	v_cmp_gt_u32_e32 vcc, 60, v8
	s_waitcnt lgkmcnt(1)
	v_cndmask_b32_e64 v4, 0, 1, vcc
	v_lshlrev_b32_e32 v4, 2, v4
	s_waitcnt lgkmcnt(0)
	v_add_lshl_u32 v5, v4, v1, 2
	ds_bpermute_b32 v10, v5, v6
	ds_bpermute_b32 v4, v5, v2
	ds_bpermute_b32 v5, v5, v3
	;; [unrolled: 31-line block ×5, first 2 shown]
	v_add_u32_e32 v8, 32, v8
	v_cmp_lt_u32_e32 vcc, v8, v9
	s_and_saveexec_b64 s[2:3], vcc
	s_cbranch_execz .LBB183_174
; %bb.173:
	s_waitcnt lgkmcnt(2)
	v_and_b32_e32 v8, 1, v10
	s_waitcnt lgkmcnt(0)
	v_cmp_lt_i64_e32 vcc, v[4:5], v[2:3]
	v_cmp_eq_u32_e64 s[0:1], 1, v8
	v_and_b32_e32 v6, 1, v7
	s_and_b64 vcc, s[0:1], vcc
	v_cndmask_b32_e64 v7, v7, 1, s[0:1]
	v_cndmask_b32_e32 v2, v2, v4, vcc
	v_cndmask_b32_e32 v3, v3, v5, vcc
	v_cmp_eq_u32_e32 vcc, 1, v6
	v_cndmask_b32_e32 v7, v10, v7, vcc
	v_cndmask_b32_e32 v3, v5, v3, vcc
	v_cndmask_b32_e32 v2, v4, v2, vcc
	v_and_b32_e32 v6, 0xff, v7
.LBB183_174:
	s_or_b64 exec, exec, s[2:3]
	v_cmp_eq_u32_e32 vcc, 0, v1
	s_and_saveexec_b64 s[0:1], vcc
	s_cbranch_execz .LBB183_176
; %bb.175:
	s_waitcnt lgkmcnt(1)
	v_lshrrev_b32_e32 v4, 2, v0
	v_and_b32_e32 v4, 48, v4
	ds_write_b8 v4, v7 offset:256
	ds_write_b64 v4, v[2:3] offset:264
.LBB183_176:
	s_or_b64 exec, exec, s[0:1]
	v_cmp_gt_u32_e32 vcc, 4, v0
	s_waitcnt lgkmcnt(0)
	s_barrier
	s_and_saveexec_b64 s[2:3], vcc
	s_cbranch_execz .LBB183_182
; %bb.177:
	v_lshlrev_b32_e32 v2, 4, v1
	ds_read_u8 v7, v2 offset:256
	ds_read_b64 v[2:3], v2 offset:264
	v_and_b32_e32 v8, 3, v1
	v_cmp_ne_u32_e32 vcc, 3, v8
	v_addc_co_u32_e32 v4, vcc, 0, v1, vcc
	s_waitcnt lgkmcnt(1)
	v_and_b32_e32 v6, 0xff, v7
	v_lshlrev_b32_e32 v5, 2, v4
	ds_bpermute_b32 v9, v5, v6
	s_waitcnt lgkmcnt(1)
	ds_bpermute_b32 v4, v5, v2
	ds_bpermute_b32 v5, v5, v3
	s_add_i32 s8, s8, 63
	s_lshr_b32 s12, s8, 6
	v_add_u32_e32 v10, 1, v8
	v_cmp_gt_u32_e32 vcc, s12, v10
	s_and_saveexec_b64 s[8:9], vcc
	s_cbranch_execz .LBB183_179
; %bb.178:
	s_waitcnt lgkmcnt(2)
	v_and_b32_e32 v10, 1, v9
	s_waitcnt lgkmcnt(0)
	v_cmp_lt_i64_e32 vcc, v[4:5], v[2:3]
	v_cmp_eq_u32_e64 s[0:1], 1, v10
	v_and_b32_e32 v6, 1, v7
	s_and_b64 vcc, s[0:1], vcc
	v_cndmask_b32_e64 v7, v7, 1, s[0:1]
	v_cndmask_b32_e32 v2, v2, v4, vcc
	v_cndmask_b32_e32 v3, v3, v5, vcc
	v_cmp_eq_u32_e32 vcc, 1, v6
	v_cndmask_b32_e32 v7, v9, v7, vcc
	v_cndmask_b32_e32 v3, v5, v3, vcc
	;; [unrolled: 1-line block ×3, first 2 shown]
	v_and_b32_e32 v6, 0xff, v7
.LBB183_179:
	s_or_b64 exec, exec, s[8:9]
	v_cmp_gt_u32_e32 vcc, 2, v8
	s_waitcnt lgkmcnt(1)
	v_cndmask_b32_e64 v4, 0, 1, vcc
	v_lshlrev_b32_e32 v4, 1, v4
	s_waitcnt lgkmcnt(0)
	v_add_lshl_u32 v5, v4, v1, 2
	ds_bpermute_b32 v1, v5, v6
	ds_bpermute_b32 v4, v5, v2
	;; [unrolled: 1-line block ×3, first 2 shown]
	v_add_u32_e32 v8, 2, v8
	v_cmp_gt_u32_e32 vcc, s12, v8
	s_and_saveexec_b64 s[8:9], vcc
	s_cbranch_execz .LBB183_181
; %bb.180:
	s_waitcnt lgkmcnt(2)
	v_and_b32_e32 v8, 1, v1
	s_waitcnt lgkmcnt(0)
	v_cmp_lt_i64_e32 vcc, v[4:5], v[2:3]
	v_cmp_eq_u32_e64 s[0:1], 1, v8
	v_and_b32_e32 v6, 1, v7
	s_and_b64 vcc, s[0:1], vcc
	v_cndmask_b32_e64 v7, v7, 1, s[0:1]
	v_cndmask_b32_e32 v2, v2, v4, vcc
	v_cndmask_b32_e32 v3, v3, v5, vcc
	v_cmp_eq_u32_e32 vcc, 1, v6
	v_cndmask_b32_e32 v1, v1, v7, vcc
	v_cndmask_b32_e32 v3, v5, v3, vcc
	;; [unrolled: 1-line block ×3, first 2 shown]
	v_and_b32_e32 v6, 0xff, v1
.LBB183_181:
	s_or_b64 exec, exec, s[8:9]
.LBB183_182:
	s_or_b64 exec, exec, s[2:3]
.LBB183_183:
	v_cmp_eq_u32_e32 vcc, 0, v0
                                        ; implicit-def: $vgpr4_vgpr5
                                        ; implicit-def: $vgpr1
	s_and_saveexec_b64 s[0:1], vcc
	s_xor_b64 s[8:9], exec, s[0:1]
	s_cbranch_execz .LBB183_187
; %bb.184:
	s_cmp_eq_u64 s[22:23], 0
	s_waitcnt lgkmcnt(0)
	v_pk_mov_b32 v[4:5], s[18:19], s[18:19] op_sel:[0,1]
	v_mov_b32_e32 v1, s33
	s_cbranch_scc1 .LBB183_186
; %bb.185:
	v_and_b32_e32 v1, 1, v6
	s_bitcmp1_b32 s33, 0
	v_mov_b32_e32 v4, s33
	v_cmp_eq_u32_e32 vcc, 1, v1
	v_cmp_gt_i64_e64 s[2:3], s[18:19], v[2:3]
	v_cndmask_b32_e64 v1, v4, 1, vcc
	s_cselect_b64 s[0:1], -1, 0
	v_mov_b32_e32 v4, s18
	s_and_b64 vcc, vcc, s[2:3]
	v_mov_b32_e32 v5, s19
	v_cndmask_b32_e32 v4, v4, v2, vcc
	v_cndmask_b32_e32 v5, v5, v3, vcc
	v_cndmask_b32_e64 v1, v6, v1, s[0:1]
	v_cndmask_b32_e64 v5, v3, v5, s[0:1]
	;; [unrolled: 1-line block ×3, first 2 shown]
.LBB183_186:
	s_or_b64 s[10:11], s[10:11], exec
.LBB183_187:
	s_or_b64 exec, exec, s[8:9]
	s_branch .LBB183_208
.LBB183_188:
	s_cmp_eq_u32 s38, 1
	s_cbranch_scc0 .LBB183_207
; %bb.189:
	s_mov_b32 s3, 0
	s_lshl_b32 s2, s6, 8
	s_mov_b32 s7, s3
	s_lshr_b64 s[0:1], s[22:23], 8
	s_cmp_lg_u64 s[0:1], s[6:7]
	s_cbranch_scc0 .LBB183_211
; %bb.190:
	s_lshl_b64 s[0:1], s[2:3], 1
	s_add_u32 s8, s24, s0
	s_addc_u32 s9, s25, s1
	s_add_u32 s0, s26, s0
	s_waitcnt lgkmcnt(2)
	v_lshlrev_b32_e32 v1, 1, v0
	s_addc_u32 s1, s27, s1
	s_waitcnt lgkmcnt(0)
	global_load_ushort v5, v1, s[8:9]
	global_load_ushort v6, v1, s[0:1]
	s_add_u32 s0, s20, s2
	s_addc_u32 s1, s21, 0
	v_mov_b32_e32 v1, s1
	v_add_co_u32_e32 v2, vcc, s0, v0
	v_addc_co_u32_e32 v3, vcc, 0, v1, vcc
	s_nop 0
	v_mov_b32_dpp v4, v2 quad_perm:[1,0,3,2] row_mask:0xf bank_mask:0xf bound_ctrl:1
	s_waitcnt vmcnt(0)
	v_cmp_ne_u16_e32 vcc, v5, v6
	v_cndmask_b32_e64 v1, 0, 1, vcc
	v_cndmask_b32_e64 v6, 0, 1, vcc
	v_mov_b32_dpp v5, v3 quad_perm:[1,0,3,2] row_mask:0xf bank_mask:0xf bound_ctrl:1
	v_mov_b32_dpp v1, v1 quad_perm:[1,0,3,2] row_mask:0xf bank_mask:0xf bound_ctrl:1
	v_and_b32_e32 v7, 1, v1
	v_cmp_eq_u32_e64 s[0:1], 1, v7
	s_and_saveexec_b64 s[8:9], s[0:1]
; %bb.191:
	v_cmp_lt_i64_e64 s[0:1], v[2:3], v[4:5]
	v_cndmask_b32_e64 v6, v1, 1, vcc
	s_and_b64 vcc, vcc, s[0:1]
	v_cndmask_b32_e32 v3, v5, v3, vcc
	v_cndmask_b32_e32 v2, v4, v2, vcc
; %bb.192:
	s_or_b64 exec, exec, s[8:9]
	v_and_b32_e32 v1, 0xff, v6
	v_and_b32_e32 v6, 1, v6
	v_mov_b32_dpp v4, v2 quad_perm:[2,3,0,1] row_mask:0xf bank_mask:0xf bound_ctrl:1
	v_mov_b32_dpp v7, v1 quad_perm:[2,3,0,1] row_mask:0xf bank_mask:0xf bound_ctrl:1
	v_and_b32_e32 v8, 1, v7
	v_mov_b32_dpp v5, v3 quad_perm:[2,3,0,1] row_mask:0xf bank_mask:0xf bound_ctrl:1
	v_cmp_eq_u32_e32 vcc, 1, v8
	v_cmp_eq_u32_e64 s[0:1], 1, v6
	s_and_saveexec_b64 s[8:9], vcc
; %bb.193:
	v_cmp_lt_i64_e32 vcc, v[2:3], v[4:5]
	v_cndmask_b32_e64 v6, v7, 1, s[0:1]
	s_and_b64 vcc, s[0:1], vcc
	v_cndmask_b32_e32 v2, v4, v2, vcc
	v_and_b32_e32 v4, 1, v6
	v_cndmask_b32_e32 v3, v5, v3, vcc
	v_cmp_eq_u32_e32 vcc, 1, v4
	s_andn2_b64 s[0:1], s[0:1], exec
	s_and_b64 s[12:13], vcc, exec
	v_and_b32_e32 v1, 0xff, v6
	s_or_b64 s[0:1], s[0:1], s[12:13]
; %bb.194:
	s_or_b64 exec, exec, s[8:9]
	v_mov_b32_dpp v6, v1 row_ror:4 row_mask:0xf bank_mask:0xf bound_ctrl:1
	v_and_b32_e32 v7, 1, v6
	v_mov_b32_dpp v4, v2 row_ror:4 row_mask:0xf bank_mask:0xf bound_ctrl:1
	v_mov_b32_dpp v5, v3 row_ror:4 row_mask:0xf bank_mask:0xf bound_ctrl:1
	v_cmp_eq_u32_e32 vcc, 1, v7
	s_and_saveexec_b64 s[8:9], vcc
; %bb.195:
	v_cmp_lt_i64_e32 vcc, v[2:3], v[4:5]
	v_cndmask_b32_e64 v6, v6, 1, s[0:1]
	s_and_b64 vcc, s[0:1], vcc
	v_cndmask_b32_e32 v2, v4, v2, vcc
	v_and_b32_e32 v4, 1, v6
	v_cndmask_b32_e32 v3, v5, v3, vcc
	v_cmp_eq_u32_e32 vcc, 1, v4
	s_andn2_b64 s[0:1], s[0:1], exec
	s_and_b64 s[12:13], vcc, exec
	v_and_b32_e32 v1, 0xff, v6
	s_or_b64 s[0:1], s[0:1], s[12:13]
; %bb.196:
	s_or_b64 exec, exec, s[8:9]
	v_mov_b32_dpp v6, v1 row_ror:8 row_mask:0xf bank_mask:0xf bound_ctrl:1
	v_and_b32_e32 v7, 1, v6
	v_mov_b32_dpp v4, v2 row_ror:8 row_mask:0xf bank_mask:0xf bound_ctrl:1
	v_mov_b32_dpp v5, v3 row_ror:8 row_mask:0xf bank_mask:0xf bound_ctrl:1
	v_cmp_eq_u32_e32 vcc, 1, v7
	s_and_saveexec_b64 s[8:9], vcc
; %bb.197:
	v_cmp_lt_i64_e32 vcc, v[2:3], v[4:5]
	v_cndmask_b32_e64 v6, v6, 1, s[0:1]
	s_and_b64 vcc, s[0:1], vcc
	v_cndmask_b32_e32 v2, v4, v2, vcc
	v_and_b32_e32 v4, 1, v6
	v_cndmask_b32_e32 v3, v5, v3, vcc
	v_cmp_eq_u32_e32 vcc, 1, v4
	s_andn2_b64 s[0:1], s[0:1], exec
	s_and_b64 s[12:13], vcc, exec
	v_and_b32_e32 v1, 0xff, v6
	s_or_b64 s[0:1], s[0:1], s[12:13]
; %bb.198:
	s_or_b64 exec, exec, s[8:9]
	v_mov_b32_dpp v6, v1 row_bcast:15 row_mask:0xf bank_mask:0xf bound_ctrl:1
	v_and_b32_e32 v7, 1, v6
	v_mov_b32_dpp v4, v2 row_bcast:15 row_mask:0xf bank_mask:0xf bound_ctrl:1
	v_mov_b32_dpp v5, v3 row_bcast:15 row_mask:0xf bank_mask:0xf bound_ctrl:1
	v_cmp_eq_u32_e32 vcc, 1, v7
	s_and_saveexec_b64 s[8:9], vcc
; %bb.199:
	v_cmp_lt_i64_e32 vcc, v[2:3], v[4:5]
	v_cndmask_b32_e64 v6, v6, 1, s[0:1]
	s_and_b64 vcc, s[0:1], vcc
	v_cndmask_b32_e32 v2, v4, v2, vcc
	v_and_b32_e32 v4, 1, v6
	v_cndmask_b32_e32 v3, v5, v3, vcc
	v_cmp_eq_u32_e32 vcc, 1, v4
	s_andn2_b64 s[0:1], s[0:1], exec
	s_and_b64 s[12:13], vcc, exec
	v_and_b32_e32 v1, 0xff, v6
	s_or_b64 s[0:1], s[0:1], s[12:13]
; %bb.200:
	s_or_b64 exec, exec, s[8:9]
	v_mov_b32_dpp v6, v1 row_bcast:31 row_mask:0xf bank_mask:0xf bound_ctrl:1
	v_and_b32_e32 v7, 1, v6
	v_mov_b32_dpp v4, v2 row_bcast:31 row_mask:0xf bank_mask:0xf bound_ctrl:1
	v_mov_b32_dpp v5, v3 row_bcast:31 row_mask:0xf bank_mask:0xf bound_ctrl:1
	v_cmp_eq_u32_e32 vcc, 1, v7
	s_and_saveexec_b64 s[8:9], vcc
; %bb.201:
	v_cmp_lt_i64_e32 vcc, v[2:3], v[4:5]
	v_and_b32_e32 v1, 0xff, v6
	s_and_b64 vcc, s[0:1], vcc
	v_cndmask_b32_e32 v2, v4, v2, vcc
	v_cndmask_b32_e32 v3, v5, v3, vcc
	v_cndmask_b32_e64 v1, v1, 1, s[0:1]
; %bb.202:
	s_or_b64 exec, exec, s[8:9]
	v_mbcnt_lo_u32_b32 v4, -1, 0
	v_mbcnt_hi_u32_b32 v4, -1, v4
	v_bfrev_b32_e32 v5, 0.5
	v_lshl_or_b32 v5, v4, 2, v5
	ds_bpermute_b32 v6, v5, v1
	ds_bpermute_b32 v2, v5, v2
	;; [unrolled: 1-line block ×3, first 2 shown]
	v_cmp_eq_u32_e32 vcc, 0, v4
	s_and_saveexec_b64 s[0:1], vcc
	s_cbranch_execz .LBB183_204
; %bb.203:
	v_lshrrev_b32_e32 v1, 2, v0
	v_and_b32_e32 v1, 48, v1
	s_waitcnt lgkmcnt(2)
	ds_write_b8 v1, v6
	s_waitcnt lgkmcnt(1)
	ds_write_b64 v1, v[2:3] offset:8
.LBB183_204:
	s_or_b64 exec, exec, s[0:1]
	v_cmp_gt_u32_e32 vcc, 64, v0
	s_waitcnt lgkmcnt(0)
	s_barrier
	s_and_saveexec_b64 s[8:9], vcc
	s_cbranch_execz .LBB183_206
; %bb.205:
	v_and_b32_e32 v1, 3, v4
	v_lshlrev_b32_e32 v2, 4, v1
	ds_read_u8 v5, v2
	ds_read_b64 v[2:3], v2 offset:8
	v_cmp_ne_u32_e32 vcc, 3, v1
	v_addc_co_u32_e32 v6, vcc, 0, v4, vcc
	s_waitcnt lgkmcnt(1)
	v_and_b32_e32 v7, 0xff, v5
	v_lshlrev_b32_e32 v8, 2, v6
	ds_bpermute_b32 v9, v8, v7
	s_waitcnt lgkmcnt(1)
	ds_bpermute_b32 v6, v8, v2
	ds_bpermute_b32 v7, v8, v3
	v_and_b32_e32 v8, 1, v5
	s_waitcnt lgkmcnt(2)
	v_and_b32_e32 v10, 1, v9
	v_cmp_eq_u32_e64 s[0:1], 1, v10
	s_waitcnt lgkmcnt(0)
	v_cmp_lt_i64_e32 vcc, v[6:7], v[2:3]
	s_and_b64 vcc, s[0:1], vcc
	v_cndmask_b32_e64 v5, v5, 1, s[0:1]
	v_cndmask_b32_e32 v2, v2, v6, vcc
	v_cndmask_b32_e32 v3, v3, v7, vcc
	v_cmp_eq_u32_e32 vcc, 1, v8
	v_cndmask_b32_e32 v8, v9, v5, vcc
	v_cndmask_b32_e32 v3, v7, v3, vcc
	;; [unrolled: 1-line block ×3, first 2 shown]
	v_cmp_gt_u32_e32 vcc, 2, v1
	v_cndmask_b32_e64 v1, 0, 1, vcc
	v_lshlrev_b32_e32 v1, 1, v1
	v_and_b32_e32 v5, 0xff, v8
	v_add_lshl_u32 v1, v1, v4, 2
	ds_bpermute_b32 v6, v1, v5
	ds_bpermute_b32 v4, v1, v2
	ds_bpermute_b32 v5, v1, v3
	v_and_b32_e32 v1, 1, v8
	s_waitcnt lgkmcnt(2)
	v_and_b32_e32 v7, 1, v6
	v_cmp_eq_u32_e64 s[0:1], 1, v7
	s_waitcnt lgkmcnt(0)
	v_cmp_lt_i64_e32 vcc, v[4:5], v[2:3]
	s_and_b64 vcc, s[0:1], vcc
	v_cndmask_b32_e64 v7, v8, 1, s[0:1]
	v_cndmask_b32_e32 v2, v2, v4, vcc
	v_cndmask_b32_e32 v3, v3, v5, vcc
	v_cmp_eq_u32_e32 vcc, 1, v1
	v_cndmask_b32_e32 v1, v6, v7, vcc
	v_cndmask_b32_e32 v3, v5, v3, vcc
	;; [unrolled: 1-line block ×3, first 2 shown]
	v_and_b32_e32 v6, 0xff, v1
.LBB183_206:
	s_or_b64 exec, exec, s[8:9]
	s_branch .LBB183_235
.LBB183_207:
                                        ; implicit-def: $vgpr4_vgpr5
                                        ; implicit-def: $vgpr1
                                        ; implicit-def: $sgpr6_sgpr7
.LBB183_208:
	s_and_saveexec_b64 s[0:1], s[10:11]
	s_cbranch_execz .LBB183_210
.LBB183_209:
	s_load_dwordx2 s[0:1], s[4:5], 0x38
	s_lshl_b64 s[2:3], s[6:7], 4
	v_mov_b32_e32 v0, 0
	s_waitcnt lgkmcnt(0)
	s_add_u32 s0, s0, s2
	s_addc_u32 s1, s1, s3
	global_store_byte v0, v1, s[0:1]
	global_store_dwordx2 v0, v[4:5], s[0:1] offset:8
.LBB183_210:
	s_endpgm
.LBB183_211:
                                        ; implicit-def: $vgpr2_vgpr3
                                        ; implicit-def: $vgpr6
	s_cbranch_execz .LBB183_235
; %bb.212:
	s_sub_i32 s8, s22, s2
	v_cmp_gt_u32_e32 vcc, s8, v0
	v_pk_mov_b32 v[2:3], 0, 0
	v_mov_b32_e32 v7, 0
	s_and_saveexec_b64 s[0:1], vcc
	s_cbranch_execz .LBB183_214
; %bb.213:
	s_lshl_b64 s[12:13], s[2:3], 1
	s_add_u32 s14, s26, s12
	s_addc_u32 s15, s27, s13
	s_add_u32 s12, s24, s12
	s_addc_u32 s13, s25, s13
	s_waitcnt lgkmcnt(2)
	v_lshlrev_b32_e32 v1, 1, v0
	s_waitcnt lgkmcnt(1)
	global_load_ushort v4, v1, s[12:13]
	s_waitcnt lgkmcnt(0)
	global_load_ushort v5, v1, s[14:15]
	s_add_u32 s2, s20, s2
	s_addc_u32 s3, s21, 0
	v_mov_b32_e32 v1, s3
	v_add_co_u32_e32 v2, vcc, s2, v0
	v_addc_co_u32_e32 v3, vcc, 0, v1, vcc
	s_waitcnt vmcnt(0)
	v_cmp_ne_u16_e32 vcc, v4, v5
	v_cndmask_b32_e64 v7, 0, 1, vcc
.LBB183_214:
	s_or_b64 exec, exec, s[0:1]
	s_waitcnt lgkmcnt(2)
	v_mbcnt_lo_u32_b32 v1, -1, 0
	v_mbcnt_hi_u32_b32 v1, -1, v1
	v_and_b32_e32 v8, 63, v1
	v_cmp_ne_u32_e32 vcc, 63, v8
	s_waitcnt lgkmcnt(1)
	v_addc_co_u32_e32 v4, vcc, 0, v1, vcc
	v_and_b32_e32 v6, 0xffff, v7
	s_waitcnt lgkmcnt(0)
	v_lshlrev_b32_e32 v5, 2, v4
	ds_bpermute_b32 v10, v5, v6
	ds_bpermute_b32 v4, v5, v2
	;; [unrolled: 1-line block ×3, first 2 shown]
	s_min_u32 s8, s8, 0x100
	v_and_b32_e32 v9, 0xc0, v0
	v_sub_u32_e64 v9, s8, v9 clamp
	v_add_u32_e32 v11, 1, v8
	v_cmp_lt_u32_e32 vcc, v11, v9
	s_and_saveexec_b64 s[2:3], vcc
	s_cbranch_execz .LBB183_216
; %bb.215:
	s_waitcnt lgkmcnt(2)
	v_and_b32_e32 v11, 1, v10
	s_waitcnt lgkmcnt(0)
	v_cmp_lt_i64_e32 vcc, v[4:5], v[2:3]
	v_cmp_eq_u32_e64 s[0:1], 1, v11
	v_and_b32_e32 v6, 1, v7
	s_and_b64 vcc, s[0:1], vcc
	v_cndmask_b32_e64 v7, v7, 1, s[0:1]
	v_cndmask_b32_e32 v2, v2, v4, vcc
	v_cndmask_b32_e32 v3, v3, v5, vcc
	v_cmp_eq_u32_e32 vcc, 1, v6
	v_cndmask_b32_e32 v7, v10, v7, vcc
	v_cndmask_b32_e32 v3, v5, v3, vcc
	v_cndmask_b32_e32 v2, v4, v2, vcc
	v_and_b32_e32 v6, 0xff, v7
.LBB183_216:
	s_or_b64 exec, exec, s[2:3]
	v_cmp_gt_u32_e32 vcc, 62, v8
	s_waitcnt lgkmcnt(1)
	v_cndmask_b32_e64 v4, 0, 1, vcc
	v_lshlrev_b32_e32 v4, 1, v4
	s_waitcnt lgkmcnt(0)
	v_add_lshl_u32 v5, v4, v1, 2
	ds_bpermute_b32 v10, v5, v6
	ds_bpermute_b32 v4, v5, v2
	ds_bpermute_b32 v5, v5, v3
	v_add_u32_e32 v11, 2, v8
	v_cmp_lt_u32_e32 vcc, v11, v9
	s_and_saveexec_b64 s[2:3], vcc
	s_cbranch_execz .LBB183_218
; %bb.217:
	s_waitcnt lgkmcnt(2)
	v_and_b32_e32 v11, 1, v10
	s_waitcnt lgkmcnt(0)
	v_cmp_lt_i64_e32 vcc, v[4:5], v[2:3]
	v_cmp_eq_u32_e64 s[0:1], 1, v11
	v_and_b32_e32 v6, 1, v7
	s_and_b64 vcc, s[0:1], vcc
	v_cndmask_b32_e64 v7, v7, 1, s[0:1]
	v_cndmask_b32_e32 v2, v2, v4, vcc
	v_cndmask_b32_e32 v3, v3, v5, vcc
	v_cmp_eq_u32_e32 vcc, 1, v6
	v_cndmask_b32_e32 v7, v10, v7, vcc
	v_cndmask_b32_e32 v3, v5, v3, vcc
	v_cndmask_b32_e32 v2, v4, v2, vcc
	v_and_b32_e32 v6, 0xff, v7
.LBB183_218:
	s_or_b64 exec, exec, s[2:3]
	v_cmp_gt_u32_e32 vcc, 60, v8
	s_waitcnt lgkmcnt(1)
	v_cndmask_b32_e64 v4, 0, 1, vcc
	v_lshlrev_b32_e32 v4, 2, v4
	s_waitcnt lgkmcnt(0)
	v_add_lshl_u32 v5, v4, v1, 2
	ds_bpermute_b32 v10, v5, v6
	ds_bpermute_b32 v4, v5, v2
	ds_bpermute_b32 v5, v5, v3
	;; [unrolled: 31-line block ×5, first 2 shown]
	v_add_u32_e32 v8, 32, v8
	v_cmp_lt_u32_e32 vcc, v8, v9
	s_and_saveexec_b64 s[2:3], vcc
	s_cbranch_execz .LBB183_226
; %bb.225:
	s_waitcnt lgkmcnt(2)
	v_and_b32_e32 v8, 1, v10
	s_waitcnt lgkmcnt(0)
	v_cmp_lt_i64_e32 vcc, v[4:5], v[2:3]
	v_cmp_eq_u32_e64 s[0:1], 1, v8
	v_and_b32_e32 v6, 1, v7
	s_and_b64 vcc, s[0:1], vcc
	v_cndmask_b32_e64 v7, v7, 1, s[0:1]
	v_cndmask_b32_e32 v2, v2, v4, vcc
	v_cndmask_b32_e32 v3, v3, v5, vcc
	v_cmp_eq_u32_e32 vcc, 1, v6
	v_cndmask_b32_e32 v7, v10, v7, vcc
	v_cndmask_b32_e32 v3, v5, v3, vcc
	;; [unrolled: 1-line block ×3, first 2 shown]
	v_and_b32_e32 v6, 0xff, v7
.LBB183_226:
	s_or_b64 exec, exec, s[2:3]
	v_cmp_eq_u32_e32 vcc, 0, v1
	s_and_saveexec_b64 s[0:1], vcc
	s_cbranch_execz .LBB183_228
; %bb.227:
	s_waitcnt lgkmcnt(1)
	v_lshrrev_b32_e32 v4, 2, v0
	v_and_b32_e32 v4, 48, v4
	ds_write_b8 v4, v7 offset:256
	ds_write_b64 v4, v[2:3] offset:264
.LBB183_228:
	s_or_b64 exec, exec, s[0:1]
	v_cmp_gt_u32_e32 vcc, 4, v0
	s_waitcnt lgkmcnt(0)
	s_barrier
	s_and_saveexec_b64 s[2:3], vcc
	s_cbranch_execz .LBB183_234
; %bb.229:
	v_lshlrev_b32_e32 v2, 4, v1
	ds_read_u8 v7, v2 offset:256
	ds_read_b64 v[2:3], v2 offset:264
	v_and_b32_e32 v8, 3, v1
	v_cmp_ne_u32_e32 vcc, 3, v8
	v_addc_co_u32_e32 v4, vcc, 0, v1, vcc
	s_waitcnt lgkmcnt(1)
	v_and_b32_e32 v6, 0xff, v7
	v_lshlrev_b32_e32 v5, 2, v4
	ds_bpermute_b32 v9, v5, v6
	s_waitcnt lgkmcnt(1)
	ds_bpermute_b32 v4, v5, v2
	ds_bpermute_b32 v5, v5, v3
	s_add_i32 s8, s8, 63
	s_lshr_b32 s12, s8, 6
	v_add_u32_e32 v10, 1, v8
	v_cmp_gt_u32_e32 vcc, s12, v10
	s_and_saveexec_b64 s[8:9], vcc
	s_cbranch_execz .LBB183_231
; %bb.230:
	s_waitcnt lgkmcnt(2)
	v_and_b32_e32 v10, 1, v9
	s_waitcnt lgkmcnt(0)
	v_cmp_lt_i64_e32 vcc, v[4:5], v[2:3]
	v_cmp_eq_u32_e64 s[0:1], 1, v10
	v_and_b32_e32 v6, 1, v7
	s_and_b64 vcc, s[0:1], vcc
	v_cndmask_b32_e64 v7, v7, 1, s[0:1]
	v_cndmask_b32_e32 v2, v2, v4, vcc
	v_cndmask_b32_e32 v3, v3, v5, vcc
	v_cmp_eq_u32_e32 vcc, 1, v6
	v_cndmask_b32_e32 v7, v9, v7, vcc
	v_cndmask_b32_e32 v3, v5, v3, vcc
	v_cndmask_b32_e32 v2, v4, v2, vcc
	v_and_b32_e32 v6, 0xff, v7
.LBB183_231:
	s_or_b64 exec, exec, s[8:9]
	v_cmp_gt_u32_e32 vcc, 2, v8
	s_waitcnt lgkmcnt(1)
	v_cndmask_b32_e64 v4, 0, 1, vcc
	v_lshlrev_b32_e32 v4, 1, v4
	s_waitcnt lgkmcnt(0)
	v_add_lshl_u32 v5, v4, v1, 2
	ds_bpermute_b32 v1, v5, v6
	ds_bpermute_b32 v4, v5, v2
	ds_bpermute_b32 v5, v5, v3
	v_add_u32_e32 v8, 2, v8
	v_cmp_gt_u32_e32 vcc, s12, v8
	s_and_saveexec_b64 s[8:9], vcc
	s_cbranch_execz .LBB183_233
; %bb.232:
	s_waitcnt lgkmcnt(2)
	v_and_b32_e32 v8, 1, v1
	s_waitcnt lgkmcnt(0)
	v_cmp_lt_i64_e32 vcc, v[4:5], v[2:3]
	v_cmp_eq_u32_e64 s[0:1], 1, v8
	v_and_b32_e32 v6, 1, v7
	s_and_b64 vcc, s[0:1], vcc
	v_cndmask_b32_e64 v7, v7, 1, s[0:1]
	v_cndmask_b32_e32 v2, v2, v4, vcc
	v_cndmask_b32_e32 v3, v3, v5, vcc
	v_cmp_eq_u32_e32 vcc, 1, v6
	v_cndmask_b32_e32 v1, v1, v7, vcc
	v_cndmask_b32_e32 v3, v5, v3, vcc
	;; [unrolled: 1-line block ×3, first 2 shown]
	v_and_b32_e32 v6, 0xff, v1
.LBB183_233:
	s_or_b64 exec, exec, s[8:9]
.LBB183_234:
	s_or_b64 exec, exec, s[2:3]
.LBB183_235:
	v_cmp_eq_u32_e32 vcc, 0, v0
                                        ; implicit-def: $vgpr4_vgpr5
                                        ; implicit-def: $vgpr1
	s_and_saveexec_b64 s[8:9], vcc
	s_cbranch_execz .LBB183_239
; %bb.236:
	s_cmp_eq_u64 s[22:23], 0
	s_waitcnt lgkmcnt(0)
	v_pk_mov_b32 v[4:5], s[18:19], s[18:19] op_sel:[0,1]
	v_mov_b32_e32 v1, s33
	s_cbranch_scc1 .LBB183_238
; %bb.237:
	v_and_b32_e32 v0, 1, v6
	s_bitcmp1_b32 s33, 0
	v_mov_b32_e32 v1, s33
	v_cmp_eq_u32_e32 vcc, 1, v0
	v_cmp_gt_i64_e64 s[2:3], s[18:19], v[2:3]
	v_cndmask_b32_e64 v0, v1, 1, vcc
	s_cselect_b64 s[0:1], -1, 0
	v_mov_b32_e32 v1, s18
	s_and_b64 vcc, vcc, s[2:3]
	v_cndmask_b32_e32 v4, v1, v2, vcc
	v_mov_b32_e32 v1, s19
	v_cndmask_b32_e32 v5, v1, v3, vcc
	v_cndmask_b32_e64 v1, v6, v0, s[0:1]
	v_cndmask_b32_e64 v5, v3, v5, s[0:1]
	;; [unrolled: 1-line block ×3, first 2 shown]
.LBB183_238:
	s_or_b64 s[10:11], s[10:11], exec
.LBB183_239:
	s_or_b64 exec, exec, s[8:9]
	s_and_saveexec_b64 s[0:1], s[10:11]
	s_cbranch_execnz .LBB183_209
	s_branch .LBB183_210
.LBB183_240:
	v_lshlrev_b32_e32 v10, 1, v0
	global_load_ushort v21, v10, s[30:31] offset:3584
	global_load_ushort v26, v10, s[34:35] offset:3584
	v_mov_b32_e32 v11, s40
	v_add_co_u32_e64 v10, s[16:17], s39, v25
	v_addc_co_u32_e64 v11, s[16:17], 0, v11, s[16:17]
	s_waitcnt vmcnt(0)
	v_cmp_ne_u16_e64 s[16:17], v21, v26
	v_cndmask_b32_e64 v21, 0, 1, s[16:17]
	s_or_b64 exec, exec, s[36:37]
	s_and_saveexec_b64 s[30:31], s[8:9]
	s_cbranch_execz .LBB183_61
.LBB183_241:
	v_and_b32_e32 v26, 1, v18
	v_cmp_lt_i64_e64 s[8:9], v[4:5], v[2:3]
	v_cmp_eq_u32_e64 s[16:17], 1, v26
	v_and_b32_e32 v25, 1, v1
	s_and_b64 s[8:9], s[16:17], s[8:9]
	v_cndmask_b32_e64 v1, v1, 1, s[16:17]
	v_cndmask_b32_e64 v2, v2, v4, s[8:9]
	;; [unrolled: 1-line block ×3, first 2 shown]
	v_cmp_eq_u32_e64 s[8:9], 1, v25
	v_cndmask_b32_e64 v1, v18, v1, s[8:9]
	v_cndmask_b32_e64 v3, v5, v3, s[8:9]
	;; [unrolled: 1-line block ×3, first 2 shown]
	s_or_b64 exec, exec, s[30:31]
	s_and_saveexec_b64 s[16:17], vcc
	s_cbranch_execz .LBB183_62
.LBB183_242:
	v_and_b32_e32 v5, 1, v23
	v_cmp_lt_i64_e32 vcc, v[12:13], v[2:3]
	v_cmp_eq_u32_e64 s[8:9], 1, v5
	v_and_b32_e32 v4, 1, v1
	s_and_b64 vcc, s[8:9], vcc
	v_cndmask_b32_e64 v1, v1, 1, s[8:9]
	v_cndmask_b32_e32 v2, v2, v12, vcc
	v_cndmask_b32_e32 v3, v3, v13, vcc
	v_cmp_eq_u32_e32 vcc, 1, v4
	v_cndmask_b32_e32 v1, v23, v1, vcc
	v_cndmask_b32_e32 v3, v13, v3, vcc
	;; [unrolled: 1-line block ×3, first 2 shown]
	s_or_b64 exec, exec, s[16:17]
	s_and_saveexec_b64 s[16:17], s[10:11]
	s_cbranch_execz .LBB183_63
.LBB183_243:
	v_and_b32_e32 v5, 1, v19
	v_cmp_lt_i64_e32 vcc, v[6:7], v[2:3]
	v_cmp_eq_u32_e64 s[8:9], 1, v5
	v_and_b32_e32 v4, 1, v1
	s_and_b64 vcc, s[8:9], vcc
	v_cndmask_b32_e64 v1, v1, 1, s[8:9]
	v_cndmask_b32_e32 v2, v2, v6, vcc
	v_cndmask_b32_e32 v3, v3, v7, vcc
	v_cmp_eq_u32_e32 vcc, 1, v4
	v_cndmask_b32_e32 v1, v19, v1, vcc
	v_cndmask_b32_e32 v3, v7, v3, vcc
	;; [unrolled: 1-line block ×3, first 2 shown]
	s_or_b64 exec, exec, s[16:17]
	s_and_saveexec_b64 s[8:9], s[0:1]
	s_cbranch_execz .LBB183_64
.LBB183_244:
	v_and_b32_e32 v5, 1, v24
	v_cmp_lt_i64_e32 vcc, v[14:15], v[2:3]
	v_cmp_eq_u32_e64 s[0:1], 1, v5
	v_and_b32_e32 v4, 1, v1
	s_and_b64 vcc, s[0:1], vcc
	v_cndmask_b32_e64 v1, v1, 1, s[0:1]
	v_cndmask_b32_e32 v2, v2, v14, vcc
	v_cndmask_b32_e32 v3, v3, v15, vcc
	v_cmp_eq_u32_e32 vcc, 1, v4
	v_cndmask_b32_e32 v1, v24, v1, vcc
	v_cndmask_b32_e32 v3, v15, v3, vcc
	;; [unrolled: 1-line block ×3, first 2 shown]
	s_or_b64 exec, exec, s[8:9]
	s_and_saveexec_b64 s[8:9], s[12:13]
	s_cbranch_execz .LBB183_65
.LBB183_245:
	v_and_b32_e32 v5, 1, v20
	v_cmp_lt_i64_e32 vcc, v[8:9], v[2:3]
	v_cmp_eq_u32_e64 s[0:1], 1, v5
	v_and_b32_e32 v4, 1, v1
	s_and_b64 vcc, s[0:1], vcc
	v_cndmask_b32_e64 v1, v1, 1, s[0:1]
	v_cndmask_b32_e32 v2, v2, v8, vcc
	v_cndmask_b32_e32 v3, v3, v9, vcc
	v_cmp_eq_u32_e32 vcc, 1, v4
	v_cndmask_b32_e32 v1, v20, v1, vcc
	v_cndmask_b32_e32 v3, v9, v3, vcc
	;; [unrolled: 1-line block ×3, first 2 shown]
	s_or_b64 exec, exec, s[8:9]
	s_and_saveexec_b64 s[8:9], s[2:3]
	s_cbranch_execz .LBB183_66
.LBB183_246:
	v_and_b32_e32 v5, 1, v22
	v_cmp_lt_i64_e32 vcc, v[16:17], v[2:3]
	v_cmp_eq_u32_e64 s[0:1], 1, v5
	v_and_b32_e32 v4, 1, v1
	s_and_b64 vcc, s[0:1], vcc
	v_cndmask_b32_e64 v1, v1, 1, s[0:1]
	v_cndmask_b32_e32 v2, v2, v16, vcc
	v_cndmask_b32_e32 v3, v3, v17, vcc
	v_cmp_eq_u32_e32 vcc, 1, v4
	v_cndmask_b32_e32 v1, v22, v1, vcc
	v_cndmask_b32_e32 v3, v17, v3, vcc
	;; [unrolled: 1-line block ×3, first 2 shown]
	s_or_b64 exec, exec, s[8:9]
	s_and_saveexec_b64 s[2:3], s[14:15]
	s_cbranch_execnz .LBB183_67
	s_branch .LBB183_68
.LBB183_247:
	v_lshlrev_b32_e32 v6, 1, v0
	global_load_ushort v11, v6, s[12:13] offset:1536
	global_load_ushort v14, v6, s[14:15] offset:1536
	v_mov_b32_e32 v7, s29
	v_add_co_u32_e64 v6, s[8:9], s28, v13
	v_addc_co_u32_e64 v7, s[8:9], 0, v7, s[8:9]
	s_waitcnt vmcnt(0)
	v_cmp_ne_u16_e64 s[8:9], v11, v14
	v_cndmask_b32_e64 v11, 0, 1, s[8:9]
	s_or_b64 exec, exec, s[16:17]
	s_and_saveexec_b64 s[12:13], s[0:1]
	s_cbranch_execz .LBB183_104
.LBB183_248:
	v_and_b32_e32 v14, 1, v1
	v_cmp_lt_i64_e64 s[0:1], v[4:5], v[2:3]
	v_cmp_eq_u32_e64 s[8:9], 1, v14
	v_and_b32_e32 v13, 1, v10
	s_and_b64 s[0:1], s[8:9], s[0:1]
	v_cndmask_b32_e64 v10, v10, 1, s[8:9]
	v_cndmask_b32_e64 v2, v2, v4, s[0:1]
	v_cndmask_b32_e64 v3, v3, v5, s[0:1]
	v_cmp_eq_u32_e64 s[0:1], 1, v13
	v_cndmask_b32_e64 v10, v1, v10, s[0:1]
	v_cndmask_b32_e64 v3, v5, v3, s[0:1]
	;; [unrolled: 1-line block ×3, first 2 shown]
	s_or_b64 exec, exec, s[12:13]
	s_and_saveexec_b64 s[8:9], vcc
	s_cbranch_execz .LBB183_105
.LBB183_249:
	v_and_b32_e32 v4, 1, v12
	v_cmp_lt_i64_e32 vcc, v[8:9], v[2:3]
	v_cmp_eq_u32_e64 s[0:1], 1, v4
	v_and_b32_e32 v1, 1, v10
	s_and_b64 vcc, s[0:1], vcc
	v_cndmask_b32_e64 v4, v10, 1, s[0:1]
	v_cndmask_b32_e32 v2, v2, v8, vcc
	v_cndmask_b32_e32 v3, v3, v9, vcc
	v_cmp_eq_u32_e32 vcc, 1, v1
	v_cndmask_b32_e32 v10, v12, v4, vcc
	v_cndmask_b32_e32 v3, v9, v3, vcc
	v_cndmask_b32_e32 v2, v8, v2, vcc
	s_or_b64 exec, exec, s[8:9]
	s_and_saveexec_b64 s[8:9], s[2:3]
	s_cbranch_execnz .LBB183_106
	s_branch .LBB183_107
	.section	.rodata,"a",@progbits
	.p2align	6, 0x0
	.amdhsa_kernel _ZN7rocprim17ROCPRIM_400000_NS6detail17trampoline_kernelINS0_14default_configENS1_22reduce_config_selectorIN6thrust23THRUST_200600_302600_NS5tupleIblNS6_9null_typeES8_S8_S8_S8_S8_S8_S8_EEEEZNS1_11reduce_implILb1ES3_NS6_12zip_iteratorINS7_INS6_11hip_rocprim26transform_input_iterator_tIbNSD_35transform_pair_of_input_iterators_tIbNS6_6detail15normal_iteratorINS6_10device_ptrIKsEEEESL_NS6_8equal_toIsEEEENSG_9not_fun_tINSD_8identityEEEEENSD_19counting_iterator_tIlEES8_S8_S8_S8_S8_S8_S8_S8_EEEEPS9_S9_NSD_9__find_if7functorIS9_EEEE10hipError_tPvRmT1_T2_T3_mT4_P12ihipStream_tbEUlT_E1_NS1_11comp_targetILNS1_3genE4ELNS1_11target_archE910ELNS1_3gpuE8ELNS1_3repE0EEENS1_30default_config_static_selectorELNS0_4arch9wavefront6targetE1EEEvS14_
		.amdhsa_group_segment_fixed_size 320
		.amdhsa_private_segment_fixed_size 0
		.amdhsa_kernarg_size 88
		.amdhsa_user_sgpr_count 6
		.amdhsa_user_sgpr_private_segment_buffer 1
		.amdhsa_user_sgpr_dispatch_ptr 0
		.amdhsa_user_sgpr_queue_ptr 0
		.amdhsa_user_sgpr_kernarg_segment_ptr 1
		.amdhsa_user_sgpr_dispatch_id 0
		.amdhsa_user_sgpr_flat_scratch_init 0
		.amdhsa_user_sgpr_kernarg_preload_length 0
		.amdhsa_user_sgpr_kernarg_preload_offset 0
		.amdhsa_user_sgpr_private_segment_size 0
		.amdhsa_uses_dynamic_stack 0
		.amdhsa_system_sgpr_private_segment_wavefront_offset 0
		.amdhsa_system_sgpr_workgroup_id_x 1
		.amdhsa_system_sgpr_workgroup_id_y 0
		.amdhsa_system_sgpr_workgroup_id_z 0
		.amdhsa_system_sgpr_workgroup_info 0
		.amdhsa_system_vgpr_workitem_id 0
		.amdhsa_next_free_vgpr 27
		.amdhsa_next_free_sgpr 42
		.amdhsa_accum_offset 28
		.amdhsa_reserve_vcc 1
		.amdhsa_reserve_flat_scratch 0
		.amdhsa_float_round_mode_32 0
		.amdhsa_float_round_mode_16_64 0
		.amdhsa_float_denorm_mode_32 3
		.amdhsa_float_denorm_mode_16_64 3
		.amdhsa_dx10_clamp 1
		.amdhsa_ieee_mode 1
		.amdhsa_fp16_overflow 0
		.amdhsa_tg_split 0
		.amdhsa_exception_fp_ieee_invalid_op 0
		.amdhsa_exception_fp_denorm_src 0
		.amdhsa_exception_fp_ieee_div_zero 0
		.amdhsa_exception_fp_ieee_overflow 0
		.amdhsa_exception_fp_ieee_underflow 0
		.amdhsa_exception_fp_ieee_inexact 0
		.amdhsa_exception_int_div_zero 0
	.end_amdhsa_kernel
	.section	.text._ZN7rocprim17ROCPRIM_400000_NS6detail17trampoline_kernelINS0_14default_configENS1_22reduce_config_selectorIN6thrust23THRUST_200600_302600_NS5tupleIblNS6_9null_typeES8_S8_S8_S8_S8_S8_S8_EEEEZNS1_11reduce_implILb1ES3_NS6_12zip_iteratorINS7_INS6_11hip_rocprim26transform_input_iterator_tIbNSD_35transform_pair_of_input_iterators_tIbNS6_6detail15normal_iteratorINS6_10device_ptrIKsEEEESL_NS6_8equal_toIsEEEENSG_9not_fun_tINSD_8identityEEEEENSD_19counting_iterator_tIlEES8_S8_S8_S8_S8_S8_S8_S8_EEEEPS9_S9_NSD_9__find_if7functorIS9_EEEE10hipError_tPvRmT1_T2_T3_mT4_P12ihipStream_tbEUlT_E1_NS1_11comp_targetILNS1_3genE4ELNS1_11target_archE910ELNS1_3gpuE8ELNS1_3repE0EEENS1_30default_config_static_selectorELNS0_4arch9wavefront6targetE1EEEvS14_,"axG",@progbits,_ZN7rocprim17ROCPRIM_400000_NS6detail17trampoline_kernelINS0_14default_configENS1_22reduce_config_selectorIN6thrust23THRUST_200600_302600_NS5tupleIblNS6_9null_typeES8_S8_S8_S8_S8_S8_S8_EEEEZNS1_11reduce_implILb1ES3_NS6_12zip_iteratorINS7_INS6_11hip_rocprim26transform_input_iterator_tIbNSD_35transform_pair_of_input_iterators_tIbNS6_6detail15normal_iteratorINS6_10device_ptrIKsEEEESL_NS6_8equal_toIsEEEENSG_9not_fun_tINSD_8identityEEEEENSD_19counting_iterator_tIlEES8_S8_S8_S8_S8_S8_S8_S8_EEEEPS9_S9_NSD_9__find_if7functorIS9_EEEE10hipError_tPvRmT1_T2_T3_mT4_P12ihipStream_tbEUlT_E1_NS1_11comp_targetILNS1_3genE4ELNS1_11target_archE910ELNS1_3gpuE8ELNS1_3repE0EEENS1_30default_config_static_selectorELNS0_4arch9wavefront6targetE1EEEvS14_,comdat
.Lfunc_end183:
	.size	_ZN7rocprim17ROCPRIM_400000_NS6detail17trampoline_kernelINS0_14default_configENS1_22reduce_config_selectorIN6thrust23THRUST_200600_302600_NS5tupleIblNS6_9null_typeES8_S8_S8_S8_S8_S8_S8_EEEEZNS1_11reduce_implILb1ES3_NS6_12zip_iteratorINS7_INS6_11hip_rocprim26transform_input_iterator_tIbNSD_35transform_pair_of_input_iterators_tIbNS6_6detail15normal_iteratorINS6_10device_ptrIKsEEEESL_NS6_8equal_toIsEEEENSG_9not_fun_tINSD_8identityEEEEENSD_19counting_iterator_tIlEES8_S8_S8_S8_S8_S8_S8_S8_EEEEPS9_S9_NSD_9__find_if7functorIS9_EEEE10hipError_tPvRmT1_T2_T3_mT4_P12ihipStream_tbEUlT_E1_NS1_11comp_targetILNS1_3genE4ELNS1_11target_archE910ELNS1_3gpuE8ELNS1_3repE0EEENS1_30default_config_static_selectorELNS0_4arch9wavefront6targetE1EEEvS14_, .Lfunc_end183-_ZN7rocprim17ROCPRIM_400000_NS6detail17trampoline_kernelINS0_14default_configENS1_22reduce_config_selectorIN6thrust23THRUST_200600_302600_NS5tupleIblNS6_9null_typeES8_S8_S8_S8_S8_S8_S8_EEEEZNS1_11reduce_implILb1ES3_NS6_12zip_iteratorINS7_INS6_11hip_rocprim26transform_input_iterator_tIbNSD_35transform_pair_of_input_iterators_tIbNS6_6detail15normal_iteratorINS6_10device_ptrIKsEEEESL_NS6_8equal_toIsEEEENSG_9not_fun_tINSD_8identityEEEEENSD_19counting_iterator_tIlEES8_S8_S8_S8_S8_S8_S8_S8_EEEEPS9_S9_NSD_9__find_if7functorIS9_EEEE10hipError_tPvRmT1_T2_T3_mT4_P12ihipStream_tbEUlT_E1_NS1_11comp_targetILNS1_3genE4ELNS1_11target_archE910ELNS1_3gpuE8ELNS1_3repE0EEENS1_30default_config_static_selectorELNS0_4arch9wavefront6targetE1EEEvS14_
                                        ; -- End function
	.section	.AMDGPU.csdata,"",@progbits
; Kernel info:
; codeLenInByte = 13112
; NumSgprs: 46
; NumVgprs: 27
; NumAgprs: 0
; TotalNumVgprs: 27
; ScratchSize: 0
; MemoryBound: 0
; FloatMode: 240
; IeeeMode: 1
; LDSByteSize: 320 bytes/workgroup (compile time only)
; SGPRBlocks: 5
; VGPRBlocks: 3
; NumSGPRsForWavesPerEU: 46
; NumVGPRsForWavesPerEU: 27
; AccumOffset: 28
; Occupancy: 8
; WaveLimiterHint : 0
; COMPUTE_PGM_RSRC2:SCRATCH_EN: 0
; COMPUTE_PGM_RSRC2:USER_SGPR: 6
; COMPUTE_PGM_RSRC2:TRAP_HANDLER: 0
; COMPUTE_PGM_RSRC2:TGID_X_EN: 1
; COMPUTE_PGM_RSRC2:TGID_Y_EN: 0
; COMPUTE_PGM_RSRC2:TGID_Z_EN: 0
; COMPUTE_PGM_RSRC2:TIDIG_COMP_CNT: 0
; COMPUTE_PGM_RSRC3_GFX90A:ACCUM_OFFSET: 6
; COMPUTE_PGM_RSRC3_GFX90A:TG_SPLIT: 0
	.section	.text._ZN7rocprim17ROCPRIM_400000_NS6detail17trampoline_kernelINS0_14default_configENS1_22reduce_config_selectorIN6thrust23THRUST_200600_302600_NS5tupleIblNS6_9null_typeES8_S8_S8_S8_S8_S8_S8_EEEEZNS1_11reduce_implILb1ES3_NS6_12zip_iteratorINS7_INS6_11hip_rocprim26transform_input_iterator_tIbNSD_35transform_pair_of_input_iterators_tIbNS6_6detail15normal_iteratorINS6_10device_ptrIKsEEEESL_NS6_8equal_toIsEEEENSG_9not_fun_tINSD_8identityEEEEENSD_19counting_iterator_tIlEES8_S8_S8_S8_S8_S8_S8_S8_EEEEPS9_S9_NSD_9__find_if7functorIS9_EEEE10hipError_tPvRmT1_T2_T3_mT4_P12ihipStream_tbEUlT_E1_NS1_11comp_targetILNS1_3genE3ELNS1_11target_archE908ELNS1_3gpuE7ELNS1_3repE0EEENS1_30default_config_static_selectorELNS0_4arch9wavefront6targetE1EEEvS14_,"axG",@progbits,_ZN7rocprim17ROCPRIM_400000_NS6detail17trampoline_kernelINS0_14default_configENS1_22reduce_config_selectorIN6thrust23THRUST_200600_302600_NS5tupleIblNS6_9null_typeES8_S8_S8_S8_S8_S8_S8_EEEEZNS1_11reduce_implILb1ES3_NS6_12zip_iteratorINS7_INS6_11hip_rocprim26transform_input_iterator_tIbNSD_35transform_pair_of_input_iterators_tIbNS6_6detail15normal_iteratorINS6_10device_ptrIKsEEEESL_NS6_8equal_toIsEEEENSG_9not_fun_tINSD_8identityEEEEENSD_19counting_iterator_tIlEES8_S8_S8_S8_S8_S8_S8_S8_EEEEPS9_S9_NSD_9__find_if7functorIS9_EEEE10hipError_tPvRmT1_T2_T3_mT4_P12ihipStream_tbEUlT_E1_NS1_11comp_targetILNS1_3genE3ELNS1_11target_archE908ELNS1_3gpuE7ELNS1_3repE0EEENS1_30default_config_static_selectorELNS0_4arch9wavefront6targetE1EEEvS14_,comdat
	.protected	_ZN7rocprim17ROCPRIM_400000_NS6detail17trampoline_kernelINS0_14default_configENS1_22reduce_config_selectorIN6thrust23THRUST_200600_302600_NS5tupleIblNS6_9null_typeES8_S8_S8_S8_S8_S8_S8_EEEEZNS1_11reduce_implILb1ES3_NS6_12zip_iteratorINS7_INS6_11hip_rocprim26transform_input_iterator_tIbNSD_35transform_pair_of_input_iterators_tIbNS6_6detail15normal_iteratorINS6_10device_ptrIKsEEEESL_NS6_8equal_toIsEEEENSG_9not_fun_tINSD_8identityEEEEENSD_19counting_iterator_tIlEES8_S8_S8_S8_S8_S8_S8_S8_EEEEPS9_S9_NSD_9__find_if7functorIS9_EEEE10hipError_tPvRmT1_T2_T3_mT4_P12ihipStream_tbEUlT_E1_NS1_11comp_targetILNS1_3genE3ELNS1_11target_archE908ELNS1_3gpuE7ELNS1_3repE0EEENS1_30default_config_static_selectorELNS0_4arch9wavefront6targetE1EEEvS14_ ; -- Begin function _ZN7rocprim17ROCPRIM_400000_NS6detail17trampoline_kernelINS0_14default_configENS1_22reduce_config_selectorIN6thrust23THRUST_200600_302600_NS5tupleIblNS6_9null_typeES8_S8_S8_S8_S8_S8_S8_EEEEZNS1_11reduce_implILb1ES3_NS6_12zip_iteratorINS7_INS6_11hip_rocprim26transform_input_iterator_tIbNSD_35transform_pair_of_input_iterators_tIbNS6_6detail15normal_iteratorINS6_10device_ptrIKsEEEESL_NS6_8equal_toIsEEEENSG_9not_fun_tINSD_8identityEEEEENSD_19counting_iterator_tIlEES8_S8_S8_S8_S8_S8_S8_S8_EEEEPS9_S9_NSD_9__find_if7functorIS9_EEEE10hipError_tPvRmT1_T2_T3_mT4_P12ihipStream_tbEUlT_E1_NS1_11comp_targetILNS1_3genE3ELNS1_11target_archE908ELNS1_3gpuE7ELNS1_3repE0EEENS1_30default_config_static_selectorELNS0_4arch9wavefront6targetE1EEEvS14_
	.globl	_ZN7rocprim17ROCPRIM_400000_NS6detail17trampoline_kernelINS0_14default_configENS1_22reduce_config_selectorIN6thrust23THRUST_200600_302600_NS5tupleIblNS6_9null_typeES8_S8_S8_S8_S8_S8_S8_EEEEZNS1_11reduce_implILb1ES3_NS6_12zip_iteratorINS7_INS6_11hip_rocprim26transform_input_iterator_tIbNSD_35transform_pair_of_input_iterators_tIbNS6_6detail15normal_iteratorINS6_10device_ptrIKsEEEESL_NS6_8equal_toIsEEEENSG_9not_fun_tINSD_8identityEEEEENSD_19counting_iterator_tIlEES8_S8_S8_S8_S8_S8_S8_S8_EEEEPS9_S9_NSD_9__find_if7functorIS9_EEEE10hipError_tPvRmT1_T2_T3_mT4_P12ihipStream_tbEUlT_E1_NS1_11comp_targetILNS1_3genE3ELNS1_11target_archE908ELNS1_3gpuE7ELNS1_3repE0EEENS1_30default_config_static_selectorELNS0_4arch9wavefront6targetE1EEEvS14_
	.p2align	8
	.type	_ZN7rocprim17ROCPRIM_400000_NS6detail17trampoline_kernelINS0_14default_configENS1_22reduce_config_selectorIN6thrust23THRUST_200600_302600_NS5tupleIblNS6_9null_typeES8_S8_S8_S8_S8_S8_S8_EEEEZNS1_11reduce_implILb1ES3_NS6_12zip_iteratorINS7_INS6_11hip_rocprim26transform_input_iterator_tIbNSD_35transform_pair_of_input_iterators_tIbNS6_6detail15normal_iteratorINS6_10device_ptrIKsEEEESL_NS6_8equal_toIsEEEENSG_9not_fun_tINSD_8identityEEEEENSD_19counting_iterator_tIlEES8_S8_S8_S8_S8_S8_S8_S8_EEEEPS9_S9_NSD_9__find_if7functorIS9_EEEE10hipError_tPvRmT1_T2_T3_mT4_P12ihipStream_tbEUlT_E1_NS1_11comp_targetILNS1_3genE3ELNS1_11target_archE908ELNS1_3gpuE7ELNS1_3repE0EEENS1_30default_config_static_selectorELNS0_4arch9wavefront6targetE1EEEvS14_,@function
_ZN7rocprim17ROCPRIM_400000_NS6detail17trampoline_kernelINS0_14default_configENS1_22reduce_config_selectorIN6thrust23THRUST_200600_302600_NS5tupleIblNS6_9null_typeES8_S8_S8_S8_S8_S8_S8_EEEEZNS1_11reduce_implILb1ES3_NS6_12zip_iteratorINS7_INS6_11hip_rocprim26transform_input_iterator_tIbNSD_35transform_pair_of_input_iterators_tIbNS6_6detail15normal_iteratorINS6_10device_ptrIKsEEEESL_NS6_8equal_toIsEEEENSG_9not_fun_tINSD_8identityEEEEENSD_19counting_iterator_tIlEES8_S8_S8_S8_S8_S8_S8_S8_EEEEPS9_S9_NSD_9__find_if7functorIS9_EEEE10hipError_tPvRmT1_T2_T3_mT4_P12ihipStream_tbEUlT_E1_NS1_11comp_targetILNS1_3genE3ELNS1_11target_archE908ELNS1_3gpuE7ELNS1_3repE0EEENS1_30default_config_static_selectorELNS0_4arch9wavefront6targetE1EEEvS14_: ; @_ZN7rocprim17ROCPRIM_400000_NS6detail17trampoline_kernelINS0_14default_configENS1_22reduce_config_selectorIN6thrust23THRUST_200600_302600_NS5tupleIblNS6_9null_typeES8_S8_S8_S8_S8_S8_S8_EEEEZNS1_11reduce_implILb1ES3_NS6_12zip_iteratorINS7_INS6_11hip_rocprim26transform_input_iterator_tIbNSD_35transform_pair_of_input_iterators_tIbNS6_6detail15normal_iteratorINS6_10device_ptrIKsEEEESL_NS6_8equal_toIsEEEENSG_9not_fun_tINSD_8identityEEEEENSD_19counting_iterator_tIlEES8_S8_S8_S8_S8_S8_S8_S8_EEEEPS9_S9_NSD_9__find_if7functorIS9_EEEE10hipError_tPvRmT1_T2_T3_mT4_P12ihipStream_tbEUlT_E1_NS1_11comp_targetILNS1_3genE3ELNS1_11target_archE908ELNS1_3gpuE7ELNS1_3repE0EEENS1_30default_config_static_selectorELNS0_4arch9wavefront6targetE1EEEvS14_
; %bb.0:
	.section	.rodata,"a",@progbits
	.p2align	6, 0x0
	.amdhsa_kernel _ZN7rocprim17ROCPRIM_400000_NS6detail17trampoline_kernelINS0_14default_configENS1_22reduce_config_selectorIN6thrust23THRUST_200600_302600_NS5tupleIblNS6_9null_typeES8_S8_S8_S8_S8_S8_S8_EEEEZNS1_11reduce_implILb1ES3_NS6_12zip_iteratorINS7_INS6_11hip_rocprim26transform_input_iterator_tIbNSD_35transform_pair_of_input_iterators_tIbNS6_6detail15normal_iteratorINS6_10device_ptrIKsEEEESL_NS6_8equal_toIsEEEENSG_9not_fun_tINSD_8identityEEEEENSD_19counting_iterator_tIlEES8_S8_S8_S8_S8_S8_S8_S8_EEEEPS9_S9_NSD_9__find_if7functorIS9_EEEE10hipError_tPvRmT1_T2_T3_mT4_P12ihipStream_tbEUlT_E1_NS1_11comp_targetILNS1_3genE3ELNS1_11target_archE908ELNS1_3gpuE7ELNS1_3repE0EEENS1_30default_config_static_selectorELNS0_4arch9wavefront6targetE1EEEvS14_
		.amdhsa_group_segment_fixed_size 0
		.amdhsa_private_segment_fixed_size 0
		.amdhsa_kernarg_size 88
		.amdhsa_user_sgpr_count 6
		.amdhsa_user_sgpr_private_segment_buffer 1
		.amdhsa_user_sgpr_dispatch_ptr 0
		.amdhsa_user_sgpr_queue_ptr 0
		.amdhsa_user_sgpr_kernarg_segment_ptr 1
		.amdhsa_user_sgpr_dispatch_id 0
		.amdhsa_user_sgpr_flat_scratch_init 0
		.amdhsa_user_sgpr_kernarg_preload_length 0
		.amdhsa_user_sgpr_kernarg_preload_offset 0
		.amdhsa_user_sgpr_private_segment_size 0
		.amdhsa_uses_dynamic_stack 0
		.amdhsa_system_sgpr_private_segment_wavefront_offset 0
		.amdhsa_system_sgpr_workgroup_id_x 1
		.amdhsa_system_sgpr_workgroup_id_y 0
		.amdhsa_system_sgpr_workgroup_id_z 0
		.amdhsa_system_sgpr_workgroup_info 0
		.amdhsa_system_vgpr_workitem_id 0
		.amdhsa_next_free_vgpr 1
		.amdhsa_next_free_sgpr 0
		.amdhsa_accum_offset 4
		.amdhsa_reserve_vcc 0
		.amdhsa_reserve_flat_scratch 0
		.amdhsa_float_round_mode_32 0
		.amdhsa_float_round_mode_16_64 0
		.amdhsa_float_denorm_mode_32 3
		.amdhsa_float_denorm_mode_16_64 3
		.amdhsa_dx10_clamp 1
		.amdhsa_ieee_mode 1
		.amdhsa_fp16_overflow 0
		.amdhsa_tg_split 0
		.amdhsa_exception_fp_ieee_invalid_op 0
		.amdhsa_exception_fp_denorm_src 0
		.amdhsa_exception_fp_ieee_div_zero 0
		.amdhsa_exception_fp_ieee_overflow 0
		.amdhsa_exception_fp_ieee_underflow 0
		.amdhsa_exception_fp_ieee_inexact 0
		.amdhsa_exception_int_div_zero 0
	.end_amdhsa_kernel
	.section	.text._ZN7rocprim17ROCPRIM_400000_NS6detail17trampoline_kernelINS0_14default_configENS1_22reduce_config_selectorIN6thrust23THRUST_200600_302600_NS5tupleIblNS6_9null_typeES8_S8_S8_S8_S8_S8_S8_EEEEZNS1_11reduce_implILb1ES3_NS6_12zip_iteratorINS7_INS6_11hip_rocprim26transform_input_iterator_tIbNSD_35transform_pair_of_input_iterators_tIbNS6_6detail15normal_iteratorINS6_10device_ptrIKsEEEESL_NS6_8equal_toIsEEEENSG_9not_fun_tINSD_8identityEEEEENSD_19counting_iterator_tIlEES8_S8_S8_S8_S8_S8_S8_S8_EEEEPS9_S9_NSD_9__find_if7functorIS9_EEEE10hipError_tPvRmT1_T2_T3_mT4_P12ihipStream_tbEUlT_E1_NS1_11comp_targetILNS1_3genE3ELNS1_11target_archE908ELNS1_3gpuE7ELNS1_3repE0EEENS1_30default_config_static_selectorELNS0_4arch9wavefront6targetE1EEEvS14_,"axG",@progbits,_ZN7rocprim17ROCPRIM_400000_NS6detail17trampoline_kernelINS0_14default_configENS1_22reduce_config_selectorIN6thrust23THRUST_200600_302600_NS5tupleIblNS6_9null_typeES8_S8_S8_S8_S8_S8_S8_EEEEZNS1_11reduce_implILb1ES3_NS6_12zip_iteratorINS7_INS6_11hip_rocprim26transform_input_iterator_tIbNSD_35transform_pair_of_input_iterators_tIbNS6_6detail15normal_iteratorINS6_10device_ptrIKsEEEESL_NS6_8equal_toIsEEEENSG_9not_fun_tINSD_8identityEEEEENSD_19counting_iterator_tIlEES8_S8_S8_S8_S8_S8_S8_S8_EEEEPS9_S9_NSD_9__find_if7functorIS9_EEEE10hipError_tPvRmT1_T2_T3_mT4_P12ihipStream_tbEUlT_E1_NS1_11comp_targetILNS1_3genE3ELNS1_11target_archE908ELNS1_3gpuE7ELNS1_3repE0EEENS1_30default_config_static_selectorELNS0_4arch9wavefront6targetE1EEEvS14_,comdat
.Lfunc_end184:
	.size	_ZN7rocprim17ROCPRIM_400000_NS6detail17trampoline_kernelINS0_14default_configENS1_22reduce_config_selectorIN6thrust23THRUST_200600_302600_NS5tupleIblNS6_9null_typeES8_S8_S8_S8_S8_S8_S8_EEEEZNS1_11reduce_implILb1ES3_NS6_12zip_iteratorINS7_INS6_11hip_rocprim26transform_input_iterator_tIbNSD_35transform_pair_of_input_iterators_tIbNS6_6detail15normal_iteratorINS6_10device_ptrIKsEEEESL_NS6_8equal_toIsEEEENSG_9not_fun_tINSD_8identityEEEEENSD_19counting_iterator_tIlEES8_S8_S8_S8_S8_S8_S8_S8_EEEEPS9_S9_NSD_9__find_if7functorIS9_EEEE10hipError_tPvRmT1_T2_T3_mT4_P12ihipStream_tbEUlT_E1_NS1_11comp_targetILNS1_3genE3ELNS1_11target_archE908ELNS1_3gpuE7ELNS1_3repE0EEENS1_30default_config_static_selectorELNS0_4arch9wavefront6targetE1EEEvS14_, .Lfunc_end184-_ZN7rocprim17ROCPRIM_400000_NS6detail17trampoline_kernelINS0_14default_configENS1_22reduce_config_selectorIN6thrust23THRUST_200600_302600_NS5tupleIblNS6_9null_typeES8_S8_S8_S8_S8_S8_S8_EEEEZNS1_11reduce_implILb1ES3_NS6_12zip_iteratorINS7_INS6_11hip_rocprim26transform_input_iterator_tIbNSD_35transform_pair_of_input_iterators_tIbNS6_6detail15normal_iteratorINS6_10device_ptrIKsEEEESL_NS6_8equal_toIsEEEENSG_9not_fun_tINSD_8identityEEEEENSD_19counting_iterator_tIlEES8_S8_S8_S8_S8_S8_S8_S8_EEEEPS9_S9_NSD_9__find_if7functorIS9_EEEE10hipError_tPvRmT1_T2_T3_mT4_P12ihipStream_tbEUlT_E1_NS1_11comp_targetILNS1_3genE3ELNS1_11target_archE908ELNS1_3gpuE7ELNS1_3repE0EEENS1_30default_config_static_selectorELNS0_4arch9wavefront6targetE1EEEvS14_
                                        ; -- End function
	.section	.AMDGPU.csdata,"",@progbits
; Kernel info:
; codeLenInByte = 0
; NumSgprs: 4
; NumVgprs: 0
; NumAgprs: 0
; TotalNumVgprs: 0
; ScratchSize: 0
; MemoryBound: 0
; FloatMode: 240
; IeeeMode: 1
; LDSByteSize: 0 bytes/workgroup (compile time only)
; SGPRBlocks: 0
; VGPRBlocks: 0
; NumSGPRsForWavesPerEU: 4
; NumVGPRsForWavesPerEU: 1
; AccumOffset: 4
; Occupancy: 8
; WaveLimiterHint : 0
; COMPUTE_PGM_RSRC2:SCRATCH_EN: 0
; COMPUTE_PGM_RSRC2:USER_SGPR: 6
; COMPUTE_PGM_RSRC2:TRAP_HANDLER: 0
; COMPUTE_PGM_RSRC2:TGID_X_EN: 1
; COMPUTE_PGM_RSRC2:TGID_Y_EN: 0
; COMPUTE_PGM_RSRC2:TGID_Z_EN: 0
; COMPUTE_PGM_RSRC2:TIDIG_COMP_CNT: 0
; COMPUTE_PGM_RSRC3_GFX90A:ACCUM_OFFSET: 0
; COMPUTE_PGM_RSRC3_GFX90A:TG_SPLIT: 0
	.section	.text._ZN7rocprim17ROCPRIM_400000_NS6detail17trampoline_kernelINS0_14default_configENS1_22reduce_config_selectorIN6thrust23THRUST_200600_302600_NS5tupleIblNS6_9null_typeES8_S8_S8_S8_S8_S8_S8_EEEEZNS1_11reduce_implILb1ES3_NS6_12zip_iteratorINS7_INS6_11hip_rocprim26transform_input_iterator_tIbNSD_35transform_pair_of_input_iterators_tIbNS6_6detail15normal_iteratorINS6_10device_ptrIKsEEEESL_NS6_8equal_toIsEEEENSG_9not_fun_tINSD_8identityEEEEENSD_19counting_iterator_tIlEES8_S8_S8_S8_S8_S8_S8_S8_EEEEPS9_S9_NSD_9__find_if7functorIS9_EEEE10hipError_tPvRmT1_T2_T3_mT4_P12ihipStream_tbEUlT_E1_NS1_11comp_targetILNS1_3genE2ELNS1_11target_archE906ELNS1_3gpuE6ELNS1_3repE0EEENS1_30default_config_static_selectorELNS0_4arch9wavefront6targetE1EEEvS14_,"axG",@progbits,_ZN7rocprim17ROCPRIM_400000_NS6detail17trampoline_kernelINS0_14default_configENS1_22reduce_config_selectorIN6thrust23THRUST_200600_302600_NS5tupleIblNS6_9null_typeES8_S8_S8_S8_S8_S8_S8_EEEEZNS1_11reduce_implILb1ES3_NS6_12zip_iteratorINS7_INS6_11hip_rocprim26transform_input_iterator_tIbNSD_35transform_pair_of_input_iterators_tIbNS6_6detail15normal_iteratorINS6_10device_ptrIKsEEEESL_NS6_8equal_toIsEEEENSG_9not_fun_tINSD_8identityEEEEENSD_19counting_iterator_tIlEES8_S8_S8_S8_S8_S8_S8_S8_EEEEPS9_S9_NSD_9__find_if7functorIS9_EEEE10hipError_tPvRmT1_T2_T3_mT4_P12ihipStream_tbEUlT_E1_NS1_11comp_targetILNS1_3genE2ELNS1_11target_archE906ELNS1_3gpuE6ELNS1_3repE0EEENS1_30default_config_static_selectorELNS0_4arch9wavefront6targetE1EEEvS14_,comdat
	.protected	_ZN7rocprim17ROCPRIM_400000_NS6detail17trampoline_kernelINS0_14default_configENS1_22reduce_config_selectorIN6thrust23THRUST_200600_302600_NS5tupleIblNS6_9null_typeES8_S8_S8_S8_S8_S8_S8_EEEEZNS1_11reduce_implILb1ES3_NS6_12zip_iteratorINS7_INS6_11hip_rocprim26transform_input_iterator_tIbNSD_35transform_pair_of_input_iterators_tIbNS6_6detail15normal_iteratorINS6_10device_ptrIKsEEEESL_NS6_8equal_toIsEEEENSG_9not_fun_tINSD_8identityEEEEENSD_19counting_iterator_tIlEES8_S8_S8_S8_S8_S8_S8_S8_EEEEPS9_S9_NSD_9__find_if7functorIS9_EEEE10hipError_tPvRmT1_T2_T3_mT4_P12ihipStream_tbEUlT_E1_NS1_11comp_targetILNS1_3genE2ELNS1_11target_archE906ELNS1_3gpuE6ELNS1_3repE0EEENS1_30default_config_static_selectorELNS0_4arch9wavefront6targetE1EEEvS14_ ; -- Begin function _ZN7rocprim17ROCPRIM_400000_NS6detail17trampoline_kernelINS0_14default_configENS1_22reduce_config_selectorIN6thrust23THRUST_200600_302600_NS5tupleIblNS6_9null_typeES8_S8_S8_S8_S8_S8_S8_EEEEZNS1_11reduce_implILb1ES3_NS6_12zip_iteratorINS7_INS6_11hip_rocprim26transform_input_iterator_tIbNSD_35transform_pair_of_input_iterators_tIbNS6_6detail15normal_iteratorINS6_10device_ptrIKsEEEESL_NS6_8equal_toIsEEEENSG_9not_fun_tINSD_8identityEEEEENSD_19counting_iterator_tIlEES8_S8_S8_S8_S8_S8_S8_S8_EEEEPS9_S9_NSD_9__find_if7functorIS9_EEEE10hipError_tPvRmT1_T2_T3_mT4_P12ihipStream_tbEUlT_E1_NS1_11comp_targetILNS1_3genE2ELNS1_11target_archE906ELNS1_3gpuE6ELNS1_3repE0EEENS1_30default_config_static_selectorELNS0_4arch9wavefront6targetE1EEEvS14_
	.globl	_ZN7rocprim17ROCPRIM_400000_NS6detail17trampoline_kernelINS0_14default_configENS1_22reduce_config_selectorIN6thrust23THRUST_200600_302600_NS5tupleIblNS6_9null_typeES8_S8_S8_S8_S8_S8_S8_EEEEZNS1_11reduce_implILb1ES3_NS6_12zip_iteratorINS7_INS6_11hip_rocprim26transform_input_iterator_tIbNSD_35transform_pair_of_input_iterators_tIbNS6_6detail15normal_iteratorINS6_10device_ptrIKsEEEESL_NS6_8equal_toIsEEEENSG_9not_fun_tINSD_8identityEEEEENSD_19counting_iterator_tIlEES8_S8_S8_S8_S8_S8_S8_S8_EEEEPS9_S9_NSD_9__find_if7functorIS9_EEEE10hipError_tPvRmT1_T2_T3_mT4_P12ihipStream_tbEUlT_E1_NS1_11comp_targetILNS1_3genE2ELNS1_11target_archE906ELNS1_3gpuE6ELNS1_3repE0EEENS1_30default_config_static_selectorELNS0_4arch9wavefront6targetE1EEEvS14_
	.p2align	8
	.type	_ZN7rocprim17ROCPRIM_400000_NS6detail17trampoline_kernelINS0_14default_configENS1_22reduce_config_selectorIN6thrust23THRUST_200600_302600_NS5tupleIblNS6_9null_typeES8_S8_S8_S8_S8_S8_S8_EEEEZNS1_11reduce_implILb1ES3_NS6_12zip_iteratorINS7_INS6_11hip_rocprim26transform_input_iterator_tIbNSD_35transform_pair_of_input_iterators_tIbNS6_6detail15normal_iteratorINS6_10device_ptrIKsEEEESL_NS6_8equal_toIsEEEENSG_9not_fun_tINSD_8identityEEEEENSD_19counting_iterator_tIlEES8_S8_S8_S8_S8_S8_S8_S8_EEEEPS9_S9_NSD_9__find_if7functorIS9_EEEE10hipError_tPvRmT1_T2_T3_mT4_P12ihipStream_tbEUlT_E1_NS1_11comp_targetILNS1_3genE2ELNS1_11target_archE906ELNS1_3gpuE6ELNS1_3repE0EEENS1_30default_config_static_selectorELNS0_4arch9wavefront6targetE1EEEvS14_,@function
_ZN7rocprim17ROCPRIM_400000_NS6detail17trampoline_kernelINS0_14default_configENS1_22reduce_config_selectorIN6thrust23THRUST_200600_302600_NS5tupleIblNS6_9null_typeES8_S8_S8_S8_S8_S8_S8_EEEEZNS1_11reduce_implILb1ES3_NS6_12zip_iteratorINS7_INS6_11hip_rocprim26transform_input_iterator_tIbNSD_35transform_pair_of_input_iterators_tIbNS6_6detail15normal_iteratorINS6_10device_ptrIKsEEEESL_NS6_8equal_toIsEEEENSG_9not_fun_tINSD_8identityEEEEENSD_19counting_iterator_tIlEES8_S8_S8_S8_S8_S8_S8_S8_EEEEPS9_S9_NSD_9__find_if7functorIS9_EEEE10hipError_tPvRmT1_T2_T3_mT4_P12ihipStream_tbEUlT_E1_NS1_11comp_targetILNS1_3genE2ELNS1_11target_archE906ELNS1_3gpuE6ELNS1_3repE0EEENS1_30default_config_static_selectorELNS0_4arch9wavefront6targetE1EEEvS14_: ; @_ZN7rocprim17ROCPRIM_400000_NS6detail17trampoline_kernelINS0_14default_configENS1_22reduce_config_selectorIN6thrust23THRUST_200600_302600_NS5tupleIblNS6_9null_typeES8_S8_S8_S8_S8_S8_S8_EEEEZNS1_11reduce_implILb1ES3_NS6_12zip_iteratorINS7_INS6_11hip_rocprim26transform_input_iterator_tIbNSD_35transform_pair_of_input_iterators_tIbNS6_6detail15normal_iteratorINS6_10device_ptrIKsEEEESL_NS6_8equal_toIsEEEENSG_9not_fun_tINSD_8identityEEEEENSD_19counting_iterator_tIlEES8_S8_S8_S8_S8_S8_S8_S8_EEEEPS9_S9_NSD_9__find_if7functorIS9_EEEE10hipError_tPvRmT1_T2_T3_mT4_P12ihipStream_tbEUlT_E1_NS1_11comp_targetILNS1_3genE2ELNS1_11target_archE906ELNS1_3gpuE6ELNS1_3repE0EEENS1_30default_config_static_selectorELNS0_4arch9wavefront6targetE1EEEvS14_
; %bb.0:
	.section	.rodata,"a",@progbits
	.p2align	6, 0x0
	.amdhsa_kernel _ZN7rocprim17ROCPRIM_400000_NS6detail17trampoline_kernelINS0_14default_configENS1_22reduce_config_selectorIN6thrust23THRUST_200600_302600_NS5tupleIblNS6_9null_typeES8_S8_S8_S8_S8_S8_S8_EEEEZNS1_11reduce_implILb1ES3_NS6_12zip_iteratorINS7_INS6_11hip_rocprim26transform_input_iterator_tIbNSD_35transform_pair_of_input_iterators_tIbNS6_6detail15normal_iteratorINS6_10device_ptrIKsEEEESL_NS6_8equal_toIsEEEENSG_9not_fun_tINSD_8identityEEEEENSD_19counting_iterator_tIlEES8_S8_S8_S8_S8_S8_S8_S8_EEEEPS9_S9_NSD_9__find_if7functorIS9_EEEE10hipError_tPvRmT1_T2_T3_mT4_P12ihipStream_tbEUlT_E1_NS1_11comp_targetILNS1_3genE2ELNS1_11target_archE906ELNS1_3gpuE6ELNS1_3repE0EEENS1_30default_config_static_selectorELNS0_4arch9wavefront6targetE1EEEvS14_
		.amdhsa_group_segment_fixed_size 0
		.amdhsa_private_segment_fixed_size 0
		.amdhsa_kernarg_size 88
		.amdhsa_user_sgpr_count 6
		.amdhsa_user_sgpr_private_segment_buffer 1
		.amdhsa_user_sgpr_dispatch_ptr 0
		.amdhsa_user_sgpr_queue_ptr 0
		.amdhsa_user_sgpr_kernarg_segment_ptr 1
		.amdhsa_user_sgpr_dispatch_id 0
		.amdhsa_user_sgpr_flat_scratch_init 0
		.amdhsa_user_sgpr_kernarg_preload_length 0
		.amdhsa_user_sgpr_kernarg_preload_offset 0
		.amdhsa_user_sgpr_private_segment_size 0
		.amdhsa_uses_dynamic_stack 0
		.amdhsa_system_sgpr_private_segment_wavefront_offset 0
		.amdhsa_system_sgpr_workgroup_id_x 1
		.amdhsa_system_sgpr_workgroup_id_y 0
		.amdhsa_system_sgpr_workgroup_id_z 0
		.amdhsa_system_sgpr_workgroup_info 0
		.amdhsa_system_vgpr_workitem_id 0
		.amdhsa_next_free_vgpr 1
		.amdhsa_next_free_sgpr 0
		.amdhsa_accum_offset 4
		.amdhsa_reserve_vcc 0
		.amdhsa_reserve_flat_scratch 0
		.amdhsa_float_round_mode_32 0
		.amdhsa_float_round_mode_16_64 0
		.amdhsa_float_denorm_mode_32 3
		.amdhsa_float_denorm_mode_16_64 3
		.amdhsa_dx10_clamp 1
		.amdhsa_ieee_mode 1
		.amdhsa_fp16_overflow 0
		.amdhsa_tg_split 0
		.amdhsa_exception_fp_ieee_invalid_op 0
		.amdhsa_exception_fp_denorm_src 0
		.amdhsa_exception_fp_ieee_div_zero 0
		.amdhsa_exception_fp_ieee_overflow 0
		.amdhsa_exception_fp_ieee_underflow 0
		.amdhsa_exception_fp_ieee_inexact 0
		.amdhsa_exception_int_div_zero 0
	.end_amdhsa_kernel
	.section	.text._ZN7rocprim17ROCPRIM_400000_NS6detail17trampoline_kernelINS0_14default_configENS1_22reduce_config_selectorIN6thrust23THRUST_200600_302600_NS5tupleIblNS6_9null_typeES8_S8_S8_S8_S8_S8_S8_EEEEZNS1_11reduce_implILb1ES3_NS6_12zip_iteratorINS7_INS6_11hip_rocprim26transform_input_iterator_tIbNSD_35transform_pair_of_input_iterators_tIbNS6_6detail15normal_iteratorINS6_10device_ptrIKsEEEESL_NS6_8equal_toIsEEEENSG_9not_fun_tINSD_8identityEEEEENSD_19counting_iterator_tIlEES8_S8_S8_S8_S8_S8_S8_S8_EEEEPS9_S9_NSD_9__find_if7functorIS9_EEEE10hipError_tPvRmT1_T2_T3_mT4_P12ihipStream_tbEUlT_E1_NS1_11comp_targetILNS1_3genE2ELNS1_11target_archE906ELNS1_3gpuE6ELNS1_3repE0EEENS1_30default_config_static_selectorELNS0_4arch9wavefront6targetE1EEEvS14_,"axG",@progbits,_ZN7rocprim17ROCPRIM_400000_NS6detail17trampoline_kernelINS0_14default_configENS1_22reduce_config_selectorIN6thrust23THRUST_200600_302600_NS5tupleIblNS6_9null_typeES8_S8_S8_S8_S8_S8_S8_EEEEZNS1_11reduce_implILb1ES3_NS6_12zip_iteratorINS7_INS6_11hip_rocprim26transform_input_iterator_tIbNSD_35transform_pair_of_input_iterators_tIbNS6_6detail15normal_iteratorINS6_10device_ptrIKsEEEESL_NS6_8equal_toIsEEEENSG_9not_fun_tINSD_8identityEEEEENSD_19counting_iterator_tIlEES8_S8_S8_S8_S8_S8_S8_S8_EEEEPS9_S9_NSD_9__find_if7functorIS9_EEEE10hipError_tPvRmT1_T2_T3_mT4_P12ihipStream_tbEUlT_E1_NS1_11comp_targetILNS1_3genE2ELNS1_11target_archE906ELNS1_3gpuE6ELNS1_3repE0EEENS1_30default_config_static_selectorELNS0_4arch9wavefront6targetE1EEEvS14_,comdat
.Lfunc_end185:
	.size	_ZN7rocprim17ROCPRIM_400000_NS6detail17trampoline_kernelINS0_14default_configENS1_22reduce_config_selectorIN6thrust23THRUST_200600_302600_NS5tupleIblNS6_9null_typeES8_S8_S8_S8_S8_S8_S8_EEEEZNS1_11reduce_implILb1ES3_NS6_12zip_iteratorINS7_INS6_11hip_rocprim26transform_input_iterator_tIbNSD_35transform_pair_of_input_iterators_tIbNS6_6detail15normal_iteratorINS6_10device_ptrIKsEEEESL_NS6_8equal_toIsEEEENSG_9not_fun_tINSD_8identityEEEEENSD_19counting_iterator_tIlEES8_S8_S8_S8_S8_S8_S8_S8_EEEEPS9_S9_NSD_9__find_if7functorIS9_EEEE10hipError_tPvRmT1_T2_T3_mT4_P12ihipStream_tbEUlT_E1_NS1_11comp_targetILNS1_3genE2ELNS1_11target_archE906ELNS1_3gpuE6ELNS1_3repE0EEENS1_30default_config_static_selectorELNS0_4arch9wavefront6targetE1EEEvS14_, .Lfunc_end185-_ZN7rocprim17ROCPRIM_400000_NS6detail17trampoline_kernelINS0_14default_configENS1_22reduce_config_selectorIN6thrust23THRUST_200600_302600_NS5tupleIblNS6_9null_typeES8_S8_S8_S8_S8_S8_S8_EEEEZNS1_11reduce_implILb1ES3_NS6_12zip_iteratorINS7_INS6_11hip_rocprim26transform_input_iterator_tIbNSD_35transform_pair_of_input_iterators_tIbNS6_6detail15normal_iteratorINS6_10device_ptrIKsEEEESL_NS6_8equal_toIsEEEENSG_9not_fun_tINSD_8identityEEEEENSD_19counting_iterator_tIlEES8_S8_S8_S8_S8_S8_S8_S8_EEEEPS9_S9_NSD_9__find_if7functorIS9_EEEE10hipError_tPvRmT1_T2_T3_mT4_P12ihipStream_tbEUlT_E1_NS1_11comp_targetILNS1_3genE2ELNS1_11target_archE906ELNS1_3gpuE6ELNS1_3repE0EEENS1_30default_config_static_selectorELNS0_4arch9wavefront6targetE1EEEvS14_
                                        ; -- End function
	.section	.AMDGPU.csdata,"",@progbits
; Kernel info:
; codeLenInByte = 0
; NumSgprs: 4
; NumVgprs: 0
; NumAgprs: 0
; TotalNumVgprs: 0
; ScratchSize: 0
; MemoryBound: 0
; FloatMode: 240
; IeeeMode: 1
; LDSByteSize: 0 bytes/workgroup (compile time only)
; SGPRBlocks: 0
; VGPRBlocks: 0
; NumSGPRsForWavesPerEU: 4
; NumVGPRsForWavesPerEU: 1
; AccumOffset: 4
; Occupancy: 8
; WaveLimiterHint : 0
; COMPUTE_PGM_RSRC2:SCRATCH_EN: 0
; COMPUTE_PGM_RSRC2:USER_SGPR: 6
; COMPUTE_PGM_RSRC2:TRAP_HANDLER: 0
; COMPUTE_PGM_RSRC2:TGID_X_EN: 1
; COMPUTE_PGM_RSRC2:TGID_Y_EN: 0
; COMPUTE_PGM_RSRC2:TGID_Z_EN: 0
; COMPUTE_PGM_RSRC2:TIDIG_COMP_CNT: 0
; COMPUTE_PGM_RSRC3_GFX90A:ACCUM_OFFSET: 0
; COMPUTE_PGM_RSRC3_GFX90A:TG_SPLIT: 0
	.section	.text._ZN7rocprim17ROCPRIM_400000_NS6detail17trampoline_kernelINS0_14default_configENS1_22reduce_config_selectorIN6thrust23THRUST_200600_302600_NS5tupleIblNS6_9null_typeES8_S8_S8_S8_S8_S8_S8_EEEEZNS1_11reduce_implILb1ES3_NS6_12zip_iteratorINS7_INS6_11hip_rocprim26transform_input_iterator_tIbNSD_35transform_pair_of_input_iterators_tIbNS6_6detail15normal_iteratorINS6_10device_ptrIKsEEEESL_NS6_8equal_toIsEEEENSG_9not_fun_tINSD_8identityEEEEENSD_19counting_iterator_tIlEES8_S8_S8_S8_S8_S8_S8_S8_EEEEPS9_S9_NSD_9__find_if7functorIS9_EEEE10hipError_tPvRmT1_T2_T3_mT4_P12ihipStream_tbEUlT_E1_NS1_11comp_targetILNS1_3genE10ELNS1_11target_archE1201ELNS1_3gpuE5ELNS1_3repE0EEENS1_30default_config_static_selectorELNS0_4arch9wavefront6targetE1EEEvS14_,"axG",@progbits,_ZN7rocprim17ROCPRIM_400000_NS6detail17trampoline_kernelINS0_14default_configENS1_22reduce_config_selectorIN6thrust23THRUST_200600_302600_NS5tupleIblNS6_9null_typeES8_S8_S8_S8_S8_S8_S8_EEEEZNS1_11reduce_implILb1ES3_NS6_12zip_iteratorINS7_INS6_11hip_rocprim26transform_input_iterator_tIbNSD_35transform_pair_of_input_iterators_tIbNS6_6detail15normal_iteratorINS6_10device_ptrIKsEEEESL_NS6_8equal_toIsEEEENSG_9not_fun_tINSD_8identityEEEEENSD_19counting_iterator_tIlEES8_S8_S8_S8_S8_S8_S8_S8_EEEEPS9_S9_NSD_9__find_if7functorIS9_EEEE10hipError_tPvRmT1_T2_T3_mT4_P12ihipStream_tbEUlT_E1_NS1_11comp_targetILNS1_3genE10ELNS1_11target_archE1201ELNS1_3gpuE5ELNS1_3repE0EEENS1_30default_config_static_selectorELNS0_4arch9wavefront6targetE1EEEvS14_,comdat
	.protected	_ZN7rocprim17ROCPRIM_400000_NS6detail17trampoline_kernelINS0_14default_configENS1_22reduce_config_selectorIN6thrust23THRUST_200600_302600_NS5tupleIblNS6_9null_typeES8_S8_S8_S8_S8_S8_S8_EEEEZNS1_11reduce_implILb1ES3_NS6_12zip_iteratorINS7_INS6_11hip_rocprim26transform_input_iterator_tIbNSD_35transform_pair_of_input_iterators_tIbNS6_6detail15normal_iteratorINS6_10device_ptrIKsEEEESL_NS6_8equal_toIsEEEENSG_9not_fun_tINSD_8identityEEEEENSD_19counting_iterator_tIlEES8_S8_S8_S8_S8_S8_S8_S8_EEEEPS9_S9_NSD_9__find_if7functorIS9_EEEE10hipError_tPvRmT1_T2_T3_mT4_P12ihipStream_tbEUlT_E1_NS1_11comp_targetILNS1_3genE10ELNS1_11target_archE1201ELNS1_3gpuE5ELNS1_3repE0EEENS1_30default_config_static_selectorELNS0_4arch9wavefront6targetE1EEEvS14_ ; -- Begin function _ZN7rocprim17ROCPRIM_400000_NS6detail17trampoline_kernelINS0_14default_configENS1_22reduce_config_selectorIN6thrust23THRUST_200600_302600_NS5tupleIblNS6_9null_typeES8_S8_S8_S8_S8_S8_S8_EEEEZNS1_11reduce_implILb1ES3_NS6_12zip_iteratorINS7_INS6_11hip_rocprim26transform_input_iterator_tIbNSD_35transform_pair_of_input_iterators_tIbNS6_6detail15normal_iteratorINS6_10device_ptrIKsEEEESL_NS6_8equal_toIsEEEENSG_9not_fun_tINSD_8identityEEEEENSD_19counting_iterator_tIlEES8_S8_S8_S8_S8_S8_S8_S8_EEEEPS9_S9_NSD_9__find_if7functorIS9_EEEE10hipError_tPvRmT1_T2_T3_mT4_P12ihipStream_tbEUlT_E1_NS1_11comp_targetILNS1_3genE10ELNS1_11target_archE1201ELNS1_3gpuE5ELNS1_3repE0EEENS1_30default_config_static_selectorELNS0_4arch9wavefront6targetE1EEEvS14_
	.globl	_ZN7rocprim17ROCPRIM_400000_NS6detail17trampoline_kernelINS0_14default_configENS1_22reduce_config_selectorIN6thrust23THRUST_200600_302600_NS5tupleIblNS6_9null_typeES8_S8_S8_S8_S8_S8_S8_EEEEZNS1_11reduce_implILb1ES3_NS6_12zip_iteratorINS7_INS6_11hip_rocprim26transform_input_iterator_tIbNSD_35transform_pair_of_input_iterators_tIbNS6_6detail15normal_iteratorINS6_10device_ptrIKsEEEESL_NS6_8equal_toIsEEEENSG_9not_fun_tINSD_8identityEEEEENSD_19counting_iterator_tIlEES8_S8_S8_S8_S8_S8_S8_S8_EEEEPS9_S9_NSD_9__find_if7functorIS9_EEEE10hipError_tPvRmT1_T2_T3_mT4_P12ihipStream_tbEUlT_E1_NS1_11comp_targetILNS1_3genE10ELNS1_11target_archE1201ELNS1_3gpuE5ELNS1_3repE0EEENS1_30default_config_static_selectorELNS0_4arch9wavefront6targetE1EEEvS14_
	.p2align	8
	.type	_ZN7rocprim17ROCPRIM_400000_NS6detail17trampoline_kernelINS0_14default_configENS1_22reduce_config_selectorIN6thrust23THRUST_200600_302600_NS5tupleIblNS6_9null_typeES8_S8_S8_S8_S8_S8_S8_EEEEZNS1_11reduce_implILb1ES3_NS6_12zip_iteratorINS7_INS6_11hip_rocprim26transform_input_iterator_tIbNSD_35transform_pair_of_input_iterators_tIbNS6_6detail15normal_iteratorINS6_10device_ptrIKsEEEESL_NS6_8equal_toIsEEEENSG_9not_fun_tINSD_8identityEEEEENSD_19counting_iterator_tIlEES8_S8_S8_S8_S8_S8_S8_S8_EEEEPS9_S9_NSD_9__find_if7functorIS9_EEEE10hipError_tPvRmT1_T2_T3_mT4_P12ihipStream_tbEUlT_E1_NS1_11comp_targetILNS1_3genE10ELNS1_11target_archE1201ELNS1_3gpuE5ELNS1_3repE0EEENS1_30default_config_static_selectorELNS0_4arch9wavefront6targetE1EEEvS14_,@function
_ZN7rocprim17ROCPRIM_400000_NS6detail17trampoline_kernelINS0_14default_configENS1_22reduce_config_selectorIN6thrust23THRUST_200600_302600_NS5tupleIblNS6_9null_typeES8_S8_S8_S8_S8_S8_S8_EEEEZNS1_11reduce_implILb1ES3_NS6_12zip_iteratorINS7_INS6_11hip_rocprim26transform_input_iterator_tIbNSD_35transform_pair_of_input_iterators_tIbNS6_6detail15normal_iteratorINS6_10device_ptrIKsEEEESL_NS6_8equal_toIsEEEENSG_9not_fun_tINSD_8identityEEEEENSD_19counting_iterator_tIlEES8_S8_S8_S8_S8_S8_S8_S8_EEEEPS9_S9_NSD_9__find_if7functorIS9_EEEE10hipError_tPvRmT1_T2_T3_mT4_P12ihipStream_tbEUlT_E1_NS1_11comp_targetILNS1_3genE10ELNS1_11target_archE1201ELNS1_3gpuE5ELNS1_3repE0EEENS1_30default_config_static_selectorELNS0_4arch9wavefront6targetE1EEEvS14_: ; @_ZN7rocprim17ROCPRIM_400000_NS6detail17trampoline_kernelINS0_14default_configENS1_22reduce_config_selectorIN6thrust23THRUST_200600_302600_NS5tupleIblNS6_9null_typeES8_S8_S8_S8_S8_S8_S8_EEEEZNS1_11reduce_implILb1ES3_NS6_12zip_iteratorINS7_INS6_11hip_rocprim26transform_input_iterator_tIbNSD_35transform_pair_of_input_iterators_tIbNS6_6detail15normal_iteratorINS6_10device_ptrIKsEEEESL_NS6_8equal_toIsEEEENSG_9not_fun_tINSD_8identityEEEEENSD_19counting_iterator_tIlEES8_S8_S8_S8_S8_S8_S8_S8_EEEEPS9_S9_NSD_9__find_if7functorIS9_EEEE10hipError_tPvRmT1_T2_T3_mT4_P12ihipStream_tbEUlT_E1_NS1_11comp_targetILNS1_3genE10ELNS1_11target_archE1201ELNS1_3gpuE5ELNS1_3repE0EEENS1_30default_config_static_selectorELNS0_4arch9wavefront6targetE1EEEvS14_
; %bb.0:
	.section	.rodata,"a",@progbits
	.p2align	6, 0x0
	.amdhsa_kernel _ZN7rocprim17ROCPRIM_400000_NS6detail17trampoline_kernelINS0_14default_configENS1_22reduce_config_selectorIN6thrust23THRUST_200600_302600_NS5tupleIblNS6_9null_typeES8_S8_S8_S8_S8_S8_S8_EEEEZNS1_11reduce_implILb1ES3_NS6_12zip_iteratorINS7_INS6_11hip_rocprim26transform_input_iterator_tIbNSD_35transform_pair_of_input_iterators_tIbNS6_6detail15normal_iteratorINS6_10device_ptrIKsEEEESL_NS6_8equal_toIsEEEENSG_9not_fun_tINSD_8identityEEEEENSD_19counting_iterator_tIlEES8_S8_S8_S8_S8_S8_S8_S8_EEEEPS9_S9_NSD_9__find_if7functorIS9_EEEE10hipError_tPvRmT1_T2_T3_mT4_P12ihipStream_tbEUlT_E1_NS1_11comp_targetILNS1_3genE10ELNS1_11target_archE1201ELNS1_3gpuE5ELNS1_3repE0EEENS1_30default_config_static_selectorELNS0_4arch9wavefront6targetE1EEEvS14_
		.amdhsa_group_segment_fixed_size 0
		.amdhsa_private_segment_fixed_size 0
		.amdhsa_kernarg_size 88
		.amdhsa_user_sgpr_count 6
		.amdhsa_user_sgpr_private_segment_buffer 1
		.amdhsa_user_sgpr_dispatch_ptr 0
		.amdhsa_user_sgpr_queue_ptr 0
		.amdhsa_user_sgpr_kernarg_segment_ptr 1
		.amdhsa_user_sgpr_dispatch_id 0
		.amdhsa_user_sgpr_flat_scratch_init 0
		.amdhsa_user_sgpr_kernarg_preload_length 0
		.amdhsa_user_sgpr_kernarg_preload_offset 0
		.amdhsa_user_sgpr_private_segment_size 0
		.amdhsa_uses_dynamic_stack 0
		.amdhsa_system_sgpr_private_segment_wavefront_offset 0
		.amdhsa_system_sgpr_workgroup_id_x 1
		.amdhsa_system_sgpr_workgroup_id_y 0
		.amdhsa_system_sgpr_workgroup_id_z 0
		.amdhsa_system_sgpr_workgroup_info 0
		.amdhsa_system_vgpr_workitem_id 0
		.amdhsa_next_free_vgpr 1
		.amdhsa_next_free_sgpr 0
		.amdhsa_accum_offset 4
		.amdhsa_reserve_vcc 0
		.amdhsa_reserve_flat_scratch 0
		.amdhsa_float_round_mode_32 0
		.amdhsa_float_round_mode_16_64 0
		.amdhsa_float_denorm_mode_32 3
		.amdhsa_float_denorm_mode_16_64 3
		.amdhsa_dx10_clamp 1
		.amdhsa_ieee_mode 1
		.amdhsa_fp16_overflow 0
		.amdhsa_tg_split 0
		.amdhsa_exception_fp_ieee_invalid_op 0
		.amdhsa_exception_fp_denorm_src 0
		.amdhsa_exception_fp_ieee_div_zero 0
		.amdhsa_exception_fp_ieee_overflow 0
		.amdhsa_exception_fp_ieee_underflow 0
		.amdhsa_exception_fp_ieee_inexact 0
		.amdhsa_exception_int_div_zero 0
	.end_amdhsa_kernel
	.section	.text._ZN7rocprim17ROCPRIM_400000_NS6detail17trampoline_kernelINS0_14default_configENS1_22reduce_config_selectorIN6thrust23THRUST_200600_302600_NS5tupleIblNS6_9null_typeES8_S8_S8_S8_S8_S8_S8_EEEEZNS1_11reduce_implILb1ES3_NS6_12zip_iteratorINS7_INS6_11hip_rocprim26transform_input_iterator_tIbNSD_35transform_pair_of_input_iterators_tIbNS6_6detail15normal_iteratorINS6_10device_ptrIKsEEEESL_NS6_8equal_toIsEEEENSG_9not_fun_tINSD_8identityEEEEENSD_19counting_iterator_tIlEES8_S8_S8_S8_S8_S8_S8_S8_EEEEPS9_S9_NSD_9__find_if7functorIS9_EEEE10hipError_tPvRmT1_T2_T3_mT4_P12ihipStream_tbEUlT_E1_NS1_11comp_targetILNS1_3genE10ELNS1_11target_archE1201ELNS1_3gpuE5ELNS1_3repE0EEENS1_30default_config_static_selectorELNS0_4arch9wavefront6targetE1EEEvS14_,"axG",@progbits,_ZN7rocprim17ROCPRIM_400000_NS6detail17trampoline_kernelINS0_14default_configENS1_22reduce_config_selectorIN6thrust23THRUST_200600_302600_NS5tupleIblNS6_9null_typeES8_S8_S8_S8_S8_S8_S8_EEEEZNS1_11reduce_implILb1ES3_NS6_12zip_iteratorINS7_INS6_11hip_rocprim26transform_input_iterator_tIbNSD_35transform_pair_of_input_iterators_tIbNS6_6detail15normal_iteratorINS6_10device_ptrIKsEEEESL_NS6_8equal_toIsEEEENSG_9not_fun_tINSD_8identityEEEEENSD_19counting_iterator_tIlEES8_S8_S8_S8_S8_S8_S8_S8_EEEEPS9_S9_NSD_9__find_if7functorIS9_EEEE10hipError_tPvRmT1_T2_T3_mT4_P12ihipStream_tbEUlT_E1_NS1_11comp_targetILNS1_3genE10ELNS1_11target_archE1201ELNS1_3gpuE5ELNS1_3repE0EEENS1_30default_config_static_selectorELNS0_4arch9wavefront6targetE1EEEvS14_,comdat
.Lfunc_end186:
	.size	_ZN7rocprim17ROCPRIM_400000_NS6detail17trampoline_kernelINS0_14default_configENS1_22reduce_config_selectorIN6thrust23THRUST_200600_302600_NS5tupleIblNS6_9null_typeES8_S8_S8_S8_S8_S8_S8_EEEEZNS1_11reduce_implILb1ES3_NS6_12zip_iteratorINS7_INS6_11hip_rocprim26transform_input_iterator_tIbNSD_35transform_pair_of_input_iterators_tIbNS6_6detail15normal_iteratorINS6_10device_ptrIKsEEEESL_NS6_8equal_toIsEEEENSG_9not_fun_tINSD_8identityEEEEENSD_19counting_iterator_tIlEES8_S8_S8_S8_S8_S8_S8_S8_EEEEPS9_S9_NSD_9__find_if7functorIS9_EEEE10hipError_tPvRmT1_T2_T3_mT4_P12ihipStream_tbEUlT_E1_NS1_11comp_targetILNS1_3genE10ELNS1_11target_archE1201ELNS1_3gpuE5ELNS1_3repE0EEENS1_30default_config_static_selectorELNS0_4arch9wavefront6targetE1EEEvS14_, .Lfunc_end186-_ZN7rocprim17ROCPRIM_400000_NS6detail17trampoline_kernelINS0_14default_configENS1_22reduce_config_selectorIN6thrust23THRUST_200600_302600_NS5tupleIblNS6_9null_typeES8_S8_S8_S8_S8_S8_S8_EEEEZNS1_11reduce_implILb1ES3_NS6_12zip_iteratorINS7_INS6_11hip_rocprim26transform_input_iterator_tIbNSD_35transform_pair_of_input_iterators_tIbNS6_6detail15normal_iteratorINS6_10device_ptrIKsEEEESL_NS6_8equal_toIsEEEENSG_9not_fun_tINSD_8identityEEEEENSD_19counting_iterator_tIlEES8_S8_S8_S8_S8_S8_S8_S8_EEEEPS9_S9_NSD_9__find_if7functorIS9_EEEE10hipError_tPvRmT1_T2_T3_mT4_P12ihipStream_tbEUlT_E1_NS1_11comp_targetILNS1_3genE10ELNS1_11target_archE1201ELNS1_3gpuE5ELNS1_3repE0EEENS1_30default_config_static_selectorELNS0_4arch9wavefront6targetE1EEEvS14_
                                        ; -- End function
	.section	.AMDGPU.csdata,"",@progbits
; Kernel info:
; codeLenInByte = 0
; NumSgprs: 4
; NumVgprs: 0
; NumAgprs: 0
; TotalNumVgprs: 0
; ScratchSize: 0
; MemoryBound: 0
; FloatMode: 240
; IeeeMode: 1
; LDSByteSize: 0 bytes/workgroup (compile time only)
; SGPRBlocks: 0
; VGPRBlocks: 0
; NumSGPRsForWavesPerEU: 4
; NumVGPRsForWavesPerEU: 1
; AccumOffset: 4
; Occupancy: 8
; WaveLimiterHint : 0
; COMPUTE_PGM_RSRC2:SCRATCH_EN: 0
; COMPUTE_PGM_RSRC2:USER_SGPR: 6
; COMPUTE_PGM_RSRC2:TRAP_HANDLER: 0
; COMPUTE_PGM_RSRC2:TGID_X_EN: 1
; COMPUTE_PGM_RSRC2:TGID_Y_EN: 0
; COMPUTE_PGM_RSRC2:TGID_Z_EN: 0
; COMPUTE_PGM_RSRC2:TIDIG_COMP_CNT: 0
; COMPUTE_PGM_RSRC3_GFX90A:ACCUM_OFFSET: 0
; COMPUTE_PGM_RSRC3_GFX90A:TG_SPLIT: 0
	.section	.text._ZN7rocprim17ROCPRIM_400000_NS6detail17trampoline_kernelINS0_14default_configENS1_22reduce_config_selectorIN6thrust23THRUST_200600_302600_NS5tupleIblNS6_9null_typeES8_S8_S8_S8_S8_S8_S8_EEEEZNS1_11reduce_implILb1ES3_NS6_12zip_iteratorINS7_INS6_11hip_rocprim26transform_input_iterator_tIbNSD_35transform_pair_of_input_iterators_tIbNS6_6detail15normal_iteratorINS6_10device_ptrIKsEEEESL_NS6_8equal_toIsEEEENSG_9not_fun_tINSD_8identityEEEEENSD_19counting_iterator_tIlEES8_S8_S8_S8_S8_S8_S8_S8_EEEEPS9_S9_NSD_9__find_if7functorIS9_EEEE10hipError_tPvRmT1_T2_T3_mT4_P12ihipStream_tbEUlT_E1_NS1_11comp_targetILNS1_3genE10ELNS1_11target_archE1200ELNS1_3gpuE4ELNS1_3repE0EEENS1_30default_config_static_selectorELNS0_4arch9wavefront6targetE1EEEvS14_,"axG",@progbits,_ZN7rocprim17ROCPRIM_400000_NS6detail17trampoline_kernelINS0_14default_configENS1_22reduce_config_selectorIN6thrust23THRUST_200600_302600_NS5tupleIblNS6_9null_typeES8_S8_S8_S8_S8_S8_S8_EEEEZNS1_11reduce_implILb1ES3_NS6_12zip_iteratorINS7_INS6_11hip_rocprim26transform_input_iterator_tIbNSD_35transform_pair_of_input_iterators_tIbNS6_6detail15normal_iteratorINS6_10device_ptrIKsEEEESL_NS6_8equal_toIsEEEENSG_9not_fun_tINSD_8identityEEEEENSD_19counting_iterator_tIlEES8_S8_S8_S8_S8_S8_S8_S8_EEEEPS9_S9_NSD_9__find_if7functorIS9_EEEE10hipError_tPvRmT1_T2_T3_mT4_P12ihipStream_tbEUlT_E1_NS1_11comp_targetILNS1_3genE10ELNS1_11target_archE1200ELNS1_3gpuE4ELNS1_3repE0EEENS1_30default_config_static_selectorELNS0_4arch9wavefront6targetE1EEEvS14_,comdat
	.protected	_ZN7rocprim17ROCPRIM_400000_NS6detail17trampoline_kernelINS0_14default_configENS1_22reduce_config_selectorIN6thrust23THRUST_200600_302600_NS5tupleIblNS6_9null_typeES8_S8_S8_S8_S8_S8_S8_EEEEZNS1_11reduce_implILb1ES3_NS6_12zip_iteratorINS7_INS6_11hip_rocprim26transform_input_iterator_tIbNSD_35transform_pair_of_input_iterators_tIbNS6_6detail15normal_iteratorINS6_10device_ptrIKsEEEESL_NS6_8equal_toIsEEEENSG_9not_fun_tINSD_8identityEEEEENSD_19counting_iterator_tIlEES8_S8_S8_S8_S8_S8_S8_S8_EEEEPS9_S9_NSD_9__find_if7functorIS9_EEEE10hipError_tPvRmT1_T2_T3_mT4_P12ihipStream_tbEUlT_E1_NS1_11comp_targetILNS1_3genE10ELNS1_11target_archE1200ELNS1_3gpuE4ELNS1_3repE0EEENS1_30default_config_static_selectorELNS0_4arch9wavefront6targetE1EEEvS14_ ; -- Begin function _ZN7rocprim17ROCPRIM_400000_NS6detail17trampoline_kernelINS0_14default_configENS1_22reduce_config_selectorIN6thrust23THRUST_200600_302600_NS5tupleIblNS6_9null_typeES8_S8_S8_S8_S8_S8_S8_EEEEZNS1_11reduce_implILb1ES3_NS6_12zip_iteratorINS7_INS6_11hip_rocprim26transform_input_iterator_tIbNSD_35transform_pair_of_input_iterators_tIbNS6_6detail15normal_iteratorINS6_10device_ptrIKsEEEESL_NS6_8equal_toIsEEEENSG_9not_fun_tINSD_8identityEEEEENSD_19counting_iterator_tIlEES8_S8_S8_S8_S8_S8_S8_S8_EEEEPS9_S9_NSD_9__find_if7functorIS9_EEEE10hipError_tPvRmT1_T2_T3_mT4_P12ihipStream_tbEUlT_E1_NS1_11comp_targetILNS1_3genE10ELNS1_11target_archE1200ELNS1_3gpuE4ELNS1_3repE0EEENS1_30default_config_static_selectorELNS0_4arch9wavefront6targetE1EEEvS14_
	.globl	_ZN7rocprim17ROCPRIM_400000_NS6detail17trampoline_kernelINS0_14default_configENS1_22reduce_config_selectorIN6thrust23THRUST_200600_302600_NS5tupleIblNS6_9null_typeES8_S8_S8_S8_S8_S8_S8_EEEEZNS1_11reduce_implILb1ES3_NS6_12zip_iteratorINS7_INS6_11hip_rocprim26transform_input_iterator_tIbNSD_35transform_pair_of_input_iterators_tIbNS6_6detail15normal_iteratorINS6_10device_ptrIKsEEEESL_NS6_8equal_toIsEEEENSG_9not_fun_tINSD_8identityEEEEENSD_19counting_iterator_tIlEES8_S8_S8_S8_S8_S8_S8_S8_EEEEPS9_S9_NSD_9__find_if7functorIS9_EEEE10hipError_tPvRmT1_T2_T3_mT4_P12ihipStream_tbEUlT_E1_NS1_11comp_targetILNS1_3genE10ELNS1_11target_archE1200ELNS1_3gpuE4ELNS1_3repE0EEENS1_30default_config_static_selectorELNS0_4arch9wavefront6targetE1EEEvS14_
	.p2align	8
	.type	_ZN7rocprim17ROCPRIM_400000_NS6detail17trampoline_kernelINS0_14default_configENS1_22reduce_config_selectorIN6thrust23THRUST_200600_302600_NS5tupleIblNS6_9null_typeES8_S8_S8_S8_S8_S8_S8_EEEEZNS1_11reduce_implILb1ES3_NS6_12zip_iteratorINS7_INS6_11hip_rocprim26transform_input_iterator_tIbNSD_35transform_pair_of_input_iterators_tIbNS6_6detail15normal_iteratorINS6_10device_ptrIKsEEEESL_NS6_8equal_toIsEEEENSG_9not_fun_tINSD_8identityEEEEENSD_19counting_iterator_tIlEES8_S8_S8_S8_S8_S8_S8_S8_EEEEPS9_S9_NSD_9__find_if7functorIS9_EEEE10hipError_tPvRmT1_T2_T3_mT4_P12ihipStream_tbEUlT_E1_NS1_11comp_targetILNS1_3genE10ELNS1_11target_archE1200ELNS1_3gpuE4ELNS1_3repE0EEENS1_30default_config_static_selectorELNS0_4arch9wavefront6targetE1EEEvS14_,@function
_ZN7rocprim17ROCPRIM_400000_NS6detail17trampoline_kernelINS0_14default_configENS1_22reduce_config_selectorIN6thrust23THRUST_200600_302600_NS5tupleIblNS6_9null_typeES8_S8_S8_S8_S8_S8_S8_EEEEZNS1_11reduce_implILb1ES3_NS6_12zip_iteratorINS7_INS6_11hip_rocprim26transform_input_iterator_tIbNSD_35transform_pair_of_input_iterators_tIbNS6_6detail15normal_iteratorINS6_10device_ptrIKsEEEESL_NS6_8equal_toIsEEEENSG_9not_fun_tINSD_8identityEEEEENSD_19counting_iterator_tIlEES8_S8_S8_S8_S8_S8_S8_S8_EEEEPS9_S9_NSD_9__find_if7functorIS9_EEEE10hipError_tPvRmT1_T2_T3_mT4_P12ihipStream_tbEUlT_E1_NS1_11comp_targetILNS1_3genE10ELNS1_11target_archE1200ELNS1_3gpuE4ELNS1_3repE0EEENS1_30default_config_static_selectorELNS0_4arch9wavefront6targetE1EEEvS14_: ; @_ZN7rocprim17ROCPRIM_400000_NS6detail17trampoline_kernelINS0_14default_configENS1_22reduce_config_selectorIN6thrust23THRUST_200600_302600_NS5tupleIblNS6_9null_typeES8_S8_S8_S8_S8_S8_S8_EEEEZNS1_11reduce_implILb1ES3_NS6_12zip_iteratorINS7_INS6_11hip_rocprim26transform_input_iterator_tIbNSD_35transform_pair_of_input_iterators_tIbNS6_6detail15normal_iteratorINS6_10device_ptrIKsEEEESL_NS6_8equal_toIsEEEENSG_9not_fun_tINSD_8identityEEEEENSD_19counting_iterator_tIlEES8_S8_S8_S8_S8_S8_S8_S8_EEEEPS9_S9_NSD_9__find_if7functorIS9_EEEE10hipError_tPvRmT1_T2_T3_mT4_P12ihipStream_tbEUlT_E1_NS1_11comp_targetILNS1_3genE10ELNS1_11target_archE1200ELNS1_3gpuE4ELNS1_3repE0EEENS1_30default_config_static_selectorELNS0_4arch9wavefront6targetE1EEEvS14_
; %bb.0:
	.section	.rodata,"a",@progbits
	.p2align	6, 0x0
	.amdhsa_kernel _ZN7rocprim17ROCPRIM_400000_NS6detail17trampoline_kernelINS0_14default_configENS1_22reduce_config_selectorIN6thrust23THRUST_200600_302600_NS5tupleIblNS6_9null_typeES8_S8_S8_S8_S8_S8_S8_EEEEZNS1_11reduce_implILb1ES3_NS6_12zip_iteratorINS7_INS6_11hip_rocprim26transform_input_iterator_tIbNSD_35transform_pair_of_input_iterators_tIbNS6_6detail15normal_iteratorINS6_10device_ptrIKsEEEESL_NS6_8equal_toIsEEEENSG_9not_fun_tINSD_8identityEEEEENSD_19counting_iterator_tIlEES8_S8_S8_S8_S8_S8_S8_S8_EEEEPS9_S9_NSD_9__find_if7functorIS9_EEEE10hipError_tPvRmT1_T2_T3_mT4_P12ihipStream_tbEUlT_E1_NS1_11comp_targetILNS1_3genE10ELNS1_11target_archE1200ELNS1_3gpuE4ELNS1_3repE0EEENS1_30default_config_static_selectorELNS0_4arch9wavefront6targetE1EEEvS14_
		.amdhsa_group_segment_fixed_size 0
		.amdhsa_private_segment_fixed_size 0
		.amdhsa_kernarg_size 88
		.amdhsa_user_sgpr_count 6
		.amdhsa_user_sgpr_private_segment_buffer 1
		.amdhsa_user_sgpr_dispatch_ptr 0
		.amdhsa_user_sgpr_queue_ptr 0
		.amdhsa_user_sgpr_kernarg_segment_ptr 1
		.amdhsa_user_sgpr_dispatch_id 0
		.amdhsa_user_sgpr_flat_scratch_init 0
		.amdhsa_user_sgpr_kernarg_preload_length 0
		.amdhsa_user_sgpr_kernarg_preload_offset 0
		.amdhsa_user_sgpr_private_segment_size 0
		.amdhsa_uses_dynamic_stack 0
		.amdhsa_system_sgpr_private_segment_wavefront_offset 0
		.amdhsa_system_sgpr_workgroup_id_x 1
		.amdhsa_system_sgpr_workgroup_id_y 0
		.amdhsa_system_sgpr_workgroup_id_z 0
		.amdhsa_system_sgpr_workgroup_info 0
		.amdhsa_system_vgpr_workitem_id 0
		.amdhsa_next_free_vgpr 1
		.amdhsa_next_free_sgpr 0
		.amdhsa_accum_offset 4
		.amdhsa_reserve_vcc 0
		.amdhsa_reserve_flat_scratch 0
		.amdhsa_float_round_mode_32 0
		.amdhsa_float_round_mode_16_64 0
		.amdhsa_float_denorm_mode_32 3
		.amdhsa_float_denorm_mode_16_64 3
		.amdhsa_dx10_clamp 1
		.amdhsa_ieee_mode 1
		.amdhsa_fp16_overflow 0
		.amdhsa_tg_split 0
		.amdhsa_exception_fp_ieee_invalid_op 0
		.amdhsa_exception_fp_denorm_src 0
		.amdhsa_exception_fp_ieee_div_zero 0
		.amdhsa_exception_fp_ieee_overflow 0
		.amdhsa_exception_fp_ieee_underflow 0
		.amdhsa_exception_fp_ieee_inexact 0
		.amdhsa_exception_int_div_zero 0
	.end_amdhsa_kernel
	.section	.text._ZN7rocprim17ROCPRIM_400000_NS6detail17trampoline_kernelINS0_14default_configENS1_22reduce_config_selectorIN6thrust23THRUST_200600_302600_NS5tupleIblNS6_9null_typeES8_S8_S8_S8_S8_S8_S8_EEEEZNS1_11reduce_implILb1ES3_NS6_12zip_iteratorINS7_INS6_11hip_rocprim26transform_input_iterator_tIbNSD_35transform_pair_of_input_iterators_tIbNS6_6detail15normal_iteratorINS6_10device_ptrIKsEEEESL_NS6_8equal_toIsEEEENSG_9not_fun_tINSD_8identityEEEEENSD_19counting_iterator_tIlEES8_S8_S8_S8_S8_S8_S8_S8_EEEEPS9_S9_NSD_9__find_if7functorIS9_EEEE10hipError_tPvRmT1_T2_T3_mT4_P12ihipStream_tbEUlT_E1_NS1_11comp_targetILNS1_3genE10ELNS1_11target_archE1200ELNS1_3gpuE4ELNS1_3repE0EEENS1_30default_config_static_selectorELNS0_4arch9wavefront6targetE1EEEvS14_,"axG",@progbits,_ZN7rocprim17ROCPRIM_400000_NS6detail17trampoline_kernelINS0_14default_configENS1_22reduce_config_selectorIN6thrust23THRUST_200600_302600_NS5tupleIblNS6_9null_typeES8_S8_S8_S8_S8_S8_S8_EEEEZNS1_11reduce_implILb1ES3_NS6_12zip_iteratorINS7_INS6_11hip_rocprim26transform_input_iterator_tIbNSD_35transform_pair_of_input_iterators_tIbNS6_6detail15normal_iteratorINS6_10device_ptrIKsEEEESL_NS6_8equal_toIsEEEENSG_9not_fun_tINSD_8identityEEEEENSD_19counting_iterator_tIlEES8_S8_S8_S8_S8_S8_S8_S8_EEEEPS9_S9_NSD_9__find_if7functorIS9_EEEE10hipError_tPvRmT1_T2_T3_mT4_P12ihipStream_tbEUlT_E1_NS1_11comp_targetILNS1_3genE10ELNS1_11target_archE1200ELNS1_3gpuE4ELNS1_3repE0EEENS1_30default_config_static_selectorELNS0_4arch9wavefront6targetE1EEEvS14_,comdat
.Lfunc_end187:
	.size	_ZN7rocprim17ROCPRIM_400000_NS6detail17trampoline_kernelINS0_14default_configENS1_22reduce_config_selectorIN6thrust23THRUST_200600_302600_NS5tupleIblNS6_9null_typeES8_S8_S8_S8_S8_S8_S8_EEEEZNS1_11reduce_implILb1ES3_NS6_12zip_iteratorINS7_INS6_11hip_rocprim26transform_input_iterator_tIbNSD_35transform_pair_of_input_iterators_tIbNS6_6detail15normal_iteratorINS6_10device_ptrIKsEEEESL_NS6_8equal_toIsEEEENSG_9not_fun_tINSD_8identityEEEEENSD_19counting_iterator_tIlEES8_S8_S8_S8_S8_S8_S8_S8_EEEEPS9_S9_NSD_9__find_if7functorIS9_EEEE10hipError_tPvRmT1_T2_T3_mT4_P12ihipStream_tbEUlT_E1_NS1_11comp_targetILNS1_3genE10ELNS1_11target_archE1200ELNS1_3gpuE4ELNS1_3repE0EEENS1_30default_config_static_selectorELNS0_4arch9wavefront6targetE1EEEvS14_, .Lfunc_end187-_ZN7rocprim17ROCPRIM_400000_NS6detail17trampoline_kernelINS0_14default_configENS1_22reduce_config_selectorIN6thrust23THRUST_200600_302600_NS5tupleIblNS6_9null_typeES8_S8_S8_S8_S8_S8_S8_EEEEZNS1_11reduce_implILb1ES3_NS6_12zip_iteratorINS7_INS6_11hip_rocprim26transform_input_iterator_tIbNSD_35transform_pair_of_input_iterators_tIbNS6_6detail15normal_iteratorINS6_10device_ptrIKsEEEESL_NS6_8equal_toIsEEEENSG_9not_fun_tINSD_8identityEEEEENSD_19counting_iterator_tIlEES8_S8_S8_S8_S8_S8_S8_S8_EEEEPS9_S9_NSD_9__find_if7functorIS9_EEEE10hipError_tPvRmT1_T2_T3_mT4_P12ihipStream_tbEUlT_E1_NS1_11comp_targetILNS1_3genE10ELNS1_11target_archE1200ELNS1_3gpuE4ELNS1_3repE0EEENS1_30default_config_static_selectorELNS0_4arch9wavefront6targetE1EEEvS14_
                                        ; -- End function
	.section	.AMDGPU.csdata,"",@progbits
; Kernel info:
; codeLenInByte = 0
; NumSgprs: 4
; NumVgprs: 0
; NumAgprs: 0
; TotalNumVgprs: 0
; ScratchSize: 0
; MemoryBound: 0
; FloatMode: 240
; IeeeMode: 1
; LDSByteSize: 0 bytes/workgroup (compile time only)
; SGPRBlocks: 0
; VGPRBlocks: 0
; NumSGPRsForWavesPerEU: 4
; NumVGPRsForWavesPerEU: 1
; AccumOffset: 4
; Occupancy: 8
; WaveLimiterHint : 0
; COMPUTE_PGM_RSRC2:SCRATCH_EN: 0
; COMPUTE_PGM_RSRC2:USER_SGPR: 6
; COMPUTE_PGM_RSRC2:TRAP_HANDLER: 0
; COMPUTE_PGM_RSRC2:TGID_X_EN: 1
; COMPUTE_PGM_RSRC2:TGID_Y_EN: 0
; COMPUTE_PGM_RSRC2:TGID_Z_EN: 0
; COMPUTE_PGM_RSRC2:TIDIG_COMP_CNT: 0
; COMPUTE_PGM_RSRC3_GFX90A:ACCUM_OFFSET: 0
; COMPUTE_PGM_RSRC3_GFX90A:TG_SPLIT: 0
	.section	.text._ZN7rocprim17ROCPRIM_400000_NS6detail17trampoline_kernelINS0_14default_configENS1_22reduce_config_selectorIN6thrust23THRUST_200600_302600_NS5tupleIblNS6_9null_typeES8_S8_S8_S8_S8_S8_S8_EEEEZNS1_11reduce_implILb1ES3_NS6_12zip_iteratorINS7_INS6_11hip_rocprim26transform_input_iterator_tIbNSD_35transform_pair_of_input_iterators_tIbNS6_6detail15normal_iteratorINS6_10device_ptrIKsEEEESL_NS6_8equal_toIsEEEENSG_9not_fun_tINSD_8identityEEEEENSD_19counting_iterator_tIlEES8_S8_S8_S8_S8_S8_S8_S8_EEEEPS9_S9_NSD_9__find_if7functorIS9_EEEE10hipError_tPvRmT1_T2_T3_mT4_P12ihipStream_tbEUlT_E1_NS1_11comp_targetILNS1_3genE9ELNS1_11target_archE1100ELNS1_3gpuE3ELNS1_3repE0EEENS1_30default_config_static_selectorELNS0_4arch9wavefront6targetE1EEEvS14_,"axG",@progbits,_ZN7rocprim17ROCPRIM_400000_NS6detail17trampoline_kernelINS0_14default_configENS1_22reduce_config_selectorIN6thrust23THRUST_200600_302600_NS5tupleIblNS6_9null_typeES8_S8_S8_S8_S8_S8_S8_EEEEZNS1_11reduce_implILb1ES3_NS6_12zip_iteratorINS7_INS6_11hip_rocprim26transform_input_iterator_tIbNSD_35transform_pair_of_input_iterators_tIbNS6_6detail15normal_iteratorINS6_10device_ptrIKsEEEESL_NS6_8equal_toIsEEEENSG_9not_fun_tINSD_8identityEEEEENSD_19counting_iterator_tIlEES8_S8_S8_S8_S8_S8_S8_S8_EEEEPS9_S9_NSD_9__find_if7functorIS9_EEEE10hipError_tPvRmT1_T2_T3_mT4_P12ihipStream_tbEUlT_E1_NS1_11comp_targetILNS1_3genE9ELNS1_11target_archE1100ELNS1_3gpuE3ELNS1_3repE0EEENS1_30default_config_static_selectorELNS0_4arch9wavefront6targetE1EEEvS14_,comdat
	.protected	_ZN7rocprim17ROCPRIM_400000_NS6detail17trampoline_kernelINS0_14default_configENS1_22reduce_config_selectorIN6thrust23THRUST_200600_302600_NS5tupleIblNS6_9null_typeES8_S8_S8_S8_S8_S8_S8_EEEEZNS1_11reduce_implILb1ES3_NS6_12zip_iteratorINS7_INS6_11hip_rocprim26transform_input_iterator_tIbNSD_35transform_pair_of_input_iterators_tIbNS6_6detail15normal_iteratorINS6_10device_ptrIKsEEEESL_NS6_8equal_toIsEEEENSG_9not_fun_tINSD_8identityEEEEENSD_19counting_iterator_tIlEES8_S8_S8_S8_S8_S8_S8_S8_EEEEPS9_S9_NSD_9__find_if7functorIS9_EEEE10hipError_tPvRmT1_T2_T3_mT4_P12ihipStream_tbEUlT_E1_NS1_11comp_targetILNS1_3genE9ELNS1_11target_archE1100ELNS1_3gpuE3ELNS1_3repE0EEENS1_30default_config_static_selectorELNS0_4arch9wavefront6targetE1EEEvS14_ ; -- Begin function _ZN7rocprim17ROCPRIM_400000_NS6detail17trampoline_kernelINS0_14default_configENS1_22reduce_config_selectorIN6thrust23THRUST_200600_302600_NS5tupleIblNS6_9null_typeES8_S8_S8_S8_S8_S8_S8_EEEEZNS1_11reduce_implILb1ES3_NS6_12zip_iteratorINS7_INS6_11hip_rocprim26transform_input_iterator_tIbNSD_35transform_pair_of_input_iterators_tIbNS6_6detail15normal_iteratorINS6_10device_ptrIKsEEEESL_NS6_8equal_toIsEEEENSG_9not_fun_tINSD_8identityEEEEENSD_19counting_iterator_tIlEES8_S8_S8_S8_S8_S8_S8_S8_EEEEPS9_S9_NSD_9__find_if7functorIS9_EEEE10hipError_tPvRmT1_T2_T3_mT4_P12ihipStream_tbEUlT_E1_NS1_11comp_targetILNS1_3genE9ELNS1_11target_archE1100ELNS1_3gpuE3ELNS1_3repE0EEENS1_30default_config_static_selectorELNS0_4arch9wavefront6targetE1EEEvS14_
	.globl	_ZN7rocprim17ROCPRIM_400000_NS6detail17trampoline_kernelINS0_14default_configENS1_22reduce_config_selectorIN6thrust23THRUST_200600_302600_NS5tupleIblNS6_9null_typeES8_S8_S8_S8_S8_S8_S8_EEEEZNS1_11reduce_implILb1ES3_NS6_12zip_iteratorINS7_INS6_11hip_rocprim26transform_input_iterator_tIbNSD_35transform_pair_of_input_iterators_tIbNS6_6detail15normal_iteratorINS6_10device_ptrIKsEEEESL_NS6_8equal_toIsEEEENSG_9not_fun_tINSD_8identityEEEEENSD_19counting_iterator_tIlEES8_S8_S8_S8_S8_S8_S8_S8_EEEEPS9_S9_NSD_9__find_if7functorIS9_EEEE10hipError_tPvRmT1_T2_T3_mT4_P12ihipStream_tbEUlT_E1_NS1_11comp_targetILNS1_3genE9ELNS1_11target_archE1100ELNS1_3gpuE3ELNS1_3repE0EEENS1_30default_config_static_selectorELNS0_4arch9wavefront6targetE1EEEvS14_
	.p2align	8
	.type	_ZN7rocprim17ROCPRIM_400000_NS6detail17trampoline_kernelINS0_14default_configENS1_22reduce_config_selectorIN6thrust23THRUST_200600_302600_NS5tupleIblNS6_9null_typeES8_S8_S8_S8_S8_S8_S8_EEEEZNS1_11reduce_implILb1ES3_NS6_12zip_iteratorINS7_INS6_11hip_rocprim26transform_input_iterator_tIbNSD_35transform_pair_of_input_iterators_tIbNS6_6detail15normal_iteratorINS6_10device_ptrIKsEEEESL_NS6_8equal_toIsEEEENSG_9not_fun_tINSD_8identityEEEEENSD_19counting_iterator_tIlEES8_S8_S8_S8_S8_S8_S8_S8_EEEEPS9_S9_NSD_9__find_if7functorIS9_EEEE10hipError_tPvRmT1_T2_T3_mT4_P12ihipStream_tbEUlT_E1_NS1_11comp_targetILNS1_3genE9ELNS1_11target_archE1100ELNS1_3gpuE3ELNS1_3repE0EEENS1_30default_config_static_selectorELNS0_4arch9wavefront6targetE1EEEvS14_,@function
_ZN7rocprim17ROCPRIM_400000_NS6detail17trampoline_kernelINS0_14default_configENS1_22reduce_config_selectorIN6thrust23THRUST_200600_302600_NS5tupleIblNS6_9null_typeES8_S8_S8_S8_S8_S8_S8_EEEEZNS1_11reduce_implILb1ES3_NS6_12zip_iteratorINS7_INS6_11hip_rocprim26transform_input_iterator_tIbNSD_35transform_pair_of_input_iterators_tIbNS6_6detail15normal_iteratorINS6_10device_ptrIKsEEEESL_NS6_8equal_toIsEEEENSG_9not_fun_tINSD_8identityEEEEENSD_19counting_iterator_tIlEES8_S8_S8_S8_S8_S8_S8_S8_EEEEPS9_S9_NSD_9__find_if7functorIS9_EEEE10hipError_tPvRmT1_T2_T3_mT4_P12ihipStream_tbEUlT_E1_NS1_11comp_targetILNS1_3genE9ELNS1_11target_archE1100ELNS1_3gpuE3ELNS1_3repE0EEENS1_30default_config_static_selectorELNS0_4arch9wavefront6targetE1EEEvS14_: ; @_ZN7rocprim17ROCPRIM_400000_NS6detail17trampoline_kernelINS0_14default_configENS1_22reduce_config_selectorIN6thrust23THRUST_200600_302600_NS5tupleIblNS6_9null_typeES8_S8_S8_S8_S8_S8_S8_EEEEZNS1_11reduce_implILb1ES3_NS6_12zip_iteratorINS7_INS6_11hip_rocprim26transform_input_iterator_tIbNSD_35transform_pair_of_input_iterators_tIbNS6_6detail15normal_iteratorINS6_10device_ptrIKsEEEESL_NS6_8equal_toIsEEEENSG_9not_fun_tINSD_8identityEEEEENSD_19counting_iterator_tIlEES8_S8_S8_S8_S8_S8_S8_S8_EEEEPS9_S9_NSD_9__find_if7functorIS9_EEEE10hipError_tPvRmT1_T2_T3_mT4_P12ihipStream_tbEUlT_E1_NS1_11comp_targetILNS1_3genE9ELNS1_11target_archE1100ELNS1_3gpuE3ELNS1_3repE0EEENS1_30default_config_static_selectorELNS0_4arch9wavefront6targetE1EEEvS14_
; %bb.0:
	.section	.rodata,"a",@progbits
	.p2align	6, 0x0
	.amdhsa_kernel _ZN7rocprim17ROCPRIM_400000_NS6detail17trampoline_kernelINS0_14default_configENS1_22reduce_config_selectorIN6thrust23THRUST_200600_302600_NS5tupleIblNS6_9null_typeES8_S8_S8_S8_S8_S8_S8_EEEEZNS1_11reduce_implILb1ES3_NS6_12zip_iteratorINS7_INS6_11hip_rocprim26transform_input_iterator_tIbNSD_35transform_pair_of_input_iterators_tIbNS6_6detail15normal_iteratorINS6_10device_ptrIKsEEEESL_NS6_8equal_toIsEEEENSG_9not_fun_tINSD_8identityEEEEENSD_19counting_iterator_tIlEES8_S8_S8_S8_S8_S8_S8_S8_EEEEPS9_S9_NSD_9__find_if7functorIS9_EEEE10hipError_tPvRmT1_T2_T3_mT4_P12ihipStream_tbEUlT_E1_NS1_11comp_targetILNS1_3genE9ELNS1_11target_archE1100ELNS1_3gpuE3ELNS1_3repE0EEENS1_30default_config_static_selectorELNS0_4arch9wavefront6targetE1EEEvS14_
		.amdhsa_group_segment_fixed_size 0
		.amdhsa_private_segment_fixed_size 0
		.amdhsa_kernarg_size 88
		.amdhsa_user_sgpr_count 6
		.amdhsa_user_sgpr_private_segment_buffer 1
		.amdhsa_user_sgpr_dispatch_ptr 0
		.amdhsa_user_sgpr_queue_ptr 0
		.amdhsa_user_sgpr_kernarg_segment_ptr 1
		.amdhsa_user_sgpr_dispatch_id 0
		.amdhsa_user_sgpr_flat_scratch_init 0
		.amdhsa_user_sgpr_kernarg_preload_length 0
		.amdhsa_user_sgpr_kernarg_preload_offset 0
		.amdhsa_user_sgpr_private_segment_size 0
		.amdhsa_uses_dynamic_stack 0
		.amdhsa_system_sgpr_private_segment_wavefront_offset 0
		.amdhsa_system_sgpr_workgroup_id_x 1
		.amdhsa_system_sgpr_workgroup_id_y 0
		.amdhsa_system_sgpr_workgroup_id_z 0
		.amdhsa_system_sgpr_workgroup_info 0
		.amdhsa_system_vgpr_workitem_id 0
		.amdhsa_next_free_vgpr 1
		.amdhsa_next_free_sgpr 0
		.amdhsa_accum_offset 4
		.amdhsa_reserve_vcc 0
		.amdhsa_reserve_flat_scratch 0
		.amdhsa_float_round_mode_32 0
		.amdhsa_float_round_mode_16_64 0
		.amdhsa_float_denorm_mode_32 3
		.amdhsa_float_denorm_mode_16_64 3
		.amdhsa_dx10_clamp 1
		.amdhsa_ieee_mode 1
		.amdhsa_fp16_overflow 0
		.amdhsa_tg_split 0
		.amdhsa_exception_fp_ieee_invalid_op 0
		.amdhsa_exception_fp_denorm_src 0
		.amdhsa_exception_fp_ieee_div_zero 0
		.amdhsa_exception_fp_ieee_overflow 0
		.amdhsa_exception_fp_ieee_underflow 0
		.amdhsa_exception_fp_ieee_inexact 0
		.amdhsa_exception_int_div_zero 0
	.end_amdhsa_kernel
	.section	.text._ZN7rocprim17ROCPRIM_400000_NS6detail17trampoline_kernelINS0_14default_configENS1_22reduce_config_selectorIN6thrust23THRUST_200600_302600_NS5tupleIblNS6_9null_typeES8_S8_S8_S8_S8_S8_S8_EEEEZNS1_11reduce_implILb1ES3_NS6_12zip_iteratorINS7_INS6_11hip_rocprim26transform_input_iterator_tIbNSD_35transform_pair_of_input_iterators_tIbNS6_6detail15normal_iteratorINS6_10device_ptrIKsEEEESL_NS6_8equal_toIsEEEENSG_9not_fun_tINSD_8identityEEEEENSD_19counting_iterator_tIlEES8_S8_S8_S8_S8_S8_S8_S8_EEEEPS9_S9_NSD_9__find_if7functorIS9_EEEE10hipError_tPvRmT1_T2_T3_mT4_P12ihipStream_tbEUlT_E1_NS1_11comp_targetILNS1_3genE9ELNS1_11target_archE1100ELNS1_3gpuE3ELNS1_3repE0EEENS1_30default_config_static_selectorELNS0_4arch9wavefront6targetE1EEEvS14_,"axG",@progbits,_ZN7rocprim17ROCPRIM_400000_NS6detail17trampoline_kernelINS0_14default_configENS1_22reduce_config_selectorIN6thrust23THRUST_200600_302600_NS5tupleIblNS6_9null_typeES8_S8_S8_S8_S8_S8_S8_EEEEZNS1_11reduce_implILb1ES3_NS6_12zip_iteratorINS7_INS6_11hip_rocprim26transform_input_iterator_tIbNSD_35transform_pair_of_input_iterators_tIbNS6_6detail15normal_iteratorINS6_10device_ptrIKsEEEESL_NS6_8equal_toIsEEEENSG_9not_fun_tINSD_8identityEEEEENSD_19counting_iterator_tIlEES8_S8_S8_S8_S8_S8_S8_S8_EEEEPS9_S9_NSD_9__find_if7functorIS9_EEEE10hipError_tPvRmT1_T2_T3_mT4_P12ihipStream_tbEUlT_E1_NS1_11comp_targetILNS1_3genE9ELNS1_11target_archE1100ELNS1_3gpuE3ELNS1_3repE0EEENS1_30default_config_static_selectorELNS0_4arch9wavefront6targetE1EEEvS14_,comdat
.Lfunc_end188:
	.size	_ZN7rocprim17ROCPRIM_400000_NS6detail17trampoline_kernelINS0_14default_configENS1_22reduce_config_selectorIN6thrust23THRUST_200600_302600_NS5tupleIblNS6_9null_typeES8_S8_S8_S8_S8_S8_S8_EEEEZNS1_11reduce_implILb1ES3_NS6_12zip_iteratorINS7_INS6_11hip_rocprim26transform_input_iterator_tIbNSD_35transform_pair_of_input_iterators_tIbNS6_6detail15normal_iteratorINS6_10device_ptrIKsEEEESL_NS6_8equal_toIsEEEENSG_9not_fun_tINSD_8identityEEEEENSD_19counting_iterator_tIlEES8_S8_S8_S8_S8_S8_S8_S8_EEEEPS9_S9_NSD_9__find_if7functorIS9_EEEE10hipError_tPvRmT1_T2_T3_mT4_P12ihipStream_tbEUlT_E1_NS1_11comp_targetILNS1_3genE9ELNS1_11target_archE1100ELNS1_3gpuE3ELNS1_3repE0EEENS1_30default_config_static_selectorELNS0_4arch9wavefront6targetE1EEEvS14_, .Lfunc_end188-_ZN7rocprim17ROCPRIM_400000_NS6detail17trampoline_kernelINS0_14default_configENS1_22reduce_config_selectorIN6thrust23THRUST_200600_302600_NS5tupleIblNS6_9null_typeES8_S8_S8_S8_S8_S8_S8_EEEEZNS1_11reduce_implILb1ES3_NS6_12zip_iteratorINS7_INS6_11hip_rocprim26transform_input_iterator_tIbNSD_35transform_pair_of_input_iterators_tIbNS6_6detail15normal_iteratorINS6_10device_ptrIKsEEEESL_NS6_8equal_toIsEEEENSG_9not_fun_tINSD_8identityEEEEENSD_19counting_iterator_tIlEES8_S8_S8_S8_S8_S8_S8_S8_EEEEPS9_S9_NSD_9__find_if7functorIS9_EEEE10hipError_tPvRmT1_T2_T3_mT4_P12ihipStream_tbEUlT_E1_NS1_11comp_targetILNS1_3genE9ELNS1_11target_archE1100ELNS1_3gpuE3ELNS1_3repE0EEENS1_30default_config_static_selectorELNS0_4arch9wavefront6targetE1EEEvS14_
                                        ; -- End function
	.section	.AMDGPU.csdata,"",@progbits
; Kernel info:
; codeLenInByte = 0
; NumSgprs: 4
; NumVgprs: 0
; NumAgprs: 0
; TotalNumVgprs: 0
; ScratchSize: 0
; MemoryBound: 0
; FloatMode: 240
; IeeeMode: 1
; LDSByteSize: 0 bytes/workgroup (compile time only)
; SGPRBlocks: 0
; VGPRBlocks: 0
; NumSGPRsForWavesPerEU: 4
; NumVGPRsForWavesPerEU: 1
; AccumOffset: 4
; Occupancy: 8
; WaveLimiterHint : 0
; COMPUTE_PGM_RSRC2:SCRATCH_EN: 0
; COMPUTE_PGM_RSRC2:USER_SGPR: 6
; COMPUTE_PGM_RSRC2:TRAP_HANDLER: 0
; COMPUTE_PGM_RSRC2:TGID_X_EN: 1
; COMPUTE_PGM_RSRC2:TGID_Y_EN: 0
; COMPUTE_PGM_RSRC2:TGID_Z_EN: 0
; COMPUTE_PGM_RSRC2:TIDIG_COMP_CNT: 0
; COMPUTE_PGM_RSRC3_GFX90A:ACCUM_OFFSET: 0
; COMPUTE_PGM_RSRC3_GFX90A:TG_SPLIT: 0
	.section	.text._ZN7rocprim17ROCPRIM_400000_NS6detail17trampoline_kernelINS0_14default_configENS1_22reduce_config_selectorIN6thrust23THRUST_200600_302600_NS5tupleIblNS6_9null_typeES8_S8_S8_S8_S8_S8_S8_EEEEZNS1_11reduce_implILb1ES3_NS6_12zip_iteratorINS7_INS6_11hip_rocprim26transform_input_iterator_tIbNSD_35transform_pair_of_input_iterators_tIbNS6_6detail15normal_iteratorINS6_10device_ptrIKsEEEESL_NS6_8equal_toIsEEEENSG_9not_fun_tINSD_8identityEEEEENSD_19counting_iterator_tIlEES8_S8_S8_S8_S8_S8_S8_S8_EEEEPS9_S9_NSD_9__find_if7functorIS9_EEEE10hipError_tPvRmT1_T2_T3_mT4_P12ihipStream_tbEUlT_E1_NS1_11comp_targetILNS1_3genE8ELNS1_11target_archE1030ELNS1_3gpuE2ELNS1_3repE0EEENS1_30default_config_static_selectorELNS0_4arch9wavefront6targetE1EEEvS14_,"axG",@progbits,_ZN7rocprim17ROCPRIM_400000_NS6detail17trampoline_kernelINS0_14default_configENS1_22reduce_config_selectorIN6thrust23THRUST_200600_302600_NS5tupleIblNS6_9null_typeES8_S8_S8_S8_S8_S8_S8_EEEEZNS1_11reduce_implILb1ES3_NS6_12zip_iteratorINS7_INS6_11hip_rocprim26transform_input_iterator_tIbNSD_35transform_pair_of_input_iterators_tIbNS6_6detail15normal_iteratorINS6_10device_ptrIKsEEEESL_NS6_8equal_toIsEEEENSG_9not_fun_tINSD_8identityEEEEENSD_19counting_iterator_tIlEES8_S8_S8_S8_S8_S8_S8_S8_EEEEPS9_S9_NSD_9__find_if7functorIS9_EEEE10hipError_tPvRmT1_T2_T3_mT4_P12ihipStream_tbEUlT_E1_NS1_11comp_targetILNS1_3genE8ELNS1_11target_archE1030ELNS1_3gpuE2ELNS1_3repE0EEENS1_30default_config_static_selectorELNS0_4arch9wavefront6targetE1EEEvS14_,comdat
	.protected	_ZN7rocprim17ROCPRIM_400000_NS6detail17trampoline_kernelINS0_14default_configENS1_22reduce_config_selectorIN6thrust23THRUST_200600_302600_NS5tupleIblNS6_9null_typeES8_S8_S8_S8_S8_S8_S8_EEEEZNS1_11reduce_implILb1ES3_NS6_12zip_iteratorINS7_INS6_11hip_rocprim26transform_input_iterator_tIbNSD_35transform_pair_of_input_iterators_tIbNS6_6detail15normal_iteratorINS6_10device_ptrIKsEEEESL_NS6_8equal_toIsEEEENSG_9not_fun_tINSD_8identityEEEEENSD_19counting_iterator_tIlEES8_S8_S8_S8_S8_S8_S8_S8_EEEEPS9_S9_NSD_9__find_if7functorIS9_EEEE10hipError_tPvRmT1_T2_T3_mT4_P12ihipStream_tbEUlT_E1_NS1_11comp_targetILNS1_3genE8ELNS1_11target_archE1030ELNS1_3gpuE2ELNS1_3repE0EEENS1_30default_config_static_selectorELNS0_4arch9wavefront6targetE1EEEvS14_ ; -- Begin function _ZN7rocprim17ROCPRIM_400000_NS6detail17trampoline_kernelINS0_14default_configENS1_22reduce_config_selectorIN6thrust23THRUST_200600_302600_NS5tupleIblNS6_9null_typeES8_S8_S8_S8_S8_S8_S8_EEEEZNS1_11reduce_implILb1ES3_NS6_12zip_iteratorINS7_INS6_11hip_rocprim26transform_input_iterator_tIbNSD_35transform_pair_of_input_iterators_tIbNS6_6detail15normal_iteratorINS6_10device_ptrIKsEEEESL_NS6_8equal_toIsEEEENSG_9not_fun_tINSD_8identityEEEEENSD_19counting_iterator_tIlEES8_S8_S8_S8_S8_S8_S8_S8_EEEEPS9_S9_NSD_9__find_if7functorIS9_EEEE10hipError_tPvRmT1_T2_T3_mT4_P12ihipStream_tbEUlT_E1_NS1_11comp_targetILNS1_3genE8ELNS1_11target_archE1030ELNS1_3gpuE2ELNS1_3repE0EEENS1_30default_config_static_selectorELNS0_4arch9wavefront6targetE1EEEvS14_
	.globl	_ZN7rocprim17ROCPRIM_400000_NS6detail17trampoline_kernelINS0_14default_configENS1_22reduce_config_selectorIN6thrust23THRUST_200600_302600_NS5tupleIblNS6_9null_typeES8_S8_S8_S8_S8_S8_S8_EEEEZNS1_11reduce_implILb1ES3_NS6_12zip_iteratorINS7_INS6_11hip_rocprim26transform_input_iterator_tIbNSD_35transform_pair_of_input_iterators_tIbNS6_6detail15normal_iteratorINS6_10device_ptrIKsEEEESL_NS6_8equal_toIsEEEENSG_9not_fun_tINSD_8identityEEEEENSD_19counting_iterator_tIlEES8_S8_S8_S8_S8_S8_S8_S8_EEEEPS9_S9_NSD_9__find_if7functorIS9_EEEE10hipError_tPvRmT1_T2_T3_mT4_P12ihipStream_tbEUlT_E1_NS1_11comp_targetILNS1_3genE8ELNS1_11target_archE1030ELNS1_3gpuE2ELNS1_3repE0EEENS1_30default_config_static_selectorELNS0_4arch9wavefront6targetE1EEEvS14_
	.p2align	8
	.type	_ZN7rocprim17ROCPRIM_400000_NS6detail17trampoline_kernelINS0_14default_configENS1_22reduce_config_selectorIN6thrust23THRUST_200600_302600_NS5tupleIblNS6_9null_typeES8_S8_S8_S8_S8_S8_S8_EEEEZNS1_11reduce_implILb1ES3_NS6_12zip_iteratorINS7_INS6_11hip_rocprim26transform_input_iterator_tIbNSD_35transform_pair_of_input_iterators_tIbNS6_6detail15normal_iteratorINS6_10device_ptrIKsEEEESL_NS6_8equal_toIsEEEENSG_9not_fun_tINSD_8identityEEEEENSD_19counting_iterator_tIlEES8_S8_S8_S8_S8_S8_S8_S8_EEEEPS9_S9_NSD_9__find_if7functorIS9_EEEE10hipError_tPvRmT1_T2_T3_mT4_P12ihipStream_tbEUlT_E1_NS1_11comp_targetILNS1_3genE8ELNS1_11target_archE1030ELNS1_3gpuE2ELNS1_3repE0EEENS1_30default_config_static_selectorELNS0_4arch9wavefront6targetE1EEEvS14_,@function
_ZN7rocprim17ROCPRIM_400000_NS6detail17trampoline_kernelINS0_14default_configENS1_22reduce_config_selectorIN6thrust23THRUST_200600_302600_NS5tupleIblNS6_9null_typeES8_S8_S8_S8_S8_S8_S8_EEEEZNS1_11reduce_implILb1ES3_NS6_12zip_iteratorINS7_INS6_11hip_rocprim26transform_input_iterator_tIbNSD_35transform_pair_of_input_iterators_tIbNS6_6detail15normal_iteratorINS6_10device_ptrIKsEEEESL_NS6_8equal_toIsEEEENSG_9not_fun_tINSD_8identityEEEEENSD_19counting_iterator_tIlEES8_S8_S8_S8_S8_S8_S8_S8_EEEEPS9_S9_NSD_9__find_if7functorIS9_EEEE10hipError_tPvRmT1_T2_T3_mT4_P12ihipStream_tbEUlT_E1_NS1_11comp_targetILNS1_3genE8ELNS1_11target_archE1030ELNS1_3gpuE2ELNS1_3repE0EEENS1_30default_config_static_selectorELNS0_4arch9wavefront6targetE1EEEvS14_: ; @_ZN7rocprim17ROCPRIM_400000_NS6detail17trampoline_kernelINS0_14default_configENS1_22reduce_config_selectorIN6thrust23THRUST_200600_302600_NS5tupleIblNS6_9null_typeES8_S8_S8_S8_S8_S8_S8_EEEEZNS1_11reduce_implILb1ES3_NS6_12zip_iteratorINS7_INS6_11hip_rocprim26transform_input_iterator_tIbNSD_35transform_pair_of_input_iterators_tIbNS6_6detail15normal_iteratorINS6_10device_ptrIKsEEEESL_NS6_8equal_toIsEEEENSG_9not_fun_tINSD_8identityEEEEENSD_19counting_iterator_tIlEES8_S8_S8_S8_S8_S8_S8_S8_EEEEPS9_S9_NSD_9__find_if7functorIS9_EEEE10hipError_tPvRmT1_T2_T3_mT4_P12ihipStream_tbEUlT_E1_NS1_11comp_targetILNS1_3genE8ELNS1_11target_archE1030ELNS1_3gpuE2ELNS1_3repE0EEENS1_30default_config_static_selectorELNS0_4arch9wavefront6targetE1EEEvS14_
; %bb.0:
	.section	.rodata,"a",@progbits
	.p2align	6, 0x0
	.amdhsa_kernel _ZN7rocprim17ROCPRIM_400000_NS6detail17trampoline_kernelINS0_14default_configENS1_22reduce_config_selectorIN6thrust23THRUST_200600_302600_NS5tupleIblNS6_9null_typeES8_S8_S8_S8_S8_S8_S8_EEEEZNS1_11reduce_implILb1ES3_NS6_12zip_iteratorINS7_INS6_11hip_rocprim26transform_input_iterator_tIbNSD_35transform_pair_of_input_iterators_tIbNS6_6detail15normal_iteratorINS6_10device_ptrIKsEEEESL_NS6_8equal_toIsEEEENSG_9not_fun_tINSD_8identityEEEEENSD_19counting_iterator_tIlEES8_S8_S8_S8_S8_S8_S8_S8_EEEEPS9_S9_NSD_9__find_if7functorIS9_EEEE10hipError_tPvRmT1_T2_T3_mT4_P12ihipStream_tbEUlT_E1_NS1_11comp_targetILNS1_3genE8ELNS1_11target_archE1030ELNS1_3gpuE2ELNS1_3repE0EEENS1_30default_config_static_selectorELNS0_4arch9wavefront6targetE1EEEvS14_
		.amdhsa_group_segment_fixed_size 0
		.amdhsa_private_segment_fixed_size 0
		.amdhsa_kernarg_size 88
		.amdhsa_user_sgpr_count 6
		.amdhsa_user_sgpr_private_segment_buffer 1
		.amdhsa_user_sgpr_dispatch_ptr 0
		.amdhsa_user_sgpr_queue_ptr 0
		.amdhsa_user_sgpr_kernarg_segment_ptr 1
		.amdhsa_user_sgpr_dispatch_id 0
		.amdhsa_user_sgpr_flat_scratch_init 0
		.amdhsa_user_sgpr_kernarg_preload_length 0
		.amdhsa_user_sgpr_kernarg_preload_offset 0
		.amdhsa_user_sgpr_private_segment_size 0
		.amdhsa_uses_dynamic_stack 0
		.amdhsa_system_sgpr_private_segment_wavefront_offset 0
		.amdhsa_system_sgpr_workgroup_id_x 1
		.amdhsa_system_sgpr_workgroup_id_y 0
		.amdhsa_system_sgpr_workgroup_id_z 0
		.amdhsa_system_sgpr_workgroup_info 0
		.amdhsa_system_vgpr_workitem_id 0
		.amdhsa_next_free_vgpr 1
		.amdhsa_next_free_sgpr 0
		.amdhsa_accum_offset 4
		.amdhsa_reserve_vcc 0
		.amdhsa_reserve_flat_scratch 0
		.amdhsa_float_round_mode_32 0
		.amdhsa_float_round_mode_16_64 0
		.amdhsa_float_denorm_mode_32 3
		.amdhsa_float_denorm_mode_16_64 3
		.amdhsa_dx10_clamp 1
		.amdhsa_ieee_mode 1
		.amdhsa_fp16_overflow 0
		.amdhsa_tg_split 0
		.amdhsa_exception_fp_ieee_invalid_op 0
		.amdhsa_exception_fp_denorm_src 0
		.amdhsa_exception_fp_ieee_div_zero 0
		.amdhsa_exception_fp_ieee_overflow 0
		.amdhsa_exception_fp_ieee_underflow 0
		.amdhsa_exception_fp_ieee_inexact 0
		.amdhsa_exception_int_div_zero 0
	.end_amdhsa_kernel
	.section	.text._ZN7rocprim17ROCPRIM_400000_NS6detail17trampoline_kernelINS0_14default_configENS1_22reduce_config_selectorIN6thrust23THRUST_200600_302600_NS5tupleIblNS6_9null_typeES8_S8_S8_S8_S8_S8_S8_EEEEZNS1_11reduce_implILb1ES3_NS6_12zip_iteratorINS7_INS6_11hip_rocprim26transform_input_iterator_tIbNSD_35transform_pair_of_input_iterators_tIbNS6_6detail15normal_iteratorINS6_10device_ptrIKsEEEESL_NS6_8equal_toIsEEEENSG_9not_fun_tINSD_8identityEEEEENSD_19counting_iterator_tIlEES8_S8_S8_S8_S8_S8_S8_S8_EEEEPS9_S9_NSD_9__find_if7functorIS9_EEEE10hipError_tPvRmT1_T2_T3_mT4_P12ihipStream_tbEUlT_E1_NS1_11comp_targetILNS1_3genE8ELNS1_11target_archE1030ELNS1_3gpuE2ELNS1_3repE0EEENS1_30default_config_static_selectorELNS0_4arch9wavefront6targetE1EEEvS14_,"axG",@progbits,_ZN7rocprim17ROCPRIM_400000_NS6detail17trampoline_kernelINS0_14default_configENS1_22reduce_config_selectorIN6thrust23THRUST_200600_302600_NS5tupleIblNS6_9null_typeES8_S8_S8_S8_S8_S8_S8_EEEEZNS1_11reduce_implILb1ES3_NS6_12zip_iteratorINS7_INS6_11hip_rocprim26transform_input_iterator_tIbNSD_35transform_pair_of_input_iterators_tIbNS6_6detail15normal_iteratorINS6_10device_ptrIKsEEEESL_NS6_8equal_toIsEEEENSG_9not_fun_tINSD_8identityEEEEENSD_19counting_iterator_tIlEES8_S8_S8_S8_S8_S8_S8_S8_EEEEPS9_S9_NSD_9__find_if7functorIS9_EEEE10hipError_tPvRmT1_T2_T3_mT4_P12ihipStream_tbEUlT_E1_NS1_11comp_targetILNS1_3genE8ELNS1_11target_archE1030ELNS1_3gpuE2ELNS1_3repE0EEENS1_30default_config_static_selectorELNS0_4arch9wavefront6targetE1EEEvS14_,comdat
.Lfunc_end189:
	.size	_ZN7rocprim17ROCPRIM_400000_NS6detail17trampoline_kernelINS0_14default_configENS1_22reduce_config_selectorIN6thrust23THRUST_200600_302600_NS5tupleIblNS6_9null_typeES8_S8_S8_S8_S8_S8_S8_EEEEZNS1_11reduce_implILb1ES3_NS6_12zip_iteratorINS7_INS6_11hip_rocprim26transform_input_iterator_tIbNSD_35transform_pair_of_input_iterators_tIbNS6_6detail15normal_iteratorINS6_10device_ptrIKsEEEESL_NS6_8equal_toIsEEEENSG_9not_fun_tINSD_8identityEEEEENSD_19counting_iterator_tIlEES8_S8_S8_S8_S8_S8_S8_S8_EEEEPS9_S9_NSD_9__find_if7functorIS9_EEEE10hipError_tPvRmT1_T2_T3_mT4_P12ihipStream_tbEUlT_E1_NS1_11comp_targetILNS1_3genE8ELNS1_11target_archE1030ELNS1_3gpuE2ELNS1_3repE0EEENS1_30default_config_static_selectorELNS0_4arch9wavefront6targetE1EEEvS14_, .Lfunc_end189-_ZN7rocprim17ROCPRIM_400000_NS6detail17trampoline_kernelINS0_14default_configENS1_22reduce_config_selectorIN6thrust23THRUST_200600_302600_NS5tupleIblNS6_9null_typeES8_S8_S8_S8_S8_S8_S8_EEEEZNS1_11reduce_implILb1ES3_NS6_12zip_iteratorINS7_INS6_11hip_rocprim26transform_input_iterator_tIbNSD_35transform_pair_of_input_iterators_tIbNS6_6detail15normal_iteratorINS6_10device_ptrIKsEEEESL_NS6_8equal_toIsEEEENSG_9not_fun_tINSD_8identityEEEEENSD_19counting_iterator_tIlEES8_S8_S8_S8_S8_S8_S8_S8_EEEEPS9_S9_NSD_9__find_if7functorIS9_EEEE10hipError_tPvRmT1_T2_T3_mT4_P12ihipStream_tbEUlT_E1_NS1_11comp_targetILNS1_3genE8ELNS1_11target_archE1030ELNS1_3gpuE2ELNS1_3repE0EEENS1_30default_config_static_selectorELNS0_4arch9wavefront6targetE1EEEvS14_
                                        ; -- End function
	.section	.AMDGPU.csdata,"",@progbits
; Kernel info:
; codeLenInByte = 0
; NumSgprs: 4
; NumVgprs: 0
; NumAgprs: 0
; TotalNumVgprs: 0
; ScratchSize: 0
; MemoryBound: 0
; FloatMode: 240
; IeeeMode: 1
; LDSByteSize: 0 bytes/workgroup (compile time only)
; SGPRBlocks: 0
; VGPRBlocks: 0
; NumSGPRsForWavesPerEU: 4
; NumVGPRsForWavesPerEU: 1
; AccumOffset: 4
; Occupancy: 8
; WaveLimiterHint : 0
; COMPUTE_PGM_RSRC2:SCRATCH_EN: 0
; COMPUTE_PGM_RSRC2:USER_SGPR: 6
; COMPUTE_PGM_RSRC2:TRAP_HANDLER: 0
; COMPUTE_PGM_RSRC2:TGID_X_EN: 1
; COMPUTE_PGM_RSRC2:TGID_Y_EN: 0
; COMPUTE_PGM_RSRC2:TGID_Z_EN: 0
; COMPUTE_PGM_RSRC2:TIDIG_COMP_CNT: 0
; COMPUTE_PGM_RSRC3_GFX90A:ACCUM_OFFSET: 0
; COMPUTE_PGM_RSRC3_GFX90A:TG_SPLIT: 0
	.section	.text._ZN7rocprim17ROCPRIM_400000_NS6detail17trampoline_kernelINS0_14default_configENS1_25partition_config_selectorILNS1_17partition_subalgoE2ExNS0_10empty_typeEbEEZZNS1_14partition_implILS5_2ELb0ES3_jN6thrust23THRUST_200600_302600_NS6detail15normal_iteratorINSA_7pointerIxNSA_11hip_rocprim3tagENSA_11use_defaultESG_EEEEPS6_NSA_18transform_iteratorI7is_evenIxENSC_INSA_10device_ptrIxEEEESG_SG_EENS0_5tupleIJPxSJ_EEENSR_IJSJ_SJ_EEES6_PlJS6_EEE10hipError_tPvRmT3_T4_T5_T6_T7_T9_mT8_P12ihipStream_tbDpT10_ENKUlT_T0_E_clISt17integral_constantIbLb0EES1F_EEDaS1A_S1B_EUlS1A_E_NS1_11comp_targetILNS1_3genE0ELNS1_11target_archE4294967295ELNS1_3gpuE0ELNS1_3repE0EEENS1_30default_config_static_selectorELNS0_4arch9wavefront6targetE1EEEvT1_,"axG",@progbits,_ZN7rocprim17ROCPRIM_400000_NS6detail17trampoline_kernelINS0_14default_configENS1_25partition_config_selectorILNS1_17partition_subalgoE2ExNS0_10empty_typeEbEEZZNS1_14partition_implILS5_2ELb0ES3_jN6thrust23THRUST_200600_302600_NS6detail15normal_iteratorINSA_7pointerIxNSA_11hip_rocprim3tagENSA_11use_defaultESG_EEEEPS6_NSA_18transform_iteratorI7is_evenIxENSC_INSA_10device_ptrIxEEEESG_SG_EENS0_5tupleIJPxSJ_EEENSR_IJSJ_SJ_EEES6_PlJS6_EEE10hipError_tPvRmT3_T4_T5_T6_T7_T9_mT8_P12ihipStream_tbDpT10_ENKUlT_T0_E_clISt17integral_constantIbLb0EES1F_EEDaS1A_S1B_EUlS1A_E_NS1_11comp_targetILNS1_3genE0ELNS1_11target_archE4294967295ELNS1_3gpuE0ELNS1_3repE0EEENS1_30default_config_static_selectorELNS0_4arch9wavefront6targetE1EEEvT1_,comdat
	.protected	_ZN7rocprim17ROCPRIM_400000_NS6detail17trampoline_kernelINS0_14default_configENS1_25partition_config_selectorILNS1_17partition_subalgoE2ExNS0_10empty_typeEbEEZZNS1_14partition_implILS5_2ELb0ES3_jN6thrust23THRUST_200600_302600_NS6detail15normal_iteratorINSA_7pointerIxNSA_11hip_rocprim3tagENSA_11use_defaultESG_EEEEPS6_NSA_18transform_iteratorI7is_evenIxENSC_INSA_10device_ptrIxEEEESG_SG_EENS0_5tupleIJPxSJ_EEENSR_IJSJ_SJ_EEES6_PlJS6_EEE10hipError_tPvRmT3_T4_T5_T6_T7_T9_mT8_P12ihipStream_tbDpT10_ENKUlT_T0_E_clISt17integral_constantIbLb0EES1F_EEDaS1A_S1B_EUlS1A_E_NS1_11comp_targetILNS1_3genE0ELNS1_11target_archE4294967295ELNS1_3gpuE0ELNS1_3repE0EEENS1_30default_config_static_selectorELNS0_4arch9wavefront6targetE1EEEvT1_ ; -- Begin function _ZN7rocprim17ROCPRIM_400000_NS6detail17trampoline_kernelINS0_14default_configENS1_25partition_config_selectorILNS1_17partition_subalgoE2ExNS0_10empty_typeEbEEZZNS1_14partition_implILS5_2ELb0ES3_jN6thrust23THRUST_200600_302600_NS6detail15normal_iteratorINSA_7pointerIxNSA_11hip_rocprim3tagENSA_11use_defaultESG_EEEEPS6_NSA_18transform_iteratorI7is_evenIxENSC_INSA_10device_ptrIxEEEESG_SG_EENS0_5tupleIJPxSJ_EEENSR_IJSJ_SJ_EEES6_PlJS6_EEE10hipError_tPvRmT3_T4_T5_T6_T7_T9_mT8_P12ihipStream_tbDpT10_ENKUlT_T0_E_clISt17integral_constantIbLb0EES1F_EEDaS1A_S1B_EUlS1A_E_NS1_11comp_targetILNS1_3genE0ELNS1_11target_archE4294967295ELNS1_3gpuE0ELNS1_3repE0EEENS1_30default_config_static_selectorELNS0_4arch9wavefront6targetE1EEEvT1_
	.globl	_ZN7rocprim17ROCPRIM_400000_NS6detail17trampoline_kernelINS0_14default_configENS1_25partition_config_selectorILNS1_17partition_subalgoE2ExNS0_10empty_typeEbEEZZNS1_14partition_implILS5_2ELb0ES3_jN6thrust23THRUST_200600_302600_NS6detail15normal_iteratorINSA_7pointerIxNSA_11hip_rocprim3tagENSA_11use_defaultESG_EEEEPS6_NSA_18transform_iteratorI7is_evenIxENSC_INSA_10device_ptrIxEEEESG_SG_EENS0_5tupleIJPxSJ_EEENSR_IJSJ_SJ_EEES6_PlJS6_EEE10hipError_tPvRmT3_T4_T5_T6_T7_T9_mT8_P12ihipStream_tbDpT10_ENKUlT_T0_E_clISt17integral_constantIbLb0EES1F_EEDaS1A_S1B_EUlS1A_E_NS1_11comp_targetILNS1_3genE0ELNS1_11target_archE4294967295ELNS1_3gpuE0ELNS1_3repE0EEENS1_30default_config_static_selectorELNS0_4arch9wavefront6targetE1EEEvT1_
	.p2align	8
	.type	_ZN7rocprim17ROCPRIM_400000_NS6detail17trampoline_kernelINS0_14default_configENS1_25partition_config_selectorILNS1_17partition_subalgoE2ExNS0_10empty_typeEbEEZZNS1_14partition_implILS5_2ELb0ES3_jN6thrust23THRUST_200600_302600_NS6detail15normal_iteratorINSA_7pointerIxNSA_11hip_rocprim3tagENSA_11use_defaultESG_EEEEPS6_NSA_18transform_iteratorI7is_evenIxENSC_INSA_10device_ptrIxEEEESG_SG_EENS0_5tupleIJPxSJ_EEENSR_IJSJ_SJ_EEES6_PlJS6_EEE10hipError_tPvRmT3_T4_T5_T6_T7_T9_mT8_P12ihipStream_tbDpT10_ENKUlT_T0_E_clISt17integral_constantIbLb0EES1F_EEDaS1A_S1B_EUlS1A_E_NS1_11comp_targetILNS1_3genE0ELNS1_11target_archE4294967295ELNS1_3gpuE0ELNS1_3repE0EEENS1_30default_config_static_selectorELNS0_4arch9wavefront6targetE1EEEvT1_,@function
_ZN7rocprim17ROCPRIM_400000_NS6detail17trampoline_kernelINS0_14default_configENS1_25partition_config_selectorILNS1_17partition_subalgoE2ExNS0_10empty_typeEbEEZZNS1_14partition_implILS5_2ELb0ES3_jN6thrust23THRUST_200600_302600_NS6detail15normal_iteratorINSA_7pointerIxNSA_11hip_rocprim3tagENSA_11use_defaultESG_EEEEPS6_NSA_18transform_iteratorI7is_evenIxENSC_INSA_10device_ptrIxEEEESG_SG_EENS0_5tupleIJPxSJ_EEENSR_IJSJ_SJ_EEES6_PlJS6_EEE10hipError_tPvRmT3_T4_T5_T6_T7_T9_mT8_P12ihipStream_tbDpT10_ENKUlT_T0_E_clISt17integral_constantIbLb0EES1F_EEDaS1A_S1B_EUlS1A_E_NS1_11comp_targetILNS1_3genE0ELNS1_11target_archE4294967295ELNS1_3gpuE0ELNS1_3repE0EEENS1_30default_config_static_selectorELNS0_4arch9wavefront6targetE1EEEvT1_: ; @_ZN7rocprim17ROCPRIM_400000_NS6detail17trampoline_kernelINS0_14default_configENS1_25partition_config_selectorILNS1_17partition_subalgoE2ExNS0_10empty_typeEbEEZZNS1_14partition_implILS5_2ELb0ES3_jN6thrust23THRUST_200600_302600_NS6detail15normal_iteratorINSA_7pointerIxNSA_11hip_rocprim3tagENSA_11use_defaultESG_EEEEPS6_NSA_18transform_iteratorI7is_evenIxENSC_INSA_10device_ptrIxEEEESG_SG_EENS0_5tupleIJPxSJ_EEENSR_IJSJ_SJ_EEES6_PlJS6_EEE10hipError_tPvRmT3_T4_T5_T6_T7_T9_mT8_P12ihipStream_tbDpT10_ENKUlT_T0_E_clISt17integral_constantIbLb0EES1F_EEDaS1A_S1B_EUlS1A_E_NS1_11comp_targetILNS1_3genE0ELNS1_11target_archE4294967295ELNS1_3gpuE0ELNS1_3repE0EEENS1_30default_config_static_selectorELNS0_4arch9wavefront6targetE1EEEvT1_
; %bb.0:
	.section	.rodata,"a",@progbits
	.p2align	6, 0x0
	.amdhsa_kernel _ZN7rocprim17ROCPRIM_400000_NS6detail17trampoline_kernelINS0_14default_configENS1_25partition_config_selectorILNS1_17partition_subalgoE2ExNS0_10empty_typeEbEEZZNS1_14partition_implILS5_2ELb0ES3_jN6thrust23THRUST_200600_302600_NS6detail15normal_iteratorINSA_7pointerIxNSA_11hip_rocprim3tagENSA_11use_defaultESG_EEEEPS6_NSA_18transform_iteratorI7is_evenIxENSC_INSA_10device_ptrIxEEEESG_SG_EENS0_5tupleIJPxSJ_EEENSR_IJSJ_SJ_EEES6_PlJS6_EEE10hipError_tPvRmT3_T4_T5_T6_T7_T9_mT8_P12ihipStream_tbDpT10_ENKUlT_T0_E_clISt17integral_constantIbLb0EES1F_EEDaS1A_S1B_EUlS1A_E_NS1_11comp_targetILNS1_3genE0ELNS1_11target_archE4294967295ELNS1_3gpuE0ELNS1_3repE0EEENS1_30default_config_static_selectorELNS0_4arch9wavefront6targetE1EEEvT1_
		.amdhsa_group_segment_fixed_size 0
		.amdhsa_private_segment_fixed_size 0
		.amdhsa_kernarg_size 128
		.amdhsa_user_sgpr_count 6
		.amdhsa_user_sgpr_private_segment_buffer 1
		.amdhsa_user_sgpr_dispatch_ptr 0
		.amdhsa_user_sgpr_queue_ptr 0
		.amdhsa_user_sgpr_kernarg_segment_ptr 1
		.amdhsa_user_sgpr_dispatch_id 0
		.amdhsa_user_sgpr_flat_scratch_init 0
		.amdhsa_user_sgpr_kernarg_preload_length 0
		.amdhsa_user_sgpr_kernarg_preload_offset 0
		.amdhsa_user_sgpr_private_segment_size 0
		.amdhsa_uses_dynamic_stack 0
		.amdhsa_system_sgpr_private_segment_wavefront_offset 0
		.amdhsa_system_sgpr_workgroup_id_x 1
		.amdhsa_system_sgpr_workgroup_id_y 0
		.amdhsa_system_sgpr_workgroup_id_z 0
		.amdhsa_system_sgpr_workgroup_info 0
		.amdhsa_system_vgpr_workitem_id 0
		.amdhsa_next_free_vgpr 1
		.amdhsa_next_free_sgpr 0
		.amdhsa_accum_offset 4
		.amdhsa_reserve_vcc 0
		.amdhsa_reserve_flat_scratch 0
		.amdhsa_float_round_mode_32 0
		.amdhsa_float_round_mode_16_64 0
		.amdhsa_float_denorm_mode_32 3
		.amdhsa_float_denorm_mode_16_64 3
		.amdhsa_dx10_clamp 1
		.amdhsa_ieee_mode 1
		.amdhsa_fp16_overflow 0
		.amdhsa_tg_split 0
		.amdhsa_exception_fp_ieee_invalid_op 0
		.amdhsa_exception_fp_denorm_src 0
		.amdhsa_exception_fp_ieee_div_zero 0
		.amdhsa_exception_fp_ieee_overflow 0
		.amdhsa_exception_fp_ieee_underflow 0
		.amdhsa_exception_fp_ieee_inexact 0
		.amdhsa_exception_int_div_zero 0
	.end_amdhsa_kernel
	.section	.text._ZN7rocprim17ROCPRIM_400000_NS6detail17trampoline_kernelINS0_14default_configENS1_25partition_config_selectorILNS1_17partition_subalgoE2ExNS0_10empty_typeEbEEZZNS1_14partition_implILS5_2ELb0ES3_jN6thrust23THRUST_200600_302600_NS6detail15normal_iteratorINSA_7pointerIxNSA_11hip_rocprim3tagENSA_11use_defaultESG_EEEEPS6_NSA_18transform_iteratorI7is_evenIxENSC_INSA_10device_ptrIxEEEESG_SG_EENS0_5tupleIJPxSJ_EEENSR_IJSJ_SJ_EEES6_PlJS6_EEE10hipError_tPvRmT3_T4_T5_T6_T7_T9_mT8_P12ihipStream_tbDpT10_ENKUlT_T0_E_clISt17integral_constantIbLb0EES1F_EEDaS1A_S1B_EUlS1A_E_NS1_11comp_targetILNS1_3genE0ELNS1_11target_archE4294967295ELNS1_3gpuE0ELNS1_3repE0EEENS1_30default_config_static_selectorELNS0_4arch9wavefront6targetE1EEEvT1_,"axG",@progbits,_ZN7rocprim17ROCPRIM_400000_NS6detail17trampoline_kernelINS0_14default_configENS1_25partition_config_selectorILNS1_17partition_subalgoE2ExNS0_10empty_typeEbEEZZNS1_14partition_implILS5_2ELb0ES3_jN6thrust23THRUST_200600_302600_NS6detail15normal_iteratorINSA_7pointerIxNSA_11hip_rocprim3tagENSA_11use_defaultESG_EEEEPS6_NSA_18transform_iteratorI7is_evenIxENSC_INSA_10device_ptrIxEEEESG_SG_EENS0_5tupleIJPxSJ_EEENSR_IJSJ_SJ_EEES6_PlJS6_EEE10hipError_tPvRmT3_T4_T5_T6_T7_T9_mT8_P12ihipStream_tbDpT10_ENKUlT_T0_E_clISt17integral_constantIbLb0EES1F_EEDaS1A_S1B_EUlS1A_E_NS1_11comp_targetILNS1_3genE0ELNS1_11target_archE4294967295ELNS1_3gpuE0ELNS1_3repE0EEENS1_30default_config_static_selectorELNS0_4arch9wavefront6targetE1EEEvT1_,comdat
.Lfunc_end190:
	.size	_ZN7rocprim17ROCPRIM_400000_NS6detail17trampoline_kernelINS0_14default_configENS1_25partition_config_selectorILNS1_17partition_subalgoE2ExNS0_10empty_typeEbEEZZNS1_14partition_implILS5_2ELb0ES3_jN6thrust23THRUST_200600_302600_NS6detail15normal_iteratorINSA_7pointerIxNSA_11hip_rocprim3tagENSA_11use_defaultESG_EEEEPS6_NSA_18transform_iteratorI7is_evenIxENSC_INSA_10device_ptrIxEEEESG_SG_EENS0_5tupleIJPxSJ_EEENSR_IJSJ_SJ_EEES6_PlJS6_EEE10hipError_tPvRmT3_T4_T5_T6_T7_T9_mT8_P12ihipStream_tbDpT10_ENKUlT_T0_E_clISt17integral_constantIbLb0EES1F_EEDaS1A_S1B_EUlS1A_E_NS1_11comp_targetILNS1_3genE0ELNS1_11target_archE4294967295ELNS1_3gpuE0ELNS1_3repE0EEENS1_30default_config_static_selectorELNS0_4arch9wavefront6targetE1EEEvT1_, .Lfunc_end190-_ZN7rocprim17ROCPRIM_400000_NS6detail17trampoline_kernelINS0_14default_configENS1_25partition_config_selectorILNS1_17partition_subalgoE2ExNS0_10empty_typeEbEEZZNS1_14partition_implILS5_2ELb0ES3_jN6thrust23THRUST_200600_302600_NS6detail15normal_iteratorINSA_7pointerIxNSA_11hip_rocprim3tagENSA_11use_defaultESG_EEEEPS6_NSA_18transform_iteratorI7is_evenIxENSC_INSA_10device_ptrIxEEEESG_SG_EENS0_5tupleIJPxSJ_EEENSR_IJSJ_SJ_EEES6_PlJS6_EEE10hipError_tPvRmT3_T4_T5_T6_T7_T9_mT8_P12ihipStream_tbDpT10_ENKUlT_T0_E_clISt17integral_constantIbLb0EES1F_EEDaS1A_S1B_EUlS1A_E_NS1_11comp_targetILNS1_3genE0ELNS1_11target_archE4294967295ELNS1_3gpuE0ELNS1_3repE0EEENS1_30default_config_static_selectorELNS0_4arch9wavefront6targetE1EEEvT1_
                                        ; -- End function
	.section	.AMDGPU.csdata,"",@progbits
; Kernel info:
; codeLenInByte = 0
; NumSgprs: 4
; NumVgprs: 0
; NumAgprs: 0
; TotalNumVgprs: 0
; ScratchSize: 0
; MemoryBound: 0
; FloatMode: 240
; IeeeMode: 1
; LDSByteSize: 0 bytes/workgroup (compile time only)
; SGPRBlocks: 0
; VGPRBlocks: 0
; NumSGPRsForWavesPerEU: 4
; NumVGPRsForWavesPerEU: 1
; AccumOffset: 4
; Occupancy: 8
; WaveLimiterHint : 0
; COMPUTE_PGM_RSRC2:SCRATCH_EN: 0
; COMPUTE_PGM_RSRC2:USER_SGPR: 6
; COMPUTE_PGM_RSRC2:TRAP_HANDLER: 0
; COMPUTE_PGM_RSRC2:TGID_X_EN: 1
; COMPUTE_PGM_RSRC2:TGID_Y_EN: 0
; COMPUTE_PGM_RSRC2:TGID_Z_EN: 0
; COMPUTE_PGM_RSRC2:TIDIG_COMP_CNT: 0
; COMPUTE_PGM_RSRC3_GFX90A:ACCUM_OFFSET: 0
; COMPUTE_PGM_RSRC3_GFX90A:TG_SPLIT: 0
	.section	.text._ZN7rocprim17ROCPRIM_400000_NS6detail17trampoline_kernelINS0_14default_configENS1_25partition_config_selectorILNS1_17partition_subalgoE2ExNS0_10empty_typeEbEEZZNS1_14partition_implILS5_2ELb0ES3_jN6thrust23THRUST_200600_302600_NS6detail15normal_iteratorINSA_7pointerIxNSA_11hip_rocprim3tagENSA_11use_defaultESG_EEEEPS6_NSA_18transform_iteratorI7is_evenIxENSC_INSA_10device_ptrIxEEEESG_SG_EENS0_5tupleIJPxSJ_EEENSR_IJSJ_SJ_EEES6_PlJS6_EEE10hipError_tPvRmT3_T4_T5_T6_T7_T9_mT8_P12ihipStream_tbDpT10_ENKUlT_T0_E_clISt17integral_constantIbLb0EES1F_EEDaS1A_S1B_EUlS1A_E_NS1_11comp_targetILNS1_3genE5ELNS1_11target_archE942ELNS1_3gpuE9ELNS1_3repE0EEENS1_30default_config_static_selectorELNS0_4arch9wavefront6targetE1EEEvT1_,"axG",@progbits,_ZN7rocprim17ROCPRIM_400000_NS6detail17trampoline_kernelINS0_14default_configENS1_25partition_config_selectorILNS1_17partition_subalgoE2ExNS0_10empty_typeEbEEZZNS1_14partition_implILS5_2ELb0ES3_jN6thrust23THRUST_200600_302600_NS6detail15normal_iteratorINSA_7pointerIxNSA_11hip_rocprim3tagENSA_11use_defaultESG_EEEEPS6_NSA_18transform_iteratorI7is_evenIxENSC_INSA_10device_ptrIxEEEESG_SG_EENS0_5tupleIJPxSJ_EEENSR_IJSJ_SJ_EEES6_PlJS6_EEE10hipError_tPvRmT3_T4_T5_T6_T7_T9_mT8_P12ihipStream_tbDpT10_ENKUlT_T0_E_clISt17integral_constantIbLb0EES1F_EEDaS1A_S1B_EUlS1A_E_NS1_11comp_targetILNS1_3genE5ELNS1_11target_archE942ELNS1_3gpuE9ELNS1_3repE0EEENS1_30default_config_static_selectorELNS0_4arch9wavefront6targetE1EEEvT1_,comdat
	.protected	_ZN7rocprim17ROCPRIM_400000_NS6detail17trampoline_kernelINS0_14default_configENS1_25partition_config_selectorILNS1_17partition_subalgoE2ExNS0_10empty_typeEbEEZZNS1_14partition_implILS5_2ELb0ES3_jN6thrust23THRUST_200600_302600_NS6detail15normal_iteratorINSA_7pointerIxNSA_11hip_rocprim3tagENSA_11use_defaultESG_EEEEPS6_NSA_18transform_iteratorI7is_evenIxENSC_INSA_10device_ptrIxEEEESG_SG_EENS0_5tupleIJPxSJ_EEENSR_IJSJ_SJ_EEES6_PlJS6_EEE10hipError_tPvRmT3_T4_T5_T6_T7_T9_mT8_P12ihipStream_tbDpT10_ENKUlT_T0_E_clISt17integral_constantIbLb0EES1F_EEDaS1A_S1B_EUlS1A_E_NS1_11comp_targetILNS1_3genE5ELNS1_11target_archE942ELNS1_3gpuE9ELNS1_3repE0EEENS1_30default_config_static_selectorELNS0_4arch9wavefront6targetE1EEEvT1_ ; -- Begin function _ZN7rocprim17ROCPRIM_400000_NS6detail17trampoline_kernelINS0_14default_configENS1_25partition_config_selectorILNS1_17partition_subalgoE2ExNS0_10empty_typeEbEEZZNS1_14partition_implILS5_2ELb0ES3_jN6thrust23THRUST_200600_302600_NS6detail15normal_iteratorINSA_7pointerIxNSA_11hip_rocprim3tagENSA_11use_defaultESG_EEEEPS6_NSA_18transform_iteratorI7is_evenIxENSC_INSA_10device_ptrIxEEEESG_SG_EENS0_5tupleIJPxSJ_EEENSR_IJSJ_SJ_EEES6_PlJS6_EEE10hipError_tPvRmT3_T4_T5_T6_T7_T9_mT8_P12ihipStream_tbDpT10_ENKUlT_T0_E_clISt17integral_constantIbLb0EES1F_EEDaS1A_S1B_EUlS1A_E_NS1_11comp_targetILNS1_3genE5ELNS1_11target_archE942ELNS1_3gpuE9ELNS1_3repE0EEENS1_30default_config_static_selectorELNS0_4arch9wavefront6targetE1EEEvT1_
	.globl	_ZN7rocprim17ROCPRIM_400000_NS6detail17trampoline_kernelINS0_14default_configENS1_25partition_config_selectorILNS1_17partition_subalgoE2ExNS0_10empty_typeEbEEZZNS1_14partition_implILS5_2ELb0ES3_jN6thrust23THRUST_200600_302600_NS6detail15normal_iteratorINSA_7pointerIxNSA_11hip_rocprim3tagENSA_11use_defaultESG_EEEEPS6_NSA_18transform_iteratorI7is_evenIxENSC_INSA_10device_ptrIxEEEESG_SG_EENS0_5tupleIJPxSJ_EEENSR_IJSJ_SJ_EEES6_PlJS6_EEE10hipError_tPvRmT3_T4_T5_T6_T7_T9_mT8_P12ihipStream_tbDpT10_ENKUlT_T0_E_clISt17integral_constantIbLb0EES1F_EEDaS1A_S1B_EUlS1A_E_NS1_11comp_targetILNS1_3genE5ELNS1_11target_archE942ELNS1_3gpuE9ELNS1_3repE0EEENS1_30default_config_static_selectorELNS0_4arch9wavefront6targetE1EEEvT1_
	.p2align	8
	.type	_ZN7rocprim17ROCPRIM_400000_NS6detail17trampoline_kernelINS0_14default_configENS1_25partition_config_selectorILNS1_17partition_subalgoE2ExNS0_10empty_typeEbEEZZNS1_14partition_implILS5_2ELb0ES3_jN6thrust23THRUST_200600_302600_NS6detail15normal_iteratorINSA_7pointerIxNSA_11hip_rocprim3tagENSA_11use_defaultESG_EEEEPS6_NSA_18transform_iteratorI7is_evenIxENSC_INSA_10device_ptrIxEEEESG_SG_EENS0_5tupleIJPxSJ_EEENSR_IJSJ_SJ_EEES6_PlJS6_EEE10hipError_tPvRmT3_T4_T5_T6_T7_T9_mT8_P12ihipStream_tbDpT10_ENKUlT_T0_E_clISt17integral_constantIbLb0EES1F_EEDaS1A_S1B_EUlS1A_E_NS1_11comp_targetILNS1_3genE5ELNS1_11target_archE942ELNS1_3gpuE9ELNS1_3repE0EEENS1_30default_config_static_selectorELNS0_4arch9wavefront6targetE1EEEvT1_,@function
_ZN7rocprim17ROCPRIM_400000_NS6detail17trampoline_kernelINS0_14default_configENS1_25partition_config_selectorILNS1_17partition_subalgoE2ExNS0_10empty_typeEbEEZZNS1_14partition_implILS5_2ELb0ES3_jN6thrust23THRUST_200600_302600_NS6detail15normal_iteratorINSA_7pointerIxNSA_11hip_rocprim3tagENSA_11use_defaultESG_EEEEPS6_NSA_18transform_iteratorI7is_evenIxENSC_INSA_10device_ptrIxEEEESG_SG_EENS0_5tupleIJPxSJ_EEENSR_IJSJ_SJ_EEES6_PlJS6_EEE10hipError_tPvRmT3_T4_T5_T6_T7_T9_mT8_P12ihipStream_tbDpT10_ENKUlT_T0_E_clISt17integral_constantIbLb0EES1F_EEDaS1A_S1B_EUlS1A_E_NS1_11comp_targetILNS1_3genE5ELNS1_11target_archE942ELNS1_3gpuE9ELNS1_3repE0EEENS1_30default_config_static_selectorELNS0_4arch9wavefront6targetE1EEEvT1_: ; @_ZN7rocprim17ROCPRIM_400000_NS6detail17trampoline_kernelINS0_14default_configENS1_25partition_config_selectorILNS1_17partition_subalgoE2ExNS0_10empty_typeEbEEZZNS1_14partition_implILS5_2ELb0ES3_jN6thrust23THRUST_200600_302600_NS6detail15normal_iteratorINSA_7pointerIxNSA_11hip_rocprim3tagENSA_11use_defaultESG_EEEEPS6_NSA_18transform_iteratorI7is_evenIxENSC_INSA_10device_ptrIxEEEESG_SG_EENS0_5tupleIJPxSJ_EEENSR_IJSJ_SJ_EEES6_PlJS6_EEE10hipError_tPvRmT3_T4_T5_T6_T7_T9_mT8_P12ihipStream_tbDpT10_ENKUlT_T0_E_clISt17integral_constantIbLb0EES1F_EEDaS1A_S1B_EUlS1A_E_NS1_11comp_targetILNS1_3genE5ELNS1_11target_archE942ELNS1_3gpuE9ELNS1_3repE0EEENS1_30default_config_static_selectorELNS0_4arch9wavefront6targetE1EEEvT1_
; %bb.0:
	.section	.rodata,"a",@progbits
	.p2align	6, 0x0
	.amdhsa_kernel _ZN7rocprim17ROCPRIM_400000_NS6detail17trampoline_kernelINS0_14default_configENS1_25partition_config_selectorILNS1_17partition_subalgoE2ExNS0_10empty_typeEbEEZZNS1_14partition_implILS5_2ELb0ES3_jN6thrust23THRUST_200600_302600_NS6detail15normal_iteratorINSA_7pointerIxNSA_11hip_rocprim3tagENSA_11use_defaultESG_EEEEPS6_NSA_18transform_iteratorI7is_evenIxENSC_INSA_10device_ptrIxEEEESG_SG_EENS0_5tupleIJPxSJ_EEENSR_IJSJ_SJ_EEES6_PlJS6_EEE10hipError_tPvRmT3_T4_T5_T6_T7_T9_mT8_P12ihipStream_tbDpT10_ENKUlT_T0_E_clISt17integral_constantIbLb0EES1F_EEDaS1A_S1B_EUlS1A_E_NS1_11comp_targetILNS1_3genE5ELNS1_11target_archE942ELNS1_3gpuE9ELNS1_3repE0EEENS1_30default_config_static_selectorELNS0_4arch9wavefront6targetE1EEEvT1_
		.amdhsa_group_segment_fixed_size 0
		.amdhsa_private_segment_fixed_size 0
		.amdhsa_kernarg_size 128
		.amdhsa_user_sgpr_count 6
		.amdhsa_user_sgpr_private_segment_buffer 1
		.amdhsa_user_sgpr_dispatch_ptr 0
		.amdhsa_user_sgpr_queue_ptr 0
		.amdhsa_user_sgpr_kernarg_segment_ptr 1
		.amdhsa_user_sgpr_dispatch_id 0
		.amdhsa_user_sgpr_flat_scratch_init 0
		.amdhsa_user_sgpr_kernarg_preload_length 0
		.amdhsa_user_sgpr_kernarg_preload_offset 0
		.amdhsa_user_sgpr_private_segment_size 0
		.amdhsa_uses_dynamic_stack 0
		.amdhsa_system_sgpr_private_segment_wavefront_offset 0
		.amdhsa_system_sgpr_workgroup_id_x 1
		.amdhsa_system_sgpr_workgroup_id_y 0
		.amdhsa_system_sgpr_workgroup_id_z 0
		.amdhsa_system_sgpr_workgroup_info 0
		.amdhsa_system_vgpr_workitem_id 0
		.amdhsa_next_free_vgpr 1
		.amdhsa_next_free_sgpr 0
		.amdhsa_accum_offset 4
		.amdhsa_reserve_vcc 0
		.amdhsa_reserve_flat_scratch 0
		.amdhsa_float_round_mode_32 0
		.amdhsa_float_round_mode_16_64 0
		.amdhsa_float_denorm_mode_32 3
		.amdhsa_float_denorm_mode_16_64 3
		.amdhsa_dx10_clamp 1
		.amdhsa_ieee_mode 1
		.amdhsa_fp16_overflow 0
		.amdhsa_tg_split 0
		.amdhsa_exception_fp_ieee_invalid_op 0
		.amdhsa_exception_fp_denorm_src 0
		.amdhsa_exception_fp_ieee_div_zero 0
		.amdhsa_exception_fp_ieee_overflow 0
		.amdhsa_exception_fp_ieee_underflow 0
		.amdhsa_exception_fp_ieee_inexact 0
		.amdhsa_exception_int_div_zero 0
	.end_amdhsa_kernel
	.section	.text._ZN7rocprim17ROCPRIM_400000_NS6detail17trampoline_kernelINS0_14default_configENS1_25partition_config_selectorILNS1_17partition_subalgoE2ExNS0_10empty_typeEbEEZZNS1_14partition_implILS5_2ELb0ES3_jN6thrust23THRUST_200600_302600_NS6detail15normal_iteratorINSA_7pointerIxNSA_11hip_rocprim3tagENSA_11use_defaultESG_EEEEPS6_NSA_18transform_iteratorI7is_evenIxENSC_INSA_10device_ptrIxEEEESG_SG_EENS0_5tupleIJPxSJ_EEENSR_IJSJ_SJ_EEES6_PlJS6_EEE10hipError_tPvRmT3_T4_T5_T6_T7_T9_mT8_P12ihipStream_tbDpT10_ENKUlT_T0_E_clISt17integral_constantIbLb0EES1F_EEDaS1A_S1B_EUlS1A_E_NS1_11comp_targetILNS1_3genE5ELNS1_11target_archE942ELNS1_3gpuE9ELNS1_3repE0EEENS1_30default_config_static_selectorELNS0_4arch9wavefront6targetE1EEEvT1_,"axG",@progbits,_ZN7rocprim17ROCPRIM_400000_NS6detail17trampoline_kernelINS0_14default_configENS1_25partition_config_selectorILNS1_17partition_subalgoE2ExNS0_10empty_typeEbEEZZNS1_14partition_implILS5_2ELb0ES3_jN6thrust23THRUST_200600_302600_NS6detail15normal_iteratorINSA_7pointerIxNSA_11hip_rocprim3tagENSA_11use_defaultESG_EEEEPS6_NSA_18transform_iteratorI7is_evenIxENSC_INSA_10device_ptrIxEEEESG_SG_EENS0_5tupleIJPxSJ_EEENSR_IJSJ_SJ_EEES6_PlJS6_EEE10hipError_tPvRmT3_T4_T5_T6_T7_T9_mT8_P12ihipStream_tbDpT10_ENKUlT_T0_E_clISt17integral_constantIbLb0EES1F_EEDaS1A_S1B_EUlS1A_E_NS1_11comp_targetILNS1_3genE5ELNS1_11target_archE942ELNS1_3gpuE9ELNS1_3repE0EEENS1_30default_config_static_selectorELNS0_4arch9wavefront6targetE1EEEvT1_,comdat
.Lfunc_end191:
	.size	_ZN7rocprim17ROCPRIM_400000_NS6detail17trampoline_kernelINS0_14default_configENS1_25partition_config_selectorILNS1_17partition_subalgoE2ExNS0_10empty_typeEbEEZZNS1_14partition_implILS5_2ELb0ES3_jN6thrust23THRUST_200600_302600_NS6detail15normal_iteratorINSA_7pointerIxNSA_11hip_rocprim3tagENSA_11use_defaultESG_EEEEPS6_NSA_18transform_iteratorI7is_evenIxENSC_INSA_10device_ptrIxEEEESG_SG_EENS0_5tupleIJPxSJ_EEENSR_IJSJ_SJ_EEES6_PlJS6_EEE10hipError_tPvRmT3_T4_T5_T6_T7_T9_mT8_P12ihipStream_tbDpT10_ENKUlT_T0_E_clISt17integral_constantIbLb0EES1F_EEDaS1A_S1B_EUlS1A_E_NS1_11comp_targetILNS1_3genE5ELNS1_11target_archE942ELNS1_3gpuE9ELNS1_3repE0EEENS1_30default_config_static_selectorELNS0_4arch9wavefront6targetE1EEEvT1_, .Lfunc_end191-_ZN7rocprim17ROCPRIM_400000_NS6detail17trampoline_kernelINS0_14default_configENS1_25partition_config_selectorILNS1_17partition_subalgoE2ExNS0_10empty_typeEbEEZZNS1_14partition_implILS5_2ELb0ES3_jN6thrust23THRUST_200600_302600_NS6detail15normal_iteratorINSA_7pointerIxNSA_11hip_rocprim3tagENSA_11use_defaultESG_EEEEPS6_NSA_18transform_iteratorI7is_evenIxENSC_INSA_10device_ptrIxEEEESG_SG_EENS0_5tupleIJPxSJ_EEENSR_IJSJ_SJ_EEES6_PlJS6_EEE10hipError_tPvRmT3_T4_T5_T6_T7_T9_mT8_P12ihipStream_tbDpT10_ENKUlT_T0_E_clISt17integral_constantIbLb0EES1F_EEDaS1A_S1B_EUlS1A_E_NS1_11comp_targetILNS1_3genE5ELNS1_11target_archE942ELNS1_3gpuE9ELNS1_3repE0EEENS1_30default_config_static_selectorELNS0_4arch9wavefront6targetE1EEEvT1_
                                        ; -- End function
	.section	.AMDGPU.csdata,"",@progbits
; Kernel info:
; codeLenInByte = 0
; NumSgprs: 4
; NumVgprs: 0
; NumAgprs: 0
; TotalNumVgprs: 0
; ScratchSize: 0
; MemoryBound: 0
; FloatMode: 240
; IeeeMode: 1
; LDSByteSize: 0 bytes/workgroup (compile time only)
; SGPRBlocks: 0
; VGPRBlocks: 0
; NumSGPRsForWavesPerEU: 4
; NumVGPRsForWavesPerEU: 1
; AccumOffset: 4
; Occupancy: 8
; WaveLimiterHint : 0
; COMPUTE_PGM_RSRC2:SCRATCH_EN: 0
; COMPUTE_PGM_RSRC2:USER_SGPR: 6
; COMPUTE_PGM_RSRC2:TRAP_HANDLER: 0
; COMPUTE_PGM_RSRC2:TGID_X_EN: 1
; COMPUTE_PGM_RSRC2:TGID_Y_EN: 0
; COMPUTE_PGM_RSRC2:TGID_Z_EN: 0
; COMPUTE_PGM_RSRC2:TIDIG_COMP_CNT: 0
; COMPUTE_PGM_RSRC3_GFX90A:ACCUM_OFFSET: 0
; COMPUTE_PGM_RSRC3_GFX90A:TG_SPLIT: 0
	.section	.text._ZN7rocprim17ROCPRIM_400000_NS6detail17trampoline_kernelINS0_14default_configENS1_25partition_config_selectorILNS1_17partition_subalgoE2ExNS0_10empty_typeEbEEZZNS1_14partition_implILS5_2ELb0ES3_jN6thrust23THRUST_200600_302600_NS6detail15normal_iteratorINSA_7pointerIxNSA_11hip_rocprim3tagENSA_11use_defaultESG_EEEEPS6_NSA_18transform_iteratorI7is_evenIxENSC_INSA_10device_ptrIxEEEESG_SG_EENS0_5tupleIJPxSJ_EEENSR_IJSJ_SJ_EEES6_PlJS6_EEE10hipError_tPvRmT3_T4_T5_T6_T7_T9_mT8_P12ihipStream_tbDpT10_ENKUlT_T0_E_clISt17integral_constantIbLb0EES1F_EEDaS1A_S1B_EUlS1A_E_NS1_11comp_targetILNS1_3genE4ELNS1_11target_archE910ELNS1_3gpuE8ELNS1_3repE0EEENS1_30default_config_static_selectorELNS0_4arch9wavefront6targetE1EEEvT1_,"axG",@progbits,_ZN7rocprim17ROCPRIM_400000_NS6detail17trampoline_kernelINS0_14default_configENS1_25partition_config_selectorILNS1_17partition_subalgoE2ExNS0_10empty_typeEbEEZZNS1_14partition_implILS5_2ELb0ES3_jN6thrust23THRUST_200600_302600_NS6detail15normal_iteratorINSA_7pointerIxNSA_11hip_rocprim3tagENSA_11use_defaultESG_EEEEPS6_NSA_18transform_iteratorI7is_evenIxENSC_INSA_10device_ptrIxEEEESG_SG_EENS0_5tupleIJPxSJ_EEENSR_IJSJ_SJ_EEES6_PlJS6_EEE10hipError_tPvRmT3_T4_T5_T6_T7_T9_mT8_P12ihipStream_tbDpT10_ENKUlT_T0_E_clISt17integral_constantIbLb0EES1F_EEDaS1A_S1B_EUlS1A_E_NS1_11comp_targetILNS1_3genE4ELNS1_11target_archE910ELNS1_3gpuE8ELNS1_3repE0EEENS1_30default_config_static_selectorELNS0_4arch9wavefront6targetE1EEEvT1_,comdat
	.protected	_ZN7rocprim17ROCPRIM_400000_NS6detail17trampoline_kernelINS0_14default_configENS1_25partition_config_selectorILNS1_17partition_subalgoE2ExNS0_10empty_typeEbEEZZNS1_14partition_implILS5_2ELb0ES3_jN6thrust23THRUST_200600_302600_NS6detail15normal_iteratorINSA_7pointerIxNSA_11hip_rocprim3tagENSA_11use_defaultESG_EEEEPS6_NSA_18transform_iteratorI7is_evenIxENSC_INSA_10device_ptrIxEEEESG_SG_EENS0_5tupleIJPxSJ_EEENSR_IJSJ_SJ_EEES6_PlJS6_EEE10hipError_tPvRmT3_T4_T5_T6_T7_T9_mT8_P12ihipStream_tbDpT10_ENKUlT_T0_E_clISt17integral_constantIbLb0EES1F_EEDaS1A_S1B_EUlS1A_E_NS1_11comp_targetILNS1_3genE4ELNS1_11target_archE910ELNS1_3gpuE8ELNS1_3repE0EEENS1_30default_config_static_selectorELNS0_4arch9wavefront6targetE1EEEvT1_ ; -- Begin function _ZN7rocprim17ROCPRIM_400000_NS6detail17trampoline_kernelINS0_14default_configENS1_25partition_config_selectorILNS1_17partition_subalgoE2ExNS0_10empty_typeEbEEZZNS1_14partition_implILS5_2ELb0ES3_jN6thrust23THRUST_200600_302600_NS6detail15normal_iteratorINSA_7pointerIxNSA_11hip_rocprim3tagENSA_11use_defaultESG_EEEEPS6_NSA_18transform_iteratorI7is_evenIxENSC_INSA_10device_ptrIxEEEESG_SG_EENS0_5tupleIJPxSJ_EEENSR_IJSJ_SJ_EEES6_PlJS6_EEE10hipError_tPvRmT3_T4_T5_T6_T7_T9_mT8_P12ihipStream_tbDpT10_ENKUlT_T0_E_clISt17integral_constantIbLb0EES1F_EEDaS1A_S1B_EUlS1A_E_NS1_11comp_targetILNS1_3genE4ELNS1_11target_archE910ELNS1_3gpuE8ELNS1_3repE0EEENS1_30default_config_static_selectorELNS0_4arch9wavefront6targetE1EEEvT1_
	.globl	_ZN7rocprim17ROCPRIM_400000_NS6detail17trampoline_kernelINS0_14default_configENS1_25partition_config_selectorILNS1_17partition_subalgoE2ExNS0_10empty_typeEbEEZZNS1_14partition_implILS5_2ELb0ES3_jN6thrust23THRUST_200600_302600_NS6detail15normal_iteratorINSA_7pointerIxNSA_11hip_rocprim3tagENSA_11use_defaultESG_EEEEPS6_NSA_18transform_iteratorI7is_evenIxENSC_INSA_10device_ptrIxEEEESG_SG_EENS0_5tupleIJPxSJ_EEENSR_IJSJ_SJ_EEES6_PlJS6_EEE10hipError_tPvRmT3_T4_T5_T6_T7_T9_mT8_P12ihipStream_tbDpT10_ENKUlT_T0_E_clISt17integral_constantIbLb0EES1F_EEDaS1A_S1B_EUlS1A_E_NS1_11comp_targetILNS1_3genE4ELNS1_11target_archE910ELNS1_3gpuE8ELNS1_3repE0EEENS1_30default_config_static_selectorELNS0_4arch9wavefront6targetE1EEEvT1_
	.p2align	8
	.type	_ZN7rocprim17ROCPRIM_400000_NS6detail17trampoline_kernelINS0_14default_configENS1_25partition_config_selectorILNS1_17partition_subalgoE2ExNS0_10empty_typeEbEEZZNS1_14partition_implILS5_2ELb0ES3_jN6thrust23THRUST_200600_302600_NS6detail15normal_iteratorINSA_7pointerIxNSA_11hip_rocprim3tagENSA_11use_defaultESG_EEEEPS6_NSA_18transform_iteratorI7is_evenIxENSC_INSA_10device_ptrIxEEEESG_SG_EENS0_5tupleIJPxSJ_EEENSR_IJSJ_SJ_EEES6_PlJS6_EEE10hipError_tPvRmT3_T4_T5_T6_T7_T9_mT8_P12ihipStream_tbDpT10_ENKUlT_T0_E_clISt17integral_constantIbLb0EES1F_EEDaS1A_S1B_EUlS1A_E_NS1_11comp_targetILNS1_3genE4ELNS1_11target_archE910ELNS1_3gpuE8ELNS1_3repE0EEENS1_30default_config_static_selectorELNS0_4arch9wavefront6targetE1EEEvT1_,@function
_ZN7rocprim17ROCPRIM_400000_NS6detail17trampoline_kernelINS0_14default_configENS1_25partition_config_selectorILNS1_17partition_subalgoE2ExNS0_10empty_typeEbEEZZNS1_14partition_implILS5_2ELb0ES3_jN6thrust23THRUST_200600_302600_NS6detail15normal_iteratorINSA_7pointerIxNSA_11hip_rocprim3tagENSA_11use_defaultESG_EEEEPS6_NSA_18transform_iteratorI7is_evenIxENSC_INSA_10device_ptrIxEEEESG_SG_EENS0_5tupleIJPxSJ_EEENSR_IJSJ_SJ_EEES6_PlJS6_EEE10hipError_tPvRmT3_T4_T5_T6_T7_T9_mT8_P12ihipStream_tbDpT10_ENKUlT_T0_E_clISt17integral_constantIbLb0EES1F_EEDaS1A_S1B_EUlS1A_E_NS1_11comp_targetILNS1_3genE4ELNS1_11target_archE910ELNS1_3gpuE8ELNS1_3repE0EEENS1_30default_config_static_selectorELNS0_4arch9wavefront6targetE1EEEvT1_: ; @_ZN7rocprim17ROCPRIM_400000_NS6detail17trampoline_kernelINS0_14default_configENS1_25partition_config_selectorILNS1_17partition_subalgoE2ExNS0_10empty_typeEbEEZZNS1_14partition_implILS5_2ELb0ES3_jN6thrust23THRUST_200600_302600_NS6detail15normal_iteratorINSA_7pointerIxNSA_11hip_rocprim3tagENSA_11use_defaultESG_EEEEPS6_NSA_18transform_iteratorI7is_evenIxENSC_INSA_10device_ptrIxEEEESG_SG_EENS0_5tupleIJPxSJ_EEENSR_IJSJ_SJ_EEES6_PlJS6_EEE10hipError_tPvRmT3_T4_T5_T6_T7_T9_mT8_P12ihipStream_tbDpT10_ENKUlT_T0_E_clISt17integral_constantIbLb0EES1F_EEDaS1A_S1B_EUlS1A_E_NS1_11comp_targetILNS1_3genE4ELNS1_11target_archE910ELNS1_3gpuE8ELNS1_3repE0EEENS1_30default_config_static_selectorELNS0_4arch9wavefront6targetE1EEEvT1_
; %bb.0:
	s_load_dwordx4 s[24:27], s[4:5], 0x8
	s_load_dwordx2 s[2:3], s[4:5], 0x20
	s_load_dwordx2 s[28:29], s[4:5], 0x60
	s_load_dwordx4 s[20:23], s[4:5], 0x50
	s_load_dword s0, s[4:5], 0x78
	s_waitcnt lgkmcnt(0)
	s_lshl_b64 s[8:9], s[26:27], 3
	s_add_u32 s7, s24, s8
	s_addc_u32 s12, s25, s9
	s_load_dwordx2 s[30:31], s[22:23], 0x0
	s_add_i32 s10, s0, -1
	s_mulk_i32 s0, 0x300
	s_add_i32 s1, s0, s26
	s_sub_i32 s33, s28, s1
	s_addk_i32 s33, 0x300
	s_add_u32 s0, s26, s0
	s_addc_u32 s1, s27, 0
	s_cmp_eq_u32 s6, s10
	v_pk_mov_b32 v[2:3], s[28:29], s[28:29] op_sel:[0,1]
	s_cselect_b64 s[22:23], -1, 0
	s_cmp_lg_u32 s6, s10
	s_mul_i32 s24, s6, 0x300
	s_mov_b32 s25, 0
	v_cmp_lt_u64_e32 vcc, s[0:1], v[2:3]
	s_cselect_b64 s[0:1], -1, 0
	s_or_b64 s[34:35], s[0:1], vcc
	s_lshl_b64 s[10:11], s[24:25], 3
	s_add_u32 s7, s7, s10
	s_addc_u32 s14, s12, s11
	s_mov_b64 s[0:1], -1
	s_and_b64 vcc, exec, s[34:35]
	v_lshlrev_b32_e32 v1, 3, v0
	v_lshrrev_b32_e32 v10, 2, v0
	s_cbranch_vccz .LBB192_2
; %bb.1:
	v_mov_b32_e32 v3, s14
	v_add_co_u32_e32 v2, vcc, s7, v1
	v_addc_co_u32_e32 v3, vcc, 0, v3, vcc
	v_add_co_u32_e32 v4, vcc, 0x1000, v2
	v_addc_co_u32_e32 v5, vcc, 0, v3, vcc
	flat_load_dwordx2 v[6:7], v[2:3]
	flat_load_dwordx2 v[8:9], v[2:3] offset:1536
	flat_load_dwordx2 v[12:13], v[2:3] offset:3072
	;; [unrolled: 1-line block ×3, first 2 shown]
	v_add_u32_e32 v3, 0xc0, v0
	v_add_u32_e32 v4, 0x180, v0
	;; [unrolled: 1-line block ×3, first 2 shown]
	v_and_b32_e32 v2, 56, v10
	v_lshrrev_b32_e32 v3, 2, v3
	v_lshrrev_b32_e32 v4, 2, v4
	v_lshrrev_b32_e32 v5, 2, v5
	v_add_u32_e32 v2, v2, v1
	v_and_b32_e32 v3, 0x78, v3
	v_and_b32_e32 v4, 0xf8, v4
	;; [unrolled: 1-line block ×3, first 2 shown]
	v_add_u32_e32 v3, v3, v1
	v_add_u32_e32 v4, v4, v1
	;; [unrolled: 1-line block ×3, first 2 shown]
	s_mov_b64 s[0:1], 0
	s_waitcnt vmcnt(0) lgkmcnt(0)
	ds_write_b64 v2, v[6:7]
	ds_write_b64 v3, v[8:9] offset:1536
	ds_write_b64 v4, v[12:13] offset:3072
	;; [unrolled: 1-line block ×3, first 2 shown]
	s_waitcnt lgkmcnt(0)
	s_barrier
.LBB192_2:
	s_andn2_b64 vcc, exec, s[0:1]
	v_cmp_gt_u32_e64 s[0:1], s33, v0
	s_cbranch_vccnz .LBB192_12
; %bb.3:
                                        ; implicit-def: $vgpr2_vgpr3_vgpr4_vgpr5_vgpr6_vgpr7_vgpr8_vgpr9
	s_and_saveexec_b64 s[12:13], s[0:1]
	s_cbranch_execz .LBB192_5
; %bb.4:
	v_mov_b32_e32 v3, s14
	v_add_co_u32_e32 v2, vcc, s7, v1
	v_addc_co_u32_e32 v3, vcc, 0, v3, vcc
	flat_load_dwordx2 v[2:3], v[2:3]
.LBB192_5:
	s_or_b64 exec, exec, s[12:13]
	v_add_u32_e32 v11, 0xc0, v0
	v_cmp_gt_u32_e32 vcc, s33, v11
	s_and_saveexec_b64 s[0:1], vcc
	s_cbranch_execz .LBB192_7
; %bb.6:
	v_mov_b32_e32 v5, s14
	v_add_co_u32_e32 v4, vcc, s7, v1
	v_addc_co_u32_e32 v5, vcc, 0, v5, vcc
	flat_load_dwordx2 v[4:5], v[4:5] offset:1536
.LBB192_7:
	s_or_b64 exec, exec, s[0:1]
	v_add_u32_e32 v12, 0x180, v0
	v_cmp_gt_u32_e32 vcc, s33, v12
	s_and_saveexec_b64 s[0:1], vcc
	s_cbranch_execz .LBB192_9
; %bb.8:
	v_mov_b32_e32 v7, s14
	v_add_co_u32_e32 v6, vcc, s7, v1
	v_addc_co_u32_e32 v7, vcc, 0, v7, vcc
	flat_load_dwordx2 v[6:7], v[6:7] offset:3072
.LBB192_9:
	s_or_b64 exec, exec, s[0:1]
	v_add_u32_e32 v13, 0x240, v0
	v_cmp_gt_u32_e32 vcc, s33, v13
	s_and_saveexec_b64 s[0:1], vcc
	s_cbranch_execz .LBB192_11
; %bb.10:
	v_lshlrev_b32_e32 v8, 3, v13
	v_mov_b32_e32 v9, s14
	v_add_co_u32_e32 v8, vcc, s7, v8
	v_addc_co_u32_e32 v9, vcc, 0, v9, vcc
	flat_load_dwordx2 v[8:9], v[8:9]
.LBB192_11:
	s_or_b64 exec, exec, s[0:1]
	v_and_b32_e32 v10, 56, v10
	v_add_u32_e32 v10, v10, v1
	s_waitcnt vmcnt(0) lgkmcnt(0)
	ds_write_b64 v10, v[2:3]
	v_lshrrev_b32_e32 v2, 2, v11
	v_and_b32_e32 v2, 0x78, v2
	v_add_u32_e32 v2, v2, v1
	ds_write_b64 v2, v[4:5] offset:1536
	v_lshrrev_b32_e32 v2, 2, v12
	v_and_b32_e32 v2, 0xf8, v2
	v_add_u32_e32 v2, v2, v1
	ds_write_b64 v2, v[6:7] offset:3072
	;; [unrolled: 4-line block ×3, first 2 shown]
	s_waitcnt lgkmcnt(0)
	s_barrier
.LBB192_12:
	v_lshlrev_b32_e32 v20, 2, v0
	v_lshrrev_b32_e32 v10, 3, v0
	v_add_lshl_u32 v2, v10, v20, 3
	s_waitcnt lgkmcnt(0)
	ds_read2_b64 v[6:9], v2 offset1:1
	ds_read2_b64 v[2:5], v2 offset0:2 offset1:3
	s_add_u32 s0, s2, s8
	s_addc_u32 s1, s3, s9
	s_add_u32 s0, s0, s10
	s_addc_u32 s1, s1, s11
	s_mov_b64 s[2:3], -1
	s_and_b64 vcc, exec, s[34:35]
	v_lshrrev_b32_e32 v11, 5, v0
	s_waitcnt lgkmcnt(0)
	s_barrier
	s_cbranch_vccz .LBB192_14
; %bb.13:
	global_load_dwordx2 v[12:13], v1, s[0:1]
	global_load_dwordx2 v[14:15], v1, s[0:1] offset:1536
	global_load_dwordx2 v[16:17], v1, s[0:1] offset:3072
	v_mov_b32_e32 v18, s1
	s_waitcnt vmcnt(2)
	v_add_co_u32_e32 v13, vcc, s0, v1
	s_waitcnt vmcnt(1)
	v_addc_co_u32_e32 v15, vcc, 0, v18, vcc
	v_add_co_u32_e32 v18, vcc, 0x1000, v13
	v_addc_co_u32_e32 v19, vcc, 0, v15, vcc
	global_load_dwordx2 v[18:19], v[18:19], off offset:512
	v_add_u32_e32 v15, 0xc0, v0
	s_waitcnt vmcnt(1)
	v_add_u32_e32 v17, 0x180, v0
	v_and_b32_e32 v13, 4, v11
	s_waitcnt vmcnt(0)
	v_add_u32_e32 v19, 0x240, v0
	v_lshrrev_b32_e32 v15, 5, v15
	v_lshrrev_b32_e32 v17, 5, v17
	v_add_u32_e32 v13, v13, v0
	v_lshrrev_b32_e32 v19, 5, v19
	v_and_b32_e32 v15, 12, v15
	v_and_b32_e32 v17, 28, v17
	;; [unrolled: 1-line block ×3, first 2 shown]
	v_add_u32_e32 v15, v15, v0
	v_add_u32_e32 v17, v17, v0
	;; [unrolled: 1-line block ×3, first 2 shown]
	s_mov_b64 s[2:3], 0
	v_xor_b32_e32 v12, -1, v12
	v_xor_b32_e32 v14, -1, v14
	v_xor_b32_e32 v16, -1, v16
	v_and_b32_e32 v12, 1, v12
	v_and_b32_e32 v14, 1, v14
	;; [unrolled: 1-line block ×3, first 2 shown]
	ds_write_b8 v13, v12
	ds_write_b8 v15, v14 offset:192
	ds_write_b8 v17, v16 offset:384
	v_xor_b32_e32 v12, -1, v18
	v_and_b32_e32 v12, 1, v12
	ds_write_b8 v19, v12 offset:576
	s_waitcnt lgkmcnt(0)
	s_barrier
.LBB192_14:
	s_load_dwordx2 s[36:37], s[4:5], 0x70
	s_andn2_b64 vcc, exec, s[2:3]
	s_cbranch_vccnz .LBB192_24
; %bb.15:
	v_cmp_gt_u32_e32 vcc, s33, v0
	v_mov_b32_e32 v12, 0
	v_mov_b32_e32 v13, 0
	s_and_saveexec_b64 s[2:3], vcc
	s_cbranch_execz .LBB192_17
; %bb.16:
	global_load_dwordx2 v[14:15], v1, s[0:1]
	s_waitcnt vmcnt(0)
	v_xor_b32_e32 v13, -1, v14
	v_and_b32_e32 v13, 1, v13
.LBB192_17:
	s_or_b64 exec, exec, s[2:3]
	v_add_u32_e32 v14, 0xc0, v0
	v_cmp_gt_u32_e32 vcc, s33, v14
	s_and_saveexec_b64 s[2:3], vcc
	s_cbranch_execz .LBB192_19
; %bb.18:
	global_load_dwordx2 v[16:17], v1, s[0:1] offset:1536
	s_waitcnt vmcnt(0)
	v_xor_b32_e32 v12, -1, v16
	v_and_b32_e32 v12, 1, v12
.LBB192_19:
	s_or_b64 exec, exec, s[2:3]
	v_add_u32_e32 v16, 0x180, v0
	v_cmp_gt_u32_e32 vcc, s33, v16
	v_mov_b32_e32 v15, 0
	v_mov_b32_e32 v17, 0
	s_and_saveexec_b64 s[2:3], vcc
	s_cbranch_execz .LBB192_21
; %bb.20:
	global_load_dwordx2 v[18:19], v1, s[0:1] offset:3072
	s_waitcnt vmcnt(0)
	v_xor_b32_e32 v17, -1, v18
	v_and_b32_e32 v17, 1, v17
.LBB192_21:
	s_or_b64 exec, exec, s[2:3]
	v_add_u32_e32 v18, 0x240, v0
	v_cmp_gt_u32_e32 vcc, s33, v18
	s_and_saveexec_b64 s[2:3], vcc
	s_cbranch_execz .LBB192_23
; %bb.22:
	v_lshlrev_b32_e32 v15, 3, v18
	global_load_dwordx2 v[22:23], v15, s[0:1]
	s_waitcnt vmcnt(0)
	v_xor_b32_e32 v15, -1, v22
	v_and_b32_e32 v15, 1, v15
.LBB192_23:
	s_or_b64 exec, exec, s[2:3]
	v_and_b32_e32 v11, 4, v11
	v_add_u32_e32 v11, v11, v0
	ds_write_b8 v11, v13
	v_lshrrev_b32_e32 v11, 5, v14
	v_and_b32_e32 v11, 12, v11
	v_add_u32_e32 v11, v11, v0
	ds_write_b8 v11, v12 offset:192
	v_lshrrev_b32_e32 v11, 5, v16
	v_and_b32_e32 v11, 28, v11
	v_add_u32_e32 v11, v11, v0
	ds_write_b8 v11, v17 offset:384
	;; [unrolled: 4-line block ×3, first 2 shown]
	s_waitcnt lgkmcnt(0)
	s_barrier
.LBB192_24:
	v_and_b32_e32 v10, 28, v10
	v_add_u32_e32 v10, v10, v20
	s_waitcnt lgkmcnt(0)
	ds_read_b32 v22, v10
	s_cmp_lg_u32 s6, 0
	v_lshrrev_b32_e32 v25, 6, v0
	s_waitcnt lgkmcnt(0)
	s_barrier
	v_lshrrev_b32_e32 v21, 24, v22
	v_bfe_u32 v23, v22, 16, 8
	v_add_u32_sdwa v10, v22, v22 dst_sel:DWORD dst_unused:UNUSED_PAD src0_sel:BYTE_1 src1_sel:BYTE_0
	v_add3_u32 v26, v10, v23, v21
	v_mbcnt_lo_u32_b32 v10, -1, 0
	v_mbcnt_hi_u32_b32 v24, -1, v10
	v_and_b32_e32 v10, 15, v24
	v_cmp_eq_u32_e64 s[14:15], 0, v10
	v_cmp_lt_u32_e64 s[12:13], 1, v10
	v_cmp_lt_u32_e64 s[10:11], 3, v10
	;; [unrolled: 1-line block ×3, first 2 shown]
	v_and_b32_e32 v10, 16, v24
	v_cmp_eq_u32_e64 s[2:3], 0, v10
	v_and_b32_e32 v10, 0xc0, v0
	v_min_u32_e32 v10, 0x80, v10
	v_or_b32_e32 v10, 63, v10
	v_cmp_lt_u32_e64 s[0:1], 31, v24
	v_cmp_eq_u32_e64 s[18:19], v10, v0
	s_cbranch_scc0 .LBB192_51
; %bb.25:
	v_mov_b32_dpp v10, v26 row_shr:1 row_mask:0xf bank_mask:0xf
	v_cndmask_b32_e64 v10, v10, 0, s[14:15]
	v_add_u32_e32 v10, v10, v26
	s_nop 1
	v_mov_b32_dpp v11, v10 row_shr:2 row_mask:0xf bank_mask:0xf
	v_cndmask_b32_e64 v11, 0, v11, s[12:13]
	v_add_u32_e32 v10, v10, v11
	s_nop 1
	;; [unrolled: 4-line block ×4, first 2 shown]
	v_mov_b32_dpp v11, v10 row_bcast:15 row_mask:0xf bank_mask:0xf
	v_cndmask_b32_e64 v11, v11, 0, s[2:3]
	v_add_u32_e32 v10, v10, v11
	s_nop 1
	v_mov_b32_dpp v11, v10 row_bcast:31 row_mask:0xf bank_mask:0xf
	v_cndmask_b32_e64 v11, 0, v11, s[0:1]
	v_add_u32_e32 v10, v10, v11
	s_and_saveexec_b64 s[16:17], s[18:19]
	s_cbranch_execz .LBB192_27
; %bb.26:
	v_lshlrev_b32_e32 v11, 2, v25
	ds_write_b32 v11, v10
.LBB192_27:
	s_or_b64 exec, exec, s[16:17]
	v_cmp_gt_u32_e32 vcc, 3, v0
	s_waitcnt lgkmcnt(0)
	s_barrier
	s_and_saveexec_b64 s[16:17], vcc
	s_cbranch_execz .LBB192_29
; %bb.28:
	ds_read_b32 v11, v20
	v_and_b32_e32 v12, 3, v24
	v_cmp_ne_u32_e32 vcc, 0, v12
	s_waitcnt lgkmcnt(0)
	v_mov_b32_dpp v13, v11 row_shr:1 row_mask:0xf bank_mask:0xf
	v_cndmask_b32_e32 v13, 0, v13, vcc
	v_add_u32_e32 v11, v13, v11
	v_cmp_lt_u32_e32 vcc, 1, v12
	s_nop 0
	v_mov_b32_dpp v13, v11 row_shr:2 row_mask:0xf bank_mask:0xf
	v_cndmask_b32_e32 v12, 0, v13, vcc
	v_add_u32_e32 v11, v11, v12
	ds_write_b32 v20, v11
.LBB192_29:
	s_or_b64 exec, exec, s[16:17]
	v_cmp_gt_u32_e32 vcc, 64, v0
	v_cmp_lt_u32_e64 s[16:17], 63, v0
	s_waitcnt lgkmcnt(0)
	s_barrier
	s_waitcnt lgkmcnt(0)
                                        ; implicit-def: $vgpr27
	s_and_saveexec_b64 s[38:39], s[16:17]
	s_cbranch_execz .LBB192_31
; %bb.30:
	v_lshl_add_u32 v11, v25, 2, -4
	ds_read_b32 v27, v11
	s_waitcnt lgkmcnt(0)
	v_add_u32_e32 v10, v27, v10
.LBB192_31:
	s_or_b64 exec, exec, s[38:39]
	v_add_u32_e32 v11, -1, v24
	v_and_b32_e32 v12, 64, v24
	v_cmp_lt_i32_e64 s[16:17], v11, v12
	v_cndmask_b32_e64 v11, v11, v24, s[16:17]
	v_lshlrev_b32_e32 v11, 2, v11
	ds_bpermute_b32 v28, v11, v10
	v_cmp_eq_u32_e64 s[16:17], 0, v24
	s_and_saveexec_b64 s[38:39], vcc
	s_cbranch_execz .LBB192_50
; %bb.32:
	v_mov_b32_e32 v17, 0
	ds_read_b32 v10, v17 offset:8
	s_and_saveexec_b64 s[40:41], s[16:17]
	s_cbranch_execz .LBB192_34
; %bb.33:
	s_add_i32 s42, s6, 64
	s_mov_b32 s43, 0
	s_lshl_b64 s[42:43], s[42:43], 3
	s_add_u32 s42, s36, s42
	v_mov_b32_e32 v11, 1
	s_addc_u32 s43, s37, s43
	s_waitcnt lgkmcnt(0)
	global_store_dwordx2 v17, v[10:11], s[42:43]
.LBB192_34:
	s_or_b64 exec, exec, s[40:41]
	v_xad_u32 v12, v24, -1, s6
	v_add_u32_e32 v16, 64, v12
	v_lshlrev_b64 v[14:15], 3, v[16:17]
	v_mov_b32_e32 v11, s37
	v_add_co_u32_e32 v18, vcc, s36, v14
	v_addc_co_u32_e32 v19, vcc, v11, v15, vcc
	global_load_dwordx2 v[14:15], v[18:19], off glc
	s_waitcnt vmcnt(0)
	v_cmp_eq_u16_sdwa s[42:43], v15, v17 src0_sel:BYTE_0 src1_sel:DWORD
	s_and_saveexec_b64 s[40:41], s[42:43]
	s_cbranch_execz .LBB192_38
; %bb.35:
	s_mov_b64 s[42:43], 0
	v_mov_b32_e32 v11, 0
.LBB192_36:                             ; =>This Inner Loop Header: Depth=1
	global_load_dwordx2 v[14:15], v[18:19], off glc
	s_waitcnt vmcnt(0)
	v_cmp_ne_u16_sdwa s[44:45], v15, v11 src0_sel:BYTE_0 src1_sel:DWORD
	s_or_b64 s[42:43], s[44:45], s[42:43]
	s_andn2_b64 exec, exec, s[42:43]
	s_cbranch_execnz .LBB192_36
; %bb.37:
	s_or_b64 exec, exec, s[42:43]
.LBB192_38:
	s_or_b64 exec, exec, s[40:41]
	v_and_b32_e32 v30, 63, v24
	v_mov_b32_e32 v29, 2
	v_cmp_ne_u32_e32 vcc, 63, v30
	v_cmp_eq_u16_sdwa s[40:41], v15, v29 src0_sel:BYTE_0 src1_sel:DWORD
	v_lshlrev_b64 v[16:17], v24, -1
	v_addc_co_u32_e32 v18, vcc, 0, v24, vcc
	v_and_b32_e32 v11, s41, v17
	v_lshlrev_b32_e32 v31, 2, v18
	v_or_b32_e32 v11, 0x80000000, v11
	ds_bpermute_b32 v18, v31, v14
	v_and_b32_e32 v13, s40, v16
	v_ffbl_b32_e32 v11, v11
	v_add_u32_e32 v11, 32, v11
	v_ffbl_b32_e32 v13, v13
	v_min_u32_e32 v11, v13, v11
	v_cmp_lt_u32_e32 vcc, v30, v11
	s_waitcnt lgkmcnt(0)
	v_cndmask_b32_e32 v13, 0, v18, vcc
	v_cmp_gt_u32_e32 vcc, 62, v30
	v_add_u32_e32 v13, v13, v14
	v_cndmask_b32_e64 v14, 0, 1, vcc
	v_lshlrev_b32_e32 v14, 1, v14
	v_add_lshl_u32 v32, v14, v24, 2
	ds_bpermute_b32 v14, v32, v13
	v_add_u32_e32 v33, 2, v30
	v_cmp_le_u32_e32 vcc, v33, v11
	v_add_u32_e32 v35, 4, v30
	v_add_u32_e32 v37, 8, v30
	s_waitcnt lgkmcnt(0)
	v_cndmask_b32_e32 v14, 0, v14, vcc
	v_cmp_gt_u32_e32 vcc, 60, v30
	v_add_u32_e32 v13, v13, v14
	v_cndmask_b32_e64 v14, 0, 1, vcc
	v_lshlrev_b32_e32 v14, 2, v14
	v_add_lshl_u32 v34, v14, v24, 2
	ds_bpermute_b32 v14, v34, v13
	v_cmp_le_u32_e32 vcc, v35, v11
	v_add_u32_e32 v39, 16, v30
	v_add_u32_e32 v41, 32, v30
	s_waitcnt lgkmcnt(0)
	v_cndmask_b32_e32 v14, 0, v14, vcc
	v_cmp_gt_u32_e32 vcc, 56, v30
	v_add_u32_e32 v13, v13, v14
	v_cndmask_b32_e64 v14, 0, 1, vcc
	v_lshlrev_b32_e32 v14, 3, v14
	v_add_lshl_u32 v36, v14, v24, 2
	ds_bpermute_b32 v14, v36, v13
	v_cmp_le_u32_e32 vcc, v37, v11
	s_waitcnt lgkmcnt(0)
	v_cndmask_b32_e32 v14, 0, v14, vcc
	v_cmp_gt_u32_e32 vcc, 48, v30
	v_add_u32_e32 v13, v13, v14
	v_cndmask_b32_e64 v14, 0, 1, vcc
	v_lshlrev_b32_e32 v14, 4, v14
	v_add_lshl_u32 v38, v14, v24, 2
	ds_bpermute_b32 v14, v38, v13
	v_cmp_le_u32_e32 vcc, v39, v11
	;; [unrolled: 9-line block ×3, first 2 shown]
	s_waitcnt lgkmcnt(0)
	v_cndmask_b32_e32 v11, 0, v14, vcc
	v_add_u32_e32 v14, v13, v11
	v_mov_b32_e32 v13, 0
	s_branch .LBB192_40
.LBB192_39:                             ;   in Loop: Header=BB192_40 Depth=1
	s_or_b64 exec, exec, s[40:41]
	v_cmp_eq_u16_sdwa s[40:41], v15, v29 src0_sel:BYTE_0 src1_sel:DWORD
	v_and_b32_e32 v18, s41, v17
	v_or_b32_e32 v18, 0x80000000, v18
	ds_bpermute_b32 v42, v31, v14
	v_and_b32_e32 v19, s40, v16
	v_ffbl_b32_e32 v18, v18
	v_add_u32_e32 v18, 32, v18
	v_ffbl_b32_e32 v19, v19
	v_min_u32_e32 v18, v19, v18
	v_cmp_lt_u32_e32 vcc, v30, v18
	s_waitcnt lgkmcnt(0)
	v_cndmask_b32_e32 v19, 0, v42, vcc
	v_add_u32_e32 v14, v19, v14
	ds_bpermute_b32 v19, v32, v14
	v_cmp_le_u32_e32 vcc, v33, v18
	v_subrev_u32_e32 v12, 64, v12
	s_waitcnt lgkmcnt(0)
	v_cndmask_b32_e32 v19, 0, v19, vcc
	v_add_u32_e32 v14, v14, v19
	ds_bpermute_b32 v19, v34, v14
	v_cmp_le_u32_e32 vcc, v35, v18
	s_waitcnt lgkmcnt(0)
	v_cndmask_b32_e32 v19, 0, v19, vcc
	v_add_u32_e32 v14, v14, v19
	ds_bpermute_b32 v19, v36, v14
	v_cmp_le_u32_e32 vcc, v37, v18
	;; [unrolled: 5-line block ×4, first 2 shown]
	s_waitcnt lgkmcnt(0)
	v_cndmask_b32_e32 v18, 0, v19, vcc
	v_add3_u32 v14, v18, v11, v14
.LBB192_40:                             ; =>This Loop Header: Depth=1
                                        ;     Child Loop BB192_43 Depth 2
	v_cmp_ne_u16_sdwa s[40:41], v15, v29 src0_sel:BYTE_0 src1_sel:DWORD
	v_cndmask_b32_e64 v11, 0, 1, s[40:41]
	;;#ASMSTART
	;;#ASMEND
	v_cmp_ne_u32_e32 vcc, 0, v11
	s_cmp_lg_u64 vcc, exec
	v_mov_b32_e32 v11, v14
	s_cbranch_scc1 .LBB192_45
; %bb.41:                               ;   in Loop: Header=BB192_40 Depth=1
	v_lshlrev_b64 v[14:15], 3, v[12:13]
	v_mov_b32_e32 v19, s37
	v_add_co_u32_e32 v18, vcc, s36, v14
	v_addc_co_u32_e32 v19, vcc, v19, v15, vcc
	global_load_dwordx2 v[14:15], v[18:19], off glc
	s_waitcnt vmcnt(0)
	v_cmp_eq_u16_sdwa s[42:43], v15, v13 src0_sel:BYTE_0 src1_sel:DWORD
	s_and_saveexec_b64 s[40:41], s[42:43]
	s_cbranch_execz .LBB192_39
; %bb.42:                               ;   in Loop: Header=BB192_40 Depth=1
	s_mov_b64 s[42:43], 0
.LBB192_43:                             ;   Parent Loop BB192_40 Depth=1
                                        ; =>  This Inner Loop Header: Depth=2
	global_load_dwordx2 v[14:15], v[18:19], off glc
	s_waitcnt vmcnt(0)
	v_cmp_ne_u16_sdwa s[44:45], v15, v13 src0_sel:BYTE_0 src1_sel:DWORD
	s_or_b64 s[42:43], s[44:45], s[42:43]
	s_andn2_b64 exec, exec, s[42:43]
	s_cbranch_execnz .LBB192_43
; %bb.44:                               ;   in Loop: Header=BB192_40 Depth=1
	s_or_b64 exec, exec, s[42:43]
	s_branch .LBB192_39
.LBB192_45:                             ;   in Loop: Header=BB192_40 Depth=1
                                        ; implicit-def: $vgpr14
                                        ; implicit-def: $vgpr15
	s_cbranch_execz .LBB192_40
; %bb.46:
	s_and_saveexec_b64 s[40:41], s[16:17]
	s_cbranch_execz .LBB192_48
; %bb.47:
	s_add_i32 s6, s6, 64
	s_mov_b32 s7, 0
	s_lshl_b64 s[6:7], s[6:7], 3
	s_add_u32 s6, s36, s6
	v_add_u32_e32 v12, v11, v10
	v_mov_b32_e32 v13, 2
	s_addc_u32 s7, s37, s7
	v_mov_b32_e32 v14, 0
	global_store_dwordx2 v14, v[12:13], s[6:7]
	ds_write_b64 v14, v[10:11] offset:6336
.LBB192_48:
	s_or_b64 exec, exec, s[40:41]
	v_cmp_eq_u32_e32 vcc, 0, v0
	s_and_b64 exec, exec, vcc
	s_cbranch_execz .LBB192_50
; %bb.49:
	v_mov_b32_e32 v10, 0
	ds_write_b32 v10, v11 offset:8
.LBB192_50:
	s_or_b64 exec, exec, s[38:39]
	v_mov_b32_e32 v10, 0
	s_waitcnt lgkmcnt(0)
	s_barrier
	ds_read_b32 v11, v10 offset:8
	v_cndmask_b32_e64 v12, v28, v27, s[16:17]
	v_cmp_ne_u32_e32 vcc, 0, v0
	v_cndmask_b32_e32 v12, 0, v12, vcc
	s_waitcnt lgkmcnt(0)
	v_add_u32_e32 v14, v11, v12
	s_barrier
	ds_read_b64 v[10:11], v10 offset:6336
	v_add_u32_sdwa v15, v14, v22 dst_sel:DWORD dst_unused:UNUSED_PAD src0_sel:DWORD src1_sel:BYTE_0
	v_add_u32_sdwa v13, v15, v22 dst_sel:DWORD dst_unused:UNUSED_PAD src0_sel:DWORD src1_sel:BYTE_1
	v_add_u32_e32 v12, v13, v23
	s_load_dwordx2 s[4:5], s[4:5], 0x30
	s_branch .LBB192_61
.LBB192_51:
                                        ; implicit-def: $vgpr11
                                        ; implicit-def: $vgpr12
                                        ; implicit-def: $vgpr13
                                        ; implicit-def: $vgpr15
                                        ; implicit-def: $vgpr14
	s_load_dwordx2 s[4:5], s[4:5], 0x30
	s_cbranch_execz .LBB192_61
; %bb.52:
	s_waitcnt lgkmcnt(0)
	v_mov_b32_dpp v10, v26 row_shr:1 row_mask:0xf bank_mask:0xf
	v_cndmask_b32_e64 v10, v10, 0, s[14:15]
	v_add_u32_e32 v10, v10, v26
	s_nop 1
	v_mov_b32_dpp v11, v10 row_shr:2 row_mask:0xf bank_mask:0xf
	v_cndmask_b32_e64 v11, 0, v11, s[12:13]
	v_add_u32_e32 v10, v10, v11
	s_nop 1
	;; [unrolled: 4-line block ×4, first 2 shown]
	v_mov_b32_dpp v11, v10 row_bcast:15 row_mask:0xf bank_mask:0xf
	v_cndmask_b32_e64 v11, v11, 0, s[2:3]
	v_add_u32_e32 v10, v10, v11
	s_nop 1
	v_mov_b32_dpp v11, v10 row_bcast:31 row_mask:0xf bank_mask:0xf
	v_cndmask_b32_e64 v11, 0, v11, s[0:1]
	v_add_u32_e32 v10, v10, v11
	s_and_saveexec_b64 s[0:1], s[18:19]
	s_cbranch_execz .LBB192_54
; %bb.53:
	v_lshlrev_b32_e32 v11, 2, v25
	ds_write_b32 v11, v10
.LBB192_54:
	s_or_b64 exec, exec, s[0:1]
	v_cmp_gt_u32_e32 vcc, 3, v0
	s_waitcnt lgkmcnt(0)
	s_barrier
	s_and_saveexec_b64 s[0:1], vcc
	s_cbranch_execz .LBB192_56
; %bb.55:
	ds_read_b32 v11, v20
	v_and_b32_e32 v12, 3, v24
	v_cmp_ne_u32_e32 vcc, 0, v12
	s_waitcnt lgkmcnt(0)
	v_mov_b32_dpp v13, v11 row_shr:1 row_mask:0xf bank_mask:0xf
	v_cndmask_b32_e32 v13, 0, v13, vcc
	v_add_u32_e32 v11, v13, v11
	v_cmp_lt_u32_e32 vcc, 1, v12
	s_nop 0
	v_mov_b32_dpp v13, v11 row_shr:2 row_mask:0xf bank_mask:0xf
	v_cndmask_b32_e32 v12, 0, v13, vcc
	v_add_u32_e32 v11, v11, v12
	ds_write_b32 v20, v11
.LBB192_56:
	s_or_b64 exec, exec, s[0:1]
	v_cmp_lt_u32_e32 vcc, 63, v0
	v_mov_b32_e32 v11, 0
	v_mov_b32_e32 v12, 0
	s_waitcnt lgkmcnt(0)
	s_barrier
	s_and_saveexec_b64 s[0:1], vcc
	s_cbranch_execz .LBB192_58
; %bb.57:
	v_lshl_add_u32 v12, v25, 2, -4
	ds_read_b32 v12, v12
.LBB192_58:
	s_or_b64 exec, exec, s[0:1]
	v_add_u32_e32 v13, -1, v24
	v_and_b32_e32 v14, 64, v24
	v_cmp_lt_i32_e32 vcc, v13, v14
	v_cndmask_b32_e32 v13, v13, v24, vcc
	s_waitcnt lgkmcnt(0)
	v_add_u32_e32 v10, v12, v10
	v_lshlrev_b32_e32 v13, 2, v13
	ds_bpermute_b32 v13, v13, v10
	ds_read_b32 v10, v11 offset:8
	v_cmp_eq_u32_e32 vcc, 0, v0
	s_and_saveexec_b64 s[0:1], vcc
	s_cbranch_execz .LBB192_60
; %bb.59:
	v_mov_b32_e32 v14, 0
	v_mov_b32_e32 v11, 2
	s_waitcnt lgkmcnt(0)
	global_store_dwordx2 v14, v[10:11], s[36:37] offset:512
.LBB192_60:
	s_or_b64 exec, exec, s[0:1]
	v_cmp_eq_u32_e64 s[0:1], 0, v24
	s_waitcnt lgkmcnt(1)
	v_cndmask_b32_e64 v12, v13, v12, s[0:1]
	v_cndmask_b32_e64 v14, v12, 0, vcc
	v_add_u32_sdwa v15, v14, v22 dst_sel:DWORD dst_unused:UNUSED_PAD src0_sel:DWORD src1_sel:BYTE_0
	v_add_u32_sdwa v13, v15, v22 dst_sel:DWORD dst_unused:UNUSED_PAD src0_sel:DWORD src1_sel:BYTE_1
	v_mov_b32_e32 v11, 0
	v_add_u32_e32 v12, v13, v23
	s_waitcnt lgkmcnt(0)
	s_barrier
.LBB192_61:
	s_waitcnt lgkmcnt(0)
	v_add_u32_e32 v17, v10, v20
	v_sub_u32_e32 v14, v14, v11
	v_and_b32_e32 v19, 1, v22
	v_sub_u32_e32 v18, v17, v14
	v_cmp_eq_u32_e32 vcc, 1, v19
	v_cndmask_b32_e32 v14, v18, v14, vcc
	v_lshlrev_b32_e32 v14, 3, v14
	v_lshrrev_b32_e32 v16, 8, v22
	ds_write_b64 v14, v[6:7]
	v_sub_u32_e32 v6, v15, v11
	v_sub_u32_e32 v7, v17, v6
	v_and_b32_e32 v14, 1, v16
	v_add_u32_e32 v7, 1, v7
	v_cmp_eq_u32_e32 vcc, 1, v14
	v_cndmask_b32_e32 v6, v7, v6, vcc
	v_lshlrev_b32_e32 v6, 3, v6
	ds_write_b64 v6, v[8:9]
	v_sub_u32_e32 v6, v13, v11
	v_mov_b32_e32 v8, 1
	v_sub_u32_e32 v7, v17, v6
	v_and_b32_sdwa v8, v8, v22 dst_sel:DWORD dst_unused:UNUSED_PAD src0_sel:DWORD src1_sel:WORD_1
	v_add_u32_e32 v7, 2, v7
	v_cmp_eq_u32_e32 vcc, 1, v8
	v_cndmask_b32_e32 v6, v7, v6, vcc
	v_lshlrev_b32_e32 v6, 3, v6
	ds_write_b64 v6, v[2:3]
	v_sub_u32_e32 v2, v12, v11
	v_sub_u32_e32 v3, v17, v2
	v_and_b32_e32 v6, 1, v21
	v_add_u32_e32 v3, 3, v3
	v_cmp_eq_u32_e32 vcc, 1, v6
	v_cndmask_b32_e32 v2, v3, v2, vcc
	s_add_u32 s0, s26, s24
	v_lshlrev_b32_e32 v2, 3, v2
	s_addc_u32 s1, s27, 0
	ds_write_b64 v2, v[4:5]
	s_waitcnt lgkmcnt(0)
	s_barrier
	ds_read2st64_b64 v[6:9], v1 offset1:3
	ds_read2st64_b64 v[2:5], v1 offset0:6 offset1:9
	v_mov_b32_e32 v12, s31
	v_add_co_u32_e32 v1, vcc, s30, v11
	s_sub_u32 s0, s28, s0
	v_addc_co_u32_e32 v11, vcc, 0, v12, vcc
	s_subb_u32 s1, s29, s1
	v_mov_b32_e32 v12, s1
	v_add_co_u32_e32 v13, vcc, s0, v10
	v_addc_co_u32_e32 v12, vcc, 0, v12, vcc
	v_add_co_u32_e64 v15, s[0:1], v13, v1
	v_add_u32_e32 v18, 0xc0, v0
	v_add_u32_e32 v17, 0x180, v0
	;; [unrolled: 1-line block ×3, first 2 shown]
	s_andn2_b64 vcc, exec, s[34:35]
	v_addc_co_u32_e64 v16, s[0:1], v12, v11, s[0:1]
	s_cbranch_vccnz .LBB192_79
; %bb.62:
	v_cmp_ge_u32_e32 vcc, v0, v10
                                        ; implicit-def: $vgpr12_vgpr13
	s_and_saveexec_b64 s[0:1], vcc
	s_xor_b64 s[0:1], exec, s[0:1]
; %bb.63:
	v_not_b32_e32 v12, v0
	v_ashrrev_i32_e32 v13, 31, v12
	v_add_co_u32_e32 v12, vcc, v15, v12
	v_addc_co_u32_e32 v13, vcc, v16, v13, vcc
; %bb.64:
	s_andn2_saveexec_b64 s[0:1], s[0:1]
; %bb.65:
	v_add_co_u32_e32 v12, vcc, v1, v0
	v_addc_co_u32_e32 v13, vcc, 0, v11, vcc
; %bb.66:
	s_or_b64 exec, exec, s[0:1]
	v_lshlrev_b64 v[12:13], 3, v[12:13]
	v_mov_b32_e32 v19, s5
	v_add_co_u32_e32 v12, vcc, s4, v12
	v_addc_co_u32_e32 v13, vcc, v19, v13, vcc
	v_cmp_ge_u32_e32 vcc, v18, v10
	s_waitcnt lgkmcnt(1)
	global_store_dwordx2 v[12:13], v[6:7], off
                                        ; implicit-def: $vgpr12_vgpr13
	s_and_saveexec_b64 s[0:1], vcc
	s_xor_b64 s[0:1], exec, s[0:1]
; %bb.67:
	v_sub_u32_e32 v12, 0xffffff3f, v0
	v_ashrrev_i32_e32 v13, 31, v12
	v_add_co_u32_e32 v12, vcc, v15, v12
	v_addc_co_u32_e32 v13, vcc, v16, v13, vcc
; %bb.68:
	s_andn2_saveexec_b64 s[0:1], s[0:1]
; %bb.69:
	v_add_co_u32_e32 v12, vcc, v1, v18
	v_addc_co_u32_e32 v13, vcc, 0, v11, vcc
; %bb.70:
	s_or_b64 exec, exec, s[0:1]
	v_lshlrev_b64 v[12:13], 3, v[12:13]
	v_mov_b32_e32 v19, s5
	v_add_co_u32_e32 v12, vcc, s4, v12
	v_addc_co_u32_e32 v13, vcc, v19, v13, vcc
	v_cmp_ge_u32_e32 vcc, v17, v10
	global_store_dwordx2 v[12:13], v[8:9], off
                                        ; implicit-def: $vgpr12_vgpr13
	s_and_saveexec_b64 s[0:1], vcc
	s_xor_b64 s[0:1], exec, s[0:1]
; %bb.71:
	v_sub_u32_e32 v12, 0xfffffe7f, v0
	v_ashrrev_i32_e32 v13, 31, v12
	v_add_co_u32_e32 v12, vcc, v15, v12
	v_addc_co_u32_e32 v13, vcc, v16, v13, vcc
; %bb.72:
	s_andn2_saveexec_b64 s[0:1], s[0:1]
; %bb.73:
	v_add_co_u32_e32 v12, vcc, v1, v17
	v_addc_co_u32_e32 v13, vcc, 0, v11, vcc
; %bb.74:
	s_or_b64 exec, exec, s[0:1]
	v_lshlrev_b64 v[12:13], 3, v[12:13]
	v_mov_b32_e32 v19, s5
	v_add_co_u32_e32 v12, vcc, s4, v12
	v_addc_co_u32_e32 v13, vcc, v19, v13, vcc
	v_cmp_ge_u32_e32 vcc, v14, v10
	s_waitcnt lgkmcnt(0)
	global_store_dwordx2 v[12:13], v[2:3], off
                                        ; implicit-def: $vgpr12_vgpr13
	s_and_saveexec_b64 s[0:1], vcc
	s_xor_b64 s[0:1], exec, s[0:1]
; %bb.75:
	v_sub_u32_e32 v12, 0xfffffdbf, v0
	v_ashrrev_i32_e32 v13, 31, v12
	v_add_co_u32_e32 v12, vcc, v15, v12
	v_addc_co_u32_e32 v13, vcc, v16, v13, vcc
; %bb.76:
	s_andn2_saveexec_b64 s[0:1], s[0:1]
; %bb.77:
	v_add_co_u32_e32 v12, vcc, v1, v14
	v_addc_co_u32_e32 v13, vcc, 0, v11, vcc
; %bb.78:
	s_or_b64 exec, exec, s[0:1]
	s_mov_b64 s[0:1], -1
	s_branch .LBB192_105
.LBB192_79:
	s_mov_b64 s[0:1], 0
                                        ; implicit-def: $vgpr12_vgpr13
	s_cbranch_execz .LBB192_105
; %bb.80:
	v_cmp_gt_u32_e32 vcc, s33, v0
	s_and_saveexec_b64 s[2:3], vcc
	s_cbranch_execz .LBB192_88
; %bb.81:
	v_cmp_ge_u32_e32 vcc, v0, v10
                                        ; implicit-def: $vgpr12_vgpr13
	s_and_saveexec_b64 s[6:7], vcc
	s_xor_b64 s[6:7], exec, s[6:7]
; %bb.82:
	v_not_b32_e32 v12, v0
	v_ashrrev_i32_e32 v13, 31, v12
	v_add_co_u32_e32 v12, vcc, v15, v12
	v_addc_co_u32_e32 v13, vcc, v16, v13, vcc
; %bb.83:
	s_andn2_saveexec_b64 s[6:7], s[6:7]
; %bb.84:
	v_add_co_u32_e32 v12, vcc, v1, v0
	v_addc_co_u32_e32 v13, vcc, 0, v11, vcc
; %bb.85:
	s_or_b64 exec, exec, s[6:7]
	v_lshlrev_b64 v[12:13], 3, v[12:13]
	v_mov_b32_e32 v19, s5
	v_add_co_u32_e32 v12, vcc, s4, v12
	v_addc_co_u32_e32 v13, vcc, v19, v13, vcc
	s_waitcnt lgkmcnt(1)
	global_store_dwordx2 v[12:13], v[6:7], off
	s_or_b64 exec, exec, s[2:3]
	v_cmp_gt_u32_e32 vcc, s33, v18
	s_and_saveexec_b64 s[2:3], vcc
	s_cbranch_execnz .LBB192_89
.LBB192_86:
	s_or_b64 exec, exec, s[2:3]
	v_cmp_gt_u32_e32 vcc, s33, v17
	s_and_saveexec_b64 s[2:3], vcc
	s_cbranch_execnz .LBB192_94
.LBB192_87:
	s_or_b64 exec, exec, s[2:3]
	v_cmp_gt_u32_e32 vcc, s33, v14
                                        ; implicit-def: $vgpr12_vgpr13
	s_and_saveexec_b64 s[2:3], vcc
	s_cbranch_execz .LBB192_104
	s_branch .LBB192_99
.LBB192_88:
	s_or_b64 exec, exec, s[2:3]
	v_cmp_gt_u32_e32 vcc, s33, v18
	s_and_saveexec_b64 s[2:3], vcc
	s_cbranch_execz .LBB192_86
.LBB192_89:
	v_cmp_ge_u32_e32 vcc, v18, v10
                                        ; implicit-def: $vgpr6_vgpr7
	s_and_saveexec_b64 s[6:7], vcc
	s_xor_b64 s[6:7], exec, s[6:7]
	s_cbranch_execz .LBB192_91
; %bb.90:
	s_waitcnt lgkmcnt(1)
	v_sub_u32_e32 v6, 0xffffff3f, v0
	v_ashrrev_i32_e32 v7, 31, v6
	v_add_co_u32_e32 v6, vcc, v15, v6
	v_addc_co_u32_e32 v7, vcc, v16, v7, vcc
                                        ; implicit-def: $vgpr18
.LBB192_91:
	s_andn2_saveexec_b64 s[6:7], s[6:7]
	s_cbranch_execz .LBB192_93
; %bb.92:
	s_waitcnt lgkmcnt(1)
	v_add_co_u32_e32 v6, vcc, v1, v18
	v_addc_co_u32_e32 v7, vcc, 0, v11, vcc
.LBB192_93:
	s_or_b64 exec, exec, s[6:7]
	s_waitcnt lgkmcnt(1)
	v_lshlrev_b64 v[6:7], 3, v[6:7]
	v_mov_b32_e32 v12, s5
	v_add_co_u32_e32 v6, vcc, s4, v6
	v_addc_co_u32_e32 v7, vcc, v12, v7, vcc
	global_store_dwordx2 v[6:7], v[8:9], off
	s_or_b64 exec, exec, s[2:3]
	v_cmp_gt_u32_e32 vcc, s33, v17
	s_and_saveexec_b64 s[2:3], vcc
	s_cbranch_execz .LBB192_87
.LBB192_94:
	v_cmp_ge_u32_e32 vcc, v17, v10
                                        ; implicit-def: $vgpr6_vgpr7
	s_and_saveexec_b64 s[6:7], vcc
	s_xor_b64 s[6:7], exec, s[6:7]
	s_cbranch_execz .LBB192_96
; %bb.95:
	s_waitcnt lgkmcnt(1)
	v_sub_u32_e32 v6, 0xfffffe7f, v0
	v_ashrrev_i32_e32 v7, 31, v6
	v_add_co_u32_e32 v6, vcc, v15, v6
	v_addc_co_u32_e32 v7, vcc, v16, v7, vcc
                                        ; implicit-def: $vgpr17
.LBB192_96:
	s_andn2_saveexec_b64 s[6:7], s[6:7]
	s_cbranch_execz .LBB192_98
; %bb.97:
	s_waitcnt lgkmcnt(1)
	v_add_co_u32_e32 v6, vcc, v1, v17
	v_addc_co_u32_e32 v7, vcc, 0, v11, vcc
.LBB192_98:
	s_or_b64 exec, exec, s[6:7]
	s_waitcnt lgkmcnt(1)
	v_lshlrev_b64 v[6:7], 3, v[6:7]
	v_mov_b32_e32 v8, s5
	v_add_co_u32_e32 v6, vcc, s4, v6
	v_addc_co_u32_e32 v7, vcc, v8, v7, vcc
	s_waitcnt lgkmcnt(0)
	global_store_dwordx2 v[6:7], v[2:3], off
	s_or_b64 exec, exec, s[2:3]
	v_cmp_gt_u32_e32 vcc, s33, v14
                                        ; implicit-def: $vgpr12_vgpr13
	s_and_saveexec_b64 s[2:3], vcc
	s_cbranch_execz .LBB192_104
.LBB192_99:
	v_cmp_ge_u32_e32 vcc, v14, v10
                                        ; implicit-def: $vgpr12_vgpr13
	s_and_saveexec_b64 s[6:7], vcc
	s_xor_b64 s[6:7], exec, s[6:7]
	s_cbranch_execz .LBB192_101
; %bb.100:
	s_waitcnt lgkmcnt(0)
	v_sub_u32_e32 v2, 0xfffffdbf, v0
	v_ashrrev_i32_e32 v3, 31, v2
	v_add_co_u32_e32 v12, vcc, v15, v2
	v_addc_co_u32_e32 v13, vcc, v16, v3, vcc
                                        ; implicit-def: $vgpr14
.LBB192_101:
	s_andn2_saveexec_b64 s[6:7], s[6:7]
; %bb.102:
	v_add_co_u32_e32 v12, vcc, v1, v14
	v_addc_co_u32_e32 v13, vcc, 0, v11, vcc
; %bb.103:
	s_or_b64 exec, exec, s[6:7]
	s_or_b64 s[0:1], s[0:1], exec
.LBB192_104:
	s_or_b64 exec, exec, s[2:3]
.LBB192_105:
	s_and_saveexec_b64 s[2:3], s[0:1]
	s_cbranch_execz .LBB192_107
; %bb.106:
	s_waitcnt lgkmcnt(0)
	v_lshlrev_b64 v[2:3], 3, v[12:13]
	v_mov_b32_e32 v6, s5
	v_add_co_u32_e32 v2, vcc, s4, v2
	v_addc_co_u32_e32 v3, vcc, v6, v3, vcc
	global_store_dwordx2 v[2:3], v[4:5], off
.LBB192_107:
	s_or_b64 exec, exec, s[2:3]
	v_cmp_eq_u32_e32 vcc, 0, v0
	s_and_b64 s[0:1], vcc, s[22:23]
	s_and_saveexec_b64 s[2:3], s[0:1]
	s_cbranch_execz .LBB192_109
; %bb.108:
	v_add_co_u32_e32 v0, vcc, v1, v10
	s_waitcnt lgkmcnt(0)
	v_mov_b32_e32 v2, 0
	v_addc_co_u32_e32 v1, vcc, 0, v11, vcc
	global_store_dwordx2 v2, v[0:1], s[20:21]
.LBB192_109:
	s_endpgm
	.section	.rodata,"a",@progbits
	.p2align	6, 0x0
	.amdhsa_kernel _ZN7rocprim17ROCPRIM_400000_NS6detail17trampoline_kernelINS0_14default_configENS1_25partition_config_selectorILNS1_17partition_subalgoE2ExNS0_10empty_typeEbEEZZNS1_14partition_implILS5_2ELb0ES3_jN6thrust23THRUST_200600_302600_NS6detail15normal_iteratorINSA_7pointerIxNSA_11hip_rocprim3tagENSA_11use_defaultESG_EEEEPS6_NSA_18transform_iteratorI7is_evenIxENSC_INSA_10device_ptrIxEEEESG_SG_EENS0_5tupleIJPxSJ_EEENSR_IJSJ_SJ_EEES6_PlJS6_EEE10hipError_tPvRmT3_T4_T5_T6_T7_T9_mT8_P12ihipStream_tbDpT10_ENKUlT_T0_E_clISt17integral_constantIbLb0EES1F_EEDaS1A_S1B_EUlS1A_E_NS1_11comp_targetILNS1_3genE4ELNS1_11target_archE910ELNS1_3gpuE8ELNS1_3repE0EEENS1_30default_config_static_selectorELNS0_4arch9wavefront6targetE1EEEvT1_
		.amdhsa_group_segment_fixed_size 6344
		.amdhsa_private_segment_fixed_size 0
		.amdhsa_kernarg_size 128
		.amdhsa_user_sgpr_count 6
		.amdhsa_user_sgpr_private_segment_buffer 1
		.amdhsa_user_sgpr_dispatch_ptr 0
		.amdhsa_user_sgpr_queue_ptr 0
		.amdhsa_user_sgpr_kernarg_segment_ptr 1
		.amdhsa_user_sgpr_dispatch_id 0
		.amdhsa_user_sgpr_flat_scratch_init 0
		.amdhsa_user_sgpr_kernarg_preload_length 0
		.amdhsa_user_sgpr_kernarg_preload_offset 0
		.amdhsa_user_sgpr_private_segment_size 0
		.amdhsa_uses_dynamic_stack 0
		.amdhsa_system_sgpr_private_segment_wavefront_offset 0
		.amdhsa_system_sgpr_workgroup_id_x 1
		.amdhsa_system_sgpr_workgroup_id_y 0
		.amdhsa_system_sgpr_workgroup_id_z 0
		.amdhsa_system_sgpr_workgroup_info 0
		.amdhsa_system_vgpr_workitem_id 0
		.amdhsa_next_free_vgpr 43
		.amdhsa_next_free_sgpr 46
		.amdhsa_accum_offset 44
		.amdhsa_reserve_vcc 1
		.amdhsa_reserve_flat_scratch 0
		.amdhsa_float_round_mode_32 0
		.amdhsa_float_round_mode_16_64 0
		.amdhsa_float_denorm_mode_32 3
		.amdhsa_float_denorm_mode_16_64 3
		.amdhsa_dx10_clamp 1
		.amdhsa_ieee_mode 1
		.amdhsa_fp16_overflow 0
		.amdhsa_tg_split 0
		.amdhsa_exception_fp_ieee_invalid_op 0
		.amdhsa_exception_fp_denorm_src 0
		.amdhsa_exception_fp_ieee_div_zero 0
		.amdhsa_exception_fp_ieee_overflow 0
		.amdhsa_exception_fp_ieee_underflow 0
		.amdhsa_exception_fp_ieee_inexact 0
		.amdhsa_exception_int_div_zero 0
	.end_amdhsa_kernel
	.section	.text._ZN7rocprim17ROCPRIM_400000_NS6detail17trampoline_kernelINS0_14default_configENS1_25partition_config_selectorILNS1_17partition_subalgoE2ExNS0_10empty_typeEbEEZZNS1_14partition_implILS5_2ELb0ES3_jN6thrust23THRUST_200600_302600_NS6detail15normal_iteratorINSA_7pointerIxNSA_11hip_rocprim3tagENSA_11use_defaultESG_EEEEPS6_NSA_18transform_iteratorI7is_evenIxENSC_INSA_10device_ptrIxEEEESG_SG_EENS0_5tupleIJPxSJ_EEENSR_IJSJ_SJ_EEES6_PlJS6_EEE10hipError_tPvRmT3_T4_T5_T6_T7_T9_mT8_P12ihipStream_tbDpT10_ENKUlT_T0_E_clISt17integral_constantIbLb0EES1F_EEDaS1A_S1B_EUlS1A_E_NS1_11comp_targetILNS1_3genE4ELNS1_11target_archE910ELNS1_3gpuE8ELNS1_3repE0EEENS1_30default_config_static_selectorELNS0_4arch9wavefront6targetE1EEEvT1_,"axG",@progbits,_ZN7rocprim17ROCPRIM_400000_NS6detail17trampoline_kernelINS0_14default_configENS1_25partition_config_selectorILNS1_17partition_subalgoE2ExNS0_10empty_typeEbEEZZNS1_14partition_implILS5_2ELb0ES3_jN6thrust23THRUST_200600_302600_NS6detail15normal_iteratorINSA_7pointerIxNSA_11hip_rocprim3tagENSA_11use_defaultESG_EEEEPS6_NSA_18transform_iteratorI7is_evenIxENSC_INSA_10device_ptrIxEEEESG_SG_EENS0_5tupleIJPxSJ_EEENSR_IJSJ_SJ_EEES6_PlJS6_EEE10hipError_tPvRmT3_T4_T5_T6_T7_T9_mT8_P12ihipStream_tbDpT10_ENKUlT_T0_E_clISt17integral_constantIbLb0EES1F_EEDaS1A_S1B_EUlS1A_E_NS1_11comp_targetILNS1_3genE4ELNS1_11target_archE910ELNS1_3gpuE8ELNS1_3repE0EEENS1_30default_config_static_selectorELNS0_4arch9wavefront6targetE1EEEvT1_,comdat
.Lfunc_end192:
	.size	_ZN7rocprim17ROCPRIM_400000_NS6detail17trampoline_kernelINS0_14default_configENS1_25partition_config_selectorILNS1_17partition_subalgoE2ExNS0_10empty_typeEbEEZZNS1_14partition_implILS5_2ELb0ES3_jN6thrust23THRUST_200600_302600_NS6detail15normal_iteratorINSA_7pointerIxNSA_11hip_rocprim3tagENSA_11use_defaultESG_EEEEPS6_NSA_18transform_iteratorI7is_evenIxENSC_INSA_10device_ptrIxEEEESG_SG_EENS0_5tupleIJPxSJ_EEENSR_IJSJ_SJ_EEES6_PlJS6_EEE10hipError_tPvRmT3_T4_T5_T6_T7_T9_mT8_P12ihipStream_tbDpT10_ENKUlT_T0_E_clISt17integral_constantIbLb0EES1F_EEDaS1A_S1B_EUlS1A_E_NS1_11comp_targetILNS1_3genE4ELNS1_11target_archE910ELNS1_3gpuE8ELNS1_3repE0EEENS1_30default_config_static_selectorELNS0_4arch9wavefront6targetE1EEEvT1_, .Lfunc_end192-_ZN7rocprim17ROCPRIM_400000_NS6detail17trampoline_kernelINS0_14default_configENS1_25partition_config_selectorILNS1_17partition_subalgoE2ExNS0_10empty_typeEbEEZZNS1_14partition_implILS5_2ELb0ES3_jN6thrust23THRUST_200600_302600_NS6detail15normal_iteratorINSA_7pointerIxNSA_11hip_rocprim3tagENSA_11use_defaultESG_EEEEPS6_NSA_18transform_iteratorI7is_evenIxENSC_INSA_10device_ptrIxEEEESG_SG_EENS0_5tupleIJPxSJ_EEENSR_IJSJ_SJ_EEES6_PlJS6_EEE10hipError_tPvRmT3_T4_T5_T6_T7_T9_mT8_P12ihipStream_tbDpT10_ENKUlT_T0_E_clISt17integral_constantIbLb0EES1F_EEDaS1A_S1B_EUlS1A_E_NS1_11comp_targetILNS1_3genE4ELNS1_11target_archE910ELNS1_3gpuE8ELNS1_3repE0EEENS1_30default_config_static_selectorELNS0_4arch9wavefront6targetE1EEEvT1_
                                        ; -- End function
	.section	.AMDGPU.csdata,"",@progbits
; Kernel info:
; codeLenInByte = 4344
; NumSgprs: 50
; NumVgprs: 43
; NumAgprs: 0
; TotalNumVgprs: 43
; ScratchSize: 0
; MemoryBound: 0
; FloatMode: 240
; IeeeMode: 1
; LDSByteSize: 6344 bytes/workgroup (compile time only)
; SGPRBlocks: 6
; VGPRBlocks: 5
; NumSGPRsForWavesPerEU: 50
; NumVGPRsForWavesPerEU: 43
; AccumOffset: 44
; Occupancy: 8
; WaveLimiterHint : 1
; COMPUTE_PGM_RSRC2:SCRATCH_EN: 0
; COMPUTE_PGM_RSRC2:USER_SGPR: 6
; COMPUTE_PGM_RSRC2:TRAP_HANDLER: 0
; COMPUTE_PGM_RSRC2:TGID_X_EN: 1
; COMPUTE_PGM_RSRC2:TGID_Y_EN: 0
; COMPUTE_PGM_RSRC2:TGID_Z_EN: 0
; COMPUTE_PGM_RSRC2:TIDIG_COMP_CNT: 0
; COMPUTE_PGM_RSRC3_GFX90A:ACCUM_OFFSET: 10
; COMPUTE_PGM_RSRC3_GFX90A:TG_SPLIT: 0
	.section	.text._ZN7rocprim17ROCPRIM_400000_NS6detail17trampoline_kernelINS0_14default_configENS1_25partition_config_selectorILNS1_17partition_subalgoE2ExNS0_10empty_typeEbEEZZNS1_14partition_implILS5_2ELb0ES3_jN6thrust23THRUST_200600_302600_NS6detail15normal_iteratorINSA_7pointerIxNSA_11hip_rocprim3tagENSA_11use_defaultESG_EEEEPS6_NSA_18transform_iteratorI7is_evenIxENSC_INSA_10device_ptrIxEEEESG_SG_EENS0_5tupleIJPxSJ_EEENSR_IJSJ_SJ_EEES6_PlJS6_EEE10hipError_tPvRmT3_T4_T5_T6_T7_T9_mT8_P12ihipStream_tbDpT10_ENKUlT_T0_E_clISt17integral_constantIbLb0EES1F_EEDaS1A_S1B_EUlS1A_E_NS1_11comp_targetILNS1_3genE3ELNS1_11target_archE908ELNS1_3gpuE7ELNS1_3repE0EEENS1_30default_config_static_selectorELNS0_4arch9wavefront6targetE1EEEvT1_,"axG",@progbits,_ZN7rocprim17ROCPRIM_400000_NS6detail17trampoline_kernelINS0_14default_configENS1_25partition_config_selectorILNS1_17partition_subalgoE2ExNS0_10empty_typeEbEEZZNS1_14partition_implILS5_2ELb0ES3_jN6thrust23THRUST_200600_302600_NS6detail15normal_iteratorINSA_7pointerIxNSA_11hip_rocprim3tagENSA_11use_defaultESG_EEEEPS6_NSA_18transform_iteratorI7is_evenIxENSC_INSA_10device_ptrIxEEEESG_SG_EENS0_5tupleIJPxSJ_EEENSR_IJSJ_SJ_EEES6_PlJS6_EEE10hipError_tPvRmT3_T4_T5_T6_T7_T9_mT8_P12ihipStream_tbDpT10_ENKUlT_T0_E_clISt17integral_constantIbLb0EES1F_EEDaS1A_S1B_EUlS1A_E_NS1_11comp_targetILNS1_3genE3ELNS1_11target_archE908ELNS1_3gpuE7ELNS1_3repE0EEENS1_30default_config_static_selectorELNS0_4arch9wavefront6targetE1EEEvT1_,comdat
	.protected	_ZN7rocprim17ROCPRIM_400000_NS6detail17trampoline_kernelINS0_14default_configENS1_25partition_config_selectorILNS1_17partition_subalgoE2ExNS0_10empty_typeEbEEZZNS1_14partition_implILS5_2ELb0ES3_jN6thrust23THRUST_200600_302600_NS6detail15normal_iteratorINSA_7pointerIxNSA_11hip_rocprim3tagENSA_11use_defaultESG_EEEEPS6_NSA_18transform_iteratorI7is_evenIxENSC_INSA_10device_ptrIxEEEESG_SG_EENS0_5tupleIJPxSJ_EEENSR_IJSJ_SJ_EEES6_PlJS6_EEE10hipError_tPvRmT3_T4_T5_T6_T7_T9_mT8_P12ihipStream_tbDpT10_ENKUlT_T0_E_clISt17integral_constantIbLb0EES1F_EEDaS1A_S1B_EUlS1A_E_NS1_11comp_targetILNS1_3genE3ELNS1_11target_archE908ELNS1_3gpuE7ELNS1_3repE0EEENS1_30default_config_static_selectorELNS0_4arch9wavefront6targetE1EEEvT1_ ; -- Begin function _ZN7rocprim17ROCPRIM_400000_NS6detail17trampoline_kernelINS0_14default_configENS1_25partition_config_selectorILNS1_17partition_subalgoE2ExNS0_10empty_typeEbEEZZNS1_14partition_implILS5_2ELb0ES3_jN6thrust23THRUST_200600_302600_NS6detail15normal_iteratorINSA_7pointerIxNSA_11hip_rocprim3tagENSA_11use_defaultESG_EEEEPS6_NSA_18transform_iteratorI7is_evenIxENSC_INSA_10device_ptrIxEEEESG_SG_EENS0_5tupleIJPxSJ_EEENSR_IJSJ_SJ_EEES6_PlJS6_EEE10hipError_tPvRmT3_T4_T5_T6_T7_T9_mT8_P12ihipStream_tbDpT10_ENKUlT_T0_E_clISt17integral_constantIbLb0EES1F_EEDaS1A_S1B_EUlS1A_E_NS1_11comp_targetILNS1_3genE3ELNS1_11target_archE908ELNS1_3gpuE7ELNS1_3repE0EEENS1_30default_config_static_selectorELNS0_4arch9wavefront6targetE1EEEvT1_
	.globl	_ZN7rocprim17ROCPRIM_400000_NS6detail17trampoline_kernelINS0_14default_configENS1_25partition_config_selectorILNS1_17partition_subalgoE2ExNS0_10empty_typeEbEEZZNS1_14partition_implILS5_2ELb0ES3_jN6thrust23THRUST_200600_302600_NS6detail15normal_iteratorINSA_7pointerIxNSA_11hip_rocprim3tagENSA_11use_defaultESG_EEEEPS6_NSA_18transform_iteratorI7is_evenIxENSC_INSA_10device_ptrIxEEEESG_SG_EENS0_5tupleIJPxSJ_EEENSR_IJSJ_SJ_EEES6_PlJS6_EEE10hipError_tPvRmT3_T4_T5_T6_T7_T9_mT8_P12ihipStream_tbDpT10_ENKUlT_T0_E_clISt17integral_constantIbLb0EES1F_EEDaS1A_S1B_EUlS1A_E_NS1_11comp_targetILNS1_3genE3ELNS1_11target_archE908ELNS1_3gpuE7ELNS1_3repE0EEENS1_30default_config_static_selectorELNS0_4arch9wavefront6targetE1EEEvT1_
	.p2align	8
	.type	_ZN7rocprim17ROCPRIM_400000_NS6detail17trampoline_kernelINS0_14default_configENS1_25partition_config_selectorILNS1_17partition_subalgoE2ExNS0_10empty_typeEbEEZZNS1_14partition_implILS5_2ELb0ES3_jN6thrust23THRUST_200600_302600_NS6detail15normal_iteratorINSA_7pointerIxNSA_11hip_rocprim3tagENSA_11use_defaultESG_EEEEPS6_NSA_18transform_iteratorI7is_evenIxENSC_INSA_10device_ptrIxEEEESG_SG_EENS0_5tupleIJPxSJ_EEENSR_IJSJ_SJ_EEES6_PlJS6_EEE10hipError_tPvRmT3_T4_T5_T6_T7_T9_mT8_P12ihipStream_tbDpT10_ENKUlT_T0_E_clISt17integral_constantIbLb0EES1F_EEDaS1A_S1B_EUlS1A_E_NS1_11comp_targetILNS1_3genE3ELNS1_11target_archE908ELNS1_3gpuE7ELNS1_3repE0EEENS1_30default_config_static_selectorELNS0_4arch9wavefront6targetE1EEEvT1_,@function
_ZN7rocprim17ROCPRIM_400000_NS6detail17trampoline_kernelINS0_14default_configENS1_25partition_config_selectorILNS1_17partition_subalgoE2ExNS0_10empty_typeEbEEZZNS1_14partition_implILS5_2ELb0ES3_jN6thrust23THRUST_200600_302600_NS6detail15normal_iteratorINSA_7pointerIxNSA_11hip_rocprim3tagENSA_11use_defaultESG_EEEEPS6_NSA_18transform_iteratorI7is_evenIxENSC_INSA_10device_ptrIxEEEESG_SG_EENS0_5tupleIJPxSJ_EEENSR_IJSJ_SJ_EEES6_PlJS6_EEE10hipError_tPvRmT3_T4_T5_T6_T7_T9_mT8_P12ihipStream_tbDpT10_ENKUlT_T0_E_clISt17integral_constantIbLb0EES1F_EEDaS1A_S1B_EUlS1A_E_NS1_11comp_targetILNS1_3genE3ELNS1_11target_archE908ELNS1_3gpuE7ELNS1_3repE0EEENS1_30default_config_static_selectorELNS0_4arch9wavefront6targetE1EEEvT1_: ; @_ZN7rocprim17ROCPRIM_400000_NS6detail17trampoline_kernelINS0_14default_configENS1_25partition_config_selectorILNS1_17partition_subalgoE2ExNS0_10empty_typeEbEEZZNS1_14partition_implILS5_2ELb0ES3_jN6thrust23THRUST_200600_302600_NS6detail15normal_iteratorINSA_7pointerIxNSA_11hip_rocprim3tagENSA_11use_defaultESG_EEEEPS6_NSA_18transform_iteratorI7is_evenIxENSC_INSA_10device_ptrIxEEEESG_SG_EENS0_5tupleIJPxSJ_EEENSR_IJSJ_SJ_EEES6_PlJS6_EEE10hipError_tPvRmT3_T4_T5_T6_T7_T9_mT8_P12ihipStream_tbDpT10_ENKUlT_T0_E_clISt17integral_constantIbLb0EES1F_EEDaS1A_S1B_EUlS1A_E_NS1_11comp_targetILNS1_3genE3ELNS1_11target_archE908ELNS1_3gpuE7ELNS1_3repE0EEENS1_30default_config_static_selectorELNS0_4arch9wavefront6targetE1EEEvT1_
; %bb.0:
	.section	.rodata,"a",@progbits
	.p2align	6, 0x0
	.amdhsa_kernel _ZN7rocprim17ROCPRIM_400000_NS6detail17trampoline_kernelINS0_14default_configENS1_25partition_config_selectorILNS1_17partition_subalgoE2ExNS0_10empty_typeEbEEZZNS1_14partition_implILS5_2ELb0ES3_jN6thrust23THRUST_200600_302600_NS6detail15normal_iteratorINSA_7pointerIxNSA_11hip_rocprim3tagENSA_11use_defaultESG_EEEEPS6_NSA_18transform_iteratorI7is_evenIxENSC_INSA_10device_ptrIxEEEESG_SG_EENS0_5tupleIJPxSJ_EEENSR_IJSJ_SJ_EEES6_PlJS6_EEE10hipError_tPvRmT3_T4_T5_T6_T7_T9_mT8_P12ihipStream_tbDpT10_ENKUlT_T0_E_clISt17integral_constantIbLb0EES1F_EEDaS1A_S1B_EUlS1A_E_NS1_11comp_targetILNS1_3genE3ELNS1_11target_archE908ELNS1_3gpuE7ELNS1_3repE0EEENS1_30default_config_static_selectorELNS0_4arch9wavefront6targetE1EEEvT1_
		.amdhsa_group_segment_fixed_size 0
		.amdhsa_private_segment_fixed_size 0
		.amdhsa_kernarg_size 128
		.amdhsa_user_sgpr_count 6
		.amdhsa_user_sgpr_private_segment_buffer 1
		.amdhsa_user_sgpr_dispatch_ptr 0
		.amdhsa_user_sgpr_queue_ptr 0
		.amdhsa_user_sgpr_kernarg_segment_ptr 1
		.amdhsa_user_sgpr_dispatch_id 0
		.amdhsa_user_sgpr_flat_scratch_init 0
		.amdhsa_user_sgpr_kernarg_preload_length 0
		.amdhsa_user_sgpr_kernarg_preload_offset 0
		.amdhsa_user_sgpr_private_segment_size 0
		.amdhsa_uses_dynamic_stack 0
		.amdhsa_system_sgpr_private_segment_wavefront_offset 0
		.amdhsa_system_sgpr_workgroup_id_x 1
		.amdhsa_system_sgpr_workgroup_id_y 0
		.amdhsa_system_sgpr_workgroup_id_z 0
		.amdhsa_system_sgpr_workgroup_info 0
		.amdhsa_system_vgpr_workitem_id 0
		.amdhsa_next_free_vgpr 1
		.amdhsa_next_free_sgpr 0
		.amdhsa_accum_offset 4
		.amdhsa_reserve_vcc 0
		.amdhsa_reserve_flat_scratch 0
		.amdhsa_float_round_mode_32 0
		.amdhsa_float_round_mode_16_64 0
		.amdhsa_float_denorm_mode_32 3
		.amdhsa_float_denorm_mode_16_64 3
		.amdhsa_dx10_clamp 1
		.amdhsa_ieee_mode 1
		.amdhsa_fp16_overflow 0
		.amdhsa_tg_split 0
		.amdhsa_exception_fp_ieee_invalid_op 0
		.amdhsa_exception_fp_denorm_src 0
		.amdhsa_exception_fp_ieee_div_zero 0
		.amdhsa_exception_fp_ieee_overflow 0
		.amdhsa_exception_fp_ieee_underflow 0
		.amdhsa_exception_fp_ieee_inexact 0
		.amdhsa_exception_int_div_zero 0
	.end_amdhsa_kernel
	.section	.text._ZN7rocprim17ROCPRIM_400000_NS6detail17trampoline_kernelINS0_14default_configENS1_25partition_config_selectorILNS1_17partition_subalgoE2ExNS0_10empty_typeEbEEZZNS1_14partition_implILS5_2ELb0ES3_jN6thrust23THRUST_200600_302600_NS6detail15normal_iteratorINSA_7pointerIxNSA_11hip_rocprim3tagENSA_11use_defaultESG_EEEEPS6_NSA_18transform_iteratorI7is_evenIxENSC_INSA_10device_ptrIxEEEESG_SG_EENS0_5tupleIJPxSJ_EEENSR_IJSJ_SJ_EEES6_PlJS6_EEE10hipError_tPvRmT3_T4_T5_T6_T7_T9_mT8_P12ihipStream_tbDpT10_ENKUlT_T0_E_clISt17integral_constantIbLb0EES1F_EEDaS1A_S1B_EUlS1A_E_NS1_11comp_targetILNS1_3genE3ELNS1_11target_archE908ELNS1_3gpuE7ELNS1_3repE0EEENS1_30default_config_static_selectorELNS0_4arch9wavefront6targetE1EEEvT1_,"axG",@progbits,_ZN7rocprim17ROCPRIM_400000_NS6detail17trampoline_kernelINS0_14default_configENS1_25partition_config_selectorILNS1_17partition_subalgoE2ExNS0_10empty_typeEbEEZZNS1_14partition_implILS5_2ELb0ES3_jN6thrust23THRUST_200600_302600_NS6detail15normal_iteratorINSA_7pointerIxNSA_11hip_rocprim3tagENSA_11use_defaultESG_EEEEPS6_NSA_18transform_iteratorI7is_evenIxENSC_INSA_10device_ptrIxEEEESG_SG_EENS0_5tupleIJPxSJ_EEENSR_IJSJ_SJ_EEES6_PlJS6_EEE10hipError_tPvRmT3_T4_T5_T6_T7_T9_mT8_P12ihipStream_tbDpT10_ENKUlT_T0_E_clISt17integral_constantIbLb0EES1F_EEDaS1A_S1B_EUlS1A_E_NS1_11comp_targetILNS1_3genE3ELNS1_11target_archE908ELNS1_3gpuE7ELNS1_3repE0EEENS1_30default_config_static_selectorELNS0_4arch9wavefront6targetE1EEEvT1_,comdat
.Lfunc_end193:
	.size	_ZN7rocprim17ROCPRIM_400000_NS6detail17trampoline_kernelINS0_14default_configENS1_25partition_config_selectorILNS1_17partition_subalgoE2ExNS0_10empty_typeEbEEZZNS1_14partition_implILS5_2ELb0ES3_jN6thrust23THRUST_200600_302600_NS6detail15normal_iteratorINSA_7pointerIxNSA_11hip_rocprim3tagENSA_11use_defaultESG_EEEEPS6_NSA_18transform_iteratorI7is_evenIxENSC_INSA_10device_ptrIxEEEESG_SG_EENS0_5tupleIJPxSJ_EEENSR_IJSJ_SJ_EEES6_PlJS6_EEE10hipError_tPvRmT3_T4_T5_T6_T7_T9_mT8_P12ihipStream_tbDpT10_ENKUlT_T0_E_clISt17integral_constantIbLb0EES1F_EEDaS1A_S1B_EUlS1A_E_NS1_11comp_targetILNS1_3genE3ELNS1_11target_archE908ELNS1_3gpuE7ELNS1_3repE0EEENS1_30default_config_static_selectorELNS0_4arch9wavefront6targetE1EEEvT1_, .Lfunc_end193-_ZN7rocprim17ROCPRIM_400000_NS6detail17trampoline_kernelINS0_14default_configENS1_25partition_config_selectorILNS1_17partition_subalgoE2ExNS0_10empty_typeEbEEZZNS1_14partition_implILS5_2ELb0ES3_jN6thrust23THRUST_200600_302600_NS6detail15normal_iteratorINSA_7pointerIxNSA_11hip_rocprim3tagENSA_11use_defaultESG_EEEEPS6_NSA_18transform_iteratorI7is_evenIxENSC_INSA_10device_ptrIxEEEESG_SG_EENS0_5tupleIJPxSJ_EEENSR_IJSJ_SJ_EEES6_PlJS6_EEE10hipError_tPvRmT3_T4_T5_T6_T7_T9_mT8_P12ihipStream_tbDpT10_ENKUlT_T0_E_clISt17integral_constantIbLb0EES1F_EEDaS1A_S1B_EUlS1A_E_NS1_11comp_targetILNS1_3genE3ELNS1_11target_archE908ELNS1_3gpuE7ELNS1_3repE0EEENS1_30default_config_static_selectorELNS0_4arch9wavefront6targetE1EEEvT1_
                                        ; -- End function
	.section	.AMDGPU.csdata,"",@progbits
; Kernel info:
; codeLenInByte = 0
; NumSgprs: 4
; NumVgprs: 0
; NumAgprs: 0
; TotalNumVgprs: 0
; ScratchSize: 0
; MemoryBound: 0
; FloatMode: 240
; IeeeMode: 1
; LDSByteSize: 0 bytes/workgroup (compile time only)
; SGPRBlocks: 0
; VGPRBlocks: 0
; NumSGPRsForWavesPerEU: 4
; NumVGPRsForWavesPerEU: 1
; AccumOffset: 4
; Occupancy: 8
; WaveLimiterHint : 0
; COMPUTE_PGM_RSRC2:SCRATCH_EN: 0
; COMPUTE_PGM_RSRC2:USER_SGPR: 6
; COMPUTE_PGM_RSRC2:TRAP_HANDLER: 0
; COMPUTE_PGM_RSRC2:TGID_X_EN: 1
; COMPUTE_PGM_RSRC2:TGID_Y_EN: 0
; COMPUTE_PGM_RSRC2:TGID_Z_EN: 0
; COMPUTE_PGM_RSRC2:TIDIG_COMP_CNT: 0
; COMPUTE_PGM_RSRC3_GFX90A:ACCUM_OFFSET: 0
; COMPUTE_PGM_RSRC3_GFX90A:TG_SPLIT: 0
	.section	.text._ZN7rocprim17ROCPRIM_400000_NS6detail17trampoline_kernelINS0_14default_configENS1_25partition_config_selectorILNS1_17partition_subalgoE2ExNS0_10empty_typeEbEEZZNS1_14partition_implILS5_2ELb0ES3_jN6thrust23THRUST_200600_302600_NS6detail15normal_iteratorINSA_7pointerIxNSA_11hip_rocprim3tagENSA_11use_defaultESG_EEEEPS6_NSA_18transform_iteratorI7is_evenIxENSC_INSA_10device_ptrIxEEEESG_SG_EENS0_5tupleIJPxSJ_EEENSR_IJSJ_SJ_EEES6_PlJS6_EEE10hipError_tPvRmT3_T4_T5_T6_T7_T9_mT8_P12ihipStream_tbDpT10_ENKUlT_T0_E_clISt17integral_constantIbLb0EES1F_EEDaS1A_S1B_EUlS1A_E_NS1_11comp_targetILNS1_3genE2ELNS1_11target_archE906ELNS1_3gpuE6ELNS1_3repE0EEENS1_30default_config_static_selectorELNS0_4arch9wavefront6targetE1EEEvT1_,"axG",@progbits,_ZN7rocprim17ROCPRIM_400000_NS6detail17trampoline_kernelINS0_14default_configENS1_25partition_config_selectorILNS1_17partition_subalgoE2ExNS0_10empty_typeEbEEZZNS1_14partition_implILS5_2ELb0ES3_jN6thrust23THRUST_200600_302600_NS6detail15normal_iteratorINSA_7pointerIxNSA_11hip_rocprim3tagENSA_11use_defaultESG_EEEEPS6_NSA_18transform_iteratorI7is_evenIxENSC_INSA_10device_ptrIxEEEESG_SG_EENS0_5tupleIJPxSJ_EEENSR_IJSJ_SJ_EEES6_PlJS6_EEE10hipError_tPvRmT3_T4_T5_T6_T7_T9_mT8_P12ihipStream_tbDpT10_ENKUlT_T0_E_clISt17integral_constantIbLb0EES1F_EEDaS1A_S1B_EUlS1A_E_NS1_11comp_targetILNS1_3genE2ELNS1_11target_archE906ELNS1_3gpuE6ELNS1_3repE0EEENS1_30default_config_static_selectorELNS0_4arch9wavefront6targetE1EEEvT1_,comdat
	.protected	_ZN7rocprim17ROCPRIM_400000_NS6detail17trampoline_kernelINS0_14default_configENS1_25partition_config_selectorILNS1_17partition_subalgoE2ExNS0_10empty_typeEbEEZZNS1_14partition_implILS5_2ELb0ES3_jN6thrust23THRUST_200600_302600_NS6detail15normal_iteratorINSA_7pointerIxNSA_11hip_rocprim3tagENSA_11use_defaultESG_EEEEPS6_NSA_18transform_iteratorI7is_evenIxENSC_INSA_10device_ptrIxEEEESG_SG_EENS0_5tupleIJPxSJ_EEENSR_IJSJ_SJ_EEES6_PlJS6_EEE10hipError_tPvRmT3_T4_T5_T6_T7_T9_mT8_P12ihipStream_tbDpT10_ENKUlT_T0_E_clISt17integral_constantIbLb0EES1F_EEDaS1A_S1B_EUlS1A_E_NS1_11comp_targetILNS1_3genE2ELNS1_11target_archE906ELNS1_3gpuE6ELNS1_3repE0EEENS1_30default_config_static_selectorELNS0_4arch9wavefront6targetE1EEEvT1_ ; -- Begin function _ZN7rocprim17ROCPRIM_400000_NS6detail17trampoline_kernelINS0_14default_configENS1_25partition_config_selectorILNS1_17partition_subalgoE2ExNS0_10empty_typeEbEEZZNS1_14partition_implILS5_2ELb0ES3_jN6thrust23THRUST_200600_302600_NS6detail15normal_iteratorINSA_7pointerIxNSA_11hip_rocprim3tagENSA_11use_defaultESG_EEEEPS6_NSA_18transform_iteratorI7is_evenIxENSC_INSA_10device_ptrIxEEEESG_SG_EENS0_5tupleIJPxSJ_EEENSR_IJSJ_SJ_EEES6_PlJS6_EEE10hipError_tPvRmT3_T4_T5_T6_T7_T9_mT8_P12ihipStream_tbDpT10_ENKUlT_T0_E_clISt17integral_constantIbLb0EES1F_EEDaS1A_S1B_EUlS1A_E_NS1_11comp_targetILNS1_3genE2ELNS1_11target_archE906ELNS1_3gpuE6ELNS1_3repE0EEENS1_30default_config_static_selectorELNS0_4arch9wavefront6targetE1EEEvT1_
	.globl	_ZN7rocprim17ROCPRIM_400000_NS6detail17trampoline_kernelINS0_14default_configENS1_25partition_config_selectorILNS1_17partition_subalgoE2ExNS0_10empty_typeEbEEZZNS1_14partition_implILS5_2ELb0ES3_jN6thrust23THRUST_200600_302600_NS6detail15normal_iteratorINSA_7pointerIxNSA_11hip_rocprim3tagENSA_11use_defaultESG_EEEEPS6_NSA_18transform_iteratorI7is_evenIxENSC_INSA_10device_ptrIxEEEESG_SG_EENS0_5tupleIJPxSJ_EEENSR_IJSJ_SJ_EEES6_PlJS6_EEE10hipError_tPvRmT3_T4_T5_T6_T7_T9_mT8_P12ihipStream_tbDpT10_ENKUlT_T0_E_clISt17integral_constantIbLb0EES1F_EEDaS1A_S1B_EUlS1A_E_NS1_11comp_targetILNS1_3genE2ELNS1_11target_archE906ELNS1_3gpuE6ELNS1_3repE0EEENS1_30default_config_static_selectorELNS0_4arch9wavefront6targetE1EEEvT1_
	.p2align	8
	.type	_ZN7rocprim17ROCPRIM_400000_NS6detail17trampoline_kernelINS0_14default_configENS1_25partition_config_selectorILNS1_17partition_subalgoE2ExNS0_10empty_typeEbEEZZNS1_14partition_implILS5_2ELb0ES3_jN6thrust23THRUST_200600_302600_NS6detail15normal_iteratorINSA_7pointerIxNSA_11hip_rocprim3tagENSA_11use_defaultESG_EEEEPS6_NSA_18transform_iteratorI7is_evenIxENSC_INSA_10device_ptrIxEEEESG_SG_EENS0_5tupleIJPxSJ_EEENSR_IJSJ_SJ_EEES6_PlJS6_EEE10hipError_tPvRmT3_T4_T5_T6_T7_T9_mT8_P12ihipStream_tbDpT10_ENKUlT_T0_E_clISt17integral_constantIbLb0EES1F_EEDaS1A_S1B_EUlS1A_E_NS1_11comp_targetILNS1_3genE2ELNS1_11target_archE906ELNS1_3gpuE6ELNS1_3repE0EEENS1_30default_config_static_selectorELNS0_4arch9wavefront6targetE1EEEvT1_,@function
_ZN7rocprim17ROCPRIM_400000_NS6detail17trampoline_kernelINS0_14default_configENS1_25partition_config_selectorILNS1_17partition_subalgoE2ExNS0_10empty_typeEbEEZZNS1_14partition_implILS5_2ELb0ES3_jN6thrust23THRUST_200600_302600_NS6detail15normal_iteratorINSA_7pointerIxNSA_11hip_rocprim3tagENSA_11use_defaultESG_EEEEPS6_NSA_18transform_iteratorI7is_evenIxENSC_INSA_10device_ptrIxEEEESG_SG_EENS0_5tupleIJPxSJ_EEENSR_IJSJ_SJ_EEES6_PlJS6_EEE10hipError_tPvRmT3_T4_T5_T6_T7_T9_mT8_P12ihipStream_tbDpT10_ENKUlT_T0_E_clISt17integral_constantIbLb0EES1F_EEDaS1A_S1B_EUlS1A_E_NS1_11comp_targetILNS1_3genE2ELNS1_11target_archE906ELNS1_3gpuE6ELNS1_3repE0EEENS1_30default_config_static_selectorELNS0_4arch9wavefront6targetE1EEEvT1_: ; @_ZN7rocprim17ROCPRIM_400000_NS6detail17trampoline_kernelINS0_14default_configENS1_25partition_config_selectorILNS1_17partition_subalgoE2ExNS0_10empty_typeEbEEZZNS1_14partition_implILS5_2ELb0ES3_jN6thrust23THRUST_200600_302600_NS6detail15normal_iteratorINSA_7pointerIxNSA_11hip_rocprim3tagENSA_11use_defaultESG_EEEEPS6_NSA_18transform_iteratorI7is_evenIxENSC_INSA_10device_ptrIxEEEESG_SG_EENS0_5tupleIJPxSJ_EEENSR_IJSJ_SJ_EEES6_PlJS6_EEE10hipError_tPvRmT3_T4_T5_T6_T7_T9_mT8_P12ihipStream_tbDpT10_ENKUlT_T0_E_clISt17integral_constantIbLb0EES1F_EEDaS1A_S1B_EUlS1A_E_NS1_11comp_targetILNS1_3genE2ELNS1_11target_archE906ELNS1_3gpuE6ELNS1_3repE0EEENS1_30default_config_static_selectorELNS0_4arch9wavefront6targetE1EEEvT1_
; %bb.0:
	.section	.rodata,"a",@progbits
	.p2align	6, 0x0
	.amdhsa_kernel _ZN7rocprim17ROCPRIM_400000_NS6detail17trampoline_kernelINS0_14default_configENS1_25partition_config_selectorILNS1_17partition_subalgoE2ExNS0_10empty_typeEbEEZZNS1_14partition_implILS5_2ELb0ES3_jN6thrust23THRUST_200600_302600_NS6detail15normal_iteratorINSA_7pointerIxNSA_11hip_rocprim3tagENSA_11use_defaultESG_EEEEPS6_NSA_18transform_iteratorI7is_evenIxENSC_INSA_10device_ptrIxEEEESG_SG_EENS0_5tupleIJPxSJ_EEENSR_IJSJ_SJ_EEES6_PlJS6_EEE10hipError_tPvRmT3_T4_T5_T6_T7_T9_mT8_P12ihipStream_tbDpT10_ENKUlT_T0_E_clISt17integral_constantIbLb0EES1F_EEDaS1A_S1B_EUlS1A_E_NS1_11comp_targetILNS1_3genE2ELNS1_11target_archE906ELNS1_3gpuE6ELNS1_3repE0EEENS1_30default_config_static_selectorELNS0_4arch9wavefront6targetE1EEEvT1_
		.amdhsa_group_segment_fixed_size 0
		.amdhsa_private_segment_fixed_size 0
		.amdhsa_kernarg_size 128
		.amdhsa_user_sgpr_count 6
		.amdhsa_user_sgpr_private_segment_buffer 1
		.amdhsa_user_sgpr_dispatch_ptr 0
		.amdhsa_user_sgpr_queue_ptr 0
		.amdhsa_user_sgpr_kernarg_segment_ptr 1
		.amdhsa_user_sgpr_dispatch_id 0
		.amdhsa_user_sgpr_flat_scratch_init 0
		.amdhsa_user_sgpr_kernarg_preload_length 0
		.amdhsa_user_sgpr_kernarg_preload_offset 0
		.amdhsa_user_sgpr_private_segment_size 0
		.amdhsa_uses_dynamic_stack 0
		.amdhsa_system_sgpr_private_segment_wavefront_offset 0
		.amdhsa_system_sgpr_workgroup_id_x 1
		.amdhsa_system_sgpr_workgroup_id_y 0
		.amdhsa_system_sgpr_workgroup_id_z 0
		.amdhsa_system_sgpr_workgroup_info 0
		.amdhsa_system_vgpr_workitem_id 0
		.amdhsa_next_free_vgpr 1
		.amdhsa_next_free_sgpr 0
		.amdhsa_accum_offset 4
		.amdhsa_reserve_vcc 0
		.amdhsa_reserve_flat_scratch 0
		.amdhsa_float_round_mode_32 0
		.amdhsa_float_round_mode_16_64 0
		.amdhsa_float_denorm_mode_32 3
		.amdhsa_float_denorm_mode_16_64 3
		.amdhsa_dx10_clamp 1
		.amdhsa_ieee_mode 1
		.amdhsa_fp16_overflow 0
		.amdhsa_tg_split 0
		.amdhsa_exception_fp_ieee_invalid_op 0
		.amdhsa_exception_fp_denorm_src 0
		.amdhsa_exception_fp_ieee_div_zero 0
		.amdhsa_exception_fp_ieee_overflow 0
		.amdhsa_exception_fp_ieee_underflow 0
		.amdhsa_exception_fp_ieee_inexact 0
		.amdhsa_exception_int_div_zero 0
	.end_amdhsa_kernel
	.section	.text._ZN7rocprim17ROCPRIM_400000_NS6detail17trampoline_kernelINS0_14default_configENS1_25partition_config_selectorILNS1_17partition_subalgoE2ExNS0_10empty_typeEbEEZZNS1_14partition_implILS5_2ELb0ES3_jN6thrust23THRUST_200600_302600_NS6detail15normal_iteratorINSA_7pointerIxNSA_11hip_rocprim3tagENSA_11use_defaultESG_EEEEPS6_NSA_18transform_iteratorI7is_evenIxENSC_INSA_10device_ptrIxEEEESG_SG_EENS0_5tupleIJPxSJ_EEENSR_IJSJ_SJ_EEES6_PlJS6_EEE10hipError_tPvRmT3_T4_T5_T6_T7_T9_mT8_P12ihipStream_tbDpT10_ENKUlT_T0_E_clISt17integral_constantIbLb0EES1F_EEDaS1A_S1B_EUlS1A_E_NS1_11comp_targetILNS1_3genE2ELNS1_11target_archE906ELNS1_3gpuE6ELNS1_3repE0EEENS1_30default_config_static_selectorELNS0_4arch9wavefront6targetE1EEEvT1_,"axG",@progbits,_ZN7rocprim17ROCPRIM_400000_NS6detail17trampoline_kernelINS0_14default_configENS1_25partition_config_selectorILNS1_17partition_subalgoE2ExNS0_10empty_typeEbEEZZNS1_14partition_implILS5_2ELb0ES3_jN6thrust23THRUST_200600_302600_NS6detail15normal_iteratorINSA_7pointerIxNSA_11hip_rocprim3tagENSA_11use_defaultESG_EEEEPS6_NSA_18transform_iteratorI7is_evenIxENSC_INSA_10device_ptrIxEEEESG_SG_EENS0_5tupleIJPxSJ_EEENSR_IJSJ_SJ_EEES6_PlJS6_EEE10hipError_tPvRmT3_T4_T5_T6_T7_T9_mT8_P12ihipStream_tbDpT10_ENKUlT_T0_E_clISt17integral_constantIbLb0EES1F_EEDaS1A_S1B_EUlS1A_E_NS1_11comp_targetILNS1_3genE2ELNS1_11target_archE906ELNS1_3gpuE6ELNS1_3repE0EEENS1_30default_config_static_selectorELNS0_4arch9wavefront6targetE1EEEvT1_,comdat
.Lfunc_end194:
	.size	_ZN7rocprim17ROCPRIM_400000_NS6detail17trampoline_kernelINS0_14default_configENS1_25partition_config_selectorILNS1_17partition_subalgoE2ExNS0_10empty_typeEbEEZZNS1_14partition_implILS5_2ELb0ES3_jN6thrust23THRUST_200600_302600_NS6detail15normal_iteratorINSA_7pointerIxNSA_11hip_rocprim3tagENSA_11use_defaultESG_EEEEPS6_NSA_18transform_iteratorI7is_evenIxENSC_INSA_10device_ptrIxEEEESG_SG_EENS0_5tupleIJPxSJ_EEENSR_IJSJ_SJ_EEES6_PlJS6_EEE10hipError_tPvRmT3_T4_T5_T6_T7_T9_mT8_P12ihipStream_tbDpT10_ENKUlT_T0_E_clISt17integral_constantIbLb0EES1F_EEDaS1A_S1B_EUlS1A_E_NS1_11comp_targetILNS1_3genE2ELNS1_11target_archE906ELNS1_3gpuE6ELNS1_3repE0EEENS1_30default_config_static_selectorELNS0_4arch9wavefront6targetE1EEEvT1_, .Lfunc_end194-_ZN7rocprim17ROCPRIM_400000_NS6detail17trampoline_kernelINS0_14default_configENS1_25partition_config_selectorILNS1_17partition_subalgoE2ExNS0_10empty_typeEbEEZZNS1_14partition_implILS5_2ELb0ES3_jN6thrust23THRUST_200600_302600_NS6detail15normal_iteratorINSA_7pointerIxNSA_11hip_rocprim3tagENSA_11use_defaultESG_EEEEPS6_NSA_18transform_iteratorI7is_evenIxENSC_INSA_10device_ptrIxEEEESG_SG_EENS0_5tupleIJPxSJ_EEENSR_IJSJ_SJ_EEES6_PlJS6_EEE10hipError_tPvRmT3_T4_T5_T6_T7_T9_mT8_P12ihipStream_tbDpT10_ENKUlT_T0_E_clISt17integral_constantIbLb0EES1F_EEDaS1A_S1B_EUlS1A_E_NS1_11comp_targetILNS1_3genE2ELNS1_11target_archE906ELNS1_3gpuE6ELNS1_3repE0EEENS1_30default_config_static_selectorELNS0_4arch9wavefront6targetE1EEEvT1_
                                        ; -- End function
	.section	.AMDGPU.csdata,"",@progbits
; Kernel info:
; codeLenInByte = 0
; NumSgprs: 4
; NumVgprs: 0
; NumAgprs: 0
; TotalNumVgprs: 0
; ScratchSize: 0
; MemoryBound: 0
; FloatMode: 240
; IeeeMode: 1
; LDSByteSize: 0 bytes/workgroup (compile time only)
; SGPRBlocks: 0
; VGPRBlocks: 0
; NumSGPRsForWavesPerEU: 4
; NumVGPRsForWavesPerEU: 1
; AccumOffset: 4
; Occupancy: 8
; WaveLimiterHint : 0
; COMPUTE_PGM_RSRC2:SCRATCH_EN: 0
; COMPUTE_PGM_RSRC2:USER_SGPR: 6
; COMPUTE_PGM_RSRC2:TRAP_HANDLER: 0
; COMPUTE_PGM_RSRC2:TGID_X_EN: 1
; COMPUTE_PGM_RSRC2:TGID_Y_EN: 0
; COMPUTE_PGM_RSRC2:TGID_Z_EN: 0
; COMPUTE_PGM_RSRC2:TIDIG_COMP_CNT: 0
; COMPUTE_PGM_RSRC3_GFX90A:ACCUM_OFFSET: 0
; COMPUTE_PGM_RSRC3_GFX90A:TG_SPLIT: 0
	.section	.text._ZN7rocprim17ROCPRIM_400000_NS6detail17trampoline_kernelINS0_14default_configENS1_25partition_config_selectorILNS1_17partition_subalgoE2ExNS0_10empty_typeEbEEZZNS1_14partition_implILS5_2ELb0ES3_jN6thrust23THRUST_200600_302600_NS6detail15normal_iteratorINSA_7pointerIxNSA_11hip_rocprim3tagENSA_11use_defaultESG_EEEEPS6_NSA_18transform_iteratorI7is_evenIxENSC_INSA_10device_ptrIxEEEESG_SG_EENS0_5tupleIJPxSJ_EEENSR_IJSJ_SJ_EEES6_PlJS6_EEE10hipError_tPvRmT3_T4_T5_T6_T7_T9_mT8_P12ihipStream_tbDpT10_ENKUlT_T0_E_clISt17integral_constantIbLb0EES1F_EEDaS1A_S1B_EUlS1A_E_NS1_11comp_targetILNS1_3genE10ELNS1_11target_archE1200ELNS1_3gpuE4ELNS1_3repE0EEENS1_30default_config_static_selectorELNS0_4arch9wavefront6targetE1EEEvT1_,"axG",@progbits,_ZN7rocprim17ROCPRIM_400000_NS6detail17trampoline_kernelINS0_14default_configENS1_25partition_config_selectorILNS1_17partition_subalgoE2ExNS0_10empty_typeEbEEZZNS1_14partition_implILS5_2ELb0ES3_jN6thrust23THRUST_200600_302600_NS6detail15normal_iteratorINSA_7pointerIxNSA_11hip_rocprim3tagENSA_11use_defaultESG_EEEEPS6_NSA_18transform_iteratorI7is_evenIxENSC_INSA_10device_ptrIxEEEESG_SG_EENS0_5tupleIJPxSJ_EEENSR_IJSJ_SJ_EEES6_PlJS6_EEE10hipError_tPvRmT3_T4_T5_T6_T7_T9_mT8_P12ihipStream_tbDpT10_ENKUlT_T0_E_clISt17integral_constantIbLb0EES1F_EEDaS1A_S1B_EUlS1A_E_NS1_11comp_targetILNS1_3genE10ELNS1_11target_archE1200ELNS1_3gpuE4ELNS1_3repE0EEENS1_30default_config_static_selectorELNS0_4arch9wavefront6targetE1EEEvT1_,comdat
	.protected	_ZN7rocprim17ROCPRIM_400000_NS6detail17trampoline_kernelINS0_14default_configENS1_25partition_config_selectorILNS1_17partition_subalgoE2ExNS0_10empty_typeEbEEZZNS1_14partition_implILS5_2ELb0ES3_jN6thrust23THRUST_200600_302600_NS6detail15normal_iteratorINSA_7pointerIxNSA_11hip_rocprim3tagENSA_11use_defaultESG_EEEEPS6_NSA_18transform_iteratorI7is_evenIxENSC_INSA_10device_ptrIxEEEESG_SG_EENS0_5tupleIJPxSJ_EEENSR_IJSJ_SJ_EEES6_PlJS6_EEE10hipError_tPvRmT3_T4_T5_T6_T7_T9_mT8_P12ihipStream_tbDpT10_ENKUlT_T0_E_clISt17integral_constantIbLb0EES1F_EEDaS1A_S1B_EUlS1A_E_NS1_11comp_targetILNS1_3genE10ELNS1_11target_archE1200ELNS1_3gpuE4ELNS1_3repE0EEENS1_30default_config_static_selectorELNS0_4arch9wavefront6targetE1EEEvT1_ ; -- Begin function _ZN7rocprim17ROCPRIM_400000_NS6detail17trampoline_kernelINS0_14default_configENS1_25partition_config_selectorILNS1_17partition_subalgoE2ExNS0_10empty_typeEbEEZZNS1_14partition_implILS5_2ELb0ES3_jN6thrust23THRUST_200600_302600_NS6detail15normal_iteratorINSA_7pointerIxNSA_11hip_rocprim3tagENSA_11use_defaultESG_EEEEPS6_NSA_18transform_iteratorI7is_evenIxENSC_INSA_10device_ptrIxEEEESG_SG_EENS0_5tupleIJPxSJ_EEENSR_IJSJ_SJ_EEES6_PlJS6_EEE10hipError_tPvRmT3_T4_T5_T6_T7_T9_mT8_P12ihipStream_tbDpT10_ENKUlT_T0_E_clISt17integral_constantIbLb0EES1F_EEDaS1A_S1B_EUlS1A_E_NS1_11comp_targetILNS1_3genE10ELNS1_11target_archE1200ELNS1_3gpuE4ELNS1_3repE0EEENS1_30default_config_static_selectorELNS0_4arch9wavefront6targetE1EEEvT1_
	.globl	_ZN7rocprim17ROCPRIM_400000_NS6detail17trampoline_kernelINS0_14default_configENS1_25partition_config_selectorILNS1_17partition_subalgoE2ExNS0_10empty_typeEbEEZZNS1_14partition_implILS5_2ELb0ES3_jN6thrust23THRUST_200600_302600_NS6detail15normal_iteratorINSA_7pointerIxNSA_11hip_rocprim3tagENSA_11use_defaultESG_EEEEPS6_NSA_18transform_iteratorI7is_evenIxENSC_INSA_10device_ptrIxEEEESG_SG_EENS0_5tupleIJPxSJ_EEENSR_IJSJ_SJ_EEES6_PlJS6_EEE10hipError_tPvRmT3_T4_T5_T6_T7_T9_mT8_P12ihipStream_tbDpT10_ENKUlT_T0_E_clISt17integral_constantIbLb0EES1F_EEDaS1A_S1B_EUlS1A_E_NS1_11comp_targetILNS1_3genE10ELNS1_11target_archE1200ELNS1_3gpuE4ELNS1_3repE0EEENS1_30default_config_static_selectorELNS0_4arch9wavefront6targetE1EEEvT1_
	.p2align	8
	.type	_ZN7rocprim17ROCPRIM_400000_NS6detail17trampoline_kernelINS0_14default_configENS1_25partition_config_selectorILNS1_17partition_subalgoE2ExNS0_10empty_typeEbEEZZNS1_14partition_implILS5_2ELb0ES3_jN6thrust23THRUST_200600_302600_NS6detail15normal_iteratorINSA_7pointerIxNSA_11hip_rocprim3tagENSA_11use_defaultESG_EEEEPS6_NSA_18transform_iteratorI7is_evenIxENSC_INSA_10device_ptrIxEEEESG_SG_EENS0_5tupleIJPxSJ_EEENSR_IJSJ_SJ_EEES6_PlJS6_EEE10hipError_tPvRmT3_T4_T5_T6_T7_T9_mT8_P12ihipStream_tbDpT10_ENKUlT_T0_E_clISt17integral_constantIbLb0EES1F_EEDaS1A_S1B_EUlS1A_E_NS1_11comp_targetILNS1_3genE10ELNS1_11target_archE1200ELNS1_3gpuE4ELNS1_3repE0EEENS1_30default_config_static_selectorELNS0_4arch9wavefront6targetE1EEEvT1_,@function
_ZN7rocprim17ROCPRIM_400000_NS6detail17trampoline_kernelINS0_14default_configENS1_25partition_config_selectorILNS1_17partition_subalgoE2ExNS0_10empty_typeEbEEZZNS1_14partition_implILS5_2ELb0ES3_jN6thrust23THRUST_200600_302600_NS6detail15normal_iteratorINSA_7pointerIxNSA_11hip_rocprim3tagENSA_11use_defaultESG_EEEEPS6_NSA_18transform_iteratorI7is_evenIxENSC_INSA_10device_ptrIxEEEESG_SG_EENS0_5tupleIJPxSJ_EEENSR_IJSJ_SJ_EEES6_PlJS6_EEE10hipError_tPvRmT3_T4_T5_T6_T7_T9_mT8_P12ihipStream_tbDpT10_ENKUlT_T0_E_clISt17integral_constantIbLb0EES1F_EEDaS1A_S1B_EUlS1A_E_NS1_11comp_targetILNS1_3genE10ELNS1_11target_archE1200ELNS1_3gpuE4ELNS1_3repE0EEENS1_30default_config_static_selectorELNS0_4arch9wavefront6targetE1EEEvT1_: ; @_ZN7rocprim17ROCPRIM_400000_NS6detail17trampoline_kernelINS0_14default_configENS1_25partition_config_selectorILNS1_17partition_subalgoE2ExNS0_10empty_typeEbEEZZNS1_14partition_implILS5_2ELb0ES3_jN6thrust23THRUST_200600_302600_NS6detail15normal_iteratorINSA_7pointerIxNSA_11hip_rocprim3tagENSA_11use_defaultESG_EEEEPS6_NSA_18transform_iteratorI7is_evenIxENSC_INSA_10device_ptrIxEEEESG_SG_EENS0_5tupleIJPxSJ_EEENSR_IJSJ_SJ_EEES6_PlJS6_EEE10hipError_tPvRmT3_T4_T5_T6_T7_T9_mT8_P12ihipStream_tbDpT10_ENKUlT_T0_E_clISt17integral_constantIbLb0EES1F_EEDaS1A_S1B_EUlS1A_E_NS1_11comp_targetILNS1_3genE10ELNS1_11target_archE1200ELNS1_3gpuE4ELNS1_3repE0EEENS1_30default_config_static_selectorELNS0_4arch9wavefront6targetE1EEEvT1_
; %bb.0:
	.section	.rodata,"a",@progbits
	.p2align	6, 0x0
	.amdhsa_kernel _ZN7rocprim17ROCPRIM_400000_NS6detail17trampoline_kernelINS0_14default_configENS1_25partition_config_selectorILNS1_17partition_subalgoE2ExNS0_10empty_typeEbEEZZNS1_14partition_implILS5_2ELb0ES3_jN6thrust23THRUST_200600_302600_NS6detail15normal_iteratorINSA_7pointerIxNSA_11hip_rocprim3tagENSA_11use_defaultESG_EEEEPS6_NSA_18transform_iteratorI7is_evenIxENSC_INSA_10device_ptrIxEEEESG_SG_EENS0_5tupleIJPxSJ_EEENSR_IJSJ_SJ_EEES6_PlJS6_EEE10hipError_tPvRmT3_T4_T5_T6_T7_T9_mT8_P12ihipStream_tbDpT10_ENKUlT_T0_E_clISt17integral_constantIbLb0EES1F_EEDaS1A_S1B_EUlS1A_E_NS1_11comp_targetILNS1_3genE10ELNS1_11target_archE1200ELNS1_3gpuE4ELNS1_3repE0EEENS1_30default_config_static_selectorELNS0_4arch9wavefront6targetE1EEEvT1_
		.amdhsa_group_segment_fixed_size 0
		.amdhsa_private_segment_fixed_size 0
		.amdhsa_kernarg_size 128
		.amdhsa_user_sgpr_count 6
		.amdhsa_user_sgpr_private_segment_buffer 1
		.amdhsa_user_sgpr_dispatch_ptr 0
		.amdhsa_user_sgpr_queue_ptr 0
		.amdhsa_user_sgpr_kernarg_segment_ptr 1
		.amdhsa_user_sgpr_dispatch_id 0
		.amdhsa_user_sgpr_flat_scratch_init 0
		.amdhsa_user_sgpr_kernarg_preload_length 0
		.amdhsa_user_sgpr_kernarg_preload_offset 0
		.amdhsa_user_sgpr_private_segment_size 0
		.amdhsa_uses_dynamic_stack 0
		.amdhsa_system_sgpr_private_segment_wavefront_offset 0
		.amdhsa_system_sgpr_workgroup_id_x 1
		.amdhsa_system_sgpr_workgroup_id_y 0
		.amdhsa_system_sgpr_workgroup_id_z 0
		.amdhsa_system_sgpr_workgroup_info 0
		.amdhsa_system_vgpr_workitem_id 0
		.amdhsa_next_free_vgpr 1
		.amdhsa_next_free_sgpr 0
		.amdhsa_accum_offset 4
		.amdhsa_reserve_vcc 0
		.amdhsa_reserve_flat_scratch 0
		.amdhsa_float_round_mode_32 0
		.amdhsa_float_round_mode_16_64 0
		.amdhsa_float_denorm_mode_32 3
		.amdhsa_float_denorm_mode_16_64 3
		.amdhsa_dx10_clamp 1
		.amdhsa_ieee_mode 1
		.amdhsa_fp16_overflow 0
		.amdhsa_tg_split 0
		.amdhsa_exception_fp_ieee_invalid_op 0
		.amdhsa_exception_fp_denorm_src 0
		.amdhsa_exception_fp_ieee_div_zero 0
		.amdhsa_exception_fp_ieee_overflow 0
		.amdhsa_exception_fp_ieee_underflow 0
		.amdhsa_exception_fp_ieee_inexact 0
		.amdhsa_exception_int_div_zero 0
	.end_amdhsa_kernel
	.section	.text._ZN7rocprim17ROCPRIM_400000_NS6detail17trampoline_kernelINS0_14default_configENS1_25partition_config_selectorILNS1_17partition_subalgoE2ExNS0_10empty_typeEbEEZZNS1_14partition_implILS5_2ELb0ES3_jN6thrust23THRUST_200600_302600_NS6detail15normal_iteratorINSA_7pointerIxNSA_11hip_rocprim3tagENSA_11use_defaultESG_EEEEPS6_NSA_18transform_iteratorI7is_evenIxENSC_INSA_10device_ptrIxEEEESG_SG_EENS0_5tupleIJPxSJ_EEENSR_IJSJ_SJ_EEES6_PlJS6_EEE10hipError_tPvRmT3_T4_T5_T6_T7_T9_mT8_P12ihipStream_tbDpT10_ENKUlT_T0_E_clISt17integral_constantIbLb0EES1F_EEDaS1A_S1B_EUlS1A_E_NS1_11comp_targetILNS1_3genE10ELNS1_11target_archE1200ELNS1_3gpuE4ELNS1_3repE0EEENS1_30default_config_static_selectorELNS0_4arch9wavefront6targetE1EEEvT1_,"axG",@progbits,_ZN7rocprim17ROCPRIM_400000_NS6detail17trampoline_kernelINS0_14default_configENS1_25partition_config_selectorILNS1_17partition_subalgoE2ExNS0_10empty_typeEbEEZZNS1_14partition_implILS5_2ELb0ES3_jN6thrust23THRUST_200600_302600_NS6detail15normal_iteratorINSA_7pointerIxNSA_11hip_rocprim3tagENSA_11use_defaultESG_EEEEPS6_NSA_18transform_iteratorI7is_evenIxENSC_INSA_10device_ptrIxEEEESG_SG_EENS0_5tupleIJPxSJ_EEENSR_IJSJ_SJ_EEES6_PlJS6_EEE10hipError_tPvRmT3_T4_T5_T6_T7_T9_mT8_P12ihipStream_tbDpT10_ENKUlT_T0_E_clISt17integral_constantIbLb0EES1F_EEDaS1A_S1B_EUlS1A_E_NS1_11comp_targetILNS1_3genE10ELNS1_11target_archE1200ELNS1_3gpuE4ELNS1_3repE0EEENS1_30default_config_static_selectorELNS0_4arch9wavefront6targetE1EEEvT1_,comdat
.Lfunc_end195:
	.size	_ZN7rocprim17ROCPRIM_400000_NS6detail17trampoline_kernelINS0_14default_configENS1_25partition_config_selectorILNS1_17partition_subalgoE2ExNS0_10empty_typeEbEEZZNS1_14partition_implILS5_2ELb0ES3_jN6thrust23THRUST_200600_302600_NS6detail15normal_iteratorINSA_7pointerIxNSA_11hip_rocprim3tagENSA_11use_defaultESG_EEEEPS6_NSA_18transform_iteratorI7is_evenIxENSC_INSA_10device_ptrIxEEEESG_SG_EENS0_5tupleIJPxSJ_EEENSR_IJSJ_SJ_EEES6_PlJS6_EEE10hipError_tPvRmT3_T4_T5_T6_T7_T9_mT8_P12ihipStream_tbDpT10_ENKUlT_T0_E_clISt17integral_constantIbLb0EES1F_EEDaS1A_S1B_EUlS1A_E_NS1_11comp_targetILNS1_3genE10ELNS1_11target_archE1200ELNS1_3gpuE4ELNS1_3repE0EEENS1_30default_config_static_selectorELNS0_4arch9wavefront6targetE1EEEvT1_, .Lfunc_end195-_ZN7rocprim17ROCPRIM_400000_NS6detail17trampoline_kernelINS0_14default_configENS1_25partition_config_selectorILNS1_17partition_subalgoE2ExNS0_10empty_typeEbEEZZNS1_14partition_implILS5_2ELb0ES3_jN6thrust23THRUST_200600_302600_NS6detail15normal_iteratorINSA_7pointerIxNSA_11hip_rocprim3tagENSA_11use_defaultESG_EEEEPS6_NSA_18transform_iteratorI7is_evenIxENSC_INSA_10device_ptrIxEEEESG_SG_EENS0_5tupleIJPxSJ_EEENSR_IJSJ_SJ_EEES6_PlJS6_EEE10hipError_tPvRmT3_T4_T5_T6_T7_T9_mT8_P12ihipStream_tbDpT10_ENKUlT_T0_E_clISt17integral_constantIbLb0EES1F_EEDaS1A_S1B_EUlS1A_E_NS1_11comp_targetILNS1_3genE10ELNS1_11target_archE1200ELNS1_3gpuE4ELNS1_3repE0EEENS1_30default_config_static_selectorELNS0_4arch9wavefront6targetE1EEEvT1_
                                        ; -- End function
	.section	.AMDGPU.csdata,"",@progbits
; Kernel info:
; codeLenInByte = 0
; NumSgprs: 4
; NumVgprs: 0
; NumAgprs: 0
; TotalNumVgprs: 0
; ScratchSize: 0
; MemoryBound: 0
; FloatMode: 240
; IeeeMode: 1
; LDSByteSize: 0 bytes/workgroup (compile time only)
; SGPRBlocks: 0
; VGPRBlocks: 0
; NumSGPRsForWavesPerEU: 4
; NumVGPRsForWavesPerEU: 1
; AccumOffset: 4
; Occupancy: 8
; WaveLimiterHint : 0
; COMPUTE_PGM_RSRC2:SCRATCH_EN: 0
; COMPUTE_PGM_RSRC2:USER_SGPR: 6
; COMPUTE_PGM_RSRC2:TRAP_HANDLER: 0
; COMPUTE_PGM_RSRC2:TGID_X_EN: 1
; COMPUTE_PGM_RSRC2:TGID_Y_EN: 0
; COMPUTE_PGM_RSRC2:TGID_Z_EN: 0
; COMPUTE_PGM_RSRC2:TIDIG_COMP_CNT: 0
; COMPUTE_PGM_RSRC3_GFX90A:ACCUM_OFFSET: 0
; COMPUTE_PGM_RSRC3_GFX90A:TG_SPLIT: 0
	.section	.text._ZN7rocprim17ROCPRIM_400000_NS6detail17trampoline_kernelINS0_14default_configENS1_25partition_config_selectorILNS1_17partition_subalgoE2ExNS0_10empty_typeEbEEZZNS1_14partition_implILS5_2ELb0ES3_jN6thrust23THRUST_200600_302600_NS6detail15normal_iteratorINSA_7pointerIxNSA_11hip_rocprim3tagENSA_11use_defaultESG_EEEEPS6_NSA_18transform_iteratorI7is_evenIxENSC_INSA_10device_ptrIxEEEESG_SG_EENS0_5tupleIJPxSJ_EEENSR_IJSJ_SJ_EEES6_PlJS6_EEE10hipError_tPvRmT3_T4_T5_T6_T7_T9_mT8_P12ihipStream_tbDpT10_ENKUlT_T0_E_clISt17integral_constantIbLb0EES1F_EEDaS1A_S1B_EUlS1A_E_NS1_11comp_targetILNS1_3genE9ELNS1_11target_archE1100ELNS1_3gpuE3ELNS1_3repE0EEENS1_30default_config_static_selectorELNS0_4arch9wavefront6targetE1EEEvT1_,"axG",@progbits,_ZN7rocprim17ROCPRIM_400000_NS6detail17trampoline_kernelINS0_14default_configENS1_25partition_config_selectorILNS1_17partition_subalgoE2ExNS0_10empty_typeEbEEZZNS1_14partition_implILS5_2ELb0ES3_jN6thrust23THRUST_200600_302600_NS6detail15normal_iteratorINSA_7pointerIxNSA_11hip_rocprim3tagENSA_11use_defaultESG_EEEEPS6_NSA_18transform_iteratorI7is_evenIxENSC_INSA_10device_ptrIxEEEESG_SG_EENS0_5tupleIJPxSJ_EEENSR_IJSJ_SJ_EEES6_PlJS6_EEE10hipError_tPvRmT3_T4_T5_T6_T7_T9_mT8_P12ihipStream_tbDpT10_ENKUlT_T0_E_clISt17integral_constantIbLb0EES1F_EEDaS1A_S1B_EUlS1A_E_NS1_11comp_targetILNS1_3genE9ELNS1_11target_archE1100ELNS1_3gpuE3ELNS1_3repE0EEENS1_30default_config_static_selectorELNS0_4arch9wavefront6targetE1EEEvT1_,comdat
	.protected	_ZN7rocprim17ROCPRIM_400000_NS6detail17trampoline_kernelINS0_14default_configENS1_25partition_config_selectorILNS1_17partition_subalgoE2ExNS0_10empty_typeEbEEZZNS1_14partition_implILS5_2ELb0ES3_jN6thrust23THRUST_200600_302600_NS6detail15normal_iteratorINSA_7pointerIxNSA_11hip_rocprim3tagENSA_11use_defaultESG_EEEEPS6_NSA_18transform_iteratorI7is_evenIxENSC_INSA_10device_ptrIxEEEESG_SG_EENS0_5tupleIJPxSJ_EEENSR_IJSJ_SJ_EEES6_PlJS6_EEE10hipError_tPvRmT3_T4_T5_T6_T7_T9_mT8_P12ihipStream_tbDpT10_ENKUlT_T0_E_clISt17integral_constantIbLb0EES1F_EEDaS1A_S1B_EUlS1A_E_NS1_11comp_targetILNS1_3genE9ELNS1_11target_archE1100ELNS1_3gpuE3ELNS1_3repE0EEENS1_30default_config_static_selectorELNS0_4arch9wavefront6targetE1EEEvT1_ ; -- Begin function _ZN7rocprim17ROCPRIM_400000_NS6detail17trampoline_kernelINS0_14default_configENS1_25partition_config_selectorILNS1_17partition_subalgoE2ExNS0_10empty_typeEbEEZZNS1_14partition_implILS5_2ELb0ES3_jN6thrust23THRUST_200600_302600_NS6detail15normal_iteratorINSA_7pointerIxNSA_11hip_rocprim3tagENSA_11use_defaultESG_EEEEPS6_NSA_18transform_iteratorI7is_evenIxENSC_INSA_10device_ptrIxEEEESG_SG_EENS0_5tupleIJPxSJ_EEENSR_IJSJ_SJ_EEES6_PlJS6_EEE10hipError_tPvRmT3_T4_T5_T6_T7_T9_mT8_P12ihipStream_tbDpT10_ENKUlT_T0_E_clISt17integral_constantIbLb0EES1F_EEDaS1A_S1B_EUlS1A_E_NS1_11comp_targetILNS1_3genE9ELNS1_11target_archE1100ELNS1_3gpuE3ELNS1_3repE0EEENS1_30default_config_static_selectorELNS0_4arch9wavefront6targetE1EEEvT1_
	.globl	_ZN7rocprim17ROCPRIM_400000_NS6detail17trampoline_kernelINS0_14default_configENS1_25partition_config_selectorILNS1_17partition_subalgoE2ExNS0_10empty_typeEbEEZZNS1_14partition_implILS5_2ELb0ES3_jN6thrust23THRUST_200600_302600_NS6detail15normal_iteratorINSA_7pointerIxNSA_11hip_rocprim3tagENSA_11use_defaultESG_EEEEPS6_NSA_18transform_iteratorI7is_evenIxENSC_INSA_10device_ptrIxEEEESG_SG_EENS0_5tupleIJPxSJ_EEENSR_IJSJ_SJ_EEES6_PlJS6_EEE10hipError_tPvRmT3_T4_T5_T6_T7_T9_mT8_P12ihipStream_tbDpT10_ENKUlT_T0_E_clISt17integral_constantIbLb0EES1F_EEDaS1A_S1B_EUlS1A_E_NS1_11comp_targetILNS1_3genE9ELNS1_11target_archE1100ELNS1_3gpuE3ELNS1_3repE0EEENS1_30default_config_static_selectorELNS0_4arch9wavefront6targetE1EEEvT1_
	.p2align	8
	.type	_ZN7rocprim17ROCPRIM_400000_NS6detail17trampoline_kernelINS0_14default_configENS1_25partition_config_selectorILNS1_17partition_subalgoE2ExNS0_10empty_typeEbEEZZNS1_14partition_implILS5_2ELb0ES3_jN6thrust23THRUST_200600_302600_NS6detail15normal_iteratorINSA_7pointerIxNSA_11hip_rocprim3tagENSA_11use_defaultESG_EEEEPS6_NSA_18transform_iteratorI7is_evenIxENSC_INSA_10device_ptrIxEEEESG_SG_EENS0_5tupleIJPxSJ_EEENSR_IJSJ_SJ_EEES6_PlJS6_EEE10hipError_tPvRmT3_T4_T5_T6_T7_T9_mT8_P12ihipStream_tbDpT10_ENKUlT_T0_E_clISt17integral_constantIbLb0EES1F_EEDaS1A_S1B_EUlS1A_E_NS1_11comp_targetILNS1_3genE9ELNS1_11target_archE1100ELNS1_3gpuE3ELNS1_3repE0EEENS1_30default_config_static_selectorELNS0_4arch9wavefront6targetE1EEEvT1_,@function
_ZN7rocprim17ROCPRIM_400000_NS6detail17trampoline_kernelINS0_14default_configENS1_25partition_config_selectorILNS1_17partition_subalgoE2ExNS0_10empty_typeEbEEZZNS1_14partition_implILS5_2ELb0ES3_jN6thrust23THRUST_200600_302600_NS6detail15normal_iteratorINSA_7pointerIxNSA_11hip_rocprim3tagENSA_11use_defaultESG_EEEEPS6_NSA_18transform_iteratorI7is_evenIxENSC_INSA_10device_ptrIxEEEESG_SG_EENS0_5tupleIJPxSJ_EEENSR_IJSJ_SJ_EEES6_PlJS6_EEE10hipError_tPvRmT3_T4_T5_T6_T7_T9_mT8_P12ihipStream_tbDpT10_ENKUlT_T0_E_clISt17integral_constantIbLb0EES1F_EEDaS1A_S1B_EUlS1A_E_NS1_11comp_targetILNS1_3genE9ELNS1_11target_archE1100ELNS1_3gpuE3ELNS1_3repE0EEENS1_30default_config_static_selectorELNS0_4arch9wavefront6targetE1EEEvT1_: ; @_ZN7rocprim17ROCPRIM_400000_NS6detail17trampoline_kernelINS0_14default_configENS1_25partition_config_selectorILNS1_17partition_subalgoE2ExNS0_10empty_typeEbEEZZNS1_14partition_implILS5_2ELb0ES3_jN6thrust23THRUST_200600_302600_NS6detail15normal_iteratorINSA_7pointerIxNSA_11hip_rocprim3tagENSA_11use_defaultESG_EEEEPS6_NSA_18transform_iteratorI7is_evenIxENSC_INSA_10device_ptrIxEEEESG_SG_EENS0_5tupleIJPxSJ_EEENSR_IJSJ_SJ_EEES6_PlJS6_EEE10hipError_tPvRmT3_T4_T5_T6_T7_T9_mT8_P12ihipStream_tbDpT10_ENKUlT_T0_E_clISt17integral_constantIbLb0EES1F_EEDaS1A_S1B_EUlS1A_E_NS1_11comp_targetILNS1_3genE9ELNS1_11target_archE1100ELNS1_3gpuE3ELNS1_3repE0EEENS1_30default_config_static_selectorELNS0_4arch9wavefront6targetE1EEEvT1_
; %bb.0:
	.section	.rodata,"a",@progbits
	.p2align	6, 0x0
	.amdhsa_kernel _ZN7rocprim17ROCPRIM_400000_NS6detail17trampoline_kernelINS0_14default_configENS1_25partition_config_selectorILNS1_17partition_subalgoE2ExNS0_10empty_typeEbEEZZNS1_14partition_implILS5_2ELb0ES3_jN6thrust23THRUST_200600_302600_NS6detail15normal_iteratorINSA_7pointerIxNSA_11hip_rocprim3tagENSA_11use_defaultESG_EEEEPS6_NSA_18transform_iteratorI7is_evenIxENSC_INSA_10device_ptrIxEEEESG_SG_EENS0_5tupleIJPxSJ_EEENSR_IJSJ_SJ_EEES6_PlJS6_EEE10hipError_tPvRmT3_T4_T5_T6_T7_T9_mT8_P12ihipStream_tbDpT10_ENKUlT_T0_E_clISt17integral_constantIbLb0EES1F_EEDaS1A_S1B_EUlS1A_E_NS1_11comp_targetILNS1_3genE9ELNS1_11target_archE1100ELNS1_3gpuE3ELNS1_3repE0EEENS1_30default_config_static_selectorELNS0_4arch9wavefront6targetE1EEEvT1_
		.amdhsa_group_segment_fixed_size 0
		.amdhsa_private_segment_fixed_size 0
		.amdhsa_kernarg_size 128
		.amdhsa_user_sgpr_count 6
		.amdhsa_user_sgpr_private_segment_buffer 1
		.amdhsa_user_sgpr_dispatch_ptr 0
		.amdhsa_user_sgpr_queue_ptr 0
		.amdhsa_user_sgpr_kernarg_segment_ptr 1
		.amdhsa_user_sgpr_dispatch_id 0
		.amdhsa_user_sgpr_flat_scratch_init 0
		.amdhsa_user_sgpr_kernarg_preload_length 0
		.amdhsa_user_sgpr_kernarg_preload_offset 0
		.amdhsa_user_sgpr_private_segment_size 0
		.amdhsa_uses_dynamic_stack 0
		.amdhsa_system_sgpr_private_segment_wavefront_offset 0
		.amdhsa_system_sgpr_workgroup_id_x 1
		.amdhsa_system_sgpr_workgroup_id_y 0
		.amdhsa_system_sgpr_workgroup_id_z 0
		.amdhsa_system_sgpr_workgroup_info 0
		.amdhsa_system_vgpr_workitem_id 0
		.amdhsa_next_free_vgpr 1
		.amdhsa_next_free_sgpr 0
		.amdhsa_accum_offset 4
		.amdhsa_reserve_vcc 0
		.amdhsa_reserve_flat_scratch 0
		.amdhsa_float_round_mode_32 0
		.amdhsa_float_round_mode_16_64 0
		.amdhsa_float_denorm_mode_32 3
		.amdhsa_float_denorm_mode_16_64 3
		.amdhsa_dx10_clamp 1
		.amdhsa_ieee_mode 1
		.amdhsa_fp16_overflow 0
		.amdhsa_tg_split 0
		.amdhsa_exception_fp_ieee_invalid_op 0
		.amdhsa_exception_fp_denorm_src 0
		.amdhsa_exception_fp_ieee_div_zero 0
		.amdhsa_exception_fp_ieee_overflow 0
		.amdhsa_exception_fp_ieee_underflow 0
		.amdhsa_exception_fp_ieee_inexact 0
		.amdhsa_exception_int_div_zero 0
	.end_amdhsa_kernel
	.section	.text._ZN7rocprim17ROCPRIM_400000_NS6detail17trampoline_kernelINS0_14default_configENS1_25partition_config_selectorILNS1_17partition_subalgoE2ExNS0_10empty_typeEbEEZZNS1_14partition_implILS5_2ELb0ES3_jN6thrust23THRUST_200600_302600_NS6detail15normal_iteratorINSA_7pointerIxNSA_11hip_rocprim3tagENSA_11use_defaultESG_EEEEPS6_NSA_18transform_iteratorI7is_evenIxENSC_INSA_10device_ptrIxEEEESG_SG_EENS0_5tupleIJPxSJ_EEENSR_IJSJ_SJ_EEES6_PlJS6_EEE10hipError_tPvRmT3_T4_T5_T6_T7_T9_mT8_P12ihipStream_tbDpT10_ENKUlT_T0_E_clISt17integral_constantIbLb0EES1F_EEDaS1A_S1B_EUlS1A_E_NS1_11comp_targetILNS1_3genE9ELNS1_11target_archE1100ELNS1_3gpuE3ELNS1_3repE0EEENS1_30default_config_static_selectorELNS0_4arch9wavefront6targetE1EEEvT1_,"axG",@progbits,_ZN7rocprim17ROCPRIM_400000_NS6detail17trampoline_kernelINS0_14default_configENS1_25partition_config_selectorILNS1_17partition_subalgoE2ExNS0_10empty_typeEbEEZZNS1_14partition_implILS5_2ELb0ES3_jN6thrust23THRUST_200600_302600_NS6detail15normal_iteratorINSA_7pointerIxNSA_11hip_rocprim3tagENSA_11use_defaultESG_EEEEPS6_NSA_18transform_iteratorI7is_evenIxENSC_INSA_10device_ptrIxEEEESG_SG_EENS0_5tupleIJPxSJ_EEENSR_IJSJ_SJ_EEES6_PlJS6_EEE10hipError_tPvRmT3_T4_T5_T6_T7_T9_mT8_P12ihipStream_tbDpT10_ENKUlT_T0_E_clISt17integral_constantIbLb0EES1F_EEDaS1A_S1B_EUlS1A_E_NS1_11comp_targetILNS1_3genE9ELNS1_11target_archE1100ELNS1_3gpuE3ELNS1_3repE0EEENS1_30default_config_static_selectorELNS0_4arch9wavefront6targetE1EEEvT1_,comdat
.Lfunc_end196:
	.size	_ZN7rocprim17ROCPRIM_400000_NS6detail17trampoline_kernelINS0_14default_configENS1_25partition_config_selectorILNS1_17partition_subalgoE2ExNS0_10empty_typeEbEEZZNS1_14partition_implILS5_2ELb0ES3_jN6thrust23THRUST_200600_302600_NS6detail15normal_iteratorINSA_7pointerIxNSA_11hip_rocprim3tagENSA_11use_defaultESG_EEEEPS6_NSA_18transform_iteratorI7is_evenIxENSC_INSA_10device_ptrIxEEEESG_SG_EENS0_5tupleIJPxSJ_EEENSR_IJSJ_SJ_EEES6_PlJS6_EEE10hipError_tPvRmT3_T4_T5_T6_T7_T9_mT8_P12ihipStream_tbDpT10_ENKUlT_T0_E_clISt17integral_constantIbLb0EES1F_EEDaS1A_S1B_EUlS1A_E_NS1_11comp_targetILNS1_3genE9ELNS1_11target_archE1100ELNS1_3gpuE3ELNS1_3repE0EEENS1_30default_config_static_selectorELNS0_4arch9wavefront6targetE1EEEvT1_, .Lfunc_end196-_ZN7rocprim17ROCPRIM_400000_NS6detail17trampoline_kernelINS0_14default_configENS1_25partition_config_selectorILNS1_17partition_subalgoE2ExNS0_10empty_typeEbEEZZNS1_14partition_implILS5_2ELb0ES3_jN6thrust23THRUST_200600_302600_NS6detail15normal_iteratorINSA_7pointerIxNSA_11hip_rocprim3tagENSA_11use_defaultESG_EEEEPS6_NSA_18transform_iteratorI7is_evenIxENSC_INSA_10device_ptrIxEEEESG_SG_EENS0_5tupleIJPxSJ_EEENSR_IJSJ_SJ_EEES6_PlJS6_EEE10hipError_tPvRmT3_T4_T5_T6_T7_T9_mT8_P12ihipStream_tbDpT10_ENKUlT_T0_E_clISt17integral_constantIbLb0EES1F_EEDaS1A_S1B_EUlS1A_E_NS1_11comp_targetILNS1_3genE9ELNS1_11target_archE1100ELNS1_3gpuE3ELNS1_3repE0EEENS1_30default_config_static_selectorELNS0_4arch9wavefront6targetE1EEEvT1_
                                        ; -- End function
	.section	.AMDGPU.csdata,"",@progbits
; Kernel info:
; codeLenInByte = 0
; NumSgprs: 4
; NumVgprs: 0
; NumAgprs: 0
; TotalNumVgprs: 0
; ScratchSize: 0
; MemoryBound: 0
; FloatMode: 240
; IeeeMode: 1
; LDSByteSize: 0 bytes/workgroup (compile time only)
; SGPRBlocks: 0
; VGPRBlocks: 0
; NumSGPRsForWavesPerEU: 4
; NumVGPRsForWavesPerEU: 1
; AccumOffset: 4
; Occupancy: 8
; WaveLimiterHint : 0
; COMPUTE_PGM_RSRC2:SCRATCH_EN: 0
; COMPUTE_PGM_RSRC2:USER_SGPR: 6
; COMPUTE_PGM_RSRC2:TRAP_HANDLER: 0
; COMPUTE_PGM_RSRC2:TGID_X_EN: 1
; COMPUTE_PGM_RSRC2:TGID_Y_EN: 0
; COMPUTE_PGM_RSRC2:TGID_Z_EN: 0
; COMPUTE_PGM_RSRC2:TIDIG_COMP_CNT: 0
; COMPUTE_PGM_RSRC3_GFX90A:ACCUM_OFFSET: 0
; COMPUTE_PGM_RSRC3_GFX90A:TG_SPLIT: 0
	.section	.text._ZN7rocprim17ROCPRIM_400000_NS6detail17trampoline_kernelINS0_14default_configENS1_25partition_config_selectorILNS1_17partition_subalgoE2ExNS0_10empty_typeEbEEZZNS1_14partition_implILS5_2ELb0ES3_jN6thrust23THRUST_200600_302600_NS6detail15normal_iteratorINSA_7pointerIxNSA_11hip_rocprim3tagENSA_11use_defaultESG_EEEEPS6_NSA_18transform_iteratorI7is_evenIxENSC_INSA_10device_ptrIxEEEESG_SG_EENS0_5tupleIJPxSJ_EEENSR_IJSJ_SJ_EEES6_PlJS6_EEE10hipError_tPvRmT3_T4_T5_T6_T7_T9_mT8_P12ihipStream_tbDpT10_ENKUlT_T0_E_clISt17integral_constantIbLb0EES1F_EEDaS1A_S1B_EUlS1A_E_NS1_11comp_targetILNS1_3genE8ELNS1_11target_archE1030ELNS1_3gpuE2ELNS1_3repE0EEENS1_30default_config_static_selectorELNS0_4arch9wavefront6targetE1EEEvT1_,"axG",@progbits,_ZN7rocprim17ROCPRIM_400000_NS6detail17trampoline_kernelINS0_14default_configENS1_25partition_config_selectorILNS1_17partition_subalgoE2ExNS0_10empty_typeEbEEZZNS1_14partition_implILS5_2ELb0ES3_jN6thrust23THRUST_200600_302600_NS6detail15normal_iteratorINSA_7pointerIxNSA_11hip_rocprim3tagENSA_11use_defaultESG_EEEEPS6_NSA_18transform_iteratorI7is_evenIxENSC_INSA_10device_ptrIxEEEESG_SG_EENS0_5tupleIJPxSJ_EEENSR_IJSJ_SJ_EEES6_PlJS6_EEE10hipError_tPvRmT3_T4_T5_T6_T7_T9_mT8_P12ihipStream_tbDpT10_ENKUlT_T0_E_clISt17integral_constantIbLb0EES1F_EEDaS1A_S1B_EUlS1A_E_NS1_11comp_targetILNS1_3genE8ELNS1_11target_archE1030ELNS1_3gpuE2ELNS1_3repE0EEENS1_30default_config_static_selectorELNS0_4arch9wavefront6targetE1EEEvT1_,comdat
	.protected	_ZN7rocprim17ROCPRIM_400000_NS6detail17trampoline_kernelINS0_14default_configENS1_25partition_config_selectorILNS1_17partition_subalgoE2ExNS0_10empty_typeEbEEZZNS1_14partition_implILS5_2ELb0ES3_jN6thrust23THRUST_200600_302600_NS6detail15normal_iteratorINSA_7pointerIxNSA_11hip_rocprim3tagENSA_11use_defaultESG_EEEEPS6_NSA_18transform_iteratorI7is_evenIxENSC_INSA_10device_ptrIxEEEESG_SG_EENS0_5tupleIJPxSJ_EEENSR_IJSJ_SJ_EEES6_PlJS6_EEE10hipError_tPvRmT3_T4_T5_T6_T7_T9_mT8_P12ihipStream_tbDpT10_ENKUlT_T0_E_clISt17integral_constantIbLb0EES1F_EEDaS1A_S1B_EUlS1A_E_NS1_11comp_targetILNS1_3genE8ELNS1_11target_archE1030ELNS1_3gpuE2ELNS1_3repE0EEENS1_30default_config_static_selectorELNS0_4arch9wavefront6targetE1EEEvT1_ ; -- Begin function _ZN7rocprim17ROCPRIM_400000_NS6detail17trampoline_kernelINS0_14default_configENS1_25partition_config_selectorILNS1_17partition_subalgoE2ExNS0_10empty_typeEbEEZZNS1_14partition_implILS5_2ELb0ES3_jN6thrust23THRUST_200600_302600_NS6detail15normal_iteratorINSA_7pointerIxNSA_11hip_rocprim3tagENSA_11use_defaultESG_EEEEPS6_NSA_18transform_iteratorI7is_evenIxENSC_INSA_10device_ptrIxEEEESG_SG_EENS0_5tupleIJPxSJ_EEENSR_IJSJ_SJ_EEES6_PlJS6_EEE10hipError_tPvRmT3_T4_T5_T6_T7_T9_mT8_P12ihipStream_tbDpT10_ENKUlT_T0_E_clISt17integral_constantIbLb0EES1F_EEDaS1A_S1B_EUlS1A_E_NS1_11comp_targetILNS1_3genE8ELNS1_11target_archE1030ELNS1_3gpuE2ELNS1_3repE0EEENS1_30default_config_static_selectorELNS0_4arch9wavefront6targetE1EEEvT1_
	.globl	_ZN7rocprim17ROCPRIM_400000_NS6detail17trampoline_kernelINS0_14default_configENS1_25partition_config_selectorILNS1_17partition_subalgoE2ExNS0_10empty_typeEbEEZZNS1_14partition_implILS5_2ELb0ES3_jN6thrust23THRUST_200600_302600_NS6detail15normal_iteratorINSA_7pointerIxNSA_11hip_rocprim3tagENSA_11use_defaultESG_EEEEPS6_NSA_18transform_iteratorI7is_evenIxENSC_INSA_10device_ptrIxEEEESG_SG_EENS0_5tupleIJPxSJ_EEENSR_IJSJ_SJ_EEES6_PlJS6_EEE10hipError_tPvRmT3_T4_T5_T6_T7_T9_mT8_P12ihipStream_tbDpT10_ENKUlT_T0_E_clISt17integral_constantIbLb0EES1F_EEDaS1A_S1B_EUlS1A_E_NS1_11comp_targetILNS1_3genE8ELNS1_11target_archE1030ELNS1_3gpuE2ELNS1_3repE0EEENS1_30default_config_static_selectorELNS0_4arch9wavefront6targetE1EEEvT1_
	.p2align	8
	.type	_ZN7rocprim17ROCPRIM_400000_NS6detail17trampoline_kernelINS0_14default_configENS1_25partition_config_selectorILNS1_17partition_subalgoE2ExNS0_10empty_typeEbEEZZNS1_14partition_implILS5_2ELb0ES3_jN6thrust23THRUST_200600_302600_NS6detail15normal_iteratorINSA_7pointerIxNSA_11hip_rocprim3tagENSA_11use_defaultESG_EEEEPS6_NSA_18transform_iteratorI7is_evenIxENSC_INSA_10device_ptrIxEEEESG_SG_EENS0_5tupleIJPxSJ_EEENSR_IJSJ_SJ_EEES6_PlJS6_EEE10hipError_tPvRmT3_T4_T5_T6_T7_T9_mT8_P12ihipStream_tbDpT10_ENKUlT_T0_E_clISt17integral_constantIbLb0EES1F_EEDaS1A_S1B_EUlS1A_E_NS1_11comp_targetILNS1_3genE8ELNS1_11target_archE1030ELNS1_3gpuE2ELNS1_3repE0EEENS1_30default_config_static_selectorELNS0_4arch9wavefront6targetE1EEEvT1_,@function
_ZN7rocprim17ROCPRIM_400000_NS6detail17trampoline_kernelINS0_14default_configENS1_25partition_config_selectorILNS1_17partition_subalgoE2ExNS0_10empty_typeEbEEZZNS1_14partition_implILS5_2ELb0ES3_jN6thrust23THRUST_200600_302600_NS6detail15normal_iteratorINSA_7pointerIxNSA_11hip_rocprim3tagENSA_11use_defaultESG_EEEEPS6_NSA_18transform_iteratorI7is_evenIxENSC_INSA_10device_ptrIxEEEESG_SG_EENS0_5tupleIJPxSJ_EEENSR_IJSJ_SJ_EEES6_PlJS6_EEE10hipError_tPvRmT3_T4_T5_T6_T7_T9_mT8_P12ihipStream_tbDpT10_ENKUlT_T0_E_clISt17integral_constantIbLb0EES1F_EEDaS1A_S1B_EUlS1A_E_NS1_11comp_targetILNS1_3genE8ELNS1_11target_archE1030ELNS1_3gpuE2ELNS1_3repE0EEENS1_30default_config_static_selectorELNS0_4arch9wavefront6targetE1EEEvT1_: ; @_ZN7rocprim17ROCPRIM_400000_NS6detail17trampoline_kernelINS0_14default_configENS1_25partition_config_selectorILNS1_17partition_subalgoE2ExNS0_10empty_typeEbEEZZNS1_14partition_implILS5_2ELb0ES3_jN6thrust23THRUST_200600_302600_NS6detail15normal_iteratorINSA_7pointerIxNSA_11hip_rocprim3tagENSA_11use_defaultESG_EEEEPS6_NSA_18transform_iteratorI7is_evenIxENSC_INSA_10device_ptrIxEEEESG_SG_EENS0_5tupleIJPxSJ_EEENSR_IJSJ_SJ_EEES6_PlJS6_EEE10hipError_tPvRmT3_T4_T5_T6_T7_T9_mT8_P12ihipStream_tbDpT10_ENKUlT_T0_E_clISt17integral_constantIbLb0EES1F_EEDaS1A_S1B_EUlS1A_E_NS1_11comp_targetILNS1_3genE8ELNS1_11target_archE1030ELNS1_3gpuE2ELNS1_3repE0EEENS1_30default_config_static_selectorELNS0_4arch9wavefront6targetE1EEEvT1_
; %bb.0:
	.section	.rodata,"a",@progbits
	.p2align	6, 0x0
	.amdhsa_kernel _ZN7rocprim17ROCPRIM_400000_NS6detail17trampoline_kernelINS0_14default_configENS1_25partition_config_selectorILNS1_17partition_subalgoE2ExNS0_10empty_typeEbEEZZNS1_14partition_implILS5_2ELb0ES3_jN6thrust23THRUST_200600_302600_NS6detail15normal_iteratorINSA_7pointerIxNSA_11hip_rocprim3tagENSA_11use_defaultESG_EEEEPS6_NSA_18transform_iteratorI7is_evenIxENSC_INSA_10device_ptrIxEEEESG_SG_EENS0_5tupleIJPxSJ_EEENSR_IJSJ_SJ_EEES6_PlJS6_EEE10hipError_tPvRmT3_T4_T5_T6_T7_T9_mT8_P12ihipStream_tbDpT10_ENKUlT_T0_E_clISt17integral_constantIbLb0EES1F_EEDaS1A_S1B_EUlS1A_E_NS1_11comp_targetILNS1_3genE8ELNS1_11target_archE1030ELNS1_3gpuE2ELNS1_3repE0EEENS1_30default_config_static_selectorELNS0_4arch9wavefront6targetE1EEEvT1_
		.amdhsa_group_segment_fixed_size 0
		.amdhsa_private_segment_fixed_size 0
		.amdhsa_kernarg_size 128
		.amdhsa_user_sgpr_count 6
		.amdhsa_user_sgpr_private_segment_buffer 1
		.amdhsa_user_sgpr_dispatch_ptr 0
		.amdhsa_user_sgpr_queue_ptr 0
		.amdhsa_user_sgpr_kernarg_segment_ptr 1
		.amdhsa_user_sgpr_dispatch_id 0
		.amdhsa_user_sgpr_flat_scratch_init 0
		.amdhsa_user_sgpr_kernarg_preload_length 0
		.amdhsa_user_sgpr_kernarg_preload_offset 0
		.amdhsa_user_sgpr_private_segment_size 0
		.amdhsa_uses_dynamic_stack 0
		.amdhsa_system_sgpr_private_segment_wavefront_offset 0
		.amdhsa_system_sgpr_workgroup_id_x 1
		.amdhsa_system_sgpr_workgroup_id_y 0
		.amdhsa_system_sgpr_workgroup_id_z 0
		.amdhsa_system_sgpr_workgroup_info 0
		.amdhsa_system_vgpr_workitem_id 0
		.amdhsa_next_free_vgpr 1
		.amdhsa_next_free_sgpr 0
		.amdhsa_accum_offset 4
		.amdhsa_reserve_vcc 0
		.amdhsa_reserve_flat_scratch 0
		.amdhsa_float_round_mode_32 0
		.amdhsa_float_round_mode_16_64 0
		.amdhsa_float_denorm_mode_32 3
		.amdhsa_float_denorm_mode_16_64 3
		.amdhsa_dx10_clamp 1
		.amdhsa_ieee_mode 1
		.amdhsa_fp16_overflow 0
		.amdhsa_tg_split 0
		.amdhsa_exception_fp_ieee_invalid_op 0
		.amdhsa_exception_fp_denorm_src 0
		.amdhsa_exception_fp_ieee_div_zero 0
		.amdhsa_exception_fp_ieee_overflow 0
		.amdhsa_exception_fp_ieee_underflow 0
		.amdhsa_exception_fp_ieee_inexact 0
		.amdhsa_exception_int_div_zero 0
	.end_amdhsa_kernel
	.section	.text._ZN7rocprim17ROCPRIM_400000_NS6detail17trampoline_kernelINS0_14default_configENS1_25partition_config_selectorILNS1_17partition_subalgoE2ExNS0_10empty_typeEbEEZZNS1_14partition_implILS5_2ELb0ES3_jN6thrust23THRUST_200600_302600_NS6detail15normal_iteratorINSA_7pointerIxNSA_11hip_rocprim3tagENSA_11use_defaultESG_EEEEPS6_NSA_18transform_iteratorI7is_evenIxENSC_INSA_10device_ptrIxEEEESG_SG_EENS0_5tupleIJPxSJ_EEENSR_IJSJ_SJ_EEES6_PlJS6_EEE10hipError_tPvRmT3_T4_T5_T6_T7_T9_mT8_P12ihipStream_tbDpT10_ENKUlT_T0_E_clISt17integral_constantIbLb0EES1F_EEDaS1A_S1B_EUlS1A_E_NS1_11comp_targetILNS1_3genE8ELNS1_11target_archE1030ELNS1_3gpuE2ELNS1_3repE0EEENS1_30default_config_static_selectorELNS0_4arch9wavefront6targetE1EEEvT1_,"axG",@progbits,_ZN7rocprim17ROCPRIM_400000_NS6detail17trampoline_kernelINS0_14default_configENS1_25partition_config_selectorILNS1_17partition_subalgoE2ExNS0_10empty_typeEbEEZZNS1_14partition_implILS5_2ELb0ES3_jN6thrust23THRUST_200600_302600_NS6detail15normal_iteratorINSA_7pointerIxNSA_11hip_rocprim3tagENSA_11use_defaultESG_EEEEPS6_NSA_18transform_iteratorI7is_evenIxENSC_INSA_10device_ptrIxEEEESG_SG_EENS0_5tupleIJPxSJ_EEENSR_IJSJ_SJ_EEES6_PlJS6_EEE10hipError_tPvRmT3_T4_T5_T6_T7_T9_mT8_P12ihipStream_tbDpT10_ENKUlT_T0_E_clISt17integral_constantIbLb0EES1F_EEDaS1A_S1B_EUlS1A_E_NS1_11comp_targetILNS1_3genE8ELNS1_11target_archE1030ELNS1_3gpuE2ELNS1_3repE0EEENS1_30default_config_static_selectorELNS0_4arch9wavefront6targetE1EEEvT1_,comdat
.Lfunc_end197:
	.size	_ZN7rocprim17ROCPRIM_400000_NS6detail17trampoline_kernelINS0_14default_configENS1_25partition_config_selectorILNS1_17partition_subalgoE2ExNS0_10empty_typeEbEEZZNS1_14partition_implILS5_2ELb0ES3_jN6thrust23THRUST_200600_302600_NS6detail15normal_iteratorINSA_7pointerIxNSA_11hip_rocprim3tagENSA_11use_defaultESG_EEEEPS6_NSA_18transform_iteratorI7is_evenIxENSC_INSA_10device_ptrIxEEEESG_SG_EENS0_5tupleIJPxSJ_EEENSR_IJSJ_SJ_EEES6_PlJS6_EEE10hipError_tPvRmT3_T4_T5_T6_T7_T9_mT8_P12ihipStream_tbDpT10_ENKUlT_T0_E_clISt17integral_constantIbLb0EES1F_EEDaS1A_S1B_EUlS1A_E_NS1_11comp_targetILNS1_3genE8ELNS1_11target_archE1030ELNS1_3gpuE2ELNS1_3repE0EEENS1_30default_config_static_selectorELNS0_4arch9wavefront6targetE1EEEvT1_, .Lfunc_end197-_ZN7rocprim17ROCPRIM_400000_NS6detail17trampoline_kernelINS0_14default_configENS1_25partition_config_selectorILNS1_17partition_subalgoE2ExNS0_10empty_typeEbEEZZNS1_14partition_implILS5_2ELb0ES3_jN6thrust23THRUST_200600_302600_NS6detail15normal_iteratorINSA_7pointerIxNSA_11hip_rocprim3tagENSA_11use_defaultESG_EEEEPS6_NSA_18transform_iteratorI7is_evenIxENSC_INSA_10device_ptrIxEEEESG_SG_EENS0_5tupleIJPxSJ_EEENSR_IJSJ_SJ_EEES6_PlJS6_EEE10hipError_tPvRmT3_T4_T5_T6_T7_T9_mT8_P12ihipStream_tbDpT10_ENKUlT_T0_E_clISt17integral_constantIbLb0EES1F_EEDaS1A_S1B_EUlS1A_E_NS1_11comp_targetILNS1_3genE8ELNS1_11target_archE1030ELNS1_3gpuE2ELNS1_3repE0EEENS1_30default_config_static_selectorELNS0_4arch9wavefront6targetE1EEEvT1_
                                        ; -- End function
	.section	.AMDGPU.csdata,"",@progbits
; Kernel info:
; codeLenInByte = 0
; NumSgprs: 4
; NumVgprs: 0
; NumAgprs: 0
; TotalNumVgprs: 0
; ScratchSize: 0
; MemoryBound: 0
; FloatMode: 240
; IeeeMode: 1
; LDSByteSize: 0 bytes/workgroup (compile time only)
; SGPRBlocks: 0
; VGPRBlocks: 0
; NumSGPRsForWavesPerEU: 4
; NumVGPRsForWavesPerEU: 1
; AccumOffset: 4
; Occupancy: 8
; WaveLimiterHint : 0
; COMPUTE_PGM_RSRC2:SCRATCH_EN: 0
; COMPUTE_PGM_RSRC2:USER_SGPR: 6
; COMPUTE_PGM_RSRC2:TRAP_HANDLER: 0
; COMPUTE_PGM_RSRC2:TGID_X_EN: 1
; COMPUTE_PGM_RSRC2:TGID_Y_EN: 0
; COMPUTE_PGM_RSRC2:TGID_Z_EN: 0
; COMPUTE_PGM_RSRC2:TIDIG_COMP_CNT: 0
; COMPUTE_PGM_RSRC3_GFX90A:ACCUM_OFFSET: 0
; COMPUTE_PGM_RSRC3_GFX90A:TG_SPLIT: 0
	.section	.text._ZN7rocprim17ROCPRIM_400000_NS6detail17trampoline_kernelINS0_14default_configENS1_25partition_config_selectorILNS1_17partition_subalgoE2ExNS0_10empty_typeEbEEZZNS1_14partition_implILS5_2ELb0ES3_jN6thrust23THRUST_200600_302600_NS6detail15normal_iteratorINSA_7pointerIxNSA_11hip_rocprim3tagENSA_11use_defaultESG_EEEEPS6_NSA_18transform_iteratorI7is_evenIxENSC_INSA_10device_ptrIxEEEESG_SG_EENS0_5tupleIJPxSJ_EEENSR_IJSJ_SJ_EEES6_PlJS6_EEE10hipError_tPvRmT3_T4_T5_T6_T7_T9_mT8_P12ihipStream_tbDpT10_ENKUlT_T0_E_clISt17integral_constantIbLb1EES1F_EEDaS1A_S1B_EUlS1A_E_NS1_11comp_targetILNS1_3genE0ELNS1_11target_archE4294967295ELNS1_3gpuE0ELNS1_3repE0EEENS1_30default_config_static_selectorELNS0_4arch9wavefront6targetE1EEEvT1_,"axG",@progbits,_ZN7rocprim17ROCPRIM_400000_NS6detail17trampoline_kernelINS0_14default_configENS1_25partition_config_selectorILNS1_17partition_subalgoE2ExNS0_10empty_typeEbEEZZNS1_14partition_implILS5_2ELb0ES3_jN6thrust23THRUST_200600_302600_NS6detail15normal_iteratorINSA_7pointerIxNSA_11hip_rocprim3tagENSA_11use_defaultESG_EEEEPS6_NSA_18transform_iteratorI7is_evenIxENSC_INSA_10device_ptrIxEEEESG_SG_EENS0_5tupleIJPxSJ_EEENSR_IJSJ_SJ_EEES6_PlJS6_EEE10hipError_tPvRmT3_T4_T5_T6_T7_T9_mT8_P12ihipStream_tbDpT10_ENKUlT_T0_E_clISt17integral_constantIbLb1EES1F_EEDaS1A_S1B_EUlS1A_E_NS1_11comp_targetILNS1_3genE0ELNS1_11target_archE4294967295ELNS1_3gpuE0ELNS1_3repE0EEENS1_30default_config_static_selectorELNS0_4arch9wavefront6targetE1EEEvT1_,comdat
	.protected	_ZN7rocprim17ROCPRIM_400000_NS6detail17trampoline_kernelINS0_14default_configENS1_25partition_config_selectorILNS1_17partition_subalgoE2ExNS0_10empty_typeEbEEZZNS1_14partition_implILS5_2ELb0ES3_jN6thrust23THRUST_200600_302600_NS6detail15normal_iteratorINSA_7pointerIxNSA_11hip_rocprim3tagENSA_11use_defaultESG_EEEEPS6_NSA_18transform_iteratorI7is_evenIxENSC_INSA_10device_ptrIxEEEESG_SG_EENS0_5tupleIJPxSJ_EEENSR_IJSJ_SJ_EEES6_PlJS6_EEE10hipError_tPvRmT3_T4_T5_T6_T7_T9_mT8_P12ihipStream_tbDpT10_ENKUlT_T0_E_clISt17integral_constantIbLb1EES1F_EEDaS1A_S1B_EUlS1A_E_NS1_11comp_targetILNS1_3genE0ELNS1_11target_archE4294967295ELNS1_3gpuE0ELNS1_3repE0EEENS1_30default_config_static_selectorELNS0_4arch9wavefront6targetE1EEEvT1_ ; -- Begin function _ZN7rocprim17ROCPRIM_400000_NS6detail17trampoline_kernelINS0_14default_configENS1_25partition_config_selectorILNS1_17partition_subalgoE2ExNS0_10empty_typeEbEEZZNS1_14partition_implILS5_2ELb0ES3_jN6thrust23THRUST_200600_302600_NS6detail15normal_iteratorINSA_7pointerIxNSA_11hip_rocprim3tagENSA_11use_defaultESG_EEEEPS6_NSA_18transform_iteratorI7is_evenIxENSC_INSA_10device_ptrIxEEEESG_SG_EENS0_5tupleIJPxSJ_EEENSR_IJSJ_SJ_EEES6_PlJS6_EEE10hipError_tPvRmT3_T4_T5_T6_T7_T9_mT8_P12ihipStream_tbDpT10_ENKUlT_T0_E_clISt17integral_constantIbLb1EES1F_EEDaS1A_S1B_EUlS1A_E_NS1_11comp_targetILNS1_3genE0ELNS1_11target_archE4294967295ELNS1_3gpuE0ELNS1_3repE0EEENS1_30default_config_static_selectorELNS0_4arch9wavefront6targetE1EEEvT1_
	.globl	_ZN7rocprim17ROCPRIM_400000_NS6detail17trampoline_kernelINS0_14default_configENS1_25partition_config_selectorILNS1_17partition_subalgoE2ExNS0_10empty_typeEbEEZZNS1_14partition_implILS5_2ELb0ES3_jN6thrust23THRUST_200600_302600_NS6detail15normal_iteratorINSA_7pointerIxNSA_11hip_rocprim3tagENSA_11use_defaultESG_EEEEPS6_NSA_18transform_iteratorI7is_evenIxENSC_INSA_10device_ptrIxEEEESG_SG_EENS0_5tupleIJPxSJ_EEENSR_IJSJ_SJ_EEES6_PlJS6_EEE10hipError_tPvRmT3_T4_T5_T6_T7_T9_mT8_P12ihipStream_tbDpT10_ENKUlT_T0_E_clISt17integral_constantIbLb1EES1F_EEDaS1A_S1B_EUlS1A_E_NS1_11comp_targetILNS1_3genE0ELNS1_11target_archE4294967295ELNS1_3gpuE0ELNS1_3repE0EEENS1_30default_config_static_selectorELNS0_4arch9wavefront6targetE1EEEvT1_
	.p2align	8
	.type	_ZN7rocprim17ROCPRIM_400000_NS6detail17trampoline_kernelINS0_14default_configENS1_25partition_config_selectorILNS1_17partition_subalgoE2ExNS0_10empty_typeEbEEZZNS1_14partition_implILS5_2ELb0ES3_jN6thrust23THRUST_200600_302600_NS6detail15normal_iteratorINSA_7pointerIxNSA_11hip_rocprim3tagENSA_11use_defaultESG_EEEEPS6_NSA_18transform_iteratorI7is_evenIxENSC_INSA_10device_ptrIxEEEESG_SG_EENS0_5tupleIJPxSJ_EEENSR_IJSJ_SJ_EEES6_PlJS6_EEE10hipError_tPvRmT3_T4_T5_T6_T7_T9_mT8_P12ihipStream_tbDpT10_ENKUlT_T0_E_clISt17integral_constantIbLb1EES1F_EEDaS1A_S1B_EUlS1A_E_NS1_11comp_targetILNS1_3genE0ELNS1_11target_archE4294967295ELNS1_3gpuE0ELNS1_3repE0EEENS1_30default_config_static_selectorELNS0_4arch9wavefront6targetE1EEEvT1_,@function
_ZN7rocprim17ROCPRIM_400000_NS6detail17trampoline_kernelINS0_14default_configENS1_25partition_config_selectorILNS1_17partition_subalgoE2ExNS0_10empty_typeEbEEZZNS1_14partition_implILS5_2ELb0ES3_jN6thrust23THRUST_200600_302600_NS6detail15normal_iteratorINSA_7pointerIxNSA_11hip_rocprim3tagENSA_11use_defaultESG_EEEEPS6_NSA_18transform_iteratorI7is_evenIxENSC_INSA_10device_ptrIxEEEESG_SG_EENS0_5tupleIJPxSJ_EEENSR_IJSJ_SJ_EEES6_PlJS6_EEE10hipError_tPvRmT3_T4_T5_T6_T7_T9_mT8_P12ihipStream_tbDpT10_ENKUlT_T0_E_clISt17integral_constantIbLb1EES1F_EEDaS1A_S1B_EUlS1A_E_NS1_11comp_targetILNS1_3genE0ELNS1_11target_archE4294967295ELNS1_3gpuE0ELNS1_3repE0EEENS1_30default_config_static_selectorELNS0_4arch9wavefront6targetE1EEEvT1_: ; @_ZN7rocprim17ROCPRIM_400000_NS6detail17trampoline_kernelINS0_14default_configENS1_25partition_config_selectorILNS1_17partition_subalgoE2ExNS0_10empty_typeEbEEZZNS1_14partition_implILS5_2ELb0ES3_jN6thrust23THRUST_200600_302600_NS6detail15normal_iteratorINSA_7pointerIxNSA_11hip_rocprim3tagENSA_11use_defaultESG_EEEEPS6_NSA_18transform_iteratorI7is_evenIxENSC_INSA_10device_ptrIxEEEESG_SG_EENS0_5tupleIJPxSJ_EEENSR_IJSJ_SJ_EEES6_PlJS6_EEE10hipError_tPvRmT3_T4_T5_T6_T7_T9_mT8_P12ihipStream_tbDpT10_ENKUlT_T0_E_clISt17integral_constantIbLb1EES1F_EEDaS1A_S1B_EUlS1A_E_NS1_11comp_targetILNS1_3genE0ELNS1_11target_archE4294967295ELNS1_3gpuE0ELNS1_3repE0EEENS1_30default_config_static_selectorELNS0_4arch9wavefront6targetE1EEEvT1_
; %bb.0:
	.section	.rodata,"a",@progbits
	.p2align	6, 0x0
	.amdhsa_kernel _ZN7rocprim17ROCPRIM_400000_NS6detail17trampoline_kernelINS0_14default_configENS1_25partition_config_selectorILNS1_17partition_subalgoE2ExNS0_10empty_typeEbEEZZNS1_14partition_implILS5_2ELb0ES3_jN6thrust23THRUST_200600_302600_NS6detail15normal_iteratorINSA_7pointerIxNSA_11hip_rocprim3tagENSA_11use_defaultESG_EEEEPS6_NSA_18transform_iteratorI7is_evenIxENSC_INSA_10device_ptrIxEEEESG_SG_EENS0_5tupleIJPxSJ_EEENSR_IJSJ_SJ_EEES6_PlJS6_EEE10hipError_tPvRmT3_T4_T5_T6_T7_T9_mT8_P12ihipStream_tbDpT10_ENKUlT_T0_E_clISt17integral_constantIbLb1EES1F_EEDaS1A_S1B_EUlS1A_E_NS1_11comp_targetILNS1_3genE0ELNS1_11target_archE4294967295ELNS1_3gpuE0ELNS1_3repE0EEENS1_30default_config_static_selectorELNS0_4arch9wavefront6targetE1EEEvT1_
		.amdhsa_group_segment_fixed_size 0
		.amdhsa_private_segment_fixed_size 0
		.amdhsa_kernarg_size 144
		.amdhsa_user_sgpr_count 6
		.amdhsa_user_sgpr_private_segment_buffer 1
		.amdhsa_user_sgpr_dispatch_ptr 0
		.amdhsa_user_sgpr_queue_ptr 0
		.amdhsa_user_sgpr_kernarg_segment_ptr 1
		.amdhsa_user_sgpr_dispatch_id 0
		.amdhsa_user_sgpr_flat_scratch_init 0
		.amdhsa_user_sgpr_kernarg_preload_length 0
		.amdhsa_user_sgpr_kernarg_preload_offset 0
		.amdhsa_user_sgpr_private_segment_size 0
		.amdhsa_uses_dynamic_stack 0
		.amdhsa_system_sgpr_private_segment_wavefront_offset 0
		.amdhsa_system_sgpr_workgroup_id_x 1
		.amdhsa_system_sgpr_workgroup_id_y 0
		.amdhsa_system_sgpr_workgroup_id_z 0
		.amdhsa_system_sgpr_workgroup_info 0
		.amdhsa_system_vgpr_workitem_id 0
		.amdhsa_next_free_vgpr 1
		.amdhsa_next_free_sgpr 0
		.amdhsa_accum_offset 4
		.amdhsa_reserve_vcc 0
		.amdhsa_reserve_flat_scratch 0
		.amdhsa_float_round_mode_32 0
		.amdhsa_float_round_mode_16_64 0
		.amdhsa_float_denorm_mode_32 3
		.amdhsa_float_denorm_mode_16_64 3
		.amdhsa_dx10_clamp 1
		.amdhsa_ieee_mode 1
		.amdhsa_fp16_overflow 0
		.amdhsa_tg_split 0
		.amdhsa_exception_fp_ieee_invalid_op 0
		.amdhsa_exception_fp_denorm_src 0
		.amdhsa_exception_fp_ieee_div_zero 0
		.amdhsa_exception_fp_ieee_overflow 0
		.amdhsa_exception_fp_ieee_underflow 0
		.amdhsa_exception_fp_ieee_inexact 0
		.amdhsa_exception_int_div_zero 0
	.end_amdhsa_kernel
	.section	.text._ZN7rocprim17ROCPRIM_400000_NS6detail17trampoline_kernelINS0_14default_configENS1_25partition_config_selectorILNS1_17partition_subalgoE2ExNS0_10empty_typeEbEEZZNS1_14partition_implILS5_2ELb0ES3_jN6thrust23THRUST_200600_302600_NS6detail15normal_iteratorINSA_7pointerIxNSA_11hip_rocprim3tagENSA_11use_defaultESG_EEEEPS6_NSA_18transform_iteratorI7is_evenIxENSC_INSA_10device_ptrIxEEEESG_SG_EENS0_5tupleIJPxSJ_EEENSR_IJSJ_SJ_EEES6_PlJS6_EEE10hipError_tPvRmT3_T4_T5_T6_T7_T9_mT8_P12ihipStream_tbDpT10_ENKUlT_T0_E_clISt17integral_constantIbLb1EES1F_EEDaS1A_S1B_EUlS1A_E_NS1_11comp_targetILNS1_3genE0ELNS1_11target_archE4294967295ELNS1_3gpuE0ELNS1_3repE0EEENS1_30default_config_static_selectorELNS0_4arch9wavefront6targetE1EEEvT1_,"axG",@progbits,_ZN7rocprim17ROCPRIM_400000_NS6detail17trampoline_kernelINS0_14default_configENS1_25partition_config_selectorILNS1_17partition_subalgoE2ExNS0_10empty_typeEbEEZZNS1_14partition_implILS5_2ELb0ES3_jN6thrust23THRUST_200600_302600_NS6detail15normal_iteratorINSA_7pointerIxNSA_11hip_rocprim3tagENSA_11use_defaultESG_EEEEPS6_NSA_18transform_iteratorI7is_evenIxENSC_INSA_10device_ptrIxEEEESG_SG_EENS0_5tupleIJPxSJ_EEENSR_IJSJ_SJ_EEES6_PlJS6_EEE10hipError_tPvRmT3_T4_T5_T6_T7_T9_mT8_P12ihipStream_tbDpT10_ENKUlT_T0_E_clISt17integral_constantIbLb1EES1F_EEDaS1A_S1B_EUlS1A_E_NS1_11comp_targetILNS1_3genE0ELNS1_11target_archE4294967295ELNS1_3gpuE0ELNS1_3repE0EEENS1_30default_config_static_selectorELNS0_4arch9wavefront6targetE1EEEvT1_,comdat
.Lfunc_end198:
	.size	_ZN7rocprim17ROCPRIM_400000_NS6detail17trampoline_kernelINS0_14default_configENS1_25partition_config_selectorILNS1_17partition_subalgoE2ExNS0_10empty_typeEbEEZZNS1_14partition_implILS5_2ELb0ES3_jN6thrust23THRUST_200600_302600_NS6detail15normal_iteratorINSA_7pointerIxNSA_11hip_rocprim3tagENSA_11use_defaultESG_EEEEPS6_NSA_18transform_iteratorI7is_evenIxENSC_INSA_10device_ptrIxEEEESG_SG_EENS0_5tupleIJPxSJ_EEENSR_IJSJ_SJ_EEES6_PlJS6_EEE10hipError_tPvRmT3_T4_T5_T6_T7_T9_mT8_P12ihipStream_tbDpT10_ENKUlT_T0_E_clISt17integral_constantIbLb1EES1F_EEDaS1A_S1B_EUlS1A_E_NS1_11comp_targetILNS1_3genE0ELNS1_11target_archE4294967295ELNS1_3gpuE0ELNS1_3repE0EEENS1_30default_config_static_selectorELNS0_4arch9wavefront6targetE1EEEvT1_, .Lfunc_end198-_ZN7rocprim17ROCPRIM_400000_NS6detail17trampoline_kernelINS0_14default_configENS1_25partition_config_selectorILNS1_17partition_subalgoE2ExNS0_10empty_typeEbEEZZNS1_14partition_implILS5_2ELb0ES3_jN6thrust23THRUST_200600_302600_NS6detail15normal_iteratorINSA_7pointerIxNSA_11hip_rocprim3tagENSA_11use_defaultESG_EEEEPS6_NSA_18transform_iteratorI7is_evenIxENSC_INSA_10device_ptrIxEEEESG_SG_EENS0_5tupleIJPxSJ_EEENSR_IJSJ_SJ_EEES6_PlJS6_EEE10hipError_tPvRmT3_T4_T5_T6_T7_T9_mT8_P12ihipStream_tbDpT10_ENKUlT_T0_E_clISt17integral_constantIbLb1EES1F_EEDaS1A_S1B_EUlS1A_E_NS1_11comp_targetILNS1_3genE0ELNS1_11target_archE4294967295ELNS1_3gpuE0ELNS1_3repE0EEENS1_30default_config_static_selectorELNS0_4arch9wavefront6targetE1EEEvT1_
                                        ; -- End function
	.section	.AMDGPU.csdata,"",@progbits
; Kernel info:
; codeLenInByte = 0
; NumSgprs: 4
; NumVgprs: 0
; NumAgprs: 0
; TotalNumVgprs: 0
; ScratchSize: 0
; MemoryBound: 0
; FloatMode: 240
; IeeeMode: 1
; LDSByteSize: 0 bytes/workgroup (compile time only)
; SGPRBlocks: 0
; VGPRBlocks: 0
; NumSGPRsForWavesPerEU: 4
; NumVGPRsForWavesPerEU: 1
; AccumOffset: 4
; Occupancy: 8
; WaveLimiterHint : 0
; COMPUTE_PGM_RSRC2:SCRATCH_EN: 0
; COMPUTE_PGM_RSRC2:USER_SGPR: 6
; COMPUTE_PGM_RSRC2:TRAP_HANDLER: 0
; COMPUTE_PGM_RSRC2:TGID_X_EN: 1
; COMPUTE_PGM_RSRC2:TGID_Y_EN: 0
; COMPUTE_PGM_RSRC2:TGID_Z_EN: 0
; COMPUTE_PGM_RSRC2:TIDIG_COMP_CNT: 0
; COMPUTE_PGM_RSRC3_GFX90A:ACCUM_OFFSET: 0
; COMPUTE_PGM_RSRC3_GFX90A:TG_SPLIT: 0
	.section	.text._ZN7rocprim17ROCPRIM_400000_NS6detail17trampoline_kernelINS0_14default_configENS1_25partition_config_selectorILNS1_17partition_subalgoE2ExNS0_10empty_typeEbEEZZNS1_14partition_implILS5_2ELb0ES3_jN6thrust23THRUST_200600_302600_NS6detail15normal_iteratorINSA_7pointerIxNSA_11hip_rocprim3tagENSA_11use_defaultESG_EEEEPS6_NSA_18transform_iteratorI7is_evenIxENSC_INSA_10device_ptrIxEEEESG_SG_EENS0_5tupleIJPxSJ_EEENSR_IJSJ_SJ_EEES6_PlJS6_EEE10hipError_tPvRmT3_T4_T5_T6_T7_T9_mT8_P12ihipStream_tbDpT10_ENKUlT_T0_E_clISt17integral_constantIbLb1EES1F_EEDaS1A_S1B_EUlS1A_E_NS1_11comp_targetILNS1_3genE5ELNS1_11target_archE942ELNS1_3gpuE9ELNS1_3repE0EEENS1_30default_config_static_selectorELNS0_4arch9wavefront6targetE1EEEvT1_,"axG",@progbits,_ZN7rocprim17ROCPRIM_400000_NS6detail17trampoline_kernelINS0_14default_configENS1_25partition_config_selectorILNS1_17partition_subalgoE2ExNS0_10empty_typeEbEEZZNS1_14partition_implILS5_2ELb0ES3_jN6thrust23THRUST_200600_302600_NS6detail15normal_iteratorINSA_7pointerIxNSA_11hip_rocprim3tagENSA_11use_defaultESG_EEEEPS6_NSA_18transform_iteratorI7is_evenIxENSC_INSA_10device_ptrIxEEEESG_SG_EENS0_5tupleIJPxSJ_EEENSR_IJSJ_SJ_EEES6_PlJS6_EEE10hipError_tPvRmT3_T4_T5_T6_T7_T9_mT8_P12ihipStream_tbDpT10_ENKUlT_T0_E_clISt17integral_constantIbLb1EES1F_EEDaS1A_S1B_EUlS1A_E_NS1_11comp_targetILNS1_3genE5ELNS1_11target_archE942ELNS1_3gpuE9ELNS1_3repE0EEENS1_30default_config_static_selectorELNS0_4arch9wavefront6targetE1EEEvT1_,comdat
	.protected	_ZN7rocprim17ROCPRIM_400000_NS6detail17trampoline_kernelINS0_14default_configENS1_25partition_config_selectorILNS1_17partition_subalgoE2ExNS0_10empty_typeEbEEZZNS1_14partition_implILS5_2ELb0ES3_jN6thrust23THRUST_200600_302600_NS6detail15normal_iteratorINSA_7pointerIxNSA_11hip_rocprim3tagENSA_11use_defaultESG_EEEEPS6_NSA_18transform_iteratorI7is_evenIxENSC_INSA_10device_ptrIxEEEESG_SG_EENS0_5tupleIJPxSJ_EEENSR_IJSJ_SJ_EEES6_PlJS6_EEE10hipError_tPvRmT3_T4_T5_T6_T7_T9_mT8_P12ihipStream_tbDpT10_ENKUlT_T0_E_clISt17integral_constantIbLb1EES1F_EEDaS1A_S1B_EUlS1A_E_NS1_11comp_targetILNS1_3genE5ELNS1_11target_archE942ELNS1_3gpuE9ELNS1_3repE0EEENS1_30default_config_static_selectorELNS0_4arch9wavefront6targetE1EEEvT1_ ; -- Begin function _ZN7rocprim17ROCPRIM_400000_NS6detail17trampoline_kernelINS0_14default_configENS1_25partition_config_selectorILNS1_17partition_subalgoE2ExNS0_10empty_typeEbEEZZNS1_14partition_implILS5_2ELb0ES3_jN6thrust23THRUST_200600_302600_NS6detail15normal_iteratorINSA_7pointerIxNSA_11hip_rocprim3tagENSA_11use_defaultESG_EEEEPS6_NSA_18transform_iteratorI7is_evenIxENSC_INSA_10device_ptrIxEEEESG_SG_EENS0_5tupleIJPxSJ_EEENSR_IJSJ_SJ_EEES6_PlJS6_EEE10hipError_tPvRmT3_T4_T5_T6_T7_T9_mT8_P12ihipStream_tbDpT10_ENKUlT_T0_E_clISt17integral_constantIbLb1EES1F_EEDaS1A_S1B_EUlS1A_E_NS1_11comp_targetILNS1_3genE5ELNS1_11target_archE942ELNS1_3gpuE9ELNS1_3repE0EEENS1_30default_config_static_selectorELNS0_4arch9wavefront6targetE1EEEvT1_
	.globl	_ZN7rocprim17ROCPRIM_400000_NS6detail17trampoline_kernelINS0_14default_configENS1_25partition_config_selectorILNS1_17partition_subalgoE2ExNS0_10empty_typeEbEEZZNS1_14partition_implILS5_2ELb0ES3_jN6thrust23THRUST_200600_302600_NS6detail15normal_iteratorINSA_7pointerIxNSA_11hip_rocprim3tagENSA_11use_defaultESG_EEEEPS6_NSA_18transform_iteratorI7is_evenIxENSC_INSA_10device_ptrIxEEEESG_SG_EENS0_5tupleIJPxSJ_EEENSR_IJSJ_SJ_EEES6_PlJS6_EEE10hipError_tPvRmT3_T4_T5_T6_T7_T9_mT8_P12ihipStream_tbDpT10_ENKUlT_T0_E_clISt17integral_constantIbLb1EES1F_EEDaS1A_S1B_EUlS1A_E_NS1_11comp_targetILNS1_3genE5ELNS1_11target_archE942ELNS1_3gpuE9ELNS1_3repE0EEENS1_30default_config_static_selectorELNS0_4arch9wavefront6targetE1EEEvT1_
	.p2align	8
	.type	_ZN7rocprim17ROCPRIM_400000_NS6detail17trampoline_kernelINS0_14default_configENS1_25partition_config_selectorILNS1_17partition_subalgoE2ExNS0_10empty_typeEbEEZZNS1_14partition_implILS5_2ELb0ES3_jN6thrust23THRUST_200600_302600_NS6detail15normal_iteratorINSA_7pointerIxNSA_11hip_rocprim3tagENSA_11use_defaultESG_EEEEPS6_NSA_18transform_iteratorI7is_evenIxENSC_INSA_10device_ptrIxEEEESG_SG_EENS0_5tupleIJPxSJ_EEENSR_IJSJ_SJ_EEES6_PlJS6_EEE10hipError_tPvRmT3_T4_T5_T6_T7_T9_mT8_P12ihipStream_tbDpT10_ENKUlT_T0_E_clISt17integral_constantIbLb1EES1F_EEDaS1A_S1B_EUlS1A_E_NS1_11comp_targetILNS1_3genE5ELNS1_11target_archE942ELNS1_3gpuE9ELNS1_3repE0EEENS1_30default_config_static_selectorELNS0_4arch9wavefront6targetE1EEEvT1_,@function
_ZN7rocprim17ROCPRIM_400000_NS6detail17trampoline_kernelINS0_14default_configENS1_25partition_config_selectorILNS1_17partition_subalgoE2ExNS0_10empty_typeEbEEZZNS1_14partition_implILS5_2ELb0ES3_jN6thrust23THRUST_200600_302600_NS6detail15normal_iteratorINSA_7pointerIxNSA_11hip_rocprim3tagENSA_11use_defaultESG_EEEEPS6_NSA_18transform_iteratorI7is_evenIxENSC_INSA_10device_ptrIxEEEESG_SG_EENS0_5tupleIJPxSJ_EEENSR_IJSJ_SJ_EEES6_PlJS6_EEE10hipError_tPvRmT3_T4_T5_T6_T7_T9_mT8_P12ihipStream_tbDpT10_ENKUlT_T0_E_clISt17integral_constantIbLb1EES1F_EEDaS1A_S1B_EUlS1A_E_NS1_11comp_targetILNS1_3genE5ELNS1_11target_archE942ELNS1_3gpuE9ELNS1_3repE0EEENS1_30default_config_static_selectorELNS0_4arch9wavefront6targetE1EEEvT1_: ; @_ZN7rocprim17ROCPRIM_400000_NS6detail17trampoline_kernelINS0_14default_configENS1_25partition_config_selectorILNS1_17partition_subalgoE2ExNS0_10empty_typeEbEEZZNS1_14partition_implILS5_2ELb0ES3_jN6thrust23THRUST_200600_302600_NS6detail15normal_iteratorINSA_7pointerIxNSA_11hip_rocprim3tagENSA_11use_defaultESG_EEEEPS6_NSA_18transform_iteratorI7is_evenIxENSC_INSA_10device_ptrIxEEEESG_SG_EENS0_5tupleIJPxSJ_EEENSR_IJSJ_SJ_EEES6_PlJS6_EEE10hipError_tPvRmT3_T4_T5_T6_T7_T9_mT8_P12ihipStream_tbDpT10_ENKUlT_T0_E_clISt17integral_constantIbLb1EES1F_EEDaS1A_S1B_EUlS1A_E_NS1_11comp_targetILNS1_3genE5ELNS1_11target_archE942ELNS1_3gpuE9ELNS1_3repE0EEENS1_30default_config_static_selectorELNS0_4arch9wavefront6targetE1EEEvT1_
; %bb.0:
	.section	.rodata,"a",@progbits
	.p2align	6, 0x0
	.amdhsa_kernel _ZN7rocprim17ROCPRIM_400000_NS6detail17trampoline_kernelINS0_14default_configENS1_25partition_config_selectorILNS1_17partition_subalgoE2ExNS0_10empty_typeEbEEZZNS1_14partition_implILS5_2ELb0ES3_jN6thrust23THRUST_200600_302600_NS6detail15normal_iteratorINSA_7pointerIxNSA_11hip_rocprim3tagENSA_11use_defaultESG_EEEEPS6_NSA_18transform_iteratorI7is_evenIxENSC_INSA_10device_ptrIxEEEESG_SG_EENS0_5tupleIJPxSJ_EEENSR_IJSJ_SJ_EEES6_PlJS6_EEE10hipError_tPvRmT3_T4_T5_T6_T7_T9_mT8_P12ihipStream_tbDpT10_ENKUlT_T0_E_clISt17integral_constantIbLb1EES1F_EEDaS1A_S1B_EUlS1A_E_NS1_11comp_targetILNS1_3genE5ELNS1_11target_archE942ELNS1_3gpuE9ELNS1_3repE0EEENS1_30default_config_static_selectorELNS0_4arch9wavefront6targetE1EEEvT1_
		.amdhsa_group_segment_fixed_size 0
		.amdhsa_private_segment_fixed_size 0
		.amdhsa_kernarg_size 144
		.amdhsa_user_sgpr_count 6
		.amdhsa_user_sgpr_private_segment_buffer 1
		.amdhsa_user_sgpr_dispatch_ptr 0
		.amdhsa_user_sgpr_queue_ptr 0
		.amdhsa_user_sgpr_kernarg_segment_ptr 1
		.amdhsa_user_sgpr_dispatch_id 0
		.amdhsa_user_sgpr_flat_scratch_init 0
		.amdhsa_user_sgpr_kernarg_preload_length 0
		.amdhsa_user_sgpr_kernarg_preload_offset 0
		.amdhsa_user_sgpr_private_segment_size 0
		.amdhsa_uses_dynamic_stack 0
		.amdhsa_system_sgpr_private_segment_wavefront_offset 0
		.amdhsa_system_sgpr_workgroup_id_x 1
		.amdhsa_system_sgpr_workgroup_id_y 0
		.amdhsa_system_sgpr_workgroup_id_z 0
		.amdhsa_system_sgpr_workgroup_info 0
		.amdhsa_system_vgpr_workitem_id 0
		.amdhsa_next_free_vgpr 1
		.amdhsa_next_free_sgpr 0
		.amdhsa_accum_offset 4
		.amdhsa_reserve_vcc 0
		.amdhsa_reserve_flat_scratch 0
		.amdhsa_float_round_mode_32 0
		.amdhsa_float_round_mode_16_64 0
		.amdhsa_float_denorm_mode_32 3
		.amdhsa_float_denorm_mode_16_64 3
		.amdhsa_dx10_clamp 1
		.amdhsa_ieee_mode 1
		.amdhsa_fp16_overflow 0
		.amdhsa_tg_split 0
		.amdhsa_exception_fp_ieee_invalid_op 0
		.amdhsa_exception_fp_denorm_src 0
		.amdhsa_exception_fp_ieee_div_zero 0
		.amdhsa_exception_fp_ieee_overflow 0
		.amdhsa_exception_fp_ieee_underflow 0
		.amdhsa_exception_fp_ieee_inexact 0
		.amdhsa_exception_int_div_zero 0
	.end_amdhsa_kernel
	.section	.text._ZN7rocprim17ROCPRIM_400000_NS6detail17trampoline_kernelINS0_14default_configENS1_25partition_config_selectorILNS1_17partition_subalgoE2ExNS0_10empty_typeEbEEZZNS1_14partition_implILS5_2ELb0ES3_jN6thrust23THRUST_200600_302600_NS6detail15normal_iteratorINSA_7pointerIxNSA_11hip_rocprim3tagENSA_11use_defaultESG_EEEEPS6_NSA_18transform_iteratorI7is_evenIxENSC_INSA_10device_ptrIxEEEESG_SG_EENS0_5tupleIJPxSJ_EEENSR_IJSJ_SJ_EEES6_PlJS6_EEE10hipError_tPvRmT3_T4_T5_T6_T7_T9_mT8_P12ihipStream_tbDpT10_ENKUlT_T0_E_clISt17integral_constantIbLb1EES1F_EEDaS1A_S1B_EUlS1A_E_NS1_11comp_targetILNS1_3genE5ELNS1_11target_archE942ELNS1_3gpuE9ELNS1_3repE0EEENS1_30default_config_static_selectorELNS0_4arch9wavefront6targetE1EEEvT1_,"axG",@progbits,_ZN7rocprim17ROCPRIM_400000_NS6detail17trampoline_kernelINS0_14default_configENS1_25partition_config_selectorILNS1_17partition_subalgoE2ExNS0_10empty_typeEbEEZZNS1_14partition_implILS5_2ELb0ES3_jN6thrust23THRUST_200600_302600_NS6detail15normal_iteratorINSA_7pointerIxNSA_11hip_rocprim3tagENSA_11use_defaultESG_EEEEPS6_NSA_18transform_iteratorI7is_evenIxENSC_INSA_10device_ptrIxEEEESG_SG_EENS0_5tupleIJPxSJ_EEENSR_IJSJ_SJ_EEES6_PlJS6_EEE10hipError_tPvRmT3_T4_T5_T6_T7_T9_mT8_P12ihipStream_tbDpT10_ENKUlT_T0_E_clISt17integral_constantIbLb1EES1F_EEDaS1A_S1B_EUlS1A_E_NS1_11comp_targetILNS1_3genE5ELNS1_11target_archE942ELNS1_3gpuE9ELNS1_3repE0EEENS1_30default_config_static_selectorELNS0_4arch9wavefront6targetE1EEEvT1_,comdat
.Lfunc_end199:
	.size	_ZN7rocprim17ROCPRIM_400000_NS6detail17trampoline_kernelINS0_14default_configENS1_25partition_config_selectorILNS1_17partition_subalgoE2ExNS0_10empty_typeEbEEZZNS1_14partition_implILS5_2ELb0ES3_jN6thrust23THRUST_200600_302600_NS6detail15normal_iteratorINSA_7pointerIxNSA_11hip_rocprim3tagENSA_11use_defaultESG_EEEEPS6_NSA_18transform_iteratorI7is_evenIxENSC_INSA_10device_ptrIxEEEESG_SG_EENS0_5tupleIJPxSJ_EEENSR_IJSJ_SJ_EEES6_PlJS6_EEE10hipError_tPvRmT3_T4_T5_T6_T7_T9_mT8_P12ihipStream_tbDpT10_ENKUlT_T0_E_clISt17integral_constantIbLb1EES1F_EEDaS1A_S1B_EUlS1A_E_NS1_11comp_targetILNS1_3genE5ELNS1_11target_archE942ELNS1_3gpuE9ELNS1_3repE0EEENS1_30default_config_static_selectorELNS0_4arch9wavefront6targetE1EEEvT1_, .Lfunc_end199-_ZN7rocprim17ROCPRIM_400000_NS6detail17trampoline_kernelINS0_14default_configENS1_25partition_config_selectorILNS1_17partition_subalgoE2ExNS0_10empty_typeEbEEZZNS1_14partition_implILS5_2ELb0ES3_jN6thrust23THRUST_200600_302600_NS6detail15normal_iteratorINSA_7pointerIxNSA_11hip_rocprim3tagENSA_11use_defaultESG_EEEEPS6_NSA_18transform_iteratorI7is_evenIxENSC_INSA_10device_ptrIxEEEESG_SG_EENS0_5tupleIJPxSJ_EEENSR_IJSJ_SJ_EEES6_PlJS6_EEE10hipError_tPvRmT3_T4_T5_T6_T7_T9_mT8_P12ihipStream_tbDpT10_ENKUlT_T0_E_clISt17integral_constantIbLb1EES1F_EEDaS1A_S1B_EUlS1A_E_NS1_11comp_targetILNS1_3genE5ELNS1_11target_archE942ELNS1_3gpuE9ELNS1_3repE0EEENS1_30default_config_static_selectorELNS0_4arch9wavefront6targetE1EEEvT1_
                                        ; -- End function
	.section	.AMDGPU.csdata,"",@progbits
; Kernel info:
; codeLenInByte = 0
; NumSgprs: 4
; NumVgprs: 0
; NumAgprs: 0
; TotalNumVgprs: 0
; ScratchSize: 0
; MemoryBound: 0
; FloatMode: 240
; IeeeMode: 1
; LDSByteSize: 0 bytes/workgroup (compile time only)
; SGPRBlocks: 0
; VGPRBlocks: 0
; NumSGPRsForWavesPerEU: 4
; NumVGPRsForWavesPerEU: 1
; AccumOffset: 4
; Occupancy: 8
; WaveLimiterHint : 0
; COMPUTE_PGM_RSRC2:SCRATCH_EN: 0
; COMPUTE_PGM_RSRC2:USER_SGPR: 6
; COMPUTE_PGM_RSRC2:TRAP_HANDLER: 0
; COMPUTE_PGM_RSRC2:TGID_X_EN: 1
; COMPUTE_PGM_RSRC2:TGID_Y_EN: 0
; COMPUTE_PGM_RSRC2:TGID_Z_EN: 0
; COMPUTE_PGM_RSRC2:TIDIG_COMP_CNT: 0
; COMPUTE_PGM_RSRC3_GFX90A:ACCUM_OFFSET: 0
; COMPUTE_PGM_RSRC3_GFX90A:TG_SPLIT: 0
	.section	.text._ZN7rocprim17ROCPRIM_400000_NS6detail17trampoline_kernelINS0_14default_configENS1_25partition_config_selectorILNS1_17partition_subalgoE2ExNS0_10empty_typeEbEEZZNS1_14partition_implILS5_2ELb0ES3_jN6thrust23THRUST_200600_302600_NS6detail15normal_iteratorINSA_7pointerIxNSA_11hip_rocprim3tagENSA_11use_defaultESG_EEEEPS6_NSA_18transform_iteratorI7is_evenIxENSC_INSA_10device_ptrIxEEEESG_SG_EENS0_5tupleIJPxSJ_EEENSR_IJSJ_SJ_EEES6_PlJS6_EEE10hipError_tPvRmT3_T4_T5_T6_T7_T9_mT8_P12ihipStream_tbDpT10_ENKUlT_T0_E_clISt17integral_constantIbLb1EES1F_EEDaS1A_S1B_EUlS1A_E_NS1_11comp_targetILNS1_3genE4ELNS1_11target_archE910ELNS1_3gpuE8ELNS1_3repE0EEENS1_30default_config_static_selectorELNS0_4arch9wavefront6targetE1EEEvT1_,"axG",@progbits,_ZN7rocprim17ROCPRIM_400000_NS6detail17trampoline_kernelINS0_14default_configENS1_25partition_config_selectorILNS1_17partition_subalgoE2ExNS0_10empty_typeEbEEZZNS1_14partition_implILS5_2ELb0ES3_jN6thrust23THRUST_200600_302600_NS6detail15normal_iteratorINSA_7pointerIxNSA_11hip_rocprim3tagENSA_11use_defaultESG_EEEEPS6_NSA_18transform_iteratorI7is_evenIxENSC_INSA_10device_ptrIxEEEESG_SG_EENS0_5tupleIJPxSJ_EEENSR_IJSJ_SJ_EEES6_PlJS6_EEE10hipError_tPvRmT3_T4_T5_T6_T7_T9_mT8_P12ihipStream_tbDpT10_ENKUlT_T0_E_clISt17integral_constantIbLb1EES1F_EEDaS1A_S1B_EUlS1A_E_NS1_11comp_targetILNS1_3genE4ELNS1_11target_archE910ELNS1_3gpuE8ELNS1_3repE0EEENS1_30default_config_static_selectorELNS0_4arch9wavefront6targetE1EEEvT1_,comdat
	.protected	_ZN7rocprim17ROCPRIM_400000_NS6detail17trampoline_kernelINS0_14default_configENS1_25partition_config_selectorILNS1_17partition_subalgoE2ExNS0_10empty_typeEbEEZZNS1_14partition_implILS5_2ELb0ES3_jN6thrust23THRUST_200600_302600_NS6detail15normal_iteratorINSA_7pointerIxNSA_11hip_rocprim3tagENSA_11use_defaultESG_EEEEPS6_NSA_18transform_iteratorI7is_evenIxENSC_INSA_10device_ptrIxEEEESG_SG_EENS0_5tupleIJPxSJ_EEENSR_IJSJ_SJ_EEES6_PlJS6_EEE10hipError_tPvRmT3_T4_T5_T6_T7_T9_mT8_P12ihipStream_tbDpT10_ENKUlT_T0_E_clISt17integral_constantIbLb1EES1F_EEDaS1A_S1B_EUlS1A_E_NS1_11comp_targetILNS1_3genE4ELNS1_11target_archE910ELNS1_3gpuE8ELNS1_3repE0EEENS1_30default_config_static_selectorELNS0_4arch9wavefront6targetE1EEEvT1_ ; -- Begin function _ZN7rocprim17ROCPRIM_400000_NS6detail17trampoline_kernelINS0_14default_configENS1_25partition_config_selectorILNS1_17partition_subalgoE2ExNS0_10empty_typeEbEEZZNS1_14partition_implILS5_2ELb0ES3_jN6thrust23THRUST_200600_302600_NS6detail15normal_iteratorINSA_7pointerIxNSA_11hip_rocprim3tagENSA_11use_defaultESG_EEEEPS6_NSA_18transform_iteratorI7is_evenIxENSC_INSA_10device_ptrIxEEEESG_SG_EENS0_5tupleIJPxSJ_EEENSR_IJSJ_SJ_EEES6_PlJS6_EEE10hipError_tPvRmT3_T4_T5_T6_T7_T9_mT8_P12ihipStream_tbDpT10_ENKUlT_T0_E_clISt17integral_constantIbLb1EES1F_EEDaS1A_S1B_EUlS1A_E_NS1_11comp_targetILNS1_3genE4ELNS1_11target_archE910ELNS1_3gpuE8ELNS1_3repE0EEENS1_30default_config_static_selectorELNS0_4arch9wavefront6targetE1EEEvT1_
	.globl	_ZN7rocprim17ROCPRIM_400000_NS6detail17trampoline_kernelINS0_14default_configENS1_25partition_config_selectorILNS1_17partition_subalgoE2ExNS0_10empty_typeEbEEZZNS1_14partition_implILS5_2ELb0ES3_jN6thrust23THRUST_200600_302600_NS6detail15normal_iteratorINSA_7pointerIxNSA_11hip_rocprim3tagENSA_11use_defaultESG_EEEEPS6_NSA_18transform_iteratorI7is_evenIxENSC_INSA_10device_ptrIxEEEESG_SG_EENS0_5tupleIJPxSJ_EEENSR_IJSJ_SJ_EEES6_PlJS6_EEE10hipError_tPvRmT3_T4_T5_T6_T7_T9_mT8_P12ihipStream_tbDpT10_ENKUlT_T0_E_clISt17integral_constantIbLb1EES1F_EEDaS1A_S1B_EUlS1A_E_NS1_11comp_targetILNS1_3genE4ELNS1_11target_archE910ELNS1_3gpuE8ELNS1_3repE0EEENS1_30default_config_static_selectorELNS0_4arch9wavefront6targetE1EEEvT1_
	.p2align	8
	.type	_ZN7rocprim17ROCPRIM_400000_NS6detail17trampoline_kernelINS0_14default_configENS1_25partition_config_selectorILNS1_17partition_subalgoE2ExNS0_10empty_typeEbEEZZNS1_14partition_implILS5_2ELb0ES3_jN6thrust23THRUST_200600_302600_NS6detail15normal_iteratorINSA_7pointerIxNSA_11hip_rocprim3tagENSA_11use_defaultESG_EEEEPS6_NSA_18transform_iteratorI7is_evenIxENSC_INSA_10device_ptrIxEEEESG_SG_EENS0_5tupleIJPxSJ_EEENSR_IJSJ_SJ_EEES6_PlJS6_EEE10hipError_tPvRmT3_T4_T5_T6_T7_T9_mT8_P12ihipStream_tbDpT10_ENKUlT_T0_E_clISt17integral_constantIbLb1EES1F_EEDaS1A_S1B_EUlS1A_E_NS1_11comp_targetILNS1_3genE4ELNS1_11target_archE910ELNS1_3gpuE8ELNS1_3repE0EEENS1_30default_config_static_selectorELNS0_4arch9wavefront6targetE1EEEvT1_,@function
_ZN7rocprim17ROCPRIM_400000_NS6detail17trampoline_kernelINS0_14default_configENS1_25partition_config_selectorILNS1_17partition_subalgoE2ExNS0_10empty_typeEbEEZZNS1_14partition_implILS5_2ELb0ES3_jN6thrust23THRUST_200600_302600_NS6detail15normal_iteratorINSA_7pointerIxNSA_11hip_rocprim3tagENSA_11use_defaultESG_EEEEPS6_NSA_18transform_iteratorI7is_evenIxENSC_INSA_10device_ptrIxEEEESG_SG_EENS0_5tupleIJPxSJ_EEENSR_IJSJ_SJ_EEES6_PlJS6_EEE10hipError_tPvRmT3_T4_T5_T6_T7_T9_mT8_P12ihipStream_tbDpT10_ENKUlT_T0_E_clISt17integral_constantIbLb1EES1F_EEDaS1A_S1B_EUlS1A_E_NS1_11comp_targetILNS1_3genE4ELNS1_11target_archE910ELNS1_3gpuE8ELNS1_3repE0EEENS1_30default_config_static_selectorELNS0_4arch9wavefront6targetE1EEEvT1_: ; @_ZN7rocprim17ROCPRIM_400000_NS6detail17trampoline_kernelINS0_14default_configENS1_25partition_config_selectorILNS1_17partition_subalgoE2ExNS0_10empty_typeEbEEZZNS1_14partition_implILS5_2ELb0ES3_jN6thrust23THRUST_200600_302600_NS6detail15normal_iteratorINSA_7pointerIxNSA_11hip_rocprim3tagENSA_11use_defaultESG_EEEEPS6_NSA_18transform_iteratorI7is_evenIxENSC_INSA_10device_ptrIxEEEESG_SG_EENS0_5tupleIJPxSJ_EEENSR_IJSJ_SJ_EEES6_PlJS6_EEE10hipError_tPvRmT3_T4_T5_T6_T7_T9_mT8_P12ihipStream_tbDpT10_ENKUlT_T0_E_clISt17integral_constantIbLb1EES1F_EEDaS1A_S1B_EUlS1A_E_NS1_11comp_targetILNS1_3genE4ELNS1_11target_archE910ELNS1_3gpuE8ELNS1_3repE0EEENS1_30default_config_static_selectorELNS0_4arch9wavefront6targetE1EEEvT1_
; %bb.0:
	s_load_dwordx2 s[6:7], s[4:5], 0x20
	s_load_dwordx2 s[24:25], s[4:5], 0x30
	s_load_dwordx2 s[26:27], s[4:5], 0x60
	s_load_dwordx4 s[20:23], s[4:5], 0x50
	s_load_dwordx2 s[34:35], s[4:5], 0x70
	v_cmp_eq_u32_e64 s[0:1], 0, v0
	s_and_saveexec_b64 s[2:3], s[0:1]
	s_cbranch_execz .LBB200_4
; %bb.1:
	s_mov_b64 s[10:11], exec
	v_mbcnt_lo_u32_b32 v1, s10, 0
	v_mbcnt_hi_u32_b32 v1, s11, v1
	v_cmp_eq_u32_e32 vcc, 0, v1
                                        ; implicit-def: $vgpr2
	s_and_saveexec_b64 s[8:9], vcc
	s_cbranch_execz .LBB200_3
; %bb.2:
	s_load_dwordx2 s[12:13], s[4:5], 0x80
	s_bcnt1_i32_b64 s10, s[10:11]
	v_mov_b32_e32 v2, 0
	v_mov_b32_e32 v3, s10
	s_waitcnt lgkmcnt(0)
	global_atomic_add v2, v2, v3, s[12:13] glc
.LBB200_3:
	s_or_b64 exec, exec, s[8:9]
	s_waitcnt vmcnt(0)
	v_readfirstlane_b32 s8, v2
	v_add_u32_e32 v1, s8, v1
	v_mov_b32_e32 v2, 0
	ds_write_b32 v2, v1
.LBB200_4:
	s_or_b64 exec, exec, s[2:3]
	v_mov_b32_e32 v1, 0
	s_load_dwordx4 s[16:19], s[4:5], 0x8
	s_load_dword s2, s[4:5], 0x78
	s_waitcnt lgkmcnt(0)
	s_barrier
	ds_read_b32 v2, v1
	s_waitcnt lgkmcnt(0)
	s_barrier
	global_load_dwordx2 v[10:11], v1, s[22:23]
	s_lshl_b64 s[4:5], s[18:19], 3
	s_add_u32 s10, s16, s4
	s_addc_u32 s11, s17, s5
	s_add_i32 s8, s2, -1
	s_mulk_i32 s2, 0x300
	s_add_i32 s3, s2, s18
	s_sub_i32 s33, s26, s3
	s_addk_i32 s33, 0x300
	s_add_u32 s2, s18, s2
	v_readfirstlane_b32 s42, v2
	s_addc_u32 s3, s19, 0
	s_cmp_eq_u32 s42, s8
	v_pk_mov_b32 v[2:3], s[26:27], s[26:27] op_sel:[0,1]
	s_cselect_b64 s[22:23], -1, 0
	s_cmp_lg_u32 s42, s8
	s_mul_i32 s28, s42, 0x300
	s_mov_b32 s29, 0
	v_cmp_lt_u64_e32 vcc, s[2:3], v[2:3]
	s_cselect_b64 s[2:3], -1, 0
	s_or_b64 s[30:31], vcc, s[2:3]
	s_lshl_b64 s[8:9], s[28:29], 3
	s_add_u32 s12, s10, s8
	s_addc_u32 s13, s11, s9
	s_mov_b64 s[2:3], -1
	s_and_b64 vcc, exec, s[30:31]
	v_lshlrev_b32_e32 v1, 3, v0
	v_lshrrev_b32_e32 v12, 2, v0
	s_cbranch_vccz .LBB200_6
; %bb.5:
	v_mov_b32_e32 v3, s13
	v_add_co_u32_e32 v2, vcc, s12, v1
	v_addc_co_u32_e32 v3, vcc, 0, v3, vcc
	v_add_co_u32_e32 v4, vcc, 0x1000, v2
	v_addc_co_u32_e32 v5, vcc, 0, v3, vcc
	flat_load_dwordx2 v[6:7], v[2:3]
	flat_load_dwordx2 v[8:9], v[2:3] offset:1536
	flat_load_dwordx2 v[14:15], v[2:3] offset:3072
	;; [unrolled: 1-line block ×3, first 2 shown]
	v_add_u32_e32 v3, 0xc0, v0
	v_add_u32_e32 v4, 0x180, v0
	;; [unrolled: 1-line block ×3, first 2 shown]
	v_and_b32_e32 v2, 56, v12
	v_lshrrev_b32_e32 v3, 2, v3
	v_lshrrev_b32_e32 v4, 2, v4
	;; [unrolled: 1-line block ×3, first 2 shown]
	v_add_u32_e32 v2, v2, v1
	v_and_b32_e32 v3, 0x78, v3
	v_and_b32_e32 v4, 0xf8, v4
	;; [unrolled: 1-line block ×3, first 2 shown]
	v_add_u32_e32 v3, v3, v1
	v_add_u32_e32 v4, v4, v1
	;; [unrolled: 1-line block ×3, first 2 shown]
	s_mov_b64 s[2:3], 0
	s_waitcnt vmcnt(0) lgkmcnt(0)
	ds_write_b64 v2, v[6:7]
	ds_write_b64 v3, v[8:9] offset:1536
	ds_write_b64 v4, v[14:15] offset:3072
	;; [unrolled: 1-line block ×3, first 2 shown]
	s_waitcnt lgkmcnt(0)
	s_barrier
.LBB200_6:
	s_andn2_b64 vcc, exec, s[2:3]
	v_cmp_gt_u32_e64 s[2:3], s33, v0
	s_cbranch_vccnz .LBB200_16
; %bb.7:
                                        ; implicit-def: $vgpr2_vgpr3_vgpr4_vgpr5_vgpr6_vgpr7_vgpr8_vgpr9
	s_and_saveexec_b64 s[10:11], s[2:3]
	s_cbranch_execz .LBB200_9
; %bb.8:
	v_mov_b32_e32 v3, s13
	v_add_co_u32_e32 v2, vcc, s12, v1
	v_addc_co_u32_e32 v3, vcc, 0, v3, vcc
	flat_load_dwordx2 v[2:3], v[2:3]
.LBB200_9:
	s_or_b64 exec, exec, s[10:11]
	v_add_u32_e32 v13, 0xc0, v0
	v_cmp_gt_u32_e32 vcc, s33, v13
	s_and_saveexec_b64 s[2:3], vcc
	s_cbranch_execz .LBB200_11
; %bb.10:
	v_mov_b32_e32 v5, s13
	v_add_co_u32_e32 v4, vcc, s12, v1
	v_addc_co_u32_e32 v5, vcc, 0, v5, vcc
	flat_load_dwordx2 v[4:5], v[4:5] offset:1536
.LBB200_11:
	s_or_b64 exec, exec, s[2:3]
	v_add_u32_e32 v14, 0x180, v0
	v_cmp_gt_u32_e32 vcc, s33, v14
	s_and_saveexec_b64 s[2:3], vcc
	s_cbranch_execz .LBB200_13
; %bb.12:
	v_mov_b32_e32 v7, s13
	v_add_co_u32_e32 v6, vcc, s12, v1
	v_addc_co_u32_e32 v7, vcc, 0, v7, vcc
	flat_load_dwordx2 v[6:7], v[6:7] offset:3072
.LBB200_13:
	s_or_b64 exec, exec, s[2:3]
	v_add_u32_e32 v15, 0x240, v0
	v_cmp_gt_u32_e32 vcc, s33, v15
	s_and_saveexec_b64 s[2:3], vcc
	s_cbranch_execz .LBB200_15
; %bb.14:
	v_lshlrev_b32_e32 v8, 3, v15
	v_mov_b32_e32 v9, s13
	v_add_co_u32_e32 v8, vcc, s12, v8
	v_addc_co_u32_e32 v9, vcc, 0, v9, vcc
	flat_load_dwordx2 v[8:9], v[8:9]
.LBB200_15:
	s_or_b64 exec, exec, s[2:3]
	v_and_b32_e32 v12, 56, v12
	v_add_u32_e32 v12, v12, v1
	s_waitcnt vmcnt(0) lgkmcnt(0)
	ds_write_b64 v12, v[2:3]
	v_lshrrev_b32_e32 v2, 2, v13
	v_and_b32_e32 v2, 0x78, v2
	v_add_u32_e32 v2, v2, v1
	ds_write_b64 v2, v[4:5] offset:1536
	v_lshrrev_b32_e32 v2, 2, v14
	v_and_b32_e32 v2, 0xf8, v2
	v_add_u32_e32 v2, v2, v1
	ds_write_b64 v2, v[6:7] offset:3072
	;; [unrolled: 4-line block ×3, first 2 shown]
	s_waitcnt lgkmcnt(0)
	s_barrier
.LBB200_16:
	v_lshlrev_b32_e32 v22, 2, v0
	v_lshrrev_b32_e32 v12, 3, v0
	v_add_lshl_u32 v2, v12, v22, 3
	ds_read2_b64 v[6:9], v2 offset1:1
	ds_read2_b64 v[2:5], v2 offset0:2 offset1:3
	s_add_u32 s2, s6, s4
	s_addc_u32 s3, s7, s5
	s_add_u32 s2, s2, s8
	s_addc_u32 s3, s3, s9
	s_mov_b64 s[4:5], -1
	s_and_b64 vcc, exec, s[30:31]
	v_lshrrev_b32_e32 v13, 5, v0
	s_waitcnt lgkmcnt(0)
	s_barrier
	s_cbranch_vccz .LBB200_18
; %bb.17:
	global_load_dwordx2 v[14:15], v1, s[2:3]
	global_load_dwordx2 v[16:17], v1, s[2:3] offset:1536
	global_load_dwordx2 v[18:19], v1, s[2:3] offset:3072
	v_mov_b32_e32 v20, s3
	s_waitcnt vmcnt(2)
	v_add_co_u32_e32 v15, vcc, s2, v1
	s_waitcnt vmcnt(1)
	v_addc_co_u32_e32 v17, vcc, 0, v20, vcc
	v_add_co_u32_e32 v20, vcc, 0x1000, v15
	v_addc_co_u32_e32 v21, vcc, 0, v17, vcc
	global_load_dwordx2 v[20:21], v[20:21], off offset:512
	v_add_u32_e32 v17, 0xc0, v0
	s_waitcnt vmcnt(1)
	v_add_u32_e32 v19, 0x180, v0
	v_and_b32_e32 v15, 4, v13
	s_waitcnt vmcnt(0)
	v_add_u32_e32 v21, 0x240, v0
	v_lshrrev_b32_e32 v17, 5, v17
	v_lshrrev_b32_e32 v19, 5, v19
	v_add_u32_e32 v15, v15, v0
	v_lshrrev_b32_e32 v21, 5, v21
	v_and_b32_e32 v17, 12, v17
	v_and_b32_e32 v19, 28, v19
	;; [unrolled: 1-line block ×3, first 2 shown]
	v_add_u32_e32 v17, v17, v0
	v_add_u32_e32 v19, v19, v0
	;; [unrolled: 1-line block ×3, first 2 shown]
	s_mov_b64 s[4:5], 0
	v_xor_b32_e32 v14, -1, v14
	v_xor_b32_e32 v16, -1, v16
	;; [unrolled: 1-line block ×3, first 2 shown]
	v_and_b32_e32 v14, 1, v14
	v_and_b32_e32 v16, 1, v16
	;; [unrolled: 1-line block ×3, first 2 shown]
	ds_write_b8 v15, v14
	ds_write_b8 v17, v16 offset:192
	ds_write_b8 v19, v18 offset:384
	v_xor_b32_e32 v14, -1, v20
	v_and_b32_e32 v14, 1, v14
	ds_write_b8 v21, v14 offset:576
	s_waitcnt lgkmcnt(0)
	s_barrier
.LBB200_18:
	s_andn2_b64 vcc, exec, s[4:5]
	s_cbranch_vccnz .LBB200_28
; %bb.19:
	v_cmp_gt_u32_e32 vcc, s33, v0
	v_mov_b32_e32 v14, 0
	v_mov_b32_e32 v15, 0
	s_and_saveexec_b64 s[4:5], vcc
	s_cbranch_execz .LBB200_21
; %bb.20:
	global_load_dwordx2 v[16:17], v1, s[2:3]
	s_waitcnt vmcnt(0)
	v_xor_b32_e32 v15, -1, v16
	v_and_b32_e32 v15, 1, v15
.LBB200_21:
	s_or_b64 exec, exec, s[4:5]
	v_add_u32_e32 v16, 0xc0, v0
	v_cmp_gt_u32_e32 vcc, s33, v16
	s_and_saveexec_b64 s[4:5], vcc
	s_cbranch_execz .LBB200_23
; %bb.22:
	global_load_dwordx2 v[18:19], v1, s[2:3] offset:1536
	s_waitcnt vmcnt(0)
	v_xor_b32_e32 v14, -1, v18
	v_and_b32_e32 v14, 1, v14
.LBB200_23:
	s_or_b64 exec, exec, s[4:5]
	v_add_u32_e32 v18, 0x180, v0
	v_cmp_gt_u32_e32 vcc, s33, v18
	v_mov_b32_e32 v17, 0
	v_mov_b32_e32 v19, 0
	s_and_saveexec_b64 s[4:5], vcc
	s_cbranch_execz .LBB200_25
; %bb.24:
	global_load_dwordx2 v[20:21], v1, s[2:3] offset:3072
	s_waitcnt vmcnt(0)
	v_xor_b32_e32 v19, -1, v20
	v_and_b32_e32 v19, 1, v19
.LBB200_25:
	s_or_b64 exec, exec, s[4:5]
	v_add_u32_e32 v20, 0x240, v0
	v_cmp_gt_u32_e32 vcc, s33, v20
	s_and_saveexec_b64 s[4:5], vcc
	s_cbranch_execz .LBB200_27
; %bb.26:
	v_lshlrev_b32_e32 v17, 3, v20
	global_load_dwordx2 v[24:25], v17, s[2:3]
	s_waitcnt vmcnt(0)
	v_xor_b32_e32 v17, -1, v24
	v_and_b32_e32 v17, 1, v17
.LBB200_27:
	s_or_b64 exec, exec, s[4:5]
	v_and_b32_e32 v13, 4, v13
	v_add_u32_e32 v13, v13, v0
	ds_write_b8 v13, v15
	v_lshrrev_b32_e32 v13, 5, v16
	v_and_b32_e32 v13, 12, v13
	v_add_u32_e32 v13, v13, v0
	ds_write_b8 v13, v14 offset:192
	v_lshrrev_b32_e32 v13, 5, v18
	v_and_b32_e32 v13, 28, v13
	v_add_u32_e32 v13, v13, v0
	ds_write_b8 v13, v19 offset:384
	;; [unrolled: 4-line block ×3, first 2 shown]
	s_waitcnt lgkmcnt(0)
	s_barrier
.LBB200_28:
	v_and_b32_e32 v12, 28, v12
	v_add_u32_e32 v12, v12, v22
	ds_read_b32 v24, v12
	s_cmp_lg_u32 s42, 0
	v_lshrrev_b32_e32 v27, 6, v0
	s_waitcnt lgkmcnt(0)
	s_barrier
	v_lshrrev_b32_e32 v23, 24, v24
	v_bfe_u32 v25, v24, 16, 8
	v_add_u32_sdwa v12, v24, v24 dst_sel:DWORD dst_unused:UNUSED_PAD src0_sel:BYTE_1 src1_sel:BYTE_0
	v_add3_u32 v28, v12, v25, v23
	v_mbcnt_lo_u32_b32 v12, -1, 0
	v_mbcnt_hi_u32_b32 v26, -1, v12
	v_and_b32_e32 v12, 15, v26
	v_cmp_eq_u32_e64 s[14:15], 0, v12
	v_cmp_lt_u32_e64 s[12:13], 1, v12
	v_cmp_lt_u32_e64 s[10:11], 3, v12
	;; [unrolled: 1-line block ×3, first 2 shown]
	v_and_b32_e32 v12, 16, v26
	v_cmp_eq_u32_e64 s[4:5], 0, v12
	v_and_b32_e32 v12, 0xc0, v0
	v_min_u32_e32 v12, 0x80, v12
	v_or_b32_e32 v12, 63, v12
	v_cmp_lt_u32_e64 s[2:3], 31, v26
	v_cmp_eq_u32_e64 s[6:7], v12, v0
	s_cbranch_scc0 .LBB200_59
; %bb.29:
	v_mov_b32_dpp v12, v28 row_shr:1 row_mask:0xf bank_mask:0xf
	v_cndmask_b32_e64 v12, v12, 0, s[14:15]
	v_add_u32_e32 v12, v12, v28
	s_nop 1
	v_mov_b32_dpp v13, v12 row_shr:2 row_mask:0xf bank_mask:0xf
	v_cndmask_b32_e64 v13, 0, v13, s[12:13]
	v_add_u32_e32 v12, v12, v13
	s_nop 1
	;; [unrolled: 4-line block ×4, first 2 shown]
	v_mov_b32_dpp v13, v12 row_bcast:15 row_mask:0xf bank_mask:0xf
	v_cndmask_b32_e64 v13, v13, 0, s[4:5]
	v_add_u32_e32 v12, v12, v13
	s_nop 1
	v_mov_b32_dpp v13, v12 row_bcast:31 row_mask:0xf bank_mask:0xf
	v_cndmask_b32_e64 v13, 0, v13, s[2:3]
	v_add_u32_e32 v12, v12, v13
	s_and_saveexec_b64 s[16:17], s[6:7]
	s_cbranch_execz .LBB200_31
; %bb.30:
	v_lshlrev_b32_e32 v13, 2, v27
	ds_write_b32 v13, v12
.LBB200_31:
	s_or_b64 exec, exec, s[16:17]
	v_cmp_gt_u32_e32 vcc, 3, v0
	s_waitcnt lgkmcnt(0)
	s_barrier
	s_and_saveexec_b64 s[16:17], vcc
	s_cbranch_execz .LBB200_33
; %bb.32:
	ds_read_b32 v13, v22
	v_and_b32_e32 v14, 3, v26
	v_cmp_ne_u32_e32 vcc, 0, v14
	s_waitcnt lgkmcnt(0)
	v_mov_b32_dpp v15, v13 row_shr:1 row_mask:0xf bank_mask:0xf
	v_cndmask_b32_e32 v15, 0, v15, vcc
	v_add_u32_e32 v13, v15, v13
	v_cmp_lt_u32_e32 vcc, 1, v14
	s_nop 0
	v_mov_b32_dpp v15, v13 row_shr:2 row_mask:0xf bank_mask:0xf
	v_cndmask_b32_e32 v14, 0, v15, vcc
	v_add_u32_e32 v13, v13, v14
	ds_write_b32 v22, v13
.LBB200_33:
	s_or_b64 exec, exec, s[16:17]
	v_cmp_gt_u32_e32 vcc, 64, v0
	v_cmp_lt_u32_e64 s[16:17], 63, v0
	s_waitcnt lgkmcnt(0)
	s_barrier
	s_waitcnt lgkmcnt(0)
                                        ; implicit-def: $vgpr29
	s_and_saveexec_b64 s[36:37], s[16:17]
	s_cbranch_execz .LBB200_35
; %bb.34:
	v_lshl_add_u32 v13, v27, 2, -4
	ds_read_b32 v29, v13
	s_waitcnt lgkmcnt(0)
	v_add_u32_e32 v12, v29, v12
.LBB200_35:
	s_or_b64 exec, exec, s[36:37]
	v_add_u32_e32 v13, -1, v26
	v_and_b32_e32 v14, 64, v26
	v_cmp_lt_i32_e64 s[16:17], v13, v14
	v_cndmask_b32_e64 v13, v13, v26, s[16:17]
	v_lshlrev_b32_e32 v13, 2, v13
	ds_bpermute_b32 v30, v13, v12
	v_cmp_eq_u32_e64 s[16:17], 0, v26
	s_and_saveexec_b64 s[36:37], vcc
	s_cbranch_execz .LBB200_58
; %bb.36:
	v_mov_b32_e32 v21, 0
	ds_read_b32 v12, v21 offset:8
	s_and_saveexec_b64 s[38:39], s[16:17]
	s_cbranch_execz .LBB200_38
; %bb.37:
	s_add_i32 s40, s42, 64
	s_mov_b32 s41, 0
	s_lshl_b64 s[40:41], s[40:41], 3
	s_add_u32 s40, s34, s40
	v_mov_b32_e32 v13, 1
	s_addc_u32 s41, s35, s41
	s_waitcnt lgkmcnt(0)
	global_store_dwordx2 v21, v[12:13], s[40:41]
.LBB200_38:
	s_or_b64 exec, exec, s[38:39]
	v_xad_u32 v14, v26, -1, s42
	v_add_u32_e32 v20, 64, v14
	v_lshlrev_b64 v[16:17], 3, v[20:21]
	v_mov_b32_e32 v13, s35
	v_add_co_u32_e32 v16, vcc, s34, v16
	v_addc_co_u32_e32 v17, vcc, v13, v17, vcc
	global_load_dwordx2 v[18:19], v[16:17], off glc
	s_waitcnt vmcnt(0)
	v_cmp_eq_u16_sdwa s[40:41], v19, v21 src0_sel:BYTE_0 src1_sel:DWORD
	s_and_saveexec_b64 s[38:39], s[40:41]
	s_cbranch_execz .LBB200_44
; %bb.39:
	s_mov_b32 s29, 1
	s_mov_b64 s[40:41], 0
	v_mov_b32_e32 v13, 0
.LBB200_40:                             ; =>This Loop Header: Depth=1
                                        ;     Child Loop BB200_41 Depth 2
	s_max_u32 s43, s29, 1
.LBB200_41:                             ;   Parent Loop BB200_40 Depth=1
                                        ; =>  This Inner Loop Header: Depth=2
	s_add_i32 s43, s43, -1
	s_cmp_eq_u32 s43, 0
	s_sleep 1
	s_cbranch_scc0 .LBB200_41
; %bb.42:                               ;   in Loop: Header=BB200_40 Depth=1
	global_load_dwordx2 v[18:19], v[16:17], off glc
	s_cmp_lt_u32 s29, 32
	s_cselect_b64 s[44:45], -1, 0
	s_cmp_lg_u64 s[44:45], 0
	s_addc_u32 s29, s29, 0
	s_waitcnt vmcnt(0)
	v_cmp_ne_u16_sdwa s[44:45], v19, v13 src0_sel:BYTE_0 src1_sel:DWORD
	s_or_b64 s[40:41], s[44:45], s[40:41]
	s_andn2_b64 exec, exec, s[40:41]
	s_cbranch_execnz .LBB200_40
; %bb.43:
	s_or_b64 exec, exec, s[40:41]
.LBB200_44:
	s_or_b64 exec, exec, s[38:39]
	v_and_b32_e32 v32, 63, v26
	v_mov_b32_e32 v31, 2
	v_cmp_ne_u32_e32 vcc, 63, v32
	v_cmp_eq_u16_sdwa s[38:39], v19, v31 src0_sel:BYTE_0 src1_sel:DWORD
	v_lshlrev_b64 v[16:17], v26, -1
	v_addc_co_u32_e32 v20, vcc, 0, v26, vcc
	v_and_b32_e32 v13, s39, v17
	v_lshlrev_b32_e32 v33, 2, v20
	v_or_b32_e32 v13, 0x80000000, v13
	ds_bpermute_b32 v20, v33, v18
	v_and_b32_e32 v15, s38, v16
	v_ffbl_b32_e32 v13, v13
	v_add_u32_e32 v13, 32, v13
	v_ffbl_b32_e32 v15, v15
	v_min_u32_e32 v13, v15, v13
	v_cmp_lt_u32_e32 vcc, v32, v13
	s_waitcnt lgkmcnt(0)
	v_cndmask_b32_e32 v15, 0, v20, vcc
	v_cmp_gt_u32_e32 vcc, 62, v32
	v_add_u32_e32 v15, v15, v18
	v_cndmask_b32_e64 v18, 0, 1, vcc
	v_lshlrev_b32_e32 v18, 1, v18
	v_add_lshl_u32 v34, v18, v26, 2
	ds_bpermute_b32 v18, v34, v15
	v_add_u32_e32 v35, 2, v32
	v_cmp_le_u32_e32 vcc, v35, v13
	v_add_u32_e32 v37, 4, v32
	v_add_u32_e32 v39, 8, v32
	s_waitcnt lgkmcnt(0)
	v_cndmask_b32_e32 v18, 0, v18, vcc
	v_cmp_gt_u32_e32 vcc, 60, v32
	v_add_u32_e32 v15, v15, v18
	v_cndmask_b32_e64 v18, 0, 1, vcc
	v_lshlrev_b32_e32 v18, 2, v18
	v_add_lshl_u32 v36, v18, v26, 2
	ds_bpermute_b32 v18, v36, v15
	v_cmp_le_u32_e32 vcc, v37, v13
	v_add_u32_e32 v41, 16, v32
	v_add_u32_e32 v43, 32, v32
	s_waitcnt lgkmcnt(0)
	v_cndmask_b32_e32 v18, 0, v18, vcc
	v_cmp_gt_u32_e32 vcc, 56, v32
	v_add_u32_e32 v15, v15, v18
	v_cndmask_b32_e64 v18, 0, 1, vcc
	v_lshlrev_b32_e32 v18, 3, v18
	v_add_lshl_u32 v38, v18, v26, 2
	ds_bpermute_b32 v18, v38, v15
	v_cmp_le_u32_e32 vcc, v39, v13
	s_waitcnt lgkmcnt(0)
	v_cndmask_b32_e32 v18, 0, v18, vcc
	v_cmp_gt_u32_e32 vcc, 48, v32
	v_add_u32_e32 v15, v15, v18
	v_cndmask_b32_e64 v18, 0, 1, vcc
	v_lshlrev_b32_e32 v18, 4, v18
	v_add_lshl_u32 v40, v18, v26, 2
	ds_bpermute_b32 v18, v40, v15
	v_cmp_le_u32_e32 vcc, v41, v13
	;; [unrolled: 9-line block ×3, first 2 shown]
	s_waitcnt lgkmcnt(0)
	v_cndmask_b32_e32 v13, 0, v18, vcc
	v_add_u32_e32 v18, v15, v13
	v_mov_b32_e32 v15, 0
	s_branch .LBB200_46
.LBB200_45:                             ;   in Loop: Header=BB200_46 Depth=1
	s_or_b64 exec, exec, s[38:39]
	v_cmp_eq_u16_sdwa s[38:39], v19, v31 src0_sel:BYTE_0 src1_sel:DWORD
	v_and_b32_e32 v20, s39, v17
	v_or_b32_e32 v20, 0x80000000, v20
	ds_bpermute_b32 v44, v33, v18
	v_and_b32_e32 v21, s38, v16
	v_ffbl_b32_e32 v20, v20
	v_add_u32_e32 v20, 32, v20
	v_ffbl_b32_e32 v21, v21
	v_min_u32_e32 v20, v21, v20
	v_cmp_lt_u32_e32 vcc, v32, v20
	s_waitcnt lgkmcnt(0)
	v_cndmask_b32_e32 v21, 0, v44, vcc
	v_add_u32_e32 v18, v21, v18
	ds_bpermute_b32 v21, v34, v18
	v_cmp_le_u32_e32 vcc, v35, v20
	v_subrev_u32_e32 v14, 64, v14
	s_waitcnt lgkmcnt(0)
	v_cndmask_b32_e32 v21, 0, v21, vcc
	v_add_u32_e32 v18, v18, v21
	ds_bpermute_b32 v21, v36, v18
	v_cmp_le_u32_e32 vcc, v37, v20
	s_waitcnt lgkmcnt(0)
	v_cndmask_b32_e32 v21, 0, v21, vcc
	v_add_u32_e32 v18, v18, v21
	ds_bpermute_b32 v21, v38, v18
	v_cmp_le_u32_e32 vcc, v39, v20
	;; [unrolled: 5-line block ×4, first 2 shown]
	s_waitcnt lgkmcnt(0)
	v_cndmask_b32_e32 v20, 0, v21, vcc
	v_add3_u32 v18, v20, v13, v18
.LBB200_46:                             ; =>This Loop Header: Depth=1
                                        ;     Child Loop BB200_49 Depth 2
                                        ;       Child Loop BB200_50 Depth 3
	v_cmp_ne_u16_sdwa s[38:39], v19, v31 src0_sel:BYTE_0 src1_sel:DWORD
	v_cndmask_b32_e64 v13, 0, 1, s[38:39]
	;;#ASMSTART
	;;#ASMEND
	v_cmp_ne_u32_e32 vcc, 0, v13
	s_cmp_lg_u64 vcc, exec
	v_mov_b32_e32 v13, v18
	s_cbranch_scc1 .LBB200_53
; %bb.47:                               ;   in Loop: Header=BB200_46 Depth=1
	v_lshlrev_b64 v[18:19], 3, v[14:15]
	v_mov_b32_e32 v21, s35
	v_add_co_u32_e32 v20, vcc, s34, v18
	v_addc_co_u32_e32 v21, vcc, v21, v19, vcc
	global_load_dwordx2 v[18:19], v[20:21], off glc
	s_waitcnt vmcnt(0)
	v_cmp_eq_u16_sdwa s[40:41], v19, v15 src0_sel:BYTE_0 src1_sel:DWORD
	s_and_saveexec_b64 s[38:39], s[40:41]
	s_cbranch_execz .LBB200_45
; %bb.48:                               ;   in Loop: Header=BB200_46 Depth=1
	s_mov_b32 s29, 1
	s_mov_b64 s[40:41], 0
.LBB200_49:                             ;   Parent Loop BB200_46 Depth=1
                                        ; =>  This Loop Header: Depth=2
                                        ;       Child Loop BB200_50 Depth 3
	s_max_u32 s43, s29, 1
.LBB200_50:                             ;   Parent Loop BB200_46 Depth=1
                                        ;     Parent Loop BB200_49 Depth=2
                                        ; =>    This Inner Loop Header: Depth=3
	s_add_i32 s43, s43, -1
	s_cmp_eq_u32 s43, 0
	s_sleep 1
	s_cbranch_scc0 .LBB200_50
; %bb.51:                               ;   in Loop: Header=BB200_49 Depth=2
	global_load_dwordx2 v[18:19], v[20:21], off glc
	s_cmp_lt_u32 s29, 32
	s_cselect_b64 s[44:45], -1, 0
	s_cmp_lg_u64 s[44:45], 0
	s_addc_u32 s29, s29, 0
	s_waitcnt vmcnt(0)
	v_cmp_ne_u16_sdwa s[44:45], v19, v15 src0_sel:BYTE_0 src1_sel:DWORD
	s_or_b64 s[40:41], s[44:45], s[40:41]
	s_andn2_b64 exec, exec, s[40:41]
	s_cbranch_execnz .LBB200_49
; %bb.52:                               ;   in Loop: Header=BB200_46 Depth=1
	s_or_b64 exec, exec, s[40:41]
	s_branch .LBB200_45
.LBB200_53:                             ;   in Loop: Header=BB200_46 Depth=1
                                        ; implicit-def: $vgpr18
                                        ; implicit-def: $vgpr19
	s_cbranch_execz .LBB200_46
; %bb.54:
	s_and_saveexec_b64 s[38:39], s[16:17]
	s_cbranch_execz .LBB200_56
; %bb.55:
	s_add_i32 s40, s42, 64
	s_mov_b32 s41, 0
	s_lshl_b64 s[40:41], s[40:41], 3
	s_add_u32 s40, s34, s40
	v_add_u32_e32 v14, v13, v12
	v_mov_b32_e32 v15, 2
	s_addc_u32 s41, s35, s41
	v_mov_b32_e32 v16, 0
	global_store_dwordx2 v16, v[14:15], s[40:41]
	ds_write_b64 v16, v[12:13] offset:6336
.LBB200_56:
	s_or_b64 exec, exec, s[38:39]
	s_and_b64 exec, exec, s[0:1]
	s_cbranch_execz .LBB200_58
; %bb.57:
	v_mov_b32_e32 v12, 0
	ds_write_b32 v12, v13 offset:8
.LBB200_58:
	s_or_b64 exec, exec, s[36:37]
	v_mov_b32_e32 v12, 0
	s_waitcnt lgkmcnt(0)
	s_barrier
	ds_read_b32 v13, v12 offset:8
	v_cndmask_b32_e64 v14, v30, v29, s[16:17]
	v_cndmask_b32_e64 v14, v14, 0, s[0:1]
	s_waitcnt lgkmcnt(0)
	s_barrier
	v_add_u32_e32 v16, v13, v14
	ds_read_b64 v[12:13], v12 offset:6336
	v_add_u32_sdwa v17, v16, v24 dst_sel:DWORD dst_unused:UNUSED_PAD src0_sel:DWORD src1_sel:BYTE_0
	v_add_u32_sdwa v15, v17, v24 dst_sel:DWORD dst_unused:UNUSED_PAD src0_sel:DWORD src1_sel:BYTE_1
	v_add_u32_e32 v14, v15, v25
	s_branch .LBB200_69
.LBB200_59:
                                        ; implicit-def: $vgpr13
                                        ; implicit-def: $vgpr14
                                        ; implicit-def: $vgpr15
                                        ; implicit-def: $vgpr17
                                        ; implicit-def: $vgpr16
	s_cbranch_execz .LBB200_69
; %bb.60:
	s_waitcnt lgkmcnt(0)
	v_mov_b32_dpp v12, v28 row_shr:1 row_mask:0xf bank_mask:0xf
	v_cndmask_b32_e64 v12, v12, 0, s[14:15]
	v_add_u32_e32 v12, v12, v28
	s_nop 1
	v_mov_b32_dpp v13, v12 row_shr:2 row_mask:0xf bank_mask:0xf
	v_cndmask_b32_e64 v13, 0, v13, s[12:13]
	v_add_u32_e32 v12, v12, v13
	s_nop 1
	;; [unrolled: 4-line block ×4, first 2 shown]
	v_mov_b32_dpp v13, v12 row_bcast:15 row_mask:0xf bank_mask:0xf
	v_cndmask_b32_e64 v13, v13, 0, s[4:5]
	v_add_u32_e32 v12, v12, v13
	s_nop 1
	v_mov_b32_dpp v13, v12 row_bcast:31 row_mask:0xf bank_mask:0xf
	v_cndmask_b32_e64 v13, 0, v13, s[2:3]
	v_add_u32_e32 v12, v12, v13
	s_and_saveexec_b64 s[2:3], s[6:7]
	s_cbranch_execz .LBB200_62
; %bb.61:
	v_lshlrev_b32_e32 v13, 2, v27
	ds_write_b32 v13, v12
.LBB200_62:
	s_or_b64 exec, exec, s[2:3]
	v_cmp_gt_u32_e32 vcc, 3, v0
	s_waitcnt lgkmcnt(0)
	s_barrier
	s_and_saveexec_b64 s[2:3], vcc
	s_cbranch_execz .LBB200_64
; %bb.63:
	ds_read_b32 v13, v22
	v_and_b32_e32 v14, 3, v26
	v_cmp_ne_u32_e32 vcc, 0, v14
	s_waitcnt lgkmcnt(0)
	v_mov_b32_dpp v15, v13 row_shr:1 row_mask:0xf bank_mask:0xf
	v_cndmask_b32_e32 v15, 0, v15, vcc
	v_add_u32_e32 v13, v15, v13
	v_cmp_lt_u32_e32 vcc, 1, v14
	s_nop 0
	v_mov_b32_dpp v15, v13 row_shr:2 row_mask:0xf bank_mask:0xf
	v_cndmask_b32_e32 v14, 0, v15, vcc
	v_add_u32_e32 v13, v13, v14
	ds_write_b32 v22, v13
.LBB200_64:
	s_or_b64 exec, exec, s[2:3]
	v_cmp_lt_u32_e32 vcc, 63, v0
	v_mov_b32_e32 v13, 0
	v_mov_b32_e32 v14, 0
	s_waitcnt lgkmcnt(0)
	s_barrier
	s_and_saveexec_b64 s[2:3], vcc
	s_cbranch_execz .LBB200_66
; %bb.65:
	v_lshl_add_u32 v14, v27, 2, -4
	ds_read_b32 v14, v14
.LBB200_66:
	s_or_b64 exec, exec, s[2:3]
	v_add_u32_e32 v15, -1, v26
	v_and_b32_e32 v16, 64, v26
	v_cmp_lt_i32_e32 vcc, v15, v16
	v_cndmask_b32_e32 v15, v15, v26, vcc
	s_waitcnt lgkmcnt(0)
	v_add_u32_e32 v12, v14, v12
	v_lshlrev_b32_e32 v15, 2, v15
	ds_bpermute_b32 v15, v15, v12
	ds_read_b32 v12, v13 offset:8
	s_and_saveexec_b64 s[2:3], s[0:1]
	s_cbranch_execz .LBB200_68
; %bb.67:
	v_mov_b32_e32 v16, 0
	v_mov_b32_e32 v13, 2
	s_waitcnt lgkmcnt(0)
	global_store_dwordx2 v16, v[12:13], s[34:35] offset:512
.LBB200_68:
	s_or_b64 exec, exec, s[2:3]
	v_cmp_eq_u32_e32 vcc, 0, v26
	s_waitcnt lgkmcnt(1)
	v_cndmask_b32_e32 v14, v15, v14, vcc
	v_cndmask_b32_e64 v16, v14, 0, s[0:1]
	v_add_u32_sdwa v17, v16, v24 dst_sel:DWORD dst_unused:UNUSED_PAD src0_sel:DWORD src1_sel:BYTE_0
	v_add_u32_sdwa v15, v17, v24 dst_sel:DWORD dst_unused:UNUSED_PAD src0_sel:DWORD src1_sel:BYTE_1
	v_mov_b32_e32 v13, 0
	v_add_u32_e32 v14, v15, v25
	s_waitcnt lgkmcnt(0)
	s_barrier
.LBB200_69:
	s_waitcnt lgkmcnt(0)
	v_add_u32_e32 v19, v12, v22
	v_sub_u32_e32 v16, v16, v13
	v_and_b32_e32 v21, 1, v24
	v_sub_u32_e32 v20, v19, v16
	v_cmp_eq_u32_e32 vcc, 1, v21
	v_cndmask_b32_e32 v16, v20, v16, vcc
	v_lshlrev_b32_e32 v16, 3, v16
	v_lshrrev_b32_e32 v18, 8, v24
	ds_write_b64 v16, v[6:7]
	v_sub_u32_e32 v6, v17, v13
	v_sub_u32_e32 v7, v19, v6
	v_and_b32_e32 v16, 1, v18
	v_add_u32_e32 v7, 1, v7
	v_cmp_eq_u32_e32 vcc, 1, v16
	v_cndmask_b32_e32 v6, v7, v6, vcc
	v_lshlrev_b32_e32 v6, 3, v6
	ds_write_b64 v6, v[8:9]
	v_sub_u32_e32 v6, v15, v13
	v_mov_b32_e32 v8, 1
	v_sub_u32_e32 v7, v19, v6
	v_and_b32_sdwa v8, v8, v24 dst_sel:DWORD dst_unused:UNUSED_PAD src0_sel:DWORD src1_sel:WORD_1
	v_add_u32_e32 v7, 2, v7
	v_cmp_eq_u32_e32 vcc, 1, v8
	v_cndmask_b32_e32 v6, v7, v6, vcc
	v_lshlrev_b32_e32 v6, 3, v6
	ds_write_b64 v6, v[2:3]
	v_sub_u32_e32 v2, v14, v13
	v_sub_u32_e32 v3, v19, v2
	v_and_b32_e32 v6, 1, v23
	v_add_u32_e32 v3, 3, v3
	v_cmp_eq_u32_e32 vcc, 1, v6
	v_cndmask_b32_e32 v2, v3, v2, vcc
	s_add_u32 s2, s18, s28
	v_lshlrev_b32_e32 v2, 3, v2
	s_addc_u32 s3, s19, 0
	ds_write_b64 v2, v[4:5]
	s_waitcnt lgkmcnt(0)
	s_barrier
	ds_read2st64_b64 v[6:9], v1 offset1:3
	ds_read2st64_b64 v[2:5], v1 offset0:6 offset1:9
	s_waitcnt vmcnt(0)
	v_add_co_u32_e32 v1, vcc, v10, v13
	s_sub_u32 s2, s26, s2
	v_addc_co_u32_e32 v13, vcc, 0, v11, vcc
	s_subb_u32 s3, s27, s3
	v_mov_b32_e32 v10, s3
	v_add_co_u32_e32 v11, vcc, s2, v12
	v_addc_co_u32_e32 v10, vcc, 0, v10, vcc
	v_add_co_u32_e64 v15, s[2:3], v11, v1
	v_add_u32_e32 v18, 0xc0, v0
	v_add_u32_e32 v17, 0x180, v0
	;; [unrolled: 1-line block ×3, first 2 shown]
	s_andn2_b64 vcc, exec, s[30:31]
	v_addc_co_u32_e64 v16, s[2:3], v10, v13, s[2:3]
	s_cbranch_vccnz .LBB200_90
; %bb.70:
	v_cmp_ge_u32_e32 vcc, v0, v12
                                        ; implicit-def: $vgpr10_vgpr11
	s_and_saveexec_b64 s[2:3], vcc
	s_xor_b64 s[2:3], exec, s[2:3]
; %bb.71:
	v_not_b32_e32 v10, v0
	v_ashrrev_i32_e32 v11, 31, v10
	v_add_co_u32_e32 v10, vcc, v15, v10
	v_addc_co_u32_e32 v11, vcc, v16, v11, vcc
; %bb.72:
	s_andn2_saveexec_b64 s[2:3], s[2:3]
; %bb.73:
	v_add_co_u32_e32 v10, vcc, v1, v0
	v_addc_co_u32_e32 v11, vcc, 0, v13, vcc
; %bb.74:
	s_or_b64 exec, exec, s[2:3]
	v_lshlrev_b64 v[10:11], 3, v[10:11]
	v_mov_b32_e32 v19, s25
	v_add_co_u32_e32 v10, vcc, s24, v10
	v_addc_co_u32_e32 v11, vcc, v19, v11, vcc
	v_cmp_ge_u32_e32 vcc, v18, v12
	s_waitcnt lgkmcnt(1)
	global_store_dwordx2 v[10:11], v[6:7], off
                                        ; implicit-def: $vgpr10_vgpr11
	s_and_saveexec_b64 s[2:3], vcc
	s_xor_b64 s[2:3], exec, s[2:3]
; %bb.75:
	v_sub_u32_e32 v10, 0xffffff3f, v0
	v_ashrrev_i32_e32 v11, 31, v10
	v_add_co_u32_e32 v10, vcc, v15, v10
	v_addc_co_u32_e32 v11, vcc, v16, v11, vcc
; %bb.76:
	s_andn2_saveexec_b64 s[2:3], s[2:3]
; %bb.77:
	v_add_co_u32_e32 v10, vcc, v1, v18
	v_addc_co_u32_e32 v11, vcc, 0, v13, vcc
; %bb.78:
	s_or_b64 exec, exec, s[2:3]
	v_lshlrev_b64 v[10:11], 3, v[10:11]
	v_mov_b32_e32 v19, s25
	v_add_co_u32_e32 v10, vcc, s24, v10
	v_addc_co_u32_e32 v11, vcc, v19, v11, vcc
	v_cmp_ge_u32_e32 vcc, v17, v12
	global_store_dwordx2 v[10:11], v[8:9], off
                                        ; implicit-def: $vgpr10_vgpr11
	s_and_saveexec_b64 s[2:3], vcc
	s_xor_b64 s[2:3], exec, s[2:3]
; %bb.79:
	v_sub_u32_e32 v10, 0xfffffe7f, v0
	v_ashrrev_i32_e32 v11, 31, v10
	v_add_co_u32_e32 v10, vcc, v15, v10
	v_addc_co_u32_e32 v11, vcc, v16, v11, vcc
; %bb.80:
	s_andn2_saveexec_b64 s[2:3], s[2:3]
; %bb.81:
	v_add_co_u32_e32 v10, vcc, v1, v17
	v_addc_co_u32_e32 v11, vcc, 0, v13, vcc
; %bb.82:
	s_or_b64 exec, exec, s[2:3]
	v_lshlrev_b64 v[10:11], 3, v[10:11]
	v_mov_b32_e32 v19, s25
	v_add_co_u32_e32 v10, vcc, s24, v10
	v_addc_co_u32_e32 v11, vcc, v19, v11, vcc
	v_cmp_ge_u32_e32 vcc, v14, v12
	s_waitcnt lgkmcnt(0)
	global_store_dwordx2 v[10:11], v[2:3], off
                                        ; implicit-def: $vgpr10_vgpr11
	s_and_saveexec_b64 s[2:3], vcc
	s_xor_b64 s[2:3], exec, s[2:3]
; %bb.83:
	v_sub_u32_e32 v10, 0xfffffdbf, v0
	v_ashrrev_i32_e32 v11, 31, v10
	v_add_co_u32_e32 v10, vcc, v15, v10
	v_addc_co_u32_e32 v11, vcc, v16, v11, vcc
; %bb.84:
	s_andn2_saveexec_b64 s[2:3], s[2:3]
; %bb.85:
	v_add_co_u32_e32 v10, vcc, v1, v14
	v_addc_co_u32_e32 v11, vcc, 0, v13, vcc
; %bb.86:
	s_or_b64 exec, exec, s[2:3]
	s_mov_b64 s[2:3], -1
.LBB200_87:
	s_and_saveexec_b64 s[4:5], s[2:3]
	s_cbranch_execz .LBB200_100
.LBB200_88:
	s_waitcnt lgkmcnt(0)
	v_lshlrev_b64 v[2:3], 3, v[10:11]
	v_mov_b32_e32 v0, s25
	v_add_co_u32_e32 v2, vcc, s24, v2
	v_addc_co_u32_e32 v3, vcc, v0, v3, vcc
	global_store_dwordx2 v[2:3], v[4:5], off
	s_or_b64 exec, exec, s[4:5]
	s_and_b64 s[0:1], s[0:1], s[22:23]
	s_and_saveexec_b64 s[2:3], s[0:1]
	s_cbranch_execnz .LBB200_101
.LBB200_89:
	s_endpgm
.LBB200_90:
	s_mov_b64 s[2:3], 0
                                        ; implicit-def: $vgpr10_vgpr11
	s_cbranch_execz .LBB200_87
; %bb.91:
	v_cmp_gt_u32_e32 vcc, s33, v0
	s_and_saveexec_b64 s[4:5], vcc
	s_cbranch_execz .LBB200_102
; %bb.92:
	v_cmp_ge_u32_e32 vcc, v0, v12
                                        ; implicit-def: $vgpr10_vgpr11
	s_and_saveexec_b64 s[6:7], vcc
	s_xor_b64 s[6:7], exec, s[6:7]
; %bb.93:
	v_not_b32_e32 v10, v0
	v_ashrrev_i32_e32 v11, 31, v10
	v_add_co_u32_e32 v10, vcc, v15, v10
	v_addc_co_u32_e32 v11, vcc, v16, v11, vcc
; %bb.94:
	s_andn2_saveexec_b64 s[6:7], s[6:7]
; %bb.95:
	v_add_co_u32_e32 v10, vcc, v1, v0
	v_addc_co_u32_e32 v11, vcc, 0, v13, vcc
; %bb.96:
	s_or_b64 exec, exec, s[6:7]
	v_lshlrev_b64 v[10:11], 3, v[10:11]
	v_mov_b32_e32 v19, s25
	v_add_co_u32_e32 v10, vcc, s24, v10
	v_addc_co_u32_e32 v11, vcc, v19, v11, vcc
	s_waitcnt lgkmcnt(1)
	global_store_dwordx2 v[10:11], v[6:7], off
	s_or_b64 exec, exec, s[4:5]
	v_cmp_gt_u32_e32 vcc, s33, v18
	s_and_saveexec_b64 s[4:5], vcc
	s_cbranch_execnz .LBB200_103
.LBB200_97:
	s_or_b64 exec, exec, s[4:5]
	v_cmp_gt_u32_e32 vcc, s33, v17
	s_and_saveexec_b64 s[4:5], vcc
	s_cbranch_execnz .LBB200_108
.LBB200_98:
	s_or_b64 exec, exec, s[4:5]
	v_cmp_gt_u32_e32 vcc, s33, v14
                                        ; implicit-def: $vgpr10_vgpr11
	s_and_saveexec_b64 s[4:5], vcc
	s_cbranch_execnz .LBB200_113
.LBB200_99:
	s_or_b64 exec, exec, s[4:5]
	s_and_saveexec_b64 s[4:5], s[2:3]
	s_cbranch_execnz .LBB200_88
.LBB200_100:
	s_or_b64 exec, exec, s[4:5]
	s_and_b64 s[0:1], s[0:1], s[22:23]
	s_and_saveexec_b64 s[2:3], s[0:1]
	s_cbranch_execz .LBB200_89
.LBB200_101:
	v_add_co_u32_e32 v0, vcc, v1, v12
	s_waitcnt lgkmcnt(0)
	v_mov_b32_e32 v2, 0
	v_addc_co_u32_e32 v1, vcc, 0, v13, vcc
	global_store_dwordx2 v2, v[0:1], s[20:21]
	s_endpgm
.LBB200_102:
	s_or_b64 exec, exec, s[4:5]
	v_cmp_gt_u32_e32 vcc, s33, v18
	s_and_saveexec_b64 s[4:5], vcc
	s_cbranch_execz .LBB200_97
.LBB200_103:
	v_cmp_ge_u32_e32 vcc, v18, v12
                                        ; implicit-def: $vgpr6_vgpr7
	s_and_saveexec_b64 s[6:7], vcc
	s_xor_b64 s[6:7], exec, s[6:7]
	s_cbranch_execz .LBB200_105
; %bb.104:
	s_waitcnt lgkmcnt(1)
	v_sub_u32_e32 v6, 0xffffff3f, v0
	v_ashrrev_i32_e32 v7, 31, v6
	v_add_co_u32_e32 v6, vcc, v15, v6
	v_addc_co_u32_e32 v7, vcc, v16, v7, vcc
                                        ; implicit-def: $vgpr18
.LBB200_105:
	s_andn2_saveexec_b64 s[6:7], s[6:7]
	s_cbranch_execz .LBB200_107
; %bb.106:
	s_waitcnt lgkmcnt(1)
	v_add_co_u32_e32 v6, vcc, v1, v18
	v_addc_co_u32_e32 v7, vcc, 0, v13, vcc
.LBB200_107:
	s_or_b64 exec, exec, s[6:7]
	s_waitcnt lgkmcnt(1)
	v_lshlrev_b64 v[6:7], 3, v[6:7]
	v_mov_b32_e32 v10, s25
	v_add_co_u32_e32 v6, vcc, s24, v6
	v_addc_co_u32_e32 v7, vcc, v10, v7, vcc
	global_store_dwordx2 v[6:7], v[8:9], off
	s_or_b64 exec, exec, s[4:5]
	v_cmp_gt_u32_e32 vcc, s33, v17
	s_and_saveexec_b64 s[4:5], vcc
	s_cbranch_execz .LBB200_98
.LBB200_108:
	v_cmp_ge_u32_e32 vcc, v17, v12
                                        ; implicit-def: $vgpr6_vgpr7
	s_and_saveexec_b64 s[6:7], vcc
	s_xor_b64 s[6:7], exec, s[6:7]
	s_cbranch_execz .LBB200_110
; %bb.109:
	s_waitcnt lgkmcnt(1)
	v_sub_u32_e32 v6, 0xfffffe7f, v0
	v_ashrrev_i32_e32 v7, 31, v6
	v_add_co_u32_e32 v6, vcc, v15, v6
	v_addc_co_u32_e32 v7, vcc, v16, v7, vcc
                                        ; implicit-def: $vgpr17
.LBB200_110:
	s_andn2_saveexec_b64 s[6:7], s[6:7]
	s_cbranch_execz .LBB200_112
; %bb.111:
	s_waitcnt lgkmcnt(1)
	v_add_co_u32_e32 v6, vcc, v1, v17
	v_addc_co_u32_e32 v7, vcc, 0, v13, vcc
.LBB200_112:
	s_or_b64 exec, exec, s[6:7]
	s_waitcnt lgkmcnt(1)
	v_lshlrev_b64 v[6:7], 3, v[6:7]
	v_mov_b32_e32 v8, s25
	v_add_co_u32_e32 v6, vcc, s24, v6
	v_addc_co_u32_e32 v7, vcc, v8, v7, vcc
	s_waitcnt lgkmcnt(0)
	global_store_dwordx2 v[6:7], v[2:3], off
	s_or_b64 exec, exec, s[4:5]
	v_cmp_gt_u32_e32 vcc, s33, v14
                                        ; implicit-def: $vgpr10_vgpr11
	s_and_saveexec_b64 s[4:5], vcc
	s_cbranch_execz .LBB200_99
.LBB200_113:
	v_cmp_ge_u32_e32 vcc, v14, v12
                                        ; implicit-def: $vgpr10_vgpr11
	s_and_saveexec_b64 s[6:7], vcc
	s_xor_b64 s[6:7], exec, s[6:7]
	s_cbranch_execz .LBB200_115
; %bb.114:
	v_sub_u32_e32 v0, 0xfffffdbf, v0
	s_waitcnt lgkmcnt(0)
	v_ashrrev_i32_e32 v2, 31, v0
	v_add_co_u32_e32 v10, vcc, v15, v0
	v_addc_co_u32_e32 v11, vcc, v16, v2, vcc
                                        ; implicit-def: $vgpr14
.LBB200_115:
	s_andn2_saveexec_b64 s[6:7], s[6:7]
; %bb.116:
	v_add_co_u32_e32 v10, vcc, v1, v14
	v_addc_co_u32_e32 v11, vcc, 0, v13, vcc
; %bb.117:
	s_or_b64 exec, exec, s[6:7]
	s_or_b64 s[2:3], s[2:3], exec
	s_or_b64 exec, exec, s[4:5]
	s_and_saveexec_b64 s[4:5], s[2:3]
	s_cbranch_execnz .LBB200_88
	s_branch .LBB200_100
	.section	.rodata,"a",@progbits
	.p2align	6, 0x0
	.amdhsa_kernel _ZN7rocprim17ROCPRIM_400000_NS6detail17trampoline_kernelINS0_14default_configENS1_25partition_config_selectorILNS1_17partition_subalgoE2ExNS0_10empty_typeEbEEZZNS1_14partition_implILS5_2ELb0ES3_jN6thrust23THRUST_200600_302600_NS6detail15normal_iteratorINSA_7pointerIxNSA_11hip_rocprim3tagENSA_11use_defaultESG_EEEEPS6_NSA_18transform_iteratorI7is_evenIxENSC_INSA_10device_ptrIxEEEESG_SG_EENS0_5tupleIJPxSJ_EEENSR_IJSJ_SJ_EEES6_PlJS6_EEE10hipError_tPvRmT3_T4_T5_T6_T7_T9_mT8_P12ihipStream_tbDpT10_ENKUlT_T0_E_clISt17integral_constantIbLb1EES1F_EEDaS1A_S1B_EUlS1A_E_NS1_11comp_targetILNS1_3genE4ELNS1_11target_archE910ELNS1_3gpuE8ELNS1_3repE0EEENS1_30default_config_static_selectorELNS0_4arch9wavefront6targetE1EEEvT1_
		.amdhsa_group_segment_fixed_size 6344
		.amdhsa_private_segment_fixed_size 0
		.amdhsa_kernarg_size 144
		.amdhsa_user_sgpr_count 6
		.amdhsa_user_sgpr_private_segment_buffer 1
		.amdhsa_user_sgpr_dispatch_ptr 0
		.amdhsa_user_sgpr_queue_ptr 0
		.amdhsa_user_sgpr_kernarg_segment_ptr 1
		.amdhsa_user_sgpr_dispatch_id 0
		.amdhsa_user_sgpr_flat_scratch_init 0
		.amdhsa_user_sgpr_kernarg_preload_length 0
		.amdhsa_user_sgpr_kernarg_preload_offset 0
		.amdhsa_user_sgpr_private_segment_size 0
		.amdhsa_uses_dynamic_stack 0
		.amdhsa_system_sgpr_private_segment_wavefront_offset 0
		.amdhsa_system_sgpr_workgroup_id_x 1
		.amdhsa_system_sgpr_workgroup_id_y 0
		.amdhsa_system_sgpr_workgroup_id_z 0
		.amdhsa_system_sgpr_workgroup_info 0
		.amdhsa_system_vgpr_workitem_id 0
		.amdhsa_next_free_vgpr 45
		.amdhsa_next_free_sgpr 46
		.amdhsa_accum_offset 48
		.amdhsa_reserve_vcc 1
		.amdhsa_reserve_flat_scratch 0
		.amdhsa_float_round_mode_32 0
		.amdhsa_float_round_mode_16_64 0
		.amdhsa_float_denorm_mode_32 3
		.amdhsa_float_denorm_mode_16_64 3
		.amdhsa_dx10_clamp 1
		.amdhsa_ieee_mode 1
		.amdhsa_fp16_overflow 0
		.amdhsa_tg_split 0
		.amdhsa_exception_fp_ieee_invalid_op 0
		.amdhsa_exception_fp_denorm_src 0
		.amdhsa_exception_fp_ieee_div_zero 0
		.amdhsa_exception_fp_ieee_overflow 0
		.amdhsa_exception_fp_ieee_underflow 0
		.amdhsa_exception_fp_ieee_inexact 0
		.amdhsa_exception_int_div_zero 0
	.end_amdhsa_kernel
	.section	.text._ZN7rocprim17ROCPRIM_400000_NS6detail17trampoline_kernelINS0_14default_configENS1_25partition_config_selectorILNS1_17partition_subalgoE2ExNS0_10empty_typeEbEEZZNS1_14partition_implILS5_2ELb0ES3_jN6thrust23THRUST_200600_302600_NS6detail15normal_iteratorINSA_7pointerIxNSA_11hip_rocprim3tagENSA_11use_defaultESG_EEEEPS6_NSA_18transform_iteratorI7is_evenIxENSC_INSA_10device_ptrIxEEEESG_SG_EENS0_5tupleIJPxSJ_EEENSR_IJSJ_SJ_EEES6_PlJS6_EEE10hipError_tPvRmT3_T4_T5_T6_T7_T9_mT8_P12ihipStream_tbDpT10_ENKUlT_T0_E_clISt17integral_constantIbLb1EES1F_EEDaS1A_S1B_EUlS1A_E_NS1_11comp_targetILNS1_3genE4ELNS1_11target_archE910ELNS1_3gpuE8ELNS1_3repE0EEENS1_30default_config_static_selectorELNS0_4arch9wavefront6targetE1EEEvT1_,"axG",@progbits,_ZN7rocprim17ROCPRIM_400000_NS6detail17trampoline_kernelINS0_14default_configENS1_25partition_config_selectorILNS1_17partition_subalgoE2ExNS0_10empty_typeEbEEZZNS1_14partition_implILS5_2ELb0ES3_jN6thrust23THRUST_200600_302600_NS6detail15normal_iteratorINSA_7pointerIxNSA_11hip_rocprim3tagENSA_11use_defaultESG_EEEEPS6_NSA_18transform_iteratorI7is_evenIxENSC_INSA_10device_ptrIxEEEESG_SG_EENS0_5tupleIJPxSJ_EEENSR_IJSJ_SJ_EEES6_PlJS6_EEE10hipError_tPvRmT3_T4_T5_T6_T7_T9_mT8_P12ihipStream_tbDpT10_ENKUlT_T0_E_clISt17integral_constantIbLb1EES1F_EEDaS1A_S1B_EUlS1A_E_NS1_11comp_targetILNS1_3genE4ELNS1_11target_archE910ELNS1_3gpuE8ELNS1_3repE0EEENS1_30default_config_static_selectorELNS0_4arch9wavefront6targetE1EEEvT1_,comdat
.Lfunc_end200:
	.size	_ZN7rocprim17ROCPRIM_400000_NS6detail17trampoline_kernelINS0_14default_configENS1_25partition_config_selectorILNS1_17partition_subalgoE2ExNS0_10empty_typeEbEEZZNS1_14partition_implILS5_2ELb0ES3_jN6thrust23THRUST_200600_302600_NS6detail15normal_iteratorINSA_7pointerIxNSA_11hip_rocprim3tagENSA_11use_defaultESG_EEEEPS6_NSA_18transform_iteratorI7is_evenIxENSC_INSA_10device_ptrIxEEEESG_SG_EENS0_5tupleIJPxSJ_EEENSR_IJSJ_SJ_EEES6_PlJS6_EEE10hipError_tPvRmT3_T4_T5_T6_T7_T9_mT8_P12ihipStream_tbDpT10_ENKUlT_T0_E_clISt17integral_constantIbLb1EES1F_EEDaS1A_S1B_EUlS1A_E_NS1_11comp_targetILNS1_3genE4ELNS1_11target_archE910ELNS1_3gpuE8ELNS1_3repE0EEENS1_30default_config_static_selectorELNS0_4arch9wavefront6targetE1EEEvT1_, .Lfunc_end200-_ZN7rocprim17ROCPRIM_400000_NS6detail17trampoline_kernelINS0_14default_configENS1_25partition_config_selectorILNS1_17partition_subalgoE2ExNS0_10empty_typeEbEEZZNS1_14partition_implILS5_2ELb0ES3_jN6thrust23THRUST_200600_302600_NS6detail15normal_iteratorINSA_7pointerIxNSA_11hip_rocprim3tagENSA_11use_defaultESG_EEEEPS6_NSA_18transform_iteratorI7is_evenIxENSC_INSA_10device_ptrIxEEEESG_SG_EENS0_5tupleIJPxSJ_EEENSR_IJSJ_SJ_EEES6_PlJS6_EEE10hipError_tPvRmT3_T4_T5_T6_T7_T9_mT8_P12ihipStream_tbDpT10_ENKUlT_T0_E_clISt17integral_constantIbLb1EES1F_EEDaS1A_S1B_EUlS1A_E_NS1_11comp_targetILNS1_3genE4ELNS1_11target_archE910ELNS1_3gpuE8ELNS1_3repE0EEENS1_30default_config_static_selectorELNS0_4arch9wavefront6targetE1EEEvT1_
                                        ; -- End function
	.section	.AMDGPU.csdata,"",@progbits
; Kernel info:
; codeLenInByte = 4564
; NumSgprs: 50
; NumVgprs: 45
; NumAgprs: 0
; TotalNumVgprs: 45
; ScratchSize: 0
; MemoryBound: 0
; FloatMode: 240
; IeeeMode: 1
; LDSByteSize: 6344 bytes/workgroup (compile time only)
; SGPRBlocks: 6
; VGPRBlocks: 5
; NumSGPRsForWavesPerEU: 50
; NumVGPRsForWavesPerEU: 45
; AccumOffset: 48
; Occupancy: 8
; WaveLimiterHint : 1
; COMPUTE_PGM_RSRC2:SCRATCH_EN: 0
; COMPUTE_PGM_RSRC2:USER_SGPR: 6
; COMPUTE_PGM_RSRC2:TRAP_HANDLER: 0
; COMPUTE_PGM_RSRC2:TGID_X_EN: 1
; COMPUTE_PGM_RSRC2:TGID_Y_EN: 0
; COMPUTE_PGM_RSRC2:TGID_Z_EN: 0
; COMPUTE_PGM_RSRC2:TIDIG_COMP_CNT: 0
; COMPUTE_PGM_RSRC3_GFX90A:ACCUM_OFFSET: 11
; COMPUTE_PGM_RSRC3_GFX90A:TG_SPLIT: 0
	.section	.text._ZN7rocprim17ROCPRIM_400000_NS6detail17trampoline_kernelINS0_14default_configENS1_25partition_config_selectorILNS1_17partition_subalgoE2ExNS0_10empty_typeEbEEZZNS1_14partition_implILS5_2ELb0ES3_jN6thrust23THRUST_200600_302600_NS6detail15normal_iteratorINSA_7pointerIxNSA_11hip_rocprim3tagENSA_11use_defaultESG_EEEEPS6_NSA_18transform_iteratorI7is_evenIxENSC_INSA_10device_ptrIxEEEESG_SG_EENS0_5tupleIJPxSJ_EEENSR_IJSJ_SJ_EEES6_PlJS6_EEE10hipError_tPvRmT3_T4_T5_T6_T7_T9_mT8_P12ihipStream_tbDpT10_ENKUlT_T0_E_clISt17integral_constantIbLb1EES1F_EEDaS1A_S1B_EUlS1A_E_NS1_11comp_targetILNS1_3genE3ELNS1_11target_archE908ELNS1_3gpuE7ELNS1_3repE0EEENS1_30default_config_static_selectorELNS0_4arch9wavefront6targetE1EEEvT1_,"axG",@progbits,_ZN7rocprim17ROCPRIM_400000_NS6detail17trampoline_kernelINS0_14default_configENS1_25partition_config_selectorILNS1_17partition_subalgoE2ExNS0_10empty_typeEbEEZZNS1_14partition_implILS5_2ELb0ES3_jN6thrust23THRUST_200600_302600_NS6detail15normal_iteratorINSA_7pointerIxNSA_11hip_rocprim3tagENSA_11use_defaultESG_EEEEPS6_NSA_18transform_iteratorI7is_evenIxENSC_INSA_10device_ptrIxEEEESG_SG_EENS0_5tupleIJPxSJ_EEENSR_IJSJ_SJ_EEES6_PlJS6_EEE10hipError_tPvRmT3_T4_T5_T6_T7_T9_mT8_P12ihipStream_tbDpT10_ENKUlT_T0_E_clISt17integral_constantIbLb1EES1F_EEDaS1A_S1B_EUlS1A_E_NS1_11comp_targetILNS1_3genE3ELNS1_11target_archE908ELNS1_3gpuE7ELNS1_3repE0EEENS1_30default_config_static_selectorELNS0_4arch9wavefront6targetE1EEEvT1_,comdat
	.protected	_ZN7rocprim17ROCPRIM_400000_NS6detail17trampoline_kernelINS0_14default_configENS1_25partition_config_selectorILNS1_17partition_subalgoE2ExNS0_10empty_typeEbEEZZNS1_14partition_implILS5_2ELb0ES3_jN6thrust23THRUST_200600_302600_NS6detail15normal_iteratorINSA_7pointerIxNSA_11hip_rocprim3tagENSA_11use_defaultESG_EEEEPS6_NSA_18transform_iteratorI7is_evenIxENSC_INSA_10device_ptrIxEEEESG_SG_EENS0_5tupleIJPxSJ_EEENSR_IJSJ_SJ_EEES6_PlJS6_EEE10hipError_tPvRmT3_T4_T5_T6_T7_T9_mT8_P12ihipStream_tbDpT10_ENKUlT_T0_E_clISt17integral_constantIbLb1EES1F_EEDaS1A_S1B_EUlS1A_E_NS1_11comp_targetILNS1_3genE3ELNS1_11target_archE908ELNS1_3gpuE7ELNS1_3repE0EEENS1_30default_config_static_selectorELNS0_4arch9wavefront6targetE1EEEvT1_ ; -- Begin function _ZN7rocprim17ROCPRIM_400000_NS6detail17trampoline_kernelINS0_14default_configENS1_25partition_config_selectorILNS1_17partition_subalgoE2ExNS0_10empty_typeEbEEZZNS1_14partition_implILS5_2ELb0ES3_jN6thrust23THRUST_200600_302600_NS6detail15normal_iteratorINSA_7pointerIxNSA_11hip_rocprim3tagENSA_11use_defaultESG_EEEEPS6_NSA_18transform_iteratorI7is_evenIxENSC_INSA_10device_ptrIxEEEESG_SG_EENS0_5tupleIJPxSJ_EEENSR_IJSJ_SJ_EEES6_PlJS6_EEE10hipError_tPvRmT3_T4_T5_T6_T7_T9_mT8_P12ihipStream_tbDpT10_ENKUlT_T0_E_clISt17integral_constantIbLb1EES1F_EEDaS1A_S1B_EUlS1A_E_NS1_11comp_targetILNS1_3genE3ELNS1_11target_archE908ELNS1_3gpuE7ELNS1_3repE0EEENS1_30default_config_static_selectorELNS0_4arch9wavefront6targetE1EEEvT1_
	.globl	_ZN7rocprim17ROCPRIM_400000_NS6detail17trampoline_kernelINS0_14default_configENS1_25partition_config_selectorILNS1_17partition_subalgoE2ExNS0_10empty_typeEbEEZZNS1_14partition_implILS5_2ELb0ES3_jN6thrust23THRUST_200600_302600_NS6detail15normal_iteratorINSA_7pointerIxNSA_11hip_rocprim3tagENSA_11use_defaultESG_EEEEPS6_NSA_18transform_iteratorI7is_evenIxENSC_INSA_10device_ptrIxEEEESG_SG_EENS0_5tupleIJPxSJ_EEENSR_IJSJ_SJ_EEES6_PlJS6_EEE10hipError_tPvRmT3_T4_T5_T6_T7_T9_mT8_P12ihipStream_tbDpT10_ENKUlT_T0_E_clISt17integral_constantIbLb1EES1F_EEDaS1A_S1B_EUlS1A_E_NS1_11comp_targetILNS1_3genE3ELNS1_11target_archE908ELNS1_3gpuE7ELNS1_3repE0EEENS1_30default_config_static_selectorELNS0_4arch9wavefront6targetE1EEEvT1_
	.p2align	8
	.type	_ZN7rocprim17ROCPRIM_400000_NS6detail17trampoline_kernelINS0_14default_configENS1_25partition_config_selectorILNS1_17partition_subalgoE2ExNS0_10empty_typeEbEEZZNS1_14partition_implILS5_2ELb0ES3_jN6thrust23THRUST_200600_302600_NS6detail15normal_iteratorINSA_7pointerIxNSA_11hip_rocprim3tagENSA_11use_defaultESG_EEEEPS6_NSA_18transform_iteratorI7is_evenIxENSC_INSA_10device_ptrIxEEEESG_SG_EENS0_5tupleIJPxSJ_EEENSR_IJSJ_SJ_EEES6_PlJS6_EEE10hipError_tPvRmT3_T4_T5_T6_T7_T9_mT8_P12ihipStream_tbDpT10_ENKUlT_T0_E_clISt17integral_constantIbLb1EES1F_EEDaS1A_S1B_EUlS1A_E_NS1_11comp_targetILNS1_3genE3ELNS1_11target_archE908ELNS1_3gpuE7ELNS1_3repE0EEENS1_30default_config_static_selectorELNS0_4arch9wavefront6targetE1EEEvT1_,@function
_ZN7rocprim17ROCPRIM_400000_NS6detail17trampoline_kernelINS0_14default_configENS1_25partition_config_selectorILNS1_17partition_subalgoE2ExNS0_10empty_typeEbEEZZNS1_14partition_implILS5_2ELb0ES3_jN6thrust23THRUST_200600_302600_NS6detail15normal_iteratorINSA_7pointerIxNSA_11hip_rocprim3tagENSA_11use_defaultESG_EEEEPS6_NSA_18transform_iteratorI7is_evenIxENSC_INSA_10device_ptrIxEEEESG_SG_EENS0_5tupleIJPxSJ_EEENSR_IJSJ_SJ_EEES6_PlJS6_EEE10hipError_tPvRmT3_T4_T5_T6_T7_T9_mT8_P12ihipStream_tbDpT10_ENKUlT_T0_E_clISt17integral_constantIbLb1EES1F_EEDaS1A_S1B_EUlS1A_E_NS1_11comp_targetILNS1_3genE3ELNS1_11target_archE908ELNS1_3gpuE7ELNS1_3repE0EEENS1_30default_config_static_selectorELNS0_4arch9wavefront6targetE1EEEvT1_: ; @_ZN7rocprim17ROCPRIM_400000_NS6detail17trampoline_kernelINS0_14default_configENS1_25partition_config_selectorILNS1_17partition_subalgoE2ExNS0_10empty_typeEbEEZZNS1_14partition_implILS5_2ELb0ES3_jN6thrust23THRUST_200600_302600_NS6detail15normal_iteratorINSA_7pointerIxNSA_11hip_rocprim3tagENSA_11use_defaultESG_EEEEPS6_NSA_18transform_iteratorI7is_evenIxENSC_INSA_10device_ptrIxEEEESG_SG_EENS0_5tupleIJPxSJ_EEENSR_IJSJ_SJ_EEES6_PlJS6_EEE10hipError_tPvRmT3_T4_T5_T6_T7_T9_mT8_P12ihipStream_tbDpT10_ENKUlT_T0_E_clISt17integral_constantIbLb1EES1F_EEDaS1A_S1B_EUlS1A_E_NS1_11comp_targetILNS1_3genE3ELNS1_11target_archE908ELNS1_3gpuE7ELNS1_3repE0EEENS1_30default_config_static_selectorELNS0_4arch9wavefront6targetE1EEEvT1_
; %bb.0:
	.section	.rodata,"a",@progbits
	.p2align	6, 0x0
	.amdhsa_kernel _ZN7rocprim17ROCPRIM_400000_NS6detail17trampoline_kernelINS0_14default_configENS1_25partition_config_selectorILNS1_17partition_subalgoE2ExNS0_10empty_typeEbEEZZNS1_14partition_implILS5_2ELb0ES3_jN6thrust23THRUST_200600_302600_NS6detail15normal_iteratorINSA_7pointerIxNSA_11hip_rocprim3tagENSA_11use_defaultESG_EEEEPS6_NSA_18transform_iteratorI7is_evenIxENSC_INSA_10device_ptrIxEEEESG_SG_EENS0_5tupleIJPxSJ_EEENSR_IJSJ_SJ_EEES6_PlJS6_EEE10hipError_tPvRmT3_T4_T5_T6_T7_T9_mT8_P12ihipStream_tbDpT10_ENKUlT_T0_E_clISt17integral_constantIbLb1EES1F_EEDaS1A_S1B_EUlS1A_E_NS1_11comp_targetILNS1_3genE3ELNS1_11target_archE908ELNS1_3gpuE7ELNS1_3repE0EEENS1_30default_config_static_selectorELNS0_4arch9wavefront6targetE1EEEvT1_
		.amdhsa_group_segment_fixed_size 0
		.amdhsa_private_segment_fixed_size 0
		.amdhsa_kernarg_size 144
		.amdhsa_user_sgpr_count 6
		.amdhsa_user_sgpr_private_segment_buffer 1
		.amdhsa_user_sgpr_dispatch_ptr 0
		.amdhsa_user_sgpr_queue_ptr 0
		.amdhsa_user_sgpr_kernarg_segment_ptr 1
		.amdhsa_user_sgpr_dispatch_id 0
		.amdhsa_user_sgpr_flat_scratch_init 0
		.amdhsa_user_sgpr_kernarg_preload_length 0
		.amdhsa_user_sgpr_kernarg_preload_offset 0
		.amdhsa_user_sgpr_private_segment_size 0
		.amdhsa_uses_dynamic_stack 0
		.amdhsa_system_sgpr_private_segment_wavefront_offset 0
		.amdhsa_system_sgpr_workgroup_id_x 1
		.amdhsa_system_sgpr_workgroup_id_y 0
		.amdhsa_system_sgpr_workgroup_id_z 0
		.amdhsa_system_sgpr_workgroup_info 0
		.amdhsa_system_vgpr_workitem_id 0
		.amdhsa_next_free_vgpr 1
		.amdhsa_next_free_sgpr 0
		.amdhsa_accum_offset 4
		.amdhsa_reserve_vcc 0
		.amdhsa_reserve_flat_scratch 0
		.amdhsa_float_round_mode_32 0
		.amdhsa_float_round_mode_16_64 0
		.amdhsa_float_denorm_mode_32 3
		.amdhsa_float_denorm_mode_16_64 3
		.amdhsa_dx10_clamp 1
		.amdhsa_ieee_mode 1
		.amdhsa_fp16_overflow 0
		.amdhsa_tg_split 0
		.amdhsa_exception_fp_ieee_invalid_op 0
		.amdhsa_exception_fp_denorm_src 0
		.amdhsa_exception_fp_ieee_div_zero 0
		.amdhsa_exception_fp_ieee_overflow 0
		.amdhsa_exception_fp_ieee_underflow 0
		.amdhsa_exception_fp_ieee_inexact 0
		.amdhsa_exception_int_div_zero 0
	.end_amdhsa_kernel
	.section	.text._ZN7rocprim17ROCPRIM_400000_NS6detail17trampoline_kernelINS0_14default_configENS1_25partition_config_selectorILNS1_17partition_subalgoE2ExNS0_10empty_typeEbEEZZNS1_14partition_implILS5_2ELb0ES3_jN6thrust23THRUST_200600_302600_NS6detail15normal_iteratorINSA_7pointerIxNSA_11hip_rocprim3tagENSA_11use_defaultESG_EEEEPS6_NSA_18transform_iteratorI7is_evenIxENSC_INSA_10device_ptrIxEEEESG_SG_EENS0_5tupleIJPxSJ_EEENSR_IJSJ_SJ_EEES6_PlJS6_EEE10hipError_tPvRmT3_T4_T5_T6_T7_T9_mT8_P12ihipStream_tbDpT10_ENKUlT_T0_E_clISt17integral_constantIbLb1EES1F_EEDaS1A_S1B_EUlS1A_E_NS1_11comp_targetILNS1_3genE3ELNS1_11target_archE908ELNS1_3gpuE7ELNS1_3repE0EEENS1_30default_config_static_selectorELNS0_4arch9wavefront6targetE1EEEvT1_,"axG",@progbits,_ZN7rocprim17ROCPRIM_400000_NS6detail17trampoline_kernelINS0_14default_configENS1_25partition_config_selectorILNS1_17partition_subalgoE2ExNS0_10empty_typeEbEEZZNS1_14partition_implILS5_2ELb0ES3_jN6thrust23THRUST_200600_302600_NS6detail15normal_iteratorINSA_7pointerIxNSA_11hip_rocprim3tagENSA_11use_defaultESG_EEEEPS6_NSA_18transform_iteratorI7is_evenIxENSC_INSA_10device_ptrIxEEEESG_SG_EENS0_5tupleIJPxSJ_EEENSR_IJSJ_SJ_EEES6_PlJS6_EEE10hipError_tPvRmT3_T4_T5_T6_T7_T9_mT8_P12ihipStream_tbDpT10_ENKUlT_T0_E_clISt17integral_constantIbLb1EES1F_EEDaS1A_S1B_EUlS1A_E_NS1_11comp_targetILNS1_3genE3ELNS1_11target_archE908ELNS1_3gpuE7ELNS1_3repE0EEENS1_30default_config_static_selectorELNS0_4arch9wavefront6targetE1EEEvT1_,comdat
.Lfunc_end201:
	.size	_ZN7rocprim17ROCPRIM_400000_NS6detail17trampoline_kernelINS0_14default_configENS1_25partition_config_selectorILNS1_17partition_subalgoE2ExNS0_10empty_typeEbEEZZNS1_14partition_implILS5_2ELb0ES3_jN6thrust23THRUST_200600_302600_NS6detail15normal_iteratorINSA_7pointerIxNSA_11hip_rocprim3tagENSA_11use_defaultESG_EEEEPS6_NSA_18transform_iteratorI7is_evenIxENSC_INSA_10device_ptrIxEEEESG_SG_EENS0_5tupleIJPxSJ_EEENSR_IJSJ_SJ_EEES6_PlJS6_EEE10hipError_tPvRmT3_T4_T5_T6_T7_T9_mT8_P12ihipStream_tbDpT10_ENKUlT_T0_E_clISt17integral_constantIbLb1EES1F_EEDaS1A_S1B_EUlS1A_E_NS1_11comp_targetILNS1_3genE3ELNS1_11target_archE908ELNS1_3gpuE7ELNS1_3repE0EEENS1_30default_config_static_selectorELNS0_4arch9wavefront6targetE1EEEvT1_, .Lfunc_end201-_ZN7rocprim17ROCPRIM_400000_NS6detail17trampoline_kernelINS0_14default_configENS1_25partition_config_selectorILNS1_17partition_subalgoE2ExNS0_10empty_typeEbEEZZNS1_14partition_implILS5_2ELb0ES3_jN6thrust23THRUST_200600_302600_NS6detail15normal_iteratorINSA_7pointerIxNSA_11hip_rocprim3tagENSA_11use_defaultESG_EEEEPS6_NSA_18transform_iteratorI7is_evenIxENSC_INSA_10device_ptrIxEEEESG_SG_EENS0_5tupleIJPxSJ_EEENSR_IJSJ_SJ_EEES6_PlJS6_EEE10hipError_tPvRmT3_T4_T5_T6_T7_T9_mT8_P12ihipStream_tbDpT10_ENKUlT_T0_E_clISt17integral_constantIbLb1EES1F_EEDaS1A_S1B_EUlS1A_E_NS1_11comp_targetILNS1_3genE3ELNS1_11target_archE908ELNS1_3gpuE7ELNS1_3repE0EEENS1_30default_config_static_selectorELNS0_4arch9wavefront6targetE1EEEvT1_
                                        ; -- End function
	.section	.AMDGPU.csdata,"",@progbits
; Kernel info:
; codeLenInByte = 0
; NumSgprs: 4
; NumVgprs: 0
; NumAgprs: 0
; TotalNumVgprs: 0
; ScratchSize: 0
; MemoryBound: 0
; FloatMode: 240
; IeeeMode: 1
; LDSByteSize: 0 bytes/workgroup (compile time only)
; SGPRBlocks: 0
; VGPRBlocks: 0
; NumSGPRsForWavesPerEU: 4
; NumVGPRsForWavesPerEU: 1
; AccumOffset: 4
; Occupancy: 8
; WaveLimiterHint : 0
; COMPUTE_PGM_RSRC2:SCRATCH_EN: 0
; COMPUTE_PGM_RSRC2:USER_SGPR: 6
; COMPUTE_PGM_RSRC2:TRAP_HANDLER: 0
; COMPUTE_PGM_RSRC2:TGID_X_EN: 1
; COMPUTE_PGM_RSRC2:TGID_Y_EN: 0
; COMPUTE_PGM_RSRC2:TGID_Z_EN: 0
; COMPUTE_PGM_RSRC2:TIDIG_COMP_CNT: 0
; COMPUTE_PGM_RSRC3_GFX90A:ACCUM_OFFSET: 0
; COMPUTE_PGM_RSRC3_GFX90A:TG_SPLIT: 0
	.section	.text._ZN7rocprim17ROCPRIM_400000_NS6detail17trampoline_kernelINS0_14default_configENS1_25partition_config_selectorILNS1_17partition_subalgoE2ExNS0_10empty_typeEbEEZZNS1_14partition_implILS5_2ELb0ES3_jN6thrust23THRUST_200600_302600_NS6detail15normal_iteratorINSA_7pointerIxNSA_11hip_rocprim3tagENSA_11use_defaultESG_EEEEPS6_NSA_18transform_iteratorI7is_evenIxENSC_INSA_10device_ptrIxEEEESG_SG_EENS0_5tupleIJPxSJ_EEENSR_IJSJ_SJ_EEES6_PlJS6_EEE10hipError_tPvRmT3_T4_T5_T6_T7_T9_mT8_P12ihipStream_tbDpT10_ENKUlT_T0_E_clISt17integral_constantIbLb1EES1F_EEDaS1A_S1B_EUlS1A_E_NS1_11comp_targetILNS1_3genE2ELNS1_11target_archE906ELNS1_3gpuE6ELNS1_3repE0EEENS1_30default_config_static_selectorELNS0_4arch9wavefront6targetE1EEEvT1_,"axG",@progbits,_ZN7rocprim17ROCPRIM_400000_NS6detail17trampoline_kernelINS0_14default_configENS1_25partition_config_selectorILNS1_17partition_subalgoE2ExNS0_10empty_typeEbEEZZNS1_14partition_implILS5_2ELb0ES3_jN6thrust23THRUST_200600_302600_NS6detail15normal_iteratorINSA_7pointerIxNSA_11hip_rocprim3tagENSA_11use_defaultESG_EEEEPS6_NSA_18transform_iteratorI7is_evenIxENSC_INSA_10device_ptrIxEEEESG_SG_EENS0_5tupleIJPxSJ_EEENSR_IJSJ_SJ_EEES6_PlJS6_EEE10hipError_tPvRmT3_T4_T5_T6_T7_T9_mT8_P12ihipStream_tbDpT10_ENKUlT_T0_E_clISt17integral_constantIbLb1EES1F_EEDaS1A_S1B_EUlS1A_E_NS1_11comp_targetILNS1_3genE2ELNS1_11target_archE906ELNS1_3gpuE6ELNS1_3repE0EEENS1_30default_config_static_selectorELNS0_4arch9wavefront6targetE1EEEvT1_,comdat
	.protected	_ZN7rocprim17ROCPRIM_400000_NS6detail17trampoline_kernelINS0_14default_configENS1_25partition_config_selectorILNS1_17partition_subalgoE2ExNS0_10empty_typeEbEEZZNS1_14partition_implILS5_2ELb0ES3_jN6thrust23THRUST_200600_302600_NS6detail15normal_iteratorINSA_7pointerIxNSA_11hip_rocprim3tagENSA_11use_defaultESG_EEEEPS6_NSA_18transform_iteratorI7is_evenIxENSC_INSA_10device_ptrIxEEEESG_SG_EENS0_5tupleIJPxSJ_EEENSR_IJSJ_SJ_EEES6_PlJS6_EEE10hipError_tPvRmT3_T4_T5_T6_T7_T9_mT8_P12ihipStream_tbDpT10_ENKUlT_T0_E_clISt17integral_constantIbLb1EES1F_EEDaS1A_S1B_EUlS1A_E_NS1_11comp_targetILNS1_3genE2ELNS1_11target_archE906ELNS1_3gpuE6ELNS1_3repE0EEENS1_30default_config_static_selectorELNS0_4arch9wavefront6targetE1EEEvT1_ ; -- Begin function _ZN7rocprim17ROCPRIM_400000_NS6detail17trampoline_kernelINS0_14default_configENS1_25partition_config_selectorILNS1_17partition_subalgoE2ExNS0_10empty_typeEbEEZZNS1_14partition_implILS5_2ELb0ES3_jN6thrust23THRUST_200600_302600_NS6detail15normal_iteratorINSA_7pointerIxNSA_11hip_rocprim3tagENSA_11use_defaultESG_EEEEPS6_NSA_18transform_iteratorI7is_evenIxENSC_INSA_10device_ptrIxEEEESG_SG_EENS0_5tupleIJPxSJ_EEENSR_IJSJ_SJ_EEES6_PlJS6_EEE10hipError_tPvRmT3_T4_T5_T6_T7_T9_mT8_P12ihipStream_tbDpT10_ENKUlT_T0_E_clISt17integral_constantIbLb1EES1F_EEDaS1A_S1B_EUlS1A_E_NS1_11comp_targetILNS1_3genE2ELNS1_11target_archE906ELNS1_3gpuE6ELNS1_3repE0EEENS1_30default_config_static_selectorELNS0_4arch9wavefront6targetE1EEEvT1_
	.globl	_ZN7rocprim17ROCPRIM_400000_NS6detail17trampoline_kernelINS0_14default_configENS1_25partition_config_selectorILNS1_17partition_subalgoE2ExNS0_10empty_typeEbEEZZNS1_14partition_implILS5_2ELb0ES3_jN6thrust23THRUST_200600_302600_NS6detail15normal_iteratorINSA_7pointerIxNSA_11hip_rocprim3tagENSA_11use_defaultESG_EEEEPS6_NSA_18transform_iteratorI7is_evenIxENSC_INSA_10device_ptrIxEEEESG_SG_EENS0_5tupleIJPxSJ_EEENSR_IJSJ_SJ_EEES6_PlJS6_EEE10hipError_tPvRmT3_T4_T5_T6_T7_T9_mT8_P12ihipStream_tbDpT10_ENKUlT_T0_E_clISt17integral_constantIbLb1EES1F_EEDaS1A_S1B_EUlS1A_E_NS1_11comp_targetILNS1_3genE2ELNS1_11target_archE906ELNS1_3gpuE6ELNS1_3repE0EEENS1_30default_config_static_selectorELNS0_4arch9wavefront6targetE1EEEvT1_
	.p2align	8
	.type	_ZN7rocprim17ROCPRIM_400000_NS6detail17trampoline_kernelINS0_14default_configENS1_25partition_config_selectorILNS1_17partition_subalgoE2ExNS0_10empty_typeEbEEZZNS1_14partition_implILS5_2ELb0ES3_jN6thrust23THRUST_200600_302600_NS6detail15normal_iteratorINSA_7pointerIxNSA_11hip_rocprim3tagENSA_11use_defaultESG_EEEEPS6_NSA_18transform_iteratorI7is_evenIxENSC_INSA_10device_ptrIxEEEESG_SG_EENS0_5tupleIJPxSJ_EEENSR_IJSJ_SJ_EEES6_PlJS6_EEE10hipError_tPvRmT3_T4_T5_T6_T7_T9_mT8_P12ihipStream_tbDpT10_ENKUlT_T0_E_clISt17integral_constantIbLb1EES1F_EEDaS1A_S1B_EUlS1A_E_NS1_11comp_targetILNS1_3genE2ELNS1_11target_archE906ELNS1_3gpuE6ELNS1_3repE0EEENS1_30default_config_static_selectorELNS0_4arch9wavefront6targetE1EEEvT1_,@function
_ZN7rocprim17ROCPRIM_400000_NS6detail17trampoline_kernelINS0_14default_configENS1_25partition_config_selectorILNS1_17partition_subalgoE2ExNS0_10empty_typeEbEEZZNS1_14partition_implILS5_2ELb0ES3_jN6thrust23THRUST_200600_302600_NS6detail15normal_iteratorINSA_7pointerIxNSA_11hip_rocprim3tagENSA_11use_defaultESG_EEEEPS6_NSA_18transform_iteratorI7is_evenIxENSC_INSA_10device_ptrIxEEEESG_SG_EENS0_5tupleIJPxSJ_EEENSR_IJSJ_SJ_EEES6_PlJS6_EEE10hipError_tPvRmT3_T4_T5_T6_T7_T9_mT8_P12ihipStream_tbDpT10_ENKUlT_T0_E_clISt17integral_constantIbLb1EES1F_EEDaS1A_S1B_EUlS1A_E_NS1_11comp_targetILNS1_3genE2ELNS1_11target_archE906ELNS1_3gpuE6ELNS1_3repE0EEENS1_30default_config_static_selectorELNS0_4arch9wavefront6targetE1EEEvT1_: ; @_ZN7rocprim17ROCPRIM_400000_NS6detail17trampoline_kernelINS0_14default_configENS1_25partition_config_selectorILNS1_17partition_subalgoE2ExNS0_10empty_typeEbEEZZNS1_14partition_implILS5_2ELb0ES3_jN6thrust23THRUST_200600_302600_NS6detail15normal_iteratorINSA_7pointerIxNSA_11hip_rocprim3tagENSA_11use_defaultESG_EEEEPS6_NSA_18transform_iteratorI7is_evenIxENSC_INSA_10device_ptrIxEEEESG_SG_EENS0_5tupleIJPxSJ_EEENSR_IJSJ_SJ_EEES6_PlJS6_EEE10hipError_tPvRmT3_T4_T5_T6_T7_T9_mT8_P12ihipStream_tbDpT10_ENKUlT_T0_E_clISt17integral_constantIbLb1EES1F_EEDaS1A_S1B_EUlS1A_E_NS1_11comp_targetILNS1_3genE2ELNS1_11target_archE906ELNS1_3gpuE6ELNS1_3repE0EEENS1_30default_config_static_selectorELNS0_4arch9wavefront6targetE1EEEvT1_
; %bb.0:
	.section	.rodata,"a",@progbits
	.p2align	6, 0x0
	.amdhsa_kernel _ZN7rocprim17ROCPRIM_400000_NS6detail17trampoline_kernelINS0_14default_configENS1_25partition_config_selectorILNS1_17partition_subalgoE2ExNS0_10empty_typeEbEEZZNS1_14partition_implILS5_2ELb0ES3_jN6thrust23THRUST_200600_302600_NS6detail15normal_iteratorINSA_7pointerIxNSA_11hip_rocprim3tagENSA_11use_defaultESG_EEEEPS6_NSA_18transform_iteratorI7is_evenIxENSC_INSA_10device_ptrIxEEEESG_SG_EENS0_5tupleIJPxSJ_EEENSR_IJSJ_SJ_EEES6_PlJS6_EEE10hipError_tPvRmT3_T4_T5_T6_T7_T9_mT8_P12ihipStream_tbDpT10_ENKUlT_T0_E_clISt17integral_constantIbLb1EES1F_EEDaS1A_S1B_EUlS1A_E_NS1_11comp_targetILNS1_3genE2ELNS1_11target_archE906ELNS1_3gpuE6ELNS1_3repE0EEENS1_30default_config_static_selectorELNS0_4arch9wavefront6targetE1EEEvT1_
		.amdhsa_group_segment_fixed_size 0
		.amdhsa_private_segment_fixed_size 0
		.amdhsa_kernarg_size 144
		.amdhsa_user_sgpr_count 6
		.amdhsa_user_sgpr_private_segment_buffer 1
		.amdhsa_user_sgpr_dispatch_ptr 0
		.amdhsa_user_sgpr_queue_ptr 0
		.amdhsa_user_sgpr_kernarg_segment_ptr 1
		.amdhsa_user_sgpr_dispatch_id 0
		.amdhsa_user_sgpr_flat_scratch_init 0
		.amdhsa_user_sgpr_kernarg_preload_length 0
		.amdhsa_user_sgpr_kernarg_preload_offset 0
		.amdhsa_user_sgpr_private_segment_size 0
		.amdhsa_uses_dynamic_stack 0
		.amdhsa_system_sgpr_private_segment_wavefront_offset 0
		.amdhsa_system_sgpr_workgroup_id_x 1
		.amdhsa_system_sgpr_workgroup_id_y 0
		.amdhsa_system_sgpr_workgroup_id_z 0
		.amdhsa_system_sgpr_workgroup_info 0
		.amdhsa_system_vgpr_workitem_id 0
		.amdhsa_next_free_vgpr 1
		.amdhsa_next_free_sgpr 0
		.amdhsa_accum_offset 4
		.amdhsa_reserve_vcc 0
		.amdhsa_reserve_flat_scratch 0
		.amdhsa_float_round_mode_32 0
		.amdhsa_float_round_mode_16_64 0
		.amdhsa_float_denorm_mode_32 3
		.amdhsa_float_denorm_mode_16_64 3
		.amdhsa_dx10_clamp 1
		.amdhsa_ieee_mode 1
		.amdhsa_fp16_overflow 0
		.amdhsa_tg_split 0
		.amdhsa_exception_fp_ieee_invalid_op 0
		.amdhsa_exception_fp_denorm_src 0
		.amdhsa_exception_fp_ieee_div_zero 0
		.amdhsa_exception_fp_ieee_overflow 0
		.amdhsa_exception_fp_ieee_underflow 0
		.amdhsa_exception_fp_ieee_inexact 0
		.amdhsa_exception_int_div_zero 0
	.end_amdhsa_kernel
	.section	.text._ZN7rocprim17ROCPRIM_400000_NS6detail17trampoline_kernelINS0_14default_configENS1_25partition_config_selectorILNS1_17partition_subalgoE2ExNS0_10empty_typeEbEEZZNS1_14partition_implILS5_2ELb0ES3_jN6thrust23THRUST_200600_302600_NS6detail15normal_iteratorINSA_7pointerIxNSA_11hip_rocprim3tagENSA_11use_defaultESG_EEEEPS6_NSA_18transform_iteratorI7is_evenIxENSC_INSA_10device_ptrIxEEEESG_SG_EENS0_5tupleIJPxSJ_EEENSR_IJSJ_SJ_EEES6_PlJS6_EEE10hipError_tPvRmT3_T4_T5_T6_T7_T9_mT8_P12ihipStream_tbDpT10_ENKUlT_T0_E_clISt17integral_constantIbLb1EES1F_EEDaS1A_S1B_EUlS1A_E_NS1_11comp_targetILNS1_3genE2ELNS1_11target_archE906ELNS1_3gpuE6ELNS1_3repE0EEENS1_30default_config_static_selectorELNS0_4arch9wavefront6targetE1EEEvT1_,"axG",@progbits,_ZN7rocprim17ROCPRIM_400000_NS6detail17trampoline_kernelINS0_14default_configENS1_25partition_config_selectorILNS1_17partition_subalgoE2ExNS0_10empty_typeEbEEZZNS1_14partition_implILS5_2ELb0ES3_jN6thrust23THRUST_200600_302600_NS6detail15normal_iteratorINSA_7pointerIxNSA_11hip_rocprim3tagENSA_11use_defaultESG_EEEEPS6_NSA_18transform_iteratorI7is_evenIxENSC_INSA_10device_ptrIxEEEESG_SG_EENS0_5tupleIJPxSJ_EEENSR_IJSJ_SJ_EEES6_PlJS6_EEE10hipError_tPvRmT3_T4_T5_T6_T7_T9_mT8_P12ihipStream_tbDpT10_ENKUlT_T0_E_clISt17integral_constantIbLb1EES1F_EEDaS1A_S1B_EUlS1A_E_NS1_11comp_targetILNS1_3genE2ELNS1_11target_archE906ELNS1_3gpuE6ELNS1_3repE0EEENS1_30default_config_static_selectorELNS0_4arch9wavefront6targetE1EEEvT1_,comdat
.Lfunc_end202:
	.size	_ZN7rocprim17ROCPRIM_400000_NS6detail17trampoline_kernelINS0_14default_configENS1_25partition_config_selectorILNS1_17partition_subalgoE2ExNS0_10empty_typeEbEEZZNS1_14partition_implILS5_2ELb0ES3_jN6thrust23THRUST_200600_302600_NS6detail15normal_iteratorINSA_7pointerIxNSA_11hip_rocprim3tagENSA_11use_defaultESG_EEEEPS6_NSA_18transform_iteratorI7is_evenIxENSC_INSA_10device_ptrIxEEEESG_SG_EENS0_5tupleIJPxSJ_EEENSR_IJSJ_SJ_EEES6_PlJS6_EEE10hipError_tPvRmT3_T4_T5_T6_T7_T9_mT8_P12ihipStream_tbDpT10_ENKUlT_T0_E_clISt17integral_constantIbLb1EES1F_EEDaS1A_S1B_EUlS1A_E_NS1_11comp_targetILNS1_3genE2ELNS1_11target_archE906ELNS1_3gpuE6ELNS1_3repE0EEENS1_30default_config_static_selectorELNS0_4arch9wavefront6targetE1EEEvT1_, .Lfunc_end202-_ZN7rocprim17ROCPRIM_400000_NS6detail17trampoline_kernelINS0_14default_configENS1_25partition_config_selectorILNS1_17partition_subalgoE2ExNS0_10empty_typeEbEEZZNS1_14partition_implILS5_2ELb0ES3_jN6thrust23THRUST_200600_302600_NS6detail15normal_iteratorINSA_7pointerIxNSA_11hip_rocprim3tagENSA_11use_defaultESG_EEEEPS6_NSA_18transform_iteratorI7is_evenIxENSC_INSA_10device_ptrIxEEEESG_SG_EENS0_5tupleIJPxSJ_EEENSR_IJSJ_SJ_EEES6_PlJS6_EEE10hipError_tPvRmT3_T4_T5_T6_T7_T9_mT8_P12ihipStream_tbDpT10_ENKUlT_T0_E_clISt17integral_constantIbLb1EES1F_EEDaS1A_S1B_EUlS1A_E_NS1_11comp_targetILNS1_3genE2ELNS1_11target_archE906ELNS1_3gpuE6ELNS1_3repE0EEENS1_30default_config_static_selectorELNS0_4arch9wavefront6targetE1EEEvT1_
                                        ; -- End function
	.section	.AMDGPU.csdata,"",@progbits
; Kernel info:
; codeLenInByte = 0
; NumSgprs: 4
; NumVgprs: 0
; NumAgprs: 0
; TotalNumVgprs: 0
; ScratchSize: 0
; MemoryBound: 0
; FloatMode: 240
; IeeeMode: 1
; LDSByteSize: 0 bytes/workgroup (compile time only)
; SGPRBlocks: 0
; VGPRBlocks: 0
; NumSGPRsForWavesPerEU: 4
; NumVGPRsForWavesPerEU: 1
; AccumOffset: 4
; Occupancy: 8
; WaveLimiterHint : 0
; COMPUTE_PGM_RSRC2:SCRATCH_EN: 0
; COMPUTE_PGM_RSRC2:USER_SGPR: 6
; COMPUTE_PGM_RSRC2:TRAP_HANDLER: 0
; COMPUTE_PGM_RSRC2:TGID_X_EN: 1
; COMPUTE_PGM_RSRC2:TGID_Y_EN: 0
; COMPUTE_PGM_RSRC2:TGID_Z_EN: 0
; COMPUTE_PGM_RSRC2:TIDIG_COMP_CNT: 0
; COMPUTE_PGM_RSRC3_GFX90A:ACCUM_OFFSET: 0
; COMPUTE_PGM_RSRC3_GFX90A:TG_SPLIT: 0
	.section	.text._ZN7rocprim17ROCPRIM_400000_NS6detail17trampoline_kernelINS0_14default_configENS1_25partition_config_selectorILNS1_17partition_subalgoE2ExNS0_10empty_typeEbEEZZNS1_14partition_implILS5_2ELb0ES3_jN6thrust23THRUST_200600_302600_NS6detail15normal_iteratorINSA_7pointerIxNSA_11hip_rocprim3tagENSA_11use_defaultESG_EEEEPS6_NSA_18transform_iteratorI7is_evenIxENSC_INSA_10device_ptrIxEEEESG_SG_EENS0_5tupleIJPxSJ_EEENSR_IJSJ_SJ_EEES6_PlJS6_EEE10hipError_tPvRmT3_T4_T5_T6_T7_T9_mT8_P12ihipStream_tbDpT10_ENKUlT_T0_E_clISt17integral_constantIbLb1EES1F_EEDaS1A_S1B_EUlS1A_E_NS1_11comp_targetILNS1_3genE10ELNS1_11target_archE1200ELNS1_3gpuE4ELNS1_3repE0EEENS1_30default_config_static_selectorELNS0_4arch9wavefront6targetE1EEEvT1_,"axG",@progbits,_ZN7rocprim17ROCPRIM_400000_NS6detail17trampoline_kernelINS0_14default_configENS1_25partition_config_selectorILNS1_17partition_subalgoE2ExNS0_10empty_typeEbEEZZNS1_14partition_implILS5_2ELb0ES3_jN6thrust23THRUST_200600_302600_NS6detail15normal_iteratorINSA_7pointerIxNSA_11hip_rocprim3tagENSA_11use_defaultESG_EEEEPS6_NSA_18transform_iteratorI7is_evenIxENSC_INSA_10device_ptrIxEEEESG_SG_EENS0_5tupleIJPxSJ_EEENSR_IJSJ_SJ_EEES6_PlJS6_EEE10hipError_tPvRmT3_T4_T5_T6_T7_T9_mT8_P12ihipStream_tbDpT10_ENKUlT_T0_E_clISt17integral_constantIbLb1EES1F_EEDaS1A_S1B_EUlS1A_E_NS1_11comp_targetILNS1_3genE10ELNS1_11target_archE1200ELNS1_3gpuE4ELNS1_3repE0EEENS1_30default_config_static_selectorELNS0_4arch9wavefront6targetE1EEEvT1_,comdat
	.protected	_ZN7rocprim17ROCPRIM_400000_NS6detail17trampoline_kernelINS0_14default_configENS1_25partition_config_selectorILNS1_17partition_subalgoE2ExNS0_10empty_typeEbEEZZNS1_14partition_implILS5_2ELb0ES3_jN6thrust23THRUST_200600_302600_NS6detail15normal_iteratorINSA_7pointerIxNSA_11hip_rocprim3tagENSA_11use_defaultESG_EEEEPS6_NSA_18transform_iteratorI7is_evenIxENSC_INSA_10device_ptrIxEEEESG_SG_EENS0_5tupleIJPxSJ_EEENSR_IJSJ_SJ_EEES6_PlJS6_EEE10hipError_tPvRmT3_T4_T5_T6_T7_T9_mT8_P12ihipStream_tbDpT10_ENKUlT_T0_E_clISt17integral_constantIbLb1EES1F_EEDaS1A_S1B_EUlS1A_E_NS1_11comp_targetILNS1_3genE10ELNS1_11target_archE1200ELNS1_3gpuE4ELNS1_3repE0EEENS1_30default_config_static_selectorELNS0_4arch9wavefront6targetE1EEEvT1_ ; -- Begin function _ZN7rocprim17ROCPRIM_400000_NS6detail17trampoline_kernelINS0_14default_configENS1_25partition_config_selectorILNS1_17partition_subalgoE2ExNS0_10empty_typeEbEEZZNS1_14partition_implILS5_2ELb0ES3_jN6thrust23THRUST_200600_302600_NS6detail15normal_iteratorINSA_7pointerIxNSA_11hip_rocprim3tagENSA_11use_defaultESG_EEEEPS6_NSA_18transform_iteratorI7is_evenIxENSC_INSA_10device_ptrIxEEEESG_SG_EENS0_5tupleIJPxSJ_EEENSR_IJSJ_SJ_EEES6_PlJS6_EEE10hipError_tPvRmT3_T4_T5_T6_T7_T9_mT8_P12ihipStream_tbDpT10_ENKUlT_T0_E_clISt17integral_constantIbLb1EES1F_EEDaS1A_S1B_EUlS1A_E_NS1_11comp_targetILNS1_3genE10ELNS1_11target_archE1200ELNS1_3gpuE4ELNS1_3repE0EEENS1_30default_config_static_selectorELNS0_4arch9wavefront6targetE1EEEvT1_
	.globl	_ZN7rocprim17ROCPRIM_400000_NS6detail17trampoline_kernelINS0_14default_configENS1_25partition_config_selectorILNS1_17partition_subalgoE2ExNS0_10empty_typeEbEEZZNS1_14partition_implILS5_2ELb0ES3_jN6thrust23THRUST_200600_302600_NS6detail15normal_iteratorINSA_7pointerIxNSA_11hip_rocprim3tagENSA_11use_defaultESG_EEEEPS6_NSA_18transform_iteratorI7is_evenIxENSC_INSA_10device_ptrIxEEEESG_SG_EENS0_5tupleIJPxSJ_EEENSR_IJSJ_SJ_EEES6_PlJS6_EEE10hipError_tPvRmT3_T4_T5_T6_T7_T9_mT8_P12ihipStream_tbDpT10_ENKUlT_T0_E_clISt17integral_constantIbLb1EES1F_EEDaS1A_S1B_EUlS1A_E_NS1_11comp_targetILNS1_3genE10ELNS1_11target_archE1200ELNS1_3gpuE4ELNS1_3repE0EEENS1_30default_config_static_selectorELNS0_4arch9wavefront6targetE1EEEvT1_
	.p2align	8
	.type	_ZN7rocprim17ROCPRIM_400000_NS6detail17trampoline_kernelINS0_14default_configENS1_25partition_config_selectorILNS1_17partition_subalgoE2ExNS0_10empty_typeEbEEZZNS1_14partition_implILS5_2ELb0ES3_jN6thrust23THRUST_200600_302600_NS6detail15normal_iteratorINSA_7pointerIxNSA_11hip_rocprim3tagENSA_11use_defaultESG_EEEEPS6_NSA_18transform_iteratorI7is_evenIxENSC_INSA_10device_ptrIxEEEESG_SG_EENS0_5tupleIJPxSJ_EEENSR_IJSJ_SJ_EEES6_PlJS6_EEE10hipError_tPvRmT3_T4_T5_T6_T7_T9_mT8_P12ihipStream_tbDpT10_ENKUlT_T0_E_clISt17integral_constantIbLb1EES1F_EEDaS1A_S1B_EUlS1A_E_NS1_11comp_targetILNS1_3genE10ELNS1_11target_archE1200ELNS1_3gpuE4ELNS1_3repE0EEENS1_30default_config_static_selectorELNS0_4arch9wavefront6targetE1EEEvT1_,@function
_ZN7rocprim17ROCPRIM_400000_NS6detail17trampoline_kernelINS0_14default_configENS1_25partition_config_selectorILNS1_17partition_subalgoE2ExNS0_10empty_typeEbEEZZNS1_14partition_implILS5_2ELb0ES3_jN6thrust23THRUST_200600_302600_NS6detail15normal_iteratorINSA_7pointerIxNSA_11hip_rocprim3tagENSA_11use_defaultESG_EEEEPS6_NSA_18transform_iteratorI7is_evenIxENSC_INSA_10device_ptrIxEEEESG_SG_EENS0_5tupleIJPxSJ_EEENSR_IJSJ_SJ_EEES6_PlJS6_EEE10hipError_tPvRmT3_T4_T5_T6_T7_T9_mT8_P12ihipStream_tbDpT10_ENKUlT_T0_E_clISt17integral_constantIbLb1EES1F_EEDaS1A_S1B_EUlS1A_E_NS1_11comp_targetILNS1_3genE10ELNS1_11target_archE1200ELNS1_3gpuE4ELNS1_3repE0EEENS1_30default_config_static_selectorELNS0_4arch9wavefront6targetE1EEEvT1_: ; @_ZN7rocprim17ROCPRIM_400000_NS6detail17trampoline_kernelINS0_14default_configENS1_25partition_config_selectorILNS1_17partition_subalgoE2ExNS0_10empty_typeEbEEZZNS1_14partition_implILS5_2ELb0ES3_jN6thrust23THRUST_200600_302600_NS6detail15normal_iteratorINSA_7pointerIxNSA_11hip_rocprim3tagENSA_11use_defaultESG_EEEEPS6_NSA_18transform_iteratorI7is_evenIxENSC_INSA_10device_ptrIxEEEESG_SG_EENS0_5tupleIJPxSJ_EEENSR_IJSJ_SJ_EEES6_PlJS6_EEE10hipError_tPvRmT3_T4_T5_T6_T7_T9_mT8_P12ihipStream_tbDpT10_ENKUlT_T0_E_clISt17integral_constantIbLb1EES1F_EEDaS1A_S1B_EUlS1A_E_NS1_11comp_targetILNS1_3genE10ELNS1_11target_archE1200ELNS1_3gpuE4ELNS1_3repE0EEENS1_30default_config_static_selectorELNS0_4arch9wavefront6targetE1EEEvT1_
; %bb.0:
	.section	.rodata,"a",@progbits
	.p2align	6, 0x0
	.amdhsa_kernel _ZN7rocprim17ROCPRIM_400000_NS6detail17trampoline_kernelINS0_14default_configENS1_25partition_config_selectorILNS1_17partition_subalgoE2ExNS0_10empty_typeEbEEZZNS1_14partition_implILS5_2ELb0ES3_jN6thrust23THRUST_200600_302600_NS6detail15normal_iteratorINSA_7pointerIxNSA_11hip_rocprim3tagENSA_11use_defaultESG_EEEEPS6_NSA_18transform_iteratorI7is_evenIxENSC_INSA_10device_ptrIxEEEESG_SG_EENS0_5tupleIJPxSJ_EEENSR_IJSJ_SJ_EEES6_PlJS6_EEE10hipError_tPvRmT3_T4_T5_T6_T7_T9_mT8_P12ihipStream_tbDpT10_ENKUlT_T0_E_clISt17integral_constantIbLb1EES1F_EEDaS1A_S1B_EUlS1A_E_NS1_11comp_targetILNS1_3genE10ELNS1_11target_archE1200ELNS1_3gpuE4ELNS1_3repE0EEENS1_30default_config_static_selectorELNS0_4arch9wavefront6targetE1EEEvT1_
		.amdhsa_group_segment_fixed_size 0
		.amdhsa_private_segment_fixed_size 0
		.amdhsa_kernarg_size 144
		.amdhsa_user_sgpr_count 6
		.amdhsa_user_sgpr_private_segment_buffer 1
		.amdhsa_user_sgpr_dispatch_ptr 0
		.amdhsa_user_sgpr_queue_ptr 0
		.amdhsa_user_sgpr_kernarg_segment_ptr 1
		.amdhsa_user_sgpr_dispatch_id 0
		.amdhsa_user_sgpr_flat_scratch_init 0
		.amdhsa_user_sgpr_kernarg_preload_length 0
		.amdhsa_user_sgpr_kernarg_preload_offset 0
		.amdhsa_user_sgpr_private_segment_size 0
		.amdhsa_uses_dynamic_stack 0
		.amdhsa_system_sgpr_private_segment_wavefront_offset 0
		.amdhsa_system_sgpr_workgroup_id_x 1
		.amdhsa_system_sgpr_workgroup_id_y 0
		.amdhsa_system_sgpr_workgroup_id_z 0
		.amdhsa_system_sgpr_workgroup_info 0
		.amdhsa_system_vgpr_workitem_id 0
		.amdhsa_next_free_vgpr 1
		.amdhsa_next_free_sgpr 0
		.amdhsa_accum_offset 4
		.amdhsa_reserve_vcc 0
		.amdhsa_reserve_flat_scratch 0
		.amdhsa_float_round_mode_32 0
		.amdhsa_float_round_mode_16_64 0
		.amdhsa_float_denorm_mode_32 3
		.amdhsa_float_denorm_mode_16_64 3
		.amdhsa_dx10_clamp 1
		.amdhsa_ieee_mode 1
		.amdhsa_fp16_overflow 0
		.amdhsa_tg_split 0
		.amdhsa_exception_fp_ieee_invalid_op 0
		.amdhsa_exception_fp_denorm_src 0
		.amdhsa_exception_fp_ieee_div_zero 0
		.amdhsa_exception_fp_ieee_overflow 0
		.amdhsa_exception_fp_ieee_underflow 0
		.amdhsa_exception_fp_ieee_inexact 0
		.amdhsa_exception_int_div_zero 0
	.end_amdhsa_kernel
	.section	.text._ZN7rocprim17ROCPRIM_400000_NS6detail17trampoline_kernelINS0_14default_configENS1_25partition_config_selectorILNS1_17partition_subalgoE2ExNS0_10empty_typeEbEEZZNS1_14partition_implILS5_2ELb0ES3_jN6thrust23THRUST_200600_302600_NS6detail15normal_iteratorINSA_7pointerIxNSA_11hip_rocprim3tagENSA_11use_defaultESG_EEEEPS6_NSA_18transform_iteratorI7is_evenIxENSC_INSA_10device_ptrIxEEEESG_SG_EENS0_5tupleIJPxSJ_EEENSR_IJSJ_SJ_EEES6_PlJS6_EEE10hipError_tPvRmT3_T4_T5_T6_T7_T9_mT8_P12ihipStream_tbDpT10_ENKUlT_T0_E_clISt17integral_constantIbLb1EES1F_EEDaS1A_S1B_EUlS1A_E_NS1_11comp_targetILNS1_3genE10ELNS1_11target_archE1200ELNS1_3gpuE4ELNS1_3repE0EEENS1_30default_config_static_selectorELNS0_4arch9wavefront6targetE1EEEvT1_,"axG",@progbits,_ZN7rocprim17ROCPRIM_400000_NS6detail17trampoline_kernelINS0_14default_configENS1_25partition_config_selectorILNS1_17partition_subalgoE2ExNS0_10empty_typeEbEEZZNS1_14partition_implILS5_2ELb0ES3_jN6thrust23THRUST_200600_302600_NS6detail15normal_iteratorINSA_7pointerIxNSA_11hip_rocprim3tagENSA_11use_defaultESG_EEEEPS6_NSA_18transform_iteratorI7is_evenIxENSC_INSA_10device_ptrIxEEEESG_SG_EENS0_5tupleIJPxSJ_EEENSR_IJSJ_SJ_EEES6_PlJS6_EEE10hipError_tPvRmT3_T4_T5_T6_T7_T9_mT8_P12ihipStream_tbDpT10_ENKUlT_T0_E_clISt17integral_constantIbLb1EES1F_EEDaS1A_S1B_EUlS1A_E_NS1_11comp_targetILNS1_3genE10ELNS1_11target_archE1200ELNS1_3gpuE4ELNS1_3repE0EEENS1_30default_config_static_selectorELNS0_4arch9wavefront6targetE1EEEvT1_,comdat
.Lfunc_end203:
	.size	_ZN7rocprim17ROCPRIM_400000_NS6detail17trampoline_kernelINS0_14default_configENS1_25partition_config_selectorILNS1_17partition_subalgoE2ExNS0_10empty_typeEbEEZZNS1_14partition_implILS5_2ELb0ES3_jN6thrust23THRUST_200600_302600_NS6detail15normal_iteratorINSA_7pointerIxNSA_11hip_rocprim3tagENSA_11use_defaultESG_EEEEPS6_NSA_18transform_iteratorI7is_evenIxENSC_INSA_10device_ptrIxEEEESG_SG_EENS0_5tupleIJPxSJ_EEENSR_IJSJ_SJ_EEES6_PlJS6_EEE10hipError_tPvRmT3_T4_T5_T6_T7_T9_mT8_P12ihipStream_tbDpT10_ENKUlT_T0_E_clISt17integral_constantIbLb1EES1F_EEDaS1A_S1B_EUlS1A_E_NS1_11comp_targetILNS1_3genE10ELNS1_11target_archE1200ELNS1_3gpuE4ELNS1_3repE0EEENS1_30default_config_static_selectorELNS0_4arch9wavefront6targetE1EEEvT1_, .Lfunc_end203-_ZN7rocprim17ROCPRIM_400000_NS6detail17trampoline_kernelINS0_14default_configENS1_25partition_config_selectorILNS1_17partition_subalgoE2ExNS0_10empty_typeEbEEZZNS1_14partition_implILS5_2ELb0ES3_jN6thrust23THRUST_200600_302600_NS6detail15normal_iteratorINSA_7pointerIxNSA_11hip_rocprim3tagENSA_11use_defaultESG_EEEEPS6_NSA_18transform_iteratorI7is_evenIxENSC_INSA_10device_ptrIxEEEESG_SG_EENS0_5tupleIJPxSJ_EEENSR_IJSJ_SJ_EEES6_PlJS6_EEE10hipError_tPvRmT3_T4_T5_T6_T7_T9_mT8_P12ihipStream_tbDpT10_ENKUlT_T0_E_clISt17integral_constantIbLb1EES1F_EEDaS1A_S1B_EUlS1A_E_NS1_11comp_targetILNS1_3genE10ELNS1_11target_archE1200ELNS1_3gpuE4ELNS1_3repE0EEENS1_30default_config_static_selectorELNS0_4arch9wavefront6targetE1EEEvT1_
                                        ; -- End function
	.section	.AMDGPU.csdata,"",@progbits
; Kernel info:
; codeLenInByte = 0
; NumSgprs: 4
; NumVgprs: 0
; NumAgprs: 0
; TotalNumVgprs: 0
; ScratchSize: 0
; MemoryBound: 0
; FloatMode: 240
; IeeeMode: 1
; LDSByteSize: 0 bytes/workgroup (compile time only)
; SGPRBlocks: 0
; VGPRBlocks: 0
; NumSGPRsForWavesPerEU: 4
; NumVGPRsForWavesPerEU: 1
; AccumOffset: 4
; Occupancy: 8
; WaveLimiterHint : 0
; COMPUTE_PGM_RSRC2:SCRATCH_EN: 0
; COMPUTE_PGM_RSRC2:USER_SGPR: 6
; COMPUTE_PGM_RSRC2:TRAP_HANDLER: 0
; COMPUTE_PGM_RSRC2:TGID_X_EN: 1
; COMPUTE_PGM_RSRC2:TGID_Y_EN: 0
; COMPUTE_PGM_RSRC2:TGID_Z_EN: 0
; COMPUTE_PGM_RSRC2:TIDIG_COMP_CNT: 0
; COMPUTE_PGM_RSRC3_GFX90A:ACCUM_OFFSET: 0
; COMPUTE_PGM_RSRC3_GFX90A:TG_SPLIT: 0
	.section	.text._ZN7rocprim17ROCPRIM_400000_NS6detail17trampoline_kernelINS0_14default_configENS1_25partition_config_selectorILNS1_17partition_subalgoE2ExNS0_10empty_typeEbEEZZNS1_14partition_implILS5_2ELb0ES3_jN6thrust23THRUST_200600_302600_NS6detail15normal_iteratorINSA_7pointerIxNSA_11hip_rocprim3tagENSA_11use_defaultESG_EEEEPS6_NSA_18transform_iteratorI7is_evenIxENSC_INSA_10device_ptrIxEEEESG_SG_EENS0_5tupleIJPxSJ_EEENSR_IJSJ_SJ_EEES6_PlJS6_EEE10hipError_tPvRmT3_T4_T5_T6_T7_T9_mT8_P12ihipStream_tbDpT10_ENKUlT_T0_E_clISt17integral_constantIbLb1EES1F_EEDaS1A_S1B_EUlS1A_E_NS1_11comp_targetILNS1_3genE9ELNS1_11target_archE1100ELNS1_3gpuE3ELNS1_3repE0EEENS1_30default_config_static_selectorELNS0_4arch9wavefront6targetE1EEEvT1_,"axG",@progbits,_ZN7rocprim17ROCPRIM_400000_NS6detail17trampoline_kernelINS0_14default_configENS1_25partition_config_selectorILNS1_17partition_subalgoE2ExNS0_10empty_typeEbEEZZNS1_14partition_implILS5_2ELb0ES3_jN6thrust23THRUST_200600_302600_NS6detail15normal_iteratorINSA_7pointerIxNSA_11hip_rocprim3tagENSA_11use_defaultESG_EEEEPS6_NSA_18transform_iteratorI7is_evenIxENSC_INSA_10device_ptrIxEEEESG_SG_EENS0_5tupleIJPxSJ_EEENSR_IJSJ_SJ_EEES6_PlJS6_EEE10hipError_tPvRmT3_T4_T5_T6_T7_T9_mT8_P12ihipStream_tbDpT10_ENKUlT_T0_E_clISt17integral_constantIbLb1EES1F_EEDaS1A_S1B_EUlS1A_E_NS1_11comp_targetILNS1_3genE9ELNS1_11target_archE1100ELNS1_3gpuE3ELNS1_3repE0EEENS1_30default_config_static_selectorELNS0_4arch9wavefront6targetE1EEEvT1_,comdat
	.protected	_ZN7rocprim17ROCPRIM_400000_NS6detail17trampoline_kernelINS0_14default_configENS1_25partition_config_selectorILNS1_17partition_subalgoE2ExNS0_10empty_typeEbEEZZNS1_14partition_implILS5_2ELb0ES3_jN6thrust23THRUST_200600_302600_NS6detail15normal_iteratorINSA_7pointerIxNSA_11hip_rocprim3tagENSA_11use_defaultESG_EEEEPS6_NSA_18transform_iteratorI7is_evenIxENSC_INSA_10device_ptrIxEEEESG_SG_EENS0_5tupleIJPxSJ_EEENSR_IJSJ_SJ_EEES6_PlJS6_EEE10hipError_tPvRmT3_T4_T5_T6_T7_T9_mT8_P12ihipStream_tbDpT10_ENKUlT_T0_E_clISt17integral_constantIbLb1EES1F_EEDaS1A_S1B_EUlS1A_E_NS1_11comp_targetILNS1_3genE9ELNS1_11target_archE1100ELNS1_3gpuE3ELNS1_3repE0EEENS1_30default_config_static_selectorELNS0_4arch9wavefront6targetE1EEEvT1_ ; -- Begin function _ZN7rocprim17ROCPRIM_400000_NS6detail17trampoline_kernelINS0_14default_configENS1_25partition_config_selectorILNS1_17partition_subalgoE2ExNS0_10empty_typeEbEEZZNS1_14partition_implILS5_2ELb0ES3_jN6thrust23THRUST_200600_302600_NS6detail15normal_iteratorINSA_7pointerIxNSA_11hip_rocprim3tagENSA_11use_defaultESG_EEEEPS6_NSA_18transform_iteratorI7is_evenIxENSC_INSA_10device_ptrIxEEEESG_SG_EENS0_5tupleIJPxSJ_EEENSR_IJSJ_SJ_EEES6_PlJS6_EEE10hipError_tPvRmT3_T4_T5_T6_T7_T9_mT8_P12ihipStream_tbDpT10_ENKUlT_T0_E_clISt17integral_constantIbLb1EES1F_EEDaS1A_S1B_EUlS1A_E_NS1_11comp_targetILNS1_3genE9ELNS1_11target_archE1100ELNS1_3gpuE3ELNS1_3repE0EEENS1_30default_config_static_selectorELNS0_4arch9wavefront6targetE1EEEvT1_
	.globl	_ZN7rocprim17ROCPRIM_400000_NS6detail17trampoline_kernelINS0_14default_configENS1_25partition_config_selectorILNS1_17partition_subalgoE2ExNS0_10empty_typeEbEEZZNS1_14partition_implILS5_2ELb0ES3_jN6thrust23THRUST_200600_302600_NS6detail15normal_iteratorINSA_7pointerIxNSA_11hip_rocprim3tagENSA_11use_defaultESG_EEEEPS6_NSA_18transform_iteratorI7is_evenIxENSC_INSA_10device_ptrIxEEEESG_SG_EENS0_5tupleIJPxSJ_EEENSR_IJSJ_SJ_EEES6_PlJS6_EEE10hipError_tPvRmT3_T4_T5_T6_T7_T9_mT8_P12ihipStream_tbDpT10_ENKUlT_T0_E_clISt17integral_constantIbLb1EES1F_EEDaS1A_S1B_EUlS1A_E_NS1_11comp_targetILNS1_3genE9ELNS1_11target_archE1100ELNS1_3gpuE3ELNS1_3repE0EEENS1_30default_config_static_selectorELNS0_4arch9wavefront6targetE1EEEvT1_
	.p2align	8
	.type	_ZN7rocprim17ROCPRIM_400000_NS6detail17trampoline_kernelINS0_14default_configENS1_25partition_config_selectorILNS1_17partition_subalgoE2ExNS0_10empty_typeEbEEZZNS1_14partition_implILS5_2ELb0ES3_jN6thrust23THRUST_200600_302600_NS6detail15normal_iteratorINSA_7pointerIxNSA_11hip_rocprim3tagENSA_11use_defaultESG_EEEEPS6_NSA_18transform_iteratorI7is_evenIxENSC_INSA_10device_ptrIxEEEESG_SG_EENS0_5tupleIJPxSJ_EEENSR_IJSJ_SJ_EEES6_PlJS6_EEE10hipError_tPvRmT3_T4_T5_T6_T7_T9_mT8_P12ihipStream_tbDpT10_ENKUlT_T0_E_clISt17integral_constantIbLb1EES1F_EEDaS1A_S1B_EUlS1A_E_NS1_11comp_targetILNS1_3genE9ELNS1_11target_archE1100ELNS1_3gpuE3ELNS1_3repE0EEENS1_30default_config_static_selectorELNS0_4arch9wavefront6targetE1EEEvT1_,@function
_ZN7rocprim17ROCPRIM_400000_NS6detail17trampoline_kernelINS0_14default_configENS1_25partition_config_selectorILNS1_17partition_subalgoE2ExNS0_10empty_typeEbEEZZNS1_14partition_implILS5_2ELb0ES3_jN6thrust23THRUST_200600_302600_NS6detail15normal_iteratorINSA_7pointerIxNSA_11hip_rocprim3tagENSA_11use_defaultESG_EEEEPS6_NSA_18transform_iteratorI7is_evenIxENSC_INSA_10device_ptrIxEEEESG_SG_EENS0_5tupleIJPxSJ_EEENSR_IJSJ_SJ_EEES6_PlJS6_EEE10hipError_tPvRmT3_T4_T5_T6_T7_T9_mT8_P12ihipStream_tbDpT10_ENKUlT_T0_E_clISt17integral_constantIbLb1EES1F_EEDaS1A_S1B_EUlS1A_E_NS1_11comp_targetILNS1_3genE9ELNS1_11target_archE1100ELNS1_3gpuE3ELNS1_3repE0EEENS1_30default_config_static_selectorELNS0_4arch9wavefront6targetE1EEEvT1_: ; @_ZN7rocprim17ROCPRIM_400000_NS6detail17trampoline_kernelINS0_14default_configENS1_25partition_config_selectorILNS1_17partition_subalgoE2ExNS0_10empty_typeEbEEZZNS1_14partition_implILS5_2ELb0ES3_jN6thrust23THRUST_200600_302600_NS6detail15normal_iteratorINSA_7pointerIxNSA_11hip_rocprim3tagENSA_11use_defaultESG_EEEEPS6_NSA_18transform_iteratorI7is_evenIxENSC_INSA_10device_ptrIxEEEESG_SG_EENS0_5tupleIJPxSJ_EEENSR_IJSJ_SJ_EEES6_PlJS6_EEE10hipError_tPvRmT3_T4_T5_T6_T7_T9_mT8_P12ihipStream_tbDpT10_ENKUlT_T0_E_clISt17integral_constantIbLb1EES1F_EEDaS1A_S1B_EUlS1A_E_NS1_11comp_targetILNS1_3genE9ELNS1_11target_archE1100ELNS1_3gpuE3ELNS1_3repE0EEENS1_30default_config_static_selectorELNS0_4arch9wavefront6targetE1EEEvT1_
; %bb.0:
	.section	.rodata,"a",@progbits
	.p2align	6, 0x0
	.amdhsa_kernel _ZN7rocprim17ROCPRIM_400000_NS6detail17trampoline_kernelINS0_14default_configENS1_25partition_config_selectorILNS1_17partition_subalgoE2ExNS0_10empty_typeEbEEZZNS1_14partition_implILS5_2ELb0ES3_jN6thrust23THRUST_200600_302600_NS6detail15normal_iteratorINSA_7pointerIxNSA_11hip_rocprim3tagENSA_11use_defaultESG_EEEEPS6_NSA_18transform_iteratorI7is_evenIxENSC_INSA_10device_ptrIxEEEESG_SG_EENS0_5tupleIJPxSJ_EEENSR_IJSJ_SJ_EEES6_PlJS6_EEE10hipError_tPvRmT3_T4_T5_T6_T7_T9_mT8_P12ihipStream_tbDpT10_ENKUlT_T0_E_clISt17integral_constantIbLb1EES1F_EEDaS1A_S1B_EUlS1A_E_NS1_11comp_targetILNS1_3genE9ELNS1_11target_archE1100ELNS1_3gpuE3ELNS1_3repE0EEENS1_30default_config_static_selectorELNS0_4arch9wavefront6targetE1EEEvT1_
		.amdhsa_group_segment_fixed_size 0
		.amdhsa_private_segment_fixed_size 0
		.amdhsa_kernarg_size 144
		.amdhsa_user_sgpr_count 6
		.amdhsa_user_sgpr_private_segment_buffer 1
		.amdhsa_user_sgpr_dispatch_ptr 0
		.amdhsa_user_sgpr_queue_ptr 0
		.amdhsa_user_sgpr_kernarg_segment_ptr 1
		.amdhsa_user_sgpr_dispatch_id 0
		.amdhsa_user_sgpr_flat_scratch_init 0
		.amdhsa_user_sgpr_kernarg_preload_length 0
		.amdhsa_user_sgpr_kernarg_preload_offset 0
		.amdhsa_user_sgpr_private_segment_size 0
		.amdhsa_uses_dynamic_stack 0
		.amdhsa_system_sgpr_private_segment_wavefront_offset 0
		.amdhsa_system_sgpr_workgroup_id_x 1
		.amdhsa_system_sgpr_workgroup_id_y 0
		.amdhsa_system_sgpr_workgroup_id_z 0
		.amdhsa_system_sgpr_workgroup_info 0
		.amdhsa_system_vgpr_workitem_id 0
		.amdhsa_next_free_vgpr 1
		.amdhsa_next_free_sgpr 0
		.amdhsa_accum_offset 4
		.amdhsa_reserve_vcc 0
		.amdhsa_reserve_flat_scratch 0
		.amdhsa_float_round_mode_32 0
		.amdhsa_float_round_mode_16_64 0
		.amdhsa_float_denorm_mode_32 3
		.amdhsa_float_denorm_mode_16_64 3
		.amdhsa_dx10_clamp 1
		.amdhsa_ieee_mode 1
		.amdhsa_fp16_overflow 0
		.amdhsa_tg_split 0
		.amdhsa_exception_fp_ieee_invalid_op 0
		.amdhsa_exception_fp_denorm_src 0
		.amdhsa_exception_fp_ieee_div_zero 0
		.amdhsa_exception_fp_ieee_overflow 0
		.amdhsa_exception_fp_ieee_underflow 0
		.amdhsa_exception_fp_ieee_inexact 0
		.amdhsa_exception_int_div_zero 0
	.end_amdhsa_kernel
	.section	.text._ZN7rocprim17ROCPRIM_400000_NS6detail17trampoline_kernelINS0_14default_configENS1_25partition_config_selectorILNS1_17partition_subalgoE2ExNS0_10empty_typeEbEEZZNS1_14partition_implILS5_2ELb0ES3_jN6thrust23THRUST_200600_302600_NS6detail15normal_iteratorINSA_7pointerIxNSA_11hip_rocprim3tagENSA_11use_defaultESG_EEEEPS6_NSA_18transform_iteratorI7is_evenIxENSC_INSA_10device_ptrIxEEEESG_SG_EENS0_5tupleIJPxSJ_EEENSR_IJSJ_SJ_EEES6_PlJS6_EEE10hipError_tPvRmT3_T4_T5_T6_T7_T9_mT8_P12ihipStream_tbDpT10_ENKUlT_T0_E_clISt17integral_constantIbLb1EES1F_EEDaS1A_S1B_EUlS1A_E_NS1_11comp_targetILNS1_3genE9ELNS1_11target_archE1100ELNS1_3gpuE3ELNS1_3repE0EEENS1_30default_config_static_selectorELNS0_4arch9wavefront6targetE1EEEvT1_,"axG",@progbits,_ZN7rocprim17ROCPRIM_400000_NS6detail17trampoline_kernelINS0_14default_configENS1_25partition_config_selectorILNS1_17partition_subalgoE2ExNS0_10empty_typeEbEEZZNS1_14partition_implILS5_2ELb0ES3_jN6thrust23THRUST_200600_302600_NS6detail15normal_iteratorINSA_7pointerIxNSA_11hip_rocprim3tagENSA_11use_defaultESG_EEEEPS6_NSA_18transform_iteratorI7is_evenIxENSC_INSA_10device_ptrIxEEEESG_SG_EENS0_5tupleIJPxSJ_EEENSR_IJSJ_SJ_EEES6_PlJS6_EEE10hipError_tPvRmT3_T4_T5_T6_T7_T9_mT8_P12ihipStream_tbDpT10_ENKUlT_T0_E_clISt17integral_constantIbLb1EES1F_EEDaS1A_S1B_EUlS1A_E_NS1_11comp_targetILNS1_3genE9ELNS1_11target_archE1100ELNS1_3gpuE3ELNS1_3repE0EEENS1_30default_config_static_selectorELNS0_4arch9wavefront6targetE1EEEvT1_,comdat
.Lfunc_end204:
	.size	_ZN7rocprim17ROCPRIM_400000_NS6detail17trampoline_kernelINS0_14default_configENS1_25partition_config_selectorILNS1_17partition_subalgoE2ExNS0_10empty_typeEbEEZZNS1_14partition_implILS5_2ELb0ES3_jN6thrust23THRUST_200600_302600_NS6detail15normal_iteratorINSA_7pointerIxNSA_11hip_rocprim3tagENSA_11use_defaultESG_EEEEPS6_NSA_18transform_iteratorI7is_evenIxENSC_INSA_10device_ptrIxEEEESG_SG_EENS0_5tupleIJPxSJ_EEENSR_IJSJ_SJ_EEES6_PlJS6_EEE10hipError_tPvRmT3_T4_T5_T6_T7_T9_mT8_P12ihipStream_tbDpT10_ENKUlT_T0_E_clISt17integral_constantIbLb1EES1F_EEDaS1A_S1B_EUlS1A_E_NS1_11comp_targetILNS1_3genE9ELNS1_11target_archE1100ELNS1_3gpuE3ELNS1_3repE0EEENS1_30default_config_static_selectorELNS0_4arch9wavefront6targetE1EEEvT1_, .Lfunc_end204-_ZN7rocprim17ROCPRIM_400000_NS6detail17trampoline_kernelINS0_14default_configENS1_25partition_config_selectorILNS1_17partition_subalgoE2ExNS0_10empty_typeEbEEZZNS1_14partition_implILS5_2ELb0ES3_jN6thrust23THRUST_200600_302600_NS6detail15normal_iteratorINSA_7pointerIxNSA_11hip_rocprim3tagENSA_11use_defaultESG_EEEEPS6_NSA_18transform_iteratorI7is_evenIxENSC_INSA_10device_ptrIxEEEESG_SG_EENS0_5tupleIJPxSJ_EEENSR_IJSJ_SJ_EEES6_PlJS6_EEE10hipError_tPvRmT3_T4_T5_T6_T7_T9_mT8_P12ihipStream_tbDpT10_ENKUlT_T0_E_clISt17integral_constantIbLb1EES1F_EEDaS1A_S1B_EUlS1A_E_NS1_11comp_targetILNS1_3genE9ELNS1_11target_archE1100ELNS1_3gpuE3ELNS1_3repE0EEENS1_30default_config_static_selectorELNS0_4arch9wavefront6targetE1EEEvT1_
                                        ; -- End function
	.section	.AMDGPU.csdata,"",@progbits
; Kernel info:
; codeLenInByte = 0
; NumSgprs: 4
; NumVgprs: 0
; NumAgprs: 0
; TotalNumVgprs: 0
; ScratchSize: 0
; MemoryBound: 0
; FloatMode: 240
; IeeeMode: 1
; LDSByteSize: 0 bytes/workgroup (compile time only)
; SGPRBlocks: 0
; VGPRBlocks: 0
; NumSGPRsForWavesPerEU: 4
; NumVGPRsForWavesPerEU: 1
; AccumOffset: 4
; Occupancy: 8
; WaveLimiterHint : 0
; COMPUTE_PGM_RSRC2:SCRATCH_EN: 0
; COMPUTE_PGM_RSRC2:USER_SGPR: 6
; COMPUTE_PGM_RSRC2:TRAP_HANDLER: 0
; COMPUTE_PGM_RSRC2:TGID_X_EN: 1
; COMPUTE_PGM_RSRC2:TGID_Y_EN: 0
; COMPUTE_PGM_RSRC2:TGID_Z_EN: 0
; COMPUTE_PGM_RSRC2:TIDIG_COMP_CNT: 0
; COMPUTE_PGM_RSRC3_GFX90A:ACCUM_OFFSET: 0
; COMPUTE_PGM_RSRC3_GFX90A:TG_SPLIT: 0
	.section	.text._ZN7rocprim17ROCPRIM_400000_NS6detail17trampoline_kernelINS0_14default_configENS1_25partition_config_selectorILNS1_17partition_subalgoE2ExNS0_10empty_typeEbEEZZNS1_14partition_implILS5_2ELb0ES3_jN6thrust23THRUST_200600_302600_NS6detail15normal_iteratorINSA_7pointerIxNSA_11hip_rocprim3tagENSA_11use_defaultESG_EEEEPS6_NSA_18transform_iteratorI7is_evenIxENSC_INSA_10device_ptrIxEEEESG_SG_EENS0_5tupleIJPxSJ_EEENSR_IJSJ_SJ_EEES6_PlJS6_EEE10hipError_tPvRmT3_T4_T5_T6_T7_T9_mT8_P12ihipStream_tbDpT10_ENKUlT_T0_E_clISt17integral_constantIbLb1EES1F_EEDaS1A_S1B_EUlS1A_E_NS1_11comp_targetILNS1_3genE8ELNS1_11target_archE1030ELNS1_3gpuE2ELNS1_3repE0EEENS1_30default_config_static_selectorELNS0_4arch9wavefront6targetE1EEEvT1_,"axG",@progbits,_ZN7rocprim17ROCPRIM_400000_NS6detail17trampoline_kernelINS0_14default_configENS1_25partition_config_selectorILNS1_17partition_subalgoE2ExNS0_10empty_typeEbEEZZNS1_14partition_implILS5_2ELb0ES3_jN6thrust23THRUST_200600_302600_NS6detail15normal_iteratorINSA_7pointerIxNSA_11hip_rocprim3tagENSA_11use_defaultESG_EEEEPS6_NSA_18transform_iteratorI7is_evenIxENSC_INSA_10device_ptrIxEEEESG_SG_EENS0_5tupleIJPxSJ_EEENSR_IJSJ_SJ_EEES6_PlJS6_EEE10hipError_tPvRmT3_T4_T5_T6_T7_T9_mT8_P12ihipStream_tbDpT10_ENKUlT_T0_E_clISt17integral_constantIbLb1EES1F_EEDaS1A_S1B_EUlS1A_E_NS1_11comp_targetILNS1_3genE8ELNS1_11target_archE1030ELNS1_3gpuE2ELNS1_3repE0EEENS1_30default_config_static_selectorELNS0_4arch9wavefront6targetE1EEEvT1_,comdat
	.protected	_ZN7rocprim17ROCPRIM_400000_NS6detail17trampoline_kernelINS0_14default_configENS1_25partition_config_selectorILNS1_17partition_subalgoE2ExNS0_10empty_typeEbEEZZNS1_14partition_implILS5_2ELb0ES3_jN6thrust23THRUST_200600_302600_NS6detail15normal_iteratorINSA_7pointerIxNSA_11hip_rocprim3tagENSA_11use_defaultESG_EEEEPS6_NSA_18transform_iteratorI7is_evenIxENSC_INSA_10device_ptrIxEEEESG_SG_EENS0_5tupleIJPxSJ_EEENSR_IJSJ_SJ_EEES6_PlJS6_EEE10hipError_tPvRmT3_T4_T5_T6_T7_T9_mT8_P12ihipStream_tbDpT10_ENKUlT_T0_E_clISt17integral_constantIbLb1EES1F_EEDaS1A_S1B_EUlS1A_E_NS1_11comp_targetILNS1_3genE8ELNS1_11target_archE1030ELNS1_3gpuE2ELNS1_3repE0EEENS1_30default_config_static_selectorELNS0_4arch9wavefront6targetE1EEEvT1_ ; -- Begin function _ZN7rocprim17ROCPRIM_400000_NS6detail17trampoline_kernelINS0_14default_configENS1_25partition_config_selectorILNS1_17partition_subalgoE2ExNS0_10empty_typeEbEEZZNS1_14partition_implILS5_2ELb0ES3_jN6thrust23THRUST_200600_302600_NS6detail15normal_iteratorINSA_7pointerIxNSA_11hip_rocprim3tagENSA_11use_defaultESG_EEEEPS6_NSA_18transform_iteratorI7is_evenIxENSC_INSA_10device_ptrIxEEEESG_SG_EENS0_5tupleIJPxSJ_EEENSR_IJSJ_SJ_EEES6_PlJS6_EEE10hipError_tPvRmT3_T4_T5_T6_T7_T9_mT8_P12ihipStream_tbDpT10_ENKUlT_T0_E_clISt17integral_constantIbLb1EES1F_EEDaS1A_S1B_EUlS1A_E_NS1_11comp_targetILNS1_3genE8ELNS1_11target_archE1030ELNS1_3gpuE2ELNS1_3repE0EEENS1_30default_config_static_selectorELNS0_4arch9wavefront6targetE1EEEvT1_
	.globl	_ZN7rocprim17ROCPRIM_400000_NS6detail17trampoline_kernelINS0_14default_configENS1_25partition_config_selectorILNS1_17partition_subalgoE2ExNS0_10empty_typeEbEEZZNS1_14partition_implILS5_2ELb0ES3_jN6thrust23THRUST_200600_302600_NS6detail15normal_iteratorINSA_7pointerIxNSA_11hip_rocprim3tagENSA_11use_defaultESG_EEEEPS6_NSA_18transform_iteratorI7is_evenIxENSC_INSA_10device_ptrIxEEEESG_SG_EENS0_5tupleIJPxSJ_EEENSR_IJSJ_SJ_EEES6_PlJS6_EEE10hipError_tPvRmT3_T4_T5_T6_T7_T9_mT8_P12ihipStream_tbDpT10_ENKUlT_T0_E_clISt17integral_constantIbLb1EES1F_EEDaS1A_S1B_EUlS1A_E_NS1_11comp_targetILNS1_3genE8ELNS1_11target_archE1030ELNS1_3gpuE2ELNS1_3repE0EEENS1_30default_config_static_selectorELNS0_4arch9wavefront6targetE1EEEvT1_
	.p2align	8
	.type	_ZN7rocprim17ROCPRIM_400000_NS6detail17trampoline_kernelINS0_14default_configENS1_25partition_config_selectorILNS1_17partition_subalgoE2ExNS0_10empty_typeEbEEZZNS1_14partition_implILS5_2ELb0ES3_jN6thrust23THRUST_200600_302600_NS6detail15normal_iteratorINSA_7pointerIxNSA_11hip_rocprim3tagENSA_11use_defaultESG_EEEEPS6_NSA_18transform_iteratorI7is_evenIxENSC_INSA_10device_ptrIxEEEESG_SG_EENS0_5tupleIJPxSJ_EEENSR_IJSJ_SJ_EEES6_PlJS6_EEE10hipError_tPvRmT3_T4_T5_T6_T7_T9_mT8_P12ihipStream_tbDpT10_ENKUlT_T0_E_clISt17integral_constantIbLb1EES1F_EEDaS1A_S1B_EUlS1A_E_NS1_11comp_targetILNS1_3genE8ELNS1_11target_archE1030ELNS1_3gpuE2ELNS1_3repE0EEENS1_30default_config_static_selectorELNS0_4arch9wavefront6targetE1EEEvT1_,@function
_ZN7rocprim17ROCPRIM_400000_NS6detail17trampoline_kernelINS0_14default_configENS1_25partition_config_selectorILNS1_17partition_subalgoE2ExNS0_10empty_typeEbEEZZNS1_14partition_implILS5_2ELb0ES3_jN6thrust23THRUST_200600_302600_NS6detail15normal_iteratorINSA_7pointerIxNSA_11hip_rocprim3tagENSA_11use_defaultESG_EEEEPS6_NSA_18transform_iteratorI7is_evenIxENSC_INSA_10device_ptrIxEEEESG_SG_EENS0_5tupleIJPxSJ_EEENSR_IJSJ_SJ_EEES6_PlJS6_EEE10hipError_tPvRmT3_T4_T5_T6_T7_T9_mT8_P12ihipStream_tbDpT10_ENKUlT_T0_E_clISt17integral_constantIbLb1EES1F_EEDaS1A_S1B_EUlS1A_E_NS1_11comp_targetILNS1_3genE8ELNS1_11target_archE1030ELNS1_3gpuE2ELNS1_3repE0EEENS1_30default_config_static_selectorELNS0_4arch9wavefront6targetE1EEEvT1_: ; @_ZN7rocprim17ROCPRIM_400000_NS6detail17trampoline_kernelINS0_14default_configENS1_25partition_config_selectorILNS1_17partition_subalgoE2ExNS0_10empty_typeEbEEZZNS1_14partition_implILS5_2ELb0ES3_jN6thrust23THRUST_200600_302600_NS6detail15normal_iteratorINSA_7pointerIxNSA_11hip_rocprim3tagENSA_11use_defaultESG_EEEEPS6_NSA_18transform_iteratorI7is_evenIxENSC_INSA_10device_ptrIxEEEESG_SG_EENS0_5tupleIJPxSJ_EEENSR_IJSJ_SJ_EEES6_PlJS6_EEE10hipError_tPvRmT3_T4_T5_T6_T7_T9_mT8_P12ihipStream_tbDpT10_ENKUlT_T0_E_clISt17integral_constantIbLb1EES1F_EEDaS1A_S1B_EUlS1A_E_NS1_11comp_targetILNS1_3genE8ELNS1_11target_archE1030ELNS1_3gpuE2ELNS1_3repE0EEENS1_30default_config_static_selectorELNS0_4arch9wavefront6targetE1EEEvT1_
; %bb.0:
	.section	.rodata,"a",@progbits
	.p2align	6, 0x0
	.amdhsa_kernel _ZN7rocprim17ROCPRIM_400000_NS6detail17trampoline_kernelINS0_14default_configENS1_25partition_config_selectorILNS1_17partition_subalgoE2ExNS0_10empty_typeEbEEZZNS1_14partition_implILS5_2ELb0ES3_jN6thrust23THRUST_200600_302600_NS6detail15normal_iteratorINSA_7pointerIxNSA_11hip_rocprim3tagENSA_11use_defaultESG_EEEEPS6_NSA_18transform_iteratorI7is_evenIxENSC_INSA_10device_ptrIxEEEESG_SG_EENS0_5tupleIJPxSJ_EEENSR_IJSJ_SJ_EEES6_PlJS6_EEE10hipError_tPvRmT3_T4_T5_T6_T7_T9_mT8_P12ihipStream_tbDpT10_ENKUlT_T0_E_clISt17integral_constantIbLb1EES1F_EEDaS1A_S1B_EUlS1A_E_NS1_11comp_targetILNS1_3genE8ELNS1_11target_archE1030ELNS1_3gpuE2ELNS1_3repE0EEENS1_30default_config_static_selectorELNS0_4arch9wavefront6targetE1EEEvT1_
		.amdhsa_group_segment_fixed_size 0
		.amdhsa_private_segment_fixed_size 0
		.amdhsa_kernarg_size 144
		.amdhsa_user_sgpr_count 6
		.amdhsa_user_sgpr_private_segment_buffer 1
		.amdhsa_user_sgpr_dispatch_ptr 0
		.amdhsa_user_sgpr_queue_ptr 0
		.amdhsa_user_sgpr_kernarg_segment_ptr 1
		.amdhsa_user_sgpr_dispatch_id 0
		.amdhsa_user_sgpr_flat_scratch_init 0
		.amdhsa_user_sgpr_kernarg_preload_length 0
		.amdhsa_user_sgpr_kernarg_preload_offset 0
		.amdhsa_user_sgpr_private_segment_size 0
		.amdhsa_uses_dynamic_stack 0
		.amdhsa_system_sgpr_private_segment_wavefront_offset 0
		.amdhsa_system_sgpr_workgroup_id_x 1
		.amdhsa_system_sgpr_workgroup_id_y 0
		.amdhsa_system_sgpr_workgroup_id_z 0
		.amdhsa_system_sgpr_workgroup_info 0
		.amdhsa_system_vgpr_workitem_id 0
		.amdhsa_next_free_vgpr 1
		.amdhsa_next_free_sgpr 0
		.amdhsa_accum_offset 4
		.amdhsa_reserve_vcc 0
		.amdhsa_reserve_flat_scratch 0
		.amdhsa_float_round_mode_32 0
		.amdhsa_float_round_mode_16_64 0
		.amdhsa_float_denorm_mode_32 3
		.amdhsa_float_denorm_mode_16_64 3
		.amdhsa_dx10_clamp 1
		.amdhsa_ieee_mode 1
		.amdhsa_fp16_overflow 0
		.amdhsa_tg_split 0
		.amdhsa_exception_fp_ieee_invalid_op 0
		.amdhsa_exception_fp_denorm_src 0
		.amdhsa_exception_fp_ieee_div_zero 0
		.amdhsa_exception_fp_ieee_overflow 0
		.amdhsa_exception_fp_ieee_underflow 0
		.amdhsa_exception_fp_ieee_inexact 0
		.amdhsa_exception_int_div_zero 0
	.end_amdhsa_kernel
	.section	.text._ZN7rocprim17ROCPRIM_400000_NS6detail17trampoline_kernelINS0_14default_configENS1_25partition_config_selectorILNS1_17partition_subalgoE2ExNS0_10empty_typeEbEEZZNS1_14partition_implILS5_2ELb0ES3_jN6thrust23THRUST_200600_302600_NS6detail15normal_iteratorINSA_7pointerIxNSA_11hip_rocprim3tagENSA_11use_defaultESG_EEEEPS6_NSA_18transform_iteratorI7is_evenIxENSC_INSA_10device_ptrIxEEEESG_SG_EENS0_5tupleIJPxSJ_EEENSR_IJSJ_SJ_EEES6_PlJS6_EEE10hipError_tPvRmT3_T4_T5_T6_T7_T9_mT8_P12ihipStream_tbDpT10_ENKUlT_T0_E_clISt17integral_constantIbLb1EES1F_EEDaS1A_S1B_EUlS1A_E_NS1_11comp_targetILNS1_3genE8ELNS1_11target_archE1030ELNS1_3gpuE2ELNS1_3repE0EEENS1_30default_config_static_selectorELNS0_4arch9wavefront6targetE1EEEvT1_,"axG",@progbits,_ZN7rocprim17ROCPRIM_400000_NS6detail17trampoline_kernelINS0_14default_configENS1_25partition_config_selectorILNS1_17partition_subalgoE2ExNS0_10empty_typeEbEEZZNS1_14partition_implILS5_2ELb0ES3_jN6thrust23THRUST_200600_302600_NS6detail15normal_iteratorINSA_7pointerIxNSA_11hip_rocprim3tagENSA_11use_defaultESG_EEEEPS6_NSA_18transform_iteratorI7is_evenIxENSC_INSA_10device_ptrIxEEEESG_SG_EENS0_5tupleIJPxSJ_EEENSR_IJSJ_SJ_EEES6_PlJS6_EEE10hipError_tPvRmT3_T4_T5_T6_T7_T9_mT8_P12ihipStream_tbDpT10_ENKUlT_T0_E_clISt17integral_constantIbLb1EES1F_EEDaS1A_S1B_EUlS1A_E_NS1_11comp_targetILNS1_3genE8ELNS1_11target_archE1030ELNS1_3gpuE2ELNS1_3repE0EEENS1_30default_config_static_selectorELNS0_4arch9wavefront6targetE1EEEvT1_,comdat
.Lfunc_end205:
	.size	_ZN7rocprim17ROCPRIM_400000_NS6detail17trampoline_kernelINS0_14default_configENS1_25partition_config_selectorILNS1_17partition_subalgoE2ExNS0_10empty_typeEbEEZZNS1_14partition_implILS5_2ELb0ES3_jN6thrust23THRUST_200600_302600_NS6detail15normal_iteratorINSA_7pointerIxNSA_11hip_rocprim3tagENSA_11use_defaultESG_EEEEPS6_NSA_18transform_iteratorI7is_evenIxENSC_INSA_10device_ptrIxEEEESG_SG_EENS0_5tupleIJPxSJ_EEENSR_IJSJ_SJ_EEES6_PlJS6_EEE10hipError_tPvRmT3_T4_T5_T6_T7_T9_mT8_P12ihipStream_tbDpT10_ENKUlT_T0_E_clISt17integral_constantIbLb1EES1F_EEDaS1A_S1B_EUlS1A_E_NS1_11comp_targetILNS1_3genE8ELNS1_11target_archE1030ELNS1_3gpuE2ELNS1_3repE0EEENS1_30default_config_static_selectorELNS0_4arch9wavefront6targetE1EEEvT1_, .Lfunc_end205-_ZN7rocprim17ROCPRIM_400000_NS6detail17trampoline_kernelINS0_14default_configENS1_25partition_config_selectorILNS1_17partition_subalgoE2ExNS0_10empty_typeEbEEZZNS1_14partition_implILS5_2ELb0ES3_jN6thrust23THRUST_200600_302600_NS6detail15normal_iteratorINSA_7pointerIxNSA_11hip_rocprim3tagENSA_11use_defaultESG_EEEEPS6_NSA_18transform_iteratorI7is_evenIxENSC_INSA_10device_ptrIxEEEESG_SG_EENS0_5tupleIJPxSJ_EEENSR_IJSJ_SJ_EEES6_PlJS6_EEE10hipError_tPvRmT3_T4_T5_T6_T7_T9_mT8_P12ihipStream_tbDpT10_ENKUlT_T0_E_clISt17integral_constantIbLb1EES1F_EEDaS1A_S1B_EUlS1A_E_NS1_11comp_targetILNS1_3genE8ELNS1_11target_archE1030ELNS1_3gpuE2ELNS1_3repE0EEENS1_30default_config_static_selectorELNS0_4arch9wavefront6targetE1EEEvT1_
                                        ; -- End function
	.section	.AMDGPU.csdata,"",@progbits
; Kernel info:
; codeLenInByte = 0
; NumSgprs: 4
; NumVgprs: 0
; NumAgprs: 0
; TotalNumVgprs: 0
; ScratchSize: 0
; MemoryBound: 0
; FloatMode: 240
; IeeeMode: 1
; LDSByteSize: 0 bytes/workgroup (compile time only)
; SGPRBlocks: 0
; VGPRBlocks: 0
; NumSGPRsForWavesPerEU: 4
; NumVGPRsForWavesPerEU: 1
; AccumOffset: 4
; Occupancy: 8
; WaveLimiterHint : 0
; COMPUTE_PGM_RSRC2:SCRATCH_EN: 0
; COMPUTE_PGM_RSRC2:USER_SGPR: 6
; COMPUTE_PGM_RSRC2:TRAP_HANDLER: 0
; COMPUTE_PGM_RSRC2:TGID_X_EN: 1
; COMPUTE_PGM_RSRC2:TGID_Y_EN: 0
; COMPUTE_PGM_RSRC2:TGID_Z_EN: 0
; COMPUTE_PGM_RSRC2:TIDIG_COMP_CNT: 0
; COMPUTE_PGM_RSRC3_GFX90A:ACCUM_OFFSET: 0
; COMPUTE_PGM_RSRC3_GFX90A:TG_SPLIT: 0
	.section	.text._ZN7rocprim17ROCPRIM_400000_NS6detail17trampoline_kernelINS0_14default_configENS1_25partition_config_selectorILNS1_17partition_subalgoE2ExNS0_10empty_typeEbEEZZNS1_14partition_implILS5_2ELb0ES3_jN6thrust23THRUST_200600_302600_NS6detail15normal_iteratorINSA_7pointerIxNSA_11hip_rocprim3tagENSA_11use_defaultESG_EEEEPS6_NSA_18transform_iteratorI7is_evenIxENSC_INSA_10device_ptrIxEEEESG_SG_EENS0_5tupleIJPxSJ_EEENSR_IJSJ_SJ_EEES6_PlJS6_EEE10hipError_tPvRmT3_T4_T5_T6_T7_T9_mT8_P12ihipStream_tbDpT10_ENKUlT_T0_E_clISt17integral_constantIbLb1EES1E_IbLb0EEEEDaS1A_S1B_EUlS1A_E_NS1_11comp_targetILNS1_3genE0ELNS1_11target_archE4294967295ELNS1_3gpuE0ELNS1_3repE0EEENS1_30default_config_static_selectorELNS0_4arch9wavefront6targetE1EEEvT1_,"axG",@progbits,_ZN7rocprim17ROCPRIM_400000_NS6detail17trampoline_kernelINS0_14default_configENS1_25partition_config_selectorILNS1_17partition_subalgoE2ExNS0_10empty_typeEbEEZZNS1_14partition_implILS5_2ELb0ES3_jN6thrust23THRUST_200600_302600_NS6detail15normal_iteratorINSA_7pointerIxNSA_11hip_rocprim3tagENSA_11use_defaultESG_EEEEPS6_NSA_18transform_iteratorI7is_evenIxENSC_INSA_10device_ptrIxEEEESG_SG_EENS0_5tupleIJPxSJ_EEENSR_IJSJ_SJ_EEES6_PlJS6_EEE10hipError_tPvRmT3_T4_T5_T6_T7_T9_mT8_P12ihipStream_tbDpT10_ENKUlT_T0_E_clISt17integral_constantIbLb1EES1E_IbLb0EEEEDaS1A_S1B_EUlS1A_E_NS1_11comp_targetILNS1_3genE0ELNS1_11target_archE4294967295ELNS1_3gpuE0ELNS1_3repE0EEENS1_30default_config_static_selectorELNS0_4arch9wavefront6targetE1EEEvT1_,comdat
	.protected	_ZN7rocprim17ROCPRIM_400000_NS6detail17trampoline_kernelINS0_14default_configENS1_25partition_config_selectorILNS1_17partition_subalgoE2ExNS0_10empty_typeEbEEZZNS1_14partition_implILS5_2ELb0ES3_jN6thrust23THRUST_200600_302600_NS6detail15normal_iteratorINSA_7pointerIxNSA_11hip_rocprim3tagENSA_11use_defaultESG_EEEEPS6_NSA_18transform_iteratorI7is_evenIxENSC_INSA_10device_ptrIxEEEESG_SG_EENS0_5tupleIJPxSJ_EEENSR_IJSJ_SJ_EEES6_PlJS6_EEE10hipError_tPvRmT3_T4_T5_T6_T7_T9_mT8_P12ihipStream_tbDpT10_ENKUlT_T0_E_clISt17integral_constantIbLb1EES1E_IbLb0EEEEDaS1A_S1B_EUlS1A_E_NS1_11comp_targetILNS1_3genE0ELNS1_11target_archE4294967295ELNS1_3gpuE0ELNS1_3repE0EEENS1_30default_config_static_selectorELNS0_4arch9wavefront6targetE1EEEvT1_ ; -- Begin function _ZN7rocprim17ROCPRIM_400000_NS6detail17trampoline_kernelINS0_14default_configENS1_25partition_config_selectorILNS1_17partition_subalgoE2ExNS0_10empty_typeEbEEZZNS1_14partition_implILS5_2ELb0ES3_jN6thrust23THRUST_200600_302600_NS6detail15normal_iteratorINSA_7pointerIxNSA_11hip_rocprim3tagENSA_11use_defaultESG_EEEEPS6_NSA_18transform_iteratorI7is_evenIxENSC_INSA_10device_ptrIxEEEESG_SG_EENS0_5tupleIJPxSJ_EEENSR_IJSJ_SJ_EEES6_PlJS6_EEE10hipError_tPvRmT3_T4_T5_T6_T7_T9_mT8_P12ihipStream_tbDpT10_ENKUlT_T0_E_clISt17integral_constantIbLb1EES1E_IbLb0EEEEDaS1A_S1B_EUlS1A_E_NS1_11comp_targetILNS1_3genE0ELNS1_11target_archE4294967295ELNS1_3gpuE0ELNS1_3repE0EEENS1_30default_config_static_selectorELNS0_4arch9wavefront6targetE1EEEvT1_
	.globl	_ZN7rocprim17ROCPRIM_400000_NS6detail17trampoline_kernelINS0_14default_configENS1_25partition_config_selectorILNS1_17partition_subalgoE2ExNS0_10empty_typeEbEEZZNS1_14partition_implILS5_2ELb0ES3_jN6thrust23THRUST_200600_302600_NS6detail15normal_iteratorINSA_7pointerIxNSA_11hip_rocprim3tagENSA_11use_defaultESG_EEEEPS6_NSA_18transform_iteratorI7is_evenIxENSC_INSA_10device_ptrIxEEEESG_SG_EENS0_5tupleIJPxSJ_EEENSR_IJSJ_SJ_EEES6_PlJS6_EEE10hipError_tPvRmT3_T4_T5_T6_T7_T9_mT8_P12ihipStream_tbDpT10_ENKUlT_T0_E_clISt17integral_constantIbLb1EES1E_IbLb0EEEEDaS1A_S1B_EUlS1A_E_NS1_11comp_targetILNS1_3genE0ELNS1_11target_archE4294967295ELNS1_3gpuE0ELNS1_3repE0EEENS1_30default_config_static_selectorELNS0_4arch9wavefront6targetE1EEEvT1_
	.p2align	8
	.type	_ZN7rocprim17ROCPRIM_400000_NS6detail17trampoline_kernelINS0_14default_configENS1_25partition_config_selectorILNS1_17partition_subalgoE2ExNS0_10empty_typeEbEEZZNS1_14partition_implILS5_2ELb0ES3_jN6thrust23THRUST_200600_302600_NS6detail15normal_iteratorINSA_7pointerIxNSA_11hip_rocprim3tagENSA_11use_defaultESG_EEEEPS6_NSA_18transform_iteratorI7is_evenIxENSC_INSA_10device_ptrIxEEEESG_SG_EENS0_5tupleIJPxSJ_EEENSR_IJSJ_SJ_EEES6_PlJS6_EEE10hipError_tPvRmT3_T4_T5_T6_T7_T9_mT8_P12ihipStream_tbDpT10_ENKUlT_T0_E_clISt17integral_constantIbLb1EES1E_IbLb0EEEEDaS1A_S1B_EUlS1A_E_NS1_11comp_targetILNS1_3genE0ELNS1_11target_archE4294967295ELNS1_3gpuE0ELNS1_3repE0EEENS1_30default_config_static_selectorELNS0_4arch9wavefront6targetE1EEEvT1_,@function
_ZN7rocprim17ROCPRIM_400000_NS6detail17trampoline_kernelINS0_14default_configENS1_25partition_config_selectorILNS1_17partition_subalgoE2ExNS0_10empty_typeEbEEZZNS1_14partition_implILS5_2ELb0ES3_jN6thrust23THRUST_200600_302600_NS6detail15normal_iteratorINSA_7pointerIxNSA_11hip_rocprim3tagENSA_11use_defaultESG_EEEEPS6_NSA_18transform_iteratorI7is_evenIxENSC_INSA_10device_ptrIxEEEESG_SG_EENS0_5tupleIJPxSJ_EEENSR_IJSJ_SJ_EEES6_PlJS6_EEE10hipError_tPvRmT3_T4_T5_T6_T7_T9_mT8_P12ihipStream_tbDpT10_ENKUlT_T0_E_clISt17integral_constantIbLb1EES1E_IbLb0EEEEDaS1A_S1B_EUlS1A_E_NS1_11comp_targetILNS1_3genE0ELNS1_11target_archE4294967295ELNS1_3gpuE0ELNS1_3repE0EEENS1_30default_config_static_selectorELNS0_4arch9wavefront6targetE1EEEvT1_: ; @_ZN7rocprim17ROCPRIM_400000_NS6detail17trampoline_kernelINS0_14default_configENS1_25partition_config_selectorILNS1_17partition_subalgoE2ExNS0_10empty_typeEbEEZZNS1_14partition_implILS5_2ELb0ES3_jN6thrust23THRUST_200600_302600_NS6detail15normal_iteratorINSA_7pointerIxNSA_11hip_rocprim3tagENSA_11use_defaultESG_EEEEPS6_NSA_18transform_iteratorI7is_evenIxENSC_INSA_10device_ptrIxEEEESG_SG_EENS0_5tupleIJPxSJ_EEENSR_IJSJ_SJ_EEES6_PlJS6_EEE10hipError_tPvRmT3_T4_T5_T6_T7_T9_mT8_P12ihipStream_tbDpT10_ENKUlT_T0_E_clISt17integral_constantIbLb1EES1E_IbLb0EEEEDaS1A_S1B_EUlS1A_E_NS1_11comp_targetILNS1_3genE0ELNS1_11target_archE4294967295ELNS1_3gpuE0ELNS1_3repE0EEENS1_30default_config_static_selectorELNS0_4arch9wavefront6targetE1EEEvT1_
; %bb.0:
	.section	.rodata,"a",@progbits
	.p2align	6, 0x0
	.amdhsa_kernel _ZN7rocprim17ROCPRIM_400000_NS6detail17trampoline_kernelINS0_14default_configENS1_25partition_config_selectorILNS1_17partition_subalgoE2ExNS0_10empty_typeEbEEZZNS1_14partition_implILS5_2ELb0ES3_jN6thrust23THRUST_200600_302600_NS6detail15normal_iteratorINSA_7pointerIxNSA_11hip_rocprim3tagENSA_11use_defaultESG_EEEEPS6_NSA_18transform_iteratorI7is_evenIxENSC_INSA_10device_ptrIxEEEESG_SG_EENS0_5tupleIJPxSJ_EEENSR_IJSJ_SJ_EEES6_PlJS6_EEE10hipError_tPvRmT3_T4_T5_T6_T7_T9_mT8_P12ihipStream_tbDpT10_ENKUlT_T0_E_clISt17integral_constantIbLb1EES1E_IbLb0EEEEDaS1A_S1B_EUlS1A_E_NS1_11comp_targetILNS1_3genE0ELNS1_11target_archE4294967295ELNS1_3gpuE0ELNS1_3repE0EEENS1_30default_config_static_selectorELNS0_4arch9wavefront6targetE1EEEvT1_
		.amdhsa_group_segment_fixed_size 0
		.amdhsa_private_segment_fixed_size 0
		.amdhsa_kernarg_size 128
		.amdhsa_user_sgpr_count 6
		.amdhsa_user_sgpr_private_segment_buffer 1
		.amdhsa_user_sgpr_dispatch_ptr 0
		.amdhsa_user_sgpr_queue_ptr 0
		.amdhsa_user_sgpr_kernarg_segment_ptr 1
		.amdhsa_user_sgpr_dispatch_id 0
		.amdhsa_user_sgpr_flat_scratch_init 0
		.amdhsa_user_sgpr_kernarg_preload_length 0
		.amdhsa_user_sgpr_kernarg_preload_offset 0
		.amdhsa_user_sgpr_private_segment_size 0
		.amdhsa_uses_dynamic_stack 0
		.amdhsa_system_sgpr_private_segment_wavefront_offset 0
		.amdhsa_system_sgpr_workgroup_id_x 1
		.amdhsa_system_sgpr_workgroup_id_y 0
		.amdhsa_system_sgpr_workgroup_id_z 0
		.amdhsa_system_sgpr_workgroup_info 0
		.amdhsa_system_vgpr_workitem_id 0
		.amdhsa_next_free_vgpr 1
		.amdhsa_next_free_sgpr 0
		.amdhsa_accum_offset 4
		.amdhsa_reserve_vcc 0
		.amdhsa_reserve_flat_scratch 0
		.amdhsa_float_round_mode_32 0
		.amdhsa_float_round_mode_16_64 0
		.amdhsa_float_denorm_mode_32 3
		.amdhsa_float_denorm_mode_16_64 3
		.amdhsa_dx10_clamp 1
		.amdhsa_ieee_mode 1
		.amdhsa_fp16_overflow 0
		.amdhsa_tg_split 0
		.amdhsa_exception_fp_ieee_invalid_op 0
		.amdhsa_exception_fp_denorm_src 0
		.amdhsa_exception_fp_ieee_div_zero 0
		.amdhsa_exception_fp_ieee_overflow 0
		.amdhsa_exception_fp_ieee_underflow 0
		.amdhsa_exception_fp_ieee_inexact 0
		.amdhsa_exception_int_div_zero 0
	.end_amdhsa_kernel
	.section	.text._ZN7rocprim17ROCPRIM_400000_NS6detail17trampoline_kernelINS0_14default_configENS1_25partition_config_selectorILNS1_17partition_subalgoE2ExNS0_10empty_typeEbEEZZNS1_14partition_implILS5_2ELb0ES3_jN6thrust23THRUST_200600_302600_NS6detail15normal_iteratorINSA_7pointerIxNSA_11hip_rocprim3tagENSA_11use_defaultESG_EEEEPS6_NSA_18transform_iteratorI7is_evenIxENSC_INSA_10device_ptrIxEEEESG_SG_EENS0_5tupleIJPxSJ_EEENSR_IJSJ_SJ_EEES6_PlJS6_EEE10hipError_tPvRmT3_T4_T5_T6_T7_T9_mT8_P12ihipStream_tbDpT10_ENKUlT_T0_E_clISt17integral_constantIbLb1EES1E_IbLb0EEEEDaS1A_S1B_EUlS1A_E_NS1_11comp_targetILNS1_3genE0ELNS1_11target_archE4294967295ELNS1_3gpuE0ELNS1_3repE0EEENS1_30default_config_static_selectorELNS0_4arch9wavefront6targetE1EEEvT1_,"axG",@progbits,_ZN7rocprim17ROCPRIM_400000_NS6detail17trampoline_kernelINS0_14default_configENS1_25partition_config_selectorILNS1_17partition_subalgoE2ExNS0_10empty_typeEbEEZZNS1_14partition_implILS5_2ELb0ES3_jN6thrust23THRUST_200600_302600_NS6detail15normal_iteratorINSA_7pointerIxNSA_11hip_rocprim3tagENSA_11use_defaultESG_EEEEPS6_NSA_18transform_iteratorI7is_evenIxENSC_INSA_10device_ptrIxEEEESG_SG_EENS0_5tupleIJPxSJ_EEENSR_IJSJ_SJ_EEES6_PlJS6_EEE10hipError_tPvRmT3_T4_T5_T6_T7_T9_mT8_P12ihipStream_tbDpT10_ENKUlT_T0_E_clISt17integral_constantIbLb1EES1E_IbLb0EEEEDaS1A_S1B_EUlS1A_E_NS1_11comp_targetILNS1_3genE0ELNS1_11target_archE4294967295ELNS1_3gpuE0ELNS1_3repE0EEENS1_30default_config_static_selectorELNS0_4arch9wavefront6targetE1EEEvT1_,comdat
.Lfunc_end206:
	.size	_ZN7rocprim17ROCPRIM_400000_NS6detail17trampoline_kernelINS0_14default_configENS1_25partition_config_selectorILNS1_17partition_subalgoE2ExNS0_10empty_typeEbEEZZNS1_14partition_implILS5_2ELb0ES3_jN6thrust23THRUST_200600_302600_NS6detail15normal_iteratorINSA_7pointerIxNSA_11hip_rocprim3tagENSA_11use_defaultESG_EEEEPS6_NSA_18transform_iteratorI7is_evenIxENSC_INSA_10device_ptrIxEEEESG_SG_EENS0_5tupleIJPxSJ_EEENSR_IJSJ_SJ_EEES6_PlJS6_EEE10hipError_tPvRmT3_T4_T5_T6_T7_T9_mT8_P12ihipStream_tbDpT10_ENKUlT_T0_E_clISt17integral_constantIbLb1EES1E_IbLb0EEEEDaS1A_S1B_EUlS1A_E_NS1_11comp_targetILNS1_3genE0ELNS1_11target_archE4294967295ELNS1_3gpuE0ELNS1_3repE0EEENS1_30default_config_static_selectorELNS0_4arch9wavefront6targetE1EEEvT1_, .Lfunc_end206-_ZN7rocprim17ROCPRIM_400000_NS6detail17trampoline_kernelINS0_14default_configENS1_25partition_config_selectorILNS1_17partition_subalgoE2ExNS0_10empty_typeEbEEZZNS1_14partition_implILS5_2ELb0ES3_jN6thrust23THRUST_200600_302600_NS6detail15normal_iteratorINSA_7pointerIxNSA_11hip_rocprim3tagENSA_11use_defaultESG_EEEEPS6_NSA_18transform_iteratorI7is_evenIxENSC_INSA_10device_ptrIxEEEESG_SG_EENS0_5tupleIJPxSJ_EEENSR_IJSJ_SJ_EEES6_PlJS6_EEE10hipError_tPvRmT3_T4_T5_T6_T7_T9_mT8_P12ihipStream_tbDpT10_ENKUlT_T0_E_clISt17integral_constantIbLb1EES1E_IbLb0EEEEDaS1A_S1B_EUlS1A_E_NS1_11comp_targetILNS1_3genE0ELNS1_11target_archE4294967295ELNS1_3gpuE0ELNS1_3repE0EEENS1_30default_config_static_selectorELNS0_4arch9wavefront6targetE1EEEvT1_
                                        ; -- End function
	.section	.AMDGPU.csdata,"",@progbits
; Kernel info:
; codeLenInByte = 0
; NumSgprs: 4
; NumVgprs: 0
; NumAgprs: 0
; TotalNumVgprs: 0
; ScratchSize: 0
; MemoryBound: 0
; FloatMode: 240
; IeeeMode: 1
; LDSByteSize: 0 bytes/workgroup (compile time only)
; SGPRBlocks: 0
; VGPRBlocks: 0
; NumSGPRsForWavesPerEU: 4
; NumVGPRsForWavesPerEU: 1
; AccumOffset: 4
; Occupancy: 8
; WaveLimiterHint : 0
; COMPUTE_PGM_RSRC2:SCRATCH_EN: 0
; COMPUTE_PGM_RSRC2:USER_SGPR: 6
; COMPUTE_PGM_RSRC2:TRAP_HANDLER: 0
; COMPUTE_PGM_RSRC2:TGID_X_EN: 1
; COMPUTE_PGM_RSRC2:TGID_Y_EN: 0
; COMPUTE_PGM_RSRC2:TGID_Z_EN: 0
; COMPUTE_PGM_RSRC2:TIDIG_COMP_CNT: 0
; COMPUTE_PGM_RSRC3_GFX90A:ACCUM_OFFSET: 0
; COMPUTE_PGM_RSRC3_GFX90A:TG_SPLIT: 0
	.section	.text._ZN7rocprim17ROCPRIM_400000_NS6detail17trampoline_kernelINS0_14default_configENS1_25partition_config_selectorILNS1_17partition_subalgoE2ExNS0_10empty_typeEbEEZZNS1_14partition_implILS5_2ELb0ES3_jN6thrust23THRUST_200600_302600_NS6detail15normal_iteratorINSA_7pointerIxNSA_11hip_rocprim3tagENSA_11use_defaultESG_EEEEPS6_NSA_18transform_iteratorI7is_evenIxENSC_INSA_10device_ptrIxEEEESG_SG_EENS0_5tupleIJPxSJ_EEENSR_IJSJ_SJ_EEES6_PlJS6_EEE10hipError_tPvRmT3_T4_T5_T6_T7_T9_mT8_P12ihipStream_tbDpT10_ENKUlT_T0_E_clISt17integral_constantIbLb1EES1E_IbLb0EEEEDaS1A_S1B_EUlS1A_E_NS1_11comp_targetILNS1_3genE5ELNS1_11target_archE942ELNS1_3gpuE9ELNS1_3repE0EEENS1_30default_config_static_selectorELNS0_4arch9wavefront6targetE1EEEvT1_,"axG",@progbits,_ZN7rocprim17ROCPRIM_400000_NS6detail17trampoline_kernelINS0_14default_configENS1_25partition_config_selectorILNS1_17partition_subalgoE2ExNS0_10empty_typeEbEEZZNS1_14partition_implILS5_2ELb0ES3_jN6thrust23THRUST_200600_302600_NS6detail15normal_iteratorINSA_7pointerIxNSA_11hip_rocprim3tagENSA_11use_defaultESG_EEEEPS6_NSA_18transform_iteratorI7is_evenIxENSC_INSA_10device_ptrIxEEEESG_SG_EENS0_5tupleIJPxSJ_EEENSR_IJSJ_SJ_EEES6_PlJS6_EEE10hipError_tPvRmT3_T4_T5_T6_T7_T9_mT8_P12ihipStream_tbDpT10_ENKUlT_T0_E_clISt17integral_constantIbLb1EES1E_IbLb0EEEEDaS1A_S1B_EUlS1A_E_NS1_11comp_targetILNS1_3genE5ELNS1_11target_archE942ELNS1_3gpuE9ELNS1_3repE0EEENS1_30default_config_static_selectorELNS0_4arch9wavefront6targetE1EEEvT1_,comdat
	.protected	_ZN7rocprim17ROCPRIM_400000_NS6detail17trampoline_kernelINS0_14default_configENS1_25partition_config_selectorILNS1_17partition_subalgoE2ExNS0_10empty_typeEbEEZZNS1_14partition_implILS5_2ELb0ES3_jN6thrust23THRUST_200600_302600_NS6detail15normal_iteratorINSA_7pointerIxNSA_11hip_rocprim3tagENSA_11use_defaultESG_EEEEPS6_NSA_18transform_iteratorI7is_evenIxENSC_INSA_10device_ptrIxEEEESG_SG_EENS0_5tupleIJPxSJ_EEENSR_IJSJ_SJ_EEES6_PlJS6_EEE10hipError_tPvRmT3_T4_T5_T6_T7_T9_mT8_P12ihipStream_tbDpT10_ENKUlT_T0_E_clISt17integral_constantIbLb1EES1E_IbLb0EEEEDaS1A_S1B_EUlS1A_E_NS1_11comp_targetILNS1_3genE5ELNS1_11target_archE942ELNS1_3gpuE9ELNS1_3repE0EEENS1_30default_config_static_selectorELNS0_4arch9wavefront6targetE1EEEvT1_ ; -- Begin function _ZN7rocprim17ROCPRIM_400000_NS6detail17trampoline_kernelINS0_14default_configENS1_25partition_config_selectorILNS1_17partition_subalgoE2ExNS0_10empty_typeEbEEZZNS1_14partition_implILS5_2ELb0ES3_jN6thrust23THRUST_200600_302600_NS6detail15normal_iteratorINSA_7pointerIxNSA_11hip_rocprim3tagENSA_11use_defaultESG_EEEEPS6_NSA_18transform_iteratorI7is_evenIxENSC_INSA_10device_ptrIxEEEESG_SG_EENS0_5tupleIJPxSJ_EEENSR_IJSJ_SJ_EEES6_PlJS6_EEE10hipError_tPvRmT3_T4_T5_T6_T7_T9_mT8_P12ihipStream_tbDpT10_ENKUlT_T0_E_clISt17integral_constantIbLb1EES1E_IbLb0EEEEDaS1A_S1B_EUlS1A_E_NS1_11comp_targetILNS1_3genE5ELNS1_11target_archE942ELNS1_3gpuE9ELNS1_3repE0EEENS1_30default_config_static_selectorELNS0_4arch9wavefront6targetE1EEEvT1_
	.globl	_ZN7rocprim17ROCPRIM_400000_NS6detail17trampoline_kernelINS0_14default_configENS1_25partition_config_selectorILNS1_17partition_subalgoE2ExNS0_10empty_typeEbEEZZNS1_14partition_implILS5_2ELb0ES3_jN6thrust23THRUST_200600_302600_NS6detail15normal_iteratorINSA_7pointerIxNSA_11hip_rocprim3tagENSA_11use_defaultESG_EEEEPS6_NSA_18transform_iteratorI7is_evenIxENSC_INSA_10device_ptrIxEEEESG_SG_EENS0_5tupleIJPxSJ_EEENSR_IJSJ_SJ_EEES6_PlJS6_EEE10hipError_tPvRmT3_T4_T5_T6_T7_T9_mT8_P12ihipStream_tbDpT10_ENKUlT_T0_E_clISt17integral_constantIbLb1EES1E_IbLb0EEEEDaS1A_S1B_EUlS1A_E_NS1_11comp_targetILNS1_3genE5ELNS1_11target_archE942ELNS1_3gpuE9ELNS1_3repE0EEENS1_30default_config_static_selectorELNS0_4arch9wavefront6targetE1EEEvT1_
	.p2align	8
	.type	_ZN7rocprim17ROCPRIM_400000_NS6detail17trampoline_kernelINS0_14default_configENS1_25partition_config_selectorILNS1_17partition_subalgoE2ExNS0_10empty_typeEbEEZZNS1_14partition_implILS5_2ELb0ES3_jN6thrust23THRUST_200600_302600_NS6detail15normal_iteratorINSA_7pointerIxNSA_11hip_rocprim3tagENSA_11use_defaultESG_EEEEPS6_NSA_18transform_iteratorI7is_evenIxENSC_INSA_10device_ptrIxEEEESG_SG_EENS0_5tupleIJPxSJ_EEENSR_IJSJ_SJ_EEES6_PlJS6_EEE10hipError_tPvRmT3_T4_T5_T6_T7_T9_mT8_P12ihipStream_tbDpT10_ENKUlT_T0_E_clISt17integral_constantIbLb1EES1E_IbLb0EEEEDaS1A_S1B_EUlS1A_E_NS1_11comp_targetILNS1_3genE5ELNS1_11target_archE942ELNS1_3gpuE9ELNS1_3repE0EEENS1_30default_config_static_selectorELNS0_4arch9wavefront6targetE1EEEvT1_,@function
_ZN7rocprim17ROCPRIM_400000_NS6detail17trampoline_kernelINS0_14default_configENS1_25partition_config_selectorILNS1_17partition_subalgoE2ExNS0_10empty_typeEbEEZZNS1_14partition_implILS5_2ELb0ES3_jN6thrust23THRUST_200600_302600_NS6detail15normal_iteratorINSA_7pointerIxNSA_11hip_rocprim3tagENSA_11use_defaultESG_EEEEPS6_NSA_18transform_iteratorI7is_evenIxENSC_INSA_10device_ptrIxEEEESG_SG_EENS0_5tupleIJPxSJ_EEENSR_IJSJ_SJ_EEES6_PlJS6_EEE10hipError_tPvRmT3_T4_T5_T6_T7_T9_mT8_P12ihipStream_tbDpT10_ENKUlT_T0_E_clISt17integral_constantIbLb1EES1E_IbLb0EEEEDaS1A_S1B_EUlS1A_E_NS1_11comp_targetILNS1_3genE5ELNS1_11target_archE942ELNS1_3gpuE9ELNS1_3repE0EEENS1_30default_config_static_selectorELNS0_4arch9wavefront6targetE1EEEvT1_: ; @_ZN7rocprim17ROCPRIM_400000_NS6detail17trampoline_kernelINS0_14default_configENS1_25partition_config_selectorILNS1_17partition_subalgoE2ExNS0_10empty_typeEbEEZZNS1_14partition_implILS5_2ELb0ES3_jN6thrust23THRUST_200600_302600_NS6detail15normal_iteratorINSA_7pointerIxNSA_11hip_rocprim3tagENSA_11use_defaultESG_EEEEPS6_NSA_18transform_iteratorI7is_evenIxENSC_INSA_10device_ptrIxEEEESG_SG_EENS0_5tupleIJPxSJ_EEENSR_IJSJ_SJ_EEES6_PlJS6_EEE10hipError_tPvRmT3_T4_T5_T6_T7_T9_mT8_P12ihipStream_tbDpT10_ENKUlT_T0_E_clISt17integral_constantIbLb1EES1E_IbLb0EEEEDaS1A_S1B_EUlS1A_E_NS1_11comp_targetILNS1_3genE5ELNS1_11target_archE942ELNS1_3gpuE9ELNS1_3repE0EEENS1_30default_config_static_selectorELNS0_4arch9wavefront6targetE1EEEvT1_
; %bb.0:
	.section	.rodata,"a",@progbits
	.p2align	6, 0x0
	.amdhsa_kernel _ZN7rocprim17ROCPRIM_400000_NS6detail17trampoline_kernelINS0_14default_configENS1_25partition_config_selectorILNS1_17partition_subalgoE2ExNS0_10empty_typeEbEEZZNS1_14partition_implILS5_2ELb0ES3_jN6thrust23THRUST_200600_302600_NS6detail15normal_iteratorINSA_7pointerIxNSA_11hip_rocprim3tagENSA_11use_defaultESG_EEEEPS6_NSA_18transform_iteratorI7is_evenIxENSC_INSA_10device_ptrIxEEEESG_SG_EENS0_5tupleIJPxSJ_EEENSR_IJSJ_SJ_EEES6_PlJS6_EEE10hipError_tPvRmT3_T4_T5_T6_T7_T9_mT8_P12ihipStream_tbDpT10_ENKUlT_T0_E_clISt17integral_constantIbLb1EES1E_IbLb0EEEEDaS1A_S1B_EUlS1A_E_NS1_11comp_targetILNS1_3genE5ELNS1_11target_archE942ELNS1_3gpuE9ELNS1_3repE0EEENS1_30default_config_static_selectorELNS0_4arch9wavefront6targetE1EEEvT1_
		.amdhsa_group_segment_fixed_size 0
		.amdhsa_private_segment_fixed_size 0
		.amdhsa_kernarg_size 128
		.amdhsa_user_sgpr_count 6
		.amdhsa_user_sgpr_private_segment_buffer 1
		.amdhsa_user_sgpr_dispatch_ptr 0
		.amdhsa_user_sgpr_queue_ptr 0
		.amdhsa_user_sgpr_kernarg_segment_ptr 1
		.amdhsa_user_sgpr_dispatch_id 0
		.amdhsa_user_sgpr_flat_scratch_init 0
		.amdhsa_user_sgpr_kernarg_preload_length 0
		.amdhsa_user_sgpr_kernarg_preload_offset 0
		.amdhsa_user_sgpr_private_segment_size 0
		.amdhsa_uses_dynamic_stack 0
		.amdhsa_system_sgpr_private_segment_wavefront_offset 0
		.amdhsa_system_sgpr_workgroup_id_x 1
		.amdhsa_system_sgpr_workgroup_id_y 0
		.amdhsa_system_sgpr_workgroup_id_z 0
		.amdhsa_system_sgpr_workgroup_info 0
		.amdhsa_system_vgpr_workitem_id 0
		.amdhsa_next_free_vgpr 1
		.amdhsa_next_free_sgpr 0
		.amdhsa_accum_offset 4
		.amdhsa_reserve_vcc 0
		.amdhsa_reserve_flat_scratch 0
		.amdhsa_float_round_mode_32 0
		.amdhsa_float_round_mode_16_64 0
		.amdhsa_float_denorm_mode_32 3
		.amdhsa_float_denorm_mode_16_64 3
		.amdhsa_dx10_clamp 1
		.amdhsa_ieee_mode 1
		.amdhsa_fp16_overflow 0
		.amdhsa_tg_split 0
		.amdhsa_exception_fp_ieee_invalid_op 0
		.amdhsa_exception_fp_denorm_src 0
		.amdhsa_exception_fp_ieee_div_zero 0
		.amdhsa_exception_fp_ieee_overflow 0
		.amdhsa_exception_fp_ieee_underflow 0
		.amdhsa_exception_fp_ieee_inexact 0
		.amdhsa_exception_int_div_zero 0
	.end_amdhsa_kernel
	.section	.text._ZN7rocprim17ROCPRIM_400000_NS6detail17trampoline_kernelINS0_14default_configENS1_25partition_config_selectorILNS1_17partition_subalgoE2ExNS0_10empty_typeEbEEZZNS1_14partition_implILS5_2ELb0ES3_jN6thrust23THRUST_200600_302600_NS6detail15normal_iteratorINSA_7pointerIxNSA_11hip_rocprim3tagENSA_11use_defaultESG_EEEEPS6_NSA_18transform_iteratorI7is_evenIxENSC_INSA_10device_ptrIxEEEESG_SG_EENS0_5tupleIJPxSJ_EEENSR_IJSJ_SJ_EEES6_PlJS6_EEE10hipError_tPvRmT3_T4_T5_T6_T7_T9_mT8_P12ihipStream_tbDpT10_ENKUlT_T0_E_clISt17integral_constantIbLb1EES1E_IbLb0EEEEDaS1A_S1B_EUlS1A_E_NS1_11comp_targetILNS1_3genE5ELNS1_11target_archE942ELNS1_3gpuE9ELNS1_3repE0EEENS1_30default_config_static_selectorELNS0_4arch9wavefront6targetE1EEEvT1_,"axG",@progbits,_ZN7rocprim17ROCPRIM_400000_NS6detail17trampoline_kernelINS0_14default_configENS1_25partition_config_selectorILNS1_17partition_subalgoE2ExNS0_10empty_typeEbEEZZNS1_14partition_implILS5_2ELb0ES3_jN6thrust23THRUST_200600_302600_NS6detail15normal_iteratorINSA_7pointerIxNSA_11hip_rocprim3tagENSA_11use_defaultESG_EEEEPS6_NSA_18transform_iteratorI7is_evenIxENSC_INSA_10device_ptrIxEEEESG_SG_EENS0_5tupleIJPxSJ_EEENSR_IJSJ_SJ_EEES6_PlJS6_EEE10hipError_tPvRmT3_T4_T5_T6_T7_T9_mT8_P12ihipStream_tbDpT10_ENKUlT_T0_E_clISt17integral_constantIbLb1EES1E_IbLb0EEEEDaS1A_S1B_EUlS1A_E_NS1_11comp_targetILNS1_3genE5ELNS1_11target_archE942ELNS1_3gpuE9ELNS1_3repE0EEENS1_30default_config_static_selectorELNS0_4arch9wavefront6targetE1EEEvT1_,comdat
.Lfunc_end207:
	.size	_ZN7rocprim17ROCPRIM_400000_NS6detail17trampoline_kernelINS0_14default_configENS1_25partition_config_selectorILNS1_17partition_subalgoE2ExNS0_10empty_typeEbEEZZNS1_14partition_implILS5_2ELb0ES3_jN6thrust23THRUST_200600_302600_NS6detail15normal_iteratorINSA_7pointerIxNSA_11hip_rocprim3tagENSA_11use_defaultESG_EEEEPS6_NSA_18transform_iteratorI7is_evenIxENSC_INSA_10device_ptrIxEEEESG_SG_EENS0_5tupleIJPxSJ_EEENSR_IJSJ_SJ_EEES6_PlJS6_EEE10hipError_tPvRmT3_T4_T5_T6_T7_T9_mT8_P12ihipStream_tbDpT10_ENKUlT_T0_E_clISt17integral_constantIbLb1EES1E_IbLb0EEEEDaS1A_S1B_EUlS1A_E_NS1_11comp_targetILNS1_3genE5ELNS1_11target_archE942ELNS1_3gpuE9ELNS1_3repE0EEENS1_30default_config_static_selectorELNS0_4arch9wavefront6targetE1EEEvT1_, .Lfunc_end207-_ZN7rocprim17ROCPRIM_400000_NS6detail17trampoline_kernelINS0_14default_configENS1_25partition_config_selectorILNS1_17partition_subalgoE2ExNS0_10empty_typeEbEEZZNS1_14partition_implILS5_2ELb0ES3_jN6thrust23THRUST_200600_302600_NS6detail15normal_iteratorINSA_7pointerIxNSA_11hip_rocprim3tagENSA_11use_defaultESG_EEEEPS6_NSA_18transform_iteratorI7is_evenIxENSC_INSA_10device_ptrIxEEEESG_SG_EENS0_5tupleIJPxSJ_EEENSR_IJSJ_SJ_EEES6_PlJS6_EEE10hipError_tPvRmT3_T4_T5_T6_T7_T9_mT8_P12ihipStream_tbDpT10_ENKUlT_T0_E_clISt17integral_constantIbLb1EES1E_IbLb0EEEEDaS1A_S1B_EUlS1A_E_NS1_11comp_targetILNS1_3genE5ELNS1_11target_archE942ELNS1_3gpuE9ELNS1_3repE0EEENS1_30default_config_static_selectorELNS0_4arch9wavefront6targetE1EEEvT1_
                                        ; -- End function
	.section	.AMDGPU.csdata,"",@progbits
; Kernel info:
; codeLenInByte = 0
; NumSgprs: 4
; NumVgprs: 0
; NumAgprs: 0
; TotalNumVgprs: 0
; ScratchSize: 0
; MemoryBound: 0
; FloatMode: 240
; IeeeMode: 1
; LDSByteSize: 0 bytes/workgroup (compile time only)
; SGPRBlocks: 0
; VGPRBlocks: 0
; NumSGPRsForWavesPerEU: 4
; NumVGPRsForWavesPerEU: 1
; AccumOffset: 4
; Occupancy: 8
; WaveLimiterHint : 0
; COMPUTE_PGM_RSRC2:SCRATCH_EN: 0
; COMPUTE_PGM_RSRC2:USER_SGPR: 6
; COMPUTE_PGM_RSRC2:TRAP_HANDLER: 0
; COMPUTE_PGM_RSRC2:TGID_X_EN: 1
; COMPUTE_PGM_RSRC2:TGID_Y_EN: 0
; COMPUTE_PGM_RSRC2:TGID_Z_EN: 0
; COMPUTE_PGM_RSRC2:TIDIG_COMP_CNT: 0
; COMPUTE_PGM_RSRC3_GFX90A:ACCUM_OFFSET: 0
; COMPUTE_PGM_RSRC3_GFX90A:TG_SPLIT: 0
	.section	.text._ZN7rocprim17ROCPRIM_400000_NS6detail17trampoline_kernelINS0_14default_configENS1_25partition_config_selectorILNS1_17partition_subalgoE2ExNS0_10empty_typeEbEEZZNS1_14partition_implILS5_2ELb0ES3_jN6thrust23THRUST_200600_302600_NS6detail15normal_iteratorINSA_7pointerIxNSA_11hip_rocprim3tagENSA_11use_defaultESG_EEEEPS6_NSA_18transform_iteratorI7is_evenIxENSC_INSA_10device_ptrIxEEEESG_SG_EENS0_5tupleIJPxSJ_EEENSR_IJSJ_SJ_EEES6_PlJS6_EEE10hipError_tPvRmT3_T4_T5_T6_T7_T9_mT8_P12ihipStream_tbDpT10_ENKUlT_T0_E_clISt17integral_constantIbLb1EES1E_IbLb0EEEEDaS1A_S1B_EUlS1A_E_NS1_11comp_targetILNS1_3genE4ELNS1_11target_archE910ELNS1_3gpuE8ELNS1_3repE0EEENS1_30default_config_static_selectorELNS0_4arch9wavefront6targetE1EEEvT1_,"axG",@progbits,_ZN7rocprim17ROCPRIM_400000_NS6detail17trampoline_kernelINS0_14default_configENS1_25partition_config_selectorILNS1_17partition_subalgoE2ExNS0_10empty_typeEbEEZZNS1_14partition_implILS5_2ELb0ES3_jN6thrust23THRUST_200600_302600_NS6detail15normal_iteratorINSA_7pointerIxNSA_11hip_rocprim3tagENSA_11use_defaultESG_EEEEPS6_NSA_18transform_iteratorI7is_evenIxENSC_INSA_10device_ptrIxEEEESG_SG_EENS0_5tupleIJPxSJ_EEENSR_IJSJ_SJ_EEES6_PlJS6_EEE10hipError_tPvRmT3_T4_T5_T6_T7_T9_mT8_P12ihipStream_tbDpT10_ENKUlT_T0_E_clISt17integral_constantIbLb1EES1E_IbLb0EEEEDaS1A_S1B_EUlS1A_E_NS1_11comp_targetILNS1_3genE4ELNS1_11target_archE910ELNS1_3gpuE8ELNS1_3repE0EEENS1_30default_config_static_selectorELNS0_4arch9wavefront6targetE1EEEvT1_,comdat
	.protected	_ZN7rocprim17ROCPRIM_400000_NS6detail17trampoline_kernelINS0_14default_configENS1_25partition_config_selectorILNS1_17partition_subalgoE2ExNS0_10empty_typeEbEEZZNS1_14partition_implILS5_2ELb0ES3_jN6thrust23THRUST_200600_302600_NS6detail15normal_iteratorINSA_7pointerIxNSA_11hip_rocprim3tagENSA_11use_defaultESG_EEEEPS6_NSA_18transform_iteratorI7is_evenIxENSC_INSA_10device_ptrIxEEEESG_SG_EENS0_5tupleIJPxSJ_EEENSR_IJSJ_SJ_EEES6_PlJS6_EEE10hipError_tPvRmT3_T4_T5_T6_T7_T9_mT8_P12ihipStream_tbDpT10_ENKUlT_T0_E_clISt17integral_constantIbLb1EES1E_IbLb0EEEEDaS1A_S1B_EUlS1A_E_NS1_11comp_targetILNS1_3genE4ELNS1_11target_archE910ELNS1_3gpuE8ELNS1_3repE0EEENS1_30default_config_static_selectorELNS0_4arch9wavefront6targetE1EEEvT1_ ; -- Begin function _ZN7rocprim17ROCPRIM_400000_NS6detail17trampoline_kernelINS0_14default_configENS1_25partition_config_selectorILNS1_17partition_subalgoE2ExNS0_10empty_typeEbEEZZNS1_14partition_implILS5_2ELb0ES3_jN6thrust23THRUST_200600_302600_NS6detail15normal_iteratorINSA_7pointerIxNSA_11hip_rocprim3tagENSA_11use_defaultESG_EEEEPS6_NSA_18transform_iteratorI7is_evenIxENSC_INSA_10device_ptrIxEEEESG_SG_EENS0_5tupleIJPxSJ_EEENSR_IJSJ_SJ_EEES6_PlJS6_EEE10hipError_tPvRmT3_T4_T5_T6_T7_T9_mT8_P12ihipStream_tbDpT10_ENKUlT_T0_E_clISt17integral_constantIbLb1EES1E_IbLb0EEEEDaS1A_S1B_EUlS1A_E_NS1_11comp_targetILNS1_3genE4ELNS1_11target_archE910ELNS1_3gpuE8ELNS1_3repE0EEENS1_30default_config_static_selectorELNS0_4arch9wavefront6targetE1EEEvT1_
	.globl	_ZN7rocprim17ROCPRIM_400000_NS6detail17trampoline_kernelINS0_14default_configENS1_25partition_config_selectorILNS1_17partition_subalgoE2ExNS0_10empty_typeEbEEZZNS1_14partition_implILS5_2ELb0ES3_jN6thrust23THRUST_200600_302600_NS6detail15normal_iteratorINSA_7pointerIxNSA_11hip_rocprim3tagENSA_11use_defaultESG_EEEEPS6_NSA_18transform_iteratorI7is_evenIxENSC_INSA_10device_ptrIxEEEESG_SG_EENS0_5tupleIJPxSJ_EEENSR_IJSJ_SJ_EEES6_PlJS6_EEE10hipError_tPvRmT3_T4_T5_T6_T7_T9_mT8_P12ihipStream_tbDpT10_ENKUlT_T0_E_clISt17integral_constantIbLb1EES1E_IbLb0EEEEDaS1A_S1B_EUlS1A_E_NS1_11comp_targetILNS1_3genE4ELNS1_11target_archE910ELNS1_3gpuE8ELNS1_3repE0EEENS1_30default_config_static_selectorELNS0_4arch9wavefront6targetE1EEEvT1_
	.p2align	8
	.type	_ZN7rocprim17ROCPRIM_400000_NS6detail17trampoline_kernelINS0_14default_configENS1_25partition_config_selectorILNS1_17partition_subalgoE2ExNS0_10empty_typeEbEEZZNS1_14partition_implILS5_2ELb0ES3_jN6thrust23THRUST_200600_302600_NS6detail15normal_iteratorINSA_7pointerIxNSA_11hip_rocprim3tagENSA_11use_defaultESG_EEEEPS6_NSA_18transform_iteratorI7is_evenIxENSC_INSA_10device_ptrIxEEEESG_SG_EENS0_5tupleIJPxSJ_EEENSR_IJSJ_SJ_EEES6_PlJS6_EEE10hipError_tPvRmT3_T4_T5_T6_T7_T9_mT8_P12ihipStream_tbDpT10_ENKUlT_T0_E_clISt17integral_constantIbLb1EES1E_IbLb0EEEEDaS1A_S1B_EUlS1A_E_NS1_11comp_targetILNS1_3genE4ELNS1_11target_archE910ELNS1_3gpuE8ELNS1_3repE0EEENS1_30default_config_static_selectorELNS0_4arch9wavefront6targetE1EEEvT1_,@function
_ZN7rocprim17ROCPRIM_400000_NS6detail17trampoline_kernelINS0_14default_configENS1_25partition_config_selectorILNS1_17partition_subalgoE2ExNS0_10empty_typeEbEEZZNS1_14partition_implILS5_2ELb0ES3_jN6thrust23THRUST_200600_302600_NS6detail15normal_iteratorINSA_7pointerIxNSA_11hip_rocprim3tagENSA_11use_defaultESG_EEEEPS6_NSA_18transform_iteratorI7is_evenIxENSC_INSA_10device_ptrIxEEEESG_SG_EENS0_5tupleIJPxSJ_EEENSR_IJSJ_SJ_EEES6_PlJS6_EEE10hipError_tPvRmT3_T4_T5_T6_T7_T9_mT8_P12ihipStream_tbDpT10_ENKUlT_T0_E_clISt17integral_constantIbLb1EES1E_IbLb0EEEEDaS1A_S1B_EUlS1A_E_NS1_11comp_targetILNS1_3genE4ELNS1_11target_archE910ELNS1_3gpuE8ELNS1_3repE0EEENS1_30default_config_static_selectorELNS0_4arch9wavefront6targetE1EEEvT1_: ; @_ZN7rocprim17ROCPRIM_400000_NS6detail17trampoline_kernelINS0_14default_configENS1_25partition_config_selectorILNS1_17partition_subalgoE2ExNS0_10empty_typeEbEEZZNS1_14partition_implILS5_2ELb0ES3_jN6thrust23THRUST_200600_302600_NS6detail15normal_iteratorINSA_7pointerIxNSA_11hip_rocprim3tagENSA_11use_defaultESG_EEEEPS6_NSA_18transform_iteratorI7is_evenIxENSC_INSA_10device_ptrIxEEEESG_SG_EENS0_5tupleIJPxSJ_EEENSR_IJSJ_SJ_EEES6_PlJS6_EEE10hipError_tPvRmT3_T4_T5_T6_T7_T9_mT8_P12ihipStream_tbDpT10_ENKUlT_T0_E_clISt17integral_constantIbLb1EES1E_IbLb0EEEEDaS1A_S1B_EUlS1A_E_NS1_11comp_targetILNS1_3genE4ELNS1_11target_archE910ELNS1_3gpuE8ELNS1_3repE0EEENS1_30default_config_static_selectorELNS0_4arch9wavefront6targetE1EEEvT1_
; %bb.0:
	s_load_dwordx4 s[24:27], s[4:5], 0x8
	s_load_dwordx2 s[2:3], s[4:5], 0x20
	s_load_dwordx2 s[28:29], s[4:5], 0x60
	s_load_dwordx4 s[20:23], s[4:5], 0x50
	s_load_dword s0, s[4:5], 0x78
	s_waitcnt lgkmcnt(0)
	s_lshl_b64 s[8:9], s[26:27], 3
	s_add_u32 s7, s24, s8
	s_addc_u32 s12, s25, s9
	s_load_dwordx2 s[30:31], s[22:23], 0x0
	s_add_i32 s10, s0, -1
	s_mulk_i32 s0, 0x300
	s_add_i32 s1, s0, s26
	s_sub_i32 s33, s28, s1
	s_addk_i32 s33, 0x300
	s_add_u32 s0, s26, s0
	s_addc_u32 s1, s27, 0
	s_cmp_eq_u32 s6, s10
	v_pk_mov_b32 v[2:3], s[28:29], s[28:29] op_sel:[0,1]
	s_cselect_b64 s[22:23], -1, 0
	s_cmp_lg_u32 s6, s10
	s_mul_i32 s24, s6, 0x300
	s_mov_b32 s25, 0
	v_cmp_lt_u64_e32 vcc, s[0:1], v[2:3]
	s_cselect_b64 s[0:1], -1, 0
	s_or_b64 s[34:35], s[0:1], vcc
	s_lshl_b64 s[10:11], s[24:25], 3
	s_add_u32 s7, s7, s10
	s_addc_u32 s14, s12, s11
	s_mov_b64 s[0:1], -1
	s_and_b64 vcc, exec, s[34:35]
	v_lshlrev_b32_e32 v1, 3, v0
	v_lshrrev_b32_e32 v10, 2, v0
	s_cbranch_vccz .LBB208_2
; %bb.1:
	v_mov_b32_e32 v3, s14
	v_add_co_u32_e32 v2, vcc, s7, v1
	v_addc_co_u32_e32 v3, vcc, 0, v3, vcc
	v_add_co_u32_e32 v4, vcc, 0x1000, v2
	v_addc_co_u32_e32 v5, vcc, 0, v3, vcc
	flat_load_dwordx2 v[6:7], v[2:3]
	flat_load_dwordx2 v[8:9], v[2:3] offset:1536
	flat_load_dwordx2 v[12:13], v[2:3] offset:3072
	;; [unrolled: 1-line block ×3, first 2 shown]
	v_add_u32_e32 v3, 0xc0, v0
	v_add_u32_e32 v4, 0x180, v0
	;; [unrolled: 1-line block ×3, first 2 shown]
	v_and_b32_e32 v2, 56, v10
	v_lshrrev_b32_e32 v3, 2, v3
	v_lshrrev_b32_e32 v4, 2, v4
	;; [unrolled: 1-line block ×3, first 2 shown]
	v_add_u32_e32 v2, v2, v1
	v_and_b32_e32 v3, 0x78, v3
	v_and_b32_e32 v4, 0xf8, v4
	;; [unrolled: 1-line block ×3, first 2 shown]
	v_add_u32_e32 v3, v3, v1
	v_add_u32_e32 v4, v4, v1
	;; [unrolled: 1-line block ×3, first 2 shown]
	s_mov_b64 s[0:1], 0
	s_waitcnt vmcnt(0) lgkmcnt(0)
	ds_write_b64 v2, v[6:7]
	ds_write_b64 v3, v[8:9] offset:1536
	ds_write_b64 v4, v[12:13] offset:3072
	;; [unrolled: 1-line block ×3, first 2 shown]
	s_waitcnt lgkmcnt(0)
	s_barrier
.LBB208_2:
	s_andn2_b64 vcc, exec, s[0:1]
	v_cmp_gt_u32_e64 s[0:1], s33, v0
	s_cbranch_vccnz .LBB208_12
; %bb.3:
                                        ; implicit-def: $vgpr2_vgpr3_vgpr4_vgpr5_vgpr6_vgpr7_vgpr8_vgpr9
	s_and_saveexec_b64 s[12:13], s[0:1]
	s_cbranch_execz .LBB208_5
; %bb.4:
	v_mov_b32_e32 v3, s14
	v_add_co_u32_e32 v2, vcc, s7, v1
	v_addc_co_u32_e32 v3, vcc, 0, v3, vcc
	flat_load_dwordx2 v[2:3], v[2:3]
.LBB208_5:
	s_or_b64 exec, exec, s[12:13]
	v_add_u32_e32 v11, 0xc0, v0
	v_cmp_gt_u32_e32 vcc, s33, v11
	s_and_saveexec_b64 s[0:1], vcc
	s_cbranch_execz .LBB208_7
; %bb.6:
	v_mov_b32_e32 v5, s14
	v_add_co_u32_e32 v4, vcc, s7, v1
	v_addc_co_u32_e32 v5, vcc, 0, v5, vcc
	flat_load_dwordx2 v[4:5], v[4:5] offset:1536
.LBB208_7:
	s_or_b64 exec, exec, s[0:1]
	v_add_u32_e32 v12, 0x180, v0
	v_cmp_gt_u32_e32 vcc, s33, v12
	s_and_saveexec_b64 s[0:1], vcc
	s_cbranch_execz .LBB208_9
; %bb.8:
	v_mov_b32_e32 v7, s14
	v_add_co_u32_e32 v6, vcc, s7, v1
	v_addc_co_u32_e32 v7, vcc, 0, v7, vcc
	flat_load_dwordx2 v[6:7], v[6:7] offset:3072
.LBB208_9:
	s_or_b64 exec, exec, s[0:1]
	v_add_u32_e32 v13, 0x240, v0
	v_cmp_gt_u32_e32 vcc, s33, v13
	s_and_saveexec_b64 s[0:1], vcc
	s_cbranch_execz .LBB208_11
; %bb.10:
	v_lshlrev_b32_e32 v8, 3, v13
	v_mov_b32_e32 v9, s14
	v_add_co_u32_e32 v8, vcc, s7, v8
	v_addc_co_u32_e32 v9, vcc, 0, v9, vcc
	flat_load_dwordx2 v[8:9], v[8:9]
.LBB208_11:
	s_or_b64 exec, exec, s[0:1]
	v_and_b32_e32 v10, 56, v10
	v_add_u32_e32 v10, v10, v1
	s_waitcnt vmcnt(0) lgkmcnt(0)
	ds_write_b64 v10, v[2:3]
	v_lshrrev_b32_e32 v2, 2, v11
	v_and_b32_e32 v2, 0x78, v2
	v_add_u32_e32 v2, v2, v1
	ds_write_b64 v2, v[4:5] offset:1536
	v_lshrrev_b32_e32 v2, 2, v12
	v_and_b32_e32 v2, 0xf8, v2
	v_add_u32_e32 v2, v2, v1
	ds_write_b64 v2, v[6:7] offset:3072
	;; [unrolled: 4-line block ×3, first 2 shown]
	s_waitcnt lgkmcnt(0)
	s_barrier
.LBB208_12:
	v_lshlrev_b32_e32 v20, 2, v0
	v_lshrrev_b32_e32 v10, 3, v0
	v_add_lshl_u32 v2, v10, v20, 3
	s_waitcnt lgkmcnt(0)
	ds_read2_b64 v[6:9], v2 offset1:1
	ds_read2_b64 v[2:5], v2 offset0:2 offset1:3
	s_add_u32 s0, s2, s8
	s_addc_u32 s1, s3, s9
	s_add_u32 s0, s0, s10
	s_addc_u32 s1, s1, s11
	s_mov_b64 s[2:3], -1
	s_and_b64 vcc, exec, s[34:35]
	v_lshrrev_b32_e32 v11, 5, v0
	s_waitcnt lgkmcnt(0)
	s_barrier
	s_cbranch_vccz .LBB208_14
; %bb.13:
	global_load_dwordx2 v[12:13], v1, s[0:1]
	global_load_dwordx2 v[14:15], v1, s[0:1] offset:1536
	global_load_dwordx2 v[16:17], v1, s[0:1] offset:3072
	v_mov_b32_e32 v18, s1
	s_waitcnt vmcnt(2)
	v_add_co_u32_e32 v13, vcc, s0, v1
	s_waitcnt vmcnt(1)
	v_addc_co_u32_e32 v15, vcc, 0, v18, vcc
	v_add_co_u32_e32 v18, vcc, 0x1000, v13
	v_addc_co_u32_e32 v19, vcc, 0, v15, vcc
	global_load_dwordx2 v[18:19], v[18:19], off offset:512
	v_add_u32_e32 v15, 0xc0, v0
	s_waitcnt vmcnt(1)
	v_add_u32_e32 v17, 0x180, v0
	v_and_b32_e32 v13, 4, v11
	s_waitcnt vmcnt(0)
	v_add_u32_e32 v19, 0x240, v0
	v_lshrrev_b32_e32 v15, 5, v15
	v_lshrrev_b32_e32 v17, 5, v17
	v_add_u32_e32 v13, v13, v0
	v_lshrrev_b32_e32 v19, 5, v19
	v_and_b32_e32 v15, 12, v15
	v_and_b32_e32 v17, 28, v17
	;; [unrolled: 1-line block ×3, first 2 shown]
	v_add_u32_e32 v15, v15, v0
	v_add_u32_e32 v17, v17, v0
	;; [unrolled: 1-line block ×3, first 2 shown]
	s_mov_b64 s[2:3], 0
	v_xor_b32_e32 v12, -1, v12
	v_xor_b32_e32 v14, -1, v14
	;; [unrolled: 1-line block ×3, first 2 shown]
	v_and_b32_e32 v12, 1, v12
	v_and_b32_e32 v14, 1, v14
	;; [unrolled: 1-line block ×3, first 2 shown]
	ds_write_b8 v13, v12
	ds_write_b8 v15, v14 offset:192
	ds_write_b8 v17, v16 offset:384
	v_xor_b32_e32 v12, -1, v18
	v_and_b32_e32 v12, 1, v12
	ds_write_b8 v19, v12 offset:576
	s_waitcnt lgkmcnt(0)
	s_barrier
.LBB208_14:
	s_load_dwordx2 s[36:37], s[4:5], 0x70
	s_andn2_b64 vcc, exec, s[2:3]
	s_cbranch_vccnz .LBB208_24
; %bb.15:
	v_cmp_gt_u32_e32 vcc, s33, v0
	v_mov_b32_e32 v12, 0
	v_mov_b32_e32 v13, 0
	s_and_saveexec_b64 s[2:3], vcc
	s_cbranch_execz .LBB208_17
; %bb.16:
	global_load_dwordx2 v[14:15], v1, s[0:1]
	s_waitcnt vmcnt(0)
	v_xor_b32_e32 v13, -1, v14
	v_and_b32_e32 v13, 1, v13
.LBB208_17:
	s_or_b64 exec, exec, s[2:3]
	v_add_u32_e32 v14, 0xc0, v0
	v_cmp_gt_u32_e32 vcc, s33, v14
	s_and_saveexec_b64 s[2:3], vcc
	s_cbranch_execz .LBB208_19
; %bb.18:
	global_load_dwordx2 v[16:17], v1, s[0:1] offset:1536
	s_waitcnt vmcnt(0)
	v_xor_b32_e32 v12, -1, v16
	v_and_b32_e32 v12, 1, v12
.LBB208_19:
	s_or_b64 exec, exec, s[2:3]
	v_add_u32_e32 v16, 0x180, v0
	v_cmp_gt_u32_e32 vcc, s33, v16
	v_mov_b32_e32 v15, 0
	v_mov_b32_e32 v17, 0
	s_and_saveexec_b64 s[2:3], vcc
	s_cbranch_execz .LBB208_21
; %bb.20:
	global_load_dwordx2 v[18:19], v1, s[0:1] offset:3072
	s_waitcnt vmcnt(0)
	v_xor_b32_e32 v17, -1, v18
	v_and_b32_e32 v17, 1, v17
.LBB208_21:
	s_or_b64 exec, exec, s[2:3]
	v_add_u32_e32 v18, 0x240, v0
	v_cmp_gt_u32_e32 vcc, s33, v18
	s_and_saveexec_b64 s[2:3], vcc
	s_cbranch_execz .LBB208_23
; %bb.22:
	v_lshlrev_b32_e32 v15, 3, v18
	global_load_dwordx2 v[22:23], v15, s[0:1]
	s_waitcnt vmcnt(0)
	v_xor_b32_e32 v15, -1, v22
	v_and_b32_e32 v15, 1, v15
.LBB208_23:
	s_or_b64 exec, exec, s[2:3]
	v_and_b32_e32 v11, 4, v11
	v_add_u32_e32 v11, v11, v0
	ds_write_b8 v11, v13
	v_lshrrev_b32_e32 v11, 5, v14
	v_and_b32_e32 v11, 12, v11
	v_add_u32_e32 v11, v11, v0
	ds_write_b8 v11, v12 offset:192
	v_lshrrev_b32_e32 v11, 5, v16
	v_and_b32_e32 v11, 28, v11
	v_add_u32_e32 v11, v11, v0
	ds_write_b8 v11, v17 offset:384
	;; [unrolled: 4-line block ×3, first 2 shown]
	s_waitcnt lgkmcnt(0)
	s_barrier
.LBB208_24:
	v_and_b32_e32 v10, 28, v10
	v_add_u32_e32 v10, v10, v20
	s_waitcnt lgkmcnt(0)
	ds_read_b32 v22, v10
	s_cmp_lg_u32 s6, 0
	v_lshrrev_b32_e32 v25, 6, v0
	s_waitcnt lgkmcnt(0)
	s_barrier
	v_lshrrev_b32_e32 v21, 24, v22
	v_bfe_u32 v23, v22, 16, 8
	v_add_u32_sdwa v10, v22, v22 dst_sel:DWORD dst_unused:UNUSED_PAD src0_sel:BYTE_1 src1_sel:BYTE_0
	v_add3_u32 v26, v10, v23, v21
	v_mbcnt_lo_u32_b32 v10, -1, 0
	v_mbcnt_hi_u32_b32 v24, -1, v10
	v_and_b32_e32 v10, 15, v24
	v_cmp_eq_u32_e64 s[14:15], 0, v10
	v_cmp_lt_u32_e64 s[12:13], 1, v10
	v_cmp_lt_u32_e64 s[10:11], 3, v10
	;; [unrolled: 1-line block ×3, first 2 shown]
	v_and_b32_e32 v10, 16, v24
	v_cmp_eq_u32_e64 s[2:3], 0, v10
	v_and_b32_e32 v10, 0xc0, v0
	v_min_u32_e32 v10, 0x80, v10
	v_or_b32_e32 v10, 63, v10
	v_cmp_lt_u32_e64 s[0:1], 31, v24
	v_cmp_eq_u32_e64 s[18:19], v10, v0
	s_cbranch_scc0 .LBB208_55
; %bb.25:
	v_mov_b32_dpp v10, v26 row_shr:1 row_mask:0xf bank_mask:0xf
	v_cndmask_b32_e64 v10, v10, 0, s[14:15]
	v_add_u32_e32 v10, v10, v26
	s_nop 1
	v_mov_b32_dpp v11, v10 row_shr:2 row_mask:0xf bank_mask:0xf
	v_cndmask_b32_e64 v11, 0, v11, s[12:13]
	v_add_u32_e32 v10, v10, v11
	s_nop 1
	v_mov_b32_dpp v11, v10 row_shr:4 row_mask:0xf bank_mask:0xf
	v_cndmask_b32_e64 v11, 0, v11, s[10:11]
	v_add_u32_e32 v10, v10, v11
	s_nop 1
	v_mov_b32_dpp v11, v10 row_shr:8 row_mask:0xf bank_mask:0xf
	v_cndmask_b32_e64 v11, 0, v11, s[8:9]
	v_add_u32_e32 v10, v10, v11
	s_nop 1
	v_mov_b32_dpp v11, v10 row_bcast:15 row_mask:0xf bank_mask:0xf
	v_cndmask_b32_e64 v11, v11, 0, s[2:3]
	v_add_u32_e32 v10, v10, v11
	s_nop 1
	v_mov_b32_dpp v11, v10 row_bcast:31 row_mask:0xf bank_mask:0xf
	v_cndmask_b32_e64 v11, 0, v11, s[0:1]
	v_add_u32_e32 v10, v10, v11
	s_and_saveexec_b64 s[16:17], s[18:19]
	s_cbranch_execz .LBB208_27
; %bb.26:
	v_lshlrev_b32_e32 v11, 2, v25
	ds_write_b32 v11, v10
.LBB208_27:
	s_or_b64 exec, exec, s[16:17]
	v_cmp_gt_u32_e32 vcc, 3, v0
	s_waitcnt lgkmcnt(0)
	s_barrier
	s_and_saveexec_b64 s[16:17], vcc
	s_cbranch_execz .LBB208_29
; %bb.28:
	ds_read_b32 v11, v20
	v_and_b32_e32 v12, 3, v24
	v_cmp_ne_u32_e32 vcc, 0, v12
	s_waitcnt lgkmcnt(0)
	v_mov_b32_dpp v13, v11 row_shr:1 row_mask:0xf bank_mask:0xf
	v_cndmask_b32_e32 v13, 0, v13, vcc
	v_add_u32_e32 v11, v13, v11
	v_cmp_lt_u32_e32 vcc, 1, v12
	s_nop 0
	v_mov_b32_dpp v13, v11 row_shr:2 row_mask:0xf bank_mask:0xf
	v_cndmask_b32_e32 v12, 0, v13, vcc
	v_add_u32_e32 v11, v11, v12
	ds_write_b32 v20, v11
.LBB208_29:
	s_or_b64 exec, exec, s[16:17]
	v_cmp_gt_u32_e32 vcc, 64, v0
	v_cmp_lt_u32_e64 s[16:17], 63, v0
	s_waitcnt lgkmcnt(0)
	s_barrier
	s_waitcnt lgkmcnt(0)
                                        ; implicit-def: $vgpr27
	s_and_saveexec_b64 s[38:39], s[16:17]
	s_cbranch_execz .LBB208_31
; %bb.30:
	v_lshl_add_u32 v11, v25, 2, -4
	ds_read_b32 v27, v11
	s_waitcnt lgkmcnt(0)
	v_add_u32_e32 v10, v27, v10
.LBB208_31:
	s_or_b64 exec, exec, s[38:39]
	v_add_u32_e32 v11, -1, v24
	v_and_b32_e32 v12, 64, v24
	v_cmp_lt_i32_e64 s[16:17], v11, v12
	v_cndmask_b32_e64 v11, v11, v24, s[16:17]
	v_lshlrev_b32_e32 v11, 2, v11
	ds_bpermute_b32 v28, v11, v10
	v_cmp_eq_u32_e64 s[16:17], 0, v24
	s_and_saveexec_b64 s[38:39], vcc
	s_cbranch_execz .LBB208_54
; %bb.32:
	v_mov_b32_e32 v19, 0
	ds_read_b32 v10, v19 offset:8
	s_and_saveexec_b64 s[40:41], s[16:17]
	s_cbranch_execz .LBB208_34
; %bb.33:
	s_add_i32 s42, s6, 64
	s_mov_b32 s43, 0
	s_lshl_b64 s[42:43], s[42:43], 3
	s_add_u32 s42, s36, s42
	v_mov_b32_e32 v11, 1
	s_addc_u32 s43, s37, s43
	s_waitcnt lgkmcnt(0)
	global_store_dwordx2 v19, v[10:11], s[42:43]
.LBB208_34:
	s_or_b64 exec, exec, s[40:41]
	v_xad_u32 v12, v24, -1, s6
	v_add_u32_e32 v18, 64, v12
	v_lshlrev_b64 v[14:15], 3, v[18:19]
	v_mov_b32_e32 v11, s37
	v_add_co_u32_e32 v14, vcc, s36, v14
	v_addc_co_u32_e32 v15, vcc, v11, v15, vcc
	global_load_dwordx2 v[16:17], v[14:15], off glc
	s_waitcnt vmcnt(0)
	v_cmp_eq_u16_sdwa s[42:43], v17, v19 src0_sel:BYTE_0 src1_sel:DWORD
	s_and_saveexec_b64 s[40:41], s[42:43]
	s_cbranch_execz .LBB208_40
; %bb.35:
	s_mov_b32 s7, 1
	s_mov_b64 s[42:43], 0
	v_mov_b32_e32 v11, 0
.LBB208_36:                             ; =>This Loop Header: Depth=1
                                        ;     Child Loop BB208_37 Depth 2
	s_max_u32 s25, s7, 1
.LBB208_37:                             ;   Parent Loop BB208_36 Depth=1
                                        ; =>  This Inner Loop Header: Depth=2
	s_add_i32 s25, s25, -1
	s_cmp_eq_u32 s25, 0
	s_sleep 1
	s_cbranch_scc0 .LBB208_37
; %bb.38:                               ;   in Loop: Header=BB208_36 Depth=1
	global_load_dwordx2 v[16:17], v[14:15], off glc
	s_cmp_lt_u32 s7, 32
	s_cselect_b64 s[44:45], -1, 0
	s_cmp_lg_u64 s[44:45], 0
	s_addc_u32 s7, s7, 0
	s_waitcnt vmcnt(0)
	v_cmp_ne_u16_sdwa s[44:45], v17, v11 src0_sel:BYTE_0 src1_sel:DWORD
	s_or_b64 s[42:43], s[44:45], s[42:43]
	s_andn2_b64 exec, exec, s[42:43]
	s_cbranch_execnz .LBB208_36
; %bb.39:
	s_or_b64 exec, exec, s[42:43]
.LBB208_40:
	s_or_b64 exec, exec, s[40:41]
	v_and_b32_e32 v30, 63, v24
	v_mov_b32_e32 v29, 2
	v_cmp_ne_u32_e32 vcc, 63, v30
	v_cmp_eq_u16_sdwa s[40:41], v17, v29 src0_sel:BYTE_0 src1_sel:DWORD
	v_lshlrev_b64 v[14:15], v24, -1
	v_addc_co_u32_e32 v18, vcc, 0, v24, vcc
	v_and_b32_e32 v11, s41, v15
	v_lshlrev_b32_e32 v31, 2, v18
	v_or_b32_e32 v11, 0x80000000, v11
	ds_bpermute_b32 v18, v31, v16
	v_and_b32_e32 v13, s40, v14
	v_ffbl_b32_e32 v11, v11
	v_add_u32_e32 v11, 32, v11
	v_ffbl_b32_e32 v13, v13
	v_min_u32_e32 v11, v13, v11
	v_cmp_lt_u32_e32 vcc, v30, v11
	s_waitcnt lgkmcnt(0)
	v_cndmask_b32_e32 v13, 0, v18, vcc
	v_cmp_gt_u32_e32 vcc, 62, v30
	v_add_u32_e32 v13, v13, v16
	v_cndmask_b32_e64 v16, 0, 1, vcc
	v_lshlrev_b32_e32 v16, 1, v16
	v_add_lshl_u32 v32, v16, v24, 2
	ds_bpermute_b32 v16, v32, v13
	v_add_u32_e32 v33, 2, v30
	v_cmp_le_u32_e32 vcc, v33, v11
	v_add_u32_e32 v35, 4, v30
	v_add_u32_e32 v37, 8, v30
	s_waitcnt lgkmcnt(0)
	v_cndmask_b32_e32 v16, 0, v16, vcc
	v_cmp_gt_u32_e32 vcc, 60, v30
	v_add_u32_e32 v13, v13, v16
	v_cndmask_b32_e64 v16, 0, 1, vcc
	v_lshlrev_b32_e32 v16, 2, v16
	v_add_lshl_u32 v34, v16, v24, 2
	ds_bpermute_b32 v16, v34, v13
	v_cmp_le_u32_e32 vcc, v35, v11
	v_add_u32_e32 v39, 16, v30
	v_add_u32_e32 v41, 32, v30
	s_waitcnt lgkmcnt(0)
	v_cndmask_b32_e32 v16, 0, v16, vcc
	v_cmp_gt_u32_e32 vcc, 56, v30
	v_add_u32_e32 v13, v13, v16
	v_cndmask_b32_e64 v16, 0, 1, vcc
	v_lshlrev_b32_e32 v16, 3, v16
	v_add_lshl_u32 v36, v16, v24, 2
	ds_bpermute_b32 v16, v36, v13
	v_cmp_le_u32_e32 vcc, v37, v11
	s_waitcnt lgkmcnt(0)
	v_cndmask_b32_e32 v16, 0, v16, vcc
	v_cmp_gt_u32_e32 vcc, 48, v30
	v_add_u32_e32 v13, v13, v16
	v_cndmask_b32_e64 v16, 0, 1, vcc
	v_lshlrev_b32_e32 v16, 4, v16
	v_add_lshl_u32 v38, v16, v24, 2
	ds_bpermute_b32 v16, v38, v13
	v_cmp_le_u32_e32 vcc, v39, v11
	;; [unrolled: 9-line block ×3, first 2 shown]
	s_waitcnt lgkmcnt(0)
	v_cndmask_b32_e32 v11, 0, v16, vcc
	v_add_u32_e32 v16, v13, v11
	v_mov_b32_e32 v13, 0
	s_branch .LBB208_42
.LBB208_41:                             ;   in Loop: Header=BB208_42 Depth=1
	s_or_b64 exec, exec, s[40:41]
	v_cmp_eq_u16_sdwa s[40:41], v17, v29 src0_sel:BYTE_0 src1_sel:DWORD
	v_and_b32_e32 v18, s41, v15
	v_or_b32_e32 v18, 0x80000000, v18
	ds_bpermute_b32 v42, v31, v16
	v_and_b32_e32 v19, s40, v14
	v_ffbl_b32_e32 v18, v18
	v_add_u32_e32 v18, 32, v18
	v_ffbl_b32_e32 v19, v19
	v_min_u32_e32 v18, v19, v18
	v_cmp_lt_u32_e32 vcc, v30, v18
	s_waitcnt lgkmcnt(0)
	v_cndmask_b32_e32 v19, 0, v42, vcc
	v_add_u32_e32 v16, v19, v16
	ds_bpermute_b32 v19, v32, v16
	v_cmp_le_u32_e32 vcc, v33, v18
	v_subrev_u32_e32 v12, 64, v12
	s_waitcnt lgkmcnt(0)
	v_cndmask_b32_e32 v19, 0, v19, vcc
	v_add_u32_e32 v16, v16, v19
	ds_bpermute_b32 v19, v34, v16
	v_cmp_le_u32_e32 vcc, v35, v18
	s_waitcnt lgkmcnt(0)
	v_cndmask_b32_e32 v19, 0, v19, vcc
	v_add_u32_e32 v16, v16, v19
	ds_bpermute_b32 v19, v36, v16
	v_cmp_le_u32_e32 vcc, v37, v18
	;; [unrolled: 5-line block ×4, first 2 shown]
	s_waitcnt lgkmcnt(0)
	v_cndmask_b32_e32 v18, 0, v19, vcc
	v_add3_u32 v16, v18, v11, v16
.LBB208_42:                             ; =>This Loop Header: Depth=1
                                        ;     Child Loop BB208_45 Depth 2
                                        ;       Child Loop BB208_46 Depth 3
	v_cmp_ne_u16_sdwa s[40:41], v17, v29 src0_sel:BYTE_0 src1_sel:DWORD
	v_cndmask_b32_e64 v11, 0, 1, s[40:41]
	;;#ASMSTART
	;;#ASMEND
	v_cmp_ne_u32_e32 vcc, 0, v11
	s_cmp_lg_u64 vcc, exec
	v_mov_b32_e32 v11, v16
	s_cbranch_scc1 .LBB208_49
; %bb.43:                               ;   in Loop: Header=BB208_42 Depth=1
	v_lshlrev_b64 v[16:17], 3, v[12:13]
	v_mov_b32_e32 v19, s37
	v_add_co_u32_e32 v18, vcc, s36, v16
	v_addc_co_u32_e32 v19, vcc, v19, v17, vcc
	global_load_dwordx2 v[16:17], v[18:19], off glc
	s_waitcnt vmcnt(0)
	v_cmp_eq_u16_sdwa s[42:43], v17, v13 src0_sel:BYTE_0 src1_sel:DWORD
	s_and_saveexec_b64 s[40:41], s[42:43]
	s_cbranch_execz .LBB208_41
; %bb.44:                               ;   in Loop: Header=BB208_42 Depth=1
	s_mov_b32 s7, 1
	s_mov_b64 s[42:43], 0
.LBB208_45:                             ;   Parent Loop BB208_42 Depth=1
                                        ; =>  This Loop Header: Depth=2
                                        ;       Child Loop BB208_46 Depth 3
	s_max_u32 s25, s7, 1
.LBB208_46:                             ;   Parent Loop BB208_42 Depth=1
                                        ;     Parent Loop BB208_45 Depth=2
                                        ; =>    This Inner Loop Header: Depth=3
	s_add_i32 s25, s25, -1
	s_cmp_eq_u32 s25, 0
	s_sleep 1
	s_cbranch_scc0 .LBB208_46
; %bb.47:                               ;   in Loop: Header=BB208_45 Depth=2
	global_load_dwordx2 v[16:17], v[18:19], off glc
	s_cmp_lt_u32 s7, 32
	s_cselect_b64 s[44:45], -1, 0
	s_cmp_lg_u64 s[44:45], 0
	s_addc_u32 s7, s7, 0
	s_waitcnt vmcnt(0)
	v_cmp_ne_u16_sdwa s[44:45], v17, v13 src0_sel:BYTE_0 src1_sel:DWORD
	s_or_b64 s[42:43], s[44:45], s[42:43]
	s_andn2_b64 exec, exec, s[42:43]
	s_cbranch_execnz .LBB208_45
; %bb.48:                               ;   in Loop: Header=BB208_42 Depth=1
	s_or_b64 exec, exec, s[42:43]
	s_branch .LBB208_41
.LBB208_49:                             ;   in Loop: Header=BB208_42 Depth=1
                                        ; implicit-def: $vgpr16
                                        ; implicit-def: $vgpr17
	s_cbranch_execz .LBB208_42
; %bb.50:
	s_and_saveexec_b64 s[40:41], s[16:17]
	s_cbranch_execz .LBB208_52
; %bb.51:
	s_add_i32 s6, s6, 64
	s_mov_b32 s7, 0
	s_lshl_b64 s[6:7], s[6:7], 3
	s_add_u32 s6, s36, s6
	v_add_u32_e32 v12, v11, v10
	v_mov_b32_e32 v13, 2
	s_addc_u32 s7, s37, s7
	v_mov_b32_e32 v14, 0
	global_store_dwordx2 v14, v[12:13], s[6:7]
	ds_write_b64 v14, v[10:11] offset:6336
.LBB208_52:
	s_or_b64 exec, exec, s[40:41]
	v_cmp_eq_u32_e32 vcc, 0, v0
	s_and_b64 exec, exec, vcc
	s_cbranch_execz .LBB208_54
; %bb.53:
	v_mov_b32_e32 v10, 0
	ds_write_b32 v10, v11 offset:8
.LBB208_54:
	s_or_b64 exec, exec, s[38:39]
	v_mov_b32_e32 v10, 0
	s_waitcnt lgkmcnt(0)
	s_barrier
	ds_read_b32 v11, v10 offset:8
	v_cndmask_b32_e64 v12, v28, v27, s[16:17]
	v_cmp_ne_u32_e32 vcc, 0, v0
	v_cndmask_b32_e32 v12, 0, v12, vcc
	s_waitcnt lgkmcnt(0)
	v_add_u32_e32 v14, v11, v12
	s_barrier
	ds_read_b64 v[10:11], v10 offset:6336
	v_add_u32_sdwa v15, v14, v22 dst_sel:DWORD dst_unused:UNUSED_PAD src0_sel:DWORD src1_sel:BYTE_0
	v_add_u32_sdwa v13, v15, v22 dst_sel:DWORD dst_unused:UNUSED_PAD src0_sel:DWORD src1_sel:BYTE_1
	v_add_u32_e32 v12, v13, v23
	s_load_dwordx2 s[4:5], s[4:5], 0x30
	s_branch .LBB208_65
.LBB208_55:
                                        ; implicit-def: $vgpr11
                                        ; implicit-def: $vgpr12
                                        ; implicit-def: $vgpr13
                                        ; implicit-def: $vgpr15
                                        ; implicit-def: $vgpr14
	s_load_dwordx2 s[4:5], s[4:5], 0x30
	s_cbranch_execz .LBB208_65
; %bb.56:
	s_waitcnt lgkmcnt(0)
	v_mov_b32_dpp v10, v26 row_shr:1 row_mask:0xf bank_mask:0xf
	v_cndmask_b32_e64 v10, v10, 0, s[14:15]
	v_add_u32_e32 v10, v10, v26
	s_nop 1
	v_mov_b32_dpp v11, v10 row_shr:2 row_mask:0xf bank_mask:0xf
	v_cndmask_b32_e64 v11, 0, v11, s[12:13]
	v_add_u32_e32 v10, v10, v11
	s_nop 1
	;; [unrolled: 4-line block ×4, first 2 shown]
	v_mov_b32_dpp v11, v10 row_bcast:15 row_mask:0xf bank_mask:0xf
	v_cndmask_b32_e64 v11, v11, 0, s[2:3]
	v_add_u32_e32 v10, v10, v11
	s_nop 1
	v_mov_b32_dpp v11, v10 row_bcast:31 row_mask:0xf bank_mask:0xf
	v_cndmask_b32_e64 v11, 0, v11, s[0:1]
	v_add_u32_e32 v10, v10, v11
	s_and_saveexec_b64 s[0:1], s[18:19]
	s_cbranch_execz .LBB208_58
; %bb.57:
	v_lshlrev_b32_e32 v11, 2, v25
	ds_write_b32 v11, v10
.LBB208_58:
	s_or_b64 exec, exec, s[0:1]
	v_cmp_gt_u32_e32 vcc, 3, v0
	s_waitcnt lgkmcnt(0)
	s_barrier
	s_and_saveexec_b64 s[0:1], vcc
	s_cbranch_execz .LBB208_60
; %bb.59:
	ds_read_b32 v11, v20
	v_and_b32_e32 v12, 3, v24
	v_cmp_ne_u32_e32 vcc, 0, v12
	s_waitcnt lgkmcnt(0)
	v_mov_b32_dpp v13, v11 row_shr:1 row_mask:0xf bank_mask:0xf
	v_cndmask_b32_e32 v13, 0, v13, vcc
	v_add_u32_e32 v11, v13, v11
	v_cmp_lt_u32_e32 vcc, 1, v12
	s_nop 0
	v_mov_b32_dpp v13, v11 row_shr:2 row_mask:0xf bank_mask:0xf
	v_cndmask_b32_e32 v12, 0, v13, vcc
	v_add_u32_e32 v11, v11, v12
	ds_write_b32 v20, v11
.LBB208_60:
	s_or_b64 exec, exec, s[0:1]
	v_cmp_lt_u32_e32 vcc, 63, v0
	v_mov_b32_e32 v11, 0
	v_mov_b32_e32 v12, 0
	s_waitcnt lgkmcnt(0)
	s_barrier
	s_and_saveexec_b64 s[0:1], vcc
	s_cbranch_execz .LBB208_62
; %bb.61:
	v_lshl_add_u32 v12, v25, 2, -4
	ds_read_b32 v12, v12
.LBB208_62:
	s_or_b64 exec, exec, s[0:1]
	v_add_u32_e32 v13, -1, v24
	v_and_b32_e32 v14, 64, v24
	v_cmp_lt_i32_e32 vcc, v13, v14
	v_cndmask_b32_e32 v13, v13, v24, vcc
	s_waitcnt lgkmcnt(0)
	v_add_u32_e32 v10, v12, v10
	v_lshlrev_b32_e32 v13, 2, v13
	ds_bpermute_b32 v13, v13, v10
	ds_read_b32 v10, v11 offset:8
	v_cmp_eq_u32_e32 vcc, 0, v0
	s_and_saveexec_b64 s[0:1], vcc
	s_cbranch_execz .LBB208_64
; %bb.63:
	v_mov_b32_e32 v14, 0
	v_mov_b32_e32 v11, 2
	s_waitcnt lgkmcnt(0)
	global_store_dwordx2 v14, v[10:11], s[36:37] offset:512
.LBB208_64:
	s_or_b64 exec, exec, s[0:1]
	v_cmp_eq_u32_e64 s[0:1], 0, v24
	s_waitcnt lgkmcnt(1)
	v_cndmask_b32_e64 v12, v13, v12, s[0:1]
	v_cndmask_b32_e64 v14, v12, 0, vcc
	v_add_u32_sdwa v15, v14, v22 dst_sel:DWORD dst_unused:UNUSED_PAD src0_sel:DWORD src1_sel:BYTE_0
	v_add_u32_sdwa v13, v15, v22 dst_sel:DWORD dst_unused:UNUSED_PAD src0_sel:DWORD src1_sel:BYTE_1
	v_mov_b32_e32 v11, 0
	v_add_u32_e32 v12, v13, v23
	s_waitcnt lgkmcnt(0)
	s_barrier
.LBB208_65:
	s_waitcnt lgkmcnt(0)
	v_add_u32_e32 v17, v10, v20
	v_sub_u32_e32 v14, v14, v11
	v_and_b32_e32 v19, 1, v22
	v_sub_u32_e32 v18, v17, v14
	v_cmp_eq_u32_e32 vcc, 1, v19
	v_cndmask_b32_e32 v14, v18, v14, vcc
	v_lshlrev_b32_e32 v14, 3, v14
	v_lshrrev_b32_e32 v16, 8, v22
	ds_write_b64 v14, v[6:7]
	v_sub_u32_e32 v6, v15, v11
	v_sub_u32_e32 v7, v17, v6
	v_and_b32_e32 v14, 1, v16
	v_add_u32_e32 v7, 1, v7
	v_cmp_eq_u32_e32 vcc, 1, v14
	v_cndmask_b32_e32 v6, v7, v6, vcc
	v_lshlrev_b32_e32 v6, 3, v6
	ds_write_b64 v6, v[8:9]
	v_sub_u32_e32 v6, v13, v11
	v_mov_b32_e32 v8, 1
	v_sub_u32_e32 v7, v17, v6
	v_and_b32_sdwa v8, v8, v22 dst_sel:DWORD dst_unused:UNUSED_PAD src0_sel:DWORD src1_sel:WORD_1
	v_add_u32_e32 v7, 2, v7
	v_cmp_eq_u32_e32 vcc, 1, v8
	v_cndmask_b32_e32 v6, v7, v6, vcc
	v_lshlrev_b32_e32 v6, 3, v6
	ds_write_b64 v6, v[2:3]
	v_sub_u32_e32 v2, v12, v11
	v_sub_u32_e32 v3, v17, v2
	v_and_b32_e32 v6, 1, v21
	v_add_u32_e32 v3, 3, v3
	v_cmp_eq_u32_e32 vcc, 1, v6
	v_cndmask_b32_e32 v2, v3, v2, vcc
	s_add_u32 s0, s26, s24
	v_lshlrev_b32_e32 v2, 3, v2
	s_addc_u32 s1, s27, 0
	ds_write_b64 v2, v[4:5]
	s_waitcnt lgkmcnt(0)
	s_barrier
	ds_read2st64_b64 v[6:9], v1 offset1:3
	ds_read2st64_b64 v[2:5], v1 offset0:6 offset1:9
	v_mov_b32_e32 v12, s31
	v_add_co_u32_e32 v1, vcc, s30, v11
	s_sub_u32 s0, s28, s0
	v_addc_co_u32_e32 v11, vcc, 0, v12, vcc
	s_subb_u32 s1, s29, s1
	v_mov_b32_e32 v12, s1
	v_add_co_u32_e32 v13, vcc, s0, v10
	v_addc_co_u32_e32 v12, vcc, 0, v12, vcc
	v_add_co_u32_e64 v15, s[0:1], v13, v1
	v_add_u32_e32 v18, 0xc0, v0
	v_add_u32_e32 v17, 0x180, v0
	;; [unrolled: 1-line block ×3, first 2 shown]
	s_andn2_b64 vcc, exec, s[34:35]
	v_addc_co_u32_e64 v16, s[0:1], v12, v11, s[0:1]
	s_cbranch_vccnz .LBB208_83
; %bb.66:
	v_cmp_ge_u32_e32 vcc, v0, v10
                                        ; implicit-def: $vgpr12_vgpr13
	s_and_saveexec_b64 s[0:1], vcc
	s_xor_b64 s[0:1], exec, s[0:1]
; %bb.67:
	v_not_b32_e32 v12, v0
	v_ashrrev_i32_e32 v13, 31, v12
	v_add_co_u32_e32 v12, vcc, v15, v12
	v_addc_co_u32_e32 v13, vcc, v16, v13, vcc
; %bb.68:
	s_andn2_saveexec_b64 s[0:1], s[0:1]
; %bb.69:
	v_add_co_u32_e32 v12, vcc, v1, v0
	v_addc_co_u32_e32 v13, vcc, 0, v11, vcc
; %bb.70:
	s_or_b64 exec, exec, s[0:1]
	v_lshlrev_b64 v[12:13], 3, v[12:13]
	v_mov_b32_e32 v19, s5
	v_add_co_u32_e32 v12, vcc, s4, v12
	v_addc_co_u32_e32 v13, vcc, v19, v13, vcc
	v_cmp_ge_u32_e32 vcc, v18, v10
	s_waitcnt lgkmcnt(1)
	global_store_dwordx2 v[12:13], v[6:7], off
                                        ; implicit-def: $vgpr12_vgpr13
	s_and_saveexec_b64 s[0:1], vcc
	s_xor_b64 s[0:1], exec, s[0:1]
; %bb.71:
	v_sub_u32_e32 v12, 0xffffff3f, v0
	v_ashrrev_i32_e32 v13, 31, v12
	v_add_co_u32_e32 v12, vcc, v15, v12
	v_addc_co_u32_e32 v13, vcc, v16, v13, vcc
; %bb.72:
	s_andn2_saveexec_b64 s[0:1], s[0:1]
; %bb.73:
	v_add_co_u32_e32 v12, vcc, v1, v18
	v_addc_co_u32_e32 v13, vcc, 0, v11, vcc
; %bb.74:
	s_or_b64 exec, exec, s[0:1]
	v_lshlrev_b64 v[12:13], 3, v[12:13]
	v_mov_b32_e32 v19, s5
	v_add_co_u32_e32 v12, vcc, s4, v12
	v_addc_co_u32_e32 v13, vcc, v19, v13, vcc
	v_cmp_ge_u32_e32 vcc, v17, v10
	global_store_dwordx2 v[12:13], v[8:9], off
                                        ; implicit-def: $vgpr12_vgpr13
	s_and_saveexec_b64 s[0:1], vcc
	s_xor_b64 s[0:1], exec, s[0:1]
; %bb.75:
	v_sub_u32_e32 v12, 0xfffffe7f, v0
	v_ashrrev_i32_e32 v13, 31, v12
	v_add_co_u32_e32 v12, vcc, v15, v12
	v_addc_co_u32_e32 v13, vcc, v16, v13, vcc
; %bb.76:
	s_andn2_saveexec_b64 s[0:1], s[0:1]
; %bb.77:
	v_add_co_u32_e32 v12, vcc, v1, v17
	v_addc_co_u32_e32 v13, vcc, 0, v11, vcc
; %bb.78:
	s_or_b64 exec, exec, s[0:1]
	v_lshlrev_b64 v[12:13], 3, v[12:13]
	v_mov_b32_e32 v19, s5
	v_add_co_u32_e32 v12, vcc, s4, v12
	v_addc_co_u32_e32 v13, vcc, v19, v13, vcc
	v_cmp_ge_u32_e32 vcc, v14, v10
	s_waitcnt lgkmcnt(0)
	global_store_dwordx2 v[12:13], v[2:3], off
                                        ; implicit-def: $vgpr12_vgpr13
	s_and_saveexec_b64 s[0:1], vcc
	s_xor_b64 s[0:1], exec, s[0:1]
; %bb.79:
	v_sub_u32_e32 v12, 0xfffffdbf, v0
	v_ashrrev_i32_e32 v13, 31, v12
	v_add_co_u32_e32 v12, vcc, v15, v12
	v_addc_co_u32_e32 v13, vcc, v16, v13, vcc
; %bb.80:
	s_andn2_saveexec_b64 s[0:1], s[0:1]
; %bb.81:
	v_add_co_u32_e32 v12, vcc, v1, v14
	v_addc_co_u32_e32 v13, vcc, 0, v11, vcc
; %bb.82:
	s_or_b64 exec, exec, s[0:1]
	s_mov_b64 s[0:1], -1
	s_branch .LBB208_109
.LBB208_83:
	s_mov_b64 s[0:1], 0
                                        ; implicit-def: $vgpr12_vgpr13
	s_cbranch_execz .LBB208_109
; %bb.84:
	v_cmp_gt_u32_e32 vcc, s33, v0
	s_and_saveexec_b64 s[2:3], vcc
	s_cbranch_execz .LBB208_92
; %bb.85:
	v_cmp_ge_u32_e32 vcc, v0, v10
                                        ; implicit-def: $vgpr12_vgpr13
	s_and_saveexec_b64 s[6:7], vcc
	s_xor_b64 s[6:7], exec, s[6:7]
; %bb.86:
	v_not_b32_e32 v12, v0
	v_ashrrev_i32_e32 v13, 31, v12
	v_add_co_u32_e32 v12, vcc, v15, v12
	v_addc_co_u32_e32 v13, vcc, v16, v13, vcc
; %bb.87:
	s_andn2_saveexec_b64 s[6:7], s[6:7]
; %bb.88:
	v_add_co_u32_e32 v12, vcc, v1, v0
	v_addc_co_u32_e32 v13, vcc, 0, v11, vcc
; %bb.89:
	s_or_b64 exec, exec, s[6:7]
	v_lshlrev_b64 v[12:13], 3, v[12:13]
	v_mov_b32_e32 v19, s5
	v_add_co_u32_e32 v12, vcc, s4, v12
	v_addc_co_u32_e32 v13, vcc, v19, v13, vcc
	s_waitcnt lgkmcnt(1)
	global_store_dwordx2 v[12:13], v[6:7], off
	s_or_b64 exec, exec, s[2:3]
	v_cmp_gt_u32_e32 vcc, s33, v18
	s_and_saveexec_b64 s[2:3], vcc
	s_cbranch_execnz .LBB208_93
.LBB208_90:
	s_or_b64 exec, exec, s[2:3]
	v_cmp_gt_u32_e32 vcc, s33, v17
	s_and_saveexec_b64 s[2:3], vcc
	s_cbranch_execnz .LBB208_98
.LBB208_91:
	s_or_b64 exec, exec, s[2:3]
	v_cmp_gt_u32_e32 vcc, s33, v14
                                        ; implicit-def: $vgpr12_vgpr13
	s_and_saveexec_b64 s[2:3], vcc
	s_cbranch_execz .LBB208_108
	s_branch .LBB208_103
.LBB208_92:
	s_or_b64 exec, exec, s[2:3]
	v_cmp_gt_u32_e32 vcc, s33, v18
	s_and_saveexec_b64 s[2:3], vcc
	s_cbranch_execz .LBB208_90
.LBB208_93:
	v_cmp_ge_u32_e32 vcc, v18, v10
                                        ; implicit-def: $vgpr6_vgpr7
	s_and_saveexec_b64 s[6:7], vcc
	s_xor_b64 s[6:7], exec, s[6:7]
	s_cbranch_execz .LBB208_95
; %bb.94:
	s_waitcnt lgkmcnt(1)
	v_sub_u32_e32 v6, 0xffffff3f, v0
	v_ashrrev_i32_e32 v7, 31, v6
	v_add_co_u32_e32 v6, vcc, v15, v6
	v_addc_co_u32_e32 v7, vcc, v16, v7, vcc
                                        ; implicit-def: $vgpr18
.LBB208_95:
	s_andn2_saveexec_b64 s[6:7], s[6:7]
	s_cbranch_execz .LBB208_97
; %bb.96:
	s_waitcnt lgkmcnt(1)
	v_add_co_u32_e32 v6, vcc, v1, v18
	v_addc_co_u32_e32 v7, vcc, 0, v11, vcc
.LBB208_97:
	s_or_b64 exec, exec, s[6:7]
	s_waitcnt lgkmcnt(1)
	v_lshlrev_b64 v[6:7], 3, v[6:7]
	v_mov_b32_e32 v12, s5
	v_add_co_u32_e32 v6, vcc, s4, v6
	v_addc_co_u32_e32 v7, vcc, v12, v7, vcc
	global_store_dwordx2 v[6:7], v[8:9], off
	s_or_b64 exec, exec, s[2:3]
	v_cmp_gt_u32_e32 vcc, s33, v17
	s_and_saveexec_b64 s[2:3], vcc
	s_cbranch_execz .LBB208_91
.LBB208_98:
	v_cmp_ge_u32_e32 vcc, v17, v10
                                        ; implicit-def: $vgpr6_vgpr7
	s_and_saveexec_b64 s[6:7], vcc
	s_xor_b64 s[6:7], exec, s[6:7]
	s_cbranch_execz .LBB208_100
; %bb.99:
	s_waitcnt lgkmcnt(1)
	v_sub_u32_e32 v6, 0xfffffe7f, v0
	v_ashrrev_i32_e32 v7, 31, v6
	v_add_co_u32_e32 v6, vcc, v15, v6
	v_addc_co_u32_e32 v7, vcc, v16, v7, vcc
                                        ; implicit-def: $vgpr17
.LBB208_100:
	s_andn2_saveexec_b64 s[6:7], s[6:7]
	s_cbranch_execz .LBB208_102
; %bb.101:
	s_waitcnt lgkmcnt(1)
	v_add_co_u32_e32 v6, vcc, v1, v17
	v_addc_co_u32_e32 v7, vcc, 0, v11, vcc
.LBB208_102:
	s_or_b64 exec, exec, s[6:7]
	s_waitcnt lgkmcnt(1)
	v_lshlrev_b64 v[6:7], 3, v[6:7]
	v_mov_b32_e32 v8, s5
	v_add_co_u32_e32 v6, vcc, s4, v6
	v_addc_co_u32_e32 v7, vcc, v8, v7, vcc
	s_waitcnt lgkmcnt(0)
	global_store_dwordx2 v[6:7], v[2:3], off
	s_or_b64 exec, exec, s[2:3]
	v_cmp_gt_u32_e32 vcc, s33, v14
                                        ; implicit-def: $vgpr12_vgpr13
	s_and_saveexec_b64 s[2:3], vcc
	s_cbranch_execz .LBB208_108
.LBB208_103:
	v_cmp_ge_u32_e32 vcc, v14, v10
                                        ; implicit-def: $vgpr12_vgpr13
	s_and_saveexec_b64 s[6:7], vcc
	s_xor_b64 s[6:7], exec, s[6:7]
	s_cbranch_execz .LBB208_105
; %bb.104:
	s_waitcnt lgkmcnt(0)
	v_sub_u32_e32 v2, 0xfffffdbf, v0
	v_ashrrev_i32_e32 v3, 31, v2
	v_add_co_u32_e32 v12, vcc, v15, v2
	v_addc_co_u32_e32 v13, vcc, v16, v3, vcc
                                        ; implicit-def: $vgpr14
.LBB208_105:
	s_andn2_saveexec_b64 s[6:7], s[6:7]
; %bb.106:
	v_add_co_u32_e32 v12, vcc, v1, v14
	v_addc_co_u32_e32 v13, vcc, 0, v11, vcc
; %bb.107:
	s_or_b64 exec, exec, s[6:7]
	s_or_b64 s[0:1], s[0:1], exec
.LBB208_108:
	s_or_b64 exec, exec, s[2:3]
.LBB208_109:
	s_and_saveexec_b64 s[2:3], s[0:1]
	s_cbranch_execz .LBB208_111
; %bb.110:
	s_waitcnt lgkmcnt(0)
	v_lshlrev_b64 v[2:3], 3, v[12:13]
	v_mov_b32_e32 v6, s5
	v_add_co_u32_e32 v2, vcc, s4, v2
	v_addc_co_u32_e32 v3, vcc, v6, v3, vcc
	global_store_dwordx2 v[2:3], v[4:5], off
.LBB208_111:
	s_or_b64 exec, exec, s[2:3]
	v_cmp_eq_u32_e32 vcc, 0, v0
	s_and_b64 s[0:1], vcc, s[22:23]
	s_and_saveexec_b64 s[2:3], s[0:1]
	s_cbranch_execz .LBB208_113
; %bb.112:
	v_add_co_u32_e32 v0, vcc, v1, v10
	s_waitcnt lgkmcnt(0)
	v_mov_b32_e32 v2, 0
	v_addc_co_u32_e32 v1, vcc, 0, v11, vcc
	global_store_dwordx2 v2, v[0:1], s[20:21]
.LBB208_113:
	s_endpgm
	.section	.rodata,"a",@progbits
	.p2align	6, 0x0
	.amdhsa_kernel _ZN7rocprim17ROCPRIM_400000_NS6detail17trampoline_kernelINS0_14default_configENS1_25partition_config_selectorILNS1_17partition_subalgoE2ExNS0_10empty_typeEbEEZZNS1_14partition_implILS5_2ELb0ES3_jN6thrust23THRUST_200600_302600_NS6detail15normal_iteratorINSA_7pointerIxNSA_11hip_rocprim3tagENSA_11use_defaultESG_EEEEPS6_NSA_18transform_iteratorI7is_evenIxENSC_INSA_10device_ptrIxEEEESG_SG_EENS0_5tupleIJPxSJ_EEENSR_IJSJ_SJ_EEES6_PlJS6_EEE10hipError_tPvRmT3_T4_T5_T6_T7_T9_mT8_P12ihipStream_tbDpT10_ENKUlT_T0_E_clISt17integral_constantIbLb1EES1E_IbLb0EEEEDaS1A_S1B_EUlS1A_E_NS1_11comp_targetILNS1_3genE4ELNS1_11target_archE910ELNS1_3gpuE8ELNS1_3repE0EEENS1_30default_config_static_selectorELNS0_4arch9wavefront6targetE1EEEvT1_
		.amdhsa_group_segment_fixed_size 6344
		.amdhsa_private_segment_fixed_size 0
		.amdhsa_kernarg_size 128
		.amdhsa_user_sgpr_count 6
		.amdhsa_user_sgpr_private_segment_buffer 1
		.amdhsa_user_sgpr_dispatch_ptr 0
		.amdhsa_user_sgpr_queue_ptr 0
		.amdhsa_user_sgpr_kernarg_segment_ptr 1
		.amdhsa_user_sgpr_dispatch_id 0
		.amdhsa_user_sgpr_flat_scratch_init 0
		.amdhsa_user_sgpr_kernarg_preload_length 0
		.amdhsa_user_sgpr_kernarg_preload_offset 0
		.amdhsa_user_sgpr_private_segment_size 0
		.amdhsa_uses_dynamic_stack 0
		.amdhsa_system_sgpr_private_segment_wavefront_offset 0
		.amdhsa_system_sgpr_workgroup_id_x 1
		.amdhsa_system_sgpr_workgroup_id_y 0
		.amdhsa_system_sgpr_workgroup_id_z 0
		.amdhsa_system_sgpr_workgroup_info 0
		.amdhsa_system_vgpr_workitem_id 0
		.amdhsa_next_free_vgpr 43
		.amdhsa_next_free_sgpr 46
		.amdhsa_accum_offset 44
		.amdhsa_reserve_vcc 1
		.amdhsa_reserve_flat_scratch 0
		.amdhsa_float_round_mode_32 0
		.amdhsa_float_round_mode_16_64 0
		.amdhsa_float_denorm_mode_32 3
		.amdhsa_float_denorm_mode_16_64 3
		.amdhsa_dx10_clamp 1
		.amdhsa_ieee_mode 1
		.amdhsa_fp16_overflow 0
		.amdhsa_tg_split 0
		.amdhsa_exception_fp_ieee_invalid_op 0
		.amdhsa_exception_fp_denorm_src 0
		.amdhsa_exception_fp_ieee_div_zero 0
		.amdhsa_exception_fp_ieee_overflow 0
		.amdhsa_exception_fp_ieee_underflow 0
		.amdhsa_exception_fp_ieee_inexact 0
		.amdhsa_exception_int_div_zero 0
	.end_amdhsa_kernel
	.section	.text._ZN7rocprim17ROCPRIM_400000_NS6detail17trampoline_kernelINS0_14default_configENS1_25partition_config_selectorILNS1_17partition_subalgoE2ExNS0_10empty_typeEbEEZZNS1_14partition_implILS5_2ELb0ES3_jN6thrust23THRUST_200600_302600_NS6detail15normal_iteratorINSA_7pointerIxNSA_11hip_rocprim3tagENSA_11use_defaultESG_EEEEPS6_NSA_18transform_iteratorI7is_evenIxENSC_INSA_10device_ptrIxEEEESG_SG_EENS0_5tupleIJPxSJ_EEENSR_IJSJ_SJ_EEES6_PlJS6_EEE10hipError_tPvRmT3_T4_T5_T6_T7_T9_mT8_P12ihipStream_tbDpT10_ENKUlT_T0_E_clISt17integral_constantIbLb1EES1E_IbLb0EEEEDaS1A_S1B_EUlS1A_E_NS1_11comp_targetILNS1_3genE4ELNS1_11target_archE910ELNS1_3gpuE8ELNS1_3repE0EEENS1_30default_config_static_selectorELNS0_4arch9wavefront6targetE1EEEvT1_,"axG",@progbits,_ZN7rocprim17ROCPRIM_400000_NS6detail17trampoline_kernelINS0_14default_configENS1_25partition_config_selectorILNS1_17partition_subalgoE2ExNS0_10empty_typeEbEEZZNS1_14partition_implILS5_2ELb0ES3_jN6thrust23THRUST_200600_302600_NS6detail15normal_iteratorINSA_7pointerIxNSA_11hip_rocprim3tagENSA_11use_defaultESG_EEEEPS6_NSA_18transform_iteratorI7is_evenIxENSC_INSA_10device_ptrIxEEEESG_SG_EENS0_5tupleIJPxSJ_EEENSR_IJSJ_SJ_EEES6_PlJS6_EEE10hipError_tPvRmT3_T4_T5_T6_T7_T9_mT8_P12ihipStream_tbDpT10_ENKUlT_T0_E_clISt17integral_constantIbLb1EES1E_IbLb0EEEEDaS1A_S1B_EUlS1A_E_NS1_11comp_targetILNS1_3genE4ELNS1_11target_archE910ELNS1_3gpuE8ELNS1_3repE0EEENS1_30default_config_static_selectorELNS0_4arch9wavefront6targetE1EEEvT1_,comdat
.Lfunc_end208:
	.size	_ZN7rocprim17ROCPRIM_400000_NS6detail17trampoline_kernelINS0_14default_configENS1_25partition_config_selectorILNS1_17partition_subalgoE2ExNS0_10empty_typeEbEEZZNS1_14partition_implILS5_2ELb0ES3_jN6thrust23THRUST_200600_302600_NS6detail15normal_iteratorINSA_7pointerIxNSA_11hip_rocprim3tagENSA_11use_defaultESG_EEEEPS6_NSA_18transform_iteratorI7is_evenIxENSC_INSA_10device_ptrIxEEEESG_SG_EENS0_5tupleIJPxSJ_EEENSR_IJSJ_SJ_EEES6_PlJS6_EEE10hipError_tPvRmT3_T4_T5_T6_T7_T9_mT8_P12ihipStream_tbDpT10_ENKUlT_T0_E_clISt17integral_constantIbLb1EES1E_IbLb0EEEEDaS1A_S1B_EUlS1A_E_NS1_11comp_targetILNS1_3genE4ELNS1_11target_archE910ELNS1_3gpuE8ELNS1_3repE0EEENS1_30default_config_static_selectorELNS0_4arch9wavefront6targetE1EEEvT1_, .Lfunc_end208-_ZN7rocprim17ROCPRIM_400000_NS6detail17trampoline_kernelINS0_14default_configENS1_25partition_config_selectorILNS1_17partition_subalgoE2ExNS0_10empty_typeEbEEZZNS1_14partition_implILS5_2ELb0ES3_jN6thrust23THRUST_200600_302600_NS6detail15normal_iteratorINSA_7pointerIxNSA_11hip_rocprim3tagENSA_11use_defaultESG_EEEEPS6_NSA_18transform_iteratorI7is_evenIxENSC_INSA_10device_ptrIxEEEESG_SG_EENS0_5tupleIJPxSJ_EEENSR_IJSJ_SJ_EEES6_PlJS6_EEE10hipError_tPvRmT3_T4_T5_T6_T7_T9_mT8_P12ihipStream_tbDpT10_ENKUlT_T0_E_clISt17integral_constantIbLb1EES1E_IbLb0EEEEDaS1A_S1B_EUlS1A_E_NS1_11comp_targetILNS1_3genE4ELNS1_11target_archE910ELNS1_3gpuE8ELNS1_3repE0EEENS1_30default_config_static_selectorELNS0_4arch9wavefront6targetE1EEEvT1_
                                        ; -- End function
	.section	.AMDGPU.csdata,"",@progbits
; Kernel info:
; codeLenInByte = 4424
; NumSgprs: 50
; NumVgprs: 43
; NumAgprs: 0
; TotalNumVgprs: 43
; ScratchSize: 0
; MemoryBound: 0
; FloatMode: 240
; IeeeMode: 1
; LDSByteSize: 6344 bytes/workgroup (compile time only)
; SGPRBlocks: 6
; VGPRBlocks: 5
; NumSGPRsForWavesPerEU: 50
; NumVGPRsForWavesPerEU: 43
; AccumOffset: 44
; Occupancy: 8
; WaveLimiterHint : 1
; COMPUTE_PGM_RSRC2:SCRATCH_EN: 0
; COMPUTE_PGM_RSRC2:USER_SGPR: 6
; COMPUTE_PGM_RSRC2:TRAP_HANDLER: 0
; COMPUTE_PGM_RSRC2:TGID_X_EN: 1
; COMPUTE_PGM_RSRC2:TGID_Y_EN: 0
; COMPUTE_PGM_RSRC2:TGID_Z_EN: 0
; COMPUTE_PGM_RSRC2:TIDIG_COMP_CNT: 0
; COMPUTE_PGM_RSRC3_GFX90A:ACCUM_OFFSET: 10
; COMPUTE_PGM_RSRC3_GFX90A:TG_SPLIT: 0
	.section	.text._ZN7rocprim17ROCPRIM_400000_NS6detail17trampoline_kernelINS0_14default_configENS1_25partition_config_selectorILNS1_17partition_subalgoE2ExNS0_10empty_typeEbEEZZNS1_14partition_implILS5_2ELb0ES3_jN6thrust23THRUST_200600_302600_NS6detail15normal_iteratorINSA_7pointerIxNSA_11hip_rocprim3tagENSA_11use_defaultESG_EEEEPS6_NSA_18transform_iteratorI7is_evenIxENSC_INSA_10device_ptrIxEEEESG_SG_EENS0_5tupleIJPxSJ_EEENSR_IJSJ_SJ_EEES6_PlJS6_EEE10hipError_tPvRmT3_T4_T5_T6_T7_T9_mT8_P12ihipStream_tbDpT10_ENKUlT_T0_E_clISt17integral_constantIbLb1EES1E_IbLb0EEEEDaS1A_S1B_EUlS1A_E_NS1_11comp_targetILNS1_3genE3ELNS1_11target_archE908ELNS1_3gpuE7ELNS1_3repE0EEENS1_30default_config_static_selectorELNS0_4arch9wavefront6targetE1EEEvT1_,"axG",@progbits,_ZN7rocprim17ROCPRIM_400000_NS6detail17trampoline_kernelINS0_14default_configENS1_25partition_config_selectorILNS1_17partition_subalgoE2ExNS0_10empty_typeEbEEZZNS1_14partition_implILS5_2ELb0ES3_jN6thrust23THRUST_200600_302600_NS6detail15normal_iteratorINSA_7pointerIxNSA_11hip_rocprim3tagENSA_11use_defaultESG_EEEEPS6_NSA_18transform_iteratorI7is_evenIxENSC_INSA_10device_ptrIxEEEESG_SG_EENS0_5tupleIJPxSJ_EEENSR_IJSJ_SJ_EEES6_PlJS6_EEE10hipError_tPvRmT3_T4_T5_T6_T7_T9_mT8_P12ihipStream_tbDpT10_ENKUlT_T0_E_clISt17integral_constantIbLb1EES1E_IbLb0EEEEDaS1A_S1B_EUlS1A_E_NS1_11comp_targetILNS1_3genE3ELNS1_11target_archE908ELNS1_3gpuE7ELNS1_3repE0EEENS1_30default_config_static_selectorELNS0_4arch9wavefront6targetE1EEEvT1_,comdat
	.protected	_ZN7rocprim17ROCPRIM_400000_NS6detail17trampoline_kernelINS0_14default_configENS1_25partition_config_selectorILNS1_17partition_subalgoE2ExNS0_10empty_typeEbEEZZNS1_14partition_implILS5_2ELb0ES3_jN6thrust23THRUST_200600_302600_NS6detail15normal_iteratorINSA_7pointerIxNSA_11hip_rocprim3tagENSA_11use_defaultESG_EEEEPS6_NSA_18transform_iteratorI7is_evenIxENSC_INSA_10device_ptrIxEEEESG_SG_EENS0_5tupleIJPxSJ_EEENSR_IJSJ_SJ_EEES6_PlJS6_EEE10hipError_tPvRmT3_T4_T5_T6_T7_T9_mT8_P12ihipStream_tbDpT10_ENKUlT_T0_E_clISt17integral_constantIbLb1EES1E_IbLb0EEEEDaS1A_S1B_EUlS1A_E_NS1_11comp_targetILNS1_3genE3ELNS1_11target_archE908ELNS1_3gpuE7ELNS1_3repE0EEENS1_30default_config_static_selectorELNS0_4arch9wavefront6targetE1EEEvT1_ ; -- Begin function _ZN7rocprim17ROCPRIM_400000_NS6detail17trampoline_kernelINS0_14default_configENS1_25partition_config_selectorILNS1_17partition_subalgoE2ExNS0_10empty_typeEbEEZZNS1_14partition_implILS5_2ELb0ES3_jN6thrust23THRUST_200600_302600_NS6detail15normal_iteratorINSA_7pointerIxNSA_11hip_rocprim3tagENSA_11use_defaultESG_EEEEPS6_NSA_18transform_iteratorI7is_evenIxENSC_INSA_10device_ptrIxEEEESG_SG_EENS0_5tupleIJPxSJ_EEENSR_IJSJ_SJ_EEES6_PlJS6_EEE10hipError_tPvRmT3_T4_T5_T6_T7_T9_mT8_P12ihipStream_tbDpT10_ENKUlT_T0_E_clISt17integral_constantIbLb1EES1E_IbLb0EEEEDaS1A_S1B_EUlS1A_E_NS1_11comp_targetILNS1_3genE3ELNS1_11target_archE908ELNS1_3gpuE7ELNS1_3repE0EEENS1_30default_config_static_selectorELNS0_4arch9wavefront6targetE1EEEvT1_
	.globl	_ZN7rocprim17ROCPRIM_400000_NS6detail17trampoline_kernelINS0_14default_configENS1_25partition_config_selectorILNS1_17partition_subalgoE2ExNS0_10empty_typeEbEEZZNS1_14partition_implILS5_2ELb0ES3_jN6thrust23THRUST_200600_302600_NS6detail15normal_iteratorINSA_7pointerIxNSA_11hip_rocprim3tagENSA_11use_defaultESG_EEEEPS6_NSA_18transform_iteratorI7is_evenIxENSC_INSA_10device_ptrIxEEEESG_SG_EENS0_5tupleIJPxSJ_EEENSR_IJSJ_SJ_EEES6_PlJS6_EEE10hipError_tPvRmT3_T4_T5_T6_T7_T9_mT8_P12ihipStream_tbDpT10_ENKUlT_T0_E_clISt17integral_constantIbLb1EES1E_IbLb0EEEEDaS1A_S1B_EUlS1A_E_NS1_11comp_targetILNS1_3genE3ELNS1_11target_archE908ELNS1_3gpuE7ELNS1_3repE0EEENS1_30default_config_static_selectorELNS0_4arch9wavefront6targetE1EEEvT1_
	.p2align	8
	.type	_ZN7rocprim17ROCPRIM_400000_NS6detail17trampoline_kernelINS0_14default_configENS1_25partition_config_selectorILNS1_17partition_subalgoE2ExNS0_10empty_typeEbEEZZNS1_14partition_implILS5_2ELb0ES3_jN6thrust23THRUST_200600_302600_NS6detail15normal_iteratorINSA_7pointerIxNSA_11hip_rocprim3tagENSA_11use_defaultESG_EEEEPS6_NSA_18transform_iteratorI7is_evenIxENSC_INSA_10device_ptrIxEEEESG_SG_EENS0_5tupleIJPxSJ_EEENSR_IJSJ_SJ_EEES6_PlJS6_EEE10hipError_tPvRmT3_T4_T5_T6_T7_T9_mT8_P12ihipStream_tbDpT10_ENKUlT_T0_E_clISt17integral_constantIbLb1EES1E_IbLb0EEEEDaS1A_S1B_EUlS1A_E_NS1_11comp_targetILNS1_3genE3ELNS1_11target_archE908ELNS1_3gpuE7ELNS1_3repE0EEENS1_30default_config_static_selectorELNS0_4arch9wavefront6targetE1EEEvT1_,@function
_ZN7rocprim17ROCPRIM_400000_NS6detail17trampoline_kernelINS0_14default_configENS1_25partition_config_selectorILNS1_17partition_subalgoE2ExNS0_10empty_typeEbEEZZNS1_14partition_implILS5_2ELb0ES3_jN6thrust23THRUST_200600_302600_NS6detail15normal_iteratorINSA_7pointerIxNSA_11hip_rocprim3tagENSA_11use_defaultESG_EEEEPS6_NSA_18transform_iteratorI7is_evenIxENSC_INSA_10device_ptrIxEEEESG_SG_EENS0_5tupleIJPxSJ_EEENSR_IJSJ_SJ_EEES6_PlJS6_EEE10hipError_tPvRmT3_T4_T5_T6_T7_T9_mT8_P12ihipStream_tbDpT10_ENKUlT_T0_E_clISt17integral_constantIbLb1EES1E_IbLb0EEEEDaS1A_S1B_EUlS1A_E_NS1_11comp_targetILNS1_3genE3ELNS1_11target_archE908ELNS1_3gpuE7ELNS1_3repE0EEENS1_30default_config_static_selectorELNS0_4arch9wavefront6targetE1EEEvT1_: ; @_ZN7rocprim17ROCPRIM_400000_NS6detail17trampoline_kernelINS0_14default_configENS1_25partition_config_selectorILNS1_17partition_subalgoE2ExNS0_10empty_typeEbEEZZNS1_14partition_implILS5_2ELb0ES3_jN6thrust23THRUST_200600_302600_NS6detail15normal_iteratorINSA_7pointerIxNSA_11hip_rocprim3tagENSA_11use_defaultESG_EEEEPS6_NSA_18transform_iteratorI7is_evenIxENSC_INSA_10device_ptrIxEEEESG_SG_EENS0_5tupleIJPxSJ_EEENSR_IJSJ_SJ_EEES6_PlJS6_EEE10hipError_tPvRmT3_T4_T5_T6_T7_T9_mT8_P12ihipStream_tbDpT10_ENKUlT_T0_E_clISt17integral_constantIbLb1EES1E_IbLb0EEEEDaS1A_S1B_EUlS1A_E_NS1_11comp_targetILNS1_3genE3ELNS1_11target_archE908ELNS1_3gpuE7ELNS1_3repE0EEENS1_30default_config_static_selectorELNS0_4arch9wavefront6targetE1EEEvT1_
; %bb.0:
	.section	.rodata,"a",@progbits
	.p2align	6, 0x0
	.amdhsa_kernel _ZN7rocprim17ROCPRIM_400000_NS6detail17trampoline_kernelINS0_14default_configENS1_25partition_config_selectorILNS1_17partition_subalgoE2ExNS0_10empty_typeEbEEZZNS1_14partition_implILS5_2ELb0ES3_jN6thrust23THRUST_200600_302600_NS6detail15normal_iteratorINSA_7pointerIxNSA_11hip_rocprim3tagENSA_11use_defaultESG_EEEEPS6_NSA_18transform_iteratorI7is_evenIxENSC_INSA_10device_ptrIxEEEESG_SG_EENS0_5tupleIJPxSJ_EEENSR_IJSJ_SJ_EEES6_PlJS6_EEE10hipError_tPvRmT3_T4_T5_T6_T7_T9_mT8_P12ihipStream_tbDpT10_ENKUlT_T0_E_clISt17integral_constantIbLb1EES1E_IbLb0EEEEDaS1A_S1B_EUlS1A_E_NS1_11comp_targetILNS1_3genE3ELNS1_11target_archE908ELNS1_3gpuE7ELNS1_3repE0EEENS1_30default_config_static_selectorELNS0_4arch9wavefront6targetE1EEEvT1_
		.amdhsa_group_segment_fixed_size 0
		.amdhsa_private_segment_fixed_size 0
		.amdhsa_kernarg_size 128
		.amdhsa_user_sgpr_count 6
		.amdhsa_user_sgpr_private_segment_buffer 1
		.amdhsa_user_sgpr_dispatch_ptr 0
		.amdhsa_user_sgpr_queue_ptr 0
		.amdhsa_user_sgpr_kernarg_segment_ptr 1
		.amdhsa_user_sgpr_dispatch_id 0
		.amdhsa_user_sgpr_flat_scratch_init 0
		.amdhsa_user_sgpr_kernarg_preload_length 0
		.amdhsa_user_sgpr_kernarg_preload_offset 0
		.amdhsa_user_sgpr_private_segment_size 0
		.amdhsa_uses_dynamic_stack 0
		.amdhsa_system_sgpr_private_segment_wavefront_offset 0
		.amdhsa_system_sgpr_workgroup_id_x 1
		.amdhsa_system_sgpr_workgroup_id_y 0
		.amdhsa_system_sgpr_workgroup_id_z 0
		.amdhsa_system_sgpr_workgroup_info 0
		.amdhsa_system_vgpr_workitem_id 0
		.amdhsa_next_free_vgpr 1
		.amdhsa_next_free_sgpr 0
		.amdhsa_accum_offset 4
		.amdhsa_reserve_vcc 0
		.amdhsa_reserve_flat_scratch 0
		.amdhsa_float_round_mode_32 0
		.amdhsa_float_round_mode_16_64 0
		.amdhsa_float_denorm_mode_32 3
		.amdhsa_float_denorm_mode_16_64 3
		.amdhsa_dx10_clamp 1
		.amdhsa_ieee_mode 1
		.amdhsa_fp16_overflow 0
		.amdhsa_tg_split 0
		.amdhsa_exception_fp_ieee_invalid_op 0
		.amdhsa_exception_fp_denorm_src 0
		.amdhsa_exception_fp_ieee_div_zero 0
		.amdhsa_exception_fp_ieee_overflow 0
		.amdhsa_exception_fp_ieee_underflow 0
		.amdhsa_exception_fp_ieee_inexact 0
		.amdhsa_exception_int_div_zero 0
	.end_amdhsa_kernel
	.section	.text._ZN7rocprim17ROCPRIM_400000_NS6detail17trampoline_kernelINS0_14default_configENS1_25partition_config_selectorILNS1_17partition_subalgoE2ExNS0_10empty_typeEbEEZZNS1_14partition_implILS5_2ELb0ES3_jN6thrust23THRUST_200600_302600_NS6detail15normal_iteratorINSA_7pointerIxNSA_11hip_rocprim3tagENSA_11use_defaultESG_EEEEPS6_NSA_18transform_iteratorI7is_evenIxENSC_INSA_10device_ptrIxEEEESG_SG_EENS0_5tupleIJPxSJ_EEENSR_IJSJ_SJ_EEES6_PlJS6_EEE10hipError_tPvRmT3_T4_T5_T6_T7_T9_mT8_P12ihipStream_tbDpT10_ENKUlT_T0_E_clISt17integral_constantIbLb1EES1E_IbLb0EEEEDaS1A_S1B_EUlS1A_E_NS1_11comp_targetILNS1_3genE3ELNS1_11target_archE908ELNS1_3gpuE7ELNS1_3repE0EEENS1_30default_config_static_selectorELNS0_4arch9wavefront6targetE1EEEvT1_,"axG",@progbits,_ZN7rocprim17ROCPRIM_400000_NS6detail17trampoline_kernelINS0_14default_configENS1_25partition_config_selectorILNS1_17partition_subalgoE2ExNS0_10empty_typeEbEEZZNS1_14partition_implILS5_2ELb0ES3_jN6thrust23THRUST_200600_302600_NS6detail15normal_iteratorINSA_7pointerIxNSA_11hip_rocprim3tagENSA_11use_defaultESG_EEEEPS6_NSA_18transform_iteratorI7is_evenIxENSC_INSA_10device_ptrIxEEEESG_SG_EENS0_5tupleIJPxSJ_EEENSR_IJSJ_SJ_EEES6_PlJS6_EEE10hipError_tPvRmT3_T4_T5_T6_T7_T9_mT8_P12ihipStream_tbDpT10_ENKUlT_T0_E_clISt17integral_constantIbLb1EES1E_IbLb0EEEEDaS1A_S1B_EUlS1A_E_NS1_11comp_targetILNS1_3genE3ELNS1_11target_archE908ELNS1_3gpuE7ELNS1_3repE0EEENS1_30default_config_static_selectorELNS0_4arch9wavefront6targetE1EEEvT1_,comdat
.Lfunc_end209:
	.size	_ZN7rocprim17ROCPRIM_400000_NS6detail17trampoline_kernelINS0_14default_configENS1_25partition_config_selectorILNS1_17partition_subalgoE2ExNS0_10empty_typeEbEEZZNS1_14partition_implILS5_2ELb0ES3_jN6thrust23THRUST_200600_302600_NS6detail15normal_iteratorINSA_7pointerIxNSA_11hip_rocprim3tagENSA_11use_defaultESG_EEEEPS6_NSA_18transform_iteratorI7is_evenIxENSC_INSA_10device_ptrIxEEEESG_SG_EENS0_5tupleIJPxSJ_EEENSR_IJSJ_SJ_EEES6_PlJS6_EEE10hipError_tPvRmT3_T4_T5_T6_T7_T9_mT8_P12ihipStream_tbDpT10_ENKUlT_T0_E_clISt17integral_constantIbLb1EES1E_IbLb0EEEEDaS1A_S1B_EUlS1A_E_NS1_11comp_targetILNS1_3genE3ELNS1_11target_archE908ELNS1_3gpuE7ELNS1_3repE0EEENS1_30default_config_static_selectorELNS0_4arch9wavefront6targetE1EEEvT1_, .Lfunc_end209-_ZN7rocprim17ROCPRIM_400000_NS6detail17trampoline_kernelINS0_14default_configENS1_25partition_config_selectorILNS1_17partition_subalgoE2ExNS0_10empty_typeEbEEZZNS1_14partition_implILS5_2ELb0ES3_jN6thrust23THRUST_200600_302600_NS6detail15normal_iteratorINSA_7pointerIxNSA_11hip_rocprim3tagENSA_11use_defaultESG_EEEEPS6_NSA_18transform_iteratorI7is_evenIxENSC_INSA_10device_ptrIxEEEESG_SG_EENS0_5tupleIJPxSJ_EEENSR_IJSJ_SJ_EEES6_PlJS6_EEE10hipError_tPvRmT3_T4_T5_T6_T7_T9_mT8_P12ihipStream_tbDpT10_ENKUlT_T0_E_clISt17integral_constantIbLb1EES1E_IbLb0EEEEDaS1A_S1B_EUlS1A_E_NS1_11comp_targetILNS1_3genE3ELNS1_11target_archE908ELNS1_3gpuE7ELNS1_3repE0EEENS1_30default_config_static_selectorELNS0_4arch9wavefront6targetE1EEEvT1_
                                        ; -- End function
	.section	.AMDGPU.csdata,"",@progbits
; Kernel info:
; codeLenInByte = 0
; NumSgprs: 4
; NumVgprs: 0
; NumAgprs: 0
; TotalNumVgprs: 0
; ScratchSize: 0
; MemoryBound: 0
; FloatMode: 240
; IeeeMode: 1
; LDSByteSize: 0 bytes/workgroup (compile time only)
; SGPRBlocks: 0
; VGPRBlocks: 0
; NumSGPRsForWavesPerEU: 4
; NumVGPRsForWavesPerEU: 1
; AccumOffset: 4
; Occupancy: 8
; WaveLimiterHint : 0
; COMPUTE_PGM_RSRC2:SCRATCH_EN: 0
; COMPUTE_PGM_RSRC2:USER_SGPR: 6
; COMPUTE_PGM_RSRC2:TRAP_HANDLER: 0
; COMPUTE_PGM_RSRC2:TGID_X_EN: 1
; COMPUTE_PGM_RSRC2:TGID_Y_EN: 0
; COMPUTE_PGM_RSRC2:TGID_Z_EN: 0
; COMPUTE_PGM_RSRC2:TIDIG_COMP_CNT: 0
; COMPUTE_PGM_RSRC3_GFX90A:ACCUM_OFFSET: 0
; COMPUTE_PGM_RSRC3_GFX90A:TG_SPLIT: 0
	.section	.text._ZN7rocprim17ROCPRIM_400000_NS6detail17trampoline_kernelINS0_14default_configENS1_25partition_config_selectorILNS1_17partition_subalgoE2ExNS0_10empty_typeEbEEZZNS1_14partition_implILS5_2ELb0ES3_jN6thrust23THRUST_200600_302600_NS6detail15normal_iteratorINSA_7pointerIxNSA_11hip_rocprim3tagENSA_11use_defaultESG_EEEEPS6_NSA_18transform_iteratorI7is_evenIxENSC_INSA_10device_ptrIxEEEESG_SG_EENS0_5tupleIJPxSJ_EEENSR_IJSJ_SJ_EEES6_PlJS6_EEE10hipError_tPvRmT3_T4_T5_T6_T7_T9_mT8_P12ihipStream_tbDpT10_ENKUlT_T0_E_clISt17integral_constantIbLb1EES1E_IbLb0EEEEDaS1A_S1B_EUlS1A_E_NS1_11comp_targetILNS1_3genE2ELNS1_11target_archE906ELNS1_3gpuE6ELNS1_3repE0EEENS1_30default_config_static_selectorELNS0_4arch9wavefront6targetE1EEEvT1_,"axG",@progbits,_ZN7rocprim17ROCPRIM_400000_NS6detail17trampoline_kernelINS0_14default_configENS1_25partition_config_selectorILNS1_17partition_subalgoE2ExNS0_10empty_typeEbEEZZNS1_14partition_implILS5_2ELb0ES3_jN6thrust23THRUST_200600_302600_NS6detail15normal_iteratorINSA_7pointerIxNSA_11hip_rocprim3tagENSA_11use_defaultESG_EEEEPS6_NSA_18transform_iteratorI7is_evenIxENSC_INSA_10device_ptrIxEEEESG_SG_EENS0_5tupleIJPxSJ_EEENSR_IJSJ_SJ_EEES6_PlJS6_EEE10hipError_tPvRmT3_T4_T5_T6_T7_T9_mT8_P12ihipStream_tbDpT10_ENKUlT_T0_E_clISt17integral_constantIbLb1EES1E_IbLb0EEEEDaS1A_S1B_EUlS1A_E_NS1_11comp_targetILNS1_3genE2ELNS1_11target_archE906ELNS1_3gpuE6ELNS1_3repE0EEENS1_30default_config_static_selectorELNS0_4arch9wavefront6targetE1EEEvT1_,comdat
	.protected	_ZN7rocprim17ROCPRIM_400000_NS6detail17trampoline_kernelINS0_14default_configENS1_25partition_config_selectorILNS1_17partition_subalgoE2ExNS0_10empty_typeEbEEZZNS1_14partition_implILS5_2ELb0ES3_jN6thrust23THRUST_200600_302600_NS6detail15normal_iteratorINSA_7pointerIxNSA_11hip_rocprim3tagENSA_11use_defaultESG_EEEEPS6_NSA_18transform_iteratorI7is_evenIxENSC_INSA_10device_ptrIxEEEESG_SG_EENS0_5tupleIJPxSJ_EEENSR_IJSJ_SJ_EEES6_PlJS6_EEE10hipError_tPvRmT3_T4_T5_T6_T7_T9_mT8_P12ihipStream_tbDpT10_ENKUlT_T0_E_clISt17integral_constantIbLb1EES1E_IbLb0EEEEDaS1A_S1B_EUlS1A_E_NS1_11comp_targetILNS1_3genE2ELNS1_11target_archE906ELNS1_3gpuE6ELNS1_3repE0EEENS1_30default_config_static_selectorELNS0_4arch9wavefront6targetE1EEEvT1_ ; -- Begin function _ZN7rocprim17ROCPRIM_400000_NS6detail17trampoline_kernelINS0_14default_configENS1_25partition_config_selectorILNS1_17partition_subalgoE2ExNS0_10empty_typeEbEEZZNS1_14partition_implILS5_2ELb0ES3_jN6thrust23THRUST_200600_302600_NS6detail15normal_iteratorINSA_7pointerIxNSA_11hip_rocprim3tagENSA_11use_defaultESG_EEEEPS6_NSA_18transform_iteratorI7is_evenIxENSC_INSA_10device_ptrIxEEEESG_SG_EENS0_5tupleIJPxSJ_EEENSR_IJSJ_SJ_EEES6_PlJS6_EEE10hipError_tPvRmT3_T4_T5_T6_T7_T9_mT8_P12ihipStream_tbDpT10_ENKUlT_T0_E_clISt17integral_constantIbLb1EES1E_IbLb0EEEEDaS1A_S1B_EUlS1A_E_NS1_11comp_targetILNS1_3genE2ELNS1_11target_archE906ELNS1_3gpuE6ELNS1_3repE0EEENS1_30default_config_static_selectorELNS0_4arch9wavefront6targetE1EEEvT1_
	.globl	_ZN7rocprim17ROCPRIM_400000_NS6detail17trampoline_kernelINS0_14default_configENS1_25partition_config_selectorILNS1_17partition_subalgoE2ExNS0_10empty_typeEbEEZZNS1_14partition_implILS5_2ELb0ES3_jN6thrust23THRUST_200600_302600_NS6detail15normal_iteratorINSA_7pointerIxNSA_11hip_rocprim3tagENSA_11use_defaultESG_EEEEPS6_NSA_18transform_iteratorI7is_evenIxENSC_INSA_10device_ptrIxEEEESG_SG_EENS0_5tupleIJPxSJ_EEENSR_IJSJ_SJ_EEES6_PlJS6_EEE10hipError_tPvRmT3_T4_T5_T6_T7_T9_mT8_P12ihipStream_tbDpT10_ENKUlT_T0_E_clISt17integral_constantIbLb1EES1E_IbLb0EEEEDaS1A_S1B_EUlS1A_E_NS1_11comp_targetILNS1_3genE2ELNS1_11target_archE906ELNS1_3gpuE6ELNS1_3repE0EEENS1_30default_config_static_selectorELNS0_4arch9wavefront6targetE1EEEvT1_
	.p2align	8
	.type	_ZN7rocprim17ROCPRIM_400000_NS6detail17trampoline_kernelINS0_14default_configENS1_25partition_config_selectorILNS1_17partition_subalgoE2ExNS0_10empty_typeEbEEZZNS1_14partition_implILS5_2ELb0ES3_jN6thrust23THRUST_200600_302600_NS6detail15normal_iteratorINSA_7pointerIxNSA_11hip_rocprim3tagENSA_11use_defaultESG_EEEEPS6_NSA_18transform_iteratorI7is_evenIxENSC_INSA_10device_ptrIxEEEESG_SG_EENS0_5tupleIJPxSJ_EEENSR_IJSJ_SJ_EEES6_PlJS6_EEE10hipError_tPvRmT3_T4_T5_T6_T7_T9_mT8_P12ihipStream_tbDpT10_ENKUlT_T0_E_clISt17integral_constantIbLb1EES1E_IbLb0EEEEDaS1A_S1B_EUlS1A_E_NS1_11comp_targetILNS1_3genE2ELNS1_11target_archE906ELNS1_3gpuE6ELNS1_3repE0EEENS1_30default_config_static_selectorELNS0_4arch9wavefront6targetE1EEEvT1_,@function
_ZN7rocprim17ROCPRIM_400000_NS6detail17trampoline_kernelINS0_14default_configENS1_25partition_config_selectorILNS1_17partition_subalgoE2ExNS0_10empty_typeEbEEZZNS1_14partition_implILS5_2ELb0ES3_jN6thrust23THRUST_200600_302600_NS6detail15normal_iteratorINSA_7pointerIxNSA_11hip_rocprim3tagENSA_11use_defaultESG_EEEEPS6_NSA_18transform_iteratorI7is_evenIxENSC_INSA_10device_ptrIxEEEESG_SG_EENS0_5tupleIJPxSJ_EEENSR_IJSJ_SJ_EEES6_PlJS6_EEE10hipError_tPvRmT3_T4_T5_T6_T7_T9_mT8_P12ihipStream_tbDpT10_ENKUlT_T0_E_clISt17integral_constantIbLb1EES1E_IbLb0EEEEDaS1A_S1B_EUlS1A_E_NS1_11comp_targetILNS1_3genE2ELNS1_11target_archE906ELNS1_3gpuE6ELNS1_3repE0EEENS1_30default_config_static_selectorELNS0_4arch9wavefront6targetE1EEEvT1_: ; @_ZN7rocprim17ROCPRIM_400000_NS6detail17trampoline_kernelINS0_14default_configENS1_25partition_config_selectorILNS1_17partition_subalgoE2ExNS0_10empty_typeEbEEZZNS1_14partition_implILS5_2ELb0ES3_jN6thrust23THRUST_200600_302600_NS6detail15normal_iteratorINSA_7pointerIxNSA_11hip_rocprim3tagENSA_11use_defaultESG_EEEEPS6_NSA_18transform_iteratorI7is_evenIxENSC_INSA_10device_ptrIxEEEESG_SG_EENS0_5tupleIJPxSJ_EEENSR_IJSJ_SJ_EEES6_PlJS6_EEE10hipError_tPvRmT3_T4_T5_T6_T7_T9_mT8_P12ihipStream_tbDpT10_ENKUlT_T0_E_clISt17integral_constantIbLb1EES1E_IbLb0EEEEDaS1A_S1B_EUlS1A_E_NS1_11comp_targetILNS1_3genE2ELNS1_11target_archE906ELNS1_3gpuE6ELNS1_3repE0EEENS1_30default_config_static_selectorELNS0_4arch9wavefront6targetE1EEEvT1_
; %bb.0:
	.section	.rodata,"a",@progbits
	.p2align	6, 0x0
	.amdhsa_kernel _ZN7rocprim17ROCPRIM_400000_NS6detail17trampoline_kernelINS0_14default_configENS1_25partition_config_selectorILNS1_17partition_subalgoE2ExNS0_10empty_typeEbEEZZNS1_14partition_implILS5_2ELb0ES3_jN6thrust23THRUST_200600_302600_NS6detail15normal_iteratorINSA_7pointerIxNSA_11hip_rocprim3tagENSA_11use_defaultESG_EEEEPS6_NSA_18transform_iteratorI7is_evenIxENSC_INSA_10device_ptrIxEEEESG_SG_EENS0_5tupleIJPxSJ_EEENSR_IJSJ_SJ_EEES6_PlJS6_EEE10hipError_tPvRmT3_T4_T5_T6_T7_T9_mT8_P12ihipStream_tbDpT10_ENKUlT_T0_E_clISt17integral_constantIbLb1EES1E_IbLb0EEEEDaS1A_S1B_EUlS1A_E_NS1_11comp_targetILNS1_3genE2ELNS1_11target_archE906ELNS1_3gpuE6ELNS1_3repE0EEENS1_30default_config_static_selectorELNS0_4arch9wavefront6targetE1EEEvT1_
		.amdhsa_group_segment_fixed_size 0
		.amdhsa_private_segment_fixed_size 0
		.amdhsa_kernarg_size 128
		.amdhsa_user_sgpr_count 6
		.amdhsa_user_sgpr_private_segment_buffer 1
		.amdhsa_user_sgpr_dispatch_ptr 0
		.amdhsa_user_sgpr_queue_ptr 0
		.amdhsa_user_sgpr_kernarg_segment_ptr 1
		.amdhsa_user_sgpr_dispatch_id 0
		.amdhsa_user_sgpr_flat_scratch_init 0
		.amdhsa_user_sgpr_kernarg_preload_length 0
		.amdhsa_user_sgpr_kernarg_preload_offset 0
		.amdhsa_user_sgpr_private_segment_size 0
		.amdhsa_uses_dynamic_stack 0
		.amdhsa_system_sgpr_private_segment_wavefront_offset 0
		.amdhsa_system_sgpr_workgroup_id_x 1
		.amdhsa_system_sgpr_workgroup_id_y 0
		.amdhsa_system_sgpr_workgroup_id_z 0
		.amdhsa_system_sgpr_workgroup_info 0
		.amdhsa_system_vgpr_workitem_id 0
		.amdhsa_next_free_vgpr 1
		.amdhsa_next_free_sgpr 0
		.amdhsa_accum_offset 4
		.amdhsa_reserve_vcc 0
		.amdhsa_reserve_flat_scratch 0
		.amdhsa_float_round_mode_32 0
		.amdhsa_float_round_mode_16_64 0
		.amdhsa_float_denorm_mode_32 3
		.amdhsa_float_denorm_mode_16_64 3
		.amdhsa_dx10_clamp 1
		.amdhsa_ieee_mode 1
		.amdhsa_fp16_overflow 0
		.amdhsa_tg_split 0
		.amdhsa_exception_fp_ieee_invalid_op 0
		.amdhsa_exception_fp_denorm_src 0
		.amdhsa_exception_fp_ieee_div_zero 0
		.amdhsa_exception_fp_ieee_overflow 0
		.amdhsa_exception_fp_ieee_underflow 0
		.amdhsa_exception_fp_ieee_inexact 0
		.amdhsa_exception_int_div_zero 0
	.end_amdhsa_kernel
	.section	.text._ZN7rocprim17ROCPRIM_400000_NS6detail17trampoline_kernelINS0_14default_configENS1_25partition_config_selectorILNS1_17partition_subalgoE2ExNS0_10empty_typeEbEEZZNS1_14partition_implILS5_2ELb0ES3_jN6thrust23THRUST_200600_302600_NS6detail15normal_iteratorINSA_7pointerIxNSA_11hip_rocprim3tagENSA_11use_defaultESG_EEEEPS6_NSA_18transform_iteratorI7is_evenIxENSC_INSA_10device_ptrIxEEEESG_SG_EENS0_5tupleIJPxSJ_EEENSR_IJSJ_SJ_EEES6_PlJS6_EEE10hipError_tPvRmT3_T4_T5_T6_T7_T9_mT8_P12ihipStream_tbDpT10_ENKUlT_T0_E_clISt17integral_constantIbLb1EES1E_IbLb0EEEEDaS1A_S1B_EUlS1A_E_NS1_11comp_targetILNS1_3genE2ELNS1_11target_archE906ELNS1_3gpuE6ELNS1_3repE0EEENS1_30default_config_static_selectorELNS0_4arch9wavefront6targetE1EEEvT1_,"axG",@progbits,_ZN7rocprim17ROCPRIM_400000_NS6detail17trampoline_kernelINS0_14default_configENS1_25partition_config_selectorILNS1_17partition_subalgoE2ExNS0_10empty_typeEbEEZZNS1_14partition_implILS5_2ELb0ES3_jN6thrust23THRUST_200600_302600_NS6detail15normal_iteratorINSA_7pointerIxNSA_11hip_rocprim3tagENSA_11use_defaultESG_EEEEPS6_NSA_18transform_iteratorI7is_evenIxENSC_INSA_10device_ptrIxEEEESG_SG_EENS0_5tupleIJPxSJ_EEENSR_IJSJ_SJ_EEES6_PlJS6_EEE10hipError_tPvRmT3_T4_T5_T6_T7_T9_mT8_P12ihipStream_tbDpT10_ENKUlT_T0_E_clISt17integral_constantIbLb1EES1E_IbLb0EEEEDaS1A_S1B_EUlS1A_E_NS1_11comp_targetILNS1_3genE2ELNS1_11target_archE906ELNS1_3gpuE6ELNS1_3repE0EEENS1_30default_config_static_selectorELNS0_4arch9wavefront6targetE1EEEvT1_,comdat
.Lfunc_end210:
	.size	_ZN7rocprim17ROCPRIM_400000_NS6detail17trampoline_kernelINS0_14default_configENS1_25partition_config_selectorILNS1_17partition_subalgoE2ExNS0_10empty_typeEbEEZZNS1_14partition_implILS5_2ELb0ES3_jN6thrust23THRUST_200600_302600_NS6detail15normal_iteratorINSA_7pointerIxNSA_11hip_rocprim3tagENSA_11use_defaultESG_EEEEPS6_NSA_18transform_iteratorI7is_evenIxENSC_INSA_10device_ptrIxEEEESG_SG_EENS0_5tupleIJPxSJ_EEENSR_IJSJ_SJ_EEES6_PlJS6_EEE10hipError_tPvRmT3_T4_T5_T6_T7_T9_mT8_P12ihipStream_tbDpT10_ENKUlT_T0_E_clISt17integral_constantIbLb1EES1E_IbLb0EEEEDaS1A_S1B_EUlS1A_E_NS1_11comp_targetILNS1_3genE2ELNS1_11target_archE906ELNS1_3gpuE6ELNS1_3repE0EEENS1_30default_config_static_selectorELNS0_4arch9wavefront6targetE1EEEvT1_, .Lfunc_end210-_ZN7rocprim17ROCPRIM_400000_NS6detail17trampoline_kernelINS0_14default_configENS1_25partition_config_selectorILNS1_17partition_subalgoE2ExNS0_10empty_typeEbEEZZNS1_14partition_implILS5_2ELb0ES3_jN6thrust23THRUST_200600_302600_NS6detail15normal_iteratorINSA_7pointerIxNSA_11hip_rocprim3tagENSA_11use_defaultESG_EEEEPS6_NSA_18transform_iteratorI7is_evenIxENSC_INSA_10device_ptrIxEEEESG_SG_EENS0_5tupleIJPxSJ_EEENSR_IJSJ_SJ_EEES6_PlJS6_EEE10hipError_tPvRmT3_T4_T5_T6_T7_T9_mT8_P12ihipStream_tbDpT10_ENKUlT_T0_E_clISt17integral_constantIbLb1EES1E_IbLb0EEEEDaS1A_S1B_EUlS1A_E_NS1_11comp_targetILNS1_3genE2ELNS1_11target_archE906ELNS1_3gpuE6ELNS1_3repE0EEENS1_30default_config_static_selectorELNS0_4arch9wavefront6targetE1EEEvT1_
                                        ; -- End function
	.section	.AMDGPU.csdata,"",@progbits
; Kernel info:
; codeLenInByte = 0
; NumSgprs: 4
; NumVgprs: 0
; NumAgprs: 0
; TotalNumVgprs: 0
; ScratchSize: 0
; MemoryBound: 0
; FloatMode: 240
; IeeeMode: 1
; LDSByteSize: 0 bytes/workgroup (compile time only)
; SGPRBlocks: 0
; VGPRBlocks: 0
; NumSGPRsForWavesPerEU: 4
; NumVGPRsForWavesPerEU: 1
; AccumOffset: 4
; Occupancy: 8
; WaveLimiterHint : 0
; COMPUTE_PGM_RSRC2:SCRATCH_EN: 0
; COMPUTE_PGM_RSRC2:USER_SGPR: 6
; COMPUTE_PGM_RSRC2:TRAP_HANDLER: 0
; COMPUTE_PGM_RSRC2:TGID_X_EN: 1
; COMPUTE_PGM_RSRC2:TGID_Y_EN: 0
; COMPUTE_PGM_RSRC2:TGID_Z_EN: 0
; COMPUTE_PGM_RSRC2:TIDIG_COMP_CNT: 0
; COMPUTE_PGM_RSRC3_GFX90A:ACCUM_OFFSET: 0
; COMPUTE_PGM_RSRC3_GFX90A:TG_SPLIT: 0
	.section	.text._ZN7rocprim17ROCPRIM_400000_NS6detail17trampoline_kernelINS0_14default_configENS1_25partition_config_selectorILNS1_17partition_subalgoE2ExNS0_10empty_typeEbEEZZNS1_14partition_implILS5_2ELb0ES3_jN6thrust23THRUST_200600_302600_NS6detail15normal_iteratorINSA_7pointerIxNSA_11hip_rocprim3tagENSA_11use_defaultESG_EEEEPS6_NSA_18transform_iteratorI7is_evenIxENSC_INSA_10device_ptrIxEEEESG_SG_EENS0_5tupleIJPxSJ_EEENSR_IJSJ_SJ_EEES6_PlJS6_EEE10hipError_tPvRmT3_T4_T5_T6_T7_T9_mT8_P12ihipStream_tbDpT10_ENKUlT_T0_E_clISt17integral_constantIbLb1EES1E_IbLb0EEEEDaS1A_S1B_EUlS1A_E_NS1_11comp_targetILNS1_3genE10ELNS1_11target_archE1200ELNS1_3gpuE4ELNS1_3repE0EEENS1_30default_config_static_selectorELNS0_4arch9wavefront6targetE1EEEvT1_,"axG",@progbits,_ZN7rocprim17ROCPRIM_400000_NS6detail17trampoline_kernelINS0_14default_configENS1_25partition_config_selectorILNS1_17partition_subalgoE2ExNS0_10empty_typeEbEEZZNS1_14partition_implILS5_2ELb0ES3_jN6thrust23THRUST_200600_302600_NS6detail15normal_iteratorINSA_7pointerIxNSA_11hip_rocprim3tagENSA_11use_defaultESG_EEEEPS6_NSA_18transform_iteratorI7is_evenIxENSC_INSA_10device_ptrIxEEEESG_SG_EENS0_5tupleIJPxSJ_EEENSR_IJSJ_SJ_EEES6_PlJS6_EEE10hipError_tPvRmT3_T4_T5_T6_T7_T9_mT8_P12ihipStream_tbDpT10_ENKUlT_T0_E_clISt17integral_constantIbLb1EES1E_IbLb0EEEEDaS1A_S1B_EUlS1A_E_NS1_11comp_targetILNS1_3genE10ELNS1_11target_archE1200ELNS1_3gpuE4ELNS1_3repE0EEENS1_30default_config_static_selectorELNS0_4arch9wavefront6targetE1EEEvT1_,comdat
	.protected	_ZN7rocprim17ROCPRIM_400000_NS6detail17trampoline_kernelINS0_14default_configENS1_25partition_config_selectorILNS1_17partition_subalgoE2ExNS0_10empty_typeEbEEZZNS1_14partition_implILS5_2ELb0ES3_jN6thrust23THRUST_200600_302600_NS6detail15normal_iteratorINSA_7pointerIxNSA_11hip_rocprim3tagENSA_11use_defaultESG_EEEEPS6_NSA_18transform_iteratorI7is_evenIxENSC_INSA_10device_ptrIxEEEESG_SG_EENS0_5tupleIJPxSJ_EEENSR_IJSJ_SJ_EEES6_PlJS6_EEE10hipError_tPvRmT3_T4_T5_T6_T7_T9_mT8_P12ihipStream_tbDpT10_ENKUlT_T0_E_clISt17integral_constantIbLb1EES1E_IbLb0EEEEDaS1A_S1B_EUlS1A_E_NS1_11comp_targetILNS1_3genE10ELNS1_11target_archE1200ELNS1_3gpuE4ELNS1_3repE0EEENS1_30default_config_static_selectorELNS0_4arch9wavefront6targetE1EEEvT1_ ; -- Begin function _ZN7rocprim17ROCPRIM_400000_NS6detail17trampoline_kernelINS0_14default_configENS1_25partition_config_selectorILNS1_17partition_subalgoE2ExNS0_10empty_typeEbEEZZNS1_14partition_implILS5_2ELb0ES3_jN6thrust23THRUST_200600_302600_NS6detail15normal_iteratorINSA_7pointerIxNSA_11hip_rocprim3tagENSA_11use_defaultESG_EEEEPS6_NSA_18transform_iteratorI7is_evenIxENSC_INSA_10device_ptrIxEEEESG_SG_EENS0_5tupleIJPxSJ_EEENSR_IJSJ_SJ_EEES6_PlJS6_EEE10hipError_tPvRmT3_T4_T5_T6_T7_T9_mT8_P12ihipStream_tbDpT10_ENKUlT_T0_E_clISt17integral_constantIbLb1EES1E_IbLb0EEEEDaS1A_S1B_EUlS1A_E_NS1_11comp_targetILNS1_3genE10ELNS1_11target_archE1200ELNS1_3gpuE4ELNS1_3repE0EEENS1_30default_config_static_selectorELNS0_4arch9wavefront6targetE1EEEvT1_
	.globl	_ZN7rocprim17ROCPRIM_400000_NS6detail17trampoline_kernelINS0_14default_configENS1_25partition_config_selectorILNS1_17partition_subalgoE2ExNS0_10empty_typeEbEEZZNS1_14partition_implILS5_2ELb0ES3_jN6thrust23THRUST_200600_302600_NS6detail15normal_iteratorINSA_7pointerIxNSA_11hip_rocprim3tagENSA_11use_defaultESG_EEEEPS6_NSA_18transform_iteratorI7is_evenIxENSC_INSA_10device_ptrIxEEEESG_SG_EENS0_5tupleIJPxSJ_EEENSR_IJSJ_SJ_EEES6_PlJS6_EEE10hipError_tPvRmT3_T4_T5_T6_T7_T9_mT8_P12ihipStream_tbDpT10_ENKUlT_T0_E_clISt17integral_constantIbLb1EES1E_IbLb0EEEEDaS1A_S1B_EUlS1A_E_NS1_11comp_targetILNS1_3genE10ELNS1_11target_archE1200ELNS1_3gpuE4ELNS1_3repE0EEENS1_30default_config_static_selectorELNS0_4arch9wavefront6targetE1EEEvT1_
	.p2align	8
	.type	_ZN7rocprim17ROCPRIM_400000_NS6detail17trampoline_kernelINS0_14default_configENS1_25partition_config_selectorILNS1_17partition_subalgoE2ExNS0_10empty_typeEbEEZZNS1_14partition_implILS5_2ELb0ES3_jN6thrust23THRUST_200600_302600_NS6detail15normal_iteratorINSA_7pointerIxNSA_11hip_rocprim3tagENSA_11use_defaultESG_EEEEPS6_NSA_18transform_iteratorI7is_evenIxENSC_INSA_10device_ptrIxEEEESG_SG_EENS0_5tupleIJPxSJ_EEENSR_IJSJ_SJ_EEES6_PlJS6_EEE10hipError_tPvRmT3_T4_T5_T6_T7_T9_mT8_P12ihipStream_tbDpT10_ENKUlT_T0_E_clISt17integral_constantIbLb1EES1E_IbLb0EEEEDaS1A_S1B_EUlS1A_E_NS1_11comp_targetILNS1_3genE10ELNS1_11target_archE1200ELNS1_3gpuE4ELNS1_3repE0EEENS1_30default_config_static_selectorELNS0_4arch9wavefront6targetE1EEEvT1_,@function
_ZN7rocprim17ROCPRIM_400000_NS6detail17trampoline_kernelINS0_14default_configENS1_25partition_config_selectorILNS1_17partition_subalgoE2ExNS0_10empty_typeEbEEZZNS1_14partition_implILS5_2ELb0ES3_jN6thrust23THRUST_200600_302600_NS6detail15normal_iteratorINSA_7pointerIxNSA_11hip_rocprim3tagENSA_11use_defaultESG_EEEEPS6_NSA_18transform_iteratorI7is_evenIxENSC_INSA_10device_ptrIxEEEESG_SG_EENS0_5tupleIJPxSJ_EEENSR_IJSJ_SJ_EEES6_PlJS6_EEE10hipError_tPvRmT3_T4_T5_T6_T7_T9_mT8_P12ihipStream_tbDpT10_ENKUlT_T0_E_clISt17integral_constantIbLb1EES1E_IbLb0EEEEDaS1A_S1B_EUlS1A_E_NS1_11comp_targetILNS1_3genE10ELNS1_11target_archE1200ELNS1_3gpuE4ELNS1_3repE0EEENS1_30default_config_static_selectorELNS0_4arch9wavefront6targetE1EEEvT1_: ; @_ZN7rocprim17ROCPRIM_400000_NS6detail17trampoline_kernelINS0_14default_configENS1_25partition_config_selectorILNS1_17partition_subalgoE2ExNS0_10empty_typeEbEEZZNS1_14partition_implILS5_2ELb0ES3_jN6thrust23THRUST_200600_302600_NS6detail15normal_iteratorINSA_7pointerIxNSA_11hip_rocprim3tagENSA_11use_defaultESG_EEEEPS6_NSA_18transform_iteratorI7is_evenIxENSC_INSA_10device_ptrIxEEEESG_SG_EENS0_5tupleIJPxSJ_EEENSR_IJSJ_SJ_EEES6_PlJS6_EEE10hipError_tPvRmT3_T4_T5_T6_T7_T9_mT8_P12ihipStream_tbDpT10_ENKUlT_T0_E_clISt17integral_constantIbLb1EES1E_IbLb0EEEEDaS1A_S1B_EUlS1A_E_NS1_11comp_targetILNS1_3genE10ELNS1_11target_archE1200ELNS1_3gpuE4ELNS1_3repE0EEENS1_30default_config_static_selectorELNS0_4arch9wavefront6targetE1EEEvT1_
; %bb.0:
	.section	.rodata,"a",@progbits
	.p2align	6, 0x0
	.amdhsa_kernel _ZN7rocprim17ROCPRIM_400000_NS6detail17trampoline_kernelINS0_14default_configENS1_25partition_config_selectorILNS1_17partition_subalgoE2ExNS0_10empty_typeEbEEZZNS1_14partition_implILS5_2ELb0ES3_jN6thrust23THRUST_200600_302600_NS6detail15normal_iteratorINSA_7pointerIxNSA_11hip_rocprim3tagENSA_11use_defaultESG_EEEEPS6_NSA_18transform_iteratorI7is_evenIxENSC_INSA_10device_ptrIxEEEESG_SG_EENS0_5tupleIJPxSJ_EEENSR_IJSJ_SJ_EEES6_PlJS6_EEE10hipError_tPvRmT3_T4_T5_T6_T7_T9_mT8_P12ihipStream_tbDpT10_ENKUlT_T0_E_clISt17integral_constantIbLb1EES1E_IbLb0EEEEDaS1A_S1B_EUlS1A_E_NS1_11comp_targetILNS1_3genE10ELNS1_11target_archE1200ELNS1_3gpuE4ELNS1_3repE0EEENS1_30default_config_static_selectorELNS0_4arch9wavefront6targetE1EEEvT1_
		.amdhsa_group_segment_fixed_size 0
		.amdhsa_private_segment_fixed_size 0
		.amdhsa_kernarg_size 128
		.amdhsa_user_sgpr_count 6
		.amdhsa_user_sgpr_private_segment_buffer 1
		.amdhsa_user_sgpr_dispatch_ptr 0
		.amdhsa_user_sgpr_queue_ptr 0
		.amdhsa_user_sgpr_kernarg_segment_ptr 1
		.amdhsa_user_sgpr_dispatch_id 0
		.amdhsa_user_sgpr_flat_scratch_init 0
		.amdhsa_user_sgpr_kernarg_preload_length 0
		.amdhsa_user_sgpr_kernarg_preload_offset 0
		.amdhsa_user_sgpr_private_segment_size 0
		.amdhsa_uses_dynamic_stack 0
		.amdhsa_system_sgpr_private_segment_wavefront_offset 0
		.amdhsa_system_sgpr_workgroup_id_x 1
		.amdhsa_system_sgpr_workgroup_id_y 0
		.amdhsa_system_sgpr_workgroup_id_z 0
		.amdhsa_system_sgpr_workgroup_info 0
		.amdhsa_system_vgpr_workitem_id 0
		.amdhsa_next_free_vgpr 1
		.amdhsa_next_free_sgpr 0
		.amdhsa_accum_offset 4
		.amdhsa_reserve_vcc 0
		.amdhsa_reserve_flat_scratch 0
		.amdhsa_float_round_mode_32 0
		.amdhsa_float_round_mode_16_64 0
		.amdhsa_float_denorm_mode_32 3
		.amdhsa_float_denorm_mode_16_64 3
		.amdhsa_dx10_clamp 1
		.amdhsa_ieee_mode 1
		.amdhsa_fp16_overflow 0
		.amdhsa_tg_split 0
		.amdhsa_exception_fp_ieee_invalid_op 0
		.amdhsa_exception_fp_denorm_src 0
		.amdhsa_exception_fp_ieee_div_zero 0
		.amdhsa_exception_fp_ieee_overflow 0
		.amdhsa_exception_fp_ieee_underflow 0
		.amdhsa_exception_fp_ieee_inexact 0
		.amdhsa_exception_int_div_zero 0
	.end_amdhsa_kernel
	.section	.text._ZN7rocprim17ROCPRIM_400000_NS6detail17trampoline_kernelINS0_14default_configENS1_25partition_config_selectorILNS1_17partition_subalgoE2ExNS0_10empty_typeEbEEZZNS1_14partition_implILS5_2ELb0ES3_jN6thrust23THRUST_200600_302600_NS6detail15normal_iteratorINSA_7pointerIxNSA_11hip_rocprim3tagENSA_11use_defaultESG_EEEEPS6_NSA_18transform_iteratorI7is_evenIxENSC_INSA_10device_ptrIxEEEESG_SG_EENS0_5tupleIJPxSJ_EEENSR_IJSJ_SJ_EEES6_PlJS6_EEE10hipError_tPvRmT3_T4_T5_T6_T7_T9_mT8_P12ihipStream_tbDpT10_ENKUlT_T0_E_clISt17integral_constantIbLb1EES1E_IbLb0EEEEDaS1A_S1B_EUlS1A_E_NS1_11comp_targetILNS1_3genE10ELNS1_11target_archE1200ELNS1_3gpuE4ELNS1_3repE0EEENS1_30default_config_static_selectorELNS0_4arch9wavefront6targetE1EEEvT1_,"axG",@progbits,_ZN7rocprim17ROCPRIM_400000_NS6detail17trampoline_kernelINS0_14default_configENS1_25partition_config_selectorILNS1_17partition_subalgoE2ExNS0_10empty_typeEbEEZZNS1_14partition_implILS5_2ELb0ES3_jN6thrust23THRUST_200600_302600_NS6detail15normal_iteratorINSA_7pointerIxNSA_11hip_rocprim3tagENSA_11use_defaultESG_EEEEPS6_NSA_18transform_iteratorI7is_evenIxENSC_INSA_10device_ptrIxEEEESG_SG_EENS0_5tupleIJPxSJ_EEENSR_IJSJ_SJ_EEES6_PlJS6_EEE10hipError_tPvRmT3_T4_T5_T6_T7_T9_mT8_P12ihipStream_tbDpT10_ENKUlT_T0_E_clISt17integral_constantIbLb1EES1E_IbLb0EEEEDaS1A_S1B_EUlS1A_E_NS1_11comp_targetILNS1_3genE10ELNS1_11target_archE1200ELNS1_3gpuE4ELNS1_3repE0EEENS1_30default_config_static_selectorELNS0_4arch9wavefront6targetE1EEEvT1_,comdat
.Lfunc_end211:
	.size	_ZN7rocprim17ROCPRIM_400000_NS6detail17trampoline_kernelINS0_14default_configENS1_25partition_config_selectorILNS1_17partition_subalgoE2ExNS0_10empty_typeEbEEZZNS1_14partition_implILS5_2ELb0ES3_jN6thrust23THRUST_200600_302600_NS6detail15normal_iteratorINSA_7pointerIxNSA_11hip_rocprim3tagENSA_11use_defaultESG_EEEEPS6_NSA_18transform_iteratorI7is_evenIxENSC_INSA_10device_ptrIxEEEESG_SG_EENS0_5tupleIJPxSJ_EEENSR_IJSJ_SJ_EEES6_PlJS6_EEE10hipError_tPvRmT3_T4_T5_T6_T7_T9_mT8_P12ihipStream_tbDpT10_ENKUlT_T0_E_clISt17integral_constantIbLb1EES1E_IbLb0EEEEDaS1A_S1B_EUlS1A_E_NS1_11comp_targetILNS1_3genE10ELNS1_11target_archE1200ELNS1_3gpuE4ELNS1_3repE0EEENS1_30default_config_static_selectorELNS0_4arch9wavefront6targetE1EEEvT1_, .Lfunc_end211-_ZN7rocprim17ROCPRIM_400000_NS6detail17trampoline_kernelINS0_14default_configENS1_25partition_config_selectorILNS1_17partition_subalgoE2ExNS0_10empty_typeEbEEZZNS1_14partition_implILS5_2ELb0ES3_jN6thrust23THRUST_200600_302600_NS6detail15normal_iteratorINSA_7pointerIxNSA_11hip_rocprim3tagENSA_11use_defaultESG_EEEEPS6_NSA_18transform_iteratorI7is_evenIxENSC_INSA_10device_ptrIxEEEESG_SG_EENS0_5tupleIJPxSJ_EEENSR_IJSJ_SJ_EEES6_PlJS6_EEE10hipError_tPvRmT3_T4_T5_T6_T7_T9_mT8_P12ihipStream_tbDpT10_ENKUlT_T0_E_clISt17integral_constantIbLb1EES1E_IbLb0EEEEDaS1A_S1B_EUlS1A_E_NS1_11comp_targetILNS1_3genE10ELNS1_11target_archE1200ELNS1_3gpuE4ELNS1_3repE0EEENS1_30default_config_static_selectorELNS0_4arch9wavefront6targetE1EEEvT1_
                                        ; -- End function
	.section	.AMDGPU.csdata,"",@progbits
; Kernel info:
; codeLenInByte = 0
; NumSgprs: 4
; NumVgprs: 0
; NumAgprs: 0
; TotalNumVgprs: 0
; ScratchSize: 0
; MemoryBound: 0
; FloatMode: 240
; IeeeMode: 1
; LDSByteSize: 0 bytes/workgroup (compile time only)
; SGPRBlocks: 0
; VGPRBlocks: 0
; NumSGPRsForWavesPerEU: 4
; NumVGPRsForWavesPerEU: 1
; AccumOffset: 4
; Occupancy: 8
; WaveLimiterHint : 0
; COMPUTE_PGM_RSRC2:SCRATCH_EN: 0
; COMPUTE_PGM_RSRC2:USER_SGPR: 6
; COMPUTE_PGM_RSRC2:TRAP_HANDLER: 0
; COMPUTE_PGM_RSRC2:TGID_X_EN: 1
; COMPUTE_PGM_RSRC2:TGID_Y_EN: 0
; COMPUTE_PGM_RSRC2:TGID_Z_EN: 0
; COMPUTE_PGM_RSRC2:TIDIG_COMP_CNT: 0
; COMPUTE_PGM_RSRC3_GFX90A:ACCUM_OFFSET: 0
; COMPUTE_PGM_RSRC3_GFX90A:TG_SPLIT: 0
	.section	.text._ZN7rocprim17ROCPRIM_400000_NS6detail17trampoline_kernelINS0_14default_configENS1_25partition_config_selectorILNS1_17partition_subalgoE2ExNS0_10empty_typeEbEEZZNS1_14partition_implILS5_2ELb0ES3_jN6thrust23THRUST_200600_302600_NS6detail15normal_iteratorINSA_7pointerIxNSA_11hip_rocprim3tagENSA_11use_defaultESG_EEEEPS6_NSA_18transform_iteratorI7is_evenIxENSC_INSA_10device_ptrIxEEEESG_SG_EENS0_5tupleIJPxSJ_EEENSR_IJSJ_SJ_EEES6_PlJS6_EEE10hipError_tPvRmT3_T4_T5_T6_T7_T9_mT8_P12ihipStream_tbDpT10_ENKUlT_T0_E_clISt17integral_constantIbLb1EES1E_IbLb0EEEEDaS1A_S1B_EUlS1A_E_NS1_11comp_targetILNS1_3genE9ELNS1_11target_archE1100ELNS1_3gpuE3ELNS1_3repE0EEENS1_30default_config_static_selectorELNS0_4arch9wavefront6targetE1EEEvT1_,"axG",@progbits,_ZN7rocprim17ROCPRIM_400000_NS6detail17trampoline_kernelINS0_14default_configENS1_25partition_config_selectorILNS1_17partition_subalgoE2ExNS0_10empty_typeEbEEZZNS1_14partition_implILS5_2ELb0ES3_jN6thrust23THRUST_200600_302600_NS6detail15normal_iteratorINSA_7pointerIxNSA_11hip_rocprim3tagENSA_11use_defaultESG_EEEEPS6_NSA_18transform_iteratorI7is_evenIxENSC_INSA_10device_ptrIxEEEESG_SG_EENS0_5tupleIJPxSJ_EEENSR_IJSJ_SJ_EEES6_PlJS6_EEE10hipError_tPvRmT3_T4_T5_T6_T7_T9_mT8_P12ihipStream_tbDpT10_ENKUlT_T0_E_clISt17integral_constantIbLb1EES1E_IbLb0EEEEDaS1A_S1B_EUlS1A_E_NS1_11comp_targetILNS1_3genE9ELNS1_11target_archE1100ELNS1_3gpuE3ELNS1_3repE0EEENS1_30default_config_static_selectorELNS0_4arch9wavefront6targetE1EEEvT1_,comdat
	.protected	_ZN7rocprim17ROCPRIM_400000_NS6detail17trampoline_kernelINS0_14default_configENS1_25partition_config_selectorILNS1_17partition_subalgoE2ExNS0_10empty_typeEbEEZZNS1_14partition_implILS5_2ELb0ES3_jN6thrust23THRUST_200600_302600_NS6detail15normal_iteratorINSA_7pointerIxNSA_11hip_rocprim3tagENSA_11use_defaultESG_EEEEPS6_NSA_18transform_iteratorI7is_evenIxENSC_INSA_10device_ptrIxEEEESG_SG_EENS0_5tupleIJPxSJ_EEENSR_IJSJ_SJ_EEES6_PlJS6_EEE10hipError_tPvRmT3_T4_T5_T6_T7_T9_mT8_P12ihipStream_tbDpT10_ENKUlT_T0_E_clISt17integral_constantIbLb1EES1E_IbLb0EEEEDaS1A_S1B_EUlS1A_E_NS1_11comp_targetILNS1_3genE9ELNS1_11target_archE1100ELNS1_3gpuE3ELNS1_3repE0EEENS1_30default_config_static_selectorELNS0_4arch9wavefront6targetE1EEEvT1_ ; -- Begin function _ZN7rocprim17ROCPRIM_400000_NS6detail17trampoline_kernelINS0_14default_configENS1_25partition_config_selectorILNS1_17partition_subalgoE2ExNS0_10empty_typeEbEEZZNS1_14partition_implILS5_2ELb0ES3_jN6thrust23THRUST_200600_302600_NS6detail15normal_iteratorINSA_7pointerIxNSA_11hip_rocprim3tagENSA_11use_defaultESG_EEEEPS6_NSA_18transform_iteratorI7is_evenIxENSC_INSA_10device_ptrIxEEEESG_SG_EENS0_5tupleIJPxSJ_EEENSR_IJSJ_SJ_EEES6_PlJS6_EEE10hipError_tPvRmT3_T4_T5_T6_T7_T9_mT8_P12ihipStream_tbDpT10_ENKUlT_T0_E_clISt17integral_constantIbLb1EES1E_IbLb0EEEEDaS1A_S1B_EUlS1A_E_NS1_11comp_targetILNS1_3genE9ELNS1_11target_archE1100ELNS1_3gpuE3ELNS1_3repE0EEENS1_30default_config_static_selectorELNS0_4arch9wavefront6targetE1EEEvT1_
	.globl	_ZN7rocprim17ROCPRIM_400000_NS6detail17trampoline_kernelINS0_14default_configENS1_25partition_config_selectorILNS1_17partition_subalgoE2ExNS0_10empty_typeEbEEZZNS1_14partition_implILS5_2ELb0ES3_jN6thrust23THRUST_200600_302600_NS6detail15normal_iteratorINSA_7pointerIxNSA_11hip_rocprim3tagENSA_11use_defaultESG_EEEEPS6_NSA_18transform_iteratorI7is_evenIxENSC_INSA_10device_ptrIxEEEESG_SG_EENS0_5tupleIJPxSJ_EEENSR_IJSJ_SJ_EEES6_PlJS6_EEE10hipError_tPvRmT3_T4_T5_T6_T7_T9_mT8_P12ihipStream_tbDpT10_ENKUlT_T0_E_clISt17integral_constantIbLb1EES1E_IbLb0EEEEDaS1A_S1B_EUlS1A_E_NS1_11comp_targetILNS1_3genE9ELNS1_11target_archE1100ELNS1_3gpuE3ELNS1_3repE0EEENS1_30default_config_static_selectorELNS0_4arch9wavefront6targetE1EEEvT1_
	.p2align	8
	.type	_ZN7rocprim17ROCPRIM_400000_NS6detail17trampoline_kernelINS0_14default_configENS1_25partition_config_selectorILNS1_17partition_subalgoE2ExNS0_10empty_typeEbEEZZNS1_14partition_implILS5_2ELb0ES3_jN6thrust23THRUST_200600_302600_NS6detail15normal_iteratorINSA_7pointerIxNSA_11hip_rocprim3tagENSA_11use_defaultESG_EEEEPS6_NSA_18transform_iteratorI7is_evenIxENSC_INSA_10device_ptrIxEEEESG_SG_EENS0_5tupleIJPxSJ_EEENSR_IJSJ_SJ_EEES6_PlJS6_EEE10hipError_tPvRmT3_T4_T5_T6_T7_T9_mT8_P12ihipStream_tbDpT10_ENKUlT_T0_E_clISt17integral_constantIbLb1EES1E_IbLb0EEEEDaS1A_S1B_EUlS1A_E_NS1_11comp_targetILNS1_3genE9ELNS1_11target_archE1100ELNS1_3gpuE3ELNS1_3repE0EEENS1_30default_config_static_selectorELNS0_4arch9wavefront6targetE1EEEvT1_,@function
_ZN7rocprim17ROCPRIM_400000_NS6detail17trampoline_kernelINS0_14default_configENS1_25partition_config_selectorILNS1_17partition_subalgoE2ExNS0_10empty_typeEbEEZZNS1_14partition_implILS5_2ELb0ES3_jN6thrust23THRUST_200600_302600_NS6detail15normal_iteratorINSA_7pointerIxNSA_11hip_rocprim3tagENSA_11use_defaultESG_EEEEPS6_NSA_18transform_iteratorI7is_evenIxENSC_INSA_10device_ptrIxEEEESG_SG_EENS0_5tupleIJPxSJ_EEENSR_IJSJ_SJ_EEES6_PlJS6_EEE10hipError_tPvRmT3_T4_T5_T6_T7_T9_mT8_P12ihipStream_tbDpT10_ENKUlT_T0_E_clISt17integral_constantIbLb1EES1E_IbLb0EEEEDaS1A_S1B_EUlS1A_E_NS1_11comp_targetILNS1_3genE9ELNS1_11target_archE1100ELNS1_3gpuE3ELNS1_3repE0EEENS1_30default_config_static_selectorELNS0_4arch9wavefront6targetE1EEEvT1_: ; @_ZN7rocprim17ROCPRIM_400000_NS6detail17trampoline_kernelINS0_14default_configENS1_25partition_config_selectorILNS1_17partition_subalgoE2ExNS0_10empty_typeEbEEZZNS1_14partition_implILS5_2ELb0ES3_jN6thrust23THRUST_200600_302600_NS6detail15normal_iteratorINSA_7pointerIxNSA_11hip_rocprim3tagENSA_11use_defaultESG_EEEEPS6_NSA_18transform_iteratorI7is_evenIxENSC_INSA_10device_ptrIxEEEESG_SG_EENS0_5tupleIJPxSJ_EEENSR_IJSJ_SJ_EEES6_PlJS6_EEE10hipError_tPvRmT3_T4_T5_T6_T7_T9_mT8_P12ihipStream_tbDpT10_ENKUlT_T0_E_clISt17integral_constantIbLb1EES1E_IbLb0EEEEDaS1A_S1B_EUlS1A_E_NS1_11comp_targetILNS1_3genE9ELNS1_11target_archE1100ELNS1_3gpuE3ELNS1_3repE0EEENS1_30default_config_static_selectorELNS0_4arch9wavefront6targetE1EEEvT1_
; %bb.0:
	.section	.rodata,"a",@progbits
	.p2align	6, 0x0
	.amdhsa_kernel _ZN7rocprim17ROCPRIM_400000_NS6detail17trampoline_kernelINS0_14default_configENS1_25partition_config_selectorILNS1_17partition_subalgoE2ExNS0_10empty_typeEbEEZZNS1_14partition_implILS5_2ELb0ES3_jN6thrust23THRUST_200600_302600_NS6detail15normal_iteratorINSA_7pointerIxNSA_11hip_rocprim3tagENSA_11use_defaultESG_EEEEPS6_NSA_18transform_iteratorI7is_evenIxENSC_INSA_10device_ptrIxEEEESG_SG_EENS0_5tupleIJPxSJ_EEENSR_IJSJ_SJ_EEES6_PlJS6_EEE10hipError_tPvRmT3_T4_T5_T6_T7_T9_mT8_P12ihipStream_tbDpT10_ENKUlT_T0_E_clISt17integral_constantIbLb1EES1E_IbLb0EEEEDaS1A_S1B_EUlS1A_E_NS1_11comp_targetILNS1_3genE9ELNS1_11target_archE1100ELNS1_3gpuE3ELNS1_3repE0EEENS1_30default_config_static_selectorELNS0_4arch9wavefront6targetE1EEEvT1_
		.amdhsa_group_segment_fixed_size 0
		.amdhsa_private_segment_fixed_size 0
		.amdhsa_kernarg_size 128
		.amdhsa_user_sgpr_count 6
		.amdhsa_user_sgpr_private_segment_buffer 1
		.amdhsa_user_sgpr_dispatch_ptr 0
		.amdhsa_user_sgpr_queue_ptr 0
		.amdhsa_user_sgpr_kernarg_segment_ptr 1
		.amdhsa_user_sgpr_dispatch_id 0
		.amdhsa_user_sgpr_flat_scratch_init 0
		.amdhsa_user_sgpr_kernarg_preload_length 0
		.amdhsa_user_sgpr_kernarg_preload_offset 0
		.amdhsa_user_sgpr_private_segment_size 0
		.amdhsa_uses_dynamic_stack 0
		.amdhsa_system_sgpr_private_segment_wavefront_offset 0
		.amdhsa_system_sgpr_workgroup_id_x 1
		.amdhsa_system_sgpr_workgroup_id_y 0
		.amdhsa_system_sgpr_workgroup_id_z 0
		.amdhsa_system_sgpr_workgroup_info 0
		.amdhsa_system_vgpr_workitem_id 0
		.amdhsa_next_free_vgpr 1
		.amdhsa_next_free_sgpr 0
		.amdhsa_accum_offset 4
		.amdhsa_reserve_vcc 0
		.amdhsa_reserve_flat_scratch 0
		.amdhsa_float_round_mode_32 0
		.amdhsa_float_round_mode_16_64 0
		.amdhsa_float_denorm_mode_32 3
		.amdhsa_float_denorm_mode_16_64 3
		.amdhsa_dx10_clamp 1
		.amdhsa_ieee_mode 1
		.amdhsa_fp16_overflow 0
		.amdhsa_tg_split 0
		.amdhsa_exception_fp_ieee_invalid_op 0
		.amdhsa_exception_fp_denorm_src 0
		.amdhsa_exception_fp_ieee_div_zero 0
		.amdhsa_exception_fp_ieee_overflow 0
		.amdhsa_exception_fp_ieee_underflow 0
		.amdhsa_exception_fp_ieee_inexact 0
		.amdhsa_exception_int_div_zero 0
	.end_amdhsa_kernel
	.section	.text._ZN7rocprim17ROCPRIM_400000_NS6detail17trampoline_kernelINS0_14default_configENS1_25partition_config_selectorILNS1_17partition_subalgoE2ExNS0_10empty_typeEbEEZZNS1_14partition_implILS5_2ELb0ES3_jN6thrust23THRUST_200600_302600_NS6detail15normal_iteratorINSA_7pointerIxNSA_11hip_rocprim3tagENSA_11use_defaultESG_EEEEPS6_NSA_18transform_iteratorI7is_evenIxENSC_INSA_10device_ptrIxEEEESG_SG_EENS0_5tupleIJPxSJ_EEENSR_IJSJ_SJ_EEES6_PlJS6_EEE10hipError_tPvRmT3_T4_T5_T6_T7_T9_mT8_P12ihipStream_tbDpT10_ENKUlT_T0_E_clISt17integral_constantIbLb1EES1E_IbLb0EEEEDaS1A_S1B_EUlS1A_E_NS1_11comp_targetILNS1_3genE9ELNS1_11target_archE1100ELNS1_3gpuE3ELNS1_3repE0EEENS1_30default_config_static_selectorELNS0_4arch9wavefront6targetE1EEEvT1_,"axG",@progbits,_ZN7rocprim17ROCPRIM_400000_NS6detail17trampoline_kernelINS0_14default_configENS1_25partition_config_selectorILNS1_17partition_subalgoE2ExNS0_10empty_typeEbEEZZNS1_14partition_implILS5_2ELb0ES3_jN6thrust23THRUST_200600_302600_NS6detail15normal_iteratorINSA_7pointerIxNSA_11hip_rocprim3tagENSA_11use_defaultESG_EEEEPS6_NSA_18transform_iteratorI7is_evenIxENSC_INSA_10device_ptrIxEEEESG_SG_EENS0_5tupleIJPxSJ_EEENSR_IJSJ_SJ_EEES6_PlJS6_EEE10hipError_tPvRmT3_T4_T5_T6_T7_T9_mT8_P12ihipStream_tbDpT10_ENKUlT_T0_E_clISt17integral_constantIbLb1EES1E_IbLb0EEEEDaS1A_S1B_EUlS1A_E_NS1_11comp_targetILNS1_3genE9ELNS1_11target_archE1100ELNS1_3gpuE3ELNS1_3repE0EEENS1_30default_config_static_selectorELNS0_4arch9wavefront6targetE1EEEvT1_,comdat
.Lfunc_end212:
	.size	_ZN7rocprim17ROCPRIM_400000_NS6detail17trampoline_kernelINS0_14default_configENS1_25partition_config_selectorILNS1_17partition_subalgoE2ExNS0_10empty_typeEbEEZZNS1_14partition_implILS5_2ELb0ES3_jN6thrust23THRUST_200600_302600_NS6detail15normal_iteratorINSA_7pointerIxNSA_11hip_rocprim3tagENSA_11use_defaultESG_EEEEPS6_NSA_18transform_iteratorI7is_evenIxENSC_INSA_10device_ptrIxEEEESG_SG_EENS0_5tupleIJPxSJ_EEENSR_IJSJ_SJ_EEES6_PlJS6_EEE10hipError_tPvRmT3_T4_T5_T6_T7_T9_mT8_P12ihipStream_tbDpT10_ENKUlT_T0_E_clISt17integral_constantIbLb1EES1E_IbLb0EEEEDaS1A_S1B_EUlS1A_E_NS1_11comp_targetILNS1_3genE9ELNS1_11target_archE1100ELNS1_3gpuE3ELNS1_3repE0EEENS1_30default_config_static_selectorELNS0_4arch9wavefront6targetE1EEEvT1_, .Lfunc_end212-_ZN7rocprim17ROCPRIM_400000_NS6detail17trampoline_kernelINS0_14default_configENS1_25partition_config_selectorILNS1_17partition_subalgoE2ExNS0_10empty_typeEbEEZZNS1_14partition_implILS5_2ELb0ES3_jN6thrust23THRUST_200600_302600_NS6detail15normal_iteratorINSA_7pointerIxNSA_11hip_rocprim3tagENSA_11use_defaultESG_EEEEPS6_NSA_18transform_iteratorI7is_evenIxENSC_INSA_10device_ptrIxEEEESG_SG_EENS0_5tupleIJPxSJ_EEENSR_IJSJ_SJ_EEES6_PlJS6_EEE10hipError_tPvRmT3_T4_T5_T6_T7_T9_mT8_P12ihipStream_tbDpT10_ENKUlT_T0_E_clISt17integral_constantIbLb1EES1E_IbLb0EEEEDaS1A_S1B_EUlS1A_E_NS1_11comp_targetILNS1_3genE9ELNS1_11target_archE1100ELNS1_3gpuE3ELNS1_3repE0EEENS1_30default_config_static_selectorELNS0_4arch9wavefront6targetE1EEEvT1_
                                        ; -- End function
	.section	.AMDGPU.csdata,"",@progbits
; Kernel info:
; codeLenInByte = 0
; NumSgprs: 4
; NumVgprs: 0
; NumAgprs: 0
; TotalNumVgprs: 0
; ScratchSize: 0
; MemoryBound: 0
; FloatMode: 240
; IeeeMode: 1
; LDSByteSize: 0 bytes/workgroup (compile time only)
; SGPRBlocks: 0
; VGPRBlocks: 0
; NumSGPRsForWavesPerEU: 4
; NumVGPRsForWavesPerEU: 1
; AccumOffset: 4
; Occupancy: 8
; WaveLimiterHint : 0
; COMPUTE_PGM_RSRC2:SCRATCH_EN: 0
; COMPUTE_PGM_RSRC2:USER_SGPR: 6
; COMPUTE_PGM_RSRC2:TRAP_HANDLER: 0
; COMPUTE_PGM_RSRC2:TGID_X_EN: 1
; COMPUTE_PGM_RSRC2:TGID_Y_EN: 0
; COMPUTE_PGM_RSRC2:TGID_Z_EN: 0
; COMPUTE_PGM_RSRC2:TIDIG_COMP_CNT: 0
; COMPUTE_PGM_RSRC3_GFX90A:ACCUM_OFFSET: 0
; COMPUTE_PGM_RSRC3_GFX90A:TG_SPLIT: 0
	.section	.text._ZN7rocprim17ROCPRIM_400000_NS6detail17trampoline_kernelINS0_14default_configENS1_25partition_config_selectorILNS1_17partition_subalgoE2ExNS0_10empty_typeEbEEZZNS1_14partition_implILS5_2ELb0ES3_jN6thrust23THRUST_200600_302600_NS6detail15normal_iteratorINSA_7pointerIxNSA_11hip_rocprim3tagENSA_11use_defaultESG_EEEEPS6_NSA_18transform_iteratorI7is_evenIxENSC_INSA_10device_ptrIxEEEESG_SG_EENS0_5tupleIJPxSJ_EEENSR_IJSJ_SJ_EEES6_PlJS6_EEE10hipError_tPvRmT3_T4_T5_T6_T7_T9_mT8_P12ihipStream_tbDpT10_ENKUlT_T0_E_clISt17integral_constantIbLb1EES1E_IbLb0EEEEDaS1A_S1B_EUlS1A_E_NS1_11comp_targetILNS1_3genE8ELNS1_11target_archE1030ELNS1_3gpuE2ELNS1_3repE0EEENS1_30default_config_static_selectorELNS0_4arch9wavefront6targetE1EEEvT1_,"axG",@progbits,_ZN7rocprim17ROCPRIM_400000_NS6detail17trampoline_kernelINS0_14default_configENS1_25partition_config_selectorILNS1_17partition_subalgoE2ExNS0_10empty_typeEbEEZZNS1_14partition_implILS5_2ELb0ES3_jN6thrust23THRUST_200600_302600_NS6detail15normal_iteratorINSA_7pointerIxNSA_11hip_rocprim3tagENSA_11use_defaultESG_EEEEPS6_NSA_18transform_iteratorI7is_evenIxENSC_INSA_10device_ptrIxEEEESG_SG_EENS0_5tupleIJPxSJ_EEENSR_IJSJ_SJ_EEES6_PlJS6_EEE10hipError_tPvRmT3_T4_T5_T6_T7_T9_mT8_P12ihipStream_tbDpT10_ENKUlT_T0_E_clISt17integral_constantIbLb1EES1E_IbLb0EEEEDaS1A_S1B_EUlS1A_E_NS1_11comp_targetILNS1_3genE8ELNS1_11target_archE1030ELNS1_3gpuE2ELNS1_3repE0EEENS1_30default_config_static_selectorELNS0_4arch9wavefront6targetE1EEEvT1_,comdat
	.protected	_ZN7rocprim17ROCPRIM_400000_NS6detail17trampoline_kernelINS0_14default_configENS1_25partition_config_selectorILNS1_17partition_subalgoE2ExNS0_10empty_typeEbEEZZNS1_14partition_implILS5_2ELb0ES3_jN6thrust23THRUST_200600_302600_NS6detail15normal_iteratorINSA_7pointerIxNSA_11hip_rocprim3tagENSA_11use_defaultESG_EEEEPS6_NSA_18transform_iteratorI7is_evenIxENSC_INSA_10device_ptrIxEEEESG_SG_EENS0_5tupleIJPxSJ_EEENSR_IJSJ_SJ_EEES6_PlJS6_EEE10hipError_tPvRmT3_T4_T5_T6_T7_T9_mT8_P12ihipStream_tbDpT10_ENKUlT_T0_E_clISt17integral_constantIbLb1EES1E_IbLb0EEEEDaS1A_S1B_EUlS1A_E_NS1_11comp_targetILNS1_3genE8ELNS1_11target_archE1030ELNS1_3gpuE2ELNS1_3repE0EEENS1_30default_config_static_selectorELNS0_4arch9wavefront6targetE1EEEvT1_ ; -- Begin function _ZN7rocprim17ROCPRIM_400000_NS6detail17trampoline_kernelINS0_14default_configENS1_25partition_config_selectorILNS1_17partition_subalgoE2ExNS0_10empty_typeEbEEZZNS1_14partition_implILS5_2ELb0ES3_jN6thrust23THRUST_200600_302600_NS6detail15normal_iteratorINSA_7pointerIxNSA_11hip_rocprim3tagENSA_11use_defaultESG_EEEEPS6_NSA_18transform_iteratorI7is_evenIxENSC_INSA_10device_ptrIxEEEESG_SG_EENS0_5tupleIJPxSJ_EEENSR_IJSJ_SJ_EEES6_PlJS6_EEE10hipError_tPvRmT3_T4_T5_T6_T7_T9_mT8_P12ihipStream_tbDpT10_ENKUlT_T0_E_clISt17integral_constantIbLb1EES1E_IbLb0EEEEDaS1A_S1B_EUlS1A_E_NS1_11comp_targetILNS1_3genE8ELNS1_11target_archE1030ELNS1_3gpuE2ELNS1_3repE0EEENS1_30default_config_static_selectorELNS0_4arch9wavefront6targetE1EEEvT1_
	.globl	_ZN7rocprim17ROCPRIM_400000_NS6detail17trampoline_kernelINS0_14default_configENS1_25partition_config_selectorILNS1_17partition_subalgoE2ExNS0_10empty_typeEbEEZZNS1_14partition_implILS5_2ELb0ES3_jN6thrust23THRUST_200600_302600_NS6detail15normal_iteratorINSA_7pointerIxNSA_11hip_rocprim3tagENSA_11use_defaultESG_EEEEPS6_NSA_18transform_iteratorI7is_evenIxENSC_INSA_10device_ptrIxEEEESG_SG_EENS0_5tupleIJPxSJ_EEENSR_IJSJ_SJ_EEES6_PlJS6_EEE10hipError_tPvRmT3_T4_T5_T6_T7_T9_mT8_P12ihipStream_tbDpT10_ENKUlT_T0_E_clISt17integral_constantIbLb1EES1E_IbLb0EEEEDaS1A_S1B_EUlS1A_E_NS1_11comp_targetILNS1_3genE8ELNS1_11target_archE1030ELNS1_3gpuE2ELNS1_3repE0EEENS1_30default_config_static_selectorELNS0_4arch9wavefront6targetE1EEEvT1_
	.p2align	8
	.type	_ZN7rocprim17ROCPRIM_400000_NS6detail17trampoline_kernelINS0_14default_configENS1_25partition_config_selectorILNS1_17partition_subalgoE2ExNS0_10empty_typeEbEEZZNS1_14partition_implILS5_2ELb0ES3_jN6thrust23THRUST_200600_302600_NS6detail15normal_iteratorINSA_7pointerIxNSA_11hip_rocprim3tagENSA_11use_defaultESG_EEEEPS6_NSA_18transform_iteratorI7is_evenIxENSC_INSA_10device_ptrIxEEEESG_SG_EENS0_5tupleIJPxSJ_EEENSR_IJSJ_SJ_EEES6_PlJS6_EEE10hipError_tPvRmT3_T4_T5_T6_T7_T9_mT8_P12ihipStream_tbDpT10_ENKUlT_T0_E_clISt17integral_constantIbLb1EES1E_IbLb0EEEEDaS1A_S1B_EUlS1A_E_NS1_11comp_targetILNS1_3genE8ELNS1_11target_archE1030ELNS1_3gpuE2ELNS1_3repE0EEENS1_30default_config_static_selectorELNS0_4arch9wavefront6targetE1EEEvT1_,@function
_ZN7rocprim17ROCPRIM_400000_NS6detail17trampoline_kernelINS0_14default_configENS1_25partition_config_selectorILNS1_17partition_subalgoE2ExNS0_10empty_typeEbEEZZNS1_14partition_implILS5_2ELb0ES3_jN6thrust23THRUST_200600_302600_NS6detail15normal_iteratorINSA_7pointerIxNSA_11hip_rocprim3tagENSA_11use_defaultESG_EEEEPS6_NSA_18transform_iteratorI7is_evenIxENSC_INSA_10device_ptrIxEEEESG_SG_EENS0_5tupleIJPxSJ_EEENSR_IJSJ_SJ_EEES6_PlJS6_EEE10hipError_tPvRmT3_T4_T5_T6_T7_T9_mT8_P12ihipStream_tbDpT10_ENKUlT_T0_E_clISt17integral_constantIbLb1EES1E_IbLb0EEEEDaS1A_S1B_EUlS1A_E_NS1_11comp_targetILNS1_3genE8ELNS1_11target_archE1030ELNS1_3gpuE2ELNS1_3repE0EEENS1_30default_config_static_selectorELNS0_4arch9wavefront6targetE1EEEvT1_: ; @_ZN7rocprim17ROCPRIM_400000_NS6detail17trampoline_kernelINS0_14default_configENS1_25partition_config_selectorILNS1_17partition_subalgoE2ExNS0_10empty_typeEbEEZZNS1_14partition_implILS5_2ELb0ES3_jN6thrust23THRUST_200600_302600_NS6detail15normal_iteratorINSA_7pointerIxNSA_11hip_rocprim3tagENSA_11use_defaultESG_EEEEPS6_NSA_18transform_iteratorI7is_evenIxENSC_INSA_10device_ptrIxEEEESG_SG_EENS0_5tupleIJPxSJ_EEENSR_IJSJ_SJ_EEES6_PlJS6_EEE10hipError_tPvRmT3_T4_T5_T6_T7_T9_mT8_P12ihipStream_tbDpT10_ENKUlT_T0_E_clISt17integral_constantIbLb1EES1E_IbLb0EEEEDaS1A_S1B_EUlS1A_E_NS1_11comp_targetILNS1_3genE8ELNS1_11target_archE1030ELNS1_3gpuE2ELNS1_3repE0EEENS1_30default_config_static_selectorELNS0_4arch9wavefront6targetE1EEEvT1_
; %bb.0:
	.section	.rodata,"a",@progbits
	.p2align	6, 0x0
	.amdhsa_kernel _ZN7rocprim17ROCPRIM_400000_NS6detail17trampoline_kernelINS0_14default_configENS1_25partition_config_selectorILNS1_17partition_subalgoE2ExNS0_10empty_typeEbEEZZNS1_14partition_implILS5_2ELb0ES3_jN6thrust23THRUST_200600_302600_NS6detail15normal_iteratorINSA_7pointerIxNSA_11hip_rocprim3tagENSA_11use_defaultESG_EEEEPS6_NSA_18transform_iteratorI7is_evenIxENSC_INSA_10device_ptrIxEEEESG_SG_EENS0_5tupleIJPxSJ_EEENSR_IJSJ_SJ_EEES6_PlJS6_EEE10hipError_tPvRmT3_T4_T5_T6_T7_T9_mT8_P12ihipStream_tbDpT10_ENKUlT_T0_E_clISt17integral_constantIbLb1EES1E_IbLb0EEEEDaS1A_S1B_EUlS1A_E_NS1_11comp_targetILNS1_3genE8ELNS1_11target_archE1030ELNS1_3gpuE2ELNS1_3repE0EEENS1_30default_config_static_selectorELNS0_4arch9wavefront6targetE1EEEvT1_
		.amdhsa_group_segment_fixed_size 0
		.amdhsa_private_segment_fixed_size 0
		.amdhsa_kernarg_size 128
		.amdhsa_user_sgpr_count 6
		.amdhsa_user_sgpr_private_segment_buffer 1
		.amdhsa_user_sgpr_dispatch_ptr 0
		.amdhsa_user_sgpr_queue_ptr 0
		.amdhsa_user_sgpr_kernarg_segment_ptr 1
		.amdhsa_user_sgpr_dispatch_id 0
		.amdhsa_user_sgpr_flat_scratch_init 0
		.amdhsa_user_sgpr_kernarg_preload_length 0
		.amdhsa_user_sgpr_kernarg_preload_offset 0
		.amdhsa_user_sgpr_private_segment_size 0
		.amdhsa_uses_dynamic_stack 0
		.amdhsa_system_sgpr_private_segment_wavefront_offset 0
		.amdhsa_system_sgpr_workgroup_id_x 1
		.amdhsa_system_sgpr_workgroup_id_y 0
		.amdhsa_system_sgpr_workgroup_id_z 0
		.amdhsa_system_sgpr_workgroup_info 0
		.amdhsa_system_vgpr_workitem_id 0
		.amdhsa_next_free_vgpr 1
		.amdhsa_next_free_sgpr 0
		.amdhsa_accum_offset 4
		.amdhsa_reserve_vcc 0
		.amdhsa_reserve_flat_scratch 0
		.amdhsa_float_round_mode_32 0
		.amdhsa_float_round_mode_16_64 0
		.amdhsa_float_denorm_mode_32 3
		.amdhsa_float_denorm_mode_16_64 3
		.amdhsa_dx10_clamp 1
		.amdhsa_ieee_mode 1
		.amdhsa_fp16_overflow 0
		.amdhsa_tg_split 0
		.amdhsa_exception_fp_ieee_invalid_op 0
		.amdhsa_exception_fp_denorm_src 0
		.amdhsa_exception_fp_ieee_div_zero 0
		.amdhsa_exception_fp_ieee_overflow 0
		.amdhsa_exception_fp_ieee_underflow 0
		.amdhsa_exception_fp_ieee_inexact 0
		.amdhsa_exception_int_div_zero 0
	.end_amdhsa_kernel
	.section	.text._ZN7rocprim17ROCPRIM_400000_NS6detail17trampoline_kernelINS0_14default_configENS1_25partition_config_selectorILNS1_17partition_subalgoE2ExNS0_10empty_typeEbEEZZNS1_14partition_implILS5_2ELb0ES3_jN6thrust23THRUST_200600_302600_NS6detail15normal_iteratorINSA_7pointerIxNSA_11hip_rocprim3tagENSA_11use_defaultESG_EEEEPS6_NSA_18transform_iteratorI7is_evenIxENSC_INSA_10device_ptrIxEEEESG_SG_EENS0_5tupleIJPxSJ_EEENSR_IJSJ_SJ_EEES6_PlJS6_EEE10hipError_tPvRmT3_T4_T5_T6_T7_T9_mT8_P12ihipStream_tbDpT10_ENKUlT_T0_E_clISt17integral_constantIbLb1EES1E_IbLb0EEEEDaS1A_S1B_EUlS1A_E_NS1_11comp_targetILNS1_3genE8ELNS1_11target_archE1030ELNS1_3gpuE2ELNS1_3repE0EEENS1_30default_config_static_selectorELNS0_4arch9wavefront6targetE1EEEvT1_,"axG",@progbits,_ZN7rocprim17ROCPRIM_400000_NS6detail17trampoline_kernelINS0_14default_configENS1_25partition_config_selectorILNS1_17partition_subalgoE2ExNS0_10empty_typeEbEEZZNS1_14partition_implILS5_2ELb0ES3_jN6thrust23THRUST_200600_302600_NS6detail15normal_iteratorINSA_7pointerIxNSA_11hip_rocprim3tagENSA_11use_defaultESG_EEEEPS6_NSA_18transform_iteratorI7is_evenIxENSC_INSA_10device_ptrIxEEEESG_SG_EENS0_5tupleIJPxSJ_EEENSR_IJSJ_SJ_EEES6_PlJS6_EEE10hipError_tPvRmT3_T4_T5_T6_T7_T9_mT8_P12ihipStream_tbDpT10_ENKUlT_T0_E_clISt17integral_constantIbLb1EES1E_IbLb0EEEEDaS1A_S1B_EUlS1A_E_NS1_11comp_targetILNS1_3genE8ELNS1_11target_archE1030ELNS1_3gpuE2ELNS1_3repE0EEENS1_30default_config_static_selectorELNS0_4arch9wavefront6targetE1EEEvT1_,comdat
.Lfunc_end213:
	.size	_ZN7rocprim17ROCPRIM_400000_NS6detail17trampoline_kernelINS0_14default_configENS1_25partition_config_selectorILNS1_17partition_subalgoE2ExNS0_10empty_typeEbEEZZNS1_14partition_implILS5_2ELb0ES3_jN6thrust23THRUST_200600_302600_NS6detail15normal_iteratorINSA_7pointerIxNSA_11hip_rocprim3tagENSA_11use_defaultESG_EEEEPS6_NSA_18transform_iteratorI7is_evenIxENSC_INSA_10device_ptrIxEEEESG_SG_EENS0_5tupleIJPxSJ_EEENSR_IJSJ_SJ_EEES6_PlJS6_EEE10hipError_tPvRmT3_T4_T5_T6_T7_T9_mT8_P12ihipStream_tbDpT10_ENKUlT_T0_E_clISt17integral_constantIbLb1EES1E_IbLb0EEEEDaS1A_S1B_EUlS1A_E_NS1_11comp_targetILNS1_3genE8ELNS1_11target_archE1030ELNS1_3gpuE2ELNS1_3repE0EEENS1_30default_config_static_selectorELNS0_4arch9wavefront6targetE1EEEvT1_, .Lfunc_end213-_ZN7rocprim17ROCPRIM_400000_NS6detail17trampoline_kernelINS0_14default_configENS1_25partition_config_selectorILNS1_17partition_subalgoE2ExNS0_10empty_typeEbEEZZNS1_14partition_implILS5_2ELb0ES3_jN6thrust23THRUST_200600_302600_NS6detail15normal_iteratorINSA_7pointerIxNSA_11hip_rocprim3tagENSA_11use_defaultESG_EEEEPS6_NSA_18transform_iteratorI7is_evenIxENSC_INSA_10device_ptrIxEEEESG_SG_EENS0_5tupleIJPxSJ_EEENSR_IJSJ_SJ_EEES6_PlJS6_EEE10hipError_tPvRmT3_T4_T5_T6_T7_T9_mT8_P12ihipStream_tbDpT10_ENKUlT_T0_E_clISt17integral_constantIbLb1EES1E_IbLb0EEEEDaS1A_S1B_EUlS1A_E_NS1_11comp_targetILNS1_3genE8ELNS1_11target_archE1030ELNS1_3gpuE2ELNS1_3repE0EEENS1_30default_config_static_selectorELNS0_4arch9wavefront6targetE1EEEvT1_
                                        ; -- End function
	.section	.AMDGPU.csdata,"",@progbits
; Kernel info:
; codeLenInByte = 0
; NumSgprs: 4
; NumVgprs: 0
; NumAgprs: 0
; TotalNumVgprs: 0
; ScratchSize: 0
; MemoryBound: 0
; FloatMode: 240
; IeeeMode: 1
; LDSByteSize: 0 bytes/workgroup (compile time only)
; SGPRBlocks: 0
; VGPRBlocks: 0
; NumSGPRsForWavesPerEU: 4
; NumVGPRsForWavesPerEU: 1
; AccumOffset: 4
; Occupancy: 8
; WaveLimiterHint : 0
; COMPUTE_PGM_RSRC2:SCRATCH_EN: 0
; COMPUTE_PGM_RSRC2:USER_SGPR: 6
; COMPUTE_PGM_RSRC2:TRAP_HANDLER: 0
; COMPUTE_PGM_RSRC2:TGID_X_EN: 1
; COMPUTE_PGM_RSRC2:TGID_Y_EN: 0
; COMPUTE_PGM_RSRC2:TGID_Z_EN: 0
; COMPUTE_PGM_RSRC2:TIDIG_COMP_CNT: 0
; COMPUTE_PGM_RSRC3_GFX90A:ACCUM_OFFSET: 0
; COMPUTE_PGM_RSRC3_GFX90A:TG_SPLIT: 0
	.section	.text._ZN7rocprim17ROCPRIM_400000_NS6detail17trampoline_kernelINS0_14default_configENS1_25partition_config_selectorILNS1_17partition_subalgoE2ExNS0_10empty_typeEbEEZZNS1_14partition_implILS5_2ELb0ES3_jN6thrust23THRUST_200600_302600_NS6detail15normal_iteratorINSA_7pointerIxNSA_11hip_rocprim3tagENSA_11use_defaultESG_EEEEPS6_NSA_18transform_iteratorI7is_evenIxENSC_INSA_10device_ptrIxEEEESG_SG_EENS0_5tupleIJPxSJ_EEENSR_IJSJ_SJ_EEES6_PlJS6_EEE10hipError_tPvRmT3_T4_T5_T6_T7_T9_mT8_P12ihipStream_tbDpT10_ENKUlT_T0_E_clISt17integral_constantIbLb0EES1E_IbLb1EEEEDaS1A_S1B_EUlS1A_E_NS1_11comp_targetILNS1_3genE0ELNS1_11target_archE4294967295ELNS1_3gpuE0ELNS1_3repE0EEENS1_30default_config_static_selectorELNS0_4arch9wavefront6targetE1EEEvT1_,"axG",@progbits,_ZN7rocprim17ROCPRIM_400000_NS6detail17trampoline_kernelINS0_14default_configENS1_25partition_config_selectorILNS1_17partition_subalgoE2ExNS0_10empty_typeEbEEZZNS1_14partition_implILS5_2ELb0ES3_jN6thrust23THRUST_200600_302600_NS6detail15normal_iteratorINSA_7pointerIxNSA_11hip_rocprim3tagENSA_11use_defaultESG_EEEEPS6_NSA_18transform_iteratorI7is_evenIxENSC_INSA_10device_ptrIxEEEESG_SG_EENS0_5tupleIJPxSJ_EEENSR_IJSJ_SJ_EEES6_PlJS6_EEE10hipError_tPvRmT3_T4_T5_T6_T7_T9_mT8_P12ihipStream_tbDpT10_ENKUlT_T0_E_clISt17integral_constantIbLb0EES1E_IbLb1EEEEDaS1A_S1B_EUlS1A_E_NS1_11comp_targetILNS1_3genE0ELNS1_11target_archE4294967295ELNS1_3gpuE0ELNS1_3repE0EEENS1_30default_config_static_selectorELNS0_4arch9wavefront6targetE1EEEvT1_,comdat
	.protected	_ZN7rocprim17ROCPRIM_400000_NS6detail17trampoline_kernelINS0_14default_configENS1_25partition_config_selectorILNS1_17partition_subalgoE2ExNS0_10empty_typeEbEEZZNS1_14partition_implILS5_2ELb0ES3_jN6thrust23THRUST_200600_302600_NS6detail15normal_iteratorINSA_7pointerIxNSA_11hip_rocprim3tagENSA_11use_defaultESG_EEEEPS6_NSA_18transform_iteratorI7is_evenIxENSC_INSA_10device_ptrIxEEEESG_SG_EENS0_5tupleIJPxSJ_EEENSR_IJSJ_SJ_EEES6_PlJS6_EEE10hipError_tPvRmT3_T4_T5_T6_T7_T9_mT8_P12ihipStream_tbDpT10_ENKUlT_T0_E_clISt17integral_constantIbLb0EES1E_IbLb1EEEEDaS1A_S1B_EUlS1A_E_NS1_11comp_targetILNS1_3genE0ELNS1_11target_archE4294967295ELNS1_3gpuE0ELNS1_3repE0EEENS1_30default_config_static_selectorELNS0_4arch9wavefront6targetE1EEEvT1_ ; -- Begin function _ZN7rocprim17ROCPRIM_400000_NS6detail17trampoline_kernelINS0_14default_configENS1_25partition_config_selectorILNS1_17partition_subalgoE2ExNS0_10empty_typeEbEEZZNS1_14partition_implILS5_2ELb0ES3_jN6thrust23THRUST_200600_302600_NS6detail15normal_iteratorINSA_7pointerIxNSA_11hip_rocprim3tagENSA_11use_defaultESG_EEEEPS6_NSA_18transform_iteratorI7is_evenIxENSC_INSA_10device_ptrIxEEEESG_SG_EENS0_5tupleIJPxSJ_EEENSR_IJSJ_SJ_EEES6_PlJS6_EEE10hipError_tPvRmT3_T4_T5_T6_T7_T9_mT8_P12ihipStream_tbDpT10_ENKUlT_T0_E_clISt17integral_constantIbLb0EES1E_IbLb1EEEEDaS1A_S1B_EUlS1A_E_NS1_11comp_targetILNS1_3genE0ELNS1_11target_archE4294967295ELNS1_3gpuE0ELNS1_3repE0EEENS1_30default_config_static_selectorELNS0_4arch9wavefront6targetE1EEEvT1_
	.globl	_ZN7rocprim17ROCPRIM_400000_NS6detail17trampoline_kernelINS0_14default_configENS1_25partition_config_selectorILNS1_17partition_subalgoE2ExNS0_10empty_typeEbEEZZNS1_14partition_implILS5_2ELb0ES3_jN6thrust23THRUST_200600_302600_NS6detail15normal_iteratorINSA_7pointerIxNSA_11hip_rocprim3tagENSA_11use_defaultESG_EEEEPS6_NSA_18transform_iteratorI7is_evenIxENSC_INSA_10device_ptrIxEEEESG_SG_EENS0_5tupleIJPxSJ_EEENSR_IJSJ_SJ_EEES6_PlJS6_EEE10hipError_tPvRmT3_T4_T5_T6_T7_T9_mT8_P12ihipStream_tbDpT10_ENKUlT_T0_E_clISt17integral_constantIbLb0EES1E_IbLb1EEEEDaS1A_S1B_EUlS1A_E_NS1_11comp_targetILNS1_3genE0ELNS1_11target_archE4294967295ELNS1_3gpuE0ELNS1_3repE0EEENS1_30default_config_static_selectorELNS0_4arch9wavefront6targetE1EEEvT1_
	.p2align	8
	.type	_ZN7rocprim17ROCPRIM_400000_NS6detail17trampoline_kernelINS0_14default_configENS1_25partition_config_selectorILNS1_17partition_subalgoE2ExNS0_10empty_typeEbEEZZNS1_14partition_implILS5_2ELb0ES3_jN6thrust23THRUST_200600_302600_NS6detail15normal_iteratorINSA_7pointerIxNSA_11hip_rocprim3tagENSA_11use_defaultESG_EEEEPS6_NSA_18transform_iteratorI7is_evenIxENSC_INSA_10device_ptrIxEEEESG_SG_EENS0_5tupleIJPxSJ_EEENSR_IJSJ_SJ_EEES6_PlJS6_EEE10hipError_tPvRmT3_T4_T5_T6_T7_T9_mT8_P12ihipStream_tbDpT10_ENKUlT_T0_E_clISt17integral_constantIbLb0EES1E_IbLb1EEEEDaS1A_S1B_EUlS1A_E_NS1_11comp_targetILNS1_3genE0ELNS1_11target_archE4294967295ELNS1_3gpuE0ELNS1_3repE0EEENS1_30default_config_static_selectorELNS0_4arch9wavefront6targetE1EEEvT1_,@function
_ZN7rocprim17ROCPRIM_400000_NS6detail17trampoline_kernelINS0_14default_configENS1_25partition_config_selectorILNS1_17partition_subalgoE2ExNS0_10empty_typeEbEEZZNS1_14partition_implILS5_2ELb0ES3_jN6thrust23THRUST_200600_302600_NS6detail15normal_iteratorINSA_7pointerIxNSA_11hip_rocprim3tagENSA_11use_defaultESG_EEEEPS6_NSA_18transform_iteratorI7is_evenIxENSC_INSA_10device_ptrIxEEEESG_SG_EENS0_5tupleIJPxSJ_EEENSR_IJSJ_SJ_EEES6_PlJS6_EEE10hipError_tPvRmT3_T4_T5_T6_T7_T9_mT8_P12ihipStream_tbDpT10_ENKUlT_T0_E_clISt17integral_constantIbLb0EES1E_IbLb1EEEEDaS1A_S1B_EUlS1A_E_NS1_11comp_targetILNS1_3genE0ELNS1_11target_archE4294967295ELNS1_3gpuE0ELNS1_3repE0EEENS1_30default_config_static_selectorELNS0_4arch9wavefront6targetE1EEEvT1_: ; @_ZN7rocprim17ROCPRIM_400000_NS6detail17trampoline_kernelINS0_14default_configENS1_25partition_config_selectorILNS1_17partition_subalgoE2ExNS0_10empty_typeEbEEZZNS1_14partition_implILS5_2ELb0ES3_jN6thrust23THRUST_200600_302600_NS6detail15normal_iteratorINSA_7pointerIxNSA_11hip_rocprim3tagENSA_11use_defaultESG_EEEEPS6_NSA_18transform_iteratorI7is_evenIxENSC_INSA_10device_ptrIxEEEESG_SG_EENS0_5tupleIJPxSJ_EEENSR_IJSJ_SJ_EEES6_PlJS6_EEE10hipError_tPvRmT3_T4_T5_T6_T7_T9_mT8_P12ihipStream_tbDpT10_ENKUlT_T0_E_clISt17integral_constantIbLb0EES1E_IbLb1EEEEDaS1A_S1B_EUlS1A_E_NS1_11comp_targetILNS1_3genE0ELNS1_11target_archE4294967295ELNS1_3gpuE0ELNS1_3repE0EEENS1_30default_config_static_selectorELNS0_4arch9wavefront6targetE1EEEvT1_
; %bb.0:
	.section	.rodata,"a",@progbits
	.p2align	6, 0x0
	.amdhsa_kernel _ZN7rocprim17ROCPRIM_400000_NS6detail17trampoline_kernelINS0_14default_configENS1_25partition_config_selectorILNS1_17partition_subalgoE2ExNS0_10empty_typeEbEEZZNS1_14partition_implILS5_2ELb0ES3_jN6thrust23THRUST_200600_302600_NS6detail15normal_iteratorINSA_7pointerIxNSA_11hip_rocprim3tagENSA_11use_defaultESG_EEEEPS6_NSA_18transform_iteratorI7is_evenIxENSC_INSA_10device_ptrIxEEEESG_SG_EENS0_5tupleIJPxSJ_EEENSR_IJSJ_SJ_EEES6_PlJS6_EEE10hipError_tPvRmT3_T4_T5_T6_T7_T9_mT8_P12ihipStream_tbDpT10_ENKUlT_T0_E_clISt17integral_constantIbLb0EES1E_IbLb1EEEEDaS1A_S1B_EUlS1A_E_NS1_11comp_targetILNS1_3genE0ELNS1_11target_archE4294967295ELNS1_3gpuE0ELNS1_3repE0EEENS1_30default_config_static_selectorELNS0_4arch9wavefront6targetE1EEEvT1_
		.amdhsa_group_segment_fixed_size 0
		.amdhsa_private_segment_fixed_size 0
		.amdhsa_kernarg_size 144
		.amdhsa_user_sgpr_count 6
		.amdhsa_user_sgpr_private_segment_buffer 1
		.amdhsa_user_sgpr_dispatch_ptr 0
		.amdhsa_user_sgpr_queue_ptr 0
		.amdhsa_user_sgpr_kernarg_segment_ptr 1
		.amdhsa_user_sgpr_dispatch_id 0
		.amdhsa_user_sgpr_flat_scratch_init 0
		.amdhsa_user_sgpr_kernarg_preload_length 0
		.amdhsa_user_sgpr_kernarg_preload_offset 0
		.amdhsa_user_sgpr_private_segment_size 0
		.amdhsa_uses_dynamic_stack 0
		.amdhsa_system_sgpr_private_segment_wavefront_offset 0
		.amdhsa_system_sgpr_workgroup_id_x 1
		.amdhsa_system_sgpr_workgroup_id_y 0
		.amdhsa_system_sgpr_workgroup_id_z 0
		.amdhsa_system_sgpr_workgroup_info 0
		.amdhsa_system_vgpr_workitem_id 0
		.amdhsa_next_free_vgpr 1
		.amdhsa_next_free_sgpr 0
		.amdhsa_accum_offset 4
		.amdhsa_reserve_vcc 0
		.amdhsa_reserve_flat_scratch 0
		.amdhsa_float_round_mode_32 0
		.amdhsa_float_round_mode_16_64 0
		.amdhsa_float_denorm_mode_32 3
		.amdhsa_float_denorm_mode_16_64 3
		.amdhsa_dx10_clamp 1
		.amdhsa_ieee_mode 1
		.amdhsa_fp16_overflow 0
		.amdhsa_tg_split 0
		.amdhsa_exception_fp_ieee_invalid_op 0
		.amdhsa_exception_fp_denorm_src 0
		.amdhsa_exception_fp_ieee_div_zero 0
		.amdhsa_exception_fp_ieee_overflow 0
		.amdhsa_exception_fp_ieee_underflow 0
		.amdhsa_exception_fp_ieee_inexact 0
		.amdhsa_exception_int_div_zero 0
	.end_amdhsa_kernel
	.section	.text._ZN7rocprim17ROCPRIM_400000_NS6detail17trampoline_kernelINS0_14default_configENS1_25partition_config_selectorILNS1_17partition_subalgoE2ExNS0_10empty_typeEbEEZZNS1_14partition_implILS5_2ELb0ES3_jN6thrust23THRUST_200600_302600_NS6detail15normal_iteratorINSA_7pointerIxNSA_11hip_rocprim3tagENSA_11use_defaultESG_EEEEPS6_NSA_18transform_iteratorI7is_evenIxENSC_INSA_10device_ptrIxEEEESG_SG_EENS0_5tupleIJPxSJ_EEENSR_IJSJ_SJ_EEES6_PlJS6_EEE10hipError_tPvRmT3_T4_T5_T6_T7_T9_mT8_P12ihipStream_tbDpT10_ENKUlT_T0_E_clISt17integral_constantIbLb0EES1E_IbLb1EEEEDaS1A_S1B_EUlS1A_E_NS1_11comp_targetILNS1_3genE0ELNS1_11target_archE4294967295ELNS1_3gpuE0ELNS1_3repE0EEENS1_30default_config_static_selectorELNS0_4arch9wavefront6targetE1EEEvT1_,"axG",@progbits,_ZN7rocprim17ROCPRIM_400000_NS6detail17trampoline_kernelINS0_14default_configENS1_25partition_config_selectorILNS1_17partition_subalgoE2ExNS0_10empty_typeEbEEZZNS1_14partition_implILS5_2ELb0ES3_jN6thrust23THRUST_200600_302600_NS6detail15normal_iteratorINSA_7pointerIxNSA_11hip_rocprim3tagENSA_11use_defaultESG_EEEEPS6_NSA_18transform_iteratorI7is_evenIxENSC_INSA_10device_ptrIxEEEESG_SG_EENS0_5tupleIJPxSJ_EEENSR_IJSJ_SJ_EEES6_PlJS6_EEE10hipError_tPvRmT3_T4_T5_T6_T7_T9_mT8_P12ihipStream_tbDpT10_ENKUlT_T0_E_clISt17integral_constantIbLb0EES1E_IbLb1EEEEDaS1A_S1B_EUlS1A_E_NS1_11comp_targetILNS1_3genE0ELNS1_11target_archE4294967295ELNS1_3gpuE0ELNS1_3repE0EEENS1_30default_config_static_selectorELNS0_4arch9wavefront6targetE1EEEvT1_,comdat
.Lfunc_end214:
	.size	_ZN7rocprim17ROCPRIM_400000_NS6detail17trampoline_kernelINS0_14default_configENS1_25partition_config_selectorILNS1_17partition_subalgoE2ExNS0_10empty_typeEbEEZZNS1_14partition_implILS5_2ELb0ES3_jN6thrust23THRUST_200600_302600_NS6detail15normal_iteratorINSA_7pointerIxNSA_11hip_rocprim3tagENSA_11use_defaultESG_EEEEPS6_NSA_18transform_iteratorI7is_evenIxENSC_INSA_10device_ptrIxEEEESG_SG_EENS0_5tupleIJPxSJ_EEENSR_IJSJ_SJ_EEES6_PlJS6_EEE10hipError_tPvRmT3_T4_T5_T6_T7_T9_mT8_P12ihipStream_tbDpT10_ENKUlT_T0_E_clISt17integral_constantIbLb0EES1E_IbLb1EEEEDaS1A_S1B_EUlS1A_E_NS1_11comp_targetILNS1_3genE0ELNS1_11target_archE4294967295ELNS1_3gpuE0ELNS1_3repE0EEENS1_30default_config_static_selectorELNS0_4arch9wavefront6targetE1EEEvT1_, .Lfunc_end214-_ZN7rocprim17ROCPRIM_400000_NS6detail17trampoline_kernelINS0_14default_configENS1_25partition_config_selectorILNS1_17partition_subalgoE2ExNS0_10empty_typeEbEEZZNS1_14partition_implILS5_2ELb0ES3_jN6thrust23THRUST_200600_302600_NS6detail15normal_iteratorINSA_7pointerIxNSA_11hip_rocprim3tagENSA_11use_defaultESG_EEEEPS6_NSA_18transform_iteratorI7is_evenIxENSC_INSA_10device_ptrIxEEEESG_SG_EENS0_5tupleIJPxSJ_EEENSR_IJSJ_SJ_EEES6_PlJS6_EEE10hipError_tPvRmT3_T4_T5_T6_T7_T9_mT8_P12ihipStream_tbDpT10_ENKUlT_T0_E_clISt17integral_constantIbLb0EES1E_IbLb1EEEEDaS1A_S1B_EUlS1A_E_NS1_11comp_targetILNS1_3genE0ELNS1_11target_archE4294967295ELNS1_3gpuE0ELNS1_3repE0EEENS1_30default_config_static_selectorELNS0_4arch9wavefront6targetE1EEEvT1_
                                        ; -- End function
	.section	.AMDGPU.csdata,"",@progbits
; Kernel info:
; codeLenInByte = 0
; NumSgprs: 4
; NumVgprs: 0
; NumAgprs: 0
; TotalNumVgprs: 0
; ScratchSize: 0
; MemoryBound: 0
; FloatMode: 240
; IeeeMode: 1
; LDSByteSize: 0 bytes/workgroup (compile time only)
; SGPRBlocks: 0
; VGPRBlocks: 0
; NumSGPRsForWavesPerEU: 4
; NumVGPRsForWavesPerEU: 1
; AccumOffset: 4
; Occupancy: 8
; WaveLimiterHint : 0
; COMPUTE_PGM_RSRC2:SCRATCH_EN: 0
; COMPUTE_PGM_RSRC2:USER_SGPR: 6
; COMPUTE_PGM_RSRC2:TRAP_HANDLER: 0
; COMPUTE_PGM_RSRC2:TGID_X_EN: 1
; COMPUTE_PGM_RSRC2:TGID_Y_EN: 0
; COMPUTE_PGM_RSRC2:TGID_Z_EN: 0
; COMPUTE_PGM_RSRC2:TIDIG_COMP_CNT: 0
; COMPUTE_PGM_RSRC3_GFX90A:ACCUM_OFFSET: 0
; COMPUTE_PGM_RSRC3_GFX90A:TG_SPLIT: 0
	.section	.text._ZN7rocprim17ROCPRIM_400000_NS6detail17trampoline_kernelINS0_14default_configENS1_25partition_config_selectorILNS1_17partition_subalgoE2ExNS0_10empty_typeEbEEZZNS1_14partition_implILS5_2ELb0ES3_jN6thrust23THRUST_200600_302600_NS6detail15normal_iteratorINSA_7pointerIxNSA_11hip_rocprim3tagENSA_11use_defaultESG_EEEEPS6_NSA_18transform_iteratorI7is_evenIxENSC_INSA_10device_ptrIxEEEESG_SG_EENS0_5tupleIJPxSJ_EEENSR_IJSJ_SJ_EEES6_PlJS6_EEE10hipError_tPvRmT3_T4_T5_T6_T7_T9_mT8_P12ihipStream_tbDpT10_ENKUlT_T0_E_clISt17integral_constantIbLb0EES1E_IbLb1EEEEDaS1A_S1B_EUlS1A_E_NS1_11comp_targetILNS1_3genE5ELNS1_11target_archE942ELNS1_3gpuE9ELNS1_3repE0EEENS1_30default_config_static_selectorELNS0_4arch9wavefront6targetE1EEEvT1_,"axG",@progbits,_ZN7rocprim17ROCPRIM_400000_NS6detail17trampoline_kernelINS0_14default_configENS1_25partition_config_selectorILNS1_17partition_subalgoE2ExNS0_10empty_typeEbEEZZNS1_14partition_implILS5_2ELb0ES3_jN6thrust23THRUST_200600_302600_NS6detail15normal_iteratorINSA_7pointerIxNSA_11hip_rocprim3tagENSA_11use_defaultESG_EEEEPS6_NSA_18transform_iteratorI7is_evenIxENSC_INSA_10device_ptrIxEEEESG_SG_EENS0_5tupleIJPxSJ_EEENSR_IJSJ_SJ_EEES6_PlJS6_EEE10hipError_tPvRmT3_T4_T5_T6_T7_T9_mT8_P12ihipStream_tbDpT10_ENKUlT_T0_E_clISt17integral_constantIbLb0EES1E_IbLb1EEEEDaS1A_S1B_EUlS1A_E_NS1_11comp_targetILNS1_3genE5ELNS1_11target_archE942ELNS1_3gpuE9ELNS1_3repE0EEENS1_30default_config_static_selectorELNS0_4arch9wavefront6targetE1EEEvT1_,comdat
	.protected	_ZN7rocprim17ROCPRIM_400000_NS6detail17trampoline_kernelINS0_14default_configENS1_25partition_config_selectorILNS1_17partition_subalgoE2ExNS0_10empty_typeEbEEZZNS1_14partition_implILS5_2ELb0ES3_jN6thrust23THRUST_200600_302600_NS6detail15normal_iteratorINSA_7pointerIxNSA_11hip_rocprim3tagENSA_11use_defaultESG_EEEEPS6_NSA_18transform_iteratorI7is_evenIxENSC_INSA_10device_ptrIxEEEESG_SG_EENS0_5tupleIJPxSJ_EEENSR_IJSJ_SJ_EEES6_PlJS6_EEE10hipError_tPvRmT3_T4_T5_T6_T7_T9_mT8_P12ihipStream_tbDpT10_ENKUlT_T0_E_clISt17integral_constantIbLb0EES1E_IbLb1EEEEDaS1A_S1B_EUlS1A_E_NS1_11comp_targetILNS1_3genE5ELNS1_11target_archE942ELNS1_3gpuE9ELNS1_3repE0EEENS1_30default_config_static_selectorELNS0_4arch9wavefront6targetE1EEEvT1_ ; -- Begin function _ZN7rocprim17ROCPRIM_400000_NS6detail17trampoline_kernelINS0_14default_configENS1_25partition_config_selectorILNS1_17partition_subalgoE2ExNS0_10empty_typeEbEEZZNS1_14partition_implILS5_2ELb0ES3_jN6thrust23THRUST_200600_302600_NS6detail15normal_iteratorINSA_7pointerIxNSA_11hip_rocprim3tagENSA_11use_defaultESG_EEEEPS6_NSA_18transform_iteratorI7is_evenIxENSC_INSA_10device_ptrIxEEEESG_SG_EENS0_5tupleIJPxSJ_EEENSR_IJSJ_SJ_EEES6_PlJS6_EEE10hipError_tPvRmT3_T4_T5_T6_T7_T9_mT8_P12ihipStream_tbDpT10_ENKUlT_T0_E_clISt17integral_constantIbLb0EES1E_IbLb1EEEEDaS1A_S1B_EUlS1A_E_NS1_11comp_targetILNS1_3genE5ELNS1_11target_archE942ELNS1_3gpuE9ELNS1_3repE0EEENS1_30default_config_static_selectorELNS0_4arch9wavefront6targetE1EEEvT1_
	.globl	_ZN7rocprim17ROCPRIM_400000_NS6detail17trampoline_kernelINS0_14default_configENS1_25partition_config_selectorILNS1_17partition_subalgoE2ExNS0_10empty_typeEbEEZZNS1_14partition_implILS5_2ELb0ES3_jN6thrust23THRUST_200600_302600_NS6detail15normal_iteratorINSA_7pointerIxNSA_11hip_rocprim3tagENSA_11use_defaultESG_EEEEPS6_NSA_18transform_iteratorI7is_evenIxENSC_INSA_10device_ptrIxEEEESG_SG_EENS0_5tupleIJPxSJ_EEENSR_IJSJ_SJ_EEES6_PlJS6_EEE10hipError_tPvRmT3_T4_T5_T6_T7_T9_mT8_P12ihipStream_tbDpT10_ENKUlT_T0_E_clISt17integral_constantIbLb0EES1E_IbLb1EEEEDaS1A_S1B_EUlS1A_E_NS1_11comp_targetILNS1_3genE5ELNS1_11target_archE942ELNS1_3gpuE9ELNS1_3repE0EEENS1_30default_config_static_selectorELNS0_4arch9wavefront6targetE1EEEvT1_
	.p2align	8
	.type	_ZN7rocprim17ROCPRIM_400000_NS6detail17trampoline_kernelINS0_14default_configENS1_25partition_config_selectorILNS1_17partition_subalgoE2ExNS0_10empty_typeEbEEZZNS1_14partition_implILS5_2ELb0ES3_jN6thrust23THRUST_200600_302600_NS6detail15normal_iteratorINSA_7pointerIxNSA_11hip_rocprim3tagENSA_11use_defaultESG_EEEEPS6_NSA_18transform_iteratorI7is_evenIxENSC_INSA_10device_ptrIxEEEESG_SG_EENS0_5tupleIJPxSJ_EEENSR_IJSJ_SJ_EEES6_PlJS6_EEE10hipError_tPvRmT3_T4_T5_T6_T7_T9_mT8_P12ihipStream_tbDpT10_ENKUlT_T0_E_clISt17integral_constantIbLb0EES1E_IbLb1EEEEDaS1A_S1B_EUlS1A_E_NS1_11comp_targetILNS1_3genE5ELNS1_11target_archE942ELNS1_3gpuE9ELNS1_3repE0EEENS1_30default_config_static_selectorELNS0_4arch9wavefront6targetE1EEEvT1_,@function
_ZN7rocprim17ROCPRIM_400000_NS6detail17trampoline_kernelINS0_14default_configENS1_25partition_config_selectorILNS1_17partition_subalgoE2ExNS0_10empty_typeEbEEZZNS1_14partition_implILS5_2ELb0ES3_jN6thrust23THRUST_200600_302600_NS6detail15normal_iteratorINSA_7pointerIxNSA_11hip_rocprim3tagENSA_11use_defaultESG_EEEEPS6_NSA_18transform_iteratorI7is_evenIxENSC_INSA_10device_ptrIxEEEESG_SG_EENS0_5tupleIJPxSJ_EEENSR_IJSJ_SJ_EEES6_PlJS6_EEE10hipError_tPvRmT3_T4_T5_T6_T7_T9_mT8_P12ihipStream_tbDpT10_ENKUlT_T0_E_clISt17integral_constantIbLb0EES1E_IbLb1EEEEDaS1A_S1B_EUlS1A_E_NS1_11comp_targetILNS1_3genE5ELNS1_11target_archE942ELNS1_3gpuE9ELNS1_3repE0EEENS1_30default_config_static_selectorELNS0_4arch9wavefront6targetE1EEEvT1_: ; @_ZN7rocprim17ROCPRIM_400000_NS6detail17trampoline_kernelINS0_14default_configENS1_25partition_config_selectorILNS1_17partition_subalgoE2ExNS0_10empty_typeEbEEZZNS1_14partition_implILS5_2ELb0ES3_jN6thrust23THRUST_200600_302600_NS6detail15normal_iteratorINSA_7pointerIxNSA_11hip_rocprim3tagENSA_11use_defaultESG_EEEEPS6_NSA_18transform_iteratorI7is_evenIxENSC_INSA_10device_ptrIxEEEESG_SG_EENS0_5tupleIJPxSJ_EEENSR_IJSJ_SJ_EEES6_PlJS6_EEE10hipError_tPvRmT3_T4_T5_T6_T7_T9_mT8_P12ihipStream_tbDpT10_ENKUlT_T0_E_clISt17integral_constantIbLb0EES1E_IbLb1EEEEDaS1A_S1B_EUlS1A_E_NS1_11comp_targetILNS1_3genE5ELNS1_11target_archE942ELNS1_3gpuE9ELNS1_3repE0EEENS1_30default_config_static_selectorELNS0_4arch9wavefront6targetE1EEEvT1_
; %bb.0:
	.section	.rodata,"a",@progbits
	.p2align	6, 0x0
	.amdhsa_kernel _ZN7rocprim17ROCPRIM_400000_NS6detail17trampoline_kernelINS0_14default_configENS1_25partition_config_selectorILNS1_17partition_subalgoE2ExNS0_10empty_typeEbEEZZNS1_14partition_implILS5_2ELb0ES3_jN6thrust23THRUST_200600_302600_NS6detail15normal_iteratorINSA_7pointerIxNSA_11hip_rocprim3tagENSA_11use_defaultESG_EEEEPS6_NSA_18transform_iteratorI7is_evenIxENSC_INSA_10device_ptrIxEEEESG_SG_EENS0_5tupleIJPxSJ_EEENSR_IJSJ_SJ_EEES6_PlJS6_EEE10hipError_tPvRmT3_T4_T5_T6_T7_T9_mT8_P12ihipStream_tbDpT10_ENKUlT_T0_E_clISt17integral_constantIbLb0EES1E_IbLb1EEEEDaS1A_S1B_EUlS1A_E_NS1_11comp_targetILNS1_3genE5ELNS1_11target_archE942ELNS1_3gpuE9ELNS1_3repE0EEENS1_30default_config_static_selectorELNS0_4arch9wavefront6targetE1EEEvT1_
		.amdhsa_group_segment_fixed_size 0
		.amdhsa_private_segment_fixed_size 0
		.amdhsa_kernarg_size 144
		.amdhsa_user_sgpr_count 6
		.amdhsa_user_sgpr_private_segment_buffer 1
		.amdhsa_user_sgpr_dispatch_ptr 0
		.amdhsa_user_sgpr_queue_ptr 0
		.amdhsa_user_sgpr_kernarg_segment_ptr 1
		.amdhsa_user_sgpr_dispatch_id 0
		.amdhsa_user_sgpr_flat_scratch_init 0
		.amdhsa_user_sgpr_kernarg_preload_length 0
		.amdhsa_user_sgpr_kernarg_preload_offset 0
		.amdhsa_user_sgpr_private_segment_size 0
		.amdhsa_uses_dynamic_stack 0
		.amdhsa_system_sgpr_private_segment_wavefront_offset 0
		.amdhsa_system_sgpr_workgroup_id_x 1
		.amdhsa_system_sgpr_workgroup_id_y 0
		.amdhsa_system_sgpr_workgroup_id_z 0
		.amdhsa_system_sgpr_workgroup_info 0
		.amdhsa_system_vgpr_workitem_id 0
		.amdhsa_next_free_vgpr 1
		.amdhsa_next_free_sgpr 0
		.amdhsa_accum_offset 4
		.amdhsa_reserve_vcc 0
		.amdhsa_reserve_flat_scratch 0
		.amdhsa_float_round_mode_32 0
		.amdhsa_float_round_mode_16_64 0
		.amdhsa_float_denorm_mode_32 3
		.amdhsa_float_denorm_mode_16_64 3
		.amdhsa_dx10_clamp 1
		.amdhsa_ieee_mode 1
		.amdhsa_fp16_overflow 0
		.amdhsa_tg_split 0
		.amdhsa_exception_fp_ieee_invalid_op 0
		.amdhsa_exception_fp_denorm_src 0
		.amdhsa_exception_fp_ieee_div_zero 0
		.amdhsa_exception_fp_ieee_overflow 0
		.amdhsa_exception_fp_ieee_underflow 0
		.amdhsa_exception_fp_ieee_inexact 0
		.amdhsa_exception_int_div_zero 0
	.end_amdhsa_kernel
	.section	.text._ZN7rocprim17ROCPRIM_400000_NS6detail17trampoline_kernelINS0_14default_configENS1_25partition_config_selectorILNS1_17partition_subalgoE2ExNS0_10empty_typeEbEEZZNS1_14partition_implILS5_2ELb0ES3_jN6thrust23THRUST_200600_302600_NS6detail15normal_iteratorINSA_7pointerIxNSA_11hip_rocprim3tagENSA_11use_defaultESG_EEEEPS6_NSA_18transform_iteratorI7is_evenIxENSC_INSA_10device_ptrIxEEEESG_SG_EENS0_5tupleIJPxSJ_EEENSR_IJSJ_SJ_EEES6_PlJS6_EEE10hipError_tPvRmT3_T4_T5_T6_T7_T9_mT8_P12ihipStream_tbDpT10_ENKUlT_T0_E_clISt17integral_constantIbLb0EES1E_IbLb1EEEEDaS1A_S1B_EUlS1A_E_NS1_11comp_targetILNS1_3genE5ELNS1_11target_archE942ELNS1_3gpuE9ELNS1_3repE0EEENS1_30default_config_static_selectorELNS0_4arch9wavefront6targetE1EEEvT1_,"axG",@progbits,_ZN7rocprim17ROCPRIM_400000_NS6detail17trampoline_kernelINS0_14default_configENS1_25partition_config_selectorILNS1_17partition_subalgoE2ExNS0_10empty_typeEbEEZZNS1_14partition_implILS5_2ELb0ES3_jN6thrust23THRUST_200600_302600_NS6detail15normal_iteratorINSA_7pointerIxNSA_11hip_rocprim3tagENSA_11use_defaultESG_EEEEPS6_NSA_18transform_iteratorI7is_evenIxENSC_INSA_10device_ptrIxEEEESG_SG_EENS0_5tupleIJPxSJ_EEENSR_IJSJ_SJ_EEES6_PlJS6_EEE10hipError_tPvRmT3_T4_T5_T6_T7_T9_mT8_P12ihipStream_tbDpT10_ENKUlT_T0_E_clISt17integral_constantIbLb0EES1E_IbLb1EEEEDaS1A_S1B_EUlS1A_E_NS1_11comp_targetILNS1_3genE5ELNS1_11target_archE942ELNS1_3gpuE9ELNS1_3repE0EEENS1_30default_config_static_selectorELNS0_4arch9wavefront6targetE1EEEvT1_,comdat
.Lfunc_end215:
	.size	_ZN7rocprim17ROCPRIM_400000_NS6detail17trampoline_kernelINS0_14default_configENS1_25partition_config_selectorILNS1_17partition_subalgoE2ExNS0_10empty_typeEbEEZZNS1_14partition_implILS5_2ELb0ES3_jN6thrust23THRUST_200600_302600_NS6detail15normal_iteratorINSA_7pointerIxNSA_11hip_rocprim3tagENSA_11use_defaultESG_EEEEPS6_NSA_18transform_iteratorI7is_evenIxENSC_INSA_10device_ptrIxEEEESG_SG_EENS0_5tupleIJPxSJ_EEENSR_IJSJ_SJ_EEES6_PlJS6_EEE10hipError_tPvRmT3_T4_T5_T6_T7_T9_mT8_P12ihipStream_tbDpT10_ENKUlT_T0_E_clISt17integral_constantIbLb0EES1E_IbLb1EEEEDaS1A_S1B_EUlS1A_E_NS1_11comp_targetILNS1_3genE5ELNS1_11target_archE942ELNS1_3gpuE9ELNS1_3repE0EEENS1_30default_config_static_selectorELNS0_4arch9wavefront6targetE1EEEvT1_, .Lfunc_end215-_ZN7rocprim17ROCPRIM_400000_NS6detail17trampoline_kernelINS0_14default_configENS1_25partition_config_selectorILNS1_17partition_subalgoE2ExNS0_10empty_typeEbEEZZNS1_14partition_implILS5_2ELb0ES3_jN6thrust23THRUST_200600_302600_NS6detail15normal_iteratorINSA_7pointerIxNSA_11hip_rocprim3tagENSA_11use_defaultESG_EEEEPS6_NSA_18transform_iteratorI7is_evenIxENSC_INSA_10device_ptrIxEEEESG_SG_EENS0_5tupleIJPxSJ_EEENSR_IJSJ_SJ_EEES6_PlJS6_EEE10hipError_tPvRmT3_T4_T5_T6_T7_T9_mT8_P12ihipStream_tbDpT10_ENKUlT_T0_E_clISt17integral_constantIbLb0EES1E_IbLb1EEEEDaS1A_S1B_EUlS1A_E_NS1_11comp_targetILNS1_3genE5ELNS1_11target_archE942ELNS1_3gpuE9ELNS1_3repE0EEENS1_30default_config_static_selectorELNS0_4arch9wavefront6targetE1EEEvT1_
                                        ; -- End function
	.section	.AMDGPU.csdata,"",@progbits
; Kernel info:
; codeLenInByte = 0
; NumSgprs: 4
; NumVgprs: 0
; NumAgprs: 0
; TotalNumVgprs: 0
; ScratchSize: 0
; MemoryBound: 0
; FloatMode: 240
; IeeeMode: 1
; LDSByteSize: 0 bytes/workgroup (compile time only)
; SGPRBlocks: 0
; VGPRBlocks: 0
; NumSGPRsForWavesPerEU: 4
; NumVGPRsForWavesPerEU: 1
; AccumOffset: 4
; Occupancy: 8
; WaveLimiterHint : 0
; COMPUTE_PGM_RSRC2:SCRATCH_EN: 0
; COMPUTE_PGM_RSRC2:USER_SGPR: 6
; COMPUTE_PGM_RSRC2:TRAP_HANDLER: 0
; COMPUTE_PGM_RSRC2:TGID_X_EN: 1
; COMPUTE_PGM_RSRC2:TGID_Y_EN: 0
; COMPUTE_PGM_RSRC2:TGID_Z_EN: 0
; COMPUTE_PGM_RSRC2:TIDIG_COMP_CNT: 0
; COMPUTE_PGM_RSRC3_GFX90A:ACCUM_OFFSET: 0
; COMPUTE_PGM_RSRC3_GFX90A:TG_SPLIT: 0
	.section	.text._ZN7rocprim17ROCPRIM_400000_NS6detail17trampoline_kernelINS0_14default_configENS1_25partition_config_selectorILNS1_17partition_subalgoE2ExNS0_10empty_typeEbEEZZNS1_14partition_implILS5_2ELb0ES3_jN6thrust23THRUST_200600_302600_NS6detail15normal_iteratorINSA_7pointerIxNSA_11hip_rocprim3tagENSA_11use_defaultESG_EEEEPS6_NSA_18transform_iteratorI7is_evenIxENSC_INSA_10device_ptrIxEEEESG_SG_EENS0_5tupleIJPxSJ_EEENSR_IJSJ_SJ_EEES6_PlJS6_EEE10hipError_tPvRmT3_T4_T5_T6_T7_T9_mT8_P12ihipStream_tbDpT10_ENKUlT_T0_E_clISt17integral_constantIbLb0EES1E_IbLb1EEEEDaS1A_S1B_EUlS1A_E_NS1_11comp_targetILNS1_3genE4ELNS1_11target_archE910ELNS1_3gpuE8ELNS1_3repE0EEENS1_30default_config_static_selectorELNS0_4arch9wavefront6targetE1EEEvT1_,"axG",@progbits,_ZN7rocprim17ROCPRIM_400000_NS6detail17trampoline_kernelINS0_14default_configENS1_25partition_config_selectorILNS1_17partition_subalgoE2ExNS0_10empty_typeEbEEZZNS1_14partition_implILS5_2ELb0ES3_jN6thrust23THRUST_200600_302600_NS6detail15normal_iteratorINSA_7pointerIxNSA_11hip_rocprim3tagENSA_11use_defaultESG_EEEEPS6_NSA_18transform_iteratorI7is_evenIxENSC_INSA_10device_ptrIxEEEESG_SG_EENS0_5tupleIJPxSJ_EEENSR_IJSJ_SJ_EEES6_PlJS6_EEE10hipError_tPvRmT3_T4_T5_T6_T7_T9_mT8_P12ihipStream_tbDpT10_ENKUlT_T0_E_clISt17integral_constantIbLb0EES1E_IbLb1EEEEDaS1A_S1B_EUlS1A_E_NS1_11comp_targetILNS1_3genE4ELNS1_11target_archE910ELNS1_3gpuE8ELNS1_3repE0EEENS1_30default_config_static_selectorELNS0_4arch9wavefront6targetE1EEEvT1_,comdat
	.protected	_ZN7rocprim17ROCPRIM_400000_NS6detail17trampoline_kernelINS0_14default_configENS1_25partition_config_selectorILNS1_17partition_subalgoE2ExNS0_10empty_typeEbEEZZNS1_14partition_implILS5_2ELb0ES3_jN6thrust23THRUST_200600_302600_NS6detail15normal_iteratorINSA_7pointerIxNSA_11hip_rocprim3tagENSA_11use_defaultESG_EEEEPS6_NSA_18transform_iteratorI7is_evenIxENSC_INSA_10device_ptrIxEEEESG_SG_EENS0_5tupleIJPxSJ_EEENSR_IJSJ_SJ_EEES6_PlJS6_EEE10hipError_tPvRmT3_T4_T5_T6_T7_T9_mT8_P12ihipStream_tbDpT10_ENKUlT_T0_E_clISt17integral_constantIbLb0EES1E_IbLb1EEEEDaS1A_S1B_EUlS1A_E_NS1_11comp_targetILNS1_3genE4ELNS1_11target_archE910ELNS1_3gpuE8ELNS1_3repE0EEENS1_30default_config_static_selectorELNS0_4arch9wavefront6targetE1EEEvT1_ ; -- Begin function _ZN7rocprim17ROCPRIM_400000_NS6detail17trampoline_kernelINS0_14default_configENS1_25partition_config_selectorILNS1_17partition_subalgoE2ExNS0_10empty_typeEbEEZZNS1_14partition_implILS5_2ELb0ES3_jN6thrust23THRUST_200600_302600_NS6detail15normal_iteratorINSA_7pointerIxNSA_11hip_rocprim3tagENSA_11use_defaultESG_EEEEPS6_NSA_18transform_iteratorI7is_evenIxENSC_INSA_10device_ptrIxEEEESG_SG_EENS0_5tupleIJPxSJ_EEENSR_IJSJ_SJ_EEES6_PlJS6_EEE10hipError_tPvRmT3_T4_T5_T6_T7_T9_mT8_P12ihipStream_tbDpT10_ENKUlT_T0_E_clISt17integral_constantIbLb0EES1E_IbLb1EEEEDaS1A_S1B_EUlS1A_E_NS1_11comp_targetILNS1_3genE4ELNS1_11target_archE910ELNS1_3gpuE8ELNS1_3repE0EEENS1_30default_config_static_selectorELNS0_4arch9wavefront6targetE1EEEvT1_
	.globl	_ZN7rocprim17ROCPRIM_400000_NS6detail17trampoline_kernelINS0_14default_configENS1_25partition_config_selectorILNS1_17partition_subalgoE2ExNS0_10empty_typeEbEEZZNS1_14partition_implILS5_2ELb0ES3_jN6thrust23THRUST_200600_302600_NS6detail15normal_iteratorINSA_7pointerIxNSA_11hip_rocprim3tagENSA_11use_defaultESG_EEEEPS6_NSA_18transform_iteratorI7is_evenIxENSC_INSA_10device_ptrIxEEEESG_SG_EENS0_5tupleIJPxSJ_EEENSR_IJSJ_SJ_EEES6_PlJS6_EEE10hipError_tPvRmT3_T4_T5_T6_T7_T9_mT8_P12ihipStream_tbDpT10_ENKUlT_T0_E_clISt17integral_constantIbLb0EES1E_IbLb1EEEEDaS1A_S1B_EUlS1A_E_NS1_11comp_targetILNS1_3genE4ELNS1_11target_archE910ELNS1_3gpuE8ELNS1_3repE0EEENS1_30default_config_static_selectorELNS0_4arch9wavefront6targetE1EEEvT1_
	.p2align	8
	.type	_ZN7rocprim17ROCPRIM_400000_NS6detail17trampoline_kernelINS0_14default_configENS1_25partition_config_selectorILNS1_17partition_subalgoE2ExNS0_10empty_typeEbEEZZNS1_14partition_implILS5_2ELb0ES3_jN6thrust23THRUST_200600_302600_NS6detail15normal_iteratorINSA_7pointerIxNSA_11hip_rocprim3tagENSA_11use_defaultESG_EEEEPS6_NSA_18transform_iteratorI7is_evenIxENSC_INSA_10device_ptrIxEEEESG_SG_EENS0_5tupleIJPxSJ_EEENSR_IJSJ_SJ_EEES6_PlJS6_EEE10hipError_tPvRmT3_T4_T5_T6_T7_T9_mT8_P12ihipStream_tbDpT10_ENKUlT_T0_E_clISt17integral_constantIbLb0EES1E_IbLb1EEEEDaS1A_S1B_EUlS1A_E_NS1_11comp_targetILNS1_3genE4ELNS1_11target_archE910ELNS1_3gpuE8ELNS1_3repE0EEENS1_30default_config_static_selectorELNS0_4arch9wavefront6targetE1EEEvT1_,@function
_ZN7rocprim17ROCPRIM_400000_NS6detail17trampoline_kernelINS0_14default_configENS1_25partition_config_selectorILNS1_17partition_subalgoE2ExNS0_10empty_typeEbEEZZNS1_14partition_implILS5_2ELb0ES3_jN6thrust23THRUST_200600_302600_NS6detail15normal_iteratorINSA_7pointerIxNSA_11hip_rocprim3tagENSA_11use_defaultESG_EEEEPS6_NSA_18transform_iteratorI7is_evenIxENSC_INSA_10device_ptrIxEEEESG_SG_EENS0_5tupleIJPxSJ_EEENSR_IJSJ_SJ_EEES6_PlJS6_EEE10hipError_tPvRmT3_T4_T5_T6_T7_T9_mT8_P12ihipStream_tbDpT10_ENKUlT_T0_E_clISt17integral_constantIbLb0EES1E_IbLb1EEEEDaS1A_S1B_EUlS1A_E_NS1_11comp_targetILNS1_3genE4ELNS1_11target_archE910ELNS1_3gpuE8ELNS1_3repE0EEENS1_30default_config_static_selectorELNS0_4arch9wavefront6targetE1EEEvT1_: ; @_ZN7rocprim17ROCPRIM_400000_NS6detail17trampoline_kernelINS0_14default_configENS1_25partition_config_selectorILNS1_17partition_subalgoE2ExNS0_10empty_typeEbEEZZNS1_14partition_implILS5_2ELb0ES3_jN6thrust23THRUST_200600_302600_NS6detail15normal_iteratorINSA_7pointerIxNSA_11hip_rocprim3tagENSA_11use_defaultESG_EEEEPS6_NSA_18transform_iteratorI7is_evenIxENSC_INSA_10device_ptrIxEEEESG_SG_EENS0_5tupleIJPxSJ_EEENSR_IJSJ_SJ_EEES6_PlJS6_EEE10hipError_tPvRmT3_T4_T5_T6_T7_T9_mT8_P12ihipStream_tbDpT10_ENKUlT_T0_E_clISt17integral_constantIbLb0EES1E_IbLb1EEEEDaS1A_S1B_EUlS1A_E_NS1_11comp_targetILNS1_3genE4ELNS1_11target_archE910ELNS1_3gpuE8ELNS1_3repE0EEENS1_30default_config_static_selectorELNS0_4arch9wavefront6targetE1EEEvT1_
; %bb.0:
	s_load_dwordx2 s[6:7], s[4:5], 0x20
	s_load_dwordx2 s[24:25], s[4:5], 0x30
	;; [unrolled: 1-line block ×3, first 2 shown]
	s_load_dwordx4 s[20:23], s[4:5], 0x50
	s_load_dwordx2 s[34:35], s[4:5], 0x70
	v_cmp_eq_u32_e64 s[0:1], 0, v0
	s_and_saveexec_b64 s[2:3], s[0:1]
	s_cbranch_execz .LBB216_4
; %bb.1:
	s_mov_b64 s[10:11], exec
	v_mbcnt_lo_u32_b32 v1, s10, 0
	v_mbcnt_hi_u32_b32 v1, s11, v1
	v_cmp_eq_u32_e32 vcc, 0, v1
                                        ; implicit-def: $vgpr2
	s_and_saveexec_b64 s[8:9], vcc
	s_cbranch_execz .LBB216_3
; %bb.2:
	s_load_dwordx2 s[12:13], s[4:5], 0x80
	s_bcnt1_i32_b64 s10, s[10:11]
	v_mov_b32_e32 v2, 0
	v_mov_b32_e32 v3, s10
	s_waitcnt lgkmcnt(0)
	global_atomic_add v2, v2, v3, s[12:13] glc
.LBB216_3:
	s_or_b64 exec, exec, s[8:9]
	s_waitcnt vmcnt(0)
	v_readfirstlane_b32 s8, v2
	v_add_u32_e32 v1, s8, v1
	v_mov_b32_e32 v2, 0
	ds_write_b32 v2, v1
.LBB216_4:
	s_or_b64 exec, exec, s[2:3]
	v_mov_b32_e32 v1, 0
	s_load_dwordx4 s[16:19], s[4:5], 0x8
	s_load_dword s2, s[4:5], 0x78
	s_waitcnt lgkmcnt(0)
	s_barrier
	ds_read_b32 v2, v1
	s_waitcnt lgkmcnt(0)
	s_barrier
	global_load_dwordx2 v[10:11], v1, s[22:23]
	s_lshl_b64 s[4:5], s[18:19], 3
	s_add_u32 s10, s16, s4
	s_addc_u32 s11, s17, s5
	s_add_i32 s8, s2, -1
	s_mulk_i32 s2, 0x300
	s_add_i32 s3, s2, s18
	s_sub_i32 s33, s26, s3
	s_addk_i32 s33, 0x300
	s_add_u32 s2, s18, s2
	v_readfirstlane_b32 s42, v2
	s_addc_u32 s3, s19, 0
	s_cmp_eq_u32 s42, s8
	v_pk_mov_b32 v[2:3], s[26:27], s[26:27] op_sel:[0,1]
	s_cselect_b64 s[22:23], -1, 0
	s_cmp_lg_u32 s42, s8
	s_mul_i32 s28, s42, 0x300
	s_mov_b32 s29, 0
	v_cmp_lt_u64_e32 vcc, s[2:3], v[2:3]
	s_cselect_b64 s[2:3], -1, 0
	s_or_b64 s[30:31], vcc, s[2:3]
	s_lshl_b64 s[8:9], s[28:29], 3
	s_add_u32 s12, s10, s8
	s_addc_u32 s13, s11, s9
	s_mov_b64 s[2:3], -1
	s_and_b64 vcc, exec, s[30:31]
	v_lshlrev_b32_e32 v1, 3, v0
	v_lshrrev_b32_e32 v12, 2, v0
	s_cbranch_vccz .LBB216_6
; %bb.5:
	v_mov_b32_e32 v3, s13
	v_add_co_u32_e32 v2, vcc, s12, v1
	v_addc_co_u32_e32 v3, vcc, 0, v3, vcc
	v_add_co_u32_e32 v4, vcc, 0x1000, v2
	v_addc_co_u32_e32 v5, vcc, 0, v3, vcc
	flat_load_dwordx2 v[6:7], v[2:3]
	flat_load_dwordx2 v[8:9], v[2:3] offset:1536
	flat_load_dwordx2 v[14:15], v[2:3] offset:3072
	;; [unrolled: 1-line block ×3, first 2 shown]
	v_add_u32_e32 v3, 0xc0, v0
	v_add_u32_e32 v4, 0x180, v0
	;; [unrolled: 1-line block ×3, first 2 shown]
	v_and_b32_e32 v2, 56, v12
	v_lshrrev_b32_e32 v3, 2, v3
	v_lshrrev_b32_e32 v4, 2, v4
	;; [unrolled: 1-line block ×3, first 2 shown]
	v_add_u32_e32 v2, v2, v1
	v_and_b32_e32 v3, 0x78, v3
	v_and_b32_e32 v4, 0xf8, v4
	;; [unrolled: 1-line block ×3, first 2 shown]
	v_add_u32_e32 v3, v3, v1
	v_add_u32_e32 v4, v4, v1
	;; [unrolled: 1-line block ×3, first 2 shown]
	s_mov_b64 s[2:3], 0
	s_waitcnt vmcnt(0) lgkmcnt(0)
	ds_write_b64 v2, v[6:7]
	ds_write_b64 v3, v[8:9] offset:1536
	ds_write_b64 v4, v[14:15] offset:3072
	ds_write_b64 v5, v[16:17] offset:4608
	s_waitcnt lgkmcnt(0)
	s_barrier
.LBB216_6:
	s_andn2_b64 vcc, exec, s[2:3]
	v_cmp_gt_u32_e64 s[2:3], s33, v0
	s_cbranch_vccnz .LBB216_16
; %bb.7:
                                        ; implicit-def: $vgpr2_vgpr3_vgpr4_vgpr5_vgpr6_vgpr7_vgpr8_vgpr9
	s_and_saveexec_b64 s[10:11], s[2:3]
	s_cbranch_execz .LBB216_9
; %bb.8:
	v_mov_b32_e32 v3, s13
	v_add_co_u32_e32 v2, vcc, s12, v1
	v_addc_co_u32_e32 v3, vcc, 0, v3, vcc
	flat_load_dwordx2 v[2:3], v[2:3]
.LBB216_9:
	s_or_b64 exec, exec, s[10:11]
	v_add_u32_e32 v13, 0xc0, v0
	v_cmp_gt_u32_e32 vcc, s33, v13
	s_and_saveexec_b64 s[2:3], vcc
	s_cbranch_execz .LBB216_11
; %bb.10:
	v_mov_b32_e32 v5, s13
	v_add_co_u32_e32 v4, vcc, s12, v1
	v_addc_co_u32_e32 v5, vcc, 0, v5, vcc
	flat_load_dwordx2 v[4:5], v[4:5] offset:1536
.LBB216_11:
	s_or_b64 exec, exec, s[2:3]
	v_add_u32_e32 v14, 0x180, v0
	v_cmp_gt_u32_e32 vcc, s33, v14
	s_and_saveexec_b64 s[2:3], vcc
	s_cbranch_execz .LBB216_13
; %bb.12:
	v_mov_b32_e32 v7, s13
	v_add_co_u32_e32 v6, vcc, s12, v1
	v_addc_co_u32_e32 v7, vcc, 0, v7, vcc
	flat_load_dwordx2 v[6:7], v[6:7] offset:3072
.LBB216_13:
	s_or_b64 exec, exec, s[2:3]
	v_add_u32_e32 v15, 0x240, v0
	v_cmp_gt_u32_e32 vcc, s33, v15
	s_and_saveexec_b64 s[2:3], vcc
	s_cbranch_execz .LBB216_15
; %bb.14:
	v_lshlrev_b32_e32 v8, 3, v15
	v_mov_b32_e32 v9, s13
	v_add_co_u32_e32 v8, vcc, s12, v8
	v_addc_co_u32_e32 v9, vcc, 0, v9, vcc
	flat_load_dwordx2 v[8:9], v[8:9]
.LBB216_15:
	s_or_b64 exec, exec, s[2:3]
	v_and_b32_e32 v12, 56, v12
	v_add_u32_e32 v12, v12, v1
	s_waitcnt vmcnt(0) lgkmcnt(0)
	ds_write_b64 v12, v[2:3]
	v_lshrrev_b32_e32 v2, 2, v13
	v_and_b32_e32 v2, 0x78, v2
	v_add_u32_e32 v2, v2, v1
	ds_write_b64 v2, v[4:5] offset:1536
	v_lshrrev_b32_e32 v2, 2, v14
	v_and_b32_e32 v2, 0xf8, v2
	v_add_u32_e32 v2, v2, v1
	ds_write_b64 v2, v[6:7] offset:3072
	;; [unrolled: 4-line block ×3, first 2 shown]
	s_waitcnt lgkmcnt(0)
	s_barrier
.LBB216_16:
	v_lshlrev_b32_e32 v22, 2, v0
	v_lshrrev_b32_e32 v12, 3, v0
	v_add_lshl_u32 v2, v12, v22, 3
	ds_read2_b64 v[6:9], v2 offset1:1
	ds_read2_b64 v[2:5], v2 offset0:2 offset1:3
	s_add_u32 s2, s6, s4
	s_addc_u32 s3, s7, s5
	s_add_u32 s2, s2, s8
	s_addc_u32 s3, s3, s9
	s_mov_b64 s[4:5], -1
	s_and_b64 vcc, exec, s[30:31]
	v_lshrrev_b32_e32 v13, 5, v0
	s_waitcnt lgkmcnt(0)
	s_barrier
	s_cbranch_vccz .LBB216_18
; %bb.17:
	global_load_dwordx2 v[14:15], v1, s[2:3]
	global_load_dwordx2 v[16:17], v1, s[2:3] offset:1536
	global_load_dwordx2 v[18:19], v1, s[2:3] offset:3072
	v_mov_b32_e32 v20, s3
	s_waitcnt vmcnt(2)
	v_add_co_u32_e32 v15, vcc, s2, v1
	s_waitcnt vmcnt(1)
	v_addc_co_u32_e32 v17, vcc, 0, v20, vcc
	v_add_co_u32_e32 v20, vcc, 0x1000, v15
	v_addc_co_u32_e32 v21, vcc, 0, v17, vcc
	global_load_dwordx2 v[20:21], v[20:21], off offset:512
	v_add_u32_e32 v17, 0xc0, v0
	s_waitcnt vmcnt(1)
	v_add_u32_e32 v19, 0x180, v0
	v_and_b32_e32 v15, 4, v13
	s_waitcnt vmcnt(0)
	v_add_u32_e32 v21, 0x240, v0
	v_lshrrev_b32_e32 v17, 5, v17
	v_lshrrev_b32_e32 v19, 5, v19
	v_add_u32_e32 v15, v15, v0
	v_lshrrev_b32_e32 v21, 5, v21
	v_and_b32_e32 v17, 12, v17
	v_and_b32_e32 v19, 28, v19
	v_and_b32_e32 v21, 28, v21
	v_add_u32_e32 v17, v17, v0
	v_add_u32_e32 v19, v19, v0
	v_add_u32_e32 v21, v21, v0
	s_mov_b64 s[4:5], 0
	v_xor_b32_e32 v14, -1, v14
	v_xor_b32_e32 v16, -1, v16
	;; [unrolled: 1-line block ×3, first 2 shown]
	v_and_b32_e32 v14, 1, v14
	v_and_b32_e32 v16, 1, v16
	;; [unrolled: 1-line block ×3, first 2 shown]
	ds_write_b8 v15, v14
	ds_write_b8 v17, v16 offset:192
	ds_write_b8 v19, v18 offset:384
	v_xor_b32_e32 v14, -1, v20
	v_and_b32_e32 v14, 1, v14
	ds_write_b8 v21, v14 offset:576
	s_waitcnt lgkmcnt(0)
	s_barrier
.LBB216_18:
	s_andn2_b64 vcc, exec, s[4:5]
	s_cbranch_vccnz .LBB216_28
; %bb.19:
	v_cmp_gt_u32_e32 vcc, s33, v0
	v_mov_b32_e32 v14, 0
	v_mov_b32_e32 v15, 0
	s_and_saveexec_b64 s[4:5], vcc
	s_cbranch_execz .LBB216_21
; %bb.20:
	global_load_dwordx2 v[16:17], v1, s[2:3]
	s_waitcnt vmcnt(0)
	v_xor_b32_e32 v15, -1, v16
	v_and_b32_e32 v15, 1, v15
.LBB216_21:
	s_or_b64 exec, exec, s[4:5]
	v_add_u32_e32 v16, 0xc0, v0
	v_cmp_gt_u32_e32 vcc, s33, v16
	s_and_saveexec_b64 s[4:5], vcc
	s_cbranch_execz .LBB216_23
; %bb.22:
	global_load_dwordx2 v[18:19], v1, s[2:3] offset:1536
	s_waitcnt vmcnt(0)
	v_xor_b32_e32 v14, -1, v18
	v_and_b32_e32 v14, 1, v14
.LBB216_23:
	s_or_b64 exec, exec, s[4:5]
	v_add_u32_e32 v18, 0x180, v0
	v_cmp_gt_u32_e32 vcc, s33, v18
	v_mov_b32_e32 v17, 0
	v_mov_b32_e32 v19, 0
	s_and_saveexec_b64 s[4:5], vcc
	s_cbranch_execz .LBB216_25
; %bb.24:
	global_load_dwordx2 v[20:21], v1, s[2:3] offset:3072
	s_waitcnt vmcnt(0)
	v_xor_b32_e32 v19, -1, v20
	v_and_b32_e32 v19, 1, v19
.LBB216_25:
	s_or_b64 exec, exec, s[4:5]
	v_add_u32_e32 v20, 0x240, v0
	v_cmp_gt_u32_e32 vcc, s33, v20
	s_and_saveexec_b64 s[4:5], vcc
	s_cbranch_execz .LBB216_27
; %bb.26:
	v_lshlrev_b32_e32 v17, 3, v20
	global_load_dwordx2 v[24:25], v17, s[2:3]
	s_waitcnt vmcnt(0)
	v_xor_b32_e32 v17, -1, v24
	v_and_b32_e32 v17, 1, v17
.LBB216_27:
	s_or_b64 exec, exec, s[4:5]
	v_and_b32_e32 v13, 4, v13
	v_add_u32_e32 v13, v13, v0
	ds_write_b8 v13, v15
	v_lshrrev_b32_e32 v13, 5, v16
	v_and_b32_e32 v13, 12, v13
	v_add_u32_e32 v13, v13, v0
	ds_write_b8 v13, v14 offset:192
	v_lshrrev_b32_e32 v13, 5, v18
	v_and_b32_e32 v13, 28, v13
	v_add_u32_e32 v13, v13, v0
	ds_write_b8 v13, v19 offset:384
	;; [unrolled: 4-line block ×3, first 2 shown]
	s_waitcnt lgkmcnt(0)
	s_barrier
.LBB216_28:
	v_and_b32_e32 v12, 28, v12
	v_add_u32_e32 v12, v12, v22
	ds_read_b32 v24, v12
	s_cmp_lg_u32 s42, 0
	v_lshrrev_b32_e32 v27, 6, v0
	s_waitcnt lgkmcnt(0)
	s_barrier
	v_lshrrev_b32_e32 v23, 24, v24
	v_bfe_u32 v25, v24, 16, 8
	v_add_u32_sdwa v12, v24, v24 dst_sel:DWORD dst_unused:UNUSED_PAD src0_sel:BYTE_1 src1_sel:BYTE_0
	v_add3_u32 v28, v12, v25, v23
	v_mbcnt_lo_u32_b32 v12, -1, 0
	v_mbcnt_hi_u32_b32 v26, -1, v12
	v_and_b32_e32 v12, 15, v26
	v_cmp_eq_u32_e64 s[14:15], 0, v12
	v_cmp_lt_u32_e64 s[12:13], 1, v12
	v_cmp_lt_u32_e64 s[10:11], 3, v12
	;; [unrolled: 1-line block ×3, first 2 shown]
	v_and_b32_e32 v12, 16, v26
	v_cmp_eq_u32_e64 s[4:5], 0, v12
	v_and_b32_e32 v12, 0xc0, v0
	v_min_u32_e32 v12, 0x80, v12
	v_or_b32_e32 v12, 63, v12
	v_cmp_lt_u32_e64 s[2:3], 31, v26
	v_cmp_eq_u32_e64 s[6:7], v12, v0
	s_cbranch_scc0 .LBB216_55
; %bb.29:
	v_mov_b32_dpp v12, v28 row_shr:1 row_mask:0xf bank_mask:0xf
	v_cndmask_b32_e64 v12, v12, 0, s[14:15]
	v_add_u32_e32 v12, v12, v28
	s_nop 1
	v_mov_b32_dpp v13, v12 row_shr:2 row_mask:0xf bank_mask:0xf
	v_cndmask_b32_e64 v13, 0, v13, s[12:13]
	v_add_u32_e32 v12, v12, v13
	s_nop 1
	;; [unrolled: 4-line block ×4, first 2 shown]
	v_mov_b32_dpp v13, v12 row_bcast:15 row_mask:0xf bank_mask:0xf
	v_cndmask_b32_e64 v13, v13, 0, s[4:5]
	v_add_u32_e32 v12, v12, v13
	s_nop 1
	v_mov_b32_dpp v13, v12 row_bcast:31 row_mask:0xf bank_mask:0xf
	v_cndmask_b32_e64 v13, 0, v13, s[2:3]
	v_add_u32_e32 v12, v12, v13
	s_and_saveexec_b64 s[16:17], s[6:7]
	s_cbranch_execz .LBB216_31
; %bb.30:
	v_lshlrev_b32_e32 v13, 2, v27
	ds_write_b32 v13, v12
.LBB216_31:
	s_or_b64 exec, exec, s[16:17]
	v_cmp_gt_u32_e32 vcc, 3, v0
	s_waitcnt lgkmcnt(0)
	s_barrier
	s_and_saveexec_b64 s[16:17], vcc
	s_cbranch_execz .LBB216_33
; %bb.32:
	ds_read_b32 v13, v22
	v_and_b32_e32 v14, 3, v26
	v_cmp_ne_u32_e32 vcc, 0, v14
	s_waitcnt lgkmcnt(0)
	v_mov_b32_dpp v15, v13 row_shr:1 row_mask:0xf bank_mask:0xf
	v_cndmask_b32_e32 v15, 0, v15, vcc
	v_add_u32_e32 v13, v15, v13
	v_cmp_lt_u32_e32 vcc, 1, v14
	s_nop 0
	v_mov_b32_dpp v15, v13 row_shr:2 row_mask:0xf bank_mask:0xf
	v_cndmask_b32_e32 v14, 0, v15, vcc
	v_add_u32_e32 v13, v13, v14
	ds_write_b32 v22, v13
.LBB216_33:
	s_or_b64 exec, exec, s[16:17]
	v_cmp_gt_u32_e32 vcc, 64, v0
	v_cmp_lt_u32_e64 s[16:17], 63, v0
	s_waitcnt lgkmcnt(0)
	s_barrier
	s_waitcnt lgkmcnt(0)
                                        ; implicit-def: $vgpr29
	s_and_saveexec_b64 s[36:37], s[16:17]
	s_cbranch_execz .LBB216_35
; %bb.34:
	v_lshl_add_u32 v13, v27, 2, -4
	ds_read_b32 v29, v13
	s_waitcnt lgkmcnt(0)
	v_add_u32_e32 v12, v29, v12
.LBB216_35:
	s_or_b64 exec, exec, s[36:37]
	v_add_u32_e32 v13, -1, v26
	v_and_b32_e32 v14, 64, v26
	v_cmp_lt_i32_e64 s[16:17], v13, v14
	v_cndmask_b32_e64 v13, v13, v26, s[16:17]
	v_lshlrev_b32_e32 v13, 2, v13
	ds_bpermute_b32 v30, v13, v12
	v_cmp_eq_u32_e64 s[16:17], 0, v26
	s_and_saveexec_b64 s[36:37], vcc
	s_cbranch_execz .LBB216_54
; %bb.36:
	v_mov_b32_e32 v19, 0
	ds_read_b32 v12, v19 offset:8
	s_and_saveexec_b64 s[38:39], s[16:17]
	s_cbranch_execz .LBB216_38
; %bb.37:
	s_add_i32 s40, s42, 64
	s_mov_b32 s41, 0
	s_lshl_b64 s[40:41], s[40:41], 3
	s_add_u32 s40, s34, s40
	v_mov_b32_e32 v13, 1
	s_addc_u32 s41, s35, s41
	s_waitcnt lgkmcnt(0)
	global_store_dwordx2 v19, v[12:13], s[40:41]
.LBB216_38:
	s_or_b64 exec, exec, s[38:39]
	v_xad_u32 v14, v26, -1, s42
	v_add_u32_e32 v18, 64, v14
	v_lshlrev_b64 v[16:17], 3, v[18:19]
	v_mov_b32_e32 v13, s35
	v_add_co_u32_e32 v20, vcc, s34, v16
	v_addc_co_u32_e32 v21, vcc, v13, v17, vcc
	global_load_dwordx2 v[16:17], v[20:21], off glc
	s_waitcnt vmcnt(0)
	v_cmp_eq_u16_sdwa s[40:41], v17, v19 src0_sel:BYTE_0 src1_sel:DWORD
	s_and_saveexec_b64 s[38:39], s[40:41]
	s_cbranch_execz .LBB216_42
; %bb.39:
	s_mov_b64 s[40:41], 0
	v_mov_b32_e32 v13, 0
.LBB216_40:                             ; =>This Inner Loop Header: Depth=1
	global_load_dwordx2 v[16:17], v[20:21], off glc
	s_waitcnt vmcnt(0)
	v_cmp_ne_u16_sdwa s[44:45], v17, v13 src0_sel:BYTE_0 src1_sel:DWORD
	s_or_b64 s[40:41], s[44:45], s[40:41]
	s_andn2_b64 exec, exec, s[40:41]
	s_cbranch_execnz .LBB216_40
; %bb.41:
	s_or_b64 exec, exec, s[40:41]
.LBB216_42:
	s_or_b64 exec, exec, s[38:39]
	v_and_b32_e32 v32, 63, v26
	v_mov_b32_e32 v31, 2
	v_cmp_ne_u32_e32 vcc, 63, v32
	v_cmp_eq_u16_sdwa s[38:39], v17, v31 src0_sel:BYTE_0 src1_sel:DWORD
	v_lshlrev_b64 v[18:19], v26, -1
	v_addc_co_u32_e32 v20, vcc, 0, v26, vcc
	v_and_b32_e32 v13, s39, v19
	v_lshlrev_b32_e32 v33, 2, v20
	v_or_b32_e32 v13, 0x80000000, v13
	ds_bpermute_b32 v20, v33, v16
	v_and_b32_e32 v15, s38, v18
	v_ffbl_b32_e32 v13, v13
	v_add_u32_e32 v13, 32, v13
	v_ffbl_b32_e32 v15, v15
	v_min_u32_e32 v13, v15, v13
	v_cmp_lt_u32_e32 vcc, v32, v13
	s_waitcnt lgkmcnt(0)
	v_cndmask_b32_e32 v15, 0, v20, vcc
	v_cmp_gt_u32_e32 vcc, 62, v32
	v_add_u32_e32 v15, v15, v16
	v_cndmask_b32_e64 v16, 0, 1, vcc
	v_lshlrev_b32_e32 v16, 1, v16
	v_add_lshl_u32 v34, v16, v26, 2
	ds_bpermute_b32 v16, v34, v15
	v_add_u32_e32 v35, 2, v32
	v_cmp_le_u32_e32 vcc, v35, v13
	v_add_u32_e32 v37, 4, v32
	v_add_u32_e32 v39, 8, v32
	s_waitcnt lgkmcnt(0)
	v_cndmask_b32_e32 v16, 0, v16, vcc
	v_cmp_gt_u32_e32 vcc, 60, v32
	v_add_u32_e32 v15, v15, v16
	v_cndmask_b32_e64 v16, 0, 1, vcc
	v_lshlrev_b32_e32 v16, 2, v16
	v_add_lshl_u32 v36, v16, v26, 2
	ds_bpermute_b32 v16, v36, v15
	v_cmp_le_u32_e32 vcc, v37, v13
	v_add_u32_e32 v41, 16, v32
	v_add_u32_e32 v43, 32, v32
	s_waitcnt lgkmcnt(0)
	v_cndmask_b32_e32 v16, 0, v16, vcc
	v_cmp_gt_u32_e32 vcc, 56, v32
	v_add_u32_e32 v15, v15, v16
	v_cndmask_b32_e64 v16, 0, 1, vcc
	v_lshlrev_b32_e32 v16, 3, v16
	v_add_lshl_u32 v38, v16, v26, 2
	ds_bpermute_b32 v16, v38, v15
	v_cmp_le_u32_e32 vcc, v39, v13
	s_waitcnt lgkmcnt(0)
	v_cndmask_b32_e32 v16, 0, v16, vcc
	v_cmp_gt_u32_e32 vcc, 48, v32
	v_add_u32_e32 v15, v15, v16
	v_cndmask_b32_e64 v16, 0, 1, vcc
	v_lshlrev_b32_e32 v16, 4, v16
	v_add_lshl_u32 v40, v16, v26, 2
	ds_bpermute_b32 v16, v40, v15
	v_cmp_le_u32_e32 vcc, v41, v13
	;; [unrolled: 9-line block ×3, first 2 shown]
	s_waitcnt lgkmcnt(0)
	v_cndmask_b32_e32 v13, 0, v16, vcc
	v_add_u32_e32 v16, v15, v13
	v_mov_b32_e32 v15, 0
	s_branch .LBB216_44
.LBB216_43:                             ;   in Loop: Header=BB216_44 Depth=1
	s_or_b64 exec, exec, s[38:39]
	v_cmp_eq_u16_sdwa s[38:39], v17, v31 src0_sel:BYTE_0 src1_sel:DWORD
	v_and_b32_e32 v20, s39, v19
	v_or_b32_e32 v20, 0x80000000, v20
	ds_bpermute_b32 v44, v33, v16
	v_and_b32_e32 v21, s38, v18
	v_ffbl_b32_e32 v20, v20
	v_add_u32_e32 v20, 32, v20
	v_ffbl_b32_e32 v21, v21
	v_min_u32_e32 v20, v21, v20
	v_cmp_lt_u32_e32 vcc, v32, v20
	s_waitcnt lgkmcnt(0)
	v_cndmask_b32_e32 v21, 0, v44, vcc
	v_add_u32_e32 v16, v21, v16
	ds_bpermute_b32 v21, v34, v16
	v_cmp_le_u32_e32 vcc, v35, v20
	v_subrev_u32_e32 v14, 64, v14
	s_waitcnt lgkmcnt(0)
	v_cndmask_b32_e32 v21, 0, v21, vcc
	v_add_u32_e32 v16, v16, v21
	ds_bpermute_b32 v21, v36, v16
	v_cmp_le_u32_e32 vcc, v37, v20
	s_waitcnt lgkmcnt(0)
	v_cndmask_b32_e32 v21, 0, v21, vcc
	v_add_u32_e32 v16, v16, v21
	ds_bpermute_b32 v21, v38, v16
	v_cmp_le_u32_e32 vcc, v39, v20
	;; [unrolled: 5-line block ×4, first 2 shown]
	s_waitcnt lgkmcnt(0)
	v_cndmask_b32_e32 v20, 0, v21, vcc
	v_add3_u32 v16, v20, v13, v16
.LBB216_44:                             ; =>This Loop Header: Depth=1
                                        ;     Child Loop BB216_47 Depth 2
	v_cmp_ne_u16_sdwa s[38:39], v17, v31 src0_sel:BYTE_0 src1_sel:DWORD
	v_cndmask_b32_e64 v13, 0, 1, s[38:39]
	;;#ASMSTART
	;;#ASMEND
	v_cmp_ne_u32_e32 vcc, 0, v13
	s_cmp_lg_u64 vcc, exec
	v_mov_b32_e32 v13, v16
	s_cbranch_scc1 .LBB216_49
; %bb.45:                               ;   in Loop: Header=BB216_44 Depth=1
	v_lshlrev_b64 v[16:17], 3, v[14:15]
	v_mov_b32_e32 v21, s35
	v_add_co_u32_e32 v20, vcc, s34, v16
	v_addc_co_u32_e32 v21, vcc, v21, v17, vcc
	global_load_dwordx2 v[16:17], v[20:21], off glc
	s_waitcnt vmcnt(0)
	v_cmp_eq_u16_sdwa s[40:41], v17, v15 src0_sel:BYTE_0 src1_sel:DWORD
	s_and_saveexec_b64 s[38:39], s[40:41]
	s_cbranch_execz .LBB216_43
; %bb.46:                               ;   in Loop: Header=BB216_44 Depth=1
	s_mov_b64 s[40:41], 0
.LBB216_47:                             ;   Parent Loop BB216_44 Depth=1
                                        ; =>  This Inner Loop Header: Depth=2
	global_load_dwordx2 v[16:17], v[20:21], off glc
	s_waitcnt vmcnt(0)
	v_cmp_ne_u16_sdwa s[44:45], v17, v15 src0_sel:BYTE_0 src1_sel:DWORD
	s_or_b64 s[40:41], s[44:45], s[40:41]
	s_andn2_b64 exec, exec, s[40:41]
	s_cbranch_execnz .LBB216_47
; %bb.48:                               ;   in Loop: Header=BB216_44 Depth=1
	s_or_b64 exec, exec, s[40:41]
	s_branch .LBB216_43
.LBB216_49:                             ;   in Loop: Header=BB216_44 Depth=1
                                        ; implicit-def: $vgpr16
                                        ; implicit-def: $vgpr17
	s_cbranch_execz .LBB216_44
; %bb.50:
	s_and_saveexec_b64 s[38:39], s[16:17]
	s_cbranch_execz .LBB216_52
; %bb.51:
	s_add_i32 s40, s42, 64
	s_mov_b32 s41, 0
	s_lshl_b64 s[40:41], s[40:41], 3
	s_add_u32 s40, s34, s40
	v_add_u32_e32 v14, v13, v12
	v_mov_b32_e32 v15, 2
	s_addc_u32 s41, s35, s41
	v_mov_b32_e32 v16, 0
	global_store_dwordx2 v16, v[14:15], s[40:41]
	ds_write_b64 v16, v[12:13] offset:6336
.LBB216_52:
	s_or_b64 exec, exec, s[38:39]
	s_and_b64 exec, exec, s[0:1]
	s_cbranch_execz .LBB216_54
; %bb.53:
	v_mov_b32_e32 v12, 0
	ds_write_b32 v12, v13 offset:8
.LBB216_54:
	s_or_b64 exec, exec, s[36:37]
	v_mov_b32_e32 v12, 0
	s_waitcnt lgkmcnt(0)
	s_barrier
	ds_read_b32 v13, v12 offset:8
	v_cndmask_b32_e64 v14, v30, v29, s[16:17]
	v_cndmask_b32_e64 v14, v14, 0, s[0:1]
	s_waitcnt lgkmcnt(0)
	s_barrier
	v_add_u32_e32 v16, v13, v14
	ds_read_b64 v[12:13], v12 offset:6336
	v_add_u32_sdwa v17, v16, v24 dst_sel:DWORD dst_unused:UNUSED_PAD src0_sel:DWORD src1_sel:BYTE_0
	v_add_u32_sdwa v15, v17, v24 dst_sel:DWORD dst_unused:UNUSED_PAD src0_sel:DWORD src1_sel:BYTE_1
	v_add_u32_e32 v14, v15, v25
	s_branch .LBB216_65
.LBB216_55:
                                        ; implicit-def: $vgpr13
                                        ; implicit-def: $vgpr14
                                        ; implicit-def: $vgpr15
                                        ; implicit-def: $vgpr17
                                        ; implicit-def: $vgpr16
	s_cbranch_execz .LBB216_65
; %bb.56:
	s_waitcnt lgkmcnt(0)
	v_mov_b32_dpp v12, v28 row_shr:1 row_mask:0xf bank_mask:0xf
	v_cndmask_b32_e64 v12, v12, 0, s[14:15]
	v_add_u32_e32 v12, v12, v28
	s_nop 1
	v_mov_b32_dpp v13, v12 row_shr:2 row_mask:0xf bank_mask:0xf
	v_cndmask_b32_e64 v13, 0, v13, s[12:13]
	v_add_u32_e32 v12, v12, v13
	s_nop 1
	v_mov_b32_dpp v13, v12 row_shr:4 row_mask:0xf bank_mask:0xf
	v_cndmask_b32_e64 v13, 0, v13, s[10:11]
	v_add_u32_e32 v12, v12, v13
	s_nop 1
	v_mov_b32_dpp v13, v12 row_shr:8 row_mask:0xf bank_mask:0xf
	v_cndmask_b32_e64 v13, 0, v13, s[8:9]
	v_add_u32_e32 v12, v12, v13
	s_nop 1
	v_mov_b32_dpp v13, v12 row_bcast:15 row_mask:0xf bank_mask:0xf
	v_cndmask_b32_e64 v13, v13, 0, s[4:5]
	v_add_u32_e32 v12, v12, v13
	s_nop 1
	v_mov_b32_dpp v13, v12 row_bcast:31 row_mask:0xf bank_mask:0xf
	v_cndmask_b32_e64 v13, 0, v13, s[2:3]
	v_add_u32_e32 v12, v12, v13
	s_and_saveexec_b64 s[2:3], s[6:7]
	s_cbranch_execz .LBB216_58
; %bb.57:
	v_lshlrev_b32_e32 v13, 2, v27
	ds_write_b32 v13, v12
.LBB216_58:
	s_or_b64 exec, exec, s[2:3]
	v_cmp_gt_u32_e32 vcc, 3, v0
	s_waitcnt lgkmcnt(0)
	s_barrier
	s_and_saveexec_b64 s[2:3], vcc
	s_cbranch_execz .LBB216_60
; %bb.59:
	ds_read_b32 v13, v22
	v_and_b32_e32 v14, 3, v26
	v_cmp_ne_u32_e32 vcc, 0, v14
	s_waitcnt lgkmcnt(0)
	v_mov_b32_dpp v15, v13 row_shr:1 row_mask:0xf bank_mask:0xf
	v_cndmask_b32_e32 v15, 0, v15, vcc
	v_add_u32_e32 v13, v15, v13
	v_cmp_lt_u32_e32 vcc, 1, v14
	s_nop 0
	v_mov_b32_dpp v15, v13 row_shr:2 row_mask:0xf bank_mask:0xf
	v_cndmask_b32_e32 v14, 0, v15, vcc
	v_add_u32_e32 v13, v13, v14
	ds_write_b32 v22, v13
.LBB216_60:
	s_or_b64 exec, exec, s[2:3]
	v_cmp_lt_u32_e32 vcc, 63, v0
	v_mov_b32_e32 v13, 0
	v_mov_b32_e32 v14, 0
	s_waitcnt lgkmcnt(0)
	s_barrier
	s_and_saveexec_b64 s[2:3], vcc
	s_cbranch_execz .LBB216_62
; %bb.61:
	v_lshl_add_u32 v14, v27, 2, -4
	ds_read_b32 v14, v14
.LBB216_62:
	s_or_b64 exec, exec, s[2:3]
	v_add_u32_e32 v15, -1, v26
	v_and_b32_e32 v16, 64, v26
	v_cmp_lt_i32_e32 vcc, v15, v16
	v_cndmask_b32_e32 v15, v15, v26, vcc
	s_waitcnt lgkmcnt(0)
	v_add_u32_e32 v12, v14, v12
	v_lshlrev_b32_e32 v15, 2, v15
	ds_bpermute_b32 v15, v15, v12
	ds_read_b32 v12, v13 offset:8
	s_and_saveexec_b64 s[2:3], s[0:1]
	s_cbranch_execz .LBB216_64
; %bb.63:
	v_mov_b32_e32 v16, 0
	v_mov_b32_e32 v13, 2
	s_waitcnt lgkmcnt(0)
	global_store_dwordx2 v16, v[12:13], s[34:35] offset:512
.LBB216_64:
	s_or_b64 exec, exec, s[2:3]
	v_cmp_eq_u32_e32 vcc, 0, v26
	s_waitcnt lgkmcnt(1)
	v_cndmask_b32_e32 v14, v15, v14, vcc
	v_cndmask_b32_e64 v16, v14, 0, s[0:1]
	v_add_u32_sdwa v17, v16, v24 dst_sel:DWORD dst_unused:UNUSED_PAD src0_sel:DWORD src1_sel:BYTE_0
	v_add_u32_sdwa v15, v17, v24 dst_sel:DWORD dst_unused:UNUSED_PAD src0_sel:DWORD src1_sel:BYTE_1
	v_mov_b32_e32 v13, 0
	v_add_u32_e32 v14, v15, v25
	s_waitcnt lgkmcnt(0)
	s_barrier
.LBB216_65:
	s_waitcnt lgkmcnt(0)
	v_add_u32_e32 v19, v12, v22
	v_sub_u32_e32 v16, v16, v13
	v_and_b32_e32 v21, 1, v24
	v_sub_u32_e32 v20, v19, v16
	v_cmp_eq_u32_e32 vcc, 1, v21
	v_cndmask_b32_e32 v16, v20, v16, vcc
	v_lshlrev_b32_e32 v16, 3, v16
	v_lshrrev_b32_e32 v18, 8, v24
	ds_write_b64 v16, v[6:7]
	v_sub_u32_e32 v6, v17, v13
	v_sub_u32_e32 v7, v19, v6
	v_and_b32_e32 v16, 1, v18
	v_add_u32_e32 v7, 1, v7
	v_cmp_eq_u32_e32 vcc, 1, v16
	v_cndmask_b32_e32 v6, v7, v6, vcc
	v_lshlrev_b32_e32 v6, 3, v6
	ds_write_b64 v6, v[8:9]
	v_sub_u32_e32 v6, v15, v13
	v_mov_b32_e32 v8, 1
	v_sub_u32_e32 v7, v19, v6
	v_and_b32_sdwa v8, v8, v24 dst_sel:DWORD dst_unused:UNUSED_PAD src0_sel:DWORD src1_sel:WORD_1
	v_add_u32_e32 v7, 2, v7
	v_cmp_eq_u32_e32 vcc, 1, v8
	v_cndmask_b32_e32 v6, v7, v6, vcc
	v_lshlrev_b32_e32 v6, 3, v6
	ds_write_b64 v6, v[2:3]
	v_sub_u32_e32 v2, v14, v13
	v_sub_u32_e32 v3, v19, v2
	v_and_b32_e32 v6, 1, v23
	v_add_u32_e32 v3, 3, v3
	v_cmp_eq_u32_e32 vcc, 1, v6
	v_cndmask_b32_e32 v2, v3, v2, vcc
	s_add_u32 s2, s18, s28
	v_lshlrev_b32_e32 v2, 3, v2
	s_addc_u32 s3, s19, 0
	ds_write_b64 v2, v[4:5]
	s_waitcnt lgkmcnt(0)
	s_barrier
	ds_read2st64_b64 v[6:9], v1 offset1:3
	ds_read2st64_b64 v[2:5], v1 offset0:6 offset1:9
	s_waitcnt vmcnt(0)
	v_add_co_u32_e32 v1, vcc, v10, v13
	s_sub_u32 s2, s26, s2
	v_addc_co_u32_e32 v13, vcc, 0, v11, vcc
	s_subb_u32 s3, s27, s3
	v_mov_b32_e32 v10, s3
	v_add_co_u32_e32 v11, vcc, s2, v12
	v_addc_co_u32_e32 v10, vcc, 0, v10, vcc
	v_add_co_u32_e64 v15, s[2:3], v11, v1
	v_add_u32_e32 v18, 0xc0, v0
	v_add_u32_e32 v17, 0x180, v0
	;; [unrolled: 1-line block ×3, first 2 shown]
	s_andn2_b64 vcc, exec, s[30:31]
	v_addc_co_u32_e64 v16, s[2:3], v10, v13, s[2:3]
	s_cbranch_vccnz .LBB216_86
; %bb.66:
	v_cmp_ge_u32_e32 vcc, v0, v12
                                        ; implicit-def: $vgpr10_vgpr11
	s_and_saveexec_b64 s[2:3], vcc
	s_xor_b64 s[2:3], exec, s[2:3]
; %bb.67:
	v_not_b32_e32 v10, v0
	v_ashrrev_i32_e32 v11, 31, v10
	v_add_co_u32_e32 v10, vcc, v15, v10
	v_addc_co_u32_e32 v11, vcc, v16, v11, vcc
; %bb.68:
	s_andn2_saveexec_b64 s[2:3], s[2:3]
; %bb.69:
	v_add_co_u32_e32 v10, vcc, v1, v0
	v_addc_co_u32_e32 v11, vcc, 0, v13, vcc
; %bb.70:
	s_or_b64 exec, exec, s[2:3]
	v_lshlrev_b64 v[10:11], 3, v[10:11]
	v_mov_b32_e32 v19, s25
	v_add_co_u32_e32 v10, vcc, s24, v10
	v_addc_co_u32_e32 v11, vcc, v19, v11, vcc
	v_cmp_ge_u32_e32 vcc, v18, v12
	s_waitcnt lgkmcnt(1)
	global_store_dwordx2 v[10:11], v[6:7], off
                                        ; implicit-def: $vgpr10_vgpr11
	s_and_saveexec_b64 s[2:3], vcc
	s_xor_b64 s[2:3], exec, s[2:3]
; %bb.71:
	v_sub_u32_e32 v10, 0xffffff3f, v0
	v_ashrrev_i32_e32 v11, 31, v10
	v_add_co_u32_e32 v10, vcc, v15, v10
	v_addc_co_u32_e32 v11, vcc, v16, v11, vcc
; %bb.72:
	s_andn2_saveexec_b64 s[2:3], s[2:3]
; %bb.73:
	v_add_co_u32_e32 v10, vcc, v1, v18
	v_addc_co_u32_e32 v11, vcc, 0, v13, vcc
; %bb.74:
	s_or_b64 exec, exec, s[2:3]
	v_lshlrev_b64 v[10:11], 3, v[10:11]
	v_mov_b32_e32 v19, s25
	v_add_co_u32_e32 v10, vcc, s24, v10
	v_addc_co_u32_e32 v11, vcc, v19, v11, vcc
	v_cmp_ge_u32_e32 vcc, v17, v12
	global_store_dwordx2 v[10:11], v[8:9], off
                                        ; implicit-def: $vgpr10_vgpr11
	s_and_saveexec_b64 s[2:3], vcc
	s_xor_b64 s[2:3], exec, s[2:3]
; %bb.75:
	v_sub_u32_e32 v10, 0xfffffe7f, v0
	v_ashrrev_i32_e32 v11, 31, v10
	v_add_co_u32_e32 v10, vcc, v15, v10
	v_addc_co_u32_e32 v11, vcc, v16, v11, vcc
; %bb.76:
	s_andn2_saveexec_b64 s[2:3], s[2:3]
; %bb.77:
	v_add_co_u32_e32 v10, vcc, v1, v17
	v_addc_co_u32_e32 v11, vcc, 0, v13, vcc
; %bb.78:
	s_or_b64 exec, exec, s[2:3]
	v_lshlrev_b64 v[10:11], 3, v[10:11]
	v_mov_b32_e32 v19, s25
	v_add_co_u32_e32 v10, vcc, s24, v10
	v_addc_co_u32_e32 v11, vcc, v19, v11, vcc
	v_cmp_ge_u32_e32 vcc, v14, v12
	s_waitcnt lgkmcnt(0)
	global_store_dwordx2 v[10:11], v[2:3], off
                                        ; implicit-def: $vgpr10_vgpr11
	s_and_saveexec_b64 s[2:3], vcc
	s_xor_b64 s[2:3], exec, s[2:3]
; %bb.79:
	v_sub_u32_e32 v10, 0xfffffdbf, v0
	v_ashrrev_i32_e32 v11, 31, v10
	v_add_co_u32_e32 v10, vcc, v15, v10
	v_addc_co_u32_e32 v11, vcc, v16, v11, vcc
; %bb.80:
	s_andn2_saveexec_b64 s[2:3], s[2:3]
; %bb.81:
	v_add_co_u32_e32 v10, vcc, v1, v14
	v_addc_co_u32_e32 v11, vcc, 0, v13, vcc
; %bb.82:
	s_or_b64 exec, exec, s[2:3]
	s_mov_b64 s[2:3], -1
.LBB216_83:
	s_and_saveexec_b64 s[4:5], s[2:3]
	s_cbranch_execz .LBB216_96
.LBB216_84:
	s_waitcnt lgkmcnt(0)
	v_lshlrev_b64 v[2:3], 3, v[10:11]
	v_mov_b32_e32 v0, s25
	v_add_co_u32_e32 v2, vcc, s24, v2
	v_addc_co_u32_e32 v3, vcc, v0, v3, vcc
	global_store_dwordx2 v[2:3], v[4:5], off
	s_or_b64 exec, exec, s[4:5]
	s_and_b64 s[0:1], s[0:1], s[22:23]
	s_and_saveexec_b64 s[2:3], s[0:1]
	s_cbranch_execnz .LBB216_97
.LBB216_85:
	s_endpgm
.LBB216_86:
	s_mov_b64 s[2:3], 0
                                        ; implicit-def: $vgpr10_vgpr11
	s_cbranch_execz .LBB216_83
; %bb.87:
	v_cmp_gt_u32_e32 vcc, s33, v0
	s_and_saveexec_b64 s[4:5], vcc
	s_cbranch_execz .LBB216_98
; %bb.88:
	v_cmp_ge_u32_e32 vcc, v0, v12
                                        ; implicit-def: $vgpr10_vgpr11
	s_and_saveexec_b64 s[6:7], vcc
	s_xor_b64 s[6:7], exec, s[6:7]
; %bb.89:
	v_not_b32_e32 v10, v0
	v_ashrrev_i32_e32 v11, 31, v10
	v_add_co_u32_e32 v10, vcc, v15, v10
	v_addc_co_u32_e32 v11, vcc, v16, v11, vcc
; %bb.90:
	s_andn2_saveexec_b64 s[6:7], s[6:7]
; %bb.91:
	v_add_co_u32_e32 v10, vcc, v1, v0
	v_addc_co_u32_e32 v11, vcc, 0, v13, vcc
; %bb.92:
	s_or_b64 exec, exec, s[6:7]
	v_lshlrev_b64 v[10:11], 3, v[10:11]
	v_mov_b32_e32 v19, s25
	v_add_co_u32_e32 v10, vcc, s24, v10
	v_addc_co_u32_e32 v11, vcc, v19, v11, vcc
	s_waitcnt lgkmcnt(1)
	global_store_dwordx2 v[10:11], v[6:7], off
	s_or_b64 exec, exec, s[4:5]
	v_cmp_gt_u32_e32 vcc, s33, v18
	s_and_saveexec_b64 s[4:5], vcc
	s_cbranch_execnz .LBB216_99
.LBB216_93:
	s_or_b64 exec, exec, s[4:5]
	v_cmp_gt_u32_e32 vcc, s33, v17
	s_and_saveexec_b64 s[4:5], vcc
	s_cbranch_execnz .LBB216_104
.LBB216_94:
	s_or_b64 exec, exec, s[4:5]
	v_cmp_gt_u32_e32 vcc, s33, v14
                                        ; implicit-def: $vgpr10_vgpr11
	s_and_saveexec_b64 s[4:5], vcc
	s_cbranch_execnz .LBB216_109
.LBB216_95:
	s_or_b64 exec, exec, s[4:5]
	s_and_saveexec_b64 s[4:5], s[2:3]
	s_cbranch_execnz .LBB216_84
.LBB216_96:
	s_or_b64 exec, exec, s[4:5]
	s_and_b64 s[0:1], s[0:1], s[22:23]
	s_and_saveexec_b64 s[2:3], s[0:1]
	s_cbranch_execz .LBB216_85
.LBB216_97:
	v_add_co_u32_e32 v0, vcc, v1, v12
	s_waitcnt lgkmcnt(0)
	v_mov_b32_e32 v2, 0
	v_addc_co_u32_e32 v1, vcc, 0, v13, vcc
	global_store_dwordx2 v2, v[0:1], s[20:21]
	s_endpgm
.LBB216_98:
	s_or_b64 exec, exec, s[4:5]
	v_cmp_gt_u32_e32 vcc, s33, v18
	s_and_saveexec_b64 s[4:5], vcc
	s_cbranch_execz .LBB216_93
.LBB216_99:
	v_cmp_ge_u32_e32 vcc, v18, v12
                                        ; implicit-def: $vgpr6_vgpr7
	s_and_saveexec_b64 s[6:7], vcc
	s_xor_b64 s[6:7], exec, s[6:7]
	s_cbranch_execz .LBB216_101
; %bb.100:
	s_waitcnt lgkmcnt(1)
	v_sub_u32_e32 v6, 0xffffff3f, v0
	v_ashrrev_i32_e32 v7, 31, v6
	v_add_co_u32_e32 v6, vcc, v15, v6
	v_addc_co_u32_e32 v7, vcc, v16, v7, vcc
                                        ; implicit-def: $vgpr18
.LBB216_101:
	s_andn2_saveexec_b64 s[6:7], s[6:7]
	s_cbranch_execz .LBB216_103
; %bb.102:
	s_waitcnt lgkmcnt(1)
	v_add_co_u32_e32 v6, vcc, v1, v18
	v_addc_co_u32_e32 v7, vcc, 0, v13, vcc
.LBB216_103:
	s_or_b64 exec, exec, s[6:7]
	s_waitcnt lgkmcnt(1)
	v_lshlrev_b64 v[6:7], 3, v[6:7]
	v_mov_b32_e32 v10, s25
	v_add_co_u32_e32 v6, vcc, s24, v6
	v_addc_co_u32_e32 v7, vcc, v10, v7, vcc
	global_store_dwordx2 v[6:7], v[8:9], off
	s_or_b64 exec, exec, s[4:5]
	v_cmp_gt_u32_e32 vcc, s33, v17
	s_and_saveexec_b64 s[4:5], vcc
	s_cbranch_execz .LBB216_94
.LBB216_104:
	v_cmp_ge_u32_e32 vcc, v17, v12
                                        ; implicit-def: $vgpr6_vgpr7
	s_and_saveexec_b64 s[6:7], vcc
	s_xor_b64 s[6:7], exec, s[6:7]
	s_cbranch_execz .LBB216_106
; %bb.105:
	s_waitcnt lgkmcnt(1)
	v_sub_u32_e32 v6, 0xfffffe7f, v0
	v_ashrrev_i32_e32 v7, 31, v6
	v_add_co_u32_e32 v6, vcc, v15, v6
	v_addc_co_u32_e32 v7, vcc, v16, v7, vcc
                                        ; implicit-def: $vgpr17
.LBB216_106:
	s_andn2_saveexec_b64 s[6:7], s[6:7]
	s_cbranch_execz .LBB216_108
; %bb.107:
	s_waitcnt lgkmcnt(1)
	v_add_co_u32_e32 v6, vcc, v1, v17
	v_addc_co_u32_e32 v7, vcc, 0, v13, vcc
.LBB216_108:
	s_or_b64 exec, exec, s[6:7]
	s_waitcnt lgkmcnt(1)
	v_lshlrev_b64 v[6:7], 3, v[6:7]
	v_mov_b32_e32 v8, s25
	v_add_co_u32_e32 v6, vcc, s24, v6
	v_addc_co_u32_e32 v7, vcc, v8, v7, vcc
	s_waitcnt lgkmcnt(0)
	global_store_dwordx2 v[6:7], v[2:3], off
	s_or_b64 exec, exec, s[4:5]
	v_cmp_gt_u32_e32 vcc, s33, v14
                                        ; implicit-def: $vgpr10_vgpr11
	s_and_saveexec_b64 s[4:5], vcc
	s_cbranch_execz .LBB216_95
.LBB216_109:
	v_cmp_ge_u32_e32 vcc, v14, v12
                                        ; implicit-def: $vgpr10_vgpr11
	s_and_saveexec_b64 s[6:7], vcc
	s_xor_b64 s[6:7], exec, s[6:7]
	s_cbranch_execz .LBB216_111
; %bb.110:
	v_sub_u32_e32 v0, 0xfffffdbf, v0
	s_waitcnt lgkmcnt(0)
	v_ashrrev_i32_e32 v2, 31, v0
	v_add_co_u32_e32 v10, vcc, v15, v0
	v_addc_co_u32_e32 v11, vcc, v16, v2, vcc
                                        ; implicit-def: $vgpr14
.LBB216_111:
	s_andn2_saveexec_b64 s[6:7], s[6:7]
; %bb.112:
	v_add_co_u32_e32 v10, vcc, v1, v14
	v_addc_co_u32_e32 v11, vcc, 0, v13, vcc
; %bb.113:
	s_or_b64 exec, exec, s[6:7]
	s_or_b64 s[2:3], s[2:3], exec
	s_or_b64 exec, exec, s[4:5]
	s_and_saveexec_b64 s[4:5], s[2:3]
	s_cbranch_execnz .LBB216_84
	s_branch .LBB216_96
	.section	.rodata,"a",@progbits
	.p2align	6, 0x0
	.amdhsa_kernel _ZN7rocprim17ROCPRIM_400000_NS6detail17trampoline_kernelINS0_14default_configENS1_25partition_config_selectorILNS1_17partition_subalgoE2ExNS0_10empty_typeEbEEZZNS1_14partition_implILS5_2ELb0ES3_jN6thrust23THRUST_200600_302600_NS6detail15normal_iteratorINSA_7pointerIxNSA_11hip_rocprim3tagENSA_11use_defaultESG_EEEEPS6_NSA_18transform_iteratorI7is_evenIxENSC_INSA_10device_ptrIxEEEESG_SG_EENS0_5tupleIJPxSJ_EEENSR_IJSJ_SJ_EEES6_PlJS6_EEE10hipError_tPvRmT3_T4_T5_T6_T7_T9_mT8_P12ihipStream_tbDpT10_ENKUlT_T0_E_clISt17integral_constantIbLb0EES1E_IbLb1EEEEDaS1A_S1B_EUlS1A_E_NS1_11comp_targetILNS1_3genE4ELNS1_11target_archE910ELNS1_3gpuE8ELNS1_3repE0EEENS1_30default_config_static_selectorELNS0_4arch9wavefront6targetE1EEEvT1_
		.amdhsa_group_segment_fixed_size 6344
		.amdhsa_private_segment_fixed_size 0
		.amdhsa_kernarg_size 144
		.amdhsa_user_sgpr_count 6
		.amdhsa_user_sgpr_private_segment_buffer 1
		.amdhsa_user_sgpr_dispatch_ptr 0
		.amdhsa_user_sgpr_queue_ptr 0
		.amdhsa_user_sgpr_kernarg_segment_ptr 1
		.amdhsa_user_sgpr_dispatch_id 0
		.amdhsa_user_sgpr_flat_scratch_init 0
		.amdhsa_user_sgpr_kernarg_preload_length 0
		.amdhsa_user_sgpr_kernarg_preload_offset 0
		.amdhsa_user_sgpr_private_segment_size 0
		.amdhsa_uses_dynamic_stack 0
		.amdhsa_system_sgpr_private_segment_wavefront_offset 0
		.amdhsa_system_sgpr_workgroup_id_x 1
		.amdhsa_system_sgpr_workgroup_id_y 0
		.amdhsa_system_sgpr_workgroup_id_z 0
		.amdhsa_system_sgpr_workgroup_info 0
		.amdhsa_system_vgpr_workitem_id 0
		.amdhsa_next_free_vgpr 45
		.amdhsa_next_free_sgpr 46
		.amdhsa_accum_offset 48
		.amdhsa_reserve_vcc 1
		.amdhsa_reserve_flat_scratch 0
		.amdhsa_float_round_mode_32 0
		.amdhsa_float_round_mode_16_64 0
		.amdhsa_float_denorm_mode_32 3
		.amdhsa_float_denorm_mode_16_64 3
		.amdhsa_dx10_clamp 1
		.amdhsa_ieee_mode 1
		.amdhsa_fp16_overflow 0
		.amdhsa_tg_split 0
		.amdhsa_exception_fp_ieee_invalid_op 0
		.amdhsa_exception_fp_denorm_src 0
		.amdhsa_exception_fp_ieee_div_zero 0
		.amdhsa_exception_fp_ieee_overflow 0
		.amdhsa_exception_fp_ieee_underflow 0
		.amdhsa_exception_fp_ieee_inexact 0
		.amdhsa_exception_int_div_zero 0
	.end_amdhsa_kernel
	.section	.text._ZN7rocprim17ROCPRIM_400000_NS6detail17trampoline_kernelINS0_14default_configENS1_25partition_config_selectorILNS1_17partition_subalgoE2ExNS0_10empty_typeEbEEZZNS1_14partition_implILS5_2ELb0ES3_jN6thrust23THRUST_200600_302600_NS6detail15normal_iteratorINSA_7pointerIxNSA_11hip_rocprim3tagENSA_11use_defaultESG_EEEEPS6_NSA_18transform_iteratorI7is_evenIxENSC_INSA_10device_ptrIxEEEESG_SG_EENS0_5tupleIJPxSJ_EEENSR_IJSJ_SJ_EEES6_PlJS6_EEE10hipError_tPvRmT3_T4_T5_T6_T7_T9_mT8_P12ihipStream_tbDpT10_ENKUlT_T0_E_clISt17integral_constantIbLb0EES1E_IbLb1EEEEDaS1A_S1B_EUlS1A_E_NS1_11comp_targetILNS1_3genE4ELNS1_11target_archE910ELNS1_3gpuE8ELNS1_3repE0EEENS1_30default_config_static_selectorELNS0_4arch9wavefront6targetE1EEEvT1_,"axG",@progbits,_ZN7rocprim17ROCPRIM_400000_NS6detail17trampoline_kernelINS0_14default_configENS1_25partition_config_selectorILNS1_17partition_subalgoE2ExNS0_10empty_typeEbEEZZNS1_14partition_implILS5_2ELb0ES3_jN6thrust23THRUST_200600_302600_NS6detail15normal_iteratorINSA_7pointerIxNSA_11hip_rocprim3tagENSA_11use_defaultESG_EEEEPS6_NSA_18transform_iteratorI7is_evenIxENSC_INSA_10device_ptrIxEEEESG_SG_EENS0_5tupleIJPxSJ_EEENSR_IJSJ_SJ_EEES6_PlJS6_EEE10hipError_tPvRmT3_T4_T5_T6_T7_T9_mT8_P12ihipStream_tbDpT10_ENKUlT_T0_E_clISt17integral_constantIbLb0EES1E_IbLb1EEEEDaS1A_S1B_EUlS1A_E_NS1_11comp_targetILNS1_3genE4ELNS1_11target_archE910ELNS1_3gpuE8ELNS1_3repE0EEENS1_30default_config_static_selectorELNS0_4arch9wavefront6targetE1EEEvT1_,comdat
.Lfunc_end216:
	.size	_ZN7rocprim17ROCPRIM_400000_NS6detail17trampoline_kernelINS0_14default_configENS1_25partition_config_selectorILNS1_17partition_subalgoE2ExNS0_10empty_typeEbEEZZNS1_14partition_implILS5_2ELb0ES3_jN6thrust23THRUST_200600_302600_NS6detail15normal_iteratorINSA_7pointerIxNSA_11hip_rocprim3tagENSA_11use_defaultESG_EEEEPS6_NSA_18transform_iteratorI7is_evenIxENSC_INSA_10device_ptrIxEEEESG_SG_EENS0_5tupleIJPxSJ_EEENSR_IJSJ_SJ_EEES6_PlJS6_EEE10hipError_tPvRmT3_T4_T5_T6_T7_T9_mT8_P12ihipStream_tbDpT10_ENKUlT_T0_E_clISt17integral_constantIbLb0EES1E_IbLb1EEEEDaS1A_S1B_EUlS1A_E_NS1_11comp_targetILNS1_3genE4ELNS1_11target_archE910ELNS1_3gpuE8ELNS1_3repE0EEENS1_30default_config_static_selectorELNS0_4arch9wavefront6targetE1EEEvT1_, .Lfunc_end216-_ZN7rocprim17ROCPRIM_400000_NS6detail17trampoline_kernelINS0_14default_configENS1_25partition_config_selectorILNS1_17partition_subalgoE2ExNS0_10empty_typeEbEEZZNS1_14partition_implILS5_2ELb0ES3_jN6thrust23THRUST_200600_302600_NS6detail15normal_iteratorINSA_7pointerIxNSA_11hip_rocprim3tagENSA_11use_defaultESG_EEEEPS6_NSA_18transform_iteratorI7is_evenIxENSC_INSA_10device_ptrIxEEEESG_SG_EENS0_5tupleIJPxSJ_EEENSR_IJSJ_SJ_EEES6_PlJS6_EEE10hipError_tPvRmT3_T4_T5_T6_T7_T9_mT8_P12ihipStream_tbDpT10_ENKUlT_T0_E_clISt17integral_constantIbLb0EES1E_IbLb1EEEEDaS1A_S1B_EUlS1A_E_NS1_11comp_targetILNS1_3genE4ELNS1_11target_archE910ELNS1_3gpuE8ELNS1_3repE0EEENS1_30default_config_static_selectorELNS0_4arch9wavefront6targetE1EEEvT1_
                                        ; -- End function
	.section	.AMDGPU.csdata,"",@progbits
; Kernel info:
; codeLenInByte = 4484
; NumSgprs: 50
; NumVgprs: 45
; NumAgprs: 0
; TotalNumVgprs: 45
; ScratchSize: 0
; MemoryBound: 0
; FloatMode: 240
; IeeeMode: 1
; LDSByteSize: 6344 bytes/workgroup (compile time only)
; SGPRBlocks: 6
; VGPRBlocks: 5
; NumSGPRsForWavesPerEU: 50
; NumVGPRsForWavesPerEU: 45
; AccumOffset: 48
; Occupancy: 8
; WaveLimiterHint : 1
; COMPUTE_PGM_RSRC2:SCRATCH_EN: 0
; COMPUTE_PGM_RSRC2:USER_SGPR: 6
; COMPUTE_PGM_RSRC2:TRAP_HANDLER: 0
; COMPUTE_PGM_RSRC2:TGID_X_EN: 1
; COMPUTE_PGM_RSRC2:TGID_Y_EN: 0
; COMPUTE_PGM_RSRC2:TGID_Z_EN: 0
; COMPUTE_PGM_RSRC2:TIDIG_COMP_CNT: 0
; COMPUTE_PGM_RSRC3_GFX90A:ACCUM_OFFSET: 11
; COMPUTE_PGM_RSRC3_GFX90A:TG_SPLIT: 0
	.section	.text._ZN7rocprim17ROCPRIM_400000_NS6detail17trampoline_kernelINS0_14default_configENS1_25partition_config_selectorILNS1_17partition_subalgoE2ExNS0_10empty_typeEbEEZZNS1_14partition_implILS5_2ELb0ES3_jN6thrust23THRUST_200600_302600_NS6detail15normal_iteratorINSA_7pointerIxNSA_11hip_rocprim3tagENSA_11use_defaultESG_EEEEPS6_NSA_18transform_iteratorI7is_evenIxENSC_INSA_10device_ptrIxEEEESG_SG_EENS0_5tupleIJPxSJ_EEENSR_IJSJ_SJ_EEES6_PlJS6_EEE10hipError_tPvRmT3_T4_T5_T6_T7_T9_mT8_P12ihipStream_tbDpT10_ENKUlT_T0_E_clISt17integral_constantIbLb0EES1E_IbLb1EEEEDaS1A_S1B_EUlS1A_E_NS1_11comp_targetILNS1_3genE3ELNS1_11target_archE908ELNS1_3gpuE7ELNS1_3repE0EEENS1_30default_config_static_selectorELNS0_4arch9wavefront6targetE1EEEvT1_,"axG",@progbits,_ZN7rocprim17ROCPRIM_400000_NS6detail17trampoline_kernelINS0_14default_configENS1_25partition_config_selectorILNS1_17partition_subalgoE2ExNS0_10empty_typeEbEEZZNS1_14partition_implILS5_2ELb0ES3_jN6thrust23THRUST_200600_302600_NS6detail15normal_iteratorINSA_7pointerIxNSA_11hip_rocprim3tagENSA_11use_defaultESG_EEEEPS6_NSA_18transform_iteratorI7is_evenIxENSC_INSA_10device_ptrIxEEEESG_SG_EENS0_5tupleIJPxSJ_EEENSR_IJSJ_SJ_EEES6_PlJS6_EEE10hipError_tPvRmT3_T4_T5_T6_T7_T9_mT8_P12ihipStream_tbDpT10_ENKUlT_T0_E_clISt17integral_constantIbLb0EES1E_IbLb1EEEEDaS1A_S1B_EUlS1A_E_NS1_11comp_targetILNS1_3genE3ELNS1_11target_archE908ELNS1_3gpuE7ELNS1_3repE0EEENS1_30default_config_static_selectorELNS0_4arch9wavefront6targetE1EEEvT1_,comdat
	.protected	_ZN7rocprim17ROCPRIM_400000_NS6detail17trampoline_kernelINS0_14default_configENS1_25partition_config_selectorILNS1_17partition_subalgoE2ExNS0_10empty_typeEbEEZZNS1_14partition_implILS5_2ELb0ES3_jN6thrust23THRUST_200600_302600_NS6detail15normal_iteratorINSA_7pointerIxNSA_11hip_rocprim3tagENSA_11use_defaultESG_EEEEPS6_NSA_18transform_iteratorI7is_evenIxENSC_INSA_10device_ptrIxEEEESG_SG_EENS0_5tupleIJPxSJ_EEENSR_IJSJ_SJ_EEES6_PlJS6_EEE10hipError_tPvRmT3_T4_T5_T6_T7_T9_mT8_P12ihipStream_tbDpT10_ENKUlT_T0_E_clISt17integral_constantIbLb0EES1E_IbLb1EEEEDaS1A_S1B_EUlS1A_E_NS1_11comp_targetILNS1_3genE3ELNS1_11target_archE908ELNS1_3gpuE7ELNS1_3repE0EEENS1_30default_config_static_selectorELNS0_4arch9wavefront6targetE1EEEvT1_ ; -- Begin function _ZN7rocprim17ROCPRIM_400000_NS6detail17trampoline_kernelINS0_14default_configENS1_25partition_config_selectorILNS1_17partition_subalgoE2ExNS0_10empty_typeEbEEZZNS1_14partition_implILS5_2ELb0ES3_jN6thrust23THRUST_200600_302600_NS6detail15normal_iteratorINSA_7pointerIxNSA_11hip_rocprim3tagENSA_11use_defaultESG_EEEEPS6_NSA_18transform_iteratorI7is_evenIxENSC_INSA_10device_ptrIxEEEESG_SG_EENS0_5tupleIJPxSJ_EEENSR_IJSJ_SJ_EEES6_PlJS6_EEE10hipError_tPvRmT3_T4_T5_T6_T7_T9_mT8_P12ihipStream_tbDpT10_ENKUlT_T0_E_clISt17integral_constantIbLb0EES1E_IbLb1EEEEDaS1A_S1B_EUlS1A_E_NS1_11comp_targetILNS1_3genE3ELNS1_11target_archE908ELNS1_3gpuE7ELNS1_3repE0EEENS1_30default_config_static_selectorELNS0_4arch9wavefront6targetE1EEEvT1_
	.globl	_ZN7rocprim17ROCPRIM_400000_NS6detail17trampoline_kernelINS0_14default_configENS1_25partition_config_selectorILNS1_17partition_subalgoE2ExNS0_10empty_typeEbEEZZNS1_14partition_implILS5_2ELb0ES3_jN6thrust23THRUST_200600_302600_NS6detail15normal_iteratorINSA_7pointerIxNSA_11hip_rocprim3tagENSA_11use_defaultESG_EEEEPS6_NSA_18transform_iteratorI7is_evenIxENSC_INSA_10device_ptrIxEEEESG_SG_EENS0_5tupleIJPxSJ_EEENSR_IJSJ_SJ_EEES6_PlJS6_EEE10hipError_tPvRmT3_T4_T5_T6_T7_T9_mT8_P12ihipStream_tbDpT10_ENKUlT_T0_E_clISt17integral_constantIbLb0EES1E_IbLb1EEEEDaS1A_S1B_EUlS1A_E_NS1_11comp_targetILNS1_3genE3ELNS1_11target_archE908ELNS1_3gpuE7ELNS1_3repE0EEENS1_30default_config_static_selectorELNS0_4arch9wavefront6targetE1EEEvT1_
	.p2align	8
	.type	_ZN7rocprim17ROCPRIM_400000_NS6detail17trampoline_kernelINS0_14default_configENS1_25partition_config_selectorILNS1_17partition_subalgoE2ExNS0_10empty_typeEbEEZZNS1_14partition_implILS5_2ELb0ES3_jN6thrust23THRUST_200600_302600_NS6detail15normal_iteratorINSA_7pointerIxNSA_11hip_rocprim3tagENSA_11use_defaultESG_EEEEPS6_NSA_18transform_iteratorI7is_evenIxENSC_INSA_10device_ptrIxEEEESG_SG_EENS0_5tupleIJPxSJ_EEENSR_IJSJ_SJ_EEES6_PlJS6_EEE10hipError_tPvRmT3_T4_T5_T6_T7_T9_mT8_P12ihipStream_tbDpT10_ENKUlT_T0_E_clISt17integral_constantIbLb0EES1E_IbLb1EEEEDaS1A_S1B_EUlS1A_E_NS1_11comp_targetILNS1_3genE3ELNS1_11target_archE908ELNS1_3gpuE7ELNS1_3repE0EEENS1_30default_config_static_selectorELNS0_4arch9wavefront6targetE1EEEvT1_,@function
_ZN7rocprim17ROCPRIM_400000_NS6detail17trampoline_kernelINS0_14default_configENS1_25partition_config_selectorILNS1_17partition_subalgoE2ExNS0_10empty_typeEbEEZZNS1_14partition_implILS5_2ELb0ES3_jN6thrust23THRUST_200600_302600_NS6detail15normal_iteratorINSA_7pointerIxNSA_11hip_rocprim3tagENSA_11use_defaultESG_EEEEPS6_NSA_18transform_iteratorI7is_evenIxENSC_INSA_10device_ptrIxEEEESG_SG_EENS0_5tupleIJPxSJ_EEENSR_IJSJ_SJ_EEES6_PlJS6_EEE10hipError_tPvRmT3_T4_T5_T6_T7_T9_mT8_P12ihipStream_tbDpT10_ENKUlT_T0_E_clISt17integral_constantIbLb0EES1E_IbLb1EEEEDaS1A_S1B_EUlS1A_E_NS1_11comp_targetILNS1_3genE3ELNS1_11target_archE908ELNS1_3gpuE7ELNS1_3repE0EEENS1_30default_config_static_selectorELNS0_4arch9wavefront6targetE1EEEvT1_: ; @_ZN7rocprim17ROCPRIM_400000_NS6detail17trampoline_kernelINS0_14default_configENS1_25partition_config_selectorILNS1_17partition_subalgoE2ExNS0_10empty_typeEbEEZZNS1_14partition_implILS5_2ELb0ES3_jN6thrust23THRUST_200600_302600_NS6detail15normal_iteratorINSA_7pointerIxNSA_11hip_rocprim3tagENSA_11use_defaultESG_EEEEPS6_NSA_18transform_iteratorI7is_evenIxENSC_INSA_10device_ptrIxEEEESG_SG_EENS0_5tupleIJPxSJ_EEENSR_IJSJ_SJ_EEES6_PlJS6_EEE10hipError_tPvRmT3_T4_T5_T6_T7_T9_mT8_P12ihipStream_tbDpT10_ENKUlT_T0_E_clISt17integral_constantIbLb0EES1E_IbLb1EEEEDaS1A_S1B_EUlS1A_E_NS1_11comp_targetILNS1_3genE3ELNS1_11target_archE908ELNS1_3gpuE7ELNS1_3repE0EEENS1_30default_config_static_selectorELNS0_4arch9wavefront6targetE1EEEvT1_
; %bb.0:
	.section	.rodata,"a",@progbits
	.p2align	6, 0x0
	.amdhsa_kernel _ZN7rocprim17ROCPRIM_400000_NS6detail17trampoline_kernelINS0_14default_configENS1_25partition_config_selectorILNS1_17partition_subalgoE2ExNS0_10empty_typeEbEEZZNS1_14partition_implILS5_2ELb0ES3_jN6thrust23THRUST_200600_302600_NS6detail15normal_iteratorINSA_7pointerIxNSA_11hip_rocprim3tagENSA_11use_defaultESG_EEEEPS6_NSA_18transform_iteratorI7is_evenIxENSC_INSA_10device_ptrIxEEEESG_SG_EENS0_5tupleIJPxSJ_EEENSR_IJSJ_SJ_EEES6_PlJS6_EEE10hipError_tPvRmT3_T4_T5_T6_T7_T9_mT8_P12ihipStream_tbDpT10_ENKUlT_T0_E_clISt17integral_constantIbLb0EES1E_IbLb1EEEEDaS1A_S1B_EUlS1A_E_NS1_11comp_targetILNS1_3genE3ELNS1_11target_archE908ELNS1_3gpuE7ELNS1_3repE0EEENS1_30default_config_static_selectorELNS0_4arch9wavefront6targetE1EEEvT1_
		.amdhsa_group_segment_fixed_size 0
		.amdhsa_private_segment_fixed_size 0
		.amdhsa_kernarg_size 144
		.amdhsa_user_sgpr_count 6
		.amdhsa_user_sgpr_private_segment_buffer 1
		.amdhsa_user_sgpr_dispatch_ptr 0
		.amdhsa_user_sgpr_queue_ptr 0
		.amdhsa_user_sgpr_kernarg_segment_ptr 1
		.amdhsa_user_sgpr_dispatch_id 0
		.amdhsa_user_sgpr_flat_scratch_init 0
		.amdhsa_user_sgpr_kernarg_preload_length 0
		.amdhsa_user_sgpr_kernarg_preload_offset 0
		.amdhsa_user_sgpr_private_segment_size 0
		.amdhsa_uses_dynamic_stack 0
		.amdhsa_system_sgpr_private_segment_wavefront_offset 0
		.amdhsa_system_sgpr_workgroup_id_x 1
		.amdhsa_system_sgpr_workgroup_id_y 0
		.amdhsa_system_sgpr_workgroup_id_z 0
		.amdhsa_system_sgpr_workgroup_info 0
		.amdhsa_system_vgpr_workitem_id 0
		.amdhsa_next_free_vgpr 1
		.amdhsa_next_free_sgpr 0
		.amdhsa_accum_offset 4
		.amdhsa_reserve_vcc 0
		.amdhsa_reserve_flat_scratch 0
		.amdhsa_float_round_mode_32 0
		.amdhsa_float_round_mode_16_64 0
		.amdhsa_float_denorm_mode_32 3
		.amdhsa_float_denorm_mode_16_64 3
		.amdhsa_dx10_clamp 1
		.amdhsa_ieee_mode 1
		.amdhsa_fp16_overflow 0
		.amdhsa_tg_split 0
		.amdhsa_exception_fp_ieee_invalid_op 0
		.amdhsa_exception_fp_denorm_src 0
		.amdhsa_exception_fp_ieee_div_zero 0
		.amdhsa_exception_fp_ieee_overflow 0
		.amdhsa_exception_fp_ieee_underflow 0
		.amdhsa_exception_fp_ieee_inexact 0
		.amdhsa_exception_int_div_zero 0
	.end_amdhsa_kernel
	.section	.text._ZN7rocprim17ROCPRIM_400000_NS6detail17trampoline_kernelINS0_14default_configENS1_25partition_config_selectorILNS1_17partition_subalgoE2ExNS0_10empty_typeEbEEZZNS1_14partition_implILS5_2ELb0ES3_jN6thrust23THRUST_200600_302600_NS6detail15normal_iteratorINSA_7pointerIxNSA_11hip_rocprim3tagENSA_11use_defaultESG_EEEEPS6_NSA_18transform_iteratorI7is_evenIxENSC_INSA_10device_ptrIxEEEESG_SG_EENS0_5tupleIJPxSJ_EEENSR_IJSJ_SJ_EEES6_PlJS6_EEE10hipError_tPvRmT3_T4_T5_T6_T7_T9_mT8_P12ihipStream_tbDpT10_ENKUlT_T0_E_clISt17integral_constantIbLb0EES1E_IbLb1EEEEDaS1A_S1B_EUlS1A_E_NS1_11comp_targetILNS1_3genE3ELNS1_11target_archE908ELNS1_3gpuE7ELNS1_3repE0EEENS1_30default_config_static_selectorELNS0_4arch9wavefront6targetE1EEEvT1_,"axG",@progbits,_ZN7rocprim17ROCPRIM_400000_NS6detail17trampoline_kernelINS0_14default_configENS1_25partition_config_selectorILNS1_17partition_subalgoE2ExNS0_10empty_typeEbEEZZNS1_14partition_implILS5_2ELb0ES3_jN6thrust23THRUST_200600_302600_NS6detail15normal_iteratorINSA_7pointerIxNSA_11hip_rocprim3tagENSA_11use_defaultESG_EEEEPS6_NSA_18transform_iteratorI7is_evenIxENSC_INSA_10device_ptrIxEEEESG_SG_EENS0_5tupleIJPxSJ_EEENSR_IJSJ_SJ_EEES6_PlJS6_EEE10hipError_tPvRmT3_T4_T5_T6_T7_T9_mT8_P12ihipStream_tbDpT10_ENKUlT_T0_E_clISt17integral_constantIbLb0EES1E_IbLb1EEEEDaS1A_S1B_EUlS1A_E_NS1_11comp_targetILNS1_3genE3ELNS1_11target_archE908ELNS1_3gpuE7ELNS1_3repE0EEENS1_30default_config_static_selectorELNS0_4arch9wavefront6targetE1EEEvT1_,comdat
.Lfunc_end217:
	.size	_ZN7rocprim17ROCPRIM_400000_NS6detail17trampoline_kernelINS0_14default_configENS1_25partition_config_selectorILNS1_17partition_subalgoE2ExNS0_10empty_typeEbEEZZNS1_14partition_implILS5_2ELb0ES3_jN6thrust23THRUST_200600_302600_NS6detail15normal_iteratorINSA_7pointerIxNSA_11hip_rocprim3tagENSA_11use_defaultESG_EEEEPS6_NSA_18transform_iteratorI7is_evenIxENSC_INSA_10device_ptrIxEEEESG_SG_EENS0_5tupleIJPxSJ_EEENSR_IJSJ_SJ_EEES6_PlJS6_EEE10hipError_tPvRmT3_T4_T5_T6_T7_T9_mT8_P12ihipStream_tbDpT10_ENKUlT_T0_E_clISt17integral_constantIbLb0EES1E_IbLb1EEEEDaS1A_S1B_EUlS1A_E_NS1_11comp_targetILNS1_3genE3ELNS1_11target_archE908ELNS1_3gpuE7ELNS1_3repE0EEENS1_30default_config_static_selectorELNS0_4arch9wavefront6targetE1EEEvT1_, .Lfunc_end217-_ZN7rocprim17ROCPRIM_400000_NS6detail17trampoline_kernelINS0_14default_configENS1_25partition_config_selectorILNS1_17partition_subalgoE2ExNS0_10empty_typeEbEEZZNS1_14partition_implILS5_2ELb0ES3_jN6thrust23THRUST_200600_302600_NS6detail15normal_iteratorINSA_7pointerIxNSA_11hip_rocprim3tagENSA_11use_defaultESG_EEEEPS6_NSA_18transform_iteratorI7is_evenIxENSC_INSA_10device_ptrIxEEEESG_SG_EENS0_5tupleIJPxSJ_EEENSR_IJSJ_SJ_EEES6_PlJS6_EEE10hipError_tPvRmT3_T4_T5_T6_T7_T9_mT8_P12ihipStream_tbDpT10_ENKUlT_T0_E_clISt17integral_constantIbLb0EES1E_IbLb1EEEEDaS1A_S1B_EUlS1A_E_NS1_11comp_targetILNS1_3genE3ELNS1_11target_archE908ELNS1_3gpuE7ELNS1_3repE0EEENS1_30default_config_static_selectorELNS0_4arch9wavefront6targetE1EEEvT1_
                                        ; -- End function
	.section	.AMDGPU.csdata,"",@progbits
; Kernel info:
; codeLenInByte = 0
; NumSgprs: 4
; NumVgprs: 0
; NumAgprs: 0
; TotalNumVgprs: 0
; ScratchSize: 0
; MemoryBound: 0
; FloatMode: 240
; IeeeMode: 1
; LDSByteSize: 0 bytes/workgroup (compile time only)
; SGPRBlocks: 0
; VGPRBlocks: 0
; NumSGPRsForWavesPerEU: 4
; NumVGPRsForWavesPerEU: 1
; AccumOffset: 4
; Occupancy: 8
; WaveLimiterHint : 0
; COMPUTE_PGM_RSRC2:SCRATCH_EN: 0
; COMPUTE_PGM_RSRC2:USER_SGPR: 6
; COMPUTE_PGM_RSRC2:TRAP_HANDLER: 0
; COMPUTE_PGM_RSRC2:TGID_X_EN: 1
; COMPUTE_PGM_RSRC2:TGID_Y_EN: 0
; COMPUTE_PGM_RSRC2:TGID_Z_EN: 0
; COMPUTE_PGM_RSRC2:TIDIG_COMP_CNT: 0
; COMPUTE_PGM_RSRC3_GFX90A:ACCUM_OFFSET: 0
; COMPUTE_PGM_RSRC3_GFX90A:TG_SPLIT: 0
	.section	.text._ZN7rocprim17ROCPRIM_400000_NS6detail17trampoline_kernelINS0_14default_configENS1_25partition_config_selectorILNS1_17partition_subalgoE2ExNS0_10empty_typeEbEEZZNS1_14partition_implILS5_2ELb0ES3_jN6thrust23THRUST_200600_302600_NS6detail15normal_iteratorINSA_7pointerIxNSA_11hip_rocprim3tagENSA_11use_defaultESG_EEEEPS6_NSA_18transform_iteratorI7is_evenIxENSC_INSA_10device_ptrIxEEEESG_SG_EENS0_5tupleIJPxSJ_EEENSR_IJSJ_SJ_EEES6_PlJS6_EEE10hipError_tPvRmT3_T4_T5_T6_T7_T9_mT8_P12ihipStream_tbDpT10_ENKUlT_T0_E_clISt17integral_constantIbLb0EES1E_IbLb1EEEEDaS1A_S1B_EUlS1A_E_NS1_11comp_targetILNS1_3genE2ELNS1_11target_archE906ELNS1_3gpuE6ELNS1_3repE0EEENS1_30default_config_static_selectorELNS0_4arch9wavefront6targetE1EEEvT1_,"axG",@progbits,_ZN7rocprim17ROCPRIM_400000_NS6detail17trampoline_kernelINS0_14default_configENS1_25partition_config_selectorILNS1_17partition_subalgoE2ExNS0_10empty_typeEbEEZZNS1_14partition_implILS5_2ELb0ES3_jN6thrust23THRUST_200600_302600_NS6detail15normal_iteratorINSA_7pointerIxNSA_11hip_rocprim3tagENSA_11use_defaultESG_EEEEPS6_NSA_18transform_iteratorI7is_evenIxENSC_INSA_10device_ptrIxEEEESG_SG_EENS0_5tupleIJPxSJ_EEENSR_IJSJ_SJ_EEES6_PlJS6_EEE10hipError_tPvRmT3_T4_T5_T6_T7_T9_mT8_P12ihipStream_tbDpT10_ENKUlT_T0_E_clISt17integral_constantIbLb0EES1E_IbLb1EEEEDaS1A_S1B_EUlS1A_E_NS1_11comp_targetILNS1_3genE2ELNS1_11target_archE906ELNS1_3gpuE6ELNS1_3repE0EEENS1_30default_config_static_selectorELNS0_4arch9wavefront6targetE1EEEvT1_,comdat
	.protected	_ZN7rocprim17ROCPRIM_400000_NS6detail17trampoline_kernelINS0_14default_configENS1_25partition_config_selectorILNS1_17partition_subalgoE2ExNS0_10empty_typeEbEEZZNS1_14partition_implILS5_2ELb0ES3_jN6thrust23THRUST_200600_302600_NS6detail15normal_iteratorINSA_7pointerIxNSA_11hip_rocprim3tagENSA_11use_defaultESG_EEEEPS6_NSA_18transform_iteratorI7is_evenIxENSC_INSA_10device_ptrIxEEEESG_SG_EENS0_5tupleIJPxSJ_EEENSR_IJSJ_SJ_EEES6_PlJS6_EEE10hipError_tPvRmT3_T4_T5_T6_T7_T9_mT8_P12ihipStream_tbDpT10_ENKUlT_T0_E_clISt17integral_constantIbLb0EES1E_IbLb1EEEEDaS1A_S1B_EUlS1A_E_NS1_11comp_targetILNS1_3genE2ELNS1_11target_archE906ELNS1_3gpuE6ELNS1_3repE0EEENS1_30default_config_static_selectorELNS0_4arch9wavefront6targetE1EEEvT1_ ; -- Begin function _ZN7rocprim17ROCPRIM_400000_NS6detail17trampoline_kernelINS0_14default_configENS1_25partition_config_selectorILNS1_17partition_subalgoE2ExNS0_10empty_typeEbEEZZNS1_14partition_implILS5_2ELb0ES3_jN6thrust23THRUST_200600_302600_NS6detail15normal_iteratorINSA_7pointerIxNSA_11hip_rocprim3tagENSA_11use_defaultESG_EEEEPS6_NSA_18transform_iteratorI7is_evenIxENSC_INSA_10device_ptrIxEEEESG_SG_EENS0_5tupleIJPxSJ_EEENSR_IJSJ_SJ_EEES6_PlJS6_EEE10hipError_tPvRmT3_T4_T5_T6_T7_T9_mT8_P12ihipStream_tbDpT10_ENKUlT_T0_E_clISt17integral_constantIbLb0EES1E_IbLb1EEEEDaS1A_S1B_EUlS1A_E_NS1_11comp_targetILNS1_3genE2ELNS1_11target_archE906ELNS1_3gpuE6ELNS1_3repE0EEENS1_30default_config_static_selectorELNS0_4arch9wavefront6targetE1EEEvT1_
	.globl	_ZN7rocprim17ROCPRIM_400000_NS6detail17trampoline_kernelINS0_14default_configENS1_25partition_config_selectorILNS1_17partition_subalgoE2ExNS0_10empty_typeEbEEZZNS1_14partition_implILS5_2ELb0ES3_jN6thrust23THRUST_200600_302600_NS6detail15normal_iteratorINSA_7pointerIxNSA_11hip_rocprim3tagENSA_11use_defaultESG_EEEEPS6_NSA_18transform_iteratorI7is_evenIxENSC_INSA_10device_ptrIxEEEESG_SG_EENS0_5tupleIJPxSJ_EEENSR_IJSJ_SJ_EEES6_PlJS6_EEE10hipError_tPvRmT3_T4_T5_T6_T7_T9_mT8_P12ihipStream_tbDpT10_ENKUlT_T0_E_clISt17integral_constantIbLb0EES1E_IbLb1EEEEDaS1A_S1B_EUlS1A_E_NS1_11comp_targetILNS1_3genE2ELNS1_11target_archE906ELNS1_3gpuE6ELNS1_3repE0EEENS1_30default_config_static_selectorELNS0_4arch9wavefront6targetE1EEEvT1_
	.p2align	8
	.type	_ZN7rocprim17ROCPRIM_400000_NS6detail17trampoline_kernelINS0_14default_configENS1_25partition_config_selectorILNS1_17partition_subalgoE2ExNS0_10empty_typeEbEEZZNS1_14partition_implILS5_2ELb0ES3_jN6thrust23THRUST_200600_302600_NS6detail15normal_iteratorINSA_7pointerIxNSA_11hip_rocprim3tagENSA_11use_defaultESG_EEEEPS6_NSA_18transform_iteratorI7is_evenIxENSC_INSA_10device_ptrIxEEEESG_SG_EENS0_5tupleIJPxSJ_EEENSR_IJSJ_SJ_EEES6_PlJS6_EEE10hipError_tPvRmT3_T4_T5_T6_T7_T9_mT8_P12ihipStream_tbDpT10_ENKUlT_T0_E_clISt17integral_constantIbLb0EES1E_IbLb1EEEEDaS1A_S1B_EUlS1A_E_NS1_11comp_targetILNS1_3genE2ELNS1_11target_archE906ELNS1_3gpuE6ELNS1_3repE0EEENS1_30default_config_static_selectorELNS0_4arch9wavefront6targetE1EEEvT1_,@function
_ZN7rocprim17ROCPRIM_400000_NS6detail17trampoline_kernelINS0_14default_configENS1_25partition_config_selectorILNS1_17partition_subalgoE2ExNS0_10empty_typeEbEEZZNS1_14partition_implILS5_2ELb0ES3_jN6thrust23THRUST_200600_302600_NS6detail15normal_iteratorINSA_7pointerIxNSA_11hip_rocprim3tagENSA_11use_defaultESG_EEEEPS6_NSA_18transform_iteratorI7is_evenIxENSC_INSA_10device_ptrIxEEEESG_SG_EENS0_5tupleIJPxSJ_EEENSR_IJSJ_SJ_EEES6_PlJS6_EEE10hipError_tPvRmT3_T4_T5_T6_T7_T9_mT8_P12ihipStream_tbDpT10_ENKUlT_T0_E_clISt17integral_constantIbLb0EES1E_IbLb1EEEEDaS1A_S1B_EUlS1A_E_NS1_11comp_targetILNS1_3genE2ELNS1_11target_archE906ELNS1_3gpuE6ELNS1_3repE0EEENS1_30default_config_static_selectorELNS0_4arch9wavefront6targetE1EEEvT1_: ; @_ZN7rocprim17ROCPRIM_400000_NS6detail17trampoline_kernelINS0_14default_configENS1_25partition_config_selectorILNS1_17partition_subalgoE2ExNS0_10empty_typeEbEEZZNS1_14partition_implILS5_2ELb0ES3_jN6thrust23THRUST_200600_302600_NS6detail15normal_iteratorINSA_7pointerIxNSA_11hip_rocprim3tagENSA_11use_defaultESG_EEEEPS6_NSA_18transform_iteratorI7is_evenIxENSC_INSA_10device_ptrIxEEEESG_SG_EENS0_5tupleIJPxSJ_EEENSR_IJSJ_SJ_EEES6_PlJS6_EEE10hipError_tPvRmT3_T4_T5_T6_T7_T9_mT8_P12ihipStream_tbDpT10_ENKUlT_T0_E_clISt17integral_constantIbLb0EES1E_IbLb1EEEEDaS1A_S1B_EUlS1A_E_NS1_11comp_targetILNS1_3genE2ELNS1_11target_archE906ELNS1_3gpuE6ELNS1_3repE0EEENS1_30default_config_static_selectorELNS0_4arch9wavefront6targetE1EEEvT1_
; %bb.0:
	.section	.rodata,"a",@progbits
	.p2align	6, 0x0
	.amdhsa_kernel _ZN7rocprim17ROCPRIM_400000_NS6detail17trampoline_kernelINS0_14default_configENS1_25partition_config_selectorILNS1_17partition_subalgoE2ExNS0_10empty_typeEbEEZZNS1_14partition_implILS5_2ELb0ES3_jN6thrust23THRUST_200600_302600_NS6detail15normal_iteratorINSA_7pointerIxNSA_11hip_rocprim3tagENSA_11use_defaultESG_EEEEPS6_NSA_18transform_iteratorI7is_evenIxENSC_INSA_10device_ptrIxEEEESG_SG_EENS0_5tupleIJPxSJ_EEENSR_IJSJ_SJ_EEES6_PlJS6_EEE10hipError_tPvRmT3_T4_T5_T6_T7_T9_mT8_P12ihipStream_tbDpT10_ENKUlT_T0_E_clISt17integral_constantIbLb0EES1E_IbLb1EEEEDaS1A_S1B_EUlS1A_E_NS1_11comp_targetILNS1_3genE2ELNS1_11target_archE906ELNS1_3gpuE6ELNS1_3repE0EEENS1_30default_config_static_selectorELNS0_4arch9wavefront6targetE1EEEvT1_
		.amdhsa_group_segment_fixed_size 0
		.amdhsa_private_segment_fixed_size 0
		.amdhsa_kernarg_size 144
		.amdhsa_user_sgpr_count 6
		.amdhsa_user_sgpr_private_segment_buffer 1
		.amdhsa_user_sgpr_dispatch_ptr 0
		.amdhsa_user_sgpr_queue_ptr 0
		.amdhsa_user_sgpr_kernarg_segment_ptr 1
		.amdhsa_user_sgpr_dispatch_id 0
		.amdhsa_user_sgpr_flat_scratch_init 0
		.amdhsa_user_sgpr_kernarg_preload_length 0
		.amdhsa_user_sgpr_kernarg_preload_offset 0
		.amdhsa_user_sgpr_private_segment_size 0
		.amdhsa_uses_dynamic_stack 0
		.amdhsa_system_sgpr_private_segment_wavefront_offset 0
		.amdhsa_system_sgpr_workgroup_id_x 1
		.amdhsa_system_sgpr_workgroup_id_y 0
		.amdhsa_system_sgpr_workgroup_id_z 0
		.amdhsa_system_sgpr_workgroup_info 0
		.amdhsa_system_vgpr_workitem_id 0
		.amdhsa_next_free_vgpr 1
		.amdhsa_next_free_sgpr 0
		.amdhsa_accum_offset 4
		.amdhsa_reserve_vcc 0
		.amdhsa_reserve_flat_scratch 0
		.amdhsa_float_round_mode_32 0
		.amdhsa_float_round_mode_16_64 0
		.amdhsa_float_denorm_mode_32 3
		.amdhsa_float_denorm_mode_16_64 3
		.amdhsa_dx10_clamp 1
		.amdhsa_ieee_mode 1
		.amdhsa_fp16_overflow 0
		.amdhsa_tg_split 0
		.amdhsa_exception_fp_ieee_invalid_op 0
		.amdhsa_exception_fp_denorm_src 0
		.amdhsa_exception_fp_ieee_div_zero 0
		.amdhsa_exception_fp_ieee_overflow 0
		.amdhsa_exception_fp_ieee_underflow 0
		.amdhsa_exception_fp_ieee_inexact 0
		.amdhsa_exception_int_div_zero 0
	.end_amdhsa_kernel
	.section	.text._ZN7rocprim17ROCPRIM_400000_NS6detail17trampoline_kernelINS0_14default_configENS1_25partition_config_selectorILNS1_17partition_subalgoE2ExNS0_10empty_typeEbEEZZNS1_14partition_implILS5_2ELb0ES3_jN6thrust23THRUST_200600_302600_NS6detail15normal_iteratorINSA_7pointerIxNSA_11hip_rocprim3tagENSA_11use_defaultESG_EEEEPS6_NSA_18transform_iteratorI7is_evenIxENSC_INSA_10device_ptrIxEEEESG_SG_EENS0_5tupleIJPxSJ_EEENSR_IJSJ_SJ_EEES6_PlJS6_EEE10hipError_tPvRmT3_T4_T5_T6_T7_T9_mT8_P12ihipStream_tbDpT10_ENKUlT_T0_E_clISt17integral_constantIbLb0EES1E_IbLb1EEEEDaS1A_S1B_EUlS1A_E_NS1_11comp_targetILNS1_3genE2ELNS1_11target_archE906ELNS1_3gpuE6ELNS1_3repE0EEENS1_30default_config_static_selectorELNS0_4arch9wavefront6targetE1EEEvT1_,"axG",@progbits,_ZN7rocprim17ROCPRIM_400000_NS6detail17trampoline_kernelINS0_14default_configENS1_25partition_config_selectorILNS1_17partition_subalgoE2ExNS0_10empty_typeEbEEZZNS1_14partition_implILS5_2ELb0ES3_jN6thrust23THRUST_200600_302600_NS6detail15normal_iteratorINSA_7pointerIxNSA_11hip_rocprim3tagENSA_11use_defaultESG_EEEEPS6_NSA_18transform_iteratorI7is_evenIxENSC_INSA_10device_ptrIxEEEESG_SG_EENS0_5tupleIJPxSJ_EEENSR_IJSJ_SJ_EEES6_PlJS6_EEE10hipError_tPvRmT3_T4_T5_T6_T7_T9_mT8_P12ihipStream_tbDpT10_ENKUlT_T0_E_clISt17integral_constantIbLb0EES1E_IbLb1EEEEDaS1A_S1B_EUlS1A_E_NS1_11comp_targetILNS1_3genE2ELNS1_11target_archE906ELNS1_3gpuE6ELNS1_3repE0EEENS1_30default_config_static_selectorELNS0_4arch9wavefront6targetE1EEEvT1_,comdat
.Lfunc_end218:
	.size	_ZN7rocprim17ROCPRIM_400000_NS6detail17trampoline_kernelINS0_14default_configENS1_25partition_config_selectorILNS1_17partition_subalgoE2ExNS0_10empty_typeEbEEZZNS1_14partition_implILS5_2ELb0ES3_jN6thrust23THRUST_200600_302600_NS6detail15normal_iteratorINSA_7pointerIxNSA_11hip_rocprim3tagENSA_11use_defaultESG_EEEEPS6_NSA_18transform_iteratorI7is_evenIxENSC_INSA_10device_ptrIxEEEESG_SG_EENS0_5tupleIJPxSJ_EEENSR_IJSJ_SJ_EEES6_PlJS6_EEE10hipError_tPvRmT3_T4_T5_T6_T7_T9_mT8_P12ihipStream_tbDpT10_ENKUlT_T0_E_clISt17integral_constantIbLb0EES1E_IbLb1EEEEDaS1A_S1B_EUlS1A_E_NS1_11comp_targetILNS1_3genE2ELNS1_11target_archE906ELNS1_3gpuE6ELNS1_3repE0EEENS1_30default_config_static_selectorELNS0_4arch9wavefront6targetE1EEEvT1_, .Lfunc_end218-_ZN7rocprim17ROCPRIM_400000_NS6detail17trampoline_kernelINS0_14default_configENS1_25partition_config_selectorILNS1_17partition_subalgoE2ExNS0_10empty_typeEbEEZZNS1_14partition_implILS5_2ELb0ES3_jN6thrust23THRUST_200600_302600_NS6detail15normal_iteratorINSA_7pointerIxNSA_11hip_rocprim3tagENSA_11use_defaultESG_EEEEPS6_NSA_18transform_iteratorI7is_evenIxENSC_INSA_10device_ptrIxEEEESG_SG_EENS0_5tupleIJPxSJ_EEENSR_IJSJ_SJ_EEES6_PlJS6_EEE10hipError_tPvRmT3_T4_T5_T6_T7_T9_mT8_P12ihipStream_tbDpT10_ENKUlT_T0_E_clISt17integral_constantIbLb0EES1E_IbLb1EEEEDaS1A_S1B_EUlS1A_E_NS1_11comp_targetILNS1_3genE2ELNS1_11target_archE906ELNS1_3gpuE6ELNS1_3repE0EEENS1_30default_config_static_selectorELNS0_4arch9wavefront6targetE1EEEvT1_
                                        ; -- End function
	.section	.AMDGPU.csdata,"",@progbits
; Kernel info:
; codeLenInByte = 0
; NumSgprs: 4
; NumVgprs: 0
; NumAgprs: 0
; TotalNumVgprs: 0
; ScratchSize: 0
; MemoryBound: 0
; FloatMode: 240
; IeeeMode: 1
; LDSByteSize: 0 bytes/workgroup (compile time only)
; SGPRBlocks: 0
; VGPRBlocks: 0
; NumSGPRsForWavesPerEU: 4
; NumVGPRsForWavesPerEU: 1
; AccumOffset: 4
; Occupancy: 8
; WaveLimiterHint : 0
; COMPUTE_PGM_RSRC2:SCRATCH_EN: 0
; COMPUTE_PGM_RSRC2:USER_SGPR: 6
; COMPUTE_PGM_RSRC2:TRAP_HANDLER: 0
; COMPUTE_PGM_RSRC2:TGID_X_EN: 1
; COMPUTE_PGM_RSRC2:TGID_Y_EN: 0
; COMPUTE_PGM_RSRC2:TGID_Z_EN: 0
; COMPUTE_PGM_RSRC2:TIDIG_COMP_CNT: 0
; COMPUTE_PGM_RSRC3_GFX90A:ACCUM_OFFSET: 0
; COMPUTE_PGM_RSRC3_GFX90A:TG_SPLIT: 0
	.section	.text._ZN7rocprim17ROCPRIM_400000_NS6detail17trampoline_kernelINS0_14default_configENS1_25partition_config_selectorILNS1_17partition_subalgoE2ExNS0_10empty_typeEbEEZZNS1_14partition_implILS5_2ELb0ES3_jN6thrust23THRUST_200600_302600_NS6detail15normal_iteratorINSA_7pointerIxNSA_11hip_rocprim3tagENSA_11use_defaultESG_EEEEPS6_NSA_18transform_iteratorI7is_evenIxENSC_INSA_10device_ptrIxEEEESG_SG_EENS0_5tupleIJPxSJ_EEENSR_IJSJ_SJ_EEES6_PlJS6_EEE10hipError_tPvRmT3_T4_T5_T6_T7_T9_mT8_P12ihipStream_tbDpT10_ENKUlT_T0_E_clISt17integral_constantIbLb0EES1E_IbLb1EEEEDaS1A_S1B_EUlS1A_E_NS1_11comp_targetILNS1_3genE10ELNS1_11target_archE1200ELNS1_3gpuE4ELNS1_3repE0EEENS1_30default_config_static_selectorELNS0_4arch9wavefront6targetE1EEEvT1_,"axG",@progbits,_ZN7rocprim17ROCPRIM_400000_NS6detail17trampoline_kernelINS0_14default_configENS1_25partition_config_selectorILNS1_17partition_subalgoE2ExNS0_10empty_typeEbEEZZNS1_14partition_implILS5_2ELb0ES3_jN6thrust23THRUST_200600_302600_NS6detail15normal_iteratorINSA_7pointerIxNSA_11hip_rocprim3tagENSA_11use_defaultESG_EEEEPS6_NSA_18transform_iteratorI7is_evenIxENSC_INSA_10device_ptrIxEEEESG_SG_EENS0_5tupleIJPxSJ_EEENSR_IJSJ_SJ_EEES6_PlJS6_EEE10hipError_tPvRmT3_T4_T5_T6_T7_T9_mT8_P12ihipStream_tbDpT10_ENKUlT_T0_E_clISt17integral_constantIbLb0EES1E_IbLb1EEEEDaS1A_S1B_EUlS1A_E_NS1_11comp_targetILNS1_3genE10ELNS1_11target_archE1200ELNS1_3gpuE4ELNS1_3repE0EEENS1_30default_config_static_selectorELNS0_4arch9wavefront6targetE1EEEvT1_,comdat
	.protected	_ZN7rocprim17ROCPRIM_400000_NS6detail17trampoline_kernelINS0_14default_configENS1_25partition_config_selectorILNS1_17partition_subalgoE2ExNS0_10empty_typeEbEEZZNS1_14partition_implILS5_2ELb0ES3_jN6thrust23THRUST_200600_302600_NS6detail15normal_iteratorINSA_7pointerIxNSA_11hip_rocprim3tagENSA_11use_defaultESG_EEEEPS6_NSA_18transform_iteratorI7is_evenIxENSC_INSA_10device_ptrIxEEEESG_SG_EENS0_5tupleIJPxSJ_EEENSR_IJSJ_SJ_EEES6_PlJS6_EEE10hipError_tPvRmT3_T4_T5_T6_T7_T9_mT8_P12ihipStream_tbDpT10_ENKUlT_T0_E_clISt17integral_constantIbLb0EES1E_IbLb1EEEEDaS1A_S1B_EUlS1A_E_NS1_11comp_targetILNS1_3genE10ELNS1_11target_archE1200ELNS1_3gpuE4ELNS1_3repE0EEENS1_30default_config_static_selectorELNS0_4arch9wavefront6targetE1EEEvT1_ ; -- Begin function _ZN7rocprim17ROCPRIM_400000_NS6detail17trampoline_kernelINS0_14default_configENS1_25partition_config_selectorILNS1_17partition_subalgoE2ExNS0_10empty_typeEbEEZZNS1_14partition_implILS5_2ELb0ES3_jN6thrust23THRUST_200600_302600_NS6detail15normal_iteratorINSA_7pointerIxNSA_11hip_rocprim3tagENSA_11use_defaultESG_EEEEPS6_NSA_18transform_iteratorI7is_evenIxENSC_INSA_10device_ptrIxEEEESG_SG_EENS0_5tupleIJPxSJ_EEENSR_IJSJ_SJ_EEES6_PlJS6_EEE10hipError_tPvRmT3_T4_T5_T6_T7_T9_mT8_P12ihipStream_tbDpT10_ENKUlT_T0_E_clISt17integral_constantIbLb0EES1E_IbLb1EEEEDaS1A_S1B_EUlS1A_E_NS1_11comp_targetILNS1_3genE10ELNS1_11target_archE1200ELNS1_3gpuE4ELNS1_3repE0EEENS1_30default_config_static_selectorELNS0_4arch9wavefront6targetE1EEEvT1_
	.globl	_ZN7rocprim17ROCPRIM_400000_NS6detail17trampoline_kernelINS0_14default_configENS1_25partition_config_selectorILNS1_17partition_subalgoE2ExNS0_10empty_typeEbEEZZNS1_14partition_implILS5_2ELb0ES3_jN6thrust23THRUST_200600_302600_NS6detail15normal_iteratorINSA_7pointerIxNSA_11hip_rocprim3tagENSA_11use_defaultESG_EEEEPS6_NSA_18transform_iteratorI7is_evenIxENSC_INSA_10device_ptrIxEEEESG_SG_EENS0_5tupleIJPxSJ_EEENSR_IJSJ_SJ_EEES6_PlJS6_EEE10hipError_tPvRmT3_T4_T5_T6_T7_T9_mT8_P12ihipStream_tbDpT10_ENKUlT_T0_E_clISt17integral_constantIbLb0EES1E_IbLb1EEEEDaS1A_S1B_EUlS1A_E_NS1_11comp_targetILNS1_3genE10ELNS1_11target_archE1200ELNS1_3gpuE4ELNS1_3repE0EEENS1_30default_config_static_selectorELNS0_4arch9wavefront6targetE1EEEvT1_
	.p2align	8
	.type	_ZN7rocprim17ROCPRIM_400000_NS6detail17trampoline_kernelINS0_14default_configENS1_25partition_config_selectorILNS1_17partition_subalgoE2ExNS0_10empty_typeEbEEZZNS1_14partition_implILS5_2ELb0ES3_jN6thrust23THRUST_200600_302600_NS6detail15normal_iteratorINSA_7pointerIxNSA_11hip_rocprim3tagENSA_11use_defaultESG_EEEEPS6_NSA_18transform_iteratorI7is_evenIxENSC_INSA_10device_ptrIxEEEESG_SG_EENS0_5tupleIJPxSJ_EEENSR_IJSJ_SJ_EEES6_PlJS6_EEE10hipError_tPvRmT3_T4_T5_T6_T7_T9_mT8_P12ihipStream_tbDpT10_ENKUlT_T0_E_clISt17integral_constantIbLb0EES1E_IbLb1EEEEDaS1A_S1B_EUlS1A_E_NS1_11comp_targetILNS1_3genE10ELNS1_11target_archE1200ELNS1_3gpuE4ELNS1_3repE0EEENS1_30default_config_static_selectorELNS0_4arch9wavefront6targetE1EEEvT1_,@function
_ZN7rocprim17ROCPRIM_400000_NS6detail17trampoline_kernelINS0_14default_configENS1_25partition_config_selectorILNS1_17partition_subalgoE2ExNS0_10empty_typeEbEEZZNS1_14partition_implILS5_2ELb0ES3_jN6thrust23THRUST_200600_302600_NS6detail15normal_iteratorINSA_7pointerIxNSA_11hip_rocprim3tagENSA_11use_defaultESG_EEEEPS6_NSA_18transform_iteratorI7is_evenIxENSC_INSA_10device_ptrIxEEEESG_SG_EENS0_5tupleIJPxSJ_EEENSR_IJSJ_SJ_EEES6_PlJS6_EEE10hipError_tPvRmT3_T4_T5_T6_T7_T9_mT8_P12ihipStream_tbDpT10_ENKUlT_T0_E_clISt17integral_constantIbLb0EES1E_IbLb1EEEEDaS1A_S1B_EUlS1A_E_NS1_11comp_targetILNS1_3genE10ELNS1_11target_archE1200ELNS1_3gpuE4ELNS1_3repE0EEENS1_30default_config_static_selectorELNS0_4arch9wavefront6targetE1EEEvT1_: ; @_ZN7rocprim17ROCPRIM_400000_NS6detail17trampoline_kernelINS0_14default_configENS1_25partition_config_selectorILNS1_17partition_subalgoE2ExNS0_10empty_typeEbEEZZNS1_14partition_implILS5_2ELb0ES3_jN6thrust23THRUST_200600_302600_NS6detail15normal_iteratorINSA_7pointerIxNSA_11hip_rocprim3tagENSA_11use_defaultESG_EEEEPS6_NSA_18transform_iteratorI7is_evenIxENSC_INSA_10device_ptrIxEEEESG_SG_EENS0_5tupleIJPxSJ_EEENSR_IJSJ_SJ_EEES6_PlJS6_EEE10hipError_tPvRmT3_T4_T5_T6_T7_T9_mT8_P12ihipStream_tbDpT10_ENKUlT_T0_E_clISt17integral_constantIbLb0EES1E_IbLb1EEEEDaS1A_S1B_EUlS1A_E_NS1_11comp_targetILNS1_3genE10ELNS1_11target_archE1200ELNS1_3gpuE4ELNS1_3repE0EEENS1_30default_config_static_selectorELNS0_4arch9wavefront6targetE1EEEvT1_
; %bb.0:
	.section	.rodata,"a",@progbits
	.p2align	6, 0x0
	.amdhsa_kernel _ZN7rocprim17ROCPRIM_400000_NS6detail17trampoline_kernelINS0_14default_configENS1_25partition_config_selectorILNS1_17partition_subalgoE2ExNS0_10empty_typeEbEEZZNS1_14partition_implILS5_2ELb0ES3_jN6thrust23THRUST_200600_302600_NS6detail15normal_iteratorINSA_7pointerIxNSA_11hip_rocprim3tagENSA_11use_defaultESG_EEEEPS6_NSA_18transform_iteratorI7is_evenIxENSC_INSA_10device_ptrIxEEEESG_SG_EENS0_5tupleIJPxSJ_EEENSR_IJSJ_SJ_EEES6_PlJS6_EEE10hipError_tPvRmT3_T4_T5_T6_T7_T9_mT8_P12ihipStream_tbDpT10_ENKUlT_T0_E_clISt17integral_constantIbLb0EES1E_IbLb1EEEEDaS1A_S1B_EUlS1A_E_NS1_11comp_targetILNS1_3genE10ELNS1_11target_archE1200ELNS1_3gpuE4ELNS1_3repE0EEENS1_30default_config_static_selectorELNS0_4arch9wavefront6targetE1EEEvT1_
		.amdhsa_group_segment_fixed_size 0
		.amdhsa_private_segment_fixed_size 0
		.amdhsa_kernarg_size 144
		.amdhsa_user_sgpr_count 6
		.amdhsa_user_sgpr_private_segment_buffer 1
		.amdhsa_user_sgpr_dispatch_ptr 0
		.amdhsa_user_sgpr_queue_ptr 0
		.amdhsa_user_sgpr_kernarg_segment_ptr 1
		.amdhsa_user_sgpr_dispatch_id 0
		.amdhsa_user_sgpr_flat_scratch_init 0
		.amdhsa_user_sgpr_kernarg_preload_length 0
		.amdhsa_user_sgpr_kernarg_preload_offset 0
		.amdhsa_user_sgpr_private_segment_size 0
		.amdhsa_uses_dynamic_stack 0
		.amdhsa_system_sgpr_private_segment_wavefront_offset 0
		.amdhsa_system_sgpr_workgroup_id_x 1
		.amdhsa_system_sgpr_workgroup_id_y 0
		.amdhsa_system_sgpr_workgroup_id_z 0
		.amdhsa_system_sgpr_workgroup_info 0
		.amdhsa_system_vgpr_workitem_id 0
		.amdhsa_next_free_vgpr 1
		.amdhsa_next_free_sgpr 0
		.amdhsa_accum_offset 4
		.amdhsa_reserve_vcc 0
		.amdhsa_reserve_flat_scratch 0
		.amdhsa_float_round_mode_32 0
		.amdhsa_float_round_mode_16_64 0
		.amdhsa_float_denorm_mode_32 3
		.amdhsa_float_denorm_mode_16_64 3
		.amdhsa_dx10_clamp 1
		.amdhsa_ieee_mode 1
		.amdhsa_fp16_overflow 0
		.amdhsa_tg_split 0
		.amdhsa_exception_fp_ieee_invalid_op 0
		.amdhsa_exception_fp_denorm_src 0
		.amdhsa_exception_fp_ieee_div_zero 0
		.amdhsa_exception_fp_ieee_overflow 0
		.amdhsa_exception_fp_ieee_underflow 0
		.amdhsa_exception_fp_ieee_inexact 0
		.amdhsa_exception_int_div_zero 0
	.end_amdhsa_kernel
	.section	.text._ZN7rocprim17ROCPRIM_400000_NS6detail17trampoline_kernelINS0_14default_configENS1_25partition_config_selectorILNS1_17partition_subalgoE2ExNS0_10empty_typeEbEEZZNS1_14partition_implILS5_2ELb0ES3_jN6thrust23THRUST_200600_302600_NS6detail15normal_iteratorINSA_7pointerIxNSA_11hip_rocprim3tagENSA_11use_defaultESG_EEEEPS6_NSA_18transform_iteratorI7is_evenIxENSC_INSA_10device_ptrIxEEEESG_SG_EENS0_5tupleIJPxSJ_EEENSR_IJSJ_SJ_EEES6_PlJS6_EEE10hipError_tPvRmT3_T4_T5_T6_T7_T9_mT8_P12ihipStream_tbDpT10_ENKUlT_T0_E_clISt17integral_constantIbLb0EES1E_IbLb1EEEEDaS1A_S1B_EUlS1A_E_NS1_11comp_targetILNS1_3genE10ELNS1_11target_archE1200ELNS1_3gpuE4ELNS1_3repE0EEENS1_30default_config_static_selectorELNS0_4arch9wavefront6targetE1EEEvT1_,"axG",@progbits,_ZN7rocprim17ROCPRIM_400000_NS6detail17trampoline_kernelINS0_14default_configENS1_25partition_config_selectorILNS1_17partition_subalgoE2ExNS0_10empty_typeEbEEZZNS1_14partition_implILS5_2ELb0ES3_jN6thrust23THRUST_200600_302600_NS6detail15normal_iteratorINSA_7pointerIxNSA_11hip_rocprim3tagENSA_11use_defaultESG_EEEEPS6_NSA_18transform_iteratorI7is_evenIxENSC_INSA_10device_ptrIxEEEESG_SG_EENS0_5tupleIJPxSJ_EEENSR_IJSJ_SJ_EEES6_PlJS6_EEE10hipError_tPvRmT3_T4_T5_T6_T7_T9_mT8_P12ihipStream_tbDpT10_ENKUlT_T0_E_clISt17integral_constantIbLb0EES1E_IbLb1EEEEDaS1A_S1B_EUlS1A_E_NS1_11comp_targetILNS1_3genE10ELNS1_11target_archE1200ELNS1_3gpuE4ELNS1_3repE0EEENS1_30default_config_static_selectorELNS0_4arch9wavefront6targetE1EEEvT1_,comdat
.Lfunc_end219:
	.size	_ZN7rocprim17ROCPRIM_400000_NS6detail17trampoline_kernelINS0_14default_configENS1_25partition_config_selectorILNS1_17partition_subalgoE2ExNS0_10empty_typeEbEEZZNS1_14partition_implILS5_2ELb0ES3_jN6thrust23THRUST_200600_302600_NS6detail15normal_iteratorINSA_7pointerIxNSA_11hip_rocprim3tagENSA_11use_defaultESG_EEEEPS6_NSA_18transform_iteratorI7is_evenIxENSC_INSA_10device_ptrIxEEEESG_SG_EENS0_5tupleIJPxSJ_EEENSR_IJSJ_SJ_EEES6_PlJS6_EEE10hipError_tPvRmT3_T4_T5_T6_T7_T9_mT8_P12ihipStream_tbDpT10_ENKUlT_T0_E_clISt17integral_constantIbLb0EES1E_IbLb1EEEEDaS1A_S1B_EUlS1A_E_NS1_11comp_targetILNS1_3genE10ELNS1_11target_archE1200ELNS1_3gpuE4ELNS1_3repE0EEENS1_30default_config_static_selectorELNS0_4arch9wavefront6targetE1EEEvT1_, .Lfunc_end219-_ZN7rocprim17ROCPRIM_400000_NS6detail17trampoline_kernelINS0_14default_configENS1_25partition_config_selectorILNS1_17partition_subalgoE2ExNS0_10empty_typeEbEEZZNS1_14partition_implILS5_2ELb0ES3_jN6thrust23THRUST_200600_302600_NS6detail15normal_iteratorINSA_7pointerIxNSA_11hip_rocprim3tagENSA_11use_defaultESG_EEEEPS6_NSA_18transform_iteratorI7is_evenIxENSC_INSA_10device_ptrIxEEEESG_SG_EENS0_5tupleIJPxSJ_EEENSR_IJSJ_SJ_EEES6_PlJS6_EEE10hipError_tPvRmT3_T4_T5_T6_T7_T9_mT8_P12ihipStream_tbDpT10_ENKUlT_T0_E_clISt17integral_constantIbLb0EES1E_IbLb1EEEEDaS1A_S1B_EUlS1A_E_NS1_11comp_targetILNS1_3genE10ELNS1_11target_archE1200ELNS1_3gpuE4ELNS1_3repE0EEENS1_30default_config_static_selectorELNS0_4arch9wavefront6targetE1EEEvT1_
                                        ; -- End function
	.section	.AMDGPU.csdata,"",@progbits
; Kernel info:
; codeLenInByte = 0
; NumSgprs: 4
; NumVgprs: 0
; NumAgprs: 0
; TotalNumVgprs: 0
; ScratchSize: 0
; MemoryBound: 0
; FloatMode: 240
; IeeeMode: 1
; LDSByteSize: 0 bytes/workgroup (compile time only)
; SGPRBlocks: 0
; VGPRBlocks: 0
; NumSGPRsForWavesPerEU: 4
; NumVGPRsForWavesPerEU: 1
; AccumOffset: 4
; Occupancy: 8
; WaveLimiterHint : 0
; COMPUTE_PGM_RSRC2:SCRATCH_EN: 0
; COMPUTE_PGM_RSRC2:USER_SGPR: 6
; COMPUTE_PGM_RSRC2:TRAP_HANDLER: 0
; COMPUTE_PGM_RSRC2:TGID_X_EN: 1
; COMPUTE_PGM_RSRC2:TGID_Y_EN: 0
; COMPUTE_PGM_RSRC2:TGID_Z_EN: 0
; COMPUTE_PGM_RSRC2:TIDIG_COMP_CNT: 0
; COMPUTE_PGM_RSRC3_GFX90A:ACCUM_OFFSET: 0
; COMPUTE_PGM_RSRC3_GFX90A:TG_SPLIT: 0
	.section	.text._ZN7rocprim17ROCPRIM_400000_NS6detail17trampoline_kernelINS0_14default_configENS1_25partition_config_selectorILNS1_17partition_subalgoE2ExNS0_10empty_typeEbEEZZNS1_14partition_implILS5_2ELb0ES3_jN6thrust23THRUST_200600_302600_NS6detail15normal_iteratorINSA_7pointerIxNSA_11hip_rocprim3tagENSA_11use_defaultESG_EEEEPS6_NSA_18transform_iteratorI7is_evenIxENSC_INSA_10device_ptrIxEEEESG_SG_EENS0_5tupleIJPxSJ_EEENSR_IJSJ_SJ_EEES6_PlJS6_EEE10hipError_tPvRmT3_T4_T5_T6_T7_T9_mT8_P12ihipStream_tbDpT10_ENKUlT_T0_E_clISt17integral_constantIbLb0EES1E_IbLb1EEEEDaS1A_S1B_EUlS1A_E_NS1_11comp_targetILNS1_3genE9ELNS1_11target_archE1100ELNS1_3gpuE3ELNS1_3repE0EEENS1_30default_config_static_selectorELNS0_4arch9wavefront6targetE1EEEvT1_,"axG",@progbits,_ZN7rocprim17ROCPRIM_400000_NS6detail17trampoline_kernelINS0_14default_configENS1_25partition_config_selectorILNS1_17partition_subalgoE2ExNS0_10empty_typeEbEEZZNS1_14partition_implILS5_2ELb0ES3_jN6thrust23THRUST_200600_302600_NS6detail15normal_iteratorINSA_7pointerIxNSA_11hip_rocprim3tagENSA_11use_defaultESG_EEEEPS6_NSA_18transform_iteratorI7is_evenIxENSC_INSA_10device_ptrIxEEEESG_SG_EENS0_5tupleIJPxSJ_EEENSR_IJSJ_SJ_EEES6_PlJS6_EEE10hipError_tPvRmT3_T4_T5_T6_T7_T9_mT8_P12ihipStream_tbDpT10_ENKUlT_T0_E_clISt17integral_constantIbLb0EES1E_IbLb1EEEEDaS1A_S1B_EUlS1A_E_NS1_11comp_targetILNS1_3genE9ELNS1_11target_archE1100ELNS1_3gpuE3ELNS1_3repE0EEENS1_30default_config_static_selectorELNS0_4arch9wavefront6targetE1EEEvT1_,comdat
	.protected	_ZN7rocprim17ROCPRIM_400000_NS6detail17trampoline_kernelINS0_14default_configENS1_25partition_config_selectorILNS1_17partition_subalgoE2ExNS0_10empty_typeEbEEZZNS1_14partition_implILS5_2ELb0ES3_jN6thrust23THRUST_200600_302600_NS6detail15normal_iteratorINSA_7pointerIxNSA_11hip_rocprim3tagENSA_11use_defaultESG_EEEEPS6_NSA_18transform_iteratorI7is_evenIxENSC_INSA_10device_ptrIxEEEESG_SG_EENS0_5tupleIJPxSJ_EEENSR_IJSJ_SJ_EEES6_PlJS6_EEE10hipError_tPvRmT3_T4_T5_T6_T7_T9_mT8_P12ihipStream_tbDpT10_ENKUlT_T0_E_clISt17integral_constantIbLb0EES1E_IbLb1EEEEDaS1A_S1B_EUlS1A_E_NS1_11comp_targetILNS1_3genE9ELNS1_11target_archE1100ELNS1_3gpuE3ELNS1_3repE0EEENS1_30default_config_static_selectorELNS0_4arch9wavefront6targetE1EEEvT1_ ; -- Begin function _ZN7rocprim17ROCPRIM_400000_NS6detail17trampoline_kernelINS0_14default_configENS1_25partition_config_selectorILNS1_17partition_subalgoE2ExNS0_10empty_typeEbEEZZNS1_14partition_implILS5_2ELb0ES3_jN6thrust23THRUST_200600_302600_NS6detail15normal_iteratorINSA_7pointerIxNSA_11hip_rocprim3tagENSA_11use_defaultESG_EEEEPS6_NSA_18transform_iteratorI7is_evenIxENSC_INSA_10device_ptrIxEEEESG_SG_EENS0_5tupleIJPxSJ_EEENSR_IJSJ_SJ_EEES6_PlJS6_EEE10hipError_tPvRmT3_T4_T5_T6_T7_T9_mT8_P12ihipStream_tbDpT10_ENKUlT_T0_E_clISt17integral_constantIbLb0EES1E_IbLb1EEEEDaS1A_S1B_EUlS1A_E_NS1_11comp_targetILNS1_3genE9ELNS1_11target_archE1100ELNS1_3gpuE3ELNS1_3repE0EEENS1_30default_config_static_selectorELNS0_4arch9wavefront6targetE1EEEvT1_
	.globl	_ZN7rocprim17ROCPRIM_400000_NS6detail17trampoline_kernelINS0_14default_configENS1_25partition_config_selectorILNS1_17partition_subalgoE2ExNS0_10empty_typeEbEEZZNS1_14partition_implILS5_2ELb0ES3_jN6thrust23THRUST_200600_302600_NS6detail15normal_iteratorINSA_7pointerIxNSA_11hip_rocprim3tagENSA_11use_defaultESG_EEEEPS6_NSA_18transform_iteratorI7is_evenIxENSC_INSA_10device_ptrIxEEEESG_SG_EENS0_5tupleIJPxSJ_EEENSR_IJSJ_SJ_EEES6_PlJS6_EEE10hipError_tPvRmT3_T4_T5_T6_T7_T9_mT8_P12ihipStream_tbDpT10_ENKUlT_T0_E_clISt17integral_constantIbLb0EES1E_IbLb1EEEEDaS1A_S1B_EUlS1A_E_NS1_11comp_targetILNS1_3genE9ELNS1_11target_archE1100ELNS1_3gpuE3ELNS1_3repE0EEENS1_30default_config_static_selectorELNS0_4arch9wavefront6targetE1EEEvT1_
	.p2align	8
	.type	_ZN7rocprim17ROCPRIM_400000_NS6detail17trampoline_kernelINS0_14default_configENS1_25partition_config_selectorILNS1_17partition_subalgoE2ExNS0_10empty_typeEbEEZZNS1_14partition_implILS5_2ELb0ES3_jN6thrust23THRUST_200600_302600_NS6detail15normal_iteratorINSA_7pointerIxNSA_11hip_rocprim3tagENSA_11use_defaultESG_EEEEPS6_NSA_18transform_iteratorI7is_evenIxENSC_INSA_10device_ptrIxEEEESG_SG_EENS0_5tupleIJPxSJ_EEENSR_IJSJ_SJ_EEES6_PlJS6_EEE10hipError_tPvRmT3_T4_T5_T6_T7_T9_mT8_P12ihipStream_tbDpT10_ENKUlT_T0_E_clISt17integral_constantIbLb0EES1E_IbLb1EEEEDaS1A_S1B_EUlS1A_E_NS1_11comp_targetILNS1_3genE9ELNS1_11target_archE1100ELNS1_3gpuE3ELNS1_3repE0EEENS1_30default_config_static_selectorELNS0_4arch9wavefront6targetE1EEEvT1_,@function
_ZN7rocprim17ROCPRIM_400000_NS6detail17trampoline_kernelINS0_14default_configENS1_25partition_config_selectorILNS1_17partition_subalgoE2ExNS0_10empty_typeEbEEZZNS1_14partition_implILS5_2ELb0ES3_jN6thrust23THRUST_200600_302600_NS6detail15normal_iteratorINSA_7pointerIxNSA_11hip_rocprim3tagENSA_11use_defaultESG_EEEEPS6_NSA_18transform_iteratorI7is_evenIxENSC_INSA_10device_ptrIxEEEESG_SG_EENS0_5tupleIJPxSJ_EEENSR_IJSJ_SJ_EEES6_PlJS6_EEE10hipError_tPvRmT3_T4_T5_T6_T7_T9_mT8_P12ihipStream_tbDpT10_ENKUlT_T0_E_clISt17integral_constantIbLb0EES1E_IbLb1EEEEDaS1A_S1B_EUlS1A_E_NS1_11comp_targetILNS1_3genE9ELNS1_11target_archE1100ELNS1_3gpuE3ELNS1_3repE0EEENS1_30default_config_static_selectorELNS0_4arch9wavefront6targetE1EEEvT1_: ; @_ZN7rocprim17ROCPRIM_400000_NS6detail17trampoline_kernelINS0_14default_configENS1_25partition_config_selectorILNS1_17partition_subalgoE2ExNS0_10empty_typeEbEEZZNS1_14partition_implILS5_2ELb0ES3_jN6thrust23THRUST_200600_302600_NS6detail15normal_iteratorINSA_7pointerIxNSA_11hip_rocprim3tagENSA_11use_defaultESG_EEEEPS6_NSA_18transform_iteratorI7is_evenIxENSC_INSA_10device_ptrIxEEEESG_SG_EENS0_5tupleIJPxSJ_EEENSR_IJSJ_SJ_EEES6_PlJS6_EEE10hipError_tPvRmT3_T4_T5_T6_T7_T9_mT8_P12ihipStream_tbDpT10_ENKUlT_T0_E_clISt17integral_constantIbLb0EES1E_IbLb1EEEEDaS1A_S1B_EUlS1A_E_NS1_11comp_targetILNS1_3genE9ELNS1_11target_archE1100ELNS1_3gpuE3ELNS1_3repE0EEENS1_30default_config_static_selectorELNS0_4arch9wavefront6targetE1EEEvT1_
; %bb.0:
	.section	.rodata,"a",@progbits
	.p2align	6, 0x0
	.amdhsa_kernel _ZN7rocprim17ROCPRIM_400000_NS6detail17trampoline_kernelINS0_14default_configENS1_25partition_config_selectorILNS1_17partition_subalgoE2ExNS0_10empty_typeEbEEZZNS1_14partition_implILS5_2ELb0ES3_jN6thrust23THRUST_200600_302600_NS6detail15normal_iteratorINSA_7pointerIxNSA_11hip_rocprim3tagENSA_11use_defaultESG_EEEEPS6_NSA_18transform_iteratorI7is_evenIxENSC_INSA_10device_ptrIxEEEESG_SG_EENS0_5tupleIJPxSJ_EEENSR_IJSJ_SJ_EEES6_PlJS6_EEE10hipError_tPvRmT3_T4_T5_T6_T7_T9_mT8_P12ihipStream_tbDpT10_ENKUlT_T0_E_clISt17integral_constantIbLb0EES1E_IbLb1EEEEDaS1A_S1B_EUlS1A_E_NS1_11comp_targetILNS1_3genE9ELNS1_11target_archE1100ELNS1_3gpuE3ELNS1_3repE0EEENS1_30default_config_static_selectorELNS0_4arch9wavefront6targetE1EEEvT1_
		.amdhsa_group_segment_fixed_size 0
		.amdhsa_private_segment_fixed_size 0
		.amdhsa_kernarg_size 144
		.amdhsa_user_sgpr_count 6
		.amdhsa_user_sgpr_private_segment_buffer 1
		.amdhsa_user_sgpr_dispatch_ptr 0
		.amdhsa_user_sgpr_queue_ptr 0
		.amdhsa_user_sgpr_kernarg_segment_ptr 1
		.amdhsa_user_sgpr_dispatch_id 0
		.amdhsa_user_sgpr_flat_scratch_init 0
		.amdhsa_user_sgpr_kernarg_preload_length 0
		.amdhsa_user_sgpr_kernarg_preload_offset 0
		.amdhsa_user_sgpr_private_segment_size 0
		.amdhsa_uses_dynamic_stack 0
		.amdhsa_system_sgpr_private_segment_wavefront_offset 0
		.amdhsa_system_sgpr_workgroup_id_x 1
		.amdhsa_system_sgpr_workgroup_id_y 0
		.amdhsa_system_sgpr_workgroup_id_z 0
		.amdhsa_system_sgpr_workgroup_info 0
		.amdhsa_system_vgpr_workitem_id 0
		.amdhsa_next_free_vgpr 1
		.amdhsa_next_free_sgpr 0
		.amdhsa_accum_offset 4
		.amdhsa_reserve_vcc 0
		.amdhsa_reserve_flat_scratch 0
		.amdhsa_float_round_mode_32 0
		.amdhsa_float_round_mode_16_64 0
		.amdhsa_float_denorm_mode_32 3
		.amdhsa_float_denorm_mode_16_64 3
		.amdhsa_dx10_clamp 1
		.amdhsa_ieee_mode 1
		.amdhsa_fp16_overflow 0
		.amdhsa_tg_split 0
		.amdhsa_exception_fp_ieee_invalid_op 0
		.amdhsa_exception_fp_denorm_src 0
		.amdhsa_exception_fp_ieee_div_zero 0
		.amdhsa_exception_fp_ieee_overflow 0
		.amdhsa_exception_fp_ieee_underflow 0
		.amdhsa_exception_fp_ieee_inexact 0
		.amdhsa_exception_int_div_zero 0
	.end_amdhsa_kernel
	.section	.text._ZN7rocprim17ROCPRIM_400000_NS6detail17trampoline_kernelINS0_14default_configENS1_25partition_config_selectorILNS1_17partition_subalgoE2ExNS0_10empty_typeEbEEZZNS1_14partition_implILS5_2ELb0ES3_jN6thrust23THRUST_200600_302600_NS6detail15normal_iteratorINSA_7pointerIxNSA_11hip_rocprim3tagENSA_11use_defaultESG_EEEEPS6_NSA_18transform_iteratorI7is_evenIxENSC_INSA_10device_ptrIxEEEESG_SG_EENS0_5tupleIJPxSJ_EEENSR_IJSJ_SJ_EEES6_PlJS6_EEE10hipError_tPvRmT3_T4_T5_T6_T7_T9_mT8_P12ihipStream_tbDpT10_ENKUlT_T0_E_clISt17integral_constantIbLb0EES1E_IbLb1EEEEDaS1A_S1B_EUlS1A_E_NS1_11comp_targetILNS1_3genE9ELNS1_11target_archE1100ELNS1_3gpuE3ELNS1_3repE0EEENS1_30default_config_static_selectorELNS0_4arch9wavefront6targetE1EEEvT1_,"axG",@progbits,_ZN7rocprim17ROCPRIM_400000_NS6detail17trampoline_kernelINS0_14default_configENS1_25partition_config_selectorILNS1_17partition_subalgoE2ExNS0_10empty_typeEbEEZZNS1_14partition_implILS5_2ELb0ES3_jN6thrust23THRUST_200600_302600_NS6detail15normal_iteratorINSA_7pointerIxNSA_11hip_rocprim3tagENSA_11use_defaultESG_EEEEPS6_NSA_18transform_iteratorI7is_evenIxENSC_INSA_10device_ptrIxEEEESG_SG_EENS0_5tupleIJPxSJ_EEENSR_IJSJ_SJ_EEES6_PlJS6_EEE10hipError_tPvRmT3_T4_T5_T6_T7_T9_mT8_P12ihipStream_tbDpT10_ENKUlT_T0_E_clISt17integral_constantIbLb0EES1E_IbLb1EEEEDaS1A_S1B_EUlS1A_E_NS1_11comp_targetILNS1_3genE9ELNS1_11target_archE1100ELNS1_3gpuE3ELNS1_3repE0EEENS1_30default_config_static_selectorELNS0_4arch9wavefront6targetE1EEEvT1_,comdat
.Lfunc_end220:
	.size	_ZN7rocprim17ROCPRIM_400000_NS6detail17trampoline_kernelINS0_14default_configENS1_25partition_config_selectorILNS1_17partition_subalgoE2ExNS0_10empty_typeEbEEZZNS1_14partition_implILS5_2ELb0ES3_jN6thrust23THRUST_200600_302600_NS6detail15normal_iteratorINSA_7pointerIxNSA_11hip_rocprim3tagENSA_11use_defaultESG_EEEEPS6_NSA_18transform_iteratorI7is_evenIxENSC_INSA_10device_ptrIxEEEESG_SG_EENS0_5tupleIJPxSJ_EEENSR_IJSJ_SJ_EEES6_PlJS6_EEE10hipError_tPvRmT3_T4_T5_T6_T7_T9_mT8_P12ihipStream_tbDpT10_ENKUlT_T0_E_clISt17integral_constantIbLb0EES1E_IbLb1EEEEDaS1A_S1B_EUlS1A_E_NS1_11comp_targetILNS1_3genE9ELNS1_11target_archE1100ELNS1_3gpuE3ELNS1_3repE0EEENS1_30default_config_static_selectorELNS0_4arch9wavefront6targetE1EEEvT1_, .Lfunc_end220-_ZN7rocprim17ROCPRIM_400000_NS6detail17trampoline_kernelINS0_14default_configENS1_25partition_config_selectorILNS1_17partition_subalgoE2ExNS0_10empty_typeEbEEZZNS1_14partition_implILS5_2ELb0ES3_jN6thrust23THRUST_200600_302600_NS6detail15normal_iteratorINSA_7pointerIxNSA_11hip_rocprim3tagENSA_11use_defaultESG_EEEEPS6_NSA_18transform_iteratorI7is_evenIxENSC_INSA_10device_ptrIxEEEESG_SG_EENS0_5tupleIJPxSJ_EEENSR_IJSJ_SJ_EEES6_PlJS6_EEE10hipError_tPvRmT3_T4_T5_T6_T7_T9_mT8_P12ihipStream_tbDpT10_ENKUlT_T0_E_clISt17integral_constantIbLb0EES1E_IbLb1EEEEDaS1A_S1B_EUlS1A_E_NS1_11comp_targetILNS1_3genE9ELNS1_11target_archE1100ELNS1_3gpuE3ELNS1_3repE0EEENS1_30default_config_static_selectorELNS0_4arch9wavefront6targetE1EEEvT1_
                                        ; -- End function
	.section	.AMDGPU.csdata,"",@progbits
; Kernel info:
; codeLenInByte = 0
; NumSgprs: 4
; NumVgprs: 0
; NumAgprs: 0
; TotalNumVgprs: 0
; ScratchSize: 0
; MemoryBound: 0
; FloatMode: 240
; IeeeMode: 1
; LDSByteSize: 0 bytes/workgroup (compile time only)
; SGPRBlocks: 0
; VGPRBlocks: 0
; NumSGPRsForWavesPerEU: 4
; NumVGPRsForWavesPerEU: 1
; AccumOffset: 4
; Occupancy: 8
; WaveLimiterHint : 0
; COMPUTE_PGM_RSRC2:SCRATCH_EN: 0
; COMPUTE_PGM_RSRC2:USER_SGPR: 6
; COMPUTE_PGM_RSRC2:TRAP_HANDLER: 0
; COMPUTE_PGM_RSRC2:TGID_X_EN: 1
; COMPUTE_PGM_RSRC2:TGID_Y_EN: 0
; COMPUTE_PGM_RSRC2:TGID_Z_EN: 0
; COMPUTE_PGM_RSRC2:TIDIG_COMP_CNT: 0
; COMPUTE_PGM_RSRC3_GFX90A:ACCUM_OFFSET: 0
; COMPUTE_PGM_RSRC3_GFX90A:TG_SPLIT: 0
	.section	.text._ZN7rocprim17ROCPRIM_400000_NS6detail17trampoline_kernelINS0_14default_configENS1_25partition_config_selectorILNS1_17partition_subalgoE2ExNS0_10empty_typeEbEEZZNS1_14partition_implILS5_2ELb0ES3_jN6thrust23THRUST_200600_302600_NS6detail15normal_iteratorINSA_7pointerIxNSA_11hip_rocprim3tagENSA_11use_defaultESG_EEEEPS6_NSA_18transform_iteratorI7is_evenIxENSC_INSA_10device_ptrIxEEEESG_SG_EENS0_5tupleIJPxSJ_EEENSR_IJSJ_SJ_EEES6_PlJS6_EEE10hipError_tPvRmT3_T4_T5_T6_T7_T9_mT8_P12ihipStream_tbDpT10_ENKUlT_T0_E_clISt17integral_constantIbLb0EES1E_IbLb1EEEEDaS1A_S1B_EUlS1A_E_NS1_11comp_targetILNS1_3genE8ELNS1_11target_archE1030ELNS1_3gpuE2ELNS1_3repE0EEENS1_30default_config_static_selectorELNS0_4arch9wavefront6targetE1EEEvT1_,"axG",@progbits,_ZN7rocprim17ROCPRIM_400000_NS6detail17trampoline_kernelINS0_14default_configENS1_25partition_config_selectorILNS1_17partition_subalgoE2ExNS0_10empty_typeEbEEZZNS1_14partition_implILS5_2ELb0ES3_jN6thrust23THRUST_200600_302600_NS6detail15normal_iteratorINSA_7pointerIxNSA_11hip_rocprim3tagENSA_11use_defaultESG_EEEEPS6_NSA_18transform_iteratorI7is_evenIxENSC_INSA_10device_ptrIxEEEESG_SG_EENS0_5tupleIJPxSJ_EEENSR_IJSJ_SJ_EEES6_PlJS6_EEE10hipError_tPvRmT3_T4_T5_T6_T7_T9_mT8_P12ihipStream_tbDpT10_ENKUlT_T0_E_clISt17integral_constantIbLb0EES1E_IbLb1EEEEDaS1A_S1B_EUlS1A_E_NS1_11comp_targetILNS1_3genE8ELNS1_11target_archE1030ELNS1_3gpuE2ELNS1_3repE0EEENS1_30default_config_static_selectorELNS0_4arch9wavefront6targetE1EEEvT1_,comdat
	.protected	_ZN7rocprim17ROCPRIM_400000_NS6detail17trampoline_kernelINS0_14default_configENS1_25partition_config_selectorILNS1_17partition_subalgoE2ExNS0_10empty_typeEbEEZZNS1_14partition_implILS5_2ELb0ES3_jN6thrust23THRUST_200600_302600_NS6detail15normal_iteratorINSA_7pointerIxNSA_11hip_rocprim3tagENSA_11use_defaultESG_EEEEPS6_NSA_18transform_iteratorI7is_evenIxENSC_INSA_10device_ptrIxEEEESG_SG_EENS0_5tupleIJPxSJ_EEENSR_IJSJ_SJ_EEES6_PlJS6_EEE10hipError_tPvRmT3_T4_T5_T6_T7_T9_mT8_P12ihipStream_tbDpT10_ENKUlT_T0_E_clISt17integral_constantIbLb0EES1E_IbLb1EEEEDaS1A_S1B_EUlS1A_E_NS1_11comp_targetILNS1_3genE8ELNS1_11target_archE1030ELNS1_3gpuE2ELNS1_3repE0EEENS1_30default_config_static_selectorELNS0_4arch9wavefront6targetE1EEEvT1_ ; -- Begin function _ZN7rocprim17ROCPRIM_400000_NS6detail17trampoline_kernelINS0_14default_configENS1_25partition_config_selectorILNS1_17partition_subalgoE2ExNS0_10empty_typeEbEEZZNS1_14partition_implILS5_2ELb0ES3_jN6thrust23THRUST_200600_302600_NS6detail15normal_iteratorINSA_7pointerIxNSA_11hip_rocprim3tagENSA_11use_defaultESG_EEEEPS6_NSA_18transform_iteratorI7is_evenIxENSC_INSA_10device_ptrIxEEEESG_SG_EENS0_5tupleIJPxSJ_EEENSR_IJSJ_SJ_EEES6_PlJS6_EEE10hipError_tPvRmT3_T4_T5_T6_T7_T9_mT8_P12ihipStream_tbDpT10_ENKUlT_T0_E_clISt17integral_constantIbLb0EES1E_IbLb1EEEEDaS1A_S1B_EUlS1A_E_NS1_11comp_targetILNS1_3genE8ELNS1_11target_archE1030ELNS1_3gpuE2ELNS1_3repE0EEENS1_30default_config_static_selectorELNS0_4arch9wavefront6targetE1EEEvT1_
	.globl	_ZN7rocprim17ROCPRIM_400000_NS6detail17trampoline_kernelINS0_14default_configENS1_25partition_config_selectorILNS1_17partition_subalgoE2ExNS0_10empty_typeEbEEZZNS1_14partition_implILS5_2ELb0ES3_jN6thrust23THRUST_200600_302600_NS6detail15normal_iteratorINSA_7pointerIxNSA_11hip_rocprim3tagENSA_11use_defaultESG_EEEEPS6_NSA_18transform_iteratorI7is_evenIxENSC_INSA_10device_ptrIxEEEESG_SG_EENS0_5tupleIJPxSJ_EEENSR_IJSJ_SJ_EEES6_PlJS6_EEE10hipError_tPvRmT3_T4_T5_T6_T7_T9_mT8_P12ihipStream_tbDpT10_ENKUlT_T0_E_clISt17integral_constantIbLb0EES1E_IbLb1EEEEDaS1A_S1B_EUlS1A_E_NS1_11comp_targetILNS1_3genE8ELNS1_11target_archE1030ELNS1_3gpuE2ELNS1_3repE0EEENS1_30default_config_static_selectorELNS0_4arch9wavefront6targetE1EEEvT1_
	.p2align	8
	.type	_ZN7rocprim17ROCPRIM_400000_NS6detail17trampoline_kernelINS0_14default_configENS1_25partition_config_selectorILNS1_17partition_subalgoE2ExNS0_10empty_typeEbEEZZNS1_14partition_implILS5_2ELb0ES3_jN6thrust23THRUST_200600_302600_NS6detail15normal_iteratorINSA_7pointerIxNSA_11hip_rocprim3tagENSA_11use_defaultESG_EEEEPS6_NSA_18transform_iteratorI7is_evenIxENSC_INSA_10device_ptrIxEEEESG_SG_EENS0_5tupleIJPxSJ_EEENSR_IJSJ_SJ_EEES6_PlJS6_EEE10hipError_tPvRmT3_T4_T5_T6_T7_T9_mT8_P12ihipStream_tbDpT10_ENKUlT_T0_E_clISt17integral_constantIbLb0EES1E_IbLb1EEEEDaS1A_S1B_EUlS1A_E_NS1_11comp_targetILNS1_3genE8ELNS1_11target_archE1030ELNS1_3gpuE2ELNS1_3repE0EEENS1_30default_config_static_selectorELNS0_4arch9wavefront6targetE1EEEvT1_,@function
_ZN7rocprim17ROCPRIM_400000_NS6detail17trampoline_kernelINS0_14default_configENS1_25partition_config_selectorILNS1_17partition_subalgoE2ExNS0_10empty_typeEbEEZZNS1_14partition_implILS5_2ELb0ES3_jN6thrust23THRUST_200600_302600_NS6detail15normal_iteratorINSA_7pointerIxNSA_11hip_rocprim3tagENSA_11use_defaultESG_EEEEPS6_NSA_18transform_iteratorI7is_evenIxENSC_INSA_10device_ptrIxEEEESG_SG_EENS0_5tupleIJPxSJ_EEENSR_IJSJ_SJ_EEES6_PlJS6_EEE10hipError_tPvRmT3_T4_T5_T6_T7_T9_mT8_P12ihipStream_tbDpT10_ENKUlT_T0_E_clISt17integral_constantIbLb0EES1E_IbLb1EEEEDaS1A_S1B_EUlS1A_E_NS1_11comp_targetILNS1_3genE8ELNS1_11target_archE1030ELNS1_3gpuE2ELNS1_3repE0EEENS1_30default_config_static_selectorELNS0_4arch9wavefront6targetE1EEEvT1_: ; @_ZN7rocprim17ROCPRIM_400000_NS6detail17trampoline_kernelINS0_14default_configENS1_25partition_config_selectorILNS1_17partition_subalgoE2ExNS0_10empty_typeEbEEZZNS1_14partition_implILS5_2ELb0ES3_jN6thrust23THRUST_200600_302600_NS6detail15normal_iteratorINSA_7pointerIxNSA_11hip_rocprim3tagENSA_11use_defaultESG_EEEEPS6_NSA_18transform_iteratorI7is_evenIxENSC_INSA_10device_ptrIxEEEESG_SG_EENS0_5tupleIJPxSJ_EEENSR_IJSJ_SJ_EEES6_PlJS6_EEE10hipError_tPvRmT3_T4_T5_T6_T7_T9_mT8_P12ihipStream_tbDpT10_ENKUlT_T0_E_clISt17integral_constantIbLb0EES1E_IbLb1EEEEDaS1A_S1B_EUlS1A_E_NS1_11comp_targetILNS1_3genE8ELNS1_11target_archE1030ELNS1_3gpuE2ELNS1_3repE0EEENS1_30default_config_static_selectorELNS0_4arch9wavefront6targetE1EEEvT1_
; %bb.0:
	.section	.rodata,"a",@progbits
	.p2align	6, 0x0
	.amdhsa_kernel _ZN7rocprim17ROCPRIM_400000_NS6detail17trampoline_kernelINS0_14default_configENS1_25partition_config_selectorILNS1_17partition_subalgoE2ExNS0_10empty_typeEbEEZZNS1_14partition_implILS5_2ELb0ES3_jN6thrust23THRUST_200600_302600_NS6detail15normal_iteratorINSA_7pointerIxNSA_11hip_rocprim3tagENSA_11use_defaultESG_EEEEPS6_NSA_18transform_iteratorI7is_evenIxENSC_INSA_10device_ptrIxEEEESG_SG_EENS0_5tupleIJPxSJ_EEENSR_IJSJ_SJ_EEES6_PlJS6_EEE10hipError_tPvRmT3_T4_T5_T6_T7_T9_mT8_P12ihipStream_tbDpT10_ENKUlT_T0_E_clISt17integral_constantIbLb0EES1E_IbLb1EEEEDaS1A_S1B_EUlS1A_E_NS1_11comp_targetILNS1_3genE8ELNS1_11target_archE1030ELNS1_3gpuE2ELNS1_3repE0EEENS1_30default_config_static_selectorELNS0_4arch9wavefront6targetE1EEEvT1_
		.amdhsa_group_segment_fixed_size 0
		.amdhsa_private_segment_fixed_size 0
		.amdhsa_kernarg_size 144
		.amdhsa_user_sgpr_count 6
		.amdhsa_user_sgpr_private_segment_buffer 1
		.amdhsa_user_sgpr_dispatch_ptr 0
		.amdhsa_user_sgpr_queue_ptr 0
		.amdhsa_user_sgpr_kernarg_segment_ptr 1
		.amdhsa_user_sgpr_dispatch_id 0
		.amdhsa_user_sgpr_flat_scratch_init 0
		.amdhsa_user_sgpr_kernarg_preload_length 0
		.amdhsa_user_sgpr_kernarg_preload_offset 0
		.amdhsa_user_sgpr_private_segment_size 0
		.amdhsa_uses_dynamic_stack 0
		.amdhsa_system_sgpr_private_segment_wavefront_offset 0
		.amdhsa_system_sgpr_workgroup_id_x 1
		.amdhsa_system_sgpr_workgroup_id_y 0
		.amdhsa_system_sgpr_workgroup_id_z 0
		.amdhsa_system_sgpr_workgroup_info 0
		.amdhsa_system_vgpr_workitem_id 0
		.amdhsa_next_free_vgpr 1
		.amdhsa_next_free_sgpr 0
		.amdhsa_accum_offset 4
		.amdhsa_reserve_vcc 0
		.amdhsa_reserve_flat_scratch 0
		.amdhsa_float_round_mode_32 0
		.amdhsa_float_round_mode_16_64 0
		.amdhsa_float_denorm_mode_32 3
		.amdhsa_float_denorm_mode_16_64 3
		.amdhsa_dx10_clamp 1
		.amdhsa_ieee_mode 1
		.amdhsa_fp16_overflow 0
		.amdhsa_tg_split 0
		.amdhsa_exception_fp_ieee_invalid_op 0
		.amdhsa_exception_fp_denorm_src 0
		.amdhsa_exception_fp_ieee_div_zero 0
		.amdhsa_exception_fp_ieee_overflow 0
		.amdhsa_exception_fp_ieee_underflow 0
		.amdhsa_exception_fp_ieee_inexact 0
		.amdhsa_exception_int_div_zero 0
	.end_amdhsa_kernel
	.section	.text._ZN7rocprim17ROCPRIM_400000_NS6detail17trampoline_kernelINS0_14default_configENS1_25partition_config_selectorILNS1_17partition_subalgoE2ExNS0_10empty_typeEbEEZZNS1_14partition_implILS5_2ELb0ES3_jN6thrust23THRUST_200600_302600_NS6detail15normal_iteratorINSA_7pointerIxNSA_11hip_rocprim3tagENSA_11use_defaultESG_EEEEPS6_NSA_18transform_iteratorI7is_evenIxENSC_INSA_10device_ptrIxEEEESG_SG_EENS0_5tupleIJPxSJ_EEENSR_IJSJ_SJ_EEES6_PlJS6_EEE10hipError_tPvRmT3_T4_T5_T6_T7_T9_mT8_P12ihipStream_tbDpT10_ENKUlT_T0_E_clISt17integral_constantIbLb0EES1E_IbLb1EEEEDaS1A_S1B_EUlS1A_E_NS1_11comp_targetILNS1_3genE8ELNS1_11target_archE1030ELNS1_3gpuE2ELNS1_3repE0EEENS1_30default_config_static_selectorELNS0_4arch9wavefront6targetE1EEEvT1_,"axG",@progbits,_ZN7rocprim17ROCPRIM_400000_NS6detail17trampoline_kernelINS0_14default_configENS1_25partition_config_selectorILNS1_17partition_subalgoE2ExNS0_10empty_typeEbEEZZNS1_14partition_implILS5_2ELb0ES3_jN6thrust23THRUST_200600_302600_NS6detail15normal_iteratorINSA_7pointerIxNSA_11hip_rocprim3tagENSA_11use_defaultESG_EEEEPS6_NSA_18transform_iteratorI7is_evenIxENSC_INSA_10device_ptrIxEEEESG_SG_EENS0_5tupleIJPxSJ_EEENSR_IJSJ_SJ_EEES6_PlJS6_EEE10hipError_tPvRmT3_T4_T5_T6_T7_T9_mT8_P12ihipStream_tbDpT10_ENKUlT_T0_E_clISt17integral_constantIbLb0EES1E_IbLb1EEEEDaS1A_S1B_EUlS1A_E_NS1_11comp_targetILNS1_3genE8ELNS1_11target_archE1030ELNS1_3gpuE2ELNS1_3repE0EEENS1_30default_config_static_selectorELNS0_4arch9wavefront6targetE1EEEvT1_,comdat
.Lfunc_end221:
	.size	_ZN7rocprim17ROCPRIM_400000_NS6detail17trampoline_kernelINS0_14default_configENS1_25partition_config_selectorILNS1_17partition_subalgoE2ExNS0_10empty_typeEbEEZZNS1_14partition_implILS5_2ELb0ES3_jN6thrust23THRUST_200600_302600_NS6detail15normal_iteratorINSA_7pointerIxNSA_11hip_rocprim3tagENSA_11use_defaultESG_EEEEPS6_NSA_18transform_iteratorI7is_evenIxENSC_INSA_10device_ptrIxEEEESG_SG_EENS0_5tupleIJPxSJ_EEENSR_IJSJ_SJ_EEES6_PlJS6_EEE10hipError_tPvRmT3_T4_T5_T6_T7_T9_mT8_P12ihipStream_tbDpT10_ENKUlT_T0_E_clISt17integral_constantIbLb0EES1E_IbLb1EEEEDaS1A_S1B_EUlS1A_E_NS1_11comp_targetILNS1_3genE8ELNS1_11target_archE1030ELNS1_3gpuE2ELNS1_3repE0EEENS1_30default_config_static_selectorELNS0_4arch9wavefront6targetE1EEEvT1_, .Lfunc_end221-_ZN7rocprim17ROCPRIM_400000_NS6detail17trampoline_kernelINS0_14default_configENS1_25partition_config_selectorILNS1_17partition_subalgoE2ExNS0_10empty_typeEbEEZZNS1_14partition_implILS5_2ELb0ES3_jN6thrust23THRUST_200600_302600_NS6detail15normal_iteratorINSA_7pointerIxNSA_11hip_rocprim3tagENSA_11use_defaultESG_EEEEPS6_NSA_18transform_iteratorI7is_evenIxENSC_INSA_10device_ptrIxEEEESG_SG_EENS0_5tupleIJPxSJ_EEENSR_IJSJ_SJ_EEES6_PlJS6_EEE10hipError_tPvRmT3_T4_T5_T6_T7_T9_mT8_P12ihipStream_tbDpT10_ENKUlT_T0_E_clISt17integral_constantIbLb0EES1E_IbLb1EEEEDaS1A_S1B_EUlS1A_E_NS1_11comp_targetILNS1_3genE8ELNS1_11target_archE1030ELNS1_3gpuE2ELNS1_3repE0EEENS1_30default_config_static_selectorELNS0_4arch9wavefront6targetE1EEEvT1_
                                        ; -- End function
	.section	.AMDGPU.csdata,"",@progbits
; Kernel info:
; codeLenInByte = 0
; NumSgprs: 4
; NumVgprs: 0
; NumAgprs: 0
; TotalNumVgprs: 0
; ScratchSize: 0
; MemoryBound: 0
; FloatMode: 240
; IeeeMode: 1
; LDSByteSize: 0 bytes/workgroup (compile time only)
; SGPRBlocks: 0
; VGPRBlocks: 0
; NumSGPRsForWavesPerEU: 4
; NumVGPRsForWavesPerEU: 1
; AccumOffset: 4
; Occupancy: 8
; WaveLimiterHint : 0
; COMPUTE_PGM_RSRC2:SCRATCH_EN: 0
; COMPUTE_PGM_RSRC2:USER_SGPR: 6
; COMPUTE_PGM_RSRC2:TRAP_HANDLER: 0
; COMPUTE_PGM_RSRC2:TGID_X_EN: 1
; COMPUTE_PGM_RSRC2:TGID_Y_EN: 0
; COMPUTE_PGM_RSRC2:TGID_Z_EN: 0
; COMPUTE_PGM_RSRC2:TIDIG_COMP_CNT: 0
; COMPUTE_PGM_RSRC3_GFX90A:ACCUM_OFFSET: 0
; COMPUTE_PGM_RSRC3_GFX90A:TG_SPLIT: 0
	.section	.text._ZN6thrust23THRUST_200600_302600_NS11hip_rocprim14__parallel_for6kernelILj256ENS1_13__swap_ranges6swap_fINS0_6detail15normal_iteratorINS0_10device_ptrIxEEEENS0_16reverse_iteratorISA_EEEElLj1EEEvT0_T1_SF_,"axG",@progbits,_ZN6thrust23THRUST_200600_302600_NS11hip_rocprim14__parallel_for6kernelILj256ENS1_13__swap_ranges6swap_fINS0_6detail15normal_iteratorINS0_10device_ptrIxEEEENS0_16reverse_iteratorISA_EEEElLj1EEEvT0_T1_SF_,comdat
	.protected	_ZN6thrust23THRUST_200600_302600_NS11hip_rocprim14__parallel_for6kernelILj256ENS1_13__swap_ranges6swap_fINS0_6detail15normal_iteratorINS0_10device_ptrIxEEEENS0_16reverse_iteratorISA_EEEElLj1EEEvT0_T1_SF_ ; -- Begin function _ZN6thrust23THRUST_200600_302600_NS11hip_rocprim14__parallel_for6kernelILj256ENS1_13__swap_ranges6swap_fINS0_6detail15normal_iteratorINS0_10device_ptrIxEEEENS0_16reverse_iteratorISA_EEEElLj1EEEvT0_T1_SF_
	.globl	_ZN6thrust23THRUST_200600_302600_NS11hip_rocprim14__parallel_for6kernelILj256ENS1_13__swap_ranges6swap_fINS0_6detail15normal_iteratorINS0_10device_ptrIxEEEENS0_16reverse_iteratorISA_EEEElLj1EEEvT0_T1_SF_
	.p2align	8
	.type	_ZN6thrust23THRUST_200600_302600_NS11hip_rocprim14__parallel_for6kernelILj256ENS1_13__swap_ranges6swap_fINS0_6detail15normal_iteratorINS0_10device_ptrIxEEEENS0_16reverse_iteratorISA_EEEElLj1EEEvT0_T1_SF_,@function
_ZN6thrust23THRUST_200600_302600_NS11hip_rocprim14__parallel_for6kernelILj256ENS1_13__swap_ranges6swap_fINS0_6detail15normal_iteratorINS0_10device_ptrIxEEEENS0_16reverse_iteratorISA_EEEElLj1EEEvT0_T1_SF_: ; @_ZN6thrust23THRUST_200600_302600_NS11hip_rocprim14__parallel_for6kernelILj256ENS1_13__swap_ranges6swap_fINS0_6detail15normal_iteratorINS0_10device_ptrIxEEEENS0_16reverse_iteratorISA_EEEElLj1EEEvT0_T1_SF_
; %bb.0:
	s_load_dwordx8 s[8:15], s[4:5], 0x0
	s_lshl_b32 s0, s6, 8
	v_mov_b32_e32 v2, 0x100
	v_mov_b32_e32 v3, 0
	s_waitcnt lgkmcnt(0)
	s_add_u32 s2, s0, s14
	s_addc_u32 s3, 0, s15
	s_sub_u32 s0, s12, s2
	s_subb_u32 s1, s13, s3
	v_cmp_lt_i64_e32 vcc, s[0:1], v[2:3]
	s_and_b64 s[4:5], vcc, exec
	s_cselect_b32 s4, s0, 0x100
	s_cmpk_lg_i32 s4, 0x100
	s_mov_b64 s[0:1], -1
	s_cbranch_scc1 .LBB222_3
; %bb.1:
	s_andn2_b64 vcc, exec, s[0:1]
	s_cbranch_vccz .LBB222_6
.LBB222_2:
	s_endpgm
.LBB222_3:
	v_cmp_gt_u32_e32 vcc, s4, v0
	s_and_saveexec_b64 s[0:1], vcc
	s_cbranch_execz .LBB222_5
; %bb.4:
	v_mov_b32_e32 v1, s3
	v_add_co_u32_e32 v2, vcc, s2, v0
	v_addc_co_u32_e32 v3, vcc, 0, v1, vcc
	v_lshlrev_b64 v[2:3], 3, v[2:3]
	v_mov_b32_e32 v1, s11
	v_sub_co_u32_e32 v4, vcc, s10, v2
	v_subb_co_u32_e32 v1, vcc, v1, v3, vcc
	v_mov_b32_e32 v5, s9
	v_add_co_u32_e32 v2, vcc, s8, v2
	v_addc_co_u32_e32 v3, vcc, v5, v3, vcc
	v_add_co_u32_e32 v4, vcc, -8, v4
	v_addc_co_u32_e32 v5, vcc, -1, v1, vcc
	flat_load_dwordx2 v[6:7], v[4:5]
	flat_load_dwordx2 v[8:9], v[2:3]
	s_waitcnt vmcnt(0) lgkmcnt(0)
	flat_store_dwordx2 v[2:3], v[6:7]
	flat_store_dwordx2 v[4:5], v[8:9]
.LBB222_5:
	s_or_b64 exec, exec, s[0:1]
	s_cbranch_execnz .LBB222_2
.LBB222_6:
	v_mov_b32_e32 v1, s3
	v_add_co_u32_e32 v0, vcc, s2, v0
	v_addc_co_u32_e32 v1, vcc, 0, v1, vcc
	v_lshlrev_b64 v[0:1], 3, v[0:1]
	v_mov_b32_e32 v3, s9
	v_add_co_u32_e32 v2, vcc, s8, v0
	v_addc_co_u32_e32 v3, vcc, v3, v1, vcc
	v_mov_b32_e32 v4, s11
	v_sub_co_u32_e32 v0, vcc, s10, v0
	v_subb_co_u32_e32 v1, vcc, v4, v1, vcc
	v_add_co_u32_e32 v0, vcc, -8, v0
	v_addc_co_u32_e32 v1, vcc, -1, v1, vcc
	flat_load_dwordx2 v[4:5], v[0:1]
	flat_load_dwordx2 v[6:7], v[2:3]
	s_waitcnt vmcnt(0) lgkmcnt(0)
	flat_store_dwordx2 v[2:3], v[4:5]
	flat_store_dwordx2 v[0:1], v[6:7]
	s_endpgm
	.section	.rodata,"a",@progbits
	.p2align	6, 0x0
	.amdhsa_kernel _ZN6thrust23THRUST_200600_302600_NS11hip_rocprim14__parallel_for6kernelILj256ENS1_13__swap_ranges6swap_fINS0_6detail15normal_iteratorINS0_10device_ptrIxEEEENS0_16reverse_iteratorISA_EEEElLj1EEEvT0_T1_SF_
		.amdhsa_group_segment_fixed_size 0
		.amdhsa_private_segment_fixed_size 0
		.amdhsa_kernarg_size 32
		.amdhsa_user_sgpr_count 6
		.amdhsa_user_sgpr_private_segment_buffer 1
		.amdhsa_user_sgpr_dispatch_ptr 0
		.amdhsa_user_sgpr_queue_ptr 0
		.amdhsa_user_sgpr_kernarg_segment_ptr 1
		.amdhsa_user_sgpr_dispatch_id 0
		.amdhsa_user_sgpr_flat_scratch_init 0
		.amdhsa_user_sgpr_kernarg_preload_length 0
		.amdhsa_user_sgpr_kernarg_preload_offset 0
		.amdhsa_user_sgpr_private_segment_size 0
		.amdhsa_uses_dynamic_stack 0
		.amdhsa_system_sgpr_private_segment_wavefront_offset 0
		.amdhsa_system_sgpr_workgroup_id_x 1
		.amdhsa_system_sgpr_workgroup_id_y 0
		.amdhsa_system_sgpr_workgroup_id_z 0
		.amdhsa_system_sgpr_workgroup_info 0
		.amdhsa_system_vgpr_workitem_id 0
		.amdhsa_next_free_vgpr 10
		.amdhsa_next_free_sgpr 16
		.amdhsa_accum_offset 12
		.amdhsa_reserve_vcc 1
		.amdhsa_reserve_flat_scratch 0
		.amdhsa_float_round_mode_32 0
		.amdhsa_float_round_mode_16_64 0
		.amdhsa_float_denorm_mode_32 3
		.amdhsa_float_denorm_mode_16_64 3
		.amdhsa_dx10_clamp 1
		.amdhsa_ieee_mode 1
		.amdhsa_fp16_overflow 0
		.amdhsa_tg_split 0
		.amdhsa_exception_fp_ieee_invalid_op 0
		.amdhsa_exception_fp_denorm_src 0
		.amdhsa_exception_fp_ieee_div_zero 0
		.amdhsa_exception_fp_ieee_overflow 0
		.amdhsa_exception_fp_ieee_underflow 0
		.amdhsa_exception_fp_ieee_inexact 0
		.amdhsa_exception_int_div_zero 0
	.end_amdhsa_kernel
	.section	.text._ZN6thrust23THRUST_200600_302600_NS11hip_rocprim14__parallel_for6kernelILj256ENS1_13__swap_ranges6swap_fINS0_6detail15normal_iteratorINS0_10device_ptrIxEEEENS0_16reverse_iteratorISA_EEEElLj1EEEvT0_T1_SF_,"axG",@progbits,_ZN6thrust23THRUST_200600_302600_NS11hip_rocprim14__parallel_for6kernelILj256ENS1_13__swap_ranges6swap_fINS0_6detail15normal_iteratorINS0_10device_ptrIxEEEENS0_16reverse_iteratorISA_EEEElLj1EEEvT0_T1_SF_,comdat
.Lfunc_end222:
	.size	_ZN6thrust23THRUST_200600_302600_NS11hip_rocprim14__parallel_for6kernelILj256ENS1_13__swap_ranges6swap_fINS0_6detail15normal_iteratorINS0_10device_ptrIxEEEENS0_16reverse_iteratorISA_EEEElLj1EEEvT0_T1_SF_, .Lfunc_end222-_ZN6thrust23THRUST_200600_302600_NS11hip_rocprim14__parallel_for6kernelILj256ENS1_13__swap_ranges6swap_fINS0_6detail15normal_iteratorINS0_10device_ptrIxEEEENS0_16reverse_iteratorISA_EEEElLj1EEEvT0_T1_SF_
                                        ; -- End function
	.section	.AMDGPU.csdata,"",@progbits
; Kernel info:
; codeLenInByte = 284
; NumSgprs: 20
; NumVgprs: 10
; NumAgprs: 0
; TotalNumVgprs: 10
; ScratchSize: 0
; MemoryBound: 0
; FloatMode: 240
; IeeeMode: 1
; LDSByteSize: 0 bytes/workgroup (compile time only)
; SGPRBlocks: 2
; VGPRBlocks: 1
; NumSGPRsForWavesPerEU: 20
; NumVGPRsForWavesPerEU: 10
; AccumOffset: 12
; Occupancy: 8
; WaveLimiterHint : 0
; COMPUTE_PGM_RSRC2:SCRATCH_EN: 0
; COMPUTE_PGM_RSRC2:USER_SGPR: 6
; COMPUTE_PGM_RSRC2:TRAP_HANDLER: 0
; COMPUTE_PGM_RSRC2:TGID_X_EN: 1
; COMPUTE_PGM_RSRC2:TGID_Y_EN: 0
; COMPUTE_PGM_RSRC2:TGID_Z_EN: 0
; COMPUTE_PGM_RSRC2:TIDIG_COMP_CNT: 0
; COMPUTE_PGM_RSRC3_GFX90A:ACCUM_OFFSET: 2
; COMPUTE_PGM_RSRC3_GFX90A:TG_SPLIT: 0
	.section	.text._ZN7rocprim17ROCPRIM_400000_NS6detail17trampoline_kernelINS0_14default_configENS1_25partition_config_selectorILNS1_17partition_subalgoE2EiNS0_10empty_typeEbEEZZNS1_14partition_implILS5_2ELb0ES3_jN6thrust23THRUST_200600_302600_NS6detail15normal_iteratorINSA_7pointerIiNSA_11hip_rocprim3tagENSA_11use_defaultESG_EEEEPS6_NSA_18transform_iteratorI7is_evenIiENSC_INSA_10device_ptrIiEEEESG_SG_EENS0_5tupleIJPiSJ_EEENSR_IJSJ_SJ_EEES6_PlJS6_EEE10hipError_tPvRmT3_T4_T5_T6_T7_T9_mT8_P12ihipStream_tbDpT10_ENKUlT_T0_E_clISt17integral_constantIbLb0EES1F_EEDaS1A_S1B_EUlS1A_E_NS1_11comp_targetILNS1_3genE0ELNS1_11target_archE4294967295ELNS1_3gpuE0ELNS1_3repE0EEENS1_30default_config_static_selectorELNS0_4arch9wavefront6targetE1EEEvT1_,"axG",@progbits,_ZN7rocprim17ROCPRIM_400000_NS6detail17trampoline_kernelINS0_14default_configENS1_25partition_config_selectorILNS1_17partition_subalgoE2EiNS0_10empty_typeEbEEZZNS1_14partition_implILS5_2ELb0ES3_jN6thrust23THRUST_200600_302600_NS6detail15normal_iteratorINSA_7pointerIiNSA_11hip_rocprim3tagENSA_11use_defaultESG_EEEEPS6_NSA_18transform_iteratorI7is_evenIiENSC_INSA_10device_ptrIiEEEESG_SG_EENS0_5tupleIJPiSJ_EEENSR_IJSJ_SJ_EEES6_PlJS6_EEE10hipError_tPvRmT3_T4_T5_T6_T7_T9_mT8_P12ihipStream_tbDpT10_ENKUlT_T0_E_clISt17integral_constantIbLb0EES1F_EEDaS1A_S1B_EUlS1A_E_NS1_11comp_targetILNS1_3genE0ELNS1_11target_archE4294967295ELNS1_3gpuE0ELNS1_3repE0EEENS1_30default_config_static_selectorELNS0_4arch9wavefront6targetE1EEEvT1_,comdat
	.protected	_ZN7rocprim17ROCPRIM_400000_NS6detail17trampoline_kernelINS0_14default_configENS1_25partition_config_selectorILNS1_17partition_subalgoE2EiNS0_10empty_typeEbEEZZNS1_14partition_implILS5_2ELb0ES3_jN6thrust23THRUST_200600_302600_NS6detail15normal_iteratorINSA_7pointerIiNSA_11hip_rocprim3tagENSA_11use_defaultESG_EEEEPS6_NSA_18transform_iteratorI7is_evenIiENSC_INSA_10device_ptrIiEEEESG_SG_EENS0_5tupleIJPiSJ_EEENSR_IJSJ_SJ_EEES6_PlJS6_EEE10hipError_tPvRmT3_T4_T5_T6_T7_T9_mT8_P12ihipStream_tbDpT10_ENKUlT_T0_E_clISt17integral_constantIbLb0EES1F_EEDaS1A_S1B_EUlS1A_E_NS1_11comp_targetILNS1_3genE0ELNS1_11target_archE4294967295ELNS1_3gpuE0ELNS1_3repE0EEENS1_30default_config_static_selectorELNS0_4arch9wavefront6targetE1EEEvT1_ ; -- Begin function _ZN7rocprim17ROCPRIM_400000_NS6detail17trampoline_kernelINS0_14default_configENS1_25partition_config_selectorILNS1_17partition_subalgoE2EiNS0_10empty_typeEbEEZZNS1_14partition_implILS5_2ELb0ES3_jN6thrust23THRUST_200600_302600_NS6detail15normal_iteratorINSA_7pointerIiNSA_11hip_rocprim3tagENSA_11use_defaultESG_EEEEPS6_NSA_18transform_iteratorI7is_evenIiENSC_INSA_10device_ptrIiEEEESG_SG_EENS0_5tupleIJPiSJ_EEENSR_IJSJ_SJ_EEES6_PlJS6_EEE10hipError_tPvRmT3_T4_T5_T6_T7_T9_mT8_P12ihipStream_tbDpT10_ENKUlT_T0_E_clISt17integral_constantIbLb0EES1F_EEDaS1A_S1B_EUlS1A_E_NS1_11comp_targetILNS1_3genE0ELNS1_11target_archE4294967295ELNS1_3gpuE0ELNS1_3repE0EEENS1_30default_config_static_selectorELNS0_4arch9wavefront6targetE1EEEvT1_
	.globl	_ZN7rocprim17ROCPRIM_400000_NS6detail17trampoline_kernelINS0_14default_configENS1_25partition_config_selectorILNS1_17partition_subalgoE2EiNS0_10empty_typeEbEEZZNS1_14partition_implILS5_2ELb0ES3_jN6thrust23THRUST_200600_302600_NS6detail15normal_iteratorINSA_7pointerIiNSA_11hip_rocprim3tagENSA_11use_defaultESG_EEEEPS6_NSA_18transform_iteratorI7is_evenIiENSC_INSA_10device_ptrIiEEEESG_SG_EENS0_5tupleIJPiSJ_EEENSR_IJSJ_SJ_EEES6_PlJS6_EEE10hipError_tPvRmT3_T4_T5_T6_T7_T9_mT8_P12ihipStream_tbDpT10_ENKUlT_T0_E_clISt17integral_constantIbLb0EES1F_EEDaS1A_S1B_EUlS1A_E_NS1_11comp_targetILNS1_3genE0ELNS1_11target_archE4294967295ELNS1_3gpuE0ELNS1_3repE0EEENS1_30default_config_static_selectorELNS0_4arch9wavefront6targetE1EEEvT1_
	.p2align	8
	.type	_ZN7rocprim17ROCPRIM_400000_NS6detail17trampoline_kernelINS0_14default_configENS1_25partition_config_selectorILNS1_17partition_subalgoE2EiNS0_10empty_typeEbEEZZNS1_14partition_implILS5_2ELb0ES3_jN6thrust23THRUST_200600_302600_NS6detail15normal_iteratorINSA_7pointerIiNSA_11hip_rocprim3tagENSA_11use_defaultESG_EEEEPS6_NSA_18transform_iteratorI7is_evenIiENSC_INSA_10device_ptrIiEEEESG_SG_EENS0_5tupleIJPiSJ_EEENSR_IJSJ_SJ_EEES6_PlJS6_EEE10hipError_tPvRmT3_T4_T5_T6_T7_T9_mT8_P12ihipStream_tbDpT10_ENKUlT_T0_E_clISt17integral_constantIbLb0EES1F_EEDaS1A_S1B_EUlS1A_E_NS1_11comp_targetILNS1_3genE0ELNS1_11target_archE4294967295ELNS1_3gpuE0ELNS1_3repE0EEENS1_30default_config_static_selectorELNS0_4arch9wavefront6targetE1EEEvT1_,@function
_ZN7rocprim17ROCPRIM_400000_NS6detail17trampoline_kernelINS0_14default_configENS1_25partition_config_selectorILNS1_17partition_subalgoE2EiNS0_10empty_typeEbEEZZNS1_14partition_implILS5_2ELb0ES3_jN6thrust23THRUST_200600_302600_NS6detail15normal_iteratorINSA_7pointerIiNSA_11hip_rocprim3tagENSA_11use_defaultESG_EEEEPS6_NSA_18transform_iteratorI7is_evenIiENSC_INSA_10device_ptrIiEEEESG_SG_EENS0_5tupleIJPiSJ_EEENSR_IJSJ_SJ_EEES6_PlJS6_EEE10hipError_tPvRmT3_T4_T5_T6_T7_T9_mT8_P12ihipStream_tbDpT10_ENKUlT_T0_E_clISt17integral_constantIbLb0EES1F_EEDaS1A_S1B_EUlS1A_E_NS1_11comp_targetILNS1_3genE0ELNS1_11target_archE4294967295ELNS1_3gpuE0ELNS1_3repE0EEENS1_30default_config_static_selectorELNS0_4arch9wavefront6targetE1EEEvT1_: ; @_ZN7rocprim17ROCPRIM_400000_NS6detail17trampoline_kernelINS0_14default_configENS1_25partition_config_selectorILNS1_17partition_subalgoE2EiNS0_10empty_typeEbEEZZNS1_14partition_implILS5_2ELb0ES3_jN6thrust23THRUST_200600_302600_NS6detail15normal_iteratorINSA_7pointerIiNSA_11hip_rocprim3tagENSA_11use_defaultESG_EEEEPS6_NSA_18transform_iteratorI7is_evenIiENSC_INSA_10device_ptrIiEEEESG_SG_EENS0_5tupleIJPiSJ_EEENSR_IJSJ_SJ_EEES6_PlJS6_EEE10hipError_tPvRmT3_T4_T5_T6_T7_T9_mT8_P12ihipStream_tbDpT10_ENKUlT_T0_E_clISt17integral_constantIbLb0EES1F_EEDaS1A_S1B_EUlS1A_E_NS1_11comp_targetILNS1_3genE0ELNS1_11target_archE4294967295ELNS1_3gpuE0ELNS1_3repE0EEENS1_30default_config_static_selectorELNS0_4arch9wavefront6targetE1EEEvT1_
; %bb.0:
	.section	.rodata,"a",@progbits
	.p2align	6, 0x0
	.amdhsa_kernel _ZN7rocprim17ROCPRIM_400000_NS6detail17trampoline_kernelINS0_14default_configENS1_25partition_config_selectorILNS1_17partition_subalgoE2EiNS0_10empty_typeEbEEZZNS1_14partition_implILS5_2ELb0ES3_jN6thrust23THRUST_200600_302600_NS6detail15normal_iteratorINSA_7pointerIiNSA_11hip_rocprim3tagENSA_11use_defaultESG_EEEEPS6_NSA_18transform_iteratorI7is_evenIiENSC_INSA_10device_ptrIiEEEESG_SG_EENS0_5tupleIJPiSJ_EEENSR_IJSJ_SJ_EEES6_PlJS6_EEE10hipError_tPvRmT3_T4_T5_T6_T7_T9_mT8_P12ihipStream_tbDpT10_ENKUlT_T0_E_clISt17integral_constantIbLb0EES1F_EEDaS1A_S1B_EUlS1A_E_NS1_11comp_targetILNS1_3genE0ELNS1_11target_archE4294967295ELNS1_3gpuE0ELNS1_3repE0EEENS1_30default_config_static_selectorELNS0_4arch9wavefront6targetE1EEEvT1_
		.amdhsa_group_segment_fixed_size 0
		.amdhsa_private_segment_fixed_size 0
		.amdhsa_kernarg_size 128
		.amdhsa_user_sgpr_count 6
		.amdhsa_user_sgpr_private_segment_buffer 1
		.amdhsa_user_sgpr_dispatch_ptr 0
		.amdhsa_user_sgpr_queue_ptr 0
		.amdhsa_user_sgpr_kernarg_segment_ptr 1
		.amdhsa_user_sgpr_dispatch_id 0
		.amdhsa_user_sgpr_flat_scratch_init 0
		.amdhsa_user_sgpr_kernarg_preload_length 0
		.amdhsa_user_sgpr_kernarg_preload_offset 0
		.amdhsa_user_sgpr_private_segment_size 0
		.amdhsa_uses_dynamic_stack 0
		.amdhsa_system_sgpr_private_segment_wavefront_offset 0
		.amdhsa_system_sgpr_workgroup_id_x 1
		.amdhsa_system_sgpr_workgroup_id_y 0
		.amdhsa_system_sgpr_workgroup_id_z 0
		.amdhsa_system_sgpr_workgroup_info 0
		.amdhsa_system_vgpr_workitem_id 0
		.amdhsa_next_free_vgpr 1
		.amdhsa_next_free_sgpr 0
		.amdhsa_accum_offset 4
		.amdhsa_reserve_vcc 0
		.amdhsa_reserve_flat_scratch 0
		.amdhsa_float_round_mode_32 0
		.amdhsa_float_round_mode_16_64 0
		.amdhsa_float_denorm_mode_32 3
		.amdhsa_float_denorm_mode_16_64 3
		.amdhsa_dx10_clamp 1
		.amdhsa_ieee_mode 1
		.amdhsa_fp16_overflow 0
		.amdhsa_tg_split 0
		.amdhsa_exception_fp_ieee_invalid_op 0
		.amdhsa_exception_fp_denorm_src 0
		.amdhsa_exception_fp_ieee_div_zero 0
		.amdhsa_exception_fp_ieee_overflow 0
		.amdhsa_exception_fp_ieee_underflow 0
		.amdhsa_exception_fp_ieee_inexact 0
		.amdhsa_exception_int_div_zero 0
	.end_amdhsa_kernel
	.section	.text._ZN7rocprim17ROCPRIM_400000_NS6detail17trampoline_kernelINS0_14default_configENS1_25partition_config_selectorILNS1_17partition_subalgoE2EiNS0_10empty_typeEbEEZZNS1_14partition_implILS5_2ELb0ES3_jN6thrust23THRUST_200600_302600_NS6detail15normal_iteratorINSA_7pointerIiNSA_11hip_rocprim3tagENSA_11use_defaultESG_EEEEPS6_NSA_18transform_iteratorI7is_evenIiENSC_INSA_10device_ptrIiEEEESG_SG_EENS0_5tupleIJPiSJ_EEENSR_IJSJ_SJ_EEES6_PlJS6_EEE10hipError_tPvRmT3_T4_T5_T6_T7_T9_mT8_P12ihipStream_tbDpT10_ENKUlT_T0_E_clISt17integral_constantIbLb0EES1F_EEDaS1A_S1B_EUlS1A_E_NS1_11comp_targetILNS1_3genE0ELNS1_11target_archE4294967295ELNS1_3gpuE0ELNS1_3repE0EEENS1_30default_config_static_selectorELNS0_4arch9wavefront6targetE1EEEvT1_,"axG",@progbits,_ZN7rocprim17ROCPRIM_400000_NS6detail17trampoline_kernelINS0_14default_configENS1_25partition_config_selectorILNS1_17partition_subalgoE2EiNS0_10empty_typeEbEEZZNS1_14partition_implILS5_2ELb0ES3_jN6thrust23THRUST_200600_302600_NS6detail15normal_iteratorINSA_7pointerIiNSA_11hip_rocprim3tagENSA_11use_defaultESG_EEEEPS6_NSA_18transform_iteratorI7is_evenIiENSC_INSA_10device_ptrIiEEEESG_SG_EENS0_5tupleIJPiSJ_EEENSR_IJSJ_SJ_EEES6_PlJS6_EEE10hipError_tPvRmT3_T4_T5_T6_T7_T9_mT8_P12ihipStream_tbDpT10_ENKUlT_T0_E_clISt17integral_constantIbLb0EES1F_EEDaS1A_S1B_EUlS1A_E_NS1_11comp_targetILNS1_3genE0ELNS1_11target_archE4294967295ELNS1_3gpuE0ELNS1_3repE0EEENS1_30default_config_static_selectorELNS0_4arch9wavefront6targetE1EEEvT1_,comdat
.Lfunc_end223:
	.size	_ZN7rocprim17ROCPRIM_400000_NS6detail17trampoline_kernelINS0_14default_configENS1_25partition_config_selectorILNS1_17partition_subalgoE2EiNS0_10empty_typeEbEEZZNS1_14partition_implILS5_2ELb0ES3_jN6thrust23THRUST_200600_302600_NS6detail15normal_iteratorINSA_7pointerIiNSA_11hip_rocprim3tagENSA_11use_defaultESG_EEEEPS6_NSA_18transform_iteratorI7is_evenIiENSC_INSA_10device_ptrIiEEEESG_SG_EENS0_5tupleIJPiSJ_EEENSR_IJSJ_SJ_EEES6_PlJS6_EEE10hipError_tPvRmT3_T4_T5_T6_T7_T9_mT8_P12ihipStream_tbDpT10_ENKUlT_T0_E_clISt17integral_constantIbLb0EES1F_EEDaS1A_S1B_EUlS1A_E_NS1_11comp_targetILNS1_3genE0ELNS1_11target_archE4294967295ELNS1_3gpuE0ELNS1_3repE0EEENS1_30default_config_static_selectorELNS0_4arch9wavefront6targetE1EEEvT1_, .Lfunc_end223-_ZN7rocprim17ROCPRIM_400000_NS6detail17trampoline_kernelINS0_14default_configENS1_25partition_config_selectorILNS1_17partition_subalgoE2EiNS0_10empty_typeEbEEZZNS1_14partition_implILS5_2ELb0ES3_jN6thrust23THRUST_200600_302600_NS6detail15normal_iteratorINSA_7pointerIiNSA_11hip_rocprim3tagENSA_11use_defaultESG_EEEEPS6_NSA_18transform_iteratorI7is_evenIiENSC_INSA_10device_ptrIiEEEESG_SG_EENS0_5tupleIJPiSJ_EEENSR_IJSJ_SJ_EEES6_PlJS6_EEE10hipError_tPvRmT3_T4_T5_T6_T7_T9_mT8_P12ihipStream_tbDpT10_ENKUlT_T0_E_clISt17integral_constantIbLb0EES1F_EEDaS1A_S1B_EUlS1A_E_NS1_11comp_targetILNS1_3genE0ELNS1_11target_archE4294967295ELNS1_3gpuE0ELNS1_3repE0EEENS1_30default_config_static_selectorELNS0_4arch9wavefront6targetE1EEEvT1_
                                        ; -- End function
	.section	.AMDGPU.csdata,"",@progbits
; Kernel info:
; codeLenInByte = 0
; NumSgprs: 4
; NumVgprs: 0
; NumAgprs: 0
; TotalNumVgprs: 0
; ScratchSize: 0
; MemoryBound: 0
; FloatMode: 240
; IeeeMode: 1
; LDSByteSize: 0 bytes/workgroup (compile time only)
; SGPRBlocks: 0
; VGPRBlocks: 0
; NumSGPRsForWavesPerEU: 4
; NumVGPRsForWavesPerEU: 1
; AccumOffset: 4
; Occupancy: 8
; WaveLimiterHint : 0
; COMPUTE_PGM_RSRC2:SCRATCH_EN: 0
; COMPUTE_PGM_RSRC2:USER_SGPR: 6
; COMPUTE_PGM_RSRC2:TRAP_HANDLER: 0
; COMPUTE_PGM_RSRC2:TGID_X_EN: 1
; COMPUTE_PGM_RSRC2:TGID_Y_EN: 0
; COMPUTE_PGM_RSRC2:TGID_Z_EN: 0
; COMPUTE_PGM_RSRC2:TIDIG_COMP_CNT: 0
; COMPUTE_PGM_RSRC3_GFX90A:ACCUM_OFFSET: 0
; COMPUTE_PGM_RSRC3_GFX90A:TG_SPLIT: 0
	.section	.text._ZN7rocprim17ROCPRIM_400000_NS6detail17trampoline_kernelINS0_14default_configENS1_25partition_config_selectorILNS1_17partition_subalgoE2EiNS0_10empty_typeEbEEZZNS1_14partition_implILS5_2ELb0ES3_jN6thrust23THRUST_200600_302600_NS6detail15normal_iteratorINSA_7pointerIiNSA_11hip_rocprim3tagENSA_11use_defaultESG_EEEEPS6_NSA_18transform_iteratorI7is_evenIiENSC_INSA_10device_ptrIiEEEESG_SG_EENS0_5tupleIJPiSJ_EEENSR_IJSJ_SJ_EEES6_PlJS6_EEE10hipError_tPvRmT3_T4_T5_T6_T7_T9_mT8_P12ihipStream_tbDpT10_ENKUlT_T0_E_clISt17integral_constantIbLb0EES1F_EEDaS1A_S1B_EUlS1A_E_NS1_11comp_targetILNS1_3genE5ELNS1_11target_archE942ELNS1_3gpuE9ELNS1_3repE0EEENS1_30default_config_static_selectorELNS0_4arch9wavefront6targetE1EEEvT1_,"axG",@progbits,_ZN7rocprim17ROCPRIM_400000_NS6detail17trampoline_kernelINS0_14default_configENS1_25partition_config_selectorILNS1_17partition_subalgoE2EiNS0_10empty_typeEbEEZZNS1_14partition_implILS5_2ELb0ES3_jN6thrust23THRUST_200600_302600_NS6detail15normal_iteratorINSA_7pointerIiNSA_11hip_rocprim3tagENSA_11use_defaultESG_EEEEPS6_NSA_18transform_iteratorI7is_evenIiENSC_INSA_10device_ptrIiEEEESG_SG_EENS0_5tupleIJPiSJ_EEENSR_IJSJ_SJ_EEES6_PlJS6_EEE10hipError_tPvRmT3_T4_T5_T6_T7_T9_mT8_P12ihipStream_tbDpT10_ENKUlT_T0_E_clISt17integral_constantIbLb0EES1F_EEDaS1A_S1B_EUlS1A_E_NS1_11comp_targetILNS1_3genE5ELNS1_11target_archE942ELNS1_3gpuE9ELNS1_3repE0EEENS1_30default_config_static_selectorELNS0_4arch9wavefront6targetE1EEEvT1_,comdat
	.protected	_ZN7rocprim17ROCPRIM_400000_NS6detail17trampoline_kernelINS0_14default_configENS1_25partition_config_selectorILNS1_17partition_subalgoE2EiNS0_10empty_typeEbEEZZNS1_14partition_implILS5_2ELb0ES3_jN6thrust23THRUST_200600_302600_NS6detail15normal_iteratorINSA_7pointerIiNSA_11hip_rocprim3tagENSA_11use_defaultESG_EEEEPS6_NSA_18transform_iteratorI7is_evenIiENSC_INSA_10device_ptrIiEEEESG_SG_EENS0_5tupleIJPiSJ_EEENSR_IJSJ_SJ_EEES6_PlJS6_EEE10hipError_tPvRmT3_T4_T5_T6_T7_T9_mT8_P12ihipStream_tbDpT10_ENKUlT_T0_E_clISt17integral_constantIbLb0EES1F_EEDaS1A_S1B_EUlS1A_E_NS1_11comp_targetILNS1_3genE5ELNS1_11target_archE942ELNS1_3gpuE9ELNS1_3repE0EEENS1_30default_config_static_selectorELNS0_4arch9wavefront6targetE1EEEvT1_ ; -- Begin function _ZN7rocprim17ROCPRIM_400000_NS6detail17trampoline_kernelINS0_14default_configENS1_25partition_config_selectorILNS1_17partition_subalgoE2EiNS0_10empty_typeEbEEZZNS1_14partition_implILS5_2ELb0ES3_jN6thrust23THRUST_200600_302600_NS6detail15normal_iteratorINSA_7pointerIiNSA_11hip_rocprim3tagENSA_11use_defaultESG_EEEEPS6_NSA_18transform_iteratorI7is_evenIiENSC_INSA_10device_ptrIiEEEESG_SG_EENS0_5tupleIJPiSJ_EEENSR_IJSJ_SJ_EEES6_PlJS6_EEE10hipError_tPvRmT3_T4_T5_T6_T7_T9_mT8_P12ihipStream_tbDpT10_ENKUlT_T0_E_clISt17integral_constantIbLb0EES1F_EEDaS1A_S1B_EUlS1A_E_NS1_11comp_targetILNS1_3genE5ELNS1_11target_archE942ELNS1_3gpuE9ELNS1_3repE0EEENS1_30default_config_static_selectorELNS0_4arch9wavefront6targetE1EEEvT1_
	.globl	_ZN7rocprim17ROCPRIM_400000_NS6detail17trampoline_kernelINS0_14default_configENS1_25partition_config_selectorILNS1_17partition_subalgoE2EiNS0_10empty_typeEbEEZZNS1_14partition_implILS5_2ELb0ES3_jN6thrust23THRUST_200600_302600_NS6detail15normal_iteratorINSA_7pointerIiNSA_11hip_rocprim3tagENSA_11use_defaultESG_EEEEPS6_NSA_18transform_iteratorI7is_evenIiENSC_INSA_10device_ptrIiEEEESG_SG_EENS0_5tupleIJPiSJ_EEENSR_IJSJ_SJ_EEES6_PlJS6_EEE10hipError_tPvRmT3_T4_T5_T6_T7_T9_mT8_P12ihipStream_tbDpT10_ENKUlT_T0_E_clISt17integral_constantIbLb0EES1F_EEDaS1A_S1B_EUlS1A_E_NS1_11comp_targetILNS1_3genE5ELNS1_11target_archE942ELNS1_3gpuE9ELNS1_3repE0EEENS1_30default_config_static_selectorELNS0_4arch9wavefront6targetE1EEEvT1_
	.p2align	8
	.type	_ZN7rocprim17ROCPRIM_400000_NS6detail17trampoline_kernelINS0_14default_configENS1_25partition_config_selectorILNS1_17partition_subalgoE2EiNS0_10empty_typeEbEEZZNS1_14partition_implILS5_2ELb0ES3_jN6thrust23THRUST_200600_302600_NS6detail15normal_iteratorINSA_7pointerIiNSA_11hip_rocprim3tagENSA_11use_defaultESG_EEEEPS6_NSA_18transform_iteratorI7is_evenIiENSC_INSA_10device_ptrIiEEEESG_SG_EENS0_5tupleIJPiSJ_EEENSR_IJSJ_SJ_EEES6_PlJS6_EEE10hipError_tPvRmT3_T4_T5_T6_T7_T9_mT8_P12ihipStream_tbDpT10_ENKUlT_T0_E_clISt17integral_constantIbLb0EES1F_EEDaS1A_S1B_EUlS1A_E_NS1_11comp_targetILNS1_3genE5ELNS1_11target_archE942ELNS1_3gpuE9ELNS1_3repE0EEENS1_30default_config_static_selectorELNS0_4arch9wavefront6targetE1EEEvT1_,@function
_ZN7rocprim17ROCPRIM_400000_NS6detail17trampoline_kernelINS0_14default_configENS1_25partition_config_selectorILNS1_17partition_subalgoE2EiNS0_10empty_typeEbEEZZNS1_14partition_implILS5_2ELb0ES3_jN6thrust23THRUST_200600_302600_NS6detail15normal_iteratorINSA_7pointerIiNSA_11hip_rocprim3tagENSA_11use_defaultESG_EEEEPS6_NSA_18transform_iteratorI7is_evenIiENSC_INSA_10device_ptrIiEEEESG_SG_EENS0_5tupleIJPiSJ_EEENSR_IJSJ_SJ_EEES6_PlJS6_EEE10hipError_tPvRmT3_T4_T5_T6_T7_T9_mT8_P12ihipStream_tbDpT10_ENKUlT_T0_E_clISt17integral_constantIbLb0EES1F_EEDaS1A_S1B_EUlS1A_E_NS1_11comp_targetILNS1_3genE5ELNS1_11target_archE942ELNS1_3gpuE9ELNS1_3repE0EEENS1_30default_config_static_selectorELNS0_4arch9wavefront6targetE1EEEvT1_: ; @_ZN7rocprim17ROCPRIM_400000_NS6detail17trampoline_kernelINS0_14default_configENS1_25partition_config_selectorILNS1_17partition_subalgoE2EiNS0_10empty_typeEbEEZZNS1_14partition_implILS5_2ELb0ES3_jN6thrust23THRUST_200600_302600_NS6detail15normal_iteratorINSA_7pointerIiNSA_11hip_rocprim3tagENSA_11use_defaultESG_EEEEPS6_NSA_18transform_iteratorI7is_evenIiENSC_INSA_10device_ptrIiEEEESG_SG_EENS0_5tupleIJPiSJ_EEENSR_IJSJ_SJ_EEES6_PlJS6_EEE10hipError_tPvRmT3_T4_T5_T6_T7_T9_mT8_P12ihipStream_tbDpT10_ENKUlT_T0_E_clISt17integral_constantIbLb0EES1F_EEDaS1A_S1B_EUlS1A_E_NS1_11comp_targetILNS1_3genE5ELNS1_11target_archE942ELNS1_3gpuE9ELNS1_3repE0EEENS1_30default_config_static_selectorELNS0_4arch9wavefront6targetE1EEEvT1_
; %bb.0:
	.section	.rodata,"a",@progbits
	.p2align	6, 0x0
	.amdhsa_kernel _ZN7rocprim17ROCPRIM_400000_NS6detail17trampoline_kernelINS0_14default_configENS1_25partition_config_selectorILNS1_17partition_subalgoE2EiNS0_10empty_typeEbEEZZNS1_14partition_implILS5_2ELb0ES3_jN6thrust23THRUST_200600_302600_NS6detail15normal_iteratorINSA_7pointerIiNSA_11hip_rocprim3tagENSA_11use_defaultESG_EEEEPS6_NSA_18transform_iteratorI7is_evenIiENSC_INSA_10device_ptrIiEEEESG_SG_EENS0_5tupleIJPiSJ_EEENSR_IJSJ_SJ_EEES6_PlJS6_EEE10hipError_tPvRmT3_T4_T5_T6_T7_T9_mT8_P12ihipStream_tbDpT10_ENKUlT_T0_E_clISt17integral_constantIbLb0EES1F_EEDaS1A_S1B_EUlS1A_E_NS1_11comp_targetILNS1_3genE5ELNS1_11target_archE942ELNS1_3gpuE9ELNS1_3repE0EEENS1_30default_config_static_selectorELNS0_4arch9wavefront6targetE1EEEvT1_
		.amdhsa_group_segment_fixed_size 0
		.amdhsa_private_segment_fixed_size 0
		.amdhsa_kernarg_size 128
		.amdhsa_user_sgpr_count 6
		.amdhsa_user_sgpr_private_segment_buffer 1
		.amdhsa_user_sgpr_dispatch_ptr 0
		.amdhsa_user_sgpr_queue_ptr 0
		.amdhsa_user_sgpr_kernarg_segment_ptr 1
		.amdhsa_user_sgpr_dispatch_id 0
		.amdhsa_user_sgpr_flat_scratch_init 0
		.amdhsa_user_sgpr_kernarg_preload_length 0
		.amdhsa_user_sgpr_kernarg_preload_offset 0
		.amdhsa_user_sgpr_private_segment_size 0
		.amdhsa_uses_dynamic_stack 0
		.amdhsa_system_sgpr_private_segment_wavefront_offset 0
		.amdhsa_system_sgpr_workgroup_id_x 1
		.amdhsa_system_sgpr_workgroup_id_y 0
		.amdhsa_system_sgpr_workgroup_id_z 0
		.amdhsa_system_sgpr_workgroup_info 0
		.amdhsa_system_vgpr_workitem_id 0
		.amdhsa_next_free_vgpr 1
		.amdhsa_next_free_sgpr 0
		.amdhsa_accum_offset 4
		.amdhsa_reserve_vcc 0
		.amdhsa_reserve_flat_scratch 0
		.amdhsa_float_round_mode_32 0
		.amdhsa_float_round_mode_16_64 0
		.amdhsa_float_denorm_mode_32 3
		.amdhsa_float_denorm_mode_16_64 3
		.amdhsa_dx10_clamp 1
		.amdhsa_ieee_mode 1
		.amdhsa_fp16_overflow 0
		.amdhsa_tg_split 0
		.amdhsa_exception_fp_ieee_invalid_op 0
		.amdhsa_exception_fp_denorm_src 0
		.amdhsa_exception_fp_ieee_div_zero 0
		.amdhsa_exception_fp_ieee_overflow 0
		.amdhsa_exception_fp_ieee_underflow 0
		.amdhsa_exception_fp_ieee_inexact 0
		.amdhsa_exception_int_div_zero 0
	.end_amdhsa_kernel
	.section	.text._ZN7rocprim17ROCPRIM_400000_NS6detail17trampoline_kernelINS0_14default_configENS1_25partition_config_selectorILNS1_17partition_subalgoE2EiNS0_10empty_typeEbEEZZNS1_14partition_implILS5_2ELb0ES3_jN6thrust23THRUST_200600_302600_NS6detail15normal_iteratorINSA_7pointerIiNSA_11hip_rocprim3tagENSA_11use_defaultESG_EEEEPS6_NSA_18transform_iteratorI7is_evenIiENSC_INSA_10device_ptrIiEEEESG_SG_EENS0_5tupleIJPiSJ_EEENSR_IJSJ_SJ_EEES6_PlJS6_EEE10hipError_tPvRmT3_T4_T5_T6_T7_T9_mT8_P12ihipStream_tbDpT10_ENKUlT_T0_E_clISt17integral_constantIbLb0EES1F_EEDaS1A_S1B_EUlS1A_E_NS1_11comp_targetILNS1_3genE5ELNS1_11target_archE942ELNS1_3gpuE9ELNS1_3repE0EEENS1_30default_config_static_selectorELNS0_4arch9wavefront6targetE1EEEvT1_,"axG",@progbits,_ZN7rocprim17ROCPRIM_400000_NS6detail17trampoline_kernelINS0_14default_configENS1_25partition_config_selectorILNS1_17partition_subalgoE2EiNS0_10empty_typeEbEEZZNS1_14partition_implILS5_2ELb0ES3_jN6thrust23THRUST_200600_302600_NS6detail15normal_iteratorINSA_7pointerIiNSA_11hip_rocprim3tagENSA_11use_defaultESG_EEEEPS6_NSA_18transform_iteratorI7is_evenIiENSC_INSA_10device_ptrIiEEEESG_SG_EENS0_5tupleIJPiSJ_EEENSR_IJSJ_SJ_EEES6_PlJS6_EEE10hipError_tPvRmT3_T4_T5_T6_T7_T9_mT8_P12ihipStream_tbDpT10_ENKUlT_T0_E_clISt17integral_constantIbLb0EES1F_EEDaS1A_S1B_EUlS1A_E_NS1_11comp_targetILNS1_3genE5ELNS1_11target_archE942ELNS1_3gpuE9ELNS1_3repE0EEENS1_30default_config_static_selectorELNS0_4arch9wavefront6targetE1EEEvT1_,comdat
.Lfunc_end224:
	.size	_ZN7rocprim17ROCPRIM_400000_NS6detail17trampoline_kernelINS0_14default_configENS1_25partition_config_selectorILNS1_17partition_subalgoE2EiNS0_10empty_typeEbEEZZNS1_14partition_implILS5_2ELb0ES3_jN6thrust23THRUST_200600_302600_NS6detail15normal_iteratorINSA_7pointerIiNSA_11hip_rocprim3tagENSA_11use_defaultESG_EEEEPS6_NSA_18transform_iteratorI7is_evenIiENSC_INSA_10device_ptrIiEEEESG_SG_EENS0_5tupleIJPiSJ_EEENSR_IJSJ_SJ_EEES6_PlJS6_EEE10hipError_tPvRmT3_T4_T5_T6_T7_T9_mT8_P12ihipStream_tbDpT10_ENKUlT_T0_E_clISt17integral_constantIbLb0EES1F_EEDaS1A_S1B_EUlS1A_E_NS1_11comp_targetILNS1_3genE5ELNS1_11target_archE942ELNS1_3gpuE9ELNS1_3repE0EEENS1_30default_config_static_selectorELNS0_4arch9wavefront6targetE1EEEvT1_, .Lfunc_end224-_ZN7rocprim17ROCPRIM_400000_NS6detail17trampoline_kernelINS0_14default_configENS1_25partition_config_selectorILNS1_17partition_subalgoE2EiNS0_10empty_typeEbEEZZNS1_14partition_implILS5_2ELb0ES3_jN6thrust23THRUST_200600_302600_NS6detail15normal_iteratorINSA_7pointerIiNSA_11hip_rocprim3tagENSA_11use_defaultESG_EEEEPS6_NSA_18transform_iteratorI7is_evenIiENSC_INSA_10device_ptrIiEEEESG_SG_EENS0_5tupleIJPiSJ_EEENSR_IJSJ_SJ_EEES6_PlJS6_EEE10hipError_tPvRmT3_T4_T5_T6_T7_T9_mT8_P12ihipStream_tbDpT10_ENKUlT_T0_E_clISt17integral_constantIbLb0EES1F_EEDaS1A_S1B_EUlS1A_E_NS1_11comp_targetILNS1_3genE5ELNS1_11target_archE942ELNS1_3gpuE9ELNS1_3repE0EEENS1_30default_config_static_selectorELNS0_4arch9wavefront6targetE1EEEvT1_
                                        ; -- End function
	.section	.AMDGPU.csdata,"",@progbits
; Kernel info:
; codeLenInByte = 0
; NumSgprs: 4
; NumVgprs: 0
; NumAgprs: 0
; TotalNumVgprs: 0
; ScratchSize: 0
; MemoryBound: 0
; FloatMode: 240
; IeeeMode: 1
; LDSByteSize: 0 bytes/workgroup (compile time only)
; SGPRBlocks: 0
; VGPRBlocks: 0
; NumSGPRsForWavesPerEU: 4
; NumVGPRsForWavesPerEU: 1
; AccumOffset: 4
; Occupancy: 8
; WaveLimiterHint : 0
; COMPUTE_PGM_RSRC2:SCRATCH_EN: 0
; COMPUTE_PGM_RSRC2:USER_SGPR: 6
; COMPUTE_PGM_RSRC2:TRAP_HANDLER: 0
; COMPUTE_PGM_RSRC2:TGID_X_EN: 1
; COMPUTE_PGM_RSRC2:TGID_Y_EN: 0
; COMPUTE_PGM_RSRC2:TGID_Z_EN: 0
; COMPUTE_PGM_RSRC2:TIDIG_COMP_CNT: 0
; COMPUTE_PGM_RSRC3_GFX90A:ACCUM_OFFSET: 0
; COMPUTE_PGM_RSRC3_GFX90A:TG_SPLIT: 0
	.section	.text._ZN7rocprim17ROCPRIM_400000_NS6detail17trampoline_kernelINS0_14default_configENS1_25partition_config_selectorILNS1_17partition_subalgoE2EiNS0_10empty_typeEbEEZZNS1_14partition_implILS5_2ELb0ES3_jN6thrust23THRUST_200600_302600_NS6detail15normal_iteratorINSA_7pointerIiNSA_11hip_rocprim3tagENSA_11use_defaultESG_EEEEPS6_NSA_18transform_iteratorI7is_evenIiENSC_INSA_10device_ptrIiEEEESG_SG_EENS0_5tupleIJPiSJ_EEENSR_IJSJ_SJ_EEES6_PlJS6_EEE10hipError_tPvRmT3_T4_T5_T6_T7_T9_mT8_P12ihipStream_tbDpT10_ENKUlT_T0_E_clISt17integral_constantIbLb0EES1F_EEDaS1A_S1B_EUlS1A_E_NS1_11comp_targetILNS1_3genE4ELNS1_11target_archE910ELNS1_3gpuE8ELNS1_3repE0EEENS1_30default_config_static_selectorELNS0_4arch9wavefront6targetE1EEEvT1_,"axG",@progbits,_ZN7rocprim17ROCPRIM_400000_NS6detail17trampoline_kernelINS0_14default_configENS1_25partition_config_selectorILNS1_17partition_subalgoE2EiNS0_10empty_typeEbEEZZNS1_14partition_implILS5_2ELb0ES3_jN6thrust23THRUST_200600_302600_NS6detail15normal_iteratorINSA_7pointerIiNSA_11hip_rocprim3tagENSA_11use_defaultESG_EEEEPS6_NSA_18transform_iteratorI7is_evenIiENSC_INSA_10device_ptrIiEEEESG_SG_EENS0_5tupleIJPiSJ_EEENSR_IJSJ_SJ_EEES6_PlJS6_EEE10hipError_tPvRmT3_T4_T5_T6_T7_T9_mT8_P12ihipStream_tbDpT10_ENKUlT_T0_E_clISt17integral_constantIbLb0EES1F_EEDaS1A_S1B_EUlS1A_E_NS1_11comp_targetILNS1_3genE4ELNS1_11target_archE910ELNS1_3gpuE8ELNS1_3repE0EEENS1_30default_config_static_selectorELNS0_4arch9wavefront6targetE1EEEvT1_,comdat
	.protected	_ZN7rocprim17ROCPRIM_400000_NS6detail17trampoline_kernelINS0_14default_configENS1_25partition_config_selectorILNS1_17partition_subalgoE2EiNS0_10empty_typeEbEEZZNS1_14partition_implILS5_2ELb0ES3_jN6thrust23THRUST_200600_302600_NS6detail15normal_iteratorINSA_7pointerIiNSA_11hip_rocprim3tagENSA_11use_defaultESG_EEEEPS6_NSA_18transform_iteratorI7is_evenIiENSC_INSA_10device_ptrIiEEEESG_SG_EENS0_5tupleIJPiSJ_EEENSR_IJSJ_SJ_EEES6_PlJS6_EEE10hipError_tPvRmT3_T4_T5_T6_T7_T9_mT8_P12ihipStream_tbDpT10_ENKUlT_T0_E_clISt17integral_constantIbLb0EES1F_EEDaS1A_S1B_EUlS1A_E_NS1_11comp_targetILNS1_3genE4ELNS1_11target_archE910ELNS1_3gpuE8ELNS1_3repE0EEENS1_30default_config_static_selectorELNS0_4arch9wavefront6targetE1EEEvT1_ ; -- Begin function _ZN7rocprim17ROCPRIM_400000_NS6detail17trampoline_kernelINS0_14default_configENS1_25partition_config_selectorILNS1_17partition_subalgoE2EiNS0_10empty_typeEbEEZZNS1_14partition_implILS5_2ELb0ES3_jN6thrust23THRUST_200600_302600_NS6detail15normal_iteratorINSA_7pointerIiNSA_11hip_rocprim3tagENSA_11use_defaultESG_EEEEPS6_NSA_18transform_iteratorI7is_evenIiENSC_INSA_10device_ptrIiEEEESG_SG_EENS0_5tupleIJPiSJ_EEENSR_IJSJ_SJ_EEES6_PlJS6_EEE10hipError_tPvRmT3_T4_T5_T6_T7_T9_mT8_P12ihipStream_tbDpT10_ENKUlT_T0_E_clISt17integral_constantIbLb0EES1F_EEDaS1A_S1B_EUlS1A_E_NS1_11comp_targetILNS1_3genE4ELNS1_11target_archE910ELNS1_3gpuE8ELNS1_3repE0EEENS1_30default_config_static_selectorELNS0_4arch9wavefront6targetE1EEEvT1_
	.globl	_ZN7rocprim17ROCPRIM_400000_NS6detail17trampoline_kernelINS0_14default_configENS1_25partition_config_selectorILNS1_17partition_subalgoE2EiNS0_10empty_typeEbEEZZNS1_14partition_implILS5_2ELb0ES3_jN6thrust23THRUST_200600_302600_NS6detail15normal_iteratorINSA_7pointerIiNSA_11hip_rocprim3tagENSA_11use_defaultESG_EEEEPS6_NSA_18transform_iteratorI7is_evenIiENSC_INSA_10device_ptrIiEEEESG_SG_EENS0_5tupleIJPiSJ_EEENSR_IJSJ_SJ_EEES6_PlJS6_EEE10hipError_tPvRmT3_T4_T5_T6_T7_T9_mT8_P12ihipStream_tbDpT10_ENKUlT_T0_E_clISt17integral_constantIbLb0EES1F_EEDaS1A_S1B_EUlS1A_E_NS1_11comp_targetILNS1_3genE4ELNS1_11target_archE910ELNS1_3gpuE8ELNS1_3repE0EEENS1_30default_config_static_selectorELNS0_4arch9wavefront6targetE1EEEvT1_
	.p2align	8
	.type	_ZN7rocprim17ROCPRIM_400000_NS6detail17trampoline_kernelINS0_14default_configENS1_25partition_config_selectorILNS1_17partition_subalgoE2EiNS0_10empty_typeEbEEZZNS1_14partition_implILS5_2ELb0ES3_jN6thrust23THRUST_200600_302600_NS6detail15normal_iteratorINSA_7pointerIiNSA_11hip_rocprim3tagENSA_11use_defaultESG_EEEEPS6_NSA_18transform_iteratorI7is_evenIiENSC_INSA_10device_ptrIiEEEESG_SG_EENS0_5tupleIJPiSJ_EEENSR_IJSJ_SJ_EEES6_PlJS6_EEE10hipError_tPvRmT3_T4_T5_T6_T7_T9_mT8_P12ihipStream_tbDpT10_ENKUlT_T0_E_clISt17integral_constantIbLb0EES1F_EEDaS1A_S1B_EUlS1A_E_NS1_11comp_targetILNS1_3genE4ELNS1_11target_archE910ELNS1_3gpuE8ELNS1_3repE0EEENS1_30default_config_static_selectorELNS0_4arch9wavefront6targetE1EEEvT1_,@function
_ZN7rocprim17ROCPRIM_400000_NS6detail17trampoline_kernelINS0_14default_configENS1_25partition_config_selectorILNS1_17partition_subalgoE2EiNS0_10empty_typeEbEEZZNS1_14partition_implILS5_2ELb0ES3_jN6thrust23THRUST_200600_302600_NS6detail15normal_iteratorINSA_7pointerIiNSA_11hip_rocprim3tagENSA_11use_defaultESG_EEEEPS6_NSA_18transform_iteratorI7is_evenIiENSC_INSA_10device_ptrIiEEEESG_SG_EENS0_5tupleIJPiSJ_EEENSR_IJSJ_SJ_EEES6_PlJS6_EEE10hipError_tPvRmT3_T4_T5_T6_T7_T9_mT8_P12ihipStream_tbDpT10_ENKUlT_T0_E_clISt17integral_constantIbLb0EES1F_EEDaS1A_S1B_EUlS1A_E_NS1_11comp_targetILNS1_3genE4ELNS1_11target_archE910ELNS1_3gpuE8ELNS1_3repE0EEENS1_30default_config_static_selectorELNS0_4arch9wavefront6targetE1EEEvT1_: ; @_ZN7rocprim17ROCPRIM_400000_NS6detail17trampoline_kernelINS0_14default_configENS1_25partition_config_selectorILNS1_17partition_subalgoE2EiNS0_10empty_typeEbEEZZNS1_14partition_implILS5_2ELb0ES3_jN6thrust23THRUST_200600_302600_NS6detail15normal_iteratorINSA_7pointerIiNSA_11hip_rocprim3tagENSA_11use_defaultESG_EEEEPS6_NSA_18transform_iteratorI7is_evenIiENSC_INSA_10device_ptrIiEEEESG_SG_EENS0_5tupleIJPiSJ_EEENSR_IJSJ_SJ_EEES6_PlJS6_EEE10hipError_tPvRmT3_T4_T5_T6_T7_T9_mT8_P12ihipStream_tbDpT10_ENKUlT_T0_E_clISt17integral_constantIbLb0EES1F_EEDaS1A_S1B_EUlS1A_E_NS1_11comp_targetILNS1_3genE4ELNS1_11target_archE910ELNS1_3gpuE8ELNS1_3repE0EEENS1_30default_config_static_selectorELNS0_4arch9wavefront6targetE1EEEvT1_
; %bb.0:
	s_load_dwordx4 s[24:27], s[4:5], 0x8
	s_load_dwordx2 s[2:3], s[4:5], 0x20
	s_load_dwordx2 s[28:29], s[4:5], 0x60
	s_load_dwordx4 s[20:23], s[4:5], 0x50
	s_load_dword s0, s[4:5], 0x78
	s_waitcnt lgkmcnt(0)
	s_lshl_b64 s[8:9], s[26:27], 2
	s_add_u32 s7, s24, s8
	s_addc_u32 s12, s25, s9
	s_load_dwordx2 s[30:31], s[22:23], 0x0
	s_add_i32 s10, s0, -1
	s_mulk_i32 s0, 0xa00
	s_add_i32 s1, s0, s26
	s_sub_i32 s33, s28, s1
	s_addk_i32 s33, 0xa00
	s_add_u32 s0, s26, s0
	s_addc_u32 s1, s27, 0
	s_cmp_eq_u32 s6, s10
	v_pk_mov_b32 v[2:3], s[28:29], s[28:29] op_sel:[0,1]
	s_cselect_b64 s[22:23], -1, 0
	s_cmp_lg_u32 s6, s10
	s_mul_i32 s24, s6, 0xa00
	s_mov_b32 s25, 0
	v_cmp_lt_u64_e32 vcc, s[0:1], v[2:3]
	s_cselect_b64 s[0:1], -1, 0
	s_or_b64 s[34:35], s[0:1], vcc
	s_lshl_b64 s[10:11], s[24:25], 2
	s_add_u32 s7, s7, s10
	s_addc_u32 s14, s12, s11
	s_mov_b64 s[0:1], -1
	s_and_b64 vcc, exec, s[34:35]
	v_lshlrev_b32_e32 v1, 2, v0
	s_cbranch_vccz .LBB225_2
; %bb.1:
	v_mov_b32_e32 v3, s14
	v_add_co_u32_e32 v2, vcc, s7, v1
	v_addc_co_u32_e32 v3, vcc, 0, v3, vcc
	v_add_co_u32_e32 v4, vcc, 0x1000, v2
	v_addc_co_u32_e32 v5, vcc, 0, v3, vcc
	flat_load_dword v6, v[2:3]
	flat_load_dword v7, v[2:3] offset:1024
	flat_load_dword v8, v[2:3] offset:2048
	;; [unrolled: 1-line block ×3, first 2 shown]
	flat_load_dword v10, v[4:5]
	flat_load_dword v11, v[4:5] offset:1024
	flat_load_dword v12, v[4:5] offset:2048
	;; [unrolled: 1-line block ×3, first 2 shown]
	v_add_co_u32_e32 v2, vcc, 0x2000, v2
	v_addc_co_u32_e32 v3, vcc, 0, v3, vcc
	flat_load_dword v4, v[2:3]
	flat_load_dword v5, v[2:3] offset:1024
	s_mov_b64 s[0:1], 0
	s_waitcnt vmcnt(0) lgkmcnt(0)
	ds_write2st64_b32 v1, v6, v7 offset1:4
	ds_write2st64_b32 v1, v8, v9 offset0:8 offset1:12
	ds_write2st64_b32 v1, v10, v11 offset0:16 offset1:20
	;; [unrolled: 1-line block ×4, first 2 shown]
	s_waitcnt lgkmcnt(0)
	s_barrier
.LBB225_2:
	s_andn2_b64 vcc, exec, s[0:1]
	v_cmp_gt_u32_e64 s[0:1], s33, v0
	s_cbranch_vccnz .LBB225_24
; %bb.3:
                                        ; implicit-def: $vgpr2_vgpr3_vgpr4_vgpr5_vgpr6_vgpr7_vgpr8_vgpr9_vgpr10_vgpr11
	s_and_saveexec_b64 s[12:13], s[0:1]
	s_cbranch_execz .LBB225_5
; %bb.4:
	v_mov_b32_e32 v3, s14
	v_add_co_u32_e32 v2, vcc, s7, v1
	v_addc_co_u32_e32 v3, vcc, 0, v3, vcc
	flat_load_dword v2, v[2:3]
.LBB225_5:
	s_or_b64 exec, exec, s[12:13]
	v_or_b32_e32 v12, 0x100, v0
	v_cmp_gt_u32_e32 vcc, s33, v12
	s_and_saveexec_b64 s[0:1], vcc
	s_cbranch_execz .LBB225_7
; %bb.6:
	v_mov_b32_e32 v3, s14
	v_add_co_u32_e32 v12, vcc, s7, v1
	v_addc_co_u32_e32 v13, vcc, 0, v3, vcc
	flat_load_dword v3, v[12:13] offset:1024
.LBB225_7:
	s_or_b64 exec, exec, s[0:1]
	v_or_b32_e32 v12, 0x200, v0
	v_cmp_gt_u32_e32 vcc, s33, v12
	s_and_saveexec_b64 s[0:1], vcc
	s_cbranch_execz .LBB225_9
; %bb.8:
	v_mov_b32_e32 v4, s14
	v_add_co_u32_e32 v12, vcc, s7, v1
	v_addc_co_u32_e32 v13, vcc, 0, v4, vcc
	flat_load_dword v4, v[12:13] offset:2048
.LBB225_9:
	;; [unrolled: 11-line block ×3, first 2 shown]
	s_or_b64 exec, exec, s[0:1]
	v_or_b32_e32 v12, 0x400, v0
	v_cmp_gt_u32_e32 vcc, s33, v12
	s_and_saveexec_b64 s[0:1], vcc
	s_cbranch_execz .LBB225_13
; %bb.12:
	v_lshlrev_b32_e32 v6, 2, v12
	v_mov_b32_e32 v13, s14
	v_add_co_u32_e32 v12, vcc, s7, v6
	v_addc_co_u32_e32 v13, vcc, 0, v13, vcc
	flat_load_dword v6, v[12:13]
.LBB225_13:
	s_or_b64 exec, exec, s[0:1]
	v_or_b32_e32 v12, 0x500, v0
	v_cmp_gt_u32_e32 vcc, s33, v12
	s_and_saveexec_b64 s[0:1], vcc
	s_cbranch_execz .LBB225_15
; %bb.14:
	v_lshlrev_b32_e32 v7, 2, v12
	v_mov_b32_e32 v13, s14
	v_add_co_u32_e32 v12, vcc, s7, v7
	v_addc_co_u32_e32 v13, vcc, 0, v13, vcc
	flat_load_dword v7, v[12:13]
.LBB225_15:
	s_or_b64 exec, exec, s[0:1]
	v_or_b32_e32 v12, 0x600, v0
	v_cmp_gt_u32_e32 vcc, s33, v12
	s_and_saveexec_b64 s[0:1], vcc
	s_cbranch_execz .LBB225_17
; %bb.16:
	v_lshlrev_b32_e32 v8, 2, v12
	v_mov_b32_e32 v13, s14
	v_add_co_u32_e32 v12, vcc, s7, v8
	v_addc_co_u32_e32 v13, vcc, 0, v13, vcc
	flat_load_dword v8, v[12:13]
.LBB225_17:
	s_or_b64 exec, exec, s[0:1]
	v_or_b32_e32 v12, 0x700, v0
	v_cmp_gt_u32_e32 vcc, s33, v12
	s_and_saveexec_b64 s[0:1], vcc
	s_cbranch_execz .LBB225_19
; %bb.18:
	v_lshlrev_b32_e32 v9, 2, v12
	v_mov_b32_e32 v13, s14
	v_add_co_u32_e32 v12, vcc, s7, v9
	v_addc_co_u32_e32 v13, vcc, 0, v13, vcc
	flat_load_dword v9, v[12:13]
.LBB225_19:
	s_or_b64 exec, exec, s[0:1]
	v_or_b32_e32 v12, 0x800, v0
	v_cmp_gt_u32_e32 vcc, s33, v12
	s_and_saveexec_b64 s[0:1], vcc
	s_cbranch_execz .LBB225_21
; %bb.20:
	v_lshlrev_b32_e32 v10, 2, v12
	v_mov_b32_e32 v13, s14
	v_add_co_u32_e32 v12, vcc, s7, v10
	v_addc_co_u32_e32 v13, vcc, 0, v13, vcc
	flat_load_dword v10, v[12:13]
.LBB225_21:
	s_or_b64 exec, exec, s[0:1]
	v_or_b32_e32 v12, 0x900, v0
	v_cmp_gt_u32_e32 vcc, s33, v12
	s_and_saveexec_b64 s[0:1], vcc
	s_cbranch_execz .LBB225_23
; %bb.22:
	v_lshlrev_b32_e32 v11, 2, v12
	v_mov_b32_e32 v13, s14
	v_add_co_u32_e32 v12, vcc, s7, v11
	v_addc_co_u32_e32 v13, vcc, 0, v13, vcc
	flat_load_dword v11, v[12:13]
.LBB225_23:
	s_or_b64 exec, exec, s[0:1]
	s_waitcnt vmcnt(0) lgkmcnt(0)
	ds_write2st64_b32 v1, v2, v3 offset1:4
	ds_write2st64_b32 v1, v4, v5 offset0:8 offset1:12
	ds_write2st64_b32 v1, v6, v7 offset0:16 offset1:20
	;; [unrolled: 1-line block ×4, first 2 shown]
	s_waitcnt lgkmcnt(0)
	s_barrier
.LBB225_24:
	v_mul_u32_u24_e32 v24, 10, v0
	v_lshlrev_b32_e32 v10, 2, v24
	s_waitcnt lgkmcnt(0)
	ds_read2_b64 v[6:9], v10 offset1:1
	ds_read2_b64 v[2:5], v10 offset0:2 offset1:3
	ds_read_b64 v[12:13], v10 offset:32
	s_add_u32 s0, s2, s8
	s_addc_u32 s1, s3, s9
	s_add_u32 s0, s0, s10
	s_addc_u32 s1, s1, s11
	s_mov_b64 s[2:3], -1
	s_and_b64 vcc, exec, s[34:35]
	s_waitcnt lgkmcnt(0)
	s_barrier
	s_cbranch_vccz .LBB225_26
; %bb.25:
	v_mov_b32_e32 v11, s1
	v_add_co_u32_e32 v16, vcc, s0, v1
	v_addc_co_u32_e32 v11, vcc, 0, v11, vcc
	s_movk_i32 s2, 0x1000
	v_add_co_u32_e32 v14, vcc, s2, v16
	global_load_dword v18, v1, s[0:1]
	global_load_dword v19, v1, s[0:1] offset:1024
	global_load_dword v20, v1, s[0:1] offset:2048
	;; [unrolled: 1-line block ×3, first 2 shown]
	v_addc_co_u32_e32 v15, vcc, 0, v11, vcc
	s_movk_i32 s2, 0x2000
	v_add_co_u32_e32 v16, vcc, s2, v16
	v_addc_co_u32_e32 v17, vcc, 0, v11, vcc
	global_load_dword v11, v[14:15], off offset:1024
	global_load_dword v22, v[14:15], off offset:2048
	global_load_dword v23, v[16:17], off offset:-4096
	global_load_dword v25, v[16:17], off
	global_load_dword v26, v[16:17], off offset:1024
	global_load_dword v27, v[14:15], off offset:3072
	s_mov_b64 s[2:3], 0
	s_waitcnt vmcnt(9)
	v_xor_b32_e32 v14, -1, v18
	s_waitcnt vmcnt(8)
	v_xor_b32_e32 v15, -1, v19
	;; [unrolled: 2-line block ×4, first 2 shown]
	v_and_b32_e32 v14, 1, v14
	v_and_b32_e32 v15, 1, v15
	;; [unrolled: 1-line block ×4, first 2 shown]
	s_waitcnt vmcnt(5)
	v_xor_b32_e32 v11, -1, v11
	ds_write_b8 v0, v14
	ds_write_b8 v0, v15 offset:256
	ds_write_b8 v0, v16 offset:512
	;; [unrolled: 1-line block ×3, first 2 shown]
	s_waitcnt vmcnt(4)
	v_xor_b32_e32 v14, -1, v22
	s_waitcnt vmcnt(3)
	v_xor_b32_e32 v15, -1, v23
	v_and_b32_e32 v11, 1, v11
	s_waitcnt vmcnt(0)
	v_xor_b32_e32 v16, -1, v27
	v_xor_b32_e32 v17, -1, v25
	;; [unrolled: 1-line block ×3, first 2 shown]
	v_and_b32_e32 v14, 1, v14
	v_and_b32_e32 v15, 1, v15
	;; [unrolled: 1-line block ×5, first 2 shown]
	ds_write_b8 v0, v11 offset:1280
	ds_write_b8 v0, v14 offset:1536
	;; [unrolled: 1-line block ×6, first 2 shown]
	s_waitcnt lgkmcnt(0)
	s_barrier
.LBB225_26:
	s_load_dwordx2 s[36:37], s[4:5], 0x70
	s_andn2_b64 vcc, exec, s[2:3]
	s_cbranch_vccnz .LBB225_48
; %bb.27:
	v_cmp_gt_u32_e32 vcc, s33, v0
	v_mov_b32_e32 v11, 0
	v_mov_b32_e32 v14, 0
	s_and_saveexec_b64 s[2:3], vcc
	s_cbranch_execz .LBB225_29
; %bb.28:
	global_load_dword v14, v1, s[0:1]
	s_waitcnt vmcnt(0)
	v_xor_b32_e32 v14, -1, v14
	v_and_b32_e32 v14, 1, v14
.LBB225_29:
	s_or_b64 exec, exec, s[2:3]
	v_or_b32_e32 v15, 0x100, v0
	v_cmp_gt_u32_e32 vcc, s33, v15
	s_and_saveexec_b64 s[2:3], vcc
	s_cbranch_execz .LBB225_31
; %bb.30:
	global_load_dword v11, v1, s[0:1] offset:1024
	s_waitcnt vmcnt(0)
	v_xor_b32_e32 v11, -1, v11
	v_and_b32_e32 v11, 1, v11
.LBB225_31:
	s_or_b64 exec, exec, s[2:3]
	v_or_b32_e32 v15, 0x200, v0
	v_cmp_gt_u32_e32 vcc, s33, v15
	v_mov_b32_e32 v15, 0
	v_mov_b32_e32 v16, 0
	s_and_saveexec_b64 s[2:3], vcc
	s_cbranch_execz .LBB225_33
; %bb.32:
	global_load_dword v16, v1, s[0:1] offset:2048
	s_waitcnt vmcnt(0)
	v_xor_b32_e32 v16, -1, v16
	v_and_b32_e32 v16, 1, v16
.LBB225_33:
	s_or_b64 exec, exec, s[2:3]
	v_or_b32_e32 v17, 0x300, v0
	v_cmp_gt_u32_e32 vcc, s33, v17
	s_and_saveexec_b64 s[2:3], vcc
	s_cbranch_execz .LBB225_35
; %bb.34:
	global_load_dword v15, v1, s[0:1] offset:3072
	s_waitcnt vmcnt(0)
	v_xor_b32_e32 v15, -1, v15
	v_and_b32_e32 v15, 1, v15
.LBB225_35:
	s_or_b64 exec, exec, s[2:3]
	v_or_b32_e32 v19, 0x400, v0
	v_cmp_gt_u32_e32 vcc, s33, v19
	v_mov_b32_e32 v17, 0
	v_mov_b32_e32 v18, 0
	s_and_saveexec_b64 s[2:3], vcc
	s_cbranch_execz .LBB225_37
; %bb.36:
	v_lshlrev_b32_e32 v18, 2, v19
	global_load_dword v18, v18, s[0:1]
	s_waitcnt vmcnt(0)
	v_xor_b32_e32 v18, -1, v18
	v_and_b32_e32 v18, 1, v18
.LBB225_37:
	s_or_b64 exec, exec, s[2:3]
	v_or_b32_e32 v19, 0x500, v0
	v_cmp_gt_u32_e32 vcc, s33, v19
	s_and_saveexec_b64 s[2:3], vcc
	s_cbranch_execz .LBB225_39
; %bb.38:
	v_lshlrev_b32_e32 v17, 2, v19
	global_load_dword v17, v17, s[0:1]
	s_waitcnt vmcnt(0)
	v_xor_b32_e32 v17, -1, v17
	v_and_b32_e32 v17, 1, v17
.LBB225_39:
	s_or_b64 exec, exec, s[2:3]
	v_or_b32_e32 v21, 0x600, v0
	v_cmp_gt_u32_e32 vcc, s33, v21
	v_mov_b32_e32 v19, 0
	v_mov_b32_e32 v20, 0
	s_and_saveexec_b64 s[2:3], vcc
	s_cbranch_execz .LBB225_41
; %bb.40:
	v_lshlrev_b32_e32 v20, 2, v21
	global_load_dword v20, v20, s[0:1]
	s_waitcnt vmcnt(0)
	v_xor_b32_e32 v20, -1, v20
	v_and_b32_e32 v20, 1, v20
.LBB225_41:
	s_or_b64 exec, exec, s[2:3]
	v_or_b32_e32 v21, 0x700, v0
	v_cmp_gt_u32_e32 vcc, s33, v21
	s_and_saveexec_b64 s[2:3], vcc
	s_cbranch_execz .LBB225_43
; %bb.42:
	v_lshlrev_b32_e32 v19, 2, v21
	global_load_dword v19, v19, s[0:1]
	s_waitcnt vmcnt(0)
	v_xor_b32_e32 v19, -1, v19
	v_and_b32_e32 v19, 1, v19
.LBB225_43:
	;; [unrolled: 26-line block ×3, first 2 shown]
	s_or_b64 exec, exec, s[2:3]
	ds_write_b8 v0, v14
	ds_write_b8 v0, v11 offset:256
	ds_write_b8 v0, v16 offset:512
	;; [unrolled: 1-line block ×9, first 2 shown]
	s_waitcnt lgkmcnt(0)
	s_barrier
.LBB225_48:
	s_movk_i32 s0, 0xffe2
	v_mad_i32_i24 v35, v0, s0, v10
	s_waitcnt lgkmcnt(0)
	ds_read_b64 v[14:15], v35
	ds_read_u16 v26, v35 offset:8
	s_cmp_lg_u32 s6, 0
	v_lshrrev_b32_e32 v36, 6, v0
	s_waitcnt lgkmcnt(0)
	v_lshrrev_b32_e32 v28, 24, v14
	v_bfe_u32 v33, v14, 16, 8
	v_add_u32_sdwa v10, v14, v14 dst_sel:DWORD dst_unused:UNUSED_PAD src0_sel:BYTE_1 src1_sel:BYTE_0
	v_and_b32_e32 v30, 0xff, v15
	v_bfe_u32 v31, v15, 8, 8
	v_add3_u32 v10, v10, v33, v28
	v_lshrrev_b32_e32 v27, 24, v15
	v_bfe_u32 v32, v15, 16, 8
	v_add3_u32 v10, v10, v30, v31
	v_lshrrev_b16_e32 v25, 8, v26
	v_and_b32_e32 v29, 0xff, v26
	v_add3_u32 v10, v10, v32, v27
	v_add3_u32 v37, v10, v29, v25
	v_mbcnt_lo_u32_b32 v10, -1, 0
	v_mbcnt_hi_u32_b32 v34, -1, v10
	v_and_b32_e32 v10, 15, v34
	v_cmp_eq_u32_e64 s[14:15], 0, v10
	v_cmp_lt_u32_e64 s[12:13], 1, v10
	v_cmp_lt_u32_e64 s[10:11], 3, v10
	;; [unrolled: 1-line block ×3, first 2 shown]
	v_and_b32_e32 v10, 16, v34
	v_cmp_eq_u32_e64 s[18:19], 0, v10
	v_or_b32_e32 v10, 63, v0
	v_cmp_lt_u32_e64 s[0:1], 31, v34
	v_cmp_eq_u32_e64 s[2:3], v10, v0
	s_barrier
	s_cbranch_scc0 .LBB225_75
; %bb.49:
	v_mov_b32_dpp v10, v37 row_shr:1 row_mask:0xf bank_mask:0xf
	v_cndmask_b32_e64 v10, v10, 0, s[14:15]
	v_add_u32_e32 v10, v10, v37
	s_nop 1
	v_mov_b32_dpp v11, v10 row_shr:2 row_mask:0xf bank_mask:0xf
	v_cndmask_b32_e64 v11, 0, v11, s[12:13]
	v_add_u32_e32 v10, v10, v11
	s_nop 1
	;; [unrolled: 4-line block ×4, first 2 shown]
	v_mov_b32_dpp v11, v10 row_bcast:15 row_mask:0xf bank_mask:0xf
	v_cndmask_b32_e64 v11, v11, 0, s[18:19]
	v_add_u32_e32 v10, v10, v11
	s_nop 1
	v_mov_b32_dpp v11, v10 row_bcast:31 row_mask:0xf bank_mask:0xf
	v_cndmask_b32_e64 v11, 0, v11, s[0:1]
	v_add_u32_e32 v10, v10, v11
	s_and_saveexec_b64 s[16:17], s[2:3]
	s_cbranch_execz .LBB225_51
; %bb.50:
	v_lshlrev_b32_e32 v11, 2, v36
	ds_write_b32 v11, v10
.LBB225_51:
	s_or_b64 exec, exec, s[16:17]
	v_cmp_gt_u32_e32 vcc, 4, v0
	s_waitcnt lgkmcnt(0)
	s_barrier
	s_and_saveexec_b64 s[16:17], vcc
	s_cbranch_execz .LBB225_53
; %bb.52:
	ds_read_b32 v11, v1
	v_and_b32_e32 v16, 3, v34
	v_cmp_ne_u32_e32 vcc, 0, v16
	s_waitcnt lgkmcnt(0)
	v_mov_b32_dpp v17, v11 row_shr:1 row_mask:0xf bank_mask:0xf
	v_cndmask_b32_e32 v17, 0, v17, vcc
	v_add_u32_e32 v11, v17, v11
	v_cmp_lt_u32_e32 vcc, 1, v16
	s_nop 0
	v_mov_b32_dpp v17, v11 row_shr:2 row_mask:0xf bank_mask:0xf
	v_cndmask_b32_e32 v16, 0, v17, vcc
	v_add_u32_e32 v11, v11, v16
	ds_write_b32 v1, v11
.LBB225_53:
	s_or_b64 exec, exec, s[16:17]
	v_cmp_gt_u32_e32 vcc, 64, v0
	v_cmp_lt_u32_e64 s[16:17], 63, v0
	s_waitcnt lgkmcnt(0)
	s_barrier
	s_waitcnt lgkmcnt(0)
                                        ; implicit-def: $vgpr38
	s_and_saveexec_b64 s[38:39], s[16:17]
	s_cbranch_execz .LBB225_55
; %bb.54:
	v_lshl_add_u32 v11, v36, 2, -4
	ds_read_b32 v38, v11
	s_waitcnt lgkmcnt(0)
	v_add_u32_e32 v10, v38, v10
.LBB225_55:
	s_or_b64 exec, exec, s[38:39]
	v_add_u32_e32 v11, -1, v34
	v_and_b32_e32 v16, 64, v34
	v_cmp_lt_i32_e64 s[16:17], v11, v16
	v_cndmask_b32_e64 v11, v11, v34, s[16:17]
	v_lshlrev_b32_e32 v11, 2, v11
	ds_bpermute_b32 v39, v11, v10
	v_cmp_eq_u32_e64 s[16:17], 0, v34
	s_and_saveexec_b64 s[38:39], vcc
	s_cbranch_execz .LBB225_74
; %bb.56:
	v_mov_b32_e32 v21, 0
	ds_read_b32 v10, v21 offset:12
	s_and_saveexec_b64 s[40:41], s[16:17]
	s_cbranch_execz .LBB225_58
; %bb.57:
	s_add_i32 s42, s6, 64
	s_mov_b32 s43, 0
	s_lshl_b64 s[42:43], s[42:43], 3
	s_add_u32 s42, s36, s42
	v_mov_b32_e32 v11, 1
	s_addc_u32 s43, s37, s43
	s_waitcnt lgkmcnt(0)
	global_store_dwordx2 v21, v[10:11], s[42:43]
.LBB225_58:
	s_or_b64 exec, exec, s[40:41]
	v_xad_u32 v16, v34, -1, s6
	v_add_u32_e32 v20, 64, v16
	v_lshlrev_b64 v[18:19], 3, v[20:21]
	v_mov_b32_e32 v11, s37
	v_add_co_u32_e32 v22, vcc, s36, v18
	v_addc_co_u32_e32 v23, vcc, v11, v19, vcc
	global_load_dwordx2 v[18:19], v[22:23], off glc
	s_waitcnt vmcnt(0)
	v_cmp_eq_u16_sdwa s[42:43], v19, v21 src0_sel:BYTE_0 src1_sel:DWORD
	s_and_saveexec_b64 s[40:41], s[42:43]
	s_cbranch_execz .LBB225_62
; %bb.59:
	s_mov_b64 s[42:43], 0
	v_mov_b32_e32 v11, 0
.LBB225_60:                             ; =>This Inner Loop Header: Depth=1
	global_load_dwordx2 v[18:19], v[22:23], off glc
	s_waitcnt vmcnt(0)
	v_cmp_ne_u16_sdwa s[44:45], v19, v11 src0_sel:BYTE_0 src1_sel:DWORD
	s_or_b64 s[42:43], s[44:45], s[42:43]
	s_andn2_b64 exec, exec, s[42:43]
	s_cbranch_execnz .LBB225_60
; %bb.61:
	s_or_b64 exec, exec, s[42:43]
.LBB225_62:
	s_or_b64 exec, exec, s[40:41]
	v_and_b32_e32 v41, 63, v34
	v_mov_b32_e32 v40, 2
	v_cmp_ne_u32_e32 vcc, 63, v41
	v_cmp_eq_u16_sdwa s[40:41], v19, v40 src0_sel:BYTE_0 src1_sel:DWORD
	v_lshlrev_b64 v[20:21], v34, -1
	v_addc_co_u32_e32 v22, vcc, 0, v34, vcc
	v_and_b32_e32 v11, s41, v21
	v_lshlrev_b32_e32 v42, 2, v22
	v_or_b32_e32 v11, 0x80000000, v11
	ds_bpermute_b32 v22, v42, v18
	v_and_b32_e32 v17, s40, v20
	v_ffbl_b32_e32 v11, v11
	v_add_u32_e32 v11, 32, v11
	v_ffbl_b32_e32 v17, v17
	v_min_u32_e32 v11, v17, v11
	v_cmp_lt_u32_e32 vcc, v41, v11
	s_waitcnt lgkmcnt(0)
	v_cndmask_b32_e32 v17, 0, v22, vcc
	v_cmp_gt_u32_e32 vcc, 62, v41
	v_add_u32_e32 v17, v17, v18
	v_cndmask_b32_e64 v18, 0, 1, vcc
	v_lshlrev_b32_e32 v18, 1, v18
	v_add_lshl_u32 v43, v18, v34, 2
	ds_bpermute_b32 v18, v43, v17
	v_add_u32_e32 v44, 2, v41
	v_cmp_le_u32_e32 vcc, v44, v11
	v_add_u32_e32 v46, 4, v41
	v_add_u32_e32 v48, 8, v41
	s_waitcnt lgkmcnt(0)
	v_cndmask_b32_e32 v18, 0, v18, vcc
	v_cmp_gt_u32_e32 vcc, 60, v41
	v_add_u32_e32 v17, v17, v18
	v_cndmask_b32_e64 v18, 0, 1, vcc
	v_lshlrev_b32_e32 v18, 2, v18
	v_add_lshl_u32 v45, v18, v34, 2
	ds_bpermute_b32 v18, v45, v17
	v_cmp_le_u32_e32 vcc, v46, v11
	v_add_u32_e32 v50, 16, v41
	v_add_u32_e32 v52, 32, v41
	s_waitcnt lgkmcnt(0)
	v_cndmask_b32_e32 v18, 0, v18, vcc
	v_cmp_gt_u32_e32 vcc, 56, v41
	v_add_u32_e32 v17, v17, v18
	v_cndmask_b32_e64 v18, 0, 1, vcc
	v_lshlrev_b32_e32 v18, 3, v18
	v_add_lshl_u32 v47, v18, v34, 2
	ds_bpermute_b32 v18, v47, v17
	v_cmp_le_u32_e32 vcc, v48, v11
	s_waitcnt lgkmcnt(0)
	v_cndmask_b32_e32 v18, 0, v18, vcc
	v_cmp_gt_u32_e32 vcc, 48, v41
	v_add_u32_e32 v17, v17, v18
	v_cndmask_b32_e64 v18, 0, 1, vcc
	v_lshlrev_b32_e32 v18, 4, v18
	v_add_lshl_u32 v49, v18, v34, 2
	ds_bpermute_b32 v18, v49, v17
	v_cmp_le_u32_e32 vcc, v50, v11
	;; [unrolled: 9-line block ×3, first 2 shown]
	s_waitcnt lgkmcnt(0)
	v_cndmask_b32_e32 v11, 0, v18, vcc
	v_add_u32_e32 v18, v17, v11
	v_mov_b32_e32 v17, 0
	s_branch .LBB225_64
.LBB225_63:                             ;   in Loop: Header=BB225_64 Depth=1
	s_or_b64 exec, exec, s[40:41]
	v_cmp_eq_u16_sdwa s[40:41], v19, v40 src0_sel:BYTE_0 src1_sel:DWORD
	v_and_b32_e32 v22, s41, v21
	v_or_b32_e32 v22, 0x80000000, v22
	ds_bpermute_b32 v53, v42, v18
	v_and_b32_e32 v23, s40, v20
	v_ffbl_b32_e32 v22, v22
	v_add_u32_e32 v22, 32, v22
	v_ffbl_b32_e32 v23, v23
	v_min_u32_e32 v22, v23, v22
	v_cmp_lt_u32_e32 vcc, v41, v22
	s_waitcnt lgkmcnt(0)
	v_cndmask_b32_e32 v23, 0, v53, vcc
	v_add_u32_e32 v18, v23, v18
	ds_bpermute_b32 v23, v43, v18
	v_cmp_le_u32_e32 vcc, v44, v22
	v_subrev_u32_e32 v16, 64, v16
	s_waitcnt lgkmcnt(0)
	v_cndmask_b32_e32 v23, 0, v23, vcc
	v_add_u32_e32 v18, v18, v23
	ds_bpermute_b32 v23, v45, v18
	v_cmp_le_u32_e32 vcc, v46, v22
	s_waitcnt lgkmcnt(0)
	v_cndmask_b32_e32 v23, 0, v23, vcc
	v_add_u32_e32 v18, v18, v23
	ds_bpermute_b32 v23, v47, v18
	v_cmp_le_u32_e32 vcc, v48, v22
	s_waitcnt lgkmcnt(0)
	v_cndmask_b32_e32 v23, 0, v23, vcc
	v_add_u32_e32 v18, v18, v23
	ds_bpermute_b32 v23, v49, v18
	v_cmp_le_u32_e32 vcc, v50, v22
	s_waitcnt lgkmcnt(0)
	v_cndmask_b32_e32 v23, 0, v23, vcc
	v_add_u32_e32 v18, v18, v23
	ds_bpermute_b32 v23, v51, v18
	v_cmp_le_u32_e32 vcc, v52, v22
	s_waitcnt lgkmcnt(0)
	v_cndmask_b32_e32 v22, 0, v23, vcc
	v_add3_u32 v18, v22, v11, v18
.LBB225_64:                             ; =>This Loop Header: Depth=1
                                        ;     Child Loop BB225_67 Depth 2
	v_cmp_ne_u16_sdwa s[40:41], v19, v40 src0_sel:BYTE_0 src1_sel:DWORD
	v_cndmask_b32_e64 v11, 0, 1, s[40:41]
	;;#ASMSTART
	;;#ASMEND
	v_cmp_ne_u32_e32 vcc, 0, v11
	s_cmp_lg_u64 vcc, exec
	v_mov_b32_e32 v11, v18
	s_cbranch_scc1 .LBB225_69
; %bb.65:                               ;   in Loop: Header=BB225_64 Depth=1
	v_lshlrev_b64 v[18:19], 3, v[16:17]
	v_mov_b32_e32 v23, s37
	v_add_co_u32_e32 v22, vcc, s36, v18
	v_addc_co_u32_e32 v23, vcc, v23, v19, vcc
	global_load_dwordx2 v[18:19], v[22:23], off glc
	s_waitcnt vmcnt(0)
	v_cmp_eq_u16_sdwa s[42:43], v19, v17 src0_sel:BYTE_0 src1_sel:DWORD
	s_and_saveexec_b64 s[40:41], s[42:43]
	s_cbranch_execz .LBB225_63
; %bb.66:                               ;   in Loop: Header=BB225_64 Depth=1
	s_mov_b64 s[42:43], 0
.LBB225_67:                             ;   Parent Loop BB225_64 Depth=1
                                        ; =>  This Inner Loop Header: Depth=2
	global_load_dwordx2 v[18:19], v[22:23], off glc
	s_waitcnt vmcnt(0)
	v_cmp_ne_u16_sdwa s[44:45], v19, v17 src0_sel:BYTE_0 src1_sel:DWORD
	s_or_b64 s[42:43], s[44:45], s[42:43]
	s_andn2_b64 exec, exec, s[42:43]
	s_cbranch_execnz .LBB225_67
; %bb.68:                               ;   in Loop: Header=BB225_64 Depth=1
	s_or_b64 exec, exec, s[42:43]
	s_branch .LBB225_63
.LBB225_69:                             ;   in Loop: Header=BB225_64 Depth=1
                                        ; implicit-def: $vgpr18
                                        ; implicit-def: $vgpr19
	s_cbranch_execz .LBB225_64
; %bb.70:
	s_and_saveexec_b64 s[40:41], s[16:17]
	s_cbranch_execz .LBB225_72
; %bb.71:
	s_add_i32 s6, s6, 64
	s_mov_b32 s7, 0
	s_lshl_b64 s[6:7], s[6:7], 3
	s_add_u32 s6, s36, s6
	v_add_u32_e32 v16, v11, v10
	v_mov_b32_e32 v17, 2
	s_addc_u32 s7, s37, s7
	v_mov_b32_e32 v18, 0
	global_store_dwordx2 v18, v[16:17], s[6:7]
	ds_write_b64 v18, v[10:11] offset:10240
.LBB225_72:
	s_or_b64 exec, exec, s[40:41]
	v_cmp_eq_u32_e32 vcc, 0, v0
	s_and_b64 exec, exec, vcc
	s_cbranch_execz .LBB225_74
; %bb.73:
	v_mov_b32_e32 v10, 0
	ds_write_b32 v10, v11 offset:12
.LBB225_74:
	s_or_b64 exec, exec, s[38:39]
	v_mov_b32_e32 v10, 0
	s_waitcnt lgkmcnt(0)
	s_barrier
	ds_read_b32 v11, v10 offset:12
	v_cndmask_b32_e64 v16, v39, v38, s[16:17]
	v_cmp_ne_u32_e32 vcc, 0, v0
	v_cndmask_b32_e32 v16, 0, v16, vcc
	s_waitcnt lgkmcnt(0)
	v_add_u32_e32 v39, v11, v16
	v_add_u32_sdwa v38, v39, v14 dst_sel:DWORD dst_unused:UNUSED_PAD src0_sel:DWORD src1_sel:BYTE_0
	v_add_u32_sdwa v23, v38, v14 dst_sel:DWORD dst_unused:UNUSED_PAD src0_sel:DWORD src1_sel:BYTE_1
	v_add_u32_e32 v22, v23, v33
	v_add_u32_e32 v21, v22, v28
	;; [unrolled: 1-line block ×3, first 2 shown]
	s_barrier
	ds_read_b64 v[10:11], v10 offset:10240
	v_add_u32_e32 v19, v20, v31
	v_add_u32_e32 v18, v19, v32
	;; [unrolled: 1-line block ×4, first 2 shown]
	s_load_dwordx2 s[4:5], s[4:5], 0x30
	s_branch .LBB225_85
.LBB225_75:
                                        ; implicit-def: $vgpr11
                                        ; implicit-def: $vgpr16
                                        ; implicit-def: $vgpr17
                                        ; implicit-def: $vgpr18
                                        ; implicit-def: $vgpr19
                                        ; implicit-def: $vgpr20
                                        ; implicit-def: $vgpr21
                                        ; implicit-def: $vgpr22
                                        ; implicit-def: $vgpr23
                                        ; implicit-def: $vgpr38
                                        ; implicit-def: $vgpr39
	s_load_dwordx2 s[4:5], s[4:5], 0x30
	s_cbranch_execz .LBB225_85
; %bb.76:
	s_waitcnt lgkmcnt(0)
	v_mov_b32_dpp v10, v37 row_shr:1 row_mask:0xf bank_mask:0xf
	v_cndmask_b32_e64 v10, v10, 0, s[14:15]
	v_add_u32_e32 v10, v10, v37
	s_nop 1
	v_mov_b32_dpp v11, v10 row_shr:2 row_mask:0xf bank_mask:0xf
	v_cndmask_b32_e64 v11, 0, v11, s[12:13]
	v_add_u32_e32 v10, v10, v11
	s_nop 1
	;; [unrolled: 4-line block ×4, first 2 shown]
	v_mov_b32_dpp v11, v10 row_bcast:15 row_mask:0xf bank_mask:0xf
	v_cndmask_b32_e64 v11, v11, 0, s[18:19]
	v_add_u32_e32 v10, v10, v11
	s_nop 1
	v_mov_b32_dpp v11, v10 row_bcast:31 row_mask:0xf bank_mask:0xf
	v_cndmask_b32_e64 v11, 0, v11, s[0:1]
	v_add_u32_e32 v10, v10, v11
	s_and_saveexec_b64 s[0:1], s[2:3]
	s_cbranch_execz .LBB225_78
; %bb.77:
	v_lshlrev_b32_e32 v11, 2, v36
	ds_write_b32 v11, v10
.LBB225_78:
	s_or_b64 exec, exec, s[0:1]
	v_cmp_gt_u32_e32 vcc, 4, v0
	s_waitcnt lgkmcnt(0)
	s_barrier
	s_and_saveexec_b64 s[0:1], vcc
	s_cbranch_execz .LBB225_80
; %bb.79:
	v_mad_i32_i24 v11, v0, -6, v35
	ds_read_b32 v16, v11
	v_and_b32_e32 v17, 3, v34
	v_cmp_ne_u32_e32 vcc, 0, v17
	s_waitcnt lgkmcnt(0)
	v_mov_b32_dpp v18, v16 row_shr:1 row_mask:0xf bank_mask:0xf
	v_cndmask_b32_e32 v18, 0, v18, vcc
	v_add_u32_e32 v16, v18, v16
	v_cmp_lt_u32_e32 vcc, 1, v17
	s_nop 0
	v_mov_b32_dpp v18, v16 row_shr:2 row_mask:0xf bank_mask:0xf
	v_cndmask_b32_e32 v17, 0, v18, vcc
	v_add_u32_e32 v16, v16, v17
	ds_write_b32 v11, v16
.LBB225_80:
	s_or_b64 exec, exec, s[0:1]
	v_cmp_lt_u32_e32 vcc, 63, v0
	v_mov_b32_e32 v11, 0
	v_mov_b32_e32 v16, 0
	s_waitcnt lgkmcnt(0)
	s_barrier
	s_and_saveexec_b64 s[0:1], vcc
	s_cbranch_execz .LBB225_82
; %bb.81:
	v_lshl_add_u32 v16, v36, 2, -4
	ds_read_b32 v16, v16
.LBB225_82:
	s_or_b64 exec, exec, s[0:1]
	v_add_u32_e32 v17, -1, v34
	v_and_b32_e32 v18, 64, v34
	v_cmp_lt_i32_e32 vcc, v17, v18
	v_cndmask_b32_e32 v17, v17, v34, vcc
	s_waitcnt lgkmcnt(0)
	v_add_u32_e32 v10, v16, v10
	v_lshlrev_b32_e32 v17, 2, v17
	ds_bpermute_b32 v17, v17, v10
	ds_read_b32 v10, v11 offset:12
	v_cmp_eq_u32_e32 vcc, 0, v0
	s_and_saveexec_b64 s[0:1], vcc
	s_cbranch_execz .LBB225_84
; %bb.83:
	v_mov_b32_e32 v18, 0
	v_mov_b32_e32 v11, 2
	s_waitcnt lgkmcnt(0)
	global_store_dwordx2 v18, v[10:11], s[36:37] offset:512
.LBB225_84:
	s_or_b64 exec, exec, s[0:1]
	v_cmp_eq_u32_e64 s[0:1], 0, v34
	s_waitcnt lgkmcnt(1)
	v_cndmask_b32_e64 v16, v17, v16, s[0:1]
	v_cndmask_b32_e64 v39, v16, 0, vcc
	v_add_u32_sdwa v38, v39, v14 dst_sel:DWORD dst_unused:UNUSED_PAD src0_sel:DWORD src1_sel:BYTE_0
	v_add_u32_sdwa v23, v38, v14 dst_sel:DWORD dst_unused:UNUSED_PAD src0_sel:DWORD src1_sel:BYTE_1
	v_add_u32_e32 v22, v23, v33
	v_add_u32_e32 v21, v22, v28
	;; [unrolled: 1-line block ×6, first 2 shown]
	v_mov_b32_e32 v11, 0
	v_add_u32_e32 v16, v17, v29
	s_waitcnt lgkmcnt(0)
	s_barrier
.LBB225_85:
	s_waitcnt lgkmcnt(0)
	v_add_u32_e32 v24, v10, v24
	v_sub_u32_e32 v31, v39, v11
	v_and_b32_e32 v33, 1, v14
	v_sub_u32_e32 v32, v24, v31
	v_cmp_eq_u32_e32 vcc, 1, v33
	v_cndmask_b32_e32 v31, v32, v31, vcc
	v_lshlrev_b32_e32 v31, 2, v31
	v_lshrrev_b32_e32 v30, 8, v14
	ds_write_b32 v31, v6
	v_sub_u32_e32 v6, v38, v11
	v_sub_u32_e32 v31, v24, v6
	v_and_b32_e32 v30, 1, v30
	v_add_u32_e32 v31, 1, v31
	v_cmp_eq_u32_e32 vcc, 1, v30
	v_cndmask_b32_e32 v6, v31, v6, vcc
	v_lshlrev_b32_e32 v6, 2, v6
	ds_write_b32 v6, v7
	v_sub_u32_e32 v6, v23, v11
	v_mov_b32_e32 v23, 1
	v_sub_u32_e32 v7, v24, v6
	v_and_b32_sdwa v14, v23, v14 dst_sel:DWORD dst_unused:UNUSED_PAD src0_sel:DWORD src1_sel:WORD_1
	v_add_u32_e32 v7, 2, v7
	v_cmp_eq_u32_e32 vcc, 1, v14
	v_cndmask_b32_e32 v6, v7, v6, vcc
	v_lshlrev_b32_e32 v6, 2, v6
	ds_write_b32 v6, v8
	v_sub_u32_e32 v6, v22, v11
	v_sub_u32_e32 v7, v24, v6
	v_and_b32_e32 v8, 1, v28
	v_add_u32_e32 v7, 3, v7
	v_cmp_eq_u32_e32 vcc, 1, v8
	v_cndmask_b32_e32 v6, v7, v6, vcc
	v_lshlrev_b32_e32 v6, 2, v6
	ds_write_b32 v6, v9
	v_sub_u32_e32 v6, v21, v11
	v_sub_u32_e32 v7, v24, v6
	v_and_b32_e32 v8, 1, v15
	v_add_u32_e32 v7, 4, v7
	v_cmp_eq_u32_e32 vcc, 1, v8
	v_cndmask_b32_e32 v6, v7, v6, vcc
	v_lshlrev_b32_e32 v6, 2, v6
	v_lshrrev_b32_e32 v29, 8, v15
	ds_write_b32 v6, v2
	v_sub_u32_e32 v2, v20, v11
	v_sub_u32_e32 v6, v24, v2
	v_and_b32_e32 v7, 1, v29
	v_add_u32_e32 v6, 5, v6
	v_cmp_eq_u32_e32 vcc, 1, v7
	v_cndmask_b32_e32 v2, v6, v2, vcc
	v_lshlrev_b32_e32 v2, 2, v2
	ds_write_b32 v2, v3
	v_sub_u32_e32 v2, v19, v11
	v_sub_u32_e32 v3, v24, v2
	v_and_b32_sdwa v6, v23, v15 dst_sel:DWORD dst_unused:UNUSED_PAD src0_sel:DWORD src1_sel:WORD_1
	v_add_u32_e32 v3, 6, v3
	v_cmp_eq_u32_e32 vcc, 1, v6
	v_cndmask_b32_e32 v2, v3, v2, vcc
	v_lshlrev_b32_e32 v2, 2, v2
	ds_write_b32 v2, v4
	v_sub_u32_e32 v2, v18, v11
	v_sub_u32_e32 v3, v24, v2
	v_and_b32_e32 v4, 1, v27
	v_add_u32_e32 v3, 7, v3
	v_cmp_eq_u32_e32 vcc, 1, v4
	v_cndmask_b32_e32 v2, v3, v2, vcc
	v_lshlrev_b32_e32 v2, 2, v2
	ds_write_b32 v2, v5
	v_sub_u32_e32 v2, v17, v11
	v_sub_u32_e32 v3, v24, v2
	v_and_b32_e32 v4, 1, v26
	;; [unrolled: 8-line block ×3, first 2 shown]
	v_add_u32_e32 v3, 9, v3
	v_cmp_eq_u32_e32 vcc, 1, v4
	v_cndmask_b32_e32 v2, v3, v2, vcc
	s_add_u32 s0, s26, s24
	v_lshlrev_b32_e32 v2, 2, v2
	s_addc_u32 s1, s27, 0
	ds_write_b32 v2, v13
	s_waitcnt lgkmcnt(0)
	s_barrier
	ds_read2st64_b32 v[12:13], v1 offset1:4
	ds_read2st64_b32 v[8:9], v1 offset0:8 offset1:12
	ds_read2st64_b32 v[6:7], v1 offset0:16 offset1:20
	;; [unrolled: 1-line block ×4, first 2 shown]
	v_mov_b32_e32 v14, s31
	v_add_co_u32_e32 v1, vcc, s30, v11
	s_sub_u32 s0, s28, s0
	v_addc_co_u32_e32 v11, vcc, 0, v14, vcc
	s_subb_u32 s1, s29, s1
	v_mov_b32_e32 v14, s1
	v_add_co_u32_e32 v15, vcc, s0, v10
	v_addc_co_u32_e32 v14, vcc, 0, v14, vcc
	v_add_co_u32_e64 v17, s[0:1], v15, v1
	v_or_b32_e32 v26, 0x100, v0
	v_or_b32_e32 v25, 0x200, v0
	;; [unrolled: 1-line block ×9, first 2 shown]
	s_andn2_b64 vcc, exec, s[34:35]
	v_addc_co_u32_e64 v18, s[0:1], v14, v11, s[0:1]
	s_cbranch_vccnz .LBB225_127
; %bb.86:
	v_cmp_ge_u32_e32 vcc, v0, v10
                                        ; implicit-def: $vgpr14_vgpr15
	s_and_saveexec_b64 s[0:1], vcc
	s_xor_b64 s[0:1], exec, s[0:1]
; %bb.87:
	v_not_b32_e32 v14, v0
	v_ashrrev_i32_e32 v15, 31, v14
	v_add_co_u32_e32 v14, vcc, v17, v14
	v_addc_co_u32_e32 v15, vcc, v18, v15, vcc
; %bb.88:
	s_andn2_saveexec_b64 s[0:1], s[0:1]
; %bb.89:
	v_add_co_u32_e32 v14, vcc, v1, v0
	v_addc_co_u32_e32 v15, vcc, 0, v11, vcc
; %bb.90:
	s_or_b64 exec, exec, s[0:1]
	v_lshlrev_b64 v[14:15], 2, v[14:15]
	v_mov_b32_e32 v27, s5
	v_add_co_u32_e32 v14, vcc, s4, v14
	v_addc_co_u32_e32 v15, vcc, v27, v15, vcc
	v_cmp_ge_u32_e32 vcc, v26, v10
	s_waitcnt lgkmcnt(4)
	global_store_dword v[14:15], v12, off
                                        ; implicit-def: $vgpr14_vgpr15
	s_and_saveexec_b64 s[0:1], vcc
	s_xor_b64 s[0:1], exec, s[0:1]
; %bb.91:
	v_xor_b32_e32 v14, 0xfffffeff, v0
	v_ashrrev_i32_e32 v15, 31, v14
	v_add_co_u32_e32 v14, vcc, v17, v14
	v_addc_co_u32_e32 v15, vcc, v18, v15, vcc
; %bb.92:
	s_andn2_saveexec_b64 s[0:1], s[0:1]
; %bb.93:
	v_add_co_u32_e32 v14, vcc, v1, v26
	v_addc_co_u32_e32 v15, vcc, 0, v11, vcc
; %bb.94:
	s_or_b64 exec, exec, s[0:1]
	v_lshlrev_b64 v[14:15], 2, v[14:15]
	v_mov_b32_e32 v27, s5
	v_add_co_u32_e32 v14, vcc, s4, v14
	v_addc_co_u32_e32 v15, vcc, v27, v15, vcc
	v_cmp_ge_u32_e32 vcc, v25, v10
	global_store_dword v[14:15], v13, off
                                        ; implicit-def: $vgpr14_vgpr15
	s_and_saveexec_b64 s[0:1], vcc
	s_xor_b64 s[0:1], exec, s[0:1]
; %bb.95:
	v_xor_b32_e32 v14, 0xfffffdff, v0
	v_ashrrev_i32_e32 v15, 31, v14
	v_add_co_u32_e32 v14, vcc, v17, v14
	v_addc_co_u32_e32 v15, vcc, v18, v15, vcc
; %bb.96:
	s_andn2_saveexec_b64 s[0:1], s[0:1]
; %bb.97:
	v_add_co_u32_e32 v14, vcc, v1, v25
	v_addc_co_u32_e32 v15, vcc, 0, v11, vcc
; %bb.98:
	s_or_b64 exec, exec, s[0:1]
	v_lshlrev_b64 v[14:15], 2, v[14:15]
	v_mov_b32_e32 v27, s5
	v_add_co_u32_e32 v14, vcc, s4, v14
	v_addc_co_u32_e32 v15, vcc, v27, v15, vcc
	v_cmp_ge_u32_e32 vcc, v24, v10
	s_waitcnt lgkmcnt(3)
	global_store_dword v[14:15], v8, off
                                        ; implicit-def: $vgpr14_vgpr15
	s_and_saveexec_b64 s[0:1], vcc
	s_xor_b64 s[0:1], exec, s[0:1]
; %bb.99:
	v_xor_b32_e32 v14, 0xfffffcff, v0
	v_ashrrev_i32_e32 v15, 31, v14
	v_add_co_u32_e32 v14, vcc, v17, v14
	v_addc_co_u32_e32 v15, vcc, v18, v15, vcc
; %bb.100:
	s_andn2_saveexec_b64 s[0:1], s[0:1]
; %bb.101:
	v_add_co_u32_e32 v14, vcc, v1, v24
	v_addc_co_u32_e32 v15, vcc, 0, v11, vcc
; %bb.102:
	s_or_b64 exec, exec, s[0:1]
	v_lshlrev_b64 v[14:15], 2, v[14:15]
	v_mov_b32_e32 v27, s5
	v_add_co_u32_e32 v14, vcc, s4, v14
	v_addc_co_u32_e32 v15, vcc, v27, v15, vcc
	v_cmp_ge_u32_e32 vcc, v23, v10
	global_store_dword v[14:15], v9, off
                                        ; implicit-def: $vgpr14_vgpr15
	s_and_saveexec_b64 s[0:1], vcc
	s_xor_b64 s[0:1], exec, s[0:1]
; %bb.103:
	v_xor_b32_e32 v14, 0xfffffbff, v0
	;; [unrolled: 43-line block ×4, first 2 shown]
	v_ashrrev_i32_e32 v15, 31, v14
	v_add_co_u32_e32 v14, vcc, v17, v14
	v_addc_co_u32_e32 v15, vcc, v18, v15, vcc
; %bb.120:
	s_andn2_saveexec_b64 s[0:1], s[0:1]
; %bb.121:
	v_add_co_u32_e32 v14, vcc, v1, v19
	v_addc_co_u32_e32 v15, vcc, 0, v11, vcc
; %bb.122:
	s_or_b64 exec, exec, s[0:1]
	v_lshlrev_b64 v[14:15], 2, v[14:15]
	v_mov_b32_e32 v27, s5
	v_add_co_u32_e32 v14, vcc, s4, v14
	v_addc_co_u32_e32 v15, vcc, v27, v15, vcc
	v_cmp_ge_u32_e32 vcc, v16, v10
	s_waitcnt lgkmcnt(0)
	global_store_dword v[14:15], v2, off
                                        ; implicit-def: $vgpr14_vgpr15
	s_and_saveexec_b64 s[0:1], vcc
	s_xor_b64 s[0:1], exec, s[0:1]
; %bb.123:
	v_xor_b32_e32 v14, 0xfffff6ff, v0
	v_ashrrev_i32_e32 v15, 31, v14
	v_add_co_u32_e32 v14, vcc, v17, v14
	v_addc_co_u32_e32 v15, vcc, v18, v15, vcc
; %bb.124:
	s_andn2_saveexec_b64 s[0:1], s[0:1]
; %bb.125:
	v_add_co_u32_e32 v14, vcc, v1, v16
	v_addc_co_u32_e32 v15, vcc, 0, v11, vcc
; %bb.126:
	s_or_b64 exec, exec, s[0:1]
	s_mov_b64 s[0:1], -1
	s_branch .LBB225_189
.LBB225_127:
	s_mov_b64 s[0:1], 0
                                        ; implicit-def: $vgpr14_vgpr15
	s_cbranch_execz .LBB225_189
; %bb.128:
	v_cmp_gt_u32_e32 vcc, s33, v0
	s_and_saveexec_b64 s[2:3], vcc
	s_cbranch_execz .LBB225_154
; %bb.129:
	v_cmp_ge_u32_e32 vcc, v0, v10
                                        ; implicit-def: $vgpr14_vgpr15
	s_and_saveexec_b64 s[6:7], vcc
	s_xor_b64 s[6:7], exec, s[6:7]
; %bb.130:
	v_not_b32_e32 v14, v0
	v_ashrrev_i32_e32 v15, 31, v14
	v_add_co_u32_e32 v14, vcc, v17, v14
	v_addc_co_u32_e32 v15, vcc, v18, v15, vcc
; %bb.131:
	s_andn2_saveexec_b64 s[6:7], s[6:7]
; %bb.132:
	v_add_co_u32_e32 v14, vcc, v1, v0
	v_addc_co_u32_e32 v15, vcc, 0, v11, vcc
; %bb.133:
	s_or_b64 exec, exec, s[6:7]
	v_lshlrev_b64 v[14:15], 2, v[14:15]
	v_mov_b32_e32 v27, s5
	v_add_co_u32_e32 v14, vcc, s4, v14
	v_addc_co_u32_e32 v15, vcc, v27, v15, vcc
	s_waitcnt lgkmcnt(4)
	global_store_dword v[14:15], v12, off
	s_or_b64 exec, exec, s[2:3]
	v_cmp_gt_u32_e32 vcc, s33, v26
	s_and_saveexec_b64 s[2:3], vcc
	s_cbranch_execnz .LBB225_155
.LBB225_134:
	s_or_b64 exec, exec, s[2:3]
	v_cmp_gt_u32_e32 vcc, s33, v25
	s_and_saveexec_b64 s[2:3], vcc
	s_cbranch_execz .LBB225_160
.LBB225_135:
	v_cmp_ge_u32_e32 vcc, v25, v10
                                        ; implicit-def: $vgpr12_vgpr13
	s_and_saveexec_b64 s[6:7], vcc
	s_xor_b64 s[6:7], exec, s[6:7]
	s_cbranch_execz .LBB225_137
; %bb.136:
	s_waitcnt lgkmcnt(4)
	v_xor_b32_e32 v12, 0xfffffdff, v0
	v_ashrrev_i32_e32 v13, 31, v12
	v_add_co_u32_e32 v12, vcc, v17, v12
	v_addc_co_u32_e32 v13, vcc, v18, v13, vcc
                                        ; implicit-def: $vgpr25
.LBB225_137:
	s_andn2_saveexec_b64 s[6:7], s[6:7]
	s_cbranch_execz .LBB225_139
; %bb.138:
	s_waitcnt lgkmcnt(4)
	v_add_co_u32_e32 v12, vcc, v1, v25
	v_addc_co_u32_e32 v13, vcc, 0, v11, vcc
.LBB225_139:
	s_or_b64 exec, exec, s[6:7]
	s_waitcnt lgkmcnt(4)
	v_lshlrev_b64 v[12:13], 2, v[12:13]
	v_mov_b32_e32 v14, s5
	v_add_co_u32_e32 v12, vcc, s4, v12
	v_addc_co_u32_e32 v13, vcc, v14, v13, vcc
	s_waitcnt lgkmcnt(3)
	global_store_dword v[12:13], v8, off
	s_or_b64 exec, exec, s[2:3]
	v_cmp_gt_u32_e32 vcc, s33, v24
	s_and_saveexec_b64 s[2:3], vcc
	s_cbranch_execnz .LBB225_161
.LBB225_140:
	s_or_b64 exec, exec, s[2:3]
	v_cmp_gt_u32_e32 vcc, s33, v23
	s_and_saveexec_b64 s[2:3], vcc
	s_cbranch_execz .LBB225_166
.LBB225_141:
	v_cmp_ge_u32_e32 vcc, v23, v10
                                        ; implicit-def: $vgpr8_vgpr9
	s_and_saveexec_b64 s[6:7], vcc
	s_xor_b64 s[6:7], exec, s[6:7]
	s_cbranch_execz .LBB225_143
; %bb.142:
	s_waitcnt lgkmcnt(3)
	v_xor_b32_e32 v8, 0xfffffbff, v0
	v_ashrrev_i32_e32 v9, 31, v8
	v_add_co_u32_e32 v8, vcc, v17, v8
	v_addc_co_u32_e32 v9, vcc, v18, v9, vcc
                                        ; implicit-def: $vgpr23
.LBB225_143:
	s_andn2_saveexec_b64 s[6:7], s[6:7]
	s_cbranch_execz .LBB225_145
; %bb.144:
	s_waitcnt lgkmcnt(3)
	v_add_co_u32_e32 v8, vcc, v1, v23
	v_addc_co_u32_e32 v9, vcc, 0, v11, vcc
.LBB225_145:
	s_or_b64 exec, exec, s[6:7]
	s_waitcnt lgkmcnt(3)
	v_lshlrev_b64 v[8:9], 2, v[8:9]
	v_mov_b32_e32 v12, s5
	v_add_co_u32_e32 v8, vcc, s4, v8
	v_addc_co_u32_e32 v9, vcc, v12, v9, vcc
	s_waitcnt lgkmcnt(2)
	global_store_dword v[8:9], v6, off
	s_or_b64 exec, exec, s[2:3]
	v_cmp_gt_u32_e32 vcc, s33, v22
	s_and_saveexec_b64 s[2:3], vcc
	s_cbranch_execnz .LBB225_167
.LBB225_146:
	s_or_b64 exec, exec, s[2:3]
	v_cmp_gt_u32_e32 vcc, s33, v21
	s_and_saveexec_b64 s[2:3], vcc
	s_cbranch_execz .LBB225_172
.LBB225_147:
	v_cmp_ge_u32_e32 vcc, v21, v10
                                        ; implicit-def: $vgpr6_vgpr7
	s_and_saveexec_b64 s[6:7], vcc
	s_xor_b64 s[6:7], exec, s[6:7]
	s_cbranch_execz .LBB225_149
; %bb.148:
	s_waitcnt lgkmcnt(2)
	v_xor_b32_e32 v6, 0xfffff9ff, v0
	v_ashrrev_i32_e32 v7, 31, v6
	v_add_co_u32_e32 v6, vcc, v17, v6
	v_addc_co_u32_e32 v7, vcc, v18, v7, vcc
                                        ; implicit-def: $vgpr21
.LBB225_149:
	s_andn2_saveexec_b64 s[6:7], s[6:7]
	s_cbranch_execz .LBB225_151
; %bb.150:
	s_waitcnt lgkmcnt(2)
	v_add_co_u32_e32 v6, vcc, v1, v21
	v_addc_co_u32_e32 v7, vcc, 0, v11, vcc
.LBB225_151:
	s_or_b64 exec, exec, s[6:7]
	s_waitcnt lgkmcnt(2)
	v_lshlrev_b64 v[6:7], 2, v[6:7]
	v_mov_b32_e32 v8, s5
	v_add_co_u32_e32 v6, vcc, s4, v6
	v_addc_co_u32_e32 v7, vcc, v8, v7, vcc
	s_waitcnt lgkmcnt(1)
	global_store_dword v[6:7], v4, off
	s_or_b64 exec, exec, s[2:3]
	v_cmp_gt_u32_e32 vcc, s33, v20
	s_and_saveexec_b64 s[2:3], vcc
	s_cbranch_execnz .LBB225_173
.LBB225_152:
	s_or_b64 exec, exec, s[2:3]
	v_cmp_gt_u32_e32 vcc, s33, v19
	s_and_saveexec_b64 s[2:3], vcc
	s_cbranch_execnz .LBB225_178
.LBB225_153:
	s_or_b64 exec, exec, s[2:3]
	v_cmp_gt_u32_e32 vcc, s33, v16
                                        ; implicit-def: $vgpr14_vgpr15
	s_and_saveexec_b64 s[2:3], vcc
	s_cbranch_execz .LBB225_188
	s_branch .LBB225_183
.LBB225_154:
	s_or_b64 exec, exec, s[2:3]
	v_cmp_gt_u32_e32 vcc, s33, v26
	s_and_saveexec_b64 s[2:3], vcc
	s_cbranch_execz .LBB225_134
.LBB225_155:
	v_cmp_ge_u32_e32 vcc, v26, v10
                                        ; implicit-def: $vgpr14_vgpr15
	s_and_saveexec_b64 s[6:7], vcc
	s_xor_b64 s[6:7], exec, s[6:7]
	s_cbranch_execz .LBB225_157
; %bb.156:
	s_waitcnt lgkmcnt(4)
	v_xor_b32_e32 v12, 0xfffffeff, v0
	v_ashrrev_i32_e32 v15, 31, v12
	v_add_co_u32_e32 v14, vcc, v17, v12
	v_addc_co_u32_e32 v15, vcc, v18, v15, vcc
                                        ; implicit-def: $vgpr26
.LBB225_157:
	s_andn2_saveexec_b64 s[6:7], s[6:7]
; %bb.158:
	v_add_co_u32_e32 v14, vcc, v1, v26
	v_addc_co_u32_e32 v15, vcc, 0, v11, vcc
; %bb.159:
	s_or_b64 exec, exec, s[6:7]
	v_lshlrev_b64 v[14:15], 2, v[14:15]
	s_waitcnt lgkmcnt(4)
	v_mov_b32_e32 v12, s5
	v_add_co_u32_e32 v14, vcc, s4, v14
	v_addc_co_u32_e32 v15, vcc, v12, v15, vcc
	global_store_dword v[14:15], v13, off
	s_or_b64 exec, exec, s[2:3]
	v_cmp_gt_u32_e32 vcc, s33, v25
	s_and_saveexec_b64 s[2:3], vcc
	s_cbranch_execnz .LBB225_135
.LBB225_160:
	s_or_b64 exec, exec, s[2:3]
	v_cmp_gt_u32_e32 vcc, s33, v24
	s_and_saveexec_b64 s[2:3], vcc
	s_cbranch_execz .LBB225_140
.LBB225_161:
	v_cmp_ge_u32_e32 vcc, v24, v10
                                        ; implicit-def: $vgpr12_vgpr13
	s_and_saveexec_b64 s[6:7], vcc
	s_xor_b64 s[6:7], exec, s[6:7]
	s_cbranch_execz .LBB225_163
; %bb.162:
	s_waitcnt lgkmcnt(3)
	v_xor_b32_e32 v8, 0xfffffcff, v0
	v_ashrrev_i32_e32 v13, 31, v8
	v_add_co_u32_e32 v12, vcc, v17, v8
	v_addc_co_u32_e32 v13, vcc, v18, v13, vcc
                                        ; implicit-def: $vgpr24
.LBB225_163:
	s_andn2_saveexec_b64 s[6:7], s[6:7]
	s_cbranch_execz .LBB225_165
; %bb.164:
	s_waitcnt lgkmcnt(4)
	v_add_co_u32_e32 v12, vcc, v1, v24
	v_addc_co_u32_e32 v13, vcc, 0, v11, vcc
.LBB225_165:
	s_or_b64 exec, exec, s[6:7]
	s_waitcnt lgkmcnt(4)
	v_lshlrev_b64 v[12:13], 2, v[12:13]
	s_waitcnt lgkmcnt(3)
	v_mov_b32_e32 v8, s5
	v_add_co_u32_e32 v12, vcc, s4, v12
	v_addc_co_u32_e32 v13, vcc, v8, v13, vcc
	global_store_dword v[12:13], v9, off
	s_or_b64 exec, exec, s[2:3]
	v_cmp_gt_u32_e32 vcc, s33, v23
	s_and_saveexec_b64 s[2:3], vcc
	s_cbranch_execnz .LBB225_141
.LBB225_166:
	s_or_b64 exec, exec, s[2:3]
	v_cmp_gt_u32_e32 vcc, s33, v22
	s_and_saveexec_b64 s[2:3], vcc
	s_cbranch_execz .LBB225_146
.LBB225_167:
	v_cmp_ge_u32_e32 vcc, v22, v10
                                        ; implicit-def: $vgpr8_vgpr9
	s_and_saveexec_b64 s[6:7], vcc
	s_xor_b64 s[6:7], exec, s[6:7]
	s_cbranch_execz .LBB225_169
; %bb.168:
	s_waitcnt lgkmcnt(2)
	v_xor_b32_e32 v6, 0xfffffaff, v0
	v_ashrrev_i32_e32 v9, 31, v6
	v_add_co_u32_e32 v8, vcc, v17, v6
	v_addc_co_u32_e32 v9, vcc, v18, v9, vcc
                                        ; implicit-def: $vgpr22
.LBB225_169:
	s_andn2_saveexec_b64 s[6:7], s[6:7]
	s_cbranch_execz .LBB225_171
; %bb.170:
	s_waitcnt lgkmcnt(3)
	v_add_co_u32_e32 v8, vcc, v1, v22
	v_addc_co_u32_e32 v9, vcc, 0, v11, vcc
.LBB225_171:
	s_or_b64 exec, exec, s[6:7]
	s_waitcnt lgkmcnt(3)
	v_lshlrev_b64 v[8:9], 2, v[8:9]
	s_waitcnt lgkmcnt(2)
	v_mov_b32_e32 v6, s5
	v_add_co_u32_e32 v8, vcc, s4, v8
	v_addc_co_u32_e32 v9, vcc, v6, v9, vcc
	global_store_dword v[8:9], v7, off
	s_or_b64 exec, exec, s[2:3]
	v_cmp_gt_u32_e32 vcc, s33, v21
	s_and_saveexec_b64 s[2:3], vcc
	s_cbranch_execnz .LBB225_147
.LBB225_172:
	s_or_b64 exec, exec, s[2:3]
	v_cmp_gt_u32_e32 vcc, s33, v20
	s_and_saveexec_b64 s[2:3], vcc
	s_cbranch_execz .LBB225_152
.LBB225_173:
	v_cmp_ge_u32_e32 vcc, v20, v10
                                        ; implicit-def: $vgpr6_vgpr7
	s_and_saveexec_b64 s[6:7], vcc
	s_xor_b64 s[6:7], exec, s[6:7]
	s_cbranch_execz .LBB225_175
; %bb.174:
	s_waitcnt lgkmcnt(1)
	v_xor_b32_e32 v4, 0xfffff8ff, v0
	v_ashrrev_i32_e32 v7, 31, v4
	v_add_co_u32_e32 v6, vcc, v17, v4
	v_addc_co_u32_e32 v7, vcc, v18, v7, vcc
                                        ; implicit-def: $vgpr20
.LBB225_175:
	s_andn2_saveexec_b64 s[6:7], s[6:7]
	s_cbranch_execz .LBB225_177
; %bb.176:
	s_waitcnt lgkmcnt(2)
	v_add_co_u32_e32 v6, vcc, v1, v20
	v_addc_co_u32_e32 v7, vcc, 0, v11, vcc
.LBB225_177:
	s_or_b64 exec, exec, s[6:7]
	s_waitcnt lgkmcnt(2)
	v_lshlrev_b64 v[6:7], 2, v[6:7]
	s_waitcnt lgkmcnt(1)
	v_mov_b32_e32 v4, s5
	v_add_co_u32_e32 v6, vcc, s4, v6
	v_addc_co_u32_e32 v7, vcc, v4, v7, vcc
	global_store_dword v[6:7], v5, off
	s_or_b64 exec, exec, s[2:3]
	v_cmp_gt_u32_e32 vcc, s33, v19
	s_and_saveexec_b64 s[2:3], vcc
	s_cbranch_execz .LBB225_153
.LBB225_178:
	v_cmp_ge_u32_e32 vcc, v19, v10
                                        ; implicit-def: $vgpr4_vgpr5
	s_and_saveexec_b64 s[6:7], vcc
	s_xor_b64 s[6:7], exec, s[6:7]
	s_cbranch_execz .LBB225_180
; %bb.179:
	s_waitcnt lgkmcnt(1)
	v_xor_b32_e32 v4, 0xfffff7ff, v0
	v_ashrrev_i32_e32 v5, 31, v4
	v_add_co_u32_e32 v4, vcc, v17, v4
	v_addc_co_u32_e32 v5, vcc, v18, v5, vcc
                                        ; implicit-def: $vgpr19
.LBB225_180:
	s_andn2_saveexec_b64 s[6:7], s[6:7]
	s_cbranch_execz .LBB225_182
; %bb.181:
	s_waitcnt lgkmcnt(1)
	v_add_co_u32_e32 v4, vcc, v1, v19
	v_addc_co_u32_e32 v5, vcc, 0, v11, vcc
.LBB225_182:
	s_or_b64 exec, exec, s[6:7]
	s_waitcnt lgkmcnt(1)
	v_lshlrev_b64 v[4:5], 2, v[4:5]
	v_mov_b32_e32 v6, s5
	v_add_co_u32_e32 v4, vcc, s4, v4
	v_addc_co_u32_e32 v5, vcc, v6, v5, vcc
	s_waitcnt lgkmcnt(0)
	global_store_dword v[4:5], v2, off
	s_or_b64 exec, exec, s[2:3]
	v_cmp_gt_u32_e32 vcc, s33, v16
                                        ; implicit-def: $vgpr14_vgpr15
	s_and_saveexec_b64 s[2:3], vcc
	s_cbranch_execz .LBB225_188
.LBB225_183:
	v_cmp_ge_u32_e32 vcc, v16, v10
                                        ; implicit-def: $vgpr14_vgpr15
	s_and_saveexec_b64 s[6:7], vcc
	s_xor_b64 s[6:7], exec, s[6:7]
	s_cbranch_execz .LBB225_185
; %bb.184:
	s_waitcnt lgkmcnt(0)
	v_xor_b32_e32 v2, 0xfffff6ff, v0
	v_ashrrev_i32_e32 v4, 31, v2
	v_add_co_u32_e32 v14, vcc, v17, v2
	v_addc_co_u32_e32 v15, vcc, v18, v4, vcc
                                        ; implicit-def: $vgpr16
.LBB225_185:
	s_andn2_saveexec_b64 s[6:7], s[6:7]
; %bb.186:
	v_add_co_u32_e32 v14, vcc, v1, v16
	v_addc_co_u32_e32 v15, vcc, 0, v11, vcc
; %bb.187:
	s_or_b64 exec, exec, s[6:7]
	s_or_b64 s[0:1], s[0:1], exec
.LBB225_188:
	s_or_b64 exec, exec, s[2:3]
.LBB225_189:
	s_and_saveexec_b64 s[2:3], s[0:1]
	s_cbranch_execz .LBB225_191
; %bb.190:
	s_waitcnt lgkmcnt(1)
	v_lshlrev_b64 v[4:5], 2, v[14:15]
	s_waitcnt lgkmcnt(0)
	v_mov_b32_e32 v2, s5
	v_add_co_u32_e32 v4, vcc, s4, v4
	v_addc_co_u32_e32 v5, vcc, v2, v5, vcc
	global_store_dword v[4:5], v3, off
.LBB225_191:
	s_or_b64 exec, exec, s[2:3]
	v_cmp_eq_u32_e32 vcc, 0, v0
	s_and_b64 s[0:1], vcc, s[22:23]
	s_and_saveexec_b64 s[2:3], s[0:1]
	s_cbranch_execz .LBB225_193
; %bb.192:
	v_add_co_u32_e32 v0, vcc, v1, v10
	s_waitcnt lgkmcnt(0)
	v_mov_b32_e32 v2, 0
	v_addc_co_u32_e32 v1, vcc, 0, v11, vcc
	global_store_dwordx2 v2, v[0:1], s[20:21]
.LBB225_193:
	s_endpgm
	.section	.rodata,"a",@progbits
	.p2align	6, 0x0
	.amdhsa_kernel _ZN7rocprim17ROCPRIM_400000_NS6detail17trampoline_kernelINS0_14default_configENS1_25partition_config_selectorILNS1_17partition_subalgoE2EiNS0_10empty_typeEbEEZZNS1_14partition_implILS5_2ELb0ES3_jN6thrust23THRUST_200600_302600_NS6detail15normal_iteratorINSA_7pointerIiNSA_11hip_rocprim3tagENSA_11use_defaultESG_EEEEPS6_NSA_18transform_iteratorI7is_evenIiENSC_INSA_10device_ptrIiEEEESG_SG_EENS0_5tupleIJPiSJ_EEENSR_IJSJ_SJ_EEES6_PlJS6_EEE10hipError_tPvRmT3_T4_T5_T6_T7_T9_mT8_P12ihipStream_tbDpT10_ENKUlT_T0_E_clISt17integral_constantIbLb0EES1F_EEDaS1A_S1B_EUlS1A_E_NS1_11comp_targetILNS1_3genE4ELNS1_11target_archE910ELNS1_3gpuE8ELNS1_3repE0EEENS1_30default_config_static_selectorELNS0_4arch9wavefront6targetE1EEEvT1_
		.amdhsa_group_segment_fixed_size 10248
		.amdhsa_private_segment_fixed_size 0
		.amdhsa_kernarg_size 128
		.amdhsa_user_sgpr_count 6
		.amdhsa_user_sgpr_private_segment_buffer 1
		.amdhsa_user_sgpr_dispatch_ptr 0
		.amdhsa_user_sgpr_queue_ptr 0
		.amdhsa_user_sgpr_kernarg_segment_ptr 1
		.amdhsa_user_sgpr_dispatch_id 0
		.amdhsa_user_sgpr_flat_scratch_init 0
		.amdhsa_user_sgpr_kernarg_preload_length 0
		.amdhsa_user_sgpr_kernarg_preload_offset 0
		.amdhsa_user_sgpr_private_segment_size 0
		.amdhsa_uses_dynamic_stack 0
		.amdhsa_system_sgpr_private_segment_wavefront_offset 0
		.amdhsa_system_sgpr_workgroup_id_x 1
		.amdhsa_system_sgpr_workgroup_id_y 0
		.amdhsa_system_sgpr_workgroup_id_z 0
		.amdhsa_system_sgpr_workgroup_info 0
		.amdhsa_system_vgpr_workitem_id 0
		.amdhsa_next_free_vgpr 54
		.amdhsa_next_free_sgpr 46
		.amdhsa_accum_offset 56
		.amdhsa_reserve_vcc 1
		.amdhsa_reserve_flat_scratch 0
		.amdhsa_float_round_mode_32 0
		.amdhsa_float_round_mode_16_64 0
		.amdhsa_float_denorm_mode_32 3
		.amdhsa_float_denorm_mode_16_64 3
		.amdhsa_dx10_clamp 1
		.amdhsa_ieee_mode 1
		.amdhsa_fp16_overflow 0
		.amdhsa_tg_split 0
		.amdhsa_exception_fp_ieee_invalid_op 0
		.amdhsa_exception_fp_denorm_src 0
		.amdhsa_exception_fp_ieee_div_zero 0
		.amdhsa_exception_fp_ieee_overflow 0
		.amdhsa_exception_fp_ieee_underflow 0
		.amdhsa_exception_fp_ieee_inexact 0
		.amdhsa_exception_int_div_zero 0
	.end_amdhsa_kernel
	.section	.text._ZN7rocprim17ROCPRIM_400000_NS6detail17trampoline_kernelINS0_14default_configENS1_25partition_config_selectorILNS1_17partition_subalgoE2EiNS0_10empty_typeEbEEZZNS1_14partition_implILS5_2ELb0ES3_jN6thrust23THRUST_200600_302600_NS6detail15normal_iteratorINSA_7pointerIiNSA_11hip_rocprim3tagENSA_11use_defaultESG_EEEEPS6_NSA_18transform_iteratorI7is_evenIiENSC_INSA_10device_ptrIiEEEESG_SG_EENS0_5tupleIJPiSJ_EEENSR_IJSJ_SJ_EEES6_PlJS6_EEE10hipError_tPvRmT3_T4_T5_T6_T7_T9_mT8_P12ihipStream_tbDpT10_ENKUlT_T0_E_clISt17integral_constantIbLb0EES1F_EEDaS1A_S1B_EUlS1A_E_NS1_11comp_targetILNS1_3genE4ELNS1_11target_archE910ELNS1_3gpuE8ELNS1_3repE0EEENS1_30default_config_static_selectorELNS0_4arch9wavefront6targetE1EEEvT1_,"axG",@progbits,_ZN7rocprim17ROCPRIM_400000_NS6detail17trampoline_kernelINS0_14default_configENS1_25partition_config_selectorILNS1_17partition_subalgoE2EiNS0_10empty_typeEbEEZZNS1_14partition_implILS5_2ELb0ES3_jN6thrust23THRUST_200600_302600_NS6detail15normal_iteratorINSA_7pointerIiNSA_11hip_rocprim3tagENSA_11use_defaultESG_EEEEPS6_NSA_18transform_iteratorI7is_evenIiENSC_INSA_10device_ptrIiEEEESG_SG_EENS0_5tupleIJPiSJ_EEENSR_IJSJ_SJ_EEES6_PlJS6_EEE10hipError_tPvRmT3_T4_T5_T6_T7_T9_mT8_P12ihipStream_tbDpT10_ENKUlT_T0_E_clISt17integral_constantIbLb0EES1F_EEDaS1A_S1B_EUlS1A_E_NS1_11comp_targetILNS1_3genE4ELNS1_11target_archE910ELNS1_3gpuE8ELNS1_3repE0EEENS1_30default_config_static_selectorELNS0_4arch9wavefront6targetE1EEEvT1_,comdat
.Lfunc_end225:
	.size	_ZN7rocprim17ROCPRIM_400000_NS6detail17trampoline_kernelINS0_14default_configENS1_25partition_config_selectorILNS1_17partition_subalgoE2EiNS0_10empty_typeEbEEZZNS1_14partition_implILS5_2ELb0ES3_jN6thrust23THRUST_200600_302600_NS6detail15normal_iteratorINSA_7pointerIiNSA_11hip_rocprim3tagENSA_11use_defaultESG_EEEEPS6_NSA_18transform_iteratorI7is_evenIiENSC_INSA_10device_ptrIiEEEESG_SG_EENS0_5tupleIJPiSJ_EEENSR_IJSJ_SJ_EEES6_PlJS6_EEE10hipError_tPvRmT3_T4_T5_T6_T7_T9_mT8_P12ihipStream_tbDpT10_ENKUlT_T0_E_clISt17integral_constantIbLb0EES1F_EEDaS1A_S1B_EUlS1A_E_NS1_11comp_targetILNS1_3genE4ELNS1_11target_archE910ELNS1_3gpuE8ELNS1_3repE0EEENS1_30default_config_static_selectorELNS0_4arch9wavefront6targetE1EEEvT1_, .Lfunc_end225-_ZN7rocprim17ROCPRIM_400000_NS6detail17trampoline_kernelINS0_14default_configENS1_25partition_config_selectorILNS1_17partition_subalgoE2EiNS0_10empty_typeEbEEZZNS1_14partition_implILS5_2ELb0ES3_jN6thrust23THRUST_200600_302600_NS6detail15normal_iteratorINSA_7pointerIiNSA_11hip_rocprim3tagENSA_11use_defaultESG_EEEEPS6_NSA_18transform_iteratorI7is_evenIiENSC_INSA_10device_ptrIiEEEESG_SG_EENS0_5tupleIJPiSJ_EEENSR_IJSJ_SJ_EEES6_PlJS6_EEE10hipError_tPvRmT3_T4_T5_T6_T7_T9_mT8_P12ihipStream_tbDpT10_ENKUlT_T0_E_clISt17integral_constantIbLb0EES1F_EEDaS1A_S1B_EUlS1A_E_NS1_11comp_targetILNS1_3genE4ELNS1_11target_archE910ELNS1_3gpuE8ELNS1_3repE0EEENS1_30default_config_static_selectorELNS0_4arch9wavefront6targetE1EEEvT1_
                                        ; -- End function
	.section	.AMDGPU.csdata,"",@progbits
; Kernel info:
; codeLenInByte = 6644
; NumSgprs: 50
; NumVgprs: 54
; NumAgprs: 0
; TotalNumVgprs: 54
; ScratchSize: 0
; MemoryBound: 0
; FloatMode: 240
; IeeeMode: 1
; LDSByteSize: 10248 bytes/workgroup (compile time only)
; SGPRBlocks: 6
; VGPRBlocks: 6
; NumSGPRsForWavesPerEU: 50
; NumVGPRsForWavesPerEU: 54
; AccumOffset: 56
; Occupancy: 6
; WaveLimiterHint : 1
; COMPUTE_PGM_RSRC2:SCRATCH_EN: 0
; COMPUTE_PGM_RSRC2:USER_SGPR: 6
; COMPUTE_PGM_RSRC2:TRAP_HANDLER: 0
; COMPUTE_PGM_RSRC2:TGID_X_EN: 1
; COMPUTE_PGM_RSRC2:TGID_Y_EN: 0
; COMPUTE_PGM_RSRC2:TGID_Z_EN: 0
; COMPUTE_PGM_RSRC2:TIDIG_COMP_CNT: 0
; COMPUTE_PGM_RSRC3_GFX90A:ACCUM_OFFSET: 13
; COMPUTE_PGM_RSRC3_GFX90A:TG_SPLIT: 0
	.section	.text._ZN7rocprim17ROCPRIM_400000_NS6detail17trampoline_kernelINS0_14default_configENS1_25partition_config_selectorILNS1_17partition_subalgoE2EiNS0_10empty_typeEbEEZZNS1_14partition_implILS5_2ELb0ES3_jN6thrust23THRUST_200600_302600_NS6detail15normal_iteratorINSA_7pointerIiNSA_11hip_rocprim3tagENSA_11use_defaultESG_EEEEPS6_NSA_18transform_iteratorI7is_evenIiENSC_INSA_10device_ptrIiEEEESG_SG_EENS0_5tupleIJPiSJ_EEENSR_IJSJ_SJ_EEES6_PlJS6_EEE10hipError_tPvRmT3_T4_T5_T6_T7_T9_mT8_P12ihipStream_tbDpT10_ENKUlT_T0_E_clISt17integral_constantIbLb0EES1F_EEDaS1A_S1B_EUlS1A_E_NS1_11comp_targetILNS1_3genE3ELNS1_11target_archE908ELNS1_3gpuE7ELNS1_3repE0EEENS1_30default_config_static_selectorELNS0_4arch9wavefront6targetE1EEEvT1_,"axG",@progbits,_ZN7rocprim17ROCPRIM_400000_NS6detail17trampoline_kernelINS0_14default_configENS1_25partition_config_selectorILNS1_17partition_subalgoE2EiNS0_10empty_typeEbEEZZNS1_14partition_implILS5_2ELb0ES3_jN6thrust23THRUST_200600_302600_NS6detail15normal_iteratorINSA_7pointerIiNSA_11hip_rocprim3tagENSA_11use_defaultESG_EEEEPS6_NSA_18transform_iteratorI7is_evenIiENSC_INSA_10device_ptrIiEEEESG_SG_EENS0_5tupleIJPiSJ_EEENSR_IJSJ_SJ_EEES6_PlJS6_EEE10hipError_tPvRmT3_T4_T5_T6_T7_T9_mT8_P12ihipStream_tbDpT10_ENKUlT_T0_E_clISt17integral_constantIbLb0EES1F_EEDaS1A_S1B_EUlS1A_E_NS1_11comp_targetILNS1_3genE3ELNS1_11target_archE908ELNS1_3gpuE7ELNS1_3repE0EEENS1_30default_config_static_selectorELNS0_4arch9wavefront6targetE1EEEvT1_,comdat
	.protected	_ZN7rocprim17ROCPRIM_400000_NS6detail17trampoline_kernelINS0_14default_configENS1_25partition_config_selectorILNS1_17partition_subalgoE2EiNS0_10empty_typeEbEEZZNS1_14partition_implILS5_2ELb0ES3_jN6thrust23THRUST_200600_302600_NS6detail15normal_iteratorINSA_7pointerIiNSA_11hip_rocprim3tagENSA_11use_defaultESG_EEEEPS6_NSA_18transform_iteratorI7is_evenIiENSC_INSA_10device_ptrIiEEEESG_SG_EENS0_5tupleIJPiSJ_EEENSR_IJSJ_SJ_EEES6_PlJS6_EEE10hipError_tPvRmT3_T4_T5_T6_T7_T9_mT8_P12ihipStream_tbDpT10_ENKUlT_T0_E_clISt17integral_constantIbLb0EES1F_EEDaS1A_S1B_EUlS1A_E_NS1_11comp_targetILNS1_3genE3ELNS1_11target_archE908ELNS1_3gpuE7ELNS1_3repE0EEENS1_30default_config_static_selectorELNS0_4arch9wavefront6targetE1EEEvT1_ ; -- Begin function _ZN7rocprim17ROCPRIM_400000_NS6detail17trampoline_kernelINS0_14default_configENS1_25partition_config_selectorILNS1_17partition_subalgoE2EiNS0_10empty_typeEbEEZZNS1_14partition_implILS5_2ELb0ES3_jN6thrust23THRUST_200600_302600_NS6detail15normal_iteratorINSA_7pointerIiNSA_11hip_rocprim3tagENSA_11use_defaultESG_EEEEPS6_NSA_18transform_iteratorI7is_evenIiENSC_INSA_10device_ptrIiEEEESG_SG_EENS0_5tupleIJPiSJ_EEENSR_IJSJ_SJ_EEES6_PlJS6_EEE10hipError_tPvRmT3_T4_T5_T6_T7_T9_mT8_P12ihipStream_tbDpT10_ENKUlT_T0_E_clISt17integral_constantIbLb0EES1F_EEDaS1A_S1B_EUlS1A_E_NS1_11comp_targetILNS1_3genE3ELNS1_11target_archE908ELNS1_3gpuE7ELNS1_3repE0EEENS1_30default_config_static_selectorELNS0_4arch9wavefront6targetE1EEEvT1_
	.globl	_ZN7rocprim17ROCPRIM_400000_NS6detail17trampoline_kernelINS0_14default_configENS1_25partition_config_selectorILNS1_17partition_subalgoE2EiNS0_10empty_typeEbEEZZNS1_14partition_implILS5_2ELb0ES3_jN6thrust23THRUST_200600_302600_NS6detail15normal_iteratorINSA_7pointerIiNSA_11hip_rocprim3tagENSA_11use_defaultESG_EEEEPS6_NSA_18transform_iteratorI7is_evenIiENSC_INSA_10device_ptrIiEEEESG_SG_EENS0_5tupleIJPiSJ_EEENSR_IJSJ_SJ_EEES6_PlJS6_EEE10hipError_tPvRmT3_T4_T5_T6_T7_T9_mT8_P12ihipStream_tbDpT10_ENKUlT_T0_E_clISt17integral_constantIbLb0EES1F_EEDaS1A_S1B_EUlS1A_E_NS1_11comp_targetILNS1_3genE3ELNS1_11target_archE908ELNS1_3gpuE7ELNS1_3repE0EEENS1_30default_config_static_selectorELNS0_4arch9wavefront6targetE1EEEvT1_
	.p2align	8
	.type	_ZN7rocprim17ROCPRIM_400000_NS6detail17trampoline_kernelINS0_14default_configENS1_25partition_config_selectorILNS1_17partition_subalgoE2EiNS0_10empty_typeEbEEZZNS1_14partition_implILS5_2ELb0ES3_jN6thrust23THRUST_200600_302600_NS6detail15normal_iteratorINSA_7pointerIiNSA_11hip_rocprim3tagENSA_11use_defaultESG_EEEEPS6_NSA_18transform_iteratorI7is_evenIiENSC_INSA_10device_ptrIiEEEESG_SG_EENS0_5tupleIJPiSJ_EEENSR_IJSJ_SJ_EEES6_PlJS6_EEE10hipError_tPvRmT3_T4_T5_T6_T7_T9_mT8_P12ihipStream_tbDpT10_ENKUlT_T0_E_clISt17integral_constantIbLb0EES1F_EEDaS1A_S1B_EUlS1A_E_NS1_11comp_targetILNS1_3genE3ELNS1_11target_archE908ELNS1_3gpuE7ELNS1_3repE0EEENS1_30default_config_static_selectorELNS0_4arch9wavefront6targetE1EEEvT1_,@function
_ZN7rocprim17ROCPRIM_400000_NS6detail17trampoline_kernelINS0_14default_configENS1_25partition_config_selectorILNS1_17partition_subalgoE2EiNS0_10empty_typeEbEEZZNS1_14partition_implILS5_2ELb0ES3_jN6thrust23THRUST_200600_302600_NS6detail15normal_iteratorINSA_7pointerIiNSA_11hip_rocprim3tagENSA_11use_defaultESG_EEEEPS6_NSA_18transform_iteratorI7is_evenIiENSC_INSA_10device_ptrIiEEEESG_SG_EENS0_5tupleIJPiSJ_EEENSR_IJSJ_SJ_EEES6_PlJS6_EEE10hipError_tPvRmT3_T4_T5_T6_T7_T9_mT8_P12ihipStream_tbDpT10_ENKUlT_T0_E_clISt17integral_constantIbLb0EES1F_EEDaS1A_S1B_EUlS1A_E_NS1_11comp_targetILNS1_3genE3ELNS1_11target_archE908ELNS1_3gpuE7ELNS1_3repE0EEENS1_30default_config_static_selectorELNS0_4arch9wavefront6targetE1EEEvT1_: ; @_ZN7rocprim17ROCPRIM_400000_NS6detail17trampoline_kernelINS0_14default_configENS1_25partition_config_selectorILNS1_17partition_subalgoE2EiNS0_10empty_typeEbEEZZNS1_14partition_implILS5_2ELb0ES3_jN6thrust23THRUST_200600_302600_NS6detail15normal_iteratorINSA_7pointerIiNSA_11hip_rocprim3tagENSA_11use_defaultESG_EEEEPS6_NSA_18transform_iteratorI7is_evenIiENSC_INSA_10device_ptrIiEEEESG_SG_EENS0_5tupleIJPiSJ_EEENSR_IJSJ_SJ_EEES6_PlJS6_EEE10hipError_tPvRmT3_T4_T5_T6_T7_T9_mT8_P12ihipStream_tbDpT10_ENKUlT_T0_E_clISt17integral_constantIbLb0EES1F_EEDaS1A_S1B_EUlS1A_E_NS1_11comp_targetILNS1_3genE3ELNS1_11target_archE908ELNS1_3gpuE7ELNS1_3repE0EEENS1_30default_config_static_selectorELNS0_4arch9wavefront6targetE1EEEvT1_
; %bb.0:
	.section	.rodata,"a",@progbits
	.p2align	6, 0x0
	.amdhsa_kernel _ZN7rocprim17ROCPRIM_400000_NS6detail17trampoline_kernelINS0_14default_configENS1_25partition_config_selectorILNS1_17partition_subalgoE2EiNS0_10empty_typeEbEEZZNS1_14partition_implILS5_2ELb0ES3_jN6thrust23THRUST_200600_302600_NS6detail15normal_iteratorINSA_7pointerIiNSA_11hip_rocprim3tagENSA_11use_defaultESG_EEEEPS6_NSA_18transform_iteratorI7is_evenIiENSC_INSA_10device_ptrIiEEEESG_SG_EENS0_5tupleIJPiSJ_EEENSR_IJSJ_SJ_EEES6_PlJS6_EEE10hipError_tPvRmT3_T4_T5_T6_T7_T9_mT8_P12ihipStream_tbDpT10_ENKUlT_T0_E_clISt17integral_constantIbLb0EES1F_EEDaS1A_S1B_EUlS1A_E_NS1_11comp_targetILNS1_3genE3ELNS1_11target_archE908ELNS1_3gpuE7ELNS1_3repE0EEENS1_30default_config_static_selectorELNS0_4arch9wavefront6targetE1EEEvT1_
		.amdhsa_group_segment_fixed_size 0
		.amdhsa_private_segment_fixed_size 0
		.amdhsa_kernarg_size 128
		.amdhsa_user_sgpr_count 6
		.amdhsa_user_sgpr_private_segment_buffer 1
		.amdhsa_user_sgpr_dispatch_ptr 0
		.amdhsa_user_sgpr_queue_ptr 0
		.amdhsa_user_sgpr_kernarg_segment_ptr 1
		.amdhsa_user_sgpr_dispatch_id 0
		.amdhsa_user_sgpr_flat_scratch_init 0
		.amdhsa_user_sgpr_kernarg_preload_length 0
		.amdhsa_user_sgpr_kernarg_preload_offset 0
		.amdhsa_user_sgpr_private_segment_size 0
		.amdhsa_uses_dynamic_stack 0
		.amdhsa_system_sgpr_private_segment_wavefront_offset 0
		.amdhsa_system_sgpr_workgroup_id_x 1
		.amdhsa_system_sgpr_workgroup_id_y 0
		.amdhsa_system_sgpr_workgroup_id_z 0
		.amdhsa_system_sgpr_workgroup_info 0
		.amdhsa_system_vgpr_workitem_id 0
		.amdhsa_next_free_vgpr 1
		.amdhsa_next_free_sgpr 0
		.amdhsa_accum_offset 4
		.amdhsa_reserve_vcc 0
		.amdhsa_reserve_flat_scratch 0
		.amdhsa_float_round_mode_32 0
		.amdhsa_float_round_mode_16_64 0
		.amdhsa_float_denorm_mode_32 3
		.amdhsa_float_denorm_mode_16_64 3
		.amdhsa_dx10_clamp 1
		.amdhsa_ieee_mode 1
		.amdhsa_fp16_overflow 0
		.amdhsa_tg_split 0
		.amdhsa_exception_fp_ieee_invalid_op 0
		.amdhsa_exception_fp_denorm_src 0
		.amdhsa_exception_fp_ieee_div_zero 0
		.amdhsa_exception_fp_ieee_overflow 0
		.amdhsa_exception_fp_ieee_underflow 0
		.amdhsa_exception_fp_ieee_inexact 0
		.amdhsa_exception_int_div_zero 0
	.end_amdhsa_kernel
	.section	.text._ZN7rocprim17ROCPRIM_400000_NS6detail17trampoline_kernelINS0_14default_configENS1_25partition_config_selectorILNS1_17partition_subalgoE2EiNS0_10empty_typeEbEEZZNS1_14partition_implILS5_2ELb0ES3_jN6thrust23THRUST_200600_302600_NS6detail15normal_iteratorINSA_7pointerIiNSA_11hip_rocprim3tagENSA_11use_defaultESG_EEEEPS6_NSA_18transform_iteratorI7is_evenIiENSC_INSA_10device_ptrIiEEEESG_SG_EENS0_5tupleIJPiSJ_EEENSR_IJSJ_SJ_EEES6_PlJS6_EEE10hipError_tPvRmT3_T4_T5_T6_T7_T9_mT8_P12ihipStream_tbDpT10_ENKUlT_T0_E_clISt17integral_constantIbLb0EES1F_EEDaS1A_S1B_EUlS1A_E_NS1_11comp_targetILNS1_3genE3ELNS1_11target_archE908ELNS1_3gpuE7ELNS1_3repE0EEENS1_30default_config_static_selectorELNS0_4arch9wavefront6targetE1EEEvT1_,"axG",@progbits,_ZN7rocprim17ROCPRIM_400000_NS6detail17trampoline_kernelINS0_14default_configENS1_25partition_config_selectorILNS1_17partition_subalgoE2EiNS0_10empty_typeEbEEZZNS1_14partition_implILS5_2ELb0ES3_jN6thrust23THRUST_200600_302600_NS6detail15normal_iteratorINSA_7pointerIiNSA_11hip_rocprim3tagENSA_11use_defaultESG_EEEEPS6_NSA_18transform_iteratorI7is_evenIiENSC_INSA_10device_ptrIiEEEESG_SG_EENS0_5tupleIJPiSJ_EEENSR_IJSJ_SJ_EEES6_PlJS6_EEE10hipError_tPvRmT3_T4_T5_T6_T7_T9_mT8_P12ihipStream_tbDpT10_ENKUlT_T0_E_clISt17integral_constantIbLb0EES1F_EEDaS1A_S1B_EUlS1A_E_NS1_11comp_targetILNS1_3genE3ELNS1_11target_archE908ELNS1_3gpuE7ELNS1_3repE0EEENS1_30default_config_static_selectorELNS0_4arch9wavefront6targetE1EEEvT1_,comdat
.Lfunc_end226:
	.size	_ZN7rocprim17ROCPRIM_400000_NS6detail17trampoline_kernelINS0_14default_configENS1_25partition_config_selectorILNS1_17partition_subalgoE2EiNS0_10empty_typeEbEEZZNS1_14partition_implILS5_2ELb0ES3_jN6thrust23THRUST_200600_302600_NS6detail15normal_iteratorINSA_7pointerIiNSA_11hip_rocprim3tagENSA_11use_defaultESG_EEEEPS6_NSA_18transform_iteratorI7is_evenIiENSC_INSA_10device_ptrIiEEEESG_SG_EENS0_5tupleIJPiSJ_EEENSR_IJSJ_SJ_EEES6_PlJS6_EEE10hipError_tPvRmT3_T4_T5_T6_T7_T9_mT8_P12ihipStream_tbDpT10_ENKUlT_T0_E_clISt17integral_constantIbLb0EES1F_EEDaS1A_S1B_EUlS1A_E_NS1_11comp_targetILNS1_3genE3ELNS1_11target_archE908ELNS1_3gpuE7ELNS1_3repE0EEENS1_30default_config_static_selectorELNS0_4arch9wavefront6targetE1EEEvT1_, .Lfunc_end226-_ZN7rocprim17ROCPRIM_400000_NS6detail17trampoline_kernelINS0_14default_configENS1_25partition_config_selectorILNS1_17partition_subalgoE2EiNS0_10empty_typeEbEEZZNS1_14partition_implILS5_2ELb0ES3_jN6thrust23THRUST_200600_302600_NS6detail15normal_iteratorINSA_7pointerIiNSA_11hip_rocprim3tagENSA_11use_defaultESG_EEEEPS6_NSA_18transform_iteratorI7is_evenIiENSC_INSA_10device_ptrIiEEEESG_SG_EENS0_5tupleIJPiSJ_EEENSR_IJSJ_SJ_EEES6_PlJS6_EEE10hipError_tPvRmT3_T4_T5_T6_T7_T9_mT8_P12ihipStream_tbDpT10_ENKUlT_T0_E_clISt17integral_constantIbLb0EES1F_EEDaS1A_S1B_EUlS1A_E_NS1_11comp_targetILNS1_3genE3ELNS1_11target_archE908ELNS1_3gpuE7ELNS1_3repE0EEENS1_30default_config_static_selectorELNS0_4arch9wavefront6targetE1EEEvT1_
                                        ; -- End function
	.section	.AMDGPU.csdata,"",@progbits
; Kernel info:
; codeLenInByte = 0
; NumSgprs: 4
; NumVgprs: 0
; NumAgprs: 0
; TotalNumVgprs: 0
; ScratchSize: 0
; MemoryBound: 0
; FloatMode: 240
; IeeeMode: 1
; LDSByteSize: 0 bytes/workgroup (compile time only)
; SGPRBlocks: 0
; VGPRBlocks: 0
; NumSGPRsForWavesPerEU: 4
; NumVGPRsForWavesPerEU: 1
; AccumOffset: 4
; Occupancy: 8
; WaveLimiterHint : 0
; COMPUTE_PGM_RSRC2:SCRATCH_EN: 0
; COMPUTE_PGM_RSRC2:USER_SGPR: 6
; COMPUTE_PGM_RSRC2:TRAP_HANDLER: 0
; COMPUTE_PGM_RSRC2:TGID_X_EN: 1
; COMPUTE_PGM_RSRC2:TGID_Y_EN: 0
; COMPUTE_PGM_RSRC2:TGID_Z_EN: 0
; COMPUTE_PGM_RSRC2:TIDIG_COMP_CNT: 0
; COMPUTE_PGM_RSRC3_GFX90A:ACCUM_OFFSET: 0
; COMPUTE_PGM_RSRC3_GFX90A:TG_SPLIT: 0
	.section	.text._ZN7rocprim17ROCPRIM_400000_NS6detail17trampoline_kernelINS0_14default_configENS1_25partition_config_selectorILNS1_17partition_subalgoE2EiNS0_10empty_typeEbEEZZNS1_14partition_implILS5_2ELb0ES3_jN6thrust23THRUST_200600_302600_NS6detail15normal_iteratorINSA_7pointerIiNSA_11hip_rocprim3tagENSA_11use_defaultESG_EEEEPS6_NSA_18transform_iteratorI7is_evenIiENSC_INSA_10device_ptrIiEEEESG_SG_EENS0_5tupleIJPiSJ_EEENSR_IJSJ_SJ_EEES6_PlJS6_EEE10hipError_tPvRmT3_T4_T5_T6_T7_T9_mT8_P12ihipStream_tbDpT10_ENKUlT_T0_E_clISt17integral_constantIbLb0EES1F_EEDaS1A_S1B_EUlS1A_E_NS1_11comp_targetILNS1_3genE2ELNS1_11target_archE906ELNS1_3gpuE6ELNS1_3repE0EEENS1_30default_config_static_selectorELNS0_4arch9wavefront6targetE1EEEvT1_,"axG",@progbits,_ZN7rocprim17ROCPRIM_400000_NS6detail17trampoline_kernelINS0_14default_configENS1_25partition_config_selectorILNS1_17partition_subalgoE2EiNS0_10empty_typeEbEEZZNS1_14partition_implILS5_2ELb0ES3_jN6thrust23THRUST_200600_302600_NS6detail15normal_iteratorINSA_7pointerIiNSA_11hip_rocprim3tagENSA_11use_defaultESG_EEEEPS6_NSA_18transform_iteratorI7is_evenIiENSC_INSA_10device_ptrIiEEEESG_SG_EENS0_5tupleIJPiSJ_EEENSR_IJSJ_SJ_EEES6_PlJS6_EEE10hipError_tPvRmT3_T4_T5_T6_T7_T9_mT8_P12ihipStream_tbDpT10_ENKUlT_T0_E_clISt17integral_constantIbLb0EES1F_EEDaS1A_S1B_EUlS1A_E_NS1_11comp_targetILNS1_3genE2ELNS1_11target_archE906ELNS1_3gpuE6ELNS1_3repE0EEENS1_30default_config_static_selectorELNS0_4arch9wavefront6targetE1EEEvT1_,comdat
	.protected	_ZN7rocprim17ROCPRIM_400000_NS6detail17trampoline_kernelINS0_14default_configENS1_25partition_config_selectorILNS1_17partition_subalgoE2EiNS0_10empty_typeEbEEZZNS1_14partition_implILS5_2ELb0ES3_jN6thrust23THRUST_200600_302600_NS6detail15normal_iteratorINSA_7pointerIiNSA_11hip_rocprim3tagENSA_11use_defaultESG_EEEEPS6_NSA_18transform_iteratorI7is_evenIiENSC_INSA_10device_ptrIiEEEESG_SG_EENS0_5tupleIJPiSJ_EEENSR_IJSJ_SJ_EEES6_PlJS6_EEE10hipError_tPvRmT3_T4_T5_T6_T7_T9_mT8_P12ihipStream_tbDpT10_ENKUlT_T0_E_clISt17integral_constantIbLb0EES1F_EEDaS1A_S1B_EUlS1A_E_NS1_11comp_targetILNS1_3genE2ELNS1_11target_archE906ELNS1_3gpuE6ELNS1_3repE0EEENS1_30default_config_static_selectorELNS0_4arch9wavefront6targetE1EEEvT1_ ; -- Begin function _ZN7rocprim17ROCPRIM_400000_NS6detail17trampoline_kernelINS0_14default_configENS1_25partition_config_selectorILNS1_17partition_subalgoE2EiNS0_10empty_typeEbEEZZNS1_14partition_implILS5_2ELb0ES3_jN6thrust23THRUST_200600_302600_NS6detail15normal_iteratorINSA_7pointerIiNSA_11hip_rocprim3tagENSA_11use_defaultESG_EEEEPS6_NSA_18transform_iteratorI7is_evenIiENSC_INSA_10device_ptrIiEEEESG_SG_EENS0_5tupleIJPiSJ_EEENSR_IJSJ_SJ_EEES6_PlJS6_EEE10hipError_tPvRmT3_T4_T5_T6_T7_T9_mT8_P12ihipStream_tbDpT10_ENKUlT_T0_E_clISt17integral_constantIbLb0EES1F_EEDaS1A_S1B_EUlS1A_E_NS1_11comp_targetILNS1_3genE2ELNS1_11target_archE906ELNS1_3gpuE6ELNS1_3repE0EEENS1_30default_config_static_selectorELNS0_4arch9wavefront6targetE1EEEvT1_
	.globl	_ZN7rocprim17ROCPRIM_400000_NS6detail17trampoline_kernelINS0_14default_configENS1_25partition_config_selectorILNS1_17partition_subalgoE2EiNS0_10empty_typeEbEEZZNS1_14partition_implILS5_2ELb0ES3_jN6thrust23THRUST_200600_302600_NS6detail15normal_iteratorINSA_7pointerIiNSA_11hip_rocprim3tagENSA_11use_defaultESG_EEEEPS6_NSA_18transform_iteratorI7is_evenIiENSC_INSA_10device_ptrIiEEEESG_SG_EENS0_5tupleIJPiSJ_EEENSR_IJSJ_SJ_EEES6_PlJS6_EEE10hipError_tPvRmT3_T4_T5_T6_T7_T9_mT8_P12ihipStream_tbDpT10_ENKUlT_T0_E_clISt17integral_constantIbLb0EES1F_EEDaS1A_S1B_EUlS1A_E_NS1_11comp_targetILNS1_3genE2ELNS1_11target_archE906ELNS1_3gpuE6ELNS1_3repE0EEENS1_30default_config_static_selectorELNS0_4arch9wavefront6targetE1EEEvT1_
	.p2align	8
	.type	_ZN7rocprim17ROCPRIM_400000_NS6detail17trampoline_kernelINS0_14default_configENS1_25partition_config_selectorILNS1_17partition_subalgoE2EiNS0_10empty_typeEbEEZZNS1_14partition_implILS5_2ELb0ES3_jN6thrust23THRUST_200600_302600_NS6detail15normal_iteratorINSA_7pointerIiNSA_11hip_rocprim3tagENSA_11use_defaultESG_EEEEPS6_NSA_18transform_iteratorI7is_evenIiENSC_INSA_10device_ptrIiEEEESG_SG_EENS0_5tupleIJPiSJ_EEENSR_IJSJ_SJ_EEES6_PlJS6_EEE10hipError_tPvRmT3_T4_T5_T6_T7_T9_mT8_P12ihipStream_tbDpT10_ENKUlT_T0_E_clISt17integral_constantIbLb0EES1F_EEDaS1A_S1B_EUlS1A_E_NS1_11comp_targetILNS1_3genE2ELNS1_11target_archE906ELNS1_3gpuE6ELNS1_3repE0EEENS1_30default_config_static_selectorELNS0_4arch9wavefront6targetE1EEEvT1_,@function
_ZN7rocprim17ROCPRIM_400000_NS6detail17trampoline_kernelINS0_14default_configENS1_25partition_config_selectorILNS1_17partition_subalgoE2EiNS0_10empty_typeEbEEZZNS1_14partition_implILS5_2ELb0ES3_jN6thrust23THRUST_200600_302600_NS6detail15normal_iteratorINSA_7pointerIiNSA_11hip_rocprim3tagENSA_11use_defaultESG_EEEEPS6_NSA_18transform_iteratorI7is_evenIiENSC_INSA_10device_ptrIiEEEESG_SG_EENS0_5tupleIJPiSJ_EEENSR_IJSJ_SJ_EEES6_PlJS6_EEE10hipError_tPvRmT3_T4_T5_T6_T7_T9_mT8_P12ihipStream_tbDpT10_ENKUlT_T0_E_clISt17integral_constantIbLb0EES1F_EEDaS1A_S1B_EUlS1A_E_NS1_11comp_targetILNS1_3genE2ELNS1_11target_archE906ELNS1_3gpuE6ELNS1_3repE0EEENS1_30default_config_static_selectorELNS0_4arch9wavefront6targetE1EEEvT1_: ; @_ZN7rocprim17ROCPRIM_400000_NS6detail17trampoline_kernelINS0_14default_configENS1_25partition_config_selectorILNS1_17partition_subalgoE2EiNS0_10empty_typeEbEEZZNS1_14partition_implILS5_2ELb0ES3_jN6thrust23THRUST_200600_302600_NS6detail15normal_iteratorINSA_7pointerIiNSA_11hip_rocprim3tagENSA_11use_defaultESG_EEEEPS6_NSA_18transform_iteratorI7is_evenIiENSC_INSA_10device_ptrIiEEEESG_SG_EENS0_5tupleIJPiSJ_EEENSR_IJSJ_SJ_EEES6_PlJS6_EEE10hipError_tPvRmT3_T4_T5_T6_T7_T9_mT8_P12ihipStream_tbDpT10_ENKUlT_T0_E_clISt17integral_constantIbLb0EES1F_EEDaS1A_S1B_EUlS1A_E_NS1_11comp_targetILNS1_3genE2ELNS1_11target_archE906ELNS1_3gpuE6ELNS1_3repE0EEENS1_30default_config_static_selectorELNS0_4arch9wavefront6targetE1EEEvT1_
; %bb.0:
	.section	.rodata,"a",@progbits
	.p2align	6, 0x0
	.amdhsa_kernel _ZN7rocprim17ROCPRIM_400000_NS6detail17trampoline_kernelINS0_14default_configENS1_25partition_config_selectorILNS1_17partition_subalgoE2EiNS0_10empty_typeEbEEZZNS1_14partition_implILS5_2ELb0ES3_jN6thrust23THRUST_200600_302600_NS6detail15normal_iteratorINSA_7pointerIiNSA_11hip_rocprim3tagENSA_11use_defaultESG_EEEEPS6_NSA_18transform_iteratorI7is_evenIiENSC_INSA_10device_ptrIiEEEESG_SG_EENS0_5tupleIJPiSJ_EEENSR_IJSJ_SJ_EEES6_PlJS6_EEE10hipError_tPvRmT3_T4_T5_T6_T7_T9_mT8_P12ihipStream_tbDpT10_ENKUlT_T0_E_clISt17integral_constantIbLb0EES1F_EEDaS1A_S1B_EUlS1A_E_NS1_11comp_targetILNS1_3genE2ELNS1_11target_archE906ELNS1_3gpuE6ELNS1_3repE0EEENS1_30default_config_static_selectorELNS0_4arch9wavefront6targetE1EEEvT1_
		.amdhsa_group_segment_fixed_size 0
		.amdhsa_private_segment_fixed_size 0
		.amdhsa_kernarg_size 128
		.amdhsa_user_sgpr_count 6
		.amdhsa_user_sgpr_private_segment_buffer 1
		.amdhsa_user_sgpr_dispatch_ptr 0
		.amdhsa_user_sgpr_queue_ptr 0
		.amdhsa_user_sgpr_kernarg_segment_ptr 1
		.amdhsa_user_sgpr_dispatch_id 0
		.amdhsa_user_sgpr_flat_scratch_init 0
		.amdhsa_user_sgpr_kernarg_preload_length 0
		.amdhsa_user_sgpr_kernarg_preload_offset 0
		.amdhsa_user_sgpr_private_segment_size 0
		.amdhsa_uses_dynamic_stack 0
		.amdhsa_system_sgpr_private_segment_wavefront_offset 0
		.amdhsa_system_sgpr_workgroup_id_x 1
		.amdhsa_system_sgpr_workgroup_id_y 0
		.amdhsa_system_sgpr_workgroup_id_z 0
		.amdhsa_system_sgpr_workgroup_info 0
		.amdhsa_system_vgpr_workitem_id 0
		.amdhsa_next_free_vgpr 1
		.amdhsa_next_free_sgpr 0
		.amdhsa_accum_offset 4
		.amdhsa_reserve_vcc 0
		.amdhsa_reserve_flat_scratch 0
		.amdhsa_float_round_mode_32 0
		.amdhsa_float_round_mode_16_64 0
		.amdhsa_float_denorm_mode_32 3
		.amdhsa_float_denorm_mode_16_64 3
		.amdhsa_dx10_clamp 1
		.amdhsa_ieee_mode 1
		.amdhsa_fp16_overflow 0
		.amdhsa_tg_split 0
		.amdhsa_exception_fp_ieee_invalid_op 0
		.amdhsa_exception_fp_denorm_src 0
		.amdhsa_exception_fp_ieee_div_zero 0
		.amdhsa_exception_fp_ieee_overflow 0
		.amdhsa_exception_fp_ieee_underflow 0
		.amdhsa_exception_fp_ieee_inexact 0
		.amdhsa_exception_int_div_zero 0
	.end_amdhsa_kernel
	.section	.text._ZN7rocprim17ROCPRIM_400000_NS6detail17trampoline_kernelINS0_14default_configENS1_25partition_config_selectorILNS1_17partition_subalgoE2EiNS0_10empty_typeEbEEZZNS1_14partition_implILS5_2ELb0ES3_jN6thrust23THRUST_200600_302600_NS6detail15normal_iteratorINSA_7pointerIiNSA_11hip_rocprim3tagENSA_11use_defaultESG_EEEEPS6_NSA_18transform_iteratorI7is_evenIiENSC_INSA_10device_ptrIiEEEESG_SG_EENS0_5tupleIJPiSJ_EEENSR_IJSJ_SJ_EEES6_PlJS6_EEE10hipError_tPvRmT3_T4_T5_T6_T7_T9_mT8_P12ihipStream_tbDpT10_ENKUlT_T0_E_clISt17integral_constantIbLb0EES1F_EEDaS1A_S1B_EUlS1A_E_NS1_11comp_targetILNS1_3genE2ELNS1_11target_archE906ELNS1_3gpuE6ELNS1_3repE0EEENS1_30default_config_static_selectorELNS0_4arch9wavefront6targetE1EEEvT1_,"axG",@progbits,_ZN7rocprim17ROCPRIM_400000_NS6detail17trampoline_kernelINS0_14default_configENS1_25partition_config_selectorILNS1_17partition_subalgoE2EiNS0_10empty_typeEbEEZZNS1_14partition_implILS5_2ELb0ES3_jN6thrust23THRUST_200600_302600_NS6detail15normal_iteratorINSA_7pointerIiNSA_11hip_rocprim3tagENSA_11use_defaultESG_EEEEPS6_NSA_18transform_iteratorI7is_evenIiENSC_INSA_10device_ptrIiEEEESG_SG_EENS0_5tupleIJPiSJ_EEENSR_IJSJ_SJ_EEES6_PlJS6_EEE10hipError_tPvRmT3_T4_T5_T6_T7_T9_mT8_P12ihipStream_tbDpT10_ENKUlT_T0_E_clISt17integral_constantIbLb0EES1F_EEDaS1A_S1B_EUlS1A_E_NS1_11comp_targetILNS1_3genE2ELNS1_11target_archE906ELNS1_3gpuE6ELNS1_3repE0EEENS1_30default_config_static_selectorELNS0_4arch9wavefront6targetE1EEEvT1_,comdat
.Lfunc_end227:
	.size	_ZN7rocprim17ROCPRIM_400000_NS6detail17trampoline_kernelINS0_14default_configENS1_25partition_config_selectorILNS1_17partition_subalgoE2EiNS0_10empty_typeEbEEZZNS1_14partition_implILS5_2ELb0ES3_jN6thrust23THRUST_200600_302600_NS6detail15normal_iteratorINSA_7pointerIiNSA_11hip_rocprim3tagENSA_11use_defaultESG_EEEEPS6_NSA_18transform_iteratorI7is_evenIiENSC_INSA_10device_ptrIiEEEESG_SG_EENS0_5tupleIJPiSJ_EEENSR_IJSJ_SJ_EEES6_PlJS6_EEE10hipError_tPvRmT3_T4_T5_T6_T7_T9_mT8_P12ihipStream_tbDpT10_ENKUlT_T0_E_clISt17integral_constantIbLb0EES1F_EEDaS1A_S1B_EUlS1A_E_NS1_11comp_targetILNS1_3genE2ELNS1_11target_archE906ELNS1_3gpuE6ELNS1_3repE0EEENS1_30default_config_static_selectorELNS0_4arch9wavefront6targetE1EEEvT1_, .Lfunc_end227-_ZN7rocprim17ROCPRIM_400000_NS6detail17trampoline_kernelINS0_14default_configENS1_25partition_config_selectorILNS1_17partition_subalgoE2EiNS0_10empty_typeEbEEZZNS1_14partition_implILS5_2ELb0ES3_jN6thrust23THRUST_200600_302600_NS6detail15normal_iteratorINSA_7pointerIiNSA_11hip_rocprim3tagENSA_11use_defaultESG_EEEEPS6_NSA_18transform_iteratorI7is_evenIiENSC_INSA_10device_ptrIiEEEESG_SG_EENS0_5tupleIJPiSJ_EEENSR_IJSJ_SJ_EEES6_PlJS6_EEE10hipError_tPvRmT3_T4_T5_T6_T7_T9_mT8_P12ihipStream_tbDpT10_ENKUlT_T0_E_clISt17integral_constantIbLb0EES1F_EEDaS1A_S1B_EUlS1A_E_NS1_11comp_targetILNS1_3genE2ELNS1_11target_archE906ELNS1_3gpuE6ELNS1_3repE0EEENS1_30default_config_static_selectorELNS0_4arch9wavefront6targetE1EEEvT1_
                                        ; -- End function
	.section	.AMDGPU.csdata,"",@progbits
; Kernel info:
; codeLenInByte = 0
; NumSgprs: 4
; NumVgprs: 0
; NumAgprs: 0
; TotalNumVgprs: 0
; ScratchSize: 0
; MemoryBound: 0
; FloatMode: 240
; IeeeMode: 1
; LDSByteSize: 0 bytes/workgroup (compile time only)
; SGPRBlocks: 0
; VGPRBlocks: 0
; NumSGPRsForWavesPerEU: 4
; NumVGPRsForWavesPerEU: 1
; AccumOffset: 4
; Occupancy: 8
; WaveLimiterHint : 0
; COMPUTE_PGM_RSRC2:SCRATCH_EN: 0
; COMPUTE_PGM_RSRC2:USER_SGPR: 6
; COMPUTE_PGM_RSRC2:TRAP_HANDLER: 0
; COMPUTE_PGM_RSRC2:TGID_X_EN: 1
; COMPUTE_PGM_RSRC2:TGID_Y_EN: 0
; COMPUTE_PGM_RSRC2:TGID_Z_EN: 0
; COMPUTE_PGM_RSRC2:TIDIG_COMP_CNT: 0
; COMPUTE_PGM_RSRC3_GFX90A:ACCUM_OFFSET: 0
; COMPUTE_PGM_RSRC3_GFX90A:TG_SPLIT: 0
	.section	.text._ZN7rocprim17ROCPRIM_400000_NS6detail17trampoline_kernelINS0_14default_configENS1_25partition_config_selectorILNS1_17partition_subalgoE2EiNS0_10empty_typeEbEEZZNS1_14partition_implILS5_2ELb0ES3_jN6thrust23THRUST_200600_302600_NS6detail15normal_iteratorINSA_7pointerIiNSA_11hip_rocprim3tagENSA_11use_defaultESG_EEEEPS6_NSA_18transform_iteratorI7is_evenIiENSC_INSA_10device_ptrIiEEEESG_SG_EENS0_5tupleIJPiSJ_EEENSR_IJSJ_SJ_EEES6_PlJS6_EEE10hipError_tPvRmT3_T4_T5_T6_T7_T9_mT8_P12ihipStream_tbDpT10_ENKUlT_T0_E_clISt17integral_constantIbLb0EES1F_EEDaS1A_S1B_EUlS1A_E_NS1_11comp_targetILNS1_3genE10ELNS1_11target_archE1200ELNS1_3gpuE4ELNS1_3repE0EEENS1_30default_config_static_selectorELNS0_4arch9wavefront6targetE1EEEvT1_,"axG",@progbits,_ZN7rocprim17ROCPRIM_400000_NS6detail17trampoline_kernelINS0_14default_configENS1_25partition_config_selectorILNS1_17partition_subalgoE2EiNS0_10empty_typeEbEEZZNS1_14partition_implILS5_2ELb0ES3_jN6thrust23THRUST_200600_302600_NS6detail15normal_iteratorINSA_7pointerIiNSA_11hip_rocprim3tagENSA_11use_defaultESG_EEEEPS6_NSA_18transform_iteratorI7is_evenIiENSC_INSA_10device_ptrIiEEEESG_SG_EENS0_5tupleIJPiSJ_EEENSR_IJSJ_SJ_EEES6_PlJS6_EEE10hipError_tPvRmT3_T4_T5_T6_T7_T9_mT8_P12ihipStream_tbDpT10_ENKUlT_T0_E_clISt17integral_constantIbLb0EES1F_EEDaS1A_S1B_EUlS1A_E_NS1_11comp_targetILNS1_3genE10ELNS1_11target_archE1200ELNS1_3gpuE4ELNS1_3repE0EEENS1_30default_config_static_selectorELNS0_4arch9wavefront6targetE1EEEvT1_,comdat
	.protected	_ZN7rocprim17ROCPRIM_400000_NS6detail17trampoline_kernelINS0_14default_configENS1_25partition_config_selectorILNS1_17partition_subalgoE2EiNS0_10empty_typeEbEEZZNS1_14partition_implILS5_2ELb0ES3_jN6thrust23THRUST_200600_302600_NS6detail15normal_iteratorINSA_7pointerIiNSA_11hip_rocprim3tagENSA_11use_defaultESG_EEEEPS6_NSA_18transform_iteratorI7is_evenIiENSC_INSA_10device_ptrIiEEEESG_SG_EENS0_5tupleIJPiSJ_EEENSR_IJSJ_SJ_EEES6_PlJS6_EEE10hipError_tPvRmT3_T4_T5_T6_T7_T9_mT8_P12ihipStream_tbDpT10_ENKUlT_T0_E_clISt17integral_constantIbLb0EES1F_EEDaS1A_S1B_EUlS1A_E_NS1_11comp_targetILNS1_3genE10ELNS1_11target_archE1200ELNS1_3gpuE4ELNS1_3repE0EEENS1_30default_config_static_selectorELNS0_4arch9wavefront6targetE1EEEvT1_ ; -- Begin function _ZN7rocprim17ROCPRIM_400000_NS6detail17trampoline_kernelINS0_14default_configENS1_25partition_config_selectorILNS1_17partition_subalgoE2EiNS0_10empty_typeEbEEZZNS1_14partition_implILS5_2ELb0ES3_jN6thrust23THRUST_200600_302600_NS6detail15normal_iteratorINSA_7pointerIiNSA_11hip_rocprim3tagENSA_11use_defaultESG_EEEEPS6_NSA_18transform_iteratorI7is_evenIiENSC_INSA_10device_ptrIiEEEESG_SG_EENS0_5tupleIJPiSJ_EEENSR_IJSJ_SJ_EEES6_PlJS6_EEE10hipError_tPvRmT3_T4_T5_T6_T7_T9_mT8_P12ihipStream_tbDpT10_ENKUlT_T0_E_clISt17integral_constantIbLb0EES1F_EEDaS1A_S1B_EUlS1A_E_NS1_11comp_targetILNS1_3genE10ELNS1_11target_archE1200ELNS1_3gpuE4ELNS1_3repE0EEENS1_30default_config_static_selectorELNS0_4arch9wavefront6targetE1EEEvT1_
	.globl	_ZN7rocprim17ROCPRIM_400000_NS6detail17trampoline_kernelINS0_14default_configENS1_25partition_config_selectorILNS1_17partition_subalgoE2EiNS0_10empty_typeEbEEZZNS1_14partition_implILS5_2ELb0ES3_jN6thrust23THRUST_200600_302600_NS6detail15normal_iteratorINSA_7pointerIiNSA_11hip_rocprim3tagENSA_11use_defaultESG_EEEEPS6_NSA_18transform_iteratorI7is_evenIiENSC_INSA_10device_ptrIiEEEESG_SG_EENS0_5tupleIJPiSJ_EEENSR_IJSJ_SJ_EEES6_PlJS6_EEE10hipError_tPvRmT3_T4_T5_T6_T7_T9_mT8_P12ihipStream_tbDpT10_ENKUlT_T0_E_clISt17integral_constantIbLb0EES1F_EEDaS1A_S1B_EUlS1A_E_NS1_11comp_targetILNS1_3genE10ELNS1_11target_archE1200ELNS1_3gpuE4ELNS1_3repE0EEENS1_30default_config_static_selectorELNS0_4arch9wavefront6targetE1EEEvT1_
	.p2align	8
	.type	_ZN7rocprim17ROCPRIM_400000_NS6detail17trampoline_kernelINS0_14default_configENS1_25partition_config_selectorILNS1_17partition_subalgoE2EiNS0_10empty_typeEbEEZZNS1_14partition_implILS5_2ELb0ES3_jN6thrust23THRUST_200600_302600_NS6detail15normal_iteratorINSA_7pointerIiNSA_11hip_rocprim3tagENSA_11use_defaultESG_EEEEPS6_NSA_18transform_iteratorI7is_evenIiENSC_INSA_10device_ptrIiEEEESG_SG_EENS0_5tupleIJPiSJ_EEENSR_IJSJ_SJ_EEES6_PlJS6_EEE10hipError_tPvRmT3_T4_T5_T6_T7_T9_mT8_P12ihipStream_tbDpT10_ENKUlT_T0_E_clISt17integral_constantIbLb0EES1F_EEDaS1A_S1B_EUlS1A_E_NS1_11comp_targetILNS1_3genE10ELNS1_11target_archE1200ELNS1_3gpuE4ELNS1_3repE0EEENS1_30default_config_static_selectorELNS0_4arch9wavefront6targetE1EEEvT1_,@function
_ZN7rocprim17ROCPRIM_400000_NS6detail17trampoline_kernelINS0_14default_configENS1_25partition_config_selectorILNS1_17partition_subalgoE2EiNS0_10empty_typeEbEEZZNS1_14partition_implILS5_2ELb0ES3_jN6thrust23THRUST_200600_302600_NS6detail15normal_iteratorINSA_7pointerIiNSA_11hip_rocprim3tagENSA_11use_defaultESG_EEEEPS6_NSA_18transform_iteratorI7is_evenIiENSC_INSA_10device_ptrIiEEEESG_SG_EENS0_5tupleIJPiSJ_EEENSR_IJSJ_SJ_EEES6_PlJS6_EEE10hipError_tPvRmT3_T4_T5_T6_T7_T9_mT8_P12ihipStream_tbDpT10_ENKUlT_T0_E_clISt17integral_constantIbLb0EES1F_EEDaS1A_S1B_EUlS1A_E_NS1_11comp_targetILNS1_3genE10ELNS1_11target_archE1200ELNS1_3gpuE4ELNS1_3repE0EEENS1_30default_config_static_selectorELNS0_4arch9wavefront6targetE1EEEvT1_: ; @_ZN7rocprim17ROCPRIM_400000_NS6detail17trampoline_kernelINS0_14default_configENS1_25partition_config_selectorILNS1_17partition_subalgoE2EiNS0_10empty_typeEbEEZZNS1_14partition_implILS5_2ELb0ES3_jN6thrust23THRUST_200600_302600_NS6detail15normal_iteratorINSA_7pointerIiNSA_11hip_rocprim3tagENSA_11use_defaultESG_EEEEPS6_NSA_18transform_iteratorI7is_evenIiENSC_INSA_10device_ptrIiEEEESG_SG_EENS0_5tupleIJPiSJ_EEENSR_IJSJ_SJ_EEES6_PlJS6_EEE10hipError_tPvRmT3_T4_T5_T6_T7_T9_mT8_P12ihipStream_tbDpT10_ENKUlT_T0_E_clISt17integral_constantIbLb0EES1F_EEDaS1A_S1B_EUlS1A_E_NS1_11comp_targetILNS1_3genE10ELNS1_11target_archE1200ELNS1_3gpuE4ELNS1_3repE0EEENS1_30default_config_static_selectorELNS0_4arch9wavefront6targetE1EEEvT1_
; %bb.0:
	.section	.rodata,"a",@progbits
	.p2align	6, 0x0
	.amdhsa_kernel _ZN7rocprim17ROCPRIM_400000_NS6detail17trampoline_kernelINS0_14default_configENS1_25partition_config_selectorILNS1_17partition_subalgoE2EiNS0_10empty_typeEbEEZZNS1_14partition_implILS5_2ELb0ES3_jN6thrust23THRUST_200600_302600_NS6detail15normal_iteratorINSA_7pointerIiNSA_11hip_rocprim3tagENSA_11use_defaultESG_EEEEPS6_NSA_18transform_iteratorI7is_evenIiENSC_INSA_10device_ptrIiEEEESG_SG_EENS0_5tupleIJPiSJ_EEENSR_IJSJ_SJ_EEES6_PlJS6_EEE10hipError_tPvRmT3_T4_T5_T6_T7_T9_mT8_P12ihipStream_tbDpT10_ENKUlT_T0_E_clISt17integral_constantIbLb0EES1F_EEDaS1A_S1B_EUlS1A_E_NS1_11comp_targetILNS1_3genE10ELNS1_11target_archE1200ELNS1_3gpuE4ELNS1_3repE0EEENS1_30default_config_static_selectorELNS0_4arch9wavefront6targetE1EEEvT1_
		.amdhsa_group_segment_fixed_size 0
		.amdhsa_private_segment_fixed_size 0
		.amdhsa_kernarg_size 128
		.amdhsa_user_sgpr_count 6
		.amdhsa_user_sgpr_private_segment_buffer 1
		.amdhsa_user_sgpr_dispatch_ptr 0
		.amdhsa_user_sgpr_queue_ptr 0
		.amdhsa_user_sgpr_kernarg_segment_ptr 1
		.amdhsa_user_sgpr_dispatch_id 0
		.amdhsa_user_sgpr_flat_scratch_init 0
		.amdhsa_user_sgpr_kernarg_preload_length 0
		.amdhsa_user_sgpr_kernarg_preload_offset 0
		.amdhsa_user_sgpr_private_segment_size 0
		.amdhsa_uses_dynamic_stack 0
		.amdhsa_system_sgpr_private_segment_wavefront_offset 0
		.amdhsa_system_sgpr_workgroup_id_x 1
		.amdhsa_system_sgpr_workgroup_id_y 0
		.amdhsa_system_sgpr_workgroup_id_z 0
		.amdhsa_system_sgpr_workgroup_info 0
		.amdhsa_system_vgpr_workitem_id 0
		.amdhsa_next_free_vgpr 1
		.amdhsa_next_free_sgpr 0
		.amdhsa_accum_offset 4
		.amdhsa_reserve_vcc 0
		.amdhsa_reserve_flat_scratch 0
		.amdhsa_float_round_mode_32 0
		.amdhsa_float_round_mode_16_64 0
		.amdhsa_float_denorm_mode_32 3
		.amdhsa_float_denorm_mode_16_64 3
		.amdhsa_dx10_clamp 1
		.amdhsa_ieee_mode 1
		.amdhsa_fp16_overflow 0
		.amdhsa_tg_split 0
		.amdhsa_exception_fp_ieee_invalid_op 0
		.amdhsa_exception_fp_denorm_src 0
		.amdhsa_exception_fp_ieee_div_zero 0
		.amdhsa_exception_fp_ieee_overflow 0
		.amdhsa_exception_fp_ieee_underflow 0
		.amdhsa_exception_fp_ieee_inexact 0
		.amdhsa_exception_int_div_zero 0
	.end_amdhsa_kernel
	.section	.text._ZN7rocprim17ROCPRIM_400000_NS6detail17trampoline_kernelINS0_14default_configENS1_25partition_config_selectorILNS1_17partition_subalgoE2EiNS0_10empty_typeEbEEZZNS1_14partition_implILS5_2ELb0ES3_jN6thrust23THRUST_200600_302600_NS6detail15normal_iteratorINSA_7pointerIiNSA_11hip_rocprim3tagENSA_11use_defaultESG_EEEEPS6_NSA_18transform_iteratorI7is_evenIiENSC_INSA_10device_ptrIiEEEESG_SG_EENS0_5tupleIJPiSJ_EEENSR_IJSJ_SJ_EEES6_PlJS6_EEE10hipError_tPvRmT3_T4_T5_T6_T7_T9_mT8_P12ihipStream_tbDpT10_ENKUlT_T0_E_clISt17integral_constantIbLb0EES1F_EEDaS1A_S1B_EUlS1A_E_NS1_11comp_targetILNS1_3genE10ELNS1_11target_archE1200ELNS1_3gpuE4ELNS1_3repE0EEENS1_30default_config_static_selectorELNS0_4arch9wavefront6targetE1EEEvT1_,"axG",@progbits,_ZN7rocprim17ROCPRIM_400000_NS6detail17trampoline_kernelINS0_14default_configENS1_25partition_config_selectorILNS1_17partition_subalgoE2EiNS0_10empty_typeEbEEZZNS1_14partition_implILS5_2ELb0ES3_jN6thrust23THRUST_200600_302600_NS6detail15normal_iteratorINSA_7pointerIiNSA_11hip_rocprim3tagENSA_11use_defaultESG_EEEEPS6_NSA_18transform_iteratorI7is_evenIiENSC_INSA_10device_ptrIiEEEESG_SG_EENS0_5tupleIJPiSJ_EEENSR_IJSJ_SJ_EEES6_PlJS6_EEE10hipError_tPvRmT3_T4_T5_T6_T7_T9_mT8_P12ihipStream_tbDpT10_ENKUlT_T0_E_clISt17integral_constantIbLb0EES1F_EEDaS1A_S1B_EUlS1A_E_NS1_11comp_targetILNS1_3genE10ELNS1_11target_archE1200ELNS1_3gpuE4ELNS1_3repE0EEENS1_30default_config_static_selectorELNS0_4arch9wavefront6targetE1EEEvT1_,comdat
.Lfunc_end228:
	.size	_ZN7rocprim17ROCPRIM_400000_NS6detail17trampoline_kernelINS0_14default_configENS1_25partition_config_selectorILNS1_17partition_subalgoE2EiNS0_10empty_typeEbEEZZNS1_14partition_implILS5_2ELb0ES3_jN6thrust23THRUST_200600_302600_NS6detail15normal_iteratorINSA_7pointerIiNSA_11hip_rocprim3tagENSA_11use_defaultESG_EEEEPS6_NSA_18transform_iteratorI7is_evenIiENSC_INSA_10device_ptrIiEEEESG_SG_EENS0_5tupleIJPiSJ_EEENSR_IJSJ_SJ_EEES6_PlJS6_EEE10hipError_tPvRmT3_T4_T5_T6_T7_T9_mT8_P12ihipStream_tbDpT10_ENKUlT_T0_E_clISt17integral_constantIbLb0EES1F_EEDaS1A_S1B_EUlS1A_E_NS1_11comp_targetILNS1_3genE10ELNS1_11target_archE1200ELNS1_3gpuE4ELNS1_3repE0EEENS1_30default_config_static_selectorELNS0_4arch9wavefront6targetE1EEEvT1_, .Lfunc_end228-_ZN7rocprim17ROCPRIM_400000_NS6detail17trampoline_kernelINS0_14default_configENS1_25partition_config_selectorILNS1_17partition_subalgoE2EiNS0_10empty_typeEbEEZZNS1_14partition_implILS5_2ELb0ES3_jN6thrust23THRUST_200600_302600_NS6detail15normal_iteratorINSA_7pointerIiNSA_11hip_rocprim3tagENSA_11use_defaultESG_EEEEPS6_NSA_18transform_iteratorI7is_evenIiENSC_INSA_10device_ptrIiEEEESG_SG_EENS0_5tupleIJPiSJ_EEENSR_IJSJ_SJ_EEES6_PlJS6_EEE10hipError_tPvRmT3_T4_T5_T6_T7_T9_mT8_P12ihipStream_tbDpT10_ENKUlT_T0_E_clISt17integral_constantIbLb0EES1F_EEDaS1A_S1B_EUlS1A_E_NS1_11comp_targetILNS1_3genE10ELNS1_11target_archE1200ELNS1_3gpuE4ELNS1_3repE0EEENS1_30default_config_static_selectorELNS0_4arch9wavefront6targetE1EEEvT1_
                                        ; -- End function
	.section	.AMDGPU.csdata,"",@progbits
; Kernel info:
; codeLenInByte = 0
; NumSgprs: 4
; NumVgprs: 0
; NumAgprs: 0
; TotalNumVgprs: 0
; ScratchSize: 0
; MemoryBound: 0
; FloatMode: 240
; IeeeMode: 1
; LDSByteSize: 0 bytes/workgroup (compile time only)
; SGPRBlocks: 0
; VGPRBlocks: 0
; NumSGPRsForWavesPerEU: 4
; NumVGPRsForWavesPerEU: 1
; AccumOffset: 4
; Occupancy: 8
; WaveLimiterHint : 0
; COMPUTE_PGM_RSRC2:SCRATCH_EN: 0
; COMPUTE_PGM_RSRC2:USER_SGPR: 6
; COMPUTE_PGM_RSRC2:TRAP_HANDLER: 0
; COMPUTE_PGM_RSRC2:TGID_X_EN: 1
; COMPUTE_PGM_RSRC2:TGID_Y_EN: 0
; COMPUTE_PGM_RSRC2:TGID_Z_EN: 0
; COMPUTE_PGM_RSRC2:TIDIG_COMP_CNT: 0
; COMPUTE_PGM_RSRC3_GFX90A:ACCUM_OFFSET: 0
; COMPUTE_PGM_RSRC3_GFX90A:TG_SPLIT: 0
	.section	.text._ZN7rocprim17ROCPRIM_400000_NS6detail17trampoline_kernelINS0_14default_configENS1_25partition_config_selectorILNS1_17partition_subalgoE2EiNS0_10empty_typeEbEEZZNS1_14partition_implILS5_2ELb0ES3_jN6thrust23THRUST_200600_302600_NS6detail15normal_iteratorINSA_7pointerIiNSA_11hip_rocprim3tagENSA_11use_defaultESG_EEEEPS6_NSA_18transform_iteratorI7is_evenIiENSC_INSA_10device_ptrIiEEEESG_SG_EENS0_5tupleIJPiSJ_EEENSR_IJSJ_SJ_EEES6_PlJS6_EEE10hipError_tPvRmT3_T4_T5_T6_T7_T9_mT8_P12ihipStream_tbDpT10_ENKUlT_T0_E_clISt17integral_constantIbLb0EES1F_EEDaS1A_S1B_EUlS1A_E_NS1_11comp_targetILNS1_3genE9ELNS1_11target_archE1100ELNS1_3gpuE3ELNS1_3repE0EEENS1_30default_config_static_selectorELNS0_4arch9wavefront6targetE1EEEvT1_,"axG",@progbits,_ZN7rocprim17ROCPRIM_400000_NS6detail17trampoline_kernelINS0_14default_configENS1_25partition_config_selectorILNS1_17partition_subalgoE2EiNS0_10empty_typeEbEEZZNS1_14partition_implILS5_2ELb0ES3_jN6thrust23THRUST_200600_302600_NS6detail15normal_iteratorINSA_7pointerIiNSA_11hip_rocprim3tagENSA_11use_defaultESG_EEEEPS6_NSA_18transform_iteratorI7is_evenIiENSC_INSA_10device_ptrIiEEEESG_SG_EENS0_5tupleIJPiSJ_EEENSR_IJSJ_SJ_EEES6_PlJS6_EEE10hipError_tPvRmT3_T4_T5_T6_T7_T9_mT8_P12ihipStream_tbDpT10_ENKUlT_T0_E_clISt17integral_constantIbLb0EES1F_EEDaS1A_S1B_EUlS1A_E_NS1_11comp_targetILNS1_3genE9ELNS1_11target_archE1100ELNS1_3gpuE3ELNS1_3repE0EEENS1_30default_config_static_selectorELNS0_4arch9wavefront6targetE1EEEvT1_,comdat
	.protected	_ZN7rocprim17ROCPRIM_400000_NS6detail17trampoline_kernelINS0_14default_configENS1_25partition_config_selectorILNS1_17partition_subalgoE2EiNS0_10empty_typeEbEEZZNS1_14partition_implILS5_2ELb0ES3_jN6thrust23THRUST_200600_302600_NS6detail15normal_iteratorINSA_7pointerIiNSA_11hip_rocprim3tagENSA_11use_defaultESG_EEEEPS6_NSA_18transform_iteratorI7is_evenIiENSC_INSA_10device_ptrIiEEEESG_SG_EENS0_5tupleIJPiSJ_EEENSR_IJSJ_SJ_EEES6_PlJS6_EEE10hipError_tPvRmT3_T4_T5_T6_T7_T9_mT8_P12ihipStream_tbDpT10_ENKUlT_T0_E_clISt17integral_constantIbLb0EES1F_EEDaS1A_S1B_EUlS1A_E_NS1_11comp_targetILNS1_3genE9ELNS1_11target_archE1100ELNS1_3gpuE3ELNS1_3repE0EEENS1_30default_config_static_selectorELNS0_4arch9wavefront6targetE1EEEvT1_ ; -- Begin function _ZN7rocprim17ROCPRIM_400000_NS6detail17trampoline_kernelINS0_14default_configENS1_25partition_config_selectorILNS1_17partition_subalgoE2EiNS0_10empty_typeEbEEZZNS1_14partition_implILS5_2ELb0ES3_jN6thrust23THRUST_200600_302600_NS6detail15normal_iteratorINSA_7pointerIiNSA_11hip_rocprim3tagENSA_11use_defaultESG_EEEEPS6_NSA_18transform_iteratorI7is_evenIiENSC_INSA_10device_ptrIiEEEESG_SG_EENS0_5tupleIJPiSJ_EEENSR_IJSJ_SJ_EEES6_PlJS6_EEE10hipError_tPvRmT3_T4_T5_T6_T7_T9_mT8_P12ihipStream_tbDpT10_ENKUlT_T0_E_clISt17integral_constantIbLb0EES1F_EEDaS1A_S1B_EUlS1A_E_NS1_11comp_targetILNS1_3genE9ELNS1_11target_archE1100ELNS1_3gpuE3ELNS1_3repE0EEENS1_30default_config_static_selectorELNS0_4arch9wavefront6targetE1EEEvT1_
	.globl	_ZN7rocprim17ROCPRIM_400000_NS6detail17trampoline_kernelINS0_14default_configENS1_25partition_config_selectorILNS1_17partition_subalgoE2EiNS0_10empty_typeEbEEZZNS1_14partition_implILS5_2ELb0ES3_jN6thrust23THRUST_200600_302600_NS6detail15normal_iteratorINSA_7pointerIiNSA_11hip_rocprim3tagENSA_11use_defaultESG_EEEEPS6_NSA_18transform_iteratorI7is_evenIiENSC_INSA_10device_ptrIiEEEESG_SG_EENS0_5tupleIJPiSJ_EEENSR_IJSJ_SJ_EEES6_PlJS6_EEE10hipError_tPvRmT3_T4_T5_T6_T7_T9_mT8_P12ihipStream_tbDpT10_ENKUlT_T0_E_clISt17integral_constantIbLb0EES1F_EEDaS1A_S1B_EUlS1A_E_NS1_11comp_targetILNS1_3genE9ELNS1_11target_archE1100ELNS1_3gpuE3ELNS1_3repE0EEENS1_30default_config_static_selectorELNS0_4arch9wavefront6targetE1EEEvT1_
	.p2align	8
	.type	_ZN7rocprim17ROCPRIM_400000_NS6detail17trampoline_kernelINS0_14default_configENS1_25partition_config_selectorILNS1_17partition_subalgoE2EiNS0_10empty_typeEbEEZZNS1_14partition_implILS5_2ELb0ES3_jN6thrust23THRUST_200600_302600_NS6detail15normal_iteratorINSA_7pointerIiNSA_11hip_rocprim3tagENSA_11use_defaultESG_EEEEPS6_NSA_18transform_iteratorI7is_evenIiENSC_INSA_10device_ptrIiEEEESG_SG_EENS0_5tupleIJPiSJ_EEENSR_IJSJ_SJ_EEES6_PlJS6_EEE10hipError_tPvRmT3_T4_T5_T6_T7_T9_mT8_P12ihipStream_tbDpT10_ENKUlT_T0_E_clISt17integral_constantIbLb0EES1F_EEDaS1A_S1B_EUlS1A_E_NS1_11comp_targetILNS1_3genE9ELNS1_11target_archE1100ELNS1_3gpuE3ELNS1_3repE0EEENS1_30default_config_static_selectorELNS0_4arch9wavefront6targetE1EEEvT1_,@function
_ZN7rocprim17ROCPRIM_400000_NS6detail17trampoline_kernelINS0_14default_configENS1_25partition_config_selectorILNS1_17partition_subalgoE2EiNS0_10empty_typeEbEEZZNS1_14partition_implILS5_2ELb0ES3_jN6thrust23THRUST_200600_302600_NS6detail15normal_iteratorINSA_7pointerIiNSA_11hip_rocprim3tagENSA_11use_defaultESG_EEEEPS6_NSA_18transform_iteratorI7is_evenIiENSC_INSA_10device_ptrIiEEEESG_SG_EENS0_5tupleIJPiSJ_EEENSR_IJSJ_SJ_EEES6_PlJS6_EEE10hipError_tPvRmT3_T4_T5_T6_T7_T9_mT8_P12ihipStream_tbDpT10_ENKUlT_T0_E_clISt17integral_constantIbLb0EES1F_EEDaS1A_S1B_EUlS1A_E_NS1_11comp_targetILNS1_3genE9ELNS1_11target_archE1100ELNS1_3gpuE3ELNS1_3repE0EEENS1_30default_config_static_selectorELNS0_4arch9wavefront6targetE1EEEvT1_: ; @_ZN7rocprim17ROCPRIM_400000_NS6detail17trampoline_kernelINS0_14default_configENS1_25partition_config_selectorILNS1_17partition_subalgoE2EiNS0_10empty_typeEbEEZZNS1_14partition_implILS5_2ELb0ES3_jN6thrust23THRUST_200600_302600_NS6detail15normal_iteratorINSA_7pointerIiNSA_11hip_rocprim3tagENSA_11use_defaultESG_EEEEPS6_NSA_18transform_iteratorI7is_evenIiENSC_INSA_10device_ptrIiEEEESG_SG_EENS0_5tupleIJPiSJ_EEENSR_IJSJ_SJ_EEES6_PlJS6_EEE10hipError_tPvRmT3_T4_T5_T6_T7_T9_mT8_P12ihipStream_tbDpT10_ENKUlT_T0_E_clISt17integral_constantIbLb0EES1F_EEDaS1A_S1B_EUlS1A_E_NS1_11comp_targetILNS1_3genE9ELNS1_11target_archE1100ELNS1_3gpuE3ELNS1_3repE0EEENS1_30default_config_static_selectorELNS0_4arch9wavefront6targetE1EEEvT1_
; %bb.0:
	.section	.rodata,"a",@progbits
	.p2align	6, 0x0
	.amdhsa_kernel _ZN7rocprim17ROCPRIM_400000_NS6detail17trampoline_kernelINS0_14default_configENS1_25partition_config_selectorILNS1_17partition_subalgoE2EiNS0_10empty_typeEbEEZZNS1_14partition_implILS5_2ELb0ES3_jN6thrust23THRUST_200600_302600_NS6detail15normal_iteratorINSA_7pointerIiNSA_11hip_rocprim3tagENSA_11use_defaultESG_EEEEPS6_NSA_18transform_iteratorI7is_evenIiENSC_INSA_10device_ptrIiEEEESG_SG_EENS0_5tupleIJPiSJ_EEENSR_IJSJ_SJ_EEES6_PlJS6_EEE10hipError_tPvRmT3_T4_T5_T6_T7_T9_mT8_P12ihipStream_tbDpT10_ENKUlT_T0_E_clISt17integral_constantIbLb0EES1F_EEDaS1A_S1B_EUlS1A_E_NS1_11comp_targetILNS1_3genE9ELNS1_11target_archE1100ELNS1_3gpuE3ELNS1_3repE0EEENS1_30default_config_static_selectorELNS0_4arch9wavefront6targetE1EEEvT1_
		.amdhsa_group_segment_fixed_size 0
		.amdhsa_private_segment_fixed_size 0
		.amdhsa_kernarg_size 128
		.amdhsa_user_sgpr_count 6
		.amdhsa_user_sgpr_private_segment_buffer 1
		.amdhsa_user_sgpr_dispatch_ptr 0
		.amdhsa_user_sgpr_queue_ptr 0
		.amdhsa_user_sgpr_kernarg_segment_ptr 1
		.amdhsa_user_sgpr_dispatch_id 0
		.amdhsa_user_sgpr_flat_scratch_init 0
		.amdhsa_user_sgpr_kernarg_preload_length 0
		.amdhsa_user_sgpr_kernarg_preload_offset 0
		.amdhsa_user_sgpr_private_segment_size 0
		.amdhsa_uses_dynamic_stack 0
		.amdhsa_system_sgpr_private_segment_wavefront_offset 0
		.amdhsa_system_sgpr_workgroup_id_x 1
		.amdhsa_system_sgpr_workgroup_id_y 0
		.amdhsa_system_sgpr_workgroup_id_z 0
		.amdhsa_system_sgpr_workgroup_info 0
		.amdhsa_system_vgpr_workitem_id 0
		.amdhsa_next_free_vgpr 1
		.amdhsa_next_free_sgpr 0
		.amdhsa_accum_offset 4
		.amdhsa_reserve_vcc 0
		.amdhsa_reserve_flat_scratch 0
		.amdhsa_float_round_mode_32 0
		.amdhsa_float_round_mode_16_64 0
		.amdhsa_float_denorm_mode_32 3
		.amdhsa_float_denorm_mode_16_64 3
		.amdhsa_dx10_clamp 1
		.amdhsa_ieee_mode 1
		.amdhsa_fp16_overflow 0
		.amdhsa_tg_split 0
		.amdhsa_exception_fp_ieee_invalid_op 0
		.amdhsa_exception_fp_denorm_src 0
		.amdhsa_exception_fp_ieee_div_zero 0
		.amdhsa_exception_fp_ieee_overflow 0
		.amdhsa_exception_fp_ieee_underflow 0
		.amdhsa_exception_fp_ieee_inexact 0
		.amdhsa_exception_int_div_zero 0
	.end_amdhsa_kernel
	.section	.text._ZN7rocprim17ROCPRIM_400000_NS6detail17trampoline_kernelINS0_14default_configENS1_25partition_config_selectorILNS1_17partition_subalgoE2EiNS0_10empty_typeEbEEZZNS1_14partition_implILS5_2ELb0ES3_jN6thrust23THRUST_200600_302600_NS6detail15normal_iteratorINSA_7pointerIiNSA_11hip_rocprim3tagENSA_11use_defaultESG_EEEEPS6_NSA_18transform_iteratorI7is_evenIiENSC_INSA_10device_ptrIiEEEESG_SG_EENS0_5tupleIJPiSJ_EEENSR_IJSJ_SJ_EEES6_PlJS6_EEE10hipError_tPvRmT3_T4_T5_T6_T7_T9_mT8_P12ihipStream_tbDpT10_ENKUlT_T0_E_clISt17integral_constantIbLb0EES1F_EEDaS1A_S1B_EUlS1A_E_NS1_11comp_targetILNS1_3genE9ELNS1_11target_archE1100ELNS1_3gpuE3ELNS1_3repE0EEENS1_30default_config_static_selectorELNS0_4arch9wavefront6targetE1EEEvT1_,"axG",@progbits,_ZN7rocprim17ROCPRIM_400000_NS6detail17trampoline_kernelINS0_14default_configENS1_25partition_config_selectorILNS1_17partition_subalgoE2EiNS0_10empty_typeEbEEZZNS1_14partition_implILS5_2ELb0ES3_jN6thrust23THRUST_200600_302600_NS6detail15normal_iteratorINSA_7pointerIiNSA_11hip_rocprim3tagENSA_11use_defaultESG_EEEEPS6_NSA_18transform_iteratorI7is_evenIiENSC_INSA_10device_ptrIiEEEESG_SG_EENS0_5tupleIJPiSJ_EEENSR_IJSJ_SJ_EEES6_PlJS6_EEE10hipError_tPvRmT3_T4_T5_T6_T7_T9_mT8_P12ihipStream_tbDpT10_ENKUlT_T0_E_clISt17integral_constantIbLb0EES1F_EEDaS1A_S1B_EUlS1A_E_NS1_11comp_targetILNS1_3genE9ELNS1_11target_archE1100ELNS1_3gpuE3ELNS1_3repE0EEENS1_30default_config_static_selectorELNS0_4arch9wavefront6targetE1EEEvT1_,comdat
.Lfunc_end229:
	.size	_ZN7rocprim17ROCPRIM_400000_NS6detail17trampoline_kernelINS0_14default_configENS1_25partition_config_selectorILNS1_17partition_subalgoE2EiNS0_10empty_typeEbEEZZNS1_14partition_implILS5_2ELb0ES3_jN6thrust23THRUST_200600_302600_NS6detail15normal_iteratorINSA_7pointerIiNSA_11hip_rocprim3tagENSA_11use_defaultESG_EEEEPS6_NSA_18transform_iteratorI7is_evenIiENSC_INSA_10device_ptrIiEEEESG_SG_EENS0_5tupleIJPiSJ_EEENSR_IJSJ_SJ_EEES6_PlJS6_EEE10hipError_tPvRmT3_T4_T5_T6_T7_T9_mT8_P12ihipStream_tbDpT10_ENKUlT_T0_E_clISt17integral_constantIbLb0EES1F_EEDaS1A_S1B_EUlS1A_E_NS1_11comp_targetILNS1_3genE9ELNS1_11target_archE1100ELNS1_3gpuE3ELNS1_3repE0EEENS1_30default_config_static_selectorELNS0_4arch9wavefront6targetE1EEEvT1_, .Lfunc_end229-_ZN7rocprim17ROCPRIM_400000_NS6detail17trampoline_kernelINS0_14default_configENS1_25partition_config_selectorILNS1_17partition_subalgoE2EiNS0_10empty_typeEbEEZZNS1_14partition_implILS5_2ELb0ES3_jN6thrust23THRUST_200600_302600_NS6detail15normal_iteratorINSA_7pointerIiNSA_11hip_rocprim3tagENSA_11use_defaultESG_EEEEPS6_NSA_18transform_iteratorI7is_evenIiENSC_INSA_10device_ptrIiEEEESG_SG_EENS0_5tupleIJPiSJ_EEENSR_IJSJ_SJ_EEES6_PlJS6_EEE10hipError_tPvRmT3_T4_T5_T6_T7_T9_mT8_P12ihipStream_tbDpT10_ENKUlT_T0_E_clISt17integral_constantIbLb0EES1F_EEDaS1A_S1B_EUlS1A_E_NS1_11comp_targetILNS1_3genE9ELNS1_11target_archE1100ELNS1_3gpuE3ELNS1_3repE0EEENS1_30default_config_static_selectorELNS0_4arch9wavefront6targetE1EEEvT1_
                                        ; -- End function
	.section	.AMDGPU.csdata,"",@progbits
; Kernel info:
; codeLenInByte = 0
; NumSgprs: 4
; NumVgprs: 0
; NumAgprs: 0
; TotalNumVgprs: 0
; ScratchSize: 0
; MemoryBound: 0
; FloatMode: 240
; IeeeMode: 1
; LDSByteSize: 0 bytes/workgroup (compile time only)
; SGPRBlocks: 0
; VGPRBlocks: 0
; NumSGPRsForWavesPerEU: 4
; NumVGPRsForWavesPerEU: 1
; AccumOffset: 4
; Occupancy: 8
; WaveLimiterHint : 0
; COMPUTE_PGM_RSRC2:SCRATCH_EN: 0
; COMPUTE_PGM_RSRC2:USER_SGPR: 6
; COMPUTE_PGM_RSRC2:TRAP_HANDLER: 0
; COMPUTE_PGM_RSRC2:TGID_X_EN: 1
; COMPUTE_PGM_RSRC2:TGID_Y_EN: 0
; COMPUTE_PGM_RSRC2:TGID_Z_EN: 0
; COMPUTE_PGM_RSRC2:TIDIG_COMP_CNT: 0
; COMPUTE_PGM_RSRC3_GFX90A:ACCUM_OFFSET: 0
; COMPUTE_PGM_RSRC3_GFX90A:TG_SPLIT: 0
	.section	.text._ZN7rocprim17ROCPRIM_400000_NS6detail17trampoline_kernelINS0_14default_configENS1_25partition_config_selectorILNS1_17partition_subalgoE2EiNS0_10empty_typeEbEEZZNS1_14partition_implILS5_2ELb0ES3_jN6thrust23THRUST_200600_302600_NS6detail15normal_iteratorINSA_7pointerIiNSA_11hip_rocprim3tagENSA_11use_defaultESG_EEEEPS6_NSA_18transform_iteratorI7is_evenIiENSC_INSA_10device_ptrIiEEEESG_SG_EENS0_5tupleIJPiSJ_EEENSR_IJSJ_SJ_EEES6_PlJS6_EEE10hipError_tPvRmT3_T4_T5_T6_T7_T9_mT8_P12ihipStream_tbDpT10_ENKUlT_T0_E_clISt17integral_constantIbLb0EES1F_EEDaS1A_S1B_EUlS1A_E_NS1_11comp_targetILNS1_3genE8ELNS1_11target_archE1030ELNS1_3gpuE2ELNS1_3repE0EEENS1_30default_config_static_selectorELNS0_4arch9wavefront6targetE1EEEvT1_,"axG",@progbits,_ZN7rocprim17ROCPRIM_400000_NS6detail17trampoline_kernelINS0_14default_configENS1_25partition_config_selectorILNS1_17partition_subalgoE2EiNS0_10empty_typeEbEEZZNS1_14partition_implILS5_2ELb0ES3_jN6thrust23THRUST_200600_302600_NS6detail15normal_iteratorINSA_7pointerIiNSA_11hip_rocprim3tagENSA_11use_defaultESG_EEEEPS6_NSA_18transform_iteratorI7is_evenIiENSC_INSA_10device_ptrIiEEEESG_SG_EENS0_5tupleIJPiSJ_EEENSR_IJSJ_SJ_EEES6_PlJS6_EEE10hipError_tPvRmT3_T4_T5_T6_T7_T9_mT8_P12ihipStream_tbDpT10_ENKUlT_T0_E_clISt17integral_constantIbLb0EES1F_EEDaS1A_S1B_EUlS1A_E_NS1_11comp_targetILNS1_3genE8ELNS1_11target_archE1030ELNS1_3gpuE2ELNS1_3repE0EEENS1_30default_config_static_selectorELNS0_4arch9wavefront6targetE1EEEvT1_,comdat
	.protected	_ZN7rocprim17ROCPRIM_400000_NS6detail17trampoline_kernelINS0_14default_configENS1_25partition_config_selectorILNS1_17partition_subalgoE2EiNS0_10empty_typeEbEEZZNS1_14partition_implILS5_2ELb0ES3_jN6thrust23THRUST_200600_302600_NS6detail15normal_iteratorINSA_7pointerIiNSA_11hip_rocprim3tagENSA_11use_defaultESG_EEEEPS6_NSA_18transform_iteratorI7is_evenIiENSC_INSA_10device_ptrIiEEEESG_SG_EENS0_5tupleIJPiSJ_EEENSR_IJSJ_SJ_EEES6_PlJS6_EEE10hipError_tPvRmT3_T4_T5_T6_T7_T9_mT8_P12ihipStream_tbDpT10_ENKUlT_T0_E_clISt17integral_constantIbLb0EES1F_EEDaS1A_S1B_EUlS1A_E_NS1_11comp_targetILNS1_3genE8ELNS1_11target_archE1030ELNS1_3gpuE2ELNS1_3repE0EEENS1_30default_config_static_selectorELNS0_4arch9wavefront6targetE1EEEvT1_ ; -- Begin function _ZN7rocprim17ROCPRIM_400000_NS6detail17trampoline_kernelINS0_14default_configENS1_25partition_config_selectorILNS1_17partition_subalgoE2EiNS0_10empty_typeEbEEZZNS1_14partition_implILS5_2ELb0ES3_jN6thrust23THRUST_200600_302600_NS6detail15normal_iteratorINSA_7pointerIiNSA_11hip_rocprim3tagENSA_11use_defaultESG_EEEEPS6_NSA_18transform_iteratorI7is_evenIiENSC_INSA_10device_ptrIiEEEESG_SG_EENS0_5tupleIJPiSJ_EEENSR_IJSJ_SJ_EEES6_PlJS6_EEE10hipError_tPvRmT3_T4_T5_T6_T7_T9_mT8_P12ihipStream_tbDpT10_ENKUlT_T0_E_clISt17integral_constantIbLb0EES1F_EEDaS1A_S1B_EUlS1A_E_NS1_11comp_targetILNS1_3genE8ELNS1_11target_archE1030ELNS1_3gpuE2ELNS1_3repE0EEENS1_30default_config_static_selectorELNS0_4arch9wavefront6targetE1EEEvT1_
	.globl	_ZN7rocprim17ROCPRIM_400000_NS6detail17trampoline_kernelINS0_14default_configENS1_25partition_config_selectorILNS1_17partition_subalgoE2EiNS0_10empty_typeEbEEZZNS1_14partition_implILS5_2ELb0ES3_jN6thrust23THRUST_200600_302600_NS6detail15normal_iteratorINSA_7pointerIiNSA_11hip_rocprim3tagENSA_11use_defaultESG_EEEEPS6_NSA_18transform_iteratorI7is_evenIiENSC_INSA_10device_ptrIiEEEESG_SG_EENS0_5tupleIJPiSJ_EEENSR_IJSJ_SJ_EEES6_PlJS6_EEE10hipError_tPvRmT3_T4_T5_T6_T7_T9_mT8_P12ihipStream_tbDpT10_ENKUlT_T0_E_clISt17integral_constantIbLb0EES1F_EEDaS1A_S1B_EUlS1A_E_NS1_11comp_targetILNS1_3genE8ELNS1_11target_archE1030ELNS1_3gpuE2ELNS1_3repE0EEENS1_30default_config_static_selectorELNS0_4arch9wavefront6targetE1EEEvT1_
	.p2align	8
	.type	_ZN7rocprim17ROCPRIM_400000_NS6detail17trampoline_kernelINS0_14default_configENS1_25partition_config_selectorILNS1_17partition_subalgoE2EiNS0_10empty_typeEbEEZZNS1_14partition_implILS5_2ELb0ES3_jN6thrust23THRUST_200600_302600_NS6detail15normal_iteratorINSA_7pointerIiNSA_11hip_rocprim3tagENSA_11use_defaultESG_EEEEPS6_NSA_18transform_iteratorI7is_evenIiENSC_INSA_10device_ptrIiEEEESG_SG_EENS0_5tupleIJPiSJ_EEENSR_IJSJ_SJ_EEES6_PlJS6_EEE10hipError_tPvRmT3_T4_T5_T6_T7_T9_mT8_P12ihipStream_tbDpT10_ENKUlT_T0_E_clISt17integral_constantIbLb0EES1F_EEDaS1A_S1B_EUlS1A_E_NS1_11comp_targetILNS1_3genE8ELNS1_11target_archE1030ELNS1_3gpuE2ELNS1_3repE0EEENS1_30default_config_static_selectorELNS0_4arch9wavefront6targetE1EEEvT1_,@function
_ZN7rocprim17ROCPRIM_400000_NS6detail17trampoline_kernelINS0_14default_configENS1_25partition_config_selectorILNS1_17partition_subalgoE2EiNS0_10empty_typeEbEEZZNS1_14partition_implILS5_2ELb0ES3_jN6thrust23THRUST_200600_302600_NS6detail15normal_iteratorINSA_7pointerIiNSA_11hip_rocprim3tagENSA_11use_defaultESG_EEEEPS6_NSA_18transform_iteratorI7is_evenIiENSC_INSA_10device_ptrIiEEEESG_SG_EENS0_5tupleIJPiSJ_EEENSR_IJSJ_SJ_EEES6_PlJS6_EEE10hipError_tPvRmT3_T4_T5_T6_T7_T9_mT8_P12ihipStream_tbDpT10_ENKUlT_T0_E_clISt17integral_constantIbLb0EES1F_EEDaS1A_S1B_EUlS1A_E_NS1_11comp_targetILNS1_3genE8ELNS1_11target_archE1030ELNS1_3gpuE2ELNS1_3repE0EEENS1_30default_config_static_selectorELNS0_4arch9wavefront6targetE1EEEvT1_: ; @_ZN7rocprim17ROCPRIM_400000_NS6detail17trampoline_kernelINS0_14default_configENS1_25partition_config_selectorILNS1_17partition_subalgoE2EiNS0_10empty_typeEbEEZZNS1_14partition_implILS5_2ELb0ES3_jN6thrust23THRUST_200600_302600_NS6detail15normal_iteratorINSA_7pointerIiNSA_11hip_rocprim3tagENSA_11use_defaultESG_EEEEPS6_NSA_18transform_iteratorI7is_evenIiENSC_INSA_10device_ptrIiEEEESG_SG_EENS0_5tupleIJPiSJ_EEENSR_IJSJ_SJ_EEES6_PlJS6_EEE10hipError_tPvRmT3_T4_T5_T6_T7_T9_mT8_P12ihipStream_tbDpT10_ENKUlT_T0_E_clISt17integral_constantIbLb0EES1F_EEDaS1A_S1B_EUlS1A_E_NS1_11comp_targetILNS1_3genE8ELNS1_11target_archE1030ELNS1_3gpuE2ELNS1_3repE0EEENS1_30default_config_static_selectorELNS0_4arch9wavefront6targetE1EEEvT1_
; %bb.0:
	.section	.rodata,"a",@progbits
	.p2align	6, 0x0
	.amdhsa_kernel _ZN7rocprim17ROCPRIM_400000_NS6detail17trampoline_kernelINS0_14default_configENS1_25partition_config_selectorILNS1_17partition_subalgoE2EiNS0_10empty_typeEbEEZZNS1_14partition_implILS5_2ELb0ES3_jN6thrust23THRUST_200600_302600_NS6detail15normal_iteratorINSA_7pointerIiNSA_11hip_rocprim3tagENSA_11use_defaultESG_EEEEPS6_NSA_18transform_iteratorI7is_evenIiENSC_INSA_10device_ptrIiEEEESG_SG_EENS0_5tupleIJPiSJ_EEENSR_IJSJ_SJ_EEES6_PlJS6_EEE10hipError_tPvRmT3_T4_T5_T6_T7_T9_mT8_P12ihipStream_tbDpT10_ENKUlT_T0_E_clISt17integral_constantIbLb0EES1F_EEDaS1A_S1B_EUlS1A_E_NS1_11comp_targetILNS1_3genE8ELNS1_11target_archE1030ELNS1_3gpuE2ELNS1_3repE0EEENS1_30default_config_static_selectorELNS0_4arch9wavefront6targetE1EEEvT1_
		.amdhsa_group_segment_fixed_size 0
		.amdhsa_private_segment_fixed_size 0
		.amdhsa_kernarg_size 128
		.amdhsa_user_sgpr_count 6
		.amdhsa_user_sgpr_private_segment_buffer 1
		.amdhsa_user_sgpr_dispatch_ptr 0
		.amdhsa_user_sgpr_queue_ptr 0
		.amdhsa_user_sgpr_kernarg_segment_ptr 1
		.amdhsa_user_sgpr_dispatch_id 0
		.amdhsa_user_sgpr_flat_scratch_init 0
		.amdhsa_user_sgpr_kernarg_preload_length 0
		.amdhsa_user_sgpr_kernarg_preload_offset 0
		.amdhsa_user_sgpr_private_segment_size 0
		.amdhsa_uses_dynamic_stack 0
		.amdhsa_system_sgpr_private_segment_wavefront_offset 0
		.amdhsa_system_sgpr_workgroup_id_x 1
		.amdhsa_system_sgpr_workgroup_id_y 0
		.amdhsa_system_sgpr_workgroup_id_z 0
		.amdhsa_system_sgpr_workgroup_info 0
		.amdhsa_system_vgpr_workitem_id 0
		.amdhsa_next_free_vgpr 1
		.amdhsa_next_free_sgpr 0
		.amdhsa_accum_offset 4
		.amdhsa_reserve_vcc 0
		.amdhsa_reserve_flat_scratch 0
		.amdhsa_float_round_mode_32 0
		.amdhsa_float_round_mode_16_64 0
		.amdhsa_float_denorm_mode_32 3
		.amdhsa_float_denorm_mode_16_64 3
		.amdhsa_dx10_clamp 1
		.amdhsa_ieee_mode 1
		.amdhsa_fp16_overflow 0
		.amdhsa_tg_split 0
		.amdhsa_exception_fp_ieee_invalid_op 0
		.amdhsa_exception_fp_denorm_src 0
		.amdhsa_exception_fp_ieee_div_zero 0
		.amdhsa_exception_fp_ieee_overflow 0
		.amdhsa_exception_fp_ieee_underflow 0
		.amdhsa_exception_fp_ieee_inexact 0
		.amdhsa_exception_int_div_zero 0
	.end_amdhsa_kernel
	.section	.text._ZN7rocprim17ROCPRIM_400000_NS6detail17trampoline_kernelINS0_14default_configENS1_25partition_config_selectorILNS1_17partition_subalgoE2EiNS0_10empty_typeEbEEZZNS1_14partition_implILS5_2ELb0ES3_jN6thrust23THRUST_200600_302600_NS6detail15normal_iteratorINSA_7pointerIiNSA_11hip_rocprim3tagENSA_11use_defaultESG_EEEEPS6_NSA_18transform_iteratorI7is_evenIiENSC_INSA_10device_ptrIiEEEESG_SG_EENS0_5tupleIJPiSJ_EEENSR_IJSJ_SJ_EEES6_PlJS6_EEE10hipError_tPvRmT3_T4_T5_T6_T7_T9_mT8_P12ihipStream_tbDpT10_ENKUlT_T0_E_clISt17integral_constantIbLb0EES1F_EEDaS1A_S1B_EUlS1A_E_NS1_11comp_targetILNS1_3genE8ELNS1_11target_archE1030ELNS1_3gpuE2ELNS1_3repE0EEENS1_30default_config_static_selectorELNS0_4arch9wavefront6targetE1EEEvT1_,"axG",@progbits,_ZN7rocprim17ROCPRIM_400000_NS6detail17trampoline_kernelINS0_14default_configENS1_25partition_config_selectorILNS1_17partition_subalgoE2EiNS0_10empty_typeEbEEZZNS1_14partition_implILS5_2ELb0ES3_jN6thrust23THRUST_200600_302600_NS6detail15normal_iteratorINSA_7pointerIiNSA_11hip_rocprim3tagENSA_11use_defaultESG_EEEEPS6_NSA_18transform_iteratorI7is_evenIiENSC_INSA_10device_ptrIiEEEESG_SG_EENS0_5tupleIJPiSJ_EEENSR_IJSJ_SJ_EEES6_PlJS6_EEE10hipError_tPvRmT3_T4_T5_T6_T7_T9_mT8_P12ihipStream_tbDpT10_ENKUlT_T0_E_clISt17integral_constantIbLb0EES1F_EEDaS1A_S1B_EUlS1A_E_NS1_11comp_targetILNS1_3genE8ELNS1_11target_archE1030ELNS1_3gpuE2ELNS1_3repE0EEENS1_30default_config_static_selectorELNS0_4arch9wavefront6targetE1EEEvT1_,comdat
.Lfunc_end230:
	.size	_ZN7rocprim17ROCPRIM_400000_NS6detail17trampoline_kernelINS0_14default_configENS1_25partition_config_selectorILNS1_17partition_subalgoE2EiNS0_10empty_typeEbEEZZNS1_14partition_implILS5_2ELb0ES3_jN6thrust23THRUST_200600_302600_NS6detail15normal_iteratorINSA_7pointerIiNSA_11hip_rocprim3tagENSA_11use_defaultESG_EEEEPS6_NSA_18transform_iteratorI7is_evenIiENSC_INSA_10device_ptrIiEEEESG_SG_EENS0_5tupleIJPiSJ_EEENSR_IJSJ_SJ_EEES6_PlJS6_EEE10hipError_tPvRmT3_T4_T5_T6_T7_T9_mT8_P12ihipStream_tbDpT10_ENKUlT_T0_E_clISt17integral_constantIbLb0EES1F_EEDaS1A_S1B_EUlS1A_E_NS1_11comp_targetILNS1_3genE8ELNS1_11target_archE1030ELNS1_3gpuE2ELNS1_3repE0EEENS1_30default_config_static_selectorELNS0_4arch9wavefront6targetE1EEEvT1_, .Lfunc_end230-_ZN7rocprim17ROCPRIM_400000_NS6detail17trampoline_kernelINS0_14default_configENS1_25partition_config_selectorILNS1_17partition_subalgoE2EiNS0_10empty_typeEbEEZZNS1_14partition_implILS5_2ELb0ES3_jN6thrust23THRUST_200600_302600_NS6detail15normal_iteratorINSA_7pointerIiNSA_11hip_rocprim3tagENSA_11use_defaultESG_EEEEPS6_NSA_18transform_iteratorI7is_evenIiENSC_INSA_10device_ptrIiEEEESG_SG_EENS0_5tupleIJPiSJ_EEENSR_IJSJ_SJ_EEES6_PlJS6_EEE10hipError_tPvRmT3_T4_T5_T6_T7_T9_mT8_P12ihipStream_tbDpT10_ENKUlT_T0_E_clISt17integral_constantIbLb0EES1F_EEDaS1A_S1B_EUlS1A_E_NS1_11comp_targetILNS1_3genE8ELNS1_11target_archE1030ELNS1_3gpuE2ELNS1_3repE0EEENS1_30default_config_static_selectorELNS0_4arch9wavefront6targetE1EEEvT1_
                                        ; -- End function
	.section	.AMDGPU.csdata,"",@progbits
; Kernel info:
; codeLenInByte = 0
; NumSgprs: 4
; NumVgprs: 0
; NumAgprs: 0
; TotalNumVgprs: 0
; ScratchSize: 0
; MemoryBound: 0
; FloatMode: 240
; IeeeMode: 1
; LDSByteSize: 0 bytes/workgroup (compile time only)
; SGPRBlocks: 0
; VGPRBlocks: 0
; NumSGPRsForWavesPerEU: 4
; NumVGPRsForWavesPerEU: 1
; AccumOffset: 4
; Occupancy: 8
; WaveLimiterHint : 0
; COMPUTE_PGM_RSRC2:SCRATCH_EN: 0
; COMPUTE_PGM_RSRC2:USER_SGPR: 6
; COMPUTE_PGM_RSRC2:TRAP_HANDLER: 0
; COMPUTE_PGM_RSRC2:TGID_X_EN: 1
; COMPUTE_PGM_RSRC2:TGID_Y_EN: 0
; COMPUTE_PGM_RSRC2:TGID_Z_EN: 0
; COMPUTE_PGM_RSRC2:TIDIG_COMP_CNT: 0
; COMPUTE_PGM_RSRC3_GFX90A:ACCUM_OFFSET: 0
; COMPUTE_PGM_RSRC3_GFX90A:TG_SPLIT: 0
	.section	.text._ZN7rocprim17ROCPRIM_400000_NS6detail17trampoline_kernelINS0_14default_configENS1_25partition_config_selectorILNS1_17partition_subalgoE2EiNS0_10empty_typeEbEEZZNS1_14partition_implILS5_2ELb0ES3_jN6thrust23THRUST_200600_302600_NS6detail15normal_iteratorINSA_7pointerIiNSA_11hip_rocprim3tagENSA_11use_defaultESG_EEEEPS6_NSA_18transform_iteratorI7is_evenIiENSC_INSA_10device_ptrIiEEEESG_SG_EENS0_5tupleIJPiSJ_EEENSR_IJSJ_SJ_EEES6_PlJS6_EEE10hipError_tPvRmT3_T4_T5_T6_T7_T9_mT8_P12ihipStream_tbDpT10_ENKUlT_T0_E_clISt17integral_constantIbLb1EES1F_EEDaS1A_S1B_EUlS1A_E_NS1_11comp_targetILNS1_3genE0ELNS1_11target_archE4294967295ELNS1_3gpuE0ELNS1_3repE0EEENS1_30default_config_static_selectorELNS0_4arch9wavefront6targetE1EEEvT1_,"axG",@progbits,_ZN7rocprim17ROCPRIM_400000_NS6detail17trampoline_kernelINS0_14default_configENS1_25partition_config_selectorILNS1_17partition_subalgoE2EiNS0_10empty_typeEbEEZZNS1_14partition_implILS5_2ELb0ES3_jN6thrust23THRUST_200600_302600_NS6detail15normal_iteratorINSA_7pointerIiNSA_11hip_rocprim3tagENSA_11use_defaultESG_EEEEPS6_NSA_18transform_iteratorI7is_evenIiENSC_INSA_10device_ptrIiEEEESG_SG_EENS0_5tupleIJPiSJ_EEENSR_IJSJ_SJ_EEES6_PlJS6_EEE10hipError_tPvRmT3_T4_T5_T6_T7_T9_mT8_P12ihipStream_tbDpT10_ENKUlT_T0_E_clISt17integral_constantIbLb1EES1F_EEDaS1A_S1B_EUlS1A_E_NS1_11comp_targetILNS1_3genE0ELNS1_11target_archE4294967295ELNS1_3gpuE0ELNS1_3repE0EEENS1_30default_config_static_selectorELNS0_4arch9wavefront6targetE1EEEvT1_,comdat
	.protected	_ZN7rocprim17ROCPRIM_400000_NS6detail17trampoline_kernelINS0_14default_configENS1_25partition_config_selectorILNS1_17partition_subalgoE2EiNS0_10empty_typeEbEEZZNS1_14partition_implILS5_2ELb0ES3_jN6thrust23THRUST_200600_302600_NS6detail15normal_iteratorINSA_7pointerIiNSA_11hip_rocprim3tagENSA_11use_defaultESG_EEEEPS6_NSA_18transform_iteratorI7is_evenIiENSC_INSA_10device_ptrIiEEEESG_SG_EENS0_5tupleIJPiSJ_EEENSR_IJSJ_SJ_EEES6_PlJS6_EEE10hipError_tPvRmT3_T4_T5_T6_T7_T9_mT8_P12ihipStream_tbDpT10_ENKUlT_T0_E_clISt17integral_constantIbLb1EES1F_EEDaS1A_S1B_EUlS1A_E_NS1_11comp_targetILNS1_3genE0ELNS1_11target_archE4294967295ELNS1_3gpuE0ELNS1_3repE0EEENS1_30default_config_static_selectorELNS0_4arch9wavefront6targetE1EEEvT1_ ; -- Begin function _ZN7rocprim17ROCPRIM_400000_NS6detail17trampoline_kernelINS0_14default_configENS1_25partition_config_selectorILNS1_17partition_subalgoE2EiNS0_10empty_typeEbEEZZNS1_14partition_implILS5_2ELb0ES3_jN6thrust23THRUST_200600_302600_NS6detail15normal_iteratorINSA_7pointerIiNSA_11hip_rocprim3tagENSA_11use_defaultESG_EEEEPS6_NSA_18transform_iteratorI7is_evenIiENSC_INSA_10device_ptrIiEEEESG_SG_EENS0_5tupleIJPiSJ_EEENSR_IJSJ_SJ_EEES6_PlJS6_EEE10hipError_tPvRmT3_T4_T5_T6_T7_T9_mT8_P12ihipStream_tbDpT10_ENKUlT_T0_E_clISt17integral_constantIbLb1EES1F_EEDaS1A_S1B_EUlS1A_E_NS1_11comp_targetILNS1_3genE0ELNS1_11target_archE4294967295ELNS1_3gpuE0ELNS1_3repE0EEENS1_30default_config_static_selectorELNS0_4arch9wavefront6targetE1EEEvT1_
	.globl	_ZN7rocprim17ROCPRIM_400000_NS6detail17trampoline_kernelINS0_14default_configENS1_25partition_config_selectorILNS1_17partition_subalgoE2EiNS0_10empty_typeEbEEZZNS1_14partition_implILS5_2ELb0ES3_jN6thrust23THRUST_200600_302600_NS6detail15normal_iteratorINSA_7pointerIiNSA_11hip_rocprim3tagENSA_11use_defaultESG_EEEEPS6_NSA_18transform_iteratorI7is_evenIiENSC_INSA_10device_ptrIiEEEESG_SG_EENS0_5tupleIJPiSJ_EEENSR_IJSJ_SJ_EEES6_PlJS6_EEE10hipError_tPvRmT3_T4_T5_T6_T7_T9_mT8_P12ihipStream_tbDpT10_ENKUlT_T0_E_clISt17integral_constantIbLb1EES1F_EEDaS1A_S1B_EUlS1A_E_NS1_11comp_targetILNS1_3genE0ELNS1_11target_archE4294967295ELNS1_3gpuE0ELNS1_3repE0EEENS1_30default_config_static_selectorELNS0_4arch9wavefront6targetE1EEEvT1_
	.p2align	8
	.type	_ZN7rocprim17ROCPRIM_400000_NS6detail17trampoline_kernelINS0_14default_configENS1_25partition_config_selectorILNS1_17partition_subalgoE2EiNS0_10empty_typeEbEEZZNS1_14partition_implILS5_2ELb0ES3_jN6thrust23THRUST_200600_302600_NS6detail15normal_iteratorINSA_7pointerIiNSA_11hip_rocprim3tagENSA_11use_defaultESG_EEEEPS6_NSA_18transform_iteratorI7is_evenIiENSC_INSA_10device_ptrIiEEEESG_SG_EENS0_5tupleIJPiSJ_EEENSR_IJSJ_SJ_EEES6_PlJS6_EEE10hipError_tPvRmT3_T4_T5_T6_T7_T9_mT8_P12ihipStream_tbDpT10_ENKUlT_T0_E_clISt17integral_constantIbLb1EES1F_EEDaS1A_S1B_EUlS1A_E_NS1_11comp_targetILNS1_3genE0ELNS1_11target_archE4294967295ELNS1_3gpuE0ELNS1_3repE0EEENS1_30default_config_static_selectorELNS0_4arch9wavefront6targetE1EEEvT1_,@function
_ZN7rocprim17ROCPRIM_400000_NS6detail17trampoline_kernelINS0_14default_configENS1_25partition_config_selectorILNS1_17partition_subalgoE2EiNS0_10empty_typeEbEEZZNS1_14partition_implILS5_2ELb0ES3_jN6thrust23THRUST_200600_302600_NS6detail15normal_iteratorINSA_7pointerIiNSA_11hip_rocprim3tagENSA_11use_defaultESG_EEEEPS6_NSA_18transform_iteratorI7is_evenIiENSC_INSA_10device_ptrIiEEEESG_SG_EENS0_5tupleIJPiSJ_EEENSR_IJSJ_SJ_EEES6_PlJS6_EEE10hipError_tPvRmT3_T4_T5_T6_T7_T9_mT8_P12ihipStream_tbDpT10_ENKUlT_T0_E_clISt17integral_constantIbLb1EES1F_EEDaS1A_S1B_EUlS1A_E_NS1_11comp_targetILNS1_3genE0ELNS1_11target_archE4294967295ELNS1_3gpuE0ELNS1_3repE0EEENS1_30default_config_static_selectorELNS0_4arch9wavefront6targetE1EEEvT1_: ; @_ZN7rocprim17ROCPRIM_400000_NS6detail17trampoline_kernelINS0_14default_configENS1_25partition_config_selectorILNS1_17partition_subalgoE2EiNS0_10empty_typeEbEEZZNS1_14partition_implILS5_2ELb0ES3_jN6thrust23THRUST_200600_302600_NS6detail15normal_iteratorINSA_7pointerIiNSA_11hip_rocprim3tagENSA_11use_defaultESG_EEEEPS6_NSA_18transform_iteratorI7is_evenIiENSC_INSA_10device_ptrIiEEEESG_SG_EENS0_5tupleIJPiSJ_EEENSR_IJSJ_SJ_EEES6_PlJS6_EEE10hipError_tPvRmT3_T4_T5_T6_T7_T9_mT8_P12ihipStream_tbDpT10_ENKUlT_T0_E_clISt17integral_constantIbLb1EES1F_EEDaS1A_S1B_EUlS1A_E_NS1_11comp_targetILNS1_3genE0ELNS1_11target_archE4294967295ELNS1_3gpuE0ELNS1_3repE0EEENS1_30default_config_static_selectorELNS0_4arch9wavefront6targetE1EEEvT1_
; %bb.0:
	.section	.rodata,"a",@progbits
	.p2align	6, 0x0
	.amdhsa_kernel _ZN7rocprim17ROCPRIM_400000_NS6detail17trampoline_kernelINS0_14default_configENS1_25partition_config_selectorILNS1_17partition_subalgoE2EiNS0_10empty_typeEbEEZZNS1_14partition_implILS5_2ELb0ES3_jN6thrust23THRUST_200600_302600_NS6detail15normal_iteratorINSA_7pointerIiNSA_11hip_rocprim3tagENSA_11use_defaultESG_EEEEPS6_NSA_18transform_iteratorI7is_evenIiENSC_INSA_10device_ptrIiEEEESG_SG_EENS0_5tupleIJPiSJ_EEENSR_IJSJ_SJ_EEES6_PlJS6_EEE10hipError_tPvRmT3_T4_T5_T6_T7_T9_mT8_P12ihipStream_tbDpT10_ENKUlT_T0_E_clISt17integral_constantIbLb1EES1F_EEDaS1A_S1B_EUlS1A_E_NS1_11comp_targetILNS1_3genE0ELNS1_11target_archE4294967295ELNS1_3gpuE0ELNS1_3repE0EEENS1_30default_config_static_selectorELNS0_4arch9wavefront6targetE1EEEvT1_
		.amdhsa_group_segment_fixed_size 0
		.amdhsa_private_segment_fixed_size 0
		.amdhsa_kernarg_size 144
		.amdhsa_user_sgpr_count 6
		.amdhsa_user_sgpr_private_segment_buffer 1
		.amdhsa_user_sgpr_dispatch_ptr 0
		.amdhsa_user_sgpr_queue_ptr 0
		.amdhsa_user_sgpr_kernarg_segment_ptr 1
		.amdhsa_user_sgpr_dispatch_id 0
		.amdhsa_user_sgpr_flat_scratch_init 0
		.amdhsa_user_sgpr_kernarg_preload_length 0
		.amdhsa_user_sgpr_kernarg_preload_offset 0
		.amdhsa_user_sgpr_private_segment_size 0
		.amdhsa_uses_dynamic_stack 0
		.amdhsa_system_sgpr_private_segment_wavefront_offset 0
		.amdhsa_system_sgpr_workgroup_id_x 1
		.amdhsa_system_sgpr_workgroup_id_y 0
		.amdhsa_system_sgpr_workgroup_id_z 0
		.amdhsa_system_sgpr_workgroup_info 0
		.amdhsa_system_vgpr_workitem_id 0
		.amdhsa_next_free_vgpr 1
		.amdhsa_next_free_sgpr 0
		.amdhsa_accum_offset 4
		.amdhsa_reserve_vcc 0
		.amdhsa_reserve_flat_scratch 0
		.amdhsa_float_round_mode_32 0
		.amdhsa_float_round_mode_16_64 0
		.amdhsa_float_denorm_mode_32 3
		.amdhsa_float_denorm_mode_16_64 3
		.amdhsa_dx10_clamp 1
		.amdhsa_ieee_mode 1
		.amdhsa_fp16_overflow 0
		.amdhsa_tg_split 0
		.amdhsa_exception_fp_ieee_invalid_op 0
		.amdhsa_exception_fp_denorm_src 0
		.amdhsa_exception_fp_ieee_div_zero 0
		.amdhsa_exception_fp_ieee_overflow 0
		.amdhsa_exception_fp_ieee_underflow 0
		.amdhsa_exception_fp_ieee_inexact 0
		.amdhsa_exception_int_div_zero 0
	.end_amdhsa_kernel
	.section	.text._ZN7rocprim17ROCPRIM_400000_NS6detail17trampoline_kernelINS0_14default_configENS1_25partition_config_selectorILNS1_17partition_subalgoE2EiNS0_10empty_typeEbEEZZNS1_14partition_implILS5_2ELb0ES3_jN6thrust23THRUST_200600_302600_NS6detail15normal_iteratorINSA_7pointerIiNSA_11hip_rocprim3tagENSA_11use_defaultESG_EEEEPS6_NSA_18transform_iteratorI7is_evenIiENSC_INSA_10device_ptrIiEEEESG_SG_EENS0_5tupleIJPiSJ_EEENSR_IJSJ_SJ_EEES6_PlJS6_EEE10hipError_tPvRmT3_T4_T5_T6_T7_T9_mT8_P12ihipStream_tbDpT10_ENKUlT_T0_E_clISt17integral_constantIbLb1EES1F_EEDaS1A_S1B_EUlS1A_E_NS1_11comp_targetILNS1_3genE0ELNS1_11target_archE4294967295ELNS1_3gpuE0ELNS1_3repE0EEENS1_30default_config_static_selectorELNS0_4arch9wavefront6targetE1EEEvT1_,"axG",@progbits,_ZN7rocprim17ROCPRIM_400000_NS6detail17trampoline_kernelINS0_14default_configENS1_25partition_config_selectorILNS1_17partition_subalgoE2EiNS0_10empty_typeEbEEZZNS1_14partition_implILS5_2ELb0ES3_jN6thrust23THRUST_200600_302600_NS6detail15normal_iteratorINSA_7pointerIiNSA_11hip_rocprim3tagENSA_11use_defaultESG_EEEEPS6_NSA_18transform_iteratorI7is_evenIiENSC_INSA_10device_ptrIiEEEESG_SG_EENS0_5tupleIJPiSJ_EEENSR_IJSJ_SJ_EEES6_PlJS6_EEE10hipError_tPvRmT3_T4_T5_T6_T7_T9_mT8_P12ihipStream_tbDpT10_ENKUlT_T0_E_clISt17integral_constantIbLb1EES1F_EEDaS1A_S1B_EUlS1A_E_NS1_11comp_targetILNS1_3genE0ELNS1_11target_archE4294967295ELNS1_3gpuE0ELNS1_3repE0EEENS1_30default_config_static_selectorELNS0_4arch9wavefront6targetE1EEEvT1_,comdat
.Lfunc_end231:
	.size	_ZN7rocprim17ROCPRIM_400000_NS6detail17trampoline_kernelINS0_14default_configENS1_25partition_config_selectorILNS1_17partition_subalgoE2EiNS0_10empty_typeEbEEZZNS1_14partition_implILS5_2ELb0ES3_jN6thrust23THRUST_200600_302600_NS6detail15normal_iteratorINSA_7pointerIiNSA_11hip_rocprim3tagENSA_11use_defaultESG_EEEEPS6_NSA_18transform_iteratorI7is_evenIiENSC_INSA_10device_ptrIiEEEESG_SG_EENS0_5tupleIJPiSJ_EEENSR_IJSJ_SJ_EEES6_PlJS6_EEE10hipError_tPvRmT3_T4_T5_T6_T7_T9_mT8_P12ihipStream_tbDpT10_ENKUlT_T0_E_clISt17integral_constantIbLb1EES1F_EEDaS1A_S1B_EUlS1A_E_NS1_11comp_targetILNS1_3genE0ELNS1_11target_archE4294967295ELNS1_3gpuE0ELNS1_3repE0EEENS1_30default_config_static_selectorELNS0_4arch9wavefront6targetE1EEEvT1_, .Lfunc_end231-_ZN7rocprim17ROCPRIM_400000_NS6detail17trampoline_kernelINS0_14default_configENS1_25partition_config_selectorILNS1_17partition_subalgoE2EiNS0_10empty_typeEbEEZZNS1_14partition_implILS5_2ELb0ES3_jN6thrust23THRUST_200600_302600_NS6detail15normal_iteratorINSA_7pointerIiNSA_11hip_rocprim3tagENSA_11use_defaultESG_EEEEPS6_NSA_18transform_iteratorI7is_evenIiENSC_INSA_10device_ptrIiEEEESG_SG_EENS0_5tupleIJPiSJ_EEENSR_IJSJ_SJ_EEES6_PlJS6_EEE10hipError_tPvRmT3_T4_T5_T6_T7_T9_mT8_P12ihipStream_tbDpT10_ENKUlT_T0_E_clISt17integral_constantIbLb1EES1F_EEDaS1A_S1B_EUlS1A_E_NS1_11comp_targetILNS1_3genE0ELNS1_11target_archE4294967295ELNS1_3gpuE0ELNS1_3repE0EEENS1_30default_config_static_selectorELNS0_4arch9wavefront6targetE1EEEvT1_
                                        ; -- End function
	.section	.AMDGPU.csdata,"",@progbits
; Kernel info:
; codeLenInByte = 0
; NumSgprs: 4
; NumVgprs: 0
; NumAgprs: 0
; TotalNumVgprs: 0
; ScratchSize: 0
; MemoryBound: 0
; FloatMode: 240
; IeeeMode: 1
; LDSByteSize: 0 bytes/workgroup (compile time only)
; SGPRBlocks: 0
; VGPRBlocks: 0
; NumSGPRsForWavesPerEU: 4
; NumVGPRsForWavesPerEU: 1
; AccumOffset: 4
; Occupancy: 8
; WaveLimiterHint : 0
; COMPUTE_PGM_RSRC2:SCRATCH_EN: 0
; COMPUTE_PGM_RSRC2:USER_SGPR: 6
; COMPUTE_PGM_RSRC2:TRAP_HANDLER: 0
; COMPUTE_PGM_RSRC2:TGID_X_EN: 1
; COMPUTE_PGM_RSRC2:TGID_Y_EN: 0
; COMPUTE_PGM_RSRC2:TGID_Z_EN: 0
; COMPUTE_PGM_RSRC2:TIDIG_COMP_CNT: 0
; COMPUTE_PGM_RSRC3_GFX90A:ACCUM_OFFSET: 0
; COMPUTE_PGM_RSRC3_GFX90A:TG_SPLIT: 0
	.section	.text._ZN7rocprim17ROCPRIM_400000_NS6detail17trampoline_kernelINS0_14default_configENS1_25partition_config_selectorILNS1_17partition_subalgoE2EiNS0_10empty_typeEbEEZZNS1_14partition_implILS5_2ELb0ES3_jN6thrust23THRUST_200600_302600_NS6detail15normal_iteratorINSA_7pointerIiNSA_11hip_rocprim3tagENSA_11use_defaultESG_EEEEPS6_NSA_18transform_iteratorI7is_evenIiENSC_INSA_10device_ptrIiEEEESG_SG_EENS0_5tupleIJPiSJ_EEENSR_IJSJ_SJ_EEES6_PlJS6_EEE10hipError_tPvRmT3_T4_T5_T6_T7_T9_mT8_P12ihipStream_tbDpT10_ENKUlT_T0_E_clISt17integral_constantIbLb1EES1F_EEDaS1A_S1B_EUlS1A_E_NS1_11comp_targetILNS1_3genE5ELNS1_11target_archE942ELNS1_3gpuE9ELNS1_3repE0EEENS1_30default_config_static_selectorELNS0_4arch9wavefront6targetE1EEEvT1_,"axG",@progbits,_ZN7rocprim17ROCPRIM_400000_NS6detail17trampoline_kernelINS0_14default_configENS1_25partition_config_selectorILNS1_17partition_subalgoE2EiNS0_10empty_typeEbEEZZNS1_14partition_implILS5_2ELb0ES3_jN6thrust23THRUST_200600_302600_NS6detail15normal_iteratorINSA_7pointerIiNSA_11hip_rocprim3tagENSA_11use_defaultESG_EEEEPS6_NSA_18transform_iteratorI7is_evenIiENSC_INSA_10device_ptrIiEEEESG_SG_EENS0_5tupleIJPiSJ_EEENSR_IJSJ_SJ_EEES6_PlJS6_EEE10hipError_tPvRmT3_T4_T5_T6_T7_T9_mT8_P12ihipStream_tbDpT10_ENKUlT_T0_E_clISt17integral_constantIbLb1EES1F_EEDaS1A_S1B_EUlS1A_E_NS1_11comp_targetILNS1_3genE5ELNS1_11target_archE942ELNS1_3gpuE9ELNS1_3repE0EEENS1_30default_config_static_selectorELNS0_4arch9wavefront6targetE1EEEvT1_,comdat
	.protected	_ZN7rocprim17ROCPRIM_400000_NS6detail17trampoline_kernelINS0_14default_configENS1_25partition_config_selectorILNS1_17partition_subalgoE2EiNS0_10empty_typeEbEEZZNS1_14partition_implILS5_2ELb0ES3_jN6thrust23THRUST_200600_302600_NS6detail15normal_iteratorINSA_7pointerIiNSA_11hip_rocprim3tagENSA_11use_defaultESG_EEEEPS6_NSA_18transform_iteratorI7is_evenIiENSC_INSA_10device_ptrIiEEEESG_SG_EENS0_5tupleIJPiSJ_EEENSR_IJSJ_SJ_EEES6_PlJS6_EEE10hipError_tPvRmT3_T4_T5_T6_T7_T9_mT8_P12ihipStream_tbDpT10_ENKUlT_T0_E_clISt17integral_constantIbLb1EES1F_EEDaS1A_S1B_EUlS1A_E_NS1_11comp_targetILNS1_3genE5ELNS1_11target_archE942ELNS1_3gpuE9ELNS1_3repE0EEENS1_30default_config_static_selectorELNS0_4arch9wavefront6targetE1EEEvT1_ ; -- Begin function _ZN7rocprim17ROCPRIM_400000_NS6detail17trampoline_kernelINS0_14default_configENS1_25partition_config_selectorILNS1_17partition_subalgoE2EiNS0_10empty_typeEbEEZZNS1_14partition_implILS5_2ELb0ES3_jN6thrust23THRUST_200600_302600_NS6detail15normal_iteratorINSA_7pointerIiNSA_11hip_rocprim3tagENSA_11use_defaultESG_EEEEPS6_NSA_18transform_iteratorI7is_evenIiENSC_INSA_10device_ptrIiEEEESG_SG_EENS0_5tupleIJPiSJ_EEENSR_IJSJ_SJ_EEES6_PlJS6_EEE10hipError_tPvRmT3_T4_T5_T6_T7_T9_mT8_P12ihipStream_tbDpT10_ENKUlT_T0_E_clISt17integral_constantIbLb1EES1F_EEDaS1A_S1B_EUlS1A_E_NS1_11comp_targetILNS1_3genE5ELNS1_11target_archE942ELNS1_3gpuE9ELNS1_3repE0EEENS1_30default_config_static_selectorELNS0_4arch9wavefront6targetE1EEEvT1_
	.globl	_ZN7rocprim17ROCPRIM_400000_NS6detail17trampoline_kernelINS0_14default_configENS1_25partition_config_selectorILNS1_17partition_subalgoE2EiNS0_10empty_typeEbEEZZNS1_14partition_implILS5_2ELb0ES3_jN6thrust23THRUST_200600_302600_NS6detail15normal_iteratorINSA_7pointerIiNSA_11hip_rocprim3tagENSA_11use_defaultESG_EEEEPS6_NSA_18transform_iteratorI7is_evenIiENSC_INSA_10device_ptrIiEEEESG_SG_EENS0_5tupleIJPiSJ_EEENSR_IJSJ_SJ_EEES6_PlJS6_EEE10hipError_tPvRmT3_T4_T5_T6_T7_T9_mT8_P12ihipStream_tbDpT10_ENKUlT_T0_E_clISt17integral_constantIbLb1EES1F_EEDaS1A_S1B_EUlS1A_E_NS1_11comp_targetILNS1_3genE5ELNS1_11target_archE942ELNS1_3gpuE9ELNS1_3repE0EEENS1_30default_config_static_selectorELNS0_4arch9wavefront6targetE1EEEvT1_
	.p2align	8
	.type	_ZN7rocprim17ROCPRIM_400000_NS6detail17trampoline_kernelINS0_14default_configENS1_25partition_config_selectorILNS1_17partition_subalgoE2EiNS0_10empty_typeEbEEZZNS1_14partition_implILS5_2ELb0ES3_jN6thrust23THRUST_200600_302600_NS6detail15normal_iteratorINSA_7pointerIiNSA_11hip_rocprim3tagENSA_11use_defaultESG_EEEEPS6_NSA_18transform_iteratorI7is_evenIiENSC_INSA_10device_ptrIiEEEESG_SG_EENS0_5tupleIJPiSJ_EEENSR_IJSJ_SJ_EEES6_PlJS6_EEE10hipError_tPvRmT3_T4_T5_T6_T7_T9_mT8_P12ihipStream_tbDpT10_ENKUlT_T0_E_clISt17integral_constantIbLb1EES1F_EEDaS1A_S1B_EUlS1A_E_NS1_11comp_targetILNS1_3genE5ELNS1_11target_archE942ELNS1_3gpuE9ELNS1_3repE0EEENS1_30default_config_static_selectorELNS0_4arch9wavefront6targetE1EEEvT1_,@function
_ZN7rocprim17ROCPRIM_400000_NS6detail17trampoline_kernelINS0_14default_configENS1_25partition_config_selectorILNS1_17partition_subalgoE2EiNS0_10empty_typeEbEEZZNS1_14partition_implILS5_2ELb0ES3_jN6thrust23THRUST_200600_302600_NS6detail15normal_iteratorINSA_7pointerIiNSA_11hip_rocprim3tagENSA_11use_defaultESG_EEEEPS6_NSA_18transform_iteratorI7is_evenIiENSC_INSA_10device_ptrIiEEEESG_SG_EENS0_5tupleIJPiSJ_EEENSR_IJSJ_SJ_EEES6_PlJS6_EEE10hipError_tPvRmT3_T4_T5_T6_T7_T9_mT8_P12ihipStream_tbDpT10_ENKUlT_T0_E_clISt17integral_constantIbLb1EES1F_EEDaS1A_S1B_EUlS1A_E_NS1_11comp_targetILNS1_3genE5ELNS1_11target_archE942ELNS1_3gpuE9ELNS1_3repE0EEENS1_30default_config_static_selectorELNS0_4arch9wavefront6targetE1EEEvT1_: ; @_ZN7rocprim17ROCPRIM_400000_NS6detail17trampoline_kernelINS0_14default_configENS1_25partition_config_selectorILNS1_17partition_subalgoE2EiNS0_10empty_typeEbEEZZNS1_14partition_implILS5_2ELb0ES3_jN6thrust23THRUST_200600_302600_NS6detail15normal_iteratorINSA_7pointerIiNSA_11hip_rocprim3tagENSA_11use_defaultESG_EEEEPS6_NSA_18transform_iteratorI7is_evenIiENSC_INSA_10device_ptrIiEEEESG_SG_EENS0_5tupleIJPiSJ_EEENSR_IJSJ_SJ_EEES6_PlJS6_EEE10hipError_tPvRmT3_T4_T5_T6_T7_T9_mT8_P12ihipStream_tbDpT10_ENKUlT_T0_E_clISt17integral_constantIbLb1EES1F_EEDaS1A_S1B_EUlS1A_E_NS1_11comp_targetILNS1_3genE5ELNS1_11target_archE942ELNS1_3gpuE9ELNS1_3repE0EEENS1_30default_config_static_selectorELNS0_4arch9wavefront6targetE1EEEvT1_
; %bb.0:
	.section	.rodata,"a",@progbits
	.p2align	6, 0x0
	.amdhsa_kernel _ZN7rocprim17ROCPRIM_400000_NS6detail17trampoline_kernelINS0_14default_configENS1_25partition_config_selectorILNS1_17partition_subalgoE2EiNS0_10empty_typeEbEEZZNS1_14partition_implILS5_2ELb0ES3_jN6thrust23THRUST_200600_302600_NS6detail15normal_iteratorINSA_7pointerIiNSA_11hip_rocprim3tagENSA_11use_defaultESG_EEEEPS6_NSA_18transform_iteratorI7is_evenIiENSC_INSA_10device_ptrIiEEEESG_SG_EENS0_5tupleIJPiSJ_EEENSR_IJSJ_SJ_EEES6_PlJS6_EEE10hipError_tPvRmT3_T4_T5_T6_T7_T9_mT8_P12ihipStream_tbDpT10_ENKUlT_T0_E_clISt17integral_constantIbLb1EES1F_EEDaS1A_S1B_EUlS1A_E_NS1_11comp_targetILNS1_3genE5ELNS1_11target_archE942ELNS1_3gpuE9ELNS1_3repE0EEENS1_30default_config_static_selectorELNS0_4arch9wavefront6targetE1EEEvT1_
		.amdhsa_group_segment_fixed_size 0
		.amdhsa_private_segment_fixed_size 0
		.amdhsa_kernarg_size 144
		.amdhsa_user_sgpr_count 6
		.amdhsa_user_sgpr_private_segment_buffer 1
		.amdhsa_user_sgpr_dispatch_ptr 0
		.amdhsa_user_sgpr_queue_ptr 0
		.amdhsa_user_sgpr_kernarg_segment_ptr 1
		.amdhsa_user_sgpr_dispatch_id 0
		.amdhsa_user_sgpr_flat_scratch_init 0
		.amdhsa_user_sgpr_kernarg_preload_length 0
		.amdhsa_user_sgpr_kernarg_preload_offset 0
		.amdhsa_user_sgpr_private_segment_size 0
		.amdhsa_uses_dynamic_stack 0
		.amdhsa_system_sgpr_private_segment_wavefront_offset 0
		.amdhsa_system_sgpr_workgroup_id_x 1
		.amdhsa_system_sgpr_workgroup_id_y 0
		.amdhsa_system_sgpr_workgroup_id_z 0
		.amdhsa_system_sgpr_workgroup_info 0
		.amdhsa_system_vgpr_workitem_id 0
		.amdhsa_next_free_vgpr 1
		.amdhsa_next_free_sgpr 0
		.amdhsa_accum_offset 4
		.amdhsa_reserve_vcc 0
		.amdhsa_reserve_flat_scratch 0
		.amdhsa_float_round_mode_32 0
		.amdhsa_float_round_mode_16_64 0
		.amdhsa_float_denorm_mode_32 3
		.amdhsa_float_denorm_mode_16_64 3
		.amdhsa_dx10_clamp 1
		.amdhsa_ieee_mode 1
		.amdhsa_fp16_overflow 0
		.amdhsa_tg_split 0
		.amdhsa_exception_fp_ieee_invalid_op 0
		.amdhsa_exception_fp_denorm_src 0
		.amdhsa_exception_fp_ieee_div_zero 0
		.amdhsa_exception_fp_ieee_overflow 0
		.amdhsa_exception_fp_ieee_underflow 0
		.amdhsa_exception_fp_ieee_inexact 0
		.amdhsa_exception_int_div_zero 0
	.end_amdhsa_kernel
	.section	.text._ZN7rocprim17ROCPRIM_400000_NS6detail17trampoline_kernelINS0_14default_configENS1_25partition_config_selectorILNS1_17partition_subalgoE2EiNS0_10empty_typeEbEEZZNS1_14partition_implILS5_2ELb0ES3_jN6thrust23THRUST_200600_302600_NS6detail15normal_iteratorINSA_7pointerIiNSA_11hip_rocprim3tagENSA_11use_defaultESG_EEEEPS6_NSA_18transform_iteratorI7is_evenIiENSC_INSA_10device_ptrIiEEEESG_SG_EENS0_5tupleIJPiSJ_EEENSR_IJSJ_SJ_EEES6_PlJS6_EEE10hipError_tPvRmT3_T4_T5_T6_T7_T9_mT8_P12ihipStream_tbDpT10_ENKUlT_T0_E_clISt17integral_constantIbLb1EES1F_EEDaS1A_S1B_EUlS1A_E_NS1_11comp_targetILNS1_3genE5ELNS1_11target_archE942ELNS1_3gpuE9ELNS1_3repE0EEENS1_30default_config_static_selectorELNS0_4arch9wavefront6targetE1EEEvT1_,"axG",@progbits,_ZN7rocprim17ROCPRIM_400000_NS6detail17trampoline_kernelINS0_14default_configENS1_25partition_config_selectorILNS1_17partition_subalgoE2EiNS0_10empty_typeEbEEZZNS1_14partition_implILS5_2ELb0ES3_jN6thrust23THRUST_200600_302600_NS6detail15normal_iteratorINSA_7pointerIiNSA_11hip_rocprim3tagENSA_11use_defaultESG_EEEEPS6_NSA_18transform_iteratorI7is_evenIiENSC_INSA_10device_ptrIiEEEESG_SG_EENS0_5tupleIJPiSJ_EEENSR_IJSJ_SJ_EEES6_PlJS6_EEE10hipError_tPvRmT3_T4_T5_T6_T7_T9_mT8_P12ihipStream_tbDpT10_ENKUlT_T0_E_clISt17integral_constantIbLb1EES1F_EEDaS1A_S1B_EUlS1A_E_NS1_11comp_targetILNS1_3genE5ELNS1_11target_archE942ELNS1_3gpuE9ELNS1_3repE0EEENS1_30default_config_static_selectorELNS0_4arch9wavefront6targetE1EEEvT1_,comdat
.Lfunc_end232:
	.size	_ZN7rocprim17ROCPRIM_400000_NS6detail17trampoline_kernelINS0_14default_configENS1_25partition_config_selectorILNS1_17partition_subalgoE2EiNS0_10empty_typeEbEEZZNS1_14partition_implILS5_2ELb0ES3_jN6thrust23THRUST_200600_302600_NS6detail15normal_iteratorINSA_7pointerIiNSA_11hip_rocprim3tagENSA_11use_defaultESG_EEEEPS6_NSA_18transform_iteratorI7is_evenIiENSC_INSA_10device_ptrIiEEEESG_SG_EENS0_5tupleIJPiSJ_EEENSR_IJSJ_SJ_EEES6_PlJS6_EEE10hipError_tPvRmT3_T4_T5_T6_T7_T9_mT8_P12ihipStream_tbDpT10_ENKUlT_T0_E_clISt17integral_constantIbLb1EES1F_EEDaS1A_S1B_EUlS1A_E_NS1_11comp_targetILNS1_3genE5ELNS1_11target_archE942ELNS1_3gpuE9ELNS1_3repE0EEENS1_30default_config_static_selectorELNS0_4arch9wavefront6targetE1EEEvT1_, .Lfunc_end232-_ZN7rocprim17ROCPRIM_400000_NS6detail17trampoline_kernelINS0_14default_configENS1_25partition_config_selectorILNS1_17partition_subalgoE2EiNS0_10empty_typeEbEEZZNS1_14partition_implILS5_2ELb0ES3_jN6thrust23THRUST_200600_302600_NS6detail15normal_iteratorINSA_7pointerIiNSA_11hip_rocprim3tagENSA_11use_defaultESG_EEEEPS6_NSA_18transform_iteratorI7is_evenIiENSC_INSA_10device_ptrIiEEEESG_SG_EENS0_5tupleIJPiSJ_EEENSR_IJSJ_SJ_EEES6_PlJS6_EEE10hipError_tPvRmT3_T4_T5_T6_T7_T9_mT8_P12ihipStream_tbDpT10_ENKUlT_T0_E_clISt17integral_constantIbLb1EES1F_EEDaS1A_S1B_EUlS1A_E_NS1_11comp_targetILNS1_3genE5ELNS1_11target_archE942ELNS1_3gpuE9ELNS1_3repE0EEENS1_30default_config_static_selectorELNS0_4arch9wavefront6targetE1EEEvT1_
                                        ; -- End function
	.section	.AMDGPU.csdata,"",@progbits
; Kernel info:
; codeLenInByte = 0
; NumSgprs: 4
; NumVgprs: 0
; NumAgprs: 0
; TotalNumVgprs: 0
; ScratchSize: 0
; MemoryBound: 0
; FloatMode: 240
; IeeeMode: 1
; LDSByteSize: 0 bytes/workgroup (compile time only)
; SGPRBlocks: 0
; VGPRBlocks: 0
; NumSGPRsForWavesPerEU: 4
; NumVGPRsForWavesPerEU: 1
; AccumOffset: 4
; Occupancy: 8
; WaveLimiterHint : 0
; COMPUTE_PGM_RSRC2:SCRATCH_EN: 0
; COMPUTE_PGM_RSRC2:USER_SGPR: 6
; COMPUTE_PGM_RSRC2:TRAP_HANDLER: 0
; COMPUTE_PGM_RSRC2:TGID_X_EN: 1
; COMPUTE_PGM_RSRC2:TGID_Y_EN: 0
; COMPUTE_PGM_RSRC2:TGID_Z_EN: 0
; COMPUTE_PGM_RSRC2:TIDIG_COMP_CNT: 0
; COMPUTE_PGM_RSRC3_GFX90A:ACCUM_OFFSET: 0
; COMPUTE_PGM_RSRC3_GFX90A:TG_SPLIT: 0
	.section	.text._ZN7rocprim17ROCPRIM_400000_NS6detail17trampoline_kernelINS0_14default_configENS1_25partition_config_selectorILNS1_17partition_subalgoE2EiNS0_10empty_typeEbEEZZNS1_14partition_implILS5_2ELb0ES3_jN6thrust23THRUST_200600_302600_NS6detail15normal_iteratorINSA_7pointerIiNSA_11hip_rocprim3tagENSA_11use_defaultESG_EEEEPS6_NSA_18transform_iteratorI7is_evenIiENSC_INSA_10device_ptrIiEEEESG_SG_EENS0_5tupleIJPiSJ_EEENSR_IJSJ_SJ_EEES6_PlJS6_EEE10hipError_tPvRmT3_T4_T5_T6_T7_T9_mT8_P12ihipStream_tbDpT10_ENKUlT_T0_E_clISt17integral_constantIbLb1EES1F_EEDaS1A_S1B_EUlS1A_E_NS1_11comp_targetILNS1_3genE4ELNS1_11target_archE910ELNS1_3gpuE8ELNS1_3repE0EEENS1_30default_config_static_selectorELNS0_4arch9wavefront6targetE1EEEvT1_,"axG",@progbits,_ZN7rocprim17ROCPRIM_400000_NS6detail17trampoline_kernelINS0_14default_configENS1_25partition_config_selectorILNS1_17partition_subalgoE2EiNS0_10empty_typeEbEEZZNS1_14partition_implILS5_2ELb0ES3_jN6thrust23THRUST_200600_302600_NS6detail15normal_iteratorINSA_7pointerIiNSA_11hip_rocprim3tagENSA_11use_defaultESG_EEEEPS6_NSA_18transform_iteratorI7is_evenIiENSC_INSA_10device_ptrIiEEEESG_SG_EENS0_5tupleIJPiSJ_EEENSR_IJSJ_SJ_EEES6_PlJS6_EEE10hipError_tPvRmT3_T4_T5_T6_T7_T9_mT8_P12ihipStream_tbDpT10_ENKUlT_T0_E_clISt17integral_constantIbLb1EES1F_EEDaS1A_S1B_EUlS1A_E_NS1_11comp_targetILNS1_3genE4ELNS1_11target_archE910ELNS1_3gpuE8ELNS1_3repE0EEENS1_30default_config_static_selectorELNS0_4arch9wavefront6targetE1EEEvT1_,comdat
	.protected	_ZN7rocprim17ROCPRIM_400000_NS6detail17trampoline_kernelINS0_14default_configENS1_25partition_config_selectorILNS1_17partition_subalgoE2EiNS0_10empty_typeEbEEZZNS1_14partition_implILS5_2ELb0ES3_jN6thrust23THRUST_200600_302600_NS6detail15normal_iteratorINSA_7pointerIiNSA_11hip_rocprim3tagENSA_11use_defaultESG_EEEEPS6_NSA_18transform_iteratorI7is_evenIiENSC_INSA_10device_ptrIiEEEESG_SG_EENS0_5tupleIJPiSJ_EEENSR_IJSJ_SJ_EEES6_PlJS6_EEE10hipError_tPvRmT3_T4_T5_T6_T7_T9_mT8_P12ihipStream_tbDpT10_ENKUlT_T0_E_clISt17integral_constantIbLb1EES1F_EEDaS1A_S1B_EUlS1A_E_NS1_11comp_targetILNS1_3genE4ELNS1_11target_archE910ELNS1_3gpuE8ELNS1_3repE0EEENS1_30default_config_static_selectorELNS0_4arch9wavefront6targetE1EEEvT1_ ; -- Begin function _ZN7rocprim17ROCPRIM_400000_NS6detail17trampoline_kernelINS0_14default_configENS1_25partition_config_selectorILNS1_17partition_subalgoE2EiNS0_10empty_typeEbEEZZNS1_14partition_implILS5_2ELb0ES3_jN6thrust23THRUST_200600_302600_NS6detail15normal_iteratorINSA_7pointerIiNSA_11hip_rocprim3tagENSA_11use_defaultESG_EEEEPS6_NSA_18transform_iteratorI7is_evenIiENSC_INSA_10device_ptrIiEEEESG_SG_EENS0_5tupleIJPiSJ_EEENSR_IJSJ_SJ_EEES6_PlJS6_EEE10hipError_tPvRmT3_T4_T5_T6_T7_T9_mT8_P12ihipStream_tbDpT10_ENKUlT_T0_E_clISt17integral_constantIbLb1EES1F_EEDaS1A_S1B_EUlS1A_E_NS1_11comp_targetILNS1_3genE4ELNS1_11target_archE910ELNS1_3gpuE8ELNS1_3repE0EEENS1_30default_config_static_selectorELNS0_4arch9wavefront6targetE1EEEvT1_
	.globl	_ZN7rocprim17ROCPRIM_400000_NS6detail17trampoline_kernelINS0_14default_configENS1_25partition_config_selectorILNS1_17partition_subalgoE2EiNS0_10empty_typeEbEEZZNS1_14partition_implILS5_2ELb0ES3_jN6thrust23THRUST_200600_302600_NS6detail15normal_iteratorINSA_7pointerIiNSA_11hip_rocprim3tagENSA_11use_defaultESG_EEEEPS6_NSA_18transform_iteratorI7is_evenIiENSC_INSA_10device_ptrIiEEEESG_SG_EENS0_5tupleIJPiSJ_EEENSR_IJSJ_SJ_EEES6_PlJS6_EEE10hipError_tPvRmT3_T4_T5_T6_T7_T9_mT8_P12ihipStream_tbDpT10_ENKUlT_T0_E_clISt17integral_constantIbLb1EES1F_EEDaS1A_S1B_EUlS1A_E_NS1_11comp_targetILNS1_3genE4ELNS1_11target_archE910ELNS1_3gpuE8ELNS1_3repE0EEENS1_30default_config_static_selectorELNS0_4arch9wavefront6targetE1EEEvT1_
	.p2align	8
	.type	_ZN7rocprim17ROCPRIM_400000_NS6detail17trampoline_kernelINS0_14default_configENS1_25partition_config_selectorILNS1_17partition_subalgoE2EiNS0_10empty_typeEbEEZZNS1_14partition_implILS5_2ELb0ES3_jN6thrust23THRUST_200600_302600_NS6detail15normal_iteratorINSA_7pointerIiNSA_11hip_rocprim3tagENSA_11use_defaultESG_EEEEPS6_NSA_18transform_iteratorI7is_evenIiENSC_INSA_10device_ptrIiEEEESG_SG_EENS0_5tupleIJPiSJ_EEENSR_IJSJ_SJ_EEES6_PlJS6_EEE10hipError_tPvRmT3_T4_T5_T6_T7_T9_mT8_P12ihipStream_tbDpT10_ENKUlT_T0_E_clISt17integral_constantIbLb1EES1F_EEDaS1A_S1B_EUlS1A_E_NS1_11comp_targetILNS1_3genE4ELNS1_11target_archE910ELNS1_3gpuE8ELNS1_3repE0EEENS1_30default_config_static_selectorELNS0_4arch9wavefront6targetE1EEEvT1_,@function
_ZN7rocprim17ROCPRIM_400000_NS6detail17trampoline_kernelINS0_14default_configENS1_25partition_config_selectorILNS1_17partition_subalgoE2EiNS0_10empty_typeEbEEZZNS1_14partition_implILS5_2ELb0ES3_jN6thrust23THRUST_200600_302600_NS6detail15normal_iteratorINSA_7pointerIiNSA_11hip_rocprim3tagENSA_11use_defaultESG_EEEEPS6_NSA_18transform_iteratorI7is_evenIiENSC_INSA_10device_ptrIiEEEESG_SG_EENS0_5tupleIJPiSJ_EEENSR_IJSJ_SJ_EEES6_PlJS6_EEE10hipError_tPvRmT3_T4_T5_T6_T7_T9_mT8_P12ihipStream_tbDpT10_ENKUlT_T0_E_clISt17integral_constantIbLb1EES1F_EEDaS1A_S1B_EUlS1A_E_NS1_11comp_targetILNS1_3genE4ELNS1_11target_archE910ELNS1_3gpuE8ELNS1_3repE0EEENS1_30default_config_static_selectorELNS0_4arch9wavefront6targetE1EEEvT1_: ; @_ZN7rocprim17ROCPRIM_400000_NS6detail17trampoline_kernelINS0_14default_configENS1_25partition_config_selectorILNS1_17partition_subalgoE2EiNS0_10empty_typeEbEEZZNS1_14partition_implILS5_2ELb0ES3_jN6thrust23THRUST_200600_302600_NS6detail15normal_iteratorINSA_7pointerIiNSA_11hip_rocprim3tagENSA_11use_defaultESG_EEEEPS6_NSA_18transform_iteratorI7is_evenIiENSC_INSA_10device_ptrIiEEEESG_SG_EENS0_5tupleIJPiSJ_EEENSR_IJSJ_SJ_EEES6_PlJS6_EEE10hipError_tPvRmT3_T4_T5_T6_T7_T9_mT8_P12ihipStream_tbDpT10_ENKUlT_T0_E_clISt17integral_constantIbLb1EES1F_EEDaS1A_S1B_EUlS1A_E_NS1_11comp_targetILNS1_3genE4ELNS1_11target_archE910ELNS1_3gpuE8ELNS1_3repE0EEENS1_30default_config_static_selectorELNS0_4arch9wavefront6targetE1EEEvT1_
; %bb.0:
	s_load_dwordx2 s[6:7], s[4:5], 0x20
	s_load_dwordx2 s[24:25], s[4:5], 0x30
	;; [unrolled: 1-line block ×3, first 2 shown]
	s_load_dwordx4 s[20:23], s[4:5], 0x50
	s_load_dwordx2 s[34:35], s[4:5], 0x70
	v_cmp_eq_u32_e64 s[0:1], 0, v0
	s_and_saveexec_b64 s[2:3], s[0:1]
	s_cbranch_execz .LBB233_4
; %bb.1:
	s_mov_b64 s[10:11], exec
	v_mbcnt_lo_u32_b32 v1, s10, 0
	v_mbcnt_hi_u32_b32 v1, s11, v1
	v_cmp_eq_u32_e32 vcc, 0, v1
                                        ; implicit-def: $vgpr2
	s_and_saveexec_b64 s[8:9], vcc
	s_cbranch_execz .LBB233_3
; %bb.2:
	s_load_dwordx2 s[12:13], s[4:5], 0x80
	s_bcnt1_i32_b64 s10, s[10:11]
	v_mov_b32_e32 v2, 0
	v_mov_b32_e32 v3, s10
	s_waitcnt lgkmcnt(0)
	global_atomic_add v2, v2, v3, s[12:13] glc
.LBB233_3:
	s_or_b64 exec, exec, s[8:9]
	s_waitcnt vmcnt(0)
	v_readfirstlane_b32 s8, v2
	v_add_u32_e32 v1, s8, v1
	v_mov_b32_e32 v2, 0
	ds_write_b32 v2, v1
.LBB233_4:
	s_or_b64 exec, exec, s[2:3]
	v_mov_b32_e32 v1, 0
	s_load_dwordx4 s[16:19], s[4:5], 0x8
	s_load_dword s2, s[4:5], 0x78
	s_waitcnt lgkmcnt(0)
	s_barrier
	ds_read_b32 v2, v1
	s_waitcnt lgkmcnt(0)
	s_barrier
	global_load_dwordx2 v[12:13], v1, s[22:23]
	s_lshl_b64 s[4:5], s[18:19], 2
	s_add_u32 s10, s16, s4
	s_addc_u32 s11, s17, s5
	s_add_i32 s8, s2, -1
	s_mulk_i32 s2, 0xa00
	s_add_i32 s3, s2, s18
	s_sub_i32 s33, s26, s3
	s_addk_i32 s33, 0xa00
	s_add_u32 s2, s18, s2
	v_readfirstlane_b32 s42, v2
	s_addc_u32 s3, s19, 0
	s_cmp_eq_u32 s42, s8
	v_pk_mov_b32 v[2:3], s[26:27], s[26:27] op_sel:[0,1]
	s_cselect_b64 s[22:23], -1, 0
	s_cmp_lg_u32 s42, s8
	s_mul_i32 s28, s42, 0xa00
	s_mov_b32 s29, 0
	v_cmp_lt_u64_e32 vcc, s[2:3], v[2:3]
	s_cselect_b64 s[2:3], -1, 0
	s_or_b64 s[30:31], vcc, s[2:3]
	s_lshl_b64 s[8:9], s[28:29], 2
	s_add_u32 s12, s10, s8
	s_addc_u32 s13, s11, s9
	s_mov_b64 s[2:3], -1
	s_and_b64 vcc, exec, s[30:31]
	v_lshlrev_b32_e32 v1, 2, v0
	s_cbranch_vccz .LBB233_6
; %bb.5:
	v_mov_b32_e32 v3, s13
	v_add_co_u32_e32 v2, vcc, s12, v1
	v_addc_co_u32_e32 v3, vcc, 0, v3, vcc
	v_add_co_u32_e32 v4, vcc, 0x1000, v2
	v_addc_co_u32_e32 v5, vcc, 0, v3, vcc
	flat_load_dword v6, v[2:3]
	flat_load_dword v7, v[2:3] offset:1024
	flat_load_dword v8, v[2:3] offset:2048
	;; [unrolled: 1-line block ×3, first 2 shown]
	flat_load_dword v10, v[4:5]
	flat_load_dword v11, v[4:5] offset:1024
	flat_load_dword v14, v[4:5] offset:2048
	;; [unrolled: 1-line block ×3, first 2 shown]
	v_add_co_u32_e32 v2, vcc, 0x2000, v2
	v_addc_co_u32_e32 v3, vcc, 0, v3, vcc
	flat_load_dword v4, v[2:3]
	flat_load_dword v5, v[2:3] offset:1024
	s_mov_b64 s[2:3], 0
	s_waitcnt vmcnt(0) lgkmcnt(0)
	ds_write2st64_b32 v1, v6, v7 offset1:4
	ds_write2st64_b32 v1, v8, v9 offset0:8 offset1:12
	ds_write2st64_b32 v1, v10, v11 offset0:16 offset1:20
	;; [unrolled: 1-line block ×4, first 2 shown]
	s_waitcnt lgkmcnt(0)
	s_barrier
.LBB233_6:
	s_andn2_b64 vcc, exec, s[2:3]
	v_cmp_gt_u32_e64 s[2:3], s33, v0
	s_cbranch_vccnz .LBB233_28
; %bb.7:
                                        ; implicit-def: $vgpr2_vgpr3_vgpr4_vgpr5_vgpr6_vgpr7_vgpr8_vgpr9_vgpr10_vgpr11
	s_and_saveexec_b64 s[10:11], s[2:3]
	s_cbranch_execz .LBB233_9
; %bb.8:
	v_mov_b32_e32 v3, s13
	v_add_co_u32_e32 v2, vcc, s12, v1
	v_addc_co_u32_e32 v3, vcc, 0, v3, vcc
	flat_load_dword v2, v[2:3]
.LBB233_9:
	s_or_b64 exec, exec, s[10:11]
	v_or_b32_e32 v14, 0x100, v0
	v_cmp_gt_u32_e32 vcc, s33, v14
	s_and_saveexec_b64 s[2:3], vcc
	s_cbranch_execz .LBB233_11
; %bb.10:
	v_mov_b32_e32 v3, s13
	v_add_co_u32_e32 v14, vcc, s12, v1
	v_addc_co_u32_e32 v15, vcc, 0, v3, vcc
	flat_load_dword v3, v[14:15] offset:1024
.LBB233_11:
	s_or_b64 exec, exec, s[2:3]
	v_or_b32_e32 v14, 0x200, v0
	v_cmp_gt_u32_e32 vcc, s33, v14
	s_and_saveexec_b64 s[2:3], vcc
	s_cbranch_execz .LBB233_13
; %bb.12:
	v_mov_b32_e32 v4, s13
	v_add_co_u32_e32 v14, vcc, s12, v1
	v_addc_co_u32_e32 v15, vcc, 0, v4, vcc
	flat_load_dword v4, v[14:15] offset:2048
.LBB233_13:
	;; [unrolled: 11-line block ×3, first 2 shown]
	s_or_b64 exec, exec, s[2:3]
	v_or_b32_e32 v14, 0x400, v0
	v_cmp_gt_u32_e32 vcc, s33, v14
	s_and_saveexec_b64 s[2:3], vcc
	s_cbranch_execz .LBB233_17
; %bb.16:
	v_lshlrev_b32_e32 v6, 2, v14
	v_mov_b32_e32 v15, s13
	v_add_co_u32_e32 v14, vcc, s12, v6
	v_addc_co_u32_e32 v15, vcc, 0, v15, vcc
	flat_load_dword v6, v[14:15]
.LBB233_17:
	s_or_b64 exec, exec, s[2:3]
	v_or_b32_e32 v14, 0x500, v0
	v_cmp_gt_u32_e32 vcc, s33, v14
	s_and_saveexec_b64 s[2:3], vcc
	s_cbranch_execz .LBB233_19
; %bb.18:
	v_lshlrev_b32_e32 v7, 2, v14
	v_mov_b32_e32 v15, s13
	v_add_co_u32_e32 v14, vcc, s12, v7
	v_addc_co_u32_e32 v15, vcc, 0, v15, vcc
	flat_load_dword v7, v[14:15]
.LBB233_19:
	;; [unrolled: 12-line block ×6, first 2 shown]
	s_or_b64 exec, exec, s[2:3]
	s_waitcnt vmcnt(0) lgkmcnt(0)
	ds_write2st64_b32 v1, v2, v3 offset1:4
	ds_write2st64_b32 v1, v4, v5 offset0:8 offset1:12
	ds_write2st64_b32 v1, v6, v7 offset0:16 offset1:20
	;; [unrolled: 1-line block ×4, first 2 shown]
	s_waitcnt lgkmcnt(0)
	s_barrier
.LBB233_28:
	v_mul_u32_u24_e32 v26, 10, v0
	v_lshlrev_b32_e32 v10, 2, v26
	ds_read2_b64 v[6:9], v10 offset1:1
	ds_read2_b64 v[2:5], v10 offset0:2 offset1:3
	ds_read_b64 v[14:15], v10 offset:32
	s_add_u32 s2, s6, s4
	s_addc_u32 s3, s7, s5
	s_add_u32 s2, s2, s8
	s_addc_u32 s3, s3, s9
	s_mov_b64 s[4:5], -1
	s_and_b64 vcc, exec, s[30:31]
	s_waitcnt lgkmcnt(0)
	s_barrier
	s_cbranch_vccz .LBB233_30
; %bb.29:
	v_mov_b32_e32 v11, s3
	v_add_co_u32_e32 v18, vcc, s2, v1
	v_addc_co_u32_e32 v11, vcc, 0, v11, vcc
	s_movk_i32 s4, 0x1000
	v_add_co_u32_e32 v16, vcc, s4, v18
	global_load_dword v20, v1, s[2:3]
	global_load_dword v21, v1, s[2:3] offset:1024
	global_load_dword v22, v1, s[2:3] offset:2048
	;; [unrolled: 1-line block ×3, first 2 shown]
	v_addc_co_u32_e32 v17, vcc, 0, v11, vcc
	s_movk_i32 s4, 0x2000
	v_add_co_u32_e32 v18, vcc, s4, v18
	v_addc_co_u32_e32 v19, vcc, 0, v11, vcc
	global_load_dword v11, v[16:17], off offset:1024
	global_load_dword v24, v[16:17], off offset:2048
	global_load_dword v25, v[18:19], off offset:-4096
	global_load_dword v27, v[18:19], off
	global_load_dword v28, v[18:19], off offset:1024
	global_load_dword v29, v[16:17], off offset:3072
	s_mov_b64 s[4:5], 0
	s_waitcnt vmcnt(9)
	v_xor_b32_e32 v16, -1, v20
	s_waitcnt vmcnt(8)
	v_xor_b32_e32 v17, -1, v21
	;; [unrolled: 2-line block ×4, first 2 shown]
	v_and_b32_e32 v16, 1, v16
	v_and_b32_e32 v17, 1, v17
	;; [unrolled: 1-line block ×4, first 2 shown]
	s_waitcnt vmcnt(5)
	v_xor_b32_e32 v11, -1, v11
	ds_write_b8 v0, v16
	ds_write_b8 v0, v17 offset:256
	ds_write_b8 v0, v18 offset:512
	;; [unrolled: 1-line block ×3, first 2 shown]
	s_waitcnt vmcnt(4)
	v_xor_b32_e32 v16, -1, v24
	s_waitcnt vmcnt(3)
	v_xor_b32_e32 v17, -1, v25
	v_and_b32_e32 v11, 1, v11
	s_waitcnt vmcnt(0)
	v_xor_b32_e32 v18, -1, v29
	v_xor_b32_e32 v19, -1, v27
	;; [unrolled: 1-line block ×3, first 2 shown]
	v_and_b32_e32 v16, 1, v16
	v_and_b32_e32 v17, 1, v17
	;; [unrolled: 1-line block ×5, first 2 shown]
	ds_write_b8 v0, v11 offset:1280
	ds_write_b8 v0, v16 offset:1536
	;; [unrolled: 1-line block ×6, first 2 shown]
	s_waitcnt lgkmcnt(0)
	s_barrier
.LBB233_30:
	s_andn2_b64 vcc, exec, s[4:5]
	s_cbranch_vccnz .LBB233_52
; %bb.31:
	v_cmp_gt_u32_e32 vcc, s33, v0
	v_mov_b32_e32 v11, 0
	v_mov_b32_e32 v16, 0
	s_and_saveexec_b64 s[4:5], vcc
	s_cbranch_execz .LBB233_33
; %bb.32:
	global_load_dword v16, v1, s[2:3]
	s_waitcnt vmcnt(0)
	v_xor_b32_e32 v16, -1, v16
	v_and_b32_e32 v16, 1, v16
.LBB233_33:
	s_or_b64 exec, exec, s[4:5]
	v_or_b32_e32 v17, 0x100, v0
	v_cmp_gt_u32_e32 vcc, s33, v17
	s_and_saveexec_b64 s[4:5], vcc
	s_cbranch_execz .LBB233_35
; %bb.34:
	global_load_dword v11, v1, s[2:3] offset:1024
	s_waitcnt vmcnt(0)
	v_xor_b32_e32 v11, -1, v11
	v_and_b32_e32 v11, 1, v11
.LBB233_35:
	s_or_b64 exec, exec, s[4:5]
	v_or_b32_e32 v17, 0x200, v0
	v_cmp_gt_u32_e32 vcc, s33, v17
	v_mov_b32_e32 v17, 0
	v_mov_b32_e32 v18, 0
	s_and_saveexec_b64 s[4:5], vcc
	s_cbranch_execz .LBB233_37
; %bb.36:
	global_load_dword v18, v1, s[2:3] offset:2048
	s_waitcnt vmcnt(0)
	v_xor_b32_e32 v18, -1, v18
	v_and_b32_e32 v18, 1, v18
.LBB233_37:
	s_or_b64 exec, exec, s[4:5]
	v_or_b32_e32 v19, 0x300, v0
	v_cmp_gt_u32_e32 vcc, s33, v19
	s_and_saveexec_b64 s[4:5], vcc
	s_cbranch_execz .LBB233_39
; %bb.38:
	global_load_dword v17, v1, s[2:3] offset:3072
	s_waitcnt vmcnt(0)
	v_xor_b32_e32 v17, -1, v17
	v_and_b32_e32 v17, 1, v17
.LBB233_39:
	s_or_b64 exec, exec, s[4:5]
	v_or_b32_e32 v21, 0x400, v0
	v_cmp_gt_u32_e32 vcc, s33, v21
	v_mov_b32_e32 v19, 0
	v_mov_b32_e32 v20, 0
	s_and_saveexec_b64 s[4:5], vcc
	s_cbranch_execz .LBB233_41
; %bb.40:
	v_lshlrev_b32_e32 v20, 2, v21
	global_load_dword v20, v20, s[2:3]
	s_waitcnt vmcnt(0)
	v_xor_b32_e32 v20, -1, v20
	v_and_b32_e32 v20, 1, v20
.LBB233_41:
	s_or_b64 exec, exec, s[4:5]
	v_or_b32_e32 v21, 0x500, v0
	v_cmp_gt_u32_e32 vcc, s33, v21
	s_and_saveexec_b64 s[4:5], vcc
	s_cbranch_execz .LBB233_43
; %bb.42:
	v_lshlrev_b32_e32 v19, 2, v21
	global_load_dword v19, v19, s[2:3]
	s_waitcnt vmcnt(0)
	v_xor_b32_e32 v19, -1, v19
	v_and_b32_e32 v19, 1, v19
.LBB233_43:
	s_or_b64 exec, exec, s[4:5]
	v_or_b32_e32 v23, 0x600, v0
	v_cmp_gt_u32_e32 vcc, s33, v23
	v_mov_b32_e32 v21, 0
	v_mov_b32_e32 v22, 0
	s_and_saveexec_b64 s[4:5], vcc
	s_cbranch_execz .LBB233_45
; %bb.44:
	v_lshlrev_b32_e32 v22, 2, v23
	global_load_dword v22, v22, s[2:3]
	s_waitcnt vmcnt(0)
	v_xor_b32_e32 v22, -1, v22
	v_and_b32_e32 v22, 1, v22
.LBB233_45:
	s_or_b64 exec, exec, s[4:5]
	v_or_b32_e32 v23, 0x700, v0
	v_cmp_gt_u32_e32 vcc, s33, v23
	s_and_saveexec_b64 s[4:5], vcc
	s_cbranch_execz .LBB233_47
; %bb.46:
	v_lshlrev_b32_e32 v21, 2, v23
	global_load_dword v21, v21, s[2:3]
	s_waitcnt vmcnt(0)
	v_xor_b32_e32 v21, -1, v21
	v_and_b32_e32 v21, 1, v21
.LBB233_47:
	;; [unrolled: 26-line block ×3, first 2 shown]
	s_or_b64 exec, exec, s[4:5]
	ds_write_b8 v0, v16
	ds_write_b8 v0, v11 offset:256
	ds_write_b8 v0, v18 offset:512
	;; [unrolled: 1-line block ×9, first 2 shown]
	s_waitcnt lgkmcnt(0)
	s_barrier
.LBB233_52:
	s_movk_i32 s2, 0xffe2
	v_mad_i32_i24 v37, v0, s2, v10
	ds_read_b64 v[16:17], v37
	ds_read_u16 v28, v37 offset:8
	s_cmp_lg_u32 s42, 0
	v_lshrrev_b32_e32 v38, 6, v0
	s_waitcnt lgkmcnt(0)
	v_lshrrev_b32_e32 v30, 24, v16
	v_bfe_u32 v35, v16, 16, 8
	v_add_u32_sdwa v10, v16, v16 dst_sel:DWORD dst_unused:UNUSED_PAD src0_sel:BYTE_1 src1_sel:BYTE_0
	v_and_b32_e32 v32, 0xff, v17
	v_bfe_u32 v33, v17, 8, 8
	v_add3_u32 v10, v10, v35, v30
	v_lshrrev_b32_e32 v29, 24, v17
	v_bfe_u32 v34, v17, 16, 8
	v_add3_u32 v10, v10, v32, v33
	v_lshrrev_b16_e32 v27, 8, v28
	v_and_b32_e32 v31, 0xff, v28
	v_add3_u32 v10, v10, v34, v29
	v_add3_u32 v39, v10, v31, v27
	v_mbcnt_lo_u32_b32 v10, -1, 0
	v_mbcnt_hi_u32_b32 v36, -1, v10
	v_and_b32_e32 v10, 15, v36
	v_cmp_eq_u32_e64 s[14:15], 0, v10
	v_cmp_lt_u32_e64 s[12:13], 1, v10
	v_cmp_lt_u32_e64 s[10:11], 3, v10
	;; [unrolled: 1-line block ×3, first 2 shown]
	v_and_b32_e32 v10, 16, v36
	v_cmp_eq_u32_e64 s[6:7], 0, v10
	v_or_b32_e32 v10, 63, v0
	v_cmp_lt_u32_e64 s[2:3], 31, v36
	v_cmp_eq_u32_e64 s[4:5], v10, v0
	s_barrier
	s_cbranch_scc0 .LBB233_83
; %bb.53:
	v_mov_b32_dpp v10, v39 row_shr:1 row_mask:0xf bank_mask:0xf
	v_cndmask_b32_e64 v10, v10, 0, s[14:15]
	v_add_u32_e32 v10, v10, v39
	s_nop 1
	v_mov_b32_dpp v11, v10 row_shr:2 row_mask:0xf bank_mask:0xf
	v_cndmask_b32_e64 v11, 0, v11, s[12:13]
	v_add_u32_e32 v10, v10, v11
	s_nop 1
	;; [unrolled: 4-line block ×4, first 2 shown]
	v_mov_b32_dpp v11, v10 row_bcast:15 row_mask:0xf bank_mask:0xf
	v_cndmask_b32_e64 v11, v11, 0, s[6:7]
	v_add_u32_e32 v10, v10, v11
	s_nop 1
	v_mov_b32_dpp v11, v10 row_bcast:31 row_mask:0xf bank_mask:0xf
	v_cndmask_b32_e64 v11, 0, v11, s[2:3]
	v_add_u32_e32 v10, v10, v11
	s_and_saveexec_b64 s[16:17], s[4:5]
	s_cbranch_execz .LBB233_55
; %bb.54:
	v_lshlrev_b32_e32 v11, 2, v38
	ds_write_b32 v11, v10
.LBB233_55:
	s_or_b64 exec, exec, s[16:17]
	v_cmp_gt_u32_e32 vcc, 4, v0
	s_waitcnt lgkmcnt(0)
	s_barrier
	s_and_saveexec_b64 s[16:17], vcc
	s_cbranch_execz .LBB233_57
; %bb.56:
	ds_read_b32 v11, v1
	v_and_b32_e32 v18, 3, v36
	v_cmp_ne_u32_e32 vcc, 0, v18
	s_waitcnt lgkmcnt(0)
	v_mov_b32_dpp v19, v11 row_shr:1 row_mask:0xf bank_mask:0xf
	v_cndmask_b32_e32 v19, 0, v19, vcc
	v_add_u32_e32 v11, v19, v11
	v_cmp_lt_u32_e32 vcc, 1, v18
	s_nop 0
	v_mov_b32_dpp v19, v11 row_shr:2 row_mask:0xf bank_mask:0xf
	v_cndmask_b32_e32 v18, 0, v19, vcc
	v_add_u32_e32 v11, v11, v18
	ds_write_b32 v1, v11
.LBB233_57:
	s_or_b64 exec, exec, s[16:17]
	v_cmp_gt_u32_e32 vcc, 64, v0
	v_cmp_lt_u32_e64 s[16:17], 63, v0
	s_waitcnt lgkmcnt(0)
	s_barrier
	s_waitcnt lgkmcnt(0)
                                        ; implicit-def: $vgpr40
	s_and_saveexec_b64 s[36:37], s[16:17]
	s_cbranch_execz .LBB233_59
; %bb.58:
	v_lshl_add_u32 v11, v38, 2, -4
	ds_read_b32 v40, v11
	s_waitcnt lgkmcnt(0)
	v_add_u32_e32 v10, v40, v10
.LBB233_59:
	s_or_b64 exec, exec, s[36:37]
	v_add_u32_e32 v11, -1, v36
	v_and_b32_e32 v18, 64, v36
	v_cmp_lt_i32_e64 s[16:17], v11, v18
	v_cndmask_b32_e64 v11, v11, v36, s[16:17]
	v_lshlrev_b32_e32 v11, 2, v11
	ds_bpermute_b32 v41, v11, v10
	v_cmp_eq_u32_e64 s[16:17], 0, v36
	s_and_saveexec_b64 s[36:37], vcc
	s_cbranch_execz .LBB233_82
; %bb.60:
	v_mov_b32_e32 v25, 0
	ds_read_b32 v10, v25 offset:12
	s_and_saveexec_b64 s[38:39], s[16:17]
	s_cbranch_execz .LBB233_62
; %bb.61:
	s_add_i32 s40, s42, 64
	s_mov_b32 s41, 0
	s_lshl_b64 s[40:41], s[40:41], 3
	s_add_u32 s40, s34, s40
	v_mov_b32_e32 v11, 1
	s_addc_u32 s41, s35, s41
	s_waitcnt lgkmcnt(0)
	global_store_dwordx2 v25, v[10:11], s[40:41]
.LBB233_62:
	s_or_b64 exec, exec, s[38:39]
	v_xad_u32 v18, v36, -1, s42
	v_add_u32_e32 v24, 64, v18
	v_lshlrev_b64 v[20:21], 3, v[24:25]
	v_mov_b32_e32 v11, s35
	v_add_co_u32_e32 v20, vcc, s34, v20
	v_addc_co_u32_e32 v21, vcc, v11, v21, vcc
	global_load_dwordx2 v[22:23], v[20:21], off glc
	s_waitcnt vmcnt(0)
	v_cmp_eq_u16_sdwa s[40:41], v23, v25 src0_sel:BYTE_0 src1_sel:DWORD
	s_and_saveexec_b64 s[38:39], s[40:41]
	s_cbranch_execz .LBB233_68
; %bb.63:
	s_mov_b32 s29, 1
	s_mov_b64 s[40:41], 0
	v_mov_b32_e32 v11, 0
.LBB233_64:                             ; =>This Loop Header: Depth=1
                                        ;     Child Loop BB233_65 Depth 2
	s_max_u32 s43, s29, 1
.LBB233_65:                             ;   Parent Loop BB233_64 Depth=1
                                        ; =>  This Inner Loop Header: Depth=2
	s_add_i32 s43, s43, -1
	s_cmp_eq_u32 s43, 0
	s_sleep 1
	s_cbranch_scc0 .LBB233_65
; %bb.66:                               ;   in Loop: Header=BB233_64 Depth=1
	global_load_dwordx2 v[22:23], v[20:21], off glc
	s_cmp_lt_u32 s29, 32
	s_cselect_b64 s[44:45], -1, 0
	s_cmp_lg_u64 s[44:45], 0
	s_addc_u32 s29, s29, 0
	s_waitcnt vmcnt(0)
	v_cmp_ne_u16_sdwa s[44:45], v23, v11 src0_sel:BYTE_0 src1_sel:DWORD
	s_or_b64 s[40:41], s[44:45], s[40:41]
	s_andn2_b64 exec, exec, s[40:41]
	s_cbranch_execnz .LBB233_64
; %bb.67:
	s_or_b64 exec, exec, s[40:41]
.LBB233_68:
	s_or_b64 exec, exec, s[38:39]
	v_and_b32_e32 v43, 63, v36
	v_mov_b32_e32 v42, 2
	v_cmp_ne_u32_e32 vcc, 63, v43
	v_cmp_eq_u16_sdwa s[38:39], v23, v42 src0_sel:BYTE_0 src1_sel:DWORD
	v_lshlrev_b64 v[20:21], v36, -1
	v_addc_co_u32_e32 v24, vcc, 0, v36, vcc
	v_and_b32_e32 v11, s39, v21
	v_lshlrev_b32_e32 v44, 2, v24
	v_or_b32_e32 v11, 0x80000000, v11
	ds_bpermute_b32 v24, v44, v22
	v_and_b32_e32 v19, s38, v20
	v_ffbl_b32_e32 v11, v11
	v_add_u32_e32 v11, 32, v11
	v_ffbl_b32_e32 v19, v19
	v_min_u32_e32 v11, v19, v11
	v_cmp_lt_u32_e32 vcc, v43, v11
	s_waitcnt lgkmcnt(0)
	v_cndmask_b32_e32 v19, 0, v24, vcc
	v_cmp_gt_u32_e32 vcc, 62, v43
	v_add_u32_e32 v19, v19, v22
	v_cndmask_b32_e64 v22, 0, 1, vcc
	v_lshlrev_b32_e32 v22, 1, v22
	v_add_lshl_u32 v45, v22, v36, 2
	ds_bpermute_b32 v22, v45, v19
	v_add_u32_e32 v46, 2, v43
	v_cmp_le_u32_e32 vcc, v46, v11
	v_add_u32_e32 v48, 4, v43
	v_add_u32_e32 v50, 8, v43
	s_waitcnt lgkmcnt(0)
	v_cndmask_b32_e32 v22, 0, v22, vcc
	v_cmp_gt_u32_e32 vcc, 60, v43
	v_add_u32_e32 v19, v19, v22
	v_cndmask_b32_e64 v22, 0, 1, vcc
	v_lshlrev_b32_e32 v22, 2, v22
	v_add_lshl_u32 v47, v22, v36, 2
	ds_bpermute_b32 v22, v47, v19
	v_cmp_le_u32_e32 vcc, v48, v11
	v_add_u32_e32 v52, 16, v43
	v_add_u32_e32 v54, 32, v43
	s_waitcnt lgkmcnt(0)
	v_cndmask_b32_e32 v22, 0, v22, vcc
	v_cmp_gt_u32_e32 vcc, 56, v43
	v_add_u32_e32 v19, v19, v22
	v_cndmask_b32_e64 v22, 0, 1, vcc
	v_lshlrev_b32_e32 v22, 3, v22
	v_add_lshl_u32 v49, v22, v36, 2
	ds_bpermute_b32 v22, v49, v19
	v_cmp_le_u32_e32 vcc, v50, v11
	s_waitcnt lgkmcnt(0)
	v_cndmask_b32_e32 v22, 0, v22, vcc
	v_cmp_gt_u32_e32 vcc, 48, v43
	v_add_u32_e32 v19, v19, v22
	v_cndmask_b32_e64 v22, 0, 1, vcc
	v_lshlrev_b32_e32 v22, 4, v22
	v_add_lshl_u32 v51, v22, v36, 2
	ds_bpermute_b32 v22, v51, v19
	v_cmp_le_u32_e32 vcc, v52, v11
	;; [unrolled: 9-line block ×3, first 2 shown]
	s_waitcnt lgkmcnt(0)
	v_cndmask_b32_e32 v11, 0, v22, vcc
	v_add_u32_e32 v22, v19, v11
	v_mov_b32_e32 v19, 0
	s_branch .LBB233_70
.LBB233_69:                             ;   in Loop: Header=BB233_70 Depth=1
	s_or_b64 exec, exec, s[38:39]
	v_cmp_eq_u16_sdwa s[38:39], v23, v42 src0_sel:BYTE_0 src1_sel:DWORD
	v_and_b32_e32 v24, s39, v21
	v_or_b32_e32 v24, 0x80000000, v24
	ds_bpermute_b32 v55, v44, v22
	v_and_b32_e32 v25, s38, v20
	v_ffbl_b32_e32 v24, v24
	v_add_u32_e32 v24, 32, v24
	v_ffbl_b32_e32 v25, v25
	v_min_u32_e32 v24, v25, v24
	v_cmp_lt_u32_e32 vcc, v43, v24
	s_waitcnt lgkmcnt(0)
	v_cndmask_b32_e32 v25, 0, v55, vcc
	v_add_u32_e32 v22, v25, v22
	ds_bpermute_b32 v25, v45, v22
	v_cmp_le_u32_e32 vcc, v46, v24
	v_subrev_u32_e32 v18, 64, v18
	s_waitcnt lgkmcnt(0)
	v_cndmask_b32_e32 v25, 0, v25, vcc
	v_add_u32_e32 v22, v22, v25
	ds_bpermute_b32 v25, v47, v22
	v_cmp_le_u32_e32 vcc, v48, v24
	s_waitcnt lgkmcnt(0)
	v_cndmask_b32_e32 v25, 0, v25, vcc
	v_add_u32_e32 v22, v22, v25
	ds_bpermute_b32 v25, v49, v22
	v_cmp_le_u32_e32 vcc, v50, v24
	;; [unrolled: 5-line block ×4, first 2 shown]
	s_waitcnt lgkmcnt(0)
	v_cndmask_b32_e32 v24, 0, v25, vcc
	v_add3_u32 v22, v24, v11, v22
.LBB233_70:                             ; =>This Loop Header: Depth=1
                                        ;     Child Loop BB233_73 Depth 2
                                        ;       Child Loop BB233_74 Depth 3
	v_cmp_ne_u16_sdwa s[38:39], v23, v42 src0_sel:BYTE_0 src1_sel:DWORD
	v_cndmask_b32_e64 v11, 0, 1, s[38:39]
	;;#ASMSTART
	;;#ASMEND
	v_cmp_ne_u32_e32 vcc, 0, v11
	s_cmp_lg_u64 vcc, exec
	v_mov_b32_e32 v11, v22
	s_cbranch_scc1 .LBB233_77
; %bb.71:                               ;   in Loop: Header=BB233_70 Depth=1
	v_lshlrev_b64 v[22:23], 3, v[18:19]
	v_mov_b32_e32 v25, s35
	v_add_co_u32_e32 v24, vcc, s34, v22
	v_addc_co_u32_e32 v25, vcc, v25, v23, vcc
	global_load_dwordx2 v[22:23], v[24:25], off glc
	s_waitcnt vmcnt(0)
	v_cmp_eq_u16_sdwa s[40:41], v23, v19 src0_sel:BYTE_0 src1_sel:DWORD
	s_and_saveexec_b64 s[38:39], s[40:41]
	s_cbranch_execz .LBB233_69
; %bb.72:                               ;   in Loop: Header=BB233_70 Depth=1
	s_mov_b32 s29, 1
	s_mov_b64 s[40:41], 0
.LBB233_73:                             ;   Parent Loop BB233_70 Depth=1
                                        ; =>  This Loop Header: Depth=2
                                        ;       Child Loop BB233_74 Depth 3
	s_max_u32 s43, s29, 1
.LBB233_74:                             ;   Parent Loop BB233_70 Depth=1
                                        ;     Parent Loop BB233_73 Depth=2
                                        ; =>    This Inner Loop Header: Depth=3
	s_add_i32 s43, s43, -1
	s_cmp_eq_u32 s43, 0
	s_sleep 1
	s_cbranch_scc0 .LBB233_74
; %bb.75:                               ;   in Loop: Header=BB233_73 Depth=2
	global_load_dwordx2 v[22:23], v[24:25], off glc
	s_cmp_lt_u32 s29, 32
	s_cselect_b64 s[44:45], -1, 0
	s_cmp_lg_u64 s[44:45], 0
	s_addc_u32 s29, s29, 0
	s_waitcnt vmcnt(0)
	v_cmp_ne_u16_sdwa s[44:45], v23, v19 src0_sel:BYTE_0 src1_sel:DWORD
	s_or_b64 s[40:41], s[44:45], s[40:41]
	s_andn2_b64 exec, exec, s[40:41]
	s_cbranch_execnz .LBB233_73
; %bb.76:                               ;   in Loop: Header=BB233_70 Depth=1
	s_or_b64 exec, exec, s[40:41]
	s_branch .LBB233_69
.LBB233_77:                             ;   in Loop: Header=BB233_70 Depth=1
                                        ; implicit-def: $vgpr22
                                        ; implicit-def: $vgpr23
	s_cbranch_execz .LBB233_70
; %bb.78:
	s_and_saveexec_b64 s[38:39], s[16:17]
	s_cbranch_execz .LBB233_80
; %bb.79:
	s_add_i32 s40, s42, 64
	s_mov_b32 s41, 0
	s_lshl_b64 s[40:41], s[40:41], 3
	s_add_u32 s40, s34, s40
	v_add_u32_e32 v18, v11, v10
	v_mov_b32_e32 v19, 2
	s_addc_u32 s41, s35, s41
	v_mov_b32_e32 v20, 0
	global_store_dwordx2 v20, v[18:19], s[40:41]
	ds_write_b64 v20, v[10:11] offset:10240
.LBB233_80:
	s_or_b64 exec, exec, s[38:39]
	s_and_b64 exec, exec, s[0:1]
	s_cbranch_execz .LBB233_82
; %bb.81:
	v_mov_b32_e32 v10, 0
	ds_write_b32 v10, v11 offset:12
.LBB233_82:
	s_or_b64 exec, exec, s[36:37]
	v_mov_b32_e32 v10, 0
	s_waitcnt lgkmcnt(0)
	s_barrier
	ds_read_b32 v11, v10 offset:12
	v_cndmask_b32_e64 v18, v41, v40, s[16:17]
	v_cndmask_b32_e64 v18, v18, 0, s[0:1]
	s_waitcnt lgkmcnt(0)
	s_barrier
	v_add_u32_e32 v41, v11, v18
	v_add_u32_sdwa v40, v41, v16 dst_sel:DWORD dst_unused:UNUSED_PAD src0_sel:DWORD src1_sel:BYTE_0
	v_add_u32_sdwa v25, v40, v16 dst_sel:DWORD dst_unused:UNUSED_PAD src0_sel:DWORD src1_sel:BYTE_1
	v_add_u32_e32 v24, v25, v35
	v_add_u32_e32 v23, v24, v30
	;; [unrolled: 1-line block ×3, first 2 shown]
	ds_read_b64 v[10:11], v10 offset:10240
	v_add_u32_e32 v21, v22, v33
	v_add_u32_e32 v20, v21, v34
	;; [unrolled: 1-line block ×4, first 2 shown]
	s_branch .LBB233_93
.LBB233_83:
                                        ; implicit-def: $vgpr11
                                        ; implicit-def: $vgpr18
                                        ; implicit-def: $vgpr19
                                        ; implicit-def: $vgpr20
                                        ; implicit-def: $vgpr21
                                        ; implicit-def: $vgpr22
                                        ; implicit-def: $vgpr23
                                        ; implicit-def: $vgpr24
                                        ; implicit-def: $vgpr25
                                        ; implicit-def: $vgpr40
                                        ; implicit-def: $vgpr41
	s_cbranch_execz .LBB233_93
; %bb.84:
	s_waitcnt lgkmcnt(0)
	v_mov_b32_dpp v10, v39 row_shr:1 row_mask:0xf bank_mask:0xf
	v_cndmask_b32_e64 v10, v10, 0, s[14:15]
	v_add_u32_e32 v10, v10, v39
	s_nop 1
	v_mov_b32_dpp v11, v10 row_shr:2 row_mask:0xf bank_mask:0xf
	v_cndmask_b32_e64 v11, 0, v11, s[12:13]
	v_add_u32_e32 v10, v10, v11
	s_nop 1
	;; [unrolled: 4-line block ×4, first 2 shown]
	v_mov_b32_dpp v11, v10 row_bcast:15 row_mask:0xf bank_mask:0xf
	v_cndmask_b32_e64 v11, v11, 0, s[6:7]
	v_add_u32_e32 v10, v10, v11
	s_nop 1
	v_mov_b32_dpp v11, v10 row_bcast:31 row_mask:0xf bank_mask:0xf
	v_cndmask_b32_e64 v11, 0, v11, s[2:3]
	v_add_u32_e32 v10, v10, v11
	s_and_saveexec_b64 s[2:3], s[4:5]
	s_cbranch_execz .LBB233_86
; %bb.85:
	v_lshlrev_b32_e32 v11, 2, v38
	ds_write_b32 v11, v10
.LBB233_86:
	s_or_b64 exec, exec, s[2:3]
	v_cmp_gt_u32_e32 vcc, 4, v0
	s_waitcnt lgkmcnt(0)
	s_barrier
	s_and_saveexec_b64 s[2:3], vcc
	s_cbranch_execz .LBB233_88
; %bb.87:
	v_mad_i32_i24 v11, v0, -6, v37
	ds_read_b32 v18, v11
	v_and_b32_e32 v19, 3, v36
	v_cmp_ne_u32_e32 vcc, 0, v19
	s_waitcnt lgkmcnt(0)
	v_mov_b32_dpp v20, v18 row_shr:1 row_mask:0xf bank_mask:0xf
	v_cndmask_b32_e32 v20, 0, v20, vcc
	v_add_u32_e32 v18, v20, v18
	v_cmp_lt_u32_e32 vcc, 1, v19
	s_nop 0
	v_mov_b32_dpp v20, v18 row_shr:2 row_mask:0xf bank_mask:0xf
	v_cndmask_b32_e32 v19, 0, v20, vcc
	v_add_u32_e32 v18, v18, v19
	ds_write_b32 v11, v18
.LBB233_88:
	s_or_b64 exec, exec, s[2:3]
	v_cmp_lt_u32_e32 vcc, 63, v0
	v_mov_b32_e32 v11, 0
	v_mov_b32_e32 v18, 0
	s_waitcnt lgkmcnt(0)
	s_barrier
	s_and_saveexec_b64 s[2:3], vcc
	s_cbranch_execz .LBB233_90
; %bb.89:
	v_lshl_add_u32 v18, v38, 2, -4
	ds_read_b32 v18, v18
.LBB233_90:
	s_or_b64 exec, exec, s[2:3]
	v_add_u32_e32 v19, -1, v36
	v_and_b32_e32 v20, 64, v36
	v_cmp_lt_i32_e32 vcc, v19, v20
	v_cndmask_b32_e32 v19, v19, v36, vcc
	s_waitcnt lgkmcnt(0)
	v_add_u32_e32 v10, v18, v10
	v_lshlrev_b32_e32 v19, 2, v19
	ds_bpermute_b32 v19, v19, v10
	ds_read_b32 v10, v11 offset:12
	s_and_saveexec_b64 s[2:3], s[0:1]
	s_cbranch_execz .LBB233_92
; %bb.91:
	v_mov_b32_e32 v20, 0
	v_mov_b32_e32 v11, 2
	s_waitcnt lgkmcnt(0)
	global_store_dwordx2 v20, v[10:11], s[34:35] offset:512
.LBB233_92:
	s_or_b64 exec, exec, s[2:3]
	v_cmp_eq_u32_e32 vcc, 0, v36
	s_waitcnt lgkmcnt(1)
	v_cndmask_b32_e32 v18, v19, v18, vcc
	v_cndmask_b32_e64 v41, v18, 0, s[0:1]
	v_add_u32_sdwa v40, v41, v16 dst_sel:DWORD dst_unused:UNUSED_PAD src0_sel:DWORD src1_sel:BYTE_0
	v_add_u32_sdwa v25, v40, v16 dst_sel:DWORD dst_unused:UNUSED_PAD src0_sel:DWORD src1_sel:BYTE_1
	v_add_u32_e32 v24, v25, v35
	v_add_u32_e32 v23, v24, v30
	v_add_u32_e32 v22, v23, v32
	v_add_u32_e32 v21, v22, v33
	v_add_u32_e32 v20, v21, v34
	v_add_u32_e32 v19, v20, v29
	v_mov_b32_e32 v11, 0
	v_add_u32_e32 v18, v19, v31
	s_waitcnt lgkmcnt(0)
	s_barrier
.LBB233_93:
	s_waitcnt lgkmcnt(0)
	v_add_u32_e32 v26, v10, v26
	v_sub_u32_e32 v33, v41, v11
	v_and_b32_e32 v35, 1, v16
	v_sub_u32_e32 v34, v26, v33
	v_cmp_eq_u32_e32 vcc, 1, v35
	v_cndmask_b32_e32 v33, v34, v33, vcc
	v_lshlrev_b32_e32 v33, 2, v33
	v_lshrrev_b32_e32 v32, 8, v16
	ds_write_b32 v33, v6
	v_sub_u32_e32 v6, v40, v11
	v_sub_u32_e32 v33, v26, v6
	v_and_b32_e32 v32, 1, v32
	v_add_u32_e32 v33, 1, v33
	v_cmp_eq_u32_e32 vcc, 1, v32
	v_cndmask_b32_e32 v6, v33, v6, vcc
	v_lshlrev_b32_e32 v6, 2, v6
	ds_write_b32 v6, v7
	v_sub_u32_e32 v6, v25, v11
	v_mov_b32_e32 v25, 1
	v_sub_u32_e32 v7, v26, v6
	v_and_b32_sdwa v16, v25, v16 dst_sel:DWORD dst_unused:UNUSED_PAD src0_sel:DWORD src1_sel:WORD_1
	v_add_u32_e32 v7, 2, v7
	v_cmp_eq_u32_e32 vcc, 1, v16
	v_cndmask_b32_e32 v6, v7, v6, vcc
	v_lshlrev_b32_e32 v6, 2, v6
	ds_write_b32 v6, v8
	v_sub_u32_e32 v6, v24, v11
	v_sub_u32_e32 v7, v26, v6
	v_and_b32_e32 v8, 1, v30
	v_add_u32_e32 v7, 3, v7
	v_cmp_eq_u32_e32 vcc, 1, v8
	v_cndmask_b32_e32 v6, v7, v6, vcc
	v_lshlrev_b32_e32 v6, 2, v6
	ds_write_b32 v6, v9
	v_sub_u32_e32 v6, v23, v11
	v_sub_u32_e32 v7, v26, v6
	v_and_b32_e32 v8, 1, v17
	v_add_u32_e32 v7, 4, v7
	v_cmp_eq_u32_e32 vcc, 1, v8
	v_cndmask_b32_e32 v6, v7, v6, vcc
	v_lshlrev_b32_e32 v6, 2, v6
	v_lshrrev_b32_e32 v31, 8, v17
	ds_write_b32 v6, v2
	v_sub_u32_e32 v2, v22, v11
	v_sub_u32_e32 v6, v26, v2
	v_and_b32_e32 v7, 1, v31
	v_add_u32_e32 v6, 5, v6
	v_cmp_eq_u32_e32 vcc, 1, v7
	v_cndmask_b32_e32 v2, v6, v2, vcc
	v_lshlrev_b32_e32 v2, 2, v2
	ds_write_b32 v2, v3
	v_sub_u32_e32 v2, v21, v11
	v_sub_u32_e32 v3, v26, v2
	v_and_b32_sdwa v6, v25, v17 dst_sel:DWORD dst_unused:UNUSED_PAD src0_sel:DWORD src1_sel:WORD_1
	v_add_u32_e32 v3, 6, v3
	v_cmp_eq_u32_e32 vcc, 1, v6
	v_cndmask_b32_e32 v2, v3, v2, vcc
	v_lshlrev_b32_e32 v2, 2, v2
	ds_write_b32 v2, v4
	v_sub_u32_e32 v2, v20, v11
	v_sub_u32_e32 v3, v26, v2
	v_and_b32_e32 v4, 1, v29
	v_add_u32_e32 v3, 7, v3
	v_cmp_eq_u32_e32 vcc, 1, v4
	v_cndmask_b32_e32 v2, v3, v2, vcc
	v_lshlrev_b32_e32 v2, 2, v2
	ds_write_b32 v2, v5
	v_sub_u32_e32 v2, v19, v11
	v_sub_u32_e32 v3, v26, v2
	v_and_b32_e32 v4, 1, v28
	;; [unrolled: 8-line block ×3, first 2 shown]
	v_add_u32_e32 v3, 9, v3
	v_cmp_eq_u32_e32 vcc, 1, v4
	v_cndmask_b32_e32 v2, v3, v2, vcc
	s_add_u32 s2, s18, s28
	v_lshlrev_b32_e32 v2, 2, v2
	s_addc_u32 s3, s19, 0
	ds_write_b32 v2, v15
	s_waitcnt lgkmcnt(0)
	s_barrier
	ds_read2st64_b32 v[14:15], v1 offset1:4
	ds_read2st64_b32 v[8:9], v1 offset0:8 offset1:12
	ds_read2st64_b32 v[6:7], v1 offset0:16 offset1:20
	;; [unrolled: 1-line block ×4, first 2 shown]
	s_waitcnt vmcnt(0)
	v_add_co_u32_e32 v1, vcc, v12, v11
	s_sub_u32 s2, s26, s2
	v_addc_co_u32_e32 v11, vcc, 0, v13, vcc
	s_subb_u32 s3, s27, s3
	v_mov_b32_e32 v12, s3
	v_add_co_u32_e32 v13, vcc, s2, v10
	v_addc_co_u32_e32 v12, vcc, 0, v12, vcc
	v_add_co_u32_e64 v17, s[2:3], v13, v1
	v_or_b32_e32 v26, 0x100, v0
	v_or_b32_e32 v25, 0x200, v0
	;; [unrolled: 1-line block ×9, first 2 shown]
	s_andn2_b64 vcc, exec, s[30:31]
	v_addc_co_u32_e64 v18, s[2:3], v12, v11, s[2:3]
	s_cbranch_vccnz .LBB233_138
; %bb.94:
	v_cmp_ge_u32_e32 vcc, v0, v10
                                        ; implicit-def: $vgpr12_vgpr13
	s_and_saveexec_b64 s[2:3], vcc
	s_xor_b64 s[2:3], exec, s[2:3]
; %bb.95:
	v_not_b32_e32 v12, v0
	v_ashrrev_i32_e32 v13, 31, v12
	v_add_co_u32_e32 v12, vcc, v17, v12
	v_addc_co_u32_e32 v13, vcc, v18, v13, vcc
; %bb.96:
	s_andn2_saveexec_b64 s[2:3], s[2:3]
; %bb.97:
	v_add_co_u32_e32 v12, vcc, v1, v0
	v_addc_co_u32_e32 v13, vcc, 0, v11, vcc
; %bb.98:
	s_or_b64 exec, exec, s[2:3]
	v_lshlrev_b64 v[12:13], 2, v[12:13]
	v_mov_b32_e32 v27, s25
	v_add_co_u32_e32 v12, vcc, s24, v12
	v_addc_co_u32_e32 v13, vcc, v27, v13, vcc
	v_cmp_ge_u32_e32 vcc, v26, v10
	s_waitcnt lgkmcnt(4)
	global_store_dword v[12:13], v14, off
                                        ; implicit-def: $vgpr12_vgpr13
	s_and_saveexec_b64 s[2:3], vcc
	s_xor_b64 s[2:3], exec, s[2:3]
; %bb.99:
	v_xor_b32_e32 v12, 0xfffffeff, v0
	v_ashrrev_i32_e32 v13, 31, v12
	v_add_co_u32_e32 v12, vcc, v17, v12
	v_addc_co_u32_e32 v13, vcc, v18, v13, vcc
; %bb.100:
	s_andn2_saveexec_b64 s[2:3], s[2:3]
; %bb.101:
	v_add_co_u32_e32 v12, vcc, v1, v26
	v_addc_co_u32_e32 v13, vcc, 0, v11, vcc
; %bb.102:
	s_or_b64 exec, exec, s[2:3]
	v_lshlrev_b64 v[12:13], 2, v[12:13]
	v_mov_b32_e32 v27, s25
	v_add_co_u32_e32 v12, vcc, s24, v12
	v_addc_co_u32_e32 v13, vcc, v27, v13, vcc
	v_cmp_ge_u32_e32 vcc, v25, v10
	global_store_dword v[12:13], v15, off
                                        ; implicit-def: $vgpr12_vgpr13
	s_and_saveexec_b64 s[2:3], vcc
	s_xor_b64 s[2:3], exec, s[2:3]
; %bb.103:
	v_xor_b32_e32 v12, 0xfffffdff, v0
	v_ashrrev_i32_e32 v13, 31, v12
	v_add_co_u32_e32 v12, vcc, v17, v12
	v_addc_co_u32_e32 v13, vcc, v18, v13, vcc
; %bb.104:
	s_andn2_saveexec_b64 s[2:3], s[2:3]
; %bb.105:
	v_add_co_u32_e32 v12, vcc, v1, v25
	v_addc_co_u32_e32 v13, vcc, 0, v11, vcc
; %bb.106:
	s_or_b64 exec, exec, s[2:3]
	v_lshlrev_b64 v[12:13], 2, v[12:13]
	v_mov_b32_e32 v27, s25
	v_add_co_u32_e32 v12, vcc, s24, v12
	v_addc_co_u32_e32 v13, vcc, v27, v13, vcc
	v_cmp_ge_u32_e32 vcc, v24, v10
	s_waitcnt lgkmcnt(3)
	global_store_dword v[12:13], v8, off
                                        ; implicit-def: $vgpr12_vgpr13
	s_and_saveexec_b64 s[2:3], vcc
	s_xor_b64 s[2:3], exec, s[2:3]
; %bb.107:
	v_xor_b32_e32 v12, 0xfffffcff, v0
	v_ashrrev_i32_e32 v13, 31, v12
	v_add_co_u32_e32 v12, vcc, v17, v12
	v_addc_co_u32_e32 v13, vcc, v18, v13, vcc
; %bb.108:
	s_andn2_saveexec_b64 s[2:3], s[2:3]
; %bb.109:
	v_add_co_u32_e32 v12, vcc, v1, v24
	v_addc_co_u32_e32 v13, vcc, 0, v11, vcc
; %bb.110:
	s_or_b64 exec, exec, s[2:3]
	v_lshlrev_b64 v[12:13], 2, v[12:13]
	v_mov_b32_e32 v27, s25
	v_add_co_u32_e32 v12, vcc, s24, v12
	v_addc_co_u32_e32 v13, vcc, v27, v13, vcc
	v_cmp_ge_u32_e32 vcc, v23, v10
	global_store_dword v[12:13], v9, off
                                        ; implicit-def: $vgpr12_vgpr13
	s_and_saveexec_b64 s[2:3], vcc
	s_xor_b64 s[2:3], exec, s[2:3]
; %bb.111:
	v_xor_b32_e32 v12, 0xfffffbff, v0
	;; [unrolled: 43-line block ×4, first 2 shown]
	v_ashrrev_i32_e32 v13, 31, v12
	v_add_co_u32_e32 v12, vcc, v17, v12
	v_addc_co_u32_e32 v13, vcc, v18, v13, vcc
; %bb.128:
	s_andn2_saveexec_b64 s[2:3], s[2:3]
; %bb.129:
	v_add_co_u32_e32 v12, vcc, v1, v19
	v_addc_co_u32_e32 v13, vcc, 0, v11, vcc
; %bb.130:
	s_or_b64 exec, exec, s[2:3]
	v_lshlrev_b64 v[12:13], 2, v[12:13]
	v_mov_b32_e32 v27, s25
	v_add_co_u32_e32 v12, vcc, s24, v12
	v_addc_co_u32_e32 v13, vcc, v27, v13, vcc
	v_cmp_ge_u32_e32 vcc, v16, v10
	s_waitcnt lgkmcnt(0)
	global_store_dword v[12:13], v2, off
                                        ; implicit-def: $vgpr12_vgpr13
	s_and_saveexec_b64 s[2:3], vcc
	s_xor_b64 s[2:3], exec, s[2:3]
; %bb.131:
	v_xor_b32_e32 v12, 0xfffff6ff, v0
	v_ashrrev_i32_e32 v13, 31, v12
	v_add_co_u32_e32 v12, vcc, v17, v12
	v_addc_co_u32_e32 v13, vcc, v18, v13, vcc
; %bb.132:
	s_andn2_saveexec_b64 s[2:3], s[2:3]
; %bb.133:
	v_add_co_u32_e32 v12, vcc, v1, v16
	v_addc_co_u32_e32 v13, vcc, 0, v11, vcc
; %bb.134:
	s_or_b64 exec, exec, s[2:3]
	s_mov_b64 s[2:3], -1
.LBB233_135:
	s_and_saveexec_b64 s[4:5], s[2:3]
	s_cbranch_execz .LBB233_166
.LBB233_136:
	s_waitcnt lgkmcnt(1)
	v_lshlrev_b64 v[4:5], 2, v[12:13]
	v_mov_b32_e32 v0, s25
	v_add_co_u32_e32 v4, vcc, s24, v4
	v_addc_co_u32_e32 v5, vcc, v0, v5, vcc
	s_waitcnt lgkmcnt(0)
	global_store_dword v[4:5], v3, off
	s_or_b64 exec, exec, s[4:5]
	s_and_b64 s[0:1], s[0:1], s[22:23]
	s_and_saveexec_b64 s[2:3], s[0:1]
	s_cbranch_execnz .LBB233_167
.LBB233_137:
	s_endpgm
.LBB233_138:
	s_mov_b64 s[2:3], 0
                                        ; implicit-def: $vgpr12_vgpr13
	s_cbranch_execz .LBB233_135
; %bb.139:
	v_cmp_gt_u32_e32 vcc, s33, v0
	s_and_saveexec_b64 s[4:5], vcc
	s_cbranch_execz .LBB233_168
; %bb.140:
	v_cmp_ge_u32_e32 vcc, v0, v10
                                        ; implicit-def: $vgpr12_vgpr13
	s_and_saveexec_b64 s[6:7], vcc
	s_xor_b64 s[6:7], exec, s[6:7]
; %bb.141:
	v_not_b32_e32 v12, v0
	v_ashrrev_i32_e32 v13, 31, v12
	v_add_co_u32_e32 v12, vcc, v17, v12
	v_addc_co_u32_e32 v13, vcc, v18, v13, vcc
; %bb.142:
	s_andn2_saveexec_b64 s[6:7], s[6:7]
; %bb.143:
	v_add_co_u32_e32 v12, vcc, v1, v0
	v_addc_co_u32_e32 v13, vcc, 0, v11, vcc
; %bb.144:
	s_or_b64 exec, exec, s[6:7]
	v_lshlrev_b64 v[12:13], 2, v[12:13]
	v_mov_b32_e32 v27, s25
	v_add_co_u32_e32 v12, vcc, s24, v12
	v_addc_co_u32_e32 v13, vcc, v27, v13, vcc
	s_waitcnt lgkmcnt(4)
	global_store_dword v[12:13], v14, off
	s_or_b64 exec, exec, s[4:5]
	v_cmp_gt_u32_e32 vcc, s33, v26
	s_and_saveexec_b64 s[4:5], vcc
	s_cbranch_execnz .LBB233_169
.LBB233_145:
	s_or_b64 exec, exec, s[4:5]
	v_cmp_gt_u32_e32 vcc, s33, v25
	s_and_saveexec_b64 s[4:5], vcc
	s_cbranch_execz .LBB233_174
.LBB233_146:
	v_cmp_ge_u32_e32 vcc, v25, v10
                                        ; implicit-def: $vgpr12_vgpr13
	s_and_saveexec_b64 s[6:7], vcc
	s_xor_b64 s[6:7], exec, s[6:7]
; %bb.147:
	v_xor_b32_e32 v12, 0xfffffdff, v0
	v_ashrrev_i32_e32 v13, 31, v12
	v_add_co_u32_e32 v12, vcc, v17, v12
	v_addc_co_u32_e32 v13, vcc, v18, v13, vcc
                                        ; implicit-def: $vgpr25
; %bb.148:
	s_andn2_saveexec_b64 s[6:7], s[6:7]
; %bb.149:
	v_add_co_u32_e32 v12, vcc, v1, v25
	v_addc_co_u32_e32 v13, vcc, 0, v11, vcc
; %bb.150:
	s_or_b64 exec, exec, s[6:7]
	v_lshlrev_b64 v[12:13], 2, v[12:13]
	s_waitcnt lgkmcnt(4)
	v_mov_b32_e32 v14, s25
	v_add_co_u32_e32 v12, vcc, s24, v12
	v_addc_co_u32_e32 v13, vcc, v14, v13, vcc
	s_waitcnt lgkmcnt(3)
	global_store_dword v[12:13], v8, off
	s_or_b64 exec, exec, s[4:5]
	v_cmp_gt_u32_e32 vcc, s33, v24
	s_and_saveexec_b64 s[4:5], vcc
	s_cbranch_execnz .LBB233_175
.LBB233_151:
	s_or_b64 exec, exec, s[4:5]
	v_cmp_gt_u32_e32 vcc, s33, v23
	s_and_saveexec_b64 s[4:5], vcc
	s_cbranch_execz .LBB233_180
.LBB233_152:
	v_cmp_ge_u32_e32 vcc, v23, v10
                                        ; implicit-def: $vgpr8_vgpr9
	s_and_saveexec_b64 s[6:7], vcc
	s_xor_b64 s[6:7], exec, s[6:7]
	s_cbranch_execz .LBB233_154
; %bb.153:
	s_waitcnt lgkmcnt(3)
	v_xor_b32_e32 v8, 0xfffffbff, v0
	v_ashrrev_i32_e32 v9, 31, v8
	v_add_co_u32_e32 v8, vcc, v17, v8
	v_addc_co_u32_e32 v9, vcc, v18, v9, vcc
                                        ; implicit-def: $vgpr23
.LBB233_154:
	s_andn2_saveexec_b64 s[6:7], s[6:7]
	s_cbranch_execz .LBB233_156
; %bb.155:
	s_waitcnt lgkmcnt(3)
	v_add_co_u32_e32 v8, vcc, v1, v23
	v_addc_co_u32_e32 v9, vcc, 0, v11, vcc
.LBB233_156:
	s_or_b64 exec, exec, s[6:7]
	s_waitcnt lgkmcnt(3)
	v_lshlrev_b64 v[8:9], 2, v[8:9]
	v_mov_b32_e32 v12, s25
	v_add_co_u32_e32 v8, vcc, s24, v8
	v_addc_co_u32_e32 v9, vcc, v12, v9, vcc
	s_waitcnt lgkmcnt(2)
	global_store_dword v[8:9], v6, off
	s_or_b64 exec, exec, s[4:5]
	v_cmp_gt_u32_e32 vcc, s33, v22
	s_and_saveexec_b64 s[4:5], vcc
	s_cbranch_execnz .LBB233_181
.LBB233_157:
	s_or_b64 exec, exec, s[4:5]
	v_cmp_gt_u32_e32 vcc, s33, v21
	s_and_saveexec_b64 s[4:5], vcc
	s_cbranch_execz .LBB233_186
.LBB233_158:
	v_cmp_ge_u32_e32 vcc, v21, v10
                                        ; implicit-def: $vgpr6_vgpr7
	s_and_saveexec_b64 s[6:7], vcc
	s_xor_b64 s[6:7], exec, s[6:7]
	s_cbranch_execz .LBB233_160
; %bb.159:
	s_waitcnt lgkmcnt(2)
	v_xor_b32_e32 v6, 0xfffff9ff, v0
	v_ashrrev_i32_e32 v7, 31, v6
	v_add_co_u32_e32 v6, vcc, v17, v6
	v_addc_co_u32_e32 v7, vcc, v18, v7, vcc
                                        ; implicit-def: $vgpr21
.LBB233_160:
	s_andn2_saveexec_b64 s[6:7], s[6:7]
	s_cbranch_execz .LBB233_162
; %bb.161:
	s_waitcnt lgkmcnt(2)
	v_add_co_u32_e32 v6, vcc, v1, v21
	v_addc_co_u32_e32 v7, vcc, 0, v11, vcc
.LBB233_162:
	s_or_b64 exec, exec, s[6:7]
	s_waitcnt lgkmcnt(2)
	v_lshlrev_b64 v[6:7], 2, v[6:7]
	v_mov_b32_e32 v8, s25
	v_add_co_u32_e32 v6, vcc, s24, v6
	v_addc_co_u32_e32 v7, vcc, v8, v7, vcc
	s_waitcnt lgkmcnt(1)
	global_store_dword v[6:7], v4, off
	s_or_b64 exec, exec, s[4:5]
	v_cmp_gt_u32_e32 vcc, s33, v20
	s_and_saveexec_b64 s[4:5], vcc
	s_cbranch_execnz .LBB233_187
.LBB233_163:
	s_or_b64 exec, exec, s[4:5]
	v_cmp_gt_u32_e32 vcc, s33, v19
	s_and_saveexec_b64 s[4:5], vcc
	s_cbranch_execnz .LBB233_192
.LBB233_164:
	s_or_b64 exec, exec, s[4:5]
	v_cmp_gt_u32_e32 vcc, s33, v16
                                        ; implicit-def: $vgpr12_vgpr13
	s_and_saveexec_b64 s[4:5], vcc
	s_cbranch_execnz .LBB233_197
.LBB233_165:
	s_or_b64 exec, exec, s[4:5]
	s_and_saveexec_b64 s[4:5], s[2:3]
	s_cbranch_execnz .LBB233_136
.LBB233_166:
	s_or_b64 exec, exec, s[4:5]
	s_and_b64 s[0:1], s[0:1], s[22:23]
	s_and_saveexec_b64 s[2:3], s[0:1]
	s_cbranch_execz .LBB233_137
.LBB233_167:
	v_add_co_u32_e32 v0, vcc, v1, v10
	s_waitcnt lgkmcnt(0)
	v_mov_b32_e32 v2, 0
	v_addc_co_u32_e32 v1, vcc, 0, v11, vcc
	global_store_dwordx2 v2, v[0:1], s[20:21]
	s_endpgm
.LBB233_168:
	s_or_b64 exec, exec, s[4:5]
	v_cmp_gt_u32_e32 vcc, s33, v26
	s_and_saveexec_b64 s[4:5], vcc
	s_cbranch_execz .LBB233_145
.LBB233_169:
	v_cmp_ge_u32_e32 vcc, v26, v10
                                        ; implicit-def: $vgpr12_vgpr13
	s_and_saveexec_b64 s[6:7], vcc
	s_xor_b64 s[6:7], exec, s[6:7]
; %bb.170:
	v_xor_b32_e32 v12, 0xfffffeff, v0
	v_ashrrev_i32_e32 v13, 31, v12
	v_add_co_u32_e32 v12, vcc, v17, v12
	v_addc_co_u32_e32 v13, vcc, v18, v13, vcc
                                        ; implicit-def: $vgpr26
; %bb.171:
	s_andn2_saveexec_b64 s[6:7], s[6:7]
; %bb.172:
	v_add_co_u32_e32 v12, vcc, v1, v26
	v_addc_co_u32_e32 v13, vcc, 0, v11, vcc
; %bb.173:
	s_or_b64 exec, exec, s[6:7]
	v_lshlrev_b64 v[12:13], 2, v[12:13]
	s_waitcnt lgkmcnt(4)
	v_mov_b32_e32 v14, s25
	v_add_co_u32_e32 v12, vcc, s24, v12
	v_addc_co_u32_e32 v13, vcc, v14, v13, vcc
	global_store_dword v[12:13], v15, off
	s_or_b64 exec, exec, s[4:5]
	v_cmp_gt_u32_e32 vcc, s33, v25
	s_and_saveexec_b64 s[4:5], vcc
	s_cbranch_execnz .LBB233_146
.LBB233_174:
	s_or_b64 exec, exec, s[4:5]
	v_cmp_gt_u32_e32 vcc, s33, v24
	s_and_saveexec_b64 s[4:5], vcc
	s_cbranch_execz .LBB233_151
.LBB233_175:
	v_cmp_ge_u32_e32 vcc, v24, v10
                                        ; implicit-def: $vgpr12_vgpr13
	s_and_saveexec_b64 s[6:7], vcc
	s_xor_b64 s[6:7], exec, s[6:7]
	s_cbranch_execz .LBB233_177
; %bb.176:
	s_waitcnt lgkmcnt(3)
	v_xor_b32_e32 v8, 0xfffffcff, v0
	v_ashrrev_i32_e32 v13, 31, v8
	v_add_co_u32_e32 v12, vcc, v17, v8
	v_addc_co_u32_e32 v13, vcc, v18, v13, vcc
                                        ; implicit-def: $vgpr24
.LBB233_177:
	s_andn2_saveexec_b64 s[6:7], s[6:7]
; %bb.178:
	v_add_co_u32_e32 v12, vcc, v1, v24
	v_addc_co_u32_e32 v13, vcc, 0, v11, vcc
; %bb.179:
	s_or_b64 exec, exec, s[6:7]
	v_lshlrev_b64 v[12:13], 2, v[12:13]
	s_waitcnt lgkmcnt(3)
	v_mov_b32_e32 v8, s25
	v_add_co_u32_e32 v12, vcc, s24, v12
	v_addc_co_u32_e32 v13, vcc, v8, v13, vcc
	global_store_dword v[12:13], v9, off
	s_or_b64 exec, exec, s[4:5]
	v_cmp_gt_u32_e32 vcc, s33, v23
	s_and_saveexec_b64 s[4:5], vcc
	s_cbranch_execnz .LBB233_152
.LBB233_180:
	s_or_b64 exec, exec, s[4:5]
	v_cmp_gt_u32_e32 vcc, s33, v22
	s_and_saveexec_b64 s[4:5], vcc
	s_cbranch_execz .LBB233_157
.LBB233_181:
	v_cmp_ge_u32_e32 vcc, v22, v10
                                        ; implicit-def: $vgpr8_vgpr9
	s_and_saveexec_b64 s[6:7], vcc
	s_xor_b64 s[6:7], exec, s[6:7]
	s_cbranch_execz .LBB233_183
; %bb.182:
	s_waitcnt lgkmcnt(2)
	v_xor_b32_e32 v6, 0xfffffaff, v0
	v_ashrrev_i32_e32 v9, 31, v6
	v_add_co_u32_e32 v8, vcc, v17, v6
	v_addc_co_u32_e32 v9, vcc, v18, v9, vcc
                                        ; implicit-def: $vgpr22
.LBB233_183:
	s_andn2_saveexec_b64 s[6:7], s[6:7]
	s_cbranch_execz .LBB233_185
; %bb.184:
	s_waitcnt lgkmcnt(3)
	v_add_co_u32_e32 v8, vcc, v1, v22
	v_addc_co_u32_e32 v9, vcc, 0, v11, vcc
.LBB233_185:
	s_or_b64 exec, exec, s[6:7]
	s_waitcnt lgkmcnt(3)
	v_lshlrev_b64 v[8:9], 2, v[8:9]
	s_waitcnt lgkmcnt(2)
	v_mov_b32_e32 v6, s25
	v_add_co_u32_e32 v8, vcc, s24, v8
	v_addc_co_u32_e32 v9, vcc, v6, v9, vcc
	global_store_dword v[8:9], v7, off
	s_or_b64 exec, exec, s[4:5]
	v_cmp_gt_u32_e32 vcc, s33, v21
	s_and_saveexec_b64 s[4:5], vcc
	s_cbranch_execnz .LBB233_158
.LBB233_186:
	s_or_b64 exec, exec, s[4:5]
	v_cmp_gt_u32_e32 vcc, s33, v20
	s_and_saveexec_b64 s[4:5], vcc
	s_cbranch_execz .LBB233_163
.LBB233_187:
	v_cmp_ge_u32_e32 vcc, v20, v10
                                        ; implicit-def: $vgpr6_vgpr7
	s_and_saveexec_b64 s[6:7], vcc
	s_xor_b64 s[6:7], exec, s[6:7]
	s_cbranch_execz .LBB233_189
; %bb.188:
	s_waitcnt lgkmcnt(1)
	v_xor_b32_e32 v4, 0xfffff8ff, v0
	v_ashrrev_i32_e32 v7, 31, v4
	v_add_co_u32_e32 v6, vcc, v17, v4
	v_addc_co_u32_e32 v7, vcc, v18, v7, vcc
                                        ; implicit-def: $vgpr20
.LBB233_189:
	s_andn2_saveexec_b64 s[6:7], s[6:7]
	s_cbranch_execz .LBB233_191
; %bb.190:
	s_waitcnt lgkmcnt(2)
	v_add_co_u32_e32 v6, vcc, v1, v20
	v_addc_co_u32_e32 v7, vcc, 0, v11, vcc
.LBB233_191:
	s_or_b64 exec, exec, s[6:7]
	s_waitcnt lgkmcnt(2)
	v_lshlrev_b64 v[6:7], 2, v[6:7]
	s_waitcnt lgkmcnt(1)
	v_mov_b32_e32 v4, s25
	v_add_co_u32_e32 v6, vcc, s24, v6
	v_addc_co_u32_e32 v7, vcc, v4, v7, vcc
	global_store_dword v[6:7], v5, off
	s_or_b64 exec, exec, s[4:5]
	v_cmp_gt_u32_e32 vcc, s33, v19
	s_and_saveexec_b64 s[4:5], vcc
	s_cbranch_execz .LBB233_164
.LBB233_192:
	v_cmp_ge_u32_e32 vcc, v19, v10
                                        ; implicit-def: $vgpr4_vgpr5
	s_and_saveexec_b64 s[6:7], vcc
	s_xor_b64 s[6:7], exec, s[6:7]
	s_cbranch_execz .LBB233_194
; %bb.193:
	s_waitcnt lgkmcnt(1)
	v_xor_b32_e32 v4, 0xfffff7ff, v0
	v_ashrrev_i32_e32 v5, 31, v4
	v_add_co_u32_e32 v4, vcc, v17, v4
	v_addc_co_u32_e32 v5, vcc, v18, v5, vcc
                                        ; implicit-def: $vgpr19
.LBB233_194:
	s_andn2_saveexec_b64 s[6:7], s[6:7]
	s_cbranch_execz .LBB233_196
; %bb.195:
	s_waitcnt lgkmcnt(1)
	v_add_co_u32_e32 v4, vcc, v1, v19
	v_addc_co_u32_e32 v5, vcc, 0, v11, vcc
.LBB233_196:
	s_or_b64 exec, exec, s[6:7]
	s_waitcnt lgkmcnt(1)
	v_lshlrev_b64 v[4:5], 2, v[4:5]
	v_mov_b32_e32 v6, s25
	v_add_co_u32_e32 v4, vcc, s24, v4
	v_addc_co_u32_e32 v5, vcc, v6, v5, vcc
	s_waitcnt lgkmcnt(0)
	global_store_dword v[4:5], v2, off
	s_or_b64 exec, exec, s[4:5]
	v_cmp_gt_u32_e32 vcc, s33, v16
                                        ; implicit-def: $vgpr12_vgpr13
	s_and_saveexec_b64 s[4:5], vcc
	s_cbranch_execz .LBB233_165
.LBB233_197:
	v_cmp_ge_u32_e32 vcc, v16, v10
                                        ; implicit-def: $vgpr12_vgpr13
	s_and_saveexec_b64 s[6:7], vcc
	s_xor_b64 s[6:7], exec, s[6:7]
	s_cbranch_execz .LBB233_199
; %bb.198:
	v_xor_b32_e32 v0, 0xfffff6ff, v0
	s_waitcnt lgkmcnt(0)
	v_ashrrev_i32_e32 v2, 31, v0
	v_add_co_u32_e32 v12, vcc, v17, v0
	v_addc_co_u32_e32 v13, vcc, v18, v2, vcc
                                        ; implicit-def: $vgpr16
.LBB233_199:
	s_andn2_saveexec_b64 s[6:7], s[6:7]
; %bb.200:
	v_add_co_u32_e32 v12, vcc, v1, v16
	v_addc_co_u32_e32 v13, vcc, 0, v11, vcc
; %bb.201:
	s_or_b64 exec, exec, s[6:7]
	s_or_b64 s[2:3], s[2:3], exec
	s_or_b64 exec, exec, s[4:5]
	s_and_saveexec_b64 s[4:5], s[2:3]
	s_cbranch_execnz .LBB233_136
	s_branch .LBB233_166
	.section	.rodata,"a",@progbits
	.p2align	6, 0x0
	.amdhsa_kernel _ZN7rocprim17ROCPRIM_400000_NS6detail17trampoline_kernelINS0_14default_configENS1_25partition_config_selectorILNS1_17partition_subalgoE2EiNS0_10empty_typeEbEEZZNS1_14partition_implILS5_2ELb0ES3_jN6thrust23THRUST_200600_302600_NS6detail15normal_iteratorINSA_7pointerIiNSA_11hip_rocprim3tagENSA_11use_defaultESG_EEEEPS6_NSA_18transform_iteratorI7is_evenIiENSC_INSA_10device_ptrIiEEEESG_SG_EENS0_5tupleIJPiSJ_EEENSR_IJSJ_SJ_EEES6_PlJS6_EEE10hipError_tPvRmT3_T4_T5_T6_T7_T9_mT8_P12ihipStream_tbDpT10_ENKUlT_T0_E_clISt17integral_constantIbLb1EES1F_EEDaS1A_S1B_EUlS1A_E_NS1_11comp_targetILNS1_3genE4ELNS1_11target_archE910ELNS1_3gpuE8ELNS1_3repE0EEENS1_30default_config_static_selectorELNS0_4arch9wavefront6targetE1EEEvT1_
		.amdhsa_group_segment_fixed_size 10248
		.amdhsa_private_segment_fixed_size 0
		.amdhsa_kernarg_size 144
		.amdhsa_user_sgpr_count 6
		.amdhsa_user_sgpr_private_segment_buffer 1
		.amdhsa_user_sgpr_dispatch_ptr 0
		.amdhsa_user_sgpr_queue_ptr 0
		.amdhsa_user_sgpr_kernarg_segment_ptr 1
		.amdhsa_user_sgpr_dispatch_id 0
		.amdhsa_user_sgpr_flat_scratch_init 0
		.amdhsa_user_sgpr_kernarg_preload_length 0
		.amdhsa_user_sgpr_kernarg_preload_offset 0
		.amdhsa_user_sgpr_private_segment_size 0
		.amdhsa_uses_dynamic_stack 0
		.amdhsa_system_sgpr_private_segment_wavefront_offset 0
		.amdhsa_system_sgpr_workgroup_id_x 1
		.amdhsa_system_sgpr_workgroup_id_y 0
		.amdhsa_system_sgpr_workgroup_id_z 0
		.amdhsa_system_sgpr_workgroup_info 0
		.amdhsa_system_vgpr_workitem_id 0
		.amdhsa_next_free_vgpr 56
		.amdhsa_next_free_sgpr 46
		.amdhsa_accum_offset 56
		.amdhsa_reserve_vcc 1
		.amdhsa_reserve_flat_scratch 0
		.amdhsa_float_round_mode_32 0
		.amdhsa_float_round_mode_16_64 0
		.amdhsa_float_denorm_mode_32 3
		.amdhsa_float_denorm_mode_16_64 3
		.amdhsa_dx10_clamp 1
		.amdhsa_ieee_mode 1
		.amdhsa_fp16_overflow 0
		.amdhsa_tg_split 0
		.amdhsa_exception_fp_ieee_invalid_op 0
		.amdhsa_exception_fp_denorm_src 0
		.amdhsa_exception_fp_ieee_div_zero 0
		.amdhsa_exception_fp_ieee_overflow 0
		.amdhsa_exception_fp_ieee_underflow 0
		.amdhsa_exception_fp_ieee_inexact 0
		.amdhsa_exception_int_div_zero 0
	.end_amdhsa_kernel
	.section	.text._ZN7rocprim17ROCPRIM_400000_NS6detail17trampoline_kernelINS0_14default_configENS1_25partition_config_selectorILNS1_17partition_subalgoE2EiNS0_10empty_typeEbEEZZNS1_14partition_implILS5_2ELb0ES3_jN6thrust23THRUST_200600_302600_NS6detail15normal_iteratorINSA_7pointerIiNSA_11hip_rocprim3tagENSA_11use_defaultESG_EEEEPS6_NSA_18transform_iteratorI7is_evenIiENSC_INSA_10device_ptrIiEEEESG_SG_EENS0_5tupleIJPiSJ_EEENSR_IJSJ_SJ_EEES6_PlJS6_EEE10hipError_tPvRmT3_T4_T5_T6_T7_T9_mT8_P12ihipStream_tbDpT10_ENKUlT_T0_E_clISt17integral_constantIbLb1EES1F_EEDaS1A_S1B_EUlS1A_E_NS1_11comp_targetILNS1_3genE4ELNS1_11target_archE910ELNS1_3gpuE8ELNS1_3repE0EEENS1_30default_config_static_selectorELNS0_4arch9wavefront6targetE1EEEvT1_,"axG",@progbits,_ZN7rocprim17ROCPRIM_400000_NS6detail17trampoline_kernelINS0_14default_configENS1_25partition_config_selectorILNS1_17partition_subalgoE2EiNS0_10empty_typeEbEEZZNS1_14partition_implILS5_2ELb0ES3_jN6thrust23THRUST_200600_302600_NS6detail15normal_iteratorINSA_7pointerIiNSA_11hip_rocprim3tagENSA_11use_defaultESG_EEEEPS6_NSA_18transform_iteratorI7is_evenIiENSC_INSA_10device_ptrIiEEEESG_SG_EENS0_5tupleIJPiSJ_EEENSR_IJSJ_SJ_EEES6_PlJS6_EEE10hipError_tPvRmT3_T4_T5_T6_T7_T9_mT8_P12ihipStream_tbDpT10_ENKUlT_T0_E_clISt17integral_constantIbLb1EES1F_EEDaS1A_S1B_EUlS1A_E_NS1_11comp_targetILNS1_3genE4ELNS1_11target_archE910ELNS1_3gpuE8ELNS1_3repE0EEENS1_30default_config_static_selectorELNS0_4arch9wavefront6targetE1EEEvT1_,comdat
.Lfunc_end233:
	.size	_ZN7rocprim17ROCPRIM_400000_NS6detail17trampoline_kernelINS0_14default_configENS1_25partition_config_selectorILNS1_17partition_subalgoE2EiNS0_10empty_typeEbEEZZNS1_14partition_implILS5_2ELb0ES3_jN6thrust23THRUST_200600_302600_NS6detail15normal_iteratorINSA_7pointerIiNSA_11hip_rocprim3tagENSA_11use_defaultESG_EEEEPS6_NSA_18transform_iteratorI7is_evenIiENSC_INSA_10device_ptrIiEEEESG_SG_EENS0_5tupleIJPiSJ_EEENSR_IJSJ_SJ_EEES6_PlJS6_EEE10hipError_tPvRmT3_T4_T5_T6_T7_T9_mT8_P12ihipStream_tbDpT10_ENKUlT_T0_E_clISt17integral_constantIbLb1EES1F_EEDaS1A_S1B_EUlS1A_E_NS1_11comp_targetILNS1_3genE4ELNS1_11target_archE910ELNS1_3gpuE8ELNS1_3repE0EEENS1_30default_config_static_selectorELNS0_4arch9wavefront6targetE1EEEvT1_, .Lfunc_end233-_ZN7rocprim17ROCPRIM_400000_NS6detail17trampoline_kernelINS0_14default_configENS1_25partition_config_selectorILNS1_17partition_subalgoE2EiNS0_10empty_typeEbEEZZNS1_14partition_implILS5_2ELb0ES3_jN6thrust23THRUST_200600_302600_NS6detail15normal_iteratorINSA_7pointerIiNSA_11hip_rocprim3tagENSA_11use_defaultESG_EEEEPS6_NSA_18transform_iteratorI7is_evenIiENSC_INSA_10device_ptrIiEEEESG_SG_EENS0_5tupleIJPiSJ_EEENSR_IJSJ_SJ_EEES6_PlJS6_EEE10hipError_tPvRmT3_T4_T5_T6_T7_T9_mT8_P12ihipStream_tbDpT10_ENKUlT_T0_E_clISt17integral_constantIbLb1EES1F_EEDaS1A_S1B_EUlS1A_E_NS1_11comp_targetILNS1_3genE4ELNS1_11target_archE910ELNS1_3gpuE8ELNS1_3repE0EEENS1_30default_config_static_selectorELNS0_4arch9wavefront6targetE1EEEvT1_
                                        ; -- End function
	.section	.AMDGPU.csdata,"",@progbits
; Kernel info:
; codeLenInByte = 6828
; NumSgprs: 50
; NumVgprs: 56
; NumAgprs: 0
; TotalNumVgprs: 56
; ScratchSize: 0
; MemoryBound: 0
; FloatMode: 240
; IeeeMode: 1
; LDSByteSize: 10248 bytes/workgroup (compile time only)
; SGPRBlocks: 6
; VGPRBlocks: 6
; NumSGPRsForWavesPerEU: 50
; NumVGPRsForWavesPerEU: 56
; AccumOffset: 56
; Occupancy: 6
; WaveLimiterHint : 1
; COMPUTE_PGM_RSRC2:SCRATCH_EN: 0
; COMPUTE_PGM_RSRC2:USER_SGPR: 6
; COMPUTE_PGM_RSRC2:TRAP_HANDLER: 0
; COMPUTE_PGM_RSRC2:TGID_X_EN: 1
; COMPUTE_PGM_RSRC2:TGID_Y_EN: 0
; COMPUTE_PGM_RSRC2:TGID_Z_EN: 0
; COMPUTE_PGM_RSRC2:TIDIG_COMP_CNT: 0
; COMPUTE_PGM_RSRC3_GFX90A:ACCUM_OFFSET: 13
; COMPUTE_PGM_RSRC3_GFX90A:TG_SPLIT: 0
	.section	.text._ZN7rocprim17ROCPRIM_400000_NS6detail17trampoline_kernelINS0_14default_configENS1_25partition_config_selectorILNS1_17partition_subalgoE2EiNS0_10empty_typeEbEEZZNS1_14partition_implILS5_2ELb0ES3_jN6thrust23THRUST_200600_302600_NS6detail15normal_iteratorINSA_7pointerIiNSA_11hip_rocprim3tagENSA_11use_defaultESG_EEEEPS6_NSA_18transform_iteratorI7is_evenIiENSC_INSA_10device_ptrIiEEEESG_SG_EENS0_5tupleIJPiSJ_EEENSR_IJSJ_SJ_EEES6_PlJS6_EEE10hipError_tPvRmT3_T4_T5_T6_T7_T9_mT8_P12ihipStream_tbDpT10_ENKUlT_T0_E_clISt17integral_constantIbLb1EES1F_EEDaS1A_S1B_EUlS1A_E_NS1_11comp_targetILNS1_3genE3ELNS1_11target_archE908ELNS1_3gpuE7ELNS1_3repE0EEENS1_30default_config_static_selectorELNS0_4arch9wavefront6targetE1EEEvT1_,"axG",@progbits,_ZN7rocprim17ROCPRIM_400000_NS6detail17trampoline_kernelINS0_14default_configENS1_25partition_config_selectorILNS1_17partition_subalgoE2EiNS0_10empty_typeEbEEZZNS1_14partition_implILS5_2ELb0ES3_jN6thrust23THRUST_200600_302600_NS6detail15normal_iteratorINSA_7pointerIiNSA_11hip_rocprim3tagENSA_11use_defaultESG_EEEEPS6_NSA_18transform_iteratorI7is_evenIiENSC_INSA_10device_ptrIiEEEESG_SG_EENS0_5tupleIJPiSJ_EEENSR_IJSJ_SJ_EEES6_PlJS6_EEE10hipError_tPvRmT3_T4_T5_T6_T7_T9_mT8_P12ihipStream_tbDpT10_ENKUlT_T0_E_clISt17integral_constantIbLb1EES1F_EEDaS1A_S1B_EUlS1A_E_NS1_11comp_targetILNS1_3genE3ELNS1_11target_archE908ELNS1_3gpuE7ELNS1_3repE0EEENS1_30default_config_static_selectorELNS0_4arch9wavefront6targetE1EEEvT1_,comdat
	.protected	_ZN7rocprim17ROCPRIM_400000_NS6detail17trampoline_kernelINS0_14default_configENS1_25partition_config_selectorILNS1_17partition_subalgoE2EiNS0_10empty_typeEbEEZZNS1_14partition_implILS5_2ELb0ES3_jN6thrust23THRUST_200600_302600_NS6detail15normal_iteratorINSA_7pointerIiNSA_11hip_rocprim3tagENSA_11use_defaultESG_EEEEPS6_NSA_18transform_iteratorI7is_evenIiENSC_INSA_10device_ptrIiEEEESG_SG_EENS0_5tupleIJPiSJ_EEENSR_IJSJ_SJ_EEES6_PlJS6_EEE10hipError_tPvRmT3_T4_T5_T6_T7_T9_mT8_P12ihipStream_tbDpT10_ENKUlT_T0_E_clISt17integral_constantIbLb1EES1F_EEDaS1A_S1B_EUlS1A_E_NS1_11comp_targetILNS1_3genE3ELNS1_11target_archE908ELNS1_3gpuE7ELNS1_3repE0EEENS1_30default_config_static_selectorELNS0_4arch9wavefront6targetE1EEEvT1_ ; -- Begin function _ZN7rocprim17ROCPRIM_400000_NS6detail17trampoline_kernelINS0_14default_configENS1_25partition_config_selectorILNS1_17partition_subalgoE2EiNS0_10empty_typeEbEEZZNS1_14partition_implILS5_2ELb0ES3_jN6thrust23THRUST_200600_302600_NS6detail15normal_iteratorINSA_7pointerIiNSA_11hip_rocprim3tagENSA_11use_defaultESG_EEEEPS6_NSA_18transform_iteratorI7is_evenIiENSC_INSA_10device_ptrIiEEEESG_SG_EENS0_5tupleIJPiSJ_EEENSR_IJSJ_SJ_EEES6_PlJS6_EEE10hipError_tPvRmT3_T4_T5_T6_T7_T9_mT8_P12ihipStream_tbDpT10_ENKUlT_T0_E_clISt17integral_constantIbLb1EES1F_EEDaS1A_S1B_EUlS1A_E_NS1_11comp_targetILNS1_3genE3ELNS1_11target_archE908ELNS1_3gpuE7ELNS1_3repE0EEENS1_30default_config_static_selectorELNS0_4arch9wavefront6targetE1EEEvT1_
	.globl	_ZN7rocprim17ROCPRIM_400000_NS6detail17trampoline_kernelINS0_14default_configENS1_25partition_config_selectorILNS1_17partition_subalgoE2EiNS0_10empty_typeEbEEZZNS1_14partition_implILS5_2ELb0ES3_jN6thrust23THRUST_200600_302600_NS6detail15normal_iteratorINSA_7pointerIiNSA_11hip_rocprim3tagENSA_11use_defaultESG_EEEEPS6_NSA_18transform_iteratorI7is_evenIiENSC_INSA_10device_ptrIiEEEESG_SG_EENS0_5tupleIJPiSJ_EEENSR_IJSJ_SJ_EEES6_PlJS6_EEE10hipError_tPvRmT3_T4_T5_T6_T7_T9_mT8_P12ihipStream_tbDpT10_ENKUlT_T0_E_clISt17integral_constantIbLb1EES1F_EEDaS1A_S1B_EUlS1A_E_NS1_11comp_targetILNS1_3genE3ELNS1_11target_archE908ELNS1_3gpuE7ELNS1_3repE0EEENS1_30default_config_static_selectorELNS0_4arch9wavefront6targetE1EEEvT1_
	.p2align	8
	.type	_ZN7rocprim17ROCPRIM_400000_NS6detail17trampoline_kernelINS0_14default_configENS1_25partition_config_selectorILNS1_17partition_subalgoE2EiNS0_10empty_typeEbEEZZNS1_14partition_implILS5_2ELb0ES3_jN6thrust23THRUST_200600_302600_NS6detail15normal_iteratorINSA_7pointerIiNSA_11hip_rocprim3tagENSA_11use_defaultESG_EEEEPS6_NSA_18transform_iteratorI7is_evenIiENSC_INSA_10device_ptrIiEEEESG_SG_EENS0_5tupleIJPiSJ_EEENSR_IJSJ_SJ_EEES6_PlJS6_EEE10hipError_tPvRmT3_T4_T5_T6_T7_T9_mT8_P12ihipStream_tbDpT10_ENKUlT_T0_E_clISt17integral_constantIbLb1EES1F_EEDaS1A_S1B_EUlS1A_E_NS1_11comp_targetILNS1_3genE3ELNS1_11target_archE908ELNS1_3gpuE7ELNS1_3repE0EEENS1_30default_config_static_selectorELNS0_4arch9wavefront6targetE1EEEvT1_,@function
_ZN7rocprim17ROCPRIM_400000_NS6detail17trampoline_kernelINS0_14default_configENS1_25partition_config_selectorILNS1_17partition_subalgoE2EiNS0_10empty_typeEbEEZZNS1_14partition_implILS5_2ELb0ES3_jN6thrust23THRUST_200600_302600_NS6detail15normal_iteratorINSA_7pointerIiNSA_11hip_rocprim3tagENSA_11use_defaultESG_EEEEPS6_NSA_18transform_iteratorI7is_evenIiENSC_INSA_10device_ptrIiEEEESG_SG_EENS0_5tupleIJPiSJ_EEENSR_IJSJ_SJ_EEES6_PlJS6_EEE10hipError_tPvRmT3_T4_T5_T6_T7_T9_mT8_P12ihipStream_tbDpT10_ENKUlT_T0_E_clISt17integral_constantIbLb1EES1F_EEDaS1A_S1B_EUlS1A_E_NS1_11comp_targetILNS1_3genE3ELNS1_11target_archE908ELNS1_3gpuE7ELNS1_3repE0EEENS1_30default_config_static_selectorELNS0_4arch9wavefront6targetE1EEEvT1_: ; @_ZN7rocprim17ROCPRIM_400000_NS6detail17trampoline_kernelINS0_14default_configENS1_25partition_config_selectorILNS1_17partition_subalgoE2EiNS0_10empty_typeEbEEZZNS1_14partition_implILS5_2ELb0ES3_jN6thrust23THRUST_200600_302600_NS6detail15normal_iteratorINSA_7pointerIiNSA_11hip_rocprim3tagENSA_11use_defaultESG_EEEEPS6_NSA_18transform_iteratorI7is_evenIiENSC_INSA_10device_ptrIiEEEESG_SG_EENS0_5tupleIJPiSJ_EEENSR_IJSJ_SJ_EEES6_PlJS6_EEE10hipError_tPvRmT3_T4_T5_T6_T7_T9_mT8_P12ihipStream_tbDpT10_ENKUlT_T0_E_clISt17integral_constantIbLb1EES1F_EEDaS1A_S1B_EUlS1A_E_NS1_11comp_targetILNS1_3genE3ELNS1_11target_archE908ELNS1_3gpuE7ELNS1_3repE0EEENS1_30default_config_static_selectorELNS0_4arch9wavefront6targetE1EEEvT1_
; %bb.0:
	.section	.rodata,"a",@progbits
	.p2align	6, 0x0
	.amdhsa_kernel _ZN7rocprim17ROCPRIM_400000_NS6detail17trampoline_kernelINS0_14default_configENS1_25partition_config_selectorILNS1_17partition_subalgoE2EiNS0_10empty_typeEbEEZZNS1_14partition_implILS5_2ELb0ES3_jN6thrust23THRUST_200600_302600_NS6detail15normal_iteratorINSA_7pointerIiNSA_11hip_rocprim3tagENSA_11use_defaultESG_EEEEPS6_NSA_18transform_iteratorI7is_evenIiENSC_INSA_10device_ptrIiEEEESG_SG_EENS0_5tupleIJPiSJ_EEENSR_IJSJ_SJ_EEES6_PlJS6_EEE10hipError_tPvRmT3_T4_T5_T6_T7_T9_mT8_P12ihipStream_tbDpT10_ENKUlT_T0_E_clISt17integral_constantIbLb1EES1F_EEDaS1A_S1B_EUlS1A_E_NS1_11comp_targetILNS1_3genE3ELNS1_11target_archE908ELNS1_3gpuE7ELNS1_3repE0EEENS1_30default_config_static_selectorELNS0_4arch9wavefront6targetE1EEEvT1_
		.amdhsa_group_segment_fixed_size 0
		.amdhsa_private_segment_fixed_size 0
		.amdhsa_kernarg_size 144
		.amdhsa_user_sgpr_count 6
		.amdhsa_user_sgpr_private_segment_buffer 1
		.amdhsa_user_sgpr_dispatch_ptr 0
		.amdhsa_user_sgpr_queue_ptr 0
		.amdhsa_user_sgpr_kernarg_segment_ptr 1
		.amdhsa_user_sgpr_dispatch_id 0
		.amdhsa_user_sgpr_flat_scratch_init 0
		.amdhsa_user_sgpr_kernarg_preload_length 0
		.amdhsa_user_sgpr_kernarg_preload_offset 0
		.amdhsa_user_sgpr_private_segment_size 0
		.amdhsa_uses_dynamic_stack 0
		.amdhsa_system_sgpr_private_segment_wavefront_offset 0
		.amdhsa_system_sgpr_workgroup_id_x 1
		.amdhsa_system_sgpr_workgroup_id_y 0
		.amdhsa_system_sgpr_workgroup_id_z 0
		.amdhsa_system_sgpr_workgroup_info 0
		.amdhsa_system_vgpr_workitem_id 0
		.amdhsa_next_free_vgpr 1
		.amdhsa_next_free_sgpr 0
		.amdhsa_accum_offset 4
		.amdhsa_reserve_vcc 0
		.amdhsa_reserve_flat_scratch 0
		.amdhsa_float_round_mode_32 0
		.amdhsa_float_round_mode_16_64 0
		.amdhsa_float_denorm_mode_32 3
		.amdhsa_float_denorm_mode_16_64 3
		.amdhsa_dx10_clamp 1
		.amdhsa_ieee_mode 1
		.amdhsa_fp16_overflow 0
		.amdhsa_tg_split 0
		.amdhsa_exception_fp_ieee_invalid_op 0
		.amdhsa_exception_fp_denorm_src 0
		.amdhsa_exception_fp_ieee_div_zero 0
		.amdhsa_exception_fp_ieee_overflow 0
		.amdhsa_exception_fp_ieee_underflow 0
		.amdhsa_exception_fp_ieee_inexact 0
		.amdhsa_exception_int_div_zero 0
	.end_amdhsa_kernel
	.section	.text._ZN7rocprim17ROCPRIM_400000_NS6detail17trampoline_kernelINS0_14default_configENS1_25partition_config_selectorILNS1_17partition_subalgoE2EiNS0_10empty_typeEbEEZZNS1_14partition_implILS5_2ELb0ES3_jN6thrust23THRUST_200600_302600_NS6detail15normal_iteratorINSA_7pointerIiNSA_11hip_rocprim3tagENSA_11use_defaultESG_EEEEPS6_NSA_18transform_iteratorI7is_evenIiENSC_INSA_10device_ptrIiEEEESG_SG_EENS0_5tupleIJPiSJ_EEENSR_IJSJ_SJ_EEES6_PlJS6_EEE10hipError_tPvRmT3_T4_T5_T6_T7_T9_mT8_P12ihipStream_tbDpT10_ENKUlT_T0_E_clISt17integral_constantIbLb1EES1F_EEDaS1A_S1B_EUlS1A_E_NS1_11comp_targetILNS1_3genE3ELNS1_11target_archE908ELNS1_3gpuE7ELNS1_3repE0EEENS1_30default_config_static_selectorELNS0_4arch9wavefront6targetE1EEEvT1_,"axG",@progbits,_ZN7rocprim17ROCPRIM_400000_NS6detail17trampoline_kernelINS0_14default_configENS1_25partition_config_selectorILNS1_17partition_subalgoE2EiNS0_10empty_typeEbEEZZNS1_14partition_implILS5_2ELb0ES3_jN6thrust23THRUST_200600_302600_NS6detail15normal_iteratorINSA_7pointerIiNSA_11hip_rocprim3tagENSA_11use_defaultESG_EEEEPS6_NSA_18transform_iteratorI7is_evenIiENSC_INSA_10device_ptrIiEEEESG_SG_EENS0_5tupleIJPiSJ_EEENSR_IJSJ_SJ_EEES6_PlJS6_EEE10hipError_tPvRmT3_T4_T5_T6_T7_T9_mT8_P12ihipStream_tbDpT10_ENKUlT_T0_E_clISt17integral_constantIbLb1EES1F_EEDaS1A_S1B_EUlS1A_E_NS1_11comp_targetILNS1_3genE3ELNS1_11target_archE908ELNS1_3gpuE7ELNS1_3repE0EEENS1_30default_config_static_selectorELNS0_4arch9wavefront6targetE1EEEvT1_,comdat
.Lfunc_end234:
	.size	_ZN7rocprim17ROCPRIM_400000_NS6detail17trampoline_kernelINS0_14default_configENS1_25partition_config_selectorILNS1_17partition_subalgoE2EiNS0_10empty_typeEbEEZZNS1_14partition_implILS5_2ELb0ES3_jN6thrust23THRUST_200600_302600_NS6detail15normal_iteratorINSA_7pointerIiNSA_11hip_rocprim3tagENSA_11use_defaultESG_EEEEPS6_NSA_18transform_iteratorI7is_evenIiENSC_INSA_10device_ptrIiEEEESG_SG_EENS0_5tupleIJPiSJ_EEENSR_IJSJ_SJ_EEES6_PlJS6_EEE10hipError_tPvRmT3_T4_T5_T6_T7_T9_mT8_P12ihipStream_tbDpT10_ENKUlT_T0_E_clISt17integral_constantIbLb1EES1F_EEDaS1A_S1B_EUlS1A_E_NS1_11comp_targetILNS1_3genE3ELNS1_11target_archE908ELNS1_3gpuE7ELNS1_3repE0EEENS1_30default_config_static_selectorELNS0_4arch9wavefront6targetE1EEEvT1_, .Lfunc_end234-_ZN7rocprim17ROCPRIM_400000_NS6detail17trampoline_kernelINS0_14default_configENS1_25partition_config_selectorILNS1_17partition_subalgoE2EiNS0_10empty_typeEbEEZZNS1_14partition_implILS5_2ELb0ES3_jN6thrust23THRUST_200600_302600_NS6detail15normal_iteratorINSA_7pointerIiNSA_11hip_rocprim3tagENSA_11use_defaultESG_EEEEPS6_NSA_18transform_iteratorI7is_evenIiENSC_INSA_10device_ptrIiEEEESG_SG_EENS0_5tupleIJPiSJ_EEENSR_IJSJ_SJ_EEES6_PlJS6_EEE10hipError_tPvRmT3_T4_T5_T6_T7_T9_mT8_P12ihipStream_tbDpT10_ENKUlT_T0_E_clISt17integral_constantIbLb1EES1F_EEDaS1A_S1B_EUlS1A_E_NS1_11comp_targetILNS1_3genE3ELNS1_11target_archE908ELNS1_3gpuE7ELNS1_3repE0EEENS1_30default_config_static_selectorELNS0_4arch9wavefront6targetE1EEEvT1_
                                        ; -- End function
	.section	.AMDGPU.csdata,"",@progbits
; Kernel info:
; codeLenInByte = 0
; NumSgprs: 4
; NumVgprs: 0
; NumAgprs: 0
; TotalNumVgprs: 0
; ScratchSize: 0
; MemoryBound: 0
; FloatMode: 240
; IeeeMode: 1
; LDSByteSize: 0 bytes/workgroup (compile time only)
; SGPRBlocks: 0
; VGPRBlocks: 0
; NumSGPRsForWavesPerEU: 4
; NumVGPRsForWavesPerEU: 1
; AccumOffset: 4
; Occupancy: 8
; WaveLimiterHint : 0
; COMPUTE_PGM_RSRC2:SCRATCH_EN: 0
; COMPUTE_PGM_RSRC2:USER_SGPR: 6
; COMPUTE_PGM_RSRC2:TRAP_HANDLER: 0
; COMPUTE_PGM_RSRC2:TGID_X_EN: 1
; COMPUTE_PGM_RSRC2:TGID_Y_EN: 0
; COMPUTE_PGM_RSRC2:TGID_Z_EN: 0
; COMPUTE_PGM_RSRC2:TIDIG_COMP_CNT: 0
; COMPUTE_PGM_RSRC3_GFX90A:ACCUM_OFFSET: 0
; COMPUTE_PGM_RSRC3_GFX90A:TG_SPLIT: 0
	.section	.text._ZN7rocprim17ROCPRIM_400000_NS6detail17trampoline_kernelINS0_14default_configENS1_25partition_config_selectorILNS1_17partition_subalgoE2EiNS0_10empty_typeEbEEZZNS1_14partition_implILS5_2ELb0ES3_jN6thrust23THRUST_200600_302600_NS6detail15normal_iteratorINSA_7pointerIiNSA_11hip_rocprim3tagENSA_11use_defaultESG_EEEEPS6_NSA_18transform_iteratorI7is_evenIiENSC_INSA_10device_ptrIiEEEESG_SG_EENS0_5tupleIJPiSJ_EEENSR_IJSJ_SJ_EEES6_PlJS6_EEE10hipError_tPvRmT3_T4_T5_T6_T7_T9_mT8_P12ihipStream_tbDpT10_ENKUlT_T0_E_clISt17integral_constantIbLb1EES1F_EEDaS1A_S1B_EUlS1A_E_NS1_11comp_targetILNS1_3genE2ELNS1_11target_archE906ELNS1_3gpuE6ELNS1_3repE0EEENS1_30default_config_static_selectorELNS0_4arch9wavefront6targetE1EEEvT1_,"axG",@progbits,_ZN7rocprim17ROCPRIM_400000_NS6detail17trampoline_kernelINS0_14default_configENS1_25partition_config_selectorILNS1_17partition_subalgoE2EiNS0_10empty_typeEbEEZZNS1_14partition_implILS5_2ELb0ES3_jN6thrust23THRUST_200600_302600_NS6detail15normal_iteratorINSA_7pointerIiNSA_11hip_rocprim3tagENSA_11use_defaultESG_EEEEPS6_NSA_18transform_iteratorI7is_evenIiENSC_INSA_10device_ptrIiEEEESG_SG_EENS0_5tupleIJPiSJ_EEENSR_IJSJ_SJ_EEES6_PlJS6_EEE10hipError_tPvRmT3_T4_T5_T6_T7_T9_mT8_P12ihipStream_tbDpT10_ENKUlT_T0_E_clISt17integral_constantIbLb1EES1F_EEDaS1A_S1B_EUlS1A_E_NS1_11comp_targetILNS1_3genE2ELNS1_11target_archE906ELNS1_3gpuE6ELNS1_3repE0EEENS1_30default_config_static_selectorELNS0_4arch9wavefront6targetE1EEEvT1_,comdat
	.protected	_ZN7rocprim17ROCPRIM_400000_NS6detail17trampoline_kernelINS0_14default_configENS1_25partition_config_selectorILNS1_17partition_subalgoE2EiNS0_10empty_typeEbEEZZNS1_14partition_implILS5_2ELb0ES3_jN6thrust23THRUST_200600_302600_NS6detail15normal_iteratorINSA_7pointerIiNSA_11hip_rocprim3tagENSA_11use_defaultESG_EEEEPS6_NSA_18transform_iteratorI7is_evenIiENSC_INSA_10device_ptrIiEEEESG_SG_EENS0_5tupleIJPiSJ_EEENSR_IJSJ_SJ_EEES6_PlJS6_EEE10hipError_tPvRmT3_T4_T5_T6_T7_T9_mT8_P12ihipStream_tbDpT10_ENKUlT_T0_E_clISt17integral_constantIbLb1EES1F_EEDaS1A_S1B_EUlS1A_E_NS1_11comp_targetILNS1_3genE2ELNS1_11target_archE906ELNS1_3gpuE6ELNS1_3repE0EEENS1_30default_config_static_selectorELNS0_4arch9wavefront6targetE1EEEvT1_ ; -- Begin function _ZN7rocprim17ROCPRIM_400000_NS6detail17trampoline_kernelINS0_14default_configENS1_25partition_config_selectorILNS1_17partition_subalgoE2EiNS0_10empty_typeEbEEZZNS1_14partition_implILS5_2ELb0ES3_jN6thrust23THRUST_200600_302600_NS6detail15normal_iteratorINSA_7pointerIiNSA_11hip_rocprim3tagENSA_11use_defaultESG_EEEEPS6_NSA_18transform_iteratorI7is_evenIiENSC_INSA_10device_ptrIiEEEESG_SG_EENS0_5tupleIJPiSJ_EEENSR_IJSJ_SJ_EEES6_PlJS6_EEE10hipError_tPvRmT3_T4_T5_T6_T7_T9_mT8_P12ihipStream_tbDpT10_ENKUlT_T0_E_clISt17integral_constantIbLb1EES1F_EEDaS1A_S1B_EUlS1A_E_NS1_11comp_targetILNS1_3genE2ELNS1_11target_archE906ELNS1_3gpuE6ELNS1_3repE0EEENS1_30default_config_static_selectorELNS0_4arch9wavefront6targetE1EEEvT1_
	.globl	_ZN7rocprim17ROCPRIM_400000_NS6detail17trampoline_kernelINS0_14default_configENS1_25partition_config_selectorILNS1_17partition_subalgoE2EiNS0_10empty_typeEbEEZZNS1_14partition_implILS5_2ELb0ES3_jN6thrust23THRUST_200600_302600_NS6detail15normal_iteratorINSA_7pointerIiNSA_11hip_rocprim3tagENSA_11use_defaultESG_EEEEPS6_NSA_18transform_iteratorI7is_evenIiENSC_INSA_10device_ptrIiEEEESG_SG_EENS0_5tupleIJPiSJ_EEENSR_IJSJ_SJ_EEES6_PlJS6_EEE10hipError_tPvRmT3_T4_T5_T6_T7_T9_mT8_P12ihipStream_tbDpT10_ENKUlT_T0_E_clISt17integral_constantIbLb1EES1F_EEDaS1A_S1B_EUlS1A_E_NS1_11comp_targetILNS1_3genE2ELNS1_11target_archE906ELNS1_3gpuE6ELNS1_3repE0EEENS1_30default_config_static_selectorELNS0_4arch9wavefront6targetE1EEEvT1_
	.p2align	8
	.type	_ZN7rocprim17ROCPRIM_400000_NS6detail17trampoline_kernelINS0_14default_configENS1_25partition_config_selectorILNS1_17partition_subalgoE2EiNS0_10empty_typeEbEEZZNS1_14partition_implILS5_2ELb0ES3_jN6thrust23THRUST_200600_302600_NS6detail15normal_iteratorINSA_7pointerIiNSA_11hip_rocprim3tagENSA_11use_defaultESG_EEEEPS6_NSA_18transform_iteratorI7is_evenIiENSC_INSA_10device_ptrIiEEEESG_SG_EENS0_5tupleIJPiSJ_EEENSR_IJSJ_SJ_EEES6_PlJS6_EEE10hipError_tPvRmT3_T4_T5_T6_T7_T9_mT8_P12ihipStream_tbDpT10_ENKUlT_T0_E_clISt17integral_constantIbLb1EES1F_EEDaS1A_S1B_EUlS1A_E_NS1_11comp_targetILNS1_3genE2ELNS1_11target_archE906ELNS1_3gpuE6ELNS1_3repE0EEENS1_30default_config_static_selectorELNS0_4arch9wavefront6targetE1EEEvT1_,@function
_ZN7rocprim17ROCPRIM_400000_NS6detail17trampoline_kernelINS0_14default_configENS1_25partition_config_selectorILNS1_17partition_subalgoE2EiNS0_10empty_typeEbEEZZNS1_14partition_implILS5_2ELb0ES3_jN6thrust23THRUST_200600_302600_NS6detail15normal_iteratorINSA_7pointerIiNSA_11hip_rocprim3tagENSA_11use_defaultESG_EEEEPS6_NSA_18transform_iteratorI7is_evenIiENSC_INSA_10device_ptrIiEEEESG_SG_EENS0_5tupleIJPiSJ_EEENSR_IJSJ_SJ_EEES6_PlJS6_EEE10hipError_tPvRmT3_T4_T5_T6_T7_T9_mT8_P12ihipStream_tbDpT10_ENKUlT_T0_E_clISt17integral_constantIbLb1EES1F_EEDaS1A_S1B_EUlS1A_E_NS1_11comp_targetILNS1_3genE2ELNS1_11target_archE906ELNS1_3gpuE6ELNS1_3repE0EEENS1_30default_config_static_selectorELNS0_4arch9wavefront6targetE1EEEvT1_: ; @_ZN7rocprim17ROCPRIM_400000_NS6detail17trampoline_kernelINS0_14default_configENS1_25partition_config_selectorILNS1_17partition_subalgoE2EiNS0_10empty_typeEbEEZZNS1_14partition_implILS5_2ELb0ES3_jN6thrust23THRUST_200600_302600_NS6detail15normal_iteratorINSA_7pointerIiNSA_11hip_rocprim3tagENSA_11use_defaultESG_EEEEPS6_NSA_18transform_iteratorI7is_evenIiENSC_INSA_10device_ptrIiEEEESG_SG_EENS0_5tupleIJPiSJ_EEENSR_IJSJ_SJ_EEES6_PlJS6_EEE10hipError_tPvRmT3_T4_T5_T6_T7_T9_mT8_P12ihipStream_tbDpT10_ENKUlT_T0_E_clISt17integral_constantIbLb1EES1F_EEDaS1A_S1B_EUlS1A_E_NS1_11comp_targetILNS1_3genE2ELNS1_11target_archE906ELNS1_3gpuE6ELNS1_3repE0EEENS1_30default_config_static_selectorELNS0_4arch9wavefront6targetE1EEEvT1_
; %bb.0:
	.section	.rodata,"a",@progbits
	.p2align	6, 0x0
	.amdhsa_kernel _ZN7rocprim17ROCPRIM_400000_NS6detail17trampoline_kernelINS0_14default_configENS1_25partition_config_selectorILNS1_17partition_subalgoE2EiNS0_10empty_typeEbEEZZNS1_14partition_implILS5_2ELb0ES3_jN6thrust23THRUST_200600_302600_NS6detail15normal_iteratorINSA_7pointerIiNSA_11hip_rocprim3tagENSA_11use_defaultESG_EEEEPS6_NSA_18transform_iteratorI7is_evenIiENSC_INSA_10device_ptrIiEEEESG_SG_EENS0_5tupleIJPiSJ_EEENSR_IJSJ_SJ_EEES6_PlJS6_EEE10hipError_tPvRmT3_T4_T5_T6_T7_T9_mT8_P12ihipStream_tbDpT10_ENKUlT_T0_E_clISt17integral_constantIbLb1EES1F_EEDaS1A_S1B_EUlS1A_E_NS1_11comp_targetILNS1_3genE2ELNS1_11target_archE906ELNS1_3gpuE6ELNS1_3repE0EEENS1_30default_config_static_selectorELNS0_4arch9wavefront6targetE1EEEvT1_
		.amdhsa_group_segment_fixed_size 0
		.amdhsa_private_segment_fixed_size 0
		.amdhsa_kernarg_size 144
		.amdhsa_user_sgpr_count 6
		.amdhsa_user_sgpr_private_segment_buffer 1
		.amdhsa_user_sgpr_dispatch_ptr 0
		.amdhsa_user_sgpr_queue_ptr 0
		.amdhsa_user_sgpr_kernarg_segment_ptr 1
		.amdhsa_user_sgpr_dispatch_id 0
		.amdhsa_user_sgpr_flat_scratch_init 0
		.amdhsa_user_sgpr_kernarg_preload_length 0
		.amdhsa_user_sgpr_kernarg_preload_offset 0
		.amdhsa_user_sgpr_private_segment_size 0
		.amdhsa_uses_dynamic_stack 0
		.amdhsa_system_sgpr_private_segment_wavefront_offset 0
		.amdhsa_system_sgpr_workgroup_id_x 1
		.amdhsa_system_sgpr_workgroup_id_y 0
		.amdhsa_system_sgpr_workgroup_id_z 0
		.amdhsa_system_sgpr_workgroup_info 0
		.amdhsa_system_vgpr_workitem_id 0
		.amdhsa_next_free_vgpr 1
		.amdhsa_next_free_sgpr 0
		.amdhsa_accum_offset 4
		.amdhsa_reserve_vcc 0
		.amdhsa_reserve_flat_scratch 0
		.amdhsa_float_round_mode_32 0
		.amdhsa_float_round_mode_16_64 0
		.amdhsa_float_denorm_mode_32 3
		.amdhsa_float_denorm_mode_16_64 3
		.amdhsa_dx10_clamp 1
		.amdhsa_ieee_mode 1
		.amdhsa_fp16_overflow 0
		.amdhsa_tg_split 0
		.amdhsa_exception_fp_ieee_invalid_op 0
		.amdhsa_exception_fp_denorm_src 0
		.amdhsa_exception_fp_ieee_div_zero 0
		.amdhsa_exception_fp_ieee_overflow 0
		.amdhsa_exception_fp_ieee_underflow 0
		.amdhsa_exception_fp_ieee_inexact 0
		.amdhsa_exception_int_div_zero 0
	.end_amdhsa_kernel
	.section	.text._ZN7rocprim17ROCPRIM_400000_NS6detail17trampoline_kernelINS0_14default_configENS1_25partition_config_selectorILNS1_17partition_subalgoE2EiNS0_10empty_typeEbEEZZNS1_14partition_implILS5_2ELb0ES3_jN6thrust23THRUST_200600_302600_NS6detail15normal_iteratorINSA_7pointerIiNSA_11hip_rocprim3tagENSA_11use_defaultESG_EEEEPS6_NSA_18transform_iteratorI7is_evenIiENSC_INSA_10device_ptrIiEEEESG_SG_EENS0_5tupleIJPiSJ_EEENSR_IJSJ_SJ_EEES6_PlJS6_EEE10hipError_tPvRmT3_T4_T5_T6_T7_T9_mT8_P12ihipStream_tbDpT10_ENKUlT_T0_E_clISt17integral_constantIbLb1EES1F_EEDaS1A_S1B_EUlS1A_E_NS1_11comp_targetILNS1_3genE2ELNS1_11target_archE906ELNS1_3gpuE6ELNS1_3repE0EEENS1_30default_config_static_selectorELNS0_4arch9wavefront6targetE1EEEvT1_,"axG",@progbits,_ZN7rocprim17ROCPRIM_400000_NS6detail17trampoline_kernelINS0_14default_configENS1_25partition_config_selectorILNS1_17partition_subalgoE2EiNS0_10empty_typeEbEEZZNS1_14partition_implILS5_2ELb0ES3_jN6thrust23THRUST_200600_302600_NS6detail15normal_iteratorINSA_7pointerIiNSA_11hip_rocprim3tagENSA_11use_defaultESG_EEEEPS6_NSA_18transform_iteratorI7is_evenIiENSC_INSA_10device_ptrIiEEEESG_SG_EENS0_5tupleIJPiSJ_EEENSR_IJSJ_SJ_EEES6_PlJS6_EEE10hipError_tPvRmT3_T4_T5_T6_T7_T9_mT8_P12ihipStream_tbDpT10_ENKUlT_T0_E_clISt17integral_constantIbLb1EES1F_EEDaS1A_S1B_EUlS1A_E_NS1_11comp_targetILNS1_3genE2ELNS1_11target_archE906ELNS1_3gpuE6ELNS1_3repE0EEENS1_30default_config_static_selectorELNS0_4arch9wavefront6targetE1EEEvT1_,comdat
.Lfunc_end235:
	.size	_ZN7rocprim17ROCPRIM_400000_NS6detail17trampoline_kernelINS0_14default_configENS1_25partition_config_selectorILNS1_17partition_subalgoE2EiNS0_10empty_typeEbEEZZNS1_14partition_implILS5_2ELb0ES3_jN6thrust23THRUST_200600_302600_NS6detail15normal_iteratorINSA_7pointerIiNSA_11hip_rocprim3tagENSA_11use_defaultESG_EEEEPS6_NSA_18transform_iteratorI7is_evenIiENSC_INSA_10device_ptrIiEEEESG_SG_EENS0_5tupleIJPiSJ_EEENSR_IJSJ_SJ_EEES6_PlJS6_EEE10hipError_tPvRmT3_T4_T5_T6_T7_T9_mT8_P12ihipStream_tbDpT10_ENKUlT_T0_E_clISt17integral_constantIbLb1EES1F_EEDaS1A_S1B_EUlS1A_E_NS1_11comp_targetILNS1_3genE2ELNS1_11target_archE906ELNS1_3gpuE6ELNS1_3repE0EEENS1_30default_config_static_selectorELNS0_4arch9wavefront6targetE1EEEvT1_, .Lfunc_end235-_ZN7rocprim17ROCPRIM_400000_NS6detail17trampoline_kernelINS0_14default_configENS1_25partition_config_selectorILNS1_17partition_subalgoE2EiNS0_10empty_typeEbEEZZNS1_14partition_implILS5_2ELb0ES3_jN6thrust23THRUST_200600_302600_NS6detail15normal_iteratorINSA_7pointerIiNSA_11hip_rocprim3tagENSA_11use_defaultESG_EEEEPS6_NSA_18transform_iteratorI7is_evenIiENSC_INSA_10device_ptrIiEEEESG_SG_EENS0_5tupleIJPiSJ_EEENSR_IJSJ_SJ_EEES6_PlJS6_EEE10hipError_tPvRmT3_T4_T5_T6_T7_T9_mT8_P12ihipStream_tbDpT10_ENKUlT_T0_E_clISt17integral_constantIbLb1EES1F_EEDaS1A_S1B_EUlS1A_E_NS1_11comp_targetILNS1_3genE2ELNS1_11target_archE906ELNS1_3gpuE6ELNS1_3repE0EEENS1_30default_config_static_selectorELNS0_4arch9wavefront6targetE1EEEvT1_
                                        ; -- End function
	.section	.AMDGPU.csdata,"",@progbits
; Kernel info:
; codeLenInByte = 0
; NumSgprs: 4
; NumVgprs: 0
; NumAgprs: 0
; TotalNumVgprs: 0
; ScratchSize: 0
; MemoryBound: 0
; FloatMode: 240
; IeeeMode: 1
; LDSByteSize: 0 bytes/workgroup (compile time only)
; SGPRBlocks: 0
; VGPRBlocks: 0
; NumSGPRsForWavesPerEU: 4
; NumVGPRsForWavesPerEU: 1
; AccumOffset: 4
; Occupancy: 8
; WaveLimiterHint : 0
; COMPUTE_PGM_RSRC2:SCRATCH_EN: 0
; COMPUTE_PGM_RSRC2:USER_SGPR: 6
; COMPUTE_PGM_RSRC2:TRAP_HANDLER: 0
; COMPUTE_PGM_RSRC2:TGID_X_EN: 1
; COMPUTE_PGM_RSRC2:TGID_Y_EN: 0
; COMPUTE_PGM_RSRC2:TGID_Z_EN: 0
; COMPUTE_PGM_RSRC2:TIDIG_COMP_CNT: 0
; COMPUTE_PGM_RSRC3_GFX90A:ACCUM_OFFSET: 0
; COMPUTE_PGM_RSRC3_GFX90A:TG_SPLIT: 0
	.section	.text._ZN7rocprim17ROCPRIM_400000_NS6detail17trampoline_kernelINS0_14default_configENS1_25partition_config_selectorILNS1_17partition_subalgoE2EiNS0_10empty_typeEbEEZZNS1_14partition_implILS5_2ELb0ES3_jN6thrust23THRUST_200600_302600_NS6detail15normal_iteratorINSA_7pointerIiNSA_11hip_rocprim3tagENSA_11use_defaultESG_EEEEPS6_NSA_18transform_iteratorI7is_evenIiENSC_INSA_10device_ptrIiEEEESG_SG_EENS0_5tupleIJPiSJ_EEENSR_IJSJ_SJ_EEES6_PlJS6_EEE10hipError_tPvRmT3_T4_T5_T6_T7_T9_mT8_P12ihipStream_tbDpT10_ENKUlT_T0_E_clISt17integral_constantIbLb1EES1F_EEDaS1A_S1B_EUlS1A_E_NS1_11comp_targetILNS1_3genE10ELNS1_11target_archE1200ELNS1_3gpuE4ELNS1_3repE0EEENS1_30default_config_static_selectorELNS0_4arch9wavefront6targetE1EEEvT1_,"axG",@progbits,_ZN7rocprim17ROCPRIM_400000_NS6detail17trampoline_kernelINS0_14default_configENS1_25partition_config_selectorILNS1_17partition_subalgoE2EiNS0_10empty_typeEbEEZZNS1_14partition_implILS5_2ELb0ES3_jN6thrust23THRUST_200600_302600_NS6detail15normal_iteratorINSA_7pointerIiNSA_11hip_rocprim3tagENSA_11use_defaultESG_EEEEPS6_NSA_18transform_iteratorI7is_evenIiENSC_INSA_10device_ptrIiEEEESG_SG_EENS0_5tupleIJPiSJ_EEENSR_IJSJ_SJ_EEES6_PlJS6_EEE10hipError_tPvRmT3_T4_T5_T6_T7_T9_mT8_P12ihipStream_tbDpT10_ENKUlT_T0_E_clISt17integral_constantIbLb1EES1F_EEDaS1A_S1B_EUlS1A_E_NS1_11comp_targetILNS1_3genE10ELNS1_11target_archE1200ELNS1_3gpuE4ELNS1_3repE0EEENS1_30default_config_static_selectorELNS0_4arch9wavefront6targetE1EEEvT1_,comdat
	.protected	_ZN7rocprim17ROCPRIM_400000_NS6detail17trampoline_kernelINS0_14default_configENS1_25partition_config_selectorILNS1_17partition_subalgoE2EiNS0_10empty_typeEbEEZZNS1_14partition_implILS5_2ELb0ES3_jN6thrust23THRUST_200600_302600_NS6detail15normal_iteratorINSA_7pointerIiNSA_11hip_rocprim3tagENSA_11use_defaultESG_EEEEPS6_NSA_18transform_iteratorI7is_evenIiENSC_INSA_10device_ptrIiEEEESG_SG_EENS0_5tupleIJPiSJ_EEENSR_IJSJ_SJ_EEES6_PlJS6_EEE10hipError_tPvRmT3_T4_T5_T6_T7_T9_mT8_P12ihipStream_tbDpT10_ENKUlT_T0_E_clISt17integral_constantIbLb1EES1F_EEDaS1A_S1B_EUlS1A_E_NS1_11comp_targetILNS1_3genE10ELNS1_11target_archE1200ELNS1_3gpuE4ELNS1_3repE0EEENS1_30default_config_static_selectorELNS0_4arch9wavefront6targetE1EEEvT1_ ; -- Begin function _ZN7rocprim17ROCPRIM_400000_NS6detail17trampoline_kernelINS0_14default_configENS1_25partition_config_selectorILNS1_17partition_subalgoE2EiNS0_10empty_typeEbEEZZNS1_14partition_implILS5_2ELb0ES3_jN6thrust23THRUST_200600_302600_NS6detail15normal_iteratorINSA_7pointerIiNSA_11hip_rocprim3tagENSA_11use_defaultESG_EEEEPS6_NSA_18transform_iteratorI7is_evenIiENSC_INSA_10device_ptrIiEEEESG_SG_EENS0_5tupleIJPiSJ_EEENSR_IJSJ_SJ_EEES6_PlJS6_EEE10hipError_tPvRmT3_T4_T5_T6_T7_T9_mT8_P12ihipStream_tbDpT10_ENKUlT_T0_E_clISt17integral_constantIbLb1EES1F_EEDaS1A_S1B_EUlS1A_E_NS1_11comp_targetILNS1_3genE10ELNS1_11target_archE1200ELNS1_3gpuE4ELNS1_3repE0EEENS1_30default_config_static_selectorELNS0_4arch9wavefront6targetE1EEEvT1_
	.globl	_ZN7rocprim17ROCPRIM_400000_NS6detail17trampoline_kernelINS0_14default_configENS1_25partition_config_selectorILNS1_17partition_subalgoE2EiNS0_10empty_typeEbEEZZNS1_14partition_implILS5_2ELb0ES3_jN6thrust23THRUST_200600_302600_NS6detail15normal_iteratorINSA_7pointerIiNSA_11hip_rocprim3tagENSA_11use_defaultESG_EEEEPS6_NSA_18transform_iteratorI7is_evenIiENSC_INSA_10device_ptrIiEEEESG_SG_EENS0_5tupleIJPiSJ_EEENSR_IJSJ_SJ_EEES6_PlJS6_EEE10hipError_tPvRmT3_T4_T5_T6_T7_T9_mT8_P12ihipStream_tbDpT10_ENKUlT_T0_E_clISt17integral_constantIbLb1EES1F_EEDaS1A_S1B_EUlS1A_E_NS1_11comp_targetILNS1_3genE10ELNS1_11target_archE1200ELNS1_3gpuE4ELNS1_3repE0EEENS1_30default_config_static_selectorELNS0_4arch9wavefront6targetE1EEEvT1_
	.p2align	8
	.type	_ZN7rocprim17ROCPRIM_400000_NS6detail17trampoline_kernelINS0_14default_configENS1_25partition_config_selectorILNS1_17partition_subalgoE2EiNS0_10empty_typeEbEEZZNS1_14partition_implILS5_2ELb0ES3_jN6thrust23THRUST_200600_302600_NS6detail15normal_iteratorINSA_7pointerIiNSA_11hip_rocprim3tagENSA_11use_defaultESG_EEEEPS6_NSA_18transform_iteratorI7is_evenIiENSC_INSA_10device_ptrIiEEEESG_SG_EENS0_5tupleIJPiSJ_EEENSR_IJSJ_SJ_EEES6_PlJS6_EEE10hipError_tPvRmT3_T4_T5_T6_T7_T9_mT8_P12ihipStream_tbDpT10_ENKUlT_T0_E_clISt17integral_constantIbLb1EES1F_EEDaS1A_S1B_EUlS1A_E_NS1_11comp_targetILNS1_3genE10ELNS1_11target_archE1200ELNS1_3gpuE4ELNS1_3repE0EEENS1_30default_config_static_selectorELNS0_4arch9wavefront6targetE1EEEvT1_,@function
_ZN7rocprim17ROCPRIM_400000_NS6detail17trampoline_kernelINS0_14default_configENS1_25partition_config_selectorILNS1_17partition_subalgoE2EiNS0_10empty_typeEbEEZZNS1_14partition_implILS5_2ELb0ES3_jN6thrust23THRUST_200600_302600_NS6detail15normal_iteratorINSA_7pointerIiNSA_11hip_rocprim3tagENSA_11use_defaultESG_EEEEPS6_NSA_18transform_iteratorI7is_evenIiENSC_INSA_10device_ptrIiEEEESG_SG_EENS0_5tupleIJPiSJ_EEENSR_IJSJ_SJ_EEES6_PlJS6_EEE10hipError_tPvRmT3_T4_T5_T6_T7_T9_mT8_P12ihipStream_tbDpT10_ENKUlT_T0_E_clISt17integral_constantIbLb1EES1F_EEDaS1A_S1B_EUlS1A_E_NS1_11comp_targetILNS1_3genE10ELNS1_11target_archE1200ELNS1_3gpuE4ELNS1_3repE0EEENS1_30default_config_static_selectorELNS0_4arch9wavefront6targetE1EEEvT1_: ; @_ZN7rocprim17ROCPRIM_400000_NS6detail17trampoline_kernelINS0_14default_configENS1_25partition_config_selectorILNS1_17partition_subalgoE2EiNS0_10empty_typeEbEEZZNS1_14partition_implILS5_2ELb0ES3_jN6thrust23THRUST_200600_302600_NS6detail15normal_iteratorINSA_7pointerIiNSA_11hip_rocprim3tagENSA_11use_defaultESG_EEEEPS6_NSA_18transform_iteratorI7is_evenIiENSC_INSA_10device_ptrIiEEEESG_SG_EENS0_5tupleIJPiSJ_EEENSR_IJSJ_SJ_EEES6_PlJS6_EEE10hipError_tPvRmT3_T4_T5_T6_T7_T9_mT8_P12ihipStream_tbDpT10_ENKUlT_T0_E_clISt17integral_constantIbLb1EES1F_EEDaS1A_S1B_EUlS1A_E_NS1_11comp_targetILNS1_3genE10ELNS1_11target_archE1200ELNS1_3gpuE4ELNS1_3repE0EEENS1_30default_config_static_selectorELNS0_4arch9wavefront6targetE1EEEvT1_
; %bb.0:
	.section	.rodata,"a",@progbits
	.p2align	6, 0x0
	.amdhsa_kernel _ZN7rocprim17ROCPRIM_400000_NS6detail17trampoline_kernelINS0_14default_configENS1_25partition_config_selectorILNS1_17partition_subalgoE2EiNS0_10empty_typeEbEEZZNS1_14partition_implILS5_2ELb0ES3_jN6thrust23THRUST_200600_302600_NS6detail15normal_iteratorINSA_7pointerIiNSA_11hip_rocprim3tagENSA_11use_defaultESG_EEEEPS6_NSA_18transform_iteratorI7is_evenIiENSC_INSA_10device_ptrIiEEEESG_SG_EENS0_5tupleIJPiSJ_EEENSR_IJSJ_SJ_EEES6_PlJS6_EEE10hipError_tPvRmT3_T4_T5_T6_T7_T9_mT8_P12ihipStream_tbDpT10_ENKUlT_T0_E_clISt17integral_constantIbLb1EES1F_EEDaS1A_S1B_EUlS1A_E_NS1_11comp_targetILNS1_3genE10ELNS1_11target_archE1200ELNS1_3gpuE4ELNS1_3repE0EEENS1_30default_config_static_selectorELNS0_4arch9wavefront6targetE1EEEvT1_
		.amdhsa_group_segment_fixed_size 0
		.amdhsa_private_segment_fixed_size 0
		.amdhsa_kernarg_size 144
		.amdhsa_user_sgpr_count 6
		.amdhsa_user_sgpr_private_segment_buffer 1
		.amdhsa_user_sgpr_dispatch_ptr 0
		.amdhsa_user_sgpr_queue_ptr 0
		.amdhsa_user_sgpr_kernarg_segment_ptr 1
		.amdhsa_user_sgpr_dispatch_id 0
		.amdhsa_user_sgpr_flat_scratch_init 0
		.amdhsa_user_sgpr_kernarg_preload_length 0
		.amdhsa_user_sgpr_kernarg_preload_offset 0
		.amdhsa_user_sgpr_private_segment_size 0
		.amdhsa_uses_dynamic_stack 0
		.amdhsa_system_sgpr_private_segment_wavefront_offset 0
		.amdhsa_system_sgpr_workgroup_id_x 1
		.amdhsa_system_sgpr_workgroup_id_y 0
		.amdhsa_system_sgpr_workgroup_id_z 0
		.amdhsa_system_sgpr_workgroup_info 0
		.amdhsa_system_vgpr_workitem_id 0
		.amdhsa_next_free_vgpr 1
		.amdhsa_next_free_sgpr 0
		.amdhsa_accum_offset 4
		.amdhsa_reserve_vcc 0
		.amdhsa_reserve_flat_scratch 0
		.amdhsa_float_round_mode_32 0
		.amdhsa_float_round_mode_16_64 0
		.amdhsa_float_denorm_mode_32 3
		.amdhsa_float_denorm_mode_16_64 3
		.amdhsa_dx10_clamp 1
		.amdhsa_ieee_mode 1
		.amdhsa_fp16_overflow 0
		.amdhsa_tg_split 0
		.amdhsa_exception_fp_ieee_invalid_op 0
		.amdhsa_exception_fp_denorm_src 0
		.amdhsa_exception_fp_ieee_div_zero 0
		.amdhsa_exception_fp_ieee_overflow 0
		.amdhsa_exception_fp_ieee_underflow 0
		.amdhsa_exception_fp_ieee_inexact 0
		.amdhsa_exception_int_div_zero 0
	.end_amdhsa_kernel
	.section	.text._ZN7rocprim17ROCPRIM_400000_NS6detail17trampoline_kernelINS0_14default_configENS1_25partition_config_selectorILNS1_17partition_subalgoE2EiNS0_10empty_typeEbEEZZNS1_14partition_implILS5_2ELb0ES3_jN6thrust23THRUST_200600_302600_NS6detail15normal_iteratorINSA_7pointerIiNSA_11hip_rocprim3tagENSA_11use_defaultESG_EEEEPS6_NSA_18transform_iteratorI7is_evenIiENSC_INSA_10device_ptrIiEEEESG_SG_EENS0_5tupleIJPiSJ_EEENSR_IJSJ_SJ_EEES6_PlJS6_EEE10hipError_tPvRmT3_T4_T5_T6_T7_T9_mT8_P12ihipStream_tbDpT10_ENKUlT_T0_E_clISt17integral_constantIbLb1EES1F_EEDaS1A_S1B_EUlS1A_E_NS1_11comp_targetILNS1_3genE10ELNS1_11target_archE1200ELNS1_3gpuE4ELNS1_3repE0EEENS1_30default_config_static_selectorELNS0_4arch9wavefront6targetE1EEEvT1_,"axG",@progbits,_ZN7rocprim17ROCPRIM_400000_NS6detail17trampoline_kernelINS0_14default_configENS1_25partition_config_selectorILNS1_17partition_subalgoE2EiNS0_10empty_typeEbEEZZNS1_14partition_implILS5_2ELb0ES3_jN6thrust23THRUST_200600_302600_NS6detail15normal_iteratorINSA_7pointerIiNSA_11hip_rocprim3tagENSA_11use_defaultESG_EEEEPS6_NSA_18transform_iteratorI7is_evenIiENSC_INSA_10device_ptrIiEEEESG_SG_EENS0_5tupleIJPiSJ_EEENSR_IJSJ_SJ_EEES6_PlJS6_EEE10hipError_tPvRmT3_T4_T5_T6_T7_T9_mT8_P12ihipStream_tbDpT10_ENKUlT_T0_E_clISt17integral_constantIbLb1EES1F_EEDaS1A_S1B_EUlS1A_E_NS1_11comp_targetILNS1_3genE10ELNS1_11target_archE1200ELNS1_3gpuE4ELNS1_3repE0EEENS1_30default_config_static_selectorELNS0_4arch9wavefront6targetE1EEEvT1_,comdat
.Lfunc_end236:
	.size	_ZN7rocprim17ROCPRIM_400000_NS6detail17trampoline_kernelINS0_14default_configENS1_25partition_config_selectorILNS1_17partition_subalgoE2EiNS0_10empty_typeEbEEZZNS1_14partition_implILS5_2ELb0ES3_jN6thrust23THRUST_200600_302600_NS6detail15normal_iteratorINSA_7pointerIiNSA_11hip_rocprim3tagENSA_11use_defaultESG_EEEEPS6_NSA_18transform_iteratorI7is_evenIiENSC_INSA_10device_ptrIiEEEESG_SG_EENS0_5tupleIJPiSJ_EEENSR_IJSJ_SJ_EEES6_PlJS6_EEE10hipError_tPvRmT3_T4_T5_T6_T7_T9_mT8_P12ihipStream_tbDpT10_ENKUlT_T0_E_clISt17integral_constantIbLb1EES1F_EEDaS1A_S1B_EUlS1A_E_NS1_11comp_targetILNS1_3genE10ELNS1_11target_archE1200ELNS1_3gpuE4ELNS1_3repE0EEENS1_30default_config_static_selectorELNS0_4arch9wavefront6targetE1EEEvT1_, .Lfunc_end236-_ZN7rocprim17ROCPRIM_400000_NS6detail17trampoline_kernelINS0_14default_configENS1_25partition_config_selectorILNS1_17partition_subalgoE2EiNS0_10empty_typeEbEEZZNS1_14partition_implILS5_2ELb0ES3_jN6thrust23THRUST_200600_302600_NS6detail15normal_iteratorINSA_7pointerIiNSA_11hip_rocprim3tagENSA_11use_defaultESG_EEEEPS6_NSA_18transform_iteratorI7is_evenIiENSC_INSA_10device_ptrIiEEEESG_SG_EENS0_5tupleIJPiSJ_EEENSR_IJSJ_SJ_EEES6_PlJS6_EEE10hipError_tPvRmT3_T4_T5_T6_T7_T9_mT8_P12ihipStream_tbDpT10_ENKUlT_T0_E_clISt17integral_constantIbLb1EES1F_EEDaS1A_S1B_EUlS1A_E_NS1_11comp_targetILNS1_3genE10ELNS1_11target_archE1200ELNS1_3gpuE4ELNS1_3repE0EEENS1_30default_config_static_selectorELNS0_4arch9wavefront6targetE1EEEvT1_
                                        ; -- End function
	.section	.AMDGPU.csdata,"",@progbits
; Kernel info:
; codeLenInByte = 0
; NumSgprs: 4
; NumVgprs: 0
; NumAgprs: 0
; TotalNumVgprs: 0
; ScratchSize: 0
; MemoryBound: 0
; FloatMode: 240
; IeeeMode: 1
; LDSByteSize: 0 bytes/workgroup (compile time only)
; SGPRBlocks: 0
; VGPRBlocks: 0
; NumSGPRsForWavesPerEU: 4
; NumVGPRsForWavesPerEU: 1
; AccumOffset: 4
; Occupancy: 8
; WaveLimiterHint : 0
; COMPUTE_PGM_RSRC2:SCRATCH_EN: 0
; COMPUTE_PGM_RSRC2:USER_SGPR: 6
; COMPUTE_PGM_RSRC2:TRAP_HANDLER: 0
; COMPUTE_PGM_RSRC2:TGID_X_EN: 1
; COMPUTE_PGM_RSRC2:TGID_Y_EN: 0
; COMPUTE_PGM_RSRC2:TGID_Z_EN: 0
; COMPUTE_PGM_RSRC2:TIDIG_COMP_CNT: 0
; COMPUTE_PGM_RSRC3_GFX90A:ACCUM_OFFSET: 0
; COMPUTE_PGM_RSRC3_GFX90A:TG_SPLIT: 0
	.section	.text._ZN7rocprim17ROCPRIM_400000_NS6detail17trampoline_kernelINS0_14default_configENS1_25partition_config_selectorILNS1_17partition_subalgoE2EiNS0_10empty_typeEbEEZZNS1_14partition_implILS5_2ELb0ES3_jN6thrust23THRUST_200600_302600_NS6detail15normal_iteratorINSA_7pointerIiNSA_11hip_rocprim3tagENSA_11use_defaultESG_EEEEPS6_NSA_18transform_iteratorI7is_evenIiENSC_INSA_10device_ptrIiEEEESG_SG_EENS0_5tupleIJPiSJ_EEENSR_IJSJ_SJ_EEES6_PlJS6_EEE10hipError_tPvRmT3_T4_T5_T6_T7_T9_mT8_P12ihipStream_tbDpT10_ENKUlT_T0_E_clISt17integral_constantIbLb1EES1F_EEDaS1A_S1B_EUlS1A_E_NS1_11comp_targetILNS1_3genE9ELNS1_11target_archE1100ELNS1_3gpuE3ELNS1_3repE0EEENS1_30default_config_static_selectorELNS0_4arch9wavefront6targetE1EEEvT1_,"axG",@progbits,_ZN7rocprim17ROCPRIM_400000_NS6detail17trampoline_kernelINS0_14default_configENS1_25partition_config_selectorILNS1_17partition_subalgoE2EiNS0_10empty_typeEbEEZZNS1_14partition_implILS5_2ELb0ES3_jN6thrust23THRUST_200600_302600_NS6detail15normal_iteratorINSA_7pointerIiNSA_11hip_rocprim3tagENSA_11use_defaultESG_EEEEPS6_NSA_18transform_iteratorI7is_evenIiENSC_INSA_10device_ptrIiEEEESG_SG_EENS0_5tupleIJPiSJ_EEENSR_IJSJ_SJ_EEES6_PlJS6_EEE10hipError_tPvRmT3_T4_T5_T6_T7_T9_mT8_P12ihipStream_tbDpT10_ENKUlT_T0_E_clISt17integral_constantIbLb1EES1F_EEDaS1A_S1B_EUlS1A_E_NS1_11comp_targetILNS1_3genE9ELNS1_11target_archE1100ELNS1_3gpuE3ELNS1_3repE0EEENS1_30default_config_static_selectorELNS0_4arch9wavefront6targetE1EEEvT1_,comdat
	.protected	_ZN7rocprim17ROCPRIM_400000_NS6detail17trampoline_kernelINS0_14default_configENS1_25partition_config_selectorILNS1_17partition_subalgoE2EiNS0_10empty_typeEbEEZZNS1_14partition_implILS5_2ELb0ES3_jN6thrust23THRUST_200600_302600_NS6detail15normal_iteratorINSA_7pointerIiNSA_11hip_rocprim3tagENSA_11use_defaultESG_EEEEPS6_NSA_18transform_iteratorI7is_evenIiENSC_INSA_10device_ptrIiEEEESG_SG_EENS0_5tupleIJPiSJ_EEENSR_IJSJ_SJ_EEES6_PlJS6_EEE10hipError_tPvRmT3_T4_T5_T6_T7_T9_mT8_P12ihipStream_tbDpT10_ENKUlT_T0_E_clISt17integral_constantIbLb1EES1F_EEDaS1A_S1B_EUlS1A_E_NS1_11comp_targetILNS1_3genE9ELNS1_11target_archE1100ELNS1_3gpuE3ELNS1_3repE0EEENS1_30default_config_static_selectorELNS0_4arch9wavefront6targetE1EEEvT1_ ; -- Begin function _ZN7rocprim17ROCPRIM_400000_NS6detail17trampoline_kernelINS0_14default_configENS1_25partition_config_selectorILNS1_17partition_subalgoE2EiNS0_10empty_typeEbEEZZNS1_14partition_implILS5_2ELb0ES3_jN6thrust23THRUST_200600_302600_NS6detail15normal_iteratorINSA_7pointerIiNSA_11hip_rocprim3tagENSA_11use_defaultESG_EEEEPS6_NSA_18transform_iteratorI7is_evenIiENSC_INSA_10device_ptrIiEEEESG_SG_EENS0_5tupleIJPiSJ_EEENSR_IJSJ_SJ_EEES6_PlJS6_EEE10hipError_tPvRmT3_T4_T5_T6_T7_T9_mT8_P12ihipStream_tbDpT10_ENKUlT_T0_E_clISt17integral_constantIbLb1EES1F_EEDaS1A_S1B_EUlS1A_E_NS1_11comp_targetILNS1_3genE9ELNS1_11target_archE1100ELNS1_3gpuE3ELNS1_3repE0EEENS1_30default_config_static_selectorELNS0_4arch9wavefront6targetE1EEEvT1_
	.globl	_ZN7rocprim17ROCPRIM_400000_NS6detail17trampoline_kernelINS0_14default_configENS1_25partition_config_selectorILNS1_17partition_subalgoE2EiNS0_10empty_typeEbEEZZNS1_14partition_implILS5_2ELb0ES3_jN6thrust23THRUST_200600_302600_NS6detail15normal_iteratorINSA_7pointerIiNSA_11hip_rocprim3tagENSA_11use_defaultESG_EEEEPS6_NSA_18transform_iteratorI7is_evenIiENSC_INSA_10device_ptrIiEEEESG_SG_EENS0_5tupleIJPiSJ_EEENSR_IJSJ_SJ_EEES6_PlJS6_EEE10hipError_tPvRmT3_T4_T5_T6_T7_T9_mT8_P12ihipStream_tbDpT10_ENKUlT_T0_E_clISt17integral_constantIbLb1EES1F_EEDaS1A_S1B_EUlS1A_E_NS1_11comp_targetILNS1_3genE9ELNS1_11target_archE1100ELNS1_3gpuE3ELNS1_3repE0EEENS1_30default_config_static_selectorELNS0_4arch9wavefront6targetE1EEEvT1_
	.p2align	8
	.type	_ZN7rocprim17ROCPRIM_400000_NS6detail17trampoline_kernelINS0_14default_configENS1_25partition_config_selectorILNS1_17partition_subalgoE2EiNS0_10empty_typeEbEEZZNS1_14partition_implILS5_2ELb0ES3_jN6thrust23THRUST_200600_302600_NS6detail15normal_iteratorINSA_7pointerIiNSA_11hip_rocprim3tagENSA_11use_defaultESG_EEEEPS6_NSA_18transform_iteratorI7is_evenIiENSC_INSA_10device_ptrIiEEEESG_SG_EENS0_5tupleIJPiSJ_EEENSR_IJSJ_SJ_EEES6_PlJS6_EEE10hipError_tPvRmT3_T4_T5_T6_T7_T9_mT8_P12ihipStream_tbDpT10_ENKUlT_T0_E_clISt17integral_constantIbLb1EES1F_EEDaS1A_S1B_EUlS1A_E_NS1_11comp_targetILNS1_3genE9ELNS1_11target_archE1100ELNS1_3gpuE3ELNS1_3repE0EEENS1_30default_config_static_selectorELNS0_4arch9wavefront6targetE1EEEvT1_,@function
_ZN7rocprim17ROCPRIM_400000_NS6detail17trampoline_kernelINS0_14default_configENS1_25partition_config_selectorILNS1_17partition_subalgoE2EiNS0_10empty_typeEbEEZZNS1_14partition_implILS5_2ELb0ES3_jN6thrust23THRUST_200600_302600_NS6detail15normal_iteratorINSA_7pointerIiNSA_11hip_rocprim3tagENSA_11use_defaultESG_EEEEPS6_NSA_18transform_iteratorI7is_evenIiENSC_INSA_10device_ptrIiEEEESG_SG_EENS0_5tupleIJPiSJ_EEENSR_IJSJ_SJ_EEES6_PlJS6_EEE10hipError_tPvRmT3_T4_T5_T6_T7_T9_mT8_P12ihipStream_tbDpT10_ENKUlT_T0_E_clISt17integral_constantIbLb1EES1F_EEDaS1A_S1B_EUlS1A_E_NS1_11comp_targetILNS1_3genE9ELNS1_11target_archE1100ELNS1_3gpuE3ELNS1_3repE0EEENS1_30default_config_static_selectorELNS0_4arch9wavefront6targetE1EEEvT1_: ; @_ZN7rocprim17ROCPRIM_400000_NS6detail17trampoline_kernelINS0_14default_configENS1_25partition_config_selectorILNS1_17partition_subalgoE2EiNS0_10empty_typeEbEEZZNS1_14partition_implILS5_2ELb0ES3_jN6thrust23THRUST_200600_302600_NS6detail15normal_iteratorINSA_7pointerIiNSA_11hip_rocprim3tagENSA_11use_defaultESG_EEEEPS6_NSA_18transform_iteratorI7is_evenIiENSC_INSA_10device_ptrIiEEEESG_SG_EENS0_5tupleIJPiSJ_EEENSR_IJSJ_SJ_EEES6_PlJS6_EEE10hipError_tPvRmT3_T4_T5_T6_T7_T9_mT8_P12ihipStream_tbDpT10_ENKUlT_T0_E_clISt17integral_constantIbLb1EES1F_EEDaS1A_S1B_EUlS1A_E_NS1_11comp_targetILNS1_3genE9ELNS1_11target_archE1100ELNS1_3gpuE3ELNS1_3repE0EEENS1_30default_config_static_selectorELNS0_4arch9wavefront6targetE1EEEvT1_
; %bb.0:
	.section	.rodata,"a",@progbits
	.p2align	6, 0x0
	.amdhsa_kernel _ZN7rocprim17ROCPRIM_400000_NS6detail17trampoline_kernelINS0_14default_configENS1_25partition_config_selectorILNS1_17partition_subalgoE2EiNS0_10empty_typeEbEEZZNS1_14partition_implILS5_2ELb0ES3_jN6thrust23THRUST_200600_302600_NS6detail15normal_iteratorINSA_7pointerIiNSA_11hip_rocprim3tagENSA_11use_defaultESG_EEEEPS6_NSA_18transform_iteratorI7is_evenIiENSC_INSA_10device_ptrIiEEEESG_SG_EENS0_5tupleIJPiSJ_EEENSR_IJSJ_SJ_EEES6_PlJS6_EEE10hipError_tPvRmT3_T4_T5_T6_T7_T9_mT8_P12ihipStream_tbDpT10_ENKUlT_T0_E_clISt17integral_constantIbLb1EES1F_EEDaS1A_S1B_EUlS1A_E_NS1_11comp_targetILNS1_3genE9ELNS1_11target_archE1100ELNS1_3gpuE3ELNS1_3repE0EEENS1_30default_config_static_selectorELNS0_4arch9wavefront6targetE1EEEvT1_
		.amdhsa_group_segment_fixed_size 0
		.amdhsa_private_segment_fixed_size 0
		.amdhsa_kernarg_size 144
		.amdhsa_user_sgpr_count 6
		.amdhsa_user_sgpr_private_segment_buffer 1
		.amdhsa_user_sgpr_dispatch_ptr 0
		.amdhsa_user_sgpr_queue_ptr 0
		.amdhsa_user_sgpr_kernarg_segment_ptr 1
		.amdhsa_user_sgpr_dispatch_id 0
		.amdhsa_user_sgpr_flat_scratch_init 0
		.amdhsa_user_sgpr_kernarg_preload_length 0
		.amdhsa_user_sgpr_kernarg_preload_offset 0
		.amdhsa_user_sgpr_private_segment_size 0
		.amdhsa_uses_dynamic_stack 0
		.amdhsa_system_sgpr_private_segment_wavefront_offset 0
		.amdhsa_system_sgpr_workgroup_id_x 1
		.amdhsa_system_sgpr_workgroup_id_y 0
		.amdhsa_system_sgpr_workgroup_id_z 0
		.amdhsa_system_sgpr_workgroup_info 0
		.amdhsa_system_vgpr_workitem_id 0
		.amdhsa_next_free_vgpr 1
		.amdhsa_next_free_sgpr 0
		.amdhsa_accum_offset 4
		.amdhsa_reserve_vcc 0
		.amdhsa_reserve_flat_scratch 0
		.amdhsa_float_round_mode_32 0
		.amdhsa_float_round_mode_16_64 0
		.amdhsa_float_denorm_mode_32 3
		.amdhsa_float_denorm_mode_16_64 3
		.amdhsa_dx10_clamp 1
		.amdhsa_ieee_mode 1
		.amdhsa_fp16_overflow 0
		.amdhsa_tg_split 0
		.amdhsa_exception_fp_ieee_invalid_op 0
		.amdhsa_exception_fp_denorm_src 0
		.amdhsa_exception_fp_ieee_div_zero 0
		.amdhsa_exception_fp_ieee_overflow 0
		.amdhsa_exception_fp_ieee_underflow 0
		.amdhsa_exception_fp_ieee_inexact 0
		.amdhsa_exception_int_div_zero 0
	.end_amdhsa_kernel
	.section	.text._ZN7rocprim17ROCPRIM_400000_NS6detail17trampoline_kernelINS0_14default_configENS1_25partition_config_selectorILNS1_17partition_subalgoE2EiNS0_10empty_typeEbEEZZNS1_14partition_implILS5_2ELb0ES3_jN6thrust23THRUST_200600_302600_NS6detail15normal_iteratorINSA_7pointerIiNSA_11hip_rocprim3tagENSA_11use_defaultESG_EEEEPS6_NSA_18transform_iteratorI7is_evenIiENSC_INSA_10device_ptrIiEEEESG_SG_EENS0_5tupleIJPiSJ_EEENSR_IJSJ_SJ_EEES6_PlJS6_EEE10hipError_tPvRmT3_T4_T5_T6_T7_T9_mT8_P12ihipStream_tbDpT10_ENKUlT_T0_E_clISt17integral_constantIbLb1EES1F_EEDaS1A_S1B_EUlS1A_E_NS1_11comp_targetILNS1_3genE9ELNS1_11target_archE1100ELNS1_3gpuE3ELNS1_3repE0EEENS1_30default_config_static_selectorELNS0_4arch9wavefront6targetE1EEEvT1_,"axG",@progbits,_ZN7rocprim17ROCPRIM_400000_NS6detail17trampoline_kernelINS0_14default_configENS1_25partition_config_selectorILNS1_17partition_subalgoE2EiNS0_10empty_typeEbEEZZNS1_14partition_implILS5_2ELb0ES3_jN6thrust23THRUST_200600_302600_NS6detail15normal_iteratorINSA_7pointerIiNSA_11hip_rocprim3tagENSA_11use_defaultESG_EEEEPS6_NSA_18transform_iteratorI7is_evenIiENSC_INSA_10device_ptrIiEEEESG_SG_EENS0_5tupleIJPiSJ_EEENSR_IJSJ_SJ_EEES6_PlJS6_EEE10hipError_tPvRmT3_T4_T5_T6_T7_T9_mT8_P12ihipStream_tbDpT10_ENKUlT_T0_E_clISt17integral_constantIbLb1EES1F_EEDaS1A_S1B_EUlS1A_E_NS1_11comp_targetILNS1_3genE9ELNS1_11target_archE1100ELNS1_3gpuE3ELNS1_3repE0EEENS1_30default_config_static_selectorELNS0_4arch9wavefront6targetE1EEEvT1_,comdat
.Lfunc_end237:
	.size	_ZN7rocprim17ROCPRIM_400000_NS6detail17trampoline_kernelINS0_14default_configENS1_25partition_config_selectorILNS1_17partition_subalgoE2EiNS0_10empty_typeEbEEZZNS1_14partition_implILS5_2ELb0ES3_jN6thrust23THRUST_200600_302600_NS6detail15normal_iteratorINSA_7pointerIiNSA_11hip_rocprim3tagENSA_11use_defaultESG_EEEEPS6_NSA_18transform_iteratorI7is_evenIiENSC_INSA_10device_ptrIiEEEESG_SG_EENS0_5tupleIJPiSJ_EEENSR_IJSJ_SJ_EEES6_PlJS6_EEE10hipError_tPvRmT3_T4_T5_T6_T7_T9_mT8_P12ihipStream_tbDpT10_ENKUlT_T0_E_clISt17integral_constantIbLb1EES1F_EEDaS1A_S1B_EUlS1A_E_NS1_11comp_targetILNS1_3genE9ELNS1_11target_archE1100ELNS1_3gpuE3ELNS1_3repE0EEENS1_30default_config_static_selectorELNS0_4arch9wavefront6targetE1EEEvT1_, .Lfunc_end237-_ZN7rocprim17ROCPRIM_400000_NS6detail17trampoline_kernelINS0_14default_configENS1_25partition_config_selectorILNS1_17partition_subalgoE2EiNS0_10empty_typeEbEEZZNS1_14partition_implILS5_2ELb0ES3_jN6thrust23THRUST_200600_302600_NS6detail15normal_iteratorINSA_7pointerIiNSA_11hip_rocprim3tagENSA_11use_defaultESG_EEEEPS6_NSA_18transform_iteratorI7is_evenIiENSC_INSA_10device_ptrIiEEEESG_SG_EENS0_5tupleIJPiSJ_EEENSR_IJSJ_SJ_EEES6_PlJS6_EEE10hipError_tPvRmT3_T4_T5_T6_T7_T9_mT8_P12ihipStream_tbDpT10_ENKUlT_T0_E_clISt17integral_constantIbLb1EES1F_EEDaS1A_S1B_EUlS1A_E_NS1_11comp_targetILNS1_3genE9ELNS1_11target_archE1100ELNS1_3gpuE3ELNS1_3repE0EEENS1_30default_config_static_selectorELNS0_4arch9wavefront6targetE1EEEvT1_
                                        ; -- End function
	.section	.AMDGPU.csdata,"",@progbits
; Kernel info:
; codeLenInByte = 0
; NumSgprs: 4
; NumVgprs: 0
; NumAgprs: 0
; TotalNumVgprs: 0
; ScratchSize: 0
; MemoryBound: 0
; FloatMode: 240
; IeeeMode: 1
; LDSByteSize: 0 bytes/workgroup (compile time only)
; SGPRBlocks: 0
; VGPRBlocks: 0
; NumSGPRsForWavesPerEU: 4
; NumVGPRsForWavesPerEU: 1
; AccumOffset: 4
; Occupancy: 8
; WaveLimiterHint : 0
; COMPUTE_PGM_RSRC2:SCRATCH_EN: 0
; COMPUTE_PGM_RSRC2:USER_SGPR: 6
; COMPUTE_PGM_RSRC2:TRAP_HANDLER: 0
; COMPUTE_PGM_RSRC2:TGID_X_EN: 1
; COMPUTE_PGM_RSRC2:TGID_Y_EN: 0
; COMPUTE_PGM_RSRC2:TGID_Z_EN: 0
; COMPUTE_PGM_RSRC2:TIDIG_COMP_CNT: 0
; COMPUTE_PGM_RSRC3_GFX90A:ACCUM_OFFSET: 0
; COMPUTE_PGM_RSRC3_GFX90A:TG_SPLIT: 0
	.section	.text._ZN7rocprim17ROCPRIM_400000_NS6detail17trampoline_kernelINS0_14default_configENS1_25partition_config_selectorILNS1_17partition_subalgoE2EiNS0_10empty_typeEbEEZZNS1_14partition_implILS5_2ELb0ES3_jN6thrust23THRUST_200600_302600_NS6detail15normal_iteratorINSA_7pointerIiNSA_11hip_rocprim3tagENSA_11use_defaultESG_EEEEPS6_NSA_18transform_iteratorI7is_evenIiENSC_INSA_10device_ptrIiEEEESG_SG_EENS0_5tupleIJPiSJ_EEENSR_IJSJ_SJ_EEES6_PlJS6_EEE10hipError_tPvRmT3_T4_T5_T6_T7_T9_mT8_P12ihipStream_tbDpT10_ENKUlT_T0_E_clISt17integral_constantIbLb1EES1F_EEDaS1A_S1B_EUlS1A_E_NS1_11comp_targetILNS1_3genE8ELNS1_11target_archE1030ELNS1_3gpuE2ELNS1_3repE0EEENS1_30default_config_static_selectorELNS0_4arch9wavefront6targetE1EEEvT1_,"axG",@progbits,_ZN7rocprim17ROCPRIM_400000_NS6detail17trampoline_kernelINS0_14default_configENS1_25partition_config_selectorILNS1_17partition_subalgoE2EiNS0_10empty_typeEbEEZZNS1_14partition_implILS5_2ELb0ES3_jN6thrust23THRUST_200600_302600_NS6detail15normal_iteratorINSA_7pointerIiNSA_11hip_rocprim3tagENSA_11use_defaultESG_EEEEPS6_NSA_18transform_iteratorI7is_evenIiENSC_INSA_10device_ptrIiEEEESG_SG_EENS0_5tupleIJPiSJ_EEENSR_IJSJ_SJ_EEES6_PlJS6_EEE10hipError_tPvRmT3_T4_T5_T6_T7_T9_mT8_P12ihipStream_tbDpT10_ENKUlT_T0_E_clISt17integral_constantIbLb1EES1F_EEDaS1A_S1B_EUlS1A_E_NS1_11comp_targetILNS1_3genE8ELNS1_11target_archE1030ELNS1_3gpuE2ELNS1_3repE0EEENS1_30default_config_static_selectorELNS0_4arch9wavefront6targetE1EEEvT1_,comdat
	.protected	_ZN7rocprim17ROCPRIM_400000_NS6detail17trampoline_kernelINS0_14default_configENS1_25partition_config_selectorILNS1_17partition_subalgoE2EiNS0_10empty_typeEbEEZZNS1_14partition_implILS5_2ELb0ES3_jN6thrust23THRUST_200600_302600_NS6detail15normal_iteratorINSA_7pointerIiNSA_11hip_rocprim3tagENSA_11use_defaultESG_EEEEPS6_NSA_18transform_iteratorI7is_evenIiENSC_INSA_10device_ptrIiEEEESG_SG_EENS0_5tupleIJPiSJ_EEENSR_IJSJ_SJ_EEES6_PlJS6_EEE10hipError_tPvRmT3_T4_T5_T6_T7_T9_mT8_P12ihipStream_tbDpT10_ENKUlT_T0_E_clISt17integral_constantIbLb1EES1F_EEDaS1A_S1B_EUlS1A_E_NS1_11comp_targetILNS1_3genE8ELNS1_11target_archE1030ELNS1_3gpuE2ELNS1_3repE0EEENS1_30default_config_static_selectorELNS0_4arch9wavefront6targetE1EEEvT1_ ; -- Begin function _ZN7rocprim17ROCPRIM_400000_NS6detail17trampoline_kernelINS0_14default_configENS1_25partition_config_selectorILNS1_17partition_subalgoE2EiNS0_10empty_typeEbEEZZNS1_14partition_implILS5_2ELb0ES3_jN6thrust23THRUST_200600_302600_NS6detail15normal_iteratorINSA_7pointerIiNSA_11hip_rocprim3tagENSA_11use_defaultESG_EEEEPS6_NSA_18transform_iteratorI7is_evenIiENSC_INSA_10device_ptrIiEEEESG_SG_EENS0_5tupleIJPiSJ_EEENSR_IJSJ_SJ_EEES6_PlJS6_EEE10hipError_tPvRmT3_T4_T5_T6_T7_T9_mT8_P12ihipStream_tbDpT10_ENKUlT_T0_E_clISt17integral_constantIbLb1EES1F_EEDaS1A_S1B_EUlS1A_E_NS1_11comp_targetILNS1_3genE8ELNS1_11target_archE1030ELNS1_3gpuE2ELNS1_3repE0EEENS1_30default_config_static_selectorELNS0_4arch9wavefront6targetE1EEEvT1_
	.globl	_ZN7rocprim17ROCPRIM_400000_NS6detail17trampoline_kernelINS0_14default_configENS1_25partition_config_selectorILNS1_17partition_subalgoE2EiNS0_10empty_typeEbEEZZNS1_14partition_implILS5_2ELb0ES3_jN6thrust23THRUST_200600_302600_NS6detail15normal_iteratorINSA_7pointerIiNSA_11hip_rocprim3tagENSA_11use_defaultESG_EEEEPS6_NSA_18transform_iteratorI7is_evenIiENSC_INSA_10device_ptrIiEEEESG_SG_EENS0_5tupleIJPiSJ_EEENSR_IJSJ_SJ_EEES6_PlJS6_EEE10hipError_tPvRmT3_T4_T5_T6_T7_T9_mT8_P12ihipStream_tbDpT10_ENKUlT_T0_E_clISt17integral_constantIbLb1EES1F_EEDaS1A_S1B_EUlS1A_E_NS1_11comp_targetILNS1_3genE8ELNS1_11target_archE1030ELNS1_3gpuE2ELNS1_3repE0EEENS1_30default_config_static_selectorELNS0_4arch9wavefront6targetE1EEEvT1_
	.p2align	8
	.type	_ZN7rocprim17ROCPRIM_400000_NS6detail17trampoline_kernelINS0_14default_configENS1_25partition_config_selectorILNS1_17partition_subalgoE2EiNS0_10empty_typeEbEEZZNS1_14partition_implILS5_2ELb0ES3_jN6thrust23THRUST_200600_302600_NS6detail15normal_iteratorINSA_7pointerIiNSA_11hip_rocprim3tagENSA_11use_defaultESG_EEEEPS6_NSA_18transform_iteratorI7is_evenIiENSC_INSA_10device_ptrIiEEEESG_SG_EENS0_5tupleIJPiSJ_EEENSR_IJSJ_SJ_EEES6_PlJS6_EEE10hipError_tPvRmT3_T4_T5_T6_T7_T9_mT8_P12ihipStream_tbDpT10_ENKUlT_T0_E_clISt17integral_constantIbLb1EES1F_EEDaS1A_S1B_EUlS1A_E_NS1_11comp_targetILNS1_3genE8ELNS1_11target_archE1030ELNS1_3gpuE2ELNS1_3repE0EEENS1_30default_config_static_selectorELNS0_4arch9wavefront6targetE1EEEvT1_,@function
_ZN7rocprim17ROCPRIM_400000_NS6detail17trampoline_kernelINS0_14default_configENS1_25partition_config_selectorILNS1_17partition_subalgoE2EiNS0_10empty_typeEbEEZZNS1_14partition_implILS5_2ELb0ES3_jN6thrust23THRUST_200600_302600_NS6detail15normal_iteratorINSA_7pointerIiNSA_11hip_rocprim3tagENSA_11use_defaultESG_EEEEPS6_NSA_18transform_iteratorI7is_evenIiENSC_INSA_10device_ptrIiEEEESG_SG_EENS0_5tupleIJPiSJ_EEENSR_IJSJ_SJ_EEES6_PlJS6_EEE10hipError_tPvRmT3_T4_T5_T6_T7_T9_mT8_P12ihipStream_tbDpT10_ENKUlT_T0_E_clISt17integral_constantIbLb1EES1F_EEDaS1A_S1B_EUlS1A_E_NS1_11comp_targetILNS1_3genE8ELNS1_11target_archE1030ELNS1_3gpuE2ELNS1_3repE0EEENS1_30default_config_static_selectorELNS0_4arch9wavefront6targetE1EEEvT1_: ; @_ZN7rocprim17ROCPRIM_400000_NS6detail17trampoline_kernelINS0_14default_configENS1_25partition_config_selectorILNS1_17partition_subalgoE2EiNS0_10empty_typeEbEEZZNS1_14partition_implILS5_2ELb0ES3_jN6thrust23THRUST_200600_302600_NS6detail15normal_iteratorINSA_7pointerIiNSA_11hip_rocprim3tagENSA_11use_defaultESG_EEEEPS6_NSA_18transform_iteratorI7is_evenIiENSC_INSA_10device_ptrIiEEEESG_SG_EENS0_5tupleIJPiSJ_EEENSR_IJSJ_SJ_EEES6_PlJS6_EEE10hipError_tPvRmT3_T4_T5_T6_T7_T9_mT8_P12ihipStream_tbDpT10_ENKUlT_T0_E_clISt17integral_constantIbLb1EES1F_EEDaS1A_S1B_EUlS1A_E_NS1_11comp_targetILNS1_3genE8ELNS1_11target_archE1030ELNS1_3gpuE2ELNS1_3repE0EEENS1_30default_config_static_selectorELNS0_4arch9wavefront6targetE1EEEvT1_
; %bb.0:
	.section	.rodata,"a",@progbits
	.p2align	6, 0x0
	.amdhsa_kernel _ZN7rocprim17ROCPRIM_400000_NS6detail17trampoline_kernelINS0_14default_configENS1_25partition_config_selectorILNS1_17partition_subalgoE2EiNS0_10empty_typeEbEEZZNS1_14partition_implILS5_2ELb0ES3_jN6thrust23THRUST_200600_302600_NS6detail15normal_iteratorINSA_7pointerIiNSA_11hip_rocprim3tagENSA_11use_defaultESG_EEEEPS6_NSA_18transform_iteratorI7is_evenIiENSC_INSA_10device_ptrIiEEEESG_SG_EENS0_5tupleIJPiSJ_EEENSR_IJSJ_SJ_EEES6_PlJS6_EEE10hipError_tPvRmT3_T4_T5_T6_T7_T9_mT8_P12ihipStream_tbDpT10_ENKUlT_T0_E_clISt17integral_constantIbLb1EES1F_EEDaS1A_S1B_EUlS1A_E_NS1_11comp_targetILNS1_3genE8ELNS1_11target_archE1030ELNS1_3gpuE2ELNS1_3repE0EEENS1_30default_config_static_selectorELNS0_4arch9wavefront6targetE1EEEvT1_
		.amdhsa_group_segment_fixed_size 0
		.amdhsa_private_segment_fixed_size 0
		.amdhsa_kernarg_size 144
		.amdhsa_user_sgpr_count 6
		.amdhsa_user_sgpr_private_segment_buffer 1
		.amdhsa_user_sgpr_dispatch_ptr 0
		.amdhsa_user_sgpr_queue_ptr 0
		.amdhsa_user_sgpr_kernarg_segment_ptr 1
		.amdhsa_user_sgpr_dispatch_id 0
		.amdhsa_user_sgpr_flat_scratch_init 0
		.amdhsa_user_sgpr_kernarg_preload_length 0
		.amdhsa_user_sgpr_kernarg_preload_offset 0
		.amdhsa_user_sgpr_private_segment_size 0
		.amdhsa_uses_dynamic_stack 0
		.amdhsa_system_sgpr_private_segment_wavefront_offset 0
		.amdhsa_system_sgpr_workgroup_id_x 1
		.amdhsa_system_sgpr_workgroup_id_y 0
		.amdhsa_system_sgpr_workgroup_id_z 0
		.amdhsa_system_sgpr_workgroup_info 0
		.amdhsa_system_vgpr_workitem_id 0
		.amdhsa_next_free_vgpr 1
		.amdhsa_next_free_sgpr 0
		.amdhsa_accum_offset 4
		.amdhsa_reserve_vcc 0
		.amdhsa_reserve_flat_scratch 0
		.amdhsa_float_round_mode_32 0
		.amdhsa_float_round_mode_16_64 0
		.amdhsa_float_denorm_mode_32 3
		.amdhsa_float_denorm_mode_16_64 3
		.amdhsa_dx10_clamp 1
		.amdhsa_ieee_mode 1
		.amdhsa_fp16_overflow 0
		.amdhsa_tg_split 0
		.amdhsa_exception_fp_ieee_invalid_op 0
		.amdhsa_exception_fp_denorm_src 0
		.amdhsa_exception_fp_ieee_div_zero 0
		.amdhsa_exception_fp_ieee_overflow 0
		.amdhsa_exception_fp_ieee_underflow 0
		.amdhsa_exception_fp_ieee_inexact 0
		.amdhsa_exception_int_div_zero 0
	.end_amdhsa_kernel
	.section	.text._ZN7rocprim17ROCPRIM_400000_NS6detail17trampoline_kernelINS0_14default_configENS1_25partition_config_selectorILNS1_17partition_subalgoE2EiNS0_10empty_typeEbEEZZNS1_14partition_implILS5_2ELb0ES3_jN6thrust23THRUST_200600_302600_NS6detail15normal_iteratorINSA_7pointerIiNSA_11hip_rocprim3tagENSA_11use_defaultESG_EEEEPS6_NSA_18transform_iteratorI7is_evenIiENSC_INSA_10device_ptrIiEEEESG_SG_EENS0_5tupleIJPiSJ_EEENSR_IJSJ_SJ_EEES6_PlJS6_EEE10hipError_tPvRmT3_T4_T5_T6_T7_T9_mT8_P12ihipStream_tbDpT10_ENKUlT_T0_E_clISt17integral_constantIbLb1EES1F_EEDaS1A_S1B_EUlS1A_E_NS1_11comp_targetILNS1_3genE8ELNS1_11target_archE1030ELNS1_3gpuE2ELNS1_3repE0EEENS1_30default_config_static_selectorELNS0_4arch9wavefront6targetE1EEEvT1_,"axG",@progbits,_ZN7rocprim17ROCPRIM_400000_NS6detail17trampoline_kernelINS0_14default_configENS1_25partition_config_selectorILNS1_17partition_subalgoE2EiNS0_10empty_typeEbEEZZNS1_14partition_implILS5_2ELb0ES3_jN6thrust23THRUST_200600_302600_NS6detail15normal_iteratorINSA_7pointerIiNSA_11hip_rocprim3tagENSA_11use_defaultESG_EEEEPS6_NSA_18transform_iteratorI7is_evenIiENSC_INSA_10device_ptrIiEEEESG_SG_EENS0_5tupleIJPiSJ_EEENSR_IJSJ_SJ_EEES6_PlJS6_EEE10hipError_tPvRmT3_T4_T5_T6_T7_T9_mT8_P12ihipStream_tbDpT10_ENKUlT_T0_E_clISt17integral_constantIbLb1EES1F_EEDaS1A_S1B_EUlS1A_E_NS1_11comp_targetILNS1_3genE8ELNS1_11target_archE1030ELNS1_3gpuE2ELNS1_3repE0EEENS1_30default_config_static_selectorELNS0_4arch9wavefront6targetE1EEEvT1_,comdat
.Lfunc_end238:
	.size	_ZN7rocprim17ROCPRIM_400000_NS6detail17trampoline_kernelINS0_14default_configENS1_25partition_config_selectorILNS1_17partition_subalgoE2EiNS0_10empty_typeEbEEZZNS1_14partition_implILS5_2ELb0ES3_jN6thrust23THRUST_200600_302600_NS6detail15normal_iteratorINSA_7pointerIiNSA_11hip_rocprim3tagENSA_11use_defaultESG_EEEEPS6_NSA_18transform_iteratorI7is_evenIiENSC_INSA_10device_ptrIiEEEESG_SG_EENS0_5tupleIJPiSJ_EEENSR_IJSJ_SJ_EEES6_PlJS6_EEE10hipError_tPvRmT3_T4_T5_T6_T7_T9_mT8_P12ihipStream_tbDpT10_ENKUlT_T0_E_clISt17integral_constantIbLb1EES1F_EEDaS1A_S1B_EUlS1A_E_NS1_11comp_targetILNS1_3genE8ELNS1_11target_archE1030ELNS1_3gpuE2ELNS1_3repE0EEENS1_30default_config_static_selectorELNS0_4arch9wavefront6targetE1EEEvT1_, .Lfunc_end238-_ZN7rocprim17ROCPRIM_400000_NS6detail17trampoline_kernelINS0_14default_configENS1_25partition_config_selectorILNS1_17partition_subalgoE2EiNS0_10empty_typeEbEEZZNS1_14partition_implILS5_2ELb0ES3_jN6thrust23THRUST_200600_302600_NS6detail15normal_iteratorINSA_7pointerIiNSA_11hip_rocprim3tagENSA_11use_defaultESG_EEEEPS6_NSA_18transform_iteratorI7is_evenIiENSC_INSA_10device_ptrIiEEEESG_SG_EENS0_5tupleIJPiSJ_EEENSR_IJSJ_SJ_EEES6_PlJS6_EEE10hipError_tPvRmT3_T4_T5_T6_T7_T9_mT8_P12ihipStream_tbDpT10_ENKUlT_T0_E_clISt17integral_constantIbLb1EES1F_EEDaS1A_S1B_EUlS1A_E_NS1_11comp_targetILNS1_3genE8ELNS1_11target_archE1030ELNS1_3gpuE2ELNS1_3repE0EEENS1_30default_config_static_selectorELNS0_4arch9wavefront6targetE1EEEvT1_
                                        ; -- End function
	.section	.AMDGPU.csdata,"",@progbits
; Kernel info:
; codeLenInByte = 0
; NumSgprs: 4
; NumVgprs: 0
; NumAgprs: 0
; TotalNumVgprs: 0
; ScratchSize: 0
; MemoryBound: 0
; FloatMode: 240
; IeeeMode: 1
; LDSByteSize: 0 bytes/workgroup (compile time only)
; SGPRBlocks: 0
; VGPRBlocks: 0
; NumSGPRsForWavesPerEU: 4
; NumVGPRsForWavesPerEU: 1
; AccumOffset: 4
; Occupancy: 8
; WaveLimiterHint : 0
; COMPUTE_PGM_RSRC2:SCRATCH_EN: 0
; COMPUTE_PGM_RSRC2:USER_SGPR: 6
; COMPUTE_PGM_RSRC2:TRAP_HANDLER: 0
; COMPUTE_PGM_RSRC2:TGID_X_EN: 1
; COMPUTE_PGM_RSRC2:TGID_Y_EN: 0
; COMPUTE_PGM_RSRC2:TGID_Z_EN: 0
; COMPUTE_PGM_RSRC2:TIDIG_COMP_CNT: 0
; COMPUTE_PGM_RSRC3_GFX90A:ACCUM_OFFSET: 0
; COMPUTE_PGM_RSRC3_GFX90A:TG_SPLIT: 0
	.section	.text._ZN7rocprim17ROCPRIM_400000_NS6detail17trampoline_kernelINS0_14default_configENS1_25partition_config_selectorILNS1_17partition_subalgoE2EiNS0_10empty_typeEbEEZZNS1_14partition_implILS5_2ELb0ES3_jN6thrust23THRUST_200600_302600_NS6detail15normal_iteratorINSA_7pointerIiNSA_11hip_rocprim3tagENSA_11use_defaultESG_EEEEPS6_NSA_18transform_iteratorI7is_evenIiENSC_INSA_10device_ptrIiEEEESG_SG_EENS0_5tupleIJPiSJ_EEENSR_IJSJ_SJ_EEES6_PlJS6_EEE10hipError_tPvRmT3_T4_T5_T6_T7_T9_mT8_P12ihipStream_tbDpT10_ENKUlT_T0_E_clISt17integral_constantIbLb1EES1E_IbLb0EEEEDaS1A_S1B_EUlS1A_E_NS1_11comp_targetILNS1_3genE0ELNS1_11target_archE4294967295ELNS1_3gpuE0ELNS1_3repE0EEENS1_30default_config_static_selectorELNS0_4arch9wavefront6targetE1EEEvT1_,"axG",@progbits,_ZN7rocprim17ROCPRIM_400000_NS6detail17trampoline_kernelINS0_14default_configENS1_25partition_config_selectorILNS1_17partition_subalgoE2EiNS0_10empty_typeEbEEZZNS1_14partition_implILS5_2ELb0ES3_jN6thrust23THRUST_200600_302600_NS6detail15normal_iteratorINSA_7pointerIiNSA_11hip_rocprim3tagENSA_11use_defaultESG_EEEEPS6_NSA_18transform_iteratorI7is_evenIiENSC_INSA_10device_ptrIiEEEESG_SG_EENS0_5tupleIJPiSJ_EEENSR_IJSJ_SJ_EEES6_PlJS6_EEE10hipError_tPvRmT3_T4_T5_T6_T7_T9_mT8_P12ihipStream_tbDpT10_ENKUlT_T0_E_clISt17integral_constantIbLb1EES1E_IbLb0EEEEDaS1A_S1B_EUlS1A_E_NS1_11comp_targetILNS1_3genE0ELNS1_11target_archE4294967295ELNS1_3gpuE0ELNS1_3repE0EEENS1_30default_config_static_selectorELNS0_4arch9wavefront6targetE1EEEvT1_,comdat
	.protected	_ZN7rocprim17ROCPRIM_400000_NS6detail17trampoline_kernelINS0_14default_configENS1_25partition_config_selectorILNS1_17partition_subalgoE2EiNS0_10empty_typeEbEEZZNS1_14partition_implILS5_2ELb0ES3_jN6thrust23THRUST_200600_302600_NS6detail15normal_iteratorINSA_7pointerIiNSA_11hip_rocprim3tagENSA_11use_defaultESG_EEEEPS6_NSA_18transform_iteratorI7is_evenIiENSC_INSA_10device_ptrIiEEEESG_SG_EENS0_5tupleIJPiSJ_EEENSR_IJSJ_SJ_EEES6_PlJS6_EEE10hipError_tPvRmT3_T4_T5_T6_T7_T9_mT8_P12ihipStream_tbDpT10_ENKUlT_T0_E_clISt17integral_constantIbLb1EES1E_IbLb0EEEEDaS1A_S1B_EUlS1A_E_NS1_11comp_targetILNS1_3genE0ELNS1_11target_archE4294967295ELNS1_3gpuE0ELNS1_3repE0EEENS1_30default_config_static_selectorELNS0_4arch9wavefront6targetE1EEEvT1_ ; -- Begin function _ZN7rocprim17ROCPRIM_400000_NS6detail17trampoline_kernelINS0_14default_configENS1_25partition_config_selectorILNS1_17partition_subalgoE2EiNS0_10empty_typeEbEEZZNS1_14partition_implILS5_2ELb0ES3_jN6thrust23THRUST_200600_302600_NS6detail15normal_iteratorINSA_7pointerIiNSA_11hip_rocprim3tagENSA_11use_defaultESG_EEEEPS6_NSA_18transform_iteratorI7is_evenIiENSC_INSA_10device_ptrIiEEEESG_SG_EENS0_5tupleIJPiSJ_EEENSR_IJSJ_SJ_EEES6_PlJS6_EEE10hipError_tPvRmT3_T4_T5_T6_T7_T9_mT8_P12ihipStream_tbDpT10_ENKUlT_T0_E_clISt17integral_constantIbLb1EES1E_IbLb0EEEEDaS1A_S1B_EUlS1A_E_NS1_11comp_targetILNS1_3genE0ELNS1_11target_archE4294967295ELNS1_3gpuE0ELNS1_3repE0EEENS1_30default_config_static_selectorELNS0_4arch9wavefront6targetE1EEEvT1_
	.globl	_ZN7rocprim17ROCPRIM_400000_NS6detail17trampoline_kernelINS0_14default_configENS1_25partition_config_selectorILNS1_17partition_subalgoE2EiNS0_10empty_typeEbEEZZNS1_14partition_implILS5_2ELb0ES3_jN6thrust23THRUST_200600_302600_NS6detail15normal_iteratorINSA_7pointerIiNSA_11hip_rocprim3tagENSA_11use_defaultESG_EEEEPS6_NSA_18transform_iteratorI7is_evenIiENSC_INSA_10device_ptrIiEEEESG_SG_EENS0_5tupleIJPiSJ_EEENSR_IJSJ_SJ_EEES6_PlJS6_EEE10hipError_tPvRmT3_T4_T5_T6_T7_T9_mT8_P12ihipStream_tbDpT10_ENKUlT_T0_E_clISt17integral_constantIbLb1EES1E_IbLb0EEEEDaS1A_S1B_EUlS1A_E_NS1_11comp_targetILNS1_3genE0ELNS1_11target_archE4294967295ELNS1_3gpuE0ELNS1_3repE0EEENS1_30default_config_static_selectorELNS0_4arch9wavefront6targetE1EEEvT1_
	.p2align	8
	.type	_ZN7rocprim17ROCPRIM_400000_NS6detail17trampoline_kernelINS0_14default_configENS1_25partition_config_selectorILNS1_17partition_subalgoE2EiNS0_10empty_typeEbEEZZNS1_14partition_implILS5_2ELb0ES3_jN6thrust23THRUST_200600_302600_NS6detail15normal_iteratorINSA_7pointerIiNSA_11hip_rocprim3tagENSA_11use_defaultESG_EEEEPS6_NSA_18transform_iteratorI7is_evenIiENSC_INSA_10device_ptrIiEEEESG_SG_EENS0_5tupleIJPiSJ_EEENSR_IJSJ_SJ_EEES6_PlJS6_EEE10hipError_tPvRmT3_T4_T5_T6_T7_T9_mT8_P12ihipStream_tbDpT10_ENKUlT_T0_E_clISt17integral_constantIbLb1EES1E_IbLb0EEEEDaS1A_S1B_EUlS1A_E_NS1_11comp_targetILNS1_3genE0ELNS1_11target_archE4294967295ELNS1_3gpuE0ELNS1_3repE0EEENS1_30default_config_static_selectorELNS0_4arch9wavefront6targetE1EEEvT1_,@function
_ZN7rocprim17ROCPRIM_400000_NS6detail17trampoline_kernelINS0_14default_configENS1_25partition_config_selectorILNS1_17partition_subalgoE2EiNS0_10empty_typeEbEEZZNS1_14partition_implILS5_2ELb0ES3_jN6thrust23THRUST_200600_302600_NS6detail15normal_iteratorINSA_7pointerIiNSA_11hip_rocprim3tagENSA_11use_defaultESG_EEEEPS6_NSA_18transform_iteratorI7is_evenIiENSC_INSA_10device_ptrIiEEEESG_SG_EENS0_5tupleIJPiSJ_EEENSR_IJSJ_SJ_EEES6_PlJS6_EEE10hipError_tPvRmT3_T4_T5_T6_T7_T9_mT8_P12ihipStream_tbDpT10_ENKUlT_T0_E_clISt17integral_constantIbLb1EES1E_IbLb0EEEEDaS1A_S1B_EUlS1A_E_NS1_11comp_targetILNS1_3genE0ELNS1_11target_archE4294967295ELNS1_3gpuE0ELNS1_3repE0EEENS1_30default_config_static_selectorELNS0_4arch9wavefront6targetE1EEEvT1_: ; @_ZN7rocprim17ROCPRIM_400000_NS6detail17trampoline_kernelINS0_14default_configENS1_25partition_config_selectorILNS1_17partition_subalgoE2EiNS0_10empty_typeEbEEZZNS1_14partition_implILS5_2ELb0ES3_jN6thrust23THRUST_200600_302600_NS6detail15normal_iteratorINSA_7pointerIiNSA_11hip_rocprim3tagENSA_11use_defaultESG_EEEEPS6_NSA_18transform_iteratorI7is_evenIiENSC_INSA_10device_ptrIiEEEESG_SG_EENS0_5tupleIJPiSJ_EEENSR_IJSJ_SJ_EEES6_PlJS6_EEE10hipError_tPvRmT3_T4_T5_T6_T7_T9_mT8_P12ihipStream_tbDpT10_ENKUlT_T0_E_clISt17integral_constantIbLb1EES1E_IbLb0EEEEDaS1A_S1B_EUlS1A_E_NS1_11comp_targetILNS1_3genE0ELNS1_11target_archE4294967295ELNS1_3gpuE0ELNS1_3repE0EEENS1_30default_config_static_selectorELNS0_4arch9wavefront6targetE1EEEvT1_
; %bb.0:
	.section	.rodata,"a",@progbits
	.p2align	6, 0x0
	.amdhsa_kernel _ZN7rocprim17ROCPRIM_400000_NS6detail17trampoline_kernelINS0_14default_configENS1_25partition_config_selectorILNS1_17partition_subalgoE2EiNS0_10empty_typeEbEEZZNS1_14partition_implILS5_2ELb0ES3_jN6thrust23THRUST_200600_302600_NS6detail15normal_iteratorINSA_7pointerIiNSA_11hip_rocprim3tagENSA_11use_defaultESG_EEEEPS6_NSA_18transform_iteratorI7is_evenIiENSC_INSA_10device_ptrIiEEEESG_SG_EENS0_5tupleIJPiSJ_EEENSR_IJSJ_SJ_EEES6_PlJS6_EEE10hipError_tPvRmT3_T4_T5_T6_T7_T9_mT8_P12ihipStream_tbDpT10_ENKUlT_T0_E_clISt17integral_constantIbLb1EES1E_IbLb0EEEEDaS1A_S1B_EUlS1A_E_NS1_11comp_targetILNS1_3genE0ELNS1_11target_archE4294967295ELNS1_3gpuE0ELNS1_3repE0EEENS1_30default_config_static_selectorELNS0_4arch9wavefront6targetE1EEEvT1_
		.amdhsa_group_segment_fixed_size 0
		.amdhsa_private_segment_fixed_size 0
		.amdhsa_kernarg_size 128
		.amdhsa_user_sgpr_count 6
		.amdhsa_user_sgpr_private_segment_buffer 1
		.amdhsa_user_sgpr_dispatch_ptr 0
		.amdhsa_user_sgpr_queue_ptr 0
		.amdhsa_user_sgpr_kernarg_segment_ptr 1
		.amdhsa_user_sgpr_dispatch_id 0
		.amdhsa_user_sgpr_flat_scratch_init 0
		.amdhsa_user_sgpr_kernarg_preload_length 0
		.amdhsa_user_sgpr_kernarg_preload_offset 0
		.amdhsa_user_sgpr_private_segment_size 0
		.amdhsa_uses_dynamic_stack 0
		.amdhsa_system_sgpr_private_segment_wavefront_offset 0
		.amdhsa_system_sgpr_workgroup_id_x 1
		.amdhsa_system_sgpr_workgroup_id_y 0
		.amdhsa_system_sgpr_workgroup_id_z 0
		.amdhsa_system_sgpr_workgroup_info 0
		.amdhsa_system_vgpr_workitem_id 0
		.amdhsa_next_free_vgpr 1
		.amdhsa_next_free_sgpr 0
		.amdhsa_accum_offset 4
		.amdhsa_reserve_vcc 0
		.amdhsa_reserve_flat_scratch 0
		.amdhsa_float_round_mode_32 0
		.amdhsa_float_round_mode_16_64 0
		.amdhsa_float_denorm_mode_32 3
		.amdhsa_float_denorm_mode_16_64 3
		.amdhsa_dx10_clamp 1
		.amdhsa_ieee_mode 1
		.amdhsa_fp16_overflow 0
		.amdhsa_tg_split 0
		.amdhsa_exception_fp_ieee_invalid_op 0
		.amdhsa_exception_fp_denorm_src 0
		.amdhsa_exception_fp_ieee_div_zero 0
		.amdhsa_exception_fp_ieee_overflow 0
		.amdhsa_exception_fp_ieee_underflow 0
		.amdhsa_exception_fp_ieee_inexact 0
		.amdhsa_exception_int_div_zero 0
	.end_amdhsa_kernel
	.section	.text._ZN7rocprim17ROCPRIM_400000_NS6detail17trampoline_kernelINS0_14default_configENS1_25partition_config_selectorILNS1_17partition_subalgoE2EiNS0_10empty_typeEbEEZZNS1_14partition_implILS5_2ELb0ES3_jN6thrust23THRUST_200600_302600_NS6detail15normal_iteratorINSA_7pointerIiNSA_11hip_rocprim3tagENSA_11use_defaultESG_EEEEPS6_NSA_18transform_iteratorI7is_evenIiENSC_INSA_10device_ptrIiEEEESG_SG_EENS0_5tupleIJPiSJ_EEENSR_IJSJ_SJ_EEES6_PlJS6_EEE10hipError_tPvRmT3_T4_T5_T6_T7_T9_mT8_P12ihipStream_tbDpT10_ENKUlT_T0_E_clISt17integral_constantIbLb1EES1E_IbLb0EEEEDaS1A_S1B_EUlS1A_E_NS1_11comp_targetILNS1_3genE0ELNS1_11target_archE4294967295ELNS1_3gpuE0ELNS1_3repE0EEENS1_30default_config_static_selectorELNS0_4arch9wavefront6targetE1EEEvT1_,"axG",@progbits,_ZN7rocprim17ROCPRIM_400000_NS6detail17trampoline_kernelINS0_14default_configENS1_25partition_config_selectorILNS1_17partition_subalgoE2EiNS0_10empty_typeEbEEZZNS1_14partition_implILS5_2ELb0ES3_jN6thrust23THRUST_200600_302600_NS6detail15normal_iteratorINSA_7pointerIiNSA_11hip_rocprim3tagENSA_11use_defaultESG_EEEEPS6_NSA_18transform_iteratorI7is_evenIiENSC_INSA_10device_ptrIiEEEESG_SG_EENS0_5tupleIJPiSJ_EEENSR_IJSJ_SJ_EEES6_PlJS6_EEE10hipError_tPvRmT3_T4_T5_T6_T7_T9_mT8_P12ihipStream_tbDpT10_ENKUlT_T0_E_clISt17integral_constantIbLb1EES1E_IbLb0EEEEDaS1A_S1B_EUlS1A_E_NS1_11comp_targetILNS1_3genE0ELNS1_11target_archE4294967295ELNS1_3gpuE0ELNS1_3repE0EEENS1_30default_config_static_selectorELNS0_4arch9wavefront6targetE1EEEvT1_,comdat
.Lfunc_end239:
	.size	_ZN7rocprim17ROCPRIM_400000_NS6detail17trampoline_kernelINS0_14default_configENS1_25partition_config_selectorILNS1_17partition_subalgoE2EiNS0_10empty_typeEbEEZZNS1_14partition_implILS5_2ELb0ES3_jN6thrust23THRUST_200600_302600_NS6detail15normal_iteratorINSA_7pointerIiNSA_11hip_rocprim3tagENSA_11use_defaultESG_EEEEPS6_NSA_18transform_iteratorI7is_evenIiENSC_INSA_10device_ptrIiEEEESG_SG_EENS0_5tupleIJPiSJ_EEENSR_IJSJ_SJ_EEES6_PlJS6_EEE10hipError_tPvRmT3_T4_T5_T6_T7_T9_mT8_P12ihipStream_tbDpT10_ENKUlT_T0_E_clISt17integral_constantIbLb1EES1E_IbLb0EEEEDaS1A_S1B_EUlS1A_E_NS1_11comp_targetILNS1_3genE0ELNS1_11target_archE4294967295ELNS1_3gpuE0ELNS1_3repE0EEENS1_30default_config_static_selectorELNS0_4arch9wavefront6targetE1EEEvT1_, .Lfunc_end239-_ZN7rocprim17ROCPRIM_400000_NS6detail17trampoline_kernelINS0_14default_configENS1_25partition_config_selectorILNS1_17partition_subalgoE2EiNS0_10empty_typeEbEEZZNS1_14partition_implILS5_2ELb0ES3_jN6thrust23THRUST_200600_302600_NS6detail15normal_iteratorINSA_7pointerIiNSA_11hip_rocprim3tagENSA_11use_defaultESG_EEEEPS6_NSA_18transform_iteratorI7is_evenIiENSC_INSA_10device_ptrIiEEEESG_SG_EENS0_5tupleIJPiSJ_EEENSR_IJSJ_SJ_EEES6_PlJS6_EEE10hipError_tPvRmT3_T4_T5_T6_T7_T9_mT8_P12ihipStream_tbDpT10_ENKUlT_T0_E_clISt17integral_constantIbLb1EES1E_IbLb0EEEEDaS1A_S1B_EUlS1A_E_NS1_11comp_targetILNS1_3genE0ELNS1_11target_archE4294967295ELNS1_3gpuE0ELNS1_3repE0EEENS1_30default_config_static_selectorELNS0_4arch9wavefront6targetE1EEEvT1_
                                        ; -- End function
	.section	.AMDGPU.csdata,"",@progbits
; Kernel info:
; codeLenInByte = 0
; NumSgprs: 4
; NumVgprs: 0
; NumAgprs: 0
; TotalNumVgprs: 0
; ScratchSize: 0
; MemoryBound: 0
; FloatMode: 240
; IeeeMode: 1
; LDSByteSize: 0 bytes/workgroup (compile time only)
; SGPRBlocks: 0
; VGPRBlocks: 0
; NumSGPRsForWavesPerEU: 4
; NumVGPRsForWavesPerEU: 1
; AccumOffset: 4
; Occupancy: 8
; WaveLimiterHint : 0
; COMPUTE_PGM_RSRC2:SCRATCH_EN: 0
; COMPUTE_PGM_RSRC2:USER_SGPR: 6
; COMPUTE_PGM_RSRC2:TRAP_HANDLER: 0
; COMPUTE_PGM_RSRC2:TGID_X_EN: 1
; COMPUTE_PGM_RSRC2:TGID_Y_EN: 0
; COMPUTE_PGM_RSRC2:TGID_Z_EN: 0
; COMPUTE_PGM_RSRC2:TIDIG_COMP_CNT: 0
; COMPUTE_PGM_RSRC3_GFX90A:ACCUM_OFFSET: 0
; COMPUTE_PGM_RSRC3_GFX90A:TG_SPLIT: 0
	.section	.text._ZN7rocprim17ROCPRIM_400000_NS6detail17trampoline_kernelINS0_14default_configENS1_25partition_config_selectorILNS1_17partition_subalgoE2EiNS0_10empty_typeEbEEZZNS1_14partition_implILS5_2ELb0ES3_jN6thrust23THRUST_200600_302600_NS6detail15normal_iteratorINSA_7pointerIiNSA_11hip_rocprim3tagENSA_11use_defaultESG_EEEEPS6_NSA_18transform_iteratorI7is_evenIiENSC_INSA_10device_ptrIiEEEESG_SG_EENS0_5tupleIJPiSJ_EEENSR_IJSJ_SJ_EEES6_PlJS6_EEE10hipError_tPvRmT3_T4_T5_T6_T7_T9_mT8_P12ihipStream_tbDpT10_ENKUlT_T0_E_clISt17integral_constantIbLb1EES1E_IbLb0EEEEDaS1A_S1B_EUlS1A_E_NS1_11comp_targetILNS1_3genE5ELNS1_11target_archE942ELNS1_3gpuE9ELNS1_3repE0EEENS1_30default_config_static_selectorELNS0_4arch9wavefront6targetE1EEEvT1_,"axG",@progbits,_ZN7rocprim17ROCPRIM_400000_NS6detail17trampoline_kernelINS0_14default_configENS1_25partition_config_selectorILNS1_17partition_subalgoE2EiNS0_10empty_typeEbEEZZNS1_14partition_implILS5_2ELb0ES3_jN6thrust23THRUST_200600_302600_NS6detail15normal_iteratorINSA_7pointerIiNSA_11hip_rocprim3tagENSA_11use_defaultESG_EEEEPS6_NSA_18transform_iteratorI7is_evenIiENSC_INSA_10device_ptrIiEEEESG_SG_EENS0_5tupleIJPiSJ_EEENSR_IJSJ_SJ_EEES6_PlJS6_EEE10hipError_tPvRmT3_T4_T5_T6_T7_T9_mT8_P12ihipStream_tbDpT10_ENKUlT_T0_E_clISt17integral_constantIbLb1EES1E_IbLb0EEEEDaS1A_S1B_EUlS1A_E_NS1_11comp_targetILNS1_3genE5ELNS1_11target_archE942ELNS1_3gpuE9ELNS1_3repE0EEENS1_30default_config_static_selectorELNS0_4arch9wavefront6targetE1EEEvT1_,comdat
	.protected	_ZN7rocprim17ROCPRIM_400000_NS6detail17trampoline_kernelINS0_14default_configENS1_25partition_config_selectorILNS1_17partition_subalgoE2EiNS0_10empty_typeEbEEZZNS1_14partition_implILS5_2ELb0ES3_jN6thrust23THRUST_200600_302600_NS6detail15normal_iteratorINSA_7pointerIiNSA_11hip_rocprim3tagENSA_11use_defaultESG_EEEEPS6_NSA_18transform_iteratorI7is_evenIiENSC_INSA_10device_ptrIiEEEESG_SG_EENS0_5tupleIJPiSJ_EEENSR_IJSJ_SJ_EEES6_PlJS6_EEE10hipError_tPvRmT3_T4_T5_T6_T7_T9_mT8_P12ihipStream_tbDpT10_ENKUlT_T0_E_clISt17integral_constantIbLb1EES1E_IbLb0EEEEDaS1A_S1B_EUlS1A_E_NS1_11comp_targetILNS1_3genE5ELNS1_11target_archE942ELNS1_3gpuE9ELNS1_3repE0EEENS1_30default_config_static_selectorELNS0_4arch9wavefront6targetE1EEEvT1_ ; -- Begin function _ZN7rocprim17ROCPRIM_400000_NS6detail17trampoline_kernelINS0_14default_configENS1_25partition_config_selectorILNS1_17partition_subalgoE2EiNS0_10empty_typeEbEEZZNS1_14partition_implILS5_2ELb0ES3_jN6thrust23THRUST_200600_302600_NS6detail15normal_iteratorINSA_7pointerIiNSA_11hip_rocprim3tagENSA_11use_defaultESG_EEEEPS6_NSA_18transform_iteratorI7is_evenIiENSC_INSA_10device_ptrIiEEEESG_SG_EENS0_5tupleIJPiSJ_EEENSR_IJSJ_SJ_EEES6_PlJS6_EEE10hipError_tPvRmT3_T4_T5_T6_T7_T9_mT8_P12ihipStream_tbDpT10_ENKUlT_T0_E_clISt17integral_constantIbLb1EES1E_IbLb0EEEEDaS1A_S1B_EUlS1A_E_NS1_11comp_targetILNS1_3genE5ELNS1_11target_archE942ELNS1_3gpuE9ELNS1_3repE0EEENS1_30default_config_static_selectorELNS0_4arch9wavefront6targetE1EEEvT1_
	.globl	_ZN7rocprim17ROCPRIM_400000_NS6detail17trampoline_kernelINS0_14default_configENS1_25partition_config_selectorILNS1_17partition_subalgoE2EiNS0_10empty_typeEbEEZZNS1_14partition_implILS5_2ELb0ES3_jN6thrust23THRUST_200600_302600_NS6detail15normal_iteratorINSA_7pointerIiNSA_11hip_rocprim3tagENSA_11use_defaultESG_EEEEPS6_NSA_18transform_iteratorI7is_evenIiENSC_INSA_10device_ptrIiEEEESG_SG_EENS0_5tupleIJPiSJ_EEENSR_IJSJ_SJ_EEES6_PlJS6_EEE10hipError_tPvRmT3_T4_T5_T6_T7_T9_mT8_P12ihipStream_tbDpT10_ENKUlT_T0_E_clISt17integral_constantIbLb1EES1E_IbLb0EEEEDaS1A_S1B_EUlS1A_E_NS1_11comp_targetILNS1_3genE5ELNS1_11target_archE942ELNS1_3gpuE9ELNS1_3repE0EEENS1_30default_config_static_selectorELNS0_4arch9wavefront6targetE1EEEvT1_
	.p2align	8
	.type	_ZN7rocprim17ROCPRIM_400000_NS6detail17trampoline_kernelINS0_14default_configENS1_25partition_config_selectorILNS1_17partition_subalgoE2EiNS0_10empty_typeEbEEZZNS1_14partition_implILS5_2ELb0ES3_jN6thrust23THRUST_200600_302600_NS6detail15normal_iteratorINSA_7pointerIiNSA_11hip_rocprim3tagENSA_11use_defaultESG_EEEEPS6_NSA_18transform_iteratorI7is_evenIiENSC_INSA_10device_ptrIiEEEESG_SG_EENS0_5tupleIJPiSJ_EEENSR_IJSJ_SJ_EEES6_PlJS6_EEE10hipError_tPvRmT3_T4_T5_T6_T7_T9_mT8_P12ihipStream_tbDpT10_ENKUlT_T0_E_clISt17integral_constantIbLb1EES1E_IbLb0EEEEDaS1A_S1B_EUlS1A_E_NS1_11comp_targetILNS1_3genE5ELNS1_11target_archE942ELNS1_3gpuE9ELNS1_3repE0EEENS1_30default_config_static_selectorELNS0_4arch9wavefront6targetE1EEEvT1_,@function
_ZN7rocprim17ROCPRIM_400000_NS6detail17trampoline_kernelINS0_14default_configENS1_25partition_config_selectorILNS1_17partition_subalgoE2EiNS0_10empty_typeEbEEZZNS1_14partition_implILS5_2ELb0ES3_jN6thrust23THRUST_200600_302600_NS6detail15normal_iteratorINSA_7pointerIiNSA_11hip_rocprim3tagENSA_11use_defaultESG_EEEEPS6_NSA_18transform_iteratorI7is_evenIiENSC_INSA_10device_ptrIiEEEESG_SG_EENS0_5tupleIJPiSJ_EEENSR_IJSJ_SJ_EEES6_PlJS6_EEE10hipError_tPvRmT3_T4_T5_T6_T7_T9_mT8_P12ihipStream_tbDpT10_ENKUlT_T0_E_clISt17integral_constantIbLb1EES1E_IbLb0EEEEDaS1A_S1B_EUlS1A_E_NS1_11comp_targetILNS1_3genE5ELNS1_11target_archE942ELNS1_3gpuE9ELNS1_3repE0EEENS1_30default_config_static_selectorELNS0_4arch9wavefront6targetE1EEEvT1_: ; @_ZN7rocprim17ROCPRIM_400000_NS6detail17trampoline_kernelINS0_14default_configENS1_25partition_config_selectorILNS1_17partition_subalgoE2EiNS0_10empty_typeEbEEZZNS1_14partition_implILS5_2ELb0ES3_jN6thrust23THRUST_200600_302600_NS6detail15normal_iteratorINSA_7pointerIiNSA_11hip_rocprim3tagENSA_11use_defaultESG_EEEEPS6_NSA_18transform_iteratorI7is_evenIiENSC_INSA_10device_ptrIiEEEESG_SG_EENS0_5tupleIJPiSJ_EEENSR_IJSJ_SJ_EEES6_PlJS6_EEE10hipError_tPvRmT3_T4_T5_T6_T7_T9_mT8_P12ihipStream_tbDpT10_ENKUlT_T0_E_clISt17integral_constantIbLb1EES1E_IbLb0EEEEDaS1A_S1B_EUlS1A_E_NS1_11comp_targetILNS1_3genE5ELNS1_11target_archE942ELNS1_3gpuE9ELNS1_3repE0EEENS1_30default_config_static_selectorELNS0_4arch9wavefront6targetE1EEEvT1_
; %bb.0:
	.section	.rodata,"a",@progbits
	.p2align	6, 0x0
	.amdhsa_kernel _ZN7rocprim17ROCPRIM_400000_NS6detail17trampoline_kernelINS0_14default_configENS1_25partition_config_selectorILNS1_17partition_subalgoE2EiNS0_10empty_typeEbEEZZNS1_14partition_implILS5_2ELb0ES3_jN6thrust23THRUST_200600_302600_NS6detail15normal_iteratorINSA_7pointerIiNSA_11hip_rocprim3tagENSA_11use_defaultESG_EEEEPS6_NSA_18transform_iteratorI7is_evenIiENSC_INSA_10device_ptrIiEEEESG_SG_EENS0_5tupleIJPiSJ_EEENSR_IJSJ_SJ_EEES6_PlJS6_EEE10hipError_tPvRmT3_T4_T5_T6_T7_T9_mT8_P12ihipStream_tbDpT10_ENKUlT_T0_E_clISt17integral_constantIbLb1EES1E_IbLb0EEEEDaS1A_S1B_EUlS1A_E_NS1_11comp_targetILNS1_3genE5ELNS1_11target_archE942ELNS1_3gpuE9ELNS1_3repE0EEENS1_30default_config_static_selectorELNS0_4arch9wavefront6targetE1EEEvT1_
		.amdhsa_group_segment_fixed_size 0
		.amdhsa_private_segment_fixed_size 0
		.amdhsa_kernarg_size 128
		.amdhsa_user_sgpr_count 6
		.amdhsa_user_sgpr_private_segment_buffer 1
		.amdhsa_user_sgpr_dispatch_ptr 0
		.amdhsa_user_sgpr_queue_ptr 0
		.amdhsa_user_sgpr_kernarg_segment_ptr 1
		.amdhsa_user_sgpr_dispatch_id 0
		.amdhsa_user_sgpr_flat_scratch_init 0
		.amdhsa_user_sgpr_kernarg_preload_length 0
		.amdhsa_user_sgpr_kernarg_preload_offset 0
		.amdhsa_user_sgpr_private_segment_size 0
		.amdhsa_uses_dynamic_stack 0
		.amdhsa_system_sgpr_private_segment_wavefront_offset 0
		.amdhsa_system_sgpr_workgroup_id_x 1
		.amdhsa_system_sgpr_workgroup_id_y 0
		.amdhsa_system_sgpr_workgroup_id_z 0
		.amdhsa_system_sgpr_workgroup_info 0
		.amdhsa_system_vgpr_workitem_id 0
		.amdhsa_next_free_vgpr 1
		.amdhsa_next_free_sgpr 0
		.amdhsa_accum_offset 4
		.amdhsa_reserve_vcc 0
		.amdhsa_reserve_flat_scratch 0
		.amdhsa_float_round_mode_32 0
		.amdhsa_float_round_mode_16_64 0
		.amdhsa_float_denorm_mode_32 3
		.amdhsa_float_denorm_mode_16_64 3
		.amdhsa_dx10_clamp 1
		.amdhsa_ieee_mode 1
		.amdhsa_fp16_overflow 0
		.amdhsa_tg_split 0
		.amdhsa_exception_fp_ieee_invalid_op 0
		.amdhsa_exception_fp_denorm_src 0
		.amdhsa_exception_fp_ieee_div_zero 0
		.amdhsa_exception_fp_ieee_overflow 0
		.amdhsa_exception_fp_ieee_underflow 0
		.amdhsa_exception_fp_ieee_inexact 0
		.amdhsa_exception_int_div_zero 0
	.end_amdhsa_kernel
	.section	.text._ZN7rocprim17ROCPRIM_400000_NS6detail17trampoline_kernelINS0_14default_configENS1_25partition_config_selectorILNS1_17partition_subalgoE2EiNS0_10empty_typeEbEEZZNS1_14partition_implILS5_2ELb0ES3_jN6thrust23THRUST_200600_302600_NS6detail15normal_iteratorINSA_7pointerIiNSA_11hip_rocprim3tagENSA_11use_defaultESG_EEEEPS6_NSA_18transform_iteratorI7is_evenIiENSC_INSA_10device_ptrIiEEEESG_SG_EENS0_5tupleIJPiSJ_EEENSR_IJSJ_SJ_EEES6_PlJS6_EEE10hipError_tPvRmT3_T4_T5_T6_T7_T9_mT8_P12ihipStream_tbDpT10_ENKUlT_T0_E_clISt17integral_constantIbLb1EES1E_IbLb0EEEEDaS1A_S1B_EUlS1A_E_NS1_11comp_targetILNS1_3genE5ELNS1_11target_archE942ELNS1_3gpuE9ELNS1_3repE0EEENS1_30default_config_static_selectorELNS0_4arch9wavefront6targetE1EEEvT1_,"axG",@progbits,_ZN7rocprim17ROCPRIM_400000_NS6detail17trampoline_kernelINS0_14default_configENS1_25partition_config_selectorILNS1_17partition_subalgoE2EiNS0_10empty_typeEbEEZZNS1_14partition_implILS5_2ELb0ES3_jN6thrust23THRUST_200600_302600_NS6detail15normal_iteratorINSA_7pointerIiNSA_11hip_rocprim3tagENSA_11use_defaultESG_EEEEPS6_NSA_18transform_iteratorI7is_evenIiENSC_INSA_10device_ptrIiEEEESG_SG_EENS0_5tupleIJPiSJ_EEENSR_IJSJ_SJ_EEES6_PlJS6_EEE10hipError_tPvRmT3_T4_T5_T6_T7_T9_mT8_P12ihipStream_tbDpT10_ENKUlT_T0_E_clISt17integral_constantIbLb1EES1E_IbLb0EEEEDaS1A_S1B_EUlS1A_E_NS1_11comp_targetILNS1_3genE5ELNS1_11target_archE942ELNS1_3gpuE9ELNS1_3repE0EEENS1_30default_config_static_selectorELNS0_4arch9wavefront6targetE1EEEvT1_,comdat
.Lfunc_end240:
	.size	_ZN7rocprim17ROCPRIM_400000_NS6detail17trampoline_kernelINS0_14default_configENS1_25partition_config_selectorILNS1_17partition_subalgoE2EiNS0_10empty_typeEbEEZZNS1_14partition_implILS5_2ELb0ES3_jN6thrust23THRUST_200600_302600_NS6detail15normal_iteratorINSA_7pointerIiNSA_11hip_rocprim3tagENSA_11use_defaultESG_EEEEPS6_NSA_18transform_iteratorI7is_evenIiENSC_INSA_10device_ptrIiEEEESG_SG_EENS0_5tupleIJPiSJ_EEENSR_IJSJ_SJ_EEES6_PlJS6_EEE10hipError_tPvRmT3_T4_T5_T6_T7_T9_mT8_P12ihipStream_tbDpT10_ENKUlT_T0_E_clISt17integral_constantIbLb1EES1E_IbLb0EEEEDaS1A_S1B_EUlS1A_E_NS1_11comp_targetILNS1_3genE5ELNS1_11target_archE942ELNS1_3gpuE9ELNS1_3repE0EEENS1_30default_config_static_selectorELNS0_4arch9wavefront6targetE1EEEvT1_, .Lfunc_end240-_ZN7rocprim17ROCPRIM_400000_NS6detail17trampoline_kernelINS0_14default_configENS1_25partition_config_selectorILNS1_17partition_subalgoE2EiNS0_10empty_typeEbEEZZNS1_14partition_implILS5_2ELb0ES3_jN6thrust23THRUST_200600_302600_NS6detail15normal_iteratorINSA_7pointerIiNSA_11hip_rocprim3tagENSA_11use_defaultESG_EEEEPS6_NSA_18transform_iteratorI7is_evenIiENSC_INSA_10device_ptrIiEEEESG_SG_EENS0_5tupleIJPiSJ_EEENSR_IJSJ_SJ_EEES6_PlJS6_EEE10hipError_tPvRmT3_T4_T5_T6_T7_T9_mT8_P12ihipStream_tbDpT10_ENKUlT_T0_E_clISt17integral_constantIbLb1EES1E_IbLb0EEEEDaS1A_S1B_EUlS1A_E_NS1_11comp_targetILNS1_3genE5ELNS1_11target_archE942ELNS1_3gpuE9ELNS1_3repE0EEENS1_30default_config_static_selectorELNS0_4arch9wavefront6targetE1EEEvT1_
                                        ; -- End function
	.section	.AMDGPU.csdata,"",@progbits
; Kernel info:
; codeLenInByte = 0
; NumSgprs: 4
; NumVgprs: 0
; NumAgprs: 0
; TotalNumVgprs: 0
; ScratchSize: 0
; MemoryBound: 0
; FloatMode: 240
; IeeeMode: 1
; LDSByteSize: 0 bytes/workgroup (compile time only)
; SGPRBlocks: 0
; VGPRBlocks: 0
; NumSGPRsForWavesPerEU: 4
; NumVGPRsForWavesPerEU: 1
; AccumOffset: 4
; Occupancy: 8
; WaveLimiterHint : 0
; COMPUTE_PGM_RSRC2:SCRATCH_EN: 0
; COMPUTE_PGM_RSRC2:USER_SGPR: 6
; COMPUTE_PGM_RSRC2:TRAP_HANDLER: 0
; COMPUTE_PGM_RSRC2:TGID_X_EN: 1
; COMPUTE_PGM_RSRC2:TGID_Y_EN: 0
; COMPUTE_PGM_RSRC2:TGID_Z_EN: 0
; COMPUTE_PGM_RSRC2:TIDIG_COMP_CNT: 0
; COMPUTE_PGM_RSRC3_GFX90A:ACCUM_OFFSET: 0
; COMPUTE_PGM_RSRC3_GFX90A:TG_SPLIT: 0
	.section	.text._ZN7rocprim17ROCPRIM_400000_NS6detail17trampoline_kernelINS0_14default_configENS1_25partition_config_selectorILNS1_17partition_subalgoE2EiNS0_10empty_typeEbEEZZNS1_14partition_implILS5_2ELb0ES3_jN6thrust23THRUST_200600_302600_NS6detail15normal_iteratorINSA_7pointerIiNSA_11hip_rocprim3tagENSA_11use_defaultESG_EEEEPS6_NSA_18transform_iteratorI7is_evenIiENSC_INSA_10device_ptrIiEEEESG_SG_EENS0_5tupleIJPiSJ_EEENSR_IJSJ_SJ_EEES6_PlJS6_EEE10hipError_tPvRmT3_T4_T5_T6_T7_T9_mT8_P12ihipStream_tbDpT10_ENKUlT_T0_E_clISt17integral_constantIbLb1EES1E_IbLb0EEEEDaS1A_S1B_EUlS1A_E_NS1_11comp_targetILNS1_3genE4ELNS1_11target_archE910ELNS1_3gpuE8ELNS1_3repE0EEENS1_30default_config_static_selectorELNS0_4arch9wavefront6targetE1EEEvT1_,"axG",@progbits,_ZN7rocprim17ROCPRIM_400000_NS6detail17trampoline_kernelINS0_14default_configENS1_25partition_config_selectorILNS1_17partition_subalgoE2EiNS0_10empty_typeEbEEZZNS1_14partition_implILS5_2ELb0ES3_jN6thrust23THRUST_200600_302600_NS6detail15normal_iteratorINSA_7pointerIiNSA_11hip_rocprim3tagENSA_11use_defaultESG_EEEEPS6_NSA_18transform_iteratorI7is_evenIiENSC_INSA_10device_ptrIiEEEESG_SG_EENS0_5tupleIJPiSJ_EEENSR_IJSJ_SJ_EEES6_PlJS6_EEE10hipError_tPvRmT3_T4_T5_T6_T7_T9_mT8_P12ihipStream_tbDpT10_ENKUlT_T0_E_clISt17integral_constantIbLb1EES1E_IbLb0EEEEDaS1A_S1B_EUlS1A_E_NS1_11comp_targetILNS1_3genE4ELNS1_11target_archE910ELNS1_3gpuE8ELNS1_3repE0EEENS1_30default_config_static_selectorELNS0_4arch9wavefront6targetE1EEEvT1_,comdat
	.protected	_ZN7rocprim17ROCPRIM_400000_NS6detail17trampoline_kernelINS0_14default_configENS1_25partition_config_selectorILNS1_17partition_subalgoE2EiNS0_10empty_typeEbEEZZNS1_14partition_implILS5_2ELb0ES3_jN6thrust23THRUST_200600_302600_NS6detail15normal_iteratorINSA_7pointerIiNSA_11hip_rocprim3tagENSA_11use_defaultESG_EEEEPS6_NSA_18transform_iteratorI7is_evenIiENSC_INSA_10device_ptrIiEEEESG_SG_EENS0_5tupleIJPiSJ_EEENSR_IJSJ_SJ_EEES6_PlJS6_EEE10hipError_tPvRmT3_T4_T5_T6_T7_T9_mT8_P12ihipStream_tbDpT10_ENKUlT_T0_E_clISt17integral_constantIbLb1EES1E_IbLb0EEEEDaS1A_S1B_EUlS1A_E_NS1_11comp_targetILNS1_3genE4ELNS1_11target_archE910ELNS1_3gpuE8ELNS1_3repE0EEENS1_30default_config_static_selectorELNS0_4arch9wavefront6targetE1EEEvT1_ ; -- Begin function _ZN7rocprim17ROCPRIM_400000_NS6detail17trampoline_kernelINS0_14default_configENS1_25partition_config_selectorILNS1_17partition_subalgoE2EiNS0_10empty_typeEbEEZZNS1_14partition_implILS5_2ELb0ES3_jN6thrust23THRUST_200600_302600_NS6detail15normal_iteratorINSA_7pointerIiNSA_11hip_rocprim3tagENSA_11use_defaultESG_EEEEPS6_NSA_18transform_iteratorI7is_evenIiENSC_INSA_10device_ptrIiEEEESG_SG_EENS0_5tupleIJPiSJ_EEENSR_IJSJ_SJ_EEES6_PlJS6_EEE10hipError_tPvRmT3_T4_T5_T6_T7_T9_mT8_P12ihipStream_tbDpT10_ENKUlT_T0_E_clISt17integral_constantIbLb1EES1E_IbLb0EEEEDaS1A_S1B_EUlS1A_E_NS1_11comp_targetILNS1_3genE4ELNS1_11target_archE910ELNS1_3gpuE8ELNS1_3repE0EEENS1_30default_config_static_selectorELNS0_4arch9wavefront6targetE1EEEvT1_
	.globl	_ZN7rocprim17ROCPRIM_400000_NS6detail17trampoline_kernelINS0_14default_configENS1_25partition_config_selectorILNS1_17partition_subalgoE2EiNS0_10empty_typeEbEEZZNS1_14partition_implILS5_2ELb0ES3_jN6thrust23THRUST_200600_302600_NS6detail15normal_iteratorINSA_7pointerIiNSA_11hip_rocprim3tagENSA_11use_defaultESG_EEEEPS6_NSA_18transform_iteratorI7is_evenIiENSC_INSA_10device_ptrIiEEEESG_SG_EENS0_5tupleIJPiSJ_EEENSR_IJSJ_SJ_EEES6_PlJS6_EEE10hipError_tPvRmT3_T4_T5_T6_T7_T9_mT8_P12ihipStream_tbDpT10_ENKUlT_T0_E_clISt17integral_constantIbLb1EES1E_IbLb0EEEEDaS1A_S1B_EUlS1A_E_NS1_11comp_targetILNS1_3genE4ELNS1_11target_archE910ELNS1_3gpuE8ELNS1_3repE0EEENS1_30default_config_static_selectorELNS0_4arch9wavefront6targetE1EEEvT1_
	.p2align	8
	.type	_ZN7rocprim17ROCPRIM_400000_NS6detail17trampoline_kernelINS0_14default_configENS1_25partition_config_selectorILNS1_17partition_subalgoE2EiNS0_10empty_typeEbEEZZNS1_14partition_implILS5_2ELb0ES3_jN6thrust23THRUST_200600_302600_NS6detail15normal_iteratorINSA_7pointerIiNSA_11hip_rocprim3tagENSA_11use_defaultESG_EEEEPS6_NSA_18transform_iteratorI7is_evenIiENSC_INSA_10device_ptrIiEEEESG_SG_EENS0_5tupleIJPiSJ_EEENSR_IJSJ_SJ_EEES6_PlJS6_EEE10hipError_tPvRmT3_T4_T5_T6_T7_T9_mT8_P12ihipStream_tbDpT10_ENKUlT_T0_E_clISt17integral_constantIbLb1EES1E_IbLb0EEEEDaS1A_S1B_EUlS1A_E_NS1_11comp_targetILNS1_3genE4ELNS1_11target_archE910ELNS1_3gpuE8ELNS1_3repE0EEENS1_30default_config_static_selectorELNS0_4arch9wavefront6targetE1EEEvT1_,@function
_ZN7rocprim17ROCPRIM_400000_NS6detail17trampoline_kernelINS0_14default_configENS1_25partition_config_selectorILNS1_17partition_subalgoE2EiNS0_10empty_typeEbEEZZNS1_14partition_implILS5_2ELb0ES3_jN6thrust23THRUST_200600_302600_NS6detail15normal_iteratorINSA_7pointerIiNSA_11hip_rocprim3tagENSA_11use_defaultESG_EEEEPS6_NSA_18transform_iteratorI7is_evenIiENSC_INSA_10device_ptrIiEEEESG_SG_EENS0_5tupleIJPiSJ_EEENSR_IJSJ_SJ_EEES6_PlJS6_EEE10hipError_tPvRmT3_T4_T5_T6_T7_T9_mT8_P12ihipStream_tbDpT10_ENKUlT_T0_E_clISt17integral_constantIbLb1EES1E_IbLb0EEEEDaS1A_S1B_EUlS1A_E_NS1_11comp_targetILNS1_3genE4ELNS1_11target_archE910ELNS1_3gpuE8ELNS1_3repE0EEENS1_30default_config_static_selectorELNS0_4arch9wavefront6targetE1EEEvT1_: ; @_ZN7rocprim17ROCPRIM_400000_NS6detail17trampoline_kernelINS0_14default_configENS1_25partition_config_selectorILNS1_17partition_subalgoE2EiNS0_10empty_typeEbEEZZNS1_14partition_implILS5_2ELb0ES3_jN6thrust23THRUST_200600_302600_NS6detail15normal_iteratorINSA_7pointerIiNSA_11hip_rocprim3tagENSA_11use_defaultESG_EEEEPS6_NSA_18transform_iteratorI7is_evenIiENSC_INSA_10device_ptrIiEEEESG_SG_EENS0_5tupleIJPiSJ_EEENSR_IJSJ_SJ_EEES6_PlJS6_EEE10hipError_tPvRmT3_T4_T5_T6_T7_T9_mT8_P12ihipStream_tbDpT10_ENKUlT_T0_E_clISt17integral_constantIbLb1EES1E_IbLb0EEEEDaS1A_S1B_EUlS1A_E_NS1_11comp_targetILNS1_3genE4ELNS1_11target_archE910ELNS1_3gpuE8ELNS1_3repE0EEENS1_30default_config_static_selectorELNS0_4arch9wavefront6targetE1EEEvT1_
; %bb.0:
	s_load_dwordx4 s[24:27], s[4:5], 0x8
	s_load_dwordx2 s[2:3], s[4:5], 0x20
	s_load_dwordx2 s[28:29], s[4:5], 0x60
	s_load_dwordx4 s[20:23], s[4:5], 0x50
	s_load_dword s0, s[4:5], 0x78
	s_waitcnt lgkmcnt(0)
	s_lshl_b64 s[8:9], s[26:27], 2
	s_add_u32 s7, s24, s8
	s_addc_u32 s12, s25, s9
	s_load_dwordx2 s[30:31], s[22:23], 0x0
	s_add_i32 s10, s0, -1
	s_mulk_i32 s0, 0xa00
	s_add_i32 s1, s0, s26
	s_sub_i32 s33, s28, s1
	s_addk_i32 s33, 0xa00
	s_add_u32 s0, s26, s0
	s_addc_u32 s1, s27, 0
	s_cmp_eq_u32 s6, s10
	v_pk_mov_b32 v[2:3], s[28:29], s[28:29] op_sel:[0,1]
	s_cselect_b64 s[22:23], -1, 0
	s_cmp_lg_u32 s6, s10
	s_mul_i32 s24, s6, 0xa00
	s_mov_b32 s25, 0
	v_cmp_lt_u64_e32 vcc, s[0:1], v[2:3]
	s_cselect_b64 s[0:1], -1, 0
	s_or_b64 s[34:35], s[0:1], vcc
	s_lshl_b64 s[10:11], s[24:25], 2
	s_add_u32 s7, s7, s10
	s_addc_u32 s14, s12, s11
	s_mov_b64 s[0:1], -1
	s_and_b64 vcc, exec, s[34:35]
	v_lshlrev_b32_e32 v1, 2, v0
	s_cbranch_vccz .LBB241_2
; %bb.1:
	v_mov_b32_e32 v3, s14
	v_add_co_u32_e32 v2, vcc, s7, v1
	v_addc_co_u32_e32 v3, vcc, 0, v3, vcc
	v_add_co_u32_e32 v4, vcc, 0x1000, v2
	v_addc_co_u32_e32 v5, vcc, 0, v3, vcc
	flat_load_dword v6, v[2:3]
	flat_load_dword v7, v[2:3] offset:1024
	flat_load_dword v8, v[2:3] offset:2048
	;; [unrolled: 1-line block ×3, first 2 shown]
	flat_load_dword v10, v[4:5]
	flat_load_dword v11, v[4:5] offset:1024
	flat_load_dword v12, v[4:5] offset:2048
	;; [unrolled: 1-line block ×3, first 2 shown]
	v_add_co_u32_e32 v2, vcc, 0x2000, v2
	v_addc_co_u32_e32 v3, vcc, 0, v3, vcc
	flat_load_dword v4, v[2:3]
	flat_load_dword v5, v[2:3] offset:1024
	s_mov_b64 s[0:1], 0
	s_waitcnt vmcnt(0) lgkmcnt(0)
	ds_write2st64_b32 v1, v6, v7 offset1:4
	ds_write2st64_b32 v1, v8, v9 offset0:8 offset1:12
	ds_write2st64_b32 v1, v10, v11 offset0:16 offset1:20
	;; [unrolled: 1-line block ×4, first 2 shown]
	s_waitcnt lgkmcnt(0)
	s_barrier
.LBB241_2:
	s_andn2_b64 vcc, exec, s[0:1]
	v_cmp_gt_u32_e64 s[0:1], s33, v0
	s_cbranch_vccnz .LBB241_24
; %bb.3:
                                        ; implicit-def: $vgpr2_vgpr3_vgpr4_vgpr5_vgpr6_vgpr7_vgpr8_vgpr9_vgpr10_vgpr11
	s_and_saveexec_b64 s[12:13], s[0:1]
	s_cbranch_execz .LBB241_5
; %bb.4:
	v_mov_b32_e32 v3, s14
	v_add_co_u32_e32 v2, vcc, s7, v1
	v_addc_co_u32_e32 v3, vcc, 0, v3, vcc
	flat_load_dword v2, v[2:3]
.LBB241_5:
	s_or_b64 exec, exec, s[12:13]
	v_or_b32_e32 v12, 0x100, v0
	v_cmp_gt_u32_e32 vcc, s33, v12
	s_and_saveexec_b64 s[0:1], vcc
	s_cbranch_execz .LBB241_7
; %bb.6:
	v_mov_b32_e32 v3, s14
	v_add_co_u32_e32 v12, vcc, s7, v1
	v_addc_co_u32_e32 v13, vcc, 0, v3, vcc
	flat_load_dword v3, v[12:13] offset:1024
.LBB241_7:
	s_or_b64 exec, exec, s[0:1]
	v_or_b32_e32 v12, 0x200, v0
	v_cmp_gt_u32_e32 vcc, s33, v12
	s_and_saveexec_b64 s[0:1], vcc
	s_cbranch_execz .LBB241_9
; %bb.8:
	v_mov_b32_e32 v4, s14
	v_add_co_u32_e32 v12, vcc, s7, v1
	v_addc_co_u32_e32 v13, vcc, 0, v4, vcc
	flat_load_dword v4, v[12:13] offset:2048
.LBB241_9:
	;; [unrolled: 11-line block ×3, first 2 shown]
	s_or_b64 exec, exec, s[0:1]
	v_or_b32_e32 v12, 0x400, v0
	v_cmp_gt_u32_e32 vcc, s33, v12
	s_and_saveexec_b64 s[0:1], vcc
	s_cbranch_execz .LBB241_13
; %bb.12:
	v_lshlrev_b32_e32 v6, 2, v12
	v_mov_b32_e32 v13, s14
	v_add_co_u32_e32 v12, vcc, s7, v6
	v_addc_co_u32_e32 v13, vcc, 0, v13, vcc
	flat_load_dword v6, v[12:13]
.LBB241_13:
	s_or_b64 exec, exec, s[0:1]
	v_or_b32_e32 v12, 0x500, v0
	v_cmp_gt_u32_e32 vcc, s33, v12
	s_and_saveexec_b64 s[0:1], vcc
	s_cbranch_execz .LBB241_15
; %bb.14:
	v_lshlrev_b32_e32 v7, 2, v12
	v_mov_b32_e32 v13, s14
	v_add_co_u32_e32 v12, vcc, s7, v7
	v_addc_co_u32_e32 v13, vcc, 0, v13, vcc
	flat_load_dword v7, v[12:13]
.LBB241_15:
	;; [unrolled: 12-line block ×6, first 2 shown]
	s_or_b64 exec, exec, s[0:1]
	s_waitcnt vmcnt(0) lgkmcnt(0)
	ds_write2st64_b32 v1, v2, v3 offset1:4
	ds_write2st64_b32 v1, v4, v5 offset0:8 offset1:12
	ds_write2st64_b32 v1, v6, v7 offset0:16 offset1:20
	;; [unrolled: 1-line block ×4, first 2 shown]
	s_waitcnt lgkmcnt(0)
	s_barrier
.LBB241_24:
	v_mul_u32_u24_e32 v24, 10, v0
	v_lshlrev_b32_e32 v10, 2, v24
	s_waitcnt lgkmcnt(0)
	ds_read2_b64 v[6:9], v10 offset1:1
	ds_read2_b64 v[2:5], v10 offset0:2 offset1:3
	ds_read_b64 v[12:13], v10 offset:32
	s_add_u32 s0, s2, s8
	s_addc_u32 s1, s3, s9
	s_add_u32 s0, s0, s10
	s_addc_u32 s1, s1, s11
	s_mov_b64 s[2:3], -1
	s_and_b64 vcc, exec, s[34:35]
	s_waitcnt lgkmcnt(0)
	s_barrier
	s_cbranch_vccz .LBB241_26
; %bb.25:
	v_mov_b32_e32 v11, s1
	v_add_co_u32_e32 v16, vcc, s0, v1
	v_addc_co_u32_e32 v11, vcc, 0, v11, vcc
	s_movk_i32 s2, 0x1000
	v_add_co_u32_e32 v14, vcc, s2, v16
	global_load_dword v18, v1, s[0:1]
	global_load_dword v19, v1, s[0:1] offset:1024
	global_load_dword v20, v1, s[0:1] offset:2048
	;; [unrolled: 1-line block ×3, first 2 shown]
	v_addc_co_u32_e32 v15, vcc, 0, v11, vcc
	s_movk_i32 s2, 0x2000
	v_add_co_u32_e32 v16, vcc, s2, v16
	v_addc_co_u32_e32 v17, vcc, 0, v11, vcc
	global_load_dword v11, v[14:15], off offset:1024
	global_load_dword v22, v[14:15], off offset:2048
	global_load_dword v23, v[16:17], off offset:-4096
	global_load_dword v25, v[16:17], off
	global_load_dword v26, v[16:17], off offset:1024
	global_load_dword v27, v[14:15], off offset:3072
	s_mov_b64 s[2:3], 0
	s_waitcnt vmcnt(9)
	v_xor_b32_e32 v14, -1, v18
	s_waitcnt vmcnt(8)
	v_xor_b32_e32 v15, -1, v19
	;; [unrolled: 2-line block ×4, first 2 shown]
	v_and_b32_e32 v14, 1, v14
	v_and_b32_e32 v15, 1, v15
	;; [unrolled: 1-line block ×4, first 2 shown]
	s_waitcnt vmcnt(5)
	v_xor_b32_e32 v11, -1, v11
	ds_write_b8 v0, v14
	ds_write_b8 v0, v15 offset:256
	ds_write_b8 v0, v16 offset:512
	;; [unrolled: 1-line block ×3, first 2 shown]
	s_waitcnt vmcnt(4)
	v_xor_b32_e32 v14, -1, v22
	s_waitcnt vmcnt(3)
	v_xor_b32_e32 v15, -1, v23
	v_and_b32_e32 v11, 1, v11
	s_waitcnt vmcnt(0)
	v_xor_b32_e32 v16, -1, v27
	v_xor_b32_e32 v17, -1, v25
	;; [unrolled: 1-line block ×3, first 2 shown]
	v_and_b32_e32 v14, 1, v14
	v_and_b32_e32 v15, 1, v15
	;; [unrolled: 1-line block ×5, first 2 shown]
	ds_write_b8 v0, v11 offset:1280
	ds_write_b8 v0, v14 offset:1536
	;; [unrolled: 1-line block ×6, first 2 shown]
	s_waitcnt lgkmcnt(0)
	s_barrier
.LBB241_26:
	s_load_dwordx2 s[36:37], s[4:5], 0x70
	s_andn2_b64 vcc, exec, s[2:3]
	s_cbranch_vccnz .LBB241_48
; %bb.27:
	v_cmp_gt_u32_e32 vcc, s33, v0
	v_mov_b32_e32 v11, 0
	v_mov_b32_e32 v14, 0
	s_and_saveexec_b64 s[2:3], vcc
	s_cbranch_execz .LBB241_29
; %bb.28:
	global_load_dword v14, v1, s[0:1]
	s_waitcnt vmcnt(0)
	v_xor_b32_e32 v14, -1, v14
	v_and_b32_e32 v14, 1, v14
.LBB241_29:
	s_or_b64 exec, exec, s[2:3]
	v_or_b32_e32 v15, 0x100, v0
	v_cmp_gt_u32_e32 vcc, s33, v15
	s_and_saveexec_b64 s[2:3], vcc
	s_cbranch_execz .LBB241_31
; %bb.30:
	global_load_dword v11, v1, s[0:1] offset:1024
	s_waitcnt vmcnt(0)
	v_xor_b32_e32 v11, -1, v11
	v_and_b32_e32 v11, 1, v11
.LBB241_31:
	s_or_b64 exec, exec, s[2:3]
	v_or_b32_e32 v15, 0x200, v0
	v_cmp_gt_u32_e32 vcc, s33, v15
	v_mov_b32_e32 v15, 0
	v_mov_b32_e32 v16, 0
	s_and_saveexec_b64 s[2:3], vcc
	s_cbranch_execz .LBB241_33
; %bb.32:
	global_load_dword v16, v1, s[0:1] offset:2048
	s_waitcnt vmcnt(0)
	v_xor_b32_e32 v16, -1, v16
	v_and_b32_e32 v16, 1, v16
.LBB241_33:
	s_or_b64 exec, exec, s[2:3]
	v_or_b32_e32 v17, 0x300, v0
	v_cmp_gt_u32_e32 vcc, s33, v17
	s_and_saveexec_b64 s[2:3], vcc
	s_cbranch_execz .LBB241_35
; %bb.34:
	global_load_dword v15, v1, s[0:1] offset:3072
	s_waitcnt vmcnt(0)
	v_xor_b32_e32 v15, -1, v15
	v_and_b32_e32 v15, 1, v15
.LBB241_35:
	s_or_b64 exec, exec, s[2:3]
	v_or_b32_e32 v19, 0x400, v0
	v_cmp_gt_u32_e32 vcc, s33, v19
	v_mov_b32_e32 v17, 0
	v_mov_b32_e32 v18, 0
	s_and_saveexec_b64 s[2:3], vcc
	s_cbranch_execz .LBB241_37
; %bb.36:
	v_lshlrev_b32_e32 v18, 2, v19
	global_load_dword v18, v18, s[0:1]
	s_waitcnt vmcnt(0)
	v_xor_b32_e32 v18, -1, v18
	v_and_b32_e32 v18, 1, v18
.LBB241_37:
	s_or_b64 exec, exec, s[2:3]
	v_or_b32_e32 v19, 0x500, v0
	v_cmp_gt_u32_e32 vcc, s33, v19
	s_and_saveexec_b64 s[2:3], vcc
	s_cbranch_execz .LBB241_39
; %bb.38:
	v_lshlrev_b32_e32 v17, 2, v19
	global_load_dword v17, v17, s[0:1]
	s_waitcnt vmcnt(0)
	v_xor_b32_e32 v17, -1, v17
	v_and_b32_e32 v17, 1, v17
.LBB241_39:
	s_or_b64 exec, exec, s[2:3]
	v_or_b32_e32 v21, 0x600, v0
	v_cmp_gt_u32_e32 vcc, s33, v21
	v_mov_b32_e32 v19, 0
	v_mov_b32_e32 v20, 0
	s_and_saveexec_b64 s[2:3], vcc
	s_cbranch_execz .LBB241_41
; %bb.40:
	v_lshlrev_b32_e32 v20, 2, v21
	global_load_dword v20, v20, s[0:1]
	s_waitcnt vmcnt(0)
	v_xor_b32_e32 v20, -1, v20
	v_and_b32_e32 v20, 1, v20
.LBB241_41:
	s_or_b64 exec, exec, s[2:3]
	v_or_b32_e32 v21, 0x700, v0
	v_cmp_gt_u32_e32 vcc, s33, v21
	s_and_saveexec_b64 s[2:3], vcc
	s_cbranch_execz .LBB241_43
; %bb.42:
	v_lshlrev_b32_e32 v19, 2, v21
	global_load_dword v19, v19, s[0:1]
	s_waitcnt vmcnt(0)
	v_xor_b32_e32 v19, -1, v19
	v_and_b32_e32 v19, 1, v19
.LBB241_43:
	;; [unrolled: 26-line block ×3, first 2 shown]
	s_or_b64 exec, exec, s[2:3]
	ds_write_b8 v0, v14
	ds_write_b8 v0, v11 offset:256
	ds_write_b8 v0, v16 offset:512
	;; [unrolled: 1-line block ×9, first 2 shown]
	s_waitcnt lgkmcnt(0)
	s_barrier
.LBB241_48:
	s_movk_i32 s0, 0xffe2
	v_mad_i32_i24 v35, v0, s0, v10
	s_waitcnt lgkmcnt(0)
	ds_read_b64 v[14:15], v35
	ds_read_u16 v26, v35 offset:8
	s_cmp_lg_u32 s6, 0
	v_lshrrev_b32_e32 v36, 6, v0
	s_waitcnt lgkmcnt(0)
	v_lshrrev_b32_e32 v28, 24, v14
	v_bfe_u32 v33, v14, 16, 8
	v_add_u32_sdwa v10, v14, v14 dst_sel:DWORD dst_unused:UNUSED_PAD src0_sel:BYTE_1 src1_sel:BYTE_0
	v_and_b32_e32 v30, 0xff, v15
	v_bfe_u32 v31, v15, 8, 8
	v_add3_u32 v10, v10, v33, v28
	v_lshrrev_b32_e32 v27, 24, v15
	v_bfe_u32 v32, v15, 16, 8
	v_add3_u32 v10, v10, v30, v31
	v_lshrrev_b16_e32 v25, 8, v26
	v_and_b32_e32 v29, 0xff, v26
	v_add3_u32 v10, v10, v32, v27
	v_add3_u32 v37, v10, v29, v25
	v_mbcnt_lo_u32_b32 v10, -1, 0
	v_mbcnt_hi_u32_b32 v34, -1, v10
	v_and_b32_e32 v10, 15, v34
	v_cmp_eq_u32_e64 s[14:15], 0, v10
	v_cmp_lt_u32_e64 s[12:13], 1, v10
	v_cmp_lt_u32_e64 s[10:11], 3, v10
	;; [unrolled: 1-line block ×3, first 2 shown]
	v_and_b32_e32 v10, 16, v34
	v_cmp_eq_u32_e64 s[18:19], 0, v10
	v_or_b32_e32 v10, 63, v0
	v_cmp_lt_u32_e64 s[0:1], 31, v34
	v_cmp_eq_u32_e64 s[2:3], v10, v0
	s_barrier
	s_cbranch_scc0 .LBB241_79
; %bb.49:
	v_mov_b32_dpp v10, v37 row_shr:1 row_mask:0xf bank_mask:0xf
	v_cndmask_b32_e64 v10, v10, 0, s[14:15]
	v_add_u32_e32 v10, v10, v37
	s_nop 1
	v_mov_b32_dpp v11, v10 row_shr:2 row_mask:0xf bank_mask:0xf
	v_cndmask_b32_e64 v11, 0, v11, s[12:13]
	v_add_u32_e32 v10, v10, v11
	s_nop 1
	;; [unrolled: 4-line block ×4, first 2 shown]
	v_mov_b32_dpp v11, v10 row_bcast:15 row_mask:0xf bank_mask:0xf
	v_cndmask_b32_e64 v11, v11, 0, s[18:19]
	v_add_u32_e32 v10, v10, v11
	s_nop 1
	v_mov_b32_dpp v11, v10 row_bcast:31 row_mask:0xf bank_mask:0xf
	v_cndmask_b32_e64 v11, 0, v11, s[0:1]
	v_add_u32_e32 v10, v10, v11
	s_and_saveexec_b64 s[16:17], s[2:3]
	s_cbranch_execz .LBB241_51
; %bb.50:
	v_lshlrev_b32_e32 v11, 2, v36
	ds_write_b32 v11, v10
.LBB241_51:
	s_or_b64 exec, exec, s[16:17]
	v_cmp_gt_u32_e32 vcc, 4, v0
	s_waitcnt lgkmcnt(0)
	s_barrier
	s_and_saveexec_b64 s[16:17], vcc
	s_cbranch_execz .LBB241_53
; %bb.52:
	ds_read_b32 v11, v1
	v_and_b32_e32 v16, 3, v34
	v_cmp_ne_u32_e32 vcc, 0, v16
	s_waitcnt lgkmcnt(0)
	v_mov_b32_dpp v17, v11 row_shr:1 row_mask:0xf bank_mask:0xf
	v_cndmask_b32_e32 v17, 0, v17, vcc
	v_add_u32_e32 v11, v17, v11
	v_cmp_lt_u32_e32 vcc, 1, v16
	s_nop 0
	v_mov_b32_dpp v17, v11 row_shr:2 row_mask:0xf bank_mask:0xf
	v_cndmask_b32_e32 v16, 0, v17, vcc
	v_add_u32_e32 v11, v11, v16
	ds_write_b32 v1, v11
.LBB241_53:
	s_or_b64 exec, exec, s[16:17]
	v_cmp_gt_u32_e32 vcc, 64, v0
	v_cmp_lt_u32_e64 s[16:17], 63, v0
	s_waitcnt lgkmcnt(0)
	s_barrier
	s_waitcnt lgkmcnt(0)
                                        ; implicit-def: $vgpr38
	s_and_saveexec_b64 s[38:39], s[16:17]
	s_cbranch_execz .LBB241_55
; %bb.54:
	v_lshl_add_u32 v11, v36, 2, -4
	ds_read_b32 v38, v11
	s_waitcnt lgkmcnt(0)
	v_add_u32_e32 v10, v38, v10
.LBB241_55:
	s_or_b64 exec, exec, s[38:39]
	v_add_u32_e32 v11, -1, v34
	v_and_b32_e32 v16, 64, v34
	v_cmp_lt_i32_e64 s[16:17], v11, v16
	v_cndmask_b32_e64 v11, v11, v34, s[16:17]
	v_lshlrev_b32_e32 v11, 2, v11
	ds_bpermute_b32 v39, v11, v10
	v_cmp_eq_u32_e64 s[16:17], 0, v34
	s_and_saveexec_b64 s[38:39], vcc
	s_cbranch_execz .LBB241_78
; %bb.56:
	v_mov_b32_e32 v23, 0
	ds_read_b32 v10, v23 offset:12
	s_and_saveexec_b64 s[40:41], s[16:17]
	s_cbranch_execz .LBB241_58
; %bb.57:
	s_add_i32 s42, s6, 64
	s_mov_b32 s43, 0
	s_lshl_b64 s[42:43], s[42:43], 3
	s_add_u32 s42, s36, s42
	v_mov_b32_e32 v11, 1
	s_addc_u32 s43, s37, s43
	s_waitcnt lgkmcnt(0)
	global_store_dwordx2 v23, v[10:11], s[42:43]
.LBB241_58:
	s_or_b64 exec, exec, s[40:41]
	v_xad_u32 v16, v34, -1, s6
	v_add_u32_e32 v22, 64, v16
	v_lshlrev_b64 v[18:19], 3, v[22:23]
	v_mov_b32_e32 v11, s37
	v_add_co_u32_e32 v18, vcc, s36, v18
	v_addc_co_u32_e32 v19, vcc, v11, v19, vcc
	global_load_dwordx2 v[20:21], v[18:19], off glc
	s_waitcnt vmcnt(0)
	v_cmp_eq_u16_sdwa s[42:43], v21, v23 src0_sel:BYTE_0 src1_sel:DWORD
	s_and_saveexec_b64 s[40:41], s[42:43]
	s_cbranch_execz .LBB241_64
; %bb.59:
	s_mov_b32 s7, 1
	s_mov_b64 s[42:43], 0
	v_mov_b32_e32 v11, 0
.LBB241_60:                             ; =>This Loop Header: Depth=1
                                        ;     Child Loop BB241_61 Depth 2
	s_max_u32 s25, s7, 1
.LBB241_61:                             ;   Parent Loop BB241_60 Depth=1
                                        ; =>  This Inner Loop Header: Depth=2
	s_add_i32 s25, s25, -1
	s_cmp_eq_u32 s25, 0
	s_sleep 1
	s_cbranch_scc0 .LBB241_61
; %bb.62:                               ;   in Loop: Header=BB241_60 Depth=1
	global_load_dwordx2 v[20:21], v[18:19], off glc
	s_cmp_lt_u32 s7, 32
	s_cselect_b64 s[44:45], -1, 0
	s_cmp_lg_u64 s[44:45], 0
	s_addc_u32 s7, s7, 0
	s_waitcnt vmcnt(0)
	v_cmp_ne_u16_sdwa s[44:45], v21, v11 src0_sel:BYTE_0 src1_sel:DWORD
	s_or_b64 s[42:43], s[44:45], s[42:43]
	s_andn2_b64 exec, exec, s[42:43]
	s_cbranch_execnz .LBB241_60
; %bb.63:
	s_or_b64 exec, exec, s[42:43]
.LBB241_64:
	s_or_b64 exec, exec, s[40:41]
	v_and_b32_e32 v41, 63, v34
	v_mov_b32_e32 v40, 2
	v_cmp_ne_u32_e32 vcc, 63, v41
	v_cmp_eq_u16_sdwa s[40:41], v21, v40 src0_sel:BYTE_0 src1_sel:DWORD
	v_lshlrev_b64 v[18:19], v34, -1
	v_addc_co_u32_e32 v22, vcc, 0, v34, vcc
	v_and_b32_e32 v11, s41, v19
	v_lshlrev_b32_e32 v42, 2, v22
	v_or_b32_e32 v11, 0x80000000, v11
	ds_bpermute_b32 v22, v42, v20
	v_and_b32_e32 v17, s40, v18
	v_ffbl_b32_e32 v11, v11
	v_add_u32_e32 v11, 32, v11
	v_ffbl_b32_e32 v17, v17
	v_min_u32_e32 v11, v17, v11
	v_cmp_lt_u32_e32 vcc, v41, v11
	s_waitcnt lgkmcnt(0)
	v_cndmask_b32_e32 v17, 0, v22, vcc
	v_cmp_gt_u32_e32 vcc, 62, v41
	v_add_u32_e32 v17, v17, v20
	v_cndmask_b32_e64 v20, 0, 1, vcc
	v_lshlrev_b32_e32 v20, 1, v20
	v_add_lshl_u32 v43, v20, v34, 2
	ds_bpermute_b32 v20, v43, v17
	v_add_u32_e32 v44, 2, v41
	v_cmp_le_u32_e32 vcc, v44, v11
	v_add_u32_e32 v46, 4, v41
	v_add_u32_e32 v48, 8, v41
	s_waitcnt lgkmcnt(0)
	v_cndmask_b32_e32 v20, 0, v20, vcc
	v_cmp_gt_u32_e32 vcc, 60, v41
	v_add_u32_e32 v17, v17, v20
	v_cndmask_b32_e64 v20, 0, 1, vcc
	v_lshlrev_b32_e32 v20, 2, v20
	v_add_lshl_u32 v45, v20, v34, 2
	ds_bpermute_b32 v20, v45, v17
	v_cmp_le_u32_e32 vcc, v46, v11
	v_add_u32_e32 v50, 16, v41
	v_add_u32_e32 v52, 32, v41
	s_waitcnt lgkmcnt(0)
	v_cndmask_b32_e32 v20, 0, v20, vcc
	v_cmp_gt_u32_e32 vcc, 56, v41
	v_add_u32_e32 v17, v17, v20
	v_cndmask_b32_e64 v20, 0, 1, vcc
	v_lshlrev_b32_e32 v20, 3, v20
	v_add_lshl_u32 v47, v20, v34, 2
	ds_bpermute_b32 v20, v47, v17
	v_cmp_le_u32_e32 vcc, v48, v11
	s_waitcnt lgkmcnt(0)
	v_cndmask_b32_e32 v20, 0, v20, vcc
	v_cmp_gt_u32_e32 vcc, 48, v41
	v_add_u32_e32 v17, v17, v20
	v_cndmask_b32_e64 v20, 0, 1, vcc
	v_lshlrev_b32_e32 v20, 4, v20
	v_add_lshl_u32 v49, v20, v34, 2
	ds_bpermute_b32 v20, v49, v17
	v_cmp_le_u32_e32 vcc, v50, v11
	;; [unrolled: 9-line block ×3, first 2 shown]
	s_waitcnt lgkmcnt(0)
	v_cndmask_b32_e32 v11, 0, v20, vcc
	v_add_u32_e32 v20, v17, v11
	v_mov_b32_e32 v17, 0
	s_branch .LBB241_66
.LBB241_65:                             ;   in Loop: Header=BB241_66 Depth=1
	s_or_b64 exec, exec, s[40:41]
	v_cmp_eq_u16_sdwa s[40:41], v21, v40 src0_sel:BYTE_0 src1_sel:DWORD
	v_and_b32_e32 v22, s41, v19
	v_or_b32_e32 v22, 0x80000000, v22
	ds_bpermute_b32 v53, v42, v20
	v_and_b32_e32 v23, s40, v18
	v_ffbl_b32_e32 v22, v22
	v_add_u32_e32 v22, 32, v22
	v_ffbl_b32_e32 v23, v23
	v_min_u32_e32 v22, v23, v22
	v_cmp_lt_u32_e32 vcc, v41, v22
	s_waitcnt lgkmcnt(0)
	v_cndmask_b32_e32 v23, 0, v53, vcc
	v_add_u32_e32 v20, v23, v20
	ds_bpermute_b32 v23, v43, v20
	v_cmp_le_u32_e32 vcc, v44, v22
	v_subrev_u32_e32 v16, 64, v16
	s_waitcnt lgkmcnt(0)
	v_cndmask_b32_e32 v23, 0, v23, vcc
	v_add_u32_e32 v20, v20, v23
	ds_bpermute_b32 v23, v45, v20
	v_cmp_le_u32_e32 vcc, v46, v22
	s_waitcnt lgkmcnt(0)
	v_cndmask_b32_e32 v23, 0, v23, vcc
	v_add_u32_e32 v20, v20, v23
	ds_bpermute_b32 v23, v47, v20
	v_cmp_le_u32_e32 vcc, v48, v22
	;; [unrolled: 5-line block ×4, first 2 shown]
	s_waitcnt lgkmcnt(0)
	v_cndmask_b32_e32 v22, 0, v23, vcc
	v_add3_u32 v20, v22, v11, v20
.LBB241_66:                             ; =>This Loop Header: Depth=1
                                        ;     Child Loop BB241_69 Depth 2
                                        ;       Child Loop BB241_70 Depth 3
	v_cmp_ne_u16_sdwa s[40:41], v21, v40 src0_sel:BYTE_0 src1_sel:DWORD
	v_cndmask_b32_e64 v11, 0, 1, s[40:41]
	;;#ASMSTART
	;;#ASMEND
	v_cmp_ne_u32_e32 vcc, 0, v11
	s_cmp_lg_u64 vcc, exec
	v_mov_b32_e32 v11, v20
	s_cbranch_scc1 .LBB241_73
; %bb.67:                               ;   in Loop: Header=BB241_66 Depth=1
	v_lshlrev_b64 v[20:21], 3, v[16:17]
	v_mov_b32_e32 v23, s37
	v_add_co_u32_e32 v22, vcc, s36, v20
	v_addc_co_u32_e32 v23, vcc, v23, v21, vcc
	global_load_dwordx2 v[20:21], v[22:23], off glc
	s_waitcnt vmcnt(0)
	v_cmp_eq_u16_sdwa s[42:43], v21, v17 src0_sel:BYTE_0 src1_sel:DWORD
	s_and_saveexec_b64 s[40:41], s[42:43]
	s_cbranch_execz .LBB241_65
; %bb.68:                               ;   in Loop: Header=BB241_66 Depth=1
	s_mov_b32 s7, 1
	s_mov_b64 s[42:43], 0
.LBB241_69:                             ;   Parent Loop BB241_66 Depth=1
                                        ; =>  This Loop Header: Depth=2
                                        ;       Child Loop BB241_70 Depth 3
	s_max_u32 s25, s7, 1
.LBB241_70:                             ;   Parent Loop BB241_66 Depth=1
                                        ;     Parent Loop BB241_69 Depth=2
                                        ; =>    This Inner Loop Header: Depth=3
	s_add_i32 s25, s25, -1
	s_cmp_eq_u32 s25, 0
	s_sleep 1
	s_cbranch_scc0 .LBB241_70
; %bb.71:                               ;   in Loop: Header=BB241_69 Depth=2
	global_load_dwordx2 v[20:21], v[22:23], off glc
	s_cmp_lt_u32 s7, 32
	s_cselect_b64 s[44:45], -1, 0
	s_cmp_lg_u64 s[44:45], 0
	s_addc_u32 s7, s7, 0
	s_waitcnt vmcnt(0)
	v_cmp_ne_u16_sdwa s[44:45], v21, v17 src0_sel:BYTE_0 src1_sel:DWORD
	s_or_b64 s[42:43], s[44:45], s[42:43]
	s_andn2_b64 exec, exec, s[42:43]
	s_cbranch_execnz .LBB241_69
; %bb.72:                               ;   in Loop: Header=BB241_66 Depth=1
	s_or_b64 exec, exec, s[42:43]
	s_branch .LBB241_65
.LBB241_73:                             ;   in Loop: Header=BB241_66 Depth=1
                                        ; implicit-def: $vgpr20
                                        ; implicit-def: $vgpr21
	s_cbranch_execz .LBB241_66
; %bb.74:
	s_and_saveexec_b64 s[40:41], s[16:17]
	s_cbranch_execz .LBB241_76
; %bb.75:
	s_add_i32 s6, s6, 64
	s_mov_b32 s7, 0
	s_lshl_b64 s[6:7], s[6:7], 3
	s_add_u32 s6, s36, s6
	v_add_u32_e32 v16, v11, v10
	v_mov_b32_e32 v17, 2
	s_addc_u32 s7, s37, s7
	v_mov_b32_e32 v18, 0
	global_store_dwordx2 v18, v[16:17], s[6:7]
	ds_write_b64 v18, v[10:11] offset:10240
.LBB241_76:
	s_or_b64 exec, exec, s[40:41]
	v_cmp_eq_u32_e32 vcc, 0, v0
	s_and_b64 exec, exec, vcc
	s_cbranch_execz .LBB241_78
; %bb.77:
	v_mov_b32_e32 v10, 0
	ds_write_b32 v10, v11 offset:12
.LBB241_78:
	s_or_b64 exec, exec, s[38:39]
	v_mov_b32_e32 v10, 0
	s_waitcnt lgkmcnt(0)
	s_barrier
	ds_read_b32 v11, v10 offset:12
	v_cndmask_b32_e64 v16, v39, v38, s[16:17]
	v_cmp_ne_u32_e32 vcc, 0, v0
	v_cndmask_b32_e32 v16, 0, v16, vcc
	s_waitcnt lgkmcnt(0)
	v_add_u32_e32 v39, v11, v16
	v_add_u32_sdwa v38, v39, v14 dst_sel:DWORD dst_unused:UNUSED_PAD src0_sel:DWORD src1_sel:BYTE_0
	v_add_u32_sdwa v23, v38, v14 dst_sel:DWORD dst_unused:UNUSED_PAD src0_sel:DWORD src1_sel:BYTE_1
	v_add_u32_e32 v22, v23, v33
	v_add_u32_e32 v21, v22, v28
	;; [unrolled: 1-line block ×3, first 2 shown]
	s_barrier
	ds_read_b64 v[10:11], v10 offset:10240
	v_add_u32_e32 v19, v20, v31
	v_add_u32_e32 v18, v19, v32
	v_add_u32_e32 v17, v18, v27
	v_add_u32_e32 v16, v17, v29
	s_load_dwordx2 s[4:5], s[4:5], 0x30
	s_branch .LBB241_89
.LBB241_79:
                                        ; implicit-def: $vgpr11
                                        ; implicit-def: $vgpr16
                                        ; implicit-def: $vgpr17
                                        ; implicit-def: $vgpr18
                                        ; implicit-def: $vgpr19
                                        ; implicit-def: $vgpr20
                                        ; implicit-def: $vgpr21
                                        ; implicit-def: $vgpr22
                                        ; implicit-def: $vgpr23
                                        ; implicit-def: $vgpr38
                                        ; implicit-def: $vgpr39
	s_load_dwordx2 s[4:5], s[4:5], 0x30
	s_cbranch_execz .LBB241_89
; %bb.80:
	s_waitcnt lgkmcnt(0)
	v_mov_b32_dpp v10, v37 row_shr:1 row_mask:0xf bank_mask:0xf
	v_cndmask_b32_e64 v10, v10, 0, s[14:15]
	v_add_u32_e32 v10, v10, v37
	s_nop 1
	v_mov_b32_dpp v11, v10 row_shr:2 row_mask:0xf bank_mask:0xf
	v_cndmask_b32_e64 v11, 0, v11, s[12:13]
	v_add_u32_e32 v10, v10, v11
	s_nop 1
	;; [unrolled: 4-line block ×4, first 2 shown]
	v_mov_b32_dpp v11, v10 row_bcast:15 row_mask:0xf bank_mask:0xf
	v_cndmask_b32_e64 v11, v11, 0, s[18:19]
	v_add_u32_e32 v10, v10, v11
	s_nop 1
	v_mov_b32_dpp v11, v10 row_bcast:31 row_mask:0xf bank_mask:0xf
	v_cndmask_b32_e64 v11, 0, v11, s[0:1]
	v_add_u32_e32 v10, v10, v11
	s_and_saveexec_b64 s[0:1], s[2:3]
	s_cbranch_execz .LBB241_82
; %bb.81:
	v_lshlrev_b32_e32 v11, 2, v36
	ds_write_b32 v11, v10
.LBB241_82:
	s_or_b64 exec, exec, s[0:1]
	v_cmp_gt_u32_e32 vcc, 4, v0
	s_waitcnt lgkmcnt(0)
	s_barrier
	s_and_saveexec_b64 s[0:1], vcc
	s_cbranch_execz .LBB241_84
; %bb.83:
	v_mad_i32_i24 v11, v0, -6, v35
	ds_read_b32 v16, v11
	v_and_b32_e32 v17, 3, v34
	v_cmp_ne_u32_e32 vcc, 0, v17
	s_waitcnt lgkmcnt(0)
	v_mov_b32_dpp v18, v16 row_shr:1 row_mask:0xf bank_mask:0xf
	v_cndmask_b32_e32 v18, 0, v18, vcc
	v_add_u32_e32 v16, v18, v16
	v_cmp_lt_u32_e32 vcc, 1, v17
	s_nop 0
	v_mov_b32_dpp v18, v16 row_shr:2 row_mask:0xf bank_mask:0xf
	v_cndmask_b32_e32 v17, 0, v18, vcc
	v_add_u32_e32 v16, v16, v17
	ds_write_b32 v11, v16
.LBB241_84:
	s_or_b64 exec, exec, s[0:1]
	v_cmp_lt_u32_e32 vcc, 63, v0
	v_mov_b32_e32 v11, 0
	v_mov_b32_e32 v16, 0
	s_waitcnt lgkmcnt(0)
	s_barrier
	s_and_saveexec_b64 s[0:1], vcc
	s_cbranch_execz .LBB241_86
; %bb.85:
	v_lshl_add_u32 v16, v36, 2, -4
	ds_read_b32 v16, v16
.LBB241_86:
	s_or_b64 exec, exec, s[0:1]
	v_add_u32_e32 v17, -1, v34
	v_and_b32_e32 v18, 64, v34
	v_cmp_lt_i32_e32 vcc, v17, v18
	v_cndmask_b32_e32 v17, v17, v34, vcc
	s_waitcnt lgkmcnt(0)
	v_add_u32_e32 v10, v16, v10
	v_lshlrev_b32_e32 v17, 2, v17
	ds_bpermute_b32 v17, v17, v10
	ds_read_b32 v10, v11 offset:12
	v_cmp_eq_u32_e32 vcc, 0, v0
	s_and_saveexec_b64 s[0:1], vcc
	s_cbranch_execz .LBB241_88
; %bb.87:
	v_mov_b32_e32 v18, 0
	v_mov_b32_e32 v11, 2
	s_waitcnt lgkmcnt(0)
	global_store_dwordx2 v18, v[10:11], s[36:37] offset:512
.LBB241_88:
	s_or_b64 exec, exec, s[0:1]
	v_cmp_eq_u32_e64 s[0:1], 0, v34
	s_waitcnt lgkmcnt(1)
	v_cndmask_b32_e64 v16, v17, v16, s[0:1]
	v_cndmask_b32_e64 v39, v16, 0, vcc
	v_add_u32_sdwa v38, v39, v14 dst_sel:DWORD dst_unused:UNUSED_PAD src0_sel:DWORD src1_sel:BYTE_0
	v_add_u32_sdwa v23, v38, v14 dst_sel:DWORD dst_unused:UNUSED_PAD src0_sel:DWORD src1_sel:BYTE_1
	v_add_u32_e32 v22, v23, v33
	v_add_u32_e32 v21, v22, v28
	;; [unrolled: 1-line block ×6, first 2 shown]
	v_mov_b32_e32 v11, 0
	v_add_u32_e32 v16, v17, v29
	s_waitcnt lgkmcnt(0)
	s_barrier
.LBB241_89:
	s_waitcnt lgkmcnt(0)
	v_add_u32_e32 v24, v10, v24
	v_sub_u32_e32 v31, v39, v11
	v_and_b32_e32 v33, 1, v14
	v_sub_u32_e32 v32, v24, v31
	v_cmp_eq_u32_e32 vcc, 1, v33
	v_cndmask_b32_e32 v31, v32, v31, vcc
	v_lshlrev_b32_e32 v31, 2, v31
	v_lshrrev_b32_e32 v30, 8, v14
	ds_write_b32 v31, v6
	v_sub_u32_e32 v6, v38, v11
	v_sub_u32_e32 v31, v24, v6
	v_and_b32_e32 v30, 1, v30
	v_add_u32_e32 v31, 1, v31
	v_cmp_eq_u32_e32 vcc, 1, v30
	v_cndmask_b32_e32 v6, v31, v6, vcc
	v_lshlrev_b32_e32 v6, 2, v6
	ds_write_b32 v6, v7
	v_sub_u32_e32 v6, v23, v11
	v_mov_b32_e32 v23, 1
	v_sub_u32_e32 v7, v24, v6
	v_and_b32_sdwa v14, v23, v14 dst_sel:DWORD dst_unused:UNUSED_PAD src0_sel:DWORD src1_sel:WORD_1
	v_add_u32_e32 v7, 2, v7
	v_cmp_eq_u32_e32 vcc, 1, v14
	v_cndmask_b32_e32 v6, v7, v6, vcc
	v_lshlrev_b32_e32 v6, 2, v6
	ds_write_b32 v6, v8
	v_sub_u32_e32 v6, v22, v11
	v_sub_u32_e32 v7, v24, v6
	v_and_b32_e32 v8, 1, v28
	v_add_u32_e32 v7, 3, v7
	v_cmp_eq_u32_e32 vcc, 1, v8
	v_cndmask_b32_e32 v6, v7, v6, vcc
	v_lshlrev_b32_e32 v6, 2, v6
	ds_write_b32 v6, v9
	v_sub_u32_e32 v6, v21, v11
	v_sub_u32_e32 v7, v24, v6
	v_and_b32_e32 v8, 1, v15
	v_add_u32_e32 v7, 4, v7
	v_cmp_eq_u32_e32 vcc, 1, v8
	v_cndmask_b32_e32 v6, v7, v6, vcc
	v_lshlrev_b32_e32 v6, 2, v6
	v_lshrrev_b32_e32 v29, 8, v15
	ds_write_b32 v6, v2
	v_sub_u32_e32 v2, v20, v11
	v_sub_u32_e32 v6, v24, v2
	v_and_b32_e32 v7, 1, v29
	v_add_u32_e32 v6, 5, v6
	v_cmp_eq_u32_e32 vcc, 1, v7
	v_cndmask_b32_e32 v2, v6, v2, vcc
	v_lshlrev_b32_e32 v2, 2, v2
	ds_write_b32 v2, v3
	v_sub_u32_e32 v2, v19, v11
	v_sub_u32_e32 v3, v24, v2
	v_and_b32_sdwa v6, v23, v15 dst_sel:DWORD dst_unused:UNUSED_PAD src0_sel:DWORD src1_sel:WORD_1
	v_add_u32_e32 v3, 6, v3
	v_cmp_eq_u32_e32 vcc, 1, v6
	v_cndmask_b32_e32 v2, v3, v2, vcc
	v_lshlrev_b32_e32 v2, 2, v2
	ds_write_b32 v2, v4
	v_sub_u32_e32 v2, v18, v11
	v_sub_u32_e32 v3, v24, v2
	v_and_b32_e32 v4, 1, v27
	v_add_u32_e32 v3, 7, v3
	v_cmp_eq_u32_e32 vcc, 1, v4
	v_cndmask_b32_e32 v2, v3, v2, vcc
	v_lshlrev_b32_e32 v2, 2, v2
	ds_write_b32 v2, v5
	v_sub_u32_e32 v2, v17, v11
	v_sub_u32_e32 v3, v24, v2
	v_and_b32_e32 v4, 1, v26
	;; [unrolled: 8-line block ×3, first 2 shown]
	v_add_u32_e32 v3, 9, v3
	v_cmp_eq_u32_e32 vcc, 1, v4
	v_cndmask_b32_e32 v2, v3, v2, vcc
	s_add_u32 s0, s26, s24
	v_lshlrev_b32_e32 v2, 2, v2
	s_addc_u32 s1, s27, 0
	ds_write_b32 v2, v13
	s_waitcnt lgkmcnt(0)
	s_barrier
	ds_read2st64_b32 v[12:13], v1 offset1:4
	ds_read2st64_b32 v[8:9], v1 offset0:8 offset1:12
	ds_read2st64_b32 v[6:7], v1 offset0:16 offset1:20
	;; [unrolled: 1-line block ×4, first 2 shown]
	v_mov_b32_e32 v14, s31
	v_add_co_u32_e32 v1, vcc, s30, v11
	s_sub_u32 s0, s28, s0
	v_addc_co_u32_e32 v11, vcc, 0, v14, vcc
	s_subb_u32 s1, s29, s1
	v_mov_b32_e32 v14, s1
	v_add_co_u32_e32 v15, vcc, s0, v10
	v_addc_co_u32_e32 v14, vcc, 0, v14, vcc
	v_add_co_u32_e64 v17, s[0:1], v15, v1
	v_or_b32_e32 v26, 0x100, v0
	v_or_b32_e32 v25, 0x200, v0
	;; [unrolled: 1-line block ×9, first 2 shown]
	s_andn2_b64 vcc, exec, s[34:35]
	v_addc_co_u32_e64 v18, s[0:1], v14, v11, s[0:1]
	s_cbranch_vccnz .LBB241_131
; %bb.90:
	v_cmp_ge_u32_e32 vcc, v0, v10
                                        ; implicit-def: $vgpr14_vgpr15
	s_and_saveexec_b64 s[0:1], vcc
	s_xor_b64 s[0:1], exec, s[0:1]
; %bb.91:
	v_not_b32_e32 v14, v0
	v_ashrrev_i32_e32 v15, 31, v14
	v_add_co_u32_e32 v14, vcc, v17, v14
	v_addc_co_u32_e32 v15, vcc, v18, v15, vcc
; %bb.92:
	s_andn2_saveexec_b64 s[0:1], s[0:1]
; %bb.93:
	v_add_co_u32_e32 v14, vcc, v1, v0
	v_addc_co_u32_e32 v15, vcc, 0, v11, vcc
; %bb.94:
	s_or_b64 exec, exec, s[0:1]
	v_lshlrev_b64 v[14:15], 2, v[14:15]
	v_mov_b32_e32 v27, s5
	v_add_co_u32_e32 v14, vcc, s4, v14
	v_addc_co_u32_e32 v15, vcc, v27, v15, vcc
	v_cmp_ge_u32_e32 vcc, v26, v10
	s_waitcnt lgkmcnt(4)
	global_store_dword v[14:15], v12, off
                                        ; implicit-def: $vgpr14_vgpr15
	s_and_saveexec_b64 s[0:1], vcc
	s_xor_b64 s[0:1], exec, s[0:1]
; %bb.95:
	v_xor_b32_e32 v14, 0xfffffeff, v0
	v_ashrrev_i32_e32 v15, 31, v14
	v_add_co_u32_e32 v14, vcc, v17, v14
	v_addc_co_u32_e32 v15, vcc, v18, v15, vcc
; %bb.96:
	s_andn2_saveexec_b64 s[0:1], s[0:1]
; %bb.97:
	v_add_co_u32_e32 v14, vcc, v1, v26
	v_addc_co_u32_e32 v15, vcc, 0, v11, vcc
; %bb.98:
	s_or_b64 exec, exec, s[0:1]
	v_lshlrev_b64 v[14:15], 2, v[14:15]
	v_mov_b32_e32 v27, s5
	v_add_co_u32_e32 v14, vcc, s4, v14
	v_addc_co_u32_e32 v15, vcc, v27, v15, vcc
	v_cmp_ge_u32_e32 vcc, v25, v10
	global_store_dword v[14:15], v13, off
                                        ; implicit-def: $vgpr14_vgpr15
	s_and_saveexec_b64 s[0:1], vcc
	s_xor_b64 s[0:1], exec, s[0:1]
; %bb.99:
	v_xor_b32_e32 v14, 0xfffffdff, v0
	v_ashrrev_i32_e32 v15, 31, v14
	v_add_co_u32_e32 v14, vcc, v17, v14
	v_addc_co_u32_e32 v15, vcc, v18, v15, vcc
; %bb.100:
	s_andn2_saveexec_b64 s[0:1], s[0:1]
; %bb.101:
	v_add_co_u32_e32 v14, vcc, v1, v25
	v_addc_co_u32_e32 v15, vcc, 0, v11, vcc
; %bb.102:
	s_or_b64 exec, exec, s[0:1]
	v_lshlrev_b64 v[14:15], 2, v[14:15]
	v_mov_b32_e32 v27, s5
	v_add_co_u32_e32 v14, vcc, s4, v14
	v_addc_co_u32_e32 v15, vcc, v27, v15, vcc
	v_cmp_ge_u32_e32 vcc, v24, v10
	s_waitcnt lgkmcnt(3)
	global_store_dword v[14:15], v8, off
                                        ; implicit-def: $vgpr14_vgpr15
	s_and_saveexec_b64 s[0:1], vcc
	s_xor_b64 s[0:1], exec, s[0:1]
; %bb.103:
	v_xor_b32_e32 v14, 0xfffffcff, v0
	v_ashrrev_i32_e32 v15, 31, v14
	v_add_co_u32_e32 v14, vcc, v17, v14
	v_addc_co_u32_e32 v15, vcc, v18, v15, vcc
; %bb.104:
	s_andn2_saveexec_b64 s[0:1], s[0:1]
; %bb.105:
	v_add_co_u32_e32 v14, vcc, v1, v24
	v_addc_co_u32_e32 v15, vcc, 0, v11, vcc
; %bb.106:
	s_or_b64 exec, exec, s[0:1]
	v_lshlrev_b64 v[14:15], 2, v[14:15]
	v_mov_b32_e32 v27, s5
	v_add_co_u32_e32 v14, vcc, s4, v14
	v_addc_co_u32_e32 v15, vcc, v27, v15, vcc
	v_cmp_ge_u32_e32 vcc, v23, v10
	global_store_dword v[14:15], v9, off
                                        ; implicit-def: $vgpr14_vgpr15
	s_and_saveexec_b64 s[0:1], vcc
	s_xor_b64 s[0:1], exec, s[0:1]
; %bb.107:
	v_xor_b32_e32 v14, 0xfffffbff, v0
	;; [unrolled: 43-line block ×4, first 2 shown]
	v_ashrrev_i32_e32 v15, 31, v14
	v_add_co_u32_e32 v14, vcc, v17, v14
	v_addc_co_u32_e32 v15, vcc, v18, v15, vcc
; %bb.124:
	s_andn2_saveexec_b64 s[0:1], s[0:1]
; %bb.125:
	v_add_co_u32_e32 v14, vcc, v1, v19
	v_addc_co_u32_e32 v15, vcc, 0, v11, vcc
; %bb.126:
	s_or_b64 exec, exec, s[0:1]
	v_lshlrev_b64 v[14:15], 2, v[14:15]
	v_mov_b32_e32 v27, s5
	v_add_co_u32_e32 v14, vcc, s4, v14
	v_addc_co_u32_e32 v15, vcc, v27, v15, vcc
	v_cmp_ge_u32_e32 vcc, v16, v10
	s_waitcnt lgkmcnt(0)
	global_store_dword v[14:15], v2, off
                                        ; implicit-def: $vgpr14_vgpr15
	s_and_saveexec_b64 s[0:1], vcc
	s_xor_b64 s[0:1], exec, s[0:1]
; %bb.127:
	v_xor_b32_e32 v14, 0xfffff6ff, v0
	v_ashrrev_i32_e32 v15, 31, v14
	v_add_co_u32_e32 v14, vcc, v17, v14
	v_addc_co_u32_e32 v15, vcc, v18, v15, vcc
; %bb.128:
	s_andn2_saveexec_b64 s[0:1], s[0:1]
; %bb.129:
	v_add_co_u32_e32 v14, vcc, v1, v16
	v_addc_co_u32_e32 v15, vcc, 0, v11, vcc
; %bb.130:
	s_or_b64 exec, exec, s[0:1]
	s_mov_b64 s[0:1], -1
	s_branch .LBB241_193
.LBB241_131:
	s_mov_b64 s[0:1], 0
                                        ; implicit-def: $vgpr14_vgpr15
	s_cbranch_execz .LBB241_193
; %bb.132:
	v_cmp_gt_u32_e32 vcc, s33, v0
	s_and_saveexec_b64 s[2:3], vcc
	s_cbranch_execz .LBB241_158
; %bb.133:
	v_cmp_ge_u32_e32 vcc, v0, v10
                                        ; implicit-def: $vgpr14_vgpr15
	s_and_saveexec_b64 s[6:7], vcc
	s_xor_b64 s[6:7], exec, s[6:7]
; %bb.134:
	v_not_b32_e32 v14, v0
	v_ashrrev_i32_e32 v15, 31, v14
	v_add_co_u32_e32 v14, vcc, v17, v14
	v_addc_co_u32_e32 v15, vcc, v18, v15, vcc
; %bb.135:
	s_andn2_saveexec_b64 s[6:7], s[6:7]
; %bb.136:
	v_add_co_u32_e32 v14, vcc, v1, v0
	v_addc_co_u32_e32 v15, vcc, 0, v11, vcc
; %bb.137:
	s_or_b64 exec, exec, s[6:7]
	v_lshlrev_b64 v[14:15], 2, v[14:15]
	v_mov_b32_e32 v27, s5
	v_add_co_u32_e32 v14, vcc, s4, v14
	v_addc_co_u32_e32 v15, vcc, v27, v15, vcc
	s_waitcnt lgkmcnt(4)
	global_store_dword v[14:15], v12, off
	s_or_b64 exec, exec, s[2:3]
	v_cmp_gt_u32_e32 vcc, s33, v26
	s_and_saveexec_b64 s[2:3], vcc
	s_cbranch_execnz .LBB241_159
.LBB241_138:
	s_or_b64 exec, exec, s[2:3]
	v_cmp_gt_u32_e32 vcc, s33, v25
	s_and_saveexec_b64 s[2:3], vcc
	s_cbranch_execz .LBB241_164
.LBB241_139:
	v_cmp_ge_u32_e32 vcc, v25, v10
                                        ; implicit-def: $vgpr12_vgpr13
	s_and_saveexec_b64 s[6:7], vcc
	s_xor_b64 s[6:7], exec, s[6:7]
	s_cbranch_execz .LBB241_141
; %bb.140:
	s_waitcnt lgkmcnt(4)
	v_xor_b32_e32 v12, 0xfffffdff, v0
	v_ashrrev_i32_e32 v13, 31, v12
	v_add_co_u32_e32 v12, vcc, v17, v12
	v_addc_co_u32_e32 v13, vcc, v18, v13, vcc
                                        ; implicit-def: $vgpr25
.LBB241_141:
	s_andn2_saveexec_b64 s[6:7], s[6:7]
	s_cbranch_execz .LBB241_143
; %bb.142:
	s_waitcnt lgkmcnt(4)
	v_add_co_u32_e32 v12, vcc, v1, v25
	v_addc_co_u32_e32 v13, vcc, 0, v11, vcc
.LBB241_143:
	s_or_b64 exec, exec, s[6:7]
	s_waitcnt lgkmcnt(4)
	v_lshlrev_b64 v[12:13], 2, v[12:13]
	v_mov_b32_e32 v14, s5
	v_add_co_u32_e32 v12, vcc, s4, v12
	v_addc_co_u32_e32 v13, vcc, v14, v13, vcc
	s_waitcnt lgkmcnt(3)
	global_store_dword v[12:13], v8, off
	s_or_b64 exec, exec, s[2:3]
	v_cmp_gt_u32_e32 vcc, s33, v24
	s_and_saveexec_b64 s[2:3], vcc
	s_cbranch_execnz .LBB241_165
.LBB241_144:
	s_or_b64 exec, exec, s[2:3]
	v_cmp_gt_u32_e32 vcc, s33, v23
	s_and_saveexec_b64 s[2:3], vcc
	s_cbranch_execz .LBB241_170
.LBB241_145:
	v_cmp_ge_u32_e32 vcc, v23, v10
                                        ; implicit-def: $vgpr8_vgpr9
	s_and_saveexec_b64 s[6:7], vcc
	s_xor_b64 s[6:7], exec, s[6:7]
	s_cbranch_execz .LBB241_147
; %bb.146:
	s_waitcnt lgkmcnt(3)
	v_xor_b32_e32 v8, 0xfffffbff, v0
	v_ashrrev_i32_e32 v9, 31, v8
	v_add_co_u32_e32 v8, vcc, v17, v8
	v_addc_co_u32_e32 v9, vcc, v18, v9, vcc
                                        ; implicit-def: $vgpr23
.LBB241_147:
	s_andn2_saveexec_b64 s[6:7], s[6:7]
	s_cbranch_execz .LBB241_149
; %bb.148:
	s_waitcnt lgkmcnt(3)
	v_add_co_u32_e32 v8, vcc, v1, v23
	v_addc_co_u32_e32 v9, vcc, 0, v11, vcc
.LBB241_149:
	s_or_b64 exec, exec, s[6:7]
	s_waitcnt lgkmcnt(3)
	v_lshlrev_b64 v[8:9], 2, v[8:9]
	v_mov_b32_e32 v12, s5
	v_add_co_u32_e32 v8, vcc, s4, v8
	v_addc_co_u32_e32 v9, vcc, v12, v9, vcc
	s_waitcnt lgkmcnt(2)
	global_store_dword v[8:9], v6, off
	s_or_b64 exec, exec, s[2:3]
	v_cmp_gt_u32_e32 vcc, s33, v22
	s_and_saveexec_b64 s[2:3], vcc
	s_cbranch_execnz .LBB241_171
.LBB241_150:
	s_or_b64 exec, exec, s[2:3]
	v_cmp_gt_u32_e32 vcc, s33, v21
	s_and_saveexec_b64 s[2:3], vcc
	s_cbranch_execz .LBB241_176
.LBB241_151:
	v_cmp_ge_u32_e32 vcc, v21, v10
                                        ; implicit-def: $vgpr6_vgpr7
	s_and_saveexec_b64 s[6:7], vcc
	s_xor_b64 s[6:7], exec, s[6:7]
	s_cbranch_execz .LBB241_153
; %bb.152:
	s_waitcnt lgkmcnt(2)
	v_xor_b32_e32 v6, 0xfffff9ff, v0
	v_ashrrev_i32_e32 v7, 31, v6
	v_add_co_u32_e32 v6, vcc, v17, v6
	v_addc_co_u32_e32 v7, vcc, v18, v7, vcc
                                        ; implicit-def: $vgpr21
.LBB241_153:
	s_andn2_saveexec_b64 s[6:7], s[6:7]
	s_cbranch_execz .LBB241_155
; %bb.154:
	s_waitcnt lgkmcnt(2)
	v_add_co_u32_e32 v6, vcc, v1, v21
	v_addc_co_u32_e32 v7, vcc, 0, v11, vcc
.LBB241_155:
	s_or_b64 exec, exec, s[6:7]
	s_waitcnt lgkmcnt(2)
	v_lshlrev_b64 v[6:7], 2, v[6:7]
	v_mov_b32_e32 v8, s5
	v_add_co_u32_e32 v6, vcc, s4, v6
	v_addc_co_u32_e32 v7, vcc, v8, v7, vcc
	s_waitcnt lgkmcnt(1)
	global_store_dword v[6:7], v4, off
	s_or_b64 exec, exec, s[2:3]
	v_cmp_gt_u32_e32 vcc, s33, v20
	s_and_saveexec_b64 s[2:3], vcc
	s_cbranch_execnz .LBB241_177
.LBB241_156:
	s_or_b64 exec, exec, s[2:3]
	v_cmp_gt_u32_e32 vcc, s33, v19
	s_and_saveexec_b64 s[2:3], vcc
	s_cbranch_execnz .LBB241_182
.LBB241_157:
	s_or_b64 exec, exec, s[2:3]
	v_cmp_gt_u32_e32 vcc, s33, v16
                                        ; implicit-def: $vgpr14_vgpr15
	s_and_saveexec_b64 s[2:3], vcc
	s_cbranch_execz .LBB241_192
	s_branch .LBB241_187
.LBB241_158:
	s_or_b64 exec, exec, s[2:3]
	v_cmp_gt_u32_e32 vcc, s33, v26
	s_and_saveexec_b64 s[2:3], vcc
	s_cbranch_execz .LBB241_138
.LBB241_159:
	v_cmp_ge_u32_e32 vcc, v26, v10
                                        ; implicit-def: $vgpr14_vgpr15
	s_and_saveexec_b64 s[6:7], vcc
	s_xor_b64 s[6:7], exec, s[6:7]
	s_cbranch_execz .LBB241_161
; %bb.160:
	s_waitcnt lgkmcnt(4)
	v_xor_b32_e32 v12, 0xfffffeff, v0
	v_ashrrev_i32_e32 v15, 31, v12
	v_add_co_u32_e32 v14, vcc, v17, v12
	v_addc_co_u32_e32 v15, vcc, v18, v15, vcc
                                        ; implicit-def: $vgpr26
.LBB241_161:
	s_andn2_saveexec_b64 s[6:7], s[6:7]
; %bb.162:
	v_add_co_u32_e32 v14, vcc, v1, v26
	v_addc_co_u32_e32 v15, vcc, 0, v11, vcc
; %bb.163:
	s_or_b64 exec, exec, s[6:7]
	v_lshlrev_b64 v[14:15], 2, v[14:15]
	s_waitcnt lgkmcnt(4)
	v_mov_b32_e32 v12, s5
	v_add_co_u32_e32 v14, vcc, s4, v14
	v_addc_co_u32_e32 v15, vcc, v12, v15, vcc
	global_store_dword v[14:15], v13, off
	s_or_b64 exec, exec, s[2:3]
	v_cmp_gt_u32_e32 vcc, s33, v25
	s_and_saveexec_b64 s[2:3], vcc
	s_cbranch_execnz .LBB241_139
.LBB241_164:
	s_or_b64 exec, exec, s[2:3]
	v_cmp_gt_u32_e32 vcc, s33, v24
	s_and_saveexec_b64 s[2:3], vcc
	s_cbranch_execz .LBB241_144
.LBB241_165:
	v_cmp_ge_u32_e32 vcc, v24, v10
                                        ; implicit-def: $vgpr12_vgpr13
	s_and_saveexec_b64 s[6:7], vcc
	s_xor_b64 s[6:7], exec, s[6:7]
	s_cbranch_execz .LBB241_167
; %bb.166:
	s_waitcnt lgkmcnt(3)
	v_xor_b32_e32 v8, 0xfffffcff, v0
	v_ashrrev_i32_e32 v13, 31, v8
	v_add_co_u32_e32 v12, vcc, v17, v8
	v_addc_co_u32_e32 v13, vcc, v18, v13, vcc
                                        ; implicit-def: $vgpr24
.LBB241_167:
	s_andn2_saveexec_b64 s[6:7], s[6:7]
	s_cbranch_execz .LBB241_169
; %bb.168:
	s_waitcnt lgkmcnt(4)
	v_add_co_u32_e32 v12, vcc, v1, v24
	v_addc_co_u32_e32 v13, vcc, 0, v11, vcc
.LBB241_169:
	s_or_b64 exec, exec, s[6:7]
	s_waitcnt lgkmcnt(4)
	v_lshlrev_b64 v[12:13], 2, v[12:13]
	s_waitcnt lgkmcnt(3)
	v_mov_b32_e32 v8, s5
	v_add_co_u32_e32 v12, vcc, s4, v12
	v_addc_co_u32_e32 v13, vcc, v8, v13, vcc
	global_store_dword v[12:13], v9, off
	s_or_b64 exec, exec, s[2:3]
	v_cmp_gt_u32_e32 vcc, s33, v23
	s_and_saveexec_b64 s[2:3], vcc
	s_cbranch_execnz .LBB241_145
.LBB241_170:
	s_or_b64 exec, exec, s[2:3]
	v_cmp_gt_u32_e32 vcc, s33, v22
	s_and_saveexec_b64 s[2:3], vcc
	s_cbranch_execz .LBB241_150
.LBB241_171:
	v_cmp_ge_u32_e32 vcc, v22, v10
                                        ; implicit-def: $vgpr8_vgpr9
	s_and_saveexec_b64 s[6:7], vcc
	s_xor_b64 s[6:7], exec, s[6:7]
	s_cbranch_execz .LBB241_173
; %bb.172:
	s_waitcnt lgkmcnt(2)
	v_xor_b32_e32 v6, 0xfffffaff, v0
	v_ashrrev_i32_e32 v9, 31, v6
	v_add_co_u32_e32 v8, vcc, v17, v6
	v_addc_co_u32_e32 v9, vcc, v18, v9, vcc
                                        ; implicit-def: $vgpr22
.LBB241_173:
	s_andn2_saveexec_b64 s[6:7], s[6:7]
	s_cbranch_execz .LBB241_175
; %bb.174:
	s_waitcnt lgkmcnt(3)
	v_add_co_u32_e32 v8, vcc, v1, v22
	v_addc_co_u32_e32 v9, vcc, 0, v11, vcc
.LBB241_175:
	s_or_b64 exec, exec, s[6:7]
	s_waitcnt lgkmcnt(3)
	v_lshlrev_b64 v[8:9], 2, v[8:9]
	s_waitcnt lgkmcnt(2)
	v_mov_b32_e32 v6, s5
	v_add_co_u32_e32 v8, vcc, s4, v8
	v_addc_co_u32_e32 v9, vcc, v6, v9, vcc
	global_store_dword v[8:9], v7, off
	s_or_b64 exec, exec, s[2:3]
	v_cmp_gt_u32_e32 vcc, s33, v21
	s_and_saveexec_b64 s[2:3], vcc
	s_cbranch_execnz .LBB241_151
.LBB241_176:
	s_or_b64 exec, exec, s[2:3]
	v_cmp_gt_u32_e32 vcc, s33, v20
	s_and_saveexec_b64 s[2:3], vcc
	s_cbranch_execz .LBB241_156
.LBB241_177:
	v_cmp_ge_u32_e32 vcc, v20, v10
                                        ; implicit-def: $vgpr6_vgpr7
	s_and_saveexec_b64 s[6:7], vcc
	s_xor_b64 s[6:7], exec, s[6:7]
	s_cbranch_execz .LBB241_179
; %bb.178:
	s_waitcnt lgkmcnt(1)
	v_xor_b32_e32 v4, 0xfffff8ff, v0
	v_ashrrev_i32_e32 v7, 31, v4
	v_add_co_u32_e32 v6, vcc, v17, v4
	v_addc_co_u32_e32 v7, vcc, v18, v7, vcc
                                        ; implicit-def: $vgpr20
.LBB241_179:
	s_andn2_saveexec_b64 s[6:7], s[6:7]
	s_cbranch_execz .LBB241_181
; %bb.180:
	s_waitcnt lgkmcnt(2)
	v_add_co_u32_e32 v6, vcc, v1, v20
	v_addc_co_u32_e32 v7, vcc, 0, v11, vcc
.LBB241_181:
	s_or_b64 exec, exec, s[6:7]
	s_waitcnt lgkmcnt(2)
	v_lshlrev_b64 v[6:7], 2, v[6:7]
	s_waitcnt lgkmcnt(1)
	v_mov_b32_e32 v4, s5
	v_add_co_u32_e32 v6, vcc, s4, v6
	v_addc_co_u32_e32 v7, vcc, v4, v7, vcc
	global_store_dword v[6:7], v5, off
	s_or_b64 exec, exec, s[2:3]
	v_cmp_gt_u32_e32 vcc, s33, v19
	s_and_saveexec_b64 s[2:3], vcc
	s_cbranch_execz .LBB241_157
.LBB241_182:
	v_cmp_ge_u32_e32 vcc, v19, v10
                                        ; implicit-def: $vgpr4_vgpr5
	s_and_saveexec_b64 s[6:7], vcc
	s_xor_b64 s[6:7], exec, s[6:7]
	s_cbranch_execz .LBB241_184
; %bb.183:
	s_waitcnt lgkmcnt(1)
	v_xor_b32_e32 v4, 0xfffff7ff, v0
	v_ashrrev_i32_e32 v5, 31, v4
	v_add_co_u32_e32 v4, vcc, v17, v4
	v_addc_co_u32_e32 v5, vcc, v18, v5, vcc
                                        ; implicit-def: $vgpr19
.LBB241_184:
	s_andn2_saveexec_b64 s[6:7], s[6:7]
	s_cbranch_execz .LBB241_186
; %bb.185:
	s_waitcnt lgkmcnt(1)
	v_add_co_u32_e32 v4, vcc, v1, v19
	v_addc_co_u32_e32 v5, vcc, 0, v11, vcc
.LBB241_186:
	s_or_b64 exec, exec, s[6:7]
	s_waitcnt lgkmcnt(1)
	v_lshlrev_b64 v[4:5], 2, v[4:5]
	v_mov_b32_e32 v6, s5
	v_add_co_u32_e32 v4, vcc, s4, v4
	v_addc_co_u32_e32 v5, vcc, v6, v5, vcc
	s_waitcnt lgkmcnt(0)
	global_store_dword v[4:5], v2, off
	s_or_b64 exec, exec, s[2:3]
	v_cmp_gt_u32_e32 vcc, s33, v16
                                        ; implicit-def: $vgpr14_vgpr15
	s_and_saveexec_b64 s[2:3], vcc
	s_cbranch_execz .LBB241_192
.LBB241_187:
	v_cmp_ge_u32_e32 vcc, v16, v10
                                        ; implicit-def: $vgpr14_vgpr15
	s_and_saveexec_b64 s[6:7], vcc
	s_xor_b64 s[6:7], exec, s[6:7]
	s_cbranch_execz .LBB241_189
; %bb.188:
	s_waitcnt lgkmcnt(0)
	v_xor_b32_e32 v2, 0xfffff6ff, v0
	v_ashrrev_i32_e32 v4, 31, v2
	v_add_co_u32_e32 v14, vcc, v17, v2
	v_addc_co_u32_e32 v15, vcc, v18, v4, vcc
                                        ; implicit-def: $vgpr16
.LBB241_189:
	s_andn2_saveexec_b64 s[6:7], s[6:7]
; %bb.190:
	v_add_co_u32_e32 v14, vcc, v1, v16
	v_addc_co_u32_e32 v15, vcc, 0, v11, vcc
; %bb.191:
	s_or_b64 exec, exec, s[6:7]
	s_or_b64 s[0:1], s[0:1], exec
.LBB241_192:
	s_or_b64 exec, exec, s[2:3]
.LBB241_193:
	s_and_saveexec_b64 s[2:3], s[0:1]
	s_cbranch_execz .LBB241_195
; %bb.194:
	s_waitcnt lgkmcnt(1)
	v_lshlrev_b64 v[4:5], 2, v[14:15]
	s_waitcnt lgkmcnt(0)
	v_mov_b32_e32 v2, s5
	v_add_co_u32_e32 v4, vcc, s4, v4
	v_addc_co_u32_e32 v5, vcc, v2, v5, vcc
	global_store_dword v[4:5], v3, off
.LBB241_195:
	s_or_b64 exec, exec, s[2:3]
	v_cmp_eq_u32_e32 vcc, 0, v0
	s_and_b64 s[0:1], vcc, s[22:23]
	s_and_saveexec_b64 s[2:3], s[0:1]
	s_cbranch_execz .LBB241_197
; %bb.196:
	v_add_co_u32_e32 v0, vcc, v1, v10
	s_waitcnt lgkmcnt(0)
	v_mov_b32_e32 v2, 0
	v_addc_co_u32_e32 v1, vcc, 0, v11, vcc
	global_store_dwordx2 v2, v[0:1], s[20:21]
.LBB241_197:
	s_endpgm
	.section	.rodata,"a",@progbits
	.p2align	6, 0x0
	.amdhsa_kernel _ZN7rocprim17ROCPRIM_400000_NS6detail17trampoline_kernelINS0_14default_configENS1_25partition_config_selectorILNS1_17partition_subalgoE2EiNS0_10empty_typeEbEEZZNS1_14partition_implILS5_2ELb0ES3_jN6thrust23THRUST_200600_302600_NS6detail15normal_iteratorINSA_7pointerIiNSA_11hip_rocprim3tagENSA_11use_defaultESG_EEEEPS6_NSA_18transform_iteratorI7is_evenIiENSC_INSA_10device_ptrIiEEEESG_SG_EENS0_5tupleIJPiSJ_EEENSR_IJSJ_SJ_EEES6_PlJS6_EEE10hipError_tPvRmT3_T4_T5_T6_T7_T9_mT8_P12ihipStream_tbDpT10_ENKUlT_T0_E_clISt17integral_constantIbLb1EES1E_IbLb0EEEEDaS1A_S1B_EUlS1A_E_NS1_11comp_targetILNS1_3genE4ELNS1_11target_archE910ELNS1_3gpuE8ELNS1_3repE0EEENS1_30default_config_static_selectorELNS0_4arch9wavefront6targetE1EEEvT1_
		.amdhsa_group_segment_fixed_size 10248
		.amdhsa_private_segment_fixed_size 0
		.amdhsa_kernarg_size 128
		.amdhsa_user_sgpr_count 6
		.amdhsa_user_sgpr_private_segment_buffer 1
		.amdhsa_user_sgpr_dispatch_ptr 0
		.amdhsa_user_sgpr_queue_ptr 0
		.amdhsa_user_sgpr_kernarg_segment_ptr 1
		.amdhsa_user_sgpr_dispatch_id 0
		.amdhsa_user_sgpr_flat_scratch_init 0
		.amdhsa_user_sgpr_kernarg_preload_length 0
		.amdhsa_user_sgpr_kernarg_preload_offset 0
		.amdhsa_user_sgpr_private_segment_size 0
		.amdhsa_uses_dynamic_stack 0
		.amdhsa_system_sgpr_private_segment_wavefront_offset 0
		.amdhsa_system_sgpr_workgroup_id_x 1
		.amdhsa_system_sgpr_workgroup_id_y 0
		.amdhsa_system_sgpr_workgroup_id_z 0
		.amdhsa_system_sgpr_workgroup_info 0
		.amdhsa_system_vgpr_workitem_id 0
		.amdhsa_next_free_vgpr 54
		.amdhsa_next_free_sgpr 46
		.amdhsa_accum_offset 56
		.amdhsa_reserve_vcc 1
		.amdhsa_reserve_flat_scratch 0
		.amdhsa_float_round_mode_32 0
		.amdhsa_float_round_mode_16_64 0
		.amdhsa_float_denorm_mode_32 3
		.amdhsa_float_denorm_mode_16_64 3
		.amdhsa_dx10_clamp 1
		.amdhsa_ieee_mode 1
		.amdhsa_fp16_overflow 0
		.amdhsa_tg_split 0
		.amdhsa_exception_fp_ieee_invalid_op 0
		.amdhsa_exception_fp_denorm_src 0
		.amdhsa_exception_fp_ieee_div_zero 0
		.amdhsa_exception_fp_ieee_overflow 0
		.amdhsa_exception_fp_ieee_underflow 0
		.amdhsa_exception_fp_ieee_inexact 0
		.amdhsa_exception_int_div_zero 0
	.end_amdhsa_kernel
	.section	.text._ZN7rocprim17ROCPRIM_400000_NS6detail17trampoline_kernelINS0_14default_configENS1_25partition_config_selectorILNS1_17partition_subalgoE2EiNS0_10empty_typeEbEEZZNS1_14partition_implILS5_2ELb0ES3_jN6thrust23THRUST_200600_302600_NS6detail15normal_iteratorINSA_7pointerIiNSA_11hip_rocprim3tagENSA_11use_defaultESG_EEEEPS6_NSA_18transform_iteratorI7is_evenIiENSC_INSA_10device_ptrIiEEEESG_SG_EENS0_5tupleIJPiSJ_EEENSR_IJSJ_SJ_EEES6_PlJS6_EEE10hipError_tPvRmT3_T4_T5_T6_T7_T9_mT8_P12ihipStream_tbDpT10_ENKUlT_T0_E_clISt17integral_constantIbLb1EES1E_IbLb0EEEEDaS1A_S1B_EUlS1A_E_NS1_11comp_targetILNS1_3genE4ELNS1_11target_archE910ELNS1_3gpuE8ELNS1_3repE0EEENS1_30default_config_static_selectorELNS0_4arch9wavefront6targetE1EEEvT1_,"axG",@progbits,_ZN7rocprim17ROCPRIM_400000_NS6detail17trampoline_kernelINS0_14default_configENS1_25partition_config_selectorILNS1_17partition_subalgoE2EiNS0_10empty_typeEbEEZZNS1_14partition_implILS5_2ELb0ES3_jN6thrust23THRUST_200600_302600_NS6detail15normal_iteratorINSA_7pointerIiNSA_11hip_rocprim3tagENSA_11use_defaultESG_EEEEPS6_NSA_18transform_iteratorI7is_evenIiENSC_INSA_10device_ptrIiEEEESG_SG_EENS0_5tupleIJPiSJ_EEENSR_IJSJ_SJ_EEES6_PlJS6_EEE10hipError_tPvRmT3_T4_T5_T6_T7_T9_mT8_P12ihipStream_tbDpT10_ENKUlT_T0_E_clISt17integral_constantIbLb1EES1E_IbLb0EEEEDaS1A_S1B_EUlS1A_E_NS1_11comp_targetILNS1_3genE4ELNS1_11target_archE910ELNS1_3gpuE8ELNS1_3repE0EEENS1_30default_config_static_selectorELNS0_4arch9wavefront6targetE1EEEvT1_,comdat
.Lfunc_end241:
	.size	_ZN7rocprim17ROCPRIM_400000_NS6detail17trampoline_kernelINS0_14default_configENS1_25partition_config_selectorILNS1_17partition_subalgoE2EiNS0_10empty_typeEbEEZZNS1_14partition_implILS5_2ELb0ES3_jN6thrust23THRUST_200600_302600_NS6detail15normal_iteratorINSA_7pointerIiNSA_11hip_rocprim3tagENSA_11use_defaultESG_EEEEPS6_NSA_18transform_iteratorI7is_evenIiENSC_INSA_10device_ptrIiEEEESG_SG_EENS0_5tupleIJPiSJ_EEENSR_IJSJ_SJ_EEES6_PlJS6_EEE10hipError_tPvRmT3_T4_T5_T6_T7_T9_mT8_P12ihipStream_tbDpT10_ENKUlT_T0_E_clISt17integral_constantIbLb1EES1E_IbLb0EEEEDaS1A_S1B_EUlS1A_E_NS1_11comp_targetILNS1_3genE4ELNS1_11target_archE910ELNS1_3gpuE8ELNS1_3repE0EEENS1_30default_config_static_selectorELNS0_4arch9wavefront6targetE1EEEvT1_, .Lfunc_end241-_ZN7rocprim17ROCPRIM_400000_NS6detail17trampoline_kernelINS0_14default_configENS1_25partition_config_selectorILNS1_17partition_subalgoE2EiNS0_10empty_typeEbEEZZNS1_14partition_implILS5_2ELb0ES3_jN6thrust23THRUST_200600_302600_NS6detail15normal_iteratorINSA_7pointerIiNSA_11hip_rocprim3tagENSA_11use_defaultESG_EEEEPS6_NSA_18transform_iteratorI7is_evenIiENSC_INSA_10device_ptrIiEEEESG_SG_EENS0_5tupleIJPiSJ_EEENSR_IJSJ_SJ_EEES6_PlJS6_EEE10hipError_tPvRmT3_T4_T5_T6_T7_T9_mT8_P12ihipStream_tbDpT10_ENKUlT_T0_E_clISt17integral_constantIbLb1EES1E_IbLb0EEEEDaS1A_S1B_EUlS1A_E_NS1_11comp_targetILNS1_3genE4ELNS1_11target_archE910ELNS1_3gpuE8ELNS1_3repE0EEENS1_30default_config_static_selectorELNS0_4arch9wavefront6targetE1EEEvT1_
                                        ; -- End function
	.section	.AMDGPU.csdata,"",@progbits
; Kernel info:
; codeLenInByte = 6724
; NumSgprs: 50
; NumVgprs: 54
; NumAgprs: 0
; TotalNumVgprs: 54
; ScratchSize: 0
; MemoryBound: 0
; FloatMode: 240
; IeeeMode: 1
; LDSByteSize: 10248 bytes/workgroup (compile time only)
; SGPRBlocks: 6
; VGPRBlocks: 6
; NumSGPRsForWavesPerEU: 50
; NumVGPRsForWavesPerEU: 54
; AccumOffset: 56
; Occupancy: 6
; WaveLimiterHint : 1
; COMPUTE_PGM_RSRC2:SCRATCH_EN: 0
; COMPUTE_PGM_RSRC2:USER_SGPR: 6
; COMPUTE_PGM_RSRC2:TRAP_HANDLER: 0
; COMPUTE_PGM_RSRC2:TGID_X_EN: 1
; COMPUTE_PGM_RSRC2:TGID_Y_EN: 0
; COMPUTE_PGM_RSRC2:TGID_Z_EN: 0
; COMPUTE_PGM_RSRC2:TIDIG_COMP_CNT: 0
; COMPUTE_PGM_RSRC3_GFX90A:ACCUM_OFFSET: 13
; COMPUTE_PGM_RSRC3_GFX90A:TG_SPLIT: 0
	.section	.text._ZN7rocprim17ROCPRIM_400000_NS6detail17trampoline_kernelINS0_14default_configENS1_25partition_config_selectorILNS1_17partition_subalgoE2EiNS0_10empty_typeEbEEZZNS1_14partition_implILS5_2ELb0ES3_jN6thrust23THRUST_200600_302600_NS6detail15normal_iteratorINSA_7pointerIiNSA_11hip_rocprim3tagENSA_11use_defaultESG_EEEEPS6_NSA_18transform_iteratorI7is_evenIiENSC_INSA_10device_ptrIiEEEESG_SG_EENS0_5tupleIJPiSJ_EEENSR_IJSJ_SJ_EEES6_PlJS6_EEE10hipError_tPvRmT3_T4_T5_T6_T7_T9_mT8_P12ihipStream_tbDpT10_ENKUlT_T0_E_clISt17integral_constantIbLb1EES1E_IbLb0EEEEDaS1A_S1B_EUlS1A_E_NS1_11comp_targetILNS1_3genE3ELNS1_11target_archE908ELNS1_3gpuE7ELNS1_3repE0EEENS1_30default_config_static_selectorELNS0_4arch9wavefront6targetE1EEEvT1_,"axG",@progbits,_ZN7rocprim17ROCPRIM_400000_NS6detail17trampoline_kernelINS0_14default_configENS1_25partition_config_selectorILNS1_17partition_subalgoE2EiNS0_10empty_typeEbEEZZNS1_14partition_implILS5_2ELb0ES3_jN6thrust23THRUST_200600_302600_NS6detail15normal_iteratorINSA_7pointerIiNSA_11hip_rocprim3tagENSA_11use_defaultESG_EEEEPS6_NSA_18transform_iteratorI7is_evenIiENSC_INSA_10device_ptrIiEEEESG_SG_EENS0_5tupleIJPiSJ_EEENSR_IJSJ_SJ_EEES6_PlJS6_EEE10hipError_tPvRmT3_T4_T5_T6_T7_T9_mT8_P12ihipStream_tbDpT10_ENKUlT_T0_E_clISt17integral_constantIbLb1EES1E_IbLb0EEEEDaS1A_S1B_EUlS1A_E_NS1_11comp_targetILNS1_3genE3ELNS1_11target_archE908ELNS1_3gpuE7ELNS1_3repE0EEENS1_30default_config_static_selectorELNS0_4arch9wavefront6targetE1EEEvT1_,comdat
	.protected	_ZN7rocprim17ROCPRIM_400000_NS6detail17trampoline_kernelINS0_14default_configENS1_25partition_config_selectorILNS1_17partition_subalgoE2EiNS0_10empty_typeEbEEZZNS1_14partition_implILS5_2ELb0ES3_jN6thrust23THRUST_200600_302600_NS6detail15normal_iteratorINSA_7pointerIiNSA_11hip_rocprim3tagENSA_11use_defaultESG_EEEEPS6_NSA_18transform_iteratorI7is_evenIiENSC_INSA_10device_ptrIiEEEESG_SG_EENS0_5tupleIJPiSJ_EEENSR_IJSJ_SJ_EEES6_PlJS6_EEE10hipError_tPvRmT3_T4_T5_T6_T7_T9_mT8_P12ihipStream_tbDpT10_ENKUlT_T0_E_clISt17integral_constantIbLb1EES1E_IbLb0EEEEDaS1A_S1B_EUlS1A_E_NS1_11comp_targetILNS1_3genE3ELNS1_11target_archE908ELNS1_3gpuE7ELNS1_3repE0EEENS1_30default_config_static_selectorELNS0_4arch9wavefront6targetE1EEEvT1_ ; -- Begin function _ZN7rocprim17ROCPRIM_400000_NS6detail17trampoline_kernelINS0_14default_configENS1_25partition_config_selectorILNS1_17partition_subalgoE2EiNS0_10empty_typeEbEEZZNS1_14partition_implILS5_2ELb0ES3_jN6thrust23THRUST_200600_302600_NS6detail15normal_iteratorINSA_7pointerIiNSA_11hip_rocprim3tagENSA_11use_defaultESG_EEEEPS6_NSA_18transform_iteratorI7is_evenIiENSC_INSA_10device_ptrIiEEEESG_SG_EENS0_5tupleIJPiSJ_EEENSR_IJSJ_SJ_EEES6_PlJS6_EEE10hipError_tPvRmT3_T4_T5_T6_T7_T9_mT8_P12ihipStream_tbDpT10_ENKUlT_T0_E_clISt17integral_constantIbLb1EES1E_IbLb0EEEEDaS1A_S1B_EUlS1A_E_NS1_11comp_targetILNS1_3genE3ELNS1_11target_archE908ELNS1_3gpuE7ELNS1_3repE0EEENS1_30default_config_static_selectorELNS0_4arch9wavefront6targetE1EEEvT1_
	.globl	_ZN7rocprim17ROCPRIM_400000_NS6detail17trampoline_kernelINS0_14default_configENS1_25partition_config_selectorILNS1_17partition_subalgoE2EiNS0_10empty_typeEbEEZZNS1_14partition_implILS5_2ELb0ES3_jN6thrust23THRUST_200600_302600_NS6detail15normal_iteratorINSA_7pointerIiNSA_11hip_rocprim3tagENSA_11use_defaultESG_EEEEPS6_NSA_18transform_iteratorI7is_evenIiENSC_INSA_10device_ptrIiEEEESG_SG_EENS0_5tupleIJPiSJ_EEENSR_IJSJ_SJ_EEES6_PlJS6_EEE10hipError_tPvRmT3_T4_T5_T6_T7_T9_mT8_P12ihipStream_tbDpT10_ENKUlT_T0_E_clISt17integral_constantIbLb1EES1E_IbLb0EEEEDaS1A_S1B_EUlS1A_E_NS1_11comp_targetILNS1_3genE3ELNS1_11target_archE908ELNS1_3gpuE7ELNS1_3repE0EEENS1_30default_config_static_selectorELNS0_4arch9wavefront6targetE1EEEvT1_
	.p2align	8
	.type	_ZN7rocprim17ROCPRIM_400000_NS6detail17trampoline_kernelINS0_14default_configENS1_25partition_config_selectorILNS1_17partition_subalgoE2EiNS0_10empty_typeEbEEZZNS1_14partition_implILS5_2ELb0ES3_jN6thrust23THRUST_200600_302600_NS6detail15normal_iteratorINSA_7pointerIiNSA_11hip_rocprim3tagENSA_11use_defaultESG_EEEEPS6_NSA_18transform_iteratorI7is_evenIiENSC_INSA_10device_ptrIiEEEESG_SG_EENS0_5tupleIJPiSJ_EEENSR_IJSJ_SJ_EEES6_PlJS6_EEE10hipError_tPvRmT3_T4_T5_T6_T7_T9_mT8_P12ihipStream_tbDpT10_ENKUlT_T0_E_clISt17integral_constantIbLb1EES1E_IbLb0EEEEDaS1A_S1B_EUlS1A_E_NS1_11comp_targetILNS1_3genE3ELNS1_11target_archE908ELNS1_3gpuE7ELNS1_3repE0EEENS1_30default_config_static_selectorELNS0_4arch9wavefront6targetE1EEEvT1_,@function
_ZN7rocprim17ROCPRIM_400000_NS6detail17trampoline_kernelINS0_14default_configENS1_25partition_config_selectorILNS1_17partition_subalgoE2EiNS0_10empty_typeEbEEZZNS1_14partition_implILS5_2ELb0ES3_jN6thrust23THRUST_200600_302600_NS6detail15normal_iteratorINSA_7pointerIiNSA_11hip_rocprim3tagENSA_11use_defaultESG_EEEEPS6_NSA_18transform_iteratorI7is_evenIiENSC_INSA_10device_ptrIiEEEESG_SG_EENS0_5tupleIJPiSJ_EEENSR_IJSJ_SJ_EEES6_PlJS6_EEE10hipError_tPvRmT3_T4_T5_T6_T7_T9_mT8_P12ihipStream_tbDpT10_ENKUlT_T0_E_clISt17integral_constantIbLb1EES1E_IbLb0EEEEDaS1A_S1B_EUlS1A_E_NS1_11comp_targetILNS1_3genE3ELNS1_11target_archE908ELNS1_3gpuE7ELNS1_3repE0EEENS1_30default_config_static_selectorELNS0_4arch9wavefront6targetE1EEEvT1_: ; @_ZN7rocprim17ROCPRIM_400000_NS6detail17trampoline_kernelINS0_14default_configENS1_25partition_config_selectorILNS1_17partition_subalgoE2EiNS0_10empty_typeEbEEZZNS1_14partition_implILS5_2ELb0ES3_jN6thrust23THRUST_200600_302600_NS6detail15normal_iteratorINSA_7pointerIiNSA_11hip_rocprim3tagENSA_11use_defaultESG_EEEEPS6_NSA_18transform_iteratorI7is_evenIiENSC_INSA_10device_ptrIiEEEESG_SG_EENS0_5tupleIJPiSJ_EEENSR_IJSJ_SJ_EEES6_PlJS6_EEE10hipError_tPvRmT3_T4_T5_T6_T7_T9_mT8_P12ihipStream_tbDpT10_ENKUlT_T0_E_clISt17integral_constantIbLb1EES1E_IbLb0EEEEDaS1A_S1B_EUlS1A_E_NS1_11comp_targetILNS1_3genE3ELNS1_11target_archE908ELNS1_3gpuE7ELNS1_3repE0EEENS1_30default_config_static_selectorELNS0_4arch9wavefront6targetE1EEEvT1_
; %bb.0:
	.section	.rodata,"a",@progbits
	.p2align	6, 0x0
	.amdhsa_kernel _ZN7rocprim17ROCPRIM_400000_NS6detail17trampoline_kernelINS0_14default_configENS1_25partition_config_selectorILNS1_17partition_subalgoE2EiNS0_10empty_typeEbEEZZNS1_14partition_implILS5_2ELb0ES3_jN6thrust23THRUST_200600_302600_NS6detail15normal_iteratorINSA_7pointerIiNSA_11hip_rocprim3tagENSA_11use_defaultESG_EEEEPS6_NSA_18transform_iteratorI7is_evenIiENSC_INSA_10device_ptrIiEEEESG_SG_EENS0_5tupleIJPiSJ_EEENSR_IJSJ_SJ_EEES6_PlJS6_EEE10hipError_tPvRmT3_T4_T5_T6_T7_T9_mT8_P12ihipStream_tbDpT10_ENKUlT_T0_E_clISt17integral_constantIbLb1EES1E_IbLb0EEEEDaS1A_S1B_EUlS1A_E_NS1_11comp_targetILNS1_3genE3ELNS1_11target_archE908ELNS1_3gpuE7ELNS1_3repE0EEENS1_30default_config_static_selectorELNS0_4arch9wavefront6targetE1EEEvT1_
		.amdhsa_group_segment_fixed_size 0
		.amdhsa_private_segment_fixed_size 0
		.amdhsa_kernarg_size 128
		.amdhsa_user_sgpr_count 6
		.amdhsa_user_sgpr_private_segment_buffer 1
		.amdhsa_user_sgpr_dispatch_ptr 0
		.amdhsa_user_sgpr_queue_ptr 0
		.amdhsa_user_sgpr_kernarg_segment_ptr 1
		.amdhsa_user_sgpr_dispatch_id 0
		.amdhsa_user_sgpr_flat_scratch_init 0
		.amdhsa_user_sgpr_kernarg_preload_length 0
		.amdhsa_user_sgpr_kernarg_preload_offset 0
		.amdhsa_user_sgpr_private_segment_size 0
		.amdhsa_uses_dynamic_stack 0
		.amdhsa_system_sgpr_private_segment_wavefront_offset 0
		.amdhsa_system_sgpr_workgroup_id_x 1
		.amdhsa_system_sgpr_workgroup_id_y 0
		.amdhsa_system_sgpr_workgroup_id_z 0
		.amdhsa_system_sgpr_workgroup_info 0
		.amdhsa_system_vgpr_workitem_id 0
		.amdhsa_next_free_vgpr 1
		.amdhsa_next_free_sgpr 0
		.amdhsa_accum_offset 4
		.amdhsa_reserve_vcc 0
		.amdhsa_reserve_flat_scratch 0
		.amdhsa_float_round_mode_32 0
		.amdhsa_float_round_mode_16_64 0
		.amdhsa_float_denorm_mode_32 3
		.amdhsa_float_denorm_mode_16_64 3
		.amdhsa_dx10_clamp 1
		.amdhsa_ieee_mode 1
		.amdhsa_fp16_overflow 0
		.amdhsa_tg_split 0
		.amdhsa_exception_fp_ieee_invalid_op 0
		.amdhsa_exception_fp_denorm_src 0
		.amdhsa_exception_fp_ieee_div_zero 0
		.amdhsa_exception_fp_ieee_overflow 0
		.amdhsa_exception_fp_ieee_underflow 0
		.amdhsa_exception_fp_ieee_inexact 0
		.amdhsa_exception_int_div_zero 0
	.end_amdhsa_kernel
	.section	.text._ZN7rocprim17ROCPRIM_400000_NS6detail17trampoline_kernelINS0_14default_configENS1_25partition_config_selectorILNS1_17partition_subalgoE2EiNS0_10empty_typeEbEEZZNS1_14partition_implILS5_2ELb0ES3_jN6thrust23THRUST_200600_302600_NS6detail15normal_iteratorINSA_7pointerIiNSA_11hip_rocprim3tagENSA_11use_defaultESG_EEEEPS6_NSA_18transform_iteratorI7is_evenIiENSC_INSA_10device_ptrIiEEEESG_SG_EENS0_5tupleIJPiSJ_EEENSR_IJSJ_SJ_EEES6_PlJS6_EEE10hipError_tPvRmT3_T4_T5_T6_T7_T9_mT8_P12ihipStream_tbDpT10_ENKUlT_T0_E_clISt17integral_constantIbLb1EES1E_IbLb0EEEEDaS1A_S1B_EUlS1A_E_NS1_11comp_targetILNS1_3genE3ELNS1_11target_archE908ELNS1_3gpuE7ELNS1_3repE0EEENS1_30default_config_static_selectorELNS0_4arch9wavefront6targetE1EEEvT1_,"axG",@progbits,_ZN7rocprim17ROCPRIM_400000_NS6detail17trampoline_kernelINS0_14default_configENS1_25partition_config_selectorILNS1_17partition_subalgoE2EiNS0_10empty_typeEbEEZZNS1_14partition_implILS5_2ELb0ES3_jN6thrust23THRUST_200600_302600_NS6detail15normal_iteratorINSA_7pointerIiNSA_11hip_rocprim3tagENSA_11use_defaultESG_EEEEPS6_NSA_18transform_iteratorI7is_evenIiENSC_INSA_10device_ptrIiEEEESG_SG_EENS0_5tupleIJPiSJ_EEENSR_IJSJ_SJ_EEES6_PlJS6_EEE10hipError_tPvRmT3_T4_T5_T6_T7_T9_mT8_P12ihipStream_tbDpT10_ENKUlT_T0_E_clISt17integral_constantIbLb1EES1E_IbLb0EEEEDaS1A_S1B_EUlS1A_E_NS1_11comp_targetILNS1_3genE3ELNS1_11target_archE908ELNS1_3gpuE7ELNS1_3repE0EEENS1_30default_config_static_selectorELNS0_4arch9wavefront6targetE1EEEvT1_,comdat
.Lfunc_end242:
	.size	_ZN7rocprim17ROCPRIM_400000_NS6detail17trampoline_kernelINS0_14default_configENS1_25partition_config_selectorILNS1_17partition_subalgoE2EiNS0_10empty_typeEbEEZZNS1_14partition_implILS5_2ELb0ES3_jN6thrust23THRUST_200600_302600_NS6detail15normal_iteratorINSA_7pointerIiNSA_11hip_rocprim3tagENSA_11use_defaultESG_EEEEPS6_NSA_18transform_iteratorI7is_evenIiENSC_INSA_10device_ptrIiEEEESG_SG_EENS0_5tupleIJPiSJ_EEENSR_IJSJ_SJ_EEES6_PlJS6_EEE10hipError_tPvRmT3_T4_T5_T6_T7_T9_mT8_P12ihipStream_tbDpT10_ENKUlT_T0_E_clISt17integral_constantIbLb1EES1E_IbLb0EEEEDaS1A_S1B_EUlS1A_E_NS1_11comp_targetILNS1_3genE3ELNS1_11target_archE908ELNS1_3gpuE7ELNS1_3repE0EEENS1_30default_config_static_selectorELNS0_4arch9wavefront6targetE1EEEvT1_, .Lfunc_end242-_ZN7rocprim17ROCPRIM_400000_NS6detail17trampoline_kernelINS0_14default_configENS1_25partition_config_selectorILNS1_17partition_subalgoE2EiNS0_10empty_typeEbEEZZNS1_14partition_implILS5_2ELb0ES3_jN6thrust23THRUST_200600_302600_NS6detail15normal_iteratorINSA_7pointerIiNSA_11hip_rocprim3tagENSA_11use_defaultESG_EEEEPS6_NSA_18transform_iteratorI7is_evenIiENSC_INSA_10device_ptrIiEEEESG_SG_EENS0_5tupleIJPiSJ_EEENSR_IJSJ_SJ_EEES6_PlJS6_EEE10hipError_tPvRmT3_T4_T5_T6_T7_T9_mT8_P12ihipStream_tbDpT10_ENKUlT_T0_E_clISt17integral_constantIbLb1EES1E_IbLb0EEEEDaS1A_S1B_EUlS1A_E_NS1_11comp_targetILNS1_3genE3ELNS1_11target_archE908ELNS1_3gpuE7ELNS1_3repE0EEENS1_30default_config_static_selectorELNS0_4arch9wavefront6targetE1EEEvT1_
                                        ; -- End function
	.section	.AMDGPU.csdata,"",@progbits
; Kernel info:
; codeLenInByte = 0
; NumSgprs: 4
; NumVgprs: 0
; NumAgprs: 0
; TotalNumVgprs: 0
; ScratchSize: 0
; MemoryBound: 0
; FloatMode: 240
; IeeeMode: 1
; LDSByteSize: 0 bytes/workgroup (compile time only)
; SGPRBlocks: 0
; VGPRBlocks: 0
; NumSGPRsForWavesPerEU: 4
; NumVGPRsForWavesPerEU: 1
; AccumOffset: 4
; Occupancy: 8
; WaveLimiterHint : 0
; COMPUTE_PGM_RSRC2:SCRATCH_EN: 0
; COMPUTE_PGM_RSRC2:USER_SGPR: 6
; COMPUTE_PGM_RSRC2:TRAP_HANDLER: 0
; COMPUTE_PGM_RSRC2:TGID_X_EN: 1
; COMPUTE_PGM_RSRC2:TGID_Y_EN: 0
; COMPUTE_PGM_RSRC2:TGID_Z_EN: 0
; COMPUTE_PGM_RSRC2:TIDIG_COMP_CNT: 0
; COMPUTE_PGM_RSRC3_GFX90A:ACCUM_OFFSET: 0
; COMPUTE_PGM_RSRC3_GFX90A:TG_SPLIT: 0
	.section	.text._ZN7rocprim17ROCPRIM_400000_NS6detail17trampoline_kernelINS0_14default_configENS1_25partition_config_selectorILNS1_17partition_subalgoE2EiNS0_10empty_typeEbEEZZNS1_14partition_implILS5_2ELb0ES3_jN6thrust23THRUST_200600_302600_NS6detail15normal_iteratorINSA_7pointerIiNSA_11hip_rocprim3tagENSA_11use_defaultESG_EEEEPS6_NSA_18transform_iteratorI7is_evenIiENSC_INSA_10device_ptrIiEEEESG_SG_EENS0_5tupleIJPiSJ_EEENSR_IJSJ_SJ_EEES6_PlJS6_EEE10hipError_tPvRmT3_T4_T5_T6_T7_T9_mT8_P12ihipStream_tbDpT10_ENKUlT_T0_E_clISt17integral_constantIbLb1EES1E_IbLb0EEEEDaS1A_S1B_EUlS1A_E_NS1_11comp_targetILNS1_3genE2ELNS1_11target_archE906ELNS1_3gpuE6ELNS1_3repE0EEENS1_30default_config_static_selectorELNS0_4arch9wavefront6targetE1EEEvT1_,"axG",@progbits,_ZN7rocprim17ROCPRIM_400000_NS6detail17trampoline_kernelINS0_14default_configENS1_25partition_config_selectorILNS1_17partition_subalgoE2EiNS0_10empty_typeEbEEZZNS1_14partition_implILS5_2ELb0ES3_jN6thrust23THRUST_200600_302600_NS6detail15normal_iteratorINSA_7pointerIiNSA_11hip_rocprim3tagENSA_11use_defaultESG_EEEEPS6_NSA_18transform_iteratorI7is_evenIiENSC_INSA_10device_ptrIiEEEESG_SG_EENS0_5tupleIJPiSJ_EEENSR_IJSJ_SJ_EEES6_PlJS6_EEE10hipError_tPvRmT3_T4_T5_T6_T7_T9_mT8_P12ihipStream_tbDpT10_ENKUlT_T0_E_clISt17integral_constantIbLb1EES1E_IbLb0EEEEDaS1A_S1B_EUlS1A_E_NS1_11comp_targetILNS1_3genE2ELNS1_11target_archE906ELNS1_3gpuE6ELNS1_3repE0EEENS1_30default_config_static_selectorELNS0_4arch9wavefront6targetE1EEEvT1_,comdat
	.protected	_ZN7rocprim17ROCPRIM_400000_NS6detail17trampoline_kernelINS0_14default_configENS1_25partition_config_selectorILNS1_17partition_subalgoE2EiNS0_10empty_typeEbEEZZNS1_14partition_implILS5_2ELb0ES3_jN6thrust23THRUST_200600_302600_NS6detail15normal_iteratorINSA_7pointerIiNSA_11hip_rocprim3tagENSA_11use_defaultESG_EEEEPS6_NSA_18transform_iteratorI7is_evenIiENSC_INSA_10device_ptrIiEEEESG_SG_EENS0_5tupleIJPiSJ_EEENSR_IJSJ_SJ_EEES6_PlJS6_EEE10hipError_tPvRmT3_T4_T5_T6_T7_T9_mT8_P12ihipStream_tbDpT10_ENKUlT_T0_E_clISt17integral_constantIbLb1EES1E_IbLb0EEEEDaS1A_S1B_EUlS1A_E_NS1_11comp_targetILNS1_3genE2ELNS1_11target_archE906ELNS1_3gpuE6ELNS1_3repE0EEENS1_30default_config_static_selectorELNS0_4arch9wavefront6targetE1EEEvT1_ ; -- Begin function _ZN7rocprim17ROCPRIM_400000_NS6detail17trampoline_kernelINS0_14default_configENS1_25partition_config_selectorILNS1_17partition_subalgoE2EiNS0_10empty_typeEbEEZZNS1_14partition_implILS5_2ELb0ES3_jN6thrust23THRUST_200600_302600_NS6detail15normal_iteratorINSA_7pointerIiNSA_11hip_rocprim3tagENSA_11use_defaultESG_EEEEPS6_NSA_18transform_iteratorI7is_evenIiENSC_INSA_10device_ptrIiEEEESG_SG_EENS0_5tupleIJPiSJ_EEENSR_IJSJ_SJ_EEES6_PlJS6_EEE10hipError_tPvRmT3_T4_T5_T6_T7_T9_mT8_P12ihipStream_tbDpT10_ENKUlT_T0_E_clISt17integral_constantIbLb1EES1E_IbLb0EEEEDaS1A_S1B_EUlS1A_E_NS1_11comp_targetILNS1_3genE2ELNS1_11target_archE906ELNS1_3gpuE6ELNS1_3repE0EEENS1_30default_config_static_selectorELNS0_4arch9wavefront6targetE1EEEvT1_
	.globl	_ZN7rocprim17ROCPRIM_400000_NS6detail17trampoline_kernelINS0_14default_configENS1_25partition_config_selectorILNS1_17partition_subalgoE2EiNS0_10empty_typeEbEEZZNS1_14partition_implILS5_2ELb0ES3_jN6thrust23THRUST_200600_302600_NS6detail15normal_iteratorINSA_7pointerIiNSA_11hip_rocprim3tagENSA_11use_defaultESG_EEEEPS6_NSA_18transform_iteratorI7is_evenIiENSC_INSA_10device_ptrIiEEEESG_SG_EENS0_5tupleIJPiSJ_EEENSR_IJSJ_SJ_EEES6_PlJS6_EEE10hipError_tPvRmT3_T4_T5_T6_T7_T9_mT8_P12ihipStream_tbDpT10_ENKUlT_T0_E_clISt17integral_constantIbLb1EES1E_IbLb0EEEEDaS1A_S1B_EUlS1A_E_NS1_11comp_targetILNS1_3genE2ELNS1_11target_archE906ELNS1_3gpuE6ELNS1_3repE0EEENS1_30default_config_static_selectorELNS0_4arch9wavefront6targetE1EEEvT1_
	.p2align	8
	.type	_ZN7rocprim17ROCPRIM_400000_NS6detail17trampoline_kernelINS0_14default_configENS1_25partition_config_selectorILNS1_17partition_subalgoE2EiNS0_10empty_typeEbEEZZNS1_14partition_implILS5_2ELb0ES3_jN6thrust23THRUST_200600_302600_NS6detail15normal_iteratorINSA_7pointerIiNSA_11hip_rocprim3tagENSA_11use_defaultESG_EEEEPS6_NSA_18transform_iteratorI7is_evenIiENSC_INSA_10device_ptrIiEEEESG_SG_EENS0_5tupleIJPiSJ_EEENSR_IJSJ_SJ_EEES6_PlJS6_EEE10hipError_tPvRmT3_T4_T5_T6_T7_T9_mT8_P12ihipStream_tbDpT10_ENKUlT_T0_E_clISt17integral_constantIbLb1EES1E_IbLb0EEEEDaS1A_S1B_EUlS1A_E_NS1_11comp_targetILNS1_3genE2ELNS1_11target_archE906ELNS1_3gpuE6ELNS1_3repE0EEENS1_30default_config_static_selectorELNS0_4arch9wavefront6targetE1EEEvT1_,@function
_ZN7rocprim17ROCPRIM_400000_NS6detail17trampoline_kernelINS0_14default_configENS1_25partition_config_selectorILNS1_17partition_subalgoE2EiNS0_10empty_typeEbEEZZNS1_14partition_implILS5_2ELb0ES3_jN6thrust23THRUST_200600_302600_NS6detail15normal_iteratorINSA_7pointerIiNSA_11hip_rocprim3tagENSA_11use_defaultESG_EEEEPS6_NSA_18transform_iteratorI7is_evenIiENSC_INSA_10device_ptrIiEEEESG_SG_EENS0_5tupleIJPiSJ_EEENSR_IJSJ_SJ_EEES6_PlJS6_EEE10hipError_tPvRmT3_T4_T5_T6_T7_T9_mT8_P12ihipStream_tbDpT10_ENKUlT_T0_E_clISt17integral_constantIbLb1EES1E_IbLb0EEEEDaS1A_S1B_EUlS1A_E_NS1_11comp_targetILNS1_3genE2ELNS1_11target_archE906ELNS1_3gpuE6ELNS1_3repE0EEENS1_30default_config_static_selectorELNS0_4arch9wavefront6targetE1EEEvT1_: ; @_ZN7rocprim17ROCPRIM_400000_NS6detail17trampoline_kernelINS0_14default_configENS1_25partition_config_selectorILNS1_17partition_subalgoE2EiNS0_10empty_typeEbEEZZNS1_14partition_implILS5_2ELb0ES3_jN6thrust23THRUST_200600_302600_NS6detail15normal_iteratorINSA_7pointerIiNSA_11hip_rocprim3tagENSA_11use_defaultESG_EEEEPS6_NSA_18transform_iteratorI7is_evenIiENSC_INSA_10device_ptrIiEEEESG_SG_EENS0_5tupleIJPiSJ_EEENSR_IJSJ_SJ_EEES6_PlJS6_EEE10hipError_tPvRmT3_T4_T5_T6_T7_T9_mT8_P12ihipStream_tbDpT10_ENKUlT_T0_E_clISt17integral_constantIbLb1EES1E_IbLb0EEEEDaS1A_S1B_EUlS1A_E_NS1_11comp_targetILNS1_3genE2ELNS1_11target_archE906ELNS1_3gpuE6ELNS1_3repE0EEENS1_30default_config_static_selectorELNS0_4arch9wavefront6targetE1EEEvT1_
; %bb.0:
	.section	.rodata,"a",@progbits
	.p2align	6, 0x0
	.amdhsa_kernel _ZN7rocprim17ROCPRIM_400000_NS6detail17trampoline_kernelINS0_14default_configENS1_25partition_config_selectorILNS1_17partition_subalgoE2EiNS0_10empty_typeEbEEZZNS1_14partition_implILS5_2ELb0ES3_jN6thrust23THRUST_200600_302600_NS6detail15normal_iteratorINSA_7pointerIiNSA_11hip_rocprim3tagENSA_11use_defaultESG_EEEEPS6_NSA_18transform_iteratorI7is_evenIiENSC_INSA_10device_ptrIiEEEESG_SG_EENS0_5tupleIJPiSJ_EEENSR_IJSJ_SJ_EEES6_PlJS6_EEE10hipError_tPvRmT3_T4_T5_T6_T7_T9_mT8_P12ihipStream_tbDpT10_ENKUlT_T0_E_clISt17integral_constantIbLb1EES1E_IbLb0EEEEDaS1A_S1B_EUlS1A_E_NS1_11comp_targetILNS1_3genE2ELNS1_11target_archE906ELNS1_3gpuE6ELNS1_3repE0EEENS1_30default_config_static_selectorELNS0_4arch9wavefront6targetE1EEEvT1_
		.amdhsa_group_segment_fixed_size 0
		.amdhsa_private_segment_fixed_size 0
		.amdhsa_kernarg_size 128
		.amdhsa_user_sgpr_count 6
		.amdhsa_user_sgpr_private_segment_buffer 1
		.amdhsa_user_sgpr_dispatch_ptr 0
		.amdhsa_user_sgpr_queue_ptr 0
		.amdhsa_user_sgpr_kernarg_segment_ptr 1
		.amdhsa_user_sgpr_dispatch_id 0
		.amdhsa_user_sgpr_flat_scratch_init 0
		.amdhsa_user_sgpr_kernarg_preload_length 0
		.amdhsa_user_sgpr_kernarg_preload_offset 0
		.amdhsa_user_sgpr_private_segment_size 0
		.amdhsa_uses_dynamic_stack 0
		.amdhsa_system_sgpr_private_segment_wavefront_offset 0
		.amdhsa_system_sgpr_workgroup_id_x 1
		.amdhsa_system_sgpr_workgroup_id_y 0
		.amdhsa_system_sgpr_workgroup_id_z 0
		.amdhsa_system_sgpr_workgroup_info 0
		.amdhsa_system_vgpr_workitem_id 0
		.amdhsa_next_free_vgpr 1
		.amdhsa_next_free_sgpr 0
		.amdhsa_accum_offset 4
		.amdhsa_reserve_vcc 0
		.amdhsa_reserve_flat_scratch 0
		.amdhsa_float_round_mode_32 0
		.amdhsa_float_round_mode_16_64 0
		.amdhsa_float_denorm_mode_32 3
		.amdhsa_float_denorm_mode_16_64 3
		.amdhsa_dx10_clamp 1
		.amdhsa_ieee_mode 1
		.amdhsa_fp16_overflow 0
		.amdhsa_tg_split 0
		.amdhsa_exception_fp_ieee_invalid_op 0
		.amdhsa_exception_fp_denorm_src 0
		.amdhsa_exception_fp_ieee_div_zero 0
		.amdhsa_exception_fp_ieee_overflow 0
		.amdhsa_exception_fp_ieee_underflow 0
		.amdhsa_exception_fp_ieee_inexact 0
		.amdhsa_exception_int_div_zero 0
	.end_amdhsa_kernel
	.section	.text._ZN7rocprim17ROCPRIM_400000_NS6detail17trampoline_kernelINS0_14default_configENS1_25partition_config_selectorILNS1_17partition_subalgoE2EiNS0_10empty_typeEbEEZZNS1_14partition_implILS5_2ELb0ES3_jN6thrust23THRUST_200600_302600_NS6detail15normal_iteratorINSA_7pointerIiNSA_11hip_rocprim3tagENSA_11use_defaultESG_EEEEPS6_NSA_18transform_iteratorI7is_evenIiENSC_INSA_10device_ptrIiEEEESG_SG_EENS0_5tupleIJPiSJ_EEENSR_IJSJ_SJ_EEES6_PlJS6_EEE10hipError_tPvRmT3_T4_T5_T6_T7_T9_mT8_P12ihipStream_tbDpT10_ENKUlT_T0_E_clISt17integral_constantIbLb1EES1E_IbLb0EEEEDaS1A_S1B_EUlS1A_E_NS1_11comp_targetILNS1_3genE2ELNS1_11target_archE906ELNS1_3gpuE6ELNS1_3repE0EEENS1_30default_config_static_selectorELNS0_4arch9wavefront6targetE1EEEvT1_,"axG",@progbits,_ZN7rocprim17ROCPRIM_400000_NS6detail17trampoline_kernelINS0_14default_configENS1_25partition_config_selectorILNS1_17partition_subalgoE2EiNS0_10empty_typeEbEEZZNS1_14partition_implILS5_2ELb0ES3_jN6thrust23THRUST_200600_302600_NS6detail15normal_iteratorINSA_7pointerIiNSA_11hip_rocprim3tagENSA_11use_defaultESG_EEEEPS6_NSA_18transform_iteratorI7is_evenIiENSC_INSA_10device_ptrIiEEEESG_SG_EENS0_5tupleIJPiSJ_EEENSR_IJSJ_SJ_EEES6_PlJS6_EEE10hipError_tPvRmT3_T4_T5_T6_T7_T9_mT8_P12ihipStream_tbDpT10_ENKUlT_T0_E_clISt17integral_constantIbLb1EES1E_IbLb0EEEEDaS1A_S1B_EUlS1A_E_NS1_11comp_targetILNS1_3genE2ELNS1_11target_archE906ELNS1_3gpuE6ELNS1_3repE0EEENS1_30default_config_static_selectorELNS0_4arch9wavefront6targetE1EEEvT1_,comdat
.Lfunc_end243:
	.size	_ZN7rocprim17ROCPRIM_400000_NS6detail17trampoline_kernelINS0_14default_configENS1_25partition_config_selectorILNS1_17partition_subalgoE2EiNS0_10empty_typeEbEEZZNS1_14partition_implILS5_2ELb0ES3_jN6thrust23THRUST_200600_302600_NS6detail15normal_iteratorINSA_7pointerIiNSA_11hip_rocprim3tagENSA_11use_defaultESG_EEEEPS6_NSA_18transform_iteratorI7is_evenIiENSC_INSA_10device_ptrIiEEEESG_SG_EENS0_5tupleIJPiSJ_EEENSR_IJSJ_SJ_EEES6_PlJS6_EEE10hipError_tPvRmT3_T4_T5_T6_T7_T9_mT8_P12ihipStream_tbDpT10_ENKUlT_T0_E_clISt17integral_constantIbLb1EES1E_IbLb0EEEEDaS1A_S1B_EUlS1A_E_NS1_11comp_targetILNS1_3genE2ELNS1_11target_archE906ELNS1_3gpuE6ELNS1_3repE0EEENS1_30default_config_static_selectorELNS0_4arch9wavefront6targetE1EEEvT1_, .Lfunc_end243-_ZN7rocprim17ROCPRIM_400000_NS6detail17trampoline_kernelINS0_14default_configENS1_25partition_config_selectorILNS1_17partition_subalgoE2EiNS0_10empty_typeEbEEZZNS1_14partition_implILS5_2ELb0ES3_jN6thrust23THRUST_200600_302600_NS6detail15normal_iteratorINSA_7pointerIiNSA_11hip_rocprim3tagENSA_11use_defaultESG_EEEEPS6_NSA_18transform_iteratorI7is_evenIiENSC_INSA_10device_ptrIiEEEESG_SG_EENS0_5tupleIJPiSJ_EEENSR_IJSJ_SJ_EEES6_PlJS6_EEE10hipError_tPvRmT3_T4_T5_T6_T7_T9_mT8_P12ihipStream_tbDpT10_ENKUlT_T0_E_clISt17integral_constantIbLb1EES1E_IbLb0EEEEDaS1A_S1B_EUlS1A_E_NS1_11comp_targetILNS1_3genE2ELNS1_11target_archE906ELNS1_3gpuE6ELNS1_3repE0EEENS1_30default_config_static_selectorELNS0_4arch9wavefront6targetE1EEEvT1_
                                        ; -- End function
	.section	.AMDGPU.csdata,"",@progbits
; Kernel info:
; codeLenInByte = 0
; NumSgprs: 4
; NumVgprs: 0
; NumAgprs: 0
; TotalNumVgprs: 0
; ScratchSize: 0
; MemoryBound: 0
; FloatMode: 240
; IeeeMode: 1
; LDSByteSize: 0 bytes/workgroup (compile time only)
; SGPRBlocks: 0
; VGPRBlocks: 0
; NumSGPRsForWavesPerEU: 4
; NumVGPRsForWavesPerEU: 1
; AccumOffset: 4
; Occupancy: 8
; WaveLimiterHint : 0
; COMPUTE_PGM_RSRC2:SCRATCH_EN: 0
; COMPUTE_PGM_RSRC2:USER_SGPR: 6
; COMPUTE_PGM_RSRC2:TRAP_HANDLER: 0
; COMPUTE_PGM_RSRC2:TGID_X_EN: 1
; COMPUTE_PGM_RSRC2:TGID_Y_EN: 0
; COMPUTE_PGM_RSRC2:TGID_Z_EN: 0
; COMPUTE_PGM_RSRC2:TIDIG_COMP_CNT: 0
; COMPUTE_PGM_RSRC3_GFX90A:ACCUM_OFFSET: 0
; COMPUTE_PGM_RSRC3_GFX90A:TG_SPLIT: 0
	.section	.text._ZN7rocprim17ROCPRIM_400000_NS6detail17trampoline_kernelINS0_14default_configENS1_25partition_config_selectorILNS1_17partition_subalgoE2EiNS0_10empty_typeEbEEZZNS1_14partition_implILS5_2ELb0ES3_jN6thrust23THRUST_200600_302600_NS6detail15normal_iteratorINSA_7pointerIiNSA_11hip_rocprim3tagENSA_11use_defaultESG_EEEEPS6_NSA_18transform_iteratorI7is_evenIiENSC_INSA_10device_ptrIiEEEESG_SG_EENS0_5tupleIJPiSJ_EEENSR_IJSJ_SJ_EEES6_PlJS6_EEE10hipError_tPvRmT3_T4_T5_T6_T7_T9_mT8_P12ihipStream_tbDpT10_ENKUlT_T0_E_clISt17integral_constantIbLb1EES1E_IbLb0EEEEDaS1A_S1B_EUlS1A_E_NS1_11comp_targetILNS1_3genE10ELNS1_11target_archE1200ELNS1_3gpuE4ELNS1_3repE0EEENS1_30default_config_static_selectorELNS0_4arch9wavefront6targetE1EEEvT1_,"axG",@progbits,_ZN7rocprim17ROCPRIM_400000_NS6detail17trampoline_kernelINS0_14default_configENS1_25partition_config_selectorILNS1_17partition_subalgoE2EiNS0_10empty_typeEbEEZZNS1_14partition_implILS5_2ELb0ES3_jN6thrust23THRUST_200600_302600_NS6detail15normal_iteratorINSA_7pointerIiNSA_11hip_rocprim3tagENSA_11use_defaultESG_EEEEPS6_NSA_18transform_iteratorI7is_evenIiENSC_INSA_10device_ptrIiEEEESG_SG_EENS0_5tupleIJPiSJ_EEENSR_IJSJ_SJ_EEES6_PlJS6_EEE10hipError_tPvRmT3_T4_T5_T6_T7_T9_mT8_P12ihipStream_tbDpT10_ENKUlT_T0_E_clISt17integral_constantIbLb1EES1E_IbLb0EEEEDaS1A_S1B_EUlS1A_E_NS1_11comp_targetILNS1_3genE10ELNS1_11target_archE1200ELNS1_3gpuE4ELNS1_3repE0EEENS1_30default_config_static_selectorELNS0_4arch9wavefront6targetE1EEEvT1_,comdat
	.protected	_ZN7rocprim17ROCPRIM_400000_NS6detail17trampoline_kernelINS0_14default_configENS1_25partition_config_selectorILNS1_17partition_subalgoE2EiNS0_10empty_typeEbEEZZNS1_14partition_implILS5_2ELb0ES3_jN6thrust23THRUST_200600_302600_NS6detail15normal_iteratorINSA_7pointerIiNSA_11hip_rocprim3tagENSA_11use_defaultESG_EEEEPS6_NSA_18transform_iteratorI7is_evenIiENSC_INSA_10device_ptrIiEEEESG_SG_EENS0_5tupleIJPiSJ_EEENSR_IJSJ_SJ_EEES6_PlJS6_EEE10hipError_tPvRmT3_T4_T5_T6_T7_T9_mT8_P12ihipStream_tbDpT10_ENKUlT_T0_E_clISt17integral_constantIbLb1EES1E_IbLb0EEEEDaS1A_S1B_EUlS1A_E_NS1_11comp_targetILNS1_3genE10ELNS1_11target_archE1200ELNS1_3gpuE4ELNS1_3repE0EEENS1_30default_config_static_selectorELNS0_4arch9wavefront6targetE1EEEvT1_ ; -- Begin function _ZN7rocprim17ROCPRIM_400000_NS6detail17trampoline_kernelINS0_14default_configENS1_25partition_config_selectorILNS1_17partition_subalgoE2EiNS0_10empty_typeEbEEZZNS1_14partition_implILS5_2ELb0ES3_jN6thrust23THRUST_200600_302600_NS6detail15normal_iteratorINSA_7pointerIiNSA_11hip_rocprim3tagENSA_11use_defaultESG_EEEEPS6_NSA_18transform_iteratorI7is_evenIiENSC_INSA_10device_ptrIiEEEESG_SG_EENS0_5tupleIJPiSJ_EEENSR_IJSJ_SJ_EEES6_PlJS6_EEE10hipError_tPvRmT3_T4_T5_T6_T7_T9_mT8_P12ihipStream_tbDpT10_ENKUlT_T0_E_clISt17integral_constantIbLb1EES1E_IbLb0EEEEDaS1A_S1B_EUlS1A_E_NS1_11comp_targetILNS1_3genE10ELNS1_11target_archE1200ELNS1_3gpuE4ELNS1_3repE0EEENS1_30default_config_static_selectorELNS0_4arch9wavefront6targetE1EEEvT1_
	.globl	_ZN7rocprim17ROCPRIM_400000_NS6detail17trampoline_kernelINS0_14default_configENS1_25partition_config_selectorILNS1_17partition_subalgoE2EiNS0_10empty_typeEbEEZZNS1_14partition_implILS5_2ELb0ES3_jN6thrust23THRUST_200600_302600_NS6detail15normal_iteratorINSA_7pointerIiNSA_11hip_rocprim3tagENSA_11use_defaultESG_EEEEPS6_NSA_18transform_iteratorI7is_evenIiENSC_INSA_10device_ptrIiEEEESG_SG_EENS0_5tupleIJPiSJ_EEENSR_IJSJ_SJ_EEES6_PlJS6_EEE10hipError_tPvRmT3_T4_T5_T6_T7_T9_mT8_P12ihipStream_tbDpT10_ENKUlT_T0_E_clISt17integral_constantIbLb1EES1E_IbLb0EEEEDaS1A_S1B_EUlS1A_E_NS1_11comp_targetILNS1_3genE10ELNS1_11target_archE1200ELNS1_3gpuE4ELNS1_3repE0EEENS1_30default_config_static_selectorELNS0_4arch9wavefront6targetE1EEEvT1_
	.p2align	8
	.type	_ZN7rocprim17ROCPRIM_400000_NS6detail17trampoline_kernelINS0_14default_configENS1_25partition_config_selectorILNS1_17partition_subalgoE2EiNS0_10empty_typeEbEEZZNS1_14partition_implILS5_2ELb0ES3_jN6thrust23THRUST_200600_302600_NS6detail15normal_iteratorINSA_7pointerIiNSA_11hip_rocprim3tagENSA_11use_defaultESG_EEEEPS6_NSA_18transform_iteratorI7is_evenIiENSC_INSA_10device_ptrIiEEEESG_SG_EENS0_5tupleIJPiSJ_EEENSR_IJSJ_SJ_EEES6_PlJS6_EEE10hipError_tPvRmT3_T4_T5_T6_T7_T9_mT8_P12ihipStream_tbDpT10_ENKUlT_T0_E_clISt17integral_constantIbLb1EES1E_IbLb0EEEEDaS1A_S1B_EUlS1A_E_NS1_11comp_targetILNS1_3genE10ELNS1_11target_archE1200ELNS1_3gpuE4ELNS1_3repE0EEENS1_30default_config_static_selectorELNS0_4arch9wavefront6targetE1EEEvT1_,@function
_ZN7rocprim17ROCPRIM_400000_NS6detail17trampoline_kernelINS0_14default_configENS1_25partition_config_selectorILNS1_17partition_subalgoE2EiNS0_10empty_typeEbEEZZNS1_14partition_implILS5_2ELb0ES3_jN6thrust23THRUST_200600_302600_NS6detail15normal_iteratorINSA_7pointerIiNSA_11hip_rocprim3tagENSA_11use_defaultESG_EEEEPS6_NSA_18transform_iteratorI7is_evenIiENSC_INSA_10device_ptrIiEEEESG_SG_EENS0_5tupleIJPiSJ_EEENSR_IJSJ_SJ_EEES6_PlJS6_EEE10hipError_tPvRmT3_T4_T5_T6_T7_T9_mT8_P12ihipStream_tbDpT10_ENKUlT_T0_E_clISt17integral_constantIbLb1EES1E_IbLb0EEEEDaS1A_S1B_EUlS1A_E_NS1_11comp_targetILNS1_3genE10ELNS1_11target_archE1200ELNS1_3gpuE4ELNS1_3repE0EEENS1_30default_config_static_selectorELNS0_4arch9wavefront6targetE1EEEvT1_: ; @_ZN7rocprim17ROCPRIM_400000_NS6detail17trampoline_kernelINS0_14default_configENS1_25partition_config_selectorILNS1_17partition_subalgoE2EiNS0_10empty_typeEbEEZZNS1_14partition_implILS5_2ELb0ES3_jN6thrust23THRUST_200600_302600_NS6detail15normal_iteratorINSA_7pointerIiNSA_11hip_rocprim3tagENSA_11use_defaultESG_EEEEPS6_NSA_18transform_iteratorI7is_evenIiENSC_INSA_10device_ptrIiEEEESG_SG_EENS0_5tupleIJPiSJ_EEENSR_IJSJ_SJ_EEES6_PlJS6_EEE10hipError_tPvRmT3_T4_T5_T6_T7_T9_mT8_P12ihipStream_tbDpT10_ENKUlT_T0_E_clISt17integral_constantIbLb1EES1E_IbLb0EEEEDaS1A_S1B_EUlS1A_E_NS1_11comp_targetILNS1_3genE10ELNS1_11target_archE1200ELNS1_3gpuE4ELNS1_3repE0EEENS1_30default_config_static_selectorELNS0_4arch9wavefront6targetE1EEEvT1_
; %bb.0:
	.section	.rodata,"a",@progbits
	.p2align	6, 0x0
	.amdhsa_kernel _ZN7rocprim17ROCPRIM_400000_NS6detail17trampoline_kernelINS0_14default_configENS1_25partition_config_selectorILNS1_17partition_subalgoE2EiNS0_10empty_typeEbEEZZNS1_14partition_implILS5_2ELb0ES3_jN6thrust23THRUST_200600_302600_NS6detail15normal_iteratorINSA_7pointerIiNSA_11hip_rocprim3tagENSA_11use_defaultESG_EEEEPS6_NSA_18transform_iteratorI7is_evenIiENSC_INSA_10device_ptrIiEEEESG_SG_EENS0_5tupleIJPiSJ_EEENSR_IJSJ_SJ_EEES6_PlJS6_EEE10hipError_tPvRmT3_T4_T5_T6_T7_T9_mT8_P12ihipStream_tbDpT10_ENKUlT_T0_E_clISt17integral_constantIbLb1EES1E_IbLb0EEEEDaS1A_S1B_EUlS1A_E_NS1_11comp_targetILNS1_3genE10ELNS1_11target_archE1200ELNS1_3gpuE4ELNS1_3repE0EEENS1_30default_config_static_selectorELNS0_4arch9wavefront6targetE1EEEvT1_
		.amdhsa_group_segment_fixed_size 0
		.amdhsa_private_segment_fixed_size 0
		.amdhsa_kernarg_size 128
		.amdhsa_user_sgpr_count 6
		.amdhsa_user_sgpr_private_segment_buffer 1
		.amdhsa_user_sgpr_dispatch_ptr 0
		.amdhsa_user_sgpr_queue_ptr 0
		.amdhsa_user_sgpr_kernarg_segment_ptr 1
		.amdhsa_user_sgpr_dispatch_id 0
		.amdhsa_user_sgpr_flat_scratch_init 0
		.amdhsa_user_sgpr_kernarg_preload_length 0
		.amdhsa_user_sgpr_kernarg_preload_offset 0
		.amdhsa_user_sgpr_private_segment_size 0
		.amdhsa_uses_dynamic_stack 0
		.amdhsa_system_sgpr_private_segment_wavefront_offset 0
		.amdhsa_system_sgpr_workgroup_id_x 1
		.amdhsa_system_sgpr_workgroup_id_y 0
		.amdhsa_system_sgpr_workgroup_id_z 0
		.amdhsa_system_sgpr_workgroup_info 0
		.amdhsa_system_vgpr_workitem_id 0
		.amdhsa_next_free_vgpr 1
		.amdhsa_next_free_sgpr 0
		.amdhsa_accum_offset 4
		.amdhsa_reserve_vcc 0
		.amdhsa_reserve_flat_scratch 0
		.amdhsa_float_round_mode_32 0
		.amdhsa_float_round_mode_16_64 0
		.amdhsa_float_denorm_mode_32 3
		.amdhsa_float_denorm_mode_16_64 3
		.amdhsa_dx10_clamp 1
		.amdhsa_ieee_mode 1
		.amdhsa_fp16_overflow 0
		.amdhsa_tg_split 0
		.amdhsa_exception_fp_ieee_invalid_op 0
		.amdhsa_exception_fp_denorm_src 0
		.amdhsa_exception_fp_ieee_div_zero 0
		.amdhsa_exception_fp_ieee_overflow 0
		.amdhsa_exception_fp_ieee_underflow 0
		.amdhsa_exception_fp_ieee_inexact 0
		.amdhsa_exception_int_div_zero 0
	.end_amdhsa_kernel
	.section	.text._ZN7rocprim17ROCPRIM_400000_NS6detail17trampoline_kernelINS0_14default_configENS1_25partition_config_selectorILNS1_17partition_subalgoE2EiNS0_10empty_typeEbEEZZNS1_14partition_implILS5_2ELb0ES3_jN6thrust23THRUST_200600_302600_NS6detail15normal_iteratorINSA_7pointerIiNSA_11hip_rocprim3tagENSA_11use_defaultESG_EEEEPS6_NSA_18transform_iteratorI7is_evenIiENSC_INSA_10device_ptrIiEEEESG_SG_EENS0_5tupleIJPiSJ_EEENSR_IJSJ_SJ_EEES6_PlJS6_EEE10hipError_tPvRmT3_T4_T5_T6_T7_T9_mT8_P12ihipStream_tbDpT10_ENKUlT_T0_E_clISt17integral_constantIbLb1EES1E_IbLb0EEEEDaS1A_S1B_EUlS1A_E_NS1_11comp_targetILNS1_3genE10ELNS1_11target_archE1200ELNS1_3gpuE4ELNS1_3repE0EEENS1_30default_config_static_selectorELNS0_4arch9wavefront6targetE1EEEvT1_,"axG",@progbits,_ZN7rocprim17ROCPRIM_400000_NS6detail17trampoline_kernelINS0_14default_configENS1_25partition_config_selectorILNS1_17partition_subalgoE2EiNS0_10empty_typeEbEEZZNS1_14partition_implILS5_2ELb0ES3_jN6thrust23THRUST_200600_302600_NS6detail15normal_iteratorINSA_7pointerIiNSA_11hip_rocprim3tagENSA_11use_defaultESG_EEEEPS6_NSA_18transform_iteratorI7is_evenIiENSC_INSA_10device_ptrIiEEEESG_SG_EENS0_5tupleIJPiSJ_EEENSR_IJSJ_SJ_EEES6_PlJS6_EEE10hipError_tPvRmT3_T4_T5_T6_T7_T9_mT8_P12ihipStream_tbDpT10_ENKUlT_T0_E_clISt17integral_constantIbLb1EES1E_IbLb0EEEEDaS1A_S1B_EUlS1A_E_NS1_11comp_targetILNS1_3genE10ELNS1_11target_archE1200ELNS1_3gpuE4ELNS1_3repE0EEENS1_30default_config_static_selectorELNS0_4arch9wavefront6targetE1EEEvT1_,comdat
.Lfunc_end244:
	.size	_ZN7rocprim17ROCPRIM_400000_NS6detail17trampoline_kernelINS0_14default_configENS1_25partition_config_selectorILNS1_17partition_subalgoE2EiNS0_10empty_typeEbEEZZNS1_14partition_implILS5_2ELb0ES3_jN6thrust23THRUST_200600_302600_NS6detail15normal_iteratorINSA_7pointerIiNSA_11hip_rocprim3tagENSA_11use_defaultESG_EEEEPS6_NSA_18transform_iteratorI7is_evenIiENSC_INSA_10device_ptrIiEEEESG_SG_EENS0_5tupleIJPiSJ_EEENSR_IJSJ_SJ_EEES6_PlJS6_EEE10hipError_tPvRmT3_T4_T5_T6_T7_T9_mT8_P12ihipStream_tbDpT10_ENKUlT_T0_E_clISt17integral_constantIbLb1EES1E_IbLb0EEEEDaS1A_S1B_EUlS1A_E_NS1_11comp_targetILNS1_3genE10ELNS1_11target_archE1200ELNS1_3gpuE4ELNS1_3repE0EEENS1_30default_config_static_selectorELNS0_4arch9wavefront6targetE1EEEvT1_, .Lfunc_end244-_ZN7rocprim17ROCPRIM_400000_NS6detail17trampoline_kernelINS0_14default_configENS1_25partition_config_selectorILNS1_17partition_subalgoE2EiNS0_10empty_typeEbEEZZNS1_14partition_implILS5_2ELb0ES3_jN6thrust23THRUST_200600_302600_NS6detail15normal_iteratorINSA_7pointerIiNSA_11hip_rocprim3tagENSA_11use_defaultESG_EEEEPS6_NSA_18transform_iteratorI7is_evenIiENSC_INSA_10device_ptrIiEEEESG_SG_EENS0_5tupleIJPiSJ_EEENSR_IJSJ_SJ_EEES6_PlJS6_EEE10hipError_tPvRmT3_T4_T5_T6_T7_T9_mT8_P12ihipStream_tbDpT10_ENKUlT_T0_E_clISt17integral_constantIbLb1EES1E_IbLb0EEEEDaS1A_S1B_EUlS1A_E_NS1_11comp_targetILNS1_3genE10ELNS1_11target_archE1200ELNS1_3gpuE4ELNS1_3repE0EEENS1_30default_config_static_selectorELNS0_4arch9wavefront6targetE1EEEvT1_
                                        ; -- End function
	.section	.AMDGPU.csdata,"",@progbits
; Kernel info:
; codeLenInByte = 0
; NumSgprs: 4
; NumVgprs: 0
; NumAgprs: 0
; TotalNumVgprs: 0
; ScratchSize: 0
; MemoryBound: 0
; FloatMode: 240
; IeeeMode: 1
; LDSByteSize: 0 bytes/workgroup (compile time only)
; SGPRBlocks: 0
; VGPRBlocks: 0
; NumSGPRsForWavesPerEU: 4
; NumVGPRsForWavesPerEU: 1
; AccumOffset: 4
; Occupancy: 8
; WaveLimiterHint : 0
; COMPUTE_PGM_RSRC2:SCRATCH_EN: 0
; COMPUTE_PGM_RSRC2:USER_SGPR: 6
; COMPUTE_PGM_RSRC2:TRAP_HANDLER: 0
; COMPUTE_PGM_RSRC2:TGID_X_EN: 1
; COMPUTE_PGM_RSRC2:TGID_Y_EN: 0
; COMPUTE_PGM_RSRC2:TGID_Z_EN: 0
; COMPUTE_PGM_RSRC2:TIDIG_COMP_CNT: 0
; COMPUTE_PGM_RSRC3_GFX90A:ACCUM_OFFSET: 0
; COMPUTE_PGM_RSRC3_GFX90A:TG_SPLIT: 0
	.section	.text._ZN7rocprim17ROCPRIM_400000_NS6detail17trampoline_kernelINS0_14default_configENS1_25partition_config_selectorILNS1_17partition_subalgoE2EiNS0_10empty_typeEbEEZZNS1_14partition_implILS5_2ELb0ES3_jN6thrust23THRUST_200600_302600_NS6detail15normal_iteratorINSA_7pointerIiNSA_11hip_rocprim3tagENSA_11use_defaultESG_EEEEPS6_NSA_18transform_iteratorI7is_evenIiENSC_INSA_10device_ptrIiEEEESG_SG_EENS0_5tupleIJPiSJ_EEENSR_IJSJ_SJ_EEES6_PlJS6_EEE10hipError_tPvRmT3_T4_T5_T6_T7_T9_mT8_P12ihipStream_tbDpT10_ENKUlT_T0_E_clISt17integral_constantIbLb1EES1E_IbLb0EEEEDaS1A_S1B_EUlS1A_E_NS1_11comp_targetILNS1_3genE9ELNS1_11target_archE1100ELNS1_3gpuE3ELNS1_3repE0EEENS1_30default_config_static_selectorELNS0_4arch9wavefront6targetE1EEEvT1_,"axG",@progbits,_ZN7rocprim17ROCPRIM_400000_NS6detail17trampoline_kernelINS0_14default_configENS1_25partition_config_selectorILNS1_17partition_subalgoE2EiNS0_10empty_typeEbEEZZNS1_14partition_implILS5_2ELb0ES3_jN6thrust23THRUST_200600_302600_NS6detail15normal_iteratorINSA_7pointerIiNSA_11hip_rocprim3tagENSA_11use_defaultESG_EEEEPS6_NSA_18transform_iteratorI7is_evenIiENSC_INSA_10device_ptrIiEEEESG_SG_EENS0_5tupleIJPiSJ_EEENSR_IJSJ_SJ_EEES6_PlJS6_EEE10hipError_tPvRmT3_T4_T5_T6_T7_T9_mT8_P12ihipStream_tbDpT10_ENKUlT_T0_E_clISt17integral_constantIbLb1EES1E_IbLb0EEEEDaS1A_S1B_EUlS1A_E_NS1_11comp_targetILNS1_3genE9ELNS1_11target_archE1100ELNS1_3gpuE3ELNS1_3repE0EEENS1_30default_config_static_selectorELNS0_4arch9wavefront6targetE1EEEvT1_,comdat
	.protected	_ZN7rocprim17ROCPRIM_400000_NS6detail17trampoline_kernelINS0_14default_configENS1_25partition_config_selectorILNS1_17partition_subalgoE2EiNS0_10empty_typeEbEEZZNS1_14partition_implILS5_2ELb0ES3_jN6thrust23THRUST_200600_302600_NS6detail15normal_iteratorINSA_7pointerIiNSA_11hip_rocprim3tagENSA_11use_defaultESG_EEEEPS6_NSA_18transform_iteratorI7is_evenIiENSC_INSA_10device_ptrIiEEEESG_SG_EENS0_5tupleIJPiSJ_EEENSR_IJSJ_SJ_EEES6_PlJS6_EEE10hipError_tPvRmT3_T4_T5_T6_T7_T9_mT8_P12ihipStream_tbDpT10_ENKUlT_T0_E_clISt17integral_constantIbLb1EES1E_IbLb0EEEEDaS1A_S1B_EUlS1A_E_NS1_11comp_targetILNS1_3genE9ELNS1_11target_archE1100ELNS1_3gpuE3ELNS1_3repE0EEENS1_30default_config_static_selectorELNS0_4arch9wavefront6targetE1EEEvT1_ ; -- Begin function _ZN7rocprim17ROCPRIM_400000_NS6detail17trampoline_kernelINS0_14default_configENS1_25partition_config_selectorILNS1_17partition_subalgoE2EiNS0_10empty_typeEbEEZZNS1_14partition_implILS5_2ELb0ES3_jN6thrust23THRUST_200600_302600_NS6detail15normal_iteratorINSA_7pointerIiNSA_11hip_rocprim3tagENSA_11use_defaultESG_EEEEPS6_NSA_18transform_iteratorI7is_evenIiENSC_INSA_10device_ptrIiEEEESG_SG_EENS0_5tupleIJPiSJ_EEENSR_IJSJ_SJ_EEES6_PlJS6_EEE10hipError_tPvRmT3_T4_T5_T6_T7_T9_mT8_P12ihipStream_tbDpT10_ENKUlT_T0_E_clISt17integral_constantIbLb1EES1E_IbLb0EEEEDaS1A_S1B_EUlS1A_E_NS1_11comp_targetILNS1_3genE9ELNS1_11target_archE1100ELNS1_3gpuE3ELNS1_3repE0EEENS1_30default_config_static_selectorELNS0_4arch9wavefront6targetE1EEEvT1_
	.globl	_ZN7rocprim17ROCPRIM_400000_NS6detail17trampoline_kernelINS0_14default_configENS1_25partition_config_selectorILNS1_17partition_subalgoE2EiNS0_10empty_typeEbEEZZNS1_14partition_implILS5_2ELb0ES3_jN6thrust23THRUST_200600_302600_NS6detail15normal_iteratorINSA_7pointerIiNSA_11hip_rocprim3tagENSA_11use_defaultESG_EEEEPS6_NSA_18transform_iteratorI7is_evenIiENSC_INSA_10device_ptrIiEEEESG_SG_EENS0_5tupleIJPiSJ_EEENSR_IJSJ_SJ_EEES6_PlJS6_EEE10hipError_tPvRmT3_T4_T5_T6_T7_T9_mT8_P12ihipStream_tbDpT10_ENKUlT_T0_E_clISt17integral_constantIbLb1EES1E_IbLb0EEEEDaS1A_S1B_EUlS1A_E_NS1_11comp_targetILNS1_3genE9ELNS1_11target_archE1100ELNS1_3gpuE3ELNS1_3repE0EEENS1_30default_config_static_selectorELNS0_4arch9wavefront6targetE1EEEvT1_
	.p2align	8
	.type	_ZN7rocprim17ROCPRIM_400000_NS6detail17trampoline_kernelINS0_14default_configENS1_25partition_config_selectorILNS1_17partition_subalgoE2EiNS0_10empty_typeEbEEZZNS1_14partition_implILS5_2ELb0ES3_jN6thrust23THRUST_200600_302600_NS6detail15normal_iteratorINSA_7pointerIiNSA_11hip_rocprim3tagENSA_11use_defaultESG_EEEEPS6_NSA_18transform_iteratorI7is_evenIiENSC_INSA_10device_ptrIiEEEESG_SG_EENS0_5tupleIJPiSJ_EEENSR_IJSJ_SJ_EEES6_PlJS6_EEE10hipError_tPvRmT3_T4_T5_T6_T7_T9_mT8_P12ihipStream_tbDpT10_ENKUlT_T0_E_clISt17integral_constantIbLb1EES1E_IbLb0EEEEDaS1A_S1B_EUlS1A_E_NS1_11comp_targetILNS1_3genE9ELNS1_11target_archE1100ELNS1_3gpuE3ELNS1_3repE0EEENS1_30default_config_static_selectorELNS0_4arch9wavefront6targetE1EEEvT1_,@function
_ZN7rocprim17ROCPRIM_400000_NS6detail17trampoline_kernelINS0_14default_configENS1_25partition_config_selectorILNS1_17partition_subalgoE2EiNS0_10empty_typeEbEEZZNS1_14partition_implILS5_2ELb0ES3_jN6thrust23THRUST_200600_302600_NS6detail15normal_iteratorINSA_7pointerIiNSA_11hip_rocprim3tagENSA_11use_defaultESG_EEEEPS6_NSA_18transform_iteratorI7is_evenIiENSC_INSA_10device_ptrIiEEEESG_SG_EENS0_5tupleIJPiSJ_EEENSR_IJSJ_SJ_EEES6_PlJS6_EEE10hipError_tPvRmT3_T4_T5_T6_T7_T9_mT8_P12ihipStream_tbDpT10_ENKUlT_T0_E_clISt17integral_constantIbLb1EES1E_IbLb0EEEEDaS1A_S1B_EUlS1A_E_NS1_11comp_targetILNS1_3genE9ELNS1_11target_archE1100ELNS1_3gpuE3ELNS1_3repE0EEENS1_30default_config_static_selectorELNS0_4arch9wavefront6targetE1EEEvT1_: ; @_ZN7rocprim17ROCPRIM_400000_NS6detail17trampoline_kernelINS0_14default_configENS1_25partition_config_selectorILNS1_17partition_subalgoE2EiNS0_10empty_typeEbEEZZNS1_14partition_implILS5_2ELb0ES3_jN6thrust23THRUST_200600_302600_NS6detail15normal_iteratorINSA_7pointerIiNSA_11hip_rocprim3tagENSA_11use_defaultESG_EEEEPS6_NSA_18transform_iteratorI7is_evenIiENSC_INSA_10device_ptrIiEEEESG_SG_EENS0_5tupleIJPiSJ_EEENSR_IJSJ_SJ_EEES6_PlJS6_EEE10hipError_tPvRmT3_T4_T5_T6_T7_T9_mT8_P12ihipStream_tbDpT10_ENKUlT_T0_E_clISt17integral_constantIbLb1EES1E_IbLb0EEEEDaS1A_S1B_EUlS1A_E_NS1_11comp_targetILNS1_3genE9ELNS1_11target_archE1100ELNS1_3gpuE3ELNS1_3repE0EEENS1_30default_config_static_selectorELNS0_4arch9wavefront6targetE1EEEvT1_
; %bb.0:
	.section	.rodata,"a",@progbits
	.p2align	6, 0x0
	.amdhsa_kernel _ZN7rocprim17ROCPRIM_400000_NS6detail17trampoline_kernelINS0_14default_configENS1_25partition_config_selectorILNS1_17partition_subalgoE2EiNS0_10empty_typeEbEEZZNS1_14partition_implILS5_2ELb0ES3_jN6thrust23THRUST_200600_302600_NS6detail15normal_iteratorINSA_7pointerIiNSA_11hip_rocprim3tagENSA_11use_defaultESG_EEEEPS6_NSA_18transform_iteratorI7is_evenIiENSC_INSA_10device_ptrIiEEEESG_SG_EENS0_5tupleIJPiSJ_EEENSR_IJSJ_SJ_EEES6_PlJS6_EEE10hipError_tPvRmT3_T4_T5_T6_T7_T9_mT8_P12ihipStream_tbDpT10_ENKUlT_T0_E_clISt17integral_constantIbLb1EES1E_IbLb0EEEEDaS1A_S1B_EUlS1A_E_NS1_11comp_targetILNS1_3genE9ELNS1_11target_archE1100ELNS1_3gpuE3ELNS1_3repE0EEENS1_30default_config_static_selectorELNS0_4arch9wavefront6targetE1EEEvT1_
		.amdhsa_group_segment_fixed_size 0
		.amdhsa_private_segment_fixed_size 0
		.amdhsa_kernarg_size 128
		.amdhsa_user_sgpr_count 6
		.amdhsa_user_sgpr_private_segment_buffer 1
		.amdhsa_user_sgpr_dispatch_ptr 0
		.amdhsa_user_sgpr_queue_ptr 0
		.amdhsa_user_sgpr_kernarg_segment_ptr 1
		.amdhsa_user_sgpr_dispatch_id 0
		.amdhsa_user_sgpr_flat_scratch_init 0
		.amdhsa_user_sgpr_kernarg_preload_length 0
		.amdhsa_user_sgpr_kernarg_preload_offset 0
		.amdhsa_user_sgpr_private_segment_size 0
		.amdhsa_uses_dynamic_stack 0
		.amdhsa_system_sgpr_private_segment_wavefront_offset 0
		.amdhsa_system_sgpr_workgroup_id_x 1
		.amdhsa_system_sgpr_workgroup_id_y 0
		.amdhsa_system_sgpr_workgroup_id_z 0
		.amdhsa_system_sgpr_workgroup_info 0
		.amdhsa_system_vgpr_workitem_id 0
		.amdhsa_next_free_vgpr 1
		.amdhsa_next_free_sgpr 0
		.amdhsa_accum_offset 4
		.amdhsa_reserve_vcc 0
		.amdhsa_reserve_flat_scratch 0
		.amdhsa_float_round_mode_32 0
		.amdhsa_float_round_mode_16_64 0
		.amdhsa_float_denorm_mode_32 3
		.amdhsa_float_denorm_mode_16_64 3
		.amdhsa_dx10_clamp 1
		.amdhsa_ieee_mode 1
		.amdhsa_fp16_overflow 0
		.amdhsa_tg_split 0
		.amdhsa_exception_fp_ieee_invalid_op 0
		.amdhsa_exception_fp_denorm_src 0
		.amdhsa_exception_fp_ieee_div_zero 0
		.amdhsa_exception_fp_ieee_overflow 0
		.amdhsa_exception_fp_ieee_underflow 0
		.amdhsa_exception_fp_ieee_inexact 0
		.amdhsa_exception_int_div_zero 0
	.end_amdhsa_kernel
	.section	.text._ZN7rocprim17ROCPRIM_400000_NS6detail17trampoline_kernelINS0_14default_configENS1_25partition_config_selectorILNS1_17partition_subalgoE2EiNS0_10empty_typeEbEEZZNS1_14partition_implILS5_2ELb0ES3_jN6thrust23THRUST_200600_302600_NS6detail15normal_iteratorINSA_7pointerIiNSA_11hip_rocprim3tagENSA_11use_defaultESG_EEEEPS6_NSA_18transform_iteratorI7is_evenIiENSC_INSA_10device_ptrIiEEEESG_SG_EENS0_5tupleIJPiSJ_EEENSR_IJSJ_SJ_EEES6_PlJS6_EEE10hipError_tPvRmT3_T4_T5_T6_T7_T9_mT8_P12ihipStream_tbDpT10_ENKUlT_T0_E_clISt17integral_constantIbLb1EES1E_IbLb0EEEEDaS1A_S1B_EUlS1A_E_NS1_11comp_targetILNS1_3genE9ELNS1_11target_archE1100ELNS1_3gpuE3ELNS1_3repE0EEENS1_30default_config_static_selectorELNS0_4arch9wavefront6targetE1EEEvT1_,"axG",@progbits,_ZN7rocprim17ROCPRIM_400000_NS6detail17trampoline_kernelINS0_14default_configENS1_25partition_config_selectorILNS1_17partition_subalgoE2EiNS0_10empty_typeEbEEZZNS1_14partition_implILS5_2ELb0ES3_jN6thrust23THRUST_200600_302600_NS6detail15normal_iteratorINSA_7pointerIiNSA_11hip_rocprim3tagENSA_11use_defaultESG_EEEEPS6_NSA_18transform_iteratorI7is_evenIiENSC_INSA_10device_ptrIiEEEESG_SG_EENS0_5tupleIJPiSJ_EEENSR_IJSJ_SJ_EEES6_PlJS6_EEE10hipError_tPvRmT3_T4_T5_T6_T7_T9_mT8_P12ihipStream_tbDpT10_ENKUlT_T0_E_clISt17integral_constantIbLb1EES1E_IbLb0EEEEDaS1A_S1B_EUlS1A_E_NS1_11comp_targetILNS1_3genE9ELNS1_11target_archE1100ELNS1_3gpuE3ELNS1_3repE0EEENS1_30default_config_static_selectorELNS0_4arch9wavefront6targetE1EEEvT1_,comdat
.Lfunc_end245:
	.size	_ZN7rocprim17ROCPRIM_400000_NS6detail17trampoline_kernelINS0_14default_configENS1_25partition_config_selectorILNS1_17partition_subalgoE2EiNS0_10empty_typeEbEEZZNS1_14partition_implILS5_2ELb0ES3_jN6thrust23THRUST_200600_302600_NS6detail15normal_iteratorINSA_7pointerIiNSA_11hip_rocprim3tagENSA_11use_defaultESG_EEEEPS6_NSA_18transform_iteratorI7is_evenIiENSC_INSA_10device_ptrIiEEEESG_SG_EENS0_5tupleIJPiSJ_EEENSR_IJSJ_SJ_EEES6_PlJS6_EEE10hipError_tPvRmT3_T4_T5_T6_T7_T9_mT8_P12ihipStream_tbDpT10_ENKUlT_T0_E_clISt17integral_constantIbLb1EES1E_IbLb0EEEEDaS1A_S1B_EUlS1A_E_NS1_11comp_targetILNS1_3genE9ELNS1_11target_archE1100ELNS1_3gpuE3ELNS1_3repE0EEENS1_30default_config_static_selectorELNS0_4arch9wavefront6targetE1EEEvT1_, .Lfunc_end245-_ZN7rocprim17ROCPRIM_400000_NS6detail17trampoline_kernelINS0_14default_configENS1_25partition_config_selectorILNS1_17partition_subalgoE2EiNS0_10empty_typeEbEEZZNS1_14partition_implILS5_2ELb0ES3_jN6thrust23THRUST_200600_302600_NS6detail15normal_iteratorINSA_7pointerIiNSA_11hip_rocprim3tagENSA_11use_defaultESG_EEEEPS6_NSA_18transform_iteratorI7is_evenIiENSC_INSA_10device_ptrIiEEEESG_SG_EENS0_5tupleIJPiSJ_EEENSR_IJSJ_SJ_EEES6_PlJS6_EEE10hipError_tPvRmT3_T4_T5_T6_T7_T9_mT8_P12ihipStream_tbDpT10_ENKUlT_T0_E_clISt17integral_constantIbLb1EES1E_IbLb0EEEEDaS1A_S1B_EUlS1A_E_NS1_11comp_targetILNS1_3genE9ELNS1_11target_archE1100ELNS1_3gpuE3ELNS1_3repE0EEENS1_30default_config_static_selectorELNS0_4arch9wavefront6targetE1EEEvT1_
                                        ; -- End function
	.section	.AMDGPU.csdata,"",@progbits
; Kernel info:
; codeLenInByte = 0
; NumSgprs: 4
; NumVgprs: 0
; NumAgprs: 0
; TotalNumVgprs: 0
; ScratchSize: 0
; MemoryBound: 0
; FloatMode: 240
; IeeeMode: 1
; LDSByteSize: 0 bytes/workgroup (compile time only)
; SGPRBlocks: 0
; VGPRBlocks: 0
; NumSGPRsForWavesPerEU: 4
; NumVGPRsForWavesPerEU: 1
; AccumOffset: 4
; Occupancy: 8
; WaveLimiterHint : 0
; COMPUTE_PGM_RSRC2:SCRATCH_EN: 0
; COMPUTE_PGM_RSRC2:USER_SGPR: 6
; COMPUTE_PGM_RSRC2:TRAP_HANDLER: 0
; COMPUTE_PGM_RSRC2:TGID_X_EN: 1
; COMPUTE_PGM_RSRC2:TGID_Y_EN: 0
; COMPUTE_PGM_RSRC2:TGID_Z_EN: 0
; COMPUTE_PGM_RSRC2:TIDIG_COMP_CNT: 0
; COMPUTE_PGM_RSRC3_GFX90A:ACCUM_OFFSET: 0
; COMPUTE_PGM_RSRC3_GFX90A:TG_SPLIT: 0
	.section	.text._ZN7rocprim17ROCPRIM_400000_NS6detail17trampoline_kernelINS0_14default_configENS1_25partition_config_selectorILNS1_17partition_subalgoE2EiNS0_10empty_typeEbEEZZNS1_14partition_implILS5_2ELb0ES3_jN6thrust23THRUST_200600_302600_NS6detail15normal_iteratorINSA_7pointerIiNSA_11hip_rocprim3tagENSA_11use_defaultESG_EEEEPS6_NSA_18transform_iteratorI7is_evenIiENSC_INSA_10device_ptrIiEEEESG_SG_EENS0_5tupleIJPiSJ_EEENSR_IJSJ_SJ_EEES6_PlJS6_EEE10hipError_tPvRmT3_T4_T5_T6_T7_T9_mT8_P12ihipStream_tbDpT10_ENKUlT_T0_E_clISt17integral_constantIbLb1EES1E_IbLb0EEEEDaS1A_S1B_EUlS1A_E_NS1_11comp_targetILNS1_3genE8ELNS1_11target_archE1030ELNS1_3gpuE2ELNS1_3repE0EEENS1_30default_config_static_selectorELNS0_4arch9wavefront6targetE1EEEvT1_,"axG",@progbits,_ZN7rocprim17ROCPRIM_400000_NS6detail17trampoline_kernelINS0_14default_configENS1_25partition_config_selectorILNS1_17partition_subalgoE2EiNS0_10empty_typeEbEEZZNS1_14partition_implILS5_2ELb0ES3_jN6thrust23THRUST_200600_302600_NS6detail15normal_iteratorINSA_7pointerIiNSA_11hip_rocprim3tagENSA_11use_defaultESG_EEEEPS6_NSA_18transform_iteratorI7is_evenIiENSC_INSA_10device_ptrIiEEEESG_SG_EENS0_5tupleIJPiSJ_EEENSR_IJSJ_SJ_EEES6_PlJS6_EEE10hipError_tPvRmT3_T4_T5_T6_T7_T9_mT8_P12ihipStream_tbDpT10_ENKUlT_T0_E_clISt17integral_constantIbLb1EES1E_IbLb0EEEEDaS1A_S1B_EUlS1A_E_NS1_11comp_targetILNS1_3genE8ELNS1_11target_archE1030ELNS1_3gpuE2ELNS1_3repE0EEENS1_30default_config_static_selectorELNS0_4arch9wavefront6targetE1EEEvT1_,comdat
	.protected	_ZN7rocprim17ROCPRIM_400000_NS6detail17trampoline_kernelINS0_14default_configENS1_25partition_config_selectorILNS1_17partition_subalgoE2EiNS0_10empty_typeEbEEZZNS1_14partition_implILS5_2ELb0ES3_jN6thrust23THRUST_200600_302600_NS6detail15normal_iteratorINSA_7pointerIiNSA_11hip_rocprim3tagENSA_11use_defaultESG_EEEEPS6_NSA_18transform_iteratorI7is_evenIiENSC_INSA_10device_ptrIiEEEESG_SG_EENS0_5tupleIJPiSJ_EEENSR_IJSJ_SJ_EEES6_PlJS6_EEE10hipError_tPvRmT3_T4_T5_T6_T7_T9_mT8_P12ihipStream_tbDpT10_ENKUlT_T0_E_clISt17integral_constantIbLb1EES1E_IbLb0EEEEDaS1A_S1B_EUlS1A_E_NS1_11comp_targetILNS1_3genE8ELNS1_11target_archE1030ELNS1_3gpuE2ELNS1_3repE0EEENS1_30default_config_static_selectorELNS0_4arch9wavefront6targetE1EEEvT1_ ; -- Begin function _ZN7rocprim17ROCPRIM_400000_NS6detail17trampoline_kernelINS0_14default_configENS1_25partition_config_selectorILNS1_17partition_subalgoE2EiNS0_10empty_typeEbEEZZNS1_14partition_implILS5_2ELb0ES3_jN6thrust23THRUST_200600_302600_NS6detail15normal_iteratorINSA_7pointerIiNSA_11hip_rocprim3tagENSA_11use_defaultESG_EEEEPS6_NSA_18transform_iteratorI7is_evenIiENSC_INSA_10device_ptrIiEEEESG_SG_EENS0_5tupleIJPiSJ_EEENSR_IJSJ_SJ_EEES6_PlJS6_EEE10hipError_tPvRmT3_T4_T5_T6_T7_T9_mT8_P12ihipStream_tbDpT10_ENKUlT_T0_E_clISt17integral_constantIbLb1EES1E_IbLb0EEEEDaS1A_S1B_EUlS1A_E_NS1_11comp_targetILNS1_3genE8ELNS1_11target_archE1030ELNS1_3gpuE2ELNS1_3repE0EEENS1_30default_config_static_selectorELNS0_4arch9wavefront6targetE1EEEvT1_
	.globl	_ZN7rocprim17ROCPRIM_400000_NS6detail17trampoline_kernelINS0_14default_configENS1_25partition_config_selectorILNS1_17partition_subalgoE2EiNS0_10empty_typeEbEEZZNS1_14partition_implILS5_2ELb0ES3_jN6thrust23THRUST_200600_302600_NS6detail15normal_iteratorINSA_7pointerIiNSA_11hip_rocprim3tagENSA_11use_defaultESG_EEEEPS6_NSA_18transform_iteratorI7is_evenIiENSC_INSA_10device_ptrIiEEEESG_SG_EENS0_5tupleIJPiSJ_EEENSR_IJSJ_SJ_EEES6_PlJS6_EEE10hipError_tPvRmT3_T4_T5_T6_T7_T9_mT8_P12ihipStream_tbDpT10_ENKUlT_T0_E_clISt17integral_constantIbLb1EES1E_IbLb0EEEEDaS1A_S1B_EUlS1A_E_NS1_11comp_targetILNS1_3genE8ELNS1_11target_archE1030ELNS1_3gpuE2ELNS1_3repE0EEENS1_30default_config_static_selectorELNS0_4arch9wavefront6targetE1EEEvT1_
	.p2align	8
	.type	_ZN7rocprim17ROCPRIM_400000_NS6detail17trampoline_kernelINS0_14default_configENS1_25partition_config_selectorILNS1_17partition_subalgoE2EiNS0_10empty_typeEbEEZZNS1_14partition_implILS5_2ELb0ES3_jN6thrust23THRUST_200600_302600_NS6detail15normal_iteratorINSA_7pointerIiNSA_11hip_rocprim3tagENSA_11use_defaultESG_EEEEPS6_NSA_18transform_iteratorI7is_evenIiENSC_INSA_10device_ptrIiEEEESG_SG_EENS0_5tupleIJPiSJ_EEENSR_IJSJ_SJ_EEES6_PlJS6_EEE10hipError_tPvRmT3_T4_T5_T6_T7_T9_mT8_P12ihipStream_tbDpT10_ENKUlT_T0_E_clISt17integral_constantIbLb1EES1E_IbLb0EEEEDaS1A_S1B_EUlS1A_E_NS1_11comp_targetILNS1_3genE8ELNS1_11target_archE1030ELNS1_3gpuE2ELNS1_3repE0EEENS1_30default_config_static_selectorELNS0_4arch9wavefront6targetE1EEEvT1_,@function
_ZN7rocprim17ROCPRIM_400000_NS6detail17trampoline_kernelINS0_14default_configENS1_25partition_config_selectorILNS1_17partition_subalgoE2EiNS0_10empty_typeEbEEZZNS1_14partition_implILS5_2ELb0ES3_jN6thrust23THRUST_200600_302600_NS6detail15normal_iteratorINSA_7pointerIiNSA_11hip_rocprim3tagENSA_11use_defaultESG_EEEEPS6_NSA_18transform_iteratorI7is_evenIiENSC_INSA_10device_ptrIiEEEESG_SG_EENS0_5tupleIJPiSJ_EEENSR_IJSJ_SJ_EEES6_PlJS6_EEE10hipError_tPvRmT3_T4_T5_T6_T7_T9_mT8_P12ihipStream_tbDpT10_ENKUlT_T0_E_clISt17integral_constantIbLb1EES1E_IbLb0EEEEDaS1A_S1B_EUlS1A_E_NS1_11comp_targetILNS1_3genE8ELNS1_11target_archE1030ELNS1_3gpuE2ELNS1_3repE0EEENS1_30default_config_static_selectorELNS0_4arch9wavefront6targetE1EEEvT1_: ; @_ZN7rocprim17ROCPRIM_400000_NS6detail17trampoline_kernelINS0_14default_configENS1_25partition_config_selectorILNS1_17partition_subalgoE2EiNS0_10empty_typeEbEEZZNS1_14partition_implILS5_2ELb0ES3_jN6thrust23THRUST_200600_302600_NS6detail15normal_iteratorINSA_7pointerIiNSA_11hip_rocprim3tagENSA_11use_defaultESG_EEEEPS6_NSA_18transform_iteratorI7is_evenIiENSC_INSA_10device_ptrIiEEEESG_SG_EENS0_5tupleIJPiSJ_EEENSR_IJSJ_SJ_EEES6_PlJS6_EEE10hipError_tPvRmT3_T4_T5_T6_T7_T9_mT8_P12ihipStream_tbDpT10_ENKUlT_T0_E_clISt17integral_constantIbLb1EES1E_IbLb0EEEEDaS1A_S1B_EUlS1A_E_NS1_11comp_targetILNS1_3genE8ELNS1_11target_archE1030ELNS1_3gpuE2ELNS1_3repE0EEENS1_30default_config_static_selectorELNS0_4arch9wavefront6targetE1EEEvT1_
; %bb.0:
	.section	.rodata,"a",@progbits
	.p2align	6, 0x0
	.amdhsa_kernel _ZN7rocprim17ROCPRIM_400000_NS6detail17trampoline_kernelINS0_14default_configENS1_25partition_config_selectorILNS1_17partition_subalgoE2EiNS0_10empty_typeEbEEZZNS1_14partition_implILS5_2ELb0ES3_jN6thrust23THRUST_200600_302600_NS6detail15normal_iteratorINSA_7pointerIiNSA_11hip_rocprim3tagENSA_11use_defaultESG_EEEEPS6_NSA_18transform_iteratorI7is_evenIiENSC_INSA_10device_ptrIiEEEESG_SG_EENS0_5tupleIJPiSJ_EEENSR_IJSJ_SJ_EEES6_PlJS6_EEE10hipError_tPvRmT3_T4_T5_T6_T7_T9_mT8_P12ihipStream_tbDpT10_ENKUlT_T0_E_clISt17integral_constantIbLb1EES1E_IbLb0EEEEDaS1A_S1B_EUlS1A_E_NS1_11comp_targetILNS1_3genE8ELNS1_11target_archE1030ELNS1_3gpuE2ELNS1_3repE0EEENS1_30default_config_static_selectorELNS0_4arch9wavefront6targetE1EEEvT1_
		.amdhsa_group_segment_fixed_size 0
		.amdhsa_private_segment_fixed_size 0
		.amdhsa_kernarg_size 128
		.amdhsa_user_sgpr_count 6
		.amdhsa_user_sgpr_private_segment_buffer 1
		.amdhsa_user_sgpr_dispatch_ptr 0
		.amdhsa_user_sgpr_queue_ptr 0
		.amdhsa_user_sgpr_kernarg_segment_ptr 1
		.amdhsa_user_sgpr_dispatch_id 0
		.amdhsa_user_sgpr_flat_scratch_init 0
		.amdhsa_user_sgpr_kernarg_preload_length 0
		.amdhsa_user_sgpr_kernarg_preload_offset 0
		.amdhsa_user_sgpr_private_segment_size 0
		.amdhsa_uses_dynamic_stack 0
		.amdhsa_system_sgpr_private_segment_wavefront_offset 0
		.amdhsa_system_sgpr_workgroup_id_x 1
		.amdhsa_system_sgpr_workgroup_id_y 0
		.amdhsa_system_sgpr_workgroup_id_z 0
		.amdhsa_system_sgpr_workgroup_info 0
		.amdhsa_system_vgpr_workitem_id 0
		.amdhsa_next_free_vgpr 1
		.amdhsa_next_free_sgpr 0
		.amdhsa_accum_offset 4
		.amdhsa_reserve_vcc 0
		.amdhsa_reserve_flat_scratch 0
		.amdhsa_float_round_mode_32 0
		.amdhsa_float_round_mode_16_64 0
		.amdhsa_float_denorm_mode_32 3
		.amdhsa_float_denorm_mode_16_64 3
		.amdhsa_dx10_clamp 1
		.amdhsa_ieee_mode 1
		.amdhsa_fp16_overflow 0
		.amdhsa_tg_split 0
		.amdhsa_exception_fp_ieee_invalid_op 0
		.amdhsa_exception_fp_denorm_src 0
		.amdhsa_exception_fp_ieee_div_zero 0
		.amdhsa_exception_fp_ieee_overflow 0
		.amdhsa_exception_fp_ieee_underflow 0
		.amdhsa_exception_fp_ieee_inexact 0
		.amdhsa_exception_int_div_zero 0
	.end_amdhsa_kernel
	.section	.text._ZN7rocprim17ROCPRIM_400000_NS6detail17trampoline_kernelINS0_14default_configENS1_25partition_config_selectorILNS1_17partition_subalgoE2EiNS0_10empty_typeEbEEZZNS1_14partition_implILS5_2ELb0ES3_jN6thrust23THRUST_200600_302600_NS6detail15normal_iteratorINSA_7pointerIiNSA_11hip_rocprim3tagENSA_11use_defaultESG_EEEEPS6_NSA_18transform_iteratorI7is_evenIiENSC_INSA_10device_ptrIiEEEESG_SG_EENS0_5tupleIJPiSJ_EEENSR_IJSJ_SJ_EEES6_PlJS6_EEE10hipError_tPvRmT3_T4_T5_T6_T7_T9_mT8_P12ihipStream_tbDpT10_ENKUlT_T0_E_clISt17integral_constantIbLb1EES1E_IbLb0EEEEDaS1A_S1B_EUlS1A_E_NS1_11comp_targetILNS1_3genE8ELNS1_11target_archE1030ELNS1_3gpuE2ELNS1_3repE0EEENS1_30default_config_static_selectorELNS0_4arch9wavefront6targetE1EEEvT1_,"axG",@progbits,_ZN7rocprim17ROCPRIM_400000_NS6detail17trampoline_kernelINS0_14default_configENS1_25partition_config_selectorILNS1_17partition_subalgoE2EiNS0_10empty_typeEbEEZZNS1_14partition_implILS5_2ELb0ES3_jN6thrust23THRUST_200600_302600_NS6detail15normal_iteratorINSA_7pointerIiNSA_11hip_rocprim3tagENSA_11use_defaultESG_EEEEPS6_NSA_18transform_iteratorI7is_evenIiENSC_INSA_10device_ptrIiEEEESG_SG_EENS0_5tupleIJPiSJ_EEENSR_IJSJ_SJ_EEES6_PlJS6_EEE10hipError_tPvRmT3_T4_T5_T6_T7_T9_mT8_P12ihipStream_tbDpT10_ENKUlT_T0_E_clISt17integral_constantIbLb1EES1E_IbLb0EEEEDaS1A_S1B_EUlS1A_E_NS1_11comp_targetILNS1_3genE8ELNS1_11target_archE1030ELNS1_3gpuE2ELNS1_3repE0EEENS1_30default_config_static_selectorELNS0_4arch9wavefront6targetE1EEEvT1_,comdat
.Lfunc_end246:
	.size	_ZN7rocprim17ROCPRIM_400000_NS6detail17trampoline_kernelINS0_14default_configENS1_25partition_config_selectorILNS1_17partition_subalgoE2EiNS0_10empty_typeEbEEZZNS1_14partition_implILS5_2ELb0ES3_jN6thrust23THRUST_200600_302600_NS6detail15normal_iteratorINSA_7pointerIiNSA_11hip_rocprim3tagENSA_11use_defaultESG_EEEEPS6_NSA_18transform_iteratorI7is_evenIiENSC_INSA_10device_ptrIiEEEESG_SG_EENS0_5tupleIJPiSJ_EEENSR_IJSJ_SJ_EEES6_PlJS6_EEE10hipError_tPvRmT3_T4_T5_T6_T7_T9_mT8_P12ihipStream_tbDpT10_ENKUlT_T0_E_clISt17integral_constantIbLb1EES1E_IbLb0EEEEDaS1A_S1B_EUlS1A_E_NS1_11comp_targetILNS1_3genE8ELNS1_11target_archE1030ELNS1_3gpuE2ELNS1_3repE0EEENS1_30default_config_static_selectorELNS0_4arch9wavefront6targetE1EEEvT1_, .Lfunc_end246-_ZN7rocprim17ROCPRIM_400000_NS6detail17trampoline_kernelINS0_14default_configENS1_25partition_config_selectorILNS1_17partition_subalgoE2EiNS0_10empty_typeEbEEZZNS1_14partition_implILS5_2ELb0ES3_jN6thrust23THRUST_200600_302600_NS6detail15normal_iteratorINSA_7pointerIiNSA_11hip_rocprim3tagENSA_11use_defaultESG_EEEEPS6_NSA_18transform_iteratorI7is_evenIiENSC_INSA_10device_ptrIiEEEESG_SG_EENS0_5tupleIJPiSJ_EEENSR_IJSJ_SJ_EEES6_PlJS6_EEE10hipError_tPvRmT3_T4_T5_T6_T7_T9_mT8_P12ihipStream_tbDpT10_ENKUlT_T0_E_clISt17integral_constantIbLb1EES1E_IbLb0EEEEDaS1A_S1B_EUlS1A_E_NS1_11comp_targetILNS1_3genE8ELNS1_11target_archE1030ELNS1_3gpuE2ELNS1_3repE0EEENS1_30default_config_static_selectorELNS0_4arch9wavefront6targetE1EEEvT1_
                                        ; -- End function
	.section	.AMDGPU.csdata,"",@progbits
; Kernel info:
; codeLenInByte = 0
; NumSgprs: 4
; NumVgprs: 0
; NumAgprs: 0
; TotalNumVgprs: 0
; ScratchSize: 0
; MemoryBound: 0
; FloatMode: 240
; IeeeMode: 1
; LDSByteSize: 0 bytes/workgroup (compile time only)
; SGPRBlocks: 0
; VGPRBlocks: 0
; NumSGPRsForWavesPerEU: 4
; NumVGPRsForWavesPerEU: 1
; AccumOffset: 4
; Occupancy: 8
; WaveLimiterHint : 0
; COMPUTE_PGM_RSRC2:SCRATCH_EN: 0
; COMPUTE_PGM_RSRC2:USER_SGPR: 6
; COMPUTE_PGM_RSRC2:TRAP_HANDLER: 0
; COMPUTE_PGM_RSRC2:TGID_X_EN: 1
; COMPUTE_PGM_RSRC2:TGID_Y_EN: 0
; COMPUTE_PGM_RSRC2:TGID_Z_EN: 0
; COMPUTE_PGM_RSRC2:TIDIG_COMP_CNT: 0
; COMPUTE_PGM_RSRC3_GFX90A:ACCUM_OFFSET: 0
; COMPUTE_PGM_RSRC3_GFX90A:TG_SPLIT: 0
	.section	.text._ZN7rocprim17ROCPRIM_400000_NS6detail17trampoline_kernelINS0_14default_configENS1_25partition_config_selectorILNS1_17partition_subalgoE2EiNS0_10empty_typeEbEEZZNS1_14partition_implILS5_2ELb0ES3_jN6thrust23THRUST_200600_302600_NS6detail15normal_iteratorINSA_7pointerIiNSA_11hip_rocprim3tagENSA_11use_defaultESG_EEEEPS6_NSA_18transform_iteratorI7is_evenIiENSC_INSA_10device_ptrIiEEEESG_SG_EENS0_5tupleIJPiSJ_EEENSR_IJSJ_SJ_EEES6_PlJS6_EEE10hipError_tPvRmT3_T4_T5_T6_T7_T9_mT8_P12ihipStream_tbDpT10_ENKUlT_T0_E_clISt17integral_constantIbLb0EES1E_IbLb1EEEEDaS1A_S1B_EUlS1A_E_NS1_11comp_targetILNS1_3genE0ELNS1_11target_archE4294967295ELNS1_3gpuE0ELNS1_3repE0EEENS1_30default_config_static_selectorELNS0_4arch9wavefront6targetE1EEEvT1_,"axG",@progbits,_ZN7rocprim17ROCPRIM_400000_NS6detail17trampoline_kernelINS0_14default_configENS1_25partition_config_selectorILNS1_17partition_subalgoE2EiNS0_10empty_typeEbEEZZNS1_14partition_implILS5_2ELb0ES3_jN6thrust23THRUST_200600_302600_NS6detail15normal_iteratorINSA_7pointerIiNSA_11hip_rocprim3tagENSA_11use_defaultESG_EEEEPS6_NSA_18transform_iteratorI7is_evenIiENSC_INSA_10device_ptrIiEEEESG_SG_EENS0_5tupleIJPiSJ_EEENSR_IJSJ_SJ_EEES6_PlJS6_EEE10hipError_tPvRmT3_T4_T5_T6_T7_T9_mT8_P12ihipStream_tbDpT10_ENKUlT_T0_E_clISt17integral_constantIbLb0EES1E_IbLb1EEEEDaS1A_S1B_EUlS1A_E_NS1_11comp_targetILNS1_3genE0ELNS1_11target_archE4294967295ELNS1_3gpuE0ELNS1_3repE0EEENS1_30default_config_static_selectorELNS0_4arch9wavefront6targetE1EEEvT1_,comdat
	.protected	_ZN7rocprim17ROCPRIM_400000_NS6detail17trampoline_kernelINS0_14default_configENS1_25partition_config_selectorILNS1_17partition_subalgoE2EiNS0_10empty_typeEbEEZZNS1_14partition_implILS5_2ELb0ES3_jN6thrust23THRUST_200600_302600_NS6detail15normal_iteratorINSA_7pointerIiNSA_11hip_rocprim3tagENSA_11use_defaultESG_EEEEPS6_NSA_18transform_iteratorI7is_evenIiENSC_INSA_10device_ptrIiEEEESG_SG_EENS0_5tupleIJPiSJ_EEENSR_IJSJ_SJ_EEES6_PlJS6_EEE10hipError_tPvRmT3_T4_T5_T6_T7_T9_mT8_P12ihipStream_tbDpT10_ENKUlT_T0_E_clISt17integral_constantIbLb0EES1E_IbLb1EEEEDaS1A_S1B_EUlS1A_E_NS1_11comp_targetILNS1_3genE0ELNS1_11target_archE4294967295ELNS1_3gpuE0ELNS1_3repE0EEENS1_30default_config_static_selectorELNS0_4arch9wavefront6targetE1EEEvT1_ ; -- Begin function _ZN7rocprim17ROCPRIM_400000_NS6detail17trampoline_kernelINS0_14default_configENS1_25partition_config_selectorILNS1_17partition_subalgoE2EiNS0_10empty_typeEbEEZZNS1_14partition_implILS5_2ELb0ES3_jN6thrust23THRUST_200600_302600_NS6detail15normal_iteratorINSA_7pointerIiNSA_11hip_rocprim3tagENSA_11use_defaultESG_EEEEPS6_NSA_18transform_iteratorI7is_evenIiENSC_INSA_10device_ptrIiEEEESG_SG_EENS0_5tupleIJPiSJ_EEENSR_IJSJ_SJ_EEES6_PlJS6_EEE10hipError_tPvRmT3_T4_T5_T6_T7_T9_mT8_P12ihipStream_tbDpT10_ENKUlT_T0_E_clISt17integral_constantIbLb0EES1E_IbLb1EEEEDaS1A_S1B_EUlS1A_E_NS1_11comp_targetILNS1_3genE0ELNS1_11target_archE4294967295ELNS1_3gpuE0ELNS1_3repE0EEENS1_30default_config_static_selectorELNS0_4arch9wavefront6targetE1EEEvT1_
	.globl	_ZN7rocprim17ROCPRIM_400000_NS6detail17trampoline_kernelINS0_14default_configENS1_25partition_config_selectorILNS1_17partition_subalgoE2EiNS0_10empty_typeEbEEZZNS1_14partition_implILS5_2ELb0ES3_jN6thrust23THRUST_200600_302600_NS6detail15normal_iteratorINSA_7pointerIiNSA_11hip_rocprim3tagENSA_11use_defaultESG_EEEEPS6_NSA_18transform_iteratorI7is_evenIiENSC_INSA_10device_ptrIiEEEESG_SG_EENS0_5tupleIJPiSJ_EEENSR_IJSJ_SJ_EEES6_PlJS6_EEE10hipError_tPvRmT3_T4_T5_T6_T7_T9_mT8_P12ihipStream_tbDpT10_ENKUlT_T0_E_clISt17integral_constantIbLb0EES1E_IbLb1EEEEDaS1A_S1B_EUlS1A_E_NS1_11comp_targetILNS1_3genE0ELNS1_11target_archE4294967295ELNS1_3gpuE0ELNS1_3repE0EEENS1_30default_config_static_selectorELNS0_4arch9wavefront6targetE1EEEvT1_
	.p2align	8
	.type	_ZN7rocprim17ROCPRIM_400000_NS6detail17trampoline_kernelINS0_14default_configENS1_25partition_config_selectorILNS1_17partition_subalgoE2EiNS0_10empty_typeEbEEZZNS1_14partition_implILS5_2ELb0ES3_jN6thrust23THRUST_200600_302600_NS6detail15normal_iteratorINSA_7pointerIiNSA_11hip_rocprim3tagENSA_11use_defaultESG_EEEEPS6_NSA_18transform_iteratorI7is_evenIiENSC_INSA_10device_ptrIiEEEESG_SG_EENS0_5tupleIJPiSJ_EEENSR_IJSJ_SJ_EEES6_PlJS6_EEE10hipError_tPvRmT3_T4_T5_T6_T7_T9_mT8_P12ihipStream_tbDpT10_ENKUlT_T0_E_clISt17integral_constantIbLb0EES1E_IbLb1EEEEDaS1A_S1B_EUlS1A_E_NS1_11comp_targetILNS1_3genE0ELNS1_11target_archE4294967295ELNS1_3gpuE0ELNS1_3repE0EEENS1_30default_config_static_selectorELNS0_4arch9wavefront6targetE1EEEvT1_,@function
_ZN7rocprim17ROCPRIM_400000_NS6detail17trampoline_kernelINS0_14default_configENS1_25partition_config_selectorILNS1_17partition_subalgoE2EiNS0_10empty_typeEbEEZZNS1_14partition_implILS5_2ELb0ES3_jN6thrust23THRUST_200600_302600_NS6detail15normal_iteratorINSA_7pointerIiNSA_11hip_rocprim3tagENSA_11use_defaultESG_EEEEPS6_NSA_18transform_iteratorI7is_evenIiENSC_INSA_10device_ptrIiEEEESG_SG_EENS0_5tupleIJPiSJ_EEENSR_IJSJ_SJ_EEES6_PlJS6_EEE10hipError_tPvRmT3_T4_T5_T6_T7_T9_mT8_P12ihipStream_tbDpT10_ENKUlT_T0_E_clISt17integral_constantIbLb0EES1E_IbLb1EEEEDaS1A_S1B_EUlS1A_E_NS1_11comp_targetILNS1_3genE0ELNS1_11target_archE4294967295ELNS1_3gpuE0ELNS1_3repE0EEENS1_30default_config_static_selectorELNS0_4arch9wavefront6targetE1EEEvT1_: ; @_ZN7rocprim17ROCPRIM_400000_NS6detail17trampoline_kernelINS0_14default_configENS1_25partition_config_selectorILNS1_17partition_subalgoE2EiNS0_10empty_typeEbEEZZNS1_14partition_implILS5_2ELb0ES3_jN6thrust23THRUST_200600_302600_NS6detail15normal_iteratorINSA_7pointerIiNSA_11hip_rocprim3tagENSA_11use_defaultESG_EEEEPS6_NSA_18transform_iteratorI7is_evenIiENSC_INSA_10device_ptrIiEEEESG_SG_EENS0_5tupleIJPiSJ_EEENSR_IJSJ_SJ_EEES6_PlJS6_EEE10hipError_tPvRmT3_T4_T5_T6_T7_T9_mT8_P12ihipStream_tbDpT10_ENKUlT_T0_E_clISt17integral_constantIbLb0EES1E_IbLb1EEEEDaS1A_S1B_EUlS1A_E_NS1_11comp_targetILNS1_3genE0ELNS1_11target_archE4294967295ELNS1_3gpuE0ELNS1_3repE0EEENS1_30default_config_static_selectorELNS0_4arch9wavefront6targetE1EEEvT1_
; %bb.0:
	.section	.rodata,"a",@progbits
	.p2align	6, 0x0
	.amdhsa_kernel _ZN7rocprim17ROCPRIM_400000_NS6detail17trampoline_kernelINS0_14default_configENS1_25partition_config_selectorILNS1_17partition_subalgoE2EiNS0_10empty_typeEbEEZZNS1_14partition_implILS5_2ELb0ES3_jN6thrust23THRUST_200600_302600_NS6detail15normal_iteratorINSA_7pointerIiNSA_11hip_rocprim3tagENSA_11use_defaultESG_EEEEPS6_NSA_18transform_iteratorI7is_evenIiENSC_INSA_10device_ptrIiEEEESG_SG_EENS0_5tupleIJPiSJ_EEENSR_IJSJ_SJ_EEES6_PlJS6_EEE10hipError_tPvRmT3_T4_T5_T6_T7_T9_mT8_P12ihipStream_tbDpT10_ENKUlT_T0_E_clISt17integral_constantIbLb0EES1E_IbLb1EEEEDaS1A_S1B_EUlS1A_E_NS1_11comp_targetILNS1_3genE0ELNS1_11target_archE4294967295ELNS1_3gpuE0ELNS1_3repE0EEENS1_30default_config_static_selectorELNS0_4arch9wavefront6targetE1EEEvT1_
		.amdhsa_group_segment_fixed_size 0
		.amdhsa_private_segment_fixed_size 0
		.amdhsa_kernarg_size 144
		.amdhsa_user_sgpr_count 6
		.amdhsa_user_sgpr_private_segment_buffer 1
		.amdhsa_user_sgpr_dispatch_ptr 0
		.amdhsa_user_sgpr_queue_ptr 0
		.amdhsa_user_sgpr_kernarg_segment_ptr 1
		.amdhsa_user_sgpr_dispatch_id 0
		.amdhsa_user_sgpr_flat_scratch_init 0
		.amdhsa_user_sgpr_kernarg_preload_length 0
		.amdhsa_user_sgpr_kernarg_preload_offset 0
		.amdhsa_user_sgpr_private_segment_size 0
		.amdhsa_uses_dynamic_stack 0
		.amdhsa_system_sgpr_private_segment_wavefront_offset 0
		.amdhsa_system_sgpr_workgroup_id_x 1
		.amdhsa_system_sgpr_workgroup_id_y 0
		.amdhsa_system_sgpr_workgroup_id_z 0
		.amdhsa_system_sgpr_workgroup_info 0
		.amdhsa_system_vgpr_workitem_id 0
		.amdhsa_next_free_vgpr 1
		.amdhsa_next_free_sgpr 0
		.amdhsa_accum_offset 4
		.amdhsa_reserve_vcc 0
		.amdhsa_reserve_flat_scratch 0
		.amdhsa_float_round_mode_32 0
		.amdhsa_float_round_mode_16_64 0
		.amdhsa_float_denorm_mode_32 3
		.amdhsa_float_denorm_mode_16_64 3
		.amdhsa_dx10_clamp 1
		.amdhsa_ieee_mode 1
		.amdhsa_fp16_overflow 0
		.amdhsa_tg_split 0
		.amdhsa_exception_fp_ieee_invalid_op 0
		.amdhsa_exception_fp_denorm_src 0
		.amdhsa_exception_fp_ieee_div_zero 0
		.amdhsa_exception_fp_ieee_overflow 0
		.amdhsa_exception_fp_ieee_underflow 0
		.amdhsa_exception_fp_ieee_inexact 0
		.amdhsa_exception_int_div_zero 0
	.end_amdhsa_kernel
	.section	.text._ZN7rocprim17ROCPRIM_400000_NS6detail17trampoline_kernelINS0_14default_configENS1_25partition_config_selectorILNS1_17partition_subalgoE2EiNS0_10empty_typeEbEEZZNS1_14partition_implILS5_2ELb0ES3_jN6thrust23THRUST_200600_302600_NS6detail15normal_iteratorINSA_7pointerIiNSA_11hip_rocprim3tagENSA_11use_defaultESG_EEEEPS6_NSA_18transform_iteratorI7is_evenIiENSC_INSA_10device_ptrIiEEEESG_SG_EENS0_5tupleIJPiSJ_EEENSR_IJSJ_SJ_EEES6_PlJS6_EEE10hipError_tPvRmT3_T4_T5_T6_T7_T9_mT8_P12ihipStream_tbDpT10_ENKUlT_T0_E_clISt17integral_constantIbLb0EES1E_IbLb1EEEEDaS1A_S1B_EUlS1A_E_NS1_11comp_targetILNS1_3genE0ELNS1_11target_archE4294967295ELNS1_3gpuE0ELNS1_3repE0EEENS1_30default_config_static_selectorELNS0_4arch9wavefront6targetE1EEEvT1_,"axG",@progbits,_ZN7rocprim17ROCPRIM_400000_NS6detail17trampoline_kernelINS0_14default_configENS1_25partition_config_selectorILNS1_17partition_subalgoE2EiNS0_10empty_typeEbEEZZNS1_14partition_implILS5_2ELb0ES3_jN6thrust23THRUST_200600_302600_NS6detail15normal_iteratorINSA_7pointerIiNSA_11hip_rocprim3tagENSA_11use_defaultESG_EEEEPS6_NSA_18transform_iteratorI7is_evenIiENSC_INSA_10device_ptrIiEEEESG_SG_EENS0_5tupleIJPiSJ_EEENSR_IJSJ_SJ_EEES6_PlJS6_EEE10hipError_tPvRmT3_T4_T5_T6_T7_T9_mT8_P12ihipStream_tbDpT10_ENKUlT_T0_E_clISt17integral_constantIbLb0EES1E_IbLb1EEEEDaS1A_S1B_EUlS1A_E_NS1_11comp_targetILNS1_3genE0ELNS1_11target_archE4294967295ELNS1_3gpuE0ELNS1_3repE0EEENS1_30default_config_static_selectorELNS0_4arch9wavefront6targetE1EEEvT1_,comdat
.Lfunc_end247:
	.size	_ZN7rocprim17ROCPRIM_400000_NS6detail17trampoline_kernelINS0_14default_configENS1_25partition_config_selectorILNS1_17partition_subalgoE2EiNS0_10empty_typeEbEEZZNS1_14partition_implILS5_2ELb0ES3_jN6thrust23THRUST_200600_302600_NS6detail15normal_iteratorINSA_7pointerIiNSA_11hip_rocprim3tagENSA_11use_defaultESG_EEEEPS6_NSA_18transform_iteratorI7is_evenIiENSC_INSA_10device_ptrIiEEEESG_SG_EENS0_5tupleIJPiSJ_EEENSR_IJSJ_SJ_EEES6_PlJS6_EEE10hipError_tPvRmT3_T4_T5_T6_T7_T9_mT8_P12ihipStream_tbDpT10_ENKUlT_T0_E_clISt17integral_constantIbLb0EES1E_IbLb1EEEEDaS1A_S1B_EUlS1A_E_NS1_11comp_targetILNS1_3genE0ELNS1_11target_archE4294967295ELNS1_3gpuE0ELNS1_3repE0EEENS1_30default_config_static_selectorELNS0_4arch9wavefront6targetE1EEEvT1_, .Lfunc_end247-_ZN7rocprim17ROCPRIM_400000_NS6detail17trampoline_kernelINS0_14default_configENS1_25partition_config_selectorILNS1_17partition_subalgoE2EiNS0_10empty_typeEbEEZZNS1_14partition_implILS5_2ELb0ES3_jN6thrust23THRUST_200600_302600_NS6detail15normal_iteratorINSA_7pointerIiNSA_11hip_rocprim3tagENSA_11use_defaultESG_EEEEPS6_NSA_18transform_iteratorI7is_evenIiENSC_INSA_10device_ptrIiEEEESG_SG_EENS0_5tupleIJPiSJ_EEENSR_IJSJ_SJ_EEES6_PlJS6_EEE10hipError_tPvRmT3_T4_T5_T6_T7_T9_mT8_P12ihipStream_tbDpT10_ENKUlT_T0_E_clISt17integral_constantIbLb0EES1E_IbLb1EEEEDaS1A_S1B_EUlS1A_E_NS1_11comp_targetILNS1_3genE0ELNS1_11target_archE4294967295ELNS1_3gpuE0ELNS1_3repE0EEENS1_30default_config_static_selectorELNS0_4arch9wavefront6targetE1EEEvT1_
                                        ; -- End function
	.section	.AMDGPU.csdata,"",@progbits
; Kernel info:
; codeLenInByte = 0
; NumSgprs: 4
; NumVgprs: 0
; NumAgprs: 0
; TotalNumVgprs: 0
; ScratchSize: 0
; MemoryBound: 0
; FloatMode: 240
; IeeeMode: 1
; LDSByteSize: 0 bytes/workgroup (compile time only)
; SGPRBlocks: 0
; VGPRBlocks: 0
; NumSGPRsForWavesPerEU: 4
; NumVGPRsForWavesPerEU: 1
; AccumOffset: 4
; Occupancy: 8
; WaveLimiterHint : 0
; COMPUTE_PGM_RSRC2:SCRATCH_EN: 0
; COMPUTE_PGM_RSRC2:USER_SGPR: 6
; COMPUTE_PGM_RSRC2:TRAP_HANDLER: 0
; COMPUTE_PGM_RSRC2:TGID_X_EN: 1
; COMPUTE_PGM_RSRC2:TGID_Y_EN: 0
; COMPUTE_PGM_RSRC2:TGID_Z_EN: 0
; COMPUTE_PGM_RSRC2:TIDIG_COMP_CNT: 0
; COMPUTE_PGM_RSRC3_GFX90A:ACCUM_OFFSET: 0
; COMPUTE_PGM_RSRC3_GFX90A:TG_SPLIT: 0
	.section	.text._ZN7rocprim17ROCPRIM_400000_NS6detail17trampoline_kernelINS0_14default_configENS1_25partition_config_selectorILNS1_17partition_subalgoE2EiNS0_10empty_typeEbEEZZNS1_14partition_implILS5_2ELb0ES3_jN6thrust23THRUST_200600_302600_NS6detail15normal_iteratorINSA_7pointerIiNSA_11hip_rocprim3tagENSA_11use_defaultESG_EEEEPS6_NSA_18transform_iteratorI7is_evenIiENSC_INSA_10device_ptrIiEEEESG_SG_EENS0_5tupleIJPiSJ_EEENSR_IJSJ_SJ_EEES6_PlJS6_EEE10hipError_tPvRmT3_T4_T5_T6_T7_T9_mT8_P12ihipStream_tbDpT10_ENKUlT_T0_E_clISt17integral_constantIbLb0EES1E_IbLb1EEEEDaS1A_S1B_EUlS1A_E_NS1_11comp_targetILNS1_3genE5ELNS1_11target_archE942ELNS1_3gpuE9ELNS1_3repE0EEENS1_30default_config_static_selectorELNS0_4arch9wavefront6targetE1EEEvT1_,"axG",@progbits,_ZN7rocprim17ROCPRIM_400000_NS6detail17trampoline_kernelINS0_14default_configENS1_25partition_config_selectorILNS1_17partition_subalgoE2EiNS0_10empty_typeEbEEZZNS1_14partition_implILS5_2ELb0ES3_jN6thrust23THRUST_200600_302600_NS6detail15normal_iteratorINSA_7pointerIiNSA_11hip_rocprim3tagENSA_11use_defaultESG_EEEEPS6_NSA_18transform_iteratorI7is_evenIiENSC_INSA_10device_ptrIiEEEESG_SG_EENS0_5tupleIJPiSJ_EEENSR_IJSJ_SJ_EEES6_PlJS6_EEE10hipError_tPvRmT3_T4_T5_T6_T7_T9_mT8_P12ihipStream_tbDpT10_ENKUlT_T0_E_clISt17integral_constantIbLb0EES1E_IbLb1EEEEDaS1A_S1B_EUlS1A_E_NS1_11comp_targetILNS1_3genE5ELNS1_11target_archE942ELNS1_3gpuE9ELNS1_3repE0EEENS1_30default_config_static_selectorELNS0_4arch9wavefront6targetE1EEEvT1_,comdat
	.protected	_ZN7rocprim17ROCPRIM_400000_NS6detail17trampoline_kernelINS0_14default_configENS1_25partition_config_selectorILNS1_17partition_subalgoE2EiNS0_10empty_typeEbEEZZNS1_14partition_implILS5_2ELb0ES3_jN6thrust23THRUST_200600_302600_NS6detail15normal_iteratorINSA_7pointerIiNSA_11hip_rocprim3tagENSA_11use_defaultESG_EEEEPS6_NSA_18transform_iteratorI7is_evenIiENSC_INSA_10device_ptrIiEEEESG_SG_EENS0_5tupleIJPiSJ_EEENSR_IJSJ_SJ_EEES6_PlJS6_EEE10hipError_tPvRmT3_T4_T5_T6_T7_T9_mT8_P12ihipStream_tbDpT10_ENKUlT_T0_E_clISt17integral_constantIbLb0EES1E_IbLb1EEEEDaS1A_S1B_EUlS1A_E_NS1_11comp_targetILNS1_3genE5ELNS1_11target_archE942ELNS1_3gpuE9ELNS1_3repE0EEENS1_30default_config_static_selectorELNS0_4arch9wavefront6targetE1EEEvT1_ ; -- Begin function _ZN7rocprim17ROCPRIM_400000_NS6detail17trampoline_kernelINS0_14default_configENS1_25partition_config_selectorILNS1_17partition_subalgoE2EiNS0_10empty_typeEbEEZZNS1_14partition_implILS5_2ELb0ES3_jN6thrust23THRUST_200600_302600_NS6detail15normal_iteratorINSA_7pointerIiNSA_11hip_rocprim3tagENSA_11use_defaultESG_EEEEPS6_NSA_18transform_iteratorI7is_evenIiENSC_INSA_10device_ptrIiEEEESG_SG_EENS0_5tupleIJPiSJ_EEENSR_IJSJ_SJ_EEES6_PlJS6_EEE10hipError_tPvRmT3_T4_T5_T6_T7_T9_mT8_P12ihipStream_tbDpT10_ENKUlT_T0_E_clISt17integral_constantIbLb0EES1E_IbLb1EEEEDaS1A_S1B_EUlS1A_E_NS1_11comp_targetILNS1_3genE5ELNS1_11target_archE942ELNS1_3gpuE9ELNS1_3repE0EEENS1_30default_config_static_selectorELNS0_4arch9wavefront6targetE1EEEvT1_
	.globl	_ZN7rocprim17ROCPRIM_400000_NS6detail17trampoline_kernelINS0_14default_configENS1_25partition_config_selectorILNS1_17partition_subalgoE2EiNS0_10empty_typeEbEEZZNS1_14partition_implILS5_2ELb0ES3_jN6thrust23THRUST_200600_302600_NS6detail15normal_iteratorINSA_7pointerIiNSA_11hip_rocprim3tagENSA_11use_defaultESG_EEEEPS6_NSA_18transform_iteratorI7is_evenIiENSC_INSA_10device_ptrIiEEEESG_SG_EENS0_5tupleIJPiSJ_EEENSR_IJSJ_SJ_EEES6_PlJS6_EEE10hipError_tPvRmT3_T4_T5_T6_T7_T9_mT8_P12ihipStream_tbDpT10_ENKUlT_T0_E_clISt17integral_constantIbLb0EES1E_IbLb1EEEEDaS1A_S1B_EUlS1A_E_NS1_11comp_targetILNS1_3genE5ELNS1_11target_archE942ELNS1_3gpuE9ELNS1_3repE0EEENS1_30default_config_static_selectorELNS0_4arch9wavefront6targetE1EEEvT1_
	.p2align	8
	.type	_ZN7rocprim17ROCPRIM_400000_NS6detail17trampoline_kernelINS0_14default_configENS1_25partition_config_selectorILNS1_17partition_subalgoE2EiNS0_10empty_typeEbEEZZNS1_14partition_implILS5_2ELb0ES3_jN6thrust23THRUST_200600_302600_NS6detail15normal_iteratorINSA_7pointerIiNSA_11hip_rocprim3tagENSA_11use_defaultESG_EEEEPS6_NSA_18transform_iteratorI7is_evenIiENSC_INSA_10device_ptrIiEEEESG_SG_EENS0_5tupleIJPiSJ_EEENSR_IJSJ_SJ_EEES6_PlJS6_EEE10hipError_tPvRmT3_T4_T5_T6_T7_T9_mT8_P12ihipStream_tbDpT10_ENKUlT_T0_E_clISt17integral_constantIbLb0EES1E_IbLb1EEEEDaS1A_S1B_EUlS1A_E_NS1_11comp_targetILNS1_3genE5ELNS1_11target_archE942ELNS1_3gpuE9ELNS1_3repE0EEENS1_30default_config_static_selectorELNS0_4arch9wavefront6targetE1EEEvT1_,@function
_ZN7rocprim17ROCPRIM_400000_NS6detail17trampoline_kernelINS0_14default_configENS1_25partition_config_selectorILNS1_17partition_subalgoE2EiNS0_10empty_typeEbEEZZNS1_14partition_implILS5_2ELb0ES3_jN6thrust23THRUST_200600_302600_NS6detail15normal_iteratorINSA_7pointerIiNSA_11hip_rocprim3tagENSA_11use_defaultESG_EEEEPS6_NSA_18transform_iteratorI7is_evenIiENSC_INSA_10device_ptrIiEEEESG_SG_EENS0_5tupleIJPiSJ_EEENSR_IJSJ_SJ_EEES6_PlJS6_EEE10hipError_tPvRmT3_T4_T5_T6_T7_T9_mT8_P12ihipStream_tbDpT10_ENKUlT_T0_E_clISt17integral_constantIbLb0EES1E_IbLb1EEEEDaS1A_S1B_EUlS1A_E_NS1_11comp_targetILNS1_3genE5ELNS1_11target_archE942ELNS1_3gpuE9ELNS1_3repE0EEENS1_30default_config_static_selectorELNS0_4arch9wavefront6targetE1EEEvT1_: ; @_ZN7rocprim17ROCPRIM_400000_NS6detail17trampoline_kernelINS0_14default_configENS1_25partition_config_selectorILNS1_17partition_subalgoE2EiNS0_10empty_typeEbEEZZNS1_14partition_implILS5_2ELb0ES3_jN6thrust23THRUST_200600_302600_NS6detail15normal_iteratorINSA_7pointerIiNSA_11hip_rocprim3tagENSA_11use_defaultESG_EEEEPS6_NSA_18transform_iteratorI7is_evenIiENSC_INSA_10device_ptrIiEEEESG_SG_EENS0_5tupleIJPiSJ_EEENSR_IJSJ_SJ_EEES6_PlJS6_EEE10hipError_tPvRmT3_T4_T5_T6_T7_T9_mT8_P12ihipStream_tbDpT10_ENKUlT_T0_E_clISt17integral_constantIbLb0EES1E_IbLb1EEEEDaS1A_S1B_EUlS1A_E_NS1_11comp_targetILNS1_3genE5ELNS1_11target_archE942ELNS1_3gpuE9ELNS1_3repE0EEENS1_30default_config_static_selectorELNS0_4arch9wavefront6targetE1EEEvT1_
; %bb.0:
	.section	.rodata,"a",@progbits
	.p2align	6, 0x0
	.amdhsa_kernel _ZN7rocprim17ROCPRIM_400000_NS6detail17trampoline_kernelINS0_14default_configENS1_25partition_config_selectorILNS1_17partition_subalgoE2EiNS0_10empty_typeEbEEZZNS1_14partition_implILS5_2ELb0ES3_jN6thrust23THRUST_200600_302600_NS6detail15normal_iteratorINSA_7pointerIiNSA_11hip_rocprim3tagENSA_11use_defaultESG_EEEEPS6_NSA_18transform_iteratorI7is_evenIiENSC_INSA_10device_ptrIiEEEESG_SG_EENS0_5tupleIJPiSJ_EEENSR_IJSJ_SJ_EEES6_PlJS6_EEE10hipError_tPvRmT3_T4_T5_T6_T7_T9_mT8_P12ihipStream_tbDpT10_ENKUlT_T0_E_clISt17integral_constantIbLb0EES1E_IbLb1EEEEDaS1A_S1B_EUlS1A_E_NS1_11comp_targetILNS1_3genE5ELNS1_11target_archE942ELNS1_3gpuE9ELNS1_3repE0EEENS1_30default_config_static_selectorELNS0_4arch9wavefront6targetE1EEEvT1_
		.amdhsa_group_segment_fixed_size 0
		.amdhsa_private_segment_fixed_size 0
		.amdhsa_kernarg_size 144
		.amdhsa_user_sgpr_count 6
		.amdhsa_user_sgpr_private_segment_buffer 1
		.amdhsa_user_sgpr_dispatch_ptr 0
		.amdhsa_user_sgpr_queue_ptr 0
		.amdhsa_user_sgpr_kernarg_segment_ptr 1
		.amdhsa_user_sgpr_dispatch_id 0
		.amdhsa_user_sgpr_flat_scratch_init 0
		.amdhsa_user_sgpr_kernarg_preload_length 0
		.amdhsa_user_sgpr_kernarg_preload_offset 0
		.amdhsa_user_sgpr_private_segment_size 0
		.amdhsa_uses_dynamic_stack 0
		.amdhsa_system_sgpr_private_segment_wavefront_offset 0
		.amdhsa_system_sgpr_workgroup_id_x 1
		.amdhsa_system_sgpr_workgroup_id_y 0
		.amdhsa_system_sgpr_workgroup_id_z 0
		.amdhsa_system_sgpr_workgroup_info 0
		.amdhsa_system_vgpr_workitem_id 0
		.amdhsa_next_free_vgpr 1
		.amdhsa_next_free_sgpr 0
		.amdhsa_accum_offset 4
		.amdhsa_reserve_vcc 0
		.amdhsa_reserve_flat_scratch 0
		.amdhsa_float_round_mode_32 0
		.amdhsa_float_round_mode_16_64 0
		.amdhsa_float_denorm_mode_32 3
		.amdhsa_float_denorm_mode_16_64 3
		.amdhsa_dx10_clamp 1
		.amdhsa_ieee_mode 1
		.amdhsa_fp16_overflow 0
		.amdhsa_tg_split 0
		.amdhsa_exception_fp_ieee_invalid_op 0
		.amdhsa_exception_fp_denorm_src 0
		.amdhsa_exception_fp_ieee_div_zero 0
		.amdhsa_exception_fp_ieee_overflow 0
		.amdhsa_exception_fp_ieee_underflow 0
		.amdhsa_exception_fp_ieee_inexact 0
		.amdhsa_exception_int_div_zero 0
	.end_amdhsa_kernel
	.section	.text._ZN7rocprim17ROCPRIM_400000_NS6detail17trampoline_kernelINS0_14default_configENS1_25partition_config_selectorILNS1_17partition_subalgoE2EiNS0_10empty_typeEbEEZZNS1_14partition_implILS5_2ELb0ES3_jN6thrust23THRUST_200600_302600_NS6detail15normal_iteratorINSA_7pointerIiNSA_11hip_rocprim3tagENSA_11use_defaultESG_EEEEPS6_NSA_18transform_iteratorI7is_evenIiENSC_INSA_10device_ptrIiEEEESG_SG_EENS0_5tupleIJPiSJ_EEENSR_IJSJ_SJ_EEES6_PlJS6_EEE10hipError_tPvRmT3_T4_T5_T6_T7_T9_mT8_P12ihipStream_tbDpT10_ENKUlT_T0_E_clISt17integral_constantIbLb0EES1E_IbLb1EEEEDaS1A_S1B_EUlS1A_E_NS1_11comp_targetILNS1_3genE5ELNS1_11target_archE942ELNS1_3gpuE9ELNS1_3repE0EEENS1_30default_config_static_selectorELNS0_4arch9wavefront6targetE1EEEvT1_,"axG",@progbits,_ZN7rocprim17ROCPRIM_400000_NS6detail17trampoline_kernelINS0_14default_configENS1_25partition_config_selectorILNS1_17partition_subalgoE2EiNS0_10empty_typeEbEEZZNS1_14partition_implILS5_2ELb0ES3_jN6thrust23THRUST_200600_302600_NS6detail15normal_iteratorINSA_7pointerIiNSA_11hip_rocprim3tagENSA_11use_defaultESG_EEEEPS6_NSA_18transform_iteratorI7is_evenIiENSC_INSA_10device_ptrIiEEEESG_SG_EENS0_5tupleIJPiSJ_EEENSR_IJSJ_SJ_EEES6_PlJS6_EEE10hipError_tPvRmT3_T4_T5_T6_T7_T9_mT8_P12ihipStream_tbDpT10_ENKUlT_T0_E_clISt17integral_constantIbLb0EES1E_IbLb1EEEEDaS1A_S1B_EUlS1A_E_NS1_11comp_targetILNS1_3genE5ELNS1_11target_archE942ELNS1_3gpuE9ELNS1_3repE0EEENS1_30default_config_static_selectorELNS0_4arch9wavefront6targetE1EEEvT1_,comdat
.Lfunc_end248:
	.size	_ZN7rocprim17ROCPRIM_400000_NS6detail17trampoline_kernelINS0_14default_configENS1_25partition_config_selectorILNS1_17partition_subalgoE2EiNS0_10empty_typeEbEEZZNS1_14partition_implILS5_2ELb0ES3_jN6thrust23THRUST_200600_302600_NS6detail15normal_iteratorINSA_7pointerIiNSA_11hip_rocprim3tagENSA_11use_defaultESG_EEEEPS6_NSA_18transform_iteratorI7is_evenIiENSC_INSA_10device_ptrIiEEEESG_SG_EENS0_5tupleIJPiSJ_EEENSR_IJSJ_SJ_EEES6_PlJS6_EEE10hipError_tPvRmT3_T4_T5_T6_T7_T9_mT8_P12ihipStream_tbDpT10_ENKUlT_T0_E_clISt17integral_constantIbLb0EES1E_IbLb1EEEEDaS1A_S1B_EUlS1A_E_NS1_11comp_targetILNS1_3genE5ELNS1_11target_archE942ELNS1_3gpuE9ELNS1_3repE0EEENS1_30default_config_static_selectorELNS0_4arch9wavefront6targetE1EEEvT1_, .Lfunc_end248-_ZN7rocprim17ROCPRIM_400000_NS6detail17trampoline_kernelINS0_14default_configENS1_25partition_config_selectorILNS1_17partition_subalgoE2EiNS0_10empty_typeEbEEZZNS1_14partition_implILS5_2ELb0ES3_jN6thrust23THRUST_200600_302600_NS6detail15normal_iteratorINSA_7pointerIiNSA_11hip_rocprim3tagENSA_11use_defaultESG_EEEEPS6_NSA_18transform_iteratorI7is_evenIiENSC_INSA_10device_ptrIiEEEESG_SG_EENS0_5tupleIJPiSJ_EEENSR_IJSJ_SJ_EEES6_PlJS6_EEE10hipError_tPvRmT3_T4_T5_T6_T7_T9_mT8_P12ihipStream_tbDpT10_ENKUlT_T0_E_clISt17integral_constantIbLb0EES1E_IbLb1EEEEDaS1A_S1B_EUlS1A_E_NS1_11comp_targetILNS1_3genE5ELNS1_11target_archE942ELNS1_3gpuE9ELNS1_3repE0EEENS1_30default_config_static_selectorELNS0_4arch9wavefront6targetE1EEEvT1_
                                        ; -- End function
	.section	.AMDGPU.csdata,"",@progbits
; Kernel info:
; codeLenInByte = 0
; NumSgprs: 4
; NumVgprs: 0
; NumAgprs: 0
; TotalNumVgprs: 0
; ScratchSize: 0
; MemoryBound: 0
; FloatMode: 240
; IeeeMode: 1
; LDSByteSize: 0 bytes/workgroup (compile time only)
; SGPRBlocks: 0
; VGPRBlocks: 0
; NumSGPRsForWavesPerEU: 4
; NumVGPRsForWavesPerEU: 1
; AccumOffset: 4
; Occupancy: 8
; WaveLimiterHint : 0
; COMPUTE_PGM_RSRC2:SCRATCH_EN: 0
; COMPUTE_PGM_RSRC2:USER_SGPR: 6
; COMPUTE_PGM_RSRC2:TRAP_HANDLER: 0
; COMPUTE_PGM_RSRC2:TGID_X_EN: 1
; COMPUTE_PGM_RSRC2:TGID_Y_EN: 0
; COMPUTE_PGM_RSRC2:TGID_Z_EN: 0
; COMPUTE_PGM_RSRC2:TIDIG_COMP_CNT: 0
; COMPUTE_PGM_RSRC3_GFX90A:ACCUM_OFFSET: 0
; COMPUTE_PGM_RSRC3_GFX90A:TG_SPLIT: 0
	.section	.text._ZN7rocprim17ROCPRIM_400000_NS6detail17trampoline_kernelINS0_14default_configENS1_25partition_config_selectorILNS1_17partition_subalgoE2EiNS0_10empty_typeEbEEZZNS1_14partition_implILS5_2ELb0ES3_jN6thrust23THRUST_200600_302600_NS6detail15normal_iteratorINSA_7pointerIiNSA_11hip_rocprim3tagENSA_11use_defaultESG_EEEEPS6_NSA_18transform_iteratorI7is_evenIiENSC_INSA_10device_ptrIiEEEESG_SG_EENS0_5tupleIJPiSJ_EEENSR_IJSJ_SJ_EEES6_PlJS6_EEE10hipError_tPvRmT3_T4_T5_T6_T7_T9_mT8_P12ihipStream_tbDpT10_ENKUlT_T0_E_clISt17integral_constantIbLb0EES1E_IbLb1EEEEDaS1A_S1B_EUlS1A_E_NS1_11comp_targetILNS1_3genE4ELNS1_11target_archE910ELNS1_3gpuE8ELNS1_3repE0EEENS1_30default_config_static_selectorELNS0_4arch9wavefront6targetE1EEEvT1_,"axG",@progbits,_ZN7rocprim17ROCPRIM_400000_NS6detail17trampoline_kernelINS0_14default_configENS1_25partition_config_selectorILNS1_17partition_subalgoE2EiNS0_10empty_typeEbEEZZNS1_14partition_implILS5_2ELb0ES3_jN6thrust23THRUST_200600_302600_NS6detail15normal_iteratorINSA_7pointerIiNSA_11hip_rocprim3tagENSA_11use_defaultESG_EEEEPS6_NSA_18transform_iteratorI7is_evenIiENSC_INSA_10device_ptrIiEEEESG_SG_EENS0_5tupleIJPiSJ_EEENSR_IJSJ_SJ_EEES6_PlJS6_EEE10hipError_tPvRmT3_T4_T5_T6_T7_T9_mT8_P12ihipStream_tbDpT10_ENKUlT_T0_E_clISt17integral_constantIbLb0EES1E_IbLb1EEEEDaS1A_S1B_EUlS1A_E_NS1_11comp_targetILNS1_3genE4ELNS1_11target_archE910ELNS1_3gpuE8ELNS1_3repE0EEENS1_30default_config_static_selectorELNS0_4arch9wavefront6targetE1EEEvT1_,comdat
	.protected	_ZN7rocprim17ROCPRIM_400000_NS6detail17trampoline_kernelINS0_14default_configENS1_25partition_config_selectorILNS1_17partition_subalgoE2EiNS0_10empty_typeEbEEZZNS1_14partition_implILS5_2ELb0ES3_jN6thrust23THRUST_200600_302600_NS6detail15normal_iteratorINSA_7pointerIiNSA_11hip_rocprim3tagENSA_11use_defaultESG_EEEEPS6_NSA_18transform_iteratorI7is_evenIiENSC_INSA_10device_ptrIiEEEESG_SG_EENS0_5tupleIJPiSJ_EEENSR_IJSJ_SJ_EEES6_PlJS6_EEE10hipError_tPvRmT3_T4_T5_T6_T7_T9_mT8_P12ihipStream_tbDpT10_ENKUlT_T0_E_clISt17integral_constantIbLb0EES1E_IbLb1EEEEDaS1A_S1B_EUlS1A_E_NS1_11comp_targetILNS1_3genE4ELNS1_11target_archE910ELNS1_3gpuE8ELNS1_3repE0EEENS1_30default_config_static_selectorELNS0_4arch9wavefront6targetE1EEEvT1_ ; -- Begin function _ZN7rocprim17ROCPRIM_400000_NS6detail17trampoline_kernelINS0_14default_configENS1_25partition_config_selectorILNS1_17partition_subalgoE2EiNS0_10empty_typeEbEEZZNS1_14partition_implILS5_2ELb0ES3_jN6thrust23THRUST_200600_302600_NS6detail15normal_iteratorINSA_7pointerIiNSA_11hip_rocprim3tagENSA_11use_defaultESG_EEEEPS6_NSA_18transform_iteratorI7is_evenIiENSC_INSA_10device_ptrIiEEEESG_SG_EENS0_5tupleIJPiSJ_EEENSR_IJSJ_SJ_EEES6_PlJS6_EEE10hipError_tPvRmT3_T4_T5_T6_T7_T9_mT8_P12ihipStream_tbDpT10_ENKUlT_T0_E_clISt17integral_constantIbLb0EES1E_IbLb1EEEEDaS1A_S1B_EUlS1A_E_NS1_11comp_targetILNS1_3genE4ELNS1_11target_archE910ELNS1_3gpuE8ELNS1_3repE0EEENS1_30default_config_static_selectorELNS0_4arch9wavefront6targetE1EEEvT1_
	.globl	_ZN7rocprim17ROCPRIM_400000_NS6detail17trampoline_kernelINS0_14default_configENS1_25partition_config_selectorILNS1_17partition_subalgoE2EiNS0_10empty_typeEbEEZZNS1_14partition_implILS5_2ELb0ES3_jN6thrust23THRUST_200600_302600_NS6detail15normal_iteratorINSA_7pointerIiNSA_11hip_rocprim3tagENSA_11use_defaultESG_EEEEPS6_NSA_18transform_iteratorI7is_evenIiENSC_INSA_10device_ptrIiEEEESG_SG_EENS0_5tupleIJPiSJ_EEENSR_IJSJ_SJ_EEES6_PlJS6_EEE10hipError_tPvRmT3_T4_T5_T6_T7_T9_mT8_P12ihipStream_tbDpT10_ENKUlT_T0_E_clISt17integral_constantIbLb0EES1E_IbLb1EEEEDaS1A_S1B_EUlS1A_E_NS1_11comp_targetILNS1_3genE4ELNS1_11target_archE910ELNS1_3gpuE8ELNS1_3repE0EEENS1_30default_config_static_selectorELNS0_4arch9wavefront6targetE1EEEvT1_
	.p2align	8
	.type	_ZN7rocprim17ROCPRIM_400000_NS6detail17trampoline_kernelINS0_14default_configENS1_25partition_config_selectorILNS1_17partition_subalgoE2EiNS0_10empty_typeEbEEZZNS1_14partition_implILS5_2ELb0ES3_jN6thrust23THRUST_200600_302600_NS6detail15normal_iteratorINSA_7pointerIiNSA_11hip_rocprim3tagENSA_11use_defaultESG_EEEEPS6_NSA_18transform_iteratorI7is_evenIiENSC_INSA_10device_ptrIiEEEESG_SG_EENS0_5tupleIJPiSJ_EEENSR_IJSJ_SJ_EEES6_PlJS6_EEE10hipError_tPvRmT3_T4_T5_T6_T7_T9_mT8_P12ihipStream_tbDpT10_ENKUlT_T0_E_clISt17integral_constantIbLb0EES1E_IbLb1EEEEDaS1A_S1B_EUlS1A_E_NS1_11comp_targetILNS1_3genE4ELNS1_11target_archE910ELNS1_3gpuE8ELNS1_3repE0EEENS1_30default_config_static_selectorELNS0_4arch9wavefront6targetE1EEEvT1_,@function
_ZN7rocprim17ROCPRIM_400000_NS6detail17trampoline_kernelINS0_14default_configENS1_25partition_config_selectorILNS1_17partition_subalgoE2EiNS0_10empty_typeEbEEZZNS1_14partition_implILS5_2ELb0ES3_jN6thrust23THRUST_200600_302600_NS6detail15normal_iteratorINSA_7pointerIiNSA_11hip_rocprim3tagENSA_11use_defaultESG_EEEEPS6_NSA_18transform_iteratorI7is_evenIiENSC_INSA_10device_ptrIiEEEESG_SG_EENS0_5tupleIJPiSJ_EEENSR_IJSJ_SJ_EEES6_PlJS6_EEE10hipError_tPvRmT3_T4_T5_T6_T7_T9_mT8_P12ihipStream_tbDpT10_ENKUlT_T0_E_clISt17integral_constantIbLb0EES1E_IbLb1EEEEDaS1A_S1B_EUlS1A_E_NS1_11comp_targetILNS1_3genE4ELNS1_11target_archE910ELNS1_3gpuE8ELNS1_3repE0EEENS1_30default_config_static_selectorELNS0_4arch9wavefront6targetE1EEEvT1_: ; @_ZN7rocprim17ROCPRIM_400000_NS6detail17trampoline_kernelINS0_14default_configENS1_25partition_config_selectorILNS1_17partition_subalgoE2EiNS0_10empty_typeEbEEZZNS1_14partition_implILS5_2ELb0ES3_jN6thrust23THRUST_200600_302600_NS6detail15normal_iteratorINSA_7pointerIiNSA_11hip_rocprim3tagENSA_11use_defaultESG_EEEEPS6_NSA_18transform_iteratorI7is_evenIiENSC_INSA_10device_ptrIiEEEESG_SG_EENS0_5tupleIJPiSJ_EEENSR_IJSJ_SJ_EEES6_PlJS6_EEE10hipError_tPvRmT3_T4_T5_T6_T7_T9_mT8_P12ihipStream_tbDpT10_ENKUlT_T0_E_clISt17integral_constantIbLb0EES1E_IbLb1EEEEDaS1A_S1B_EUlS1A_E_NS1_11comp_targetILNS1_3genE4ELNS1_11target_archE910ELNS1_3gpuE8ELNS1_3repE0EEENS1_30default_config_static_selectorELNS0_4arch9wavefront6targetE1EEEvT1_
; %bb.0:
	s_load_dwordx2 s[6:7], s[4:5], 0x20
	s_load_dwordx2 s[24:25], s[4:5], 0x30
	s_load_dwordx2 s[26:27], s[4:5], 0x60
	s_load_dwordx4 s[20:23], s[4:5], 0x50
	s_load_dwordx2 s[34:35], s[4:5], 0x70
	v_cmp_eq_u32_e64 s[0:1], 0, v0
	s_and_saveexec_b64 s[2:3], s[0:1]
	s_cbranch_execz .LBB249_4
; %bb.1:
	s_mov_b64 s[10:11], exec
	v_mbcnt_lo_u32_b32 v1, s10, 0
	v_mbcnt_hi_u32_b32 v1, s11, v1
	v_cmp_eq_u32_e32 vcc, 0, v1
                                        ; implicit-def: $vgpr2
	s_and_saveexec_b64 s[8:9], vcc
	s_cbranch_execz .LBB249_3
; %bb.2:
	s_load_dwordx2 s[12:13], s[4:5], 0x80
	s_bcnt1_i32_b64 s10, s[10:11]
	v_mov_b32_e32 v2, 0
	v_mov_b32_e32 v3, s10
	s_waitcnt lgkmcnt(0)
	global_atomic_add v2, v2, v3, s[12:13] glc
.LBB249_3:
	s_or_b64 exec, exec, s[8:9]
	s_waitcnt vmcnt(0)
	v_readfirstlane_b32 s8, v2
	v_add_u32_e32 v1, s8, v1
	v_mov_b32_e32 v2, 0
	ds_write_b32 v2, v1
.LBB249_4:
	s_or_b64 exec, exec, s[2:3]
	v_mov_b32_e32 v1, 0
	s_load_dwordx4 s[16:19], s[4:5], 0x8
	s_load_dword s2, s[4:5], 0x78
	s_waitcnt lgkmcnt(0)
	s_barrier
	ds_read_b32 v2, v1
	s_waitcnt lgkmcnt(0)
	s_barrier
	global_load_dwordx2 v[12:13], v1, s[22:23]
	s_lshl_b64 s[4:5], s[18:19], 2
	s_add_u32 s10, s16, s4
	s_addc_u32 s11, s17, s5
	s_add_i32 s8, s2, -1
	s_mulk_i32 s2, 0xa00
	s_add_i32 s3, s2, s18
	s_sub_i32 s33, s26, s3
	s_addk_i32 s33, 0xa00
	s_add_u32 s2, s18, s2
	v_readfirstlane_b32 s42, v2
	s_addc_u32 s3, s19, 0
	s_cmp_eq_u32 s42, s8
	v_pk_mov_b32 v[2:3], s[26:27], s[26:27] op_sel:[0,1]
	s_cselect_b64 s[22:23], -1, 0
	s_cmp_lg_u32 s42, s8
	s_mul_i32 s28, s42, 0xa00
	s_mov_b32 s29, 0
	v_cmp_lt_u64_e32 vcc, s[2:3], v[2:3]
	s_cselect_b64 s[2:3], -1, 0
	s_or_b64 s[30:31], vcc, s[2:3]
	s_lshl_b64 s[8:9], s[28:29], 2
	s_add_u32 s12, s10, s8
	s_addc_u32 s13, s11, s9
	s_mov_b64 s[2:3], -1
	s_and_b64 vcc, exec, s[30:31]
	v_lshlrev_b32_e32 v1, 2, v0
	s_cbranch_vccz .LBB249_6
; %bb.5:
	v_mov_b32_e32 v3, s13
	v_add_co_u32_e32 v2, vcc, s12, v1
	v_addc_co_u32_e32 v3, vcc, 0, v3, vcc
	v_add_co_u32_e32 v4, vcc, 0x1000, v2
	v_addc_co_u32_e32 v5, vcc, 0, v3, vcc
	flat_load_dword v6, v[2:3]
	flat_load_dword v7, v[2:3] offset:1024
	flat_load_dword v8, v[2:3] offset:2048
	;; [unrolled: 1-line block ×3, first 2 shown]
	flat_load_dword v10, v[4:5]
	flat_load_dword v11, v[4:5] offset:1024
	flat_load_dword v14, v[4:5] offset:2048
	flat_load_dword v15, v[4:5] offset:3072
	v_add_co_u32_e32 v2, vcc, 0x2000, v2
	v_addc_co_u32_e32 v3, vcc, 0, v3, vcc
	flat_load_dword v4, v[2:3]
	flat_load_dword v5, v[2:3] offset:1024
	s_mov_b64 s[2:3], 0
	s_waitcnt vmcnt(0) lgkmcnt(0)
	ds_write2st64_b32 v1, v6, v7 offset1:4
	ds_write2st64_b32 v1, v8, v9 offset0:8 offset1:12
	ds_write2st64_b32 v1, v10, v11 offset0:16 offset1:20
	;; [unrolled: 1-line block ×4, first 2 shown]
	s_waitcnt lgkmcnt(0)
	s_barrier
.LBB249_6:
	s_andn2_b64 vcc, exec, s[2:3]
	v_cmp_gt_u32_e64 s[2:3], s33, v0
	s_cbranch_vccnz .LBB249_28
; %bb.7:
                                        ; implicit-def: $vgpr2_vgpr3_vgpr4_vgpr5_vgpr6_vgpr7_vgpr8_vgpr9_vgpr10_vgpr11
	s_and_saveexec_b64 s[10:11], s[2:3]
	s_cbranch_execz .LBB249_9
; %bb.8:
	v_mov_b32_e32 v3, s13
	v_add_co_u32_e32 v2, vcc, s12, v1
	v_addc_co_u32_e32 v3, vcc, 0, v3, vcc
	flat_load_dword v2, v[2:3]
.LBB249_9:
	s_or_b64 exec, exec, s[10:11]
	v_or_b32_e32 v14, 0x100, v0
	v_cmp_gt_u32_e32 vcc, s33, v14
	s_and_saveexec_b64 s[2:3], vcc
	s_cbranch_execz .LBB249_11
; %bb.10:
	v_mov_b32_e32 v3, s13
	v_add_co_u32_e32 v14, vcc, s12, v1
	v_addc_co_u32_e32 v15, vcc, 0, v3, vcc
	flat_load_dword v3, v[14:15] offset:1024
.LBB249_11:
	s_or_b64 exec, exec, s[2:3]
	v_or_b32_e32 v14, 0x200, v0
	v_cmp_gt_u32_e32 vcc, s33, v14
	s_and_saveexec_b64 s[2:3], vcc
	s_cbranch_execz .LBB249_13
; %bb.12:
	v_mov_b32_e32 v4, s13
	v_add_co_u32_e32 v14, vcc, s12, v1
	v_addc_co_u32_e32 v15, vcc, 0, v4, vcc
	flat_load_dword v4, v[14:15] offset:2048
.LBB249_13:
	;; [unrolled: 11-line block ×3, first 2 shown]
	s_or_b64 exec, exec, s[2:3]
	v_or_b32_e32 v14, 0x400, v0
	v_cmp_gt_u32_e32 vcc, s33, v14
	s_and_saveexec_b64 s[2:3], vcc
	s_cbranch_execz .LBB249_17
; %bb.16:
	v_lshlrev_b32_e32 v6, 2, v14
	v_mov_b32_e32 v15, s13
	v_add_co_u32_e32 v14, vcc, s12, v6
	v_addc_co_u32_e32 v15, vcc, 0, v15, vcc
	flat_load_dword v6, v[14:15]
.LBB249_17:
	s_or_b64 exec, exec, s[2:3]
	v_or_b32_e32 v14, 0x500, v0
	v_cmp_gt_u32_e32 vcc, s33, v14
	s_and_saveexec_b64 s[2:3], vcc
	s_cbranch_execz .LBB249_19
; %bb.18:
	v_lshlrev_b32_e32 v7, 2, v14
	v_mov_b32_e32 v15, s13
	v_add_co_u32_e32 v14, vcc, s12, v7
	v_addc_co_u32_e32 v15, vcc, 0, v15, vcc
	flat_load_dword v7, v[14:15]
.LBB249_19:
	;; [unrolled: 12-line block ×6, first 2 shown]
	s_or_b64 exec, exec, s[2:3]
	s_waitcnt vmcnt(0) lgkmcnt(0)
	ds_write2st64_b32 v1, v2, v3 offset1:4
	ds_write2st64_b32 v1, v4, v5 offset0:8 offset1:12
	ds_write2st64_b32 v1, v6, v7 offset0:16 offset1:20
	;; [unrolled: 1-line block ×4, first 2 shown]
	s_waitcnt lgkmcnt(0)
	s_barrier
.LBB249_28:
	v_mul_u32_u24_e32 v26, 10, v0
	v_lshlrev_b32_e32 v10, 2, v26
	ds_read2_b64 v[6:9], v10 offset1:1
	ds_read2_b64 v[2:5], v10 offset0:2 offset1:3
	ds_read_b64 v[14:15], v10 offset:32
	s_add_u32 s2, s6, s4
	s_addc_u32 s3, s7, s5
	s_add_u32 s2, s2, s8
	s_addc_u32 s3, s3, s9
	s_mov_b64 s[4:5], -1
	s_and_b64 vcc, exec, s[30:31]
	s_waitcnt lgkmcnt(0)
	s_barrier
	s_cbranch_vccz .LBB249_30
; %bb.29:
	v_mov_b32_e32 v11, s3
	v_add_co_u32_e32 v18, vcc, s2, v1
	v_addc_co_u32_e32 v11, vcc, 0, v11, vcc
	s_movk_i32 s4, 0x1000
	v_add_co_u32_e32 v16, vcc, s4, v18
	global_load_dword v20, v1, s[2:3]
	global_load_dword v21, v1, s[2:3] offset:1024
	global_load_dword v22, v1, s[2:3] offset:2048
	;; [unrolled: 1-line block ×3, first 2 shown]
	v_addc_co_u32_e32 v17, vcc, 0, v11, vcc
	s_movk_i32 s4, 0x2000
	v_add_co_u32_e32 v18, vcc, s4, v18
	v_addc_co_u32_e32 v19, vcc, 0, v11, vcc
	global_load_dword v11, v[16:17], off offset:1024
	global_load_dword v24, v[16:17], off offset:2048
	global_load_dword v25, v[18:19], off offset:-4096
	global_load_dword v27, v[18:19], off
	global_load_dword v28, v[18:19], off offset:1024
	global_load_dword v29, v[16:17], off offset:3072
	s_mov_b64 s[4:5], 0
	s_waitcnt vmcnt(9)
	v_xor_b32_e32 v16, -1, v20
	s_waitcnt vmcnt(8)
	v_xor_b32_e32 v17, -1, v21
	;; [unrolled: 2-line block ×4, first 2 shown]
	v_and_b32_e32 v16, 1, v16
	v_and_b32_e32 v17, 1, v17
	;; [unrolled: 1-line block ×4, first 2 shown]
	s_waitcnt vmcnt(5)
	v_xor_b32_e32 v11, -1, v11
	ds_write_b8 v0, v16
	ds_write_b8 v0, v17 offset:256
	ds_write_b8 v0, v18 offset:512
	;; [unrolled: 1-line block ×3, first 2 shown]
	s_waitcnt vmcnt(4)
	v_xor_b32_e32 v16, -1, v24
	s_waitcnt vmcnt(3)
	v_xor_b32_e32 v17, -1, v25
	v_and_b32_e32 v11, 1, v11
	s_waitcnt vmcnt(0)
	v_xor_b32_e32 v18, -1, v29
	v_xor_b32_e32 v19, -1, v27
	;; [unrolled: 1-line block ×3, first 2 shown]
	v_and_b32_e32 v16, 1, v16
	v_and_b32_e32 v17, 1, v17
	v_and_b32_e32 v18, 1, v18
	v_and_b32_e32 v19, 1, v19
	v_and_b32_e32 v20, 1, v20
	ds_write_b8 v0, v11 offset:1280
	ds_write_b8 v0, v16 offset:1536
	;; [unrolled: 1-line block ×6, first 2 shown]
	s_waitcnt lgkmcnt(0)
	s_barrier
.LBB249_30:
	s_andn2_b64 vcc, exec, s[4:5]
	s_cbranch_vccnz .LBB249_52
; %bb.31:
	v_cmp_gt_u32_e32 vcc, s33, v0
	v_mov_b32_e32 v11, 0
	v_mov_b32_e32 v16, 0
	s_and_saveexec_b64 s[4:5], vcc
	s_cbranch_execz .LBB249_33
; %bb.32:
	global_load_dword v16, v1, s[2:3]
	s_waitcnt vmcnt(0)
	v_xor_b32_e32 v16, -1, v16
	v_and_b32_e32 v16, 1, v16
.LBB249_33:
	s_or_b64 exec, exec, s[4:5]
	v_or_b32_e32 v17, 0x100, v0
	v_cmp_gt_u32_e32 vcc, s33, v17
	s_and_saveexec_b64 s[4:5], vcc
	s_cbranch_execz .LBB249_35
; %bb.34:
	global_load_dword v11, v1, s[2:3] offset:1024
	s_waitcnt vmcnt(0)
	v_xor_b32_e32 v11, -1, v11
	v_and_b32_e32 v11, 1, v11
.LBB249_35:
	s_or_b64 exec, exec, s[4:5]
	v_or_b32_e32 v17, 0x200, v0
	v_cmp_gt_u32_e32 vcc, s33, v17
	v_mov_b32_e32 v17, 0
	v_mov_b32_e32 v18, 0
	s_and_saveexec_b64 s[4:5], vcc
	s_cbranch_execz .LBB249_37
; %bb.36:
	global_load_dword v18, v1, s[2:3] offset:2048
	s_waitcnt vmcnt(0)
	v_xor_b32_e32 v18, -1, v18
	v_and_b32_e32 v18, 1, v18
.LBB249_37:
	s_or_b64 exec, exec, s[4:5]
	v_or_b32_e32 v19, 0x300, v0
	v_cmp_gt_u32_e32 vcc, s33, v19
	s_and_saveexec_b64 s[4:5], vcc
	s_cbranch_execz .LBB249_39
; %bb.38:
	global_load_dword v17, v1, s[2:3] offset:3072
	s_waitcnt vmcnt(0)
	v_xor_b32_e32 v17, -1, v17
	v_and_b32_e32 v17, 1, v17
.LBB249_39:
	s_or_b64 exec, exec, s[4:5]
	v_or_b32_e32 v21, 0x400, v0
	v_cmp_gt_u32_e32 vcc, s33, v21
	v_mov_b32_e32 v19, 0
	v_mov_b32_e32 v20, 0
	s_and_saveexec_b64 s[4:5], vcc
	s_cbranch_execz .LBB249_41
; %bb.40:
	v_lshlrev_b32_e32 v20, 2, v21
	global_load_dword v20, v20, s[2:3]
	s_waitcnt vmcnt(0)
	v_xor_b32_e32 v20, -1, v20
	v_and_b32_e32 v20, 1, v20
.LBB249_41:
	s_or_b64 exec, exec, s[4:5]
	v_or_b32_e32 v21, 0x500, v0
	v_cmp_gt_u32_e32 vcc, s33, v21
	s_and_saveexec_b64 s[4:5], vcc
	s_cbranch_execz .LBB249_43
; %bb.42:
	v_lshlrev_b32_e32 v19, 2, v21
	global_load_dword v19, v19, s[2:3]
	s_waitcnt vmcnt(0)
	v_xor_b32_e32 v19, -1, v19
	v_and_b32_e32 v19, 1, v19
.LBB249_43:
	s_or_b64 exec, exec, s[4:5]
	v_or_b32_e32 v23, 0x600, v0
	v_cmp_gt_u32_e32 vcc, s33, v23
	v_mov_b32_e32 v21, 0
	v_mov_b32_e32 v22, 0
	s_and_saveexec_b64 s[4:5], vcc
	s_cbranch_execz .LBB249_45
; %bb.44:
	v_lshlrev_b32_e32 v22, 2, v23
	global_load_dword v22, v22, s[2:3]
	s_waitcnt vmcnt(0)
	v_xor_b32_e32 v22, -1, v22
	v_and_b32_e32 v22, 1, v22
.LBB249_45:
	s_or_b64 exec, exec, s[4:5]
	v_or_b32_e32 v23, 0x700, v0
	v_cmp_gt_u32_e32 vcc, s33, v23
	s_and_saveexec_b64 s[4:5], vcc
	s_cbranch_execz .LBB249_47
; %bb.46:
	v_lshlrev_b32_e32 v21, 2, v23
	global_load_dword v21, v21, s[2:3]
	s_waitcnt vmcnt(0)
	v_xor_b32_e32 v21, -1, v21
	v_and_b32_e32 v21, 1, v21
.LBB249_47:
	;; [unrolled: 26-line block ×3, first 2 shown]
	s_or_b64 exec, exec, s[4:5]
	ds_write_b8 v0, v16
	ds_write_b8 v0, v11 offset:256
	ds_write_b8 v0, v18 offset:512
	ds_write_b8 v0, v17 offset:768
	ds_write_b8 v0, v20 offset:1024
	ds_write_b8 v0, v19 offset:1280
	ds_write_b8 v0, v22 offset:1536
	ds_write_b8 v0, v21 offset:1792
	ds_write_b8 v0, v24 offset:2048
	ds_write_b8 v0, v23 offset:2304
	s_waitcnt lgkmcnt(0)
	s_barrier
.LBB249_52:
	s_movk_i32 s2, 0xffe2
	v_mad_i32_i24 v37, v0, s2, v10
	ds_read_b64 v[16:17], v37
	ds_read_u16 v28, v37 offset:8
	s_cmp_lg_u32 s42, 0
	v_lshrrev_b32_e32 v38, 6, v0
	s_waitcnt lgkmcnt(0)
	v_lshrrev_b32_e32 v30, 24, v16
	v_bfe_u32 v35, v16, 16, 8
	v_add_u32_sdwa v10, v16, v16 dst_sel:DWORD dst_unused:UNUSED_PAD src0_sel:BYTE_1 src1_sel:BYTE_0
	v_and_b32_e32 v32, 0xff, v17
	v_bfe_u32 v33, v17, 8, 8
	v_add3_u32 v10, v10, v35, v30
	v_lshrrev_b32_e32 v29, 24, v17
	v_bfe_u32 v34, v17, 16, 8
	v_add3_u32 v10, v10, v32, v33
	v_lshrrev_b16_e32 v27, 8, v28
	v_and_b32_e32 v31, 0xff, v28
	v_add3_u32 v10, v10, v34, v29
	v_add3_u32 v39, v10, v31, v27
	v_mbcnt_lo_u32_b32 v10, -1, 0
	v_mbcnt_hi_u32_b32 v36, -1, v10
	v_and_b32_e32 v10, 15, v36
	v_cmp_eq_u32_e64 s[14:15], 0, v10
	v_cmp_lt_u32_e64 s[12:13], 1, v10
	v_cmp_lt_u32_e64 s[10:11], 3, v10
	v_cmp_lt_u32_e64 s[8:9], 7, v10
	v_and_b32_e32 v10, 16, v36
	v_cmp_eq_u32_e64 s[6:7], 0, v10
	v_or_b32_e32 v10, 63, v0
	v_cmp_lt_u32_e64 s[2:3], 31, v36
	v_cmp_eq_u32_e64 s[4:5], v10, v0
	s_barrier
	s_cbranch_scc0 .LBB249_79
; %bb.53:
	v_mov_b32_dpp v10, v39 row_shr:1 row_mask:0xf bank_mask:0xf
	v_cndmask_b32_e64 v10, v10, 0, s[14:15]
	v_add_u32_e32 v10, v10, v39
	s_nop 1
	v_mov_b32_dpp v11, v10 row_shr:2 row_mask:0xf bank_mask:0xf
	v_cndmask_b32_e64 v11, 0, v11, s[12:13]
	v_add_u32_e32 v10, v10, v11
	s_nop 1
	;; [unrolled: 4-line block ×4, first 2 shown]
	v_mov_b32_dpp v11, v10 row_bcast:15 row_mask:0xf bank_mask:0xf
	v_cndmask_b32_e64 v11, v11, 0, s[6:7]
	v_add_u32_e32 v10, v10, v11
	s_nop 1
	v_mov_b32_dpp v11, v10 row_bcast:31 row_mask:0xf bank_mask:0xf
	v_cndmask_b32_e64 v11, 0, v11, s[2:3]
	v_add_u32_e32 v10, v10, v11
	s_and_saveexec_b64 s[16:17], s[4:5]
	s_cbranch_execz .LBB249_55
; %bb.54:
	v_lshlrev_b32_e32 v11, 2, v38
	ds_write_b32 v11, v10
.LBB249_55:
	s_or_b64 exec, exec, s[16:17]
	v_cmp_gt_u32_e32 vcc, 4, v0
	s_waitcnt lgkmcnt(0)
	s_barrier
	s_and_saveexec_b64 s[16:17], vcc
	s_cbranch_execz .LBB249_57
; %bb.56:
	ds_read_b32 v11, v1
	v_and_b32_e32 v18, 3, v36
	v_cmp_ne_u32_e32 vcc, 0, v18
	s_waitcnt lgkmcnt(0)
	v_mov_b32_dpp v19, v11 row_shr:1 row_mask:0xf bank_mask:0xf
	v_cndmask_b32_e32 v19, 0, v19, vcc
	v_add_u32_e32 v11, v19, v11
	v_cmp_lt_u32_e32 vcc, 1, v18
	s_nop 0
	v_mov_b32_dpp v19, v11 row_shr:2 row_mask:0xf bank_mask:0xf
	v_cndmask_b32_e32 v18, 0, v19, vcc
	v_add_u32_e32 v11, v11, v18
	ds_write_b32 v1, v11
.LBB249_57:
	s_or_b64 exec, exec, s[16:17]
	v_cmp_gt_u32_e32 vcc, 64, v0
	v_cmp_lt_u32_e64 s[16:17], 63, v0
	s_waitcnt lgkmcnt(0)
	s_barrier
	s_waitcnt lgkmcnt(0)
                                        ; implicit-def: $vgpr40
	s_and_saveexec_b64 s[36:37], s[16:17]
	s_cbranch_execz .LBB249_59
; %bb.58:
	v_lshl_add_u32 v11, v38, 2, -4
	ds_read_b32 v40, v11
	s_waitcnt lgkmcnt(0)
	v_add_u32_e32 v10, v40, v10
.LBB249_59:
	s_or_b64 exec, exec, s[36:37]
	v_add_u32_e32 v11, -1, v36
	v_and_b32_e32 v18, 64, v36
	v_cmp_lt_i32_e64 s[16:17], v11, v18
	v_cndmask_b32_e64 v11, v11, v36, s[16:17]
	v_lshlrev_b32_e32 v11, 2, v11
	ds_bpermute_b32 v41, v11, v10
	v_cmp_eq_u32_e64 s[16:17], 0, v36
	s_and_saveexec_b64 s[36:37], vcc
	s_cbranch_execz .LBB249_78
; %bb.60:
	v_mov_b32_e32 v23, 0
	ds_read_b32 v10, v23 offset:12
	s_and_saveexec_b64 s[38:39], s[16:17]
	s_cbranch_execz .LBB249_62
; %bb.61:
	s_add_i32 s40, s42, 64
	s_mov_b32 s41, 0
	s_lshl_b64 s[40:41], s[40:41], 3
	s_add_u32 s40, s34, s40
	v_mov_b32_e32 v11, 1
	s_addc_u32 s41, s35, s41
	s_waitcnt lgkmcnt(0)
	global_store_dwordx2 v23, v[10:11], s[40:41]
.LBB249_62:
	s_or_b64 exec, exec, s[38:39]
	v_xad_u32 v18, v36, -1, s42
	v_add_u32_e32 v22, 64, v18
	v_lshlrev_b64 v[20:21], 3, v[22:23]
	v_mov_b32_e32 v11, s35
	v_add_co_u32_e32 v24, vcc, s34, v20
	v_addc_co_u32_e32 v25, vcc, v11, v21, vcc
	global_load_dwordx2 v[20:21], v[24:25], off glc
	s_waitcnt vmcnt(0)
	v_cmp_eq_u16_sdwa s[40:41], v21, v23 src0_sel:BYTE_0 src1_sel:DWORD
	s_and_saveexec_b64 s[38:39], s[40:41]
	s_cbranch_execz .LBB249_66
; %bb.63:
	s_mov_b64 s[40:41], 0
	v_mov_b32_e32 v11, 0
.LBB249_64:                             ; =>This Inner Loop Header: Depth=1
	global_load_dwordx2 v[20:21], v[24:25], off glc
	s_waitcnt vmcnt(0)
	v_cmp_ne_u16_sdwa s[44:45], v21, v11 src0_sel:BYTE_0 src1_sel:DWORD
	s_or_b64 s[40:41], s[44:45], s[40:41]
	s_andn2_b64 exec, exec, s[40:41]
	s_cbranch_execnz .LBB249_64
; %bb.65:
	s_or_b64 exec, exec, s[40:41]
.LBB249_66:
	s_or_b64 exec, exec, s[38:39]
	v_and_b32_e32 v43, 63, v36
	v_mov_b32_e32 v42, 2
	v_cmp_ne_u32_e32 vcc, 63, v43
	v_cmp_eq_u16_sdwa s[38:39], v21, v42 src0_sel:BYTE_0 src1_sel:DWORD
	v_lshlrev_b64 v[22:23], v36, -1
	v_addc_co_u32_e32 v24, vcc, 0, v36, vcc
	v_and_b32_e32 v11, s39, v23
	v_lshlrev_b32_e32 v44, 2, v24
	v_or_b32_e32 v11, 0x80000000, v11
	ds_bpermute_b32 v24, v44, v20
	v_and_b32_e32 v19, s38, v22
	v_ffbl_b32_e32 v11, v11
	v_add_u32_e32 v11, 32, v11
	v_ffbl_b32_e32 v19, v19
	v_min_u32_e32 v11, v19, v11
	v_cmp_lt_u32_e32 vcc, v43, v11
	s_waitcnt lgkmcnt(0)
	v_cndmask_b32_e32 v19, 0, v24, vcc
	v_cmp_gt_u32_e32 vcc, 62, v43
	v_add_u32_e32 v19, v19, v20
	v_cndmask_b32_e64 v20, 0, 1, vcc
	v_lshlrev_b32_e32 v20, 1, v20
	v_add_lshl_u32 v45, v20, v36, 2
	ds_bpermute_b32 v20, v45, v19
	v_add_u32_e32 v46, 2, v43
	v_cmp_le_u32_e32 vcc, v46, v11
	v_add_u32_e32 v48, 4, v43
	v_add_u32_e32 v50, 8, v43
	s_waitcnt lgkmcnt(0)
	v_cndmask_b32_e32 v20, 0, v20, vcc
	v_cmp_gt_u32_e32 vcc, 60, v43
	v_add_u32_e32 v19, v19, v20
	v_cndmask_b32_e64 v20, 0, 1, vcc
	v_lshlrev_b32_e32 v20, 2, v20
	v_add_lshl_u32 v47, v20, v36, 2
	ds_bpermute_b32 v20, v47, v19
	v_cmp_le_u32_e32 vcc, v48, v11
	v_add_u32_e32 v52, 16, v43
	v_add_u32_e32 v54, 32, v43
	s_waitcnt lgkmcnt(0)
	v_cndmask_b32_e32 v20, 0, v20, vcc
	v_cmp_gt_u32_e32 vcc, 56, v43
	v_add_u32_e32 v19, v19, v20
	v_cndmask_b32_e64 v20, 0, 1, vcc
	v_lshlrev_b32_e32 v20, 3, v20
	v_add_lshl_u32 v49, v20, v36, 2
	ds_bpermute_b32 v20, v49, v19
	v_cmp_le_u32_e32 vcc, v50, v11
	s_waitcnt lgkmcnt(0)
	v_cndmask_b32_e32 v20, 0, v20, vcc
	v_cmp_gt_u32_e32 vcc, 48, v43
	v_add_u32_e32 v19, v19, v20
	v_cndmask_b32_e64 v20, 0, 1, vcc
	v_lshlrev_b32_e32 v20, 4, v20
	v_add_lshl_u32 v51, v20, v36, 2
	ds_bpermute_b32 v20, v51, v19
	v_cmp_le_u32_e32 vcc, v52, v11
	;; [unrolled: 9-line block ×3, first 2 shown]
	s_waitcnt lgkmcnt(0)
	v_cndmask_b32_e32 v11, 0, v20, vcc
	v_add_u32_e32 v20, v19, v11
	v_mov_b32_e32 v19, 0
	s_branch .LBB249_68
.LBB249_67:                             ;   in Loop: Header=BB249_68 Depth=1
	s_or_b64 exec, exec, s[38:39]
	v_cmp_eq_u16_sdwa s[38:39], v21, v42 src0_sel:BYTE_0 src1_sel:DWORD
	v_and_b32_e32 v24, s39, v23
	v_or_b32_e32 v24, 0x80000000, v24
	ds_bpermute_b32 v55, v44, v20
	v_and_b32_e32 v25, s38, v22
	v_ffbl_b32_e32 v24, v24
	v_add_u32_e32 v24, 32, v24
	v_ffbl_b32_e32 v25, v25
	v_min_u32_e32 v24, v25, v24
	v_cmp_lt_u32_e32 vcc, v43, v24
	s_waitcnt lgkmcnt(0)
	v_cndmask_b32_e32 v25, 0, v55, vcc
	v_add_u32_e32 v20, v25, v20
	ds_bpermute_b32 v25, v45, v20
	v_cmp_le_u32_e32 vcc, v46, v24
	v_subrev_u32_e32 v18, 64, v18
	s_waitcnt lgkmcnt(0)
	v_cndmask_b32_e32 v25, 0, v25, vcc
	v_add_u32_e32 v20, v20, v25
	ds_bpermute_b32 v25, v47, v20
	v_cmp_le_u32_e32 vcc, v48, v24
	s_waitcnt lgkmcnt(0)
	v_cndmask_b32_e32 v25, 0, v25, vcc
	v_add_u32_e32 v20, v20, v25
	ds_bpermute_b32 v25, v49, v20
	v_cmp_le_u32_e32 vcc, v50, v24
	;; [unrolled: 5-line block ×4, first 2 shown]
	s_waitcnt lgkmcnt(0)
	v_cndmask_b32_e32 v24, 0, v25, vcc
	v_add3_u32 v20, v24, v11, v20
.LBB249_68:                             ; =>This Loop Header: Depth=1
                                        ;     Child Loop BB249_71 Depth 2
	v_cmp_ne_u16_sdwa s[38:39], v21, v42 src0_sel:BYTE_0 src1_sel:DWORD
	v_cndmask_b32_e64 v11, 0, 1, s[38:39]
	;;#ASMSTART
	;;#ASMEND
	v_cmp_ne_u32_e32 vcc, 0, v11
	s_cmp_lg_u64 vcc, exec
	v_mov_b32_e32 v11, v20
	s_cbranch_scc1 .LBB249_73
; %bb.69:                               ;   in Loop: Header=BB249_68 Depth=1
	v_lshlrev_b64 v[20:21], 3, v[18:19]
	v_mov_b32_e32 v25, s35
	v_add_co_u32_e32 v24, vcc, s34, v20
	v_addc_co_u32_e32 v25, vcc, v25, v21, vcc
	global_load_dwordx2 v[20:21], v[24:25], off glc
	s_waitcnt vmcnt(0)
	v_cmp_eq_u16_sdwa s[40:41], v21, v19 src0_sel:BYTE_0 src1_sel:DWORD
	s_and_saveexec_b64 s[38:39], s[40:41]
	s_cbranch_execz .LBB249_67
; %bb.70:                               ;   in Loop: Header=BB249_68 Depth=1
	s_mov_b64 s[40:41], 0
.LBB249_71:                             ;   Parent Loop BB249_68 Depth=1
                                        ; =>  This Inner Loop Header: Depth=2
	global_load_dwordx2 v[20:21], v[24:25], off glc
	s_waitcnt vmcnt(0)
	v_cmp_ne_u16_sdwa s[44:45], v21, v19 src0_sel:BYTE_0 src1_sel:DWORD
	s_or_b64 s[40:41], s[44:45], s[40:41]
	s_andn2_b64 exec, exec, s[40:41]
	s_cbranch_execnz .LBB249_71
; %bb.72:                               ;   in Loop: Header=BB249_68 Depth=1
	s_or_b64 exec, exec, s[40:41]
	s_branch .LBB249_67
.LBB249_73:                             ;   in Loop: Header=BB249_68 Depth=1
                                        ; implicit-def: $vgpr20
                                        ; implicit-def: $vgpr21
	s_cbranch_execz .LBB249_68
; %bb.74:
	s_and_saveexec_b64 s[38:39], s[16:17]
	s_cbranch_execz .LBB249_76
; %bb.75:
	s_add_i32 s40, s42, 64
	s_mov_b32 s41, 0
	s_lshl_b64 s[40:41], s[40:41], 3
	s_add_u32 s40, s34, s40
	v_add_u32_e32 v18, v11, v10
	v_mov_b32_e32 v19, 2
	s_addc_u32 s41, s35, s41
	v_mov_b32_e32 v20, 0
	global_store_dwordx2 v20, v[18:19], s[40:41]
	ds_write_b64 v20, v[10:11] offset:10240
.LBB249_76:
	s_or_b64 exec, exec, s[38:39]
	s_and_b64 exec, exec, s[0:1]
	s_cbranch_execz .LBB249_78
; %bb.77:
	v_mov_b32_e32 v10, 0
	ds_write_b32 v10, v11 offset:12
.LBB249_78:
	s_or_b64 exec, exec, s[36:37]
	v_mov_b32_e32 v10, 0
	s_waitcnt lgkmcnt(0)
	s_barrier
	ds_read_b32 v11, v10 offset:12
	v_cndmask_b32_e64 v18, v41, v40, s[16:17]
	v_cndmask_b32_e64 v18, v18, 0, s[0:1]
	s_waitcnt lgkmcnt(0)
	s_barrier
	v_add_u32_e32 v41, v11, v18
	v_add_u32_sdwa v40, v41, v16 dst_sel:DWORD dst_unused:UNUSED_PAD src0_sel:DWORD src1_sel:BYTE_0
	v_add_u32_sdwa v25, v40, v16 dst_sel:DWORD dst_unused:UNUSED_PAD src0_sel:DWORD src1_sel:BYTE_1
	v_add_u32_e32 v24, v25, v35
	v_add_u32_e32 v23, v24, v30
	;; [unrolled: 1-line block ×3, first 2 shown]
	ds_read_b64 v[10:11], v10 offset:10240
	v_add_u32_e32 v21, v22, v33
	v_add_u32_e32 v20, v21, v34
	;; [unrolled: 1-line block ×4, first 2 shown]
	s_branch .LBB249_89
.LBB249_79:
                                        ; implicit-def: $vgpr11
                                        ; implicit-def: $vgpr18
                                        ; implicit-def: $vgpr19
                                        ; implicit-def: $vgpr20
                                        ; implicit-def: $vgpr21
                                        ; implicit-def: $vgpr22
                                        ; implicit-def: $vgpr23
                                        ; implicit-def: $vgpr24
                                        ; implicit-def: $vgpr25
                                        ; implicit-def: $vgpr40
                                        ; implicit-def: $vgpr41
	s_cbranch_execz .LBB249_89
; %bb.80:
	s_waitcnt lgkmcnt(0)
	v_mov_b32_dpp v10, v39 row_shr:1 row_mask:0xf bank_mask:0xf
	v_cndmask_b32_e64 v10, v10, 0, s[14:15]
	v_add_u32_e32 v10, v10, v39
	s_nop 1
	v_mov_b32_dpp v11, v10 row_shr:2 row_mask:0xf bank_mask:0xf
	v_cndmask_b32_e64 v11, 0, v11, s[12:13]
	v_add_u32_e32 v10, v10, v11
	s_nop 1
	;; [unrolled: 4-line block ×4, first 2 shown]
	v_mov_b32_dpp v11, v10 row_bcast:15 row_mask:0xf bank_mask:0xf
	v_cndmask_b32_e64 v11, v11, 0, s[6:7]
	v_add_u32_e32 v10, v10, v11
	s_nop 1
	v_mov_b32_dpp v11, v10 row_bcast:31 row_mask:0xf bank_mask:0xf
	v_cndmask_b32_e64 v11, 0, v11, s[2:3]
	v_add_u32_e32 v10, v10, v11
	s_and_saveexec_b64 s[2:3], s[4:5]
	s_cbranch_execz .LBB249_82
; %bb.81:
	v_lshlrev_b32_e32 v11, 2, v38
	ds_write_b32 v11, v10
.LBB249_82:
	s_or_b64 exec, exec, s[2:3]
	v_cmp_gt_u32_e32 vcc, 4, v0
	s_waitcnt lgkmcnt(0)
	s_barrier
	s_and_saveexec_b64 s[2:3], vcc
	s_cbranch_execz .LBB249_84
; %bb.83:
	v_mad_i32_i24 v11, v0, -6, v37
	ds_read_b32 v18, v11
	v_and_b32_e32 v19, 3, v36
	v_cmp_ne_u32_e32 vcc, 0, v19
	s_waitcnt lgkmcnt(0)
	v_mov_b32_dpp v20, v18 row_shr:1 row_mask:0xf bank_mask:0xf
	v_cndmask_b32_e32 v20, 0, v20, vcc
	v_add_u32_e32 v18, v20, v18
	v_cmp_lt_u32_e32 vcc, 1, v19
	s_nop 0
	v_mov_b32_dpp v20, v18 row_shr:2 row_mask:0xf bank_mask:0xf
	v_cndmask_b32_e32 v19, 0, v20, vcc
	v_add_u32_e32 v18, v18, v19
	ds_write_b32 v11, v18
.LBB249_84:
	s_or_b64 exec, exec, s[2:3]
	v_cmp_lt_u32_e32 vcc, 63, v0
	v_mov_b32_e32 v11, 0
	v_mov_b32_e32 v18, 0
	s_waitcnt lgkmcnt(0)
	s_barrier
	s_and_saveexec_b64 s[2:3], vcc
	s_cbranch_execz .LBB249_86
; %bb.85:
	v_lshl_add_u32 v18, v38, 2, -4
	ds_read_b32 v18, v18
.LBB249_86:
	s_or_b64 exec, exec, s[2:3]
	v_add_u32_e32 v19, -1, v36
	v_and_b32_e32 v20, 64, v36
	v_cmp_lt_i32_e32 vcc, v19, v20
	v_cndmask_b32_e32 v19, v19, v36, vcc
	s_waitcnt lgkmcnt(0)
	v_add_u32_e32 v10, v18, v10
	v_lshlrev_b32_e32 v19, 2, v19
	ds_bpermute_b32 v19, v19, v10
	ds_read_b32 v10, v11 offset:12
	s_and_saveexec_b64 s[2:3], s[0:1]
	s_cbranch_execz .LBB249_88
; %bb.87:
	v_mov_b32_e32 v20, 0
	v_mov_b32_e32 v11, 2
	s_waitcnt lgkmcnt(0)
	global_store_dwordx2 v20, v[10:11], s[34:35] offset:512
.LBB249_88:
	s_or_b64 exec, exec, s[2:3]
	v_cmp_eq_u32_e32 vcc, 0, v36
	s_waitcnt lgkmcnt(1)
	v_cndmask_b32_e32 v18, v19, v18, vcc
	v_cndmask_b32_e64 v41, v18, 0, s[0:1]
	v_add_u32_sdwa v40, v41, v16 dst_sel:DWORD dst_unused:UNUSED_PAD src0_sel:DWORD src1_sel:BYTE_0
	v_add_u32_sdwa v25, v40, v16 dst_sel:DWORD dst_unused:UNUSED_PAD src0_sel:DWORD src1_sel:BYTE_1
	v_add_u32_e32 v24, v25, v35
	v_add_u32_e32 v23, v24, v30
	;; [unrolled: 1-line block ×6, first 2 shown]
	v_mov_b32_e32 v11, 0
	v_add_u32_e32 v18, v19, v31
	s_waitcnt lgkmcnt(0)
	s_barrier
.LBB249_89:
	s_waitcnt lgkmcnt(0)
	v_add_u32_e32 v26, v10, v26
	v_sub_u32_e32 v33, v41, v11
	v_and_b32_e32 v35, 1, v16
	v_sub_u32_e32 v34, v26, v33
	v_cmp_eq_u32_e32 vcc, 1, v35
	v_cndmask_b32_e32 v33, v34, v33, vcc
	v_lshlrev_b32_e32 v33, 2, v33
	v_lshrrev_b32_e32 v32, 8, v16
	ds_write_b32 v33, v6
	v_sub_u32_e32 v6, v40, v11
	v_sub_u32_e32 v33, v26, v6
	v_and_b32_e32 v32, 1, v32
	v_add_u32_e32 v33, 1, v33
	v_cmp_eq_u32_e32 vcc, 1, v32
	v_cndmask_b32_e32 v6, v33, v6, vcc
	v_lshlrev_b32_e32 v6, 2, v6
	ds_write_b32 v6, v7
	v_sub_u32_e32 v6, v25, v11
	v_mov_b32_e32 v25, 1
	v_sub_u32_e32 v7, v26, v6
	v_and_b32_sdwa v16, v25, v16 dst_sel:DWORD dst_unused:UNUSED_PAD src0_sel:DWORD src1_sel:WORD_1
	v_add_u32_e32 v7, 2, v7
	v_cmp_eq_u32_e32 vcc, 1, v16
	v_cndmask_b32_e32 v6, v7, v6, vcc
	v_lshlrev_b32_e32 v6, 2, v6
	ds_write_b32 v6, v8
	v_sub_u32_e32 v6, v24, v11
	v_sub_u32_e32 v7, v26, v6
	v_and_b32_e32 v8, 1, v30
	v_add_u32_e32 v7, 3, v7
	v_cmp_eq_u32_e32 vcc, 1, v8
	v_cndmask_b32_e32 v6, v7, v6, vcc
	v_lshlrev_b32_e32 v6, 2, v6
	ds_write_b32 v6, v9
	v_sub_u32_e32 v6, v23, v11
	v_sub_u32_e32 v7, v26, v6
	v_and_b32_e32 v8, 1, v17
	v_add_u32_e32 v7, 4, v7
	v_cmp_eq_u32_e32 vcc, 1, v8
	v_cndmask_b32_e32 v6, v7, v6, vcc
	v_lshlrev_b32_e32 v6, 2, v6
	v_lshrrev_b32_e32 v31, 8, v17
	ds_write_b32 v6, v2
	v_sub_u32_e32 v2, v22, v11
	v_sub_u32_e32 v6, v26, v2
	v_and_b32_e32 v7, 1, v31
	v_add_u32_e32 v6, 5, v6
	v_cmp_eq_u32_e32 vcc, 1, v7
	v_cndmask_b32_e32 v2, v6, v2, vcc
	v_lshlrev_b32_e32 v2, 2, v2
	ds_write_b32 v2, v3
	v_sub_u32_e32 v2, v21, v11
	v_sub_u32_e32 v3, v26, v2
	v_and_b32_sdwa v6, v25, v17 dst_sel:DWORD dst_unused:UNUSED_PAD src0_sel:DWORD src1_sel:WORD_1
	v_add_u32_e32 v3, 6, v3
	v_cmp_eq_u32_e32 vcc, 1, v6
	v_cndmask_b32_e32 v2, v3, v2, vcc
	v_lshlrev_b32_e32 v2, 2, v2
	ds_write_b32 v2, v4
	v_sub_u32_e32 v2, v20, v11
	v_sub_u32_e32 v3, v26, v2
	v_and_b32_e32 v4, 1, v29
	v_add_u32_e32 v3, 7, v3
	v_cmp_eq_u32_e32 vcc, 1, v4
	v_cndmask_b32_e32 v2, v3, v2, vcc
	v_lshlrev_b32_e32 v2, 2, v2
	ds_write_b32 v2, v5
	v_sub_u32_e32 v2, v19, v11
	v_sub_u32_e32 v3, v26, v2
	v_and_b32_e32 v4, 1, v28
	;; [unrolled: 8-line block ×3, first 2 shown]
	v_add_u32_e32 v3, 9, v3
	v_cmp_eq_u32_e32 vcc, 1, v4
	v_cndmask_b32_e32 v2, v3, v2, vcc
	s_add_u32 s2, s18, s28
	v_lshlrev_b32_e32 v2, 2, v2
	s_addc_u32 s3, s19, 0
	ds_write_b32 v2, v15
	s_waitcnt lgkmcnt(0)
	s_barrier
	ds_read2st64_b32 v[14:15], v1 offset1:4
	ds_read2st64_b32 v[8:9], v1 offset0:8 offset1:12
	ds_read2st64_b32 v[6:7], v1 offset0:16 offset1:20
	;; [unrolled: 1-line block ×4, first 2 shown]
	s_waitcnt vmcnt(0)
	v_add_co_u32_e32 v1, vcc, v12, v11
	s_sub_u32 s2, s26, s2
	v_addc_co_u32_e32 v11, vcc, 0, v13, vcc
	s_subb_u32 s3, s27, s3
	v_mov_b32_e32 v12, s3
	v_add_co_u32_e32 v13, vcc, s2, v10
	v_addc_co_u32_e32 v12, vcc, 0, v12, vcc
	v_add_co_u32_e64 v17, s[2:3], v13, v1
	v_or_b32_e32 v26, 0x100, v0
	v_or_b32_e32 v25, 0x200, v0
	;; [unrolled: 1-line block ×9, first 2 shown]
	s_andn2_b64 vcc, exec, s[30:31]
	v_addc_co_u32_e64 v18, s[2:3], v12, v11, s[2:3]
	s_cbranch_vccnz .LBB249_134
; %bb.90:
	v_cmp_ge_u32_e32 vcc, v0, v10
                                        ; implicit-def: $vgpr12_vgpr13
	s_and_saveexec_b64 s[2:3], vcc
	s_xor_b64 s[2:3], exec, s[2:3]
; %bb.91:
	v_not_b32_e32 v12, v0
	v_ashrrev_i32_e32 v13, 31, v12
	v_add_co_u32_e32 v12, vcc, v17, v12
	v_addc_co_u32_e32 v13, vcc, v18, v13, vcc
; %bb.92:
	s_andn2_saveexec_b64 s[2:3], s[2:3]
; %bb.93:
	v_add_co_u32_e32 v12, vcc, v1, v0
	v_addc_co_u32_e32 v13, vcc, 0, v11, vcc
; %bb.94:
	s_or_b64 exec, exec, s[2:3]
	v_lshlrev_b64 v[12:13], 2, v[12:13]
	v_mov_b32_e32 v27, s25
	v_add_co_u32_e32 v12, vcc, s24, v12
	v_addc_co_u32_e32 v13, vcc, v27, v13, vcc
	v_cmp_ge_u32_e32 vcc, v26, v10
	s_waitcnt lgkmcnt(4)
	global_store_dword v[12:13], v14, off
                                        ; implicit-def: $vgpr12_vgpr13
	s_and_saveexec_b64 s[2:3], vcc
	s_xor_b64 s[2:3], exec, s[2:3]
; %bb.95:
	v_xor_b32_e32 v12, 0xfffffeff, v0
	v_ashrrev_i32_e32 v13, 31, v12
	v_add_co_u32_e32 v12, vcc, v17, v12
	v_addc_co_u32_e32 v13, vcc, v18, v13, vcc
; %bb.96:
	s_andn2_saveexec_b64 s[2:3], s[2:3]
; %bb.97:
	v_add_co_u32_e32 v12, vcc, v1, v26
	v_addc_co_u32_e32 v13, vcc, 0, v11, vcc
; %bb.98:
	s_or_b64 exec, exec, s[2:3]
	v_lshlrev_b64 v[12:13], 2, v[12:13]
	v_mov_b32_e32 v27, s25
	v_add_co_u32_e32 v12, vcc, s24, v12
	v_addc_co_u32_e32 v13, vcc, v27, v13, vcc
	v_cmp_ge_u32_e32 vcc, v25, v10
	global_store_dword v[12:13], v15, off
                                        ; implicit-def: $vgpr12_vgpr13
	s_and_saveexec_b64 s[2:3], vcc
	s_xor_b64 s[2:3], exec, s[2:3]
; %bb.99:
	v_xor_b32_e32 v12, 0xfffffdff, v0
	v_ashrrev_i32_e32 v13, 31, v12
	v_add_co_u32_e32 v12, vcc, v17, v12
	v_addc_co_u32_e32 v13, vcc, v18, v13, vcc
; %bb.100:
	s_andn2_saveexec_b64 s[2:3], s[2:3]
; %bb.101:
	v_add_co_u32_e32 v12, vcc, v1, v25
	v_addc_co_u32_e32 v13, vcc, 0, v11, vcc
; %bb.102:
	s_or_b64 exec, exec, s[2:3]
	v_lshlrev_b64 v[12:13], 2, v[12:13]
	v_mov_b32_e32 v27, s25
	v_add_co_u32_e32 v12, vcc, s24, v12
	v_addc_co_u32_e32 v13, vcc, v27, v13, vcc
	v_cmp_ge_u32_e32 vcc, v24, v10
	s_waitcnt lgkmcnt(3)
	global_store_dword v[12:13], v8, off
                                        ; implicit-def: $vgpr12_vgpr13
	s_and_saveexec_b64 s[2:3], vcc
	s_xor_b64 s[2:3], exec, s[2:3]
; %bb.103:
	v_xor_b32_e32 v12, 0xfffffcff, v0
	v_ashrrev_i32_e32 v13, 31, v12
	v_add_co_u32_e32 v12, vcc, v17, v12
	v_addc_co_u32_e32 v13, vcc, v18, v13, vcc
; %bb.104:
	s_andn2_saveexec_b64 s[2:3], s[2:3]
; %bb.105:
	v_add_co_u32_e32 v12, vcc, v1, v24
	v_addc_co_u32_e32 v13, vcc, 0, v11, vcc
; %bb.106:
	s_or_b64 exec, exec, s[2:3]
	v_lshlrev_b64 v[12:13], 2, v[12:13]
	v_mov_b32_e32 v27, s25
	v_add_co_u32_e32 v12, vcc, s24, v12
	v_addc_co_u32_e32 v13, vcc, v27, v13, vcc
	v_cmp_ge_u32_e32 vcc, v23, v10
	global_store_dword v[12:13], v9, off
                                        ; implicit-def: $vgpr12_vgpr13
	s_and_saveexec_b64 s[2:3], vcc
	s_xor_b64 s[2:3], exec, s[2:3]
; %bb.107:
	v_xor_b32_e32 v12, 0xfffffbff, v0
	;; [unrolled: 43-line block ×4, first 2 shown]
	v_ashrrev_i32_e32 v13, 31, v12
	v_add_co_u32_e32 v12, vcc, v17, v12
	v_addc_co_u32_e32 v13, vcc, v18, v13, vcc
; %bb.124:
	s_andn2_saveexec_b64 s[2:3], s[2:3]
; %bb.125:
	v_add_co_u32_e32 v12, vcc, v1, v19
	v_addc_co_u32_e32 v13, vcc, 0, v11, vcc
; %bb.126:
	s_or_b64 exec, exec, s[2:3]
	v_lshlrev_b64 v[12:13], 2, v[12:13]
	v_mov_b32_e32 v27, s25
	v_add_co_u32_e32 v12, vcc, s24, v12
	v_addc_co_u32_e32 v13, vcc, v27, v13, vcc
	v_cmp_ge_u32_e32 vcc, v16, v10
	s_waitcnt lgkmcnt(0)
	global_store_dword v[12:13], v2, off
                                        ; implicit-def: $vgpr12_vgpr13
	s_and_saveexec_b64 s[2:3], vcc
	s_xor_b64 s[2:3], exec, s[2:3]
; %bb.127:
	v_xor_b32_e32 v12, 0xfffff6ff, v0
	v_ashrrev_i32_e32 v13, 31, v12
	v_add_co_u32_e32 v12, vcc, v17, v12
	v_addc_co_u32_e32 v13, vcc, v18, v13, vcc
; %bb.128:
	s_andn2_saveexec_b64 s[2:3], s[2:3]
; %bb.129:
	v_add_co_u32_e32 v12, vcc, v1, v16
	v_addc_co_u32_e32 v13, vcc, 0, v11, vcc
; %bb.130:
	s_or_b64 exec, exec, s[2:3]
	s_mov_b64 s[2:3], -1
.LBB249_131:
	s_and_saveexec_b64 s[4:5], s[2:3]
	s_cbranch_execz .LBB249_162
.LBB249_132:
	s_waitcnt lgkmcnt(1)
	v_lshlrev_b64 v[4:5], 2, v[12:13]
	v_mov_b32_e32 v0, s25
	v_add_co_u32_e32 v4, vcc, s24, v4
	v_addc_co_u32_e32 v5, vcc, v0, v5, vcc
	s_waitcnt lgkmcnt(0)
	global_store_dword v[4:5], v3, off
	s_or_b64 exec, exec, s[4:5]
	s_and_b64 s[0:1], s[0:1], s[22:23]
	s_and_saveexec_b64 s[2:3], s[0:1]
	s_cbranch_execnz .LBB249_163
.LBB249_133:
	s_endpgm
.LBB249_134:
	s_mov_b64 s[2:3], 0
                                        ; implicit-def: $vgpr12_vgpr13
	s_cbranch_execz .LBB249_131
; %bb.135:
	v_cmp_gt_u32_e32 vcc, s33, v0
	s_and_saveexec_b64 s[4:5], vcc
	s_cbranch_execz .LBB249_164
; %bb.136:
	v_cmp_ge_u32_e32 vcc, v0, v10
                                        ; implicit-def: $vgpr12_vgpr13
	s_and_saveexec_b64 s[6:7], vcc
	s_xor_b64 s[6:7], exec, s[6:7]
; %bb.137:
	v_not_b32_e32 v12, v0
	v_ashrrev_i32_e32 v13, 31, v12
	v_add_co_u32_e32 v12, vcc, v17, v12
	v_addc_co_u32_e32 v13, vcc, v18, v13, vcc
; %bb.138:
	s_andn2_saveexec_b64 s[6:7], s[6:7]
; %bb.139:
	v_add_co_u32_e32 v12, vcc, v1, v0
	v_addc_co_u32_e32 v13, vcc, 0, v11, vcc
; %bb.140:
	s_or_b64 exec, exec, s[6:7]
	v_lshlrev_b64 v[12:13], 2, v[12:13]
	v_mov_b32_e32 v27, s25
	v_add_co_u32_e32 v12, vcc, s24, v12
	v_addc_co_u32_e32 v13, vcc, v27, v13, vcc
	s_waitcnt lgkmcnt(4)
	global_store_dword v[12:13], v14, off
	s_or_b64 exec, exec, s[4:5]
	v_cmp_gt_u32_e32 vcc, s33, v26
	s_and_saveexec_b64 s[4:5], vcc
	s_cbranch_execnz .LBB249_165
.LBB249_141:
	s_or_b64 exec, exec, s[4:5]
	v_cmp_gt_u32_e32 vcc, s33, v25
	s_and_saveexec_b64 s[4:5], vcc
	s_cbranch_execz .LBB249_170
.LBB249_142:
	v_cmp_ge_u32_e32 vcc, v25, v10
                                        ; implicit-def: $vgpr12_vgpr13
	s_and_saveexec_b64 s[6:7], vcc
	s_xor_b64 s[6:7], exec, s[6:7]
; %bb.143:
	v_xor_b32_e32 v12, 0xfffffdff, v0
	v_ashrrev_i32_e32 v13, 31, v12
	v_add_co_u32_e32 v12, vcc, v17, v12
	v_addc_co_u32_e32 v13, vcc, v18, v13, vcc
                                        ; implicit-def: $vgpr25
; %bb.144:
	s_andn2_saveexec_b64 s[6:7], s[6:7]
; %bb.145:
	v_add_co_u32_e32 v12, vcc, v1, v25
	v_addc_co_u32_e32 v13, vcc, 0, v11, vcc
; %bb.146:
	s_or_b64 exec, exec, s[6:7]
	v_lshlrev_b64 v[12:13], 2, v[12:13]
	s_waitcnt lgkmcnt(4)
	v_mov_b32_e32 v14, s25
	v_add_co_u32_e32 v12, vcc, s24, v12
	v_addc_co_u32_e32 v13, vcc, v14, v13, vcc
	s_waitcnt lgkmcnt(3)
	global_store_dword v[12:13], v8, off
	s_or_b64 exec, exec, s[4:5]
	v_cmp_gt_u32_e32 vcc, s33, v24
	s_and_saveexec_b64 s[4:5], vcc
	s_cbranch_execnz .LBB249_171
.LBB249_147:
	s_or_b64 exec, exec, s[4:5]
	v_cmp_gt_u32_e32 vcc, s33, v23
	s_and_saveexec_b64 s[4:5], vcc
	s_cbranch_execz .LBB249_176
.LBB249_148:
	v_cmp_ge_u32_e32 vcc, v23, v10
                                        ; implicit-def: $vgpr8_vgpr9
	s_and_saveexec_b64 s[6:7], vcc
	s_xor_b64 s[6:7], exec, s[6:7]
	s_cbranch_execz .LBB249_150
; %bb.149:
	s_waitcnt lgkmcnt(3)
	v_xor_b32_e32 v8, 0xfffffbff, v0
	v_ashrrev_i32_e32 v9, 31, v8
	v_add_co_u32_e32 v8, vcc, v17, v8
	v_addc_co_u32_e32 v9, vcc, v18, v9, vcc
                                        ; implicit-def: $vgpr23
.LBB249_150:
	s_andn2_saveexec_b64 s[6:7], s[6:7]
	s_cbranch_execz .LBB249_152
; %bb.151:
	s_waitcnt lgkmcnt(3)
	v_add_co_u32_e32 v8, vcc, v1, v23
	v_addc_co_u32_e32 v9, vcc, 0, v11, vcc
.LBB249_152:
	s_or_b64 exec, exec, s[6:7]
	s_waitcnt lgkmcnt(3)
	v_lshlrev_b64 v[8:9], 2, v[8:9]
	v_mov_b32_e32 v12, s25
	v_add_co_u32_e32 v8, vcc, s24, v8
	v_addc_co_u32_e32 v9, vcc, v12, v9, vcc
	s_waitcnt lgkmcnt(2)
	global_store_dword v[8:9], v6, off
	s_or_b64 exec, exec, s[4:5]
	v_cmp_gt_u32_e32 vcc, s33, v22
	s_and_saveexec_b64 s[4:5], vcc
	s_cbranch_execnz .LBB249_177
.LBB249_153:
	s_or_b64 exec, exec, s[4:5]
	v_cmp_gt_u32_e32 vcc, s33, v21
	s_and_saveexec_b64 s[4:5], vcc
	s_cbranch_execz .LBB249_182
.LBB249_154:
	v_cmp_ge_u32_e32 vcc, v21, v10
                                        ; implicit-def: $vgpr6_vgpr7
	s_and_saveexec_b64 s[6:7], vcc
	s_xor_b64 s[6:7], exec, s[6:7]
	s_cbranch_execz .LBB249_156
; %bb.155:
	s_waitcnt lgkmcnt(2)
	v_xor_b32_e32 v6, 0xfffff9ff, v0
	v_ashrrev_i32_e32 v7, 31, v6
	v_add_co_u32_e32 v6, vcc, v17, v6
	v_addc_co_u32_e32 v7, vcc, v18, v7, vcc
                                        ; implicit-def: $vgpr21
.LBB249_156:
	s_andn2_saveexec_b64 s[6:7], s[6:7]
	s_cbranch_execz .LBB249_158
; %bb.157:
	s_waitcnt lgkmcnt(2)
	v_add_co_u32_e32 v6, vcc, v1, v21
	v_addc_co_u32_e32 v7, vcc, 0, v11, vcc
.LBB249_158:
	s_or_b64 exec, exec, s[6:7]
	s_waitcnt lgkmcnt(2)
	v_lshlrev_b64 v[6:7], 2, v[6:7]
	v_mov_b32_e32 v8, s25
	v_add_co_u32_e32 v6, vcc, s24, v6
	v_addc_co_u32_e32 v7, vcc, v8, v7, vcc
	s_waitcnt lgkmcnt(1)
	global_store_dword v[6:7], v4, off
	s_or_b64 exec, exec, s[4:5]
	v_cmp_gt_u32_e32 vcc, s33, v20
	s_and_saveexec_b64 s[4:5], vcc
	s_cbranch_execnz .LBB249_183
.LBB249_159:
	s_or_b64 exec, exec, s[4:5]
	v_cmp_gt_u32_e32 vcc, s33, v19
	s_and_saveexec_b64 s[4:5], vcc
	s_cbranch_execnz .LBB249_188
.LBB249_160:
	s_or_b64 exec, exec, s[4:5]
	v_cmp_gt_u32_e32 vcc, s33, v16
                                        ; implicit-def: $vgpr12_vgpr13
	s_and_saveexec_b64 s[4:5], vcc
	s_cbranch_execnz .LBB249_193
.LBB249_161:
	s_or_b64 exec, exec, s[4:5]
	s_and_saveexec_b64 s[4:5], s[2:3]
	s_cbranch_execnz .LBB249_132
.LBB249_162:
	s_or_b64 exec, exec, s[4:5]
	s_and_b64 s[0:1], s[0:1], s[22:23]
	s_and_saveexec_b64 s[2:3], s[0:1]
	s_cbranch_execz .LBB249_133
.LBB249_163:
	v_add_co_u32_e32 v0, vcc, v1, v10
	s_waitcnt lgkmcnt(0)
	v_mov_b32_e32 v2, 0
	v_addc_co_u32_e32 v1, vcc, 0, v11, vcc
	global_store_dwordx2 v2, v[0:1], s[20:21]
	s_endpgm
.LBB249_164:
	s_or_b64 exec, exec, s[4:5]
	v_cmp_gt_u32_e32 vcc, s33, v26
	s_and_saveexec_b64 s[4:5], vcc
	s_cbranch_execz .LBB249_141
.LBB249_165:
	v_cmp_ge_u32_e32 vcc, v26, v10
                                        ; implicit-def: $vgpr12_vgpr13
	s_and_saveexec_b64 s[6:7], vcc
	s_xor_b64 s[6:7], exec, s[6:7]
; %bb.166:
	v_xor_b32_e32 v12, 0xfffffeff, v0
	v_ashrrev_i32_e32 v13, 31, v12
	v_add_co_u32_e32 v12, vcc, v17, v12
	v_addc_co_u32_e32 v13, vcc, v18, v13, vcc
                                        ; implicit-def: $vgpr26
; %bb.167:
	s_andn2_saveexec_b64 s[6:7], s[6:7]
; %bb.168:
	v_add_co_u32_e32 v12, vcc, v1, v26
	v_addc_co_u32_e32 v13, vcc, 0, v11, vcc
; %bb.169:
	s_or_b64 exec, exec, s[6:7]
	v_lshlrev_b64 v[12:13], 2, v[12:13]
	s_waitcnt lgkmcnt(4)
	v_mov_b32_e32 v14, s25
	v_add_co_u32_e32 v12, vcc, s24, v12
	v_addc_co_u32_e32 v13, vcc, v14, v13, vcc
	global_store_dword v[12:13], v15, off
	s_or_b64 exec, exec, s[4:5]
	v_cmp_gt_u32_e32 vcc, s33, v25
	s_and_saveexec_b64 s[4:5], vcc
	s_cbranch_execnz .LBB249_142
.LBB249_170:
	s_or_b64 exec, exec, s[4:5]
	v_cmp_gt_u32_e32 vcc, s33, v24
	s_and_saveexec_b64 s[4:5], vcc
	s_cbranch_execz .LBB249_147
.LBB249_171:
	v_cmp_ge_u32_e32 vcc, v24, v10
                                        ; implicit-def: $vgpr12_vgpr13
	s_and_saveexec_b64 s[6:7], vcc
	s_xor_b64 s[6:7], exec, s[6:7]
	s_cbranch_execz .LBB249_173
; %bb.172:
	s_waitcnt lgkmcnt(3)
	v_xor_b32_e32 v8, 0xfffffcff, v0
	v_ashrrev_i32_e32 v13, 31, v8
	v_add_co_u32_e32 v12, vcc, v17, v8
	v_addc_co_u32_e32 v13, vcc, v18, v13, vcc
                                        ; implicit-def: $vgpr24
.LBB249_173:
	s_andn2_saveexec_b64 s[6:7], s[6:7]
; %bb.174:
	v_add_co_u32_e32 v12, vcc, v1, v24
	v_addc_co_u32_e32 v13, vcc, 0, v11, vcc
; %bb.175:
	s_or_b64 exec, exec, s[6:7]
	v_lshlrev_b64 v[12:13], 2, v[12:13]
	s_waitcnt lgkmcnt(3)
	v_mov_b32_e32 v8, s25
	v_add_co_u32_e32 v12, vcc, s24, v12
	v_addc_co_u32_e32 v13, vcc, v8, v13, vcc
	global_store_dword v[12:13], v9, off
	s_or_b64 exec, exec, s[4:5]
	v_cmp_gt_u32_e32 vcc, s33, v23
	s_and_saveexec_b64 s[4:5], vcc
	s_cbranch_execnz .LBB249_148
.LBB249_176:
	s_or_b64 exec, exec, s[4:5]
	v_cmp_gt_u32_e32 vcc, s33, v22
	s_and_saveexec_b64 s[4:5], vcc
	s_cbranch_execz .LBB249_153
.LBB249_177:
	v_cmp_ge_u32_e32 vcc, v22, v10
                                        ; implicit-def: $vgpr8_vgpr9
	s_and_saveexec_b64 s[6:7], vcc
	s_xor_b64 s[6:7], exec, s[6:7]
	s_cbranch_execz .LBB249_179
; %bb.178:
	s_waitcnt lgkmcnt(2)
	v_xor_b32_e32 v6, 0xfffffaff, v0
	v_ashrrev_i32_e32 v9, 31, v6
	v_add_co_u32_e32 v8, vcc, v17, v6
	v_addc_co_u32_e32 v9, vcc, v18, v9, vcc
                                        ; implicit-def: $vgpr22
.LBB249_179:
	s_andn2_saveexec_b64 s[6:7], s[6:7]
	s_cbranch_execz .LBB249_181
; %bb.180:
	s_waitcnt lgkmcnt(3)
	v_add_co_u32_e32 v8, vcc, v1, v22
	v_addc_co_u32_e32 v9, vcc, 0, v11, vcc
.LBB249_181:
	s_or_b64 exec, exec, s[6:7]
	s_waitcnt lgkmcnt(3)
	v_lshlrev_b64 v[8:9], 2, v[8:9]
	s_waitcnt lgkmcnt(2)
	v_mov_b32_e32 v6, s25
	v_add_co_u32_e32 v8, vcc, s24, v8
	v_addc_co_u32_e32 v9, vcc, v6, v9, vcc
	global_store_dword v[8:9], v7, off
	s_or_b64 exec, exec, s[4:5]
	v_cmp_gt_u32_e32 vcc, s33, v21
	s_and_saveexec_b64 s[4:5], vcc
	s_cbranch_execnz .LBB249_154
.LBB249_182:
	s_or_b64 exec, exec, s[4:5]
	v_cmp_gt_u32_e32 vcc, s33, v20
	s_and_saveexec_b64 s[4:5], vcc
	s_cbranch_execz .LBB249_159
.LBB249_183:
	v_cmp_ge_u32_e32 vcc, v20, v10
                                        ; implicit-def: $vgpr6_vgpr7
	s_and_saveexec_b64 s[6:7], vcc
	s_xor_b64 s[6:7], exec, s[6:7]
	s_cbranch_execz .LBB249_185
; %bb.184:
	s_waitcnt lgkmcnt(1)
	v_xor_b32_e32 v4, 0xfffff8ff, v0
	v_ashrrev_i32_e32 v7, 31, v4
	v_add_co_u32_e32 v6, vcc, v17, v4
	v_addc_co_u32_e32 v7, vcc, v18, v7, vcc
                                        ; implicit-def: $vgpr20
.LBB249_185:
	s_andn2_saveexec_b64 s[6:7], s[6:7]
	s_cbranch_execz .LBB249_187
; %bb.186:
	s_waitcnt lgkmcnt(2)
	v_add_co_u32_e32 v6, vcc, v1, v20
	v_addc_co_u32_e32 v7, vcc, 0, v11, vcc
.LBB249_187:
	s_or_b64 exec, exec, s[6:7]
	s_waitcnt lgkmcnt(2)
	v_lshlrev_b64 v[6:7], 2, v[6:7]
	s_waitcnt lgkmcnt(1)
	v_mov_b32_e32 v4, s25
	v_add_co_u32_e32 v6, vcc, s24, v6
	v_addc_co_u32_e32 v7, vcc, v4, v7, vcc
	global_store_dword v[6:7], v5, off
	s_or_b64 exec, exec, s[4:5]
	v_cmp_gt_u32_e32 vcc, s33, v19
	s_and_saveexec_b64 s[4:5], vcc
	s_cbranch_execz .LBB249_160
.LBB249_188:
	v_cmp_ge_u32_e32 vcc, v19, v10
                                        ; implicit-def: $vgpr4_vgpr5
	s_and_saveexec_b64 s[6:7], vcc
	s_xor_b64 s[6:7], exec, s[6:7]
	s_cbranch_execz .LBB249_190
; %bb.189:
	s_waitcnt lgkmcnt(1)
	v_xor_b32_e32 v4, 0xfffff7ff, v0
	v_ashrrev_i32_e32 v5, 31, v4
	v_add_co_u32_e32 v4, vcc, v17, v4
	v_addc_co_u32_e32 v5, vcc, v18, v5, vcc
                                        ; implicit-def: $vgpr19
.LBB249_190:
	s_andn2_saveexec_b64 s[6:7], s[6:7]
	s_cbranch_execz .LBB249_192
; %bb.191:
	s_waitcnt lgkmcnt(1)
	v_add_co_u32_e32 v4, vcc, v1, v19
	v_addc_co_u32_e32 v5, vcc, 0, v11, vcc
.LBB249_192:
	s_or_b64 exec, exec, s[6:7]
	s_waitcnt lgkmcnt(1)
	v_lshlrev_b64 v[4:5], 2, v[4:5]
	v_mov_b32_e32 v6, s25
	v_add_co_u32_e32 v4, vcc, s24, v4
	v_addc_co_u32_e32 v5, vcc, v6, v5, vcc
	s_waitcnt lgkmcnt(0)
	global_store_dword v[4:5], v2, off
	s_or_b64 exec, exec, s[4:5]
	v_cmp_gt_u32_e32 vcc, s33, v16
                                        ; implicit-def: $vgpr12_vgpr13
	s_and_saveexec_b64 s[4:5], vcc
	s_cbranch_execz .LBB249_161
.LBB249_193:
	v_cmp_ge_u32_e32 vcc, v16, v10
                                        ; implicit-def: $vgpr12_vgpr13
	s_and_saveexec_b64 s[6:7], vcc
	s_xor_b64 s[6:7], exec, s[6:7]
	s_cbranch_execz .LBB249_195
; %bb.194:
	v_xor_b32_e32 v0, 0xfffff6ff, v0
	s_waitcnt lgkmcnt(0)
	v_ashrrev_i32_e32 v2, 31, v0
	v_add_co_u32_e32 v12, vcc, v17, v0
	v_addc_co_u32_e32 v13, vcc, v18, v2, vcc
                                        ; implicit-def: $vgpr16
.LBB249_195:
	s_andn2_saveexec_b64 s[6:7], s[6:7]
; %bb.196:
	v_add_co_u32_e32 v12, vcc, v1, v16
	v_addc_co_u32_e32 v13, vcc, 0, v11, vcc
; %bb.197:
	s_or_b64 exec, exec, s[6:7]
	s_or_b64 s[2:3], s[2:3], exec
	s_or_b64 exec, exec, s[4:5]
	s_and_saveexec_b64 s[4:5], s[2:3]
	s_cbranch_execnz .LBB249_132
	s_branch .LBB249_162
	.section	.rodata,"a",@progbits
	.p2align	6, 0x0
	.amdhsa_kernel _ZN7rocprim17ROCPRIM_400000_NS6detail17trampoline_kernelINS0_14default_configENS1_25partition_config_selectorILNS1_17partition_subalgoE2EiNS0_10empty_typeEbEEZZNS1_14partition_implILS5_2ELb0ES3_jN6thrust23THRUST_200600_302600_NS6detail15normal_iteratorINSA_7pointerIiNSA_11hip_rocprim3tagENSA_11use_defaultESG_EEEEPS6_NSA_18transform_iteratorI7is_evenIiENSC_INSA_10device_ptrIiEEEESG_SG_EENS0_5tupleIJPiSJ_EEENSR_IJSJ_SJ_EEES6_PlJS6_EEE10hipError_tPvRmT3_T4_T5_T6_T7_T9_mT8_P12ihipStream_tbDpT10_ENKUlT_T0_E_clISt17integral_constantIbLb0EES1E_IbLb1EEEEDaS1A_S1B_EUlS1A_E_NS1_11comp_targetILNS1_3genE4ELNS1_11target_archE910ELNS1_3gpuE8ELNS1_3repE0EEENS1_30default_config_static_selectorELNS0_4arch9wavefront6targetE1EEEvT1_
		.amdhsa_group_segment_fixed_size 10248
		.amdhsa_private_segment_fixed_size 0
		.amdhsa_kernarg_size 144
		.amdhsa_user_sgpr_count 6
		.amdhsa_user_sgpr_private_segment_buffer 1
		.amdhsa_user_sgpr_dispatch_ptr 0
		.amdhsa_user_sgpr_queue_ptr 0
		.amdhsa_user_sgpr_kernarg_segment_ptr 1
		.amdhsa_user_sgpr_dispatch_id 0
		.amdhsa_user_sgpr_flat_scratch_init 0
		.amdhsa_user_sgpr_kernarg_preload_length 0
		.amdhsa_user_sgpr_kernarg_preload_offset 0
		.amdhsa_user_sgpr_private_segment_size 0
		.amdhsa_uses_dynamic_stack 0
		.amdhsa_system_sgpr_private_segment_wavefront_offset 0
		.amdhsa_system_sgpr_workgroup_id_x 1
		.amdhsa_system_sgpr_workgroup_id_y 0
		.amdhsa_system_sgpr_workgroup_id_z 0
		.amdhsa_system_sgpr_workgroup_info 0
		.amdhsa_system_vgpr_workitem_id 0
		.amdhsa_next_free_vgpr 56
		.amdhsa_next_free_sgpr 46
		.amdhsa_accum_offset 56
		.amdhsa_reserve_vcc 1
		.amdhsa_reserve_flat_scratch 0
		.amdhsa_float_round_mode_32 0
		.amdhsa_float_round_mode_16_64 0
		.amdhsa_float_denorm_mode_32 3
		.amdhsa_float_denorm_mode_16_64 3
		.amdhsa_dx10_clamp 1
		.amdhsa_ieee_mode 1
		.amdhsa_fp16_overflow 0
		.amdhsa_tg_split 0
		.amdhsa_exception_fp_ieee_invalid_op 0
		.amdhsa_exception_fp_denorm_src 0
		.amdhsa_exception_fp_ieee_div_zero 0
		.amdhsa_exception_fp_ieee_overflow 0
		.amdhsa_exception_fp_ieee_underflow 0
		.amdhsa_exception_fp_ieee_inexact 0
		.amdhsa_exception_int_div_zero 0
	.end_amdhsa_kernel
	.section	.text._ZN7rocprim17ROCPRIM_400000_NS6detail17trampoline_kernelINS0_14default_configENS1_25partition_config_selectorILNS1_17partition_subalgoE2EiNS0_10empty_typeEbEEZZNS1_14partition_implILS5_2ELb0ES3_jN6thrust23THRUST_200600_302600_NS6detail15normal_iteratorINSA_7pointerIiNSA_11hip_rocprim3tagENSA_11use_defaultESG_EEEEPS6_NSA_18transform_iteratorI7is_evenIiENSC_INSA_10device_ptrIiEEEESG_SG_EENS0_5tupleIJPiSJ_EEENSR_IJSJ_SJ_EEES6_PlJS6_EEE10hipError_tPvRmT3_T4_T5_T6_T7_T9_mT8_P12ihipStream_tbDpT10_ENKUlT_T0_E_clISt17integral_constantIbLb0EES1E_IbLb1EEEEDaS1A_S1B_EUlS1A_E_NS1_11comp_targetILNS1_3genE4ELNS1_11target_archE910ELNS1_3gpuE8ELNS1_3repE0EEENS1_30default_config_static_selectorELNS0_4arch9wavefront6targetE1EEEvT1_,"axG",@progbits,_ZN7rocprim17ROCPRIM_400000_NS6detail17trampoline_kernelINS0_14default_configENS1_25partition_config_selectorILNS1_17partition_subalgoE2EiNS0_10empty_typeEbEEZZNS1_14partition_implILS5_2ELb0ES3_jN6thrust23THRUST_200600_302600_NS6detail15normal_iteratorINSA_7pointerIiNSA_11hip_rocprim3tagENSA_11use_defaultESG_EEEEPS6_NSA_18transform_iteratorI7is_evenIiENSC_INSA_10device_ptrIiEEEESG_SG_EENS0_5tupleIJPiSJ_EEENSR_IJSJ_SJ_EEES6_PlJS6_EEE10hipError_tPvRmT3_T4_T5_T6_T7_T9_mT8_P12ihipStream_tbDpT10_ENKUlT_T0_E_clISt17integral_constantIbLb0EES1E_IbLb1EEEEDaS1A_S1B_EUlS1A_E_NS1_11comp_targetILNS1_3genE4ELNS1_11target_archE910ELNS1_3gpuE8ELNS1_3repE0EEENS1_30default_config_static_selectorELNS0_4arch9wavefront6targetE1EEEvT1_,comdat
.Lfunc_end249:
	.size	_ZN7rocprim17ROCPRIM_400000_NS6detail17trampoline_kernelINS0_14default_configENS1_25partition_config_selectorILNS1_17partition_subalgoE2EiNS0_10empty_typeEbEEZZNS1_14partition_implILS5_2ELb0ES3_jN6thrust23THRUST_200600_302600_NS6detail15normal_iteratorINSA_7pointerIiNSA_11hip_rocprim3tagENSA_11use_defaultESG_EEEEPS6_NSA_18transform_iteratorI7is_evenIiENSC_INSA_10device_ptrIiEEEESG_SG_EENS0_5tupleIJPiSJ_EEENSR_IJSJ_SJ_EEES6_PlJS6_EEE10hipError_tPvRmT3_T4_T5_T6_T7_T9_mT8_P12ihipStream_tbDpT10_ENKUlT_T0_E_clISt17integral_constantIbLb0EES1E_IbLb1EEEEDaS1A_S1B_EUlS1A_E_NS1_11comp_targetILNS1_3genE4ELNS1_11target_archE910ELNS1_3gpuE8ELNS1_3repE0EEENS1_30default_config_static_selectorELNS0_4arch9wavefront6targetE1EEEvT1_, .Lfunc_end249-_ZN7rocprim17ROCPRIM_400000_NS6detail17trampoline_kernelINS0_14default_configENS1_25partition_config_selectorILNS1_17partition_subalgoE2EiNS0_10empty_typeEbEEZZNS1_14partition_implILS5_2ELb0ES3_jN6thrust23THRUST_200600_302600_NS6detail15normal_iteratorINSA_7pointerIiNSA_11hip_rocprim3tagENSA_11use_defaultESG_EEEEPS6_NSA_18transform_iteratorI7is_evenIiENSC_INSA_10device_ptrIiEEEESG_SG_EENS0_5tupleIJPiSJ_EEENSR_IJSJ_SJ_EEES6_PlJS6_EEE10hipError_tPvRmT3_T4_T5_T6_T7_T9_mT8_P12ihipStream_tbDpT10_ENKUlT_T0_E_clISt17integral_constantIbLb0EES1E_IbLb1EEEEDaS1A_S1B_EUlS1A_E_NS1_11comp_targetILNS1_3genE4ELNS1_11target_archE910ELNS1_3gpuE8ELNS1_3repE0EEENS1_30default_config_static_selectorELNS0_4arch9wavefront6targetE1EEEvT1_
                                        ; -- End function
	.section	.AMDGPU.csdata,"",@progbits
; Kernel info:
; codeLenInByte = 6748
; NumSgprs: 50
; NumVgprs: 56
; NumAgprs: 0
; TotalNumVgprs: 56
; ScratchSize: 0
; MemoryBound: 0
; FloatMode: 240
; IeeeMode: 1
; LDSByteSize: 10248 bytes/workgroup (compile time only)
; SGPRBlocks: 6
; VGPRBlocks: 6
; NumSGPRsForWavesPerEU: 50
; NumVGPRsForWavesPerEU: 56
; AccumOffset: 56
; Occupancy: 6
; WaveLimiterHint : 1
; COMPUTE_PGM_RSRC2:SCRATCH_EN: 0
; COMPUTE_PGM_RSRC2:USER_SGPR: 6
; COMPUTE_PGM_RSRC2:TRAP_HANDLER: 0
; COMPUTE_PGM_RSRC2:TGID_X_EN: 1
; COMPUTE_PGM_RSRC2:TGID_Y_EN: 0
; COMPUTE_PGM_RSRC2:TGID_Z_EN: 0
; COMPUTE_PGM_RSRC2:TIDIG_COMP_CNT: 0
; COMPUTE_PGM_RSRC3_GFX90A:ACCUM_OFFSET: 13
; COMPUTE_PGM_RSRC3_GFX90A:TG_SPLIT: 0
	.section	.text._ZN7rocprim17ROCPRIM_400000_NS6detail17trampoline_kernelINS0_14default_configENS1_25partition_config_selectorILNS1_17partition_subalgoE2EiNS0_10empty_typeEbEEZZNS1_14partition_implILS5_2ELb0ES3_jN6thrust23THRUST_200600_302600_NS6detail15normal_iteratorINSA_7pointerIiNSA_11hip_rocprim3tagENSA_11use_defaultESG_EEEEPS6_NSA_18transform_iteratorI7is_evenIiENSC_INSA_10device_ptrIiEEEESG_SG_EENS0_5tupleIJPiSJ_EEENSR_IJSJ_SJ_EEES6_PlJS6_EEE10hipError_tPvRmT3_T4_T5_T6_T7_T9_mT8_P12ihipStream_tbDpT10_ENKUlT_T0_E_clISt17integral_constantIbLb0EES1E_IbLb1EEEEDaS1A_S1B_EUlS1A_E_NS1_11comp_targetILNS1_3genE3ELNS1_11target_archE908ELNS1_3gpuE7ELNS1_3repE0EEENS1_30default_config_static_selectorELNS0_4arch9wavefront6targetE1EEEvT1_,"axG",@progbits,_ZN7rocprim17ROCPRIM_400000_NS6detail17trampoline_kernelINS0_14default_configENS1_25partition_config_selectorILNS1_17partition_subalgoE2EiNS0_10empty_typeEbEEZZNS1_14partition_implILS5_2ELb0ES3_jN6thrust23THRUST_200600_302600_NS6detail15normal_iteratorINSA_7pointerIiNSA_11hip_rocprim3tagENSA_11use_defaultESG_EEEEPS6_NSA_18transform_iteratorI7is_evenIiENSC_INSA_10device_ptrIiEEEESG_SG_EENS0_5tupleIJPiSJ_EEENSR_IJSJ_SJ_EEES6_PlJS6_EEE10hipError_tPvRmT3_T4_T5_T6_T7_T9_mT8_P12ihipStream_tbDpT10_ENKUlT_T0_E_clISt17integral_constantIbLb0EES1E_IbLb1EEEEDaS1A_S1B_EUlS1A_E_NS1_11comp_targetILNS1_3genE3ELNS1_11target_archE908ELNS1_3gpuE7ELNS1_3repE0EEENS1_30default_config_static_selectorELNS0_4arch9wavefront6targetE1EEEvT1_,comdat
	.protected	_ZN7rocprim17ROCPRIM_400000_NS6detail17trampoline_kernelINS0_14default_configENS1_25partition_config_selectorILNS1_17partition_subalgoE2EiNS0_10empty_typeEbEEZZNS1_14partition_implILS5_2ELb0ES3_jN6thrust23THRUST_200600_302600_NS6detail15normal_iteratorINSA_7pointerIiNSA_11hip_rocprim3tagENSA_11use_defaultESG_EEEEPS6_NSA_18transform_iteratorI7is_evenIiENSC_INSA_10device_ptrIiEEEESG_SG_EENS0_5tupleIJPiSJ_EEENSR_IJSJ_SJ_EEES6_PlJS6_EEE10hipError_tPvRmT3_T4_T5_T6_T7_T9_mT8_P12ihipStream_tbDpT10_ENKUlT_T0_E_clISt17integral_constantIbLb0EES1E_IbLb1EEEEDaS1A_S1B_EUlS1A_E_NS1_11comp_targetILNS1_3genE3ELNS1_11target_archE908ELNS1_3gpuE7ELNS1_3repE0EEENS1_30default_config_static_selectorELNS0_4arch9wavefront6targetE1EEEvT1_ ; -- Begin function _ZN7rocprim17ROCPRIM_400000_NS6detail17trampoline_kernelINS0_14default_configENS1_25partition_config_selectorILNS1_17partition_subalgoE2EiNS0_10empty_typeEbEEZZNS1_14partition_implILS5_2ELb0ES3_jN6thrust23THRUST_200600_302600_NS6detail15normal_iteratorINSA_7pointerIiNSA_11hip_rocprim3tagENSA_11use_defaultESG_EEEEPS6_NSA_18transform_iteratorI7is_evenIiENSC_INSA_10device_ptrIiEEEESG_SG_EENS0_5tupleIJPiSJ_EEENSR_IJSJ_SJ_EEES6_PlJS6_EEE10hipError_tPvRmT3_T4_T5_T6_T7_T9_mT8_P12ihipStream_tbDpT10_ENKUlT_T0_E_clISt17integral_constantIbLb0EES1E_IbLb1EEEEDaS1A_S1B_EUlS1A_E_NS1_11comp_targetILNS1_3genE3ELNS1_11target_archE908ELNS1_3gpuE7ELNS1_3repE0EEENS1_30default_config_static_selectorELNS0_4arch9wavefront6targetE1EEEvT1_
	.globl	_ZN7rocprim17ROCPRIM_400000_NS6detail17trampoline_kernelINS0_14default_configENS1_25partition_config_selectorILNS1_17partition_subalgoE2EiNS0_10empty_typeEbEEZZNS1_14partition_implILS5_2ELb0ES3_jN6thrust23THRUST_200600_302600_NS6detail15normal_iteratorINSA_7pointerIiNSA_11hip_rocprim3tagENSA_11use_defaultESG_EEEEPS6_NSA_18transform_iteratorI7is_evenIiENSC_INSA_10device_ptrIiEEEESG_SG_EENS0_5tupleIJPiSJ_EEENSR_IJSJ_SJ_EEES6_PlJS6_EEE10hipError_tPvRmT3_T4_T5_T6_T7_T9_mT8_P12ihipStream_tbDpT10_ENKUlT_T0_E_clISt17integral_constantIbLb0EES1E_IbLb1EEEEDaS1A_S1B_EUlS1A_E_NS1_11comp_targetILNS1_3genE3ELNS1_11target_archE908ELNS1_3gpuE7ELNS1_3repE0EEENS1_30default_config_static_selectorELNS0_4arch9wavefront6targetE1EEEvT1_
	.p2align	8
	.type	_ZN7rocprim17ROCPRIM_400000_NS6detail17trampoline_kernelINS0_14default_configENS1_25partition_config_selectorILNS1_17partition_subalgoE2EiNS0_10empty_typeEbEEZZNS1_14partition_implILS5_2ELb0ES3_jN6thrust23THRUST_200600_302600_NS6detail15normal_iteratorINSA_7pointerIiNSA_11hip_rocprim3tagENSA_11use_defaultESG_EEEEPS6_NSA_18transform_iteratorI7is_evenIiENSC_INSA_10device_ptrIiEEEESG_SG_EENS0_5tupleIJPiSJ_EEENSR_IJSJ_SJ_EEES6_PlJS6_EEE10hipError_tPvRmT3_T4_T5_T6_T7_T9_mT8_P12ihipStream_tbDpT10_ENKUlT_T0_E_clISt17integral_constantIbLb0EES1E_IbLb1EEEEDaS1A_S1B_EUlS1A_E_NS1_11comp_targetILNS1_3genE3ELNS1_11target_archE908ELNS1_3gpuE7ELNS1_3repE0EEENS1_30default_config_static_selectorELNS0_4arch9wavefront6targetE1EEEvT1_,@function
_ZN7rocprim17ROCPRIM_400000_NS6detail17trampoline_kernelINS0_14default_configENS1_25partition_config_selectorILNS1_17partition_subalgoE2EiNS0_10empty_typeEbEEZZNS1_14partition_implILS5_2ELb0ES3_jN6thrust23THRUST_200600_302600_NS6detail15normal_iteratorINSA_7pointerIiNSA_11hip_rocprim3tagENSA_11use_defaultESG_EEEEPS6_NSA_18transform_iteratorI7is_evenIiENSC_INSA_10device_ptrIiEEEESG_SG_EENS0_5tupleIJPiSJ_EEENSR_IJSJ_SJ_EEES6_PlJS6_EEE10hipError_tPvRmT3_T4_T5_T6_T7_T9_mT8_P12ihipStream_tbDpT10_ENKUlT_T0_E_clISt17integral_constantIbLb0EES1E_IbLb1EEEEDaS1A_S1B_EUlS1A_E_NS1_11comp_targetILNS1_3genE3ELNS1_11target_archE908ELNS1_3gpuE7ELNS1_3repE0EEENS1_30default_config_static_selectorELNS0_4arch9wavefront6targetE1EEEvT1_: ; @_ZN7rocprim17ROCPRIM_400000_NS6detail17trampoline_kernelINS0_14default_configENS1_25partition_config_selectorILNS1_17partition_subalgoE2EiNS0_10empty_typeEbEEZZNS1_14partition_implILS5_2ELb0ES3_jN6thrust23THRUST_200600_302600_NS6detail15normal_iteratorINSA_7pointerIiNSA_11hip_rocprim3tagENSA_11use_defaultESG_EEEEPS6_NSA_18transform_iteratorI7is_evenIiENSC_INSA_10device_ptrIiEEEESG_SG_EENS0_5tupleIJPiSJ_EEENSR_IJSJ_SJ_EEES6_PlJS6_EEE10hipError_tPvRmT3_T4_T5_T6_T7_T9_mT8_P12ihipStream_tbDpT10_ENKUlT_T0_E_clISt17integral_constantIbLb0EES1E_IbLb1EEEEDaS1A_S1B_EUlS1A_E_NS1_11comp_targetILNS1_3genE3ELNS1_11target_archE908ELNS1_3gpuE7ELNS1_3repE0EEENS1_30default_config_static_selectorELNS0_4arch9wavefront6targetE1EEEvT1_
; %bb.0:
	.section	.rodata,"a",@progbits
	.p2align	6, 0x0
	.amdhsa_kernel _ZN7rocprim17ROCPRIM_400000_NS6detail17trampoline_kernelINS0_14default_configENS1_25partition_config_selectorILNS1_17partition_subalgoE2EiNS0_10empty_typeEbEEZZNS1_14partition_implILS5_2ELb0ES3_jN6thrust23THRUST_200600_302600_NS6detail15normal_iteratorINSA_7pointerIiNSA_11hip_rocprim3tagENSA_11use_defaultESG_EEEEPS6_NSA_18transform_iteratorI7is_evenIiENSC_INSA_10device_ptrIiEEEESG_SG_EENS0_5tupleIJPiSJ_EEENSR_IJSJ_SJ_EEES6_PlJS6_EEE10hipError_tPvRmT3_T4_T5_T6_T7_T9_mT8_P12ihipStream_tbDpT10_ENKUlT_T0_E_clISt17integral_constantIbLb0EES1E_IbLb1EEEEDaS1A_S1B_EUlS1A_E_NS1_11comp_targetILNS1_3genE3ELNS1_11target_archE908ELNS1_3gpuE7ELNS1_3repE0EEENS1_30default_config_static_selectorELNS0_4arch9wavefront6targetE1EEEvT1_
		.amdhsa_group_segment_fixed_size 0
		.amdhsa_private_segment_fixed_size 0
		.amdhsa_kernarg_size 144
		.amdhsa_user_sgpr_count 6
		.amdhsa_user_sgpr_private_segment_buffer 1
		.amdhsa_user_sgpr_dispatch_ptr 0
		.amdhsa_user_sgpr_queue_ptr 0
		.amdhsa_user_sgpr_kernarg_segment_ptr 1
		.amdhsa_user_sgpr_dispatch_id 0
		.amdhsa_user_sgpr_flat_scratch_init 0
		.amdhsa_user_sgpr_kernarg_preload_length 0
		.amdhsa_user_sgpr_kernarg_preload_offset 0
		.amdhsa_user_sgpr_private_segment_size 0
		.amdhsa_uses_dynamic_stack 0
		.amdhsa_system_sgpr_private_segment_wavefront_offset 0
		.amdhsa_system_sgpr_workgroup_id_x 1
		.amdhsa_system_sgpr_workgroup_id_y 0
		.amdhsa_system_sgpr_workgroup_id_z 0
		.amdhsa_system_sgpr_workgroup_info 0
		.amdhsa_system_vgpr_workitem_id 0
		.amdhsa_next_free_vgpr 1
		.amdhsa_next_free_sgpr 0
		.amdhsa_accum_offset 4
		.amdhsa_reserve_vcc 0
		.amdhsa_reserve_flat_scratch 0
		.amdhsa_float_round_mode_32 0
		.amdhsa_float_round_mode_16_64 0
		.amdhsa_float_denorm_mode_32 3
		.amdhsa_float_denorm_mode_16_64 3
		.amdhsa_dx10_clamp 1
		.amdhsa_ieee_mode 1
		.amdhsa_fp16_overflow 0
		.amdhsa_tg_split 0
		.amdhsa_exception_fp_ieee_invalid_op 0
		.amdhsa_exception_fp_denorm_src 0
		.amdhsa_exception_fp_ieee_div_zero 0
		.amdhsa_exception_fp_ieee_overflow 0
		.amdhsa_exception_fp_ieee_underflow 0
		.amdhsa_exception_fp_ieee_inexact 0
		.amdhsa_exception_int_div_zero 0
	.end_amdhsa_kernel
	.section	.text._ZN7rocprim17ROCPRIM_400000_NS6detail17trampoline_kernelINS0_14default_configENS1_25partition_config_selectorILNS1_17partition_subalgoE2EiNS0_10empty_typeEbEEZZNS1_14partition_implILS5_2ELb0ES3_jN6thrust23THRUST_200600_302600_NS6detail15normal_iteratorINSA_7pointerIiNSA_11hip_rocprim3tagENSA_11use_defaultESG_EEEEPS6_NSA_18transform_iteratorI7is_evenIiENSC_INSA_10device_ptrIiEEEESG_SG_EENS0_5tupleIJPiSJ_EEENSR_IJSJ_SJ_EEES6_PlJS6_EEE10hipError_tPvRmT3_T4_T5_T6_T7_T9_mT8_P12ihipStream_tbDpT10_ENKUlT_T0_E_clISt17integral_constantIbLb0EES1E_IbLb1EEEEDaS1A_S1B_EUlS1A_E_NS1_11comp_targetILNS1_3genE3ELNS1_11target_archE908ELNS1_3gpuE7ELNS1_3repE0EEENS1_30default_config_static_selectorELNS0_4arch9wavefront6targetE1EEEvT1_,"axG",@progbits,_ZN7rocprim17ROCPRIM_400000_NS6detail17trampoline_kernelINS0_14default_configENS1_25partition_config_selectorILNS1_17partition_subalgoE2EiNS0_10empty_typeEbEEZZNS1_14partition_implILS5_2ELb0ES3_jN6thrust23THRUST_200600_302600_NS6detail15normal_iteratorINSA_7pointerIiNSA_11hip_rocprim3tagENSA_11use_defaultESG_EEEEPS6_NSA_18transform_iteratorI7is_evenIiENSC_INSA_10device_ptrIiEEEESG_SG_EENS0_5tupleIJPiSJ_EEENSR_IJSJ_SJ_EEES6_PlJS6_EEE10hipError_tPvRmT3_T4_T5_T6_T7_T9_mT8_P12ihipStream_tbDpT10_ENKUlT_T0_E_clISt17integral_constantIbLb0EES1E_IbLb1EEEEDaS1A_S1B_EUlS1A_E_NS1_11comp_targetILNS1_3genE3ELNS1_11target_archE908ELNS1_3gpuE7ELNS1_3repE0EEENS1_30default_config_static_selectorELNS0_4arch9wavefront6targetE1EEEvT1_,comdat
.Lfunc_end250:
	.size	_ZN7rocprim17ROCPRIM_400000_NS6detail17trampoline_kernelINS0_14default_configENS1_25partition_config_selectorILNS1_17partition_subalgoE2EiNS0_10empty_typeEbEEZZNS1_14partition_implILS5_2ELb0ES3_jN6thrust23THRUST_200600_302600_NS6detail15normal_iteratorINSA_7pointerIiNSA_11hip_rocprim3tagENSA_11use_defaultESG_EEEEPS6_NSA_18transform_iteratorI7is_evenIiENSC_INSA_10device_ptrIiEEEESG_SG_EENS0_5tupleIJPiSJ_EEENSR_IJSJ_SJ_EEES6_PlJS6_EEE10hipError_tPvRmT3_T4_T5_T6_T7_T9_mT8_P12ihipStream_tbDpT10_ENKUlT_T0_E_clISt17integral_constantIbLb0EES1E_IbLb1EEEEDaS1A_S1B_EUlS1A_E_NS1_11comp_targetILNS1_3genE3ELNS1_11target_archE908ELNS1_3gpuE7ELNS1_3repE0EEENS1_30default_config_static_selectorELNS0_4arch9wavefront6targetE1EEEvT1_, .Lfunc_end250-_ZN7rocprim17ROCPRIM_400000_NS6detail17trampoline_kernelINS0_14default_configENS1_25partition_config_selectorILNS1_17partition_subalgoE2EiNS0_10empty_typeEbEEZZNS1_14partition_implILS5_2ELb0ES3_jN6thrust23THRUST_200600_302600_NS6detail15normal_iteratorINSA_7pointerIiNSA_11hip_rocprim3tagENSA_11use_defaultESG_EEEEPS6_NSA_18transform_iteratorI7is_evenIiENSC_INSA_10device_ptrIiEEEESG_SG_EENS0_5tupleIJPiSJ_EEENSR_IJSJ_SJ_EEES6_PlJS6_EEE10hipError_tPvRmT3_T4_T5_T6_T7_T9_mT8_P12ihipStream_tbDpT10_ENKUlT_T0_E_clISt17integral_constantIbLb0EES1E_IbLb1EEEEDaS1A_S1B_EUlS1A_E_NS1_11comp_targetILNS1_3genE3ELNS1_11target_archE908ELNS1_3gpuE7ELNS1_3repE0EEENS1_30default_config_static_selectorELNS0_4arch9wavefront6targetE1EEEvT1_
                                        ; -- End function
	.section	.AMDGPU.csdata,"",@progbits
; Kernel info:
; codeLenInByte = 0
; NumSgprs: 4
; NumVgprs: 0
; NumAgprs: 0
; TotalNumVgprs: 0
; ScratchSize: 0
; MemoryBound: 0
; FloatMode: 240
; IeeeMode: 1
; LDSByteSize: 0 bytes/workgroup (compile time only)
; SGPRBlocks: 0
; VGPRBlocks: 0
; NumSGPRsForWavesPerEU: 4
; NumVGPRsForWavesPerEU: 1
; AccumOffset: 4
; Occupancy: 8
; WaveLimiterHint : 0
; COMPUTE_PGM_RSRC2:SCRATCH_EN: 0
; COMPUTE_PGM_RSRC2:USER_SGPR: 6
; COMPUTE_PGM_RSRC2:TRAP_HANDLER: 0
; COMPUTE_PGM_RSRC2:TGID_X_EN: 1
; COMPUTE_PGM_RSRC2:TGID_Y_EN: 0
; COMPUTE_PGM_RSRC2:TGID_Z_EN: 0
; COMPUTE_PGM_RSRC2:TIDIG_COMP_CNT: 0
; COMPUTE_PGM_RSRC3_GFX90A:ACCUM_OFFSET: 0
; COMPUTE_PGM_RSRC3_GFX90A:TG_SPLIT: 0
	.section	.text._ZN7rocprim17ROCPRIM_400000_NS6detail17trampoline_kernelINS0_14default_configENS1_25partition_config_selectorILNS1_17partition_subalgoE2EiNS0_10empty_typeEbEEZZNS1_14partition_implILS5_2ELb0ES3_jN6thrust23THRUST_200600_302600_NS6detail15normal_iteratorINSA_7pointerIiNSA_11hip_rocprim3tagENSA_11use_defaultESG_EEEEPS6_NSA_18transform_iteratorI7is_evenIiENSC_INSA_10device_ptrIiEEEESG_SG_EENS0_5tupleIJPiSJ_EEENSR_IJSJ_SJ_EEES6_PlJS6_EEE10hipError_tPvRmT3_T4_T5_T6_T7_T9_mT8_P12ihipStream_tbDpT10_ENKUlT_T0_E_clISt17integral_constantIbLb0EES1E_IbLb1EEEEDaS1A_S1B_EUlS1A_E_NS1_11comp_targetILNS1_3genE2ELNS1_11target_archE906ELNS1_3gpuE6ELNS1_3repE0EEENS1_30default_config_static_selectorELNS0_4arch9wavefront6targetE1EEEvT1_,"axG",@progbits,_ZN7rocprim17ROCPRIM_400000_NS6detail17trampoline_kernelINS0_14default_configENS1_25partition_config_selectorILNS1_17partition_subalgoE2EiNS0_10empty_typeEbEEZZNS1_14partition_implILS5_2ELb0ES3_jN6thrust23THRUST_200600_302600_NS6detail15normal_iteratorINSA_7pointerIiNSA_11hip_rocprim3tagENSA_11use_defaultESG_EEEEPS6_NSA_18transform_iteratorI7is_evenIiENSC_INSA_10device_ptrIiEEEESG_SG_EENS0_5tupleIJPiSJ_EEENSR_IJSJ_SJ_EEES6_PlJS6_EEE10hipError_tPvRmT3_T4_T5_T6_T7_T9_mT8_P12ihipStream_tbDpT10_ENKUlT_T0_E_clISt17integral_constantIbLb0EES1E_IbLb1EEEEDaS1A_S1B_EUlS1A_E_NS1_11comp_targetILNS1_3genE2ELNS1_11target_archE906ELNS1_3gpuE6ELNS1_3repE0EEENS1_30default_config_static_selectorELNS0_4arch9wavefront6targetE1EEEvT1_,comdat
	.protected	_ZN7rocprim17ROCPRIM_400000_NS6detail17trampoline_kernelINS0_14default_configENS1_25partition_config_selectorILNS1_17partition_subalgoE2EiNS0_10empty_typeEbEEZZNS1_14partition_implILS5_2ELb0ES3_jN6thrust23THRUST_200600_302600_NS6detail15normal_iteratorINSA_7pointerIiNSA_11hip_rocprim3tagENSA_11use_defaultESG_EEEEPS6_NSA_18transform_iteratorI7is_evenIiENSC_INSA_10device_ptrIiEEEESG_SG_EENS0_5tupleIJPiSJ_EEENSR_IJSJ_SJ_EEES6_PlJS6_EEE10hipError_tPvRmT3_T4_T5_T6_T7_T9_mT8_P12ihipStream_tbDpT10_ENKUlT_T0_E_clISt17integral_constantIbLb0EES1E_IbLb1EEEEDaS1A_S1B_EUlS1A_E_NS1_11comp_targetILNS1_3genE2ELNS1_11target_archE906ELNS1_3gpuE6ELNS1_3repE0EEENS1_30default_config_static_selectorELNS0_4arch9wavefront6targetE1EEEvT1_ ; -- Begin function _ZN7rocprim17ROCPRIM_400000_NS6detail17trampoline_kernelINS0_14default_configENS1_25partition_config_selectorILNS1_17partition_subalgoE2EiNS0_10empty_typeEbEEZZNS1_14partition_implILS5_2ELb0ES3_jN6thrust23THRUST_200600_302600_NS6detail15normal_iteratorINSA_7pointerIiNSA_11hip_rocprim3tagENSA_11use_defaultESG_EEEEPS6_NSA_18transform_iteratorI7is_evenIiENSC_INSA_10device_ptrIiEEEESG_SG_EENS0_5tupleIJPiSJ_EEENSR_IJSJ_SJ_EEES6_PlJS6_EEE10hipError_tPvRmT3_T4_T5_T6_T7_T9_mT8_P12ihipStream_tbDpT10_ENKUlT_T0_E_clISt17integral_constantIbLb0EES1E_IbLb1EEEEDaS1A_S1B_EUlS1A_E_NS1_11comp_targetILNS1_3genE2ELNS1_11target_archE906ELNS1_3gpuE6ELNS1_3repE0EEENS1_30default_config_static_selectorELNS0_4arch9wavefront6targetE1EEEvT1_
	.globl	_ZN7rocprim17ROCPRIM_400000_NS6detail17trampoline_kernelINS0_14default_configENS1_25partition_config_selectorILNS1_17partition_subalgoE2EiNS0_10empty_typeEbEEZZNS1_14partition_implILS5_2ELb0ES3_jN6thrust23THRUST_200600_302600_NS6detail15normal_iteratorINSA_7pointerIiNSA_11hip_rocprim3tagENSA_11use_defaultESG_EEEEPS6_NSA_18transform_iteratorI7is_evenIiENSC_INSA_10device_ptrIiEEEESG_SG_EENS0_5tupleIJPiSJ_EEENSR_IJSJ_SJ_EEES6_PlJS6_EEE10hipError_tPvRmT3_T4_T5_T6_T7_T9_mT8_P12ihipStream_tbDpT10_ENKUlT_T0_E_clISt17integral_constantIbLb0EES1E_IbLb1EEEEDaS1A_S1B_EUlS1A_E_NS1_11comp_targetILNS1_3genE2ELNS1_11target_archE906ELNS1_3gpuE6ELNS1_3repE0EEENS1_30default_config_static_selectorELNS0_4arch9wavefront6targetE1EEEvT1_
	.p2align	8
	.type	_ZN7rocprim17ROCPRIM_400000_NS6detail17trampoline_kernelINS0_14default_configENS1_25partition_config_selectorILNS1_17partition_subalgoE2EiNS0_10empty_typeEbEEZZNS1_14partition_implILS5_2ELb0ES3_jN6thrust23THRUST_200600_302600_NS6detail15normal_iteratorINSA_7pointerIiNSA_11hip_rocprim3tagENSA_11use_defaultESG_EEEEPS6_NSA_18transform_iteratorI7is_evenIiENSC_INSA_10device_ptrIiEEEESG_SG_EENS0_5tupleIJPiSJ_EEENSR_IJSJ_SJ_EEES6_PlJS6_EEE10hipError_tPvRmT3_T4_T5_T6_T7_T9_mT8_P12ihipStream_tbDpT10_ENKUlT_T0_E_clISt17integral_constantIbLb0EES1E_IbLb1EEEEDaS1A_S1B_EUlS1A_E_NS1_11comp_targetILNS1_3genE2ELNS1_11target_archE906ELNS1_3gpuE6ELNS1_3repE0EEENS1_30default_config_static_selectorELNS0_4arch9wavefront6targetE1EEEvT1_,@function
_ZN7rocprim17ROCPRIM_400000_NS6detail17trampoline_kernelINS0_14default_configENS1_25partition_config_selectorILNS1_17partition_subalgoE2EiNS0_10empty_typeEbEEZZNS1_14partition_implILS5_2ELb0ES3_jN6thrust23THRUST_200600_302600_NS6detail15normal_iteratorINSA_7pointerIiNSA_11hip_rocprim3tagENSA_11use_defaultESG_EEEEPS6_NSA_18transform_iteratorI7is_evenIiENSC_INSA_10device_ptrIiEEEESG_SG_EENS0_5tupleIJPiSJ_EEENSR_IJSJ_SJ_EEES6_PlJS6_EEE10hipError_tPvRmT3_T4_T5_T6_T7_T9_mT8_P12ihipStream_tbDpT10_ENKUlT_T0_E_clISt17integral_constantIbLb0EES1E_IbLb1EEEEDaS1A_S1B_EUlS1A_E_NS1_11comp_targetILNS1_3genE2ELNS1_11target_archE906ELNS1_3gpuE6ELNS1_3repE0EEENS1_30default_config_static_selectorELNS0_4arch9wavefront6targetE1EEEvT1_: ; @_ZN7rocprim17ROCPRIM_400000_NS6detail17trampoline_kernelINS0_14default_configENS1_25partition_config_selectorILNS1_17partition_subalgoE2EiNS0_10empty_typeEbEEZZNS1_14partition_implILS5_2ELb0ES3_jN6thrust23THRUST_200600_302600_NS6detail15normal_iteratorINSA_7pointerIiNSA_11hip_rocprim3tagENSA_11use_defaultESG_EEEEPS6_NSA_18transform_iteratorI7is_evenIiENSC_INSA_10device_ptrIiEEEESG_SG_EENS0_5tupleIJPiSJ_EEENSR_IJSJ_SJ_EEES6_PlJS6_EEE10hipError_tPvRmT3_T4_T5_T6_T7_T9_mT8_P12ihipStream_tbDpT10_ENKUlT_T0_E_clISt17integral_constantIbLb0EES1E_IbLb1EEEEDaS1A_S1B_EUlS1A_E_NS1_11comp_targetILNS1_3genE2ELNS1_11target_archE906ELNS1_3gpuE6ELNS1_3repE0EEENS1_30default_config_static_selectorELNS0_4arch9wavefront6targetE1EEEvT1_
; %bb.0:
	.section	.rodata,"a",@progbits
	.p2align	6, 0x0
	.amdhsa_kernel _ZN7rocprim17ROCPRIM_400000_NS6detail17trampoline_kernelINS0_14default_configENS1_25partition_config_selectorILNS1_17partition_subalgoE2EiNS0_10empty_typeEbEEZZNS1_14partition_implILS5_2ELb0ES3_jN6thrust23THRUST_200600_302600_NS6detail15normal_iteratorINSA_7pointerIiNSA_11hip_rocprim3tagENSA_11use_defaultESG_EEEEPS6_NSA_18transform_iteratorI7is_evenIiENSC_INSA_10device_ptrIiEEEESG_SG_EENS0_5tupleIJPiSJ_EEENSR_IJSJ_SJ_EEES6_PlJS6_EEE10hipError_tPvRmT3_T4_T5_T6_T7_T9_mT8_P12ihipStream_tbDpT10_ENKUlT_T0_E_clISt17integral_constantIbLb0EES1E_IbLb1EEEEDaS1A_S1B_EUlS1A_E_NS1_11comp_targetILNS1_3genE2ELNS1_11target_archE906ELNS1_3gpuE6ELNS1_3repE0EEENS1_30default_config_static_selectorELNS0_4arch9wavefront6targetE1EEEvT1_
		.amdhsa_group_segment_fixed_size 0
		.amdhsa_private_segment_fixed_size 0
		.amdhsa_kernarg_size 144
		.amdhsa_user_sgpr_count 6
		.amdhsa_user_sgpr_private_segment_buffer 1
		.amdhsa_user_sgpr_dispatch_ptr 0
		.amdhsa_user_sgpr_queue_ptr 0
		.amdhsa_user_sgpr_kernarg_segment_ptr 1
		.amdhsa_user_sgpr_dispatch_id 0
		.amdhsa_user_sgpr_flat_scratch_init 0
		.amdhsa_user_sgpr_kernarg_preload_length 0
		.amdhsa_user_sgpr_kernarg_preload_offset 0
		.amdhsa_user_sgpr_private_segment_size 0
		.amdhsa_uses_dynamic_stack 0
		.amdhsa_system_sgpr_private_segment_wavefront_offset 0
		.amdhsa_system_sgpr_workgroup_id_x 1
		.amdhsa_system_sgpr_workgroup_id_y 0
		.amdhsa_system_sgpr_workgroup_id_z 0
		.amdhsa_system_sgpr_workgroup_info 0
		.amdhsa_system_vgpr_workitem_id 0
		.amdhsa_next_free_vgpr 1
		.amdhsa_next_free_sgpr 0
		.amdhsa_accum_offset 4
		.amdhsa_reserve_vcc 0
		.amdhsa_reserve_flat_scratch 0
		.amdhsa_float_round_mode_32 0
		.amdhsa_float_round_mode_16_64 0
		.amdhsa_float_denorm_mode_32 3
		.amdhsa_float_denorm_mode_16_64 3
		.amdhsa_dx10_clamp 1
		.amdhsa_ieee_mode 1
		.amdhsa_fp16_overflow 0
		.amdhsa_tg_split 0
		.amdhsa_exception_fp_ieee_invalid_op 0
		.amdhsa_exception_fp_denorm_src 0
		.amdhsa_exception_fp_ieee_div_zero 0
		.amdhsa_exception_fp_ieee_overflow 0
		.amdhsa_exception_fp_ieee_underflow 0
		.amdhsa_exception_fp_ieee_inexact 0
		.amdhsa_exception_int_div_zero 0
	.end_amdhsa_kernel
	.section	.text._ZN7rocprim17ROCPRIM_400000_NS6detail17trampoline_kernelINS0_14default_configENS1_25partition_config_selectorILNS1_17partition_subalgoE2EiNS0_10empty_typeEbEEZZNS1_14partition_implILS5_2ELb0ES3_jN6thrust23THRUST_200600_302600_NS6detail15normal_iteratorINSA_7pointerIiNSA_11hip_rocprim3tagENSA_11use_defaultESG_EEEEPS6_NSA_18transform_iteratorI7is_evenIiENSC_INSA_10device_ptrIiEEEESG_SG_EENS0_5tupleIJPiSJ_EEENSR_IJSJ_SJ_EEES6_PlJS6_EEE10hipError_tPvRmT3_T4_T5_T6_T7_T9_mT8_P12ihipStream_tbDpT10_ENKUlT_T0_E_clISt17integral_constantIbLb0EES1E_IbLb1EEEEDaS1A_S1B_EUlS1A_E_NS1_11comp_targetILNS1_3genE2ELNS1_11target_archE906ELNS1_3gpuE6ELNS1_3repE0EEENS1_30default_config_static_selectorELNS0_4arch9wavefront6targetE1EEEvT1_,"axG",@progbits,_ZN7rocprim17ROCPRIM_400000_NS6detail17trampoline_kernelINS0_14default_configENS1_25partition_config_selectorILNS1_17partition_subalgoE2EiNS0_10empty_typeEbEEZZNS1_14partition_implILS5_2ELb0ES3_jN6thrust23THRUST_200600_302600_NS6detail15normal_iteratorINSA_7pointerIiNSA_11hip_rocprim3tagENSA_11use_defaultESG_EEEEPS6_NSA_18transform_iteratorI7is_evenIiENSC_INSA_10device_ptrIiEEEESG_SG_EENS0_5tupleIJPiSJ_EEENSR_IJSJ_SJ_EEES6_PlJS6_EEE10hipError_tPvRmT3_T4_T5_T6_T7_T9_mT8_P12ihipStream_tbDpT10_ENKUlT_T0_E_clISt17integral_constantIbLb0EES1E_IbLb1EEEEDaS1A_S1B_EUlS1A_E_NS1_11comp_targetILNS1_3genE2ELNS1_11target_archE906ELNS1_3gpuE6ELNS1_3repE0EEENS1_30default_config_static_selectorELNS0_4arch9wavefront6targetE1EEEvT1_,comdat
.Lfunc_end251:
	.size	_ZN7rocprim17ROCPRIM_400000_NS6detail17trampoline_kernelINS0_14default_configENS1_25partition_config_selectorILNS1_17partition_subalgoE2EiNS0_10empty_typeEbEEZZNS1_14partition_implILS5_2ELb0ES3_jN6thrust23THRUST_200600_302600_NS6detail15normal_iteratorINSA_7pointerIiNSA_11hip_rocprim3tagENSA_11use_defaultESG_EEEEPS6_NSA_18transform_iteratorI7is_evenIiENSC_INSA_10device_ptrIiEEEESG_SG_EENS0_5tupleIJPiSJ_EEENSR_IJSJ_SJ_EEES6_PlJS6_EEE10hipError_tPvRmT3_T4_T5_T6_T7_T9_mT8_P12ihipStream_tbDpT10_ENKUlT_T0_E_clISt17integral_constantIbLb0EES1E_IbLb1EEEEDaS1A_S1B_EUlS1A_E_NS1_11comp_targetILNS1_3genE2ELNS1_11target_archE906ELNS1_3gpuE6ELNS1_3repE0EEENS1_30default_config_static_selectorELNS0_4arch9wavefront6targetE1EEEvT1_, .Lfunc_end251-_ZN7rocprim17ROCPRIM_400000_NS6detail17trampoline_kernelINS0_14default_configENS1_25partition_config_selectorILNS1_17partition_subalgoE2EiNS0_10empty_typeEbEEZZNS1_14partition_implILS5_2ELb0ES3_jN6thrust23THRUST_200600_302600_NS6detail15normal_iteratorINSA_7pointerIiNSA_11hip_rocprim3tagENSA_11use_defaultESG_EEEEPS6_NSA_18transform_iteratorI7is_evenIiENSC_INSA_10device_ptrIiEEEESG_SG_EENS0_5tupleIJPiSJ_EEENSR_IJSJ_SJ_EEES6_PlJS6_EEE10hipError_tPvRmT3_T4_T5_T6_T7_T9_mT8_P12ihipStream_tbDpT10_ENKUlT_T0_E_clISt17integral_constantIbLb0EES1E_IbLb1EEEEDaS1A_S1B_EUlS1A_E_NS1_11comp_targetILNS1_3genE2ELNS1_11target_archE906ELNS1_3gpuE6ELNS1_3repE0EEENS1_30default_config_static_selectorELNS0_4arch9wavefront6targetE1EEEvT1_
                                        ; -- End function
	.section	.AMDGPU.csdata,"",@progbits
; Kernel info:
; codeLenInByte = 0
; NumSgprs: 4
; NumVgprs: 0
; NumAgprs: 0
; TotalNumVgprs: 0
; ScratchSize: 0
; MemoryBound: 0
; FloatMode: 240
; IeeeMode: 1
; LDSByteSize: 0 bytes/workgroup (compile time only)
; SGPRBlocks: 0
; VGPRBlocks: 0
; NumSGPRsForWavesPerEU: 4
; NumVGPRsForWavesPerEU: 1
; AccumOffset: 4
; Occupancy: 8
; WaveLimiterHint : 0
; COMPUTE_PGM_RSRC2:SCRATCH_EN: 0
; COMPUTE_PGM_RSRC2:USER_SGPR: 6
; COMPUTE_PGM_RSRC2:TRAP_HANDLER: 0
; COMPUTE_PGM_RSRC2:TGID_X_EN: 1
; COMPUTE_PGM_RSRC2:TGID_Y_EN: 0
; COMPUTE_PGM_RSRC2:TGID_Z_EN: 0
; COMPUTE_PGM_RSRC2:TIDIG_COMP_CNT: 0
; COMPUTE_PGM_RSRC3_GFX90A:ACCUM_OFFSET: 0
; COMPUTE_PGM_RSRC3_GFX90A:TG_SPLIT: 0
	.section	.text._ZN7rocprim17ROCPRIM_400000_NS6detail17trampoline_kernelINS0_14default_configENS1_25partition_config_selectorILNS1_17partition_subalgoE2EiNS0_10empty_typeEbEEZZNS1_14partition_implILS5_2ELb0ES3_jN6thrust23THRUST_200600_302600_NS6detail15normal_iteratorINSA_7pointerIiNSA_11hip_rocprim3tagENSA_11use_defaultESG_EEEEPS6_NSA_18transform_iteratorI7is_evenIiENSC_INSA_10device_ptrIiEEEESG_SG_EENS0_5tupleIJPiSJ_EEENSR_IJSJ_SJ_EEES6_PlJS6_EEE10hipError_tPvRmT3_T4_T5_T6_T7_T9_mT8_P12ihipStream_tbDpT10_ENKUlT_T0_E_clISt17integral_constantIbLb0EES1E_IbLb1EEEEDaS1A_S1B_EUlS1A_E_NS1_11comp_targetILNS1_3genE10ELNS1_11target_archE1200ELNS1_3gpuE4ELNS1_3repE0EEENS1_30default_config_static_selectorELNS0_4arch9wavefront6targetE1EEEvT1_,"axG",@progbits,_ZN7rocprim17ROCPRIM_400000_NS6detail17trampoline_kernelINS0_14default_configENS1_25partition_config_selectorILNS1_17partition_subalgoE2EiNS0_10empty_typeEbEEZZNS1_14partition_implILS5_2ELb0ES3_jN6thrust23THRUST_200600_302600_NS6detail15normal_iteratorINSA_7pointerIiNSA_11hip_rocprim3tagENSA_11use_defaultESG_EEEEPS6_NSA_18transform_iteratorI7is_evenIiENSC_INSA_10device_ptrIiEEEESG_SG_EENS0_5tupleIJPiSJ_EEENSR_IJSJ_SJ_EEES6_PlJS6_EEE10hipError_tPvRmT3_T4_T5_T6_T7_T9_mT8_P12ihipStream_tbDpT10_ENKUlT_T0_E_clISt17integral_constantIbLb0EES1E_IbLb1EEEEDaS1A_S1B_EUlS1A_E_NS1_11comp_targetILNS1_3genE10ELNS1_11target_archE1200ELNS1_3gpuE4ELNS1_3repE0EEENS1_30default_config_static_selectorELNS0_4arch9wavefront6targetE1EEEvT1_,comdat
	.protected	_ZN7rocprim17ROCPRIM_400000_NS6detail17trampoline_kernelINS0_14default_configENS1_25partition_config_selectorILNS1_17partition_subalgoE2EiNS0_10empty_typeEbEEZZNS1_14partition_implILS5_2ELb0ES3_jN6thrust23THRUST_200600_302600_NS6detail15normal_iteratorINSA_7pointerIiNSA_11hip_rocprim3tagENSA_11use_defaultESG_EEEEPS6_NSA_18transform_iteratorI7is_evenIiENSC_INSA_10device_ptrIiEEEESG_SG_EENS0_5tupleIJPiSJ_EEENSR_IJSJ_SJ_EEES6_PlJS6_EEE10hipError_tPvRmT3_T4_T5_T6_T7_T9_mT8_P12ihipStream_tbDpT10_ENKUlT_T0_E_clISt17integral_constantIbLb0EES1E_IbLb1EEEEDaS1A_S1B_EUlS1A_E_NS1_11comp_targetILNS1_3genE10ELNS1_11target_archE1200ELNS1_3gpuE4ELNS1_3repE0EEENS1_30default_config_static_selectorELNS0_4arch9wavefront6targetE1EEEvT1_ ; -- Begin function _ZN7rocprim17ROCPRIM_400000_NS6detail17trampoline_kernelINS0_14default_configENS1_25partition_config_selectorILNS1_17partition_subalgoE2EiNS0_10empty_typeEbEEZZNS1_14partition_implILS5_2ELb0ES3_jN6thrust23THRUST_200600_302600_NS6detail15normal_iteratorINSA_7pointerIiNSA_11hip_rocprim3tagENSA_11use_defaultESG_EEEEPS6_NSA_18transform_iteratorI7is_evenIiENSC_INSA_10device_ptrIiEEEESG_SG_EENS0_5tupleIJPiSJ_EEENSR_IJSJ_SJ_EEES6_PlJS6_EEE10hipError_tPvRmT3_T4_T5_T6_T7_T9_mT8_P12ihipStream_tbDpT10_ENKUlT_T0_E_clISt17integral_constantIbLb0EES1E_IbLb1EEEEDaS1A_S1B_EUlS1A_E_NS1_11comp_targetILNS1_3genE10ELNS1_11target_archE1200ELNS1_3gpuE4ELNS1_3repE0EEENS1_30default_config_static_selectorELNS0_4arch9wavefront6targetE1EEEvT1_
	.globl	_ZN7rocprim17ROCPRIM_400000_NS6detail17trampoline_kernelINS0_14default_configENS1_25partition_config_selectorILNS1_17partition_subalgoE2EiNS0_10empty_typeEbEEZZNS1_14partition_implILS5_2ELb0ES3_jN6thrust23THRUST_200600_302600_NS6detail15normal_iteratorINSA_7pointerIiNSA_11hip_rocprim3tagENSA_11use_defaultESG_EEEEPS6_NSA_18transform_iteratorI7is_evenIiENSC_INSA_10device_ptrIiEEEESG_SG_EENS0_5tupleIJPiSJ_EEENSR_IJSJ_SJ_EEES6_PlJS6_EEE10hipError_tPvRmT3_T4_T5_T6_T7_T9_mT8_P12ihipStream_tbDpT10_ENKUlT_T0_E_clISt17integral_constantIbLb0EES1E_IbLb1EEEEDaS1A_S1B_EUlS1A_E_NS1_11comp_targetILNS1_3genE10ELNS1_11target_archE1200ELNS1_3gpuE4ELNS1_3repE0EEENS1_30default_config_static_selectorELNS0_4arch9wavefront6targetE1EEEvT1_
	.p2align	8
	.type	_ZN7rocprim17ROCPRIM_400000_NS6detail17trampoline_kernelINS0_14default_configENS1_25partition_config_selectorILNS1_17partition_subalgoE2EiNS0_10empty_typeEbEEZZNS1_14partition_implILS5_2ELb0ES3_jN6thrust23THRUST_200600_302600_NS6detail15normal_iteratorINSA_7pointerIiNSA_11hip_rocprim3tagENSA_11use_defaultESG_EEEEPS6_NSA_18transform_iteratorI7is_evenIiENSC_INSA_10device_ptrIiEEEESG_SG_EENS0_5tupleIJPiSJ_EEENSR_IJSJ_SJ_EEES6_PlJS6_EEE10hipError_tPvRmT3_T4_T5_T6_T7_T9_mT8_P12ihipStream_tbDpT10_ENKUlT_T0_E_clISt17integral_constantIbLb0EES1E_IbLb1EEEEDaS1A_S1B_EUlS1A_E_NS1_11comp_targetILNS1_3genE10ELNS1_11target_archE1200ELNS1_3gpuE4ELNS1_3repE0EEENS1_30default_config_static_selectorELNS0_4arch9wavefront6targetE1EEEvT1_,@function
_ZN7rocprim17ROCPRIM_400000_NS6detail17trampoline_kernelINS0_14default_configENS1_25partition_config_selectorILNS1_17partition_subalgoE2EiNS0_10empty_typeEbEEZZNS1_14partition_implILS5_2ELb0ES3_jN6thrust23THRUST_200600_302600_NS6detail15normal_iteratorINSA_7pointerIiNSA_11hip_rocprim3tagENSA_11use_defaultESG_EEEEPS6_NSA_18transform_iteratorI7is_evenIiENSC_INSA_10device_ptrIiEEEESG_SG_EENS0_5tupleIJPiSJ_EEENSR_IJSJ_SJ_EEES6_PlJS6_EEE10hipError_tPvRmT3_T4_T5_T6_T7_T9_mT8_P12ihipStream_tbDpT10_ENKUlT_T0_E_clISt17integral_constantIbLb0EES1E_IbLb1EEEEDaS1A_S1B_EUlS1A_E_NS1_11comp_targetILNS1_3genE10ELNS1_11target_archE1200ELNS1_3gpuE4ELNS1_3repE0EEENS1_30default_config_static_selectorELNS0_4arch9wavefront6targetE1EEEvT1_: ; @_ZN7rocprim17ROCPRIM_400000_NS6detail17trampoline_kernelINS0_14default_configENS1_25partition_config_selectorILNS1_17partition_subalgoE2EiNS0_10empty_typeEbEEZZNS1_14partition_implILS5_2ELb0ES3_jN6thrust23THRUST_200600_302600_NS6detail15normal_iteratorINSA_7pointerIiNSA_11hip_rocprim3tagENSA_11use_defaultESG_EEEEPS6_NSA_18transform_iteratorI7is_evenIiENSC_INSA_10device_ptrIiEEEESG_SG_EENS0_5tupleIJPiSJ_EEENSR_IJSJ_SJ_EEES6_PlJS6_EEE10hipError_tPvRmT3_T4_T5_T6_T7_T9_mT8_P12ihipStream_tbDpT10_ENKUlT_T0_E_clISt17integral_constantIbLb0EES1E_IbLb1EEEEDaS1A_S1B_EUlS1A_E_NS1_11comp_targetILNS1_3genE10ELNS1_11target_archE1200ELNS1_3gpuE4ELNS1_3repE0EEENS1_30default_config_static_selectorELNS0_4arch9wavefront6targetE1EEEvT1_
; %bb.0:
	.section	.rodata,"a",@progbits
	.p2align	6, 0x0
	.amdhsa_kernel _ZN7rocprim17ROCPRIM_400000_NS6detail17trampoline_kernelINS0_14default_configENS1_25partition_config_selectorILNS1_17partition_subalgoE2EiNS0_10empty_typeEbEEZZNS1_14partition_implILS5_2ELb0ES3_jN6thrust23THRUST_200600_302600_NS6detail15normal_iteratorINSA_7pointerIiNSA_11hip_rocprim3tagENSA_11use_defaultESG_EEEEPS6_NSA_18transform_iteratorI7is_evenIiENSC_INSA_10device_ptrIiEEEESG_SG_EENS0_5tupleIJPiSJ_EEENSR_IJSJ_SJ_EEES6_PlJS6_EEE10hipError_tPvRmT3_T4_T5_T6_T7_T9_mT8_P12ihipStream_tbDpT10_ENKUlT_T0_E_clISt17integral_constantIbLb0EES1E_IbLb1EEEEDaS1A_S1B_EUlS1A_E_NS1_11comp_targetILNS1_3genE10ELNS1_11target_archE1200ELNS1_3gpuE4ELNS1_3repE0EEENS1_30default_config_static_selectorELNS0_4arch9wavefront6targetE1EEEvT1_
		.amdhsa_group_segment_fixed_size 0
		.amdhsa_private_segment_fixed_size 0
		.amdhsa_kernarg_size 144
		.amdhsa_user_sgpr_count 6
		.amdhsa_user_sgpr_private_segment_buffer 1
		.amdhsa_user_sgpr_dispatch_ptr 0
		.amdhsa_user_sgpr_queue_ptr 0
		.amdhsa_user_sgpr_kernarg_segment_ptr 1
		.amdhsa_user_sgpr_dispatch_id 0
		.amdhsa_user_sgpr_flat_scratch_init 0
		.amdhsa_user_sgpr_kernarg_preload_length 0
		.amdhsa_user_sgpr_kernarg_preload_offset 0
		.amdhsa_user_sgpr_private_segment_size 0
		.amdhsa_uses_dynamic_stack 0
		.amdhsa_system_sgpr_private_segment_wavefront_offset 0
		.amdhsa_system_sgpr_workgroup_id_x 1
		.amdhsa_system_sgpr_workgroup_id_y 0
		.amdhsa_system_sgpr_workgroup_id_z 0
		.amdhsa_system_sgpr_workgroup_info 0
		.amdhsa_system_vgpr_workitem_id 0
		.amdhsa_next_free_vgpr 1
		.amdhsa_next_free_sgpr 0
		.amdhsa_accum_offset 4
		.amdhsa_reserve_vcc 0
		.amdhsa_reserve_flat_scratch 0
		.amdhsa_float_round_mode_32 0
		.amdhsa_float_round_mode_16_64 0
		.amdhsa_float_denorm_mode_32 3
		.amdhsa_float_denorm_mode_16_64 3
		.amdhsa_dx10_clamp 1
		.amdhsa_ieee_mode 1
		.amdhsa_fp16_overflow 0
		.amdhsa_tg_split 0
		.amdhsa_exception_fp_ieee_invalid_op 0
		.amdhsa_exception_fp_denorm_src 0
		.amdhsa_exception_fp_ieee_div_zero 0
		.amdhsa_exception_fp_ieee_overflow 0
		.amdhsa_exception_fp_ieee_underflow 0
		.amdhsa_exception_fp_ieee_inexact 0
		.amdhsa_exception_int_div_zero 0
	.end_amdhsa_kernel
	.section	.text._ZN7rocprim17ROCPRIM_400000_NS6detail17trampoline_kernelINS0_14default_configENS1_25partition_config_selectorILNS1_17partition_subalgoE2EiNS0_10empty_typeEbEEZZNS1_14partition_implILS5_2ELb0ES3_jN6thrust23THRUST_200600_302600_NS6detail15normal_iteratorINSA_7pointerIiNSA_11hip_rocprim3tagENSA_11use_defaultESG_EEEEPS6_NSA_18transform_iteratorI7is_evenIiENSC_INSA_10device_ptrIiEEEESG_SG_EENS0_5tupleIJPiSJ_EEENSR_IJSJ_SJ_EEES6_PlJS6_EEE10hipError_tPvRmT3_T4_T5_T6_T7_T9_mT8_P12ihipStream_tbDpT10_ENKUlT_T0_E_clISt17integral_constantIbLb0EES1E_IbLb1EEEEDaS1A_S1B_EUlS1A_E_NS1_11comp_targetILNS1_3genE10ELNS1_11target_archE1200ELNS1_3gpuE4ELNS1_3repE0EEENS1_30default_config_static_selectorELNS0_4arch9wavefront6targetE1EEEvT1_,"axG",@progbits,_ZN7rocprim17ROCPRIM_400000_NS6detail17trampoline_kernelINS0_14default_configENS1_25partition_config_selectorILNS1_17partition_subalgoE2EiNS0_10empty_typeEbEEZZNS1_14partition_implILS5_2ELb0ES3_jN6thrust23THRUST_200600_302600_NS6detail15normal_iteratorINSA_7pointerIiNSA_11hip_rocprim3tagENSA_11use_defaultESG_EEEEPS6_NSA_18transform_iteratorI7is_evenIiENSC_INSA_10device_ptrIiEEEESG_SG_EENS0_5tupleIJPiSJ_EEENSR_IJSJ_SJ_EEES6_PlJS6_EEE10hipError_tPvRmT3_T4_T5_T6_T7_T9_mT8_P12ihipStream_tbDpT10_ENKUlT_T0_E_clISt17integral_constantIbLb0EES1E_IbLb1EEEEDaS1A_S1B_EUlS1A_E_NS1_11comp_targetILNS1_3genE10ELNS1_11target_archE1200ELNS1_3gpuE4ELNS1_3repE0EEENS1_30default_config_static_selectorELNS0_4arch9wavefront6targetE1EEEvT1_,comdat
.Lfunc_end252:
	.size	_ZN7rocprim17ROCPRIM_400000_NS6detail17trampoline_kernelINS0_14default_configENS1_25partition_config_selectorILNS1_17partition_subalgoE2EiNS0_10empty_typeEbEEZZNS1_14partition_implILS5_2ELb0ES3_jN6thrust23THRUST_200600_302600_NS6detail15normal_iteratorINSA_7pointerIiNSA_11hip_rocprim3tagENSA_11use_defaultESG_EEEEPS6_NSA_18transform_iteratorI7is_evenIiENSC_INSA_10device_ptrIiEEEESG_SG_EENS0_5tupleIJPiSJ_EEENSR_IJSJ_SJ_EEES6_PlJS6_EEE10hipError_tPvRmT3_T4_T5_T6_T7_T9_mT8_P12ihipStream_tbDpT10_ENKUlT_T0_E_clISt17integral_constantIbLb0EES1E_IbLb1EEEEDaS1A_S1B_EUlS1A_E_NS1_11comp_targetILNS1_3genE10ELNS1_11target_archE1200ELNS1_3gpuE4ELNS1_3repE0EEENS1_30default_config_static_selectorELNS0_4arch9wavefront6targetE1EEEvT1_, .Lfunc_end252-_ZN7rocprim17ROCPRIM_400000_NS6detail17trampoline_kernelINS0_14default_configENS1_25partition_config_selectorILNS1_17partition_subalgoE2EiNS0_10empty_typeEbEEZZNS1_14partition_implILS5_2ELb0ES3_jN6thrust23THRUST_200600_302600_NS6detail15normal_iteratorINSA_7pointerIiNSA_11hip_rocprim3tagENSA_11use_defaultESG_EEEEPS6_NSA_18transform_iteratorI7is_evenIiENSC_INSA_10device_ptrIiEEEESG_SG_EENS0_5tupleIJPiSJ_EEENSR_IJSJ_SJ_EEES6_PlJS6_EEE10hipError_tPvRmT3_T4_T5_T6_T7_T9_mT8_P12ihipStream_tbDpT10_ENKUlT_T0_E_clISt17integral_constantIbLb0EES1E_IbLb1EEEEDaS1A_S1B_EUlS1A_E_NS1_11comp_targetILNS1_3genE10ELNS1_11target_archE1200ELNS1_3gpuE4ELNS1_3repE0EEENS1_30default_config_static_selectorELNS0_4arch9wavefront6targetE1EEEvT1_
                                        ; -- End function
	.section	.AMDGPU.csdata,"",@progbits
; Kernel info:
; codeLenInByte = 0
; NumSgprs: 4
; NumVgprs: 0
; NumAgprs: 0
; TotalNumVgprs: 0
; ScratchSize: 0
; MemoryBound: 0
; FloatMode: 240
; IeeeMode: 1
; LDSByteSize: 0 bytes/workgroup (compile time only)
; SGPRBlocks: 0
; VGPRBlocks: 0
; NumSGPRsForWavesPerEU: 4
; NumVGPRsForWavesPerEU: 1
; AccumOffset: 4
; Occupancy: 8
; WaveLimiterHint : 0
; COMPUTE_PGM_RSRC2:SCRATCH_EN: 0
; COMPUTE_PGM_RSRC2:USER_SGPR: 6
; COMPUTE_PGM_RSRC2:TRAP_HANDLER: 0
; COMPUTE_PGM_RSRC2:TGID_X_EN: 1
; COMPUTE_PGM_RSRC2:TGID_Y_EN: 0
; COMPUTE_PGM_RSRC2:TGID_Z_EN: 0
; COMPUTE_PGM_RSRC2:TIDIG_COMP_CNT: 0
; COMPUTE_PGM_RSRC3_GFX90A:ACCUM_OFFSET: 0
; COMPUTE_PGM_RSRC3_GFX90A:TG_SPLIT: 0
	.section	.text._ZN7rocprim17ROCPRIM_400000_NS6detail17trampoline_kernelINS0_14default_configENS1_25partition_config_selectorILNS1_17partition_subalgoE2EiNS0_10empty_typeEbEEZZNS1_14partition_implILS5_2ELb0ES3_jN6thrust23THRUST_200600_302600_NS6detail15normal_iteratorINSA_7pointerIiNSA_11hip_rocprim3tagENSA_11use_defaultESG_EEEEPS6_NSA_18transform_iteratorI7is_evenIiENSC_INSA_10device_ptrIiEEEESG_SG_EENS0_5tupleIJPiSJ_EEENSR_IJSJ_SJ_EEES6_PlJS6_EEE10hipError_tPvRmT3_T4_T5_T6_T7_T9_mT8_P12ihipStream_tbDpT10_ENKUlT_T0_E_clISt17integral_constantIbLb0EES1E_IbLb1EEEEDaS1A_S1B_EUlS1A_E_NS1_11comp_targetILNS1_3genE9ELNS1_11target_archE1100ELNS1_3gpuE3ELNS1_3repE0EEENS1_30default_config_static_selectorELNS0_4arch9wavefront6targetE1EEEvT1_,"axG",@progbits,_ZN7rocprim17ROCPRIM_400000_NS6detail17trampoline_kernelINS0_14default_configENS1_25partition_config_selectorILNS1_17partition_subalgoE2EiNS0_10empty_typeEbEEZZNS1_14partition_implILS5_2ELb0ES3_jN6thrust23THRUST_200600_302600_NS6detail15normal_iteratorINSA_7pointerIiNSA_11hip_rocprim3tagENSA_11use_defaultESG_EEEEPS6_NSA_18transform_iteratorI7is_evenIiENSC_INSA_10device_ptrIiEEEESG_SG_EENS0_5tupleIJPiSJ_EEENSR_IJSJ_SJ_EEES6_PlJS6_EEE10hipError_tPvRmT3_T4_T5_T6_T7_T9_mT8_P12ihipStream_tbDpT10_ENKUlT_T0_E_clISt17integral_constantIbLb0EES1E_IbLb1EEEEDaS1A_S1B_EUlS1A_E_NS1_11comp_targetILNS1_3genE9ELNS1_11target_archE1100ELNS1_3gpuE3ELNS1_3repE0EEENS1_30default_config_static_selectorELNS0_4arch9wavefront6targetE1EEEvT1_,comdat
	.protected	_ZN7rocprim17ROCPRIM_400000_NS6detail17trampoline_kernelINS0_14default_configENS1_25partition_config_selectorILNS1_17partition_subalgoE2EiNS0_10empty_typeEbEEZZNS1_14partition_implILS5_2ELb0ES3_jN6thrust23THRUST_200600_302600_NS6detail15normal_iteratorINSA_7pointerIiNSA_11hip_rocprim3tagENSA_11use_defaultESG_EEEEPS6_NSA_18transform_iteratorI7is_evenIiENSC_INSA_10device_ptrIiEEEESG_SG_EENS0_5tupleIJPiSJ_EEENSR_IJSJ_SJ_EEES6_PlJS6_EEE10hipError_tPvRmT3_T4_T5_T6_T7_T9_mT8_P12ihipStream_tbDpT10_ENKUlT_T0_E_clISt17integral_constantIbLb0EES1E_IbLb1EEEEDaS1A_S1B_EUlS1A_E_NS1_11comp_targetILNS1_3genE9ELNS1_11target_archE1100ELNS1_3gpuE3ELNS1_3repE0EEENS1_30default_config_static_selectorELNS0_4arch9wavefront6targetE1EEEvT1_ ; -- Begin function _ZN7rocprim17ROCPRIM_400000_NS6detail17trampoline_kernelINS0_14default_configENS1_25partition_config_selectorILNS1_17partition_subalgoE2EiNS0_10empty_typeEbEEZZNS1_14partition_implILS5_2ELb0ES3_jN6thrust23THRUST_200600_302600_NS6detail15normal_iteratorINSA_7pointerIiNSA_11hip_rocprim3tagENSA_11use_defaultESG_EEEEPS6_NSA_18transform_iteratorI7is_evenIiENSC_INSA_10device_ptrIiEEEESG_SG_EENS0_5tupleIJPiSJ_EEENSR_IJSJ_SJ_EEES6_PlJS6_EEE10hipError_tPvRmT3_T4_T5_T6_T7_T9_mT8_P12ihipStream_tbDpT10_ENKUlT_T0_E_clISt17integral_constantIbLb0EES1E_IbLb1EEEEDaS1A_S1B_EUlS1A_E_NS1_11comp_targetILNS1_3genE9ELNS1_11target_archE1100ELNS1_3gpuE3ELNS1_3repE0EEENS1_30default_config_static_selectorELNS0_4arch9wavefront6targetE1EEEvT1_
	.globl	_ZN7rocprim17ROCPRIM_400000_NS6detail17trampoline_kernelINS0_14default_configENS1_25partition_config_selectorILNS1_17partition_subalgoE2EiNS0_10empty_typeEbEEZZNS1_14partition_implILS5_2ELb0ES3_jN6thrust23THRUST_200600_302600_NS6detail15normal_iteratorINSA_7pointerIiNSA_11hip_rocprim3tagENSA_11use_defaultESG_EEEEPS6_NSA_18transform_iteratorI7is_evenIiENSC_INSA_10device_ptrIiEEEESG_SG_EENS0_5tupleIJPiSJ_EEENSR_IJSJ_SJ_EEES6_PlJS6_EEE10hipError_tPvRmT3_T4_T5_T6_T7_T9_mT8_P12ihipStream_tbDpT10_ENKUlT_T0_E_clISt17integral_constantIbLb0EES1E_IbLb1EEEEDaS1A_S1B_EUlS1A_E_NS1_11comp_targetILNS1_3genE9ELNS1_11target_archE1100ELNS1_3gpuE3ELNS1_3repE0EEENS1_30default_config_static_selectorELNS0_4arch9wavefront6targetE1EEEvT1_
	.p2align	8
	.type	_ZN7rocprim17ROCPRIM_400000_NS6detail17trampoline_kernelINS0_14default_configENS1_25partition_config_selectorILNS1_17partition_subalgoE2EiNS0_10empty_typeEbEEZZNS1_14partition_implILS5_2ELb0ES3_jN6thrust23THRUST_200600_302600_NS6detail15normal_iteratorINSA_7pointerIiNSA_11hip_rocprim3tagENSA_11use_defaultESG_EEEEPS6_NSA_18transform_iteratorI7is_evenIiENSC_INSA_10device_ptrIiEEEESG_SG_EENS0_5tupleIJPiSJ_EEENSR_IJSJ_SJ_EEES6_PlJS6_EEE10hipError_tPvRmT3_T4_T5_T6_T7_T9_mT8_P12ihipStream_tbDpT10_ENKUlT_T0_E_clISt17integral_constantIbLb0EES1E_IbLb1EEEEDaS1A_S1B_EUlS1A_E_NS1_11comp_targetILNS1_3genE9ELNS1_11target_archE1100ELNS1_3gpuE3ELNS1_3repE0EEENS1_30default_config_static_selectorELNS0_4arch9wavefront6targetE1EEEvT1_,@function
_ZN7rocprim17ROCPRIM_400000_NS6detail17trampoline_kernelINS0_14default_configENS1_25partition_config_selectorILNS1_17partition_subalgoE2EiNS0_10empty_typeEbEEZZNS1_14partition_implILS5_2ELb0ES3_jN6thrust23THRUST_200600_302600_NS6detail15normal_iteratorINSA_7pointerIiNSA_11hip_rocprim3tagENSA_11use_defaultESG_EEEEPS6_NSA_18transform_iteratorI7is_evenIiENSC_INSA_10device_ptrIiEEEESG_SG_EENS0_5tupleIJPiSJ_EEENSR_IJSJ_SJ_EEES6_PlJS6_EEE10hipError_tPvRmT3_T4_T5_T6_T7_T9_mT8_P12ihipStream_tbDpT10_ENKUlT_T0_E_clISt17integral_constantIbLb0EES1E_IbLb1EEEEDaS1A_S1B_EUlS1A_E_NS1_11comp_targetILNS1_3genE9ELNS1_11target_archE1100ELNS1_3gpuE3ELNS1_3repE0EEENS1_30default_config_static_selectorELNS0_4arch9wavefront6targetE1EEEvT1_: ; @_ZN7rocprim17ROCPRIM_400000_NS6detail17trampoline_kernelINS0_14default_configENS1_25partition_config_selectorILNS1_17partition_subalgoE2EiNS0_10empty_typeEbEEZZNS1_14partition_implILS5_2ELb0ES3_jN6thrust23THRUST_200600_302600_NS6detail15normal_iteratorINSA_7pointerIiNSA_11hip_rocprim3tagENSA_11use_defaultESG_EEEEPS6_NSA_18transform_iteratorI7is_evenIiENSC_INSA_10device_ptrIiEEEESG_SG_EENS0_5tupleIJPiSJ_EEENSR_IJSJ_SJ_EEES6_PlJS6_EEE10hipError_tPvRmT3_T4_T5_T6_T7_T9_mT8_P12ihipStream_tbDpT10_ENKUlT_T0_E_clISt17integral_constantIbLb0EES1E_IbLb1EEEEDaS1A_S1B_EUlS1A_E_NS1_11comp_targetILNS1_3genE9ELNS1_11target_archE1100ELNS1_3gpuE3ELNS1_3repE0EEENS1_30default_config_static_selectorELNS0_4arch9wavefront6targetE1EEEvT1_
; %bb.0:
	.section	.rodata,"a",@progbits
	.p2align	6, 0x0
	.amdhsa_kernel _ZN7rocprim17ROCPRIM_400000_NS6detail17trampoline_kernelINS0_14default_configENS1_25partition_config_selectorILNS1_17partition_subalgoE2EiNS0_10empty_typeEbEEZZNS1_14partition_implILS5_2ELb0ES3_jN6thrust23THRUST_200600_302600_NS6detail15normal_iteratorINSA_7pointerIiNSA_11hip_rocprim3tagENSA_11use_defaultESG_EEEEPS6_NSA_18transform_iteratorI7is_evenIiENSC_INSA_10device_ptrIiEEEESG_SG_EENS0_5tupleIJPiSJ_EEENSR_IJSJ_SJ_EEES6_PlJS6_EEE10hipError_tPvRmT3_T4_T5_T6_T7_T9_mT8_P12ihipStream_tbDpT10_ENKUlT_T0_E_clISt17integral_constantIbLb0EES1E_IbLb1EEEEDaS1A_S1B_EUlS1A_E_NS1_11comp_targetILNS1_3genE9ELNS1_11target_archE1100ELNS1_3gpuE3ELNS1_3repE0EEENS1_30default_config_static_selectorELNS0_4arch9wavefront6targetE1EEEvT1_
		.amdhsa_group_segment_fixed_size 0
		.amdhsa_private_segment_fixed_size 0
		.amdhsa_kernarg_size 144
		.amdhsa_user_sgpr_count 6
		.amdhsa_user_sgpr_private_segment_buffer 1
		.amdhsa_user_sgpr_dispatch_ptr 0
		.amdhsa_user_sgpr_queue_ptr 0
		.amdhsa_user_sgpr_kernarg_segment_ptr 1
		.amdhsa_user_sgpr_dispatch_id 0
		.amdhsa_user_sgpr_flat_scratch_init 0
		.amdhsa_user_sgpr_kernarg_preload_length 0
		.amdhsa_user_sgpr_kernarg_preload_offset 0
		.amdhsa_user_sgpr_private_segment_size 0
		.amdhsa_uses_dynamic_stack 0
		.amdhsa_system_sgpr_private_segment_wavefront_offset 0
		.amdhsa_system_sgpr_workgroup_id_x 1
		.amdhsa_system_sgpr_workgroup_id_y 0
		.amdhsa_system_sgpr_workgroup_id_z 0
		.amdhsa_system_sgpr_workgroup_info 0
		.amdhsa_system_vgpr_workitem_id 0
		.amdhsa_next_free_vgpr 1
		.amdhsa_next_free_sgpr 0
		.amdhsa_accum_offset 4
		.amdhsa_reserve_vcc 0
		.amdhsa_reserve_flat_scratch 0
		.amdhsa_float_round_mode_32 0
		.amdhsa_float_round_mode_16_64 0
		.amdhsa_float_denorm_mode_32 3
		.amdhsa_float_denorm_mode_16_64 3
		.amdhsa_dx10_clamp 1
		.amdhsa_ieee_mode 1
		.amdhsa_fp16_overflow 0
		.amdhsa_tg_split 0
		.amdhsa_exception_fp_ieee_invalid_op 0
		.amdhsa_exception_fp_denorm_src 0
		.amdhsa_exception_fp_ieee_div_zero 0
		.amdhsa_exception_fp_ieee_overflow 0
		.amdhsa_exception_fp_ieee_underflow 0
		.amdhsa_exception_fp_ieee_inexact 0
		.amdhsa_exception_int_div_zero 0
	.end_amdhsa_kernel
	.section	.text._ZN7rocprim17ROCPRIM_400000_NS6detail17trampoline_kernelINS0_14default_configENS1_25partition_config_selectorILNS1_17partition_subalgoE2EiNS0_10empty_typeEbEEZZNS1_14partition_implILS5_2ELb0ES3_jN6thrust23THRUST_200600_302600_NS6detail15normal_iteratorINSA_7pointerIiNSA_11hip_rocprim3tagENSA_11use_defaultESG_EEEEPS6_NSA_18transform_iteratorI7is_evenIiENSC_INSA_10device_ptrIiEEEESG_SG_EENS0_5tupleIJPiSJ_EEENSR_IJSJ_SJ_EEES6_PlJS6_EEE10hipError_tPvRmT3_T4_T5_T6_T7_T9_mT8_P12ihipStream_tbDpT10_ENKUlT_T0_E_clISt17integral_constantIbLb0EES1E_IbLb1EEEEDaS1A_S1B_EUlS1A_E_NS1_11comp_targetILNS1_3genE9ELNS1_11target_archE1100ELNS1_3gpuE3ELNS1_3repE0EEENS1_30default_config_static_selectorELNS0_4arch9wavefront6targetE1EEEvT1_,"axG",@progbits,_ZN7rocprim17ROCPRIM_400000_NS6detail17trampoline_kernelINS0_14default_configENS1_25partition_config_selectorILNS1_17partition_subalgoE2EiNS0_10empty_typeEbEEZZNS1_14partition_implILS5_2ELb0ES3_jN6thrust23THRUST_200600_302600_NS6detail15normal_iteratorINSA_7pointerIiNSA_11hip_rocprim3tagENSA_11use_defaultESG_EEEEPS6_NSA_18transform_iteratorI7is_evenIiENSC_INSA_10device_ptrIiEEEESG_SG_EENS0_5tupleIJPiSJ_EEENSR_IJSJ_SJ_EEES6_PlJS6_EEE10hipError_tPvRmT3_T4_T5_T6_T7_T9_mT8_P12ihipStream_tbDpT10_ENKUlT_T0_E_clISt17integral_constantIbLb0EES1E_IbLb1EEEEDaS1A_S1B_EUlS1A_E_NS1_11comp_targetILNS1_3genE9ELNS1_11target_archE1100ELNS1_3gpuE3ELNS1_3repE0EEENS1_30default_config_static_selectorELNS0_4arch9wavefront6targetE1EEEvT1_,comdat
.Lfunc_end253:
	.size	_ZN7rocprim17ROCPRIM_400000_NS6detail17trampoline_kernelINS0_14default_configENS1_25partition_config_selectorILNS1_17partition_subalgoE2EiNS0_10empty_typeEbEEZZNS1_14partition_implILS5_2ELb0ES3_jN6thrust23THRUST_200600_302600_NS6detail15normal_iteratorINSA_7pointerIiNSA_11hip_rocprim3tagENSA_11use_defaultESG_EEEEPS6_NSA_18transform_iteratorI7is_evenIiENSC_INSA_10device_ptrIiEEEESG_SG_EENS0_5tupleIJPiSJ_EEENSR_IJSJ_SJ_EEES6_PlJS6_EEE10hipError_tPvRmT3_T4_T5_T6_T7_T9_mT8_P12ihipStream_tbDpT10_ENKUlT_T0_E_clISt17integral_constantIbLb0EES1E_IbLb1EEEEDaS1A_S1B_EUlS1A_E_NS1_11comp_targetILNS1_3genE9ELNS1_11target_archE1100ELNS1_3gpuE3ELNS1_3repE0EEENS1_30default_config_static_selectorELNS0_4arch9wavefront6targetE1EEEvT1_, .Lfunc_end253-_ZN7rocprim17ROCPRIM_400000_NS6detail17trampoline_kernelINS0_14default_configENS1_25partition_config_selectorILNS1_17partition_subalgoE2EiNS0_10empty_typeEbEEZZNS1_14partition_implILS5_2ELb0ES3_jN6thrust23THRUST_200600_302600_NS6detail15normal_iteratorINSA_7pointerIiNSA_11hip_rocprim3tagENSA_11use_defaultESG_EEEEPS6_NSA_18transform_iteratorI7is_evenIiENSC_INSA_10device_ptrIiEEEESG_SG_EENS0_5tupleIJPiSJ_EEENSR_IJSJ_SJ_EEES6_PlJS6_EEE10hipError_tPvRmT3_T4_T5_T6_T7_T9_mT8_P12ihipStream_tbDpT10_ENKUlT_T0_E_clISt17integral_constantIbLb0EES1E_IbLb1EEEEDaS1A_S1B_EUlS1A_E_NS1_11comp_targetILNS1_3genE9ELNS1_11target_archE1100ELNS1_3gpuE3ELNS1_3repE0EEENS1_30default_config_static_selectorELNS0_4arch9wavefront6targetE1EEEvT1_
                                        ; -- End function
	.section	.AMDGPU.csdata,"",@progbits
; Kernel info:
; codeLenInByte = 0
; NumSgprs: 4
; NumVgprs: 0
; NumAgprs: 0
; TotalNumVgprs: 0
; ScratchSize: 0
; MemoryBound: 0
; FloatMode: 240
; IeeeMode: 1
; LDSByteSize: 0 bytes/workgroup (compile time only)
; SGPRBlocks: 0
; VGPRBlocks: 0
; NumSGPRsForWavesPerEU: 4
; NumVGPRsForWavesPerEU: 1
; AccumOffset: 4
; Occupancy: 8
; WaveLimiterHint : 0
; COMPUTE_PGM_RSRC2:SCRATCH_EN: 0
; COMPUTE_PGM_RSRC2:USER_SGPR: 6
; COMPUTE_PGM_RSRC2:TRAP_HANDLER: 0
; COMPUTE_PGM_RSRC2:TGID_X_EN: 1
; COMPUTE_PGM_RSRC2:TGID_Y_EN: 0
; COMPUTE_PGM_RSRC2:TGID_Z_EN: 0
; COMPUTE_PGM_RSRC2:TIDIG_COMP_CNT: 0
; COMPUTE_PGM_RSRC3_GFX90A:ACCUM_OFFSET: 0
; COMPUTE_PGM_RSRC3_GFX90A:TG_SPLIT: 0
	.section	.text._ZN7rocprim17ROCPRIM_400000_NS6detail17trampoline_kernelINS0_14default_configENS1_25partition_config_selectorILNS1_17partition_subalgoE2EiNS0_10empty_typeEbEEZZNS1_14partition_implILS5_2ELb0ES3_jN6thrust23THRUST_200600_302600_NS6detail15normal_iteratorINSA_7pointerIiNSA_11hip_rocprim3tagENSA_11use_defaultESG_EEEEPS6_NSA_18transform_iteratorI7is_evenIiENSC_INSA_10device_ptrIiEEEESG_SG_EENS0_5tupleIJPiSJ_EEENSR_IJSJ_SJ_EEES6_PlJS6_EEE10hipError_tPvRmT3_T4_T5_T6_T7_T9_mT8_P12ihipStream_tbDpT10_ENKUlT_T0_E_clISt17integral_constantIbLb0EES1E_IbLb1EEEEDaS1A_S1B_EUlS1A_E_NS1_11comp_targetILNS1_3genE8ELNS1_11target_archE1030ELNS1_3gpuE2ELNS1_3repE0EEENS1_30default_config_static_selectorELNS0_4arch9wavefront6targetE1EEEvT1_,"axG",@progbits,_ZN7rocprim17ROCPRIM_400000_NS6detail17trampoline_kernelINS0_14default_configENS1_25partition_config_selectorILNS1_17partition_subalgoE2EiNS0_10empty_typeEbEEZZNS1_14partition_implILS5_2ELb0ES3_jN6thrust23THRUST_200600_302600_NS6detail15normal_iteratorINSA_7pointerIiNSA_11hip_rocprim3tagENSA_11use_defaultESG_EEEEPS6_NSA_18transform_iteratorI7is_evenIiENSC_INSA_10device_ptrIiEEEESG_SG_EENS0_5tupleIJPiSJ_EEENSR_IJSJ_SJ_EEES6_PlJS6_EEE10hipError_tPvRmT3_T4_T5_T6_T7_T9_mT8_P12ihipStream_tbDpT10_ENKUlT_T0_E_clISt17integral_constantIbLb0EES1E_IbLb1EEEEDaS1A_S1B_EUlS1A_E_NS1_11comp_targetILNS1_3genE8ELNS1_11target_archE1030ELNS1_3gpuE2ELNS1_3repE0EEENS1_30default_config_static_selectorELNS0_4arch9wavefront6targetE1EEEvT1_,comdat
	.protected	_ZN7rocprim17ROCPRIM_400000_NS6detail17trampoline_kernelINS0_14default_configENS1_25partition_config_selectorILNS1_17partition_subalgoE2EiNS0_10empty_typeEbEEZZNS1_14partition_implILS5_2ELb0ES3_jN6thrust23THRUST_200600_302600_NS6detail15normal_iteratorINSA_7pointerIiNSA_11hip_rocprim3tagENSA_11use_defaultESG_EEEEPS6_NSA_18transform_iteratorI7is_evenIiENSC_INSA_10device_ptrIiEEEESG_SG_EENS0_5tupleIJPiSJ_EEENSR_IJSJ_SJ_EEES6_PlJS6_EEE10hipError_tPvRmT3_T4_T5_T6_T7_T9_mT8_P12ihipStream_tbDpT10_ENKUlT_T0_E_clISt17integral_constantIbLb0EES1E_IbLb1EEEEDaS1A_S1B_EUlS1A_E_NS1_11comp_targetILNS1_3genE8ELNS1_11target_archE1030ELNS1_3gpuE2ELNS1_3repE0EEENS1_30default_config_static_selectorELNS0_4arch9wavefront6targetE1EEEvT1_ ; -- Begin function _ZN7rocprim17ROCPRIM_400000_NS6detail17trampoline_kernelINS0_14default_configENS1_25partition_config_selectorILNS1_17partition_subalgoE2EiNS0_10empty_typeEbEEZZNS1_14partition_implILS5_2ELb0ES3_jN6thrust23THRUST_200600_302600_NS6detail15normal_iteratorINSA_7pointerIiNSA_11hip_rocprim3tagENSA_11use_defaultESG_EEEEPS6_NSA_18transform_iteratorI7is_evenIiENSC_INSA_10device_ptrIiEEEESG_SG_EENS0_5tupleIJPiSJ_EEENSR_IJSJ_SJ_EEES6_PlJS6_EEE10hipError_tPvRmT3_T4_T5_T6_T7_T9_mT8_P12ihipStream_tbDpT10_ENKUlT_T0_E_clISt17integral_constantIbLb0EES1E_IbLb1EEEEDaS1A_S1B_EUlS1A_E_NS1_11comp_targetILNS1_3genE8ELNS1_11target_archE1030ELNS1_3gpuE2ELNS1_3repE0EEENS1_30default_config_static_selectorELNS0_4arch9wavefront6targetE1EEEvT1_
	.globl	_ZN7rocprim17ROCPRIM_400000_NS6detail17trampoline_kernelINS0_14default_configENS1_25partition_config_selectorILNS1_17partition_subalgoE2EiNS0_10empty_typeEbEEZZNS1_14partition_implILS5_2ELb0ES3_jN6thrust23THRUST_200600_302600_NS6detail15normal_iteratorINSA_7pointerIiNSA_11hip_rocprim3tagENSA_11use_defaultESG_EEEEPS6_NSA_18transform_iteratorI7is_evenIiENSC_INSA_10device_ptrIiEEEESG_SG_EENS0_5tupleIJPiSJ_EEENSR_IJSJ_SJ_EEES6_PlJS6_EEE10hipError_tPvRmT3_T4_T5_T6_T7_T9_mT8_P12ihipStream_tbDpT10_ENKUlT_T0_E_clISt17integral_constantIbLb0EES1E_IbLb1EEEEDaS1A_S1B_EUlS1A_E_NS1_11comp_targetILNS1_3genE8ELNS1_11target_archE1030ELNS1_3gpuE2ELNS1_3repE0EEENS1_30default_config_static_selectorELNS0_4arch9wavefront6targetE1EEEvT1_
	.p2align	8
	.type	_ZN7rocprim17ROCPRIM_400000_NS6detail17trampoline_kernelINS0_14default_configENS1_25partition_config_selectorILNS1_17partition_subalgoE2EiNS0_10empty_typeEbEEZZNS1_14partition_implILS5_2ELb0ES3_jN6thrust23THRUST_200600_302600_NS6detail15normal_iteratorINSA_7pointerIiNSA_11hip_rocprim3tagENSA_11use_defaultESG_EEEEPS6_NSA_18transform_iteratorI7is_evenIiENSC_INSA_10device_ptrIiEEEESG_SG_EENS0_5tupleIJPiSJ_EEENSR_IJSJ_SJ_EEES6_PlJS6_EEE10hipError_tPvRmT3_T4_T5_T6_T7_T9_mT8_P12ihipStream_tbDpT10_ENKUlT_T0_E_clISt17integral_constantIbLb0EES1E_IbLb1EEEEDaS1A_S1B_EUlS1A_E_NS1_11comp_targetILNS1_3genE8ELNS1_11target_archE1030ELNS1_3gpuE2ELNS1_3repE0EEENS1_30default_config_static_selectorELNS0_4arch9wavefront6targetE1EEEvT1_,@function
_ZN7rocprim17ROCPRIM_400000_NS6detail17trampoline_kernelINS0_14default_configENS1_25partition_config_selectorILNS1_17partition_subalgoE2EiNS0_10empty_typeEbEEZZNS1_14partition_implILS5_2ELb0ES3_jN6thrust23THRUST_200600_302600_NS6detail15normal_iteratorINSA_7pointerIiNSA_11hip_rocprim3tagENSA_11use_defaultESG_EEEEPS6_NSA_18transform_iteratorI7is_evenIiENSC_INSA_10device_ptrIiEEEESG_SG_EENS0_5tupleIJPiSJ_EEENSR_IJSJ_SJ_EEES6_PlJS6_EEE10hipError_tPvRmT3_T4_T5_T6_T7_T9_mT8_P12ihipStream_tbDpT10_ENKUlT_T0_E_clISt17integral_constantIbLb0EES1E_IbLb1EEEEDaS1A_S1B_EUlS1A_E_NS1_11comp_targetILNS1_3genE8ELNS1_11target_archE1030ELNS1_3gpuE2ELNS1_3repE0EEENS1_30default_config_static_selectorELNS0_4arch9wavefront6targetE1EEEvT1_: ; @_ZN7rocprim17ROCPRIM_400000_NS6detail17trampoline_kernelINS0_14default_configENS1_25partition_config_selectorILNS1_17partition_subalgoE2EiNS0_10empty_typeEbEEZZNS1_14partition_implILS5_2ELb0ES3_jN6thrust23THRUST_200600_302600_NS6detail15normal_iteratorINSA_7pointerIiNSA_11hip_rocprim3tagENSA_11use_defaultESG_EEEEPS6_NSA_18transform_iteratorI7is_evenIiENSC_INSA_10device_ptrIiEEEESG_SG_EENS0_5tupleIJPiSJ_EEENSR_IJSJ_SJ_EEES6_PlJS6_EEE10hipError_tPvRmT3_T4_T5_T6_T7_T9_mT8_P12ihipStream_tbDpT10_ENKUlT_T0_E_clISt17integral_constantIbLb0EES1E_IbLb1EEEEDaS1A_S1B_EUlS1A_E_NS1_11comp_targetILNS1_3genE8ELNS1_11target_archE1030ELNS1_3gpuE2ELNS1_3repE0EEENS1_30default_config_static_selectorELNS0_4arch9wavefront6targetE1EEEvT1_
; %bb.0:
	.section	.rodata,"a",@progbits
	.p2align	6, 0x0
	.amdhsa_kernel _ZN7rocprim17ROCPRIM_400000_NS6detail17trampoline_kernelINS0_14default_configENS1_25partition_config_selectorILNS1_17partition_subalgoE2EiNS0_10empty_typeEbEEZZNS1_14partition_implILS5_2ELb0ES3_jN6thrust23THRUST_200600_302600_NS6detail15normal_iteratorINSA_7pointerIiNSA_11hip_rocprim3tagENSA_11use_defaultESG_EEEEPS6_NSA_18transform_iteratorI7is_evenIiENSC_INSA_10device_ptrIiEEEESG_SG_EENS0_5tupleIJPiSJ_EEENSR_IJSJ_SJ_EEES6_PlJS6_EEE10hipError_tPvRmT3_T4_T5_T6_T7_T9_mT8_P12ihipStream_tbDpT10_ENKUlT_T0_E_clISt17integral_constantIbLb0EES1E_IbLb1EEEEDaS1A_S1B_EUlS1A_E_NS1_11comp_targetILNS1_3genE8ELNS1_11target_archE1030ELNS1_3gpuE2ELNS1_3repE0EEENS1_30default_config_static_selectorELNS0_4arch9wavefront6targetE1EEEvT1_
		.amdhsa_group_segment_fixed_size 0
		.amdhsa_private_segment_fixed_size 0
		.amdhsa_kernarg_size 144
		.amdhsa_user_sgpr_count 6
		.amdhsa_user_sgpr_private_segment_buffer 1
		.amdhsa_user_sgpr_dispatch_ptr 0
		.amdhsa_user_sgpr_queue_ptr 0
		.amdhsa_user_sgpr_kernarg_segment_ptr 1
		.amdhsa_user_sgpr_dispatch_id 0
		.amdhsa_user_sgpr_flat_scratch_init 0
		.amdhsa_user_sgpr_kernarg_preload_length 0
		.amdhsa_user_sgpr_kernarg_preload_offset 0
		.amdhsa_user_sgpr_private_segment_size 0
		.amdhsa_uses_dynamic_stack 0
		.amdhsa_system_sgpr_private_segment_wavefront_offset 0
		.amdhsa_system_sgpr_workgroup_id_x 1
		.amdhsa_system_sgpr_workgroup_id_y 0
		.amdhsa_system_sgpr_workgroup_id_z 0
		.amdhsa_system_sgpr_workgroup_info 0
		.amdhsa_system_vgpr_workitem_id 0
		.amdhsa_next_free_vgpr 1
		.amdhsa_next_free_sgpr 0
		.amdhsa_accum_offset 4
		.amdhsa_reserve_vcc 0
		.amdhsa_reserve_flat_scratch 0
		.amdhsa_float_round_mode_32 0
		.amdhsa_float_round_mode_16_64 0
		.amdhsa_float_denorm_mode_32 3
		.amdhsa_float_denorm_mode_16_64 3
		.amdhsa_dx10_clamp 1
		.amdhsa_ieee_mode 1
		.amdhsa_fp16_overflow 0
		.amdhsa_tg_split 0
		.amdhsa_exception_fp_ieee_invalid_op 0
		.amdhsa_exception_fp_denorm_src 0
		.amdhsa_exception_fp_ieee_div_zero 0
		.amdhsa_exception_fp_ieee_overflow 0
		.amdhsa_exception_fp_ieee_underflow 0
		.amdhsa_exception_fp_ieee_inexact 0
		.amdhsa_exception_int_div_zero 0
	.end_amdhsa_kernel
	.section	.text._ZN7rocprim17ROCPRIM_400000_NS6detail17trampoline_kernelINS0_14default_configENS1_25partition_config_selectorILNS1_17partition_subalgoE2EiNS0_10empty_typeEbEEZZNS1_14partition_implILS5_2ELb0ES3_jN6thrust23THRUST_200600_302600_NS6detail15normal_iteratorINSA_7pointerIiNSA_11hip_rocprim3tagENSA_11use_defaultESG_EEEEPS6_NSA_18transform_iteratorI7is_evenIiENSC_INSA_10device_ptrIiEEEESG_SG_EENS0_5tupleIJPiSJ_EEENSR_IJSJ_SJ_EEES6_PlJS6_EEE10hipError_tPvRmT3_T4_T5_T6_T7_T9_mT8_P12ihipStream_tbDpT10_ENKUlT_T0_E_clISt17integral_constantIbLb0EES1E_IbLb1EEEEDaS1A_S1B_EUlS1A_E_NS1_11comp_targetILNS1_3genE8ELNS1_11target_archE1030ELNS1_3gpuE2ELNS1_3repE0EEENS1_30default_config_static_selectorELNS0_4arch9wavefront6targetE1EEEvT1_,"axG",@progbits,_ZN7rocprim17ROCPRIM_400000_NS6detail17trampoline_kernelINS0_14default_configENS1_25partition_config_selectorILNS1_17partition_subalgoE2EiNS0_10empty_typeEbEEZZNS1_14partition_implILS5_2ELb0ES3_jN6thrust23THRUST_200600_302600_NS6detail15normal_iteratorINSA_7pointerIiNSA_11hip_rocprim3tagENSA_11use_defaultESG_EEEEPS6_NSA_18transform_iteratorI7is_evenIiENSC_INSA_10device_ptrIiEEEESG_SG_EENS0_5tupleIJPiSJ_EEENSR_IJSJ_SJ_EEES6_PlJS6_EEE10hipError_tPvRmT3_T4_T5_T6_T7_T9_mT8_P12ihipStream_tbDpT10_ENKUlT_T0_E_clISt17integral_constantIbLb0EES1E_IbLb1EEEEDaS1A_S1B_EUlS1A_E_NS1_11comp_targetILNS1_3genE8ELNS1_11target_archE1030ELNS1_3gpuE2ELNS1_3repE0EEENS1_30default_config_static_selectorELNS0_4arch9wavefront6targetE1EEEvT1_,comdat
.Lfunc_end254:
	.size	_ZN7rocprim17ROCPRIM_400000_NS6detail17trampoline_kernelINS0_14default_configENS1_25partition_config_selectorILNS1_17partition_subalgoE2EiNS0_10empty_typeEbEEZZNS1_14partition_implILS5_2ELb0ES3_jN6thrust23THRUST_200600_302600_NS6detail15normal_iteratorINSA_7pointerIiNSA_11hip_rocprim3tagENSA_11use_defaultESG_EEEEPS6_NSA_18transform_iteratorI7is_evenIiENSC_INSA_10device_ptrIiEEEESG_SG_EENS0_5tupleIJPiSJ_EEENSR_IJSJ_SJ_EEES6_PlJS6_EEE10hipError_tPvRmT3_T4_T5_T6_T7_T9_mT8_P12ihipStream_tbDpT10_ENKUlT_T0_E_clISt17integral_constantIbLb0EES1E_IbLb1EEEEDaS1A_S1B_EUlS1A_E_NS1_11comp_targetILNS1_3genE8ELNS1_11target_archE1030ELNS1_3gpuE2ELNS1_3repE0EEENS1_30default_config_static_selectorELNS0_4arch9wavefront6targetE1EEEvT1_, .Lfunc_end254-_ZN7rocprim17ROCPRIM_400000_NS6detail17trampoline_kernelINS0_14default_configENS1_25partition_config_selectorILNS1_17partition_subalgoE2EiNS0_10empty_typeEbEEZZNS1_14partition_implILS5_2ELb0ES3_jN6thrust23THRUST_200600_302600_NS6detail15normal_iteratorINSA_7pointerIiNSA_11hip_rocprim3tagENSA_11use_defaultESG_EEEEPS6_NSA_18transform_iteratorI7is_evenIiENSC_INSA_10device_ptrIiEEEESG_SG_EENS0_5tupleIJPiSJ_EEENSR_IJSJ_SJ_EEES6_PlJS6_EEE10hipError_tPvRmT3_T4_T5_T6_T7_T9_mT8_P12ihipStream_tbDpT10_ENKUlT_T0_E_clISt17integral_constantIbLb0EES1E_IbLb1EEEEDaS1A_S1B_EUlS1A_E_NS1_11comp_targetILNS1_3genE8ELNS1_11target_archE1030ELNS1_3gpuE2ELNS1_3repE0EEENS1_30default_config_static_selectorELNS0_4arch9wavefront6targetE1EEEvT1_
                                        ; -- End function
	.section	.AMDGPU.csdata,"",@progbits
; Kernel info:
; codeLenInByte = 0
; NumSgprs: 4
; NumVgprs: 0
; NumAgprs: 0
; TotalNumVgprs: 0
; ScratchSize: 0
; MemoryBound: 0
; FloatMode: 240
; IeeeMode: 1
; LDSByteSize: 0 bytes/workgroup (compile time only)
; SGPRBlocks: 0
; VGPRBlocks: 0
; NumSGPRsForWavesPerEU: 4
; NumVGPRsForWavesPerEU: 1
; AccumOffset: 4
; Occupancy: 8
; WaveLimiterHint : 0
; COMPUTE_PGM_RSRC2:SCRATCH_EN: 0
; COMPUTE_PGM_RSRC2:USER_SGPR: 6
; COMPUTE_PGM_RSRC2:TRAP_HANDLER: 0
; COMPUTE_PGM_RSRC2:TGID_X_EN: 1
; COMPUTE_PGM_RSRC2:TGID_Y_EN: 0
; COMPUTE_PGM_RSRC2:TGID_Z_EN: 0
; COMPUTE_PGM_RSRC2:TIDIG_COMP_CNT: 0
; COMPUTE_PGM_RSRC3_GFX90A:ACCUM_OFFSET: 0
; COMPUTE_PGM_RSRC3_GFX90A:TG_SPLIT: 0
	.section	.text._ZN6thrust23THRUST_200600_302600_NS11hip_rocprim14__parallel_for6kernelILj256ENS1_13__swap_ranges6swap_fINS0_6detail15normal_iteratorINS0_10device_ptrIiEEEENS0_16reverse_iteratorISA_EEEElLj1EEEvT0_T1_SF_,"axG",@progbits,_ZN6thrust23THRUST_200600_302600_NS11hip_rocprim14__parallel_for6kernelILj256ENS1_13__swap_ranges6swap_fINS0_6detail15normal_iteratorINS0_10device_ptrIiEEEENS0_16reverse_iteratorISA_EEEElLj1EEEvT0_T1_SF_,comdat
	.protected	_ZN6thrust23THRUST_200600_302600_NS11hip_rocprim14__parallel_for6kernelILj256ENS1_13__swap_ranges6swap_fINS0_6detail15normal_iteratorINS0_10device_ptrIiEEEENS0_16reverse_iteratorISA_EEEElLj1EEEvT0_T1_SF_ ; -- Begin function _ZN6thrust23THRUST_200600_302600_NS11hip_rocprim14__parallel_for6kernelILj256ENS1_13__swap_ranges6swap_fINS0_6detail15normal_iteratorINS0_10device_ptrIiEEEENS0_16reverse_iteratorISA_EEEElLj1EEEvT0_T1_SF_
	.globl	_ZN6thrust23THRUST_200600_302600_NS11hip_rocprim14__parallel_for6kernelILj256ENS1_13__swap_ranges6swap_fINS0_6detail15normal_iteratorINS0_10device_ptrIiEEEENS0_16reverse_iteratorISA_EEEElLj1EEEvT0_T1_SF_
	.p2align	8
	.type	_ZN6thrust23THRUST_200600_302600_NS11hip_rocprim14__parallel_for6kernelILj256ENS1_13__swap_ranges6swap_fINS0_6detail15normal_iteratorINS0_10device_ptrIiEEEENS0_16reverse_iteratorISA_EEEElLj1EEEvT0_T1_SF_,@function
_ZN6thrust23THRUST_200600_302600_NS11hip_rocprim14__parallel_for6kernelILj256ENS1_13__swap_ranges6swap_fINS0_6detail15normal_iteratorINS0_10device_ptrIiEEEENS0_16reverse_iteratorISA_EEEElLj1EEEvT0_T1_SF_: ; @_ZN6thrust23THRUST_200600_302600_NS11hip_rocprim14__parallel_for6kernelILj256ENS1_13__swap_ranges6swap_fINS0_6detail15normal_iteratorINS0_10device_ptrIiEEEENS0_16reverse_iteratorISA_EEEElLj1EEEvT0_T1_SF_
; %bb.0:
	s_load_dwordx8 s[8:15], s[4:5], 0x0
	s_lshl_b32 s0, s6, 8
	v_mov_b32_e32 v2, 0x100
	v_mov_b32_e32 v3, 0
	s_waitcnt lgkmcnt(0)
	s_add_u32 s2, s0, s14
	s_addc_u32 s3, 0, s15
	s_sub_u32 s0, s12, s2
	s_subb_u32 s1, s13, s3
	v_cmp_lt_i64_e32 vcc, s[0:1], v[2:3]
	s_and_b64 s[4:5], vcc, exec
	s_cselect_b32 s4, s0, 0x100
	s_cmpk_lg_i32 s4, 0x100
	s_mov_b64 s[0:1], -1
	s_cbranch_scc1 .LBB255_3
; %bb.1:
	s_andn2_b64 vcc, exec, s[0:1]
	s_cbranch_vccz .LBB255_6
.LBB255_2:
	s_endpgm
.LBB255_3:
	v_cmp_gt_u32_e32 vcc, s4, v0
	s_and_saveexec_b64 s[0:1], vcc
	s_cbranch_execz .LBB255_5
; %bb.4:
	v_mov_b32_e32 v1, s3
	v_add_co_u32_e32 v2, vcc, s2, v0
	v_addc_co_u32_e32 v3, vcc, 0, v1, vcc
	v_lshlrev_b64 v[2:3], 2, v[2:3]
	v_mov_b32_e32 v1, s11
	v_sub_co_u32_e32 v4, vcc, s10, v2
	v_subb_co_u32_e32 v1, vcc, v1, v3, vcc
	v_mov_b32_e32 v5, s9
	v_add_co_u32_e32 v2, vcc, s8, v2
	v_addc_co_u32_e32 v3, vcc, v5, v3, vcc
	v_add_co_u32_e32 v4, vcc, -4, v4
	v_addc_co_u32_e32 v5, vcc, -1, v1, vcc
	flat_load_dword v1, v[4:5]
	flat_load_dword v6, v[2:3]
	s_waitcnt vmcnt(0) lgkmcnt(0)
	flat_store_dword v[2:3], v1
	flat_store_dword v[4:5], v6
.LBB255_5:
	s_or_b64 exec, exec, s[0:1]
	s_cbranch_execnz .LBB255_2
.LBB255_6:
	v_mov_b32_e32 v1, s3
	v_add_co_u32_e32 v0, vcc, s2, v0
	v_addc_co_u32_e32 v1, vcc, 0, v1, vcc
	v_lshlrev_b64 v[0:1], 2, v[0:1]
	v_mov_b32_e32 v3, s9
	v_add_co_u32_e32 v2, vcc, s8, v0
	v_addc_co_u32_e32 v3, vcc, v3, v1, vcc
	v_mov_b32_e32 v4, s11
	v_sub_co_u32_e32 v0, vcc, s10, v0
	v_subb_co_u32_e32 v1, vcc, v4, v1, vcc
	v_add_co_u32_e32 v0, vcc, -4, v0
	v_addc_co_u32_e32 v1, vcc, -1, v1, vcc
	flat_load_dword v4, v[0:1]
	flat_load_dword v5, v[2:3]
	s_waitcnt vmcnt(0) lgkmcnt(0)
	flat_store_dword v[2:3], v4
	flat_store_dword v[0:1], v5
	s_endpgm
	.section	.rodata,"a",@progbits
	.p2align	6, 0x0
	.amdhsa_kernel _ZN6thrust23THRUST_200600_302600_NS11hip_rocprim14__parallel_for6kernelILj256ENS1_13__swap_ranges6swap_fINS0_6detail15normal_iteratorINS0_10device_ptrIiEEEENS0_16reverse_iteratorISA_EEEElLj1EEEvT0_T1_SF_
		.amdhsa_group_segment_fixed_size 0
		.amdhsa_private_segment_fixed_size 0
		.amdhsa_kernarg_size 32
		.amdhsa_user_sgpr_count 6
		.amdhsa_user_sgpr_private_segment_buffer 1
		.amdhsa_user_sgpr_dispatch_ptr 0
		.amdhsa_user_sgpr_queue_ptr 0
		.amdhsa_user_sgpr_kernarg_segment_ptr 1
		.amdhsa_user_sgpr_dispatch_id 0
		.amdhsa_user_sgpr_flat_scratch_init 0
		.amdhsa_user_sgpr_kernarg_preload_length 0
		.amdhsa_user_sgpr_kernarg_preload_offset 0
		.amdhsa_user_sgpr_private_segment_size 0
		.amdhsa_uses_dynamic_stack 0
		.amdhsa_system_sgpr_private_segment_wavefront_offset 0
		.amdhsa_system_sgpr_workgroup_id_x 1
		.amdhsa_system_sgpr_workgroup_id_y 0
		.amdhsa_system_sgpr_workgroup_id_z 0
		.amdhsa_system_sgpr_workgroup_info 0
		.amdhsa_system_vgpr_workitem_id 0
		.amdhsa_next_free_vgpr 7
		.amdhsa_next_free_sgpr 16
		.amdhsa_accum_offset 8
		.amdhsa_reserve_vcc 1
		.amdhsa_reserve_flat_scratch 0
		.amdhsa_float_round_mode_32 0
		.amdhsa_float_round_mode_16_64 0
		.amdhsa_float_denorm_mode_32 3
		.amdhsa_float_denorm_mode_16_64 3
		.amdhsa_dx10_clamp 1
		.amdhsa_ieee_mode 1
		.amdhsa_fp16_overflow 0
		.amdhsa_tg_split 0
		.amdhsa_exception_fp_ieee_invalid_op 0
		.amdhsa_exception_fp_denorm_src 0
		.amdhsa_exception_fp_ieee_div_zero 0
		.amdhsa_exception_fp_ieee_overflow 0
		.amdhsa_exception_fp_ieee_underflow 0
		.amdhsa_exception_fp_ieee_inexact 0
		.amdhsa_exception_int_div_zero 0
	.end_amdhsa_kernel
	.section	.text._ZN6thrust23THRUST_200600_302600_NS11hip_rocprim14__parallel_for6kernelILj256ENS1_13__swap_ranges6swap_fINS0_6detail15normal_iteratorINS0_10device_ptrIiEEEENS0_16reverse_iteratorISA_EEEElLj1EEEvT0_T1_SF_,"axG",@progbits,_ZN6thrust23THRUST_200600_302600_NS11hip_rocprim14__parallel_for6kernelILj256ENS1_13__swap_ranges6swap_fINS0_6detail15normal_iteratorINS0_10device_ptrIiEEEENS0_16reverse_iteratorISA_EEEElLj1EEEvT0_T1_SF_,comdat
.Lfunc_end255:
	.size	_ZN6thrust23THRUST_200600_302600_NS11hip_rocprim14__parallel_for6kernelILj256ENS1_13__swap_ranges6swap_fINS0_6detail15normal_iteratorINS0_10device_ptrIiEEEENS0_16reverse_iteratorISA_EEEElLj1EEEvT0_T1_SF_, .Lfunc_end255-_ZN6thrust23THRUST_200600_302600_NS11hip_rocprim14__parallel_for6kernelILj256ENS1_13__swap_ranges6swap_fINS0_6detail15normal_iteratorINS0_10device_ptrIiEEEENS0_16reverse_iteratorISA_EEEElLj1EEEvT0_T1_SF_
                                        ; -- End function
	.section	.AMDGPU.csdata,"",@progbits
; Kernel info:
; codeLenInByte = 284
; NumSgprs: 20
; NumVgprs: 7
; NumAgprs: 0
; TotalNumVgprs: 7
; ScratchSize: 0
; MemoryBound: 0
; FloatMode: 240
; IeeeMode: 1
; LDSByteSize: 0 bytes/workgroup (compile time only)
; SGPRBlocks: 2
; VGPRBlocks: 0
; NumSGPRsForWavesPerEU: 20
; NumVGPRsForWavesPerEU: 7
; AccumOffset: 8
; Occupancy: 8
; WaveLimiterHint : 0
; COMPUTE_PGM_RSRC2:SCRATCH_EN: 0
; COMPUTE_PGM_RSRC2:USER_SGPR: 6
; COMPUTE_PGM_RSRC2:TRAP_HANDLER: 0
; COMPUTE_PGM_RSRC2:TGID_X_EN: 1
; COMPUTE_PGM_RSRC2:TGID_Y_EN: 0
; COMPUTE_PGM_RSRC2:TGID_Z_EN: 0
; COMPUTE_PGM_RSRC2:TIDIG_COMP_CNT: 0
; COMPUTE_PGM_RSRC3_GFX90A:ACCUM_OFFSET: 1
; COMPUTE_PGM_RSRC3_GFX90A:TG_SPLIT: 0
	.section	.text._ZN7rocprim17ROCPRIM_400000_NS6detail17trampoline_kernelINS0_14default_configENS1_25partition_config_selectorILNS1_17partition_subalgoE2EsNS0_10empty_typeEbEEZZNS1_14partition_implILS5_2ELb0ES3_jN6thrust23THRUST_200600_302600_NS6detail15normal_iteratorINSA_7pointerIsNSA_11hip_rocprim3tagENSA_11use_defaultESG_EEEEPS6_NSA_18transform_iteratorI7is_evenIsENSC_INSA_10device_ptrIsEEEESG_SG_EENS0_5tupleIJPsSJ_EEENSR_IJSJ_SJ_EEES6_PlJS6_EEE10hipError_tPvRmT3_T4_T5_T6_T7_T9_mT8_P12ihipStream_tbDpT10_ENKUlT_T0_E_clISt17integral_constantIbLb0EES1F_EEDaS1A_S1B_EUlS1A_E_NS1_11comp_targetILNS1_3genE0ELNS1_11target_archE4294967295ELNS1_3gpuE0ELNS1_3repE0EEENS1_30default_config_static_selectorELNS0_4arch9wavefront6targetE1EEEvT1_,"axG",@progbits,_ZN7rocprim17ROCPRIM_400000_NS6detail17trampoline_kernelINS0_14default_configENS1_25partition_config_selectorILNS1_17partition_subalgoE2EsNS0_10empty_typeEbEEZZNS1_14partition_implILS5_2ELb0ES3_jN6thrust23THRUST_200600_302600_NS6detail15normal_iteratorINSA_7pointerIsNSA_11hip_rocprim3tagENSA_11use_defaultESG_EEEEPS6_NSA_18transform_iteratorI7is_evenIsENSC_INSA_10device_ptrIsEEEESG_SG_EENS0_5tupleIJPsSJ_EEENSR_IJSJ_SJ_EEES6_PlJS6_EEE10hipError_tPvRmT3_T4_T5_T6_T7_T9_mT8_P12ihipStream_tbDpT10_ENKUlT_T0_E_clISt17integral_constantIbLb0EES1F_EEDaS1A_S1B_EUlS1A_E_NS1_11comp_targetILNS1_3genE0ELNS1_11target_archE4294967295ELNS1_3gpuE0ELNS1_3repE0EEENS1_30default_config_static_selectorELNS0_4arch9wavefront6targetE1EEEvT1_,comdat
	.protected	_ZN7rocprim17ROCPRIM_400000_NS6detail17trampoline_kernelINS0_14default_configENS1_25partition_config_selectorILNS1_17partition_subalgoE2EsNS0_10empty_typeEbEEZZNS1_14partition_implILS5_2ELb0ES3_jN6thrust23THRUST_200600_302600_NS6detail15normal_iteratorINSA_7pointerIsNSA_11hip_rocprim3tagENSA_11use_defaultESG_EEEEPS6_NSA_18transform_iteratorI7is_evenIsENSC_INSA_10device_ptrIsEEEESG_SG_EENS0_5tupleIJPsSJ_EEENSR_IJSJ_SJ_EEES6_PlJS6_EEE10hipError_tPvRmT3_T4_T5_T6_T7_T9_mT8_P12ihipStream_tbDpT10_ENKUlT_T0_E_clISt17integral_constantIbLb0EES1F_EEDaS1A_S1B_EUlS1A_E_NS1_11comp_targetILNS1_3genE0ELNS1_11target_archE4294967295ELNS1_3gpuE0ELNS1_3repE0EEENS1_30default_config_static_selectorELNS0_4arch9wavefront6targetE1EEEvT1_ ; -- Begin function _ZN7rocprim17ROCPRIM_400000_NS6detail17trampoline_kernelINS0_14default_configENS1_25partition_config_selectorILNS1_17partition_subalgoE2EsNS0_10empty_typeEbEEZZNS1_14partition_implILS5_2ELb0ES3_jN6thrust23THRUST_200600_302600_NS6detail15normal_iteratorINSA_7pointerIsNSA_11hip_rocprim3tagENSA_11use_defaultESG_EEEEPS6_NSA_18transform_iteratorI7is_evenIsENSC_INSA_10device_ptrIsEEEESG_SG_EENS0_5tupleIJPsSJ_EEENSR_IJSJ_SJ_EEES6_PlJS6_EEE10hipError_tPvRmT3_T4_T5_T6_T7_T9_mT8_P12ihipStream_tbDpT10_ENKUlT_T0_E_clISt17integral_constantIbLb0EES1F_EEDaS1A_S1B_EUlS1A_E_NS1_11comp_targetILNS1_3genE0ELNS1_11target_archE4294967295ELNS1_3gpuE0ELNS1_3repE0EEENS1_30default_config_static_selectorELNS0_4arch9wavefront6targetE1EEEvT1_
	.globl	_ZN7rocprim17ROCPRIM_400000_NS6detail17trampoline_kernelINS0_14default_configENS1_25partition_config_selectorILNS1_17partition_subalgoE2EsNS0_10empty_typeEbEEZZNS1_14partition_implILS5_2ELb0ES3_jN6thrust23THRUST_200600_302600_NS6detail15normal_iteratorINSA_7pointerIsNSA_11hip_rocprim3tagENSA_11use_defaultESG_EEEEPS6_NSA_18transform_iteratorI7is_evenIsENSC_INSA_10device_ptrIsEEEESG_SG_EENS0_5tupleIJPsSJ_EEENSR_IJSJ_SJ_EEES6_PlJS6_EEE10hipError_tPvRmT3_T4_T5_T6_T7_T9_mT8_P12ihipStream_tbDpT10_ENKUlT_T0_E_clISt17integral_constantIbLb0EES1F_EEDaS1A_S1B_EUlS1A_E_NS1_11comp_targetILNS1_3genE0ELNS1_11target_archE4294967295ELNS1_3gpuE0ELNS1_3repE0EEENS1_30default_config_static_selectorELNS0_4arch9wavefront6targetE1EEEvT1_
	.p2align	8
	.type	_ZN7rocprim17ROCPRIM_400000_NS6detail17trampoline_kernelINS0_14default_configENS1_25partition_config_selectorILNS1_17partition_subalgoE2EsNS0_10empty_typeEbEEZZNS1_14partition_implILS5_2ELb0ES3_jN6thrust23THRUST_200600_302600_NS6detail15normal_iteratorINSA_7pointerIsNSA_11hip_rocprim3tagENSA_11use_defaultESG_EEEEPS6_NSA_18transform_iteratorI7is_evenIsENSC_INSA_10device_ptrIsEEEESG_SG_EENS0_5tupleIJPsSJ_EEENSR_IJSJ_SJ_EEES6_PlJS6_EEE10hipError_tPvRmT3_T4_T5_T6_T7_T9_mT8_P12ihipStream_tbDpT10_ENKUlT_T0_E_clISt17integral_constantIbLb0EES1F_EEDaS1A_S1B_EUlS1A_E_NS1_11comp_targetILNS1_3genE0ELNS1_11target_archE4294967295ELNS1_3gpuE0ELNS1_3repE0EEENS1_30default_config_static_selectorELNS0_4arch9wavefront6targetE1EEEvT1_,@function
_ZN7rocprim17ROCPRIM_400000_NS6detail17trampoline_kernelINS0_14default_configENS1_25partition_config_selectorILNS1_17partition_subalgoE2EsNS0_10empty_typeEbEEZZNS1_14partition_implILS5_2ELb0ES3_jN6thrust23THRUST_200600_302600_NS6detail15normal_iteratorINSA_7pointerIsNSA_11hip_rocprim3tagENSA_11use_defaultESG_EEEEPS6_NSA_18transform_iteratorI7is_evenIsENSC_INSA_10device_ptrIsEEEESG_SG_EENS0_5tupleIJPsSJ_EEENSR_IJSJ_SJ_EEES6_PlJS6_EEE10hipError_tPvRmT3_T4_T5_T6_T7_T9_mT8_P12ihipStream_tbDpT10_ENKUlT_T0_E_clISt17integral_constantIbLb0EES1F_EEDaS1A_S1B_EUlS1A_E_NS1_11comp_targetILNS1_3genE0ELNS1_11target_archE4294967295ELNS1_3gpuE0ELNS1_3repE0EEENS1_30default_config_static_selectorELNS0_4arch9wavefront6targetE1EEEvT1_: ; @_ZN7rocprim17ROCPRIM_400000_NS6detail17trampoline_kernelINS0_14default_configENS1_25partition_config_selectorILNS1_17partition_subalgoE2EsNS0_10empty_typeEbEEZZNS1_14partition_implILS5_2ELb0ES3_jN6thrust23THRUST_200600_302600_NS6detail15normal_iteratorINSA_7pointerIsNSA_11hip_rocprim3tagENSA_11use_defaultESG_EEEEPS6_NSA_18transform_iteratorI7is_evenIsENSC_INSA_10device_ptrIsEEEESG_SG_EENS0_5tupleIJPsSJ_EEENSR_IJSJ_SJ_EEES6_PlJS6_EEE10hipError_tPvRmT3_T4_T5_T6_T7_T9_mT8_P12ihipStream_tbDpT10_ENKUlT_T0_E_clISt17integral_constantIbLb0EES1F_EEDaS1A_S1B_EUlS1A_E_NS1_11comp_targetILNS1_3genE0ELNS1_11target_archE4294967295ELNS1_3gpuE0ELNS1_3repE0EEENS1_30default_config_static_selectorELNS0_4arch9wavefront6targetE1EEEvT1_
; %bb.0:
	.section	.rodata,"a",@progbits
	.p2align	6, 0x0
	.amdhsa_kernel _ZN7rocprim17ROCPRIM_400000_NS6detail17trampoline_kernelINS0_14default_configENS1_25partition_config_selectorILNS1_17partition_subalgoE2EsNS0_10empty_typeEbEEZZNS1_14partition_implILS5_2ELb0ES3_jN6thrust23THRUST_200600_302600_NS6detail15normal_iteratorINSA_7pointerIsNSA_11hip_rocprim3tagENSA_11use_defaultESG_EEEEPS6_NSA_18transform_iteratorI7is_evenIsENSC_INSA_10device_ptrIsEEEESG_SG_EENS0_5tupleIJPsSJ_EEENSR_IJSJ_SJ_EEES6_PlJS6_EEE10hipError_tPvRmT3_T4_T5_T6_T7_T9_mT8_P12ihipStream_tbDpT10_ENKUlT_T0_E_clISt17integral_constantIbLb0EES1F_EEDaS1A_S1B_EUlS1A_E_NS1_11comp_targetILNS1_3genE0ELNS1_11target_archE4294967295ELNS1_3gpuE0ELNS1_3repE0EEENS1_30default_config_static_selectorELNS0_4arch9wavefront6targetE1EEEvT1_
		.amdhsa_group_segment_fixed_size 0
		.amdhsa_private_segment_fixed_size 0
		.amdhsa_kernarg_size 128
		.amdhsa_user_sgpr_count 6
		.amdhsa_user_sgpr_private_segment_buffer 1
		.amdhsa_user_sgpr_dispatch_ptr 0
		.amdhsa_user_sgpr_queue_ptr 0
		.amdhsa_user_sgpr_kernarg_segment_ptr 1
		.amdhsa_user_sgpr_dispatch_id 0
		.amdhsa_user_sgpr_flat_scratch_init 0
		.amdhsa_user_sgpr_kernarg_preload_length 0
		.amdhsa_user_sgpr_kernarg_preload_offset 0
		.amdhsa_user_sgpr_private_segment_size 0
		.amdhsa_uses_dynamic_stack 0
		.amdhsa_system_sgpr_private_segment_wavefront_offset 0
		.amdhsa_system_sgpr_workgroup_id_x 1
		.amdhsa_system_sgpr_workgroup_id_y 0
		.amdhsa_system_sgpr_workgroup_id_z 0
		.amdhsa_system_sgpr_workgroup_info 0
		.amdhsa_system_vgpr_workitem_id 0
		.amdhsa_next_free_vgpr 1
		.amdhsa_next_free_sgpr 0
		.amdhsa_accum_offset 4
		.amdhsa_reserve_vcc 0
		.amdhsa_reserve_flat_scratch 0
		.amdhsa_float_round_mode_32 0
		.amdhsa_float_round_mode_16_64 0
		.amdhsa_float_denorm_mode_32 3
		.amdhsa_float_denorm_mode_16_64 3
		.amdhsa_dx10_clamp 1
		.amdhsa_ieee_mode 1
		.amdhsa_fp16_overflow 0
		.amdhsa_tg_split 0
		.amdhsa_exception_fp_ieee_invalid_op 0
		.amdhsa_exception_fp_denorm_src 0
		.amdhsa_exception_fp_ieee_div_zero 0
		.amdhsa_exception_fp_ieee_overflow 0
		.amdhsa_exception_fp_ieee_underflow 0
		.amdhsa_exception_fp_ieee_inexact 0
		.amdhsa_exception_int_div_zero 0
	.end_amdhsa_kernel
	.section	.text._ZN7rocprim17ROCPRIM_400000_NS6detail17trampoline_kernelINS0_14default_configENS1_25partition_config_selectorILNS1_17partition_subalgoE2EsNS0_10empty_typeEbEEZZNS1_14partition_implILS5_2ELb0ES3_jN6thrust23THRUST_200600_302600_NS6detail15normal_iteratorINSA_7pointerIsNSA_11hip_rocprim3tagENSA_11use_defaultESG_EEEEPS6_NSA_18transform_iteratorI7is_evenIsENSC_INSA_10device_ptrIsEEEESG_SG_EENS0_5tupleIJPsSJ_EEENSR_IJSJ_SJ_EEES6_PlJS6_EEE10hipError_tPvRmT3_T4_T5_T6_T7_T9_mT8_P12ihipStream_tbDpT10_ENKUlT_T0_E_clISt17integral_constantIbLb0EES1F_EEDaS1A_S1B_EUlS1A_E_NS1_11comp_targetILNS1_3genE0ELNS1_11target_archE4294967295ELNS1_3gpuE0ELNS1_3repE0EEENS1_30default_config_static_selectorELNS0_4arch9wavefront6targetE1EEEvT1_,"axG",@progbits,_ZN7rocprim17ROCPRIM_400000_NS6detail17trampoline_kernelINS0_14default_configENS1_25partition_config_selectorILNS1_17partition_subalgoE2EsNS0_10empty_typeEbEEZZNS1_14partition_implILS5_2ELb0ES3_jN6thrust23THRUST_200600_302600_NS6detail15normal_iteratorINSA_7pointerIsNSA_11hip_rocprim3tagENSA_11use_defaultESG_EEEEPS6_NSA_18transform_iteratorI7is_evenIsENSC_INSA_10device_ptrIsEEEESG_SG_EENS0_5tupleIJPsSJ_EEENSR_IJSJ_SJ_EEES6_PlJS6_EEE10hipError_tPvRmT3_T4_T5_T6_T7_T9_mT8_P12ihipStream_tbDpT10_ENKUlT_T0_E_clISt17integral_constantIbLb0EES1F_EEDaS1A_S1B_EUlS1A_E_NS1_11comp_targetILNS1_3genE0ELNS1_11target_archE4294967295ELNS1_3gpuE0ELNS1_3repE0EEENS1_30default_config_static_selectorELNS0_4arch9wavefront6targetE1EEEvT1_,comdat
.Lfunc_end256:
	.size	_ZN7rocprim17ROCPRIM_400000_NS6detail17trampoline_kernelINS0_14default_configENS1_25partition_config_selectorILNS1_17partition_subalgoE2EsNS0_10empty_typeEbEEZZNS1_14partition_implILS5_2ELb0ES3_jN6thrust23THRUST_200600_302600_NS6detail15normal_iteratorINSA_7pointerIsNSA_11hip_rocprim3tagENSA_11use_defaultESG_EEEEPS6_NSA_18transform_iteratorI7is_evenIsENSC_INSA_10device_ptrIsEEEESG_SG_EENS0_5tupleIJPsSJ_EEENSR_IJSJ_SJ_EEES6_PlJS6_EEE10hipError_tPvRmT3_T4_T5_T6_T7_T9_mT8_P12ihipStream_tbDpT10_ENKUlT_T0_E_clISt17integral_constantIbLb0EES1F_EEDaS1A_S1B_EUlS1A_E_NS1_11comp_targetILNS1_3genE0ELNS1_11target_archE4294967295ELNS1_3gpuE0ELNS1_3repE0EEENS1_30default_config_static_selectorELNS0_4arch9wavefront6targetE1EEEvT1_, .Lfunc_end256-_ZN7rocprim17ROCPRIM_400000_NS6detail17trampoline_kernelINS0_14default_configENS1_25partition_config_selectorILNS1_17partition_subalgoE2EsNS0_10empty_typeEbEEZZNS1_14partition_implILS5_2ELb0ES3_jN6thrust23THRUST_200600_302600_NS6detail15normal_iteratorINSA_7pointerIsNSA_11hip_rocprim3tagENSA_11use_defaultESG_EEEEPS6_NSA_18transform_iteratorI7is_evenIsENSC_INSA_10device_ptrIsEEEESG_SG_EENS0_5tupleIJPsSJ_EEENSR_IJSJ_SJ_EEES6_PlJS6_EEE10hipError_tPvRmT3_T4_T5_T6_T7_T9_mT8_P12ihipStream_tbDpT10_ENKUlT_T0_E_clISt17integral_constantIbLb0EES1F_EEDaS1A_S1B_EUlS1A_E_NS1_11comp_targetILNS1_3genE0ELNS1_11target_archE4294967295ELNS1_3gpuE0ELNS1_3repE0EEENS1_30default_config_static_selectorELNS0_4arch9wavefront6targetE1EEEvT1_
                                        ; -- End function
	.section	.AMDGPU.csdata,"",@progbits
; Kernel info:
; codeLenInByte = 0
; NumSgprs: 4
; NumVgprs: 0
; NumAgprs: 0
; TotalNumVgprs: 0
; ScratchSize: 0
; MemoryBound: 0
; FloatMode: 240
; IeeeMode: 1
; LDSByteSize: 0 bytes/workgroup (compile time only)
; SGPRBlocks: 0
; VGPRBlocks: 0
; NumSGPRsForWavesPerEU: 4
; NumVGPRsForWavesPerEU: 1
; AccumOffset: 4
; Occupancy: 8
; WaveLimiterHint : 0
; COMPUTE_PGM_RSRC2:SCRATCH_EN: 0
; COMPUTE_PGM_RSRC2:USER_SGPR: 6
; COMPUTE_PGM_RSRC2:TRAP_HANDLER: 0
; COMPUTE_PGM_RSRC2:TGID_X_EN: 1
; COMPUTE_PGM_RSRC2:TGID_Y_EN: 0
; COMPUTE_PGM_RSRC2:TGID_Z_EN: 0
; COMPUTE_PGM_RSRC2:TIDIG_COMP_CNT: 0
; COMPUTE_PGM_RSRC3_GFX90A:ACCUM_OFFSET: 0
; COMPUTE_PGM_RSRC3_GFX90A:TG_SPLIT: 0
	.section	.text._ZN7rocprim17ROCPRIM_400000_NS6detail17trampoline_kernelINS0_14default_configENS1_25partition_config_selectorILNS1_17partition_subalgoE2EsNS0_10empty_typeEbEEZZNS1_14partition_implILS5_2ELb0ES3_jN6thrust23THRUST_200600_302600_NS6detail15normal_iteratorINSA_7pointerIsNSA_11hip_rocprim3tagENSA_11use_defaultESG_EEEEPS6_NSA_18transform_iteratorI7is_evenIsENSC_INSA_10device_ptrIsEEEESG_SG_EENS0_5tupleIJPsSJ_EEENSR_IJSJ_SJ_EEES6_PlJS6_EEE10hipError_tPvRmT3_T4_T5_T6_T7_T9_mT8_P12ihipStream_tbDpT10_ENKUlT_T0_E_clISt17integral_constantIbLb0EES1F_EEDaS1A_S1B_EUlS1A_E_NS1_11comp_targetILNS1_3genE5ELNS1_11target_archE942ELNS1_3gpuE9ELNS1_3repE0EEENS1_30default_config_static_selectorELNS0_4arch9wavefront6targetE1EEEvT1_,"axG",@progbits,_ZN7rocprim17ROCPRIM_400000_NS6detail17trampoline_kernelINS0_14default_configENS1_25partition_config_selectorILNS1_17partition_subalgoE2EsNS0_10empty_typeEbEEZZNS1_14partition_implILS5_2ELb0ES3_jN6thrust23THRUST_200600_302600_NS6detail15normal_iteratorINSA_7pointerIsNSA_11hip_rocprim3tagENSA_11use_defaultESG_EEEEPS6_NSA_18transform_iteratorI7is_evenIsENSC_INSA_10device_ptrIsEEEESG_SG_EENS0_5tupleIJPsSJ_EEENSR_IJSJ_SJ_EEES6_PlJS6_EEE10hipError_tPvRmT3_T4_T5_T6_T7_T9_mT8_P12ihipStream_tbDpT10_ENKUlT_T0_E_clISt17integral_constantIbLb0EES1F_EEDaS1A_S1B_EUlS1A_E_NS1_11comp_targetILNS1_3genE5ELNS1_11target_archE942ELNS1_3gpuE9ELNS1_3repE0EEENS1_30default_config_static_selectorELNS0_4arch9wavefront6targetE1EEEvT1_,comdat
	.protected	_ZN7rocprim17ROCPRIM_400000_NS6detail17trampoline_kernelINS0_14default_configENS1_25partition_config_selectorILNS1_17partition_subalgoE2EsNS0_10empty_typeEbEEZZNS1_14partition_implILS5_2ELb0ES3_jN6thrust23THRUST_200600_302600_NS6detail15normal_iteratorINSA_7pointerIsNSA_11hip_rocprim3tagENSA_11use_defaultESG_EEEEPS6_NSA_18transform_iteratorI7is_evenIsENSC_INSA_10device_ptrIsEEEESG_SG_EENS0_5tupleIJPsSJ_EEENSR_IJSJ_SJ_EEES6_PlJS6_EEE10hipError_tPvRmT3_T4_T5_T6_T7_T9_mT8_P12ihipStream_tbDpT10_ENKUlT_T0_E_clISt17integral_constantIbLb0EES1F_EEDaS1A_S1B_EUlS1A_E_NS1_11comp_targetILNS1_3genE5ELNS1_11target_archE942ELNS1_3gpuE9ELNS1_3repE0EEENS1_30default_config_static_selectorELNS0_4arch9wavefront6targetE1EEEvT1_ ; -- Begin function _ZN7rocprim17ROCPRIM_400000_NS6detail17trampoline_kernelINS0_14default_configENS1_25partition_config_selectorILNS1_17partition_subalgoE2EsNS0_10empty_typeEbEEZZNS1_14partition_implILS5_2ELb0ES3_jN6thrust23THRUST_200600_302600_NS6detail15normal_iteratorINSA_7pointerIsNSA_11hip_rocprim3tagENSA_11use_defaultESG_EEEEPS6_NSA_18transform_iteratorI7is_evenIsENSC_INSA_10device_ptrIsEEEESG_SG_EENS0_5tupleIJPsSJ_EEENSR_IJSJ_SJ_EEES6_PlJS6_EEE10hipError_tPvRmT3_T4_T5_T6_T7_T9_mT8_P12ihipStream_tbDpT10_ENKUlT_T0_E_clISt17integral_constantIbLb0EES1F_EEDaS1A_S1B_EUlS1A_E_NS1_11comp_targetILNS1_3genE5ELNS1_11target_archE942ELNS1_3gpuE9ELNS1_3repE0EEENS1_30default_config_static_selectorELNS0_4arch9wavefront6targetE1EEEvT1_
	.globl	_ZN7rocprim17ROCPRIM_400000_NS6detail17trampoline_kernelINS0_14default_configENS1_25partition_config_selectorILNS1_17partition_subalgoE2EsNS0_10empty_typeEbEEZZNS1_14partition_implILS5_2ELb0ES3_jN6thrust23THRUST_200600_302600_NS6detail15normal_iteratorINSA_7pointerIsNSA_11hip_rocprim3tagENSA_11use_defaultESG_EEEEPS6_NSA_18transform_iteratorI7is_evenIsENSC_INSA_10device_ptrIsEEEESG_SG_EENS0_5tupleIJPsSJ_EEENSR_IJSJ_SJ_EEES6_PlJS6_EEE10hipError_tPvRmT3_T4_T5_T6_T7_T9_mT8_P12ihipStream_tbDpT10_ENKUlT_T0_E_clISt17integral_constantIbLb0EES1F_EEDaS1A_S1B_EUlS1A_E_NS1_11comp_targetILNS1_3genE5ELNS1_11target_archE942ELNS1_3gpuE9ELNS1_3repE0EEENS1_30default_config_static_selectorELNS0_4arch9wavefront6targetE1EEEvT1_
	.p2align	8
	.type	_ZN7rocprim17ROCPRIM_400000_NS6detail17trampoline_kernelINS0_14default_configENS1_25partition_config_selectorILNS1_17partition_subalgoE2EsNS0_10empty_typeEbEEZZNS1_14partition_implILS5_2ELb0ES3_jN6thrust23THRUST_200600_302600_NS6detail15normal_iteratorINSA_7pointerIsNSA_11hip_rocprim3tagENSA_11use_defaultESG_EEEEPS6_NSA_18transform_iteratorI7is_evenIsENSC_INSA_10device_ptrIsEEEESG_SG_EENS0_5tupleIJPsSJ_EEENSR_IJSJ_SJ_EEES6_PlJS6_EEE10hipError_tPvRmT3_T4_T5_T6_T7_T9_mT8_P12ihipStream_tbDpT10_ENKUlT_T0_E_clISt17integral_constantIbLb0EES1F_EEDaS1A_S1B_EUlS1A_E_NS1_11comp_targetILNS1_3genE5ELNS1_11target_archE942ELNS1_3gpuE9ELNS1_3repE0EEENS1_30default_config_static_selectorELNS0_4arch9wavefront6targetE1EEEvT1_,@function
_ZN7rocprim17ROCPRIM_400000_NS6detail17trampoline_kernelINS0_14default_configENS1_25partition_config_selectorILNS1_17partition_subalgoE2EsNS0_10empty_typeEbEEZZNS1_14partition_implILS5_2ELb0ES3_jN6thrust23THRUST_200600_302600_NS6detail15normal_iteratorINSA_7pointerIsNSA_11hip_rocprim3tagENSA_11use_defaultESG_EEEEPS6_NSA_18transform_iteratorI7is_evenIsENSC_INSA_10device_ptrIsEEEESG_SG_EENS0_5tupleIJPsSJ_EEENSR_IJSJ_SJ_EEES6_PlJS6_EEE10hipError_tPvRmT3_T4_T5_T6_T7_T9_mT8_P12ihipStream_tbDpT10_ENKUlT_T0_E_clISt17integral_constantIbLb0EES1F_EEDaS1A_S1B_EUlS1A_E_NS1_11comp_targetILNS1_3genE5ELNS1_11target_archE942ELNS1_3gpuE9ELNS1_3repE0EEENS1_30default_config_static_selectorELNS0_4arch9wavefront6targetE1EEEvT1_: ; @_ZN7rocprim17ROCPRIM_400000_NS6detail17trampoline_kernelINS0_14default_configENS1_25partition_config_selectorILNS1_17partition_subalgoE2EsNS0_10empty_typeEbEEZZNS1_14partition_implILS5_2ELb0ES3_jN6thrust23THRUST_200600_302600_NS6detail15normal_iteratorINSA_7pointerIsNSA_11hip_rocprim3tagENSA_11use_defaultESG_EEEEPS6_NSA_18transform_iteratorI7is_evenIsENSC_INSA_10device_ptrIsEEEESG_SG_EENS0_5tupleIJPsSJ_EEENSR_IJSJ_SJ_EEES6_PlJS6_EEE10hipError_tPvRmT3_T4_T5_T6_T7_T9_mT8_P12ihipStream_tbDpT10_ENKUlT_T0_E_clISt17integral_constantIbLb0EES1F_EEDaS1A_S1B_EUlS1A_E_NS1_11comp_targetILNS1_3genE5ELNS1_11target_archE942ELNS1_3gpuE9ELNS1_3repE0EEENS1_30default_config_static_selectorELNS0_4arch9wavefront6targetE1EEEvT1_
; %bb.0:
	.section	.rodata,"a",@progbits
	.p2align	6, 0x0
	.amdhsa_kernel _ZN7rocprim17ROCPRIM_400000_NS6detail17trampoline_kernelINS0_14default_configENS1_25partition_config_selectorILNS1_17partition_subalgoE2EsNS0_10empty_typeEbEEZZNS1_14partition_implILS5_2ELb0ES3_jN6thrust23THRUST_200600_302600_NS6detail15normal_iteratorINSA_7pointerIsNSA_11hip_rocprim3tagENSA_11use_defaultESG_EEEEPS6_NSA_18transform_iteratorI7is_evenIsENSC_INSA_10device_ptrIsEEEESG_SG_EENS0_5tupleIJPsSJ_EEENSR_IJSJ_SJ_EEES6_PlJS6_EEE10hipError_tPvRmT3_T4_T5_T6_T7_T9_mT8_P12ihipStream_tbDpT10_ENKUlT_T0_E_clISt17integral_constantIbLb0EES1F_EEDaS1A_S1B_EUlS1A_E_NS1_11comp_targetILNS1_3genE5ELNS1_11target_archE942ELNS1_3gpuE9ELNS1_3repE0EEENS1_30default_config_static_selectorELNS0_4arch9wavefront6targetE1EEEvT1_
		.amdhsa_group_segment_fixed_size 0
		.amdhsa_private_segment_fixed_size 0
		.amdhsa_kernarg_size 128
		.amdhsa_user_sgpr_count 6
		.amdhsa_user_sgpr_private_segment_buffer 1
		.amdhsa_user_sgpr_dispatch_ptr 0
		.amdhsa_user_sgpr_queue_ptr 0
		.amdhsa_user_sgpr_kernarg_segment_ptr 1
		.amdhsa_user_sgpr_dispatch_id 0
		.amdhsa_user_sgpr_flat_scratch_init 0
		.amdhsa_user_sgpr_kernarg_preload_length 0
		.amdhsa_user_sgpr_kernarg_preload_offset 0
		.amdhsa_user_sgpr_private_segment_size 0
		.amdhsa_uses_dynamic_stack 0
		.amdhsa_system_sgpr_private_segment_wavefront_offset 0
		.amdhsa_system_sgpr_workgroup_id_x 1
		.amdhsa_system_sgpr_workgroup_id_y 0
		.amdhsa_system_sgpr_workgroup_id_z 0
		.amdhsa_system_sgpr_workgroup_info 0
		.amdhsa_system_vgpr_workitem_id 0
		.amdhsa_next_free_vgpr 1
		.amdhsa_next_free_sgpr 0
		.amdhsa_accum_offset 4
		.amdhsa_reserve_vcc 0
		.amdhsa_reserve_flat_scratch 0
		.amdhsa_float_round_mode_32 0
		.amdhsa_float_round_mode_16_64 0
		.amdhsa_float_denorm_mode_32 3
		.amdhsa_float_denorm_mode_16_64 3
		.amdhsa_dx10_clamp 1
		.amdhsa_ieee_mode 1
		.amdhsa_fp16_overflow 0
		.amdhsa_tg_split 0
		.amdhsa_exception_fp_ieee_invalid_op 0
		.amdhsa_exception_fp_denorm_src 0
		.amdhsa_exception_fp_ieee_div_zero 0
		.amdhsa_exception_fp_ieee_overflow 0
		.amdhsa_exception_fp_ieee_underflow 0
		.amdhsa_exception_fp_ieee_inexact 0
		.amdhsa_exception_int_div_zero 0
	.end_amdhsa_kernel
	.section	.text._ZN7rocprim17ROCPRIM_400000_NS6detail17trampoline_kernelINS0_14default_configENS1_25partition_config_selectorILNS1_17partition_subalgoE2EsNS0_10empty_typeEbEEZZNS1_14partition_implILS5_2ELb0ES3_jN6thrust23THRUST_200600_302600_NS6detail15normal_iteratorINSA_7pointerIsNSA_11hip_rocprim3tagENSA_11use_defaultESG_EEEEPS6_NSA_18transform_iteratorI7is_evenIsENSC_INSA_10device_ptrIsEEEESG_SG_EENS0_5tupleIJPsSJ_EEENSR_IJSJ_SJ_EEES6_PlJS6_EEE10hipError_tPvRmT3_T4_T5_T6_T7_T9_mT8_P12ihipStream_tbDpT10_ENKUlT_T0_E_clISt17integral_constantIbLb0EES1F_EEDaS1A_S1B_EUlS1A_E_NS1_11comp_targetILNS1_3genE5ELNS1_11target_archE942ELNS1_3gpuE9ELNS1_3repE0EEENS1_30default_config_static_selectorELNS0_4arch9wavefront6targetE1EEEvT1_,"axG",@progbits,_ZN7rocprim17ROCPRIM_400000_NS6detail17trampoline_kernelINS0_14default_configENS1_25partition_config_selectorILNS1_17partition_subalgoE2EsNS0_10empty_typeEbEEZZNS1_14partition_implILS5_2ELb0ES3_jN6thrust23THRUST_200600_302600_NS6detail15normal_iteratorINSA_7pointerIsNSA_11hip_rocprim3tagENSA_11use_defaultESG_EEEEPS6_NSA_18transform_iteratorI7is_evenIsENSC_INSA_10device_ptrIsEEEESG_SG_EENS0_5tupleIJPsSJ_EEENSR_IJSJ_SJ_EEES6_PlJS6_EEE10hipError_tPvRmT3_T4_T5_T6_T7_T9_mT8_P12ihipStream_tbDpT10_ENKUlT_T0_E_clISt17integral_constantIbLb0EES1F_EEDaS1A_S1B_EUlS1A_E_NS1_11comp_targetILNS1_3genE5ELNS1_11target_archE942ELNS1_3gpuE9ELNS1_3repE0EEENS1_30default_config_static_selectorELNS0_4arch9wavefront6targetE1EEEvT1_,comdat
.Lfunc_end257:
	.size	_ZN7rocprim17ROCPRIM_400000_NS6detail17trampoline_kernelINS0_14default_configENS1_25partition_config_selectorILNS1_17partition_subalgoE2EsNS0_10empty_typeEbEEZZNS1_14partition_implILS5_2ELb0ES3_jN6thrust23THRUST_200600_302600_NS6detail15normal_iteratorINSA_7pointerIsNSA_11hip_rocprim3tagENSA_11use_defaultESG_EEEEPS6_NSA_18transform_iteratorI7is_evenIsENSC_INSA_10device_ptrIsEEEESG_SG_EENS0_5tupleIJPsSJ_EEENSR_IJSJ_SJ_EEES6_PlJS6_EEE10hipError_tPvRmT3_T4_T5_T6_T7_T9_mT8_P12ihipStream_tbDpT10_ENKUlT_T0_E_clISt17integral_constantIbLb0EES1F_EEDaS1A_S1B_EUlS1A_E_NS1_11comp_targetILNS1_3genE5ELNS1_11target_archE942ELNS1_3gpuE9ELNS1_3repE0EEENS1_30default_config_static_selectorELNS0_4arch9wavefront6targetE1EEEvT1_, .Lfunc_end257-_ZN7rocprim17ROCPRIM_400000_NS6detail17trampoline_kernelINS0_14default_configENS1_25partition_config_selectorILNS1_17partition_subalgoE2EsNS0_10empty_typeEbEEZZNS1_14partition_implILS5_2ELb0ES3_jN6thrust23THRUST_200600_302600_NS6detail15normal_iteratorINSA_7pointerIsNSA_11hip_rocprim3tagENSA_11use_defaultESG_EEEEPS6_NSA_18transform_iteratorI7is_evenIsENSC_INSA_10device_ptrIsEEEESG_SG_EENS0_5tupleIJPsSJ_EEENSR_IJSJ_SJ_EEES6_PlJS6_EEE10hipError_tPvRmT3_T4_T5_T6_T7_T9_mT8_P12ihipStream_tbDpT10_ENKUlT_T0_E_clISt17integral_constantIbLb0EES1F_EEDaS1A_S1B_EUlS1A_E_NS1_11comp_targetILNS1_3genE5ELNS1_11target_archE942ELNS1_3gpuE9ELNS1_3repE0EEENS1_30default_config_static_selectorELNS0_4arch9wavefront6targetE1EEEvT1_
                                        ; -- End function
	.section	.AMDGPU.csdata,"",@progbits
; Kernel info:
; codeLenInByte = 0
; NumSgprs: 4
; NumVgprs: 0
; NumAgprs: 0
; TotalNumVgprs: 0
; ScratchSize: 0
; MemoryBound: 0
; FloatMode: 240
; IeeeMode: 1
; LDSByteSize: 0 bytes/workgroup (compile time only)
; SGPRBlocks: 0
; VGPRBlocks: 0
; NumSGPRsForWavesPerEU: 4
; NumVGPRsForWavesPerEU: 1
; AccumOffset: 4
; Occupancy: 8
; WaveLimiterHint : 0
; COMPUTE_PGM_RSRC2:SCRATCH_EN: 0
; COMPUTE_PGM_RSRC2:USER_SGPR: 6
; COMPUTE_PGM_RSRC2:TRAP_HANDLER: 0
; COMPUTE_PGM_RSRC2:TGID_X_EN: 1
; COMPUTE_PGM_RSRC2:TGID_Y_EN: 0
; COMPUTE_PGM_RSRC2:TGID_Z_EN: 0
; COMPUTE_PGM_RSRC2:TIDIG_COMP_CNT: 0
; COMPUTE_PGM_RSRC3_GFX90A:ACCUM_OFFSET: 0
; COMPUTE_PGM_RSRC3_GFX90A:TG_SPLIT: 0
	.section	.text._ZN7rocprim17ROCPRIM_400000_NS6detail17trampoline_kernelINS0_14default_configENS1_25partition_config_selectorILNS1_17partition_subalgoE2EsNS0_10empty_typeEbEEZZNS1_14partition_implILS5_2ELb0ES3_jN6thrust23THRUST_200600_302600_NS6detail15normal_iteratorINSA_7pointerIsNSA_11hip_rocprim3tagENSA_11use_defaultESG_EEEEPS6_NSA_18transform_iteratorI7is_evenIsENSC_INSA_10device_ptrIsEEEESG_SG_EENS0_5tupleIJPsSJ_EEENSR_IJSJ_SJ_EEES6_PlJS6_EEE10hipError_tPvRmT3_T4_T5_T6_T7_T9_mT8_P12ihipStream_tbDpT10_ENKUlT_T0_E_clISt17integral_constantIbLb0EES1F_EEDaS1A_S1B_EUlS1A_E_NS1_11comp_targetILNS1_3genE4ELNS1_11target_archE910ELNS1_3gpuE8ELNS1_3repE0EEENS1_30default_config_static_selectorELNS0_4arch9wavefront6targetE1EEEvT1_,"axG",@progbits,_ZN7rocprim17ROCPRIM_400000_NS6detail17trampoline_kernelINS0_14default_configENS1_25partition_config_selectorILNS1_17partition_subalgoE2EsNS0_10empty_typeEbEEZZNS1_14partition_implILS5_2ELb0ES3_jN6thrust23THRUST_200600_302600_NS6detail15normal_iteratorINSA_7pointerIsNSA_11hip_rocprim3tagENSA_11use_defaultESG_EEEEPS6_NSA_18transform_iteratorI7is_evenIsENSC_INSA_10device_ptrIsEEEESG_SG_EENS0_5tupleIJPsSJ_EEENSR_IJSJ_SJ_EEES6_PlJS6_EEE10hipError_tPvRmT3_T4_T5_T6_T7_T9_mT8_P12ihipStream_tbDpT10_ENKUlT_T0_E_clISt17integral_constantIbLb0EES1F_EEDaS1A_S1B_EUlS1A_E_NS1_11comp_targetILNS1_3genE4ELNS1_11target_archE910ELNS1_3gpuE8ELNS1_3repE0EEENS1_30default_config_static_selectorELNS0_4arch9wavefront6targetE1EEEvT1_,comdat
	.protected	_ZN7rocprim17ROCPRIM_400000_NS6detail17trampoline_kernelINS0_14default_configENS1_25partition_config_selectorILNS1_17partition_subalgoE2EsNS0_10empty_typeEbEEZZNS1_14partition_implILS5_2ELb0ES3_jN6thrust23THRUST_200600_302600_NS6detail15normal_iteratorINSA_7pointerIsNSA_11hip_rocprim3tagENSA_11use_defaultESG_EEEEPS6_NSA_18transform_iteratorI7is_evenIsENSC_INSA_10device_ptrIsEEEESG_SG_EENS0_5tupleIJPsSJ_EEENSR_IJSJ_SJ_EEES6_PlJS6_EEE10hipError_tPvRmT3_T4_T5_T6_T7_T9_mT8_P12ihipStream_tbDpT10_ENKUlT_T0_E_clISt17integral_constantIbLb0EES1F_EEDaS1A_S1B_EUlS1A_E_NS1_11comp_targetILNS1_3genE4ELNS1_11target_archE910ELNS1_3gpuE8ELNS1_3repE0EEENS1_30default_config_static_selectorELNS0_4arch9wavefront6targetE1EEEvT1_ ; -- Begin function _ZN7rocprim17ROCPRIM_400000_NS6detail17trampoline_kernelINS0_14default_configENS1_25partition_config_selectorILNS1_17partition_subalgoE2EsNS0_10empty_typeEbEEZZNS1_14partition_implILS5_2ELb0ES3_jN6thrust23THRUST_200600_302600_NS6detail15normal_iteratorINSA_7pointerIsNSA_11hip_rocprim3tagENSA_11use_defaultESG_EEEEPS6_NSA_18transform_iteratorI7is_evenIsENSC_INSA_10device_ptrIsEEEESG_SG_EENS0_5tupleIJPsSJ_EEENSR_IJSJ_SJ_EEES6_PlJS6_EEE10hipError_tPvRmT3_T4_T5_T6_T7_T9_mT8_P12ihipStream_tbDpT10_ENKUlT_T0_E_clISt17integral_constantIbLb0EES1F_EEDaS1A_S1B_EUlS1A_E_NS1_11comp_targetILNS1_3genE4ELNS1_11target_archE910ELNS1_3gpuE8ELNS1_3repE0EEENS1_30default_config_static_selectorELNS0_4arch9wavefront6targetE1EEEvT1_
	.globl	_ZN7rocprim17ROCPRIM_400000_NS6detail17trampoline_kernelINS0_14default_configENS1_25partition_config_selectorILNS1_17partition_subalgoE2EsNS0_10empty_typeEbEEZZNS1_14partition_implILS5_2ELb0ES3_jN6thrust23THRUST_200600_302600_NS6detail15normal_iteratorINSA_7pointerIsNSA_11hip_rocprim3tagENSA_11use_defaultESG_EEEEPS6_NSA_18transform_iteratorI7is_evenIsENSC_INSA_10device_ptrIsEEEESG_SG_EENS0_5tupleIJPsSJ_EEENSR_IJSJ_SJ_EEES6_PlJS6_EEE10hipError_tPvRmT3_T4_T5_T6_T7_T9_mT8_P12ihipStream_tbDpT10_ENKUlT_T0_E_clISt17integral_constantIbLb0EES1F_EEDaS1A_S1B_EUlS1A_E_NS1_11comp_targetILNS1_3genE4ELNS1_11target_archE910ELNS1_3gpuE8ELNS1_3repE0EEENS1_30default_config_static_selectorELNS0_4arch9wavefront6targetE1EEEvT1_
	.p2align	8
	.type	_ZN7rocprim17ROCPRIM_400000_NS6detail17trampoline_kernelINS0_14default_configENS1_25partition_config_selectorILNS1_17partition_subalgoE2EsNS0_10empty_typeEbEEZZNS1_14partition_implILS5_2ELb0ES3_jN6thrust23THRUST_200600_302600_NS6detail15normal_iteratorINSA_7pointerIsNSA_11hip_rocprim3tagENSA_11use_defaultESG_EEEEPS6_NSA_18transform_iteratorI7is_evenIsENSC_INSA_10device_ptrIsEEEESG_SG_EENS0_5tupleIJPsSJ_EEENSR_IJSJ_SJ_EEES6_PlJS6_EEE10hipError_tPvRmT3_T4_T5_T6_T7_T9_mT8_P12ihipStream_tbDpT10_ENKUlT_T0_E_clISt17integral_constantIbLb0EES1F_EEDaS1A_S1B_EUlS1A_E_NS1_11comp_targetILNS1_3genE4ELNS1_11target_archE910ELNS1_3gpuE8ELNS1_3repE0EEENS1_30default_config_static_selectorELNS0_4arch9wavefront6targetE1EEEvT1_,@function
_ZN7rocprim17ROCPRIM_400000_NS6detail17trampoline_kernelINS0_14default_configENS1_25partition_config_selectorILNS1_17partition_subalgoE2EsNS0_10empty_typeEbEEZZNS1_14partition_implILS5_2ELb0ES3_jN6thrust23THRUST_200600_302600_NS6detail15normal_iteratorINSA_7pointerIsNSA_11hip_rocprim3tagENSA_11use_defaultESG_EEEEPS6_NSA_18transform_iteratorI7is_evenIsENSC_INSA_10device_ptrIsEEEESG_SG_EENS0_5tupleIJPsSJ_EEENSR_IJSJ_SJ_EEES6_PlJS6_EEE10hipError_tPvRmT3_T4_T5_T6_T7_T9_mT8_P12ihipStream_tbDpT10_ENKUlT_T0_E_clISt17integral_constantIbLb0EES1F_EEDaS1A_S1B_EUlS1A_E_NS1_11comp_targetILNS1_3genE4ELNS1_11target_archE910ELNS1_3gpuE8ELNS1_3repE0EEENS1_30default_config_static_selectorELNS0_4arch9wavefront6targetE1EEEvT1_: ; @_ZN7rocprim17ROCPRIM_400000_NS6detail17trampoline_kernelINS0_14default_configENS1_25partition_config_selectorILNS1_17partition_subalgoE2EsNS0_10empty_typeEbEEZZNS1_14partition_implILS5_2ELb0ES3_jN6thrust23THRUST_200600_302600_NS6detail15normal_iteratorINSA_7pointerIsNSA_11hip_rocprim3tagENSA_11use_defaultESG_EEEEPS6_NSA_18transform_iteratorI7is_evenIsENSC_INSA_10device_ptrIsEEEESG_SG_EENS0_5tupleIJPsSJ_EEENSR_IJSJ_SJ_EEES6_PlJS6_EEE10hipError_tPvRmT3_T4_T5_T6_T7_T9_mT8_P12ihipStream_tbDpT10_ENKUlT_T0_E_clISt17integral_constantIbLb0EES1F_EEDaS1A_S1B_EUlS1A_E_NS1_11comp_targetILNS1_3genE4ELNS1_11target_archE910ELNS1_3gpuE8ELNS1_3repE0EEENS1_30default_config_static_selectorELNS0_4arch9wavefront6targetE1EEEvT1_
; %bb.0:
	s_load_dwordx4 s[24:27], s[4:5], 0x8
	s_load_dwordx2 s[2:3], s[4:5], 0x20
	s_load_dwordx2 s[28:29], s[4:5], 0x60
	s_load_dwordx4 s[20:23], s[4:5], 0x50
	s_load_dword s0, s[4:5], 0x78
	s_waitcnt lgkmcnt(0)
	s_lshl_b64 s[8:9], s[26:27], 1
	s_add_u32 s7, s24, s8
	s_addc_u32 s12, s25, s9
	s_load_dwordx2 s[30:31], s[22:23], 0x0
	s_add_i32 s10, s0, -1
	s_mulk_i32 s0, 0x1400
	s_add_i32 s1, s0, s26
	s_sub_i32 s33, s28, s1
	s_addk_i32 s33, 0x1400
	s_add_u32 s0, s26, s0
	s_addc_u32 s1, s27, 0
	s_cmp_eq_u32 s6, s10
	v_pk_mov_b32 v[2:3], s[28:29], s[28:29] op_sel:[0,1]
	s_cselect_b64 s[22:23], -1, 0
	s_cmp_lg_u32 s6, s10
	s_mul_i32 s24, s6, 0x1400
	s_mov_b32 s25, 0
	v_cmp_lt_u64_e32 vcc, s[0:1], v[2:3]
	s_cselect_b64 s[0:1], -1, 0
	s_or_b64 s[34:35], s[0:1], vcc
	s_lshl_b64 s[10:11], s[24:25], 1
	s_add_u32 s7, s7, s10
	s_addc_u32 s14, s12, s11
	s_mov_b64 s[0:1], -1
	s_and_b64 vcc, exec, s[34:35]
	v_lshlrev_b32_e32 v1, 1, v0
	s_cbranch_vccz .LBB258_2
; %bb.1:
	v_mov_b32_e32 v3, s14
	v_add_co_u32_e32 v2, vcc, s7, v1
	v_addc_co_u32_e32 v3, vcc, 0, v3, vcc
	v_add_co_u32_e32 v4, vcc, 0x1000, v2
	v_addc_co_u32_e32 v5, vcc, 0, v3, vcc
	flat_load_ushort v6, v[2:3]
	flat_load_ushort v7, v[2:3] offset:512
	flat_load_ushort v8, v[2:3] offset:1024
	;; [unrolled: 1-line block ×7, first 2 shown]
	v_add_co_u32_e32 v2, vcc, 0x2000, v2
	v_addc_co_u32_e32 v3, vcc, 0, v3, vcc
	flat_load_ushort v14, v[4:5]
	flat_load_ushort v15, v[4:5] offset:512
	flat_load_ushort v16, v[4:5] offset:1024
	;; [unrolled: 1-line block ×7, first 2 shown]
	s_nop 0
	flat_load_ushort v4, v[2:3]
	flat_load_ushort v5, v[2:3] offset:512
	flat_load_ushort v22, v[2:3] offset:1024
	;; [unrolled: 1-line block ×3, first 2 shown]
	s_mov_b64 s[0:1], 0
	s_waitcnt vmcnt(0) lgkmcnt(0)
	ds_write_b16 v1, v6
	ds_write_b16 v1, v7 offset:512
	ds_write_b16 v1, v8 offset:1024
	;; [unrolled: 1-line block ×19, first 2 shown]
	s_waitcnt lgkmcnt(0)
	s_barrier
.LBB258_2:
	s_andn2_b64 vcc, exec, s[0:1]
	v_cmp_gt_u32_e64 s[0:1], s33, v0
	s_cbranch_vccnz .LBB258_44
; %bb.3:
                                        ; implicit-def: $vgpr2
	s_and_saveexec_b64 s[12:13], s[0:1]
	s_cbranch_execz .LBB258_5
; %bb.4:
	v_mov_b32_e32 v3, s14
	v_add_co_u32_e32 v2, vcc, s7, v1
	v_addc_co_u32_e32 v3, vcc, 0, v3, vcc
	flat_load_ushort v2, v[2:3]
.LBB258_5:
	s_or_b64 exec, exec, s[12:13]
	v_or_b32_e32 v3, 0x100, v0
	v_cmp_gt_u32_e32 vcc, s33, v3
                                        ; implicit-def: $vgpr3
	s_and_saveexec_b64 s[0:1], vcc
	s_cbranch_execz .LBB258_7
; %bb.6:
	v_mov_b32_e32 v3, s14
	v_add_co_u32_e32 v4, vcc, s7, v1
	v_addc_co_u32_e32 v5, vcc, 0, v3, vcc
	flat_load_ushort v3, v[4:5] offset:512
.LBB258_7:
	s_or_b64 exec, exec, s[0:1]
	v_or_b32_e32 v4, 0x200, v0
	v_cmp_gt_u32_e32 vcc, s33, v4
                                        ; implicit-def: $vgpr4
	s_and_saveexec_b64 s[0:1], vcc
	s_cbranch_execz .LBB258_9
; %bb.8:
	v_mov_b32_e32 v5, s14
	v_add_co_u32_e32 v4, vcc, s7, v1
	v_addc_co_u32_e32 v5, vcc, 0, v5, vcc
	flat_load_ushort v4, v[4:5] offset:1024
.LBB258_9:
	s_or_b64 exec, exec, s[0:1]
	v_or_b32_e32 v5, 0x300, v0
	v_cmp_gt_u32_e32 vcc, s33, v5
                                        ; implicit-def: $vgpr5
	s_and_saveexec_b64 s[0:1], vcc
	s_cbranch_execz .LBB258_11
; %bb.10:
	v_mov_b32_e32 v5, s14
	v_add_co_u32_e32 v6, vcc, s7, v1
	v_addc_co_u32_e32 v7, vcc, 0, v5, vcc
	flat_load_ushort v5, v[6:7] offset:1536
.LBB258_11:
	s_or_b64 exec, exec, s[0:1]
	v_or_b32_e32 v6, 0x400, v0
	v_cmp_gt_u32_e32 vcc, s33, v6
                                        ; implicit-def: $vgpr6
	s_and_saveexec_b64 s[0:1], vcc
	s_cbranch_execz .LBB258_13
; %bb.12:
	v_mov_b32_e32 v7, s14
	v_add_co_u32_e32 v6, vcc, s7, v1
	v_addc_co_u32_e32 v7, vcc, 0, v7, vcc
	flat_load_ushort v6, v[6:7] offset:2048
.LBB258_13:
	s_or_b64 exec, exec, s[0:1]
	v_or_b32_e32 v7, 0x500, v0
	v_cmp_gt_u32_e32 vcc, s33, v7
                                        ; implicit-def: $vgpr7
	s_and_saveexec_b64 s[0:1], vcc
	s_cbranch_execz .LBB258_15
; %bb.14:
	v_mov_b32_e32 v7, s14
	v_add_co_u32_e32 v8, vcc, s7, v1
	v_addc_co_u32_e32 v9, vcc, 0, v7, vcc
	flat_load_ushort v7, v[8:9] offset:2560
.LBB258_15:
	s_or_b64 exec, exec, s[0:1]
	v_or_b32_e32 v8, 0x600, v0
	v_cmp_gt_u32_e32 vcc, s33, v8
                                        ; implicit-def: $vgpr8
	s_and_saveexec_b64 s[0:1], vcc
	s_cbranch_execz .LBB258_17
; %bb.16:
	v_mov_b32_e32 v9, s14
	v_add_co_u32_e32 v8, vcc, s7, v1
	v_addc_co_u32_e32 v9, vcc, 0, v9, vcc
	flat_load_ushort v8, v[8:9] offset:3072
.LBB258_17:
	s_or_b64 exec, exec, s[0:1]
	v_or_b32_e32 v9, 0x700, v0
	v_cmp_gt_u32_e32 vcc, s33, v9
                                        ; implicit-def: $vgpr9
	s_and_saveexec_b64 s[0:1], vcc
	s_cbranch_execz .LBB258_19
; %bb.18:
	v_mov_b32_e32 v9, s14
	v_add_co_u32_e32 v10, vcc, s7, v1
	v_addc_co_u32_e32 v11, vcc, 0, v9, vcc
	flat_load_ushort v9, v[10:11] offset:3584
.LBB258_19:
	s_or_b64 exec, exec, s[0:1]
	v_or_b32_e32 v11, 0x800, v0
	v_cmp_gt_u32_e32 vcc, s33, v11
                                        ; implicit-def: $vgpr10
	s_and_saveexec_b64 s[0:1], vcc
	s_cbranch_execz .LBB258_21
; %bb.20:
	v_lshlrev_b32_e32 v10, 1, v11
	v_mov_b32_e32 v11, s14
	v_add_co_u32_e32 v10, vcc, s7, v10
	v_addc_co_u32_e32 v11, vcc, 0, v11, vcc
	flat_load_ushort v10, v[10:11]
.LBB258_21:
	s_or_b64 exec, exec, s[0:1]
	v_or_b32_e32 v12, 0x900, v0
	v_cmp_gt_u32_e32 vcc, s33, v12
                                        ; implicit-def: $vgpr11
	s_and_saveexec_b64 s[0:1], vcc
	s_cbranch_execz .LBB258_23
; %bb.22:
	v_lshlrev_b32_e32 v11, 1, v12
	v_mov_b32_e32 v13, s14
	v_add_co_u32_e32 v12, vcc, s7, v11
	v_addc_co_u32_e32 v13, vcc, 0, v13, vcc
	flat_load_ushort v11, v[12:13]
.LBB258_23:
	s_or_b64 exec, exec, s[0:1]
	v_or_b32_e32 v13, 0xa00, v0
	v_cmp_gt_u32_e32 vcc, s33, v13
                                        ; implicit-def: $vgpr12
	s_and_saveexec_b64 s[0:1], vcc
	s_cbranch_execz .LBB258_25
; %bb.24:
	v_lshlrev_b32_e32 v12, 1, v13
	v_mov_b32_e32 v13, s14
	v_add_co_u32_e32 v12, vcc, s7, v12
	v_addc_co_u32_e32 v13, vcc, 0, v13, vcc
	flat_load_ushort v12, v[12:13]
.LBB258_25:
	s_or_b64 exec, exec, s[0:1]
	v_or_b32_e32 v14, 0xb00, v0
	v_cmp_gt_u32_e32 vcc, s33, v14
                                        ; implicit-def: $vgpr13
	s_and_saveexec_b64 s[0:1], vcc
	s_cbranch_execz .LBB258_27
; %bb.26:
	v_lshlrev_b32_e32 v13, 1, v14
	v_mov_b32_e32 v15, s14
	v_add_co_u32_e32 v14, vcc, s7, v13
	v_addc_co_u32_e32 v15, vcc, 0, v15, vcc
	flat_load_ushort v13, v[14:15]
.LBB258_27:
	s_or_b64 exec, exec, s[0:1]
	v_or_b32_e32 v15, 0xc00, v0
	v_cmp_gt_u32_e32 vcc, s33, v15
                                        ; implicit-def: $vgpr14
	s_and_saveexec_b64 s[0:1], vcc
	s_cbranch_execz .LBB258_29
; %bb.28:
	v_lshlrev_b32_e32 v14, 1, v15
	v_mov_b32_e32 v15, s14
	v_add_co_u32_e32 v14, vcc, s7, v14
	v_addc_co_u32_e32 v15, vcc, 0, v15, vcc
	flat_load_ushort v14, v[14:15]
.LBB258_29:
	s_or_b64 exec, exec, s[0:1]
	v_or_b32_e32 v16, 0xd00, v0
	v_cmp_gt_u32_e32 vcc, s33, v16
                                        ; implicit-def: $vgpr15
	s_and_saveexec_b64 s[0:1], vcc
	s_cbranch_execz .LBB258_31
; %bb.30:
	v_lshlrev_b32_e32 v15, 1, v16
	v_mov_b32_e32 v17, s14
	v_add_co_u32_e32 v16, vcc, s7, v15
	v_addc_co_u32_e32 v17, vcc, 0, v17, vcc
	flat_load_ushort v15, v[16:17]
.LBB258_31:
	s_or_b64 exec, exec, s[0:1]
	v_or_b32_e32 v17, 0xe00, v0
	v_cmp_gt_u32_e32 vcc, s33, v17
                                        ; implicit-def: $vgpr16
	s_and_saveexec_b64 s[0:1], vcc
	s_cbranch_execz .LBB258_33
; %bb.32:
	v_lshlrev_b32_e32 v16, 1, v17
	v_mov_b32_e32 v17, s14
	v_add_co_u32_e32 v16, vcc, s7, v16
	v_addc_co_u32_e32 v17, vcc, 0, v17, vcc
	flat_load_ushort v16, v[16:17]
.LBB258_33:
	s_or_b64 exec, exec, s[0:1]
	v_or_b32_e32 v18, 0xf00, v0
	v_cmp_gt_u32_e32 vcc, s33, v18
                                        ; implicit-def: $vgpr17
	s_and_saveexec_b64 s[0:1], vcc
	s_cbranch_execz .LBB258_35
; %bb.34:
	v_lshlrev_b32_e32 v17, 1, v18
	v_mov_b32_e32 v19, s14
	v_add_co_u32_e32 v18, vcc, s7, v17
	v_addc_co_u32_e32 v19, vcc, 0, v19, vcc
	flat_load_ushort v17, v[18:19]
.LBB258_35:
	s_or_b64 exec, exec, s[0:1]
	v_or_b32_e32 v19, 0x1000, v0
	v_cmp_gt_u32_e32 vcc, s33, v19
                                        ; implicit-def: $vgpr18
	s_and_saveexec_b64 s[0:1], vcc
	s_cbranch_execz .LBB258_37
; %bb.36:
	v_lshlrev_b32_e32 v18, 1, v19
	v_mov_b32_e32 v19, s14
	v_add_co_u32_e32 v18, vcc, s7, v18
	v_addc_co_u32_e32 v19, vcc, 0, v19, vcc
	flat_load_ushort v18, v[18:19]
.LBB258_37:
	s_or_b64 exec, exec, s[0:1]
	v_or_b32_e32 v20, 0x1100, v0
	v_cmp_gt_u32_e32 vcc, s33, v20
                                        ; implicit-def: $vgpr19
	s_and_saveexec_b64 s[0:1], vcc
	s_cbranch_execz .LBB258_39
; %bb.38:
	v_lshlrev_b32_e32 v19, 1, v20
	v_mov_b32_e32 v21, s14
	v_add_co_u32_e32 v20, vcc, s7, v19
	v_addc_co_u32_e32 v21, vcc, 0, v21, vcc
	flat_load_ushort v19, v[20:21]
.LBB258_39:
	s_or_b64 exec, exec, s[0:1]
	v_or_b32_e32 v21, 0x1200, v0
	v_cmp_gt_u32_e32 vcc, s33, v21
                                        ; implicit-def: $vgpr20
	s_and_saveexec_b64 s[0:1], vcc
	s_cbranch_execz .LBB258_41
; %bb.40:
	v_lshlrev_b32_e32 v20, 1, v21
	v_mov_b32_e32 v21, s14
	v_add_co_u32_e32 v20, vcc, s7, v20
	v_addc_co_u32_e32 v21, vcc, 0, v21, vcc
	flat_load_ushort v20, v[20:21]
.LBB258_41:
	s_or_b64 exec, exec, s[0:1]
	v_or_b32_e32 v22, 0x1300, v0
	v_cmp_gt_u32_e32 vcc, s33, v22
                                        ; implicit-def: $vgpr21
	s_and_saveexec_b64 s[0:1], vcc
	s_cbranch_execz .LBB258_43
; %bb.42:
	v_lshlrev_b32_e32 v21, 1, v22
	v_mov_b32_e32 v23, s14
	v_add_co_u32_e32 v22, vcc, s7, v21
	v_addc_co_u32_e32 v23, vcc, 0, v23, vcc
	flat_load_ushort v21, v[22:23]
.LBB258_43:
	s_or_b64 exec, exec, s[0:1]
	s_waitcnt vmcnt(0) lgkmcnt(0)
	ds_write_b16 v1, v2
	ds_write_b16 v1, v3 offset:512
	ds_write_b16 v1, v4 offset:1024
	;; [unrolled: 1-line block ×19, first 2 shown]
	s_waitcnt lgkmcnt(0)
	s_barrier
.LBB258_44:
	v_mul_u32_u24_e32 v26, 20, v0
	v_lshlrev_b32_e32 v6, 1, v26
	s_waitcnt lgkmcnt(0)
	ds_read_b64 v[12:13], v6 offset:32
	ds_read2_b64 v[2:5], v6 offset0:2 offset1:3
	ds_read2_b64 v[6:9], v6 offset1:1
	s_add_u32 s0, s2, s8
	s_addc_u32 s1, s3, s9
	s_add_u32 s0, s0, s10
	s_addc_u32 s1, s1, s11
	s_mov_b64 s[2:3], -1
	s_and_b64 vcc, exec, s[34:35]
	s_waitcnt lgkmcnt(0)
	s_barrier
	s_cbranch_vccz .LBB258_46
; %bb.45:
	v_mov_b32_e32 v10, s1
	v_add_co_u32_e32 v14, vcc, s0, v1
	s_movk_i32 s2, 0x1000
	v_addc_co_u32_e32 v15, vcc, 0, v10, vcc
	v_add_co_u32_e32 v10, vcc, s2, v14
	s_movk_i32 s3, 0x2000
	v_addc_co_u32_e32 v11, vcc, 0, v15, vcc
	global_load_ubyte v16, v1, s[0:1]
	global_load_ubyte v17, v1, s[0:1] offset:512
	global_load_ubyte v18, v1, s[0:1] offset:1024
	;; [unrolled: 1-line block ×7, first 2 shown]
	v_add_co_u32_e32 v14, vcc, s3, v14
	v_addc_co_u32_e32 v15, vcc, 0, v15, vcc
	global_load_ubyte v24, v[14:15], off offset:-4096
	global_load_ubyte v25, v[10:11], off offset:512
	global_load_ubyte v27, v[10:11], off offset:1024
	;; [unrolled: 1-line block ×7, first 2 shown]
	global_load_ubyte v33, v[14:15], off
	global_load_ubyte v34, v[14:15], off offset:512
	global_load_ubyte v35, v[14:15], off offset:1024
	;; [unrolled: 1-line block ×3, first 2 shown]
	s_mov_b64 s[2:3], 0
	s_waitcnt vmcnt(19)
	v_xor_b32_e32 v10, -1, v16
	s_waitcnt vmcnt(18)
	v_xor_b32_e32 v11, -1, v17
	;; [unrolled: 2-line block ×8, first 2 shown]
	v_and_b32_e32 v10, 1, v10
	v_and_b32_e32 v11, 1, v11
	;; [unrolled: 1-line block ×8, first 2 shown]
	ds_write_b8 v0, v10
	ds_write_b8 v0, v11 offset:256
	ds_write_b8 v0, v14 offset:512
	;; [unrolled: 1-line block ×7, first 2 shown]
	s_waitcnt vmcnt(11)
	v_xor_b32_e32 v10, -1, v24
	s_waitcnt vmcnt(10)
	v_xor_b32_e32 v11, -1, v25
	;; [unrolled: 2-line block ×12, first 2 shown]
	v_and_b32_e32 v10, 1, v10
	v_and_b32_e32 v11, 1, v11
	;; [unrolled: 1-line block ×12, first 2 shown]
	ds_write_b8 v0, v10 offset:2048
	ds_write_b8 v0, v11 offset:2304
	;; [unrolled: 1-line block ×12, first 2 shown]
	s_waitcnt lgkmcnt(0)
	s_barrier
.LBB258_46:
	s_load_dwordx2 s[36:37], s[4:5], 0x70
	s_andn2_b64 vcc, exec, s[2:3]
	s_cbranch_vccnz .LBB258_88
; %bb.47:
	v_cmp_gt_u32_e32 vcc, s33, v0
	v_mov_b32_e32 v10, 0
	v_mov_b32_e32 v11, 0
	s_and_saveexec_b64 s[2:3], vcc
	s_cbranch_execz .LBB258_49
; %bb.48:
	global_load_ubyte v11, v1, s[0:1]
	s_waitcnt vmcnt(0)
	v_xor_b32_e32 v11, -1, v11
	v_and_b32_e32 v11, 1, v11
.LBB258_49:
	s_or_b64 exec, exec, s[2:3]
	v_or_b32_e32 v14, 0x100, v0
	v_cmp_gt_u32_e32 vcc, s33, v14
	s_and_saveexec_b64 s[2:3], vcc
	s_cbranch_execz .LBB258_51
; %bb.50:
	global_load_ubyte v10, v1, s[0:1] offset:512
	s_waitcnt vmcnt(0)
	v_xor_b32_e32 v10, -1, v10
	v_and_b32_e32 v10, 1, v10
.LBB258_51:
	s_or_b64 exec, exec, s[2:3]
	v_or_b32_e32 v14, 0x200, v0
	v_cmp_gt_u32_e32 vcc, s33, v14
	v_mov_b32_e32 v14, 0
	v_mov_b32_e32 v15, 0
	s_and_saveexec_b64 s[2:3], vcc
	s_cbranch_execz .LBB258_53
; %bb.52:
	global_load_ubyte v15, v1, s[0:1] offset:1024
	s_waitcnt vmcnt(0)
	v_xor_b32_e32 v15, -1, v15
	v_and_b32_e32 v15, 1, v15
.LBB258_53:
	s_or_b64 exec, exec, s[2:3]
	v_or_b32_e32 v16, 0x300, v0
	v_cmp_gt_u32_e32 vcc, s33, v16
	s_and_saveexec_b64 s[2:3], vcc
	s_cbranch_execz .LBB258_55
; %bb.54:
	global_load_ubyte v14, v1, s[0:1] offset:1536
	s_waitcnt vmcnt(0)
	v_xor_b32_e32 v14, -1, v14
	v_and_b32_e32 v14, 1, v14
.LBB258_55:
	s_or_b64 exec, exec, s[2:3]
	v_or_b32_e32 v16, 0x400, v0
	v_cmp_gt_u32_e32 vcc, s33, v16
	v_mov_b32_e32 v16, 0
	v_mov_b32_e32 v17, 0
	s_and_saveexec_b64 s[2:3], vcc
	s_cbranch_execz .LBB258_57
; %bb.56:
	global_load_ubyte v17, v1, s[0:1] offset:2048
	s_waitcnt vmcnt(0)
	v_xor_b32_e32 v17, -1, v17
	v_and_b32_e32 v17, 1, v17
.LBB258_57:
	;; [unrolled: 24-line block ×3, first 2 shown]
	s_or_b64 exec, exec, s[2:3]
	v_or_b32_e32 v20, 0x700, v0
	v_cmp_gt_u32_e32 vcc, s33, v20
	s_and_saveexec_b64 s[2:3], vcc
	s_cbranch_execz .LBB258_63
; %bb.62:
	global_load_ubyte v18, v1, s[0:1] offset:3584
	s_waitcnt vmcnt(0)
	v_xor_b32_e32 v18, -1, v18
	v_and_b32_e32 v18, 1, v18
.LBB258_63:
	s_or_b64 exec, exec, s[2:3]
	v_or_b32_e32 v22, 0x800, v0
	v_cmp_gt_u32_e32 vcc, s33, v22
	v_mov_b32_e32 v20, 0
	v_mov_b32_e32 v21, 0
	s_and_saveexec_b64 s[2:3], vcc
	s_cbranch_execz .LBB258_65
; %bb.64:
	v_lshlrev_b32_e32 v21, 1, v22
	global_load_ubyte v21, v21, s[0:1]
	s_waitcnt vmcnt(0)
	v_xor_b32_e32 v21, -1, v21
	v_and_b32_e32 v21, 1, v21
.LBB258_65:
	s_or_b64 exec, exec, s[2:3]
	v_or_b32_e32 v22, 0x900, v0
	v_cmp_gt_u32_e32 vcc, s33, v22
	s_and_saveexec_b64 s[2:3], vcc
	s_cbranch_execz .LBB258_67
; %bb.66:
	v_lshlrev_b32_e32 v20, 1, v22
	global_load_ubyte v20, v20, s[0:1]
	s_waitcnt vmcnt(0)
	v_xor_b32_e32 v20, -1, v20
	v_and_b32_e32 v20, 1, v20
.LBB258_67:
	s_or_b64 exec, exec, s[2:3]
	v_or_b32_e32 v24, 0xa00, v0
	v_cmp_gt_u32_e32 vcc, s33, v24
	v_mov_b32_e32 v22, 0
	v_mov_b32_e32 v23, 0
	s_and_saveexec_b64 s[2:3], vcc
	s_cbranch_execz .LBB258_69
; %bb.68:
	v_lshlrev_b32_e32 v23, 1, v24
	global_load_ubyte v23, v23, s[0:1]
	s_waitcnt vmcnt(0)
	v_xor_b32_e32 v23, -1, v23
	v_and_b32_e32 v23, 1, v23
.LBB258_69:
	s_or_b64 exec, exec, s[2:3]
	v_or_b32_e32 v24, 0xb00, v0
	v_cmp_gt_u32_e32 vcc, s33, v24
	s_and_saveexec_b64 s[2:3], vcc
	s_cbranch_execz .LBB258_71
; %bb.70:
	v_lshlrev_b32_e32 v22, 1, v24
	global_load_ubyte v22, v22, s[0:1]
	s_waitcnt vmcnt(0)
	v_xor_b32_e32 v22, -1, v22
	v_and_b32_e32 v22, 1, v22
.LBB258_71:
	;; [unrolled: 26-line block ×6, first 2 shown]
	s_or_b64 exec, exec, s[2:3]
	ds_write_b8 v0, v11
	ds_write_b8 v0, v10 offset:256
	ds_write_b8 v0, v15 offset:512
	ds_write_b8 v0, v14 offset:768
	ds_write_b8 v0, v17 offset:1024
	ds_write_b8 v0, v16 offset:1280
	ds_write_b8 v0, v19 offset:1536
	ds_write_b8 v0, v18 offset:1792
	ds_write_b8 v0, v21 offset:2048
	ds_write_b8 v0, v20 offset:2304
	ds_write_b8 v0, v23 offset:2560
	ds_write_b8 v0, v22 offset:2816
	ds_write_b8 v0, v25 offset:3072
	ds_write_b8 v0, v24 offset:3328
	ds_write_b8 v0, v28 offset:3584
	ds_write_b8 v0, v27 offset:3840
	ds_write_b8 v0, v30 offset:4096
	ds_write_b8 v0, v29 offset:4352
	ds_write_b8 v0, v32 offset:4608
	ds_write_b8 v0, v31 offset:4864
	s_waitcnt lgkmcnt(0)
	s_barrier
.LBB258_88:
	s_waitcnt lgkmcnt(0)
	ds_read2_b32 v[16:17], v26 offset1:1
	ds_read2_b32 v[14:15], v26 offset0:2 offset1:3
	ds_read_b32 v28, v26 offset:16
	s_cmp_lg_u32 s6, 0
	v_lshrrev_b32_e32 v47, 6, v0
	s_waitcnt lgkmcnt(2)
	v_lshrrev_b32_e32 v33, 24, v16
	v_bfe_u32 v45, v16, 16, 8
	v_add_u32_sdwa v10, v16, v16 dst_sel:DWORD dst_unused:UNUSED_PAD src0_sel:BYTE_1 src1_sel:BYTE_0
	v_and_b32_e32 v42, 0xff, v17
	v_bfe_u32 v43, v17, 8, 8
	v_add3_u32 v10, v10, v45, v33
	v_lshrrev_b32_e32 v32, 24, v17
	v_bfe_u32 v44, v17, 16, 8
	v_add3_u32 v10, v10, v42, v43
	s_waitcnt lgkmcnt(1)
	v_and_b32_e32 v39, 0xff, v14
	v_bfe_u32 v40, v14, 8, 8
	v_add3_u32 v10, v10, v44, v32
	v_lshrrev_b32_e32 v31, 24, v14
	v_bfe_u32 v41, v14, 16, 8
	v_add3_u32 v10, v10, v39, v40
	v_and_b32_e32 v36, 0xff, v15
	v_bfe_u32 v37, v15, 8, 8
	v_add3_u32 v10, v10, v41, v31
	v_lshrrev_b32_e32 v30, 24, v15
	v_bfe_u32 v38, v15, 16, 8
	v_add3_u32 v10, v10, v36, v37
	s_waitcnt lgkmcnt(0)
	v_and_b32_e32 v34, 0xff, v28
	v_bfe_u32 v35, v28, 8, 8
	v_add3_u32 v10, v10, v38, v30
	v_lshrrev_b32_e32 v27, 24, v28
	v_bfe_u32 v29, v28, 16, 8
	v_add3_u32 v10, v10, v34, v35
	v_add3_u32 v48, v10, v29, v27
	v_mbcnt_lo_u32_b32 v10, -1, 0
	v_mbcnt_hi_u32_b32 v46, -1, v10
	v_and_b32_e32 v10, 15, v46
	v_cmp_eq_u32_e64 s[14:15], 0, v10
	v_cmp_lt_u32_e64 s[12:13], 1, v10
	v_cmp_lt_u32_e64 s[10:11], 3, v10
	;; [unrolled: 1-line block ×3, first 2 shown]
	v_and_b32_e32 v10, 16, v46
	v_cmp_eq_u32_e64 s[18:19], 0, v10
	v_or_b32_e32 v10, 63, v0
	v_cmp_lt_u32_e64 s[0:1], 31, v46
	v_cmp_eq_u32_e64 s[2:3], v10, v0
	s_barrier
	s_cbranch_scc0 .LBB258_115
; %bb.89:
	v_mov_b32_dpp v10, v48 row_shr:1 row_mask:0xf bank_mask:0xf
	v_cndmask_b32_e64 v10, v10, 0, s[14:15]
	v_add_u32_e32 v10, v10, v48
	s_nop 1
	v_mov_b32_dpp v11, v10 row_shr:2 row_mask:0xf bank_mask:0xf
	v_cndmask_b32_e64 v11, 0, v11, s[12:13]
	v_add_u32_e32 v10, v10, v11
	s_nop 1
	;; [unrolled: 4-line block ×4, first 2 shown]
	v_mov_b32_dpp v11, v10 row_bcast:15 row_mask:0xf bank_mask:0xf
	v_cndmask_b32_e64 v11, v11, 0, s[18:19]
	v_add_u32_e32 v10, v10, v11
	s_nop 1
	v_mov_b32_dpp v11, v10 row_bcast:31 row_mask:0xf bank_mask:0xf
	v_cndmask_b32_e64 v11, 0, v11, s[0:1]
	v_add_u32_e32 v10, v10, v11
	s_and_saveexec_b64 s[16:17], s[2:3]
	s_cbranch_execz .LBB258_91
; %bb.90:
	v_lshlrev_b32_e32 v11, 2, v47
	ds_write_b32 v11, v10
.LBB258_91:
	s_or_b64 exec, exec, s[16:17]
	v_cmp_gt_u32_e32 vcc, 4, v0
	s_waitcnt lgkmcnt(0)
	s_barrier
	s_and_saveexec_b64 s[16:17], vcc
	s_cbranch_execz .LBB258_93
; %bb.92:
	v_lshlrev_b32_e32 v11, 2, v0
	ds_read_b32 v18, v11
	v_and_b32_e32 v19, 3, v46
	v_cmp_ne_u32_e32 vcc, 0, v19
	s_waitcnt lgkmcnt(0)
	v_mov_b32_dpp v20, v18 row_shr:1 row_mask:0xf bank_mask:0xf
	v_cndmask_b32_e32 v20, 0, v20, vcc
	v_add_u32_e32 v18, v20, v18
	v_cmp_lt_u32_e32 vcc, 1, v19
	s_nop 0
	v_mov_b32_dpp v20, v18 row_shr:2 row_mask:0xf bank_mask:0xf
	v_cndmask_b32_e32 v19, 0, v20, vcc
	v_add_u32_e32 v18, v18, v19
	ds_write_b32 v11, v18
.LBB258_93:
	s_or_b64 exec, exec, s[16:17]
	v_cmp_gt_u32_e32 vcc, 64, v0
	v_cmp_lt_u32_e64 s[16:17], 63, v0
	s_waitcnt lgkmcnt(0)
	s_barrier
	s_waitcnt lgkmcnt(0)
                                        ; implicit-def: $vgpr49
	s_and_saveexec_b64 s[38:39], s[16:17]
	s_cbranch_execz .LBB258_95
; %bb.94:
	v_lshl_add_u32 v11, v47, 2, -4
	ds_read_b32 v49, v11
	s_waitcnt lgkmcnt(0)
	v_add_u32_e32 v10, v49, v10
.LBB258_95:
	s_or_b64 exec, exec, s[38:39]
	v_add_u32_e32 v11, -1, v46
	v_and_b32_e32 v18, 64, v46
	v_cmp_lt_i32_e64 s[16:17], v11, v18
	v_cndmask_b32_e64 v11, v11, v46, s[16:17]
	v_lshlrev_b32_e32 v11, 2, v11
	ds_bpermute_b32 v50, v11, v10
	v_cmp_eq_u32_e64 s[16:17], 0, v46
	s_and_saveexec_b64 s[38:39], vcc
	s_cbranch_execz .LBB258_114
; %bb.96:
	v_mov_b32_e32 v23, 0
	ds_read_b32 v10, v23 offset:12
	s_and_saveexec_b64 s[40:41], s[16:17]
	s_cbranch_execz .LBB258_98
; %bb.97:
	s_add_i32 s42, s6, 64
	s_mov_b32 s43, 0
	s_lshl_b64 s[42:43], s[42:43], 3
	s_add_u32 s42, s36, s42
	v_mov_b32_e32 v11, 1
	s_addc_u32 s43, s37, s43
	s_waitcnt lgkmcnt(0)
	global_store_dwordx2 v23, v[10:11], s[42:43]
.LBB258_98:
	s_or_b64 exec, exec, s[40:41]
	v_xad_u32 v18, v46, -1, s6
	v_add_u32_e32 v22, 64, v18
	v_lshlrev_b64 v[20:21], 3, v[22:23]
	v_mov_b32_e32 v11, s37
	v_add_co_u32_e32 v24, vcc, s36, v20
	v_addc_co_u32_e32 v25, vcc, v11, v21, vcc
	global_load_dwordx2 v[20:21], v[24:25], off glc
	s_waitcnt vmcnt(0)
	v_cmp_eq_u16_sdwa s[42:43], v21, v23 src0_sel:BYTE_0 src1_sel:DWORD
	s_and_saveexec_b64 s[40:41], s[42:43]
	s_cbranch_execz .LBB258_102
; %bb.99:
	s_mov_b64 s[42:43], 0
	v_mov_b32_e32 v11, 0
.LBB258_100:                            ; =>This Inner Loop Header: Depth=1
	global_load_dwordx2 v[20:21], v[24:25], off glc
	s_waitcnt vmcnt(0)
	v_cmp_ne_u16_sdwa s[44:45], v21, v11 src0_sel:BYTE_0 src1_sel:DWORD
	s_or_b64 s[42:43], s[44:45], s[42:43]
	s_andn2_b64 exec, exec, s[42:43]
	s_cbranch_execnz .LBB258_100
; %bb.101:
	s_or_b64 exec, exec, s[42:43]
.LBB258_102:
	s_or_b64 exec, exec, s[40:41]
	v_and_b32_e32 v52, 63, v46
	v_mov_b32_e32 v51, 2
	v_cmp_ne_u32_e32 vcc, 63, v52
	v_cmp_eq_u16_sdwa s[40:41], v21, v51 src0_sel:BYTE_0 src1_sel:DWORD
	v_lshlrev_b64 v[22:23], v46, -1
	v_addc_co_u32_e32 v24, vcc, 0, v46, vcc
	v_and_b32_e32 v11, s41, v23
	v_lshlrev_b32_e32 v53, 2, v24
	v_or_b32_e32 v11, 0x80000000, v11
	ds_bpermute_b32 v24, v53, v20
	v_and_b32_e32 v19, s40, v22
	v_ffbl_b32_e32 v11, v11
	v_add_u32_e32 v11, 32, v11
	v_ffbl_b32_e32 v19, v19
	v_min_u32_e32 v11, v19, v11
	v_cmp_lt_u32_e32 vcc, v52, v11
	s_waitcnt lgkmcnt(0)
	v_cndmask_b32_e32 v19, 0, v24, vcc
	v_cmp_gt_u32_e32 vcc, 62, v52
	v_add_u32_e32 v19, v19, v20
	v_cndmask_b32_e64 v20, 0, 1, vcc
	v_lshlrev_b32_e32 v20, 1, v20
	v_add_lshl_u32 v54, v20, v46, 2
	ds_bpermute_b32 v20, v54, v19
	v_add_u32_e32 v55, 2, v52
	v_cmp_le_u32_e32 vcc, v55, v11
	v_add_u32_e32 v57, 4, v52
	v_add_u32_e32 v59, 8, v52
	s_waitcnt lgkmcnt(0)
	v_cndmask_b32_e32 v20, 0, v20, vcc
	v_cmp_gt_u32_e32 vcc, 60, v52
	v_add_u32_e32 v19, v19, v20
	v_cndmask_b32_e64 v20, 0, 1, vcc
	v_lshlrev_b32_e32 v20, 2, v20
	v_add_lshl_u32 v56, v20, v46, 2
	ds_bpermute_b32 v20, v56, v19
	v_cmp_le_u32_e32 vcc, v57, v11
	v_add_u32_e32 v61, 16, v52
	v_add_u32_e32 v63, 32, v52
	s_waitcnt lgkmcnt(0)
	v_cndmask_b32_e32 v20, 0, v20, vcc
	v_cmp_gt_u32_e32 vcc, 56, v52
	v_add_u32_e32 v19, v19, v20
	v_cndmask_b32_e64 v20, 0, 1, vcc
	v_lshlrev_b32_e32 v20, 3, v20
	v_add_lshl_u32 v58, v20, v46, 2
	ds_bpermute_b32 v20, v58, v19
	v_cmp_le_u32_e32 vcc, v59, v11
	s_waitcnt lgkmcnt(0)
	v_cndmask_b32_e32 v20, 0, v20, vcc
	v_cmp_gt_u32_e32 vcc, 48, v52
	v_add_u32_e32 v19, v19, v20
	v_cndmask_b32_e64 v20, 0, 1, vcc
	v_lshlrev_b32_e32 v20, 4, v20
	v_add_lshl_u32 v60, v20, v46, 2
	ds_bpermute_b32 v20, v60, v19
	v_cmp_le_u32_e32 vcc, v61, v11
	;; [unrolled: 9-line block ×3, first 2 shown]
	s_waitcnt lgkmcnt(0)
	v_cndmask_b32_e32 v11, 0, v20, vcc
	v_add_u32_e32 v20, v19, v11
	v_mov_b32_e32 v19, 0
	s_branch .LBB258_104
.LBB258_103:                            ;   in Loop: Header=BB258_104 Depth=1
	s_or_b64 exec, exec, s[40:41]
	v_cmp_eq_u16_sdwa s[40:41], v21, v51 src0_sel:BYTE_0 src1_sel:DWORD
	v_and_b32_e32 v24, s41, v23
	v_or_b32_e32 v24, 0x80000000, v24
	ds_bpermute_b32 v64, v53, v20
	v_and_b32_e32 v25, s40, v22
	v_ffbl_b32_e32 v24, v24
	v_add_u32_e32 v24, 32, v24
	v_ffbl_b32_e32 v25, v25
	v_min_u32_e32 v24, v25, v24
	v_cmp_lt_u32_e32 vcc, v52, v24
	s_waitcnt lgkmcnt(0)
	v_cndmask_b32_e32 v25, 0, v64, vcc
	v_add_u32_e32 v20, v25, v20
	ds_bpermute_b32 v25, v54, v20
	v_cmp_le_u32_e32 vcc, v55, v24
	v_subrev_u32_e32 v18, 64, v18
	s_waitcnt lgkmcnt(0)
	v_cndmask_b32_e32 v25, 0, v25, vcc
	v_add_u32_e32 v20, v20, v25
	ds_bpermute_b32 v25, v56, v20
	v_cmp_le_u32_e32 vcc, v57, v24
	s_waitcnt lgkmcnt(0)
	v_cndmask_b32_e32 v25, 0, v25, vcc
	v_add_u32_e32 v20, v20, v25
	ds_bpermute_b32 v25, v58, v20
	v_cmp_le_u32_e32 vcc, v59, v24
	;; [unrolled: 5-line block ×4, first 2 shown]
	s_waitcnt lgkmcnt(0)
	v_cndmask_b32_e32 v24, 0, v25, vcc
	v_add3_u32 v20, v24, v11, v20
.LBB258_104:                            ; =>This Loop Header: Depth=1
                                        ;     Child Loop BB258_107 Depth 2
	v_cmp_ne_u16_sdwa s[40:41], v21, v51 src0_sel:BYTE_0 src1_sel:DWORD
	v_cndmask_b32_e64 v11, 0, 1, s[40:41]
	;;#ASMSTART
	;;#ASMEND
	v_cmp_ne_u32_e32 vcc, 0, v11
	s_cmp_lg_u64 vcc, exec
	v_mov_b32_e32 v11, v20
	s_cbranch_scc1 .LBB258_109
; %bb.105:                              ;   in Loop: Header=BB258_104 Depth=1
	v_lshlrev_b64 v[20:21], 3, v[18:19]
	v_mov_b32_e32 v25, s37
	v_add_co_u32_e32 v24, vcc, s36, v20
	v_addc_co_u32_e32 v25, vcc, v25, v21, vcc
	global_load_dwordx2 v[20:21], v[24:25], off glc
	s_waitcnt vmcnt(0)
	v_cmp_eq_u16_sdwa s[42:43], v21, v19 src0_sel:BYTE_0 src1_sel:DWORD
	s_and_saveexec_b64 s[40:41], s[42:43]
	s_cbranch_execz .LBB258_103
; %bb.106:                              ;   in Loop: Header=BB258_104 Depth=1
	s_mov_b64 s[42:43], 0
.LBB258_107:                            ;   Parent Loop BB258_104 Depth=1
                                        ; =>  This Inner Loop Header: Depth=2
	global_load_dwordx2 v[20:21], v[24:25], off glc
	s_waitcnt vmcnt(0)
	v_cmp_ne_u16_sdwa s[44:45], v21, v19 src0_sel:BYTE_0 src1_sel:DWORD
	s_or_b64 s[42:43], s[44:45], s[42:43]
	s_andn2_b64 exec, exec, s[42:43]
	s_cbranch_execnz .LBB258_107
; %bb.108:                              ;   in Loop: Header=BB258_104 Depth=1
	s_or_b64 exec, exec, s[42:43]
	s_branch .LBB258_103
.LBB258_109:                            ;   in Loop: Header=BB258_104 Depth=1
                                        ; implicit-def: $vgpr20
                                        ; implicit-def: $vgpr21
	s_cbranch_execz .LBB258_104
; %bb.110:
	s_and_saveexec_b64 s[40:41], s[16:17]
	s_cbranch_execz .LBB258_112
; %bb.111:
	s_add_i32 s6, s6, 64
	s_mov_b32 s7, 0
	s_lshl_b64 s[6:7], s[6:7], 3
	s_add_u32 s6, s36, s6
	v_add_u32_e32 v18, v11, v10
	v_mov_b32_e32 v19, 2
	s_addc_u32 s7, s37, s7
	v_mov_b32_e32 v20, 0
	global_store_dwordx2 v20, v[18:19], s[6:7]
	ds_write_b64 v20, v[10:11] offset:10240
.LBB258_112:
	s_or_b64 exec, exec, s[40:41]
	v_cmp_eq_u32_e32 vcc, 0, v0
	s_and_b64 exec, exec, vcc
	s_cbranch_execz .LBB258_114
; %bb.113:
	v_mov_b32_e32 v10, 0
	ds_write_b32 v10, v11 offset:12
.LBB258_114:
	s_or_b64 exec, exec, s[38:39]
	v_mov_b32_e32 v10, 0
	s_waitcnt lgkmcnt(0)
	s_barrier
	ds_read_b32 v19, v10 offset:12
	s_waitcnt lgkmcnt(0)
	s_barrier
	ds_read_b64 v[10:11], v10 offset:10240
	v_cndmask_b32_e64 v18, v50, v49, s[16:17]
	v_cmp_ne_u32_e32 vcc, 0, v0
	v_cndmask_b32_e32 v18, 0, v18, vcc
	v_add_u32_e32 v22, v19, v18
	s_load_dwordx2 s[4:5], s[4:5], 0x30
	s_branch .LBB258_125
.LBB258_115:
                                        ; implicit-def: $vgpr11
                                        ; implicit-def: $vgpr22
	s_load_dwordx2 s[4:5], s[4:5], 0x30
	s_cbranch_execz .LBB258_125
; %bb.116:
	s_waitcnt lgkmcnt(0)
	v_mov_b32_dpp v10, v48 row_shr:1 row_mask:0xf bank_mask:0xf
	v_cndmask_b32_e64 v10, v10, 0, s[14:15]
	v_add_u32_e32 v10, v10, v48
	s_nop 1
	v_mov_b32_dpp v11, v10 row_shr:2 row_mask:0xf bank_mask:0xf
	v_cndmask_b32_e64 v11, 0, v11, s[12:13]
	v_add_u32_e32 v10, v10, v11
	s_nop 1
	v_mov_b32_dpp v11, v10 row_shr:4 row_mask:0xf bank_mask:0xf
	v_cndmask_b32_e64 v11, 0, v11, s[10:11]
	v_add_u32_e32 v10, v10, v11
	s_nop 1
	v_mov_b32_dpp v11, v10 row_shr:8 row_mask:0xf bank_mask:0xf
	v_cndmask_b32_e64 v11, 0, v11, s[8:9]
	v_add_u32_e32 v10, v10, v11
	s_nop 1
	v_mov_b32_dpp v11, v10 row_bcast:15 row_mask:0xf bank_mask:0xf
	v_cndmask_b32_e64 v11, v11, 0, s[18:19]
	v_add_u32_e32 v10, v10, v11
	s_nop 1
	v_mov_b32_dpp v11, v10 row_bcast:31 row_mask:0xf bank_mask:0xf
	v_cndmask_b32_e64 v11, 0, v11, s[0:1]
	v_add_u32_e32 v10, v10, v11
	s_and_saveexec_b64 s[0:1], s[2:3]
	s_cbranch_execz .LBB258_118
; %bb.117:
	v_lshlrev_b32_e32 v11, 2, v47
	ds_write_b32 v11, v10
.LBB258_118:
	s_or_b64 exec, exec, s[0:1]
	v_cmp_gt_u32_e32 vcc, 4, v0
	s_waitcnt lgkmcnt(0)
	s_barrier
	s_and_saveexec_b64 s[0:1], vcc
	s_cbranch_execz .LBB258_120
; %bb.119:
	v_lshlrev_b32_e32 v11, 2, v0
	ds_read_b32 v18, v11
	v_and_b32_e32 v19, 3, v46
	v_cmp_ne_u32_e32 vcc, 0, v19
	s_waitcnt lgkmcnt(0)
	v_mov_b32_dpp v20, v18 row_shr:1 row_mask:0xf bank_mask:0xf
	v_cndmask_b32_e32 v20, 0, v20, vcc
	v_add_u32_e32 v18, v20, v18
	v_cmp_lt_u32_e32 vcc, 1, v19
	s_nop 0
	v_mov_b32_dpp v20, v18 row_shr:2 row_mask:0xf bank_mask:0xf
	v_cndmask_b32_e32 v19, 0, v20, vcc
	v_add_u32_e32 v18, v18, v19
	ds_write_b32 v11, v18
.LBB258_120:
	s_or_b64 exec, exec, s[0:1]
	v_cmp_lt_u32_e32 vcc, 63, v0
	v_mov_b32_e32 v11, 0
	v_mov_b32_e32 v18, 0
	s_waitcnt lgkmcnt(0)
	s_barrier
	s_and_saveexec_b64 s[0:1], vcc
	s_cbranch_execz .LBB258_122
; %bb.121:
	v_lshl_add_u32 v18, v47, 2, -4
	ds_read_b32 v18, v18
.LBB258_122:
	s_or_b64 exec, exec, s[0:1]
	v_add_u32_e32 v19, -1, v46
	v_and_b32_e32 v20, 64, v46
	v_cmp_lt_i32_e32 vcc, v19, v20
	v_cndmask_b32_e32 v19, v19, v46, vcc
	s_waitcnt lgkmcnt(0)
	v_add_u32_e32 v10, v18, v10
	v_lshlrev_b32_e32 v19, 2, v19
	ds_bpermute_b32 v19, v19, v10
	ds_read_b32 v10, v11 offset:12
	v_cmp_eq_u32_e32 vcc, 0, v0
	s_and_saveexec_b64 s[0:1], vcc
	s_cbranch_execz .LBB258_124
; %bb.123:
	v_mov_b32_e32 v20, 0
	v_mov_b32_e32 v11, 2
	s_waitcnt lgkmcnt(0)
	global_store_dwordx2 v20, v[10:11], s[36:37] offset:512
.LBB258_124:
	s_or_b64 exec, exec, s[0:1]
	v_cmp_eq_u32_e64 s[0:1], 0, v46
	s_waitcnt lgkmcnt(1)
	v_cndmask_b32_e64 v18, v19, v18, s[0:1]
	v_mov_b32_e32 v11, 0
	v_cndmask_b32_e64 v22, v18, 0, vcc
	s_waitcnt lgkmcnt(0)
	s_barrier
.LBB258_125:
	v_add_u32_sdwa v24, v22, v16 dst_sel:DWORD dst_unused:UNUSED_PAD src0_sel:DWORD src1_sel:BYTE_0
	s_waitcnt lgkmcnt(0)
	v_add_u32_e32 v26, v10, v26
	v_sub_u32_e32 v22, v22, v11
	v_and_b32_e32 v51, 1, v16
	v_sub_u32_e32 v50, v26, v22
	v_cmp_eq_u32_e32 vcc, 1, v51
	v_cndmask_b32_e32 v22, v50, v22, vcc
	v_lshlrev_b32_e32 v22, 1, v22
	v_lshrrev_b32_e32 v23, 8, v16
	ds_write_b16 v22, v6
	v_sub_u32_e32 v22, v24, v11
	v_add_u32_sdwa v25, v24, v16 dst_sel:DWORD dst_unused:UNUSED_PAD src0_sel:DWORD src1_sel:BYTE_1
	v_sub_u32_e32 v24, v26, v22
	v_and_b32_e32 v23, 1, v23
	v_add_u32_e32 v24, 1, v24
	v_cmp_eq_u32_e32 vcc, 1, v23
	v_cndmask_b32_e32 v22, v24, v22, vcc
	v_lshlrev_b32_e32 v22, 1, v22
	ds_write_b16_d16_hi v22, v6
	v_sub_u32_e32 v6, v25, v11
	v_mov_b32_e32 v23, 1
	v_sub_u32_e32 v22, v26, v6
	v_and_b32_sdwa v16, v23, v16 dst_sel:DWORD dst_unused:UNUSED_PAD src0_sel:DWORD src1_sel:WORD_1
	v_add_u32_e32 v22, 2, v22
	v_cmp_eq_u32_e32 vcc, 1, v16
	v_cndmask_b32_e32 v6, v22, v6, vcc
	v_add_u32_e32 v45, v25, v45
	v_lshlrev_b32_e32 v6, 1, v6
	ds_write_b16 v6, v7
	v_sub_u32_e32 v6, v45, v11
	v_sub_u32_e32 v16, v26, v6
	v_and_b32_e32 v22, 1, v33
	v_add_u32_e32 v16, 3, v16
	v_cmp_eq_u32_e32 vcc, 1, v22
	v_cndmask_b32_e32 v6, v16, v6, vcc
	v_add_u32_e32 v46, v45, v33
	v_lshlrev_b32_e32 v6, 1, v6
	ds_write_b16_d16_hi v6, v7
	v_sub_u32_e32 v6, v46, v11
	v_sub_u32_e32 v7, v26, v6
	v_and_b32_e32 v16, 1, v17
	v_add_u32_e32 v7, 4, v7
	v_cmp_eq_u32_e32 vcc, 1, v16
	v_cndmask_b32_e32 v6, v7, v6, vcc
	v_add_u32_e32 v42, v46, v42
	v_lshlrev_b32_e32 v6, 1, v6
	v_lshrrev_b32_e32 v21, 8, v17
	ds_write_b16 v6, v8
	v_sub_u32_e32 v6, v42, v11
	v_sub_u32_e32 v7, v26, v6
	v_and_b32_e32 v16, 1, v21
	v_add_u32_e32 v7, 5, v7
	v_cmp_eq_u32_e32 vcc, 1, v16
	v_cndmask_b32_e32 v6, v7, v6, vcc
	v_add_u32_e32 v43, v42, v43
	v_lshlrev_b32_e32 v6, 1, v6
	ds_write_b16_d16_hi v6, v8
	v_sub_u32_e32 v6, v43, v11
	v_sub_u32_e32 v7, v26, v6
	v_and_b32_sdwa v8, v23, v17 dst_sel:DWORD dst_unused:UNUSED_PAD src0_sel:DWORD src1_sel:WORD_1
	v_add_u32_e32 v7, 6, v7
	v_cmp_eq_u32_e32 vcc, 1, v8
	v_cndmask_b32_e32 v6, v7, v6, vcc
	v_add_u32_e32 v44, v43, v44
	v_lshlrev_b32_e32 v6, 1, v6
	ds_write_b16 v6, v9
	v_sub_u32_e32 v6, v44, v11
	v_sub_u32_e32 v7, v26, v6
	v_and_b32_e32 v8, 1, v32
	v_add_u32_e32 v7, 7, v7
	v_cmp_eq_u32_e32 vcc, 1, v8
	v_cndmask_b32_e32 v6, v7, v6, vcc
	v_add_u32_e32 v47, v44, v32
	v_lshlrev_b32_e32 v6, 1, v6
	ds_write_b16_d16_hi v6, v9
	v_sub_u32_e32 v6, v47, v11
	v_sub_u32_e32 v7, v26, v6
	v_and_b32_e32 v8, 1, v14
	v_add_u32_e32 v7, 8, v7
	v_cmp_eq_u32_e32 vcc, 1, v8
	v_cndmask_b32_e32 v6, v7, v6, vcc
	v_add_u32_e32 v39, v47, v39
	v_lshlrev_b32_e32 v6, 1, v6
	v_lshrrev_b32_e32 v20, 8, v14
	ds_write_b16 v6, v2
	v_sub_u32_e32 v6, v39, v11
	v_sub_u32_e32 v7, v26, v6
	v_and_b32_e32 v8, 1, v20
	v_add_u32_e32 v7, 9, v7
	v_cmp_eq_u32_e32 vcc, 1, v8
	v_cndmask_b32_e32 v6, v7, v6, vcc
	v_add_u32_e32 v40, v39, v40
	v_lshlrev_b32_e32 v6, 1, v6
	ds_write_b16_d16_hi v6, v2
	v_sub_u32_e32 v2, v40, v11
	;; [unrolled: 37-line block ×4, first 2 shown]
	v_sub_u32_e32 v3, v26, v2
	v_and_b32_sdwa v4, v23, v28 dst_sel:DWORD dst_unused:UNUSED_PAD src0_sel:DWORD src1_sel:WORD_1
	v_add_u32_e32 v3, 18, v3
	v_cmp_eq_u32_e32 vcc, 1, v4
	v_cndmask_b32_e32 v2, v3, v2, vcc
	v_lshlrev_b32_e32 v2, 1, v2
	ds_write_b16 v2, v13
	v_sub_u32_e32 v2, v29, v11
	v_add_u32_e32 v2, v35, v2
	v_sub_u32_e32 v3, v26, v2
	v_and_b32_e32 v4, 1, v27
	v_add_u32_e32 v3, 19, v3
	v_cmp_eq_u32_e32 vcc, 1, v4
	v_cndmask_b32_e32 v2, v3, v2, vcc
	v_lshlrev_b32_e32 v2, 1, v2
	ds_write_b16_d16_hi v2, v13
	s_waitcnt lgkmcnt(0)
	s_barrier
	ds_read_u16 v47, v1
	ds_read_u16 v45, v1 offset:512
	ds_read_u16 v43, v1 offset:1024
	;; [unrolled: 1-line block ×19, first 2 shown]
	s_add_u32 s0, s26, s24
	s_addc_u32 s1, s27, 0
	v_mov_b32_e32 v2, s31
	v_add_co_u32_e32 v1, vcc, s30, v11
	s_sub_u32 s0, s28, s0
	v_addc_co_u32_e32 v4, vcc, 0, v2, vcc
	s_subb_u32 s1, s29, s1
	v_mov_b32_e32 v2, s1
	v_add_co_u32_e32 v3, vcc, s0, v10
	v_addc_co_u32_e32 v2, vcc, 0, v2, vcc
	v_add_co_u32_e64 v7, s[0:1], v3, v1
	v_or_b32_e32 v46, 0x100, v0
	v_or_b32_e32 v44, 0x200, v0
	;; [unrolled: 1-line block ×19, first 2 shown]
	s_andn2_b64 vcc, exec, s[34:35]
	v_addc_co_u32_e64 v8, s[0:1], v2, v4, s[0:1]
	s_cbranch_vccnz .LBB258_207
; %bb.126:
	v_cmp_ge_u32_e32 vcc, v0, v10
                                        ; implicit-def: $vgpr2_vgpr3
	s_and_saveexec_b64 s[0:1], vcc
	s_xor_b64 s[0:1], exec, s[0:1]
; %bb.127:
	v_not_b32_e32 v2, v0
	v_ashrrev_i32_e32 v3, 31, v2
	v_add_co_u32_e32 v2, vcc, v7, v2
	v_addc_co_u32_e32 v3, vcc, v8, v3, vcc
; %bb.128:
	s_andn2_saveexec_b64 s[0:1], s[0:1]
; %bb.129:
	v_add_co_u32_e32 v2, vcc, v1, v0
	v_addc_co_u32_e32 v3, vcc, 0, v4, vcc
; %bb.130:
	s_or_b64 exec, exec, s[0:1]
	v_lshlrev_b64 v[2:3], 1, v[2:3]
	v_mov_b32_e32 v11, s5
	v_add_co_u32_e32 v2, vcc, s4, v2
	v_addc_co_u32_e32 v3, vcc, v11, v3, vcc
	v_cmp_ge_u32_e32 vcc, v46, v10
	s_waitcnt lgkmcnt(14)
	global_store_short v[2:3], v47, off
                                        ; implicit-def: $vgpr2_vgpr3
	s_and_saveexec_b64 s[0:1], vcc
	s_xor_b64 s[0:1], exec, s[0:1]
; %bb.131:
	v_xor_b32_e32 v2, 0xfffffeff, v0
	v_ashrrev_i32_e32 v3, 31, v2
	v_add_co_u32_e32 v2, vcc, v7, v2
	v_addc_co_u32_e32 v3, vcc, v8, v3, vcc
; %bb.132:
	s_andn2_saveexec_b64 s[0:1], s[0:1]
; %bb.133:
	v_add_co_u32_e32 v2, vcc, v1, v46
	v_addc_co_u32_e32 v3, vcc, 0, v4, vcc
; %bb.134:
	s_or_b64 exec, exec, s[0:1]
	v_lshlrev_b64 v[2:3], 1, v[2:3]
	v_mov_b32_e32 v11, s5
	v_add_co_u32_e32 v2, vcc, s4, v2
	v_addc_co_u32_e32 v3, vcc, v11, v3, vcc
	v_cmp_ge_u32_e32 vcc, v44, v10
	global_store_short v[2:3], v45, off
                                        ; implicit-def: $vgpr2_vgpr3
	s_and_saveexec_b64 s[0:1], vcc
	s_xor_b64 s[0:1], exec, s[0:1]
; %bb.135:
	v_xor_b32_e32 v2, 0xfffffdff, v0
	v_ashrrev_i32_e32 v3, 31, v2
	v_add_co_u32_e32 v2, vcc, v7, v2
	v_addc_co_u32_e32 v3, vcc, v8, v3, vcc
; %bb.136:
	s_andn2_saveexec_b64 s[0:1], s[0:1]
; %bb.137:
	v_add_co_u32_e32 v2, vcc, v1, v44
	v_addc_co_u32_e32 v3, vcc, 0, v4, vcc
; %bb.138:
	s_or_b64 exec, exec, s[0:1]
	v_lshlrev_b64 v[2:3], 1, v[2:3]
	v_mov_b32_e32 v11, s5
	v_add_co_u32_e32 v2, vcc, s4, v2
	v_addc_co_u32_e32 v3, vcc, v11, v3, vcc
	v_cmp_ge_u32_e32 vcc, v42, v10
	;; [unrolled: 21-line block ×6, first 2 shown]
	s_waitcnt lgkmcnt(13)
	global_store_short v[2:3], v35, off
                                        ; implicit-def: $vgpr2_vgpr3
	s_and_saveexec_b64 s[0:1], vcc
	s_xor_b64 s[0:1], exec, s[0:1]
; %bb.155:
	v_xor_b32_e32 v2, 0xfffff8ff, v0
	v_ashrrev_i32_e32 v3, 31, v2
	v_add_co_u32_e32 v2, vcc, v7, v2
	v_addc_co_u32_e32 v3, vcc, v8, v3, vcc
; %bb.156:
	s_andn2_saveexec_b64 s[0:1], s[0:1]
; %bb.157:
	v_add_co_u32_e32 v2, vcc, v1, v34
	v_addc_co_u32_e32 v3, vcc, 0, v4, vcc
; %bb.158:
	s_or_b64 exec, exec, s[0:1]
	v_lshlrev_b64 v[2:3], 1, v[2:3]
	v_mov_b32_e32 v11, s5
	v_add_co_u32_e32 v2, vcc, s4, v2
	v_addc_co_u32_e32 v3, vcc, v11, v3, vcc
	v_cmp_ge_u32_e32 vcc, v32, v10
	s_waitcnt lgkmcnt(12)
	global_store_short v[2:3], v33, off
                                        ; implicit-def: $vgpr2_vgpr3
	s_and_saveexec_b64 s[0:1], vcc
	s_xor_b64 s[0:1], exec, s[0:1]
; %bb.159:
	v_xor_b32_e32 v2, 0xfffff7ff, v0
	v_ashrrev_i32_e32 v3, 31, v2
	v_add_co_u32_e32 v2, vcc, v7, v2
	v_addc_co_u32_e32 v3, vcc, v8, v3, vcc
; %bb.160:
	s_andn2_saveexec_b64 s[0:1], s[0:1]
; %bb.161:
	v_add_co_u32_e32 v2, vcc, v1, v32
	v_addc_co_u32_e32 v3, vcc, 0, v4, vcc
; %bb.162:
	s_or_b64 exec, exec, s[0:1]
	v_lshlrev_b64 v[2:3], 1, v[2:3]
	v_mov_b32_e32 v11, s5
	v_add_co_u32_e32 v2, vcc, s4, v2
	v_addc_co_u32_e32 v3, vcc, v11, v3, vcc
	v_cmp_ge_u32_e32 vcc, v30, v10
	;; [unrolled: 22-line block ×12, first 2 shown]
	s_waitcnt lgkmcnt(1)
	global_store_short v[2:3], v9, off
                                        ; implicit-def: $vgpr2_vgpr3
	s_and_saveexec_b64 s[0:1], vcc
	s_xor_b64 s[0:1], exec, s[0:1]
; %bb.203:
	v_xor_b32_e32 v2, 0xffffecff, v0
	v_ashrrev_i32_e32 v3, 31, v2
	v_add_co_u32_e32 v2, vcc, v7, v2
	v_addc_co_u32_e32 v3, vcc, v8, v3, vcc
; %bb.204:
	s_andn2_saveexec_b64 s[0:1], s[0:1]
; %bb.205:
	v_add_co_u32_e32 v2, vcc, v1, v6
	v_addc_co_u32_e32 v3, vcc, 0, v4, vcc
; %bb.206:
	s_or_b64 exec, exec, s[0:1]
	s_mov_b64 s[0:1], -1
	s_branch .LBB258_329
.LBB258_207:
	s_mov_b64 s[0:1], 0
                                        ; implicit-def: $vgpr2_vgpr3
	s_cbranch_execz .LBB258_329
; %bb.208:
	v_cmp_gt_u32_e32 vcc, s33, v0
	s_and_saveexec_b64 s[2:3], vcc
	s_cbranch_execz .LBB258_264
; %bb.209:
	v_cmp_ge_u32_e32 vcc, v0, v10
                                        ; implicit-def: $vgpr2_vgpr3
	s_and_saveexec_b64 s[6:7], vcc
	s_xor_b64 s[6:7], exec, s[6:7]
; %bb.210:
	v_not_b32_e32 v2, v0
	v_ashrrev_i32_e32 v3, 31, v2
	v_add_co_u32_e32 v2, vcc, v7, v2
	v_addc_co_u32_e32 v3, vcc, v8, v3, vcc
; %bb.211:
	s_andn2_saveexec_b64 s[6:7], s[6:7]
; %bb.212:
	v_add_co_u32_e32 v2, vcc, v1, v0
	v_addc_co_u32_e32 v3, vcc, 0, v4, vcc
; %bb.213:
	s_or_b64 exec, exec, s[6:7]
	v_lshlrev_b64 v[2:3], 1, v[2:3]
	v_mov_b32_e32 v11, s5
	v_add_co_u32_e32 v2, vcc, s4, v2
	v_addc_co_u32_e32 v3, vcc, v11, v3, vcc
	s_waitcnt lgkmcnt(14)
	global_store_short v[2:3], v47, off
	s_or_b64 exec, exec, s[2:3]
	v_cmp_gt_u32_e32 vcc, s33, v46
	s_and_saveexec_b64 s[2:3], vcc
	s_cbranch_execnz .LBB258_265
.LBB258_214:
	s_or_b64 exec, exec, s[2:3]
	v_cmp_gt_u32_e32 vcc, s33, v44
	s_and_saveexec_b64 s[2:3], vcc
	s_cbranch_execz .LBB258_270
.LBB258_215:
	v_cmp_ge_u32_e32 vcc, v44, v10
                                        ; implicit-def: $vgpr2_vgpr3
	s_and_saveexec_b64 s[6:7], vcc
	s_xor_b64 s[6:7], exec, s[6:7]
; %bb.216:
	v_xor_b32_e32 v2, 0xfffffdff, v0
	v_ashrrev_i32_e32 v3, 31, v2
	v_add_co_u32_e32 v2, vcc, v7, v2
	v_addc_co_u32_e32 v3, vcc, v8, v3, vcc
                                        ; implicit-def: $vgpr44
; %bb.217:
	s_andn2_saveexec_b64 s[6:7], s[6:7]
; %bb.218:
	v_add_co_u32_e32 v2, vcc, v1, v44
	v_addc_co_u32_e32 v3, vcc, 0, v4, vcc
; %bb.219:
	s_or_b64 exec, exec, s[6:7]
	v_lshlrev_b64 v[2:3], 1, v[2:3]
	v_mov_b32_e32 v11, s5
	v_add_co_u32_e32 v2, vcc, s4, v2
	v_addc_co_u32_e32 v3, vcc, v11, v3, vcc
	s_waitcnt lgkmcnt(14)
	global_store_short v[2:3], v43, off
	s_or_b64 exec, exec, s[2:3]
	v_cmp_gt_u32_e32 vcc, s33, v42
	s_and_saveexec_b64 s[2:3], vcc
	s_cbranch_execnz .LBB258_271
.LBB258_220:
	s_or_b64 exec, exec, s[2:3]
	v_cmp_gt_u32_e32 vcc, s33, v40
	s_and_saveexec_b64 s[2:3], vcc
	s_cbranch_execz .LBB258_276
.LBB258_221:
	v_cmp_ge_u32_e32 vcc, v40, v10
                                        ; implicit-def: $vgpr2_vgpr3
	s_and_saveexec_b64 s[6:7], vcc
	s_xor_b64 s[6:7], exec, s[6:7]
; %bb.222:
	v_xor_b32_e32 v2, 0xfffffbff, v0
	v_ashrrev_i32_e32 v3, 31, v2
	v_add_co_u32_e32 v2, vcc, v7, v2
	v_addc_co_u32_e32 v3, vcc, v8, v3, vcc
                                        ; implicit-def: $vgpr40
; %bb.223:
	s_andn2_saveexec_b64 s[6:7], s[6:7]
; %bb.224:
	v_add_co_u32_e32 v2, vcc, v1, v40
	v_addc_co_u32_e32 v3, vcc, 0, v4, vcc
; %bb.225:
	s_or_b64 exec, exec, s[6:7]
	v_lshlrev_b64 v[2:3], 1, v[2:3]
	v_mov_b32_e32 v11, s5
	v_add_co_u32_e32 v2, vcc, s4, v2
	v_addc_co_u32_e32 v3, vcc, v11, v3, vcc
	s_waitcnt lgkmcnt(14)
	global_store_short v[2:3], v39, off
	s_or_b64 exec, exec, s[2:3]
	v_cmp_gt_u32_e32 vcc, s33, v38
	s_and_saveexec_b64 s[2:3], vcc
	s_cbranch_execnz .LBB258_277
.LBB258_226:
	s_or_b64 exec, exec, s[2:3]
	v_cmp_gt_u32_e32 vcc, s33, v36
	s_and_saveexec_b64 s[2:3], vcc
	s_cbranch_execz .LBB258_282
.LBB258_227:
	v_cmp_ge_u32_e32 vcc, v36, v10
                                        ; implicit-def: $vgpr2_vgpr3
	s_and_saveexec_b64 s[6:7], vcc
	s_xor_b64 s[6:7], exec, s[6:7]
; %bb.228:
	v_xor_b32_e32 v2, 0xfffff9ff, v0
	v_ashrrev_i32_e32 v3, 31, v2
	v_add_co_u32_e32 v2, vcc, v7, v2
	v_addc_co_u32_e32 v3, vcc, v8, v3, vcc
                                        ; implicit-def: $vgpr36
; %bb.229:
	s_andn2_saveexec_b64 s[6:7], s[6:7]
; %bb.230:
	v_add_co_u32_e32 v2, vcc, v1, v36
	v_addc_co_u32_e32 v3, vcc, 0, v4, vcc
; %bb.231:
	s_or_b64 exec, exec, s[6:7]
	v_lshlrev_b64 v[2:3], 1, v[2:3]
	v_mov_b32_e32 v11, s5
	v_add_co_u32_e32 v2, vcc, s4, v2
	v_addc_co_u32_e32 v3, vcc, v11, v3, vcc
	s_waitcnt lgkmcnt(13)
	global_store_short v[2:3], v35, off
	s_or_b64 exec, exec, s[2:3]
	v_cmp_gt_u32_e32 vcc, s33, v34
	s_and_saveexec_b64 s[2:3], vcc
	s_cbranch_execnz .LBB258_283
.LBB258_232:
	s_or_b64 exec, exec, s[2:3]
	v_cmp_gt_u32_e32 vcc, s33, v32
	s_and_saveexec_b64 s[2:3], vcc
	s_cbranch_execz .LBB258_288
.LBB258_233:
	v_cmp_ge_u32_e32 vcc, v32, v10
                                        ; implicit-def: $vgpr2_vgpr3
	s_and_saveexec_b64 s[6:7], vcc
	s_xor_b64 s[6:7], exec, s[6:7]
; %bb.234:
	v_xor_b32_e32 v2, 0xfffff7ff, v0
	v_ashrrev_i32_e32 v3, 31, v2
	v_add_co_u32_e32 v2, vcc, v7, v2
	v_addc_co_u32_e32 v3, vcc, v8, v3, vcc
                                        ; implicit-def: $vgpr32
; %bb.235:
	s_andn2_saveexec_b64 s[6:7], s[6:7]
; %bb.236:
	v_add_co_u32_e32 v2, vcc, v1, v32
	v_addc_co_u32_e32 v3, vcc, 0, v4, vcc
; %bb.237:
	s_or_b64 exec, exec, s[6:7]
	v_lshlrev_b64 v[2:3], 1, v[2:3]
	v_mov_b32_e32 v11, s5
	v_add_co_u32_e32 v2, vcc, s4, v2
	v_addc_co_u32_e32 v3, vcc, v11, v3, vcc
	s_waitcnt lgkmcnt(11)
	global_store_short v[2:3], v31, off
	s_or_b64 exec, exec, s[2:3]
	v_cmp_gt_u32_e32 vcc, s33, v30
	s_and_saveexec_b64 s[2:3], vcc
	s_cbranch_execnz .LBB258_289
.LBB258_238:
	s_or_b64 exec, exec, s[2:3]
	v_cmp_gt_u32_e32 vcc, s33, v28
	s_and_saveexec_b64 s[2:3], vcc
	s_cbranch_execz .LBB258_294
.LBB258_239:
	v_cmp_ge_u32_e32 vcc, v28, v10
                                        ; implicit-def: $vgpr2_vgpr3
	s_and_saveexec_b64 s[6:7], vcc
	s_xor_b64 s[6:7], exec, s[6:7]
; %bb.240:
	v_xor_b32_e32 v2, 0xfffff5ff, v0
	v_ashrrev_i32_e32 v3, 31, v2
	v_add_co_u32_e32 v2, vcc, v7, v2
	v_addc_co_u32_e32 v3, vcc, v8, v3, vcc
                                        ; implicit-def: $vgpr28
; %bb.241:
	s_andn2_saveexec_b64 s[6:7], s[6:7]
; %bb.242:
	v_add_co_u32_e32 v2, vcc, v1, v28
	v_addc_co_u32_e32 v3, vcc, 0, v4, vcc
; %bb.243:
	s_or_b64 exec, exec, s[6:7]
	v_lshlrev_b64 v[2:3], 1, v[2:3]
	v_mov_b32_e32 v11, s5
	v_add_co_u32_e32 v2, vcc, s4, v2
	v_addc_co_u32_e32 v3, vcc, v11, v3, vcc
	s_waitcnt lgkmcnt(9)
	global_store_short v[2:3], v27, off
	s_or_b64 exec, exec, s[2:3]
	v_cmp_gt_u32_e32 vcc, s33, v26
	s_and_saveexec_b64 s[2:3], vcc
	s_cbranch_execnz .LBB258_295
.LBB258_244:
	s_or_b64 exec, exec, s[2:3]
	v_cmp_gt_u32_e32 vcc, s33, v24
	s_and_saveexec_b64 s[2:3], vcc
	s_cbranch_execz .LBB258_300
.LBB258_245:
	v_cmp_ge_u32_e32 vcc, v24, v10
                                        ; implicit-def: $vgpr2_vgpr3
	s_and_saveexec_b64 s[6:7], vcc
	s_xor_b64 s[6:7], exec, s[6:7]
; %bb.246:
	v_xor_b32_e32 v2, 0xfffff3ff, v0
	v_ashrrev_i32_e32 v3, 31, v2
	v_add_co_u32_e32 v2, vcc, v7, v2
	v_addc_co_u32_e32 v3, vcc, v8, v3, vcc
                                        ; implicit-def: $vgpr24
; %bb.247:
	s_andn2_saveexec_b64 s[6:7], s[6:7]
; %bb.248:
	v_add_co_u32_e32 v2, vcc, v1, v24
	v_addc_co_u32_e32 v3, vcc, 0, v4, vcc
; %bb.249:
	s_or_b64 exec, exec, s[6:7]
	v_lshlrev_b64 v[2:3], 1, v[2:3]
	v_mov_b32_e32 v11, s5
	v_add_co_u32_e32 v2, vcc, s4, v2
	v_addc_co_u32_e32 v3, vcc, v11, v3, vcc
	s_waitcnt lgkmcnt(7)
	global_store_short v[2:3], v23, off
	s_or_b64 exec, exec, s[2:3]
	v_cmp_gt_u32_e32 vcc, s33, v22
	s_and_saveexec_b64 s[2:3], vcc
	s_cbranch_execnz .LBB258_301
.LBB258_250:
	s_or_b64 exec, exec, s[2:3]
	v_cmp_gt_u32_e32 vcc, s33, v20
	s_and_saveexec_b64 s[2:3], vcc
	s_cbranch_execz .LBB258_306
.LBB258_251:
	v_cmp_ge_u32_e32 vcc, v20, v10
                                        ; implicit-def: $vgpr2_vgpr3
	s_and_saveexec_b64 s[6:7], vcc
	s_xor_b64 s[6:7], exec, s[6:7]
; %bb.252:
	v_xor_b32_e32 v2, 0xfffff1ff, v0
	v_ashrrev_i32_e32 v3, 31, v2
	v_add_co_u32_e32 v2, vcc, v7, v2
	v_addc_co_u32_e32 v3, vcc, v8, v3, vcc
                                        ; implicit-def: $vgpr20
; %bb.253:
	s_andn2_saveexec_b64 s[6:7], s[6:7]
; %bb.254:
	v_add_co_u32_e32 v2, vcc, v1, v20
	v_addc_co_u32_e32 v3, vcc, 0, v4, vcc
; %bb.255:
	s_or_b64 exec, exec, s[6:7]
	v_lshlrev_b64 v[2:3], 1, v[2:3]
	v_mov_b32_e32 v11, s5
	v_add_co_u32_e32 v2, vcc, s4, v2
	v_addc_co_u32_e32 v3, vcc, v11, v3, vcc
	s_waitcnt lgkmcnt(5)
	global_store_short v[2:3], v19, off
	s_or_b64 exec, exec, s[2:3]
	v_cmp_gt_u32_e32 vcc, s33, v18
	s_and_saveexec_b64 s[2:3], vcc
	s_cbranch_execnz .LBB258_307
.LBB258_256:
	s_or_b64 exec, exec, s[2:3]
	v_cmp_gt_u32_e32 vcc, s33, v16
	s_and_saveexec_b64 s[2:3], vcc
	s_cbranch_execz .LBB258_312
.LBB258_257:
	v_cmp_ge_u32_e32 vcc, v16, v10
                                        ; implicit-def: $vgpr2_vgpr3
	s_and_saveexec_b64 s[6:7], vcc
	s_xor_b64 s[6:7], exec, s[6:7]
; %bb.258:
	v_xor_b32_e32 v2, 0xffffefff, v0
	v_ashrrev_i32_e32 v3, 31, v2
	v_add_co_u32_e32 v2, vcc, v7, v2
	v_addc_co_u32_e32 v3, vcc, v8, v3, vcc
                                        ; implicit-def: $vgpr16
; %bb.259:
	s_andn2_saveexec_b64 s[6:7], s[6:7]
; %bb.260:
	v_add_co_u32_e32 v2, vcc, v1, v16
	v_addc_co_u32_e32 v3, vcc, 0, v4, vcc
; %bb.261:
	s_or_b64 exec, exec, s[6:7]
	v_lshlrev_b64 v[2:3], 1, v[2:3]
	v_mov_b32_e32 v11, s5
	v_add_co_u32_e32 v2, vcc, s4, v2
	v_addc_co_u32_e32 v3, vcc, v11, v3, vcc
	s_waitcnt lgkmcnt(3)
	global_store_short v[2:3], v15, off
	s_or_b64 exec, exec, s[2:3]
	v_cmp_gt_u32_e32 vcc, s33, v14
	s_and_saveexec_b64 s[2:3], vcc
	s_cbranch_execnz .LBB258_313
.LBB258_262:
	s_or_b64 exec, exec, s[2:3]
	v_cmp_gt_u32_e32 vcc, s33, v12
	s_and_saveexec_b64 s[2:3], vcc
	s_cbranch_execnz .LBB258_318
.LBB258_263:
	s_or_b64 exec, exec, s[2:3]
	v_cmp_gt_u32_e32 vcc, s33, v6
                                        ; implicit-def: $vgpr2_vgpr3
	s_and_saveexec_b64 s[2:3], vcc
	s_cbranch_execz .LBB258_328
	s_branch .LBB258_323
.LBB258_264:
	s_or_b64 exec, exec, s[2:3]
	v_cmp_gt_u32_e32 vcc, s33, v46
	s_and_saveexec_b64 s[2:3], vcc
	s_cbranch_execz .LBB258_214
.LBB258_265:
	v_cmp_ge_u32_e32 vcc, v46, v10
                                        ; implicit-def: $vgpr2_vgpr3
	s_and_saveexec_b64 s[6:7], vcc
	s_xor_b64 s[6:7], exec, s[6:7]
; %bb.266:
	v_xor_b32_e32 v2, 0xfffffeff, v0
	v_ashrrev_i32_e32 v3, 31, v2
	v_add_co_u32_e32 v2, vcc, v7, v2
	v_addc_co_u32_e32 v3, vcc, v8, v3, vcc
                                        ; implicit-def: $vgpr46
; %bb.267:
	s_andn2_saveexec_b64 s[6:7], s[6:7]
; %bb.268:
	v_add_co_u32_e32 v2, vcc, v1, v46
	v_addc_co_u32_e32 v3, vcc, 0, v4, vcc
; %bb.269:
	s_or_b64 exec, exec, s[6:7]
	v_lshlrev_b64 v[2:3], 1, v[2:3]
	v_mov_b32_e32 v11, s5
	v_add_co_u32_e32 v2, vcc, s4, v2
	v_addc_co_u32_e32 v3, vcc, v11, v3, vcc
	s_waitcnt lgkmcnt(14)
	global_store_short v[2:3], v45, off
	s_or_b64 exec, exec, s[2:3]
	v_cmp_gt_u32_e32 vcc, s33, v44
	s_and_saveexec_b64 s[2:3], vcc
	s_cbranch_execnz .LBB258_215
.LBB258_270:
	s_or_b64 exec, exec, s[2:3]
	v_cmp_gt_u32_e32 vcc, s33, v42
	s_and_saveexec_b64 s[2:3], vcc
	s_cbranch_execz .LBB258_220
.LBB258_271:
	v_cmp_ge_u32_e32 vcc, v42, v10
                                        ; implicit-def: $vgpr2_vgpr3
	s_and_saveexec_b64 s[6:7], vcc
	s_xor_b64 s[6:7], exec, s[6:7]
; %bb.272:
	v_xor_b32_e32 v2, 0xfffffcff, v0
	v_ashrrev_i32_e32 v3, 31, v2
	v_add_co_u32_e32 v2, vcc, v7, v2
	v_addc_co_u32_e32 v3, vcc, v8, v3, vcc
                                        ; implicit-def: $vgpr42
; %bb.273:
	s_andn2_saveexec_b64 s[6:7], s[6:7]
; %bb.274:
	v_add_co_u32_e32 v2, vcc, v1, v42
	v_addc_co_u32_e32 v3, vcc, 0, v4, vcc
; %bb.275:
	s_or_b64 exec, exec, s[6:7]
	v_lshlrev_b64 v[2:3], 1, v[2:3]
	v_mov_b32_e32 v11, s5
	v_add_co_u32_e32 v2, vcc, s4, v2
	v_addc_co_u32_e32 v3, vcc, v11, v3, vcc
	s_waitcnt lgkmcnt(14)
	global_store_short v[2:3], v41, off
	s_or_b64 exec, exec, s[2:3]
	v_cmp_gt_u32_e32 vcc, s33, v40
	s_and_saveexec_b64 s[2:3], vcc
	s_cbranch_execnz .LBB258_221
.LBB258_276:
	s_or_b64 exec, exec, s[2:3]
	v_cmp_gt_u32_e32 vcc, s33, v38
	s_and_saveexec_b64 s[2:3], vcc
	s_cbranch_execz .LBB258_226
.LBB258_277:
	v_cmp_ge_u32_e32 vcc, v38, v10
                                        ; implicit-def: $vgpr2_vgpr3
	s_and_saveexec_b64 s[6:7], vcc
	s_xor_b64 s[6:7], exec, s[6:7]
; %bb.278:
	v_xor_b32_e32 v2, 0xfffffaff, v0
	v_ashrrev_i32_e32 v3, 31, v2
	v_add_co_u32_e32 v2, vcc, v7, v2
	v_addc_co_u32_e32 v3, vcc, v8, v3, vcc
                                        ; implicit-def: $vgpr38
; %bb.279:
	s_andn2_saveexec_b64 s[6:7], s[6:7]
; %bb.280:
	v_add_co_u32_e32 v2, vcc, v1, v38
	v_addc_co_u32_e32 v3, vcc, 0, v4, vcc
; %bb.281:
	s_or_b64 exec, exec, s[6:7]
	v_lshlrev_b64 v[2:3], 1, v[2:3]
	v_mov_b32_e32 v11, s5
	v_add_co_u32_e32 v2, vcc, s4, v2
	v_addc_co_u32_e32 v3, vcc, v11, v3, vcc
	s_waitcnt lgkmcnt(14)
	global_store_short v[2:3], v37, off
	s_or_b64 exec, exec, s[2:3]
	v_cmp_gt_u32_e32 vcc, s33, v36
	s_and_saveexec_b64 s[2:3], vcc
	s_cbranch_execnz .LBB258_227
.LBB258_282:
	s_or_b64 exec, exec, s[2:3]
	v_cmp_gt_u32_e32 vcc, s33, v34
	s_and_saveexec_b64 s[2:3], vcc
	s_cbranch_execz .LBB258_232
.LBB258_283:
	v_cmp_ge_u32_e32 vcc, v34, v10
                                        ; implicit-def: $vgpr2_vgpr3
	s_and_saveexec_b64 s[6:7], vcc
	s_xor_b64 s[6:7], exec, s[6:7]
; %bb.284:
	v_xor_b32_e32 v2, 0xfffff8ff, v0
	v_ashrrev_i32_e32 v3, 31, v2
	v_add_co_u32_e32 v2, vcc, v7, v2
	v_addc_co_u32_e32 v3, vcc, v8, v3, vcc
                                        ; implicit-def: $vgpr34
; %bb.285:
	s_andn2_saveexec_b64 s[6:7], s[6:7]
; %bb.286:
	v_add_co_u32_e32 v2, vcc, v1, v34
	v_addc_co_u32_e32 v3, vcc, 0, v4, vcc
; %bb.287:
	s_or_b64 exec, exec, s[6:7]
	v_lshlrev_b64 v[2:3], 1, v[2:3]
	v_mov_b32_e32 v11, s5
	v_add_co_u32_e32 v2, vcc, s4, v2
	v_addc_co_u32_e32 v3, vcc, v11, v3, vcc
	s_waitcnt lgkmcnt(12)
	global_store_short v[2:3], v33, off
	s_or_b64 exec, exec, s[2:3]
	v_cmp_gt_u32_e32 vcc, s33, v32
	s_and_saveexec_b64 s[2:3], vcc
	s_cbranch_execnz .LBB258_233
.LBB258_288:
	s_or_b64 exec, exec, s[2:3]
	v_cmp_gt_u32_e32 vcc, s33, v30
	s_and_saveexec_b64 s[2:3], vcc
	s_cbranch_execz .LBB258_238
.LBB258_289:
	v_cmp_ge_u32_e32 vcc, v30, v10
                                        ; implicit-def: $vgpr2_vgpr3
	s_and_saveexec_b64 s[6:7], vcc
	s_xor_b64 s[6:7], exec, s[6:7]
; %bb.290:
	v_xor_b32_e32 v2, 0xfffff6ff, v0
	v_ashrrev_i32_e32 v3, 31, v2
	v_add_co_u32_e32 v2, vcc, v7, v2
	v_addc_co_u32_e32 v3, vcc, v8, v3, vcc
                                        ; implicit-def: $vgpr30
; %bb.291:
	s_andn2_saveexec_b64 s[6:7], s[6:7]
; %bb.292:
	v_add_co_u32_e32 v2, vcc, v1, v30
	v_addc_co_u32_e32 v3, vcc, 0, v4, vcc
; %bb.293:
	s_or_b64 exec, exec, s[6:7]
	v_lshlrev_b64 v[2:3], 1, v[2:3]
	v_mov_b32_e32 v11, s5
	v_add_co_u32_e32 v2, vcc, s4, v2
	v_addc_co_u32_e32 v3, vcc, v11, v3, vcc
	s_waitcnt lgkmcnt(10)
	global_store_short v[2:3], v29, off
	s_or_b64 exec, exec, s[2:3]
	v_cmp_gt_u32_e32 vcc, s33, v28
	s_and_saveexec_b64 s[2:3], vcc
	s_cbranch_execnz .LBB258_239
.LBB258_294:
	s_or_b64 exec, exec, s[2:3]
	v_cmp_gt_u32_e32 vcc, s33, v26
	s_and_saveexec_b64 s[2:3], vcc
	s_cbranch_execz .LBB258_244
.LBB258_295:
	v_cmp_ge_u32_e32 vcc, v26, v10
                                        ; implicit-def: $vgpr2_vgpr3
	s_and_saveexec_b64 s[6:7], vcc
	s_xor_b64 s[6:7], exec, s[6:7]
; %bb.296:
	v_xor_b32_e32 v2, 0xfffff4ff, v0
	v_ashrrev_i32_e32 v3, 31, v2
	v_add_co_u32_e32 v2, vcc, v7, v2
	v_addc_co_u32_e32 v3, vcc, v8, v3, vcc
                                        ; implicit-def: $vgpr26
; %bb.297:
	s_andn2_saveexec_b64 s[6:7], s[6:7]
; %bb.298:
	v_add_co_u32_e32 v2, vcc, v1, v26
	v_addc_co_u32_e32 v3, vcc, 0, v4, vcc
; %bb.299:
	s_or_b64 exec, exec, s[6:7]
	v_lshlrev_b64 v[2:3], 1, v[2:3]
	v_mov_b32_e32 v11, s5
	v_add_co_u32_e32 v2, vcc, s4, v2
	v_addc_co_u32_e32 v3, vcc, v11, v3, vcc
	s_waitcnt lgkmcnt(8)
	global_store_short v[2:3], v25, off
	s_or_b64 exec, exec, s[2:3]
	v_cmp_gt_u32_e32 vcc, s33, v24
	s_and_saveexec_b64 s[2:3], vcc
	s_cbranch_execnz .LBB258_245
.LBB258_300:
	s_or_b64 exec, exec, s[2:3]
	v_cmp_gt_u32_e32 vcc, s33, v22
	s_and_saveexec_b64 s[2:3], vcc
	s_cbranch_execz .LBB258_250
.LBB258_301:
	v_cmp_ge_u32_e32 vcc, v22, v10
                                        ; implicit-def: $vgpr2_vgpr3
	s_and_saveexec_b64 s[6:7], vcc
	s_xor_b64 s[6:7], exec, s[6:7]
; %bb.302:
	v_xor_b32_e32 v2, 0xfffff2ff, v0
	v_ashrrev_i32_e32 v3, 31, v2
	v_add_co_u32_e32 v2, vcc, v7, v2
	v_addc_co_u32_e32 v3, vcc, v8, v3, vcc
                                        ; implicit-def: $vgpr22
; %bb.303:
	s_andn2_saveexec_b64 s[6:7], s[6:7]
; %bb.304:
	v_add_co_u32_e32 v2, vcc, v1, v22
	v_addc_co_u32_e32 v3, vcc, 0, v4, vcc
; %bb.305:
	s_or_b64 exec, exec, s[6:7]
	v_lshlrev_b64 v[2:3], 1, v[2:3]
	v_mov_b32_e32 v11, s5
	v_add_co_u32_e32 v2, vcc, s4, v2
	v_addc_co_u32_e32 v3, vcc, v11, v3, vcc
	s_waitcnt lgkmcnt(6)
	global_store_short v[2:3], v21, off
	s_or_b64 exec, exec, s[2:3]
	v_cmp_gt_u32_e32 vcc, s33, v20
	s_and_saveexec_b64 s[2:3], vcc
	s_cbranch_execnz .LBB258_251
.LBB258_306:
	s_or_b64 exec, exec, s[2:3]
	v_cmp_gt_u32_e32 vcc, s33, v18
	s_and_saveexec_b64 s[2:3], vcc
	s_cbranch_execz .LBB258_256
.LBB258_307:
	v_cmp_ge_u32_e32 vcc, v18, v10
                                        ; implicit-def: $vgpr2_vgpr3
	s_and_saveexec_b64 s[6:7], vcc
	s_xor_b64 s[6:7], exec, s[6:7]
; %bb.308:
	v_xor_b32_e32 v2, 0xfffff0ff, v0
	v_ashrrev_i32_e32 v3, 31, v2
	v_add_co_u32_e32 v2, vcc, v7, v2
	v_addc_co_u32_e32 v3, vcc, v8, v3, vcc
                                        ; implicit-def: $vgpr18
; %bb.309:
	s_andn2_saveexec_b64 s[6:7], s[6:7]
; %bb.310:
	v_add_co_u32_e32 v2, vcc, v1, v18
	v_addc_co_u32_e32 v3, vcc, 0, v4, vcc
; %bb.311:
	s_or_b64 exec, exec, s[6:7]
	v_lshlrev_b64 v[2:3], 1, v[2:3]
	v_mov_b32_e32 v11, s5
	v_add_co_u32_e32 v2, vcc, s4, v2
	v_addc_co_u32_e32 v3, vcc, v11, v3, vcc
	s_waitcnt lgkmcnt(4)
	global_store_short v[2:3], v17, off
	s_or_b64 exec, exec, s[2:3]
	v_cmp_gt_u32_e32 vcc, s33, v16
	s_and_saveexec_b64 s[2:3], vcc
	s_cbranch_execnz .LBB258_257
.LBB258_312:
	s_or_b64 exec, exec, s[2:3]
	v_cmp_gt_u32_e32 vcc, s33, v14
	s_and_saveexec_b64 s[2:3], vcc
	s_cbranch_execz .LBB258_262
.LBB258_313:
	v_cmp_ge_u32_e32 vcc, v14, v10
                                        ; implicit-def: $vgpr2_vgpr3
	s_and_saveexec_b64 s[6:7], vcc
	s_xor_b64 s[6:7], exec, s[6:7]
; %bb.314:
	v_xor_b32_e32 v2, 0xffffeeff, v0
	v_ashrrev_i32_e32 v3, 31, v2
	v_add_co_u32_e32 v2, vcc, v7, v2
	v_addc_co_u32_e32 v3, vcc, v8, v3, vcc
                                        ; implicit-def: $vgpr14
; %bb.315:
	s_andn2_saveexec_b64 s[6:7], s[6:7]
; %bb.316:
	v_add_co_u32_e32 v2, vcc, v1, v14
	v_addc_co_u32_e32 v3, vcc, 0, v4, vcc
; %bb.317:
	s_or_b64 exec, exec, s[6:7]
	v_lshlrev_b64 v[2:3], 1, v[2:3]
	v_mov_b32_e32 v11, s5
	v_add_co_u32_e32 v2, vcc, s4, v2
	v_addc_co_u32_e32 v3, vcc, v11, v3, vcc
	s_waitcnt lgkmcnt(2)
	global_store_short v[2:3], v13, off
	s_or_b64 exec, exec, s[2:3]
	v_cmp_gt_u32_e32 vcc, s33, v12
	s_and_saveexec_b64 s[2:3], vcc
	s_cbranch_execz .LBB258_263
.LBB258_318:
	v_cmp_ge_u32_e32 vcc, v12, v10
                                        ; implicit-def: $vgpr2_vgpr3
	s_and_saveexec_b64 s[6:7], vcc
	s_xor_b64 s[6:7], exec, s[6:7]
; %bb.319:
	v_xor_b32_e32 v2, 0xffffedff, v0
	v_ashrrev_i32_e32 v3, 31, v2
	v_add_co_u32_e32 v2, vcc, v7, v2
	v_addc_co_u32_e32 v3, vcc, v8, v3, vcc
                                        ; implicit-def: $vgpr12
; %bb.320:
	s_andn2_saveexec_b64 s[6:7], s[6:7]
; %bb.321:
	v_add_co_u32_e32 v2, vcc, v1, v12
	v_addc_co_u32_e32 v3, vcc, 0, v4, vcc
; %bb.322:
	s_or_b64 exec, exec, s[6:7]
	v_lshlrev_b64 v[2:3], 1, v[2:3]
	v_mov_b32_e32 v11, s5
	v_add_co_u32_e32 v2, vcc, s4, v2
	v_addc_co_u32_e32 v3, vcc, v11, v3, vcc
	s_waitcnt lgkmcnt(1)
	global_store_short v[2:3], v9, off
	s_or_b64 exec, exec, s[2:3]
	v_cmp_gt_u32_e32 vcc, s33, v6
                                        ; implicit-def: $vgpr2_vgpr3
	s_and_saveexec_b64 s[2:3], vcc
	s_cbranch_execz .LBB258_328
.LBB258_323:
	v_cmp_ge_u32_e32 vcc, v6, v10
                                        ; implicit-def: $vgpr2_vgpr3
	s_and_saveexec_b64 s[6:7], vcc
	s_xor_b64 s[6:7], exec, s[6:7]
; %bb.324:
	v_xor_b32_e32 v2, 0xffffecff, v0
	v_ashrrev_i32_e32 v3, 31, v2
	v_add_co_u32_e32 v2, vcc, v7, v2
	v_addc_co_u32_e32 v3, vcc, v8, v3, vcc
                                        ; implicit-def: $vgpr6
; %bb.325:
	s_andn2_saveexec_b64 s[6:7], s[6:7]
; %bb.326:
	v_add_co_u32_e32 v2, vcc, v1, v6
	v_addc_co_u32_e32 v3, vcc, 0, v4, vcc
; %bb.327:
	s_or_b64 exec, exec, s[6:7]
	s_or_b64 s[0:1], s[0:1], exec
.LBB258_328:
	s_or_b64 exec, exec, s[2:3]
.LBB258_329:
	s_and_saveexec_b64 s[2:3], s[0:1]
	s_cbranch_execz .LBB258_331
; %bb.330:
	v_lshlrev_b64 v[2:3], 1, v[2:3]
	v_mov_b32_e32 v6, s5
	v_add_co_u32_e32 v2, vcc, s4, v2
	v_addc_co_u32_e32 v3, vcc, v6, v3, vcc
	s_waitcnt lgkmcnt(0)
	global_store_short v[2:3], v5, off
.LBB258_331:
	s_or_b64 exec, exec, s[2:3]
	v_cmp_eq_u32_e32 vcc, 0, v0
	s_and_b64 s[0:1], vcc, s[22:23]
	s_and_saveexec_b64 s[2:3], s[0:1]
	s_cbranch_execz .LBB258_333
; %bb.332:
	v_add_co_u32_e32 v0, vcc, v1, v10
	v_mov_b32_e32 v2, 0
	v_addc_co_u32_e32 v1, vcc, 0, v4, vcc
	global_store_dwordx2 v2, v[0:1], s[20:21]
.LBB258_333:
	s_endpgm
	.section	.rodata,"a",@progbits
	.p2align	6, 0x0
	.amdhsa_kernel _ZN7rocprim17ROCPRIM_400000_NS6detail17trampoline_kernelINS0_14default_configENS1_25partition_config_selectorILNS1_17partition_subalgoE2EsNS0_10empty_typeEbEEZZNS1_14partition_implILS5_2ELb0ES3_jN6thrust23THRUST_200600_302600_NS6detail15normal_iteratorINSA_7pointerIsNSA_11hip_rocprim3tagENSA_11use_defaultESG_EEEEPS6_NSA_18transform_iteratorI7is_evenIsENSC_INSA_10device_ptrIsEEEESG_SG_EENS0_5tupleIJPsSJ_EEENSR_IJSJ_SJ_EEES6_PlJS6_EEE10hipError_tPvRmT3_T4_T5_T6_T7_T9_mT8_P12ihipStream_tbDpT10_ENKUlT_T0_E_clISt17integral_constantIbLb0EES1F_EEDaS1A_S1B_EUlS1A_E_NS1_11comp_targetILNS1_3genE4ELNS1_11target_archE910ELNS1_3gpuE8ELNS1_3repE0EEENS1_30default_config_static_selectorELNS0_4arch9wavefront6targetE1EEEvT1_
		.amdhsa_group_segment_fixed_size 10248
		.amdhsa_private_segment_fixed_size 0
		.amdhsa_kernarg_size 128
		.amdhsa_user_sgpr_count 6
		.amdhsa_user_sgpr_private_segment_buffer 1
		.amdhsa_user_sgpr_dispatch_ptr 0
		.amdhsa_user_sgpr_queue_ptr 0
		.amdhsa_user_sgpr_kernarg_segment_ptr 1
		.amdhsa_user_sgpr_dispatch_id 0
		.amdhsa_user_sgpr_flat_scratch_init 0
		.amdhsa_user_sgpr_kernarg_preload_length 0
		.amdhsa_user_sgpr_kernarg_preload_offset 0
		.amdhsa_user_sgpr_private_segment_size 0
		.amdhsa_uses_dynamic_stack 0
		.amdhsa_system_sgpr_private_segment_wavefront_offset 0
		.amdhsa_system_sgpr_workgroup_id_x 1
		.amdhsa_system_sgpr_workgroup_id_y 0
		.amdhsa_system_sgpr_workgroup_id_z 0
		.amdhsa_system_sgpr_workgroup_info 0
		.amdhsa_system_vgpr_workitem_id 0
		.amdhsa_next_free_vgpr 65
		.amdhsa_next_free_sgpr 46
		.amdhsa_accum_offset 68
		.amdhsa_reserve_vcc 1
		.amdhsa_reserve_flat_scratch 0
		.amdhsa_float_round_mode_32 0
		.amdhsa_float_round_mode_16_64 0
		.amdhsa_float_denorm_mode_32 3
		.amdhsa_float_denorm_mode_16_64 3
		.amdhsa_dx10_clamp 1
		.amdhsa_ieee_mode 1
		.amdhsa_fp16_overflow 0
		.amdhsa_tg_split 0
		.amdhsa_exception_fp_ieee_invalid_op 0
		.amdhsa_exception_fp_denorm_src 0
		.amdhsa_exception_fp_ieee_div_zero 0
		.amdhsa_exception_fp_ieee_overflow 0
		.amdhsa_exception_fp_ieee_underflow 0
		.amdhsa_exception_fp_ieee_inexact 0
		.amdhsa_exception_int_div_zero 0
	.end_amdhsa_kernel
	.section	.text._ZN7rocprim17ROCPRIM_400000_NS6detail17trampoline_kernelINS0_14default_configENS1_25partition_config_selectorILNS1_17partition_subalgoE2EsNS0_10empty_typeEbEEZZNS1_14partition_implILS5_2ELb0ES3_jN6thrust23THRUST_200600_302600_NS6detail15normal_iteratorINSA_7pointerIsNSA_11hip_rocprim3tagENSA_11use_defaultESG_EEEEPS6_NSA_18transform_iteratorI7is_evenIsENSC_INSA_10device_ptrIsEEEESG_SG_EENS0_5tupleIJPsSJ_EEENSR_IJSJ_SJ_EEES6_PlJS6_EEE10hipError_tPvRmT3_T4_T5_T6_T7_T9_mT8_P12ihipStream_tbDpT10_ENKUlT_T0_E_clISt17integral_constantIbLb0EES1F_EEDaS1A_S1B_EUlS1A_E_NS1_11comp_targetILNS1_3genE4ELNS1_11target_archE910ELNS1_3gpuE8ELNS1_3repE0EEENS1_30default_config_static_selectorELNS0_4arch9wavefront6targetE1EEEvT1_,"axG",@progbits,_ZN7rocprim17ROCPRIM_400000_NS6detail17trampoline_kernelINS0_14default_configENS1_25partition_config_selectorILNS1_17partition_subalgoE2EsNS0_10empty_typeEbEEZZNS1_14partition_implILS5_2ELb0ES3_jN6thrust23THRUST_200600_302600_NS6detail15normal_iteratorINSA_7pointerIsNSA_11hip_rocprim3tagENSA_11use_defaultESG_EEEEPS6_NSA_18transform_iteratorI7is_evenIsENSC_INSA_10device_ptrIsEEEESG_SG_EENS0_5tupleIJPsSJ_EEENSR_IJSJ_SJ_EEES6_PlJS6_EEE10hipError_tPvRmT3_T4_T5_T6_T7_T9_mT8_P12ihipStream_tbDpT10_ENKUlT_T0_E_clISt17integral_constantIbLb0EES1F_EEDaS1A_S1B_EUlS1A_E_NS1_11comp_targetILNS1_3genE4ELNS1_11target_archE910ELNS1_3gpuE8ELNS1_3repE0EEENS1_30default_config_static_selectorELNS0_4arch9wavefront6targetE1EEEvT1_,comdat
.Lfunc_end258:
	.size	_ZN7rocprim17ROCPRIM_400000_NS6detail17trampoline_kernelINS0_14default_configENS1_25partition_config_selectorILNS1_17partition_subalgoE2EsNS0_10empty_typeEbEEZZNS1_14partition_implILS5_2ELb0ES3_jN6thrust23THRUST_200600_302600_NS6detail15normal_iteratorINSA_7pointerIsNSA_11hip_rocprim3tagENSA_11use_defaultESG_EEEEPS6_NSA_18transform_iteratorI7is_evenIsENSC_INSA_10device_ptrIsEEEESG_SG_EENS0_5tupleIJPsSJ_EEENSR_IJSJ_SJ_EEES6_PlJS6_EEE10hipError_tPvRmT3_T4_T5_T6_T7_T9_mT8_P12ihipStream_tbDpT10_ENKUlT_T0_E_clISt17integral_constantIbLb0EES1F_EEDaS1A_S1B_EUlS1A_E_NS1_11comp_targetILNS1_3genE4ELNS1_11target_archE910ELNS1_3gpuE8ELNS1_3repE0EEENS1_30default_config_static_selectorELNS0_4arch9wavefront6targetE1EEEvT1_, .Lfunc_end258-_ZN7rocprim17ROCPRIM_400000_NS6detail17trampoline_kernelINS0_14default_configENS1_25partition_config_selectorILNS1_17partition_subalgoE2EsNS0_10empty_typeEbEEZZNS1_14partition_implILS5_2ELb0ES3_jN6thrust23THRUST_200600_302600_NS6detail15normal_iteratorINSA_7pointerIsNSA_11hip_rocprim3tagENSA_11use_defaultESG_EEEEPS6_NSA_18transform_iteratorI7is_evenIsENSC_INSA_10device_ptrIsEEEESG_SG_EENS0_5tupleIJPsSJ_EEENSR_IJSJ_SJ_EEES6_PlJS6_EEE10hipError_tPvRmT3_T4_T5_T6_T7_T9_mT8_P12ihipStream_tbDpT10_ENKUlT_T0_E_clISt17integral_constantIbLb0EES1F_EEDaS1A_S1B_EUlS1A_E_NS1_11comp_targetILNS1_3genE4ELNS1_11target_archE910ELNS1_3gpuE8ELNS1_3repE0EEENS1_30default_config_static_selectorELNS0_4arch9wavefront6targetE1EEEvT1_
                                        ; -- End function
	.section	.AMDGPU.csdata,"",@progbits
; Kernel info:
; codeLenInByte = 10752
; NumSgprs: 50
; NumVgprs: 65
; NumAgprs: 0
; TotalNumVgprs: 65
; ScratchSize: 0
; MemoryBound: 0
; FloatMode: 240
; IeeeMode: 1
; LDSByteSize: 10248 bytes/workgroup (compile time only)
; SGPRBlocks: 6
; VGPRBlocks: 8
; NumSGPRsForWavesPerEU: 50
; NumVGPRsForWavesPerEU: 65
; AccumOffset: 68
; Occupancy: 6
; WaveLimiterHint : 1
; COMPUTE_PGM_RSRC2:SCRATCH_EN: 0
; COMPUTE_PGM_RSRC2:USER_SGPR: 6
; COMPUTE_PGM_RSRC2:TRAP_HANDLER: 0
; COMPUTE_PGM_RSRC2:TGID_X_EN: 1
; COMPUTE_PGM_RSRC2:TGID_Y_EN: 0
; COMPUTE_PGM_RSRC2:TGID_Z_EN: 0
; COMPUTE_PGM_RSRC2:TIDIG_COMP_CNT: 0
; COMPUTE_PGM_RSRC3_GFX90A:ACCUM_OFFSET: 16
; COMPUTE_PGM_RSRC3_GFX90A:TG_SPLIT: 0
	.section	.text._ZN7rocprim17ROCPRIM_400000_NS6detail17trampoline_kernelINS0_14default_configENS1_25partition_config_selectorILNS1_17partition_subalgoE2EsNS0_10empty_typeEbEEZZNS1_14partition_implILS5_2ELb0ES3_jN6thrust23THRUST_200600_302600_NS6detail15normal_iteratorINSA_7pointerIsNSA_11hip_rocprim3tagENSA_11use_defaultESG_EEEEPS6_NSA_18transform_iteratorI7is_evenIsENSC_INSA_10device_ptrIsEEEESG_SG_EENS0_5tupleIJPsSJ_EEENSR_IJSJ_SJ_EEES6_PlJS6_EEE10hipError_tPvRmT3_T4_T5_T6_T7_T9_mT8_P12ihipStream_tbDpT10_ENKUlT_T0_E_clISt17integral_constantIbLb0EES1F_EEDaS1A_S1B_EUlS1A_E_NS1_11comp_targetILNS1_3genE3ELNS1_11target_archE908ELNS1_3gpuE7ELNS1_3repE0EEENS1_30default_config_static_selectorELNS0_4arch9wavefront6targetE1EEEvT1_,"axG",@progbits,_ZN7rocprim17ROCPRIM_400000_NS6detail17trampoline_kernelINS0_14default_configENS1_25partition_config_selectorILNS1_17partition_subalgoE2EsNS0_10empty_typeEbEEZZNS1_14partition_implILS5_2ELb0ES3_jN6thrust23THRUST_200600_302600_NS6detail15normal_iteratorINSA_7pointerIsNSA_11hip_rocprim3tagENSA_11use_defaultESG_EEEEPS6_NSA_18transform_iteratorI7is_evenIsENSC_INSA_10device_ptrIsEEEESG_SG_EENS0_5tupleIJPsSJ_EEENSR_IJSJ_SJ_EEES6_PlJS6_EEE10hipError_tPvRmT3_T4_T5_T6_T7_T9_mT8_P12ihipStream_tbDpT10_ENKUlT_T0_E_clISt17integral_constantIbLb0EES1F_EEDaS1A_S1B_EUlS1A_E_NS1_11comp_targetILNS1_3genE3ELNS1_11target_archE908ELNS1_3gpuE7ELNS1_3repE0EEENS1_30default_config_static_selectorELNS0_4arch9wavefront6targetE1EEEvT1_,comdat
	.protected	_ZN7rocprim17ROCPRIM_400000_NS6detail17trampoline_kernelINS0_14default_configENS1_25partition_config_selectorILNS1_17partition_subalgoE2EsNS0_10empty_typeEbEEZZNS1_14partition_implILS5_2ELb0ES3_jN6thrust23THRUST_200600_302600_NS6detail15normal_iteratorINSA_7pointerIsNSA_11hip_rocprim3tagENSA_11use_defaultESG_EEEEPS6_NSA_18transform_iteratorI7is_evenIsENSC_INSA_10device_ptrIsEEEESG_SG_EENS0_5tupleIJPsSJ_EEENSR_IJSJ_SJ_EEES6_PlJS6_EEE10hipError_tPvRmT3_T4_T5_T6_T7_T9_mT8_P12ihipStream_tbDpT10_ENKUlT_T0_E_clISt17integral_constantIbLb0EES1F_EEDaS1A_S1B_EUlS1A_E_NS1_11comp_targetILNS1_3genE3ELNS1_11target_archE908ELNS1_3gpuE7ELNS1_3repE0EEENS1_30default_config_static_selectorELNS0_4arch9wavefront6targetE1EEEvT1_ ; -- Begin function _ZN7rocprim17ROCPRIM_400000_NS6detail17trampoline_kernelINS0_14default_configENS1_25partition_config_selectorILNS1_17partition_subalgoE2EsNS0_10empty_typeEbEEZZNS1_14partition_implILS5_2ELb0ES3_jN6thrust23THRUST_200600_302600_NS6detail15normal_iteratorINSA_7pointerIsNSA_11hip_rocprim3tagENSA_11use_defaultESG_EEEEPS6_NSA_18transform_iteratorI7is_evenIsENSC_INSA_10device_ptrIsEEEESG_SG_EENS0_5tupleIJPsSJ_EEENSR_IJSJ_SJ_EEES6_PlJS6_EEE10hipError_tPvRmT3_T4_T5_T6_T7_T9_mT8_P12ihipStream_tbDpT10_ENKUlT_T0_E_clISt17integral_constantIbLb0EES1F_EEDaS1A_S1B_EUlS1A_E_NS1_11comp_targetILNS1_3genE3ELNS1_11target_archE908ELNS1_3gpuE7ELNS1_3repE0EEENS1_30default_config_static_selectorELNS0_4arch9wavefront6targetE1EEEvT1_
	.globl	_ZN7rocprim17ROCPRIM_400000_NS6detail17trampoline_kernelINS0_14default_configENS1_25partition_config_selectorILNS1_17partition_subalgoE2EsNS0_10empty_typeEbEEZZNS1_14partition_implILS5_2ELb0ES3_jN6thrust23THRUST_200600_302600_NS6detail15normal_iteratorINSA_7pointerIsNSA_11hip_rocprim3tagENSA_11use_defaultESG_EEEEPS6_NSA_18transform_iteratorI7is_evenIsENSC_INSA_10device_ptrIsEEEESG_SG_EENS0_5tupleIJPsSJ_EEENSR_IJSJ_SJ_EEES6_PlJS6_EEE10hipError_tPvRmT3_T4_T5_T6_T7_T9_mT8_P12ihipStream_tbDpT10_ENKUlT_T0_E_clISt17integral_constantIbLb0EES1F_EEDaS1A_S1B_EUlS1A_E_NS1_11comp_targetILNS1_3genE3ELNS1_11target_archE908ELNS1_3gpuE7ELNS1_3repE0EEENS1_30default_config_static_selectorELNS0_4arch9wavefront6targetE1EEEvT1_
	.p2align	8
	.type	_ZN7rocprim17ROCPRIM_400000_NS6detail17trampoline_kernelINS0_14default_configENS1_25partition_config_selectorILNS1_17partition_subalgoE2EsNS0_10empty_typeEbEEZZNS1_14partition_implILS5_2ELb0ES3_jN6thrust23THRUST_200600_302600_NS6detail15normal_iteratorINSA_7pointerIsNSA_11hip_rocprim3tagENSA_11use_defaultESG_EEEEPS6_NSA_18transform_iteratorI7is_evenIsENSC_INSA_10device_ptrIsEEEESG_SG_EENS0_5tupleIJPsSJ_EEENSR_IJSJ_SJ_EEES6_PlJS6_EEE10hipError_tPvRmT3_T4_T5_T6_T7_T9_mT8_P12ihipStream_tbDpT10_ENKUlT_T0_E_clISt17integral_constantIbLb0EES1F_EEDaS1A_S1B_EUlS1A_E_NS1_11comp_targetILNS1_3genE3ELNS1_11target_archE908ELNS1_3gpuE7ELNS1_3repE0EEENS1_30default_config_static_selectorELNS0_4arch9wavefront6targetE1EEEvT1_,@function
_ZN7rocprim17ROCPRIM_400000_NS6detail17trampoline_kernelINS0_14default_configENS1_25partition_config_selectorILNS1_17partition_subalgoE2EsNS0_10empty_typeEbEEZZNS1_14partition_implILS5_2ELb0ES3_jN6thrust23THRUST_200600_302600_NS6detail15normal_iteratorINSA_7pointerIsNSA_11hip_rocprim3tagENSA_11use_defaultESG_EEEEPS6_NSA_18transform_iteratorI7is_evenIsENSC_INSA_10device_ptrIsEEEESG_SG_EENS0_5tupleIJPsSJ_EEENSR_IJSJ_SJ_EEES6_PlJS6_EEE10hipError_tPvRmT3_T4_T5_T6_T7_T9_mT8_P12ihipStream_tbDpT10_ENKUlT_T0_E_clISt17integral_constantIbLb0EES1F_EEDaS1A_S1B_EUlS1A_E_NS1_11comp_targetILNS1_3genE3ELNS1_11target_archE908ELNS1_3gpuE7ELNS1_3repE0EEENS1_30default_config_static_selectorELNS0_4arch9wavefront6targetE1EEEvT1_: ; @_ZN7rocprim17ROCPRIM_400000_NS6detail17trampoline_kernelINS0_14default_configENS1_25partition_config_selectorILNS1_17partition_subalgoE2EsNS0_10empty_typeEbEEZZNS1_14partition_implILS5_2ELb0ES3_jN6thrust23THRUST_200600_302600_NS6detail15normal_iteratorINSA_7pointerIsNSA_11hip_rocprim3tagENSA_11use_defaultESG_EEEEPS6_NSA_18transform_iteratorI7is_evenIsENSC_INSA_10device_ptrIsEEEESG_SG_EENS0_5tupleIJPsSJ_EEENSR_IJSJ_SJ_EEES6_PlJS6_EEE10hipError_tPvRmT3_T4_T5_T6_T7_T9_mT8_P12ihipStream_tbDpT10_ENKUlT_T0_E_clISt17integral_constantIbLb0EES1F_EEDaS1A_S1B_EUlS1A_E_NS1_11comp_targetILNS1_3genE3ELNS1_11target_archE908ELNS1_3gpuE7ELNS1_3repE0EEENS1_30default_config_static_selectorELNS0_4arch9wavefront6targetE1EEEvT1_
; %bb.0:
	.section	.rodata,"a",@progbits
	.p2align	6, 0x0
	.amdhsa_kernel _ZN7rocprim17ROCPRIM_400000_NS6detail17trampoline_kernelINS0_14default_configENS1_25partition_config_selectorILNS1_17partition_subalgoE2EsNS0_10empty_typeEbEEZZNS1_14partition_implILS5_2ELb0ES3_jN6thrust23THRUST_200600_302600_NS6detail15normal_iteratorINSA_7pointerIsNSA_11hip_rocprim3tagENSA_11use_defaultESG_EEEEPS6_NSA_18transform_iteratorI7is_evenIsENSC_INSA_10device_ptrIsEEEESG_SG_EENS0_5tupleIJPsSJ_EEENSR_IJSJ_SJ_EEES6_PlJS6_EEE10hipError_tPvRmT3_T4_T5_T6_T7_T9_mT8_P12ihipStream_tbDpT10_ENKUlT_T0_E_clISt17integral_constantIbLb0EES1F_EEDaS1A_S1B_EUlS1A_E_NS1_11comp_targetILNS1_3genE3ELNS1_11target_archE908ELNS1_3gpuE7ELNS1_3repE0EEENS1_30default_config_static_selectorELNS0_4arch9wavefront6targetE1EEEvT1_
		.amdhsa_group_segment_fixed_size 0
		.amdhsa_private_segment_fixed_size 0
		.amdhsa_kernarg_size 128
		.amdhsa_user_sgpr_count 6
		.amdhsa_user_sgpr_private_segment_buffer 1
		.amdhsa_user_sgpr_dispatch_ptr 0
		.amdhsa_user_sgpr_queue_ptr 0
		.amdhsa_user_sgpr_kernarg_segment_ptr 1
		.amdhsa_user_sgpr_dispatch_id 0
		.amdhsa_user_sgpr_flat_scratch_init 0
		.amdhsa_user_sgpr_kernarg_preload_length 0
		.amdhsa_user_sgpr_kernarg_preload_offset 0
		.amdhsa_user_sgpr_private_segment_size 0
		.amdhsa_uses_dynamic_stack 0
		.amdhsa_system_sgpr_private_segment_wavefront_offset 0
		.amdhsa_system_sgpr_workgroup_id_x 1
		.amdhsa_system_sgpr_workgroup_id_y 0
		.amdhsa_system_sgpr_workgroup_id_z 0
		.amdhsa_system_sgpr_workgroup_info 0
		.amdhsa_system_vgpr_workitem_id 0
		.amdhsa_next_free_vgpr 1
		.amdhsa_next_free_sgpr 0
		.amdhsa_accum_offset 4
		.amdhsa_reserve_vcc 0
		.amdhsa_reserve_flat_scratch 0
		.amdhsa_float_round_mode_32 0
		.amdhsa_float_round_mode_16_64 0
		.amdhsa_float_denorm_mode_32 3
		.amdhsa_float_denorm_mode_16_64 3
		.amdhsa_dx10_clamp 1
		.amdhsa_ieee_mode 1
		.amdhsa_fp16_overflow 0
		.amdhsa_tg_split 0
		.amdhsa_exception_fp_ieee_invalid_op 0
		.amdhsa_exception_fp_denorm_src 0
		.amdhsa_exception_fp_ieee_div_zero 0
		.amdhsa_exception_fp_ieee_overflow 0
		.amdhsa_exception_fp_ieee_underflow 0
		.amdhsa_exception_fp_ieee_inexact 0
		.amdhsa_exception_int_div_zero 0
	.end_amdhsa_kernel
	.section	.text._ZN7rocprim17ROCPRIM_400000_NS6detail17trampoline_kernelINS0_14default_configENS1_25partition_config_selectorILNS1_17partition_subalgoE2EsNS0_10empty_typeEbEEZZNS1_14partition_implILS5_2ELb0ES3_jN6thrust23THRUST_200600_302600_NS6detail15normal_iteratorINSA_7pointerIsNSA_11hip_rocprim3tagENSA_11use_defaultESG_EEEEPS6_NSA_18transform_iteratorI7is_evenIsENSC_INSA_10device_ptrIsEEEESG_SG_EENS0_5tupleIJPsSJ_EEENSR_IJSJ_SJ_EEES6_PlJS6_EEE10hipError_tPvRmT3_T4_T5_T6_T7_T9_mT8_P12ihipStream_tbDpT10_ENKUlT_T0_E_clISt17integral_constantIbLb0EES1F_EEDaS1A_S1B_EUlS1A_E_NS1_11comp_targetILNS1_3genE3ELNS1_11target_archE908ELNS1_3gpuE7ELNS1_3repE0EEENS1_30default_config_static_selectorELNS0_4arch9wavefront6targetE1EEEvT1_,"axG",@progbits,_ZN7rocprim17ROCPRIM_400000_NS6detail17trampoline_kernelINS0_14default_configENS1_25partition_config_selectorILNS1_17partition_subalgoE2EsNS0_10empty_typeEbEEZZNS1_14partition_implILS5_2ELb0ES3_jN6thrust23THRUST_200600_302600_NS6detail15normal_iteratorINSA_7pointerIsNSA_11hip_rocprim3tagENSA_11use_defaultESG_EEEEPS6_NSA_18transform_iteratorI7is_evenIsENSC_INSA_10device_ptrIsEEEESG_SG_EENS0_5tupleIJPsSJ_EEENSR_IJSJ_SJ_EEES6_PlJS6_EEE10hipError_tPvRmT3_T4_T5_T6_T7_T9_mT8_P12ihipStream_tbDpT10_ENKUlT_T0_E_clISt17integral_constantIbLb0EES1F_EEDaS1A_S1B_EUlS1A_E_NS1_11comp_targetILNS1_3genE3ELNS1_11target_archE908ELNS1_3gpuE7ELNS1_3repE0EEENS1_30default_config_static_selectorELNS0_4arch9wavefront6targetE1EEEvT1_,comdat
.Lfunc_end259:
	.size	_ZN7rocprim17ROCPRIM_400000_NS6detail17trampoline_kernelINS0_14default_configENS1_25partition_config_selectorILNS1_17partition_subalgoE2EsNS0_10empty_typeEbEEZZNS1_14partition_implILS5_2ELb0ES3_jN6thrust23THRUST_200600_302600_NS6detail15normal_iteratorINSA_7pointerIsNSA_11hip_rocprim3tagENSA_11use_defaultESG_EEEEPS6_NSA_18transform_iteratorI7is_evenIsENSC_INSA_10device_ptrIsEEEESG_SG_EENS0_5tupleIJPsSJ_EEENSR_IJSJ_SJ_EEES6_PlJS6_EEE10hipError_tPvRmT3_T4_T5_T6_T7_T9_mT8_P12ihipStream_tbDpT10_ENKUlT_T0_E_clISt17integral_constantIbLb0EES1F_EEDaS1A_S1B_EUlS1A_E_NS1_11comp_targetILNS1_3genE3ELNS1_11target_archE908ELNS1_3gpuE7ELNS1_3repE0EEENS1_30default_config_static_selectorELNS0_4arch9wavefront6targetE1EEEvT1_, .Lfunc_end259-_ZN7rocprim17ROCPRIM_400000_NS6detail17trampoline_kernelINS0_14default_configENS1_25partition_config_selectorILNS1_17partition_subalgoE2EsNS0_10empty_typeEbEEZZNS1_14partition_implILS5_2ELb0ES3_jN6thrust23THRUST_200600_302600_NS6detail15normal_iteratorINSA_7pointerIsNSA_11hip_rocprim3tagENSA_11use_defaultESG_EEEEPS6_NSA_18transform_iteratorI7is_evenIsENSC_INSA_10device_ptrIsEEEESG_SG_EENS0_5tupleIJPsSJ_EEENSR_IJSJ_SJ_EEES6_PlJS6_EEE10hipError_tPvRmT3_T4_T5_T6_T7_T9_mT8_P12ihipStream_tbDpT10_ENKUlT_T0_E_clISt17integral_constantIbLb0EES1F_EEDaS1A_S1B_EUlS1A_E_NS1_11comp_targetILNS1_3genE3ELNS1_11target_archE908ELNS1_3gpuE7ELNS1_3repE0EEENS1_30default_config_static_selectorELNS0_4arch9wavefront6targetE1EEEvT1_
                                        ; -- End function
	.section	.AMDGPU.csdata,"",@progbits
; Kernel info:
; codeLenInByte = 0
; NumSgprs: 4
; NumVgprs: 0
; NumAgprs: 0
; TotalNumVgprs: 0
; ScratchSize: 0
; MemoryBound: 0
; FloatMode: 240
; IeeeMode: 1
; LDSByteSize: 0 bytes/workgroup (compile time only)
; SGPRBlocks: 0
; VGPRBlocks: 0
; NumSGPRsForWavesPerEU: 4
; NumVGPRsForWavesPerEU: 1
; AccumOffset: 4
; Occupancy: 8
; WaveLimiterHint : 0
; COMPUTE_PGM_RSRC2:SCRATCH_EN: 0
; COMPUTE_PGM_RSRC2:USER_SGPR: 6
; COMPUTE_PGM_RSRC2:TRAP_HANDLER: 0
; COMPUTE_PGM_RSRC2:TGID_X_EN: 1
; COMPUTE_PGM_RSRC2:TGID_Y_EN: 0
; COMPUTE_PGM_RSRC2:TGID_Z_EN: 0
; COMPUTE_PGM_RSRC2:TIDIG_COMP_CNT: 0
; COMPUTE_PGM_RSRC3_GFX90A:ACCUM_OFFSET: 0
; COMPUTE_PGM_RSRC3_GFX90A:TG_SPLIT: 0
	.section	.text._ZN7rocprim17ROCPRIM_400000_NS6detail17trampoline_kernelINS0_14default_configENS1_25partition_config_selectorILNS1_17partition_subalgoE2EsNS0_10empty_typeEbEEZZNS1_14partition_implILS5_2ELb0ES3_jN6thrust23THRUST_200600_302600_NS6detail15normal_iteratorINSA_7pointerIsNSA_11hip_rocprim3tagENSA_11use_defaultESG_EEEEPS6_NSA_18transform_iteratorI7is_evenIsENSC_INSA_10device_ptrIsEEEESG_SG_EENS0_5tupleIJPsSJ_EEENSR_IJSJ_SJ_EEES6_PlJS6_EEE10hipError_tPvRmT3_T4_T5_T6_T7_T9_mT8_P12ihipStream_tbDpT10_ENKUlT_T0_E_clISt17integral_constantIbLb0EES1F_EEDaS1A_S1B_EUlS1A_E_NS1_11comp_targetILNS1_3genE2ELNS1_11target_archE906ELNS1_3gpuE6ELNS1_3repE0EEENS1_30default_config_static_selectorELNS0_4arch9wavefront6targetE1EEEvT1_,"axG",@progbits,_ZN7rocprim17ROCPRIM_400000_NS6detail17trampoline_kernelINS0_14default_configENS1_25partition_config_selectorILNS1_17partition_subalgoE2EsNS0_10empty_typeEbEEZZNS1_14partition_implILS5_2ELb0ES3_jN6thrust23THRUST_200600_302600_NS6detail15normal_iteratorINSA_7pointerIsNSA_11hip_rocprim3tagENSA_11use_defaultESG_EEEEPS6_NSA_18transform_iteratorI7is_evenIsENSC_INSA_10device_ptrIsEEEESG_SG_EENS0_5tupleIJPsSJ_EEENSR_IJSJ_SJ_EEES6_PlJS6_EEE10hipError_tPvRmT3_T4_T5_T6_T7_T9_mT8_P12ihipStream_tbDpT10_ENKUlT_T0_E_clISt17integral_constantIbLb0EES1F_EEDaS1A_S1B_EUlS1A_E_NS1_11comp_targetILNS1_3genE2ELNS1_11target_archE906ELNS1_3gpuE6ELNS1_3repE0EEENS1_30default_config_static_selectorELNS0_4arch9wavefront6targetE1EEEvT1_,comdat
	.protected	_ZN7rocprim17ROCPRIM_400000_NS6detail17trampoline_kernelINS0_14default_configENS1_25partition_config_selectorILNS1_17partition_subalgoE2EsNS0_10empty_typeEbEEZZNS1_14partition_implILS5_2ELb0ES3_jN6thrust23THRUST_200600_302600_NS6detail15normal_iteratorINSA_7pointerIsNSA_11hip_rocprim3tagENSA_11use_defaultESG_EEEEPS6_NSA_18transform_iteratorI7is_evenIsENSC_INSA_10device_ptrIsEEEESG_SG_EENS0_5tupleIJPsSJ_EEENSR_IJSJ_SJ_EEES6_PlJS6_EEE10hipError_tPvRmT3_T4_T5_T6_T7_T9_mT8_P12ihipStream_tbDpT10_ENKUlT_T0_E_clISt17integral_constantIbLb0EES1F_EEDaS1A_S1B_EUlS1A_E_NS1_11comp_targetILNS1_3genE2ELNS1_11target_archE906ELNS1_3gpuE6ELNS1_3repE0EEENS1_30default_config_static_selectorELNS0_4arch9wavefront6targetE1EEEvT1_ ; -- Begin function _ZN7rocprim17ROCPRIM_400000_NS6detail17trampoline_kernelINS0_14default_configENS1_25partition_config_selectorILNS1_17partition_subalgoE2EsNS0_10empty_typeEbEEZZNS1_14partition_implILS5_2ELb0ES3_jN6thrust23THRUST_200600_302600_NS6detail15normal_iteratorINSA_7pointerIsNSA_11hip_rocprim3tagENSA_11use_defaultESG_EEEEPS6_NSA_18transform_iteratorI7is_evenIsENSC_INSA_10device_ptrIsEEEESG_SG_EENS0_5tupleIJPsSJ_EEENSR_IJSJ_SJ_EEES6_PlJS6_EEE10hipError_tPvRmT3_T4_T5_T6_T7_T9_mT8_P12ihipStream_tbDpT10_ENKUlT_T0_E_clISt17integral_constantIbLb0EES1F_EEDaS1A_S1B_EUlS1A_E_NS1_11comp_targetILNS1_3genE2ELNS1_11target_archE906ELNS1_3gpuE6ELNS1_3repE0EEENS1_30default_config_static_selectorELNS0_4arch9wavefront6targetE1EEEvT1_
	.globl	_ZN7rocprim17ROCPRIM_400000_NS6detail17trampoline_kernelINS0_14default_configENS1_25partition_config_selectorILNS1_17partition_subalgoE2EsNS0_10empty_typeEbEEZZNS1_14partition_implILS5_2ELb0ES3_jN6thrust23THRUST_200600_302600_NS6detail15normal_iteratorINSA_7pointerIsNSA_11hip_rocprim3tagENSA_11use_defaultESG_EEEEPS6_NSA_18transform_iteratorI7is_evenIsENSC_INSA_10device_ptrIsEEEESG_SG_EENS0_5tupleIJPsSJ_EEENSR_IJSJ_SJ_EEES6_PlJS6_EEE10hipError_tPvRmT3_T4_T5_T6_T7_T9_mT8_P12ihipStream_tbDpT10_ENKUlT_T0_E_clISt17integral_constantIbLb0EES1F_EEDaS1A_S1B_EUlS1A_E_NS1_11comp_targetILNS1_3genE2ELNS1_11target_archE906ELNS1_3gpuE6ELNS1_3repE0EEENS1_30default_config_static_selectorELNS0_4arch9wavefront6targetE1EEEvT1_
	.p2align	8
	.type	_ZN7rocprim17ROCPRIM_400000_NS6detail17trampoline_kernelINS0_14default_configENS1_25partition_config_selectorILNS1_17partition_subalgoE2EsNS0_10empty_typeEbEEZZNS1_14partition_implILS5_2ELb0ES3_jN6thrust23THRUST_200600_302600_NS6detail15normal_iteratorINSA_7pointerIsNSA_11hip_rocprim3tagENSA_11use_defaultESG_EEEEPS6_NSA_18transform_iteratorI7is_evenIsENSC_INSA_10device_ptrIsEEEESG_SG_EENS0_5tupleIJPsSJ_EEENSR_IJSJ_SJ_EEES6_PlJS6_EEE10hipError_tPvRmT3_T4_T5_T6_T7_T9_mT8_P12ihipStream_tbDpT10_ENKUlT_T0_E_clISt17integral_constantIbLb0EES1F_EEDaS1A_S1B_EUlS1A_E_NS1_11comp_targetILNS1_3genE2ELNS1_11target_archE906ELNS1_3gpuE6ELNS1_3repE0EEENS1_30default_config_static_selectorELNS0_4arch9wavefront6targetE1EEEvT1_,@function
_ZN7rocprim17ROCPRIM_400000_NS6detail17trampoline_kernelINS0_14default_configENS1_25partition_config_selectorILNS1_17partition_subalgoE2EsNS0_10empty_typeEbEEZZNS1_14partition_implILS5_2ELb0ES3_jN6thrust23THRUST_200600_302600_NS6detail15normal_iteratorINSA_7pointerIsNSA_11hip_rocprim3tagENSA_11use_defaultESG_EEEEPS6_NSA_18transform_iteratorI7is_evenIsENSC_INSA_10device_ptrIsEEEESG_SG_EENS0_5tupleIJPsSJ_EEENSR_IJSJ_SJ_EEES6_PlJS6_EEE10hipError_tPvRmT3_T4_T5_T6_T7_T9_mT8_P12ihipStream_tbDpT10_ENKUlT_T0_E_clISt17integral_constantIbLb0EES1F_EEDaS1A_S1B_EUlS1A_E_NS1_11comp_targetILNS1_3genE2ELNS1_11target_archE906ELNS1_3gpuE6ELNS1_3repE0EEENS1_30default_config_static_selectorELNS0_4arch9wavefront6targetE1EEEvT1_: ; @_ZN7rocprim17ROCPRIM_400000_NS6detail17trampoline_kernelINS0_14default_configENS1_25partition_config_selectorILNS1_17partition_subalgoE2EsNS0_10empty_typeEbEEZZNS1_14partition_implILS5_2ELb0ES3_jN6thrust23THRUST_200600_302600_NS6detail15normal_iteratorINSA_7pointerIsNSA_11hip_rocprim3tagENSA_11use_defaultESG_EEEEPS6_NSA_18transform_iteratorI7is_evenIsENSC_INSA_10device_ptrIsEEEESG_SG_EENS0_5tupleIJPsSJ_EEENSR_IJSJ_SJ_EEES6_PlJS6_EEE10hipError_tPvRmT3_T4_T5_T6_T7_T9_mT8_P12ihipStream_tbDpT10_ENKUlT_T0_E_clISt17integral_constantIbLb0EES1F_EEDaS1A_S1B_EUlS1A_E_NS1_11comp_targetILNS1_3genE2ELNS1_11target_archE906ELNS1_3gpuE6ELNS1_3repE0EEENS1_30default_config_static_selectorELNS0_4arch9wavefront6targetE1EEEvT1_
; %bb.0:
	.section	.rodata,"a",@progbits
	.p2align	6, 0x0
	.amdhsa_kernel _ZN7rocprim17ROCPRIM_400000_NS6detail17trampoline_kernelINS0_14default_configENS1_25partition_config_selectorILNS1_17partition_subalgoE2EsNS0_10empty_typeEbEEZZNS1_14partition_implILS5_2ELb0ES3_jN6thrust23THRUST_200600_302600_NS6detail15normal_iteratorINSA_7pointerIsNSA_11hip_rocprim3tagENSA_11use_defaultESG_EEEEPS6_NSA_18transform_iteratorI7is_evenIsENSC_INSA_10device_ptrIsEEEESG_SG_EENS0_5tupleIJPsSJ_EEENSR_IJSJ_SJ_EEES6_PlJS6_EEE10hipError_tPvRmT3_T4_T5_T6_T7_T9_mT8_P12ihipStream_tbDpT10_ENKUlT_T0_E_clISt17integral_constantIbLb0EES1F_EEDaS1A_S1B_EUlS1A_E_NS1_11comp_targetILNS1_3genE2ELNS1_11target_archE906ELNS1_3gpuE6ELNS1_3repE0EEENS1_30default_config_static_selectorELNS0_4arch9wavefront6targetE1EEEvT1_
		.amdhsa_group_segment_fixed_size 0
		.amdhsa_private_segment_fixed_size 0
		.amdhsa_kernarg_size 128
		.amdhsa_user_sgpr_count 6
		.amdhsa_user_sgpr_private_segment_buffer 1
		.amdhsa_user_sgpr_dispatch_ptr 0
		.amdhsa_user_sgpr_queue_ptr 0
		.amdhsa_user_sgpr_kernarg_segment_ptr 1
		.amdhsa_user_sgpr_dispatch_id 0
		.amdhsa_user_sgpr_flat_scratch_init 0
		.amdhsa_user_sgpr_kernarg_preload_length 0
		.amdhsa_user_sgpr_kernarg_preload_offset 0
		.amdhsa_user_sgpr_private_segment_size 0
		.amdhsa_uses_dynamic_stack 0
		.amdhsa_system_sgpr_private_segment_wavefront_offset 0
		.amdhsa_system_sgpr_workgroup_id_x 1
		.amdhsa_system_sgpr_workgroup_id_y 0
		.amdhsa_system_sgpr_workgroup_id_z 0
		.amdhsa_system_sgpr_workgroup_info 0
		.amdhsa_system_vgpr_workitem_id 0
		.amdhsa_next_free_vgpr 1
		.amdhsa_next_free_sgpr 0
		.amdhsa_accum_offset 4
		.amdhsa_reserve_vcc 0
		.amdhsa_reserve_flat_scratch 0
		.amdhsa_float_round_mode_32 0
		.amdhsa_float_round_mode_16_64 0
		.amdhsa_float_denorm_mode_32 3
		.amdhsa_float_denorm_mode_16_64 3
		.amdhsa_dx10_clamp 1
		.amdhsa_ieee_mode 1
		.amdhsa_fp16_overflow 0
		.amdhsa_tg_split 0
		.amdhsa_exception_fp_ieee_invalid_op 0
		.amdhsa_exception_fp_denorm_src 0
		.amdhsa_exception_fp_ieee_div_zero 0
		.amdhsa_exception_fp_ieee_overflow 0
		.amdhsa_exception_fp_ieee_underflow 0
		.amdhsa_exception_fp_ieee_inexact 0
		.amdhsa_exception_int_div_zero 0
	.end_amdhsa_kernel
	.section	.text._ZN7rocprim17ROCPRIM_400000_NS6detail17trampoline_kernelINS0_14default_configENS1_25partition_config_selectorILNS1_17partition_subalgoE2EsNS0_10empty_typeEbEEZZNS1_14partition_implILS5_2ELb0ES3_jN6thrust23THRUST_200600_302600_NS6detail15normal_iteratorINSA_7pointerIsNSA_11hip_rocprim3tagENSA_11use_defaultESG_EEEEPS6_NSA_18transform_iteratorI7is_evenIsENSC_INSA_10device_ptrIsEEEESG_SG_EENS0_5tupleIJPsSJ_EEENSR_IJSJ_SJ_EEES6_PlJS6_EEE10hipError_tPvRmT3_T4_T5_T6_T7_T9_mT8_P12ihipStream_tbDpT10_ENKUlT_T0_E_clISt17integral_constantIbLb0EES1F_EEDaS1A_S1B_EUlS1A_E_NS1_11comp_targetILNS1_3genE2ELNS1_11target_archE906ELNS1_3gpuE6ELNS1_3repE0EEENS1_30default_config_static_selectorELNS0_4arch9wavefront6targetE1EEEvT1_,"axG",@progbits,_ZN7rocprim17ROCPRIM_400000_NS6detail17trampoline_kernelINS0_14default_configENS1_25partition_config_selectorILNS1_17partition_subalgoE2EsNS0_10empty_typeEbEEZZNS1_14partition_implILS5_2ELb0ES3_jN6thrust23THRUST_200600_302600_NS6detail15normal_iteratorINSA_7pointerIsNSA_11hip_rocprim3tagENSA_11use_defaultESG_EEEEPS6_NSA_18transform_iteratorI7is_evenIsENSC_INSA_10device_ptrIsEEEESG_SG_EENS0_5tupleIJPsSJ_EEENSR_IJSJ_SJ_EEES6_PlJS6_EEE10hipError_tPvRmT3_T4_T5_T6_T7_T9_mT8_P12ihipStream_tbDpT10_ENKUlT_T0_E_clISt17integral_constantIbLb0EES1F_EEDaS1A_S1B_EUlS1A_E_NS1_11comp_targetILNS1_3genE2ELNS1_11target_archE906ELNS1_3gpuE6ELNS1_3repE0EEENS1_30default_config_static_selectorELNS0_4arch9wavefront6targetE1EEEvT1_,comdat
.Lfunc_end260:
	.size	_ZN7rocprim17ROCPRIM_400000_NS6detail17trampoline_kernelINS0_14default_configENS1_25partition_config_selectorILNS1_17partition_subalgoE2EsNS0_10empty_typeEbEEZZNS1_14partition_implILS5_2ELb0ES3_jN6thrust23THRUST_200600_302600_NS6detail15normal_iteratorINSA_7pointerIsNSA_11hip_rocprim3tagENSA_11use_defaultESG_EEEEPS6_NSA_18transform_iteratorI7is_evenIsENSC_INSA_10device_ptrIsEEEESG_SG_EENS0_5tupleIJPsSJ_EEENSR_IJSJ_SJ_EEES6_PlJS6_EEE10hipError_tPvRmT3_T4_T5_T6_T7_T9_mT8_P12ihipStream_tbDpT10_ENKUlT_T0_E_clISt17integral_constantIbLb0EES1F_EEDaS1A_S1B_EUlS1A_E_NS1_11comp_targetILNS1_3genE2ELNS1_11target_archE906ELNS1_3gpuE6ELNS1_3repE0EEENS1_30default_config_static_selectorELNS0_4arch9wavefront6targetE1EEEvT1_, .Lfunc_end260-_ZN7rocprim17ROCPRIM_400000_NS6detail17trampoline_kernelINS0_14default_configENS1_25partition_config_selectorILNS1_17partition_subalgoE2EsNS0_10empty_typeEbEEZZNS1_14partition_implILS5_2ELb0ES3_jN6thrust23THRUST_200600_302600_NS6detail15normal_iteratorINSA_7pointerIsNSA_11hip_rocprim3tagENSA_11use_defaultESG_EEEEPS6_NSA_18transform_iteratorI7is_evenIsENSC_INSA_10device_ptrIsEEEESG_SG_EENS0_5tupleIJPsSJ_EEENSR_IJSJ_SJ_EEES6_PlJS6_EEE10hipError_tPvRmT3_T4_T5_T6_T7_T9_mT8_P12ihipStream_tbDpT10_ENKUlT_T0_E_clISt17integral_constantIbLb0EES1F_EEDaS1A_S1B_EUlS1A_E_NS1_11comp_targetILNS1_3genE2ELNS1_11target_archE906ELNS1_3gpuE6ELNS1_3repE0EEENS1_30default_config_static_selectorELNS0_4arch9wavefront6targetE1EEEvT1_
                                        ; -- End function
	.section	.AMDGPU.csdata,"",@progbits
; Kernel info:
; codeLenInByte = 0
; NumSgprs: 4
; NumVgprs: 0
; NumAgprs: 0
; TotalNumVgprs: 0
; ScratchSize: 0
; MemoryBound: 0
; FloatMode: 240
; IeeeMode: 1
; LDSByteSize: 0 bytes/workgroup (compile time only)
; SGPRBlocks: 0
; VGPRBlocks: 0
; NumSGPRsForWavesPerEU: 4
; NumVGPRsForWavesPerEU: 1
; AccumOffset: 4
; Occupancy: 8
; WaveLimiterHint : 0
; COMPUTE_PGM_RSRC2:SCRATCH_EN: 0
; COMPUTE_PGM_RSRC2:USER_SGPR: 6
; COMPUTE_PGM_RSRC2:TRAP_HANDLER: 0
; COMPUTE_PGM_RSRC2:TGID_X_EN: 1
; COMPUTE_PGM_RSRC2:TGID_Y_EN: 0
; COMPUTE_PGM_RSRC2:TGID_Z_EN: 0
; COMPUTE_PGM_RSRC2:TIDIG_COMP_CNT: 0
; COMPUTE_PGM_RSRC3_GFX90A:ACCUM_OFFSET: 0
; COMPUTE_PGM_RSRC3_GFX90A:TG_SPLIT: 0
	.section	.text._ZN7rocprim17ROCPRIM_400000_NS6detail17trampoline_kernelINS0_14default_configENS1_25partition_config_selectorILNS1_17partition_subalgoE2EsNS0_10empty_typeEbEEZZNS1_14partition_implILS5_2ELb0ES3_jN6thrust23THRUST_200600_302600_NS6detail15normal_iteratorINSA_7pointerIsNSA_11hip_rocprim3tagENSA_11use_defaultESG_EEEEPS6_NSA_18transform_iteratorI7is_evenIsENSC_INSA_10device_ptrIsEEEESG_SG_EENS0_5tupleIJPsSJ_EEENSR_IJSJ_SJ_EEES6_PlJS6_EEE10hipError_tPvRmT3_T4_T5_T6_T7_T9_mT8_P12ihipStream_tbDpT10_ENKUlT_T0_E_clISt17integral_constantIbLb0EES1F_EEDaS1A_S1B_EUlS1A_E_NS1_11comp_targetILNS1_3genE10ELNS1_11target_archE1200ELNS1_3gpuE4ELNS1_3repE0EEENS1_30default_config_static_selectorELNS0_4arch9wavefront6targetE1EEEvT1_,"axG",@progbits,_ZN7rocprim17ROCPRIM_400000_NS6detail17trampoline_kernelINS0_14default_configENS1_25partition_config_selectorILNS1_17partition_subalgoE2EsNS0_10empty_typeEbEEZZNS1_14partition_implILS5_2ELb0ES3_jN6thrust23THRUST_200600_302600_NS6detail15normal_iteratorINSA_7pointerIsNSA_11hip_rocprim3tagENSA_11use_defaultESG_EEEEPS6_NSA_18transform_iteratorI7is_evenIsENSC_INSA_10device_ptrIsEEEESG_SG_EENS0_5tupleIJPsSJ_EEENSR_IJSJ_SJ_EEES6_PlJS6_EEE10hipError_tPvRmT3_T4_T5_T6_T7_T9_mT8_P12ihipStream_tbDpT10_ENKUlT_T0_E_clISt17integral_constantIbLb0EES1F_EEDaS1A_S1B_EUlS1A_E_NS1_11comp_targetILNS1_3genE10ELNS1_11target_archE1200ELNS1_3gpuE4ELNS1_3repE0EEENS1_30default_config_static_selectorELNS0_4arch9wavefront6targetE1EEEvT1_,comdat
	.protected	_ZN7rocprim17ROCPRIM_400000_NS6detail17trampoline_kernelINS0_14default_configENS1_25partition_config_selectorILNS1_17partition_subalgoE2EsNS0_10empty_typeEbEEZZNS1_14partition_implILS5_2ELb0ES3_jN6thrust23THRUST_200600_302600_NS6detail15normal_iteratorINSA_7pointerIsNSA_11hip_rocprim3tagENSA_11use_defaultESG_EEEEPS6_NSA_18transform_iteratorI7is_evenIsENSC_INSA_10device_ptrIsEEEESG_SG_EENS0_5tupleIJPsSJ_EEENSR_IJSJ_SJ_EEES6_PlJS6_EEE10hipError_tPvRmT3_T4_T5_T6_T7_T9_mT8_P12ihipStream_tbDpT10_ENKUlT_T0_E_clISt17integral_constantIbLb0EES1F_EEDaS1A_S1B_EUlS1A_E_NS1_11comp_targetILNS1_3genE10ELNS1_11target_archE1200ELNS1_3gpuE4ELNS1_3repE0EEENS1_30default_config_static_selectorELNS0_4arch9wavefront6targetE1EEEvT1_ ; -- Begin function _ZN7rocprim17ROCPRIM_400000_NS6detail17trampoline_kernelINS0_14default_configENS1_25partition_config_selectorILNS1_17partition_subalgoE2EsNS0_10empty_typeEbEEZZNS1_14partition_implILS5_2ELb0ES3_jN6thrust23THRUST_200600_302600_NS6detail15normal_iteratorINSA_7pointerIsNSA_11hip_rocprim3tagENSA_11use_defaultESG_EEEEPS6_NSA_18transform_iteratorI7is_evenIsENSC_INSA_10device_ptrIsEEEESG_SG_EENS0_5tupleIJPsSJ_EEENSR_IJSJ_SJ_EEES6_PlJS6_EEE10hipError_tPvRmT3_T4_T5_T6_T7_T9_mT8_P12ihipStream_tbDpT10_ENKUlT_T0_E_clISt17integral_constantIbLb0EES1F_EEDaS1A_S1B_EUlS1A_E_NS1_11comp_targetILNS1_3genE10ELNS1_11target_archE1200ELNS1_3gpuE4ELNS1_3repE0EEENS1_30default_config_static_selectorELNS0_4arch9wavefront6targetE1EEEvT1_
	.globl	_ZN7rocprim17ROCPRIM_400000_NS6detail17trampoline_kernelINS0_14default_configENS1_25partition_config_selectorILNS1_17partition_subalgoE2EsNS0_10empty_typeEbEEZZNS1_14partition_implILS5_2ELb0ES3_jN6thrust23THRUST_200600_302600_NS6detail15normal_iteratorINSA_7pointerIsNSA_11hip_rocprim3tagENSA_11use_defaultESG_EEEEPS6_NSA_18transform_iteratorI7is_evenIsENSC_INSA_10device_ptrIsEEEESG_SG_EENS0_5tupleIJPsSJ_EEENSR_IJSJ_SJ_EEES6_PlJS6_EEE10hipError_tPvRmT3_T4_T5_T6_T7_T9_mT8_P12ihipStream_tbDpT10_ENKUlT_T0_E_clISt17integral_constantIbLb0EES1F_EEDaS1A_S1B_EUlS1A_E_NS1_11comp_targetILNS1_3genE10ELNS1_11target_archE1200ELNS1_3gpuE4ELNS1_3repE0EEENS1_30default_config_static_selectorELNS0_4arch9wavefront6targetE1EEEvT1_
	.p2align	8
	.type	_ZN7rocprim17ROCPRIM_400000_NS6detail17trampoline_kernelINS0_14default_configENS1_25partition_config_selectorILNS1_17partition_subalgoE2EsNS0_10empty_typeEbEEZZNS1_14partition_implILS5_2ELb0ES3_jN6thrust23THRUST_200600_302600_NS6detail15normal_iteratorINSA_7pointerIsNSA_11hip_rocprim3tagENSA_11use_defaultESG_EEEEPS6_NSA_18transform_iteratorI7is_evenIsENSC_INSA_10device_ptrIsEEEESG_SG_EENS0_5tupleIJPsSJ_EEENSR_IJSJ_SJ_EEES6_PlJS6_EEE10hipError_tPvRmT3_T4_T5_T6_T7_T9_mT8_P12ihipStream_tbDpT10_ENKUlT_T0_E_clISt17integral_constantIbLb0EES1F_EEDaS1A_S1B_EUlS1A_E_NS1_11comp_targetILNS1_3genE10ELNS1_11target_archE1200ELNS1_3gpuE4ELNS1_3repE0EEENS1_30default_config_static_selectorELNS0_4arch9wavefront6targetE1EEEvT1_,@function
_ZN7rocprim17ROCPRIM_400000_NS6detail17trampoline_kernelINS0_14default_configENS1_25partition_config_selectorILNS1_17partition_subalgoE2EsNS0_10empty_typeEbEEZZNS1_14partition_implILS5_2ELb0ES3_jN6thrust23THRUST_200600_302600_NS6detail15normal_iteratorINSA_7pointerIsNSA_11hip_rocprim3tagENSA_11use_defaultESG_EEEEPS6_NSA_18transform_iteratorI7is_evenIsENSC_INSA_10device_ptrIsEEEESG_SG_EENS0_5tupleIJPsSJ_EEENSR_IJSJ_SJ_EEES6_PlJS6_EEE10hipError_tPvRmT3_T4_T5_T6_T7_T9_mT8_P12ihipStream_tbDpT10_ENKUlT_T0_E_clISt17integral_constantIbLb0EES1F_EEDaS1A_S1B_EUlS1A_E_NS1_11comp_targetILNS1_3genE10ELNS1_11target_archE1200ELNS1_3gpuE4ELNS1_3repE0EEENS1_30default_config_static_selectorELNS0_4arch9wavefront6targetE1EEEvT1_: ; @_ZN7rocprim17ROCPRIM_400000_NS6detail17trampoline_kernelINS0_14default_configENS1_25partition_config_selectorILNS1_17partition_subalgoE2EsNS0_10empty_typeEbEEZZNS1_14partition_implILS5_2ELb0ES3_jN6thrust23THRUST_200600_302600_NS6detail15normal_iteratorINSA_7pointerIsNSA_11hip_rocprim3tagENSA_11use_defaultESG_EEEEPS6_NSA_18transform_iteratorI7is_evenIsENSC_INSA_10device_ptrIsEEEESG_SG_EENS0_5tupleIJPsSJ_EEENSR_IJSJ_SJ_EEES6_PlJS6_EEE10hipError_tPvRmT3_T4_T5_T6_T7_T9_mT8_P12ihipStream_tbDpT10_ENKUlT_T0_E_clISt17integral_constantIbLb0EES1F_EEDaS1A_S1B_EUlS1A_E_NS1_11comp_targetILNS1_3genE10ELNS1_11target_archE1200ELNS1_3gpuE4ELNS1_3repE0EEENS1_30default_config_static_selectorELNS0_4arch9wavefront6targetE1EEEvT1_
; %bb.0:
	.section	.rodata,"a",@progbits
	.p2align	6, 0x0
	.amdhsa_kernel _ZN7rocprim17ROCPRIM_400000_NS6detail17trampoline_kernelINS0_14default_configENS1_25partition_config_selectorILNS1_17partition_subalgoE2EsNS0_10empty_typeEbEEZZNS1_14partition_implILS5_2ELb0ES3_jN6thrust23THRUST_200600_302600_NS6detail15normal_iteratorINSA_7pointerIsNSA_11hip_rocprim3tagENSA_11use_defaultESG_EEEEPS6_NSA_18transform_iteratorI7is_evenIsENSC_INSA_10device_ptrIsEEEESG_SG_EENS0_5tupleIJPsSJ_EEENSR_IJSJ_SJ_EEES6_PlJS6_EEE10hipError_tPvRmT3_T4_T5_T6_T7_T9_mT8_P12ihipStream_tbDpT10_ENKUlT_T0_E_clISt17integral_constantIbLb0EES1F_EEDaS1A_S1B_EUlS1A_E_NS1_11comp_targetILNS1_3genE10ELNS1_11target_archE1200ELNS1_3gpuE4ELNS1_3repE0EEENS1_30default_config_static_selectorELNS0_4arch9wavefront6targetE1EEEvT1_
		.amdhsa_group_segment_fixed_size 0
		.amdhsa_private_segment_fixed_size 0
		.amdhsa_kernarg_size 128
		.amdhsa_user_sgpr_count 6
		.amdhsa_user_sgpr_private_segment_buffer 1
		.amdhsa_user_sgpr_dispatch_ptr 0
		.amdhsa_user_sgpr_queue_ptr 0
		.amdhsa_user_sgpr_kernarg_segment_ptr 1
		.amdhsa_user_sgpr_dispatch_id 0
		.amdhsa_user_sgpr_flat_scratch_init 0
		.amdhsa_user_sgpr_kernarg_preload_length 0
		.amdhsa_user_sgpr_kernarg_preload_offset 0
		.amdhsa_user_sgpr_private_segment_size 0
		.amdhsa_uses_dynamic_stack 0
		.amdhsa_system_sgpr_private_segment_wavefront_offset 0
		.amdhsa_system_sgpr_workgroup_id_x 1
		.amdhsa_system_sgpr_workgroup_id_y 0
		.amdhsa_system_sgpr_workgroup_id_z 0
		.amdhsa_system_sgpr_workgroup_info 0
		.amdhsa_system_vgpr_workitem_id 0
		.amdhsa_next_free_vgpr 1
		.amdhsa_next_free_sgpr 0
		.amdhsa_accum_offset 4
		.amdhsa_reserve_vcc 0
		.amdhsa_reserve_flat_scratch 0
		.amdhsa_float_round_mode_32 0
		.amdhsa_float_round_mode_16_64 0
		.amdhsa_float_denorm_mode_32 3
		.amdhsa_float_denorm_mode_16_64 3
		.amdhsa_dx10_clamp 1
		.amdhsa_ieee_mode 1
		.amdhsa_fp16_overflow 0
		.amdhsa_tg_split 0
		.amdhsa_exception_fp_ieee_invalid_op 0
		.amdhsa_exception_fp_denorm_src 0
		.amdhsa_exception_fp_ieee_div_zero 0
		.amdhsa_exception_fp_ieee_overflow 0
		.amdhsa_exception_fp_ieee_underflow 0
		.amdhsa_exception_fp_ieee_inexact 0
		.amdhsa_exception_int_div_zero 0
	.end_amdhsa_kernel
	.section	.text._ZN7rocprim17ROCPRIM_400000_NS6detail17trampoline_kernelINS0_14default_configENS1_25partition_config_selectorILNS1_17partition_subalgoE2EsNS0_10empty_typeEbEEZZNS1_14partition_implILS5_2ELb0ES3_jN6thrust23THRUST_200600_302600_NS6detail15normal_iteratorINSA_7pointerIsNSA_11hip_rocprim3tagENSA_11use_defaultESG_EEEEPS6_NSA_18transform_iteratorI7is_evenIsENSC_INSA_10device_ptrIsEEEESG_SG_EENS0_5tupleIJPsSJ_EEENSR_IJSJ_SJ_EEES6_PlJS6_EEE10hipError_tPvRmT3_T4_T5_T6_T7_T9_mT8_P12ihipStream_tbDpT10_ENKUlT_T0_E_clISt17integral_constantIbLb0EES1F_EEDaS1A_S1B_EUlS1A_E_NS1_11comp_targetILNS1_3genE10ELNS1_11target_archE1200ELNS1_3gpuE4ELNS1_3repE0EEENS1_30default_config_static_selectorELNS0_4arch9wavefront6targetE1EEEvT1_,"axG",@progbits,_ZN7rocprim17ROCPRIM_400000_NS6detail17trampoline_kernelINS0_14default_configENS1_25partition_config_selectorILNS1_17partition_subalgoE2EsNS0_10empty_typeEbEEZZNS1_14partition_implILS5_2ELb0ES3_jN6thrust23THRUST_200600_302600_NS6detail15normal_iteratorINSA_7pointerIsNSA_11hip_rocprim3tagENSA_11use_defaultESG_EEEEPS6_NSA_18transform_iteratorI7is_evenIsENSC_INSA_10device_ptrIsEEEESG_SG_EENS0_5tupleIJPsSJ_EEENSR_IJSJ_SJ_EEES6_PlJS6_EEE10hipError_tPvRmT3_T4_T5_T6_T7_T9_mT8_P12ihipStream_tbDpT10_ENKUlT_T0_E_clISt17integral_constantIbLb0EES1F_EEDaS1A_S1B_EUlS1A_E_NS1_11comp_targetILNS1_3genE10ELNS1_11target_archE1200ELNS1_3gpuE4ELNS1_3repE0EEENS1_30default_config_static_selectorELNS0_4arch9wavefront6targetE1EEEvT1_,comdat
.Lfunc_end261:
	.size	_ZN7rocprim17ROCPRIM_400000_NS6detail17trampoline_kernelINS0_14default_configENS1_25partition_config_selectorILNS1_17partition_subalgoE2EsNS0_10empty_typeEbEEZZNS1_14partition_implILS5_2ELb0ES3_jN6thrust23THRUST_200600_302600_NS6detail15normal_iteratorINSA_7pointerIsNSA_11hip_rocprim3tagENSA_11use_defaultESG_EEEEPS6_NSA_18transform_iteratorI7is_evenIsENSC_INSA_10device_ptrIsEEEESG_SG_EENS0_5tupleIJPsSJ_EEENSR_IJSJ_SJ_EEES6_PlJS6_EEE10hipError_tPvRmT3_T4_T5_T6_T7_T9_mT8_P12ihipStream_tbDpT10_ENKUlT_T0_E_clISt17integral_constantIbLb0EES1F_EEDaS1A_S1B_EUlS1A_E_NS1_11comp_targetILNS1_3genE10ELNS1_11target_archE1200ELNS1_3gpuE4ELNS1_3repE0EEENS1_30default_config_static_selectorELNS0_4arch9wavefront6targetE1EEEvT1_, .Lfunc_end261-_ZN7rocprim17ROCPRIM_400000_NS6detail17trampoline_kernelINS0_14default_configENS1_25partition_config_selectorILNS1_17partition_subalgoE2EsNS0_10empty_typeEbEEZZNS1_14partition_implILS5_2ELb0ES3_jN6thrust23THRUST_200600_302600_NS6detail15normal_iteratorINSA_7pointerIsNSA_11hip_rocprim3tagENSA_11use_defaultESG_EEEEPS6_NSA_18transform_iteratorI7is_evenIsENSC_INSA_10device_ptrIsEEEESG_SG_EENS0_5tupleIJPsSJ_EEENSR_IJSJ_SJ_EEES6_PlJS6_EEE10hipError_tPvRmT3_T4_T5_T6_T7_T9_mT8_P12ihipStream_tbDpT10_ENKUlT_T0_E_clISt17integral_constantIbLb0EES1F_EEDaS1A_S1B_EUlS1A_E_NS1_11comp_targetILNS1_3genE10ELNS1_11target_archE1200ELNS1_3gpuE4ELNS1_3repE0EEENS1_30default_config_static_selectorELNS0_4arch9wavefront6targetE1EEEvT1_
                                        ; -- End function
	.section	.AMDGPU.csdata,"",@progbits
; Kernel info:
; codeLenInByte = 0
; NumSgprs: 4
; NumVgprs: 0
; NumAgprs: 0
; TotalNumVgprs: 0
; ScratchSize: 0
; MemoryBound: 0
; FloatMode: 240
; IeeeMode: 1
; LDSByteSize: 0 bytes/workgroup (compile time only)
; SGPRBlocks: 0
; VGPRBlocks: 0
; NumSGPRsForWavesPerEU: 4
; NumVGPRsForWavesPerEU: 1
; AccumOffset: 4
; Occupancy: 8
; WaveLimiterHint : 0
; COMPUTE_PGM_RSRC2:SCRATCH_EN: 0
; COMPUTE_PGM_RSRC2:USER_SGPR: 6
; COMPUTE_PGM_RSRC2:TRAP_HANDLER: 0
; COMPUTE_PGM_RSRC2:TGID_X_EN: 1
; COMPUTE_PGM_RSRC2:TGID_Y_EN: 0
; COMPUTE_PGM_RSRC2:TGID_Z_EN: 0
; COMPUTE_PGM_RSRC2:TIDIG_COMP_CNT: 0
; COMPUTE_PGM_RSRC3_GFX90A:ACCUM_OFFSET: 0
; COMPUTE_PGM_RSRC3_GFX90A:TG_SPLIT: 0
	.section	.text._ZN7rocprim17ROCPRIM_400000_NS6detail17trampoline_kernelINS0_14default_configENS1_25partition_config_selectorILNS1_17partition_subalgoE2EsNS0_10empty_typeEbEEZZNS1_14partition_implILS5_2ELb0ES3_jN6thrust23THRUST_200600_302600_NS6detail15normal_iteratorINSA_7pointerIsNSA_11hip_rocprim3tagENSA_11use_defaultESG_EEEEPS6_NSA_18transform_iteratorI7is_evenIsENSC_INSA_10device_ptrIsEEEESG_SG_EENS0_5tupleIJPsSJ_EEENSR_IJSJ_SJ_EEES6_PlJS6_EEE10hipError_tPvRmT3_T4_T5_T6_T7_T9_mT8_P12ihipStream_tbDpT10_ENKUlT_T0_E_clISt17integral_constantIbLb0EES1F_EEDaS1A_S1B_EUlS1A_E_NS1_11comp_targetILNS1_3genE9ELNS1_11target_archE1100ELNS1_3gpuE3ELNS1_3repE0EEENS1_30default_config_static_selectorELNS0_4arch9wavefront6targetE1EEEvT1_,"axG",@progbits,_ZN7rocprim17ROCPRIM_400000_NS6detail17trampoline_kernelINS0_14default_configENS1_25partition_config_selectorILNS1_17partition_subalgoE2EsNS0_10empty_typeEbEEZZNS1_14partition_implILS5_2ELb0ES3_jN6thrust23THRUST_200600_302600_NS6detail15normal_iteratorINSA_7pointerIsNSA_11hip_rocprim3tagENSA_11use_defaultESG_EEEEPS6_NSA_18transform_iteratorI7is_evenIsENSC_INSA_10device_ptrIsEEEESG_SG_EENS0_5tupleIJPsSJ_EEENSR_IJSJ_SJ_EEES6_PlJS6_EEE10hipError_tPvRmT3_T4_T5_T6_T7_T9_mT8_P12ihipStream_tbDpT10_ENKUlT_T0_E_clISt17integral_constantIbLb0EES1F_EEDaS1A_S1B_EUlS1A_E_NS1_11comp_targetILNS1_3genE9ELNS1_11target_archE1100ELNS1_3gpuE3ELNS1_3repE0EEENS1_30default_config_static_selectorELNS0_4arch9wavefront6targetE1EEEvT1_,comdat
	.protected	_ZN7rocprim17ROCPRIM_400000_NS6detail17trampoline_kernelINS0_14default_configENS1_25partition_config_selectorILNS1_17partition_subalgoE2EsNS0_10empty_typeEbEEZZNS1_14partition_implILS5_2ELb0ES3_jN6thrust23THRUST_200600_302600_NS6detail15normal_iteratorINSA_7pointerIsNSA_11hip_rocprim3tagENSA_11use_defaultESG_EEEEPS6_NSA_18transform_iteratorI7is_evenIsENSC_INSA_10device_ptrIsEEEESG_SG_EENS0_5tupleIJPsSJ_EEENSR_IJSJ_SJ_EEES6_PlJS6_EEE10hipError_tPvRmT3_T4_T5_T6_T7_T9_mT8_P12ihipStream_tbDpT10_ENKUlT_T0_E_clISt17integral_constantIbLb0EES1F_EEDaS1A_S1B_EUlS1A_E_NS1_11comp_targetILNS1_3genE9ELNS1_11target_archE1100ELNS1_3gpuE3ELNS1_3repE0EEENS1_30default_config_static_selectorELNS0_4arch9wavefront6targetE1EEEvT1_ ; -- Begin function _ZN7rocprim17ROCPRIM_400000_NS6detail17trampoline_kernelINS0_14default_configENS1_25partition_config_selectorILNS1_17partition_subalgoE2EsNS0_10empty_typeEbEEZZNS1_14partition_implILS5_2ELb0ES3_jN6thrust23THRUST_200600_302600_NS6detail15normal_iteratorINSA_7pointerIsNSA_11hip_rocprim3tagENSA_11use_defaultESG_EEEEPS6_NSA_18transform_iteratorI7is_evenIsENSC_INSA_10device_ptrIsEEEESG_SG_EENS0_5tupleIJPsSJ_EEENSR_IJSJ_SJ_EEES6_PlJS6_EEE10hipError_tPvRmT3_T4_T5_T6_T7_T9_mT8_P12ihipStream_tbDpT10_ENKUlT_T0_E_clISt17integral_constantIbLb0EES1F_EEDaS1A_S1B_EUlS1A_E_NS1_11comp_targetILNS1_3genE9ELNS1_11target_archE1100ELNS1_3gpuE3ELNS1_3repE0EEENS1_30default_config_static_selectorELNS0_4arch9wavefront6targetE1EEEvT1_
	.globl	_ZN7rocprim17ROCPRIM_400000_NS6detail17trampoline_kernelINS0_14default_configENS1_25partition_config_selectorILNS1_17partition_subalgoE2EsNS0_10empty_typeEbEEZZNS1_14partition_implILS5_2ELb0ES3_jN6thrust23THRUST_200600_302600_NS6detail15normal_iteratorINSA_7pointerIsNSA_11hip_rocprim3tagENSA_11use_defaultESG_EEEEPS6_NSA_18transform_iteratorI7is_evenIsENSC_INSA_10device_ptrIsEEEESG_SG_EENS0_5tupleIJPsSJ_EEENSR_IJSJ_SJ_EEES6_PlJS6_EEE10hipError_tPvRmT3_T4_T5_T6_T7_T9_mT8_P12ihipStream_tbDpT10_ENKUlT_T0_E_clISt17integral_constantIbLb0EES1F_EEDaS1A_S1B_EUlS1A_E_NS1_11comp_targetILNS1_3genE9ELNS1_11target_archE1100ELNS1_3gpuE3ELNS1_3repE0EEENS1_30default_config_static_selectorELNS0_4arch9wavefront6targetE1EEEvT1_
	.p2align	8
	.type	_ZN7rocprim17ROCPRIM_400000_NS6detail17trampoline_kernelINS0_14default_configENS1_25partition_config_selectorILNS1_17partition_subalgoE2EsNS0_10empty_typeEbEEZZNS1_14partition_implILS5_2ELb0ES3_jN6thrust23THRUST_200600_302600_NS6detail15normal_iteratorINSA_7pointerIsNSA_11hip_rocprim3tagENSA_11use_defaultESG_EEEEPS6_NSA_18transform_iteratorI7is_evenIsENSC_INSA_10device_ptrIsEEEESG_SG_EENS0_5tupleIJPsSJ_EEENSR_IJSJ_SJ_EEES6_PlJS6_EEE10hipError_tPvRmT3_T4_T5_T6_T7_T9_mT8_P12ihipStream_tbDpT10_ENKUlT_T0_E_clISt17integral_constantIbLb0EES1F_EEDaS1A_S1B_EUlS1A_E_NS1_11comp_targetILNS1_3genE9ELNS1_11target_archE1100ELNS1_3gpuE3ELNS1_3repE0EEENS1_30default_config_static_selectorELNS0_4arch9wavefront6targetE1EEEvT1_,@function
_ZN7rocprim17ROCPRIM_400000_NS6detail17trampoline_kernelINS0_14default_configENS1_25partition_config_selectorILNS1_17partition_subalgoE2EsNS0_10empty_typeEbEEZZNS1_14partition_implILS5_2ELb0ES3_jN6thrust23THRUST_200600_302600_NS6detail15normal_iteratorINSA_7pointerIsNSA_11hip_rocprim3tagENSA_11use_defaultESG_EEEEPS6_NSA_18transform_iteratorI7is_evenIsENSC_INSA_10device_ptrIsEEEESG_SG_EENS0_5tupleIJPsSJ_EEENSR_IJSJ_SJ_EEES6_PlJS6_EEE10hipError_tPvRmT3_T4_T5_T6_T7_T9_mT8_P12ihipStream_tbDpT10_ENKUlT_T0_E_clISt17integral_constantIbLb0EES1F_EEDaS1A_S1B_EUlS1A_E_NS1_11comp_targetILNS1_3genE9ELNS1_11target_archE1100ELNS1_3gpuE3ELNS1_3repE0EEENS1_30default_config_static_selectorELNS0_4arch9wavefront6targetE1EEEvT1_: ; @_ZN7rocprim17ROCPRIM_400000_NS6detail17trampoline_kernelINS0_14default_configENS1_25partition_config_selectorILNS1_17partition_subalgoE2EsNS0_10empty_typeEbEEZZNS1_14partition_implILS5_2ELb0ES3_jN6thrust23THRUST_200600_302600_NS6detail15normal_iteratorINSA_7pointerIsNSA_11hip_rocprim3tagENSA_11use_defaultESG_EEEEPS6_NSA_18transform_iteratorI7is_evenIsENSC_INSA_10device_ptrIsEEEESG_SG_EENS0_5tupleIJPsSJ_EEENSR_IJSJ_SJ_EEES6_PlJS6_EEE10hipError_tPvRmT3_T4_T5_T6_T7_T9_mT8_P12ihipStream_tbDpT10_ENKUlT_T0_E_clISt17integral_constantIbLb0EES1F_EEDaS1A_S1B_EUlS1A_E_NS1_11comp_targetILNS1_3genE9ELNS1_11target_archE1100ELNS1_3gpuE3ELNS1_3repE0EEENS1_30default_config_static_selectorELNS0_4arch9wavefront6targetE1EEEvT1_
; %bb.0:
	.section	.rodata,"a",@progbits
	.p2align	6, 0x0
	.amdhsa_kernel _ZN7rocprim17ROCPRIM_400000_NS6detail17trampoline_kernelINS0_14default_configENS1_25partition_config_selectorILNS1_17partition_subalgoE2EsNS0_10empty_typeEbEEZZNS1_14partition_implILS5_2ELb0ES3_jN6thrust23THRUST_200600_302600_NS6detail15normal_iteratorINSA_7pointerIsNSA_11hip_rocprim3tagENSA_11use_defaultESG_EEEEPS6_NSA_18transform_iteratorI7is_evenIsENSC_INSA_10device_ptrIsEEEESG_SG_EENS0_5tupleIJPsSJ_EEENSR_IJSJ_SJ_EEES6_PlJS6_EEE10hipError_tPvRmT3_T4_T5_T6_T7_T9_mT8_P12ihipStream_tbDpT10_ENKUlT_T0_E_clISt17integral_constantIbLb0EES1F_EEDaS1A_S1B_EUlS1A_E_NS1_11comp_targetILNS1_3genE9ELNS1_11target_archE1100ELNS1_3gpuE3ELNS1_3repE0EEENS1_30default_config_static_selectorELNS0_4arch9wavefront6targetE1EEEvT1_
		.amdhsa_group_segment_fixed_size 0
		.amdhsa_private_segment_fixed_size 0
		.amdhsa_kernarg_size 128
		.amdhsa_user_sgpr_count 6
		.amdhsa_user_sgpr_private_segment_buffer 1
		.amdhsa_user_sgpr_dispatch_ptr 0
		.amdhsa_user_sgpr_queue_ptr 0
		.amdhsa_user_sgpr_kernarg_segment_ptr 1
		.amdhsa_user_sgpr_dispatch_id 0
		.amdhsa_user_sgpr_flat_scratch_init 0
		.amdhsa_user_sgpr_kernarg_preload_length 0
		.amdhsa_user_sgpr_kernarg_preload_offset 0
		.amdhsa_user_sgpr_private_segment_size 0
		.amdhsa_uses_dynamic_stack 0
		.amdhsa_system_sgpr_private_segment_wavefront_offset 0
		.amdhsa_system_sgpr_workgroup_id_x 1
		.amdhsa_system_sgpr_workgroup_id_y 0
		.amdhsa_system_sgpr_workgroup_id_z 0
		.amdhsa_system_sgpr_workgroup_info 0
		.amdhsa_system_vgpr_workitem_id 0
		.amdhsa_next_free_vgpr 1
		.amdhsa_next_free_sgpr 0
		.amdhsa_accum_offset 4
		.amdhsa_reserve_vcc 0
		.amdhsa_reserve_flat_scratch 0
		.amdhsa_float_round_mode_32 0
		.amdhsa_float_round_mode_16_64 0
		.amdhsa_float_denorm_mode_32 3
		.amdhsa_float_denorm_mode_16_64 3
		.amdhsa_dx10_clamp 1
		.amdhsa_ieee_mode 1
		.amdhsa_fp16_overflow 0
		.amdhsa_tg_split 0
		.amdhsa_exception_fp_ieee_invalid_op 0
		.amdhsa_exception_fp_denorm_src 0
		.amdhsa_exception_fp_ieee_div_zero 0
		.amdhsa_exception_fp_ieee_overflow 0
		.amdhsa_exception_fp_ieee_underflow 0
		.amdhsa_exception_fp_ieee_inexact 0
		.amdhsa_exception_int_div_zero 0
	.end_amdhsa_kernel
	.section	.text._ZN7rocprim17ROCPRIM_400000_NS6detail17trampoline_kernelINS0_14default_configENS1_25partition_config_selectorILNS1_17partition_subalgoE2EsNS0_10empty_typeEbEEZZNS1_14partition_implILS5_2ELb0ES3_jN6thrust23THRUST_200600_302600_NS6detail15normal_iteratorINSA_7pointerIsNSA_11hip_rocprim3tagENSA_11use_defaultESG_EEEEPS6_NSA_18transform_iteratorI7is_evenIsENSC_INSA_10device_ptrIsEEEESG_SG_EENS0_5tupleIJPsSJ_EEENSR_IJSJ_SJ_EEES6_PlJS6_EEE10hipError_tPvRmT3_T4_T5_T6_T7_T9_mT8_P12ihipStream_tbDpT10_ENKUlT_T0_E_clISt17integral_constantIbLb0EES1F_EEDaS1A_S1B_EUlS1A_E_NS1_11comp_targetILNS1_3genE9ELNS1_11target_archE1100ELNS1_3gpuE3ELNS1_3repE0EEENS1_30default_config_static_selectorELNS0_4arch9wavefront6targetE1EEEvT1_,"axG",@progbits,_ZN7rocprim17ROCPRIM_400000_NS6detail17trampoline_kernelINS0_14default_configENS1_25partition_config_selectorILNS1_17partition_subalgoE2EsNS0_10empty_typeEbEEZZNS1_14partition_implILS5_2ELb0ES3_jN6thrust23THRUST_200600_302600_NS6detail15normal_iteratorINSA_7pointerIsNSA_11hip_rocprim3tagENSA_11use_defaultESG_EEEEPS6_NSA_18transform_iteratorI7is_evenIsENSC_INSA_10device_ptrIsEEEESG_SG_EENS0_5tupleIJPsSJ_EEENSR_IJSJ_SJ_EEES6_PlJS6_EEE10hipError_tPvRmT3_T4_T5_T6_T7_T9_mT8_P12ihipStream_tbDpT10_ENKUlT_T0_E_clISt17integral_constantIbLb0EES1F_EEDaS1A_S1B_EUlS1A_E_NS1_11comp_targetILNS1_3genE9ELNS1_11target_archE1100ELNS1_3gpuE3ELNS1_3repE0EEENS1_30default_config_static_selectorELNS0_4arch9wavefront6targetE1EEEvT1_,comdat
.Lfunc_end262:
	.size	_ZN7rocprim17ROCPRIM_400000_NS6detail17trampoline_kernelINS0_14default_configENS1_25partition_config_selectorILNS1_17partition_subalgoE2EsNS0_10empty_typeEbEEZZNS1_14partition_implILS5_2ELb0ES3_jN6thrust23THRUST_200600_302600_NS6detail15normal_iteratorINSA_7pointerIsNSA_11hip_rocprim3tagENSA_11use_defaultESG_EEEEPS6_NSA_18transform_iteratorI7is_evenIsENSC_INSA_10device_ptrIsEEEESG_SG_EENS0_5tupleIJPsSJ_EEENSR_IJSJ_SJ_EEES6_PlJS6_EEE10hipError_tPvRmT3_T4_T5_T6_T7_T9_mT8_P12ihipStream_tbDpT10_ENKUlT_T0_E_clISt17integral_constantIbLb0EES1F_EEDaS1A_S1B_EUlS1A_E_NS1_11comp_targetILNS1_3genE9ELNS1_11target_archE1100ELNS1_3gpuE3ELNS1_3repE0EEENS1_30default_config_static_selectorELNS0_4arch9wavefront6targetE1EEEvT1_, .Lfunc_end262-_ZN7rocprim17ROCPRIM_400000_NS6detail17trampoline_kernelINS0_14default_configENS1_25partition_config_selectorILNS1_17partition_subalgoE2EsNS0_10empty_typeEbEEZZNS1_14partition_implILS5_2ELb0ES3_jN6thrust23THRUST_200600_302600_NS6detail15normal_iteratorINSA_7pointerIsNSA_11hip_rocprim3tagENSA_11use_defaultESG_EEEEPS6_NSA_18transform_iteratorI7is_evenIsENSC_INSA_10device_ptrIsEEEESG_SG_EENS0_5tupleIJPsSJ_EEENSR_IJSJ_SJ_EEES6_PlJS6_EEE10hipError_tPvRmT3_T4_T5_T6_T7_T9_mT8_P12ihipStream_tbDpT10_ENKUlT_T0_E_clISt17integral_constantIbLb0EES1F_EEDaS1A_S1B_EUlS1A_E_NS1_11comp_targetILNS1_3genE9ELNS1_11target_archE1100ELNS1_3gpuE3ELNS1_3repE0EEENS1_30default_config_static_selectorELNS0_4arch9wavefront6targetE1EEEvT1_
                                        ; -- End function
	.section	.AMDGPU.csdata,"",@progbits
; Kernel info:
; codeLenInByte = 0
; NumSgprs: 4
; NumVgprs: 0
; NumAgprs: 0
; TotalNumVgprs: 0
; ScratchSize: 0
; MemoryBound: 0
; FloatMode: 240
; IeeeMode: 1
; LDSByteSize: 0 bytes/workgroup (compile time only)
; SGPRBlocks: 0
; VGPRBlocks: 0
; NumSGPRsForWavesPerEU: 4
; NumVGPRsForWavesPerEU: 1
; AccumOffset: 4
; Occupancy: 8
; WaveLimiterHint : 0
; COMPUTE_PGM_RSRC2:SCRATCH_EN: 0
; COMPUTE_PGM_RSRC2:USER_SGPR: 6
; COMPUTE_PGM_RSRC2:TRAP_HANDLER: 0
; COMPUTE_PGM_RSRC2:TGID_X_EN: 1
; COMPUTE_PGM_RSRC2:TGID_Y_EN: 0
; COMPUTE_PGM_RSRC2:TGID_Z_EN: 0
; COMPUTE_PGM_RSRC2:TIDIG_COMP_CNT: 0
; COMPUTE_PGM_RSRC3_GFX90A:ACCUM_OFFSET: 0
; COMPUTE_PGM_RSRC3_GFX90A:TG_SPLIT: 0
	.section	.text._ZN7rocprim17ROCPRIM_400000_NS6detail17trampoline_kernelINS0_14default_configENS1_25partition_config_selectorILNS1_17partition_subalgoE2EsNS0_10empty_typeEbEEZZNS1_14partition_implILS5_2ELb0ES3_jN6thrust23THRUST_200600_302600_NS6detail15normal_iteratorINSA_7pointerIsNSA_11hip_rocprim3tagENSA_11use_defaultESG_EEEEPS6_NSA_18transform_iteratorI7is_evenIsENSC_INSA_10device_ptrIsEEEESG_SG_EENS0_5tupleIJPsSJ_EEENSR_IJSJ_SJ_EEES6_PlJS6_EEE10hipError_tPvRmT3_T4_T5_T6_T7_T9_mT8_P12ihipStream_tbDpT10_ENKUlT_T0_E_clISt17integral_constantIbLb0EES1F_EEDaS1A_S1B_EUlS1A_E_NS1_11comp_targetILNS1_3genE8ELNS1_11target_archE1030ELNS1_3gpuE2ELNS1_3repE0EEENS1_30default_config_static_selectorELNS0_4arch9wavefront6targetE1EEEvT1_,"axG",@progbits,_ZN7rocprim17ROCPRIM_400000_NS6detail17trampoline_kernelINS0_14default_configENS1_25partition_config_selectorILNS1_17partition_subalgoE2EsNS0_10empty_typeEbEEZZNS1_14partition_implILS5_2ELb0ES3_jN6thrust23THRUST_200600_302600_NS6detail15normal_iteratorINSA_7pointerIsNSA_11hip_rocprim3tagENSA_11use_defaultESG_EEEEPS6_NSA_18transform_iteratorI7is_evenIsENSC_INSA_10device_ptrIsEEEESG_SG_EENS0_5tupleIJPsSJ_EEENSR_IJSJ_SJ_EEES6_PlJS6_EEE10hipError_tPvRmT3_T4_T5_T6_T7_T9_mT8_P12ihipStream_tbDpT10_ENKUlT_T0_E_clISt17integral_constantIbLb0EES1F_EEDaS1A_S1B_EUlS1A_E_NS1_11comp_targetILNS1_3genE8ELNS1_11target_archE1030ELNS1_3gpuE2ELNS1_3repE0EEENS1_30default_config_static_selectorELNS0_4arch9wavefront6targetE1EEEvT1_,comdat
	.protected	_ZN7rocprim17ROCPRIM_400000_NS6detail17trampoline_kernelINS0_14default_configENS1_25partition_config_selectorILNS1_17partition_subalgoE2EsNS0_10empty_typeEbEEZZNS1_14partition_implILS5_2ELb0ES3_jN6thrust23THRUST_200600_302600_NS6detail15normal_iteratorINSA_7pointerIsNSA_11hip_rocprim3tagENSA_11use_defaultESG_EEEEPS6_NSA_18transform_iteratorI7is_evenIsENSC_INSA_10device_ptrIsEEEESG_SG_EENS0_5tupleIJPsSJ_EEENSR_IJSJ_SJ_EEES6_PlJS6_EEE10hipError_tPvRmT3_T4_T5_T6_T7_T9_mT8_P12ihipStream_tbDpT10_ENKUlT_T0_E_clISt17integral_constantIbLb0EES1F_EEDaS1A_S1B_EUlS1A_E_NS1_11comp_targetILNS1_3genE8ELNS1_11target_archE1030ELNS1_3gpuE2ELNS1_3repE0EEENS1_30default_config_static_selectorELNS0_4arch9wavefront6targetE1EEEvT1_ ; -- Begin function _ZN7rocprim17ROCPRIM_400000_NS6detail17trampoline_kernelINS0_14default_configENS1_25partition_config_selectorILNS1_17partition_subalgoE2EsNS0_10empty_typeEbEEZZNS1_14partition_implILS5_2ELb0ES3_jN6thrust23THRUST_200600_302600_NS6detail15normal_iteratorINSA_7pointerIsNSA_11hip_rocprim3tagENSA_11use_defaultESG_EEEEPS6_NSA_18transform_iteratorI7is_evenIsENSC_INSA_10device_ptrIsEEEESG_SG_EENS0_5tupleIJPsSJ_EEENSR_IJSJ_SJ_EEES6_PlJS6_EEE10hipError_tPvRmT3_T4_T5_T6_T7_T9_mT8_P12ihipStream_tbDpT10_ENKUlT_T0_E_clISt17integral_constantIbLb0EES1F_EEDaS1A_S1B_EUlS1A_E_NS1_11comp_targetILNS1_3genE8ELNS1_11target_archE1030ELNS1_3gpuE2ELNS1_3repE0EEENS1_30default_config_static_selectorELNS0_4arch9wavefront6targetE1EEEvT1_
	.globl	_ZN7rocprim17ROCPRIM_400000_NS6detail17trampoline_kernelINS0_14default_configENS1_25partition_config_selectorILNS1_17partition_subalgoE2EsNS0_10empty_typeEbEEZZNS1_14partition_implILS5_2ELb0ES3_jN6thrust23THRUST_200600_302600_NS6detail15normal_iteratorINSA_7pointerIsNSA_11hip_rocprim3tagENSA_11use_defaultESG_EEEEPS6_NSA_18transform_iteratorI7is_evenIsENSC_INSA_10device_ptrIsEEEESG_SG_EENS0_5tupleIJPsSJ_EEENSR_IJSJ_SJ_EEES6_PlJS6_EEE10hipError_tPvRmT3_T4_T5_T6_T7_T9_mT8_P12ihipStream_tbDpT10_ENKUlT_T0_E_clISt17integral_constantIbLb0EES1F_EEDaS1A_S1B_EUlS1A_E_NS1_11comp_targetILNS1_3genE8ELNS1_11target_archE1030ELNS1_3gpuE2ELNS1_3repE0EEENS1_30default_config_static_selectorELNS0_4arch9wavefront6targetE1EEEvT1_
	.p2align	8
	.type	_ZN7rocprim17ROCPRIM_400000_NS6detail17trampoline_kernelINS0_14default_configENS1_25partition_config_selectorILNS1_17partition_subalgoE2EsNS0_10empty_typeEbEEZZNS1_14partition_implILS5_2ELb0ES3_jN6thrust23THRUST_200600_302600_NS6detail15normal_iteratorINSA_7pointerIsNSA_11hip_rocprim3tagENSA_11use_defaultESG_EEEEPS6_NSA_18transform_iteratorI7is_evenIsENSC_INSA_10device_ptrIsEEEESG_SG_EENS0_5tupleIJPsSJ_EEENSR_IJSJ_SJ_EEES6_PlJS6_EEE10hipError_tPvRmT3_T4_T5_T6_T7_T9_mT8_P12ihipStream_tbDpT10_ENKUlT_T0_E_clISt17integral_constantIbLb0EES1F_EEDaS1A_S1B_EUlS1A_E_NS1_11comp_targetILNS1_3genE8ELNS1_11target_archE1030ELNS1_3gpuE2ELNS1_3repE0EEENS1_30default_config_static_selectorELNS0_4arch9wavefront6targetE1EEEvT1_,@function
_ZN7rocprim17ROCPRIM_400000_NS6detail17trampoline_kernelINS0_14default_configENS1_25partition_config_selectorILNS1_17partition_subalgoE2EsNS0_10empty_typeEbEEZZNS1_14partition_implILS5_2ELb0ES3_jN6thrust23THRUST_200600_302600_NS6detail15normal_iteratorINSA_7pointerIsNSA_11hip_rocprim3tagENSA_11use_defaultESG_EEEEPS6_NSA_18transform_iteratorI7is_evenIsENSC_INSA_10device_ptrIsEEEESG_SG_EENS0_5tupleIJPsSJ_EEENSR_IJSJ_SJ_EEES6_PlJS6_EEE10hipError_tPvRmT3_T4_T5_T6_T7_T9_mT8_P12ihipStream_tbDpT10_ENKUlT_T0_E_clISt17integral_constantIbLb0EES1F_EEDaS1A_S1B_EUlS1A_E_NS1_11comp_targetILNS1_3genE8ELNS1_11target_archE1030ELNS1_3gpuE2ELNS1_3repE0EEENS1_30default_config_static_selectorELNS0_4arch9wavefront6targetE1EEEvT1_: ; @_ZN7rocprim17ROCPRIM_400000_NS6detail17trampoline_kernelINS0_14default_configENS1_25partition_config_selectorILNS1_17partition_subalgoE2EsNS0_10empty_typeEbEEZZNS1_14partition_implILS5_2ELb0ES3_jN6thrust23THRUST_200600_302600_NS6detail15normal_iteratorINSA_7pointerIsNSA_11hip_rocprim3tagENSA_11use_defaultESG_EEEEPS6_NSA_18transform_iteratorI7is_evenIsENSC_INSA_10device_ptrIsEEEESG_SG_EENS0_5tupleIJPsSJ_EEENSR_IJSJ_SJ_EEES6_PlJS6_EEE10hipError_tPvRmT3_T4_T5_T6_T7_T9_mT8_P12ihipStream_tbDpT10_ENKUlT_T0_E_clISt17integral_constantIbLb0EES1F_EEDaS1A_S1B_EUlS1A_E_NS1_11comp_targetILNS1_3genE8ELNS1_11target_archE1030ELNS1_3gpuE2ELNS1_3repE0EEENS1_30default_config_static_selectorELNS0_4arch9wavefront6targetE1EEEvT1_
; %bb.0:
	.section	.rodata,"a",@progbits
	.p2align	6, 0x0
	.amdhsa_kernel _ZN7rocprim17ROCPRIM_400000_NS6detail17trampoline_kernelINS0_14default_configENS1_25partition_config_selectorILNS1_17partition_subalgoE2EsNS0_10empty_typeEbEEZZNS1_14partition_implILS5_2ELb0ES3_jN6thrust23THRUST_200600_302600_NS6detail15normal_iteratorINSA_7pointerIsNSA_11hip_rocprim3tagENSA_11use_defaultESG_EEEEPS6_NSA_18transform_iteratorI7is_evenIsENSC_INSA_10device_ptrIsEEEESG_SG_EENS0_5tupleIJPsSJ_EEENSR_IJSJ_SJ_EEES6_PlJS6_EEE10hipError_tPvRmT3_T4_T5_T6_T7_T9_mT8_P12ihipStream_tbDpT10_ENKUlT_T0_E_clISt17integral_constantIbLb0EES1F_EEDaS1A_S1B_EUlS1A_E_NS1_11comp_targetILNS1_3genE8ELNS1_11target_archE1030ELNS1_3gpuE2ELNS1_3repE0EEENS1_30default_config_static_selectorELNS0_4arch9wavefront6targetE1EEEvT1_
		.amdhsa_group_segment_fixed_size 0
		.amdhsa_private_segment_fixed_size 0
		.amdhsa_kernarg_size 128
		.amdhsa_user_sgpr_count 6
		.amdhsa_user_sgpr_private_segment_buffer 1
		.amdhsa_user_sgpr_dispatch_ptr 0
		.amdhsa_user_sgpr_queue_ptr 0
		.amdhsa_user_sgpr_kernarg_segment_ptr 1
		.amdhsa_user_sgpr_dispatch_id 0
		.amdhsa_user_sgpr_flat_scratch_init 0
		.amdhsa_user_sgpr_kernarg_preload_length 0
		.amdhsa_user_sgpr_kernarg_preload_offset 0
		.amdhsa_user_sgpr_private_segment_size 0
		.amdhsa_uses_dynamic_stack 0
		.amdhsa_system_sgpr_private_segment_wavefront_offset 0
		.amdhsa_system_sgpr_workgroup_id_x 1
		.amdhsa_system_sgpr_workgroup_id_y 0
		.amdhsa_system_sgpr_workgroup_id_z 0
		.amdhsa_system_sgpr_workgroup_info 0
		.amdhsa_system_vgpr_workitem_id 0
		.amdhsa_next_free_vgpr 1
		.amdhsa_next_free_sgpr 0
		.amdhsa_accum_offset 4
		.amdhsa_reserve_vcc 0
		.amdhsa_reserve_flat_scratch 0
		.amdhsa_float_round_mode_32 0
		.amdhsa_float_round_mode_16_64 0
		.amdhsa_float_denorm_mode_32 3
		.amdhsa_float_denorm_mode_16_64 3
		.amdhsa_dx10_clamp 1
		.amdhsa_ieee_mode 1
		.amdhsa_fp16_overflow 0
		.amdhsa_tg_split 0
		.amdhsa_exception_fp_ieee_invalid_op 0
		.amdhsa_exception_fp_denorm_src 0
		.amdhsa_exception_fp_ieee_div_zero 0
		.amdhsa_exception_fp_ieee_overflow 0
		.amdhsa_exception_fp_ieee_underflow 0
		.amdhsa_exception_fp_ieee_inexact 0
		.amdhsa_exception_int_div_zero 0
	.end_amdhsa_kernel
	.section	.text._ZN7rocprim17ROCPRIM_400000_NS6detail17trampoline_kernelINS0_14default_configENS1_25partition_config_selectorILNS1_17partition_subalgoE2EsNS0_10empty_typeEbEEZZNS1_14partition_implILS5_2ELb0ES3_jN6thrust23THRUST_200600_302600_NS6detail15normal_iteratorINSA_7pointerIsNSA_11hip_rocprim3tagENSA_11use_defaultESG_EEEEPS6_NSA_18transform_iteratorI7is_evenIsENSC_INSA_10device_ptrIsEEEESG_SG_EENS0_5tupleIJPsSJ_EEENSR_IJSJ_SJ_EEES6_PlJS6_EEE10hipError_tPvRmT3_T4_T5_T6_T7_T9_mT8_P12ihipStream_tbDpT10_ENKUlT_T0_E_clISt17integral_constantIbLb0EES1F_EEDaS1A_S1B_EUlS1A_E_NS1_11comp_targetILNS1_3genE8ELNS1_11target_archE1030ELNS1_3gpuE2ELNS1_3repE0EEENS1_30default_config_static_selectorELNS0_4arch9wavefront6targetE1EEEvT1_,"axG",@progbits,_ZN7rocprim17ROCPRIM_400000_NS6detail17trampoline_kernelINS0_14default_configENS1_25partition_config_selectorILNS1_17partition_subalgoE2EsNS0_10empty_typeEbEEZZNS1_14partition_implILS5_2ELb0ES3_jN6thrust23THRUST_200600_302600_NS6detail15normal_iteratorINSA_7pointerIsNSA_11hip_rocprim3tagENSA_11use_defaultESG_EEEEPS6_NSA_18transform_iteratorI7is_evenIsENSC_INSA_10device_ptrIsEEEESG_SG_EENS0_5tupleIJPsSJ_EEENSR_IJSJ_SJ_EEES6_PlJS6_EEE10hipError_tPvRmT3_T4_T5_T6_T7_T9_mT8_P12ihipStream_tbDpT10_ENKUlT_T0_E_clISt17integral_constantIbLb0EES1F_EEDaS1A_S1B_EUlS1A_E_NS1_11comp_targetILNS1_3genE8ELNS1_11target_archE1030ELNS1_3gpuE2ELNS1_3repE0EEENS1_30default_config_static_selectorELNS0_4arch9wavefront6targetE1EEEvT1_,comdat
.Lfunc_end263:
	.size	_ZN7rocprim17ROCPRIM_400000_NS6detail17trampoline_kernelINS0_14default_configENS1_25partition_config_selectorILNS1_17partition_subalgoE2EsNS0_10empty_typeEbEEZZNS1_14partition_implILS5_2ELb0ES3_jN6thrust23THRUST_200600_302600_NS6detail15normal_iteratorINSA_7pointerIsNSA_11hip_rocprim3tagENSA_11use_defaultESG_EEEEPS6_NSA_18transform_iteratorI7is_evenIsENSC_INSA_10device_ptrIsEEEESG_SG_EENS0_5tupleIJPsSJ_EEENSR_IJSJ_SJ_EEES6_PlJS6_EEE10hipError_tPvRmT3_T4_T5_T6_T7_T9_mT8_P12ihipStream_tbDpT10_ENKUlT_T0_E_clISt17integral_constantIbLb0EES1F_EEDaS1A_S1B_EUlS1A_E_NS1_11comp_targetILNS1_3genE8ELNS1_11target_archE1030ELNS1_3gpuE2ELNS1_3repE0EEENS1_30default_config_static_selectorELNS0_4arch9wavefront6targetE1EEEvT1_, .Lfunc_end263-_ZN7rocprim17ROCPRIM_400000_NS6detail17trampoline_kernelINS0_14default_configENS1_25partition_config_selectorILNS1_17partition_subalgoE2EsNS0_10empty_typeEbEEZZNS1_14partition_implILS5_2ELb0ES3_jN6thrust23THRUST_200600_302600_NS6detail15normal_iteratorINSA_7pointerIsNSA_11hip_rocprim3tagENSA_11use_defaultESG_EEEEPS6_NSA_18transform_iteratorI7is_evenIsENSC_INSA_10device_ptrIsEEEESG_SG_EENS0_5tupleIJPsSJ_EEENSR_IJSJ_SJ_EEES6_PlJS6_EEE10hipError_tPvRmT3_T4_T5_T6_T7_T9_mT8_P12ihipStream_tbDpT10_ENKUlT_T0_E_clISt17integral_constantIbLb0EES1F_EEDaS1A_S1B_EUlS1A_E_NS1_11comp_targetILNS1_3genE8ELNS1_11target_archE1030ELNS1_3gpuE2ELNS1_3repE0EEENS1_30default_config_static_selectorELNS0_4arch9wavefront6targetE1EEEvT1_
                                        ; -- End function
	.section	.AMDGPU.csdata,"",@progbits
; Kernel info:
; codeLenInByte = 0
; NumSgprs: 4
; NumVgprs: 0
; NumAgprs: 0
; TotalNumVgprs: 0
; ScratchSize: 0
; MemoryBound: 0
; FloatMode: 240
; IeeeMode: 1
; LDSByteSize: 0 bytes/workgroup (compile time only)
; SGPRBlocks: 0
; VGPRBlocks: 0
; NumSGPRsForWavesPerEU: 4
; NumVGPRsForWavesPerEU: 1
; AccumOffset: 4
; Occupancy: 8
; WaveLimiterHint : 0
; COMPUTE_PGM_RSRC2:SCRATCH_EN: 0
; COMPUTE_PGM_RSRC2:USER_SGPR: 6
; COMPUTE_PGM_RSRC2:TRAP_HANDLER: 0
; COMPUTE_PGM_RSRC2:TGID_X_EN: 1
; COMPUTE_PGM_RSRC2:TGID_Y_EN: 0
; COMPUTE_PGM_RSRC2:TGID_Z_EN: 0
; COMPUTE_PGM_RSRC2:TIDIG_COMP_CNT: 0
; COMPUTE_PGM_RSRC3_GFX90A:ACCUM_OFFSET: 0
; COMPUTE_PGM_RSRC3_GFX90A:TG_SPLIT: 0
	.section	.text._ZN7rocprim17ROCPRIM_400000_NS6detail17trampoline_kernelINS0_14default_configENS1_25partition_config_selectorILNS1_17partition_subalgoE2EsNS0_10empty_typeEbEEZZNS1_14partition_implILS5_2ELb0ES3_jN6thrust23THRUST_200600_302600_NS6detail15normal_iteratorINSA_7pointerIsNSA_11hip_rocprim3tagENSA_11use_defaultESG_EEEEPS6_NSA_18transform_iteratorI7is_evenIsENSC_INSA_10device_ptrIsEEEESG_SG_EENS0_5tupleIJPsSJ_EEENSR_IJSJ_SJ_EEES6_PlJS6_EEE10hipError_tPvRmT3_T4_T5_T6_T7_T9_mT8_P12ihipStream_tbDpT10_ENKUlT_T0_E_clISt17integral_constantIbLb1EES1F_EEDaS1A_S1B_EUlS1A_E_NS1_11comp_targetILNS1_3genE0ELNS1_11target_archE4294967295ELNS1_3gpuE0ELNS1_3repE0EEENS1_30default_config_static_selectorELNS0_4arch9wavefront6targetE1EEEvT1_,"axG",@progbits,_ZN7rocprim17ROCPRIM_400000_NS6detail17trampoline_kernelINS0_14default_configENS1_25partition_config_selectorILNS1_17partition_subalgoE2EsNS0_10empty_typeEbEEZZNS1_14partition_implILS5_2ELb0ES3_jN6thrust23THRUST_200600_302600_NS6detail15normal_iteratorINSA_7pointerIsNSA_11hip_rocprim3tagENSA_11use_defaultESG_EEEEPS6_NSA_18transform_iteratorI7is_evenIsENSC_INSA_10device_ptrIsEEEESG_SG_EENS0_5tupleIJPsSJ_EEENSR_IJSJ_SJ_EEES6_PlJS6_EEE10hipError_tPvRmT3_T4_T5_T6_T7_T9_mT8_P12ihipStream_tbDpT10_ENKUlT_T0_E_clISt17integral_constantIbLb1EES1F_EEDaS1A_S1B_EUlS1A_E_NS1_11comp_targetILNS1_3genE0ELNS1_11target_archE4294967295ELNS1_3gpuE0ELNS1_3repE0EEENS1_30default_config_static_selectorELNS0_4arch9wavefront6targetE1EEEvT1_,comdat
	.protected	_ZN7rocprim17ROCPRIM_400000_NS6detail17trampoline_kernelINS0_14default_configENS1_25partition_config_selectorILNS1_17partition_subalgoE2EsNS0_10empty_typeEbEEZZNS1_14partition_implILS5_2ELb0ES3_jN6thrust23THRUST_200600_302600_NS6detail15normal_iteratorINSA_7pointerIsNSA_11hip_rocprim3tagENSA_11use_defaultESG_EEEEPS6_NSA_18transform_iteratorI7is_evenIsENSC_INSA_10device_ptrIsEEEESG_SG_EENS0_5tupleIJPsSJ_EEENSR_IJSJ_SJ_EEES6_PlJS6_EEE10hipError_tPvRmT3_T4_T5_T6_T7_T9_mT8_P12ihipStream_tbDpT10_ENKUlT_T0_E_clISt17integral_constantIbLb1EES1F_EEDaS1A_S1B_EUlS1A_E_NS1_11comp_targetILNS1_3genE0ELNS1_11target_archE4294967295ELNS1_3gpuE0ELNS1_3repE0EEENS1_30default_config_static_selectorELNS0_4arch9wavefront6targetE1EEEvT1_ ; -- Begin function _ZN7rocprim17ROCPRIM_400000_NS6detail17trampoline_kernelINS0_14default_configENS1_25partition_config_selectorILNS1_17partition_subalgoE2EsNS0_10empty_typeEbEEZZNS1_14partition_implILS5_2ELb0ES3_jN6thrust23THRUST_200600_302600_NS6detail15normal_iteratorINSA_7pointerIsNSA_11hip_rocprim3tagENSA_11use_defaultESG_EEEEPS6_NSA_18transform_iteratorI7is_evenIsENSC_INSA_10device_ptrIsEEEESG_SG_EENS0_5tupleIJPsSJ_EEENSR_IJSJ_SJ_EEES6_PlJS6_EEE10hipError_tPvRmT3_T4_T5_T6_T7_T9_mT8_P12ihipStream_tbDpT10_ENKUlT_T0_E_clISt17integral_constantIbLb1EES1F_EEDaS1A_S1B_EUlS1A_E_NS1_11comp_targetILNS1_3genE0ELNS1_11target_archE4294967295ELNS1_3gpuE0ELNS1_3repE0EEENS1_30default_config_static_selectorELNS0_4arch9wavefront6targetE1EEEvT1_
	.globl	_ZN7rocprim17ROCPRIM_400000_NS6detail17trampoline_kernelINS0_14default_configENS1_25partition_config_selectorILNS1_17partition_subalgoE2EsNS0_10empty_typeEbEEZZNS1_14partition_implILS5_2ELb0ES3_jN6thrust23THRUST_200600_302600_NS6detail15normal_iteratorINSA_7pointerIsNSA_11hip_rocprim3tagENSA_11use_defaultESG_EEEEPS6_NSA_18transform_iteratorI7is_evenIsENSC_INSA_10device_ptrIsEEEESG_SG_EENS0_5tupleIJPsSJ_EEENSR_IJSJ_SJ_EEES6_PlJS6_EEE10hipError_tPvRmT3_T4_T5_T6_T7_T9_mT8_P12ihipStream_tbDpT10_ENKUlT_T0_E_clISt17integral_constantIbLb1EES1F_EEDaS1A_S1B_EUlS1A_E_NS1_11comp_targetILNS1_3genE0ELNS1_11target_archE4294967295ELNS1_3gpuE0ELNS1_3repE0EEENS1_30default_config_static_selectorELNS0_4arch9wavefront6targetE1EEEvT1_
	.p2align	8
	.type	_ZN7rocprim17ROCPRIM_400000_NS6detail17trampoline_kernelINS0_14default_configENS1_25partition_config_selectorILNS1_17partition_subalgoE2EsNS0_10empty_typeEbEEZZNS1_14partition_implILS5_2ELb0ES3_jN6thrust23THRUST_200600_302600_NS6detail15normal_iteratorINSA_7pointerIsNSA_11hip_rocprim3tagENSA_11use_defaultESG_EEEEPS6_NSA_18transform_iteratorI7is_evenIsENSC_INSA_10device_ptrIsEEEESG_SG_EENS0_5tupleIJPsSJ_EEENSR_IJSJ_SJ_EEES6_PlJS6_EEE10hipError_tPvRmT3_T4_T5_T6_T7_T9_mT8_P12ihipStream_tbDpT10_ENKUlT_T0_E_clISt17integral_constantIbLb1EES1F_EEDaS1A_S1B_EUlS1A_E_NS1_11comp_targetILNS1_3genE0ELNS1_11target_archE4294967295ELNS1_3gpuE0ELNS1_3repE0EEENS1_30default_config_static_selectorELNS0_4arch9wavefront6targetE1EEEvT1_,@function
_ZN7rocprim17ROCPRIM_400000_NS6detail17trampoline_kernelINS0_14default_configENS1_25partition_config_selectorILNS1_17partition_subalgoE2EsNS0_10empty_typeEbEEZZNS1_14partition_implILS5_2ELb0ES3_jN6thrust23THRUST_200600_302600_NS6detail15normal_iteratorINSA_7pointerIsNSA_11hip_rocprim3tagENSA_11use_defaultESG_EEEEPS6_NSA_18transform_iteratorI7is_evenIsENSC_INSA_10device_ptrIsEEEESG_SG_EENS0_5tupleIJPsSJ_EEENSR_IJSJ_SJ_EEES6_PlJS6_EEE10hipError_tPvRmT3_T4_T5_T6_T7_T9_mT8_P12ihipStream_tbDpT10_ENKUlT_T0_E_clISt17integral_constantIbLb1EES1F_EEDaS1A_S1B_EUlS1A_E_NS1_11comp_targetILNS1_3genE0ELNS1_11target_archE4294967295ELNS1_3gpuE0ELNS1_3repE0EEENS1_30default_config_static_selectorELNS0_4arch9wavefront6targetE1EEEvT1_: ; @_ZN7rocprim17ROCPRIM_400000_NS6detail17trampoline_kernelINS0_14default_configENS1_25partition_config_selectorILNS1_17partition_subalgoE2EsNS0_10empty_typeEbEEZZNS1_14partition_implILS5_2ELb0ES3_jN6thrust23THRUST_200600_302600_NS6detail15normal_iteratorINSA_7pointerIsNSA_11hip_rocprim3tagENSA_11use_defaultESG_EEEEPS6_NSA_18transform_iteratorI7is_evenIsENSC_INSA_10device_ptrIsEEEESG_SG_EENS0_5tupleIJPsSJ_EEENSR_IJSJ_SJ_EEES6_PlJS6_EEE10hipError_tPvRmT3_T4_T5_T6_T7_T9_mT8_P12ihipStream_tbDpT10_ENKUlT_T0_E_clISt17integral_constantIbLb1EES1F_EEDaS1A_S1B_EUlS1A_E_NS1_11comp_targetILNS1_3genE0ELNS1_11target_archE4294967295ELNS1_3gpuE0ELNS1_3repE0EEENS1_30default_config_static_selectorELNS0_4arch9wavefront6targetE1EEEvT1_
; %bb.0:
	.section	.rodata,"a",@progbits
	.p2align	6, 0x0
	.amdhsa_kernel _ZN7rocprim17ROCPRIM_400000_NS6detail17trampoline_kernelINS0_14default_configENS1_25partition_config_selectorILNS1_17partition_subalgoE2EsNS0_10empty_typeEbEEZZNS1_14partition_implILS5_2ELb0ES3_jN6thrust23THRUST_200600_302600_NS6detail15normal_iteratorINSA_7pointerIsNSA_11hip_rocprim3tagENSA_11use_defaultESG_EEEEPS6_NSA_18transform_iteratorI7is_evenIsENSC_INSA_10device_ptrIsEEEESG_SG_EENS0_5tupleIJPsSJ_EEENSR_IJSJ_SJ_EEES6_PlJS6_EEE10hipError_tPvRmT3_T4_T5_T6_T7_T9_mT8_P12ihipStream_tbDpT10_ENKUlT_T0_E_clISt17integral_constantIbLb1EES1F_EEDaS1A_S1B_EUlS1A_E_NS1_11comp_targetILNS1_3genE0ELNS1_11target_archE4294967295ELNS1_3gpuE0ELNS1_3repE0EEENS1_30default_config_static_selectorELNS0_4arch9wavefront6targetE1EEEvT1_
		.amdhsa_group_segment_fixed_size 0
		.amdhsa_private_segment_fixed_size 0
		.amdhsa_kernarg_size 144
		.amdhsa_user_sgpr_count 6
		.amdhsa_user_sgpr_private_segment_buffer 1
		.amdhsa_user_sgpr_dispatch_ptr 0
		.amdhsa_user_sgpr_queue_ptr 0
		.amdhsa_user_sgpr_kernarg_segment_ptr 1
		.amdhsa_user_sgpr_dispatch_id 0
		.amdhsa_user_sgpr_flat_scratch_init 0
		.amdhsa_user_sgpr_kernarg_preload_length 0
		.amdhsa_user_sgpr_kernarg_preload_offset 0
		.amdhsa_user_sgpr_private_segment_size 0
		.amdhsa_uses_dynamic_stack 0
		.amdhsa_system_sgpr_private_segment_wavefront_offset 0
		.amdhsa_system_sgpr_workgroup_id_x 1
		.amdhsa_system_sgpr_workgroup_id_y 0
		.amdhsa_system_sgpr_workgroup_id_z 0
		.amdhsa_system_sgpr_workgroup_info 0
		.amdhsa_system_vgpr_workitem_id 0
		.amdhsa_next_free_vgpr 1
		.amdhsa_next_free_sgpr 0
		.amdhsa_accum_offset 4
		.amdhsa_reserve_vcc 0
		.amdhsa_reserve_flat_scratch 0
		.amdhsa_float_round_mode_32 0
		.amdhsa_float_round_mode_16_64 0
		.amdhsa_float_denorm_mode_32 3
		.amdhsa_float_denorm_mode_16_64 3
		.amdhsa_dx10_clamp 1
		.amdhsa_ieee_mode 1
		.amdhsa_fp16_overflow 0
		.amdhsa_tg_split 0
		.amdhsa_exception_fp_ieee_invalid_op 0
		.amdhsa_exception_fp_denorm_src 0
		.amdhsa_exception_fp_ieee_div_zero 0
		.amdhsa_exception_fp_ieee_overflow 0
		.amdhsa_exception_fp_ieee_underflow 0
		.amdhsa_exception_fp_ieee_inexact 0
		.amdhsa_exception_int_div_zero 0
	.end_amdhsa_kernel
	.section	.text._ZN7rocprim17ROCPRIM_400000_NS6detail17trampoline_kernelINS0_14default_configENS1_25partition_config_selectorILNS1_17partition_subalgoE2EsNS0_10empty_typeEbEEZZNS1_14partition_implILS5_2ELb0ES3_jN6thrust23THRUST_200600_302600_NS6detail15normal_iteratorINSA_7pointerIsNSA_11hip_rocprim3tagENSA_11use_defaultESG_EEEEPS6_NSA_18transform_iteratorI7is_evenIsENSC_INSA_10device_ptrIsEEEESG_SG_EENS0_5tupleIJPsSJ_EEENSR_IJSJ_SJ_EEES6_PlJS6_EEE10hipError_tPvRmT3_T4_T5_T6_T7_T9_mT8_P12ihipStream_tbDpT10_ENKUlT_T0_E_clISt17integral_constantIbLb1EES1F_EEDaS1A_S1B_EUlS1A_E_NS1_11comp_targetILNS1_3genE0ELNS1_11target_archE4294967295ELNS1_3gpuE0ELNS1_3repE0EEENS1_30default_config_static_selectorELNS0_4arch9wavefront6targetE1EEEvT1_,"axG",@progbits,_ZN7rocprim17ROCPRIM_400000_NS6detail17trampoline_kernelINS0_14default_configENS1_25partition_config_selectorILNS1_17partition_subalgoE2EsNS0_10empty_typeEbEEZZNS1_14partition_implILS5_2ELb0ES3_jN6thrust23THRUST_200600_302600_NS6detail15normal_iteratorINSA_7pointerIsNSA_11hip_rocprim3tagENSA_11use_defaultESG_EEEEPS6_NSA_18transform_iteratorI7is_evenIsENSC_INSA_10device_ptrIsEEEESG_SG_EENS0_5tupleIJPsSJ_EEENSR_IJSJ_SJ_EEES6_PlJS6_EEE10hipError_tPvRmT3_T4_T5_T6_T7_T9_mT8_P12ihipStream_tbDpT10_ENKUlT_T0_E_clISt17integral_constantIbLb1EES1F_EEDaS1A_S1B_EUlS1A_E_NS1_11comp_targetILNS1_3genE0ELNS1_11target_archE4294967295ELNS1_3gpuE0ELNS1_3repE0EEENS1_30default_config_static_selectorELNS0_4arch9wavefront6targetE1EEEvT1_,comdat
.Lfunc_end264:
	.size	_ZN7rocprim17ROCPRIM_400000_NS6detail17trampoline_kernelINS0_14default_configENS1_25partition_config_selectorILNS1_17partition_subalgoE2EsNS0_10empty_typeEbEEZZNS1_14partition_implILS5_2ELb0ES3_jN6thrust23THRUST_200600_302600_NS6detail15normal_iteratorINSA_7pointerIsNSA_11hip_rocprim3tagENSA_11use_defaultESG_EEEEPS6_NSA_18transform_iteratorI7is_evenIsENSC_INSA_10device_ptrIsEEEESG_SG_EENS0_5tupleIJPsSJ_EEENSR_IJSJ_SJ_EEES6_PlJS6_EEE10hipError_tPvRmT3_T4_T5_T6_T7_T9_mT8_P12ihipStream_tbDpT10_ENKUlT_T0_E_clISt17integral_constantIbLb1EES1F_EEDaS1A_S1B_EUlS1A_E_NS1_11comp_targetILNS1_3genE0ELNS1_11target_archE4294967295ELNS1_3gpuE0ELNS1_3repE0EEENS1_30default_config_static_selectorELNS0_4arch9wavefront6targetE1EEEvT1_, .Lfunc_end264-_ZN7rocprim17ROCPRIM_400000_NS6detail17trampoline_kernelINS0_14default_configENS1_25partition_config_selectorILNS1_17partition_subalgoE2EsNS0_10empty_typeEbEEZZNS1_14partition_implILS5_2ELb0ES3_jN6thrust23THRUST_200600_302600_NS6detail15normal_iteratorINSA_7pointerIsNSA_11hip_rocprim3tagENSA_11use_defaultESG_EEEEPS6_NSA_18transform_iteratorI7is_evenIsENSC_INSA_10device_ptrIsEEEESG_SG_EENS0_5tupleIJPsSJ_EEENSR_IJSJ_SJ_EEES6_PlJS6_EEE10hipError_tPvRmT3_T4_T5_T6_T7_T9_mT8_P12ihipStream_tbDpT10_ENKUlT_T0_E_clISt17integral_constantIbLb1EES1F_EEDaS1A_S1B_EUlS1A_E_NS1_11comp_targetILNS1_3genE0ELNS1_11target_archE4294967295ELNS1_3gpuE0ELNS1_3repE0EEENS1_30default_config_static_selectorELNS0_4arch9wavefront6targetE1EEEvT1_
                                        ; -- End function
	.section	.AMDGPU.csdata,"",@progbits
; Kernel info:
; codeLenInByte = 0
; NumSgprs: 4
; NumVgprs: 0
; NumAgprs: 0
; TotalNumVgprs: 0
; ScratchSize: 0
; MemoryBound: 0
; FloatMode: 240
; IeeeMode: 1
; LDSByteSize: 0 bytes/workgroup (compile time only)
; SGPRBlocks: 0
; VGPRBlocks: 0
; NumSGPRsForWavesPerEU: 4
; NumVGPRsForWavesPerEU: 1
; AccumOffset: 4
; Occupancy: 8
; WaveLimiterHint : 0
; COMPUTE_PGM_RSRC2:SCRATCH_EN: 0
; COMPUTE_PGM_RSRC2:USER_SGPR: 6
; COMPUTE_PGM_RSRC2:TRAP_HANDLER: 0
; COMPUTE_PGM_RSRC2:TGID_X_EN: 1
; COMPUTE_PGM_RSRC2:TGID_Y_EN: 0
; COMPUTE_PGM_RSRC2:TGID_Z_EN: 0
; COMPUTE_PGM_RSRC2:TIDIG_COMP_CNT: 0
; COMPUTE_PGM_RSRC3_GFX90A:ACCUM_OFFSET: 0
; COMPUTE_PGM_RSRC3_GFX90A:TG_SPLIT: 0
	.section	.text._ZN7rocprim17ROCPRIM_400000_NS6detail17trampoline_kernelINS0_14default_configENS1_25partition_config_selectorILNS1_17partition_subalgoE2EsNS0_10empty_typeEbEEZZNS1_14partition_implILS5_2ELb0ES3_jN6thrust23THRUST_200600_302600_NS6detail15normal_iteratorINSA_7pointerIsNSA_11hip_rocprim3tagENSA_11use_defaultESG_EEEEPS6_NSA_18transform_iteratorI7is_evenIsENSC_INSA_10device_ptrIsEEEESG_SG_EENS0_5tupleIJPsSJ_EEENSR_IJSJ_SJ_EEES6_PlJS6_EEE10hipError_tPvRmT3_T4_T5_T6_T7_T9_mT8_P12ihipStream_tbDpT10_ENKUlT_T0_E_clISt17integral_constantIbLb1EES1F_EEDaS1A_S1B_EUlS1A_E_NS1_11comp_targetILNS1_3genE5ELNS1_11target_archE942ELNS1_3gpuE9ELNS1_3repE0EEENS1_30default_config_static_selectorELNS0_4arch9wavefront6targetE1EEEvT1_,"axG",@progbits,_ZN7rocprim17ROCPRIM_400000_NS6detail17trampoline_kernelINS0_14default_configENS1_25partition_config_selectorILNS1_17partition_subalgoE2EsNS0_10empty_typeEbEEZZNS1_14partition_implILS5_2ELb0ES3_jN6thrust23THRUST_200600_302600_NS6detail15normal_iteratorINSA_7pointerIsNSA_11hip_rocprim3tagENSA_11use_defaultESG_EEEEPS6_NSA_18transform_iteratorI7is_evenIsENSC_INSA_10device_ptrIsEEEESG_SG_EENS0_5tupleIJPsSJ_EEENSR_IJSJ_SJ_EEES6_PlJS6_EEE10hipError_tPvRmT3_T4_T5_T6_T7_T9_mT8_P12ihipStream_tbDpT10_ENKUlT_T0_E_clISt17integral_constantIbLb1EES1F_EEDaS1A_S1B_EUlS1A_E_NS1_11comp_targetILNS1_3genE5ELNS1_11target_archE942ELNS1_3gpuE9ELNS1_3repE0EEENS1_30default_config_static_selectorELNS0_4arch9wavefront6targetE1EEEvT1_,comdat
	.protected	_ZN7rocprim17ROCPRIM_400000_NS6detail17trampoline_kernelINS0_14default_configENS1_25partition_config_selectorILNS1_17partition_subalgoE2EsNS0_10empty_typeEbEEZZNS1_14partition_implILS5_2ELb0ES3_jN6thrust23THRUST_200600_302600_NS6detail15normal_iteratorINSA_7pointerIsNSA_11hip_rocprim3tagENSA_11use_defaultESG_EEEEPS6_NSA_18transform_iteratorI7is_evenIsENSC_INSA_10device_ptrIsEEEESG_SG_EENS0_5tupleIJPsSJ_EEENSR_IJSJ_SJ_EEES6_PlJS6_EEE10hipError_tPvRmT3_T4_T5_T6_T7_T9_mT8_P12ihipStream_tbDpT10_ENKUlT_T0_E_clISt17integral_constantIbLb1EES1F_EEDaS1A_S1B_EUlS1A_E_NS1_11comp_targetILNS1_3genE5ELNS1_11target_archE942ELNS1_3gpuE9ELNS1_3repE0EEENS1_30default_config_static_selectorELNS0_4arch9wavefront6targetE1EEEvT1_ ; -- Begin function _ZN7rocprim17ROCPRIM_400000_NS6detail17trampoline_kernelINS0_14default_configENS1_25partition_config_selectorILNS1_17partition_subalgoE2EsNS0_10empty_typeEbEEZZNS1_14partition_implILS5_2ELb0ES3_jN6thrust23THRUST_200600_302600_NS6detail15normal_iteratorINSA_7pointerIsNSA_11hip_rocprim3tagENSA_11use_defaultESG_EEEEPS6_NSA_18transform_iteratorI7is_evenIsENSC_INSA_10device_ptrIsEEEESG_SG_EENS0_5tupleIJPsSJ_EEENSR_IJSJ_SJ_EEES6_PlJS6_EEE10hipError_tPvRmT3_T4_T5_T6_T7_T9_mT8_P12ihipStream_tbDpT10_ENKUlT_T0_E_clISt17integral_constantIbLb1EES1F_EEDaS1A_S1B_EUlS1A_E_NS1_11comp_targetILNS1_3genE5ELNS1_11target_archE942ELNS1_3gpuE9ELNS1_3repE0EEENS1_30default_config_static_selectorELNS0_4arch9wavefront6targetE1EEEvT1_
	.globl	_ZN7rocprim17ROCPRIM_400000_NS6detail17trampoline_kernelINS0_14default_configENS1_25partition_config_selectorILNS1_17partition_subalgoE2EsNS0_10empty_typeEbEEZZNS1_14partition_implILS5_2ELb0ES3_jN6thrust23THRUST_200600_302600_NS6detail15normal_iteratorINSA_7pointerIsNSA_11hip_rocprim3tagENSA_11use_defaultESG_EEEEPS6_NSA_18transform_iteratorI7is_evenIsENSC_INSA_10device_ptrIsEEEESG_SG_EENS0_5tupleIJPsSJ_EEENSR_IJSJ_SJ_EEES6_PlJS6_EEE10hipError_tPvRmT3_T4_T5_T6_T7_T9_mT8_P12ihipStream_tbDpT10_ENKUlT_T0_E_clISt17integral_constantIbLb1EES1F_EEDaS1A_S1B_EUlS1A_E_NS1_11comp_targetILNS1_3genE5ELNS1_11target_archE942ELNS1_3gpuE9ELNS1_3repE0EEENS1_30default_config_static_selectorELNS0_4arch9wavefront6targetE1EEEvT1_
	.p2align	8
	.type	_ZN7rocprim17ROCPRIM_400000_NS6detail17trampoline_kernelINS0_14default_configENS1_25partition_config_selectorILNS1_17partition_subalgoE2EsNS0_10empty_typeEbEEZZNS1_14partition_implILS5_2ELb0ES3_jN6thrust23THRUST_200600_302600_NS6detail15normal_iteratorINSA_7pointerIsNSA_11hip_rocprim3tagENSA_11use_defaultESG_EEEEPS6_NSA_18transform_iteratorI7is_evenIsENSC_INSA_10device_ptrIsEEEESG_SG_EENS0_5tupleIJPsSJ_EEENSR_IJSJ_SJ_EEES6_PlJS6_EEE10hipError_tPvRmT3_T4_T5_T6_T7_T9_mT8_P12ihipStream_tbDpT10_ENKUlT_T0_E_clISt17integral_constantIbLb1EES1F_EEDaS1A_S1B_EUlS1A_E_NS1_11comp_targetILNS1_3genE5ELNS1_11target_archE942ELNS1_3gpuE9ELNS1_3repE0EEENS1_30default_config_static_selectorELNS0_4arch9wavefront6targetE1EEEvT1_,@function
_ZN7rocprim17ROCPRIM_400000_NS6detail17trampoline_kernelINS0_14default_configENS1_25partition_config_selectorILNS1_17partition_subalgoE2EsNS0_10empty_typeEbEEZZNS1_14partition_implILS5_2ELb0ES3_jN6thrust23THRUST_200600_302600_NS6detail15normal_iteratorINSA_7pointerIsNSA_11hip_rocprim3tagENSA_11use_defaultESG_EEEEPS6_NSA_18transform_iteratorI7is_evenIsENSC_INSA_10device_ptrIsEEEESG_SG_EENS0_5tupleIJPsSJ_EEENSR_IJSJ_SJ_EEES6_PlJS6_EEE10hipError_tPvRmT3_T4_T5_T6_T7_T9_mT8_P12ihipStream_tbDpT10_ENKUlT_T0_E_clISt17integral_constantIbLb1EES1F_EEDaS1A_S1B_EUlS1A_E_NS1_11comp_targetILNS1_3genE5ELNS1_11target_archE942ELNS1_3gpuE9ELNS1_3repE0EEENS1_30default_config_static_selectorELNS0_4arch9wavefront6targetE1EEEvT1_: ; @_ZN7rocprim17ROCPRIM_400000_NS6detail17trampoline_kernelINS0_14default_configENS1_25partition_config_selectorILNS1_17partition_subalgoE2EsNS0_10empty_typeEbEEZZNS1_14partition_implILS5_2ELb0ES3_jN6thrust23THRUST_200600_302600_NS6detail15normal_iteratorINSA_7pointerIsNSA_11hip_rocprim3tagENSA_11use_defaultESG_EEEEPS6_NSA_18transform_iteratorI7is_evenIsENSC_INSA_10device_ptrIsEEEESG_SG_EENS0_5tupleIJPsSJ_EEENSR_IJSJ_SJ_EEES6_PlJS6_EEE10hipError_tPvRmT3_T4_T5_T6_T7_T9_mT8_P12ihipStream_tbDpT10_ENKUlT_T0_E_clISt17integral_constantIbLb1EES1F_EEDaS1A_S1B_EUlS1A_E_NS1_11comp_targetILNS1_3genE5ELNS1_11target_archE942ELNS1_3gpuE9ELNS1_3repE0EEENS1_30default_config_static_selectorELNS0_4arch9wavefront6targetE1EEEvT1_
; %bb.0:
	.section	.rodata,"a",@progbits
	.p2align	6, 0x0
	.amdhsa_kernel _ZN7rocprim17ROCPRIM_400000_NS6detail17trampoline_kernelINS0_14default_configENS1_25partition_config_selectorILNS1_17partition_subalgoE2EsNS0_10empty_typeEbEEZZNS1_14partition_implILS5_2ELb0ES3_jN6thrust23THRUST_200600_302600_NS6detail15normal_iteratorINSA_7pointerIsNSA_11hip_rocprim3tagENSA_11use_defaultESG_EEEEPS6_NSA_18transform_iteratorI7is_evenIsENSC_INSA_10device_ptrIsEEEESG_SG_EENS0_5tupleIJPsSJ_EEENSR_IJSJ_SJ_EEES6_PlJS6_EEE10hipError_tPvRmT3_T4_T5_T6_T7_T9_mT8_P12ihipStream_tbDpT10_ENKUlT_T0_E_clISt17integral_constantIbLb1EES1F_EEDaS1A_S1B_EUlS1A_E_NS1_11comp_targetILNS1_3genE5ELNS1_11target_archE942ELNS1_3gpuE9ELNS1_3repE0EEENS1_30default_config_static_selectorELNS0_4arch9wavefront6targetE1EEEvT1_
		.amdhsa_group_segment_fixed_size 0
		.amdhsa_private_segment_fixed_size 0
		.amdhsa_kernarg_size 144
		.amdhsa_user_sgpr_count 6
		.amdhsa_user_sgpr_private_segment_buffer 1
		.amdhsa_user_sgpr_dispatch_ptr 0
		.amdhsa_user_sgpr_queue_ptr 0
		.amdhsa_user_sgpr_kernarg_segment_ptr 1
		.amdhsa_user_sgpr_dispatch_id 0
		.amdhsa_user_sgpr_flat_scratch_init 0
		.amdhsa_user_sgpr_kernarg_preload_length 0
		.amdhsa_user_sgpr_kernarg_preload_offset 0
		.amdhsa_user_sgpr_private_segment_size 0
		.amdhsa_uses_dynamic_stack 0
		.amdhsa_system_sgpr_private_segment_wavefront_offset 0
		.amdhsa_system_sgpr_workgroup_id_x 1
		.amdhsa_system_sgpr_workgroup_id_y 0
		.amdhsa_system_sgpr_workgroup_id_z 0
		.amdhsa_system_sgpr_workgroup_info 0
		.amdhsa_system_vgpr_workitem_id 0
		.amdhsa_next_free_vgpr 1
		.amdhsa_next_free_sgpr 0
		.amdhsa_accum_offset 4
		.amdhsa_reserve_vcc 0
		.amdhsa_reserve_flat_scratch 0
		.amdhsa_float_round_mode_32 0
		.amdhsa_float_round_mode_16_64 0
		.amdhsa_float_denorm_mode_32 3
		.amdhsa_float_denorm_mode_16_64 3
		.amdhsa_dx10_clamp 1
		.amdhsa_ieee_mode 1
		.amdhsa_fp16_overflow 0
		.amdhsa_tg_split 0
		.amdhsa_exception_fp_ieee_invalid_op 0
		.amdhsa_exception_fp_denorm_src 0
		.amdhsa_exception_fp_ieee_div_zero 0
		.amdhsa_exception_fp_ieee_overflow 0
		.amdhsa_exception_fp_ieee_underflow 0
		.amdhsa_exception_fp_ieee_inexact 0
		.amdhsa_exception_int_div_zero 0
	.end_amdhsa_kernel
	.section	.text._ZN7rocprim17ROCPRIM_400000_NS6detail17trampoline_kernelINS0_14default_configENS1_25partition_config_selectorILNS1_17partition_subalgoE2EsNS0_10empty_typeEbEEZZNS1_14partition_implILS5_2ELb0ES3_jN6thrust23THRUST_200600_302600_NS6detail15normal_iteratorINSA_7pointerIsNSA_11hip_rocprim3tagENSA_11use_defaultESG_EEEEPS6_NSA_18transform_iteratorI7is_evenIsENSC_INSA_10device_ptrIsEEEESG_SG_EENS0_5tupleIJPsSJ_EEENSR_IJSJ_SJ_EEES6_PlJS6_EEE10hipError_tPvRmT3_T4_T5_T6_T7_T9_mT8_P12ihipStream_tbDpT10_ENKUlT_T0_E_clISt17integral_constantIbLb1EES1F_EEDaS1A_S1B_EUlS1A_E_NS1_11comp_targetILNS1_3genE5ELNS1_11target_archE942ELNS1_3gpuE9ELNS1_3repE0EEENS1_30default_config_static_selectorELNS0_4arch9wavefront6targetE1EEEvT1_,"axG",@progbits,_ZN7rocprim17ROCPRIM_400000_NS6detail17trampoline_kernelINS0_14default_configENS1_25partition_config_selectorILNS1_17partition_subalgoE2EsNS0_10empty_typeEbEEZZNS1_14partition_implILS5_2ELb0ES3_jN6thrust23THRUST_200600_302600_NS6detail15normal_iteratorINSA_7pointerIsNSA_11hip_rocprim3tagENSA_11use_defaultESG_EEEEPS6_NSA_18transform_iteratorI7is_evenIsENSC_INSA_10device_ptrIsEEEESG_SG_EENS0_5tupleIJPsSJ_EEENSR_IJSJ_SJ_EEES6_PlJS6_EEE10hipError_tPvRmT3_T4_T5_T6_T7_T9_mT8_P12ihipStream_tbDpT10_ENKUlT_T0_E_clISt17integral_constantIbLb1EES1F_EEDaS1A_S1B_EUlS1A_E_NS1_11comp_targetILNS1_3genE5ELNS1_11target_archE942ELNS1_3gpuE9ELNS1_3repE0EEENS1_30default_config_static_selectorELNS0_4arch9wavefront6targetE1EEEvT1_,comdat
.Lfunc_end265:
	.size	_ZN7rocprim17ROCPRIM_400000_NS6detail17trampoline_kernelINS0_14default_configENS1_25partition_config_selectorILNS1_17partition_subalgoE2EsNS0_10empty_typeEbEEZZNS1_14partition_implILS5_2ELb0ES3_jN6thrust23THRUST_200600_302600_NS6detail15normal_iteratorINSA_7pointerIsNSA_11hip_rocprim3tagENSA_11use_defaultESG_EEEEPS6_NSA_18transform_iteratorI7is_evenIsENSC_INSA_10device_ptrIsEEEESG_SG_EENS0_5tupleIJPsSJ_EEENSR_IJSJ_SJ_EEES6_PlJS6_EEE10hipError_tPvRmT3_T4_T5_T6_T7_T9_mT8_P12ihipStream_tbDpT10_ENKUlT_T0_E_clISt17integral_constantIbLb1EES1F_EEDaS1A_S1B_EUlS1A_E_NS1_11comp_targetILNS1_3genE5ELNS1_11target_archE942ELNS1_3gpuE9ELNS1_3repE0EEENS1_30default_config_static_selectorELNS0_4arch9wavefront6targetE1EEEvT1_, .Lfunc_end265-_ZN7rocprim17ROCPRIM_400000_NS6detail17trampoline_kernelINS0_14default_configENS1_25partition_config_selectorILNS1_17partition_subalgoE2EsNS0_10empty_typeEbEEZZNS1_14partition_implILS5_2ELb0ES3_jN6thrust23THRUST_200600_302600_NS6detail15normal_iteratorINSA_7pointerIsNSA_11hip_rocprim3tagENSA_11use_defaultESG_EEEEPS6_NSA_18transform_iteratorI7is_evenIsENSC_INSA_10device_ptrIsEEEESG_SG_EENS0_5tupleIJPsSJ_EEENSR_IJSJ_SJ_EEES6_PlJS6_EEE10hipError_tPvRmT3_T4_T5_T6_T7_T9_mT8_P12ihipStream_tbDpT10_ENKUlT_T0_E_clISt17integral_constantIbLb1EES1F_EEDaS1A_S1B_EUlS1A_E_NS1_11comp_targetILNS1_3genE5ELNS1_11target_archE942ELNS1_3gpuE9ELNS1_3repE0EEENS1_30default_config_static_selectorELNS0_4arch9wavefront6targetE1EEEvT1_
                                        ; -- End function
	.section	.AMDGPU.csdata,"",@progbits
; Kernel info:
; codeLenInByte = 0
; NumSgprs: 4
; NumVgprs: 0
; NumAgprs: 0
; TotalNumVgprs: 0
; ScratchSize: 0
; MemoryBound: 0
; FloatMode: 240
; IeeeMode: 1
; LDSByteSize: 0 bytes/workgroup (compile time only)
; SGPRBlocks: 0
; VGPRBlocks: 0
; NumSGPRsForWavesPerEU: 4
; NumVGPRsForWavesPerEU: 1
; AccumOffset: 4
; Occupancy: 8
; WaveLimiterHint : 0
; COMPUTE_PGM_RSRC2:SCRATCH_EN: 0
; COMPUTE_PGM_RSRC2:USER_SGPR: 6
; COMPUTE_PGM_RSRC2:TRAP_HANDLER: 0
; COMPUTE_PGM_RSRC2:TGID_X_EN: 1
; COMPUTE_PGM_RSRC2:TGID_Y_EN: 0
; COMPUTE_PGM_RSRC2:TGID_Z_EN: 0
; COMPUTE_PGM_RSRC2:TIDIG_COMP_CNT: 0
; COMPUTE_PGM_RSRC3_GFX90A:ACCUM_OFFSET: 0
; COMPUTE_PGM_RSRC3_GFX90A:TG_SPLIT: 0
	.section	.text._ZN7rocprim17ROCPRIM_400000_NS6detail17trampoline_kernelINS0_14default_configENS1_25partition_config_selectorILNS1_17partition_subalgoE2EsNS0_10empty_typeEbEEZZNS1_14partition_implILS5_2ELb0ES3_jN6thrust23THRUST_200600_302600_NS6detail15normal_iteratorINSA_7pointerIsNSA_11hip_rocprim3tagENSA_11use_defaultESG_EEEEPS6_NSA_18transform_iteratorI7is_evenIsENSC_INSA_10device_ptrIsEEEESG_SG_EENS0_5tupleIJPsSJ_EEENSR_IJSJ_SJ_EEES6_PlJS6_EEE10hipError_tPvRmT3_T4_T5_T6_T7_T9_mT8_P12ihipStream_tbDpT10_ENKUlT_T0_E_clISt17integral_constantIbLb1EES1F_EEDaS1A_S1B_EUlS1A_E_NS1_11comp_targetILNS1_3genE4ELNS1_11target_archE910ELNS1_3gpuE8ELNS1_3repE0EEENS1_30default_config_static_selectorELNS0_4arch9wavefront6targetE1EEEvT1_,"axG",@progbits,_ZN7rocprim17ROCPRIM_400000_NS6detail17trampoline_kernelINS0_14default_configENS1_25partition_config_selectorILNS1_17partition_subalgoE2EsNS0_10empty_typeEbEEZZNS1_14partition_implILS5_2ELb0ES3_jN6thrust23THRUST_200600_302600_NS6detail15normal_iteratorINSA_7pointerIsNSA_11hip_rocprim3tagENSA_11use_defaultESG_EEEEPS6_NSA_18transform_iteratorI7is_evenIsENSC_INSA_10device_ptrIsEEEESG_SG_EENS0_5tupleIJPsSJ_EEENSR_IJSJ_SJ_EEES6_PlJS6_EEE10hipError_tPvRmT3_T4_T5_T6_T7_T9_mT8_P12ihipStream_tbDpT10_ENKUlT_T0_E_clISt17integral_constantIbLb1EES1F_EEDaS1A_S1B_EUlS1A_E_NS1_11comp_targetILNS1_3genE4ELNS1_11target_archE910ELNS1_3gpuE8ELNS1_3repE0EEENS1_30default_config_static_selectorELNS0_4arch9wavefront6targetE1EEEvT1_,comdat
	.protected	_ZN7rocprim17ROCPRIM_400000_NS6detail17trampoline_kernelINS0_14default_configENS1_25partition_config_selectorILNS1_17partition_subalgoE2EsNS0_10empty_typeEbEEZZNS1_14partition_implILS5_2ELb0ES3_jN6thrust23THRUST_200600_302600_NS6detail15normal_iteratorINSA_7pointerIsNSA_11hip_rocprim3tagENSA_11use_defaultESG_EEEEPS6_NSA_18transform_iteratorI7is_evenIsENSC_INSA_10device_ptrIsEEEESG_SG_EENS0_5tupleIJPsSJ_EEENSR_IJSJ_SJ_EEES6_PlJS6_EEE10hipError_tPvRmT3_T4_T5_T6_T7_T9_mT8_P12ihipStream_tbDpT10_ENKUlT_T0_E_clISt17integral_constantIbLb1EES1F_EEDaS1A_S1B_EUlS1A_E_NS1_11comp_targetILNS1_3genE4ELNS1_11target_archE910ELNS1_3gpuE8ELNS1_3repE0EEENS1_30default_config_static_selectorELNS0_4arch9wavefront6targetE1EEEvT1_ ; -- Begin function _ZN7rocprim17ROCPRIM_400000_NS6detail17trampoline_kernelINS0_14default_configENS1_25partition_config_selectorILNS1_17partition_subalgoE2EsNS0_10empty_typeEbEEZZNS1_14partition_implILS5_2ELb0ES3_jN6thrust23THRUST_200600_302600_NS6detail15normal_iteratorINSA_7pointerIsNSA_11hip_rocprim3tagENSA_11use_defaultESG_EEEEPS6_NSA_18transform_iteratorI7is_evenIsENSC_INSA_10device_ptrIsEEEESG_SG_EENS0_5tupleIJPsSJ_EEENSR_IJSJ_SJ_EEES6_PlJS6_EEE10hipError_tPvRmT3_T4_T5_T6_T7_T9_mT8_P12ihipStream_tbDpT10_ENKUlT_T0_E_clISt17integral_constantIbLb1EES1F_EEDaS1A_S1B_EUlS1A_E_NS1_11comp_targetILNS1_3genE4ELNS1_11target_archE910ELNS1_3gpuE8ELNS1_3repE0EEENS1_30default_config_static_selectorELNS0_4arch9wavefront6targetE1EEEvT1_
	.globl	_ZN7rocprim17ROCPRIM_400000_NS6detail17trampoline_kernelINS0_14default_configENS1_25partition_config_selectorILNS1_17partition_subalgoE2EsNS0_10empty_typeEbEEZZNS1_14partition_implILS5_2ELb0ES3_jN6thrust23THRUST_200600_302600_NS6detail15normal_iteratorINSA_7pointerIsNSA_11hip_rocprim3tagENSA_11use_defaultESG_EEEEPS6_NSA_18transform_iteratorI7is_evenIsENSC_INSA_10device_ptrIsEEEESG_SG_EENS0_5tupleIJPsSJ_EEENSR_IJSJ_SJ_EEES6_PlJS6_EEE10hipError_tPvRmT3_T4_T5_T6_T7_T9_mT8_P12ihipStream_tbDpT10_ENKUlT_T0_E_clISt17integral_constantIbLb1EES1F_EEDaS1A_S1B_EUlS1A_E_NS1_11comp_targetILNS1_3genE4ELNS1_11target_archE910ELNS1_3gpuE8ELNS1_3repE0EEENS1_30default_config_static_selectorELNS0_4arch9wavefront6targetE1EEEvT1_
	.p2align	8
	.type	_ZN7rocprim17ROCPRIM_400000_NS6detail17trampoline_kernelINS0_14default_configENS1_25partition_config_selectorILNS1_17partition_subalgoE2EsNS0_10empty_typeEbEEZZNS1_14partition_implILS5_2ELb0ES3_jN6thrust23THRUST_200600_302600_NS6detail15normal_iteratorINSA_7pointerIsNSA_11hip_rocprim3tagENSA_11use_defaultESG_EEEEPS6_NSA_18transform_iteratorI7is_evenIsENSC_INSA_10device_ptrIsEEEESG_SG_EENS0_5tupleIJPsSJ_EEENSR_IJSJ_SJ_EEES6_PlJS6_EEE10hipError_tPvRmT3_T4_T5_T6_T7_T9_mT8_P12ihipStream_tbDpT10_ENKUlT_T0_E_clISt17integral_constantIbLb1EES1F_EEDaS1A_S1B_EUlS1A_E_NS1_11comp_targetILNS1_3genE4ELNS1_11target_archE910ELNS1_3gpuE8ELNS1_3repE0EEENS1_30default_config_static_selectorELNS0_4arch9wavefront6targetE1EEEvT1_,@function
_ZN7rocprim17ROCPRIM_400000_NS6detail17trampoline_kernelINS0_14default_configENS1_25partition_config_selectorILNS1_17partition_subalgoE2EsNS0_10empty_typeEbEEZZNS1_14partition_implILS5_2ELb0ES3_jN6thrust23THRUST_200600_302600_NS6detail15normal_iteratorINSA_7pointerIsNSA_11hip_rocprim3tagENSA_11use_defaultESG_EEEEPS6_NSA_18transform_iteratorI7is_evenIsENSC_INSA_10device_ptrIsEEEESG_SG_EENS0_5tupleIJPsSJ_EEENSR_IJSJ_SJ_EEES6_PlJS6_EEE10hipError_tPvRmT3_T4_T5_T6_T7_T9_mT8_P12ihipStream_tbDpT10_ENKUlT_T0_E_clISt17integral_constantIbLb1EES1F_EEDaS1A_S1B_EUlS1A_E_NS1_11comp_targetILNS1_3genE4ELNS1_11target_archE910ELNS1_3gpuE8ELNS1_3repE0EEENS1_30default_config_static_selectorELNS0_4arch9wavefront6targetE1EEEvT1_: ; @_ZN7rocprim17ROCPRIM_400000_NS6detail17trampoline_kernelINS0_14default_configENS1_25partition_config_selectorILNS1_17partition_subalgoE2EsNS0_10empty_typeEbEEZZNS1_14partition_implILS5_2ELb0ES3_jN6thrust23THRUST_200600_302600_NS6detail15normal_iteratorINSA_7pointerIsNSA_11hip_rocprim3tagENSA_11use_defaultESG_EEEEPS6_NSA_18transform_iteratorI7is_evenIsENSC_INSA_10device_ptrIsEEEESG_SG_EENS0_5tupleIJPsSJ_EEENSR_IJSJ_SJ_EEES6_PlJS6_EEE10hipError_tPvRmT3_T4_T5_T6_T7_T9_mT8_P12ihipStream_tbDpT10_ENKUlT_T0_E_clISt17integral_constantIbLb1EES1F_EEDaS1A_S1B_EUlS1A_E_NS1_11comp_targetILNS1_3genE4ELNS1_11target_archE910ELNS1_3gpuE8ELNS1_3repE0EEENS1_30default_config_static_selectorELNS0_4arch9wavefront6targetE1EEEvT1_
; %bb.0:
	s_load_dwordx2 s[6:7], s[4:5], 0x20
	s_load_dwordx2 s[24:25], s[4:5], 0x30
	s_load_dwordx2 s[26:27], s[4:5], 0x60
	s_load_dwordx4 s[20:23], s[4:5], 0x50
	s_load_dwordx2 s[34:35], s[4:5], 0x70
	v_cmp_eq_u32_e64 s[0:1], 0, v0
	s_and_saveexec_b64 s[2:3], s[0:1]
	s_cbranch_execz .LBB266_4
; %bb.1:
	s_mov_b64 s[10:11], exec
	v_mbcnt_lo_u32_b32 v1, s10, 0
	v_mbcnt_hi_u32_b32 v1, s11, v1
	v_cmp_eq_u32_e32 vcc, 0, v1
                                        ; implicit-def: $vgpr2
	s_and_saveexec_b64 s[8:9], vcc
	s_cbranch_execz .LBB266_3
; %bb.2:
	s_load_dwordx2 s[12:13], s[4:5], 0x80
	s_bcnt1_i32_b64 s10, s[10:11]
	v_mov_b32_e32 v2, 0
	v_mov_b32_e32 v3, s10
	s_waitcnt lgkmcnt(0)
	global_atomic_add v2, v2, v3, s[12:13] glc
.LBB266_3:
	s_or_b64 exec, exec, s[8:9]
	s_waitcnt vmcnt(0)
	v_readfirstlane_b32 s8, v2
	v_add_u32_e32 v1, s8, v1
	v_mov_b32_e32 v2, 0
	ds_write_b32 v2, v1
.LBB266_4:
	s_or_b64 exec, exec, s[2:3]
	v_mov_b32_e32 v1, 0
	s_load_dwordx4 s[16:19], s[4:5], 0x8
	s_load_dword s2, s[4:5], 0x78
	s_waitcnt lgkmcnt(0)
	s_barrier
	ds_read_b32 v2, v1
	s_waitcnt lgkmcnt(0)
	s_barrier
	global_load_dwordx2 v[12:13], v1, s[22:23]
	s_lshl_b64 s[4:5], s[18:19], 1
	s_add_u32 s10, s16, s4
	s_addc_u32 s11, s17, s5
	s_add_i32 s8, s2, -1
	s_mulk_i32 s2, 0x1400
	s_add_i32 s3, s2, s18
	s_sub_i32 s33, s26, s3
	s_addk_i32 s33, 0x1400
	s_add_u32 s2, s18, s2
	v_readfirstlane_b32 s42, v2
	s_addc_u32 s3, s19, 0
	s_cmp_eq_u32 s42, s8
	v_pk_mov_b32 v[2:3], s[26:27], s[26:27] op_sel:[0,1]
	s_cselect_b64 s[22:23], -1, 0
	s_cmp_lg_u32 s42, s8
	s_mul_i32 s28, s42, 0x1400
	s_mov_b32 s29, 0
	v_cmp_lt_u64_e32 vcc, s[2:3], v[2:3]
	s_cselect_b64 s[2:3], -1, 0
	s_or_b64 s[30:31], vcc, s[2:3]
	s_lshl_b64 s[8:9], s[28:29], 1
	s_add_u32 s12, s10, s8
	s_addc_u32 s13, s11, s9
	s_mov_b64 s[2:3], -1
	s_and_b64 vcc, exec, s[30:31]
	v_lshlrev_b32_e32 v1, 1, v0
	s_cbranch_vccz .LBB266_6
; %bb.5:
	v_mov_b32_e32 v3, s13
	v_add_co_u32_e32 v2, vcc, s12, v1
	v_addc_co_u32_e32 v3, vcc, 0, v3, vcc
	v_add_co_u32_e32 v4, vcc, 0x1000, v2
	v_addc_co_u32_e32 v5, vcc, 0, v3, vcc
	flat_load_ushort v6, v[2:3]
	flat_load_ushort v7, v[2:3] offset:512
	flat_load_ushort v8, v[2:3] offset:1024
	;; [unrolled: 1-line block ×7, first 2 shown]
	v_add_co_u32_e32 v2, vcc, 0x2000, v2
	v_addc_co_u32_e32 v3, vcc, 0, v3, vcc
	flat_load_ushort v16, v[4:5]
	flat_load_ushort v17, v[4:5] offset:512
	flat_load_ushort v18, v[4:5] offset:1024
	;; [unrolled: 1-line block ×7, first 2 shown]
	s_nop 0
	flat_load_ushort v4, v[2:3]
	flat_load_ushort v5, v[2:3] offset:512
	flat_load_ushort v24, v[2:3] offset:1024
	;; [unrolled: 1-line block ×3, first 2 shown]
	s_mov_b64 s[2:3], 0
	s_waitcnt vmcnt(0) lgkmcnt(0)
	ds_write_b16 v1, v6
	ds_write_b16 v1, v7 offset:512
	ds_write_b16 v1, v8 offset:1024
	;; [unrolled: 1-line block ×19, first 2 shown]
	s_waitcnt lgkmcnt(0)
	s_barrier
.LBB266_6:
	s_andn2_b64 vcc, exec, s[2:3]
	v_cmp_gt_u32_e64 s[2:3], s33, v0
	s_cbranch_vccnz .LBB266_48
; %bb.7:
                                        ; implicit-def: $vgpr2
	s_and_saveexec_b64 s[10:11], s[2:3]
	s_cbranch_execz .LBB266_9
; %bb.8:
	v_mov_b32_e32 v3, s13
	v_add_co_u32_e32 v2, vcc, s12, v1
	v_addc_co_u32_e32 v3, vcc, 0, v3, vcc
	flat_load_ushort v2, v[2:3]
.LBB266_9:
	s_or_b64 exec, exec, s[10:11]
	v_or_b32_e32 v3, 0x100, v0
	v_cmp_gt_u32_e32 vcc, s33, v3
                                        ; implicit-def: $vgpr3
	s_and_saveexec_b64 s[2:3], vcc
	s_cbranch_execz .LBB266_11
; %bb.10:
	v_mov_b32_e32 v3, s13
	v_add_co_u32_e32 v4, vcc, s12, v1
	v_addc_co_u32_e32 v5, vcc, 0, v3, vcc
	flat_load_ushort v3, v[4:5] offset:512
.LBB266_11:
	s_or_b64 exec, exec, s[2:3]
	v_or_b32_e32 v4, 0x200, v0
	v_cmp_gt_u32_e32 vcc, s33, v4
                                        ; implicit-def: $vgpr4
	s_and_saveexec_b64 s[2:3], vcc
	s_cbranch_execz .LBB266_13
; %bb.12:
	v_mov_b32_e32 v5, s13
	v_add_co_u32_e32 v4, vcc, s12, v1
	v_addc_co_u32_e32 v5, vcc, 0, v5, vcc
	flat_load_ushort v4, v[4:5] offset:1024
.LBB266_13:
	s_or_b64 exec, exec, s[2:3]
	v_or_b32_e32 v5, 0x300, v0
	v_cmp_gt_u32_e32 vcc, s33, v5
                                        ; implicit-def: $vgpr5
	s_and_saveexec_b64 s[2:3], vcc
	s_cbranch_execz .LBB266_15
; %bb.14:
	v_mov_b32_e32 v5, s13
	v_add_co_u32_e32 v6, vcc, s12, v1
	v_addc_co_u32_e32 v7, vcc, 0, v5, vcc
	flat_load_ushort v5, v[6:7] offset:1536
.LBB266_15:
	s_or_b64 exec, exec, s[2:3]
	v_or_b32_e32 v6, 0x400, v0
	v_cmp_gt_u32_e32 vcc, s33, v6
                                        ; implicit-def: $vgpr6
	s_and_saveexec_b64 s[2:3], vcc
	s_cbranch_execz .LBB266_17
; %bb.16:
	v_mov_b32_e32 v7, s13
	v_add_co_u32_e32 v6, vcc, s12, v1
	v_addc_co_u32_e32 v7, vcc, 0, v7, vcc
	flat_load_ushort v6, v[6:7] offset:2048
.LBB266_17:
	s_or_b64 exec, exec, s[2:3]
	v_or_b32_e32 v7, 0x500, v0
	v_cmp_gt_u32_e32 vcc, s33, v7
                                        ; implicit-def: $vgpr7
	s_and_saveexec_b64 s[2:3], vcc
	s_cbranch_execz .LBB266_19
; %bb.18:
	v_mov_b32_e32 v7, s13
	v_add_co_u32_e32 v8, vcc, s12, v1
	v_addc_co_u32_e32 v9, vcc, 0, v7, vcc
	flat_load_ushort v7, v[8:9] offset:2560
.LBB266_19:
	s_or_b64 exec, exec, s[2:3]
	v_or_b32_e32 v8, 0x600, v0
	v_cmp_gt_u32_e32 vcc, s33, v8
                                        ; implicit-def: $vgpr8
	s_and_saveexec_b64 s[2:3], vcc
	s_cbranch_execz .LBB266_21
; %bb.20:
	v_mov_b32_e32 v9, s13
	v_add_co_u32_e32 v8, vcc, s12, v1
	v_addc_co_u32_e32 v9, vcc, 0, v9, vcc
	flat_load_ushort v8, v[8:9] offset:3072
.LBB266_21:
	s_or_b64 exec, exec, s[2:3]
	v_or_b32_e32 v9, 0x700, v0
	v_cmp_gt_u32_e32 vcc, s33, v9
                                        ; implicit-def: $vgpr9
	s_and_saveexec_b64 s[2:3], vcc
	s_cbranch_execz .LBB266_23
; %bb.22:
	v_mov_b32_e32 v9, s13
	v_add_co_u32_e32 v10, vcc, s12, v1
	v_addc_co_u32_e32 v11, vcc, 0, v9, vcc
	flat_load_ushort v9, v[10:11] offset:3584
.LBB266_23:
	s_or_b64 exec, exec, s[2:3]
	v_or_b32_e32 v11, 0x800, v0
	v_cmp_gt_u32_e32 vcc, s33, v11
                                        ; implicit-def: $vgpr10
	s_and_saveexec_b64 s[2:3], vcc
	s_cbranch_execz .LBB266_25
; %bb.24:
	v_lshlrev_b32_e32 v10, 1, v11
	v_mov_b32_e32 v11, s13
	v_add_co_u32_e32 v10, vcc, s12, v10
	v_addc_co_u32_e32 v11, vcc, 0, v11, vcc
	flat_load_ushort v10, v[10:11]
.LBB266_25:
	s_or_b64 exec, exec, s[2:3]
	v_or_b32_e32 v14, 0x900, v0
	v_cmp_gt_u32_e32 vcc, s33, v14
                                        ; implicit-def: $vgpr11
	s_and_saveexec_b64 s[2:3], vcc
	s_cbranch_execz .LBB266_27
; %bb.26:
	v_lshlrev_b32_e32 v11, 1, v14
	v_mov_b32_e32 v15, s13
	v_add_co_u32_e32 v14, vcc, s12, v11
	v_addc_co_u32_e32 v15, vcc, 0, v15, vcc
	flat_load_ushort v11, v[14:15]
.LBB266_27:
	s_or_b64 exec, exec, s[2:3]
	v_or_b32_e32 v15, 0xa00, v0
	v_cmp_gt_u32_e32 vcc, s33, v15
                                        ; implicit-def: $vgpr14
	s_and_saveexec_b64 s[2:3], vcc
	s_cbranch_execz .LBB266_29
; %bb.28:
	v_lshlrev_b32_e32 v14, 1, v15
	v_mov_b32_e32 v15, s13
	v_add_co_u32_e32 v14, vcc, s12, v14
	v_addc_co_u32_e32 v15, vcc, 0, v15, vcc
	flat_load_ushort v14, v[14:15]
.LBB266_29:
	s_or_b64 exec, exec, s[2:3]
	v_or_b32_e32 v16, 0xb00, v0
	v_cmp_gt_u32_e32 vcc, s33, v16
                                        ; implicit-def: $vgpr15
	s_and_saveexec_b64 s[2:3], vcc
	s_cbranch_execz .LBB266_31
; %bb.30:
	v_lshlrev_b32_e32 v15, 1, v16
	v_mov_b32_e32 v17, s13
	v_add_co_u32_e32 v16, vcc, s12, v15
	v_addc_co_u32_e32 v17, vcc, 0, v17, vcc
	flat_load_ushort v15, v[16:17]
.LBB266_31:
	s_or_b64 exec, exec, s[2:3]
	v_or_b32_e32 v17, 0xc00, v0
	v_cmp_gt_u32_e32 vcc, s33, v17
                                        ; implicit-def: $vgpr16
	s_and_saveexec_b64 s[2:3], vcc
	s_cbranch_execz .LBB266_33
; %bb.32:
	v_lshlrev_b32_e32 v16, 1, v17
	v_mov_b32_e32 v17, s13
	v_add_co_u32_e32 v16, vcc, s12, v16
	v_addc_co_u32_e32 v17, vcc, 0, v17, vcc
	flat_load_ushort v16, v[16:17]
.LBB266_33:
	s_or_b64 exec, exec, s[2:3]
	v_or_b32_e32 v18, 0xd00, v0
	v_cmp_gt_u32_e32 vcc, s33, v18
                                        ; implicit-def: $vgpr17
	s_and_saveexec_b64 s[2:3], vcc
	s_cbranch_execz .LBB266_35
; %bb.34:
	v_lshlrev_b32_e32 v17, 1, v18
	v_mov_b32_e32 v19, s13
	v_add_co_u32_e32 v18, vcc, s12, v17
	v_addc_co_u32_e32 v19, vcc, 0, v19, vcc
	flat_load_ushort v17, v[18:19]
.LBB266_35:
	s_or_b64 exec, exec, s[2:3]
	v_or_b32_e32 v19, 0xe00, v0
	v_cmp_gt_u32_e32 vcc, s33, v19
                                        ; implicit-def: $vgpr18
	s_and_saveexec_b64 s[2:3], vcc
	s_cbranch_execz .LBB266_37
; %bb.36:
	v_lshlrev_b32_e32 v18, 1, v19
	v_mov_b32_e32 v19, s13
	v_add_co_u32_e32 v18, vcc, s12, v18
	v_addc_co_u32_e32 v19, vcc, 0, v19, vcc
	flat_load_ushort v18, v[18:19]
.LBB266_37:
	s_or_b64 exec, exec, s[2:3]
	v_or_b32_e32 v20, 0xf00, v0
	v_cmp_gt_u32_e32 vcc, s33, v20
                                        ; implicit-def: $vgpr19
	s_and_saveexec_b64 s[2:3], vcc
	s_cbranch_execz .LBB266_39
; %bb.38:
	v_lshlrev_b32_e32 v19, 1, v20
	v_mov_b32_e32 v21, s13
	v_add_co_u32_e32 v20, vcc, s12, v19
	v_addc_co_u32_e32 v21, vcc, 0, v21, vcc
	flat_load_ushort v19, v[20:21]
.LBB266_39:
	s_or_b64 exec, exec, s[2:3]
	v_or_b32_e32 v21, 0x1000, v0
	v_cmp_gt_u32_e32 vcc, s33, v21
                                        ; implicit-def: $vgpr20
	s_and_saveexec_b64 s[2:3], vcc
	s_cbranch_execz .LBB266_41
; %bb.40:
	v_lshlrev_b32_e32 v20, 1, v21
	v_mov_b32_e32 v21, s13
	v_add_co_u32_e32 v20, vcc, s12, v20
	v_addc_co_u32_e32 v21, vcc, 0, v21, vcc
	flat_load_ushort v20, v[20:21]
.LBB266_41:
	s_or_b64 exec, exec, s[2:3]
	v_or_b32_e32 v22, 0x1100, v0
	v_cmp_gt_u32_e32 vcc, s33, v22
                                        ; implicit-def: $vgpr21
	s_and_saveexec_b64 s[2:3], vcc
	s_cbranch_execz .LBB266_43
; %bb.42:
	v_lshlrev_b32_e32 v21, 1, v22
	v_mov_b32_e32 v23, s13
	v_add_co_u32_e32 v22, vcc, s12, v21
	v_addc_co_u32_e32 v23, vcc, 0, v23, vcc
	flat_load_ushort v21, v[22:23]
.LBB266_43:
	s_or_b64 exec, exec, s[2:3]
	v_or_b32_e32 v23, 0x1200, v0
	v_cmp_gt_u32_e32 vcc, s33, v23
                                        ; implicit-def: $vgpr22
	s_and_saveexec_b64 s[2:3], vcc
	s_cbranch_execz .LBB266_45
; %bb.44:
	v_lshlrev_b32_e32 v22, 1, v23
	v_mov_b32_e32 v23, s13
	v_add_co_u32_e32 v22, vcc, s12, v22
	v_addc_co_u32_e32 v23, vcc, 0, v23, vcc
	flat_load_ushort v22, v[22:23]
.LBB266_45:
	s_or_b64 exec, exec, s[2:3]
	v_or_b32_e32 v24, 0x1300, v0
	v_cmp_gt_u32_e32 vcc, s33, v24
                                        ; implicit-def: $vgpr23
	s_and_saveexec_b64 s[2:3], vcc
	s_cbranch_execz .LBB266_47
; %bb.46:
	v_lshlrev_b32_e32 v23, 1, v24
	v_mov_b32_e32 v25, s13
	v_add_co_u32_e32 v24, vcc, s12, v23
	v_addc_co_u32_e32 v25, vcc, 0, v25, vcc
	flat_load_ushort v23, v[24:25]
.LBB266_47:
	s_or_b64 exec, exec, s[2:3]
	s_waitcnt vmcnt(0) lgkmcnt(0)
	ds_write_b16 v1, v2
	ds_write_b16 v1, v3 offset:512
	ds_write_b16 v1, v4 offset:1024
	;; [unrolled: 1-line block ×19, first 2 shown]
	s_waitcnt lgkmcnt(0)
	s_barrier
.LBB266_48:
	v_mul_u32_u24_e32 v28, 20, v0
	v_lshlrev_b32_e32 v6, 1, v28
	ds_read_b64 v[14:15], v6 offset:32
	ds_read2_b64 v[2:5], v6 offset0:2 offset1:3
	ds_read2_b64 v[6:9], v6 offset1:1
	s_add_u32 s2, s6, s4
	s_addc_u32 s3, s7, s5
	s_add_u32 s2, s2, s8
	s_addc_u32 s3, s3, s9
	s_mov_b64 s[4:5], -1
	s_and_b64 vcc, exec, s[30:31]
	s_waitcnt lgkmcnt(0)
	s_barrier
	s_cbranch_vccz .LBB266_50
; %bb.49:
	v_mov_b32_e32 v10, s3
	v_add_co_u32_e32 v16, vcc, s2, v1
	s_movk_i32 s4, 0x1000
	v_addc_co_u32_e32 v17, vcc, 0, v10, vcc
	v_add_co_u32_e32 v10, vcc, s4, v16
	s_movk_i32 s5, 0x2000
	v_addc_co_u32_e32 v11, vcc, 0, v17, vcc
	global_load_ubyte v18, v1, s[2:3]
	global_load_ubyte v19, v1, s[2:3] offset:512
	global_load_ubyte v20, v1, s[2:3] offset:1024
	;; [unrolled: 1-line block ×7, first 2 shown]
	v_add_co_u32_e32 v16, vcc, s5, v16
	v_addc_co_u32_e32 v17, vcc, 0, v17, vcc
	global_load_ubyte v26, v[16:17], off offset:-4096
	global_load_ubyte v27, v[10:11], off offset:512
	global_load_ubyte v29, v[10:11], off offset:1024
	;; [unrolled: 1-line block ×7, first 2 shown]
	global_load_ubyte v35, v[16:17], off
	global_load_ubyte v36, v[16:17], off offset:512
	global_load_ubyte v37, v[16:17], off offset:1024
	;; [unrolled: 1-line block ×3, first 2 shown]
	s_mov_b64 s[4:5], 0
	s_waitcnt vmcnt(19)
	v_xor_b32_e32 v10, -1, v18
	s_waitcnt vmcnt(18)
	v_xor_b32_e32 v11, -1, v19
	;; [unrolled: 2-line block ×8, first 2 shown]
	v_and_b32_e32 v10, 1, v10
	v_and_b32_e32 v11, 1, v11
	;; [unrolled: 1-line block ×8, first 2 shown]
	ds_write_b8 v0, v10
	ds_write_b8 v0, v11 offset:256
	ds_write_b8 v0, v16 offset:512
	;; [unrolled: 1-line block ×7, first 2 shown]
	s_waitcnt vmcnt(11)
	v_xor_b32_e32 v10, -1, v26
	s_waitcnt vmcnt(10)
	v_xor_b32_e32 v11, -1, v27
	;; [unrolled: 2-line block ×12, first 2 shown]
	v_and_b32_e32 v10, 1, v10
	v_and_b32_e32 v11, 1, v11
	;; [unrolled: 1-line block ×12, first 2 shown]
	ds_write_b8 v0, v10 offset:2048
	ds_write_b8 v0, v11 offset:2304
	;; [unrolled: 1-line block ×12, first 2 shown]
	s_waitcnt lgkmcnt(0)
	s_barrier
.LBB266_50:
	s_andn2_b64 vcc, exec, s[4:5]
	s_cbranch_vccnz .LBB266_92
; %bb.51:
	v_cmp_gt_u32_e32 vcc, s33, v0
	v_mov_b32_e32 v10, 0
	v_mov_b32_e32 v11, 0
	s_and_saveexec_b64 s[4:5], vcc
	s_cbranch_execz .LBB266_53
; %bb.52:
	global_load_ubyte v11, v1, s[2:3]
	s_waitcnt vmcnt(0)
	v_xor_b32_e32 v11, -1, v11
	v_and_b32_e32 v11, 1, v11
.LBB266_53:
	s_or_b64 exec, exec, s[4:5]
	v_or_b32_e32 v16, 0x100, v0
	v_cmp_gt_u32_e32 vcc, s33, v16
	s_and_saveexec_b64 s[4:5], vcc
	s_cbranch_execz .LBB266_55
; %bb.54:
	global_load_ubyte v10, v1, s[2:3] offset:512
	s_waitcnt vmcnt(0)
	v_xor_b32_e32 v10, -1, v10
	v_and_b32_e32 v10, 1, v10
.LBB266_55:
	s_or_b64 exec, exec, s[4:5]
	v_or_b32_e32 v16, 0x200, v0
	v_cmp_gt_u32_e32 vcc, s33, v16
	v_mov_b32_e32 v16, 0
	v_mov_b32_e32 v17, 0
	s_and_saveexec_b64 s[4:5], vcc
	s_cbranch_execz .LBB266_57
; %bb.56:
	global_load_ubyte v17, v1, s[2:3] offset:1024
	s_waitcnt vmcnt(0)
	v_xor_b32_e32 v17, -1, v17
	v_and_b32_e32 v17, 1, v17
.LBB266_57:
	s_or_b64 exec, exec, s[4:5]
	v_or_b32_e32 v18, 0x300, v0
	v_cmp_gt_u32_e32 vcc, s33, v18
	s_and_saveexec_b64 s[4:5], vcc
	s_cbranch_execz .LBB266_59
; %bb.58:
	global_load_ubyte v16, v1, s[2:3] offset:1536
	s_waitcnt vmcnt(0)
	v_xor_b32_e32 v16, -1, v16
	v_and_b32_e32 v16, 1, v16
.LBB266_59:
	s_or_b64 exec, exec, s[4:5]
	v_or_b32_e32 v18, 0x400, v0
	v_cmp_gt_u32_e32 vcc, s33, v18
	v_mov_b32_e32 v18, 0
	v_mov_b32_e32 v19, 0
	s_and_saveexec_b64 s[4:5], vcc
	s_cbranch_execz .LBB266_61
; %bb.60:
	global_load_ubyte v19, v1, s[2:3] offset:2048
	s_waitcnt vmcnt(0)
	v_xor_b32_e32 v19, -1, v19
	v_and_b32_e32 v19, 1, v19
.LBB266_61:
	;; [unrolled: 24-line block ×3, first 2 shown]
	s_or_b64 exec, exec, s[4:5]
	v_or_b32_e32 v22, 0x700, v0
	v_cmp_gt_u32_e32 vcc, s33, v22
	s_and_saveexec_b64 s[4:5], vcc
	s_cbranch_execz .LBB266_67
; %bb.66:
	global_load_ubyte v20, v1, s[2:3] offset:3584
	s_waitcnt vmcnt(0)
	v_xor_b32_e32 v20, -1, v20
	v_and_b32_e32 v20, 1, v20
.LBB266_67:
	s_or_b64 exec, exec, s[4:5]
	v_or_b32_e32 v24, 0x800, v0
	v_cmp_gt_u32_e32 vcc, s33, v24
	v_mov_b32_e32 v22, 0
	v_mov_b32_e32 v23, 0
	s_and_saveexec_b64 s[4:5], vcc
	s_cbranch_execz .LBB266_69
; %bb.68:
	v_lshlrev_b32_e32 v23, 1, v24
	global_load_ubyte v23, v23, s[2:3]
	s_waitcnt vmcnt(0)
	v_xor_b32_e32 v23, -1, v23
	v_and_b32_e32 v23, 1, v23
.LBB266_69:
	s_or_b64 exec, exec, s[4:5]
	v_or_b32_e32 v24, 0x900, v0
	v_cmp_gt_u32_e32 vcc, s33, v24
	s_and_saveexec_b64 s[4:5], vcc
	s_cbranch_execz .LBB266_71
; %bb.70:
	v_lshlrev_b32_e32 v22, 1, v24
	global_load_ubyte v22, v22, s[2:3]
	s_waitcnt vmcnt(0)
	v_xor_b32_e32 v22, -1, v22
	v_and_b32_e32 v22, 1, v22
.LBB266_71:
	s_or_b64 exec, exec, s[4:5]
	v_or_b32_e32 v26, 0xa00, v0
	v_cmp_gt_u32_e32 vcc, s33, v26
	v_mov_b32_e32 v24, 0
	v_mov_b32_e32 v25, 0
	s_and_saveexec_b64 s[4:5], vcc
	s_cbranch_execz .LBB266_73
; %bb.72:
	v_lshlrev_b32_e32 v25, 1, v26
	global_load_ubyte v25, v25, s[2:3]
	s_waitcnt vmcnt(0)
	v_xor_b32_e32 v25, -1, v25
	v_and_b32_e32 v25, 1, v25
.LBB266_73:
	s_or_b64 exec, exec, s[4:5]
	v_or_b32_e32 v26, 0xb00, v0
	v_cmp_gt_u32_e32 vcc, s33, v26
	s_and_saveexec_b64 s[4:5], vcc
	s_cbranch_execz .LBB266_75
; %bb.74:
	v_lshlrev_b32_e32 v24, 1, v26
	global_load_ubyte v24, v24, s[2:3]
	s_waitcnt vmcnt(0)
	v_xor_b32_e32 v24, -1, v24
	v_and_b32_e32 v24, 1, v24
.LBB266_75:
	;; [unrolled: 26-line block ×6, first 2 shown]
	s_or_b64 exec, exec, s[4:5]
	ds_write_b8 v0, v11
	ds_write_b8 v0, v10 offset:256
	ds_write_b8 v0, v17 offset:512
	;; [unrolled: 1-line block ×19, first 2 shown]
	s_waitcnt lgkmcnt(0)
	s_barrier
.LBB266_92:
	ds_read2_b32 v[18:19], v28 offset1:1
	ds_read2_b32 v[16:17], v28 offset0:2 offset1:3
	ds_read_b32 v30, v28 offset:16
	s_cmp_lg_u32 s42, 0
	v_lshrrev_b32_e32 v49, 6, v0
	s_waitcnt lgkmcnt(2)
	v_lshrrev_b32_e32 v35, 24, v18
	v_bfe_u32 v47, v18, 16, 8
	v_add_u32_sdwa v10, v18, v18 dst_sel:DWORD dst_unused:UNUSED_PAD src0_sel:BYTE_1 src1_sel:BYTE_0
	v_and_b32_e32 v44, 0xff, v19
	v_bfe_u32 v45, v19, 8, 8
	v_add3_u32 v10, v10, v47, v35
	v_lshrrev_b32_e32 v34, 24, v19
	v_bfe_u32 v46, v19, 16, 8
	v_add3_u32 v10, v10, v44, v45
	s_waitcnt lgkmcnt(1)
	v_and_b32_e32 v41, 0xff, v16
	v_bfe_u32 v42, v16, 8, 8
	v_add3_u32 v10, v10, v46, v34
	v_lshrrev_b32_e32 v33, 24, v16
	v_bfe_u32 v43, v16, 16, 8
	v_add3_u32 v10, v10, v41, v42
	v_and_b32_e32 v38, 0xff, v17
	v_bfe_u32 v39, v17, 8, 8
	v_add3_u32 v10, v10, v43, v33
	v_lshrrev_b32_e32 v32, 24, v17
	v_bfe_u32 v40, v17, 16, 8
	v_add3_u32 v10, v10, v38, v39
	s_waitcnt lgkmcnt(0)
	v_and_b32_e32 v36, 0xff, v30
	v_bfe_u32 v37, v30, 8, 8
	v_add3_u32 v10, v10, v40, v32
	v_lshrrev_b32_e32 v29, 24, v30
	v_bfe_u32 v31, v30, 16, 8
	v_add3_u32 v10, v10, v36, v37
	v_add3_u32 v50, v10, v31, v29
	v_mbcnt_lo_u32_b32 v10, -1, 0
	v_mbcnt_hi_u32_b32 v48, -1, v10
	v_and_b32_e32 v10, 15, v48
	v_cmp_eq_u32_e64 s[14:15], 0, v10
	v_cmp_lt_u32_e64 s[12:13], 1, v10
	v_cmp_lt_u32_e64 s[10:11], 3, v10
	;; [unrolled: 1-line block ×3, first 2 shown]
	v_and_b32_e32 v10, 16, v48
	v_cmp_eq_u32_e64 s[6:7], 0, v10
	v_or_b32_e32 v10, 63, v0
	v_cmp_lt_u32_e64 s[2:3], 31, v48
	v_cmp_eq_u32_e64 s[4:5], v10, v0
	s_barrier
	s_cbranch_scc0 .LBB266_123
; %bb.93:
	v_mov_b32_dpp v10, v50 row_shr:1 row_mask:0xf bank_mask:0xf
	v_cndmask_b32_e64 v10, v10, 0, s[14:15]
	v_add_u32_e32 v10, v10, v50
	s_nop 1
	v_mov_b32_dpp v11, v10 row_shr:2 row_mask:0xf bank_mask:0xf
	v_cndmask_b32_e64 v11, 0, v11, s[12:13]
	v_add_u32_e32 v10, v10, v11
	s_nop 1
	;; [unrolled: 4-line block ×4, first 2 shown]
	v_mov_b32_dpp v11, v10 row_bcast:15 row_mask:0xf bank_mask:0xf
	v_cndmask_b32_e64 v11, v11, 0, s[6:7]
	v_add_u32_e32 v10, v10, v11
	s_nop 1
	v_mov_b32_dpp v11, v10 row_bcast:31 row_mask:0xf bank_mask:0xf
	v_cndmask_b32_e64 v11, 0, v11, s[2:3]
	v_add_u32_e32 v10, v10, v11
	s_and_saveexec_b64 s[16:17], s[4:5]
	s_cbranch_execz .LBB266_95
; %bb.94:
	v_lshlrev_b32_e32 v11, 2, v49
	ds_write_b32 v11, v10
.LBB266_95:
	s_or_b64 exec, exec, s[16:17]
	v_cmp_gt_u32_e32 vcc, 4, v0
	s_waitcnt lgkmcnt(0)
	s_barrier
	s_and_saveexec_b64 s[16:17], vcc
	s_cbranch_execz .LBB266_97
; %bb.96:
	v_lshlrev_b32_e32 v11, 2, v0
	ds_read_b32 v20, v11
	v_and_b32_e32 v21, 3, v48
	v_cmp_ne_u32_e32 vcc, 0, v21
	s_waitcnt lgkmcnt(0)
	v_mov_b32_dpp v22, v20 row_shr:1 row_mask:0xf bank_mask:0xf
	v_cndmask_b32_e32 v22, 0, v22, vcc
	v_add_u32_e32 v20, v22, v20
	v_cmp_lt_u32_e32 vcc, 1, v21
	s_nop 0
	v_mov_b32_dpp v22, v20 row_shr:2 row_mask:0xf bank_mask:0xf
	v_cndmask_b32_e32 v21, 0, v22, vcc
	v_add_u32_e32 v20, v20, v21
	ds_write_b32 v11, v20
.LBB266_97:
	s_or_b64 exec, exec, s[16:17]
	v_cmp_gt_u32_e32 vcc, 64, v0
	v_cmp_lt_u32_e64 s[16:17], 63, v0
	s_waitcnt lgkmcnt(0)
	s_barrier
	s_waitcnt lgkmcnt(0)
                                        ; implicit-def: $vgpr51
	s_and_saveexec_b64 s[36:37], s[16:17]
	s_cbranch_execz .LBB266_99
; %bb.98:
	v_lshl_add_u32 v11, v49, 2, -4
	ds_read_b32 v51, v11
	s_waitcnt lgkmcnt(0)
	v_add_u32_e32 v10, v51, v10
.LBB266_99:
	s_or_b64 exec, exec, s[36:37]
	v_add_u32_e32 v11, -1, v48
	v_and_b32_e32 v20, 64, v48
	v_cmp_lt_i32_e64 s[16:17], v11, v20
	v_cndmask_b32_e64 v11, v11, v48, s[16:17]
	v_lshlrev_b32_e32 v11, 2, v11
	ds_bpermute_b32 v52, v11, v10
	v_cmp_eq_u32_e64 s[16:17], 0, v48
	s_and_saveexec_b64 s[36:37], vcc
	s_cbranch_execz .LBB266_122
; %bb.100:
	v_mov_b32_e32 v27, 0
	ds_read_b32 v10, v27 offset:12
	s_and_saveexec_b64 s[38:39], s[16:17]
	s_cbranch_execz .LBB266_102
; %bb.101:
	s_add_i32 s40, s42, 64
	s_mov_b32 s41, 0
	s_lshl_b64 s[40:41], s[40:41], 3
	s_add_u32 s40, s34, s40
	v_mov_b32_e32 v11, 1
	s_addc_u32 s41, s35, s41
	s_waitcnt lgkmcnt(0)
	global_store_dwordx2 v27, v[10:11], s[40:41]
.LBB266_102:
	s_or_b64 exec, exec, s[38:39]
	v_xad_u32 v20, v48, -1, s42
	v_add_u32_e32 v26, 64, v20
	v_lshlrev_b64 v[22:23], 3, v[26:27]
	v_mov_b32_e32 v11, s35
	v_add_co_u32_e32 v22, vcc, s34, v22
	v_addc_co_u32_e32 v23, vcc, v11, v23, vcc
	global_load_dwordx2 v[24:25], v[22:23], off glc
	s_waitcnt vmcnt(0)
	v_cmp_eq_u16_sdwa s[40:41], v25, v27 src0_sel:BYTE_0 src1_sel:DWORD
	s_and_saveexec_b64 s[38:39], s[40:41]
	s_cbranch_execz .LBB266_108
; %bb.103:
	s_mov_b32 s29, 1
	s_mov_b64 s[40:41], 0
	v_mov_b32_e32 v11, 0
.LBB266_104:                            ; =>This Loop Header: Depth=1
                                        ;     Child Loop BB266_105 Depth 2
	s_max_u32 s43, s29, 1
.LBB266_105:                            ;   Parent Loop BB266_104 Depth=1
                                        ; =>  This Inner Loop Header: Depth=2
	s_add_i32 s43, s43, -1
	s_cmp_eq_u32 s43, 0
	s_sleep 1
	s_cbranch_scc0 .LBB266_105
; %bb.106:                              ;   in Loop: Header=BB266_104 Depth=1
	global_load_dwordx2 v[24:25], v[22:23], off glc
	s_cmp_lt_u32 s29, 32
	s_cselect_b64 s[44:45], -1, 0
	s_cmp_lg_u64 s[44:45], 0
	s_addc_u32 s29, s29, 0
	s_waitcnt vmcnt(0)
	v_cmp_ne_u16_sdwa s[44:45], v25, v11 src0_sel:BYTE_0 src1_sel:DWORD
	s_or_b64 s[40:41], s[44:45], s[40:41]
	s_andn2_b64 exec, exec, s[40:41]
	s_cbranch_execnz .LBB266_104
; %bb.107:
	s_or_b64 exec, exec, s[40:41]
.LBB266_108:
	s_or_b64 exec, exec, s[38:39]
	v_and_b32_e32 v54, 63, v48
	v_mov_b32_e32 v53, 2
	v_cmp_ne_u32_e32 vcc, 63, v54
	v_cmp_eq_u16_sdwa s[38:39], v25, v53 src0_sel:BYTE_0 src1_sel:DWORD
	v_lshlrev_b64 v[22:23], v48, -1
	v_addc_co_u32_e32 v26, vcc, 0, v48, vcc
	v_and_b32_e32 v11, s39, v23
	v_lshlrev_b32_e32 v55, 2, v26
	v_or_b32_e32 v11, 0x80000000, v11
	ds_bpermute_b32 v26, v55, v24
	v_and_b32_e32 v21, s38, v22
	v_ffbl_b32_e32 v11, v11
	v_add_u32_e32 v11, 32, v11
	v_ffbl_b32_e32 v21, v21
	v_min_u32_e32 v11, v21, v11
	v_cmp_lt_u32_e32 vcc, v54, v11
	s_waitcnt lgkmcnt(0)
	v_cndmask_b32_e32 v21, 0, v26, vcc
	v_cmp_gt_u32_e32 vcc, 62, v54
	v_add_u32_e32 v21, v21, v24
	v_cndmask_b32_e64 v24, 0, 1, vcc
	v_lshlrev_b32_e32 v24, 1, v24
	v_add_lshl_u32 v56, v24, v48, 2
	ds_bpermute_b32 v24, v56, v21
	v_add_u32_e32 v57, 2, v54
	v_cmp_le_u32_e32 vcc, v57, v11
	v_add_u32_e32 v59, 4, v54
	v_add_u32_e32 v61, 8, v54
	s_waitcnt lgkmcnt(0)
	v_cndmask_b32_e32 v24, 0, v24, vcc
	v_cmp_gt_u32_e32 vcc, 60, v54
	v_add_u32_e32 v21, v21, v24
	v_cndmask_b32_e64 v24, 0, 1, vcc
	v_lshlrev_b32_e32 v24, 2, v24
	v_add_lshl_u32 v58, v24, v48, 2
	ds_bpermute_b32 v24, v58, v21
	v_cmp_le_u32_e32 vcc, v59, v11
	v_add_u32_e32 v63, 16, v54
	v_add_u32_e32 v65, 32, v54
	s_waitcnt lgkmcnt(0)
	v_cndmask_b32_e32 v24, 0, v24, vcc
	v_cmp_gt_u32_e32 vcc, 56, v54
	v_add_u32_e32 v21, v21, v24
	v_cndmask_b32_e64 v24, 0, 1, vcc
	v_lshlrev_b32_e32 v24, 3, v24
	v_add_lshl_u32 v60, v24, v48, 2
	ds_bpermute_b32 v24, v60, v21
	v_cmp_le_u32_e32 vcc, v61, v11
	s_waitcnt lgkmcnt(0)
	v_cndmask_b32_e32 v24, 0, v24, vcc
	v_cmp_gt_u32_e32 vcc, 48, v54
	v_add_u32_e32 v21, v21, v24
	v_cndmask_b32_e64 v24, 0, 1, vcc
	v_lshlrev_b32_e32 v24, 4, v24
	v_add_lshl_u32 v62, v24, v48, 2
	ds_bpermute_b32 v24, v62, v21
	v_cmp_le_u32_e32 vcc, v63, v11
	;; [unrolled: 9-line block ×3, first 2 shown]
	s_waitcnt lgkmcnt(0)
	v_cndmask_b32_e32 v11, 0, v24, vcc
	v_add_u32_e32 v24, v21, v11
	v_mov_b32_e32 v21, 0
	s_branch .LBB266_110
.LBB266_109:                            ;   in Loop: Header=BB266_110 Depth=1
	s_or_b64 exec, exec, s[38:39]
	v_cmp_eq_u16_sdwa s[38:39], v25, v53 src0_sel:BYTE_0 src1_sel:DWORD
	v_and_b32_e32 v26, s39, v23
	v_or_b32_e32 v26, 0x80000000, v26
	ds_bpermute_b32 v66, v55, v24
	v_and_b32_e32 v27, s38, v22
	v_ffbl_b32_e32 v26, v26
	v_add_u32_e32 v26, 32, v26
	v_ffbl_b32_e32 v27, v27
	v_min_u32_e32 v26, v27, v26
	v_cmp_lt_u32_e32 vcc, v54, v26
	s_waitcnt lgkmcnt(0)
	v_cndmask_b32_e32 v27, 0, v66, vcc
	v_add_u32_e32 v24, v27, v24
	ds_bpermute_b32 v27, v56, v24
	v_cmp_le_u32_e32 vcc, v57, v26
	v_subrev_u32_e32 v20, 64, v20
	s_waitcnt lgkmcnt(0)
	v_cndmask_b32_e32 v27, 0, v27, vcc
	v_add_u32_e32 v24, v24, v27
	ds_bpermute_b32 v27, v58, v24
	v_cmp_le_u32_e32 vcc, v59, v26
	s_waitcnt lgkmcnt(0)
	v_cndmask_b32_e32 v27, 0, v27, vcc
	v_add_u32_e32 v24, v24, v27
	ds_bpermute_b32 v27, v60, v24
	v_cmp_le_u32_e32 vcc, v61, v26
	;; [unrolled: 5-line block ×4, first 2 shown]
	s_waitcnt lgkmcnt(0)
	v_cndmask_b32_e32 v26, 0, v27, vcc
	v_add3_u32 v24, v26, v11, v24
.LBB266_110:                            ; =>This Loop Header: Depth=1
                                        ;     Child Loop BB266_113 Depth 2
                                        ;       Child Loop BB266_114 Depth 3
	v_cmp_ne_u16_sdwa s[38:39], v25, v53 src0_sel:BYTE_0 src1_sel:DWORD
	v_cndmask_b32_e64 v11, 0, 1, s[38:39]
	;;#ASMSTART
	;;#ASMEND
	v_cmp_ne_u32_e32 vcc, 0, v11
	s_cmp_lg_u64 vcc, exec
	v_mov_b32_e32 v11, v24
	s_cbranch_scc1 .LBB266_117
; %bb.111:                              ;   in Loop: Header=BB266_110 Depth=1
	v_lshlrev_b64 v[24:25], 3, v[20:21]
	v_mov_b32_e32 v27, s35
	v_add_co_u32_e32 v26, vcc, s34, v24
	v_addc_co_u32_e32 v27, vcc, v27, v25, vcc
	global_load_dwordx2 v[24:25], v[26:27], off glc
	s_waitcnt vmcnt(0)
	v_cmp_eq_u16_sdwa s[40:41], v25, v21 src0_sel:BYTE_0 src1_sel:DWORD
	s_and_saveexec_b64 s[38:39], s[40:41]
	s_cbranch_execz .LBB266_109
; %bb.112:                              ;   in Loop: Header=BB266_110 Depth=1
	s_mov_b32 s29, 1
	s_mov_b64 s[40:41], 0
.LBB266_113:                            ;   Parent Loop BB266_110 Depth=1
                                        ; =>  This Loop Header: Depth=2
                                        ;       Child Loop BB266_114 Depth 3
	s_max_u32 s43, s29, 1
.LBB266_114:                            ;   Parent Loop BB266_110 Depth=1
                                        ;     Parent Loop BB266_113 Depth=2
                                        ; =>    This Inner Loop Header: Depth=3
	s_add_i32 s43, s43, -1
	s_cmp_eq_u32 s43, 0
	s_sleep 1
	s_cbranch_scc0 .LBB266_114
; %bb.115:                              ;   in Loop: Header=BB266_113 Depth=2
	global_load_dwordx2 v[24:25], v[26:27], off glc
	s_cmp_lt_u32 s29, 32
	s_cselect_b64 s[44:45], -1, 0
	s_cmp_lg_u64 s[44:45], 0
	s_addc_u32 s29, s29, 0
	s_waitcnt vmcnt(0)
	v_cmp_ne_u16_sdwa s[44:45], v25, v21 src0_sel:BYTE_0 src1_sel:DWORD
	s_or_b64 s[40:41], s[44:45], s[40:41]
	s_andn2_b64 exec, exec, s[40:41]
	s_cbranch_execnz .LBB266_113
; %bb.116:                              ;   in Loop: Header=BB266_110 Depth=1
	s_or_b64 exec, exec, s[40:41]
	s_branch .LBB266_109
.LBB266_117:                            ;   in Loop: Header=BB266_110 Depth=1
                                        ; implicit-def: $vgpr24
                                        ; implicit-def: $vgpr25
	s_cbranch_execz .LBB266_110
; %bb.118:
	s_and_saveexec_b64 s[38:39], s[16:17]
	s_cbranch_execz .LBB266_120
; %bb.119:
	s_add_i32 s40, s42, 64
	s_mov_b32 s41, 0
	s_lshl_b64 s[40:41], s[40:41], 3
	s_add_u32 s40, s34, s40
	v_add_u32_e32 v20, v11, v10
	v_mov_b32_e32 v21, 2
	s_addc_u32 s41, s35, s41
	v_mov_b32_e32 v22, 0
	global_store_dwordx2 v22, v[20:21], s[40:41]
	ds_write_b64 v22, v[10:11] offset:10240
.LBB266_120:
	s_or_b64 exec, exec, s[38:39]
	s_and_b64 exec, exec, s[0:1]
	s_cbranch_execz .LBB266_122
; %bb.121:
	v_mov_b32_e32 v10, 0
	ds_write_b32 v10, v11 offset:12
.LBB266_122:
	s_or_b64 exec, exec, s[36:37]
	v_mov_b32_e32 v10, 0
	s_waitcnt lgkmcnt(0)
	s_barrier
	ds_read_b32 v20, v10 offset:12
	s_waitcnt lgkmcnt(0)
	s_barrier
	ds_read_b64 v[10:11], v10 offset:10240
	v_cndmask_b32_e64 v21, v52, v51, s[16:17]
	v_cndmask_b32_e64 v21, v21, 0, s[0:1]
	v_add_u32_e32 v24, v20, v21
	s_branch .LBB266_133
.LBB266_123:
                                        ; implicit-def: $vgpr11
                                        ; implicit-def: $vgpr24
	s_cbranch_execz .LBB266_133
; %bb.124:
	s_waitcnt lgkmcnt(0)
	v_mov_b32_dpp v10, v50 row_shr:1 row_mask:0xf bank_mask:0xf
	v_cndmask_b32_e64 v10, v10, 0, s[14:15]
	v_add_u32_e32 v10, v10, v50
	s_nop 1
	v_mov_b32_dpp v11, v10 row_shr:2 row_mask:0xf bank_mask:0xf
	v_cndmask_b32_e64 v11, 0, v11, s[12:13]
	v_add_u32_e32 v10, v10, v11
	s_nop 1
	;; [unrolled: 4-line block ×4, first 2 shown]
	v_mov_b32_dpp v11, v10 row_bcast:15 row_mask:0xf bank_mask:0xf
	v_cndmask_b32_e64 v11, v11, 0, s[6:7]
	v_add_u32_e32 v10, v10, v11
	s_nop 1
	v_mov_b32_dpp v11, v10 row_bcast:31 row_mask:0xf bank_mask:0xf
	v_cndmask_b32_e64 v11, 0, v11, s[2:3]
	v_add_u32_e32 v10, v10, v11
	s_and_saveexec_b64 s[2:3], s[4:5]
	s_cbranch_execz .LBB266_126
; %bb.125:
	v_lshlrev_b32_e32 v11, 2, v49
	ds_write_b32 v11, v10
.LBB266_126:
	s_or_b64 exec, exec, s[2:3]
	v_cmp_gt_u32_e32 vcc, 4, v0
	s_waitcnt lgkmcnt(0)
	s_barrier
	s_and_saveexec_b64 s[2:3], vcc
	s_cbranch_execz .LBB266_128
; %bb.127:
	v_lshlrev_b32_e32 v11, 2, v0
	ds_read_b32 v20, v11
	v_and_b32_e32 v21, 3, v48
	v_cmp_ne_u32_e32 vcc, 0, v21
	s_waitcnt lgkmcnt(0)
	v_mov_b32_dpp v22, v20 row_shr:1 row_mask:0xf bank_mask:0xf
	v_cndmask_b32_e32 v22, 0, v22, vcc
	v_add_u32_e32 v20, v22, v20
	v_cmp_lt_u32_e32 vcc, 1, v21
	s_nop 0
	v_mov_b32_dpp v22, v20 row_shr:2 row_mask:0xf bank_mask:0xf
	v_cndmask_b32_e32 v21, 0, v22, vcc
	v_add_u32_e32 v20, v20, v21
	ds_write_b32 v11, v20
.LBB266_128:
	s_or_b64 exec, exec, s[2:3]
	v_cmp_lt_u32_e32 vcc, 63, v0
	v_mov_b32_e32 v11, 0
	v_mov_b32_e32 v20, 0
	s_waitcnt lgkmcnt(0)
	s_barrier
	s_and_saveexec_b64 s[2:3], vcc
	s_cbranch_execz .LBB266_130
; %bb.129:
	v_lshl_add_u32 v20, v49, 2, -4
	ds_read_b32 v20, v20
.LBB266_130:
	s_or_b64 exec, exec, s[2:3]
	v_add_u32_e32 v21, -1, v48
	v_and_b32_e32 v22, 64, v48
	v_cmp_lt_i32_e32 vcc, v21, v22
	v_cndmask_b32_e32 v21, v21, v48, vcc
	s_waitcnt lgkmcnt(0)
	v_add_u32_e32 v10, v20, v10
	v_lshlrev_b32_e32 v21, 2, v21
	ds_bpermute_b32 v21, v21, v10
	ds_read_b32 v10, v11 offset:12
	s_and_saveexec_b64 s[2:3], s[0:1]
	s_cbranch_execz .LBB266_132
; %bb.131:
	v_mov_b32_e32 v22, 0
	v_mov_b32_e32 v11, 2
	s_waitcnt lgkmcnt(0)
	global_store_dwordx2 v22, v[10:11], s[34:35] offset:512
.LBB266_132:
	s_or_b64 exec, exec, s[2:3]
	v_cmp_eq_u32_e32 vcc, 0, v48
	s_waitcnt lgkmcnt(1)
	v_cndmask_b32_e32 v20, v21, v20, vcc
	v_mov_b32_e32 v11, 0
	v_cndmask_b32_e64 v24, v20, 0, s[0:1]
	s_waitcnt lgkmcnt(0)
	s_barrier
.LBB266_133:
	v_add_u32_sdwa v26, v24, v18 dst_sel:DWORD dst_unused:UNUSED_PAD src0_sel:DWORD src1_sel:BYTE_0
	s_waitcnt lgkmcnt(0)
	v_add_u32_e32 v28, v10, v28
	v_sub_u32_e32 v24, v24, v11
	v_and_b32_e32 v53, 1, v18
	v_sub_u32_e32 v52, v28, v24
	v_cmp_eq_u32_e32 vcc, 1, v53
	v_cndmask_b32_e32 v24, v52, v24, vcc
	v_lshlrev_b32_e32 v24, 1, v24
	v_lshrrev_b32_e32 v25, 8, v18
	ds_write_b16 v24, v6
	v_sub_u32_e32 v24, v26, v11
	v_add_u32_sdwa v27, v26, v18 dst_sel:DWORD dst_unused:UNUSED_PAD src0_sel:DWORD src1_sel:BYTE_1
	v_sub_u32_e32 v26, v28, v24
	v_and_b32_e32 v25, 1, v25
	v_add_u32_e32 v26, 1, v26
	v_cmp_eq_u32_e32 vcc, 1, v25
	v_cndmask_b32_e32 v24, v26, v24, vcc
	v_lshlrev_b32_e32 v24, 1, v24
	ds_write_b16_d16_hi v24, v6
	v_sub_u32_e32 v6, v27, v11
	v_mov_b32_e32 v25, 1
	v_sub_u32_e32 v24, v28, v6
	v_and_b32_sdwa v18, v25, v18 dst_sel:DWORD dst_unused:UNUSED_PAD src0_sel:DWORD src1_sel:WORD_1
	v_add_u32_e32 v24, 2, v24
	v_cmp_eq_u32_e32 vcc, 1, v18
	v_cndmask_b32_e32 v6, v24, v6, vcc
	v_add_u32_e32 v47, v27, v47
	v_lshlrev_b32_e32 v6, 1, v6
	ds_write_b16 v6, v7
	v_sub_u32_e32 v6, v47, v11
	v_sub_u32_e32 v18, v28, v6
	v_and_b32_e32 v24, 1, v35
	v_add_u32_e32 v18, 3, v18
	v_cmp_eq_u32_e32 vcc, 1, v24
	v_cndmask_b32_e32 v6, v18, v6, vcc
	v_add_u32_e32 v48, v47, v35
	v_lshlrev_b32_e32 v6, 1, v6
	ds_write_b16_d16_hi v6, v7
	v_sub_u32_e32 v6, v48, v11
	v_sub_u32_e32 v7, v28, v6
	v_and_b32_e32 v18, 1, v19
	v_add_u32_e32 v7, 4, v7
	v_cmp_eq_u32_e32 vcc, 1, v18
	v_cndmask_b32_e32 v6, v7, v6, vcc
	v_add_u32_e32 v44, v48, v44
	v_lshlrev_b32_e32 v6, 1, v6
	v_lshrrev_b32_e32 v23, 8, v19
	ds_write_b16 v6, v8
	v_sub_u32_e32 v6, v44, v11
	v_sub_u32_e32 v7, v28, v6
	v_and_b32_e32 v18, 1, v23
	v_add_u32_e32 v7, 5, v7
	v_cmp_eq_u32_e32 vcc, 1, v18
	v_cndmask_b32_e32 v6, v7, v6, vcc
	v_add_u32_e32 v45, v44, v45
	v_lshlrev_b32_e32 v6, 1, v6
	ds_write_b16_d16_hi v6, v8
	v_sub_u32_e32 v6, v45, v11
	v_sub_u32_e32 v7, v28, v6
	v_and_b32_sdwa v8, v25, v19 dst_sel:DWORD dst_unused:UNUSED_PAD src0_sel:DWORD src1_sel:WORD_1
	v_add_u32_e32 v7, 6, v7
	v_cmp_eq_u32_e32 vcc, 1, v8
	v_cndmask_b32_e32 v6, v7, v6, vcc
	v_add_u32_e32 v46, v45, v46
	v_lshlrev_b32_e32 v6, 1, v6
	ds_write_b16 v6, v9
	v_sub_u32_e32 v6, v46, v11
	v_sub_u32_e32 v7, v28, v6
	v_and_b32_e32 v8, 1, v34
	v_add_u32_e32 v7, 7, v7
	v_cmp_eq_u32_e32 vcc, 1, v8
	v_cndmask_b32_e32 v6, v7, v6, vcc
	v_add_u32_e32 v49, v46, v34
	v_lshlrev_b32_e32 v6, 1, v6
	ds_write_b16_d16_hi v6, v9
	v_sub_u32_e32 v6, v49, v11
	v_sub_u32_e32 v7, v28, v6
	v_and_b32_e32 v8, 1, v16
	v_add_u32_e32 v7, 8, v7
	v_cmp_eq_u32_e32 vcc, 1, v8
	v_cndmask_b32_e32 v6, v7, v6, vcc
	v_add_u32_e32 v41, v49, v41
	v_lshlrev_b32_e32 v6, 1, v6
	v_lshrrev_b32_e32 v22, 8, v16
	ds_write_b16 v6, v2
	v_sub_u32_e32 v6, v41, v11
	v_sub_u32_e32 v7, v28, v6
	v_and_b32_e32 v8, 1, v22
	v_add_u32_e32 v7, 9, v7
	v_cmp_eq_u32_e32 vcc, 1, v8
	v_cndmask_b32_e32 v6, v7, v6, vcc
	v_add_u32_e32 v42, v41, v42
	v_lshlrev_b32_e32 v6, 1, v6
	ds_write_b16_d16_hi v6, v2
	v_sub_u32_e32 v2, v42, v11
	v_sub_u32_e32 v6, v28, v2
	v_and_b32_sdwa v7, v25, v16 dst_sel:DWORD dst_unused:UNUSED_PAD src0_sel:DWORD src1_sel:WORD_1
	v_add_u32_e32 v6, 10, v6
	v_cmp_eq_u32_e32 vcc, 1, v7
	v_cndmask_b32_e32 v2, v6, v2, vcc
	v_add_u32_e32 v43, v42, v43
	v_lshlrev_b32_e32 v2, 1, v2
	ds_write_b16 v2, v3
	v_sub_u32_e32 v2, v43, v11
	v_sub_u32_e32 v6, v28, v2
	v_and_b32_e32 v7, 1, v33
	v_add_u32_e32 v6, 11, v6
	v_cmp_eq_u32_e32 vcc, 1, v7
	v_cndmask_b32_e32 v2, v6, v2, vcc
	v_add_u32_e32 v50, v43, v33
	v_lshlrev_b32_e32 v2, 1, v2
	ds_write_b16_d16_hi v2, v3
	v_sub_u32_e32 v2, v50, v11
	v_sub_u32_e32 v3, v28, v2
	v_and_b32_e32 v6, 1, v17
	v_add_u32_e32 v3, 12, v3
	v_cmp_eq_u32_e32 vcc, 1, v6
	v_cndmask_b32_e32 v2, v3, v2, vcc
	v_add_u32_e32 v38, v50, v38
	v_lshlrev_b32_e32 v2, 1, v2
	v_lshrrev_b32_e32 v21, 8, v17
	ds_write_b16 v2, v4
	v_sub_u32_e32 v2, v38, v11
	v_sub_u32_e32 v3, v28, v2
	v_and_b32_e32 v6, 1, v21
	v_add_u32_e32 v3, 13, v3
	v_cmp_eq_u32_e32 vcc, 1, v6
	v_cndmask_b32_e32 v2, v3, v2, vcc
	v_add_u32_e32 v39, v38, v39
	v_lshlrev_b32_e32 v2, 1, v2
	ds_write_b16_d16_hi v2, v4
	v_sub_u32_e32 v2, v39, v11
	v_sub_u32_e32 v3, v28, v2
	v_and_b32_sdwa v4, v25, v17 dst_sel:DWORD dst_unused:UNUSED_PAD src0_sel:DWORD src1_sel:WORD_1
	v_add_u32_e32 v3, 14, v3
	v_cmp_eq_u32_e32 vcc, 1, v4
	v_cndmask_b32_e32 v2, v3, v2, vcc
	v_add_u32_e32 v40, v39, v40
	v_lshlrev_b32_e32 v2, 1, v2
	ds_write_b16 v2, v5
	v_sub_u32_e32 v2, v40, v11
	v_sub_u32_e32 v3, v28, v2
	v_and_b32_e32 v4, 1, v32
	v_add_u32_e32 v3, 15, v3
	v_cmp_eq_u32_e32 vcc, 1, v4
	v_cndmask_b32_e32 v2, v3, v2, vcc
	v_add_u32_e32 v51, v40, v32
	v_lshlrev_b32_e32 v2, 1, v2
	ds_write_b16_d16_hi v2, v5
	v_sub_u32_e32 v2, v51, v11
	v_sub_u32_e32 v3, v28, v2
	v_and_b32_e32 v4, 1, v30
	v_add_u32_e32 v3, 16, v3
	v_cmp_eq_u32_e32 vcc, 1, v4
	v_cndmask_b32_e32 v2, v3, v2, vcc
	v_add_u32_e32 v36, v51, v36
	v_lshlrev_b32_e32 v2, 1, v2
	v_lshrrev_b32_e32 v20, 8, v30
	ds_write_b16 v2, v14
	v_sub_u32_e32 v2, v36, v11
	v_sub_u32_e32 v3, v28, v2
	v_and_b32_e32 v4, 1, v20
	v_add_u32_e32 v3, 17, v3
	v_cmp_eq_u32_e32 vcc, 1, v4
	v_cndmask_b32_e32 v2, v3, v2, vcc
	v_add_u32_e32 v37, v36, v37
	v_lshlrev_b32_e32 v2, 1, v2
	ds_write_b16_d16_hi v2, v14
	v_sub_u32_e32 v2, v37, v11
	v_sub_u32_e32 v3, v28, v2
	v_and_b32_sdwa v4, v25, v30 dst_sel:DWORD dst_unused:UNUSED_PAD src0_sel:DWORD src1_sel:WORD_1
	v_add_u32_e32 v3, 18, v3
	v_cmp_eq_u32_e32 vcc, 1, v4
	v_cndmask_b32_e32 v2, v3, v2, vcc
	v_lshlrev_b32_e32 v2, 1, v2
	ds_write_b16 v2, v15
	v_sub_u32_e32 v2, v31, v11
	v_add_u32_e32 v2, v37, v2
	v_sub_u32_e32 v3, v28, v2
	v_and_b32_e32 v4, 1, v29
	v_add_u32_e32 v3, 19, v3
	v_cmp_eq_u32_e32 vcc, 1, v4
	v_cndmask_b32_e32 v2, v3, v2, vcc
	v_lshlrev_b32_e32 v2, 1, v2
	ds_write_b16_d16_hi v2, v15
	s_waitcnt lgkmcnt(0)
	s_barrier
	ds_read_u16 v49, v1
	ds_read_u16 v47, v1 offset:512
	ds_read_u16 v45, v1 offset:1024
	ds_read_u16 v43, v1 offset:1536
	ds_read_u16 v41, v1 offset:2048
	ds_read_u16 v39, v1 offset:2560
	ds_read_u16 v37, v1 offset:3072
	ds_read_u16 v35, v1 offset:3584
	ds_read_u16 v33, v1 offset:4096
	ds_read_u16 v31, v1 offset:4608
	ds_read_u16 v29, v1 offset:5120
	ds_read_u16 v27, v1 offset:5632
	ds_read_u16 v25, v1 offset:6144
	ds_read_u16 v23, v1 offset:6656
	ds_read_u16 v21, v1 offset:7168
	ds_read_u16 v19, v1 offset:7680
	ds_read_u16 v17, v1 offset:8192
	ds_read_u16 v15, v1 offset:8704
	ds_read_u16 v9, v1 offset:9216
	ds_read_u16 v5, v1 offset:9728
	s_add_u32 s2, s18, s28
	s_addc_u32 s3, s19, 0
	s_waitcnt vmcnt(0)
	v_add_co_u32_e32 v1, vcc, v12, v11
	s_sub_u32 s2, s26, s2
	v_addc_co_u32_e32 v4, vcc, 0, v13, vcc
	s_subb_u32 s3, s27, s3
	v_mov_b32_e32 v2, s3
	v_add_co_u32_e32 v3, vcc, s2, v10
	v_addc_co_u32_e32 v2, vcc, 0, v2, vcc
	v_add_co_u32_e64 v7, s[2:3], v3, v1
	v_or_b32_e32 v48, 0x100, v0
	v_or_b32_e32 v46, 0x200, v0
	;; [unrolled: 1-line block ×19, first 2 shown]
	s_andn2_b64 vcc, exec, s[30:31]
	v_addc_co_u32_e64 v8, s[2:3], v2, v4, s[2:3]
	s_cbranch_vccnz .LBB266_218
; %bb.134:
	v_cmp_ge_u32_e32 vcc, v0, v10
                                        ; implicit-def: $vgpr2_vgpr3
	s_and_saveexec_b64 s[2:3], vcc
	s_xor_b64 s[2:3], exec, s[2:3]
; %bb.135:
	v_not_b32_e32 v2, v0
	v_ashrrev_i32_e32 v3, 31, v2
	v_add_co_u32_e32 v2, vcc, v7, v2
	v_addc_co_u32_e32 v3, vcc, v8, v3, vcc
; %bb.136:
	s_andn2_saveexec_b64 s[2:3], s[2:3]
; %bb.137:
	v_add_co_u32_e32 v2, vcc, v1, v0
	v_addc_co_u32_e32 v3, vcc, 0, v4, vcc
; %bb.138:
	s_or_b64 exec, exec, s[2:3]
	v_lshlrev_b64 v[2:3], 1, v[2:3]
	v_mov_b32_e32 v11, s25
	v_add_co_u32_e32 v2, vcc, s24, v2
	v_addc_co_u32_e32 v3, vcc, v11, v3, vcc
	v_cmp_ge_u32_e32 vcc, v48, v10
	s_waitcnt lgkmcnt(14)
	global_store_short v[2:3], v49, off
                                        ; implicit-def: $vgpr2_vgpr3
	s_and_saveexec_b64 s[2:3], vcc
	s_xor_b64 s[2:3], exec, s[2:3]
; %bb.139:
	v_xor_b32_e32 v2, 0xfffffeff, v0
	v_ashrrev_i32_e32 v3, 31, v2
	v_add_co_u32_e32 v2, vcc, v7, v2
	v_addc_co_u32_e32 v3, vcc, v8, v3, vcc
; %bb.140:
	s_andn2_saveexec_b64 s[2:3], s[2:3]
; %bb.141:
	v_add_co_u32_e32 v2, vcc, v1, v48
	v_addc_co_u32_e32 v3, vcc, 0, v4, vcc
; %bb.142:
	s_or_b64 exec, exec, s[2:3]
	v_lshlrev_b64 v[2:3], 1, v[2:3]
	v_mov_b32_e32 v11, s25
	v_add_co_u32_e32 v2, vcc, s24, v2
	v_addc_co_u32_e32 v3, vcc, v11, v3, vcc
	v_cmp_ge_u32_e32 vcc, v46, v10
	global_store_short v[2:3], v47, off
                                        ; implicit-def: $vgpr2_vgpr3
	s_and_saveexec_b64 s[2:3], vcc
	s_xor_b64 s[2:3], exec, s[2:3]
; %bb.143:
	v_xor_b32_e32 v2, 0xfffffdff, v0
	v_ashrrev_i32_e32 v3, 31, v2
	v_add_co_u32_e32 v2, vcc, v7, v2
	v_addc_co_u32_e32 v3, vcc, v8, v3, vcc
; %bb.144:
	s_andn2_saveexec_b64 s[2:3], s[2:3]
; %bb.145:
	v_add_co_u32_e32 v2, vcc, v1, v46
	v_addc_co_u32_e32 v3, vcc, 0, v4, vcc
; %bb.146:
	s_or_b64 exec, exec, s[2:3]
	v_lshlrev_b64 v[2:3], 1, v[2:3]
	v_mov_b32_e32 v11, s25
	v_add_co_u32_e32 v2, vcc, s24, v2
	v_addc_co_u32_e32 v3, vcc, v11, v3, vcc
	v_cmp_ge_u32_e32 vcc, v44, v10
	;; [unrolled: 21-line block ×6, first 2 shown]
	s_waitcnt lgkmcnt(13)
	global_store_short v[2:3], v37, off
                                        ; implicit-def: $vgpr2_vgpr3
	s_and_saveexec_b64 s[2:3], vcc
	s_xor_b64 s[2:3], exec, s[2:3]
; %bb.163:
	v_xor_b32_e32 v2, 0xfffff8ff, v0
	v_ashrrev_i32_e32 v3, 31, v2
	v_add_co_u32_e32 v2, vcc, v7, v2
	v_addc_co_u32_e32 v3, vcc, v8, v3, vcc
; %bb.164:
	s_andn2_saveexec_b64 s[2:3], s[2:3]
; %bb.165:
	v_add_co_u32_e32 v2, vcc, v1, v36
	v_addc_co_u32_e32 v3, vcc, 0, v4, vcc
; %bb.166:
	s_or_b64 exec, exec, s[2:3]
	v_lshlrev_b64 v[2:3], 1, v[2:3]
	v_mov_b32_e32 v11, s25
	v_add_co_u32_e32 v2, vcc, s24, v2
	v_addc_co_u32_e32 v3, vcc, v11, v3, vcc
	v_cmp_ge_u32_e32 vcc, v34, v10
	s_waitcnt lgkmcnt(12)
	global_store_short v[2:3], v35, off
                                        ; implicit-def: $vgpr2_vgpr3
	s_and_saveexec_b64 s[2:3], vcc
	s_xor_b64 s[2:3], exec, s[2:3]
; %bb.167:
	v_xor_b32_e32 v2, 0xfffff7ff, v0
	v_ashrrev_i32_e32 v3, 31, v2
	v_add_co_u32_e32 v2, vcc, v7, v2
	v_addc_co_u32_e32 v3, vcc, v8, v3, vcc
; %bb.168:
	s_andn2_saveexec_b64 s[2:3], s[2:3]
; %bb.169:
	v_add_co_u32_e32 v2, vcc, v1, v34
	v_addc_co_u32_e32 v3, vcc, 0, v4, vcc
; %bb.170:
	s_or_b64 exec, exec, s[2:3]
	v_lshlrev_b64 v[2:3], 1, v[2:3]
	v_mov_b32_e32 v11, s25
	v_add_co_u32_e32 v2, vcc, s24, v2
	v_addc_co_u32_e32 v3, vcc, v11, v3, vcc
	v_cmp_ge_u32_e32 vcc, v32, v10
	;; [unrolled: 22-line block ×12, first 2 shown]
	s_waitcnt lgkmcnt(1)
	global_store_short v[2:3], v9, off
                                        ; implicit-def: $vgpr2_vgpr3
	s_and_saveexec_b64 s[2:3], vcc
	s_xor_b64 s[2:3], exec, s[2:3]
; %bb.211:
	v_xor_b32_e32 v2, 0xffffecff, v0
	v_ashrrev_i32_e32 v3, 31, v2
	v_add_co_u32_e32 v2, vcc, v7, v2
	v_addc_co_u32_e32 v3, vcc, v8, v3, vcc
; %bb.212:
	s_andn2_saveexec_b64 s[2:3], s[2:3]
; %bb.213:
	v_add_co_u32_e32 v2, vcc, v1, v6
	v_addc_co_u32_e32 v3, vcc, 0, v4, vcc
; %bb.214:
	s_or_b64 exec, exec, s[2:3]
	s_mov_b64 s[2:3], -1
.LBB266_215:
	s_and_saveexec_b64 s[4:5], s[2:3]
	s_cbranch_execz .LBB266_276
.LBB266_216:
	v_lshlrev_b64 v[2:3], 1, v[2:3]
	v_mov_b32_e32 v0, s25
	v_add_co_u32_e32 v2, vcc, s24, v2
	v_addc_co_u32_e32 v3, vcc, v0, v3, vcc
	s_waitcnt lgkmcnt(0)
	global_store_short v[2:3], v5, off
	s_or_b64 exec, exec, s[4:5]
	s_and_b64 s[0:1], s[0:1], s[22:23]
	s_and_saveexec_b64 s[2:3], s[0:1]
	s_cbranch_execnz .LBB266_277
.LBB266_217:
	s_endpgm
.LBB266_218:
	s_mov_b64 s[2:3], 0
                                        ; implicit-def: $vgpr2_vgpr3
	s_cbranch_execz .LBB266_215
; %bb.219:
	v_cmp_gt_u32_e32 vcc, s33, v0
	s_and_saveexec_b64 s[4:5], vcc
	s_cbranch_execz .LBB266_278
; %bb.220:
	v_cmp_ge_u32_e32 vcc, v0, v10
                                        ; implicit-def: $vgpr2_vgpr3
	s_and_saveexec_b64 s[6:7], vcc
	s_xor_b64 s[6:7], exec, s[6:7]
; %bb.221:
	v_not_b32_e32 v2, v0
	v_ashrrev_i32_e32 v3, 31, v2
	v_add_co_u32_e32 v2, vcc, v7, v2
	v_addc_co_u32_e32 v3, vcc, v8, v3, vcc
; %bb.222:
	s_andn2_saveexec_b64 s[6:7], s[6:7]
; %bb.223:
	v_add_co_u32_e32 v2, vcc, v1, v0
	v_addc_co_u32_e32 v3, vcc, 0, v4, vcc
; %bb.224:
	s_or_b64 exec, exec, s[6:7]
	v_lshlrev_b64 v[2:3], 1, v[2:3]
	v_mov_b32_e32 v11, s25
	v_add_co_u32_e32 v2, vcc, s24, v2
	v_addc_co_u32_e32 v3, vcc, v11, v3, vcc
	s_waitcnt lgkmcnt(14)
	global_store_short v[2:3], v49, off
	s_or_b64 exec, exec, s[4:5]
	v_cmp_gt_u32_e32 vcc, s33, v48
	s_and_saveexec_b64 s[4:5], vcc
	s_cbranch_execnz .LBB266_279
.LBB266_225:
	s_or_b64 exec, exec, s[4:5]
	v_cmp_gt_u32_e32 vcc, s33, v46
	s_and_saveexec_b64 s[4:5], vcc
	s_cbranch_execz .LBB266_284
.LBB266_226:
	v_cmp_ge_u32_e32 vcc, v46, v10
                                        ; implicit-def: $vgpr2_vgpr3
	s_and_saveexec_b64 s[6:7], vcc
	s_xor_b64 s[6:7], exec, s[6:7]
; %bb.227:
	v_xor_b32_e32 v2, 0xfffffdff, v0
	v_ashrrev_i32_e32 v3, 31, v2
	v_add_co_u32_e32 v2, vcc, v7, v2
	v_addc_co_u32_e32 v3, vcc, v8, v3, vcc
                                        ; implicit-def: $vgpr46
; %bb.228:
	s_andn2_saveexec_b64 s[6:7], s[6:7]
; %bb.229:
	v_add_co_u32_e32 v2, vcc, v1, v46
	v_addc_co_u32_e32 v3, vcc, 0, v4, vcc
; %bb.230:
	s_or_b64 exec, exec, s[6:7]
	v_lshlrev_b64 v[2:3], 1, v[2:3]
	v_mov_b32_e32 v11, s25
	v_add_co_u32_e32 v2, vcc, s24, v2
	v_addc_co_u32_e32 v3, vcc, v11, v3, vcc
	s_waitcnt lgkmcnt(14)
	global_store_short v[2:3], v45, off
	s_or_b64 exec, exec, s[4:5]
	v_cmp_gt_u32_e32 vcc, s33, v44
	s_and_saveexec_b64 s[4:5], vcc
	s_cbranch_execnz .LBB266_285
.LBB266_231:
	s_or_b64 exec, exec, s[4:5]
	v_cmp_gt_u32_e32 vcc, s33, v42
	s_and_saveexec_b64 s[4:5], vcc
	s_cbranch_execz .LBB266_290
.LBB266_232:
	v_cmp_ge_u32_e32 vcc, v42, v10
                                        ; implicit-def: $vgpr2_vgpr3
	s_and_saveexec_b64 s[6:7], vcc
	s_xor_b64 s[6:7], exec, s[6:7]
; %bb.233:
	v_xor_b32_e32 v2, 0xfffffbff, v0
	v_ashrrev_i32_e32 v3, 31, v2
	v_add_co_u32_e32 v2, vcc, v7, v2
	v_addc_co_u32_e32 v3, vcc, v8, v3, vcc
                                        ; implicit-def: $vgpr42
; %bb.234:
	s_andn2_saveexec_b64 s[6:7], s[6:7]
; %bb.235:
	v_add_co_u32_e32 v2, vcc, v1, v42
	v_addc_co_u32_e32 v3, vcc, 0, v4, vcc
; %bb.236:
	s_or_b64 exec, exec, s[6:7]
	v_lshlrev_b64 v[2:3], 1, v[2:3]
	v_mov_b32_e32 v11, s25
	v_add_co_u32_e32 v2, vcc, s24, v2
	v_addc_co_u32_e32 v3, vcc, v11, v3, vcc
	s_waitcnt lgkmcnt(14)
	global_store_short v[2:3], v41, off
	s_or_b64 exec, exec, s[4:5]
	v_cmp_gt_u32_e32 vcc, s33, v40
	s_and_saveexec_b64 s[4:5], vcc
	s_cbranch_execnz .LBB266_291
.LBB266_237:
	s_or_b64 exec, exec, s[4:5]
	v_cmp_gt_u32_e32 vcc, s33, v38
	s_and_saveexec_b64 s[4:5], vcc
	s_cbranch_execz .LBB266_296
.LBB266_238:
	v_cmp_ge_u32_e32 vcc, v38, v10
                                        ; implicit-def: $vgpr2_vgpr3
	s_and_saveexec_b64 s[6:7], vcc
	s_xor_b64 s[6:7], exec, s[6:7]
; %bb.239:
	v_xor_b32_e32 v2, 0xfffff9ff, v0
	v_ashrrev_i32_e32 v3, 31, v2
	v_add_co_u32_e32 v2, vcc, v7, v2
	v_addc_co_u32_e32 v3, vcc, v8, v3, vcc
                                        ; implicit-def: $vgpr38
; %bb.240:
	s_andn2_saveexec_b64 s[6:7], s[6:7]
; %bb.241:
	v_add_co_u32_e32 v2, vcc, v1, v38
	v_addc_co_u32_e32 v3, vcc, 0, v4, vcc
; %bb.242:
	s_or_b64 exec, exec, s[6:7]
	v_lshlrev_b64 v[2:3], 1, v[2:3]
	v_mov_b32_e32 v11, s25
	v_add_co_u32_e32 v2, vcc, s24, v2
	v_addc_co_u32_e32 v3, vcc, v11, v3, vcc
	s_waitcnt lgkmcnt(13)
	global_store_short v[2:3], v37, off
	s_or_b64 exec, exec, s[4:5]
	v_cmp_gt_u32_e32 vcc, s33, v36
	s_and_saveexec_b64 s[4:5], vcc
	s_cbranch_execnz .LBB266_297
.LBB266_243:
	s_or_b64 exec, exec, s[4:5]
	v_cmp_gt_u32_e32 vcc, s33, v34
	s_and_saveexec_b64 s[4:5], vcc
	s_cbranch_execz .LBB266_302
.LBB266_244:
	v_cmp_ge_u32_e32 vcc, v34, v10
                                        ; implicit-def: $vgpr2_vgpr3
	s_and_saveexec_b64 s[6:7], vcc
	s_xor_b64 s[6:7], exec, s[6:7]
; %bb.245:
	v_xor_b32_e32 v2, 0xfffff7ff, v0
	v_ashrrev_i32_e32 v3, 31, v2
	v_add_co_u32_e32 v2, vcc, v7, v2
	v_addc_co_u32_e32 v3, vcc, v8, v3, vcc
                                        ; implicit-def: $vgpr34
; %bb.246:
	s_andn2_saveexec_b64 s[6:7], s[6:7]
; %bb.247:
	v_add_co_u32_e32 v2, vcc, v1, v34
	v_addc_co_u32_e32 v3, vcc, 0, v4, vcc
; %bb.248:
	s_or_b64 exec, exec, s[6:7]
	v_lshlrev_b64 v[2:3], 1, v[2:3]
	v_mov_b32_e32 v11, s25
	v_add_co_u32_e32 v2, vcc, s24, v2
	v_addc_co_u32_e32 v3, vcc, v11, v3, vcc
	s_waitcnt lgkmcnt(11)
	global_store_short v[2:3], v33, off
	s_or_b64 exec, exec, s[4:5]
	v_cmp_gt_u32_e32 vcc, s33, v32
	s_and_saveexec_b64 s[4:5], vcc
	s_cbranch_execnz .LBB266_303
.LBB266_249:
	s_or_b64 exec, exec, s[4:5]
	v_cmp_gt_u32_e32 vcc, s33, v30
	s_and_saveexec_b64 s[4:5], vcc
	s_cbranch_execz .LBB266_308
.LBB266_250:
	v_cmp_ge_u32_e32 vcc, v30, v10
                                        ; implicit-def: $vgpr2_vgpr3
	s_and_saveexec_b64 s[6:7], vcc
	s_xor_b64 s[6:7], exec, s[6:7]
; %bb.251:
	v_xor_b32_e32 v2, 0xfffff5ff, v0
	v_ashrrev_i32_e32 v3, 31, v2
	v_add_co_u32_e32 v2, vcc, v7, v2
	v_addc_co_u32_e32 v3, vcc, v8, v3, vcc
                                        ; implicit-def: $vgpr30
; %bb.252:
	s_andn2_saveexec_b64 s[6:7], s[6:7]
; %bb.253:
	v_add_co_u32_e32 v2, vcc, v1, v30
	v_addc_co_u32_e32 v3, vcc, 0, v4, vcc
; %bb.254:
	s_or_b64 exec, exec, s[6:7]
	v_lshlrev_b64 v[2:3], 1, v[2:3]
	v_mov_b32_e32 v11, s25
	v_add_co_u32_e32 v2, vcc, s24, v2
	v_addc_co_u32_e32 v3, vcc, v11, v3, vcc
	s_waitcnt lgkmcnt(9)
	global_store_short v[2:3], v29, off
	s_or_b64 exec, exec, s[4:5]
	v_cmp_gt_u32_e32 vcc, s33, v28
	s_and_saveexec_b64 s[4:5], vcc
	s_cbranch_execnz .LBB266_309
.LBB266_255:
	s_or_b64 exec, exec, s[4:5]
	v_cmp_gt_u32_e32 vcc, s33, v26
	s_and_saveexec_b64 s[4:5], vcc
	s_cbranch_execz .LBB266_314
.LBB266_256:
	v_cmp_ge_u32_e32 vcc, v26, v10
                                        ; implicit-def: $vgpr2_vgpr3
	s_and_saveexec_b64 s[6:7], vcc
	s_xor_b64 s[6:7], exec, s[6:7]
; %bb.257:
	v_xor_b32_e32 v2, 0xfffff3ff, v0
	v_ashrrev_i32_e32 v3, 31, v2
	v_add_co_u32_e32 v2, vcc, v7, v2
	v_addc_co_u32_e32 v3, vcc, v8, v3, vcc
                                        ; implicit-def: $vgpr26
; %bb.258:
	s_andn2_saveexec_b64 s[6:7], s[6:7]
; %bb.259:
	v_add_co_u32_e32 v2, vcc, v1, v26
	v_addc_co_u32_e32 v3, vcc, 0, v4, vcc
; %bb.260:
	s_or_b64 exec, exec, s[6:7]
	v_lshlrev_b64 v[2:3], 1, v[2:3]
	v_mov_b32_e32 v11, s25
	v_add_co_u32_e32 v2, vcc, s24, v2
	v_addc_co_u32_e32 v3, vcc, v11, v3, vcc
	s_waitcnt lgkmcnt(7)
	global_store_short v[2:3], v25, off
	s_or_b64 exec, exec, s[4:5]
	v_cmp_gt_u32_e32 vcc, s33, v24
	s_and_saveexec_b64 s[4:5], vcc
	s_cbranch_execnz .LBB266_315
.LBB266_261:
	s_or_b64 exec, exec, s[4:5]
	v_cmp_gt_u32_e32 vcc, s33, v22
	s_and_saveexec_b64 s[4:5], vcc
	s_cbranch_execz .LBB266_320
.LBB266_262:
	v_cmp_ge_u32_e32 vcc, v22, v10
                                        ; implicit-def: $vgpr2_vgpr3
	s_and_saveexec_b64 s[6:7], vcc
	s_xor_b64 s[6:7], exec, s[6:7]
; %bb.263:
	v_xor_b32_e32 v2, 0xfffff1ff, v0
	v_ashrrev_i32_e32 v3, 31, v2
	v_add_co_u32_e32 v2, vcc, v7, v2
	v_addc_co_u32_e32 v3, vcc, v8, v3, vcc
                                        ; implicit-def: $vgpr22
; %bb.264:
	s_andn2_saveexec_b64 s[6:7], s[6:7]
; %bb.265:
	v_add_co_u32_e32 v2, vcc, v1, v22
	v_addc_co_u32_e32 v3, vcc, 0, v4, vcc
; %bb.266:
	s_or_b64 exec, exec, s[6:7]
	v_lshlrev_b64 v[2:3], 1, v[2:3]
	v_mov_b32_e32 v11, s25
	v_add_co_u32_e32 v2, vcc, s24, v2
	v_addc_co_u32_e32 v3, vcc, v11, v3, vcc
	s_waitcnt lgkmcnt(5)
	global_store_short v[2:3], v21, off
	s_or_b64 exec, exec, s[4:5]
	v_cmp_gt_u32_e32 vcc, s33, v20
	s_and_saveexec_b64 s[4:5], vcc
	s_cbranch_execnz .LBB266_321
.LBB266_267:
	s_or_b64 exec, exec, s[4:5]
	v_cmp_gt_u32_e32 vcc, s33, v18
	s_and_saveexec_b64 s[4:5], vcc
	s_cbranch_execz .LBB266_326
.LBB266_268:
	v_cmp_ge_u32_e32 vcc, v18, v10
                                        ; implicit-def: $vgpr2_vgpr3
	s_and_saveexec_b64 s[6:7], vcc
	s_xor_b64 s[6:7], exec, s[6:7]
; %bb.269:
	v_xor_b32_e32 v2, 0xffffefff, v0
	v_ashrrev_i32_e32 v3, 31, v2
	v_add_co_u32_e32 v2, vcc, v7, v2
	v_addc_co_u32_e32 v3, vcc, v8, v3, vcc
                                        ; implicit-def: $vgpr18
; %bb.270:
	s_andn2_saveexec_b64 s[6:7], s[6:7]
; %bb.271:
	v_add_co_u32_e32 v2, vcc, v1, v18
	v_addc_co_u32_e32 v3, vcc, 0, v4, vcc
; %bb.272:
	s_or_b64 exec, exec, s[6:7]
	v_lshlrev_b64 v[2:3], 1, v[2:3]
	v_mov_b32_e32 v11, s25
	v_add_co_u32_e32 v2, vcc, s24, v2
	v_addc_co_u32_e32 v3, vcc, v11, v3, vcc
	s_waitcnt lgkmcnt(3)
	global_store_short v[2:3], v17, off
	s_or_b64 exec, exec, s[4:5]
	v_cmp_gt_u32_e32 vcc, s33, v16
	s_and_saveexec_b64 s[4:5], vcc
	s_cbranch_execnz .LBB266_327
.LBB266_273:
	s_or_b64 exec, exec, s[4:5]
	v_cmp_gt_u32_e32 vcc, s33, v14
	s_and_saveexec_b64 s[4:5], vcc
	s_cbranch_execnz .LBB266_332
.LBB266_274:
	s_or_b64 exec, exec, s[4:5]
	v_cmp_gt_u32_e32 vcc, s33, v6
                                        ; implicit-def: $vgpr2_vgpr3
	s_and_saveexec_b64 s[4:5], vcc
	s_cbranch_execnz .LBB266_337
.LBB266_275:
	s_or_b64 exec, exec, s[4:5]
	s_and_saveexec_b64 s[4:5], s[2:3]
	s_cbranch_execnz .LBB266_216
.LBB266_276:
	s_or_b64 exec, exec, s[4:5]
	s_and_b64 s[0:1], s[0:1], s[22:23]
	s_and_saveexec_b64 s[2:3], s[0:1]
	s_cbranch_execz .LBB266_217
.LBB266_277:
	v_add_co_u32_e32 v0, vcc, v1, v10
	v_mov_b32_e32 v2, 0
	v_addc_co_u32_e32 v1, vcc, 0, v4, vcc
	global_store_dwordx2 v2, v[0:1], s[20:21]
	s_endpgm
.LBB266_278:
	s_or_b64 exec, exec, s[4:5]
	v_cmp_gt_u32_e32 vcc, s33, v48
	s_and_saveexec_b64 s[4:5], vcc
	s_cbranch_execz .LBB266_225
.LBB266_279:
	v_cmp_ge_u32_e32 vcc, v48, v10
                                        ; implicit-def: $vgpr2_vgpr3
	s_and_saveexec_b64 s[6:7], vcc
	s_xor_b64 s[6:7], exec, s[6:7]
; %bb.280:
	v_xor_b32_e32 v2, 0xfffffeff, v0
	v_ashrrev_i32_e32 v3, 31, v2
	v_add_co_u32_e32 v2, vcc, v7, v2
	v_addc_co_u32_e32 v3, vcc, v8, v3, vcc
                                        ; implicit-def: $vgpr48
; %bb.281:
	s_andn2_saveexec_b64 s[6:7], s[6:7]
; %bb.282:
	v_add_co_u32_e32 v2, vcc, v1, v48
	v_addc_co_u32_e32 v3, vcc, 0, v4, vcc
; %bb.283:
	s_or_b64 exec, exec, s[6:7]
	v_lshlrev_b64 v[2:3], 1, v[2:3]
	v_mov_b32_e32 v11, s25
	v_add_co_u32_e32 v2, vcc, s24, v2
	v_addc_co_u32_e32 v3, vcc, v11, v3, vcc
	s_waitcnt lgkmcnt(14)
	global_store_short v[2:3], v47, off
	s_or_b64 exec, exec, s[4:5]
	v_cmp_gt_u32_e32 vcc, s33, v46
	s_and_saveexec_b64 s[4:5], vcc
	s_cbranch_execnz .LBB266_226
.LBB266_284:
	s_or_b64 exec, exec, s[4:5]
	v_cmp_gt_u32_e32 vcc, s33, v44
	s_and_saveexec_b64 s[4:5], vcc
	s_cbranch_execz .LBB266_231
.LBB266_285:
	v_cmp_ge_u32_e32 vcc, v44, v10
                                        ; implicit-def: $vgpr2_vgpr3
	s_and_saveexec_b64 s[6:7], vcc
	s_xor_b64 s[6:7], exec, s[6:7]
; %bb.286:
	v_xor_b32_e32 v2, 0xfffffcff, v0
	v_ashrrev_i32_e32 v3, 31, v2
	v_add_co_u32_e32 v2, vcc, v7, v2
	v_addc_co_u32_e32 v3, vcc, v8, v3, vcc
                                        ; implicit-def: $vgpr44
; %bb.287:
	s_andn2_saveexec_b64 s[6:7], s[6:7]
; %bb.288:
	v_add_co_u32_e32 v2, vcc, v1, v44
	v_addc_co_u32_e32 v3, vcc, 0, v4, vcc
; %bb.289:
	s_or_b64 exec, exec, s[6:7]
	v_lshlrev_b64 v[2:3], 1, v[2:3]
	v_mov_b32_e32 v11, s25
	v_add_co_u32_e32 v2, vcc, s24, v2
	v_addc_co_u32_e32 v3, vcc, v11, v3, vcc
	s_waitcnt lgkmcnt(14)
	global_store_short v[2:3], v43, off
	s_or_b64 exec, exec, s[4:5]
	v_cmp_gt_u32_e32 vcc, s33, v42
	s_and_saveexec_b64 s[4:5], vcc
	s_cbranch_execnz .LBB266_232
.LBB266_290:
	s_or_b64 exec, exec, s[4:5]
	v_cmp_gt_u32_e32 vcc, s33, v40
	s_and_saveexec_b64 s[4:5], vcc
	s_cbranch_execz .LBB266_237
.LBB266_291:
	v_cmp_ge_u32_e32 vcc, v40, v10
                                        ; implicit-def: $vgpr2_vgpr3
	s_and_saveexec_b64 s[6:7], vcc
	s_xor_b64 s[6:7], exec, s[6:7]
; %bb.292:
	v_xor_b32_e32 v2, 0xfffffaff, v0
	v_ashrrev_i32_e32 v3, 31, v2
	v_add_co_u32_e32 v2, vcc, v7, v2
	v_addc_co_u32_e32 v3, vcc, v8, v3, vcc
                                        ; implicit-def: $vgpr40
; %bb.293:
	s_andn2_saveexec_b64 s[6:7], s[6:7]
; %bb.294:
	v_add_co_u32_e32 v2, vcc, v1, v40
	v_addc_co_u32_e32 v3, vcc, 0, v4, vcc
; %bb.295:
	s_or_b64 exec, exec, s[6:7]
	v_lshlrev_b64 v[2:3], 1, v[2:3]
	v_mov_b32_e32 v11, s25
	v_add_co_u32_e32 v2, vcc, s24, v2
	v_addc_co_u32_e32 v3, vcc, v11, v3, vcc
	s_waitcnt lgkmcnt(14)
	global_store_short v[2:3], v39, off
	s_or_b64 exec, exec, s[4:5]
	v_cmp_gt_u32_e32 vcc, s33, v38
	s_and_saveexec_b64 s[4:5], vcc
	s_cbranch_execnz .LBB266_238
.LBB266_296:
	s_or_b64 exec, exec, s[4:5]
	v_cmp_gt_u32_e32 vcc, s33, v36
	s_and_saveexec_b64 s[4:5], vcc
	s_cbranch_execz .LBB266_243
.LBB266_297:
	v_cmp_ge_u32_e32 vcc, v36, v10
                                        ; implicit-def: $vgpr2_vgpr3
	s_and_saveexec_b64 s[6:7], vcc
	s_xor_b64 s[6:7], exec, s[6:7]
; %bb.298:
	v_xor_b32_e32 v2, 0xfffff8ff, v0
	v_ashrrev_i32_e32 v3, 31, v2
	v_add_co_u32_e32 v2, vcc, v7, v2
	v_addc_co_u32_e32 v3, vcc, v8, v3, vcc
                                        ; implicit-def: $vgpr36
; %bb.299:
	s_andn2_saveexec_b64 s[6:7], s[6:7]
; %bb.300:
	v_add_co_u32_e32 v2, vcc, v1, v36
	v_addc_co_u32_e32 v3, vcc, 0, v4, vcc
; %bb.301:
	s_or_b64 exec, exec, s[6:7]
	v_lshlrev_b64 v[2:3], 1, v[2:3]
	v_mov_b32_e32 v11, s25
	v_add_co_u32_e32 v2, vcc, s24, v2
	v_addc_co_u32_e32 v3, vcc, v11, v3, vcc
	s_waitcnt lgkmcnt(12)
	global_store_short v[2:3], v35, off
	s_or_b64 exec, exec, s[4:5]
	v_cmp_gt_u32_e32 vcc, s33, v34
	s_and_saveexec_b64 s[4:5], vcc
	s_cbranch_execnz .LBB266_244
.LBB266_302:
	s_or_b64 exec, exec, s[4:5]
	v_cmp_gt_u32_e32 vcc, s33, v32
	s_and_saveexec_b64 s[4:5], vcc
	s_cbranch_execz .LBB266_249
.LBB266_303:
	v_cmp_ge_u32_e32 vcc, v32, v10
                                        ; implicit-def: $vgpr2_vgpr3
	s_and_saveexec_b64 s[6:7], vcc
	s_xor_b64 s[6:7], exec, s[6:7]
; %bb.304:
	v_xor_b32_e32 v2, 0xfffff6ff, v0
	v_ashrrev_i32_e32 v3, 31, v2
	v_add_co_u32_e32 v2, vcc, v7, v2
	v_addc_co_u32_e32 v3, vcc, v8, v3, vcc
                                        ; implicit-def: $vgpr32
; %bb.305:
	s_andn2_saveexec_b64 s[6:7], s[6:7]
; %bb.306:
	v_add_co_u32_e32 v2, vcc, v1, v32
	v_addc_co_u32_e32 v3, vcc, 0, v4, vcc
; %bb.307:
	s_or_b64 exec, exec, s[6:7]
	v_lshlrev_b64 v[2:3], 1, v[2:3]
	v_mov_b32_e32 v11, s25
	v_add_co_u32_e32 v2, vcc, s24, v2
	v_addc_co_u32_e32 v3, vcc, v11, v3, vcc
	s_waitcnt lgkmcnt(10)
	global_store_short v[2:3], v31, off
	s_or_b64 exec, exec, s[4:5]
	v_cmp_gt_u32_e32 vcc, s33, v30
	s_and_saveexec_b64 s[4:5], vcc
	s_cbranch_execnz .LBB266_250
.LBB266_308:
	s_or_b64 exec, exec, s[4:5]
	v_cmp_gt_u32_e32 vcc, s33, v28
	s_and_saveexec_b64 s[4:5], vcc
	s_cbranch_execz .LBB266_255
.LBB266_309:
	v_cmp_ge_u32_e32 vcc, v28, v10
                                        ; implicit-def: $vgpr2_vgpr3
	s_and_saveexec_b64 s[6:7], vcc
	s_xor_b64 s[6:7], exec, s[6:7]
; %bb.310:
	v_xor_b32_e32 v2, 0xfffff4ff, v0
	v_ashrrev_i32_e32 v3, 31, v2
	v_add_co_u32_e32 v2, vcc, v7, v2
	v_addc_co_u32_e32 v3, vcc, v8, v3, vcc
                                        ; implicit-def: $vgpr28
; %bb.311:
	s_andn2_saveexec_b64 s[6:7], s[6:7]
; %bb.312:
	v_add_co_u32_e32 v2, vcc, v1, v28
	v_addc_co_u32_e32 v3, vcc, 0, v4, vcc
; %bb.313:
	s_or_b64 exec, exec, s[6:7]
	v_lshlrev_b64 v[2:3], 1, v[2:3]
	v_mov_b32_e32 v11, s25
	v_add_co_u32_e32 v2, vcc, s24, v2
	v_addc_co_u32_e32 v3, vcc, v11, v3, vcc
	s_waitcnt lgkmcnt(8)
	global_store_short v[2:3], v27, off
	s_or_b64 exec, exec, s[4:5]
	v_cmp_gt_u32_e32 vcc, s33, v26
	s_and_saveexec_b64 s[4:5], vcc
	s_cbranch_execnz .LBB266_256
.LBB266_314:
	s_or_b64 exec, exec, s[4:5]
	v_cmp_gt_u32_e32 vcc, s33, v24
	s_and_saveexec_b64 s[4:5], vcc
	s_cbranch_execz .LBB266_261
.LBB266_315:
	v_cmp_ge_u32_e32 vcc, v24, v10
                                        ; implicit-def: $vgpr2_vgpr3
	s_and_saveexec_b64 s[6:7], vcc
	s_xor_b64 s[6:7], exec, s[6:7]
; %bb.316:
	v_xor_b32_e32 v2, 0xfffff2ff, v0
	v_ashrrev_i32_e32 v3, 31, v2
	v_add_co_u32_e32 v2, vcc, v7, v2
	v_addc_co_u32_e32 v3, vcc, v8, v3, vcc
                                        ; implicit-def: $vgpr24
; %bb.317:
	s_andn2_saveexec_b64 s[6:7], s[6:7]
; %bb.318:
	v_add_co_u32_e32 v2, vcc, v1, v24
	v_addc_co_u32_e32 v3, vcc, 0, v4, vcc
; %bb.319:
	s_or_b64 exec, exec, s[6:7]
	v_lshlrev_b64 v[2:3], 1, v[2:3]
	v_mov_b32_e32 v11, s25
	v_add_co_u32_e32 v2, vcc, s24, v2
	v_addc_co_u32_e32 v3, vcc, v11, v3, vcc
	s_waitcnt lgkmcnt(6)
	global_store_short v[2:3], v23, off
	s_or_b64 exec, exec, s[4:5]
	v_cmp_gt_u32_e32 vcc, s33, v22
	s_and_saveexec_b64 s[4:5], vcc
	s_cbranch_execnz .LBB266_262
.LBB266_320:
	s_or_b64 exec, exec, s[4:5]
	v_cmp_gt_u32_e32 vcc, s33, v20
	s_and_saveexec_b64 s[4:5], vcc
	s_cbranch_execz .LBB266_267
.LBB266_321:
	v_cmp_ge_u32_e32 vcc, v20, v10
                                        ; implicit-def: $vgpr2_vgpr3
	s_and_saveexec_b64 s[6:7], vcc
	s_xor_b64 s[6:7], exec, s[6:7]
; %bb.322:
	v_xor_b32_e32 v2, 0xfffff0ff, v0
	v_ashrrev_i32_e32 v3, 31, v2
	v_add_co_u32_e32 v2, vcc, v7, v2
	v_addc_co_u32_e32 v3, vcc, v8, v3, vcc
                                        ; implicit-def: $vgpr20
; %bb.323:
	s_andn2_saveexec_b64 s[6:7], s[6:7]
; %bb.324:
	v_add_co_u32_e32 v2, vcc, v1, v20
	v_addc_co_u32_e32 v3, vcc, 0, v4, vcc
; %bb.325:
	s_or_b64 exec, exec, s[6:7]
	v_lshlrev_b64 v[2:3], 1, v[2:3]
	v_mov_b32_e32 v11, s25
	v_add_co_u32_e32 v2, vcc, s24, v2
	v_addc_co_u32_e32 v3, vcc, v11, v3, vcc
	s_waitcnt lgkmcnt(4)
	global_store_short v[2:3], v19, off
	s_or_b64 exec, exec, s[4:5]
	v_cmp_gt_u32_e32 vcc, s33, v18
	s_and_saveexec_b64 s[4:5], vcc
	s_cbranch_execnz .LBB266_268
.LBB266_326:
	s_or_b64 exec, exec, s[4:5]
	v_cmp_gt_u32_e32 vcc, s33, v16
	s_and_saveexec_b64 s[4:5], vcc
	s_cbranch_execz .LBB266_273
.LBB266_327:
	v_cmp_ge_u32_e32 vcc, v16, v10
                                        ; implicit-def: $vgpr2_vgpr3
	s_and_saveexec_b64 s[6:7], vcc
	s_xor_b64 s[6:7], exec, s[6:7]
; %bb.328:
	v_xor_b32_e32 v2, 0xffffeeff, v0
	v_ashrrev_i32_e32 v3, 31, v2
	v_add_co_u32_e32 v2, vcc, v7, v2
	v_addc_co_u32_e32 v3, vcc, v8, v3, vcc
                                        ; implicit-def: $vgpr16
; %bb.329:
	s_andn2_saveexec_b64 s[6:7], s[6:7]
; %bb.330:
	v_add_co_u32_e32 v2, vcc, v1, v16
	v_addc_co_u32_e32 v3, vcc, 0, v4, vcc
; %bb.331:
	s_or_b64 exec, exec, s[6:7]
	v_lshlrev_b64 v[2:3], 1, v[2:3]
	v_mov_b32_e32 v11, s25
	v_add_co_u32_e32 v2, vcc, s24, v2
	v_addc_co_u32_e32 v3, vcc, v11, v3, vcc
	s_waitcnt lgkmcnt(2)
	global_store_short v[2:3], v15, off
	s_or_b64 exec, exec, s[4:5]
	v_cmp_gt_u32_e32 vcc, s33, v14
	s_and_saveexec_b64 s[4:5], vcc
	s_cbranch_execz .LBB266_274
.LBB266_332:
	v_cmp_ge_u32_e32 vcc, v14, v10
                                        ; implicit-def: $vgpr2_vgpr3
	s_and_saveexec_b64 s[6:7], vcc
	s_xor_b64 s[6:7], exec, s[6:7]
; %bb.333:
	v_xor_b32_e32 v2, 0xffffedff, v0
	v_ashrrev_i32_e32 v3, 31, v2
	v_add_co_u32_e32 v2, vcc, v7, v2
	v_addc_co_u32_e32 v3, vcc, v8, v3, vcc
                                        ; implicit-def: $vgpr14
; %bb.334:
	s_andn2_saveexec_b64 s[6:7], s[6:7]
; %bb.335:
	v_add_co_u32_e32 v2, vcc, v1, v14
	v_addc_co_u32_e32 v3, vcc, 0, v4, vcc
; %bb.336:
	s_or_b64 exec, exec, s[6:7]
	v_lshlrev_b64 v[2:3], 1, v[2:3]
	v_mov_b32_e32 v11, s25
	v_add_co_u32_e32 v2, vcc, s24, v2
	v_addc_co_u32_e32 v3, vcc, v11, v3, vcc
	s_waitcnt lgkmcnt(1)
	global_store_short v[2:3], v9, off
	s_or_b64 exec, exec, s[4:5]
	v_cmp_gt_u32_e32 vcc, s33, v6
                                        ; implicit-def: $vgpr2_vgpr3
	s_and_saveexec_b64 s[4:5], vcc
	s_cbranch_execz .LBB266_275
.LBB266_337:
	v_cmp_ge_u32_e32 vcc, v6, v10
                                        ; implicit-def: $vgpr2_vgpr3
	s_and_saveexec_b64 s[6:7], vcc
	s_xor_b64 s[6:7], exec, s[6:7]
; %bb.338:
	v_xor_b32_e32 v0, 0xffffecff, v0
	v_ashrrev_i32_e32 v3, 31, v0
	v_add_co_u32_e32 v2, vcc, v7, v0
	v_addc_co_u32_e32 v3, vcc, v8, v3, vcc
                                        ; implicit-def: $vgpr6
; %bb.339:
	s_andn2_saveexec_b64 s[6:7], s[6:7]
; %bb.340:
	v_add_co_u32_e32 v2, vcc, v1, v6
	v_addc_co_u32_e32 v3, vcc, 0, v4, vcc
; %bb.341:
	s_or_b64 exec, exec, s[6:7]
	s_or_b64 s[2:3], s[2:3], exec
	s_or_b64 exec, exec, s[4:5]
	s_and_saveexec_b64 s[4:5], s[2:3]
	s_cbranch_execnz .LBB266_216
	s_branch .LBB266_276
	.section	.rodata,"a",@progbits
	.p2align	6, 0x0
	.amdhsa_kernel _ZN7rocprim17ROCPRIM_400000_NS6detail17trampoline_kernelINS0_14default_configENS1_25partition_config_selectorILNS1_17partition_subalgoE2EsNS0_10empty_typeEbEEZZNS1_14partition_implILS5_2ELb0ES3_jN6thrust23THRUST_200600_302600_NS6detail15normal_iteratorINSA_7pointerIsNSA_11hip_rocprim3tagENSA_11use_defaultESG_EEEEPS6_NSA_18transform_iteratorI7is_evenIsENSC_INSA_10device_ptrIsEEEESG_SG_EENS0_5tupleIJPsSJ_EEENSR_IJSJ_SJ_EEES6_PlJS6_EEE10hipError_tPvRmT3_T4_T5_T6_T7_T9_mT8_P12ihipStream_tbDpT10_ENKUlT_T0_E_clISt17integral_constantIbLb1EES1F_EEDaS1A_S1B_EUlS1A_E_NS1_11comp_targetILNS1_3genE4ELNS1_11target_archE910ELNS1_3gpuE8ELNS1_3repE0EEENS1_30default_config_static_selectorELNS0_4arch9wavefront6targetE1EEEvT1_
		.amdhsa_group_segment_fixed_size 10248
		.amdhsa_private_segment_fixed_size 0
		.amdhsa_kernarg_size 144
		.amdhsa_user_sgpr_count 6
		.amdhsa_user_sgpr_private_segment_buffer 1
		.amdhsa_user_sgpr_dispatch_ptr 0
		.amdhsa_user_sgpr_queue_ptr 0
		.amdhsa_user_sgpr_kernarg_segment_ptr 1
		.amdhsa_user_sgpr_dispatch_id 0
		.amdhsa_user_sgpr_flat_scratch_init 0
		.amdhsa_user_sgpr_kernarg_preload_length 0
		.amdhsa_user_sgpr_kernarg_preload_offset 0
		.amdhsa_user_sgpr_private_segment_size 0
		.amdhsa_uses_dynamic_stack 0
		.amdhsa_system_sgpr_private_segment_wavefront_offset 0
		.amdhsa_system_sgpr_workgroup_id_x 1
		.amdhsa_system_sgpr_workgroup_id_y 0
		.amdhsa_system_sgpr_workgroup_id_z 0
		.amdhsa_system_sgpr_workgroup_info 0
		.amdhsa_system_vgpr_workitem_id 0
		.amdhsa_next_free_vgpr 67
		.amdhsa_next_free_sgpr 46
		.amdhsa_accum_offset 68
		.amdhsa_reserve_vcc 1
		.amdhsa_reserve_flat_scratch 0
		.amdhsa_float_round_mode_32 0
		.amdhsa_float_round_mode_16_64 0
		.amdhsa_float_denorm_mode_32 3
		.amdhsa_float_denorm_mode_16_64 3
		.amdhsa_dx10_clamp 1
		.amdhsa_ieee_mode 1
		.amdhsa_fp16_overflow 0
		.amdhsa_tg_split 0
		.amdhsa_exception_fp_ieee_invalid_op 0
		.amdhsa_exception_fp_denorm_src 0
		.amdhsa_exception_fp_ieee_div_zero 0
		.amdhsa_exception_fp_ieee_overflow 0
		.amdhsa_exception_fp_ieee_underflow 0
		.amdhsa_exception_fp_ieee_inexact 0
		.amdhsa_exception_int_div_zero 0
	.end_amdhsa_kernel
	.section	.text._ZN7rocprim17ROCPRIM_400000_NS6detail17trampoline_kernelINS0_14default_configENS1_25partition_config_selectorILNS1_17partition_subalgoE2EsNS0_10empty_typeEbEEZZNS1_14partition_implILS5_2ELb0ES3_jN6thrust23THRUST_200600_302600_NS6detail15normal_iteratorINSA_7pointerIsNSA_11hip_rocprim3tagENSA_11use_defaultESG_EEEEPS6_NSA_18transform_iteratorI7is_evenIsENSC_INSA_10device_ptrIsEEEESG_SG_EENS0_5tupleIJPsSJ_EEENSR_IJSJ_SJ_EEES6_PlJS6_EEE10hipError_tPvRmT3_T4_T5_T6_T7_T9_mT8_P12ihipStream_tbDpT10_ENKUlT_T0_E_clISt17integral_constantIbLb1EES1F_EEDaS1A_S1B_EUlS1A_E_NS1_11comp_targetILNS1_3genE4ELNS1_11target_archE910ELNS1_3gpuE8ELNS1_3repE0EEENS1_30default_config_static_selectorELNS0_4arch9wavefront6targetE1EEEvT1_,"axG",@progbits,_ZN7rocprim17ROCPRIM_400000_NS6detail17trampoline_kernelINS0_14default_configENS1_25partition_config_selectorILNS1_17partition_subalgoE2EsNS0_10empty_typeEbEEZZNS1_14partition_implILS5_2ELb0ES3_jN6thrust23THRUST_200600_302600_NS6detail15normal_iteratorINSA_7pointerIsNSA_11hip_rocprim3tagENSA_11use_defaultESG_EEEEPS6_NSA_18transform_iteratorI7is_evenIsENSC_INSA_10device_ptrIsEEEESG_SG_EENS0_5tupleIJPsSJ_EEENSR_IJSJ_SJ_EEES6_PlJS6_EEE10hipError_tPvRmT3_T4_T5_T6_T7_T9_mT8_P12ihipStream_tbDpT10_ENKUlT_T0_E_clISt17integral_constantIbLb1EES1F_EEDaS1A_S1B_EUlS1A_E_NS1_11comp_targetILNS1_3genE4ELNS1_11target_archE910ELNS1_3gpuE8ELNS1_3repE0EEENS1_30default_config_static_selectorELNS0_4arch9wavefront6targetE1EEEvT1_,comdat
.Lfunc_end266:
	.size	_ZN7rocprim17ROCPRIM_400000_NS6detail17trampoline_kernelINS0_14default_configENS1_25partition_config_selectorILNS1_17partition_subalgoE2EsNS0_10empty_typeEbEEZZNS1_14partition_implILS5_2ELb0ES3_jN6thrust23THRUST_200600_302600_NS6detail15normal_iteratorINSA_7pointerIsNSA_11hip_rocprim3tagENSA_11use_defaultESG_EEEEPS6_NSA_18transform_iteratorI7is_evenIsENSC_INSA_10device_ptrIsEEEESG_SG_EENS0_5tupleIJPsSJ_EEENSR_IJSJ_SJ_EEES6_PlJS6_EEE10hipError_tPvRmT3_T4_T5_T6_T7_T9_mT8_P12ihipStream_tbDpT10_ENKUlT_T0_E_clISt17integral_constantIbLb1EES1F_EEDaS1A_S1B_EUlS1A_E_NS1_11comp_targetILNS1_3genE4ELNS1_11target_archE910ELNS1_3gpuE8ELNS1_3repE0EEENS1_30default_config_static_selectorELNS0_4arch9wavefront6targetE1EEEvT1_, .Lfunc_end266-_ZN7rocprim17ROCPRIM_400000_NS6detail17trampoline_kernelINS0_14default_configENS1_25partition_config_selectorILNS1_17partition_subalgoE2EsNS0_10empty_typeEbEEZZNS1_14partition_implILS5_2ELb0ES3_jN6thrust23THRUST_200600_302600_NS6detail15normal_iteratorINSA_7pointerIsNSA_11hip_rocprim3tagENSA_11use_defaultESG_EEEEPS6_NSA_18transform_iteratorI7is_evenIsENSC_INSA_10device_ptrIsEEEESG_SG_EENS0_5tupleIJPsSJ_EEENSR_IJSJ_SJ_EEES6_PlJS6_EEE10hipError_tPvRmT3_T4_T5_T6_T7_T9_mT8_P12ihipStream_tbDpT10_ENKUlT_T0_E_clISt17integral_constantIbLb1EES1F_EEDaS1A_S1B_EUlS1A_E_NS1_11comp_targetILNS1_3genE4ELNS1_11target_archE910ELNS1_3gpuE8ELNS1_3repE0EEENS1_30default_config_static_selectorELNS0_4arch9wavefront6targetE1EEEvT1_
                                        ; -- End function
	.section	.AMDGPU.csdata,"",@progbits
; Kernel info:
; codeLenInByte = 10972
; NumSgprs: 50
; NumVgprs: 67
; NumAgprs: 0
; TotalNumVgprs: 67
; ScratchSize: 0
; MemoryBound: 0
; FloatMode: 240
; IeeeMode: 1
; LDSByteSize: 10248 bytes/workgroup (compile time only)
; SGPRBlocks: 6
; VGPRBlocks: 8
; NumSGPRsForWavesPerEU: 50
; NumVGPRsForWavesPerEU: 67
; AccumOffset: 68
; Occupancy: 6
; WaveLimiterHint : 1
; COMPUTE_PGM_RSRC2:SCRATCH_EN: 0
; COMPUTE_PGM_RSRC2:USER_SGPR: 6
; COMPUTE_PGM_RSRC2:TRAP_HANDLER: 0
; COMPUTE_PGM_RSRC2:TGID_X_EN: 1
; COMPUTE_PGM_RSRC2:TGID_Y_EN: 0
; COMPUTE_PGM_RSRC2:TGID_Z_EN: 0
; COMPUTE_PGM_RSRC2:TIDIG_COMP_CNT: 0
; COMPUTE_PGM_RSRC3_GFX90A:ACCUM_OFFSET: 16
; COMPUTE_PGM_RSRC3_GFX90A:TG_SPLIT: 0
	.section	.text._ZN7rocprim17ROCPRIM_400000_NS6detail17trampoline_kernelINS0_14default_configENS1_25partition_config_selectorILNS1_17partition_subalgoE2EsNS0_10empty_typeEbEEZZNS1_14partition_implILS5_2ELb0ES3_jN6thrust23THRUST_200600_302600_NS6detail15normal_iteratorINSA_7pointerIsNSA_11hip_rocprim3tagENSA_11use_defaultESG_EEEEPS6_NSA_18transform_iteratorI7is_evenIsENSC_INSA_10device_ptrIsEEEESG_SG_EENS0_5tupleIJPsSJ_EEENSR_IJSJ_SJ_EEES6_PlJS6_EEE10hipError_tPvRmT3_T4_T5_T6_T7_T9_mT8_P12ihipStream_tbDpT10_ENKUlT_T0_E_clISt17integral_constantIbLb1EES1F_EEDaS1A_S1B_EUlS1A_E_NS1_11comp_targetILNS1_3genE3ELNS1_11target_archE908ELNS1_3gpuE7ELNS1_3repE0EEENS1_30default_config_static_selectorELNS0_4arch9wavefront6targetE1EEEvT1_,"axG",@progbits,_ZN7rocprim17ROCPRIM_400000_NS6detail17trampoline_kernelINS0_14default_configENS1_25partition_config_selectorILNS1_17partition_subalgoE2EsNS0_10empty_typeEbEEZZNS1_14partition_implILS5_2ELb0ES3_jN6thrust23THRUST_200600_302600_NS6detail15normal_iteratorINSA_7pointerIsNSA_11hip_rocprim3tagENSA_11use_defaultESG_EEEEPS6_NSA_18transform_iteratorI7is_evenIsENSC_INSA_10device_ptrIsEEEESG_SG_EENS0_5tupleIJPsSJ_EEENSR_IJSJ_SJ_EEES6_PlJS6_EEE10hipError_tPvRmT3_T4_T5_T6_T7_T9_mT8_P12ihipStream_tbDpT10_ENKUlT_T0_E_clISt17integral_constantIbLb1EES1F_EEDaS1A_S1B_EUlS1A_E_NS1_11comp_targetILNS1_3genE3ELNS1_11target_archE908ELNS1_3gpuE7ELNS1_3repE0EEENS1_30default_config_static_selectorELNS0_4arch9wavefront6targetE1EEEvT1_,comdat
	.protected	_ZN7rocprim17ROCPRIM_400000_NS6detail17trampoline_kernelINS0_14default_configENS1_25partition_config_selectorILNS1_17partition_subalgoE2EsNS0_10empty_typeEbEEZZNS1_14partition_implILS5_2ELb0ES3_jN6thrust23THRUST_200600_302600_NS6detail15normal_iteratorINSA_7pointerIsNSA_11hip_rocprim3tagENSA_11use_defaultESG_EEEEPS6_NSA_18transform_iteratorI7is_evenIsENSC_INSA_10device_ptrIsEEEESG_SG_EENS0_5tupleIJPsSJ_EEENSR_IJSJ_SJ_EEES6_PlJS6_EEE10hipError_tPvRmT3_T4_T5_T6_T7_T9_mT8_P12ihipStream_tbDpT10_ENKUlT_T0_E_clISt17integral_constantIbLb1EES1F_EEDaS1A_S1B_EUlS1A_E_NS1_11comp_targetILNS1_3genE3ELNS1_11target_archE908ELNS1_3gpuE7ELNS1_3repE0EEENS1_30default_config_static_selectorELNS0_4arch9wavefront6targetE1EEEvT1_ ; -- Begin function _ZN7rocprim17ROCPRIM_400000_NS6detail17trampoline_kernelINS0_14default_configENS1_25partition_config_selectorILNS1_17partition_subalgoE2EsNS0_10empty_typeEbEEZZNS1_14partition_implILS5_2ELb0ES3_jN6thrust23THRUST_200600_302600_NS6detail15normal_iteratorINSA_7pointerIsNSA_11hip_rocprim3tagENSA_11use_defaultESG_EEEEPS6_NSA_18transform_iteratorI7is_evenIsENSC_INSA_10device_ptrIsEEEESG_SG_EENS0_5tupleIJPsSJ_EEENSR_IJSJ_SJ_EEES6_PlJS6_EEE10hipError_tPvRmT3_T4_T5_T6_T7_T9_mT8_P12ihipStream_tbDpT10_ENKUlT_T0_E_clISt17integral_constantIbLb1EES1F_EEDaS1A_S1B_EUlS1A_E_NS1_11comp_targetILNS1_3genE3ELNS1_11target_archE908ELNS1_3gpuE7ELNS1_3repE0EEENS1_30default_config_static_selectorELNS0_4arch9wavefront6targetE1EEEvT1_
	.globl	_ZN7rocprim17ROCPRIM_400000_NS6detail17trampoline_kernelINS0_14default_configENS1_25partition_config_selectorILNS1_17partition_subalgoE2EsNS0_10empty_typeEbEEZZNS1_14partition_implILS5_2ELb0ES3_jN6thrust23THRUST_200600_302600_NS6detail15normal_iteratorINSA_7pointerIsNSA_11hip_rocprim3tagENSA_11use_defaultESG_EEEEPS6_NSA_18transform_iteratorI7is_evenIsENSC_INSA_10device_ptrIsEEEESG_SG_EENS0_5tupleIJPsSJ_EEENSR_IJSJ_SJ_EEES6_PlJS6_EEE10hipError_tPvRmT3_T4_T5_T6_T7_T9_mT8_P12ihipStream_tbDpT10_ENKUlT_T0_E_clISt17integral_constantIbLb1EES1F_EEDaS1A_S1B_EUlS1A_E_NS1_11comp_targetILNS1_3genE3ELNS1_11target_archE908ELNS1_3gpuE7ELNS1_3repE0EEENS1_30default_config_static_selectorELNS0_4arch9wavefront6targetE1EEEvT1_
	.p2align	8
	.type	_ZN7rocprim17ROCPRIM_400000_NS6detail17trampoline_kernelINS0_14default_configENS1_25partition_config_selectorILNS1_17partition_subalgoE2EsNS0_10empty_typeEbEEZZNS1_14partition_implILS5_2ELb0ES3_jN6thrust23THRUST_200600_302600_NS6detail15normal_iteratorINSA_7pointerIsNSA_11hip_rocprim3tagENSA_11use_defaultESG_EEEEPS6_NSA_18transform_iteratorI7is_evenIsENSC_INSA_10device_ptrIsEEEESG_SG_EENS0_5tupleIJPsSJ_EEENSR_IJSJ_SJ_EEES6_PlJS6_EEE10hipError_tPvRmT3_T4_T5_T6_T7_T9_mT8_P12ihipStream_tbDpT10_ENKUlT_T0_E_clISt17integral_constantIbLb1EES1F_EEDaS1A_S1B_EUlS1A_E_NS1_11comp_targetILNS1_3genE3ELNS1_11target_archE908ELNS1_3gpuE7ELNS1_3repE0EEENS1_30default_config_static_selectorELNS0_4arch9wavefront6targetE1EEEvT1_,@function
_ZN7rocprim17ROCPRIM_400000_NS6detail17trampoline_kernelINS0_14default_configENS1_25partition_config_selectorILNS1_17partition_subalgoE2EsNS0_10empty_typeEbEEZZNS1_14partition_implILS5_2ELb0ES3_jN6thrust23THRUST_200600_302600_NS6detail15normal_iteratorINSA_7pointerIsNSA_11hip_rocprim3tagENSA_11use_defaultESG_EEEEPS6_NSA_18transform_iteratorI7is_evenIsENSC_INSA_10device_ptrIsEEEESG_SG_EENS0_5tupleIJPsSJ_EEENSR_IJSJ_SJ_EEES6_PlJS6_EEE10hipError_tPvRmT3_T4_T5_T6_T7_T9_mT8_P12ihipStream_tbDpT10_ENKUlT_T0_E_clISt17integral_constantIbLb1EES1F_EEDaS1A_S1B_EUlS1A_E_NS1_11comp_targetILNS1_3genE3ELNS1_11target_archE908ELNS1_3gpuE7ELNS1_3repE0EEENS1_30default_config_static_selectorELNS0_4arch9wavefront6targetE1EEEvT1_: ; @_ZN7rocprim17ROCPRIM_400000_NS6detail17trampoline_kernelINS0_14default_configENS1_25partition_config_selectorILNS1_17partition_subalgoE2EsNS0_10empty_typeEbEEZZNS1_14partition_implILS5_2ELb0ES3_jN6thrust23THRUST_200600_302600_NS6detail15normal_iteratorINSA_7pointerIsNSA_11hip_rocprim3tagENSA_11use_defaultESG_EEEEPS6_NSA_18transform_iteratorI7is_evenIsENSC_INSA_10device_ptrIsEEEESG_SG_EENS0_5tupleIJPsSJ_EEENSR_IJSJ_SJ_EEES6_PlJS6_EEE10hipError_tPvRmT3_T4_T5_T6_T7_T9_mT8_P12ihipStream_tbDpT10_ENKUlT_T0_E_clISt17integral_constantIbLb1EES1F_EEDaS1A_S1B_EUlS1A_E_NS1_11comp_targetILNS1_3genE3ELNS1_11target_archE908ELNS1_3gpuE7ELNS1_3repE0EEENS1_30default_config_static_selectorELNS0_4arch9wavefront6targetE1EEEvT1_
; %bb.0:
	.section	.rodata,"a",@progbits
	.p2align	6, 0x0
	.amdhsa_kernel _ZN7rocprim17ROCPRIM_400000_NS6detail17trampoline_kernelINS0_14default_configENS1_25partition_config_selectorILNS1_17partition_subalgoE2EsNS0_10empty_typeEbEEZZNS1_14partition_implILS5_2ELb0ES3_jN6thrust23THRUST_200600_302600_NS6detail15normal_iteratorINSA_7pointerIsNSA_11hip_rocprim3tagENSA_11use_defaultESG_EEEEPS6_NSA_18transform_iteratorI7is_evenIsENSC_INSA_10device_ptrIsEEEESG_SG_EENS0_5tupleIJPsSJ_EEENSR_IJSJ_SJ_EEES6_PlJS6_EEE10hipError_tPvRmT3_T4_T5_T6_T7_T9_mT8_P12ihipStream_tbDpT10_ENKUlT_T0_E_clISt17integral_constantIbLb1EES1F_EEDaS1A_S1B_EUlS1A_E_NS1_11comp_targetILNS1_3genE3ELNS1_11target_archE908ELNS1_3gpuE7ELNS1_3repE0EEENS1_30default_config_static_selectorELNS0_4arch9wavefront6targetE1EEEvT1_
		.amdhsa_group_segment_fixed_size 0
		.amdhsa_private_segment_fixed_size 0
		.amdhsa_kernarg_size 144
		.amdhsa_user_sgpr_count 6
		.amdhsa_user_sgpr_private_segment_buffer 1
		.amdhsa_user_sgpr_dispatch_ptr 0
		.amdhsa_user_sgpr_queue_ptr 0
		.amdhsa_user_sgpr_kernarg_segment_ptr 1
		.amdhsa_user_sgpr_dispatch_id 0
		.amdhsa_user_sgpr_flat_scratch_init 0
		.amdhsa_user_sgpr_kernarg_preload_length 0
		.amdhsa_user_sgpr_kernarg_preload_offset 0
		.amdhsa_user_sgpr_private_segment_size 0
		.amdhsa_uses_dynamic_stack 0
		.amdhsa_system_sgpr_private_segment_wavefront_offset 0
		.amdhsa_system_sgpr_workgroup_id_x 1
		.amdhsa_system_sgpr_workgroup_id_y 0
		.amdhsa_system_sgpr_workgroup_id_z 0
		.amdhsa_system_sgpr_workgroup_info 0
		.amdhsa_system_vgpr_workitem_id 0
		.amdhsa_next_free_vgpr 1
		.amdhsa_next_free_sgpr 0
		.amdhsa_accum_offset 4
		.amdhsa_reserve_vcc 0
		.amdhsa_reserve_flat_scratch 0
		.amdhsa_float_round_mode_32 0
		.amdhsa_float_round_mode_16_64 0
		.amdhsa_float_denorm_mode_32 3
		.amdhsa_float_denorm_mode_16_64 3
		.amdhsa_dx10_clamp 1
		.amdhsa_ieee_mode 1
		.amdhsa_fp16_overflow 0
		.amdhsa_tg_split 0
		.amdhsa_exception_fp_ieee_invalid_op 0
		.amdhsa_exception_fp_denorm_src 0
		.amdhsa_exception_fp_ieee_div_zero 0
		.amdhsa_exception_fp_ieee_overflow 0
		.amdhsa_exception_fp_ieee_underflow 0
		.amdhsa_exception_fp_ieee_inexact 0
		.amdhsa_exception_int_div_zero 0
	.end_amdhsa_kernel
	.section	.text._ZN7rocprim17ROCPRIM_400000_NS6detail17trampoline_kernelINS0_14default_configENS1_25partition_config_selectorILNS1_17partition_subalgoE2EsNS0_10empty_typeEbEEZZNS1_14partition_implILS5_2ELb0ES3_jN6thrust23THRUST_200600_302600_NS6detail15normal_iteratorINSA_7pointerIsNSA_11hip_rocprim3tagENSA_11use_defaultESG_EEEEPS6_NSA_18transform_iteratorI7is_evenIsENSC_INSA_10device_ptrIsEEEESG_SG_EENS0_5tupleIJPsSJ_EEENSR_IJSJ_SJ_EEES6_PlJS6_EEE10hipError_tPvRmT3_T4_T5_T6_T7_T9_mT8_P12ihipStream_tbDpT10_ENKUlT_T0_E_clISt17integral_constantIbLb1EES1F_EEDaS1A_S1B_EUlS1A_E_NS1_11comp_targetILNS1_3genE3ELNS1_11target_archE908ELNS1_3gpuE7ELNS1_3repE0EEENS1_30default_config_static_selectorELNS0_4arch9wavefront6targetE1EEEvT1_,"axG",@progbits,_ZN7rocprim17ROCPRIM_400000_NS6detail17trampoline_kernelINS0_14default_configENS1_25partition_config_selectorILNS1_17partition_subalgoE2EsNS0_10empty_typeEbEEZZNS1_14partition_implILS5_2ELb0ES3_jN6thrust23THRUST_200600_302600_NS6detail15normal_iteratorINSA_7pointerIsNSA_11hip_rocprim3tagENSA_11use_defaultESG_EEEEPS6_NSA_18transform_iteratorI7is_evenIsENSC_INSA_10device_ptrIsEEEESG_SG_EENS0_5tupleIJPsSJ_EEENSR_IJSJ_SJ_EEES6_PlJS6_EEE10hipError_tPvRmT3_T4_T5_T6_T7_T9_mT8_P12ihipStream_tbDpT10_ENKUlT_T0_E_clISt17integral_constantIbLb1EES1F_EEDaS1A_S1B_EUlS1A_E_NS1_11comp_targetILNS1_3genE3ELNS1_11target_archE908ELNS1_3gpuE7ELNS1_3repE0EEENS1_30default_config_static_selectorELNS0_4arch9wavefront6targetE1EEEvT1_,comdat
.Lfunc_end267:
	.size	_ZN7rocprim17ROCPRIM_400000_NS6detail17trampoline_kernelINS0_14default_configENS1_25partition_config_selectorILNS1_17partition_subalgoE2EsNS0_10empty_typeEbEEZZNS1_14partition_implILS5_2ELb0ES3_jN6thrust23THRUST_200600_302600_NS6detail15normal_iteratorINSA_7pointerIsNSA_11hip_rocprim3tagENSA_11use_defaultESG_EEEEPS6_NSA_18transform_iteratorI7is_evenIsENSC_INSA_10device_ptrIsEEEESG_SG_EENS0_5tupleIJPsSJ_EEENSR_IJSJ_SJ_EEES6_PlJS6_EEE10hipError_tPvRmT3_T4_T5_T6_T7_T9_mT8_P12ihipStream_tbDpT10_ENKUlT_T0_E_clISt17integral_constantIbLb1EES1F_EEDaS1A_S1B_EUlS1A_E_NS1_11comp_targetILNS1_3genE3ELNS1_11target_archE908ELNS1_3gpuE7ELNS1_3repE0EEENS1_30default_config_static_selectorELNS0_4arch9wavefront6targetE1EEEvT1_, .Lfunc_end267-_ZN7rocprim17ROCPRIM_400000_NS6detail17trampoline_kernelINS0_14default_configENS1_25partition_config_selectorILNS1_17partition_subalgoE2EsNS0_10empty_typeEbEEZZNS1_14partition_implILS5_2ELb0ES3_jN6thrust23THRUST_200600_302600_NS6detail15normal_iteratorINSA_7pointerIsNSA_11hip_rocprim3tagENSA_11use_defaultESG_EEEEPS6_NSA_18transform_iteratorI7is_evenIsENSC_INSA_10device_ptrIsEEEESG_SG_EENS0_5tupleIJPsSJ_EEENSR_IJSJ_SJ_EEES6_PlJS6_EEE10hipError_tPvRmT3_T4_T5_T6_T7_T9_mT8_P12ihipStream_tbDpT10_ENKUlT_T0_E_clISt17integral_constantIbLb1EES1F_EEDaS1A_S1B_EUlS1A_E_NS1_11comp_targetILNS1_3genE3ELNS1_11target_archE908ELNS1_3gpuE7ELNS1_3repE0EEENS1_30default_config_static_selectorELNS0_4arch9wavefront6targetE1EEEvT1_
                                        ; -- End function
	.section	.AMDGPU.csdata,"",@progbits
; Kernel info:
; codeLenInByte = 0
; NumSgprs: 4
; NumVgprs: 0
; NumAgprs: 0
; TotalNumVgprs: 0
; ScratchSize: 0
; MemoryBound: 0
; FloatMode: 240
; IeeeMode: 1
; LDSByteSize: 0 bytes/workgroup (compile time only)
; SGPRBlocks: 0
; VGPRBlocks: 0
; NumSGPRsForWavesPerEU: 4
; NumVGPRsForWavesPerEU: 1
; AccumOffset: 4
; Occupancy: 8
; WaveLimiterHint : 0
; COMPUTE_PGM_RSRC2:SCRATCH_EN: 0
; COMPUTE_PGM_RSRC2:USER_SGPR: 6
; COMPUTE_PGM_RSRC2:TRAP_HANDLER: 0
; COMPUTE_PGM_RSRC2:TGID_X_EN: 1
; COMPUTE_PGM_RSRC2:TGID_Y_EN: 0
; COMPUTE_PGM_RSRC2:TGID_Z_EN: 0
; COMPUTE_PGM_RSRC2:TIDIG_COMP_CNT: 0
; COMPUTE_PGM_RSRC3_GFX90A:ACCUM_OFFSET: 0
; COMPUTE_PGM_RSRC3_GFX90A:TG_SPLIT: 0
	.section	.text._ZN7rocprim17ROCPRIM_400000_NS6detail17trampoline_kernelINS0_14default_configENS1_25partition_config_selectorILNS1_17partition_subalgoE2EsNS0_10empty_typeEbEEZZNS1_14partition_implILS5_2ELb0ES3_jN6thrust23THRUST_200600_302600_NS6detail15normal_iteratorINSA_7pointerIsNSA_11hip_rocprim3tagENSA_11use_defaultESG_EEEEPS6_NSA_18transform_iteratorI7is_evenIsENSC_INSA_10device_ptrIsEEEESG_SG_EENS0_5tupleIJPsSJ_EEENSR_IJSJ_SJ_EEES6_PlJS6_EEE10hipError_tPvRmT3_T4_T5_T6_T7_T9_mT8_P12ihipStream_tbDpT10_ENKUlT_T0_E_clISt17integral_constantIbLb1EES1F_EEDaS1A_S1B_EUlS1A_E_NS1_11comp_targetILNS1_3genE2ELNS1_11target_archE906ELNS1_3gpuE6ELNS1_3repE0EEENS1_30default_config_static_selectorELNS0_4arch9wavefront6targetE1EEEvT1_,"axG",@progbits,_ZN7rocprim17ROCPRIM_400000_NS6detail17trampoline_kernelINS0_14default_configENS1_25partition_config_selectorILNS1_17partition_subalgoE2EsNS0_10empty_typeEbEEZZNS1_14partition_implILS5_2ELb0ES3_jN6thrust23THRUST_200600_302600_NS6detail15normal_iteratorINSA_7pointerIsNSA_11hip_rocprim3tagENSA_11use_defaultESG_EEEEPS6_NSA_18transform_iteratorI7is_evenIsENSC_INSA_10device_ptrIsEEEESG_SG_EENS0_5tupleIJPsSJ_EEENSR_IJSJ_SJ_EEES6_PlJS6_EEE10hipError_tPvRmT3_T4_T5_T6_T7_T9_mT8_P12ihipStream_tbDpT10_ENKUlT_T0_E_clISt17integral_constantIbLb1EES1F_EEDaS1A_S1B_EUlS1A_E_NS1_11comp_targetILNS1_3genE2ELNS1_11target_archE906ELNS1_3gpuE6ELNS1_3repE0EEENS1_30default_config_static_selectorELNS0_4arch9wavefront6targetE1EEEvT1_,comdat
	.protected	_ZN7rocprim17ROCPRIM_400000_NS6detail17trampoline_kernelINS0_14default_configENS1_25partition_config_selectorILNS1_17partition_subalgoE2EsNS0_10empty_typeEbEEZZNS1_14partition_implILS5_2ELb0ES3_jN6thrust23THRUST_200600_302600_NS6detail15normal_iteratorINSA_7pointerIsNSA_11hip_rocprim3tagENSA_11use_defaultESG_EEEEPS6_NSA_18transform_iteratorI7is_evenIsENSC_INSA_10device_ptrIsEEEESG_SG_EENS0_5tupleIJPsSJ_EEENSR_IJSJ_SJ_EEES6_PlJS6_EEE10hipError_tPvRmT3_T4_T5_T6_T7_T9_mT8_P12ihipStream_tbDpT10_ENKUlT_T0_E_clISt17integral_constantIbLb1EES1F_EEDaS1A_S1B_EUlS1A_E_NS1_11comp_targetILNS1_3genE2ELNS1_11target_archE906ELNS1_3gpuE6ELNS1_3repE0EEENS1_30default_config_static_selectorELNS0_4arch9wavefront6targetE1EEEvT1_ ; -- Begin function _ZN7rocprim17ROCPRIM_400000_NS6detail17trampoline_kernelINS0_14default_configENS1_25partition_config_selectorILNS1_17partition_subalgoE2EsNS0_10empty_typeEbEEZZNS1_14partition_implILS5_2ELb0ES3_jN6thrust23THRUST_200600_302600_NS6detail15normal_iteratorINSA_7pointerIsNSA_11hip_rocprim3tagENSA_11use_defaultESG_EEEEPS6_NSA_18transform_iteratorI7is_evenIsENSC_INSA_10device_ptrIsEEEESG_SG_EENS0_5tupleIJPsSJ_EEENSR_IJSJ_SJ_EEES6_PlJS6_EEE10hipError_tPvRmT3_T4_T5_T6_T7_T9_mT8_P12ihipStream_tbDpT10_ENKUlT_T0_E_clISt17integral_constantIbLb1EES1F_EEDaS1A_S1B_EUlS1A_E_NS1_11comp_targetILNS1_3genE2ELNS1_11target_archE906ELNS1_3gpuE6ELNS1_3repE0EEENS1_30default_config_static_selectorELNS0_4arch9wavefront6targetE1EEEvT1_
	.globl	_ZN7rocprim17ROCPRIM_400000_NS6detail17trampoline_kernelINS0_14default_configENS1_25partition_config_selectorILNS1_17partition_subalgoE2EsNS0_10empty_typeEbEEZZNS1_14partition_implILS5_2ELb0ES3_jN6thrust23THRUST_200600_302600_NS6detail15normal_iteratorINSA_7pointerIsNSA_11hip_rocprim3tagENSA_11use_defaultESG_EEEEPS6_NSA_18transform_iteratorI7is_evenIsENSC_INSA_10device_ptrIsEEEESG_SG_EENS0_5tupleIJPsSJ_EEENSR_IJSJ_SJ_EEES6_PlJS6_EEE10hipError_tPvRmT3_T4_T5_T6_T7_T9_mT8_P12ihipStream_tbDpT10_ENKUlT_T0_E_clISt17integral_constantIbLb1EES1F_EEDaS1A_S1B_EUlS1A_E_NS1_11comp_targetILNS1_3genE2ELNS1_11target_archE906ELNS1_3gpuE6ELNS1_3repE0EEENS1_30default_config_static_selectorELNS0_4arch9wavefront6targetE1EEEvT1_
	.p2align	8
	.type	_ZN7rocprim17ROCPRIM_400000_NS6detail17trampoline_kernelINS0_14default_configENS1_25partition_config_selectorILNS1_17partition_subalgoE2EsNS0_10empty_typeEbEEZZNS1_14partition_implILS5_2ELb0ES3_jN6thrust23THRUST_200600_302600_NS6detail15normal_iteratorINSA_7pointerIsNSA_11hip_rocprim3tagENSA_11use_defaultESG_EEEEPS6_NSA_18transform_iteratorI7is_evenIsENSC_INSA_10device_ptrIsEEEESG_SG_EENS0_5tupleIJPsSJ_EEENSR_IJSJ_SJ_EEES6_PlJS6_EEE10hipError_tPvRmT3_T4_T5_T6_T7_T9_mT8_P12ihipStream_tbDpT10_ENKUlT_T0_E_clISt17integral_constantIbLb1EES1F_EEDaS1A_S1B_EUlS1A_E_NS1_11comp_targetILNS1_3genE2ELNS1_11target_archE906ELNS1_3gpuE6ELNS1_3repE0EEENS1_30default_config_static_selectorELNS0_4arch9wavefront6targetE1EEEvT1_,@function
_ZN7rocprim17ROCPRIM_400000_NS6detail17trampoline_kernelINS0_14default_configENS1_25partition_config_selectorILNS1_17partition_subalgoE2EsNS0_10empty_typeEbEEZZNS1_14partition_implILS5_2ELb0ES3_jN6thrust23THRUST_200600_302600_NS6detail15normal_iteratorINSA_7pointerIsNSA_11hip_rocprim3tagENSA_11use_defaultESG_EEEEPS6_NSA_18transform_iteratorI7is_evenIsENSC_INSA_10device_ptrIsEEEESG_SG_EENS0_5tupleIJPsSJ_EEENSR_IJSJ_SJ_EEES6_PlJS6_EEE10hipError_tPvRmT3_T4_T5_T6_T7_T9_mT8_P12ihipStream_tbDpT10_ENKUlT_T0_E_clISt17integral_constantIbLb1EES1F_EEDaS1A_S1B_EUlS1A_E_NS1_11comp_targetILNS1_3genE2ELNS1_11target_archE906ELNS1_3gpuE6ELNS1_3repE0EEENS1_30default_config_static_selectorELNS0_4arch9wavefront6targetE1EEEvT1_: ; @_ZN7rocprim17ROCPRIM_400000_NS6detail17trampoline_kernelINS0_14default_configENS1_25partition_config_selectorILNS1_17partition_subalgoE2EsNS0_10empty_typeEbEEZZNS1_14partition_implILS5_2ELb0ES3_jN6thrust23THRUST_200600_302600_NS6detail15normal_iteratorINSA_7pointerIsNSA_11hip_rocprim3tagENSA_11use_defaultESG_EEEEPS6_NSA_18transform_iteratorI7is_evenIsENSC_INSA_10device_ptrIsEEEESG_SG_EENS0_5tupleIJPsSJ_EEENSR_IJSJ_SJ_EEES6_PlJS6_EEE10hipError_tPvRmT3_T4_T5_T6_T7_T9_mT8_P12ihipStream_tbDpT10_ENKUlT_T0_E_clISt17integral_constantIbLb1EES1F_EEDaS1A_S1B_EUlS1A_E_NS1_11comp_targetILNS1_3genE2ELNS1_11target_archE906ELNS1_3gpuE6ELNS1_3repE0EEENS1_30default_config_static_selectorELNS0_4arch9wavefront6targetE1EEEvT1_
; %bb.0:
	.section	.rodata,"a",@progbits
	.p2align	6, 0x0
	.amdhsa_kernel _ZN7rocprim17ROCPRIM_400000_NS6detail17trampoline_kernelINS0_14default_configENS1_25partition_config_selectorILNS1_17partition_subalgoE2EsNS0_10empty_typeEbEEZZNS1_14partition_implILS5_2ELb0ES3_jN6thrust23THRUST_200600_302600_NS6detail15normal_iteratorINSA_7pointerIsNSA_11hip_rocprim3tagENSA_11use_defaultESG_EEEEPS6_NSA_18transform_iteratorI7is_evenIsENSC_INSA_10device_ptrIsEEEESG_SG_EENS0_5tupleIJPsSJ_EEENSR_IJSJ_SJ_EEES6_PlJS6_EEE10hipError_tPvRmT3_T4_T5_T6_T7_T9_mT8_P12ihipStream_tbDpT10_ENKUlT_T0_E_clISt17integral_constantIbLb1EES1F_EEDaS1A_S1B_EUlS1A_E_NS1_11comp_targetILNS1_3genE2ELNS1_11target_archE906ELNS1_3gpuE6ELNS1_3repE0EEENS1_30default_config_static_selectorELNS0_4arch9wavefront6targetE1EEEvT1_
		.amdhsa_group_segment_fixed_size 0
		.amdhsa_private_segment_fixed_size 0
		.amdhsa_kernarg_size 144
		.amdhsa_user_sgpr_count 6
		.amdhsa_user_sgpr_private_segment_buffer 1
		.amdhsa_user_sgpr_dispatch_ptr 0
		.amdhsa_user_sgpr_queue_ptr 0
		.amdhsa_user_sgpr_kernarg_segment_ptr 1
		.amdhsa_user_sgpr_dispatch_id 0
		.amdhsa_user_sgpr_flat_scratch_init 0
		.amdhsa_user_sgpr_kernarg_preload_length 0
		.amdhsa_user_sgpr_kernarg_preload_offset 0
		.amdhsa_user_sgpr_private_segment_size 0
		.amdhsa_uses_dynamic_stack 0
		.amdhsa_system_sgpr_private_segment_wavefront_offset 0
		.amdhsa_system_sgpr_workgroup_id_x 1
		.amdhsa_system_sgpr_workgroup_id_y 0
		.amdhsa_system_sgpr_workgroup_id_z 0
		.amdhsa_system_sgpr_workgroup_info 0
		.amdhsa_system_vgpr_workitem_id 0
		.amdhsa_next_free_vgpr 1
		.amdhsa_next_free_sgpr 0
		.amdhsa_accum_offset 4
		.amdhsa_reserve_vcc 0
		.amdhsa_reserve_flat_scratch 0
		.amdhsa_float_round_mode_32 0
		.amdhsa_float_round_mode_16_64 0
		.amdhsa_float_denorm_mode_32 3
		.amdhsa_float_denorm_mode_16_64 3
		.amdhsa_dx10_clamp 1
		.amdhsa_ieee_mode 1
		.amdhsa_fp16_overflow 0
		.amdhsa_tg_split 0
		.amdhsa_exception_fp_ieee_invalid_op 0
		.amdhsa_exception_fp_denorm_src 0
		.amdhsa_exception_fp_ieee_div_zero 0
		.amdhsa_exception_fp_ieee_overflow 0
		.amdhsa_exception_fp_ieee_underflow 0
		.amdhsa_exception_fp_ieee_inexact 0
		.amdhsa_exception_int_div_zero 0
	.end_amdhsa_kernel
	.section	.text._ZN7rocprim17ROCPRIM_400000_NS6detail17trampoline_kernelINS0_14default_configENS1_25partition_config_selectorILNS1_17partition_subalgoE2EsNS0_10empty_typeEbEEZZNS1_14partition_implILS5_2ELb0ES3_jN6thrust23THRUST_200600_302600_NS6detail15normal_iteratorINSA_7pointerIsNSA_11hip_rocprim3tagENSA_11use_defaultESG_EEEEPS6_NSA_18transform_iteratorI7is_evenIsENSC_INSA_10device_ptrIsEEEESG_SG_EENS0_5tupleIJPsSJ_EEENSR_IJSJ_SJ_EEES6_PlJS6_EEE10hipError_tPvRmT3_T4_T5_T6_T7_T9_mT8_P12ihipStream_tbDpT10_ENKUlT_T0_E_clISt17integral_constantIbLb1EES1F_EEDaS1A_S1B_EUlS1A_E_NS1_11comp_targetILNS1_3genE2ELNS1_11target_archE906ELNS1_3gpuE6ELNS1_3repE0EEENS1_30default_config_static_selectorELNS0_4arch9wavefront6targetE1EEEvT1_,"axG",@progbits,_ZN7rocprim17ROCPRIM_400000_NS6detail17trampoline_kernelINS0_14default_configENS1_25partition_config_selectorILNS1_17partition_subalgoE2EsNS0_10empty_typeEbEEZZNS1_14partition_implILS5_2ELb0ES3_jN6thrust23THRUST_200600_302600_NS6detail15normal_iteratorINSA_7pointerIsNSA_11hip_rocprim3tagENSA_11use_defaultESG_EEEEPS6_NSA_18transform_iteratorI7is_evenIsENSC_INSA_10device_ptrIsEEEESG_SG_EENS0_5tupleIJPsSJ_EEENSR_IJSJ_SJ_EEES6_PlJS6_EEE10hipError_tPvRmT3_T4_T5_T6_T7_T9_mT8_P12ihipStream_tbDpT10_ENKUlT_T0_E_clISt17integral_constantIbLb1EES1F_EEDaS1A_S1B_EUlS1A_E_NS1_11comp_targetILNS1_3genE2ELNS1_11target_archE906ELNS1_3gpuE6ELNS1_3repE0EEENS1_30default_config_static_selectorELNS0_4arch9wavefront6targetE1EEEvT1_,comdat
.Lfunc_end268:
	.size	_ZN7rocprim17ROCPRIM_400000_NS6detail17trampoline_kernelINS0_14default_configENS1_25partition_config_selectorILNS1_17partition_subalgoE2EsNS0_10empty_typeEbEEZZNS1_14partition_implILS5_2ELb0ES3_jN6thrust23THRUST_200600_302600_NS6detail15normal_iteratorINSA_7pointerIsNSA_11hip_rocprim3tagENSA_11use_defaultESG_EEEEPS6_NSA_18transform_iteratorI7is_evenIsENSC_INSA_10device_ptrIsEEEESG_SG_EENS0_5tupleIJPsSJ_EEENSR_IJSJ_SJ_EEES6_PlJS6_EEE10hipError_tPvRmT3_T4_T5_T6_T7_T9_mT8_P12ihipStream_tbDpT10_ENKUlT_T0_E_clISt17integral_constantIbLb1EES1F_EEDaS1A_S1B_EUlS1A_E_NS1_11comp_targetILNS1_3genE2ELNS1_11target_archE906ELNS1_3gpuE6ELNS1_3repE0EEENS1_30default_config_static_selectorELNS0_4arch9wavefront6targetE1EEEvT1_, .Lfunc_end268-_ZN7rocprim17ROCPRIM_400000_NS6detail17trampoline_kernelINS0_14default_configENS1_25partition_config_selectorILNS1_17partition_subalgoE2EsNS0_10empty_typeEbEEZZNS1_14partition_implILS5_2ELb0ES3_jN6thrust23THRUST_200600_302600_NS6detail15normal_iteratorINSA_7pointerIsNSA_11hip_rocprim3tagENSA_11use_defaultESG_EEEEPS6_NSA_18transform_iteratorI7is_evenIsENSC_INSA_10device_ptrIsEEEESG_SG_EENS0_5tupleIJPsSJ_EEENSR_IJSJ_SJ_EEES6_PlJS6_EEE10hipError_tPvRmT3_T4_T5_T6_T7_T9_mT8_P12ihipStream_tbDpT10_ENKUlT_T0_E_clISt17integral_constantIbLb1EES1F_EEDaS1A_S1B_EUlS1A_E_NS1_11comp_targetILNS1_3genE2ELNS1_11target_archE906ELNS1_3gpuE6ELNS1_3repE0EEENS1_30default_config_static_selectorELNS0_4arch9wavefront6targetE1EEEvT1_
                                        ; -- End function
	.section	.AMDGPU.csdata,"",@progbits
; Kernel info:
; codeLenInByte = 0
; NumSgprs: 4
; NumVgprs: 0
; NumAgprs: 0
; TotalNumVgprs: 0
; ScratchSize: 0
; MemoryBound: 0
; FloatMode: 240
; IeeeMode: 1
; LDSByteSize: 0 bytes/workgroup (compile time only)
; SGPRBlocks: 0
; VGPRBlocks: 0
; NumSGPRsForWavesPerEU: 4
; NumVGPRsForWavesPerEU: 1
; AccumOffset: 4
; Occupancy: 8
; WaveLimiterHint : 0
; COMPUTE_PGM_RSRC2:SCRATCH_EN: 0
; COMPUTE_PGM_RSRC2:USER_SGPR: 6
; COMPUTE_PGM_RSRC2:TRAP_HANDLER: 0
; COMPUTE_PGM_RSRC2:TGID_X_EN: 1
; COMPUTE_PGM_RSRC2:TGID_Y_EN: 0
; COMPUTE_PGM_RSRC2:TGID_Z_EN: 0
; COMPUTE_PGM_RSRC2:TIDIG_COMP_CNT: 0
; COMPUTE_PGM_RSRC3_GFX90A:ACCUM_OFFSET: 0
; COMPUTE_PGM_RSRC3_GFX90A:TG_SPLIT: 0
	.section	.text._ZN7rocprim17ROCPRIM_400000_NS6detail17trampoline_kernelINS0_14default_configENS1_25partition_config_selectorILNS1_17partition_subalgoE2EsNS0_10empty_typeEbEEZZNS1_14partition_implILS5_2ELb0ES3_jN6thrust23THRUST_200600_302600_NS6detail15normal_iteratorINSA_7pointerIsNSA_11hip_rocprim3tagENSA_11use_defaultESG_EEEEPS6_NSA_18transform_iteratorI7is_evenIsENSC_INSA_10device_ptrIsEEEESG_SG_EENS0_5tupleIJPsSJ_EEENSR_IJSJ_SJ_EEES6_PlJS6_EEE10hipError_tPvRmT3_T4_T5_T6_T7_T9_mT8_P12ihipStream_tbDpT10_ENKUlT_T0_E_clISt17integral_constantIbLb1EES1F_EEDaS1A_S1B_EUlS1A_E_NS1_11comp_targetILNS1_3genE10ELNS1_11target_archE1200ELNS1_3gpuE4ELNS1_3repE0EEENS1_30default_config_static_selectorELNS0_4arch9wavefront6targetE1EEEvT1_,"axG",@progbits,_ZN7rocprim17ROCPRIM_400000_NS6detail17trampoline_kernelINS0_14default_configENS1_25partition_config_selectorILNS1_17partition_subalgoE2EsNS0_10empty_typeEbEEZZNS1_14partition_implILS5_2ELb0ES3_jN6thrust23THRUST_200600_302600_NS6detail15normal_iteratorINSA_7pointerIsNSA_11hip_rocprim3tagENSA_11use_defaultESG_EEEEPS6_NSA_18transform_iteratorI7is_evenIsENSC_INSA_10device_ptrIsEEEESG_SG_EENS0_5tupleIJPsSJ_EEENSR_IJSJ_SJ_EEES6_PlJS6_EEE10hipError_tPvRmT3_T4_T5_T6_T7_T9_mT8_P12ihipStream_tbDpT10_ENKUlT_T0_E_clISt17integral_constantIbLb1EES1F_EEDaS1A_S1B_EUlS1A_E_NS1_11comp_targetILNS1_3genE10ELNS1_11target_archE1200ELNS1_3gpuE4ELNS1_3repE0EEENS1_30default_config_static_selectorELNS0_4arch9wavefront6targetE1EEEvT1_,comdat
	.protected	_ZN7rocprim17ROCPRIM_400000_NS6detail17trampoline_kernelINS0_14default_configENS1_25partition_config_selectorILNS1_17partition_subalgoE2EsNS0_10empty_typeEbEEZZNS1_14partition_implILS5_2ELb0ES3_jN6thrust23THRUST_200600_302600_NS6detail15normal_iteratorINSA_7pointerIsNSA_11hip_rocprim3tagENSA_11use_defaultESG_EEEEPS6_NSA_18transform_iteratorI7is_evenIsENSC_INSA_10device_ptrIsEEEESG_SG_EENS0_5tupleIJPsSJ_EEENSR_IJSJ_SJ_EEES6_PlJS6_EEE10hipError_tPvRmT3_T4_T5_T6_T7_T9_mT8_P12ihipStream_tbDpT10_ENKUlT_T0_E_clISt17integral_constantIbLb1EES1F_EEDaS1A_S1B_EUlS1A_E_NS1_11comp_targetILNS1_3genE10ELNS1_11target_archE1200ELNS1_3gpuE4ELNS1_3repE0EEENS1_30default_config_static_selectorELNS0_4arch9wavefront6targetE1EEEvT1_ ; -- Begin function _ZN7rocprim17ROCPRIM_400000_NS6detail17trampoline_kernelINS0_14default_configENS1_25partition_config_selectorILNS1_17partition_subalgoE2EsNS0_10empty_typeEbEEZZNS1_14partition_implILS5_2ELb0ES3_jN6thrust23THRUST_200600_302600_NS6detail15normal_iteratorINSA_7pointerIsNSA_11hip_rocprim3tagENSA_11use_defaultESG_EEEEPS6_NSA_18transform_iteratorI7is_evenIsENSC_INSA_10device_ptrIsEEEESG_SG_EENS0_5tupleIJPsSJ_EEENSR_IJSJ_SJ_EEES6_PlJS6_EEE10hipError_tPvRmT3_T4_T5_T6_T7_T9_mT8_P12ihipStream_tbDpT10_ENKUlT_T0_E_clISt17integral_constantIbLb1EES1F_EEDaS1A_S1B_EUlS1A_E_NS1_11comp_targetILNS1_3genE10ELNS1_11target_archE1200ELNS1_3gpuE4ELNS1_3repE0EEENS1_30default_config_static_selectorELNS0_4arch9wavefront6targetE1EEEvT1_
	.globl	_ZN7rocprim17ROCPRIM_400000_NS6detail17trampoline_kernelINS0_14default_configENS1_25partition_config_selectorILNS1_17partition_subalgoE2EsNS0_10empty_typeEbEEZZNS1_14partition_implILS5_2ELb0ES3_jN6thrust23THRUST_200600_302600_NS6detail15normal_iteratorINSA_7pointerIsNSA_11hip_rocprim3tagENSA_11use_defaultESG_EEEEPS6_NSA_18transform_iteratorI7is_evenIsENSC_INSA_10device_ptrIsEEEESG_SG_EENS0_5tupleIJPsSJ_EEENSR_IJSJ_SJ_EEES6_PlJS6_EEE10hipError_tPvRmT3_T4_T5_T6_T7_T9_mT8_P12ihipStream_tbDpT10_ENKUlT_T0_E_clISt17integral_constantIbLb1EES1F_EEDaS1A_S1B_EUlS1A_E_NS1_11comp_targetILNS1_3genE10ELNS1_11target_archE1200ELNS1_3gpuE4ELNS1_3repE0EEENS1_30default_config_static_selectorELNS0_4arch9wavefront6targetE1EEEvT1_
	.p2align	8
	.type	_ZN7rocprim17ROCPRIM_400000_NS6detail17trampoline_kernelINS0_14default_configENS1_25partition_config_selectorILNS1_17partition_subalgoE2EsNS0_10empty_typeEbEEZZNS1_14partition_implILS5_2ELb0ES3_jN6thrust23THRUST_200600_302600_NS6detail15normal_iteratorINSA_7pointerIsNSA_11hip_rocprim3tagENSA_11use_defaultESG_EEEEPS6_NSA_18transform_iteratorI7is_evenIsENSC_INSA_10device_ptrIsEEEESG_SG_EENS0_5tupleIJPsSJ_EEENSR_IJSJ_SJ_EEES6_PlJS6_EEE10hipError_tPvRmT3_T4_T5_T6_T7_T9_mT8_P12ihipStream_tbDpT10_ENKUlT_T0_E_clISt17integral_constantIbLb1EES1F_EEDaS1A_S1B_EUlS1A_E_NS1_11comp_targetILNS1_3genE10ELNS1_11target_archE1200ELNS1_3gpuE4ELNS1_3repE0EEENS1_30default_config_static_selectorELNS0_4arch9wavefront6targetE1EEEvT1_,@function
_ZN7rocprim17ROCPRIM_400000_NS6detail17trampoline_kernelINS0_14default_configENS1_25partition_config_selectorILNS1_17partition_subalgoE2EsNS0_10empty_typeEbEEZZNS1_14partition_implILS5_2ELb0ES3_jN6thrust23THRUST_200600_302600_NS6detail15normal_iteratorINSA_7pointerIsNSA_11hip_rocprim3tagENSA_11use_defaultESG_EEEEPS6_NSA_18transform_iteratorI7is_evenIsENSC_INSA_10device_ptrIsEEEESG_SG_EENS0_5tupleIJPsSJ_EEENSR_IJSJ_SJ_EEES6_PlJS6_EEE10hipError_tPvRmT3_T4_T5_T6_T7_T9_mT8_P12ihipStream_tbDpT10_ENKUlT_T0_E_clISt17integral_constantIbLb1EES1F_EEDaS1A_S1B_EUlS1A_E_NS1_11comp_targetILNS1_3genE10ELNS1_11target_archE1200ELNS1_3gpuE4ELNS1_3repE0EEENS1_30default_config_static_selectorELNS0_4arch9wavefront6targetE1EEEvT1_: ; @_ZN7rocprim17ROCPRIM_400000_NS6detail17trampoline_kernelINS0_14default_configENS1_25partition_config_selectorILNS1_17partition_subalgoE2EsNS0_10empty_typeEbEEZZNS1_14partition_implILS5_2ELb0ES3_jN6thrust23THRUST_200600_302600_NS6detail15normal_iteratorINSA_7pointerIsNSA_11hip_rocprim3tagENSA_11use_defaultESG_EEEEPS6_NSA_18transform_iteratorI7is_evenIsENSC_INSA_10device_ptrIsEEEESG_SG_EENS0_5tupleIJPsSJ_EEENSR_IJSJ_SJ_EEES6_PlJS6_EEE10hipError_tPvRmT3_T4_T5_T6_T7_T9_mT8_P12ihipStream_tbDpT10_ENKUlT_T0_E_clISt17integral_constantIbLb1EES1F_EEDaS1A_S1B_EUlS1A_E_NS1_11comp_targetILNS1_3genE10ELNS1_11target_archE1200ELNS1_3gpuE4ELNS1_3repE0EEENS1_30default_config_static_selectorELNS0_4arch9wavefront6targetE1EEEvT1_
; %bb.0:
	.section	.rodata,"a",@progbits
	.p2align	6, 0x0
	.amdhsa_kernel _ZN7rocprim17ROCPRIM_400000_NS6detail17trampoline_kernelINS0_14default_configENS1_25partition_config_selectorILNS1_17partition_subalgoE2EsNS0_10empty_typeEbEEZZNS1_14partition_implILS5_2ELb0ES3_jN6thrust23THRUST_200600_302600_NS6detail15normal_iteratorINSA_7pointerIsNSA_11hip_rocprim3tagENSA_11use_defaultESG_EEEEPS6_NSA_18transform_iteratorI7is_evenIsENSC_INSA_10device_ptrIsEEEESG_SG_EENS0_5tupleIJPsSJ_EEENSR_IJSJ_SJ_EEES6_PlJS6_EEE10hipError_tPvRmT3_T4_T5_T6_T7_T9_mT8_P12ihipStream_tbDpT10_ENKUlT_T0_E_clISt17integral_constantIbLb1EES1F_EEDaS1A_S1B_EUlS1A_E_NS1_11comp_targetILNS1_3genE10ELNS1_11target_archE1200ELNS1_3gpuE4ELNS1_3repE0EEENS1_30default_config_static_selectorELNS0_4arch9wavefront6targetE1EEEvT1_
		.amdhsa_group_segment_fixed_size 0
		.amdhsa_private_segment_fixed_size 0
		.amdhsa_kernarg_size 144
		.amdhsa_user_sgpr_count 6
		.amdhsa_user_sgpr_private_segment_buffer 1
		.amdhsa_user_sgpr_dispatch_ptr 0
		.amdhsa_user_sgpr_queue_ptr 0
		.amdhsa_user_sgpr_kernarg_segment_ptr 1
		.amdhsa_user_sgpr_dispatch_id 0
		.amdhsa_user_sgpr_flat_scratch_init 0
		.amdhsa_user_sgpr_kernarg_preload_length 0
		.amdhsa_user_sgpr_kernarg_preload_offset 0
		.amdhsa_user_sgpr_private_segment_size 0
		.amdhsa_uses_dynamic_stack 0
		.amdhsa_system_sgpr_private_segment_wavefront_offset 0
		.amdhsa_system_sgpr_workgroup_id_x 1
		.amdhsa_system_sgpr_workgroup_id_y 0
		.amdhsa_system_sgpr_workgroup_id_z 0
		.amdhsa_system_sgpr_workgroup_info 0
		.amdhsa_system_vgpr_workitem_id 0
		.amdhsa_next_free_vgpr 1
		.amdhsa_next_free_sgpr 0
		.amdhsa_accum_offset 4
		.amdhsa_reserve_vcc 0
		.amdhsa_reserve_flat_scratch 0
		.amdhsa_float_round_mode_32 0
		.amdhsa_float_round_mode_16_64 0
		.amdhsa_float_denorm_mode_32 3
		.amdhsa_float_denorm_mode_16_64 3
		.amdhsa_dx10_clamp 1
		.amdhsa_ieee_mode 1
		.amdhsa_fp16_overflow 0
		.amdhsa_tg_split 0
		.amdhsa_exception_fp_ieee_invalid_op 0
		.amdhsa_exception_fp_denorm_src 0
		.amdhsa_exception_fp_ieee_div_zero 0
		.amdhsa_exception_fp_ieee_overflow 0
		.amdhsa_exception_fp_ieee_underflow 0
		.amdhsa_exception_fp_ieee_inexact 0
		.amdhsa_exception_int_div_zero 0
	.end_amdhsa_kernel
	.section	.text._ZN7rocprim17ROCPRIM_400000_NS6detail17trampoline_kernelINS0_14default_configENS1_25partition_config_selectorILNS1_17partition_subalgoE2EsNS0_10empty_typeEbEEZZNS1_14partition_implILS5_2ELb0ES3_jN6thrust23THRUST_200600_302600_NS6detail15normal_iteratorINSA_7pointerIsNSA_11hip_rocprim3tagENSA_11use_defaultESG_EEEEPS6_NSA_18transform_iteratorI7is_evenIsENSC_INSA_10device_ptrIsEEEESG_SG_EENS0_5tupleIJPsSJ_EEENSR_IJSJ_SJ_EEES6_PlJS6_EEE10hipError_tPvRmT3_T4_T5_T6_T7_T9_mT8_P12ihipStream_tbDpT10_ENKUlT_T0_E_clISt17integral_constantIbLb1EES1F_EEDaS1A_S1B_EUlS1A_E_NS1_11comp_targetILNS1_3genE10ELNS1_11target_archE1200ELNS1_3gpuE4ELNS1_3repE0EEENS1_30default_config_static_selectorELNS0_4arch9wavefront6targetE1EEEvT1_,"axG",@progbits,_ZN7rocprim17ROCPRIM_400000_NS6detail17trampoline_kernelINS0_14default_configENS1_25partition_config_selectorILNS1_17partition_subalgoE2EsNS0_10empty_typeEbEEZZNS1_14partition_implILS5_2ELb0ES3_jN6thrust23THRUST_200600_302600_NS6detail15normal_iteratorINSA_7pointerIsNSA_11hip_rocprim3tagENSA_11use_defaultESG_EEEEPS6_NSA_18transform_iteratorI7is_evenIsENSC_INSA_10device_ptrIsEEEESG_SG_EENS0_5tupleIJPsSJ_EEENSR_IJSJ_SJ_EEES6_PlJS6_EEE10hipError_tPvRmT3_T4_T5_T6_T7_T9_mT8_P12ihipStream_tbDpT10_ENKUlT_T0_E_clISt17integral_constantIbLb1EES1F_EEDaS1A_S1B_EUlS1A_E_NS1_11comp_targetILNS1_3genE10ELNS1_11target_archE1200ELNS1_3gpuE4ELNS1_3repE0EEENS1_30default_config_static_selectorELNS0_4arch9wavefront6targetE1EEEvT1_,comdat
.Lfunc_end269:
	.size	_ZN7rocprim17ROCPRIM_400000_NS6detail17trampoline_kernelINS0_14default_configENS1_25partition_config_selectorILNS1_17partition_subalgoE2EsNS0_10empty_typeEbEEZZNS1_14partition_implILS5_2ELb0ES3_jN6thrust23THRUST_200600_302600_NS6detail15normal_iteratorINSA_7pointerIsNSA_11hip_rocprim3tagENSA_11use_defaultESG_EEEEPS6_NSA_18transform_iteratorI7is_evenIsENSC_INSA_10device_ptrIsEEEESG_SG_EENS0_5tupleIJPsSJ_EEENSR_IJSJ_SJ_EEES6_PlJS6_EEE10hipError_tPvRmT3_T4_T5_T6_T7_T9_mT8_P12ihipStream_tbDpT10_ENKUlT_T0_E_clISt17integral_constantIbLb1EES1F_EEDaS1A_S1B_EUlS1A_E_NS1_11comp_targetILNS1_3genE10ELNS1_11target_archE1200ELNS1_3gpuE4ELNS1_3repE0EEENS1_30default_config_static_selectorELNS0_4arch9wavefront6targetE1EEEvT1_, .Lfunc_end269-_ZN7rocprim17ROCPRIM_400000_NS6detail17trampoline_kernelINS0_14default_configENS1_25partition_config_selectorILNS1_17partition_subalgoE2EsNS0_10empty_typeEbEEZZNS1_14partition_implILS5_2ELb0ES3_jN6thrust23THRUST_200600_302600_NS6detail15normal_iteratorINSA_7pointerIsNSA_11hip_rocprim3tagENSA_11use_defaultESG_EEEEPS6_NSA_18transform_iteratorI7is_evenIsENSC_INSA_10device_ptrIsEEEESG_SG_EENS0_5tupleIJPsSJ_EEENSR_IJSJ_SJ_EEES6_PlJS6_EEE10hipError_tPvRmT3_T4_T5_T6_T7_T9_mT8_P12ihipStream_tbDpT10_ENKUlT_T0_E_clISt17integral_constantIbLb1EES1F_EEDaS1A_S1B_EUlS1A_E_NS1_11comp_targetILNS1_3genE10ELNS1_11target_archE1200ELNS1_3gpuE4ELNS1_3repE0EEENS1_30default_config_static_selectorELNS0_4arch9wavefront6targetE1EEEvT1_
                                        ; -- End function
	.section	.AMDGPU.csdata,"",@progbits
; Kernel info:
; codeLenInByte = 0
; NumSgprs: 4
; NumVgprs: 0
; NumAgprs: 0
; TotalNumVgprs: 0
; ScratchSize: 0
; MemoryBound: 0
; FloatMode: 240
; IeeeMode: 1
; LDSByteSize: 0 bytes/workgroup (compile time only)
; SGPRBlocks: 0
; VGPRBlocks: 0
; NumSGPRsForWavesPerEU: 4
; NumVGPRsForWavesPerEU: 1
; AccumOffset: 4
; Occupancy: 8
; WaveLimiterHint : 0
; COMPUTE_PGM_RSRC2:SCRATCH_EN: 0
; COMPUTE_PGM_RSRC2:USER_SGPR: 6
; COMPUTE_PGM_RSRC2:TRAP_HANDLER: 0
; COMPUTE_PGM_RSRC2:TGID_X_EN: 1
; COMPUTE_PGM_RSRC2:TGID_Y_EN: 0
; COMPUTE_PGM_RSRC2:TGID_Z_EN: 0
; COMPUTE_PGM_RSRC2:TIDIG_COMP_CNT: 0
; COMPUTE_PGM_RSRC3_GFX90A:ACCUM_OFFSET: 0
; COMPUTE_PGM_RSRC3_GFX90A:TG_SPLIT: 0
	.section	.text._ZN7rocprim17ROCPRIM_400000_NS6detail17trampoline_kernelINS0_14default_configENS1_25partition_config_selectorILNS1_17partition_subalgoE2EsNS0_10empty_typeEbEEZZNS1_14partition_implILS5_2ELb0ES3_jN6thrust23THRUST_200600_302600_NS6detail15normal_iteratorINSA_7pointerIsNSA_11hip_rocprim3tagENSA_11use_defaultESG_EEEEPS6_NSA_18transform_iteratorI7is_evenIsENSC_INSA_10device_ptrIsEEEESG_SG_EENS0_5tupleIJPsSJ_EEENSR_IJSJ_SJ_EEES6_PlJS6_EEE10hipError_tPvRmT3_T4_T5_T6_T7_T9_mT8_P12ihipStream_tbDpT10_ENKUlT_T0_E_clISt17integral_constantIbLb1EES1F_EEDaS1A_S1B_EUlS1A_E_NS1_11comp_targetILNS1_3genE9ELNS1_11target_archE1100ELNS1_3gpuE3ELNS1_3repE0EEENS1_30default_config_static_selectorELNS0_4arch9wavefront6targetE1EEEvT1_,"axG",@progbits,_ZN7rocprim17ROCPRIM_400000_NS6detail17trampoline_kernelINS0_14default_configENS1_25partition_config_selectorILNS1_17partition_subalgoE2EsNS0_10empty_typeEbEEZZNS1_14partition_implILS5_2ELb0ES3_jN6thrust23THRUST_200600_302600_NS6detail15normal_iteratorINSA_7pointerIsNSA_11hip_rocprim3tagENSA_11use_defaultESG_EEEEPS6_NSA_18transform_iteratorI7is_evenIsENSC_INSA_10device_ptrIsEEEESG_SG_EENS0_5tupleIJPsSJ_EEENSR_IJSJ_SJ_EEES6_PlJS6_EEE10hipError_tPvRmT3_T4_T5_T6_T7_T9_mT8_P12ihipStream_tbDpT10_ENKUlT_T0_E_clISt17integral_constantIbLb1EES1F_EEDaS1A_S1B_EUlS1A_E_NS1_11comp_targetILNS1_3genE9ELNS1_11target_archE1100ELNS1_3gpuE3ELNS1_3repE0EEENS1_30default_config_static_selectorELNS0_4arch9wavefront6targetE1EEEvT1_,comdat
	.protected	_ZN7rocprim17ROCPRIM_400000_NS6detail17trampoline_kernelINS0_14default_configENS1_25partition_config_selectorILNS1_17partition_subalgoE2EsNS0_10empty_typeEbEEZZNS1_14partition_implILS5_2ELb0ES3_jN6thrust23THRUST_200600_302600_NS6detail15normal_iteratorINSA_7pointerIsNSA_11hip_rocprim3tagENSA_11use_defaultESG_EEEEPS6_NSA_18transform_iteratorI7is_evenIsENSC_INSA_10device_ptrIsEEEESG_SG_EENS0_5tupleIJPsSJ_EEENSR_IJSJ_SJ_EEES6_PlJS6_EEE10hipError_tPvRmT3_T4_T5_T6_T7_T9_mT8_P12ihipStream_tbDpT10_ENKUlT_T0_E_clISt17integral_constantIbLb1EES1F_EEDaS1A_S1B_EUlS1A_E_NS1_11comp_targetILNS1_3genE9ELNS1_11target_archE1100ELNS1_3gpuE3ELNS1_3repE0EEENS1_30default_config_static_selectorELNS0_4arch9wavefront6targetE1EEEvT1_ ; -- Begin function _ZN7rocprim17ROCPRIM_400000_NS6detail17trampoline_kernelINS0_14default_configENS1_25partition_config_selectorILNS1_17partition_subalgoE2EsNS0_10empty_typeEbEEZZNS1_14partition_implILS5_2ELb0ES3_jN6thrust23THRUST_200600_302600_NS6detail15normal_iteratorINSA_7pointerIsNSA_11hip_rocprim3tagENSA_11use_defaultESG_EEEEPS6_NSA_18transform_iteratorI7is_evenIsENSC_INSA_10device_ptrIsEEEESG_SG_EENS0_5tupleIJPsSJ_EEENSR_IJSJ_SJ_EEES6_PlJS6_EEE10hipError_tPvRmT3_T4_T5_T6_T7_T9_mT8_P12ihipStream_tbDpT10_ENKUlT_T0_E_clISt17integral_constantIbLb1EES1F_EEDaS1A_S1B_EUlS1A_E_NS1_11comp_targetILNS1_3genE9ELNS1_11target_archE1100ELNS1_3gpuE3ELNS1_3repE0EEENS1_30default_config_static_selectorELNS0_4arch9wavefront6targetE1EEEvT1_
	.globl	_ZN7rocprim17ROCPRIM_400000_NS6detail17trampoline_kernelINS0_14default_configENS1_25partition_config_selectorILNS1_17partition_subalgoE2EsNS0_10empty_typeEbEEZZNS1_14partition_implILS5_2ELb0ES3_jN6thrust23THRUST_200600_302600_NS6detail15normal_iteratorINSA_7pointerIsNSA_11hip_rocprim3tagENSA_11use_defaultESG_EEEEPS6_NSA_18transform_iteratorI7is_evenIsENSC_INSA_10device_ptrIsEEEESG_SG_EENS0_5tupleIJPsSJ_EEENSR_IJSJ_SJ_EEES6_PlJS6_EEE10hipError_tPvRmT3_T4_T5_T6_T7_T9_mT8_P12ihipStream_tbDpT10_ENKUlT_T0_E_clISt17integral_constantIbLb1EES1F_EEDaS1A_S1B_EUlS1A_E_NS1_11comp_targetILNS1_3genE9ELNS1_11target_archE1100ELNS1_3gpuE3ELNS1_3repE0EEENS1_30default_config_static_selectorELNS0_4arch9wavefront6targetE1EEEvT1_
	.p2align	8
	.type	_ZN7rocprim17ROCPRIM_400000_NS6detail17trampoline_kernelINS0_14default_configENS1_25partition_config_selectorILNS1_17partition_subalgoE2EsNS0_10empty_typeEbEEZZNS1_14partition_implILS5_2ELb0ES3_jN6thrust23THRUST_200600_302600_NS6detail15normal_iteratorINSA_7pointerIsNSA_11hip_rocprim3tagENSA_11use_defaultESG_EEEEPS6_NSA_18transform_iteratorI7is_evenIsENSC_INSA_10device_ptrIsEEEESG_SG_EENS0_5tupleIJPsSJ_EEENSR_IJSJ_SJ_EEES6_PlJS6_EEE10hipError_tPvRmT3_T4_T5_T6_T7_T9_mT8_P12ihipStream_tbDpT10_ENKUlT_T0_E_clISt17integral_constantIbLb1EES1F_EEDaS1A_S1B_EUlS1A_E_NS1_11comp_targetILNS1_3genE9ELNS1_11target_archE1100ELNS1_3gpuE3ELNS1_3repE0EEENS1_30default_config_static_selectorELNS0_4arch9wavefront6targetE1EEEvT1_,@function
_ZN7rocprim17ROCPRIM_400000_NS6detail17trampoline_kernelINS0_14default_configENS1_25partition_config_selectorILNS1_17partition_subalgoE2EsNS0_10empty_typeEbEEZZNS1_14partition_implILS5_2ELb0ES3_jN6thrust23THRUST_200600_302600_NS6detail15normal_iteratorINSA_7pointerIsNSA_11hip_rocprim3tagENSA_11use_defaultESG_EEEEPS6_NSA_18transform_iteratorI7is_evenIsENSC_INSA_10device_ptrIsEEEESG_SG_EENS0_5tupleIJPsSJ_EEENSR_IJSJ_SJ_EEES6_PlJS6_EEE10hipError_tPvRmT3_T4_T5_T6_T7_T9_mT8_P12ihipStream_tbDpT10_ENKUlT_T0_E_clISt17integral_constantIbLb1EES1F_EEDaS1A_S1B_EUlS1A_E_NS1_11comp_targetILNS1_3genE9ELNS1_11target_archE1100ELNS1_3gpuE3ELNS1_3repE0EEENS1_30default_config_static_selectorELNS0_4arch9wavefront6targetE1EEEvT1_: ; @_ZN7rocprim17ROCPRIM_400000_NS6detail17trampoline_kernelINS0_14default_configENS1_25partition_config_selectorILNS1_17partition_subalgoE2EsNS0_10empty_typeEbEEZZNS1_14partition_implILS5_2ELb0ES3_jN6thrust23THRUST_200600_302600_NS6detail15normal_iteratorINSA_7pointerIsNSA_11hip_rocprim3tagENSA_11use_defaultESG_EEEEPS6_NSA_18transform_iteratorI7is_evenIsENSC_INSA_10device_ptrIsEEEESG_SG_EENS0_5tupleIJPsSJ_EEENSR_IJSJ_SJ_EEES6_PlJS6_EEE10hipError_tPvRmT3_T4_T5_T6_T7_T9_mT8_P12ihipStream_tbDpT10_ENKUlT_T0_E_clISt17integral_constantIbLb1EES1F_EEDaS1A_S1B_EUlS1A_E_NS1_11comp_targetILNS1_3genE9ELNS1_11target_archE1100ELNS1_3gpuE3ELNS1_3repE0EEENS1_30default_config_static_selectorELNS0_4arch9wavefront6targetE1EEEvT1_
; %bb.0:
	.section	.rodata,"a",@progbits
	.p2align	6, 0x0
	.amdhsa_kernel _ZN7rocprim17ROCPRIM_400000_NS6detail17trampoline_kernelINS0_14default_configENS1_25partition_config_selectorILNS1_17partition_subalgoE2EsNS0_10empty_typeEbEEZZNS1_14partition_implILS5_2ELb0ES3_jN6thrust23THRUST_200600_302600_NS6detail15normal_iteratorINSA_7pointerIsNSA_11hip_rocprim3tagENSA_11use_defaultESG_EEEEPS6_NSA_18transform_iteratorI7is_evenIsENSC_INSA_10device_ptrIsEEEESG_SG_EENS0_5tupleIJPsSJ_EEENSR_IJSJ_SJ_EEES6_PlJS6_EEE10hipError_tPvRmT3_T4_T5_T6_T7_T9_mT8_P12ihipStream_tbDpT10_ENKUlT_T0_E_clISt17integral_constantIbLb1EES1F_EEDaS1A_S1B_EUlS1A_E_NS1_11comp_targetILNS1_3genE9ELNS1_11target_archE1100ELNS1_3gpuE3ELNS1_3repE0EEENS1_30default_config_static_selectorELNS0_4arch9wavefront6targetE1EEEvT1_
		.amdhsa_group_segment_fixed_size 0
		.amdhsa_private_segment_fixed_size 0
		.amdhsa_kernarg_size 144
		.amdhsa_user_sgpr_count 6
		.amdhsa_user_sgpr_private_segment_buffer 1
		.amdhsa_user_sgpr_dispatch_ptr 0
		.amdhsa_user_sgpr_queue_ptr 0
		.amdhsa_user_sgpr_kernarg_segment_ptr 1
		.amdhsa_user_sgpr_dispatch_id 0
		.amdhsa_user_sgpr_flat_scratch_init 0
		.amdhsa_user_sgpr_kernarg_preload_length 0
		.amdhsa_user_sgpr_kernarg_preload_offset 0
		.amdhsa_user_sgpr_private_segment_size 0
		.amdhsa_uses_dynamic_stack 0
		.amdhsa_system_sgpr_private_segment_wavefront_offset 0
		.amdhsa_system_sgpr_workgroup_id_x 1
		.amdhsa_system_sgpr_workgroup_id_y 0
		.amdhsa_system_sgpr_workgroup_id_z 0
		.amdhsa_system_sgpr_workgroup_info 0
		.amdhsa_system_vgpr_workitem_id 0
		.amdhsa_next_free_vgpr 1
		.amdhsa_next_free_sgpr 0
		.amdhsa_accum_offset 4
		.amdhsa_reserve_vcc 0
		.amdhsa_reserve_flat_scratch 0
		.amdhsa_float_round_mode_32 0
		.amdhsa_float_round_mode_16_64 0
		.amdhsa_float_denorm_mode_32 3
		.amdhsa_float_denorm_mode_16_64 3
		.amdhsa_dx10_clamp 1
		.amdhsa_ieee_mode 1
		.amdhsa_fp16_overflow 0
		.amdhsa_tg_split 0
		.amdhsa_exception_fp_ieee_invalid_op 0
		.amdhsa_exception_fp_denorm_src 0
		.amdhsa_exception_fp_ieee_div_zero 0
		.amdhsa_exception_fp_ieee_overflow 0
		.amdhsa_exception_fp_ieee_underflow 0
		.amdhsa_exception_fp_ieee_inexact 0
		.amdhsa_exception_int_div_zero 0
	.end_amdhsa_kernel
	.section	.text._ZN7rocprim17ROCPRIM_400000_NS6detail17trampoline_kernelINS0_14default_configENS1_25partition_config_selectorILNS1_17partition_subalgoE2EsNS0_10empty_typeEbEEZZNS1_14partition_implILS5_2ELb0ES3_jN6thrust23THRUST_200600_302600_NS6detail15normal_iteratorINSA_7pointerIsNSA_11hip_rocprim3tagENSA_11use_defaultESG_EEEEPS6_NSA_18transform_iteratorI7is_evenIsENSC_INSA_10device_ptrIsEEEESG_SG_EENS0_5tupleIJPsSJ_EEENSR_IJSJ_SJ_EEES6_PlJS6_EEE10hipError_tPvRmT3_T4_T5_T6_T7_T9_mT8_P12ihipStream_tbDpT10_ENKUlT_T0_E_clISt17integral_constantIbLb1EES1F_EEDaS1A_S1B_EUlS1A_E_NS1_11comp_targetILNS1_3genE9ELNS1_11target_archE1100ELNS1_3gpuE3ELNS1_3repE0EEENS1_30default_config_static_selectorELNS0_4arch9wavefront6targetE1EEEvT1_,"axG",@progbits,_ZN7rocprim17ROCPRIM_400000_NS6detail17trampoline_kernelINS0_14default_configENS1_25partition_config_selectorILNS1_17partition_subalgoE2EsNS0_10empty_typeEbEEZZNS1_14partition_implILS5_2ELb0ES3_jN6thrust23THRUST_200600_302600_NS6detail15normal_iteratorINSA_7pointerIsNSA_11hip_rocprim3tagENSA_11use_defaultESG_EEEEPS6_NSA_18transform_iteratorI7is_evenIsENSC_INSA_10device_ptrIsEEEESG_SG_EENS0_5tupleIJPsSJ_EEENSR_IJSJ_SJ_EEES6_PlJS6_EEE10hipError_tPvRmT3_T4_T5_T6_T7_T9_mT8_P12ihipStream_tbDpT10_ENKUlT_T0_E_clISt17integral_constantIbLb1EES1F_EEDaS1A_S1B_EUlS1A_E_NS1_11comp_targetILNS1_3genE9ELNS1_11target_archE1100ELNS1_3gpuE3ELNS1_3repE0EEENS1_30default_config_static_selectorELNS0_4arch9wavefront6targetE1EEEvT1_,comdat
.Lfunc_end270:
	.size	_ZN7rocprim17ROCPRIM_400000_NS6detail17trampoline_kernelINS0_14default_configENS1_25partition_config_selectorILNS1_17partition_subalgoE2EsNS0_10empty_typeEbEEZZNS1_14partition_implILS5_2ELb0ES3_jN6thrust23THRUST_200600_302600_NS6detail15normal_iteratorINSA_7pointerIsNSA_11hip_rocprim3tagENSA_11use_defaultESG_EEEEPS6_NSA_18transform_iteratorI7is_evenIsENSC_INSA_10device_ptrIsEEEESG_SG_EENS0_5tupleIJPsSJ_EEENSR_IJSJ_SJ_EEES6_PlJS6_EEE10hipError_tPvRmT3_T4_T5_T6_T7_T9_mT8_P12ihipStream_tbDpT10_ENKUlT_T0_E_clISt17integral_constantIbLb1EES1F_EEDaS1A_S1B_EUlS1A_E_NS1_11comp_targetILNS1_3genE9ELNS1_11target_archE1100ELNS1_3gpuE3ELNS1_3repE0EEENS1_30default_config_static_selectorELNS0_4arch9wavefront6targetE1EEEvT1_, .Lfunc_end270-_ZN7rocprim17ROCPRIM_400000_NS6detail17trampoline_kernelINS0_14default_configENS1_25partition_config_selectorILNS1_17partition_subalgoE2EsNS0_10empty_typeEbEEZZNS1_14partition_implILS5_2ELb0ES3_jN6thrust23THRUST_200600_302600_NS6detail15normal_iteratorINSA_7pointerIsNSA_11hip_rocprim3tagENSA_11use_defaultESG_EEEEPS6_NSA_18transform_iteratorI7is_evenIsENSC_INSA_10device_ptrIsEEEESG_SG_EENS0_5tupleIJPsSJ_EEENSR_IJSJ_SJ_EEES6_PlJS6_EEE10hipError_tPvRmT3_T4_T5_T6_T7_T9_mT8_P12ihipStream_tbDpT10_ENKUlT_T0_E_clISt17integral_constantIbLb1EES1F_EEDaS1A_S1B_EUlS1A_E_NS1_11comp_targetILNS1_3genE9ELNS1_11target_archE1100ELNS1_3gpuE3ELNS1_3repE0EEENS1_30default_config_static_selectorELNS0_4arch9wavefront6targetE1EEEvT1_
                                        ; -- End function
	.section	.AMDGPU.csdata,"",@progbits
; Kernel info:
; codeLenInByte = 0
; NumSgprs: 4
; NumVgprs: 0
; NumAgprs: 0
; TotalNumVgprs: 0
; ScratchSize: 0
; MemoryBound: 0
; FloatMode: 240
; IeeeMode: 1
; LDSByteSize: 0 bytes/workgroup (compile time only)
; SGPRBlocks: 0
; VGPRBlocks: 0
; NumSGPRsForWavesPerEU: 4
; NumVGPRsForWavesPerEU: 1
; AccumOffset: 4
; Occupancy: 8
; WaveLimiterHint : 0
; COMPUTE_PGM_RSRC2:SCRATCH_EN: 0
; COMPUTE_PGM_RSRC2:USER_SGPR: 6
; COMPUTE_PGM_RSRC2:TRAP_HANDLER: 0
; COMPUTE_PGM_RSRC2:TGID_X_EN: 1
; COMPUTE_PGM_RSRC2:TGID_Y_EN: 0
; COMPUTE_PGM_RSRC2:TGID_Z_EN: 0
; COMPUTE_PGM_RSRC2:TIDIG_COMP_CNT: 0
; COMPUTE_PGM_RSRC3_GFX90A:ACCUM_OFFSET: 0
; COMPUTE_PGM_RSRC3_GFX90A:TG_SPLIT: 0
	.section	.text._ZN7rocprim17ROCPRIM_400000_NS6detail17trampoline_kernelINS0_14default_configENS1_25partition_config_selectorILNS1_17partition_subalgoE2EsNS0_10empty_typeEbEEZZNS1_14partition_implILS5_2ELb0ES3_jN6thrust23THRUST_200600_302600_NS6detail15normal_iteratorINSA_7pointerIsNSA_11hip_rocprim3tagENSA_11use_defaultESG_EEEEPS6_NSA_18transform_iteratorI7is_evenIsENSC_INSA_10device_ptrIsEEEESG_SG_EENS0_5tupleIJPsSJ_EEENSR_IJSJ_SJ_EEES6_PlJS6_EEE10hipError_tPvRmT3_T4_T5_T6_T7_T9_mT8_P12ihipStream_tbDpT10_ENKUlT_T0_E_clISt17integral_constantIbLb1EES1F_EEDaS1A_S1B_EUlS1A_E_NS1_11comp_targetILNS1_3genE8ELNS1_11target_archE1030ELNS1_3gpuE2ELNS1_3repE0EEENS1_30default_config_static_selectorELNS0_4arch9wavefront6targetE1EEEvT1_,"axG",@progbits,_ZN7rocprim17ROCPRIM_400000_NS6detail17trampoline_kernelINS0_14default_configENS1_25partition_config_selectorILNS1_17partition_subalgoE2EsNS0_10empty_typeEbEEZZNS1_14partition_implILS5_2ELb0ES3_jN6thrust23THRUST_200600_302600_NS6detail15normal_iteratorINSA_7pointerIsNSA_11hip_rocprim3tagENSA_11use_defaultESG_EEEEPS6_NSA_18transform_iteratorI7is_evenIsENSC_INSA_10device_ptrIsEEEESG_SG_EENS0_5tupleIJPsSJ_EEENSR_IJSJ_SJ_EEES6_PlJS6_EEE10hipError_tPvRmT3_T4_T5_T6_T7_T9_mT8_P12ihipStream_tbDpT10_ENKUlT_T0_E_clISt17integral_constantIbLb1EES1F_EEDaS1A_S1B_EUlS1A_E_NS1_11comp_targetILNS1_3genE8ELNS1_11target_archE1030ELNS1_3gpuE2ELNS1_3repE0EEENS1_30default_config_static_selectorELNS0_4arch9wavefront6targetE1EEEvT1_,comdat
	.protected	_ZN7rocprim17ROCPRIM_400000_NS6detail17trampoline_kernelINS0_14default_configENS1_25partition_config_selectorILNS1_17partition_subalgoE2EsNS0_10empty_typeEbEEZZNS1_14partition_implILS5_2ELb0ES3_jN6thrust23THRUST_200600_302600_NS6detail15normal_iteratorINSA_7pointerIsNSA_11hip_rocprim3tagENSA_11use_defaultESG_EEEEPS6_NSA_18transform_iteratorI7is_evenIsENSC_INSA_10device_ptrIsEEEESG_SG_EENS0_5tupleIJPsSJ_EEENSR_IJSJ_SJ_EEES6_PlJS6_EEE10hipError_tPvRmT3_T4_T5_T6_T7_T9_mT8_P12ihipStream_tbDpT10_ENKUlT_T0_E_clISt17integral_constantIbLb1EES1F_EEDaS1A_S1B_EUlS1A_E_NS1_11comp_targetILNS1_3genE8ELNS1_11target_archE1030ELNS1_3gpuE2ELNS1_3repE0EEENS1_30default_config_static_selectorELNS0_4arch9wavefront6targetE1EEEvT1_ ; -- Begin function _ZN7rocprim17ROCPRIM_400000_NS6detail17trampoline_kernelINS0_14default_configENS1_25partition_config_selectorILNS1_17partition_subalgoE2EsNS0_10empty_typeEbEEZZNS1_14partition_implILS5_2ELb0ES3_jN6thrust23THRUST_200600_302600_NS6detail15normal_iteratorINSA_7pointerIsNSA_11hip_rocprim3tagENSA_11use_defaultESG_EEEEPS6_NSA_18transform_iteratorI7is_evenIsENSC_INSA_10device_ptrIsEEEESG_SG_EENS0_5tupleIJPsSJ_EEENSR_IJSJ_SJ_EEES6_PlJS6_EEE10hipError_tPvRmT3_T4_T5_T6_T7_T9_mT8_P12ihipStream_tbDpT10_ENKUlT_T0_E_clISt17integral_constantIbLb1EES1F_EEDaS1A_S1B_EUlS1A_E_NS1_11comp_targetILNS1_3genE8ELNS1_11target_archE1030ELNS1_3gpuE2ELNS1_3repE0EEENS1_30default_config_static_selectorELNS0_4arch9wavefront6targetE1EEEvT1_
	.globl	_ZN7rocprim17ROCPRIM_400000_NS6detail17trampoline_kernelINS0_14default_configENS1_25partition_config_selectorILNS1_17partition_subalgoE2EsNS0_10empty_typeEbEEZZNS1_14partition_implILS5_2ELb0ES3_jN6thrust23THRUST_200600_302600_NS6detail15normal_iteratorINSA_7pointerIsNSA_11hip_rocprim3tagENSA_11use_defaultESG_EEEEPS6_NSA_18transform_iteratorI7is_evenIsENSC_INSA_10device_ptrIsEEEESG_SG_EENS0_5tupleIJPsSJ_EEENSR_IJSJ_SJ_EEES6_PlJS6_EEE10hipError_tPvRmT3_T4_T5_T6_T7_T9_mT8_P12ihipStream_tbDpT10_ENKUlT_T0_E_clISt17integral_constantIbLb1EES1F_EEDaS1A_S1B_EUlS1A_E_NS1_11comp_targetILNS1_3genE8ELNS1_11target_archE1030ELNS1_3gpuE2ELNS1_3repE0EEENS1_30default_config_static_selectorELNS0_4arch9wavefront6targetE1EEEvT1_
	.p2align	8
	.type	_ZN7rocprim17ROCPRIM_400000_NS6detail17trampoline_kernelINS0_14default_configENS1_25partition_config_selectorILNS1_17partition_subalgoE2EsNS0_10empty_typeEbEEZZNS1_14partition_implILS5_2ELb0ES3_jN6thrust23THRUST_200600_302600_NS6detail15normal_iteratorINSA_7pointerIsNSA_11hip_rocprim3tagENSA_11use_defaultESG_EEEEPS6_NSA_18transform_iteratorI7is_evenIsENSC_INSA_10device_ptrIsEEEESG_SG_EENS0_5tupleIJPsSJ_EEENSR_IJSJ_SJ_EEES6_PlJS6_EEE10hipError_tPvRmT3_T4_T5_T6_T7_T9_mT8_P12ihipStream_tbDpT10_ENKUlT_T0_E_clISt17integral_constantIbLb1EES1F_EEDaS1A_S1B_EUlS1A_E_NS1_11comp_targetILNS1_3genE8ELNS1_11target_archE1030ELNS1_3gpuE2ELNS1_3repE0EEENS1_30default_config_static_selectorELNS0_4arch9wavefront6targetE1EEEvT1_,@function
_ZN7rocprim17ROCPRIM_400000_NS6detail17trampoline_kernelINS0_14default_configENS1_25partition_config_selectorILNS1_17partition_subalgoE2EsNS0_10empty_typeEbEEZZNS1_14partition_implILS5_2ELb0ES3_jN6thrust23THRUST_200600_302600_NS6detail15normal_iteratorINSA_7pointerIsNSA_11hip_rocprim3tagENSA_11use_defaultESG_EEEEPS6_NSA_18transform_iteratorI7is_evenIsENSC_INSA_10device_ptrIsEEEESG_SG_EENS0_5tupleIJPsSJ_EEENSR_IJSJ_SJ_EEES6_PlJS6_EEE10hipError_tPvRmT3_T4_T5_T6_T7_T9_mT8_P12ihipStream_tbDpT10_ENKUlT_T0_E_clISt17integral_constantIbLb1EES1F_EEDaS1A_S1B_EUlS1A_E_NS1_11comp_targetILNS1_3genE8ELNS1_11target_archE1030ELNS1_3gpuE2ELNS1_3repE0EEENS1_30default_config_static_selectorELNS0_4arch9wavefront6targetE1EEEvT1_: ; @_ZN7rocprim17ROCPRIM_400000_NS6detail17trampoline_kernelINS0_14default_configENS1_25partition_config_selectorILNS1_17partition_subalgoE2EsNS0_10empty_typeEbEEZZNS1_14partition_implILS5_2ELb0ES3_jN6thrust23THRUST_200600_302600_NS6detail15normal_iteratorINSA_7pointerIsNSA_11hip_rocprim3tagENSA_11use_defaultESG_EEEEPS6_NSA_18transform_iteratorI7is_evenIsENSC_INSA_10device_ptrIsEEEESG_SG_EENS0_5tupleIJPsSJ_EEENSR_IJSJ_SJ_EEES6_PlJS6_EEE10hipError_tPvRmT3_T4_T5_T6_T7_T9_mT8_P12ihipStream_tbDpT10_ENKUlT_T0_E_clISt17integral_constantIbLb1EES1F_EEDaS1A_S1B_EUlS1A_E_NS1_11comp_targetILNS1_3genE8ELNS1_11target_archE1030ELNS1_3gpuE2ELNS1_3repE0EEENS1_30default_config_static_selectorELNS0_4arch9wavefront6targetE1EEEvT1_
; %bb.0:
	.section	.rodata,"a",@progbits
	.p2align	6, 0x0
	.amdhsa_kernel _ZN7rocprim17ROCPRIM_400000_NS6detail17trampoline_kernelINS0_14default_configENS1_25partition_config_selectorILNS1_17partition_subalgoE2EsNS0_10empty_typeEbEEZZNS1_14partition_implILS5_2ELb0ES3_jN6thrust23THRUST_200600_302600_NS6detail15normal_iteratorINSA_7pointerIsNSA_11hip_rocprim3tagENSA_11use_defaultESG_EEEEPS6_NSA_18transform_iteratorI7is_evenIsENSC_INSA_10device_ptrIsEEEESG_SG_EENS0_5tupleIJPsSJ_EEENSR_IJSJ_SJ_EEES6_PlJS6_EEE10hipError_tPvRmT3_T4_T5_T6_T7_T9_mT8_P12ihipStream_tbDpT10_ENKUlT_T0_E_clISt17integral_constantIbLb1EES1F_EEDaS1A_S1B_EUlS1A_E_NS1_11comp_targetILNS1_3genE8ELNS1_11target_archE1030ELNS1_3gpuE2ELNS1_3repE0EEENS1_30default_config_static_selectorELNS0_4arch9wavefront6targetE1EEEvT1_
		.amdhsa_group_segment_fixed_size 0
		.amdhsa_private_segment_fixed_size 0
		.amdhsa_kernarg_size 144
		.amdhsa_user_sgpr_count 6
		.amdhsa_user_sgpr_private_segment_buffer 1
		.amdhsa_user_sgpr_dispatch_ptr 0
		.amdhsa_user_sgpr_queue_ptr 0
		.amdhsa_user_sgpr_kernarg_segment_ptr 1
		.amdhsa_user_sgpr_dispatch_id 0
		.amdhsa_user_sgpr_flat_scratch_init 0
		.amdhsa_user_sgpr_kernarg_preload_length 0
		.amdhsa_user_sgpr_kernarg_preload_offset 0
		.amdhsa_user_sgpr_private_segment_size 0
		.amdhsa_uses_dynamic_stack 0
		.amdhsa_system_sgpr_private_segment_wavefront_offset 0
		.amdhsa_system_sgpr_workgroup_id_x 1
		.amdhsa_system_sgpr_workgroup_id_y 0
		.amdhsa_system_sgpr_workgroup_id_z 0
		.amdhsa_system_sgpr_workgroup_info 0
		.amdhsa_system_vgpr_workitem_id 0
		.amdhsa_next_free_vgpr 1
		.amdhsa_next_free_sgpr 0
		.amdhsa_accum_offset 4
		.amdhsa_reserve_vcc 0
		.amdhsa_reserve_flat_scratch 0
		.amdhsa_float_round_mode_32 0
		.amdhsa_float_round_mode_16_64 0
		.amdhsa_float_denorm_mode_32 3
		.amdhsa_float_denorm_mode_16_64 3
		.amdhsa_dx10_clamp 1
		.amdhsa_ieee_mode 1
		.amdhsa_fp16_overflow 0
		.amdhsa_tg_split 0
		.amdhsa_exception_fp_ieee_invalid_op 0
		.amdhsa_exception_fp_denorm_src 0
		.amdhsa_exception_fp_ieee_div_zero 0
		.amdhsa_exception_fp_ieee_overflow 0
		.amdhsa_exception_fp_ieee_underflow 0
		.amdhsa_exception_fp_ieee_inexact 0
		.amdhsa_exception_int_div_zero 0
	.end_amdhsa_kernel
	.section	.text._ZN7rocprim17ROCPRIM_400000_NS6detail17trampoline_kernelINS0_14default_configENS1_25partition_config_selectorILNS1_17partition_subalgoE2EsNS0_10empty_typeEbEEZZNS1_14partition_implILS5_2ELb0ES3_jN6thrust23THRUST_200600_302600_NS6detail15normal_iteratorINSA_7pointerIsNSA_11hip_rocprim3tagENSA_11use_defaultESG_EEEEPS6_NSA_18transform_iteratorI7is_evenIsENSC_INSA_10device_ptrIsEEEESG_SG_EENS0_5tupleIJPsSJ_EEENSR_IJSJ_SJ_EEES6_PlJS6_EEE10hipError_tPvRmT3_T4_T5_T6_T7_T9_mT8_P12ihipStream_tbDpT10_ENKUlT_T0_E_clISt17integral_constantIbLb1EES1F_EEDaS1A_S1B_EUlS1A_E_NS1_11comp_targetILNS1_3genE8ELNS1_11target_archE1030ELNS1_3gpuE2ELNS1_3repE0EEENS1_30default_config_static_selectorELNS0_4arch9wavefront6targetE1EEEvT1_,"axG",@progbits,_ZN7rocprim17ROCPRIM_400000_NS6detail17trampoline_kernelINS0_14default_configENS1_25partition_config_selectorILNS1_17partition_subalgoE2EsNS0_10empty_typeEbEEZZNS1_14partition_implILS5_2ELb0ES3_jN6thrust23THRUST_200600_302600_NS6detail15normal_iteratorINSA_7pointerIsNSA_11hip_rocprim3tagENSA_11use_defaultESG_EEEEPS6_NSA_18transform_iteratorI7is_evenIsENSC_INSA_10device_ptrIsEEEESG_SG_EENS0_5tupleIJPsSJ_EEENSR_IJSJ_SJ_EEES6_PlJS6_EEE10hipError_tPvRmT3_T4_T5_T6_T7_T9_mT8_P12ihipStream_tbDpT10_ENKUlT_T0_E_clISt17integral_constantIbLb1EES1F_EEDaS1A_S1B_EUlS1A_E_NS1_11comp_targetILNS1_3genE8ELNS1_11target_archE1030ELNS1_3gpuE2ELNS1_3repE0EEENS1_30default_config_static_selectorELNS0_4arch9wavefront6targetE1EEEvT1_,comdat
.Lfunc_end271:
	.size	_ZN7rocprim17ROCPRIM_400000_NS6detail17trampoline_kernelINS0_14default_configENS1_25partition_config_selectorILNS1_17partition_subalgoE2EsNS0_10empty_typeEbEEZZNS1_14partition_implILS5_2ELb0ES3_jN6thrust23THRUST_200600_302600_NS6detail15normal_iteratorINSA_7pointerIsNSA_11hip_rocprim3tagENSA_11use_defaultESG_EEEEPS6_NSA_18transform_iteratorI7is_evenIsENSC_INSA_10device_ptrIsEEEESG_SG_EENS0_5tupleIJPsSJ_EEENSR_IJSJ_SJ_EEES6_PlJS6_EEE10hipError_tPvRmT3_T4_T5_T6_T7_T9_mT8_P12ihipStream_tbDpT10_ENKUlT_T0_E_clISt17integral_constantIbLb1EES1F_EEDaS1A_S1B_EUlS1A_E_NS1_11comp_targetILNS1_3genE8ELNS1_11target_archE1030ELNS1_3gpuE2ELNS1_3repE0EEENS1_30default_config_static_selectorELNS0_4arch9wavefront6targetE1EEEvT1_, .Lfunc_end271-_ZN7rocprim17ROCPRIM_400000_NS6detail17trampoline_kernelINS0_14default_configENS1_25partition_config_selectorILNS1_17partition_subalgoE2EsNS0_10empty_typeEbEEZZNS1_14partition_implILS5_2ELb0ES3_jN6thrust23THRUST_200600_302600_NS6detail15normal_iteratorINSA_7pointerIsNSA_11hip_rocprim3tagENSA_11use_defaultESG_EEEEPS6_NSA_18transform_iteratorI7is_evenIsENSC_INSA_10device_ptrIsEEEESG_SG_EENS0_5tupleIJPsSJ_EEENSR_IJSJ_SJ_EEES6_PlJS6_EEE10hipError_tPvRmT3_T4_T5_T6_T7_T9_mT8_P12ihipStream_tbDpT10_ENKUlT_T0_E_clISt17integral_constantIbLb1EES1F_EEDaS1A_S1B_EUlS1A_E_NS1_11comp_targetILNS1_3genE8ELNS1_11target_archE1030ELNS1_3gpuE2ELNS1_3repE0EEENS1_30default_config_static_selectorELNS0_4arch9wavefront6targetE1EEEvT1_
                                        ; -- End function
	.section	.AMDGPU.csdata,"",@progbits
; Kernel info:
; codeLenInByte = 0
; NumSgprs: 4
; NumVgprs: 0
; NumAgprs: 0
; TotalNumVgprs: 0
; ScratchSize: 0
; MemoryBound: 0
; FloatMode: 240
; IeeeMode: 1
; LDSByteSize: 0 bytes/workgroup (compile time only)
; SGPRBlocks: 0
; VGPRBlocks: 0
; NumSGPRsForWavesPerEU: 4
; NumVGPRsForWavesPerEU: 1
; AccumOffset: 4
; Occupancy: 8
; WaveLimiterHint : 0
; COMPUTE_PGM_RSRC2:SCRATCH_EN: 0
; COMPUTE_PGM_RSRC2:USER_SGPR: 6
; COMPUTE_PGM_RSRC2:TRAP_HANDLER: 0
; COMPUTE_PGM_RSRC2:TGID_X_EN: 1
; COMPUTE_PGM_RSRC2:TGID_Y_EN: 0
; COMPUTE_PGM_RSRC2:TGID_Z_EN: 0
; COMPUTE_PGM_RSRC2:TIDIG_COMP_CNT: 0
; COMPUTE_PGM_RSRC3_GFX90A:ACCUM_OFFSET: 0
; COMPUTE_PGM_RSRC3_GFX90A:TG_SPLIT: 0
	.section	.text._ZN7rocprim17ROCPRIM_400000_NS6detail17trampoline_kernelINS0_14default_configENS1_25partition_config_selectorILNS1_17partition_subalgoE2EsNS0_10empty_typeEbEEZZNS1_14partition_implILS5_2ELb0ES3_jN6thrust23THRUST_200600_302600_NS6detail15normal_iteratorINSA_7pointerIsNSA_11hip_rocprim3tagENSA_11use_defaultESG_EEEEPS6_NSA_18transform_iteratorI7is_evenIsENSC_INSA_10device_ptrIsEEEESG_SG_EENS0_5tupleIJPsSJ_EEENSR_IJSJ_SJ_EEES6_PlJS6_EEE10hipError_tPvRmT3_T4_T5_T6_T7_T9_mT8_P12ihipStream_tbDpT10_ENKUlT_T0_E_clISt17integral_constantIbLb1EES1E_IbLb0EEEEDaS1A_S1B_EUlS1A_E_NS1_11comp_targetILNS1_3genE0ELNS1_11target_archE4294967295ELNS1_3gpuE0ELNS1_3repE0EEENS1_30default_config_static_selectorELNS0_4arch9wavefront6targetE1EEEvT1_,"axG",@progbits,_ZN7rocprim17ROCPRIM_400000_NS6detail17trampoline_kernelINS0_14default_configENS1_25partition_config_selectorILNS1_17partition_subalgoE2EsNS0_10empty_typeEbEEZZNS1_14partition_implILS5_2ELb0ES3_jN6thrust23THRUST_200600_302600_NS6detail15normal_iteratorINSA_7pointerIsNSA_11hip_rocprim3tagENSA_11use_defaultESG_EEEEPS6_NSA_18transform_iteratorI7is_evenIsENSC_INSA_10device_ptrIsEEEESG_SG_EENS0_5tupleIJPsSJ_EEENSR_IJSJ_SJ_EEES6_PlJS6_EEE10hipError_tPvRmT3_T4_T5_T6_T7_T9_mT8_P12ihipStream_tbDpT10_ENKUlT_T0_E_clISt17integral_constantIbLb1EES1E_IbLb0EEEEDaS1A_S1B_EUlS1A_E_NS1_11comp_targetILNS1_3genE0ELNS1_11target_archE4294967295ELNS1_3gpuE0ELNS1_3repE0EEENS1_30default_config_static_selectorELNS0_4arch9wavefront6targetE1EEEvT1_,comdat
	.protected	_ZN7rocprim17ROCPRIM_400000_NS6detail17trampoline_kernelINS0_14default_configENS1_25partition_config_selectorILNS1_17partition_subalgoE2EsNS0_10empty_typeEbEEZZNS1_14partition_implILS5_2ELb0ES3_jN6thrust23THRUST_200600_302600_NS6detail15normal_iteratorINSA_7pointerIsNSA_11hip_rocprim3tagENSA_11use_defaultESG_EEEEPS6_NSA_18transform_iteratorI7is_evenIsENSC_INSA_10device_ptrIsEEEESG_SG_EENS0_5tupleIJPsSJ_EEENSR_IJSJ_SJ_EEES6_PlJS6_EEE10hipError_tPvRmT3_T4_T5_T6_T7_T9_mT8_P12ihipStream_tbDpT10_ENKUlT_T0_E_clISt17integral_constantIbLb1EES1E_IbLb0EEEEDaS1A_S1B_EUlS1A_E_NS1_11comp_targetILNS1_3genE0ELNS1_11target_archE4294967295ELNS1_3gpuE0ELNS1_3repE0EEENS1_30default_config_static_selectorELNS0_4arch9wavefront6targetE1EEEvT1_ ; -- Begin function _ZN7rocprim17ROCPRIM_400000_NS6detail17trampoline_kernelINS0_14default_configENS1_25partition_config_selectorILNS1_17partition_subalgoE2EsNS0_10empty_typeEbEEZZNS1_14partition_implILS5_2ELb0ES3_jN6thrust23THRUST_200600_302600_NS6detail15normal_iteratorINSA_7pointerIsNSA_11hip_rocprim3tagENSA_11use_defaultESG_EEEEPS6_NSA_18transform_iteratorI7is_evenIsENSC_INSA_10device_ptrIsEEEESG_SG_EENS0_5tupleIJPsSJ_EEENSR_IJSJ_SJ_EEES6_PlJS6_EEE10hipError_tPvRmT3_T4_T5_T6_T7_T9_mT8_P12ihipStream_tbDpT10_ENKUlT_T0_E_clISt17integral_constantIbLb1EES1E_IbLb0EEEEDaS1A_S1B_EUlS1A_E_NS1_11comp_targetILNS1_3genE0ELNS1_11target_archE4294967295ELNS1_3gpuE0ELNS1_3repE0EEENS1_30default_config_static_selectorELNS0_4arch9wavefront6targetE1EEEvT1_
	.globl	_ZN7rocprim17ROCPRIM_400000_NS6detail17trampoline_kernelINS0_14default_configENS1_25partition_config_selectorILNS1_17partition_subalgoE2EsNS0_10empty_typeEbEEZZNS1_14partition_implILS5_2ELb0ES3_jN6thrust23THRUST_200600_302600_NS6detail15normal_iteratorINSA_7pointerIsNSA_11hip_rocprim3tagENSA_11use_defaultESG_EEEEPS6_NSA_18transform_iteratorI7is_evenIsENSC_INSA_10device_ptrIsEEEESG_SG_EENS0_5tupleIJPsSJ_EEENSR_IJSJ_SJ_EEES6_PlJS6_EEE10hipError_tPvRmT3_T4_T5_T6_T7_T9_mT8_P12ihipStream_tbDpT10_ENKUlT_T0_E_clISt17integral_constantIbLb1EES1E_IbLb0EEEEDaS1A_S1B_EUlS1A_E_NS1_11comp_targetILNS1_3genE0ELNS1_11target_archE4294967295ELNS1_3gpuE0ELNS1_3repE0EEENS1_30default_config_static_selectorELNS0_4arch9wavefront6targetE1EEEvT1_
	.p2align	8
	.type	_ZN7rocprim17ROCPRIM_400000_NS6detail17trampoline_kernelINS0_14default_configENS1_25partition_config_selectorILNS1_17partition_subalgoE2EsNS0_10empty_typeEbEEZZNS1_14partition_implILS5_2ELb0ES3_jN6thrust23THRUST_200600_302600_NS6detail15normal_iteratorINSA_7pointerIsNSA_11hip_rocprim3tagENSA_11use_defaultESG_EEEEPS6_NSA_18transform_iteratorI7is_evenIsENSC_INSA_10device_ptrIsEEEESG_SG_EENS0_5tupleIJPsSJ_EEENSR_IJSJ_SJ_EEES6_PlJS6_EEE10hipError_tPvRmT3_T4_T5_T6_T7_T9_mT8_P12ihipStream_tbDpT10_ENKUlT_T0_E_clISt17integral_constantIbLb1EES1E_IbLb0EEEEDaS1A_S1B_EUlS1A_E_NS1_11comp_targetILNS1_3genE0ELNS1_11target_archE4294967295ELNS1_3gpuE0ELNS1_3repE0EEENS1_30default_config_static_selectorELNS0_4arch9wavefront6targetE1EEEvT1_,@function
_ZN7rocprim17ROCPRIM_400000_NS6detail17trampoline_kernelINS0_14default_configENS1_25partition_config_selectorILNS1_17partition_subalgoE2EsNS0_10empty_typeEbEEZZNS1_14partition_implILS5_2ELb0ES3_jN6thrust23THRUST_200600_302600_NS6detail15normal_iteratorINSA_7pointerIsNSA_11hip_rocprim3tagENSA_11use_defaultESG_EEEEPS6_NSA_18transform_iteratorI7is_evenIsENSC_INSA_10device_ptrIsEEEESG_SG_EENS0_5tupleIJPsSJ_EEENSR_IJSJ_SJ_EEES6_PlJS6_EEE10hipError_tPvRmT3_T4_T5_T6_T7_T9_mT8_P12ihipStream_tbDpT10_ENKUlT_T0_E_clISt17integral_constantIbLb1EES1E_IbLb0EEEEDaS1A_S1B_EUlS1A_E_NS1_11comp_targetILNS1_3genE0ELNS1_11target_archE4294967295ELNS1_3gpuE0ELNS1_3repE0EEENS1_30default_config_static_selectorELNS0_4arch9wavefront6targetE1EEEvT1_: ; @_ZN7rocprim17ROCPRIM_400000_NS6detail17trampoline_kernelINS0_14default_configENS1_25partition_config_selectorILNS1_17partition_subalgoE2EsNS0_10empty_typeEbEEZZNS1_14partition_implILS5_2ELb0ES3_jN6thrust23THRUST_200600_302600_NS6detail15normal_iteratorINSA_7pointerIsNSA_11hip_rocprim3tagENSA_11use_defaultESG_EEEEPS6_NSA_18transform_iteratorI7is_evenIsENSC_INSA_10device_ptrIsEEEESG_SG_EENS0_5tupleIJPsSJ_EEENSR_IJSJ_SJ_EEES6_PlJS6_EEE10hipError_tPvRmT3_T4_T5_T6_T7_T9_mT8_P12ihipStream_tbDpT10_ENKUlT_T0_E_clISt17integral_constantIbLb1EES1E_IbLb0EEEEDaS1A_S1B_EUlS1A_E_NS1_11comp_targetILNS1_3genE0ELNS1_11target_archE4294967295ELNS1_3gpuE0ELNS1_3repE0EEENS1_30default_config_static_selectorELNS0_4arch9wavefront6targetE1EEEvT1_
; %bb.0:
	.section	.rodata,"a",@progbits
	.p2align	6, 0x0
	.amdhsa_kernel _ZN7rocprim17ROCPRIM_400000_NS6detail17trampoline_kernelINS0_14default_configENS1_25partition_config_selectorILNS1_17partition_subalgoE2EsNS0_10empty_typeEbEEZZNS1_14partition_implILS5_2ELb0ES3_jN6thrust23THRUST_200600_302600_NS6detail15normal_iteratorINSA_7pointerIsNSA_11hip_rocprim3tagENSA_11use_defaultESG_EEEEPS6_NSA_18transform_iteratorI7is_evenIsENSC_INSA_10device_ptrIsEEEESG_SG_EENS0_5tupleIJPsSJ_EEENSR_IJSJ_SJ_EEES6_PlJS6_EEE10hipError_tPvRmT3_T4_T5_T6_T7_T9_mT8_P12ihipStream_tbDpT10_ENKUlT_T0_E_clISt17integral_constantIbLb1EES1E_IbLb0EEEEDaS1A_S1B_EUlS1A_E_NS1_11comp_targetILNS1_3genE0ELNS1_11target_archE4294967295ELNS1_3gpuE0ELNS1_3repE0EEENS1_30default_config_static_selectorELNS0_4arch9wavefront6targetE1EEEvT1_
		.amdhsa_group_segment_fixed_size 0
		.amdhsa_private_segment_fixed_size 0
		.amdhsa_kernarg_size 128
		.amdhsa_user_sgpr_count 6
		.amdhsa_user_sgpr_private_segment_buffer 1
		.amdhsa_user_sgpr_dispatch_ptr 0
		.amdhsa_user_sgpr_queue_ptr 0
		.amdhsa_user_sgpr_kernarg_segment_ptr 1
		.amdhsa_user_sgpr_dispatch_id 0
		.amdhsa_user_sgpr_flat_scratch_init 0
		.amdhsa_user_sgpr_kernarg_preload_length 0
		.amdhsa_user_sgpr_kernarg_preload_offset 0
		.amdhsa_user_sgpr_private_segment_size 0
		.amdhsa_uses_dynamic_stack 0
		.amdhsa_system_sgpr_private_segment_wavefront_offset 0
		.amdhsa_system_sgpr_workgroup_id_x 1
		.amdhsa_system_sgpr_workgroup_id_y 0
		.amdhsa_system_sgpr_workgroup_id_z 0
		.amdhsa_system_sgpr_workgroup_info 0
		.amdhsa_system_vgpr_workitem_id 0
		.amdhsa_next_free_vgpr 1
		.amdhsa_next_free_sgpr 0
		.amdhsa_accum_offset 4
		.amdhsa_reserve_vcc 0
		.amdhsa_reserve_flat_scratch 0
		.amdhsa_float_round_mode_32 0
		.amdhsa_float_round_mode_16_64 0
		.amdhsa_float_denorm_mode_32 3
		.amdhsa_float_denorm_mode_16_64 3
		.amdhsa_dx10_clamp 1
		.amdhsa_ieee_mode 1
		.amdhsa_fp16_overflow 0
		.amdhsa_tg_split 0
		.amdhsa_exception_fp_ieee_invalid_op 0
		.amdhsa_exception_fp_denorm_src 0
		.amdhsa_exception_fp_ieee_div_zero 0
		.amdhsa_exception_fp_ieee_overflow 0
		.amdhsa_exception_fp_ieee_underflow 0
		.amdhsa_exception_fp_ieee_inexact 0
		.amdhsa_exception_int_div_zero 0
	.end_amdhsa_kernel
	.section	.text._ZN7rocprim17ROCPRIM_400000_NS6detail17trampoline_kernelINS0_14default_configENS1_25partition_config_selectorILNS1_17partition_subalgoE2EsNS0_10empty_typeEbEEZZNS1_14partition_implILS5_2ELb0ES3_jN6thrust23THRUST_200600_302600_NS6detail15normal_iteratorINSA_7pointerIsNSA_11hip_rocprim3tagENSA_11use_defaultESG_EEEEPS6_NSA_18transform_iteratorI7is_evenIsENSC_INSA_10device_ptrIsEEEESG_SG_EENS0_5tupleIJPsSJ_EEENSR_IJSJ_SJ_EEES6_PlJS6_EEE10hipError_tPvRmT3_T4_T5_T6_T7_T9_mT8_P12ihipStream_tbDpT10_ENKUlT_T0_E_clISt17integral_constantIbLb1EES1E_IbLb0EEEEDaS1A_S1B_EUlS1A_E_NS1_11comp_targetILNS1_3genE0ELNS1_11target_archE4294967295ELNS1_3gpuE0ELNS1_3repE0EEENS1_30default_config_static_selectorELNS0_4arch9wavefront6targetE1EEEvT1_,"axG",@progbits,_ZN7rocprim17ROCPRIM_400000_NS6detail17trampoline_kernelINS0_14default_configENS1_25partition_config_selectorILNS1_17partition_subalgoE2EsNS0_10empty_typeEbEEZZNS1_14partition_implILS5_2ELb0ES3_jN6thrust23THRUST_200600_302600_NS6detail15normal_iteratorINSA_7pointerIsNSA_11hip_rocprim3tagENSA_11use_defaultESG_EEEEPS6_NSA_18transform_iteratorI7is_evenIsENSC_INSA_10device_ptrIsEEEESG_SG_EENS0_5tupleIJPsSJ_EEENSR_IJSJ_SJ_EEES6_PlJS6_EEE10hipError_tPvRmT3_T4_T5_T6_T7_T9_mT8_P12ihipStream_tbDpT10_ENKUlT_T0_E_clISt17integral_constantIbLb1EES1E_IbLb0EEEEDaS1A_S1B_EUlS1A_E_NS1_11comp_targetILNS1_3genE0ELNS1_11target_archE4294967295ELNS1_3gpuE0ELNS1_3repE0EEENS1_30default_config_static_selectorELNS0_4arch9wavefront6targetE1EEEvT1_,comdat
.Lfunc_end272:
	.size	_ZN7rocprim17ROCPRIM_400000_NS6detail17trampoline_kernelINS0_14default_configENS1_25partition_config_selectorILNS1_17partition_subalgoE2EsNS0_10empty_typeEbEEZZNS1_14partition_implILS5_2ELb0ES3_jN6thrust23THRUST_200600_302600_NS6detail15normal_iteratorINSA_7pointerIsNSA_11hip_rocprim3tagENSA_11use_defaultESG_EEEEPS6_NSA_18transform_iteratorI7is_evenIsENSC_INSA_10device_ptrIsEEEESG_SG_EENS0_5tupleIJPsSJ_EEENSR_IJSJ_SJ_EEES6_PlJS6_EEE10hipError_tPvRmT3_T4_T5_T6_T7_T9_mT8_P12ihipStream_tbDpT10_ENKUlT_T0_E_clISt17integral_constantIbLb1EES1E_IbLb0EEEEDaS1A_S1B_EUlS1A_E_NS1_11comp_targetILNS1_3genE0ELNS1_11target_archE4294967295ELNS1_3gpuE0ELNS1_3repE0EEENS1_30default_config_static_selectorELNS0_4arch9wavefront6targetE1EEEvT1_, .Lfunc_end272-_ZN7rocprim17ROCPRIM_400000_NS6detail17trampoline_kernelINS0_14default_configENS1_25partition_config_selectorILNS1_17partition_subalgoE2EsNS0_10empty_typeEbEEZZNS1_14partition_implILS5_2ELb0ES3_jN6thrust23THRUST_200600_302600_NS6detail15normal_iteratorINSA_7pointerIsNSA_11hip_rocprim3tagENSA_11use_defaultESG_EEEEPS6_NSA_18transform_iteratorI7is_evenIsENSC_INSA_10device_ptrIsEEEESG_SG_EENS0_5tupleIJPsSJ_EEENSR_IJSJ_SJ_EEES6_PlJS6_EEE10hipError_tPvRmT3_T4_T5_T6_T7_T9_mT8_P12ihipStream_tbDpT10_ENKUlT_T0_E_clISt17integral_constantIbLb1EES1E_IbLb0EEEEDaS1A_S1B_EUlS1A_E_NS1_11comp_targetILNS1_3genE0ELNS1_11target_archE4294967295ELNS1_3gpuE0ELNS1_3repE0EEENS1_30default_config_static_selectorELNS0_4arch9wavefront6targetE1EEEvT1_
                                        ; -- End function
	.section	.AMDGPU.csdata,"",@progbits
; Kernel info:
; codeLenInByte = 0
; NumSgprs: 4
; NumVgprs: 0
; NumAgprs: 0
; TotalNumVgprs: 0
; ScratchSize: 0
; MemoryBound: 0
; FloatMode: 240
; IeeeMode: 1
; LDSByteSize: 0 bytes/workgroup (compile time only)
; SGPRBlocks: 0
; VGPRBlocks: 0
; NumSGPRsForWavesPerEU: 4
; NumVGPRsForWavesPerEU: 1
; AccumOffset: 4
; Occupancy: 8
; WaveLimiterHint : 0
; COMPUTE_PGM_RSRC2:SCRATCH_EN: 0
; COMPUTE_PGM_RSRC2:USER_SGPR: 6
; COMPUTE_PGM_RSRC2:TRAP_HANDLER: 0
; COMPUTE_PGM_RSRC2:TGID_X_EN: 1
; COMPUTE_PGM_RSRC2:TGID_Y_EN: 0
; COMPUTE_PGM_RSRC2:TGID_Z_EN: 0
; COMPUTE_PGM_RSRC2:TIDIG_COMP_CNT: 0
; COMPUTE_PGM_RSRC3_GFX90A:ACCUM_OFFSET: 0
; COMPUTE_PGM_RSRC3_GFX90A:TG_SPLIT: 0
	.section	.text._ZN7rocprim17ROCPRIM_400000_NS6detail17trampoline_kernelINS0_14default_configENS1_25partition_config_selectorILNS1_17partition_subalgoE2EsNS0_10empty_typeEbEEZZNS1_14partition_implILS5_2ELb0ES3_jN6thrust23THRUST_200600_302600_NS6detail15normal_iteratorINSA_7pointerIsNSA_11hip_rocprim3tagENSA_11use_defaultESG_EEEEPS6_NSA_18transform_iteratorI7is_evenIsENSC_INSA_10device_ptrIsEEEESG_SG_EENS0_5tupleIJPsSJ_EEENSR_IJSJ_SJ_EEES6_PlJS6_EEE10hipError_tPvRmT3_T4_T5_T6_T7_T9_mT8_P12ihipStream_tbDpT10_ENKUlT_T0_E_clISt17integral_constantIbLb1EES1E_IbLb0EEEEDaS1A_S1B_EUlS1A_E_NS1_11comp_targetILNS1_3genE5ELNS1_11target_archE942ELNS1_3gpuE9ELNS1_3repE0EEENS1_30default_config_static_selectorELNS0_4arch9wavefront6targetE1EEEvT1_,"axG",@progbits,_ZN7rocprim17ROCPRIM_400000_NS6detail17trampoline_kernelINS0_14default_configENS1_25partition_config_selectorILNS1_17partition_subalgoE2EsNS0_10empty_typeEbEEZZNS1_14partition_implILS5_2ELb0ES3_jN6thrust23THRUST_200600_302600_NS6detail15normal_iteratorINSA_7pointerIsNSA_11hip_rocprim3tagENSA_11use_defaultESG_EEEEPS6_NSA_18transform_iteratorI7is_evenIsENSC_INSA_10device_ptrIsEEEESG_SG_EENS0_5tupleIJPsSJ_EEENSR_IJSJ_SJ_EEES6_PlJS6_EEE10hipError_tPvRmT3_T4_T5_T6_T7_T9_mT8_P12ihipStream_tbDpT10_ENKUlT_T0_E_clISt17integral_constantIbLb1EES1E_IbLb0EEEEDaS1A_S1B_EUlS1A_E_NS1_11comp_targetILNS1_3genE5ELNS1_11target_archE942ELNS1_3gpuE9ELNS1_3repE0EEENS1_30default_config_static_selectorELNS0_4arch9wavefront6targetE1EEEvT1_,comdat
	.protected	_ZN7rocprim17ROCPRIM_400000_NS6detail17trampoline_kernelINS0_14default_configENS1_25partition_config_selectorILNS1_17partition_subalgoE2EsNS0_10empty_typeEbEEZZNS1_14partition_implILS5_2ELb0ES3_jN6thrust23THRUST_200600_302600_NS6detail15normal_iteratorINSA_7pointerIsNSA_11hip_rocprim3tagENSA_11use_defaultESG_EEEEPS6_NSA_18transform_iteratorI7is_evenIsENSC_INSA_10device_ptrIsEEEESG_SG_EENS0_5tupleIJPsSJ_EEENSR_IJSJ_SJ_EEES6_PlJS6_EEE10hipError_tPvRmT3_T4_T5_T6_T7_T9_mT8_P12ihipStream_tbDpT10_ENKUlT_T0_E_clISt17integral_constantIbLb1EES1E_IbLb0EEEEDaS1A_S1B_EUlS1A_E_NS1_11comp_targetILNS1_3genE5ELNS1_11target_archE942ELNS1_3gpuE9ELNS1_3repE0EEENS1_30default_config_static_selectorELNS0_4arch9wavefront6targetE1EEEvT1_ ; -- Begin function _ZN7rocprim17ROCPRIM_400000_NS6detail17trampoline_kernelINS0_14default_configENS1_25partition_config_selectorILNS1_17partition_subalgoE2EsNS0_10empty_typeEbEEZZNS1_14partition_implILS5_2ELb0ES3_jN6thrust23THRUST_200600_302600_NS6detail15normal_iteratorINSA_7pointerIsNSA_11hip_rocprim3tagENSA_11use_defaultESG_EEEEPS6_NSA_18transform_iteratorI7is_evenIsENSC_INSA_10device_ptrIsEEEESG_SG_EENS0_5tupleIJPsSJ_EEENSR_IJSJ_SJ_EEES6_PlJS6_EEE10hipError_tPvRmT3_T4_T5_T6_T7_T9_mT8_P12ihipStream_tbDpT10_ENKUlT_T0_E_clISt17integral_constantIbLb1EES1E_IbLb0EEEEDaS1A_S1B_EUlS1A_E_NS1_11comp_targetILNS1_3genE5ELNS1_11target_archE942ELNS1_3gpuE9ELNS1_3repE0EEENS1_30default_config_static_selectorELNS0_4arch9wavefront6targetE1EEEvT1_
	.globl	_ZN7rocprim17ROCPRIM_400000_NS6detail17trampoline_kernelINS0_14default_configENS1_25partition_config_selectorILNS1_17partition_subalgoE2EsNS0_10empty_typeEbEEZZNS1_14partition_implILS5_2ELb0ES3_jN6thrust23THRUST_200600_302600_NS6detail15normal_iteratorINSA_7pointerIsNSA_11hip_rocprim3tagENSA_11use_defaultESG_EEEEPS6_NSA_18transform_iteratorI7is_evenIsENSC_INSA_10device_ptrIsEEEESG_SG_EENS0_5tupleIJPsSJ_EEENSR_IJSJ_SJ_EEES6_PlJS6_EEE10hipError_tPvRmT3_T4_T5_T6_T7_T9_mT8_P12ihipStream_tbDpT10_ENKUlT_T0_E_clISt17integral_constantIbLb1EES1E_IbLb0EEEEDaS1A_S1B_EUlS1A_E_NS1_11comp_targetILNS1_3genE5ELNS1_11target_archE942ELNS1_3gpuE9ELNS1_3repE0EEENS1_30default_config_static_selectorELNS0_4arch9wavefront6targetE1EEEvT1_
	.p2align	8
	.type	_ZN7rocprim17ROCPRIM_400000_NS6detail17trampoline_kernelINS0_14default_configENS1_25partition_config_selectorILNS1_17partition_subalgoE2EsNS0_10empty_typeEbEEZZNS1_14partition_implILS5_2ELb0ES3_jN6thrust23THRUST_200600_302600_NS6detail15normal_iteratorINSA_7pointerIsNSA_11hip_rocprim3tagENSA_11use_defaultESG_EEEEPS6_NSA_18transform_iteratorI7is_evenIsENSC_INSA_10device_ptrIsEEEESG_SG_EENS0_5tupleIJPsSJ_EEENSR_IJSJ_SJ_EEES6_PlJS6_EEE10hipError_tPvRmT3_T4_T5_T6_T7_T9_mT8_P12ihipStream_tbDpT10_ENKUlT_T0_E_clISt17integral_constantIbLb1EES1E_IbLb0EEEEDaS1A_S1B_EUlS1A_E_NS1_11comp_targetILNS1_3genE5ELNS1_11target_archE942ELNS1_3gpuE9ELNS1_3repE0EEENS1_30default_config_static_selectorELNS0_4arch9wavefront6targetE1EEEvT1_,@function
_ZN7rocprim17ROCPRIM_400000_NS6detail17trampoline_kernelINS0_14default_configENS1_25partition_config_selectorILNS1_17partition_subalgoE2EsNS0_10empty_typeEbEEZZNS1_14partition_implILS5_2ELb0ES3_jN6thrust23THRUST_200600_302600_NS6detail15normal_iteratorINSA_7pointerIsNSA_11hip_rocprim3tagENSA_11use_defaultESG_EEEEPS6_NSA_18transform_iteratorI7is_evenIsENSC_INSA_10device_ptrIsEEEESG_SG_EENS0_5tupleIJPsSJ_EEENSR_IJSJ_SJ_EEES6_PlJS6_EEE10hipError_tPvRmT3_T4_T5_T6_T7_T9_mT8_P12ihipStream_tbDpT10_ENKUlT_T0_E_clISt17integral_constantIbLb1EES1E_IbLb0EEEEDaS1A_S1B_EUlS1A_E_NS1_11comp_targetILNS1_3genE5ELNS1_11target_archE942ELNS1_3gpuE9ELNS1_3repE0EEENS1_30default_config_static_selectorELNS0_4arch9wavefront6targetE1EEEvT1_: ; @_ZN7rocprim17ROCPRIM_400000_NS6detail17trampoline_kernelINS0_14default_configENS1_25partition_config_selectorILNS1_17partition_subalgoE2EsNS0_10empty_typeEbEEZZNS1_14partition_implILS5_2ELb0ES3_jN6thrust23THRUST_200600_302600_NS6detail15normal_iteratorINSA_7pointerIsNSA_11hip_rocprim3tagENSA_11use_defaultESG_EEEEPS6_NSA_18transform_iteratorI7is_evenIsENSC_INSA_10device_ptrIsEEEESG_SG_EENS0_5tupleIJPsSJ_EEENSR_IJSJ_SJ_EEES6_PlJS6_EEE10hipError_tPvRmT3_T4_T5_T6_T7_T9_mT8_P12ihipStream_tbDpT10_ENKUlT_T0_E_clISt17integral_constantIbLb1EES1E_IbLb0EEEEDaS1A_S1B_EUlS1A_E_NS1_11comp_targetILNS1_3genE5ELNS1_11target_archE942ELNS1_3gpuE9ELNS1_3repE0EEENS1_30default_config_static_selectorELNS0_4arch9wavefront6targetE1EEEvT1_
; %bb.0:
	.section	.rodata,"a",@progbits
	.p2align	6, 0x0
	.amdhsa_kernel _ZN7rocprim17ROCPRIM_400000_NS6detail17trampoline_kernelINS0_14default_configENS1_25partition_config_selectorILNS1_17partition_subalgoE2EsNS0_10empty_typeEbEEZZNS1_14partition_implILS5_2ELb0ES3_jN6thrust23THRUST_200600_302600_NS6detail15normal_iteratorINSA_7pointerIsNSA_11hip_rocprim3tagENSA_11use_defaultESG_EEEEPS6_NSA_18transform_iteratorI7is_evenIsENSC_INSA_10device_ptrIsEEEESG_SG_EENS0_5tupleIJPsSJ_EEENSR_IJSJ_SJ_EEES6_PlJS6_EEE10hipError_tPvRmT3_T4_T5_T6_T7_T9_mT8_P12ihipStream_tbDpT10_ENKUlT_T0_E_clISt17integral_constantIbLb1EES1E_IbLb0EEEEDaS1A_S1B_EUlS1A_E_NS1_11comp_targetILNS1_3genE5ELNS1_11target_archE942ELNS1_3gpuE9ELNS1_3repE0EEENS1_30default_config_static_selectorELNS0_4arch9wavefront6targetE1EEEvT1_
		.amdhsa_group_segment_fixed_size 0
		.amdhsa_private_segment_fixed_size 0
		.amdhsa_kernarg_size 128
		.amdhsa_user_sgpr_count 6
		.amdhsa_user_sgpr_private_segment_buffer 1
		.amdhsa_user_sgpr_dispatch_ptr 0
		.amdhsa_user_sgpr_queue_ptr 0
		.amdhsa_user_sgpr_kernarg_segment_ptr 1
		.amdhsa_user_sgpr_dispatch_id 0
		.amdhsa_user_sgpr_flat_scratch_init 0
		.amdhsa_user_sgpr_kernarg_preload_length 0
		.amdhsa_user_sgpr_kernarg_preload_offset 0
		.amdhsa_user_sgpr_private_segment_size 0
		.amdhsa_uses_dynamic_stack 0
		.amdhsa_system_sgpr_private_segment_wavefront_offset 0
		.amdhsa_system_sgpr_workgroup_id_x 1
		.amdhsa_system_sgpr_workgroup_id_y 0
		.amdhsa_system_sgpr_workgroup_id_z 0
		.amdhsa_system_sgpr_workgroup_info 0
		.amdhsa_system_vgpr_workitem_id 0
		.amdhsa_next_free_vgpr 1
		.amdhsa_next_free_sgpr 0
		.amdhsa_accum_offset 4
		.amdhsa_reserve_vcc 0
		.amdhsa_reserve_flat_scratch 0
		.amdhsa_float_round_mode_32 0
		.amdhsa_float_round_mode_16_64 0
		.amdhsa_float_denorm_mode_32 3
		.amdhsa_float_denorm_mode_16_64 3
		.amdhsa_dx10_clamp 1
		.amdhsa_ieee_mode 1
		.amdhsa_fp16_overflow 0
		.amdhsa_tg_split 0
		.amdhsa_exception_fp_ieee_invalid_op 0
		.amdhsa_exception_fp_denorm_src 0
		.amdhsa_exception_fp_ieee_div_zero 0
		.amdhsa_exception_fp_ieee_overflow 0
		.amdhsa_exception_fp_ieee_underflow 0
		.amdhsa_exception_fp_ieee_inexact 0
		.amdhsa_exception_int_div_zero 0
	.end_amdhsa_kernel
	.section	.text._ZN7rocprim17ROCPRIM_400000_NS6detail17trampoline_kernelINS0_14default_configENS1_25partition_config_selectorILNS1_17partition_subalgoE2EsNS0_10empty_typeEbEEZZNS1_14partition_implILS5_2ELb0ES3_jN6thrust23THRUST_200600_302600_NS6detail15normal_iteratorINSA_7pointerIsNSA_11hip_rocprim3tagENSA_11use_defaultESG_EEEEPS6_NSA_18transform_iteratorI7is_evenIsENSC_INSA_10device_ptrIsEEEESG_SG_EENS0_5tupleIJPsSJ_EEENSR_IJSJ_SJ_EEES6_PlJS6_EEE10hipError_tPvRmT3_T4_T5_T6_T7_T9_mT8_P12ihipStream_tbDpT10_ENKUlT_T0_E_clISt17integral_constantIbLb1EES1E_IbLb0EEEEDaS1A_S1B_EUlS1A_E_NS1_11comp_targetILNS1_3genE5ELNS1_11target_archE942ELNS1_3gpuE9ELNS1_3repE0EEENS1_30default_config_static_selectorELNS0_4arch9wavefront6targetE1EEEvT1_,"axG",@progbits,_ZN7rocprim17ROCPRIM_400000_NS6detail17trampoline_kernelINS0_14default_configENS1_25partition_config_selectorILNS1_17partition_subalgoE2EsNS0_10empty_typeEbEEZZNS1_14partition_implILS5_2ELb0ES3_jN6thrust23THRUST_200600_302600_NS6detail15normal_iteratorINSA_7pointerIsNSA_11hip_rocprim3tagENSA_11use_defaultESG_EEEEPS6_NSA_18transform_iteratorI7is_evenIsENSC_INSA_10device_ptrIsEEEESG_SG_EENS0_5tupleIJPsSJ_EEENSR_IJSJ_SJ_EEES6_PlJS6_EEE10hipError_tPvRmT3_T4_T5_T6_T7_T9_mT8_P12ihipStream_tbDpT10_ENKUlT_T0_E_clISt17integral_constantIbLb1EES1E_IbLb0EEEEDaS1A_S1B_EUlS1A_E_NS1_11comp_targetILNS1_3genE5ELNS1_11target_archE942ELNS1_3gpuE9ELNS1_3repE0EEENS1_30default_config_static_selectorELNS0_4arch9wavefront6targetE1EEEvT1_,comdat
.Lfunc_end273:
	.size	_ZN7rocprim17ROCPRIM_400000_NS6detail17trampoline_kernelINS0_14default_configENS1_25partition_config_selectorILNS1_17partition_subalgoE2EsNS0_10empty_typeEbEEZZNS1_14partition_implILS5_2ELb0ES3_jN6thrust23THRUST_200600_302600_NS6detail15normal_iteratorINSA_7pointerIsNSA_11hip_rocprim3tagENSA_11use_defaultESG_EEEEPS6_NSA_18transform_iteratorI7is_evenIsENSC_INSA_10device_ptrIsEEEESG_SG_EENS0_5tupleIJPsSJ_EEENSR_IJSJ_SJ_EEES6_PlJS6_EEE10hipError_tPvRmT3_T4_T5_T6_T7_T9_mT8_P12ihipStream_tbDpT10_ENKUlT_T0_E_clISt17integral_constantIbLb1EES1E_IbLb0EEEEDaS1A_S1B_EUlS1A_E_NS1_11comp_targetILNS1_3genE5ELNS1_11target_archE942ELNS1_3gpuE9ELNS1_3repE0EEENS1_30default_config_static_selectorELNS0_4arch9wavefront6targetE1EEEvT1_, .Lfunc_end273-_ZN7rocprim17ROCPRIM_400000_NS6detail17trampoline_kernelINS0_14default_configENS1_25partition_config_selectorILNS1_17partition_subalgoE2EsNS0_10empty_typeEbEEZZNS1_14partition_implILS5_2ELb0ES3_jN6thrust23THRUST_200600_302600_NS6detail15normal_iteratorINSA_7pointerIsNSA_11hip_rocprim3tagENSA_11use_defaultESG_EEEEPS6_NSA_18transform_iteratorI7is_evenIsENSC_INSA_10device_ptrIsEEEESG_SG_EENS0_5tupleIJPsSJ_EEENSR_IJSJ_SJ_EEES6_PlJS6_EEE10hipError_tPvRmT3_T4_T5_T6_T7_T9_mT8_P12ihipStream_tbDpT10_ENKUlT_T0_E_clISt17integral_constantIbLb1EES1E_IbLb0EEEEDaS1A_S1B_EUlS1A_E_NS1_11comp_targetILNS1_3genE5ELNS1_11target_archE942ELNS1_3gpuE9ELNS1_3repE0EEENS1_30default_config_static_selectorELNS0_4arch9wavefront6targetE1EEEvT1_
                                        ; -- End function
	.section	.AMDGPU.csdata,"",@progbits
; Kernel info:
; codeLenInByte = 0
; NumSgprs: 4
; NumVgprs: 0
; NumAgprs: 0
; TotalNumVgprs: 0
; ScratchSize: 0
; MemoryBound: 0
; FloatMode: 240
; IeeeMode: 1
; LDSByteSize: 0 bytes/workgroup (compile time only)
; SGPRBlocks: 0
; VGPRBlocks: 0
; NumSGPRsForWavesPerEU: 4
; NumVGPRsForWavesPerEU: 1
; AccumOffset: 4
; Occupancy: 8
; WaveLimiterHint : 0
; COMPUTE_PGM_RSRC2:SCRATCH_EN: 0
; COMPUTE_PGM_RSRC2:USER_SGPR: 6
; COMPUTE_PGM_RSRC2:TRAP_HANDLER: 0
; COMPUTE_PGM_RSRC2:TGID_X_EN: 1
; COMPUTE_PGM_RSRC2:TGID_Y_EN: 0
; COMPUTE_PGM_RSRC2:TGID_Z_EN: 0
; COMPUTE_PGM_RSRC2:TIDIG_COMP_CNT: 0
; COMPUTE_PGM_RSRC3_GFX90A:ACCUM_OFFSET: 0
; COMPUTE_PGM_RSRC3_GFX90A:TG_SPLIT: 0
	.section	.text._ZN7rocprim17ROCPRIM_400000_NS6detail17trampoline_kernelINS0_14default_configENS1_25partition_config_selectorILNS1_17partition_subalgoE2EsNS0_10empty_typeEbEEZZNS1_14partition_implILS5_2ELb0ES3_jN6thrust23THRUST_200600_302600_NS6detail15normal_iteratorINSA_7pointerIsNSA_11hip_rocprim3tagENSA_11use_defaultESG_EEEEPS6_NSA_18transform_iteratorI7is_evenIsENSC_INSA_10device_ptrIsEEEESG_SG_EENS0_5tupleIJPsSJ_EEENSR_IJSJ_SJ_EEES6_PlJS6_EEE10hipError_tPvRmT3_T4_T5_T6_T7_T9_mT8_P12ihipStream_tbDpT10_ENKUlT_T0_E_clISt17integral_constantIbLb1EES1E_IbLb0EEEEDaS1A_S1B_EUlS1A_E_NS1_11comp_targetILNS1_3genE4ELNS1_11target_archE910ELNS1_3gpuE8ELNS1_3repE0EEENS1_30default_config_static_selectorELNS0_4arch9wavefront6targetE1EEEvT1_,"axG",@progbits,_ZN7rocprim17ROCPRIM_400000_NS6detail17trampoline_kernelINS0_14default_configENS1_25partition_config_selectorILNS1_17partition_subalgoE2EsNS0_10empty_typeEbEEZZNS1_14partition_implILS5_2ELb0ES3_jN6thrust23THRUST_200600_302600_NS6detail15normal_iteratorINSA_7pointerIsNSA_11hip_rocprim3tagENSA_11use_defaultESG_EEEEPS6_NSA_18transform_iteratorI7is_evenIsENSC_INSA_10device_ptrIsEEEESG_SG_EENS0_5tupleIJPsSJ_EEENSR_IJSJ_SJ_EEES6_PlJS6_EEE10hipError_tPvRmT3_T4_T5_T6_T7_T9_mT8_P12ihipStream_tbDpT10_ENKUlT_T0_E_clISt17integral_constantIbLb1EES1E_IbLb0EEEEDaS1A_S1B_EUlS1A_E_NS1_11comp_targetILNS1_3genE4ELNS1_11target_archE910ELNS1_3gpuE8ELNS1_3repE0EEENS1_30default_config_static_selectorELNS0_4arch9wavefront6targetE1EEEvT1_,comdat
	.protected	_ZN7rocprim17ROCPRIM_400000_NS6detail17trampoline_kernelINS0_14default_configENS1_25partition_config_selectorILNS1_17partition_subalgoE2EsNS0_10empty_typeEbEEZZNS1_14partition_implILS5_2ELb0ES3_jN6thrust23THRUST_200600_302600_NS6detail15normal_iteratorINSA_7pointerIsNSA_11hip_rocprim3tagENSA_11use_defaultESG_EEEEPS6_NSA_18transform_iteratorI7is_evenIsENSC_INSA_10device_ptrIsEEEESG_SG_EENS0_5tupleIJPsSJ_EEENSR_IJSJ_SJ_EEES6_PlJS6_EEE10hipError_tPvRmT3_T4_T5_T6_T7_T9_mT8_P12ihipStream_tbDpT10_ENKUlT_T0_E_clISt17integral_constantIbLb1EES1E_IbLb0EEEEDaS1A_S1B_EUlS1A_E_NS1_11comp_targetILNS1_3genE4ELNS1_11target_archE910ELNS1_3gpuE8ELNS1_3repE0EEENS1_30default_config_static_selectorELNS0_4arch9wavefront6targetE1EEEvT1_ ; -- Begin function _ZN7rocprim17ROCPRIM_400000_NS6detail17trampoline_kernelINS0_14default_configENS1_25partition_config_selectorILNS1_17partition_subalgoE2EsNS0_10empty_typeEbEEZZNS1_14partition_implILS5_2ELb0ES3_jN6thrust23THRUST_200600_302600_NS6detail15normal_iteratorINSA_7pointerIsNSA_11hip_rocprim3tagENSA_11use_defaultESG_EEEEPS6_NSA_18transform_iteratorI7is_evenIsENSC_INSA_10device_ptrIsEEEESG_SG_EENS0_5tupleIJPsSJ_EEENSR_IJSJ_SJ_EEES6_PlJS6_EEE10hipError_tPvRmT3_T4_T5_T6_T7_T9_mT8_P12ihipStream_tbDpT10_ENKUlT_T0_E_clISt17integral_constantIbLb1EES1E_IbLb0EEEEDaS1A_S1B_EUlS1A_E_NS1_11comp_targetILNS1_3genE4ELNS1_11target_archE910ELNS1_3gpuE8ELNS1_3repE0EEENS1_30default_config_static_selectorELNS0_4arch9wavefront6targetE1EEEvT1_
	.globl	_ZN7rocprim17ROCPRIM_400000_NS6detail17trampoline_kernelINS0_14default_configENS1_25partition_config_selectorILNS1_17partition_subalgoE2EsNS0_10empty_typeEbEEZZNS1_14partition_implILS5_2ELb0ES3_jN6thrust23THRUST_200600_302600_NS6detail15normal_iteratorINSA_7pointerIsNSA_11hip_rocprim3tagENSA_11use_defaultESG_EEEEPS6_NSA_18transform_iteratorI7is_evenIsENSC_INSA_10device_ptrIsEEEESG_SG_EENS0_5tupleIJPsSJ_EEENSR_IJSJ_SJ_EEES6_PlJS6_EEE10hipError_tPvRmT3_T4_T5_T6_T7_T9_mT8_P12ihipStream_tbDpT10_ENKUlT_T0_E_clISt17integral_constantIbLb1EES1E_IbLb0EEEEDaS1A_S1B_EUlS1A_E_NS1_11comp_targetILNS1_3genE4ELNS1_11target_archE910ELNS1_3gpuE8ELNS1_3repE0EEENS1_30default_config_static_selectorELNS0_4arch9wavefront6targetE1EEEvT1_
	.p2align	8
	.type	_ZN7rocprim17ROCPRIM_400000_NS6detail17trampoline_kernelINS0_14default_configENS1_25partition_config_selectorILNS1_17partition_subalgoE2EsNS0_10empty_typeEbEEZZNS1_14partition_implILS5_2ELb0ES3_jN6thrust23THRUST_200600_302600_NS6detail15normal_iteratorINSA_7pointerIsNSA_11hip_rocprim3tagENSA_11use_defaultESG_EEEEPS6_NSA_18transform_iteratorI7is_evenIsENSC_INSA_10device_ptrIsEEEESG_SG_EENS0_5tupleIJPsSJ_EEENSR_IJSJ_SJ_EEES6_PlJS6_EEE10hipError_tPvRmT3_T4_T5_T6_T7_T9_mT8_P12ihipStream_tbDpT10_ENKUlT_T0_E_clISt17integral_constantIbLb1EES1E_IbLb0EEEEDaS1A_S1B_EUlS1A_E_NS1_11comp_targetILNS1_3genE4ELNS1_11target_archE910ELNS1_3gpuE8ELNS1_3repE0EEENS1_30default_config_static_selectorELNS0_4arch9wavefront6targetE1EEEvT1_,@function
_ZN7rocprim17ROCPRIM_400000_NS6detail17trampoline_kernelINS0_14default_configENS1_25partition_config_selectorILNS1_17partition_subalgoE2EsNS0_10empty_typeEbEEZZNS1_14partition_implILS5_2ELb0ES3_jN6thrust23THRUST_200600_302600_NS6detail15normal_iteratorINSA_7pointerIsNSA_11hip_rocprim3tagENSA_11use_defaultESG_EEEEPS6_NSA_18transform_iteratorI7is_evenIsENSC_INSA_10device_ptrIsEEEESG_SG_EENS0_5tupleIJPsSJ_EEENSR_IJSJ_SJ_EEES6_PlJS6_EEE10hipError_tPvRmT3_T4_T5_T6_T7_T9_mT8_P12ihipStream_tbDpT10_ENKUlT_T0_E_clISt17integral_constantIbLb1EES1E_IbLb0EEEEDaS1A_S1B_EUlS1A_E_NS1_11comp_targetILNS1_3genE4ELNS1_11target_archE910ELNS1_3gpuE8ELNS1_3repE0EEENS1_30default_config_static_selectorELNS0_4arch9wavefront6targetE1EEEvT1_: ; @_ZN7rocprim17ROCPRIM_400000_NS6detail17trampoline_kernelINS0_14default_configENS1_25partition_config_selectorILNS1_17partition_subalgoE2EsNS0_10empty_typeEbEEZZNS1_14partition_implILS5_2ELb0ES3_jN6thrust23THRUST_200600_302600_NS6detail15normal_iteratorINSA_7pointerIsNSA_11hip_rocprim3tagENSA_11use_defaultESG_EEEEPS6_NSA_18transform_iteratorI7is_evenIsENSC_INSA_10device_ptrIsEEEESG_SG_EENS0_5tupleIJPsSJ_EEENSR_IJSJ_SJ_EEES6_PlJS6_EEE10hipError_tPvRmT3_T4_T5_T6_T7_T9_mT8_P12ihipStream_tbDpT10_ENKUlT_T0_E_clISt17integral_constantIbLb1EES1E_IbLb0EEEEDaS1A_S1B_EUlS1A_E_NS1_11comp_targetILNS1_3genE4ELNS1_11target_archE910ELNS1_3gpuE8ELNS1_3repE0EEENS1_30default_config_static_selectorELNS0_4arch9wavefront6targetE1EEEvT1_
; %bb.0:
	s_load_dwordx4 s[24:27], s[4:5], 0x8
	s_load_dwordx2 s[2:3], s[4:5], 0x20
	s_load_dwordx2 s[28:29], s[4:5], 0x60
	s_load_dwordx4 s[20:23], s[4:5], 0x50
	s_load_dword s0, s[4:5], 0x78
	s_waitcnt lgkmcnt(0)
	s_lshl_b64 s[8:9], s[26:27], 1
	s_add_u32 s7, s24, s8
	s_addc_u32 s12, s25, s9
	s_load_dwordx2 s[30:31], s[22:23], 0x0
	s_add_i32 s10, s0, -1
	s_mulk_i32 s0, 0x1400
	s_add_i32 s1, s0, s26
	s_sub_i32 s33, s28, s1
	s_addk_i32 s33, 0x1400
	s_add_u32 s0, s26, s0
	s_addc_u32 s1, s27, 0
	s_cmp_eq_u32 s6, s10
	v_pk_mov_b32 v[2:3], s[28:29], s[28:29] op_sel:[0,1]
	s_cselect_b64 s[22:23], -1, 0
	s_cmp_lg_u32 s6, s10
	s_mul_i32 s24, s6, 0x1400
	s_mov_b32 s25, 0
	v_cmp_lt_u64_e32 vcc, s[0:1], v[2:3]
	s_cselect_b64 s[0:1], -1, 0
	s_or_b64 s[34:35], s[0:1], vcc
	s_lshl_b64 s[10:11], s[24:25], 1
	s_add_u32 s7, s7, s10
	s_addc_u32 s14, s12, s11
	s_mov_b64 s[0:1], -1
	s_and_b64 vcc, exec, s[34:35]
	v_lshlrev_b32_e32 v1, 1, v0
	s_cbranch_vccz .LBB274_2
; %bb.1:
	v_mov_b32_e32 v3, s14
	v_add_co_u32_e32 v2, vcc, s7, v1
	v_addc_co_u32_e32 v3, vcc, 0, v3, vcc
	v_add_co_u32_e32 v4, vcc, 0x1000, v2
	v_addc_co_u32_e32 v5, vcc, 0, v3, vcc
	flat_load_ushort v6, v[2:3]
	flat_load_ushort v7, v[2:3] offset:512
	flat_load_ushort v8, v[2:3] offset:1024
	;; [unrolled: 1-line block ×7, first 2 shown]
	v_add_co_u32_e32 v2, vcc, 0x2000, v2
	v_addc_co_u32_e32 v3, vcc, 0, v3, vcc
	flat_load_ushort v14, v[4:5]
	flat_load_ushort v15, v[4:5] offset:512
	flat_load_ushort v16, v[4:5] offset:1024
	;; [unrolled: 1-line block ×7, first 2 shown]
	s_nop 0
	flat_load_ushort v4, v[2:3]
	flat_load_ushort v5, v[2:3] offset:512
	flat_load_ushort v22, v[2:3] offset:1024
	;; [unrolled: 1-line block ×3, first 2 shown]
	s_mov_b64 s[0:1], 0
	s_waitcnt vmcnt(0) lgkmcnt(0)
	ds_write_b16 v1, v6
	ds_write_b16 v1, v7 offset:512
	ds_write_b16 v1, v8 offset:1024
	;; [unrolled: 1-line block ×19, first 2 shown]
	s_waitcnt lgkmcnt(0)
	s_barrier
.LBB274_2:
	s_andn2_b64 vcc, exec, s[0:1]
	v_cmp_gt_u32_e64 s[0:1], s33, v0
	s_cbranch_vccnz .LBB274_44
; %bb.3:
                                        ; implicit-def: $vgpr2
	s_and_saveexec_b64 s[12:13], s[0:1]
	s_cbranch_execz .LBB274_5
; %bb.4:
	v_mov_b32_e32 v3, s14
	v_add_co_u32_e32 v2, vcc, s7, v1
	v_addc_co_u32_e32 v3, vcc, 0, v3, vcc
	flat_load_ushort v2, v[2:3]
.LBB274_5:
	s_or_b64 exec, exec, s[12:13]
	v_or_b32_e32 v3, 0x100, v0
	v_cmp_gt_u32_e32 vcc, s33, v3
                                        ; implicit-def: $vgpr3
	s_and_saveexec_b64 s[0:1], vcc
	s_cbranch_execz .LBB274_7
; %bb.6:
	v_mov_b32_e32 v3, s14
	v_add_co_u32_e32 v4, vcc, s7, v1
	v_addc_co_u32_e32 v5, vcc, 0, v3, vcc
	flat_load_ushort v3, v[4:5] offset:512
.LBB274_7:
	s_or_b64 exec, exec, s[0:1]
	v_or_b32_e32 v4, 0x200, v0
	v_cmp_gt_u32_e32 vcc, s33, v4
                                        ; implicit-def: $vgpr4
	s_and_saveexec_b64 s[0:1], vcc
	s_cbranch_execz .LBB274_9
; %bb.8:
	v_mov_b32_e32 v5, s14
	v_add_co_u32_e32 v4, vcc, s7, v1
	v_addc_co_u32_e32 v5, vcc, 0, v5, vcc
	flat_load_ushort v4, v[4:5] offset:1024
.LBB274_9:
	s_or_b64 exec, exec, s[0:1]
	v_or_b32_e32 v5, 0x300, v0
	v_cmp_gt_u32_e32 vcc, s33, v5
                                        ; implicit-def: $vgpr5
	s_and_saveexec_b64 s[0:1], vcc
	s_cbranch_execz .LBB274_11
; %bb.10:
	v_mov_b32_e32 v5, s14
	v_add_co_u32_e32 v6, vcc, s7, v1
	v_addc_co_u32_e32 v7, vcc, 0, v5, vcc
	flat_load_ushort v5, v[6:7] offset:1536
.LBB274_11:
	s_or_b64 exec, exec, s[0:1]
	v_or_b32_e32 v6, 0x400, v0
	v_cmp_gt_u32_e32 vcc, s33, v6
                                        ; implicit-def: $vgpr6
	s_and_saveexec_b64 s[0:1], vcc
	s_cbranch_execz .LBB274_13
; %bb.12:
	v_mov_b32_e32 v7, s14
	v_add_co_u32_e32 v6, vcc, s7, v1
	v_addc_co_u32_e32 v7, vcc, 0, v7, vcc
	flat_load_ushort v6, v[6:7] offset:2048
.LBB274_13:
	s_or_b64 exec, exec, s[0:1]
	v_or_b32_e32 v7, 0x500, v0
	v_cmp_gt_u32_e32 vcc, s33, v7
                                        ; implicit-def: $vgpr7
	s_and_saveexec_b64 s[0:1], vcc
	s_cbranch_execz .LBB274_15
; %bb.14:
	v_mov_b32_e32 v7, s14
	v_add_co_u32_e32 v8, vcc, s7, v1
	v_addc_co_u32_e32 v9, vcc, 0, v7, vcc
	flat_load_ushort v7, v[8:9] offset:2560
.LBB274_15:
	s_or_b64 exec, exec, s[0:1]
	v_or_b32_e32 v8, 0x600, v0
	v_cmp_gt_u32_e32 vcc, s33, v8
                                        ; implicit-def: $vgpr8
	s_and_saveexec_b64 s[0:1], vcc
	s_cbranch_execz .LBB274_17
; %bb.16:
	v_mov_b32_e32 v9, s14
	v_add_co_u32_e32 v8, vcc, s7, v1
	v_addc_co_u32_e32 v9, vcc, 0, v9, vcc
	flat_load_ushort v8, v[8:9] offset:3072
.LBB274_17:
	s_or_b64 exec, exec, s[0:1]
	v_or_b32_e32 v9, 0x700, v0
	v_cmp_gt_u32_e32 vcc, s33, v9
                                        ; implicit-def: $vgpr9
	s_and_saveexec_b64 s[0:1], vcc
	s_cbranch_execz .LBB274_19
; %bb.18:
	v_mov_b32_e32 v9, s14
	v_add_co_u32_e32 v10, vcc, s7, v1
	v_addc_co_u32_e32 v11, vcc, 0, v9, vcc
	flat_load_ushort v9, v[10:11] offset:3584
.LBB274_19:
	s_or_b64 exec, exec, s[0:1]
	v_or_b32_e32 v11, 0x800, v0
	v_cmp_gt_u32_e32 vcc, s33, v11
                                        ; implicit-def: $vgpr10
	s_and_saveexec_b64 s[0:1], vcc
	s_cbranch_execz .LBB274_21
; %bb.20:
	v_lshlrev_b32_e32 v10, 1, v11
	v_mov_b32_e32 v11, s14
	v_add_co_u32_e32 v10, vcc, s7, v10
	v_addc_co_u32_e32 v11, vcc, 0, v11, vcc
	flat_load_ushort v10, v[10:11]
.LBB274_21:
	s_or_b64 exec, exec, s[0:1]
	v_or_b32_e32 v12, 0x900, v0
	v_cmp_gt_u32_e32 vcc, s33, v12
                                        ; implicit-def: $vgpr11
	s_and_saveexec_b64 s[0:1], vcc
	s_cbranch_execz .LBB274_23
; %bb.22:
	v_lshlrev_b32_e32 v11, 1, v12
	v_mov_b32_e32 v13, s14
	v_add_co_u32_e32 v12, vcc, s7, v11
	v_addc_co_u32_e32 v13, vcc, 0, v13, vcc
	flat_load_ushort v11, v[12:13]
.LBB274_23:
	s_or_b64 exec, exec, s[0:1]
	v_or_b32_e32 v13, 0xa00, v0
	v_cmp_gt_u32_e32 vcc, s33, v13
                                        ; implicit-def: $vgpr12
	s_and_saveexec_b64 s[0:1], vcc
	s_cbranch_execz .LBB274_25
; %bb.24:
	v_lshlrev_b32_e32 v12, 1, v13
	v_mov_b32_e32 v13, s14
	v_add_co_u32_e32 v12, vcc, s7, v12
	v_addc_co_u32_e32 v13, vcc, 0, v13, vcc
	flat_load_ushort v12, v[12:13]
.LBB274_25:
	s_or_b64 exec, exec, s[0:1]
	v_or_b32_e32 v14, 0xb00, v0
	v_cmp_gt_u32_e32 vcc, s33, v14
                                        ; implicit-def: $vgpr13
	s_and_saveexec_b64 s[0:1], vcc
	s_cbranch_execz .LBB274_27
; %bb.26:
	v_lshlrev_b32_e32 v13, 1, v14
	v_mov_b32_e32 v15, s14
	v_add_co_u32_e32 v14, vcc, s7, v13
	v_addc_co_u32_e32 v15, vcc, 0, v15, vcc
	flat_load_ushort v13, v[14:15]
.LBB274_27:
	s_or_b64 exec, exec, s[0:1]
	v_or_b32_e32 v15, 0xc00, v0
	v_cmp_gt_u32_e32 vcc, s33, v15
                                        ; implicit-def: $vgpr14
	s_and_saveexec_b64 s[0:1], vcc
	s_cbranch_execz .LBB274_29
; %bb.28:
	v_lshlrev_b32_e32 v14, 1, v15
	v_mov_b32_e32 v15, s14
	v_add_co_u32_e32 v14, vcc, s7, v14
	v_addc_co_u32_e32 v15, vcc, 0, v15, vcc
	flat_load_ushort v14, v[14:15]
.LBB274_29:
	s_or_b64 exec, exec, s[0:1]
	v_or_b32_e32 v16, 0xd00, v0
	v_cmp_gt_u32_e32 vcc, s33, v16
                                        ; implicit-def: $vgpr15
	s_and_saveexec_b64 s[0:1], vcc
	s_cbranch_execz .LBB274_31
; %bb.30:
	v_lshlrev_b32_e32 v15, 1, v16
	v_mov_b32_e32 v17, s14
	v_add_co_u32_e32 v16, vcc, s7, v15
	v_addc_co_u32_e32 v17, vcc, 0, v17, vcc
	flat_load_ushort v15, v[16:17]
.LBB274_31:
	s_or_b64 exec, exec, s[0:1]
	v_or_b32_e32 v17, 0xe00, v0
	v_cmp_gt_u32_e32 vcc, s33, v17
                                        ; implicit-def: $vgpr16
	s_and_saveexec_b64 s[0:1], vcc
	s_cbranch_execz .LBB274_33
; %bb.32:
	v_lshlrev_b32_e32 v16, 1, v17
	v_mov_b32_e32 v17, s14
	v_add_co_u32_e32 v16, vcc, s7, v16
	v_addc_co_u32_e32 v17, vcc, 0, v17, vcc
	flat_load_ushort v16, v[16:17]
.LBB274_33:
	s_or_b64 exec, exec, s[0:1]
	v_or_b32_e32 v18, 0xf00, v0
	v_cmp_gt_u32_e32 vcc, s33, v18
                                        ; implicit-def: $vgpr17
	s_and_saveexec_b64 s[0:1], vcc
	s_cbranch_execz .LBB274_35
; %bb.34:
	v_lshlrev_b32_e32 v17, 1, v18
	v_mov_b32_e32 v19, s14
	v_add_co_u32_e32 v18, vcc, s7, v17
	v_addc_co_u32_e32 v19, vcc, 0, v19, vcc
	flat_load_ushort v17, v[18:19]
.LBB274_35:
	s_or_b64 exec, exec, s[0:1]
	v_or_b32_e32 v19, 0x1000, v0
	v_cmp_gt_u32_e32 vcc, s33, v19
                                        ; implicit-def: $vgpr18
	s_and_saveexec_b64 s[0:1], vcc
	s_cbranch_execz .LBB274_37
; %bb.36:
	v_lshlrev_b32_e32 v18, 1, v19
	v_mov_b32_e32 v19, s14
	v_add_co_u32_e32 v18, vcc, s7, v18
	v_addc_co_u32_e32 v19, vcc, 0, v19, vcc
	flat_load_ushort v18, v[18:19]
.LBB274_37:
	s_or_b64 exec, exec, s[0:1]
	v_or_b32_e32 v20, 0x1100, v0
	v_cmp_gt_u32_e32 vcc, s33, v20
                                        ; implicit-def: $vgpr19
	s_and_saveexec_b64 s[0:1], vcc
	s_cbranch_execz .LBB274_39
; %bb.38:
	v_lshlrev_b32_e32 v19, 1, v20
	v_mov_b32_e32 v21, s14
	v_add_co_u32_e32 v20, vcc, s7, v19
	v_addc_co_u32_e32 v21, vcc, 0, v21, vcc
	flat_load_ushort v19, v[20:21]
.LBB274_39:
	s_or_b64 exec, exec, s[0:1]
	v_or_b32_e32 v21, 0x1200, v0
	v_cmp_gt_u32_e32 vcc, s33, v21
                                        ; implicit-def: $vgpr20
	s_and_saveexec_b64 s[0:1], vcc
	s_cbranch_execz .LBB274_41
; %bb.40:
	v_lshlrev_b32_e32 v20, 1, v21
	v_mov_b32_e32 v21, s14
	v_add_co_u32_e32 v20, vcc, s7, v20
	v_addc_co_u32_e32 v21, vcc, 0, v21, vcc
	flat_load_ushort v20, v[20:21]
.LBB274_41:
	s_or_b64 exec, exec, s[0:1]
	v_or_b32_e32 v22, 0x1300, v0
	v_cmp_gt_u32_e32 vcc, s33, v22
                                        ; implicit-def: $vgpr21
	s_and_saveexec_b64 s[0:1], vcc
	s_cbranch_execz .LBB274_43
; %bb.42:
	v_lshlrev_b32_e32 v21, 1, v22
	v_mov_b32_e32 v23, s14
	v_add_co_u32_e32 v22, vcc, s7, v21
	v_addc_co_u32_e32 v23, vcc, 0, v23, vcc
	flat_load_ushort v21, v[22:23]
.LBB274_43:
	s_or_b64 exec, exec, s[0:1]
	s_waitcnt vmcnt(0) lgkmcnt(0)
	ds_write_b16 v1, v2
	ds_write_b16 v1, v3 offset:512
	ds_write_b16 v1, v4 offset:1024
	;; [unrolled: 1-line block ×19, first 2 shown]
	s_waitcnt lgkmcnt(0)
	s_barrier
.LBB274_44:
	v_mul_u32_u24_e32 v26, 20, v0
	v_lshlrev_b32_e32 v6, 1, v26
	s_waitcnt lgkmcnt(0)
	ds_read_b64 v[12:13], v6 offset:32
	ds_read2_b64 v[2:5], v6 offset0:2 offset1:3
	ds_read2_b64 v[6:9], v6 offset1:1
	s_add_u32 s0, s2, s8
	s_addc_u32 s1, s3, s9
	s_add_u32 s0, s0, s10
	s_addc_u32 s1, s1, s11
	s_mov_b64 s[2:3], -1
	s_and_b64 vcc, exec, s[34:35]
	s_waitcnt lgkmcnt(0)
	s_barrier
	s_cbranch_vccz .LBB274_46
; %bb.45:
	v_mov_b32_e32 v10, s1
	v_add_co_u32_e32 v14, vcc, s0, v1
	s_movk_i32 s2, 0x1000
	v_addc_co_u32_e32 v15, vcc, 0, v10, vcc
	v_add_co_u32_e32 v10, vcc, s2, v14
	s_movk_i32 s3, 0x2000
	v_addc_co_u32_e32 v11, vcc, 0, v15, vcc
	global_load_ubyte v16, v1, s[0:1]
	global_load_ubyte v17, v1, s[0:1] offset:512
	global_load_ubyte v18, v1, s[0:1] offset:1024
	;; [unrolled: 1-line block ×7, first 2 shown]
	v_add_co_u32_e32 v14, vcc, s3, v14
	v_addc_co_u32_e32 v15, vcc, 0, v15, vcc
	global_load_ubyte v24, v[14:15], off offset:-4096
	global_load_ubyte v25, v[10:11], off offset:512
	global_load_ubyte v27, v[10:11], off offset:1024
	;; [unrolled: 1-line block ×7, first 2 shown]
	global_load_ubyte v33, v[14:15], off
	global_load_ubyte v34, v[14:15], off offset:512
	global_load_ubyte v35, v[14:15], off offset:1024
	;; [unrolled: 1-line block ×3, first 2 shown]
	s_mov_b64 s[2:3], 0
	s_waitcnt vmcnt(19)
	v_xor_b32_e32 v10, -1, v16
	s_waitcnt vmcnt(18)
	v_xor_b32_e32 v11, -1, v17
	;; [unrolled: 2-line block ×8, first 2 shown]
	v_and_b32_e32 v10, 1, v10
	v_and_b32_e32 v11, 1, v11
	v_and_b32_e32 v14, 1, v14
	v_and_b32_e32 v15, 1, v15
	v_and_b32_e32 v16, 1, v16
	v_and_b32_e32 v17, 1, v17
	v_and_b32_e32 v18, 1, v18
	v_and_b32_e32 v19, 1, v19
	ds_write_b8 v0, v10
	ds_write_b8 v0, v11 offset:256
	ds_write_b8 v0, v14 offset:512
	;; [unrolled: 1-line block ×7, first 2 shown]
	s_waitcnt vmcnt(11)
	v_xor_b32_e32 v10, -1, v24
	s_waitcnt vmcnt(10)
	v_xor_b32_e32 v11, -1, v25
	;; [unrolled: 2-line block ×12, first 2 shown]
	v_and_b32_e32 v10, 1, v10
	v_and_b32_e32 v11, 1, v11
	;; [unrolled: 1-line block ×12, first 2 shown]
	ds_write_b8 v0, v10 offset:2048
	ds_write_b8 v0, v11 offset:2304
	;; [unrolled: 1-line block ×12, first 2 shown]
	s_waitcnt lgkmcnt(0)
	s_barrier
.LBB274_46:
	s_load_dwordx2 s[36:37], s[4:5], 0x70
	s_andn2_b64 vcc, exec, s[2:3]
	s_cbranch_vccnz .LBB274_88
; %bb.47:
	v_cmp_gt_u32_e32 vcc, s33, v0
	v_mov_b32_e32 v10, 0
	v_mov_b32_e32 v11, 0
	s_and_saveexec_b64 s[2:3], vcc
	s_cbranch_execz .LBB274_49
; %bb.48:
	global_load_ubyte v11, v1, s[0:1]
	s_waitcnt vmcnt(0)
	v_xor_b32_e32 v11, -1, v11
	v_and_b32_e32 v11, 1, v11
.LBB274_49:
	s_or_b64 exec, exec, s[2:3]
	v_or_b32_e32 v14, 0x100, v0
	v_cmp_gt_u32_e32 vcc, s33, v14
	s_and_saveexec_b64 s[2:3], vcc
	s_cbranch_execz .LBB274_51
; %bb.50:
	global_load_ubyte v10, v1, s[0:1] offset:512
	s_waitcnt vmcnt(0)
	v_xor_b32_e32 v10, -1, v10
	v_and_b32_e32 v10, 1, v10
.LBB274_51:
	s_or_b64 exec, exec, s[2:3]
	v_or_b32_e32 v14, 0x200, v0
	v_cmp_gt_u32_e32 vcc, s33, v14
	v_mov_b32_e32 v14, 0
	v_mov_b32_e32 v15, 0
	s_and_saveexec_b64 s[2:3], vcc
	s_cbranch_execz .LBB274_53
; %bb.52:
	global_load_ubyte v15, v1, s[0:1] offset:1024
	s_waitcnt vmcnt(0)
	v_xor_b32_e32 v15, -1, v15
	v_and_b32_e32 v15, 1, v15
.LBB274_53:
	s_or_b64 exec, exec, s[2:3]
	v_or_b32_e32 v16, 0x300, v0
	v_cmp_gt_u32_e32 vcc, s33, v16
	s_and_saveexec_b64 s[2:3], vcc
	s_cbranch_execz .LBB274_55
; %bb.54:
	global_load_ubyte v14, v1, s[0:1] offset:1536
	s_waitcnt vmcnt(0)
	v_xor_b32_e32 v14, -1, v14
	v_and_b32_e32 v14, 1, v14
.LBB274_55:
	s_or_b64 exec, exec, s[2:3]
	v_or_b32_e32 v16, 0x400, v0
	v_cmp_gt_u32_e32 vcc, s33, v16
	v_mov_b32_e32 v16, 0
	v_mov_b32_e32 v17, 0
	s_and_saveexec_b64 s[2:3], vcc
	s_cbranch_execz .LBB274_57
; %bb.56:
	global_load_ubyte v17, v1, s[0:1] offset:2048
	s_waitcnt vmcnt(0)
	v_xor_b32_e32 v17, -1, v17
	v_and_b32_e32 v17, 1, v17
.LBB274_57:
	;; [unrolled: 24-line block ×3, first 2 shown]
	s_or_b64 exec, exec, s[2:3]
	v_or_b32_e32 v20, 0x700, v0
	v_cmp_gt_u32_e32 vcc, s33, v20
	s_and_saveexec_b64 s[2:3], vcc
	s_cbranch_execz .LBB274_63
; %bb.62:
	global_load_ubyte v18, v1, s[0:1] offset:3584
	s_waitcnt vmcnt(0)
	v_xor_b32_e32 v18, -1, v18
	v_and_b32_e32 v18, 1, v18
.LBB274_63:
	s_or_b64 exec, exec, s[2:3]
	v_or_b32_e32 v22, 0x800, v0
	v_cmp_gt_u32_e32 vcc, s33, v22
	v_mov_b32_e32 v20, 0
	v_mov_b32_e32 v21, 0
	s_and_saveexec_b64 s[2:3], vcc
	s_cbranch_execz .LBB274_65
; %bb.64:
	v_lshlrev_b32_e32 v21, 1, v22
	global_load_ubyte v21, v21, s[0:1]
	s_waitcnt vmcnt(0)
	v_xor_b32_e32 v21, -1, v21
	v_and_b32_e32 v21, 1, v21
.LBB274_65:
	s_or_b64 exec, exec, s[2:3]
	v_or_b32_e32 v22, 0x900, v0
	v_cmp_gt_u32_e32 vcc, s33, v22
	s_and_saveexec_b64 s[2:3], vcc
	s_cbranch_execz .LBB274_67
; %bb.66:
	v_lshlrev_b32_e32 v20, 1, v22
	global_load_ubyte v20, v20, s[0:1]
	s_waitcnt vmcnt(0)
	v_xor_b32_e32 v20, -1, v20
	v_and_b32_e32 v20, 1, v20
.LBB274_67:
	s_or_b64 exec, exec, s[2:3]
	v_or_b32_e32 v24, 0xa00, v0
	v_cmp_gt_u32_e32 vcc, s33, v24
	v_mov_b32_e32 v22, 0
	v_mov_b32_e32 v23, 0
	s_and_saveexec_b64 s[2:3], vcc
	s_cbranch_execz .LBB274_69
; %bb.68:
	v_lshlrev_b32_e32 v23, 1, v24
	global_load_ubyte v23, v23, s[0:1]
	s_waitcnt vmcnt(0)
	v_xor_b32_e32 v23, -1, v23
	v_and_b32_e32 v23, 1, v23
.LBB274_69:
	s_or_b64 exec, exec, s[2:3]
	v_or_b32_e32 v24, 0xb00, v0
	v_cmp_gt_u32_e32 vcc, s33, v24
	s_and_saveexec_b64 s[2:3], vcc
	s_cbranch_execz .LBB274_71
; %bb.70:
	v_lshlrev_b32_e32 v22, 1, v24
	global_load_ubyte v22, v22, s[0:1]
	s_waitcnt vmcnt(0)
	v_xor_b32_e32 v22, -1, v22
	v_and_b32_e32 v22, 1, v22
.LBB274_71:
	;; [unrolled: 26-line block ×6, first 2 shown]
	s_or_b64 exec, exec, s[2:3]
	ds_write_b8 v0, v11
	ds_write_b8 v0, v10 offset:256
	ds_write_b8 v0, v15 offset:512
	;; [unrolled: 1-line block ×19, first 2 shown]
	s_waitcnt lgkmcnt(0)
	s_barrier
.LBB274_88:
	s_waitcnt lgkmcnt(0)
	ds_read2_b32 v[16:17], v26 offset1:1
	ds_read2_b32 v[14:15], v26 offset0:2 offset1:3
	ds_read_b32 v28, v26 offset:16
	s_cmp_lg_u32 s6, 0
	v_lshrrev_b32_e32 v47, 6, v0
	s_waitcnt lgkmcnt(2)
	v_lshrrev_b32_e32 v33, 24, v16
	v_bfe_u32 v45, v16, 16, 8
	v_add_u32_sdwa v10, v16, v16 dst_sel:DWORD dst_unused:UNUSED_PAD src0_sel:BYTE_1 src1_sel:BYTE_0
	v_and_b32_e32 v42, 0xff, v17
	v_bfe_u32 v43, v17, 8, 8
	v_add3_u32 v10, v10, v45, v33
	v_lshrrev_b32_e32 v32, 24, v17
	v_bfe_u32 v44, v17, 16, 8
	v_add3_u32 v10, v10, v42, v43
	s_waitcnt lgkmcnt(1)
	v_and_b32_e32 v39, 0xff, v14
	v_bfe_u32 v40, v14, 8, 8
	v_add3_u32 v10, v10, v44, v32
	v_lshrrev_b32_e32 v31, 24, v14
	v_bfe_u32 v41, v14, 16, 8
	v_add3_u32 v10, v10, v39, v40
	v_and_b32_e32 v36, 0xff, v15
	v_bfe_u32 v37, v15, 8, 8
	v_add3_u32 v10, v10, v41, v31
	v_lshrrev_b32_e32 v30, 24, v15
	v_bfe_u32 v38, v15, 16, 8
	v_add3_u32 v10, v10, v36, v37
	s_waitcnt lgkmcnt(0)
	v_and_b32_e32 v34, 0xff, v28
	v_bfe_u32 v35, v28, 8, 8
	v_add3_u32 v10, v10, v38, v30
	v_lshrrev_b32_e32 v27, 24, v28
	v_bfe_u32 v29, v28, 16, 8
	v_add3_u32 v10, v10, v34, v35
	v_add3_u32 v48, v10, v29, v27
	v_mbcnt_lo_u32_b32 v10, -1, 0
	v_mbcnt_hi_u32_b32 v46, -1, v10
	v_and_b32_e32 v10, 15, v46
	v_cmp_eq_u32_e64 s[14:15], 0, v10
	v_cmp_lt_u32_e64 s[12:13], 1, v10
	v_cmp_lt_u32_e64 s[10:11], 3, v10
	;; [unrolled: 1-line block ×3, first 2 shown]
	v_and_b32_e32 v10, 16, v46
	v_cmp_eq_u32_e64 s[18:19], 0, v10
	v_or_b32_e32 v10, 63, v0
	v_cmp_lt_u32_e64 s[0:1], 31, v46
	v_cmp_eq_u32_e64 s[2:3], v10, v0
	s_barrier
	s_cbranch_scc0 .LBB274_119
; %bb.89:
	v_mov_b32_dpp v10, v48 row_shr:1 row_mask:0xf bank_mask:0xf
	v_cndmask_b32_e64 v10, v10, 0, s[14:15]
	v_add_u32_e32 v10, v10, v48
	s_nop 1
	v_mov_b32_dpp v11, v10 row_shr:2 row_mask:0xf bank_mask:0xf
	v_cndmask_b32_e64 v11, 0, v11, s[12:13]
	v_add_u32_e32 v10, v10, v11
	s_nop 1
	;; [unrolled: 4-line block ×4, first 2 shown]
	v_mov_b32_dpp v11, v10 row_bcast:15 row_mask:0xf bank_mask:0xf
	v_cndmask_b32_e64 v11, v11, 0, s[18:19]
	v_add_u32_e32 v10, v10, v11
	s_nop 1
	v_mov_b32_dpp v11, v10 row_bcast:31 row_mask:0xf bank_mask:0xf
	v_cndmask_b32_e64 v11, 0, v11, s[0:1]
	v_add_u32_e32 v10, v10, v11
	s_and_saveexec_b64 s[16:17], s[2:3]
	s_cbranch_execz .LBB274_91
; %bb.90:
	v_lshlrev_b32_e32 v11, 2, v47
	ds_write_b32 v11, v10
.LBB274_91:
	s_or_b64 exec, exec, s[16:17]
	v_cmp_gt_u32_e32 vcc, 4, v0
	s_waitcnt lgkmcnt(0)
	s_barrier
	s_and_saveexec_b64 s[16:17], vcc
	s_cbranch_execz .LBB274_93
; %bb.92:
	v_lshlrev_b32_e32 v11, 2, v0
	ds_read_b32 v18, v11
	v_and_b32_e32 v19, 3, v46
	v_cmp_ne_u32_e32 vcc, 0, v19
	s_waitcnt lgkmcnt(0)
	v_mov_b32_dpp v20, v18 row_shr:1 row_mask:0xf bank_mask:0xf
	v_cndmask_b32_e32 v20, 0, v20, vcc
	v_add_u32_e32 v18, v20, v18
	v_cmp_lt_u32_e32 vcc, 1, v19
	s_nop 0
	v_mov_b32_dpp v20, v18 row_shr:2 row_mask:0xf bank_mask:0xf
	v_cndmask_b32_e32 v19, 0, v20, vcc
	v_add_u32_e32 v18, v18, v19
	ds_write_b32 v11, v18
.LBB274_93:
	s_or_b64 exec, exec, s[16:17]
	v_cmp_gt_u32_e32 vcc, 64, v0
	v_cmp_lt_u32_e64 s[16:17], 63, v0
	s_waitcnt lgkmcnt(0)
	s_barrier
	s_waitcnt lgkmcnt(0)
                                        ; implicit-def: $vgpr49
	s_and_saveexec_b64 s[38:39], s[16:17]
	s_cbranch_execz .LBB274_95
; %bb.94:
	v_lshl_add_u32 v11, v47, 2, -4
	ds_read_b32 v49, v11
	s_waitcnt lgkmcnt(0)
	v_add_u32_e32 v10, v49, v10
.LBB274_95:
	s_or_b64 exec, exec, s[38:39]
	v_add_u32_e32 v11, -1, v46
	v_and_b32_e32 v18, 64, v46
	v_cmp_lt_i32_e64 s[16:17], v11, v18
	v_cndmask_b32_e64 v11, v11, v46, s[16:17]
	v_lshlrev_b32_e32 v11, 2, v11
	ds_bpermute_b32 v50, v11, v10
	v_cmp_eq_u32_e64 s[16:17], 0, v46
	s_and_saveexec_b64 s[38:39], vcc
	s_cbranch_execz .LBB274_118
; %bb.96:
	v_mov_b32_e32 v25, 0
	ds_read_b32 v10, v25 offset:12
	s_and_saveexec_b64 s[40:41], s[16:17]
	s_cbranch_execz .LBB274_98
; %bb.97:
	s_add_i32 s42, s6, 64
	s_mov_b32 s43, 0
	s_lshl_b64 s[42:43], s[42:43], 3
	s_add_u32 s42, s36, s42
	v_mov_b32_e32 v11, 1
	s_addc_u32 s43, s37, s43
	s_waitcnt lgkmcnt(0)
	global_store_dwordx2 v25, v[10:11], s[42:43]
.LBB274_98:
	s_or_b64 exec, exec, s[40:41]
	v_xad_u32 v18, v46, -1, s6
	v_add_u32_e32 v24, 64, v18
	v_lshlrev_b64 v[20:21], 3, v[24:25]
	v_mov_b32_e32 v11, s37
	v_add_co_u32_e32 v20, vcc, s36, v20
	v_addc_co_u32_e32 v21, vcc, v11, v21, vcc
	global_load_dwordx2 v[22:23], v[20:21], off glc
	s_waitcnt vmcnt(0)
	v_cmp_eq_u16_sdwa s[42:43], v23, v25 src0_sel:BYTE_0 src1_sel:DWORD
	s_and_saveexec_b64 s[40:41], s[42:43]
	s_cbranch_execz .LBB274_104
; %bb.99:
	s_mov_b32 s7, 1
	s_mov_b64 s[42:43], 0
	v_mov_b32_e32 v11, 0
.LBB274_100:                            ; =>This Loop Header: Depth=1
                                        ;     Child Loop BB274_101 Depth 2
	s_max_u32 s25, s7, 1
.LBB274_101:                            ;   Parent Loop BB274_100 Depth=1
                                        ; =>  This Inner Loop Header: Depth=2
	s_add_i32 s25, s25, -1
	s_cmp_eq_u32 s25, 0
	s_sleep 1
	s_cbranch_scc0 .LBB274_101
; %bb.102:                              ;   in Loop: Header=BB274_100 Depth=1
	global_load_dwordx2 v[22:23], v[20:21], off glc
	s_cmp_lt_u32 s7, 32
	s_cselect_b64 s[44:45], -1, 0
	s_cmp_lg_u64 s[44:45], 0
	s_addc_u32 s7, s7, 0
	s_waitcnt vmcnt(0)
	v_cmp_ne_u16_sdwa s[44:45], v23, v11 src0_sel:BYTE_0 src1_sel:DWORD
	s_or_b64 s[42:43], s[44:45], s[42:43]
	s_andn2_b64 exec, exec, s[42:43]
	s_cbranch_execnz .LBB274_100
; %bb.103:
	s_or_b64 exec, exec, s[42:43]
.LBB274_104:
	s_or_b64 exec, exec, s[40:41]
	v_and_b32_e32 v52, 63, v46
	v_mov_b32_e32 v51, 2
	v_cmp_ne_u32_e32 vcc, 63, v52
	v_cmp_eq_u16_sdwa s[40:41], v23, v51 src0_sel:BYTE_0 src1_sel:DWORD
	v_lshlrev_b64 v[20:21], v46, -1
	v_addc_co_u32_e32 v24, vcc, 0, v46, vcc
	v_and_b32_e32 v11, s41, v21
	v_lshlrev_b32_e32 v53, 2, v24
	v_or_b32_e32 v11, 0x80000000, v11
	ds_bpermute_b32 v24, v53, v22
	v_and_b32_e32 v19, s40, v20
	v_ffbl_b32_e32 v11, v11
	v_add_u32_e32 v11, 32, v11
	v_ffbl_b32_e32 v19, v19
	v_min_u32_e32 v11, v19, v11
	v_cmp_lt_u32_e32 vcc, v52, v11
	s_waitcnt lgkmcnt(0)
	v_cndmask_b32_e32 v19, 0, v24, vcc
	v_cmp_gt_u32_e32 vcc, 62, v52
	v_add_u32_e32 v19, v19, v22
	v_cndmask_b32_e64 v22, 0, 1, vcc
	v_lshlrev_b32_e32 v22, 1, v22
	v_add_lshl_u32 v54, v22, v46, 2
	ds_bpermute_b32 v22, v54, v19
	v_add_u32_e32 v55, 2, v52
	v_cmp_le_u32_e32 vcc, v55, v11
	v_add_u32_e32 v57, 4, v52
	v_add_u32_e32 v59, 8, v52
	s_waitcnt lgkmcnt(0)
	v_cndmask_b32_e32 v22, 0, v22, vcc
	v_cmp_gt_u32_e32 vcc, 60, v52
	v_add_u32_e32 v19, v19, v22
	v_cndmask_b32_e64 v22, 0, 1, vcc
	v_lshlrev_b32_e32 v22, 2, v22
	v_add_lshl_u32 v56, v22, v46, 2
	ds_bpermute_b32 v22, v56, v19
	v_cmp_le_u32_e32 vcc, v57, v11
	v_add_u32_e32 v61, 16, v52
	v_add_u32_e32 v63, 32, v52
	s_waitcnt lgkmcnt(0)
	v_cndmask_b32_e32 v22, 0, v22, vcc
	v_cmp_gt_u32_e32 vcc, 56, v52
	v_add_u32_e32 v19, v19, v22
	v_cndmask_b32_e64 v22, 0, 1, vcc
	v_lshlrev_b32_e32 v22, 3, v22
	v_add_lshl_u32 v58, v22, v46, 2
	ds_bpermute_b32 v22, v58, v19
	v_cmp_le_u32_e32 vcc, v59, v11
	s_waitcnt lgkmcnt(0)
	v_cndmask_b32_e32 v22, 0, v22, vcc
	v_cmp_gt_u32_e32 vcc, 48, v52
	v_add_u32_e32 v19, v19, v22
	v_cndmask_b32_e64 v22, 0, 1, vcc
	v_lshlrev_b32_e32 v22, 4, v22
	v_add_lshl_u32 v60, v22, v46, 2
	ds_bpermute_b32 v22, v60, v19
	v_cmp_le_u32_e32 vcc, v61, v11
	;; [unrolled: 9-line block ×3, first 2 shown]
	s_waitcnt lgkmcnt(0)
	v_cndmask_b32_e32 v11, 0, v22, vcc
	v_add_u32_e32 v22, v19, v11
	v_mov_b32_e32 v19, 0
	s_branch .LBB274_106
.LBB274_105:                            ;   in Loop: Header=BB274_106 Depth=1
	s_or_b64 exec, exec, s[40:41]
	v_cmp_eq_u16_sdwa s[40:41], v23, v51 src0_sel:BYTE_0 src1_sel:DWORD
	v_and_b32_e32 v24, s41, v21
	v_or_b32_e32 v24, 0x80000000, v24
	ds_bpermute_b32 v64, v53, v22
	v_and_b32_e32 v25, s40, v20
	v_ffbl_b32_e32 v24, v24
	v_add_u32_e32 v24, 32, v24
	v_ffbl_b32_e32 v25, v25
	v_min_u32_e32 v24, v25, v24
	v_cmp_lt_u32_e32 vcc, v52, v24
	s_waitcnt lgkmcnt(0)
	v_cndmask_b32_e32 v25, 0, v64, vcc
	v_add_u32_e32 v22, v25, v22
	ds_bpermute_b32 v25, v54, v22
	v_cmp_le_u32_e32 vcc, v55, v24
	v_subrev_u32_e32 v18, 64, v18
	s_waitcnt lgkmcnt(0)
	v_cndmask_b32_e32 v25, 0, v25, vcc
	v_add_u32_e32 v22, v22, v25
	ds_bpermute_b32 v25, v56, v22
	v_cmp_le_u32_e32 vcc, v57, v24
	s_waitcnt lgkmcnt(0)
	v_cndmask_b32_e32 v25, 0, v25, vcc
	v_add_u32_e32 v22, v22, v25
	ds_bpermute_b32 v25, v58, v22
	v_cmp_le_u32_e32 vcc, v59, v24
	;; [unrolled: 5-line block ×4, first 2 shown]
	s_waitcnt lgkmcnt(0)
	v_cndmask_b32_e32 v24, 0, v25, vcc
	v_add3_u32 v22, v24, v11, v22
.LBB274_106:                            ; =>This Loop Header: Depth=1
                                        ;     Child Loop BB274_109 Depth 2
                                        ;       Child Loop BB274_110 Depth 3
	v_cmp_ne_u16_sdwa s[40:41], v23, v51 src0_sel:BYTE_0 src1_sel:DWORD
	v_cndmask_b32_e64 v11, 0, 1, s[40:41]
	;;#ASMSTART
	;;#ASMEND
	v_cmp_ne_u32_e32 vcc, 0, v11
	s_cmp_lg_u64 vcc, exec
	v_mov_b32_e32 v11, v22
	s_cbranch_scc1 .LBB274_113
; %bb.107:                              ;   in Loop: Header=BB274_106 Depth=1
	v_lshlrev_b64 v[22:23], 3, v[18:19]
	v_mov_b32_e32 v25, s37
	v_add_co_u32_e32 v24, vcc, s36, v22
	v_addc_co_u32_e32 v25, vcc, v25, v23, vcc
	global_load_dwordx2 v[22:23], v[24:25], off glc
	s_waitcnt vmcnt(0)
	v_cmp_eq_u16_sdwa s[42:43], v23, v19 src0_sel:BYTE_0 src1_sel:DWORD
	s_and_saveexec_b64 s[40:41], s[42:43]
	s_cbranch_execz .LBB274_105
; %bb.108:                              ;   in Loop: Header=BB274_106 Depth=1
	s_mov_b32 s7, 1
	s_mov_b64 s[42:43], 0
.LBB274_109:                            ;   Parent Loop BB274_106 Depth=1
                                        ; =>  This Loop Header: Depth=2
                                        ;       Child Loop BB274_110 Depth 3
	s_max_u32 s25, s7, 1
.LBB274_110:                            ;   Parent Loop BB274_106 Depth=1
                                        ;     Parent Loop BB274_109 Depth=2
                                        ; =>    This Inner Loop Header: Depth=3
	s_add_i32 s25, s25, -1
	s_cmp_eq_u32 s25, 0
	s_sleep 1
	s_cbranch_scc0 .LBB274_110
; %bb.111:                              ;   in Loop: Header=BB274_109 Depth=2
	global_load_dwordx2 v[22:23], v[24:25], off glc
	s_cmp_lt_u32 s7, 32
	s_cselect_b64 s[44:45], -1, 0
	s_cmp_lg_u64 s[44:45], 0
	s_addc_u32 s7, s7, 0
	s_waitcnt vmcnt(0)
	v_cmp_ne_u16_sdwa s[44:45], v23, v19 src0_sel:BYTE_0 src1_sel:DWORD
	s_or_b64 s[42:43], s[44:45], s[42:43]
	s_andn2_b64 exec, exec, s[42:43]
	s_cbranch_execnz .LBB274_109
; %bb.112:                              ;   in Loop: Header=BB274_106 Depth=1
	s_or_b64 exec, exec, s[42:43]
	s_branch .LBB274_105
.LBB274_113:                            ;   in Loop: Header=BB274_106 Depth=1
                                        ; implicit-def: $vgpr22
                                        ; implicit-def: $vgpr23
	s_cbranch_execz .LBB274_106
; %bb.114:
	s_and_saveexec_b64 s[40:41], s[16:17]
	s_cbranch_execz .LBB274_116
; %bb.115:
	s_add_i32 s6, s6, 64
	s_mov_b32 s7, 0
	s_lshl_b64 s[6:7], s[6:7], 3
	s_add_u32 s6, s36, s6
	v_add_u32_e32 v18, v11, v10
	v_mov_b32_e32 v19, 2
	s_addc_u32 s7, s37, s7
	v_mov_b32_e32 v20, 0
	global_store_dwordx2 v20, v[18:19], s[6:7]
	ds_write_b64 v20, v[10:11] offset:10240
.LBB274_116:
	s_or_b64 exec, exec, s[40:41]
	v_cmp_eq_u32_e32 vcc, 0, v0
	s_and_b64 exec, exec, vcc
	s_cbranch_execz .LBB274_118
; %bb.117:
	v_mov_b32_e32 v10, 0
	ds_write_b32 v10, v11 offset:12
.LBB274_118:
	s_or_b64 exec, exec, s[38:39]
	v_mov_b32_e32 v10, 0
	s_waitcnt lgkmcnt(0)
	s_barrier
	ds_read_b32 v19, v10 offset:12
	s_waitcnt lgkmcnt(0)
	s_barrier
	ds_read_b64 v[10:11], v10 offset:10240
	v_cndmask_b32_e64 v18, v50, v49, s[16:17]
	v_cmp_ne_u32_e32 vcc, 0, v0
	v_cndmask_b32_e32 v18, 0, v18, vcc
	v_add_u32_e32 v22, v19, v18
	s_load_dwordx2 s[4:5], s[4:5], 0x30
	s_branch .LBB274_129
.LBB274_119:
                                        ; implicit-def: $vgpr11
                                        ; implicit-def: $vgpr22
	s_load_dwordx2 s[4:5], s[4:5], 0x30
	s_cbranch_execz .LBB274_129
; %bb.120:
	s_waitcnt lgkmcnt(0)
	v_mov_b32_dpp v10, v48 row_shr:1 row_mask:0xf bank_mask:0xf
	v_cndmask_b32_e64 v10, v10, 0, s[14:15]
	v_add_u32_e32 v10, v10, v48
	s_nop 1
	v_mov_b32_dpp v11, v10 row_shr:2 row_mask:0xf bank_mask:0xf
	v_cndmask_b32_e64 v11, 0, v11, s[12:13]
	v_add_u32_e32 v10, v10, v11
	s_nop 1
	;; [unrolled: 4-line block ×4, first 2 shown]
	v_mov_b32_dpp v11, v10 row_bcast:15 row_mask:0xf bank_mask:0xf
	v_cndmask_b32_e64 v11, v11, 0, s[18:19]
	v_add_u32_e32 v10, v10, v11
	s_nop 1
	v_mov_b32_dpp v11, v10 row_bcast:31 row_mask:0xf bank_mask:0xf
	v_cndmask_b32_e64 v11, 0, v11, s[0:1]
	v_add_u32_e32 v10, v10, v11
	s_and_saveexec_b64 s[0:1], s[2:3]
	s_cbranch_execz .LBB274_122
; %bb.121:
	v_lshlrev_b32_e32 v11, 2, v47
	ds_write_b32 v11, v10
.LBB274_122:
	s_or_b64 exec, exec, s[0:1]
	v_cmp_gt_u32_e32 vcc, 4, v0
	s_waitcnt lgkmcnt(0)
	s_barrier
	s_and_saveexec_b64 s[0:1], vcc
	s_cbranch_execz .LBB274_124
; %bb.123:
	v_lshlrev_b32_e32 v11, 2, v0
	ds_read_b32 v18, v11
	v_and_b32_e32 v19, 3, v46
	v_cmp_ne_u32_e32 vcc, 0, v19
	s_waitcnt lgkmcnt(0)
	v_mov_b32_dpp v20, v18 row_shr:1 row_mask:0xf bank_mask:0xf
	v_cndmask_b32_e32 v20, 0, v20, vcc
	v_add_u32_e32 v18, v20, v18
	v_cmp_lt_u32_e32 vcc, 1, v19
	s_nop 0
	v_mov_b32_dpp v20, v18 row_shr:2 row_mask:0xf bank_mask:0xf
	v_cndmask_b32_e32 v19, 0, v20, vcc
	v_add_u32_e32 v18, v18, v19
	ds_write_b32 v11, v18
.LBB274_124:
	s_or_b64 exec, exec, s[0:1]
	v_cmp_lt_u32_e32 vcc, 63, v0
	v_mov_b32_e32 v11, 0
	v_mov_b32_e32 v18, 0
	s_waitcnt lgkmcnt(0)
	s_barrier
	s_and_saveexec_b64 s[0:1], vcc
	s_cbranch_execz .LBB274_126
; %bb.125:
	v_lshl_add_u32 v18, v47, 2, -4
	ds_read_b32 v18, v18
.LBB274_126:
	s_or_b64 exec, exec, s[0:1]
	v_add_u32_e32 v19, -1, v46
	v_and_b32_e32 v20, 64, v46
	v_cmp_lt_i32_e32 vcc, v19, v20
	v_cndmask_b32_e32 v19, v19, v46, vcc
	s_waitcnt lgkmcnt(0)
	v_add_u32_e32 v10, v18, v10
	v_lshlrev_b32_e32 v19, 2, v19
	ds_bpermute_b32 v19, v19, v10
	ds_read_b32 v10, v11 offset:12
	v_cmp_eq_u32_e32 vcc, 0, v0
	s_and_saveexec_b64 s[0:1], vcc
	s_cbranch_execz .LBB274_128
; %bb.127:
	v_mov_b32_e32 v20, 0
	v_mov_b32_e32 v11, 2
	s_waitcnt lgkmcnt(0)
	global_store_dwordx2 v20, v[10:11], s[36:37] offset:512
.LBB274_128:
	s_or_b64 exec, exec, s[0:1]
	v_cmp_eq_u32_e64 s[0:1], 0, v46
	s_waitcnt lgkmcnt(1)
	v_cndmask_b32_e64 v18, v19, v18, s[0:1]
	v_mov_b32_e32 v11, 0
	v_cndmask_b32_e64 v22, v18, 0, vcc
	s_waitcnt lgkmcnt(0)
	s_barrier
.LBB274_129:
	v_add_u32_sdwa v24, v22, v16 dst_sel:DWORD dst_unused:UNUSED_PAD src0_sel:DWORD src1_sel:BYTE_0
	s_waitcnt lgkmcnt(0)
	v_add_u32_e32 v26, v10, v26
	v_sub_u32_e32 v22, v22, v11
	v_and_b32_e32 v51, 1, v16
	v_sub_u32_e32 v50, v26, v22
	v_cmp_eq_u32_e32 vcc, 1, v51
	v_cndmask_b32_e32 v22, v50, v22, vcc
	v_lshlrev_b32_e32 v22, 1, v22
	v_lshrrev_b32_e32 v23, 8, v16
	ds_write_b16 v22, v6
	v_sub_u32_e32 v22, v24, v11
	v_add_u32_sdwa v25, v24, v16 dst_sel:DWORD dst_unused:UNUSED_PAD src0_sel:DWORD src1_sel:BYTE_1
	v_sub_u32_e32 v24, v26, v22
	v_and_b32_e32 v23, 1, v23
	v_add_u32_e32 v24, 1, v24
	v_cmp_eq_u32_e32 vcc, 1, v23
	v_cndmask_b32_e32 v22, v24, v22, vcc
	v_lshlrev_b32_e32 v22, 1, v22
	ds_write_b16_d16_hi v22, v6
	v_sub_u32_e32 v6, v25, v11
	v_mov_b32_e32 v23, 1
	v_sub_u32_e32 v22, v26, v6
	v_and_b32_sdwa v16, v23, v16 dst_sel:DWORD dst_unused:UNUSED_PAD src0_sel:DWORD src1_sel:WORD_1
	v_add_u32_e32 v22, 2, v22
	v_cmp_eq_u32_e32 vcc, 1, v16
	v_cndmask_b32_e32 v6, v22, v6, vcc
	v_add_u32_e32 v45, v25, v45
	v_lshlrev_b32_e32 v6, 1, v6
	ds_write_b16 v6, v7
	v_sub_u32_e32 v6, v45, v11
	v_sub_u32_e32 v16, v26, v6
	v_and_b32_e32 v22, 1, v33
	v_add_u32_e32 v16, 3, v16
	v_cmp_eq_u32_e32 vcc, 1, v22
	v_cndmask_b32_e32 v6, v16, v6, vcc
	v_add_u32_e32 v46, v45, v33
	v_lshlrev_b32_e32 v6, 1, v6
	ds_write_b16_d16_hi v6, v7
	v_sub_u32_e32 v6, v46, v11
	v_sub_u32_e32 v7, v26, v6
	v_and_b32_e32 v16, 1, v17
	v_add_u32_e32 v7, 4, v7
	v_cmp_eq_u32_e32 vcc, 1, v16
	v_cndmask_b32_e32 v6, v7, v6, vcc
	v_add_u32_e32 v42, v46, v42
	v_lshlrev_b32_e32 v6, 1, v6
	v_lshrrev_b32_e32 v21, 8, v17
	ds_write_b16 v6, v8
	v_sub_u32_e32 v6, v42, v11
	v_sub_u32_e32 v7, v26, v6
	v_and_b32_e32 v16, 1, v21
	v_add_u32_e32 v7, 5, v7
	v_cmp_eq_u32_e32 vcc, 1, v16
	v_cndmask_b32_e32 v6, v7, v6, vcc
	v_add_u32_e32 v43, v42, v43
	v_lshlrev_b32_e32 v6, 1, v6
	ds_write_b16_d16_hi v6, v8
	v_sub_u32_e32 v6, v43, v11
	v_sub_u32_e32 v7, v26, v6
	v_and_b32_sdwa v8, v23, v17 dst_sel:DWORD dst_unused:UNUSED_PAD src0_sel:DWORD src1_sel:WORD_1
	v_add_u32_e32 v7, 6, v7
	v_cmp_eq_u32_e32 vcc, 1, v8
	v_cndmask_b32_e32 v6, v7, v6, vcc
	v_add_u32_e32 v44, v43, v44
	v_lshlrev_b32_e32 v6, 1, v6
	ds_write_b16 v6, v9
	v_sub_u32_e32 v6, v44, v11
	v_sub_u32_e32 v7, v26, v6
	v_and_b32_e32 v8, 1, v32
	v_add_u32_e32 v7, 7, v7
	v_cmp_eq_u32_e32 vcc, 1, v8
	v_cndmask_b32_e32 v6, v7, v6, vcc
	v_add_u32_e32 v47, v44, v32
	v_lshlrev_b32_e32 v6, 1, v6
	ds_write_b16_d16_hi v6, v9
	v_sub_u32_e32 v6, v47, v11
	v_sub_u32_e32 v7, v26, v6
	v_and_b32_e32 v8, 1, v14
	v_add_u32_e32 v7, 8, v7
	v_cmp_eq_u32_e32 vcc, 1, v8
	v_cndmask_b32_e32 v6, v7, v6, vcc
	v_add_u32_e32 v39, v47, v39
	v_lshlrev_b32_e32 v6, 1, v6
	v_lshrrev_b32_e32 v20, 8, v14
	ds_write_b16 v6, v2
	v_sub_u32_e32 v6, v39, v11
	v_sub_u32_e32 v7, v26, v6
	v_and_b32_e32 v8, 1, v20
	v_add_u32_e32 v7, 9, v7
	v_cmp_eq_u32_e32 vcc, 1, v8
	v_cndmask_b32_e32 v6, v7, v6, vcc
	v_add_u32_e32 v40, v39, v40
	v_lshlrev_b32_e32 v6, 1, v6
	ds_write_b16_d16_hi v6, v2
	v_sub_u32_e32 v2, v40, v11
	v_sub_u32_e32 v6, v26, v2
	v_and_b32_sdwa v7, v23, v14 dst_sel:DWORD dst_unused:UNUSED_PAD src0_sel:DWORD src1_sel:WORD_1
	v_add_u32_e32 v6, 10, v6
	v_cmp_eq_u32_e32 vcc, 1, v7
	v_cndmask_b32_e32 v2, v6, v2, vcc
	v_add_u32_e32 v41, v40, v41
	v_lshlrev_b32_e32 v2, 1, v2
	ds_write_b16 v2, v3
	v_sub_u32_e32 v2, v41, v11
	v_sub_u32_e32 v6, v26, v2
	v_and_b32_e32 v7, 1, v31
	v_add_u32_e32 v6, 11, v6
	v_cmp_eq_u32_e32 vcc, 1, v7
	v_cndmask_b32_e32 v2, v6, v2, vcc
	v_add_u32_e32 v48, v41, v31
	v_lshlrev_b32_e32 v2, 1, v2
	ds_write_b16_d16_hi v2, v3
	v_sub_u32_e32 v2, v48, v11
	v_sub_u32_e32 v3, v26, v2
	v_and_b32_e32 v6, 1, v15
	v_add_u32_e32 v3, 12, v3
	v_cmp_eq_u32_e32 vcc, 1, v6
	v_cndmask_b32_e32 v2, v3, v2, vcc
	v_add_u32_e32 v36, v48, v36
	v_lshlrev_b32_e32 v2, 1, v2
	v_lshrrev_b32_e32 v19, 8, v15
	ds_write_b16 v2, v4
	v_sub_u32_e32 v2, v36, v11
	v_sub_u32_e32 v3, v26, v2
	v_and_b32_e32 v6, 1, v19
	v_add_u32_e32 v3, 13, v3
	v_cmp_eq_u32_e32 vcc, 1, v6
	v_cndmask_b32_e32 v2, v3, v2, vcc
	v_add_u32_e32 v37, v36, v37
	v_lshlrev_b32_e32 v2, 1, v2
	ds_write_b16_d16_hi v2, v4
	v_sub_u32_e32 v2, v37, v11
	v_sub_u32_e32 v3, v26, v2
	v_and_b32_sdwa v4, v23, v15 dst_sel:DWORD dst_unused:UNUSED_PAD src0_sel:DWORD src1_sel:WORD_1
	v_add_u32_e32 v3, 14, v3
	v_cmp_eq_u32_e32 vcc, 1, v4
	v_cndmask_b32_e32 v2, v3, v2, vcc
	v_add_u32_e32 v38, v37, v38
	v_lshlrev_b32_e32 v2, 1, v2
	ds_write_b16 v2, v5
	v_sub_u32_e32 v2, v38, v11
	v_sub_u32_e32 v3, v26, v2
	v_and_b32_e32 v4, 1, v30
	v_add_u32_e32 v3, 15, v3
	v_cmp_eq_u32_e32 vcc, 1, v4
	v_cndmask_b32_e32 v2, v3, v2, vcc
	v_add_u32_e32 v49, v38, v30
	v_lshlrev_b32_e32 v2, 1, v2
	ds_write_b16_d16_hi v2, v5
	v_sub_u32_e32 v2, v49, v11
	v_sub_u32_e32 v3, v26, v2
	v_and_b32_e32 v4, 1, v28
	v_add_u32_e32 v3, 16, v3
	v_cmp_eq_u32_e32 vcc, 1, v4
	v_cndmask_b32_e32 v2, v3, v2, vcc
	v_add_u32_e32 v34, v49, v34
	v_lshlrev_b32_e32 v2, 1, v2
	v_lshrrev_b32_e32 v18, 8, v28
	ds_write_b16 v2, v12
	v_sub_u32_e32 v2, v34, v11
	v_sub_u32_e32 v3, v26, v2
	v_and_b32_e32 v4, 1, v18
	v_add_u32_e32 v3, 17, v3
	v_cmp_eq_u32_e32 vcc, 1, v4
	v_cndmask_b32_e32 v2, v3, v2, vcc
	v_add_u32_e32 v35, v34, v35
	v_lshlrev_b32_e32 v2, 1, v2
	ds_write_b16_d16_hi v2, v12
	v_sub_u32_e32 v2, v35, v11
	v_sub_u32_e32 v3, v26, v2
	v_and_b32_sdwa v4, v23, v28 dst_sel:DWORD dst_unused:UNUSED_PAD src0_sel:DWORD src1_sel:WORD_1
	v_add_u32_e32 v3, 18, v3
	v_cmp_eq_u32_e32 vcc, 1, v4
	v_cndmask_b32_e32 v2, v3, v2, vcc
	v_lshlrev_b32_e32 v2, 1, v2
	ds_write_b16 v2, v13
	v_sub_u32_e32 v2, v29, v11
	v_add_u32_e32 v2, v35, v2
	v_sub_u32_e32 v3, v26, v2
	v_and_b32_e32 v4, 1, v27
	v_add_u32_e32 v3, 19, v3
	v_cmp_eq_u32_e32 vcc, 1, v4
	v_cndmask_b32_e32 v2, v3, v2, vcc
	v_lshlrev_b32_e32 v2, 1, v2
	ds_write_b16_d16_hi v2, v13
	s_waitcnt lgkmcnt(0)
	s_barrier
	ds_read_u16 v47, v1
	ds_read_u16 v45, v1 offset:512
	ds_read_u16 v43, v1 offset:1024
	;; [unrolled: 1-line block ×19, first 2 shown]
	s_add_u32 s0, s26, s24
	s_addc_u32 s1, s27, 0
	v_mov_b32_e32 v2, s31
	v_add_co_u32_e32 v1, vcc, s30, v11
	s_sub_u32 s0, s28, s0
	v_addc_co_u32_e32 v4, vcc, 0, v2, vcc
	s_subb_u32 s1, s29, s1
	v_mov_b32_e32 v2, s1
	v_add_co_u32_e32 v3, vcc, s0, v10
	v_addc_co_u32_e32 v2, vcc, 0, v2, vcc
	v_add_co_u32_e64 v7, s[0:1], v3, v1
	v_or_b32_e32 v46, 0x100, v0
	v_or_b32_e32 v44, 0x200, v0
	;; [unrolled: 1-line block ×19, first 2 shown]
	s_andn2_b64 vcc, exec, s[34:35]
	v_addc_co_u32_e64 v8, s[0:1], v2, v4, s[0:1]
	s_cbranch_vccnz .LBB274_211
; %bb.130:
	v_cmp_ge_u32_e32 vcc, v0, v10
                                        ; implicit-def: $vgpr2_vgpr3
	s_and_saveexec_b64 s[0:1], vcc
	s_xor_b64 s[0:1], exec, s[0:1]
; %bb.131:
	v_not_b32_e32 v2, v0
	v_ashrrev_i32_e32 v3, 31, v2
	v_add_co_u32_e32 v2, vcc, v7, v2
	v_addc_co_u32_e32 v3, vcc, v8, v3, vcc
; %bb.132:
	s_andn2_saveexec_b64 s[0:1], s[0:1]
; %bb.133:
	v_add_co_u32_e32 v2, vcc, v1, v0
	v_addc_co_u32_e32 v3, vcc, 0, v4, vcc
; %bb.134:
	s_or_b64 exec, exec, s[0:1]
	v_lshlrev_b64 v[2:3], 1, v[2:3]
	v_mov_b32_e32 v11, s5
	v_add_co_u32_e32 v2, vcc, s4, v2
	v_addc_co_u32_e32 v3, vcc, v11, v3, vcc
	v_cmp_ge_u32_e32 vcc, v46, v10
	s_waitcnt lgkmcnt(14)
	global_store_short v[2:3], v47, off
                                        ; implicit-def: $vgpr2_vgpr3
	s_and_saveexec_b64 s[0:1], vcc
	s_xor_b64 s[0:1], exec, s[0:1]
; %bb.135:
	v_xor_b32_e32 v2, 0xfffffeff, v0
	v_ashrrev_i32_e32 v3, 31, v2
	v_add_co_u32_e32 v2, vcc, v7, v2
	v_addc_co_u32_e32 v3, vcc, v8, v3, vcc
; %bb.136:
	s_andn2_saveexec_b64 s[0:1], s[0:1]
; %bb.137:
	v_add_co_u32_e32 v2, vcc, v1, v46
	v_addc_co_u32_e32 v3, vcc, 0, v4, vcc
; %bb.138:
	s_or_b64 exec, exec, s[0:1]
	v_lshlrev_b64 v[2:3], 1, v[2:3]
	v_mov_b32_e32 v11, s5
	v_add_co_u32_e32 v2, vcc, s4, v2
	v_addc_co_u32_e32 v3, vcc, v11, v3, vcc
	v_cmp_ge_u32_e32 vcc, v44, v10
	global_store_short v[2:3], v45, off
                                        ; implicit-def: $vgpr2_vgpr3
	s_and_saveexec_b64 s[0:1], vcc
	s_xor_b64 s[0:1], exec, s[0:1]
; %bb.139:
	v_xor_b32_e32 v2, 0xfffffdff, v0
	v_ashrrev_i32_e32 v3, 31, v2
	v_add_co_u32_e32 v2, vcc, v7, v2
	v_addc_co_u32_e32 v3, vcc, v8, v3, vcc
; %bb.140:
	s_andn2_saveexec_b64 s[0:1], s[0:1]
; %bb.141:
	v_add_co_u32_e32 v2, vcc, v1, v44
	v_addc_co_u32_e32 v3, vcc, 0, v4, vcc
; %bb.142:
	s_or_b64 exec, exec, s[0:1]
	v_lshlrev_b64 v[2:3], 1, v[2:3]
	v_mov_b32_e32 v11, s5
	v_add_co_u32_e32 v2, vcc, s4, v2
	v_addc_co_u32_e32 v3, vcc, v11, v3, vcc
	v_cmp_ge_u32_e32 vcc, v42, v10
	;; [unrolled: 21-line block ×6, first 2 shown]
	s_waitcnt lgkmcnt(13)
	global_store_short v[2:3], v35, off
                                        ; implicit-def: $vgpr2_vgpr3
	s_and_saveexec_b64 s[0:1], vcc
	s_xor_b64 s[0:1], exec, s[0:1]
; %bb.159:
	v_xor_b32_e32 v2, 0xfffff8ff, v0
	v_ashrrev_i32_e32 v3, 31, v2
	v_add_co_u32_e32 v2, vcc, v7, v2
	v_addc_co_u32_e32 v3, vcc, v8, v3, vcc
; %bb.160:
	s_andn2_saveexec_b64 s[0:1], s[0:1]
; %bb.161:
	v_add_co_u32_e32 v2, vcc, v1, v34
	v_addc_co_u32_e32 v3, vcc, 0, v4, vcc
; %bb.162:
	s_or_b64 exec, exec, s[0:1]
	v_lshlrev_b64 v[2:3], 1, v[2:3]
	v_mov_b32_e32 v11, s5
	v_add_co_u32_e32 v2, vcc, s4, v2
	v_addc_co_u32_e32 v3, vcc, v11, v3, vcc
	v_cmp_ge_u32_e32 vcc, v32, v10
	s_waitcnt lgkmcnt(12)
	global_store_short v[2:3], v33, off
                                        ; implicit-def: $vgpr2_vgpr3
	s_and_saveexec_b64 s[0:1], vcc
	s_xor_b64 s[0:1], exec, s[0:1]
; %bb.163:
	v_xor_b32_e32 v2, 0xfffff7ff, v0
	v_ashrrev_i32_e32 v3, 31, v2
	v_add_co_u32_e32 v2, vcc, v7, v2
	v_addc_co_u32_e32 v3, vcc, v8, v3, vcc
; %bb.164:
	s_andn2_saveexec_b64 s[0:1], s[0:1]
; %bb.165:
	v_add_co_u32_e32 v2, vcc, v1, v32
	v_addc_co_u32_e32 v3, vcc, 0, v4, vcc
; %bb.166:
	s_or_b64 exec, exec, s[0:1]
	v_lshlrev_b64 v[2:3], 1, v[2:3]
	v_mov_b32_e32 v11, s5
	v_add_co_u32_e32 v2, vcc, s4, v2
	v_addc_co_u32_e32 v3, vcc, v11, v3, vcc
	v_cmp_ge_u32_e32 vcc, v30, v10
	;; [unrolled: 22-line block ×12, first 2 shown]
	s_waitcnt lgkmcnt(1)
	global_store_short v[2:3], v9, off
                                        ; implicit-def: $vgpr2_vgpr3
	s_and_saveexec_b64 s[0:1], vcc
	s_xor_b64 s[0:1], exec, s[0:1]
; %bb.207:
	v_xor_b32_e32 v2, 0xffffecff, v0
	v_ashrrev_i32_e32 v3, 31, v2
	v_add_co_u32_e32 v2, vcc, v7, v2
	v_addc_co_u32_e32 v3, vcc, v8, v3, vcc
; %bb.208:
	s_andn2_saveexec_b64 s[0:1], s[0:1]
; %bb.209:
	v_add_co_u32_e32 v2, vcc, v1, v6
	v_addc_co_u32_e32 v3, vcc, 0, v4, vcc
; %bb.210:
	s_or_b64 exec, exec, s[0:1]
	s_mov_b64 s[0:1], -1
	s_branch .LBB274_333
.LBB274_211:
	s_mov_b64 s[0:1], 0
                                        ; implicit-def: $vgpr2_vgpr3
	s_cbranch_execz .LBB274_333
; %bb.212:
	v_cmp_gt_u32_e32 vcc, s33, v0
	s_and_saveexec_b64 s[2:3], vcc
	s_cbranch_execz .LBB274_268
; %bb.213:
	v_cmp_ge_u32_e32 vcc, v0, v10
                                        ; implicit-def: $vgpr2_vgpr3
	s_and_saveexec_b64 s[6:7], vcc
	s_xor_b64 s[6:7], exec, s[6:7]
; %bb.214:
	v_not_b32_e32 v2, v0
	v_ashrrev_i32_e32 v3, 31, v2
	v_add_co_u32_e32 v2, vcc, v7, v2
	v_addc_co_u32_e32 v3, vcc, v8, v3, vcc
; %bb.215:
	s_andn2_saveexec_b64 s[6:7], s[6:7]
; %bb.216:
	v_add_co_u32_e32 v2, vcc, v1, v0
	v_addc_co_u32_e32 v3, vcc, 0, v4, vcc
; %bb.217:
	s_or_b64 exec, exec, s[6:7]
	v_lshlrev_b64 v[2:3], 1, v[2:3]
	v_mov_b32_e32 v11, s5
	v_add_co_u32_e32 v2, vcc, s4, v2
	v_addc_co_u32_e32 v3, vcc, v11, v3, vcc
	s_waitcnt lgkmcnt(14)
	global_store_short v[2:3], v47, off
	s_or_b64 exec, exec, s[2:3]
	v_cmp_gt_u32_e32 vcc, s33, v46
	s_and_saveexec_b64 s[2:3], vcc
	s_cbranch_execnz .LBB274_269
.LBB274_218:
	s_or_b64 exec, exec, s[2:3]
	v_cmp_gt_u32_e32 vcc, s33, v44
	s_and_saveexec_b64 s[2:3], vcc
	s_cbranch_execz .LBB274_274
.LBB274_219:
	v_cmp_ge_u32_e32 vcc, v44, v10
                                        ; implicit-def: $vgpr2_vgpr3
	s_and_saveexec_b64 s[6:7], vcc
	s_xor_b64 s[6:7], exec, s[6:7]
; %bb.220:
	v_xor_b32_e32 v2, 0xfffffdff, v0
	v_ashrrev_i32_e32 v3, 31, v2
	v_add_co_u32_e32 v2, vcc, v7, v2
	v_addc_co_u32_e32 v3, vcc, v8, v3, vcc
                                        ; implicit-def: $vgpr44
; %bb.221:
	s_andn2_saveexec_b64 s[6:7], s[6:7]
; %bb.222:
	v_add_co_u32_e32 v2, vcc, v1, v44
	v_addc_co_u32_e32 v3, vcc, 0, v4, vcc
; %bb.223:
	s_or_b64 exec, exec, s[6:7]
	v_lshlrev_b64 v[2:3], 1, v[2:3]
	v_mov_b32_e32 v11, s5
	v_add_co_u32_e32 v2, vcc, s4, v2
	v_addc_co_u32_e32 v3, vcc, v11, v3, vcc
	s_waitcnt lgkmcnt(14)
	global_store_short v[2:3], v43, off
	s_or_b64 exec, exec, s[2:3]
	v_cmp_gt_u32_e32 vcc, s33, v42
	s_and_saveexec_b64 s[2:3], vcc
	s_cbranch_execnz .LBB274_275
.LBB274_224:
	s_or_b64 exec, exec, s[2:3]
	v_cmp_gt_u32_e32 vcc, s33, v40
	s_and_saveexec_b64 s[2:3], vcc
	s_cbranch_execz .LBB274_280
.LBB274_225:
	v_cmp_ge_u32_e32 vcc, v40, v10
                                        ; implicit-def: $vgpr2_vgpr3
	s_and_saveexec_b64 s[6:7], vcc
	s_xor_b64 s[6:7], exec, s[6:7]
; %bb.226:
	v_xor_b32_e32 v2, 0xfffffbff, v0
	v_ashrrev_i32_e32 v3, 31, v2
	v_add_co_u32_e32 v2, vcc, v7, v2
	v_addc_co_u32_e32 v3, vcc, v8, v3, vcc
                                        ; implicit-def: $vgpr40
; %bb.227:
	s_andn2_saveexec_b64 s[6:7], s[6:7]
; %bb.228:
	v_add_co_u32_e32 v2, vcc, v1, v40
	v_addc_co_u32_e32 v3, vcc, 0, v4, vcc
; %bb.229:
	s_or_b64 exec, exec, s[6:7]
	v_lshlrev_b64 v[2:3], 1, v[2:3]
	v_mov_b32_e32 v11, s5
	v_add_co_u32_e32 v2, vcc, s4, v2
	v_addc_co_u32_e32 v3, vcc, v11, v3, vcc
	s_waitcnt lgkmcnt(14)
	global_store_short v[2:3], v39, off
	s_or_b64 exec, exec, s[2:3]
	v_cmp_gt_u32_e32 vcc, s33, v38
	s_and_saveexec_b64 s[2:3], vcc
	s_cbranch_execnz .LBB274_281
.LBB274_230:
	s_or_b64 exec, exec, s[2:3]
	v_cmp_gt_u32_e32 vcc, s33, v36
	s_and_saveexec_b64 s[2:3], vcc
	s_cbranch_execz .LBB274_286
.LBB274_231:
	v_cmp_ge_u32_e32 vcc, v36, v10
                                        ; implicit-def: $vgpr2_vgpr3
	s_and_saveexec_b64 s[6:7], vcc
	s_xor_b64 s[6:7], exec, s[6:7]
; %bb.232:
	v_xor_b32_e32 v2, 0xfffff9ff, v0
	v_ashrrev_i32_e32 v3, 31, v2
	v_add_co_u32_e32 v2, vcc, v7, v2
	v_addc_co_u32_e32 v3, vcc, v8, v3, vcc
                                        ; implicit-def: $vgpr36
; %bb.233:
	s_andn2_saveexec_b64 s[6:7], s[6:7]
; %bb.234:
	v_add_co_u32_e32 v2, vcc, v1, v36
	v_addc_co_u32_e32 v3, vcc, 0, v4, vcc
; %bb.235:
	s_or_b64 exec, exec, s[6:7]
	v_lshlrev_b64 v[2:3], 1, v[2:3]
	v_mov_b32_e32 v11, s5
	v_add_co_u32_e32 v2, vcc, s4, v2
	v_addc_co_u32_e32 v3, vcc, v11, v3, vcc
	s_waitcnt lgkmcnt(13)
	global_store_short v[2:3], v35, off
	s_or_b64 exec, exec, s[2:3]
	v_cmp_gt_u32_e32 vcc, s33, v34
	s_and_saveexec_b64 s[2:3], vcc
	s_cbranch_execnz .LBB274_287
.LBB274_236:
	s_or_b64 exec, exec, s[2:3]
	v_cmp_gt_u32_e32 vcc, s33, v32
	s_and_saveexec_b64 s[2:3], vcc
	s_cbranch_execz .LBB274_292
.LBB274_237:
	v_cmp_ge_u32_e32 vcc, v32, v10
                                        ; implicit-def: $vgpr2_vgpr3
	s_and_saveexec_b64 s[6:7], vcc
	s_xor_b64 s[6:7], exec, s[6:7]
; %bb.238:
	v_xor_b32_e32 v2, 0xfffff7ff, v0
	v_ashrrev_i32_e32 v3, 31, v2
	v_add_co_u32_e32 v2, vcc, v7, v2
	v_addc_co_u32_e32 v3, vcc, v8, v3, vcc
                                        ; implicit-def: $vgpr32
; %bb.239:
	s_andn2_saveexec_b64 s[6:7], s[6:7]
; %bb.240:
	v_add_co_u32_e32 v2, vcc, v1, v32
	v_addc_co_u32_e32 v3, vcc, 0, v4, vcc
; %bb.241:
	s_or_b64 exec, exec, s[6:7]
	v_lshlrev_b64 v[2:3], 1, v[2:3]
	v_mov_b32_e32 v11, s5
	v_add_co_u32_e32 v2, vcc, s4, v2
	v_addc_co_u32_e32 v3, vcc, v11, v3, vcc
	s_waitcnt lgkmcnt(11)
	global_store_short v[2:3], v31, off
	s_or_b64 exec, exec, s[2:3]
	v_cmp_gt_u32_e32 vcc, s33, v30
	s_and_saveexec_b64 s[2:3], vcc
	s_cbranch_execnz .LBB274_293
.LBB274_242:
	s_or_b64 exec, exec, s[2:3]
	v_cmp_gt_u32_e32 vcc, s33, v28
	s_and_saveexec_b64 s[2:3], vcc
	s_cbranch_execz .LBB274_298
.LBB274_243:
	v_cmp_ge_u32_e32 vcc, v28, v10
                                        ; implicit-def: $vgpr2_vgpr3
	s_and_saveexec_b64 s[6:7], vcc
	s_xor_b64 s[6:7], exec, s[6:7]
; %bb.244:
	v_xor_b32_e32 v2, 0xfffff5ff, v0
	v_ashrrev_i32_e32 v3, 31, v2
	v_add_co_u32_e32 v2, vcc, v7, v2
	v_addc_co_u32_e32 v3, vcc, v8, v3, vcc
                                        ; implicit-def: $vgpr28
; %bb.245:
	s_andn2_saveexec_b64 s[6:7], s[6:7]
; %bb.246:
	v_add_co_u32_e32 v2, vcc, v1, v28
	v_addc_co_u32_e32 v3, vcc, 0, v4, vcc
; %bb.247:
	s_or_b64 exec, exec, s[6:7]
	v_lshlrev_b64 v[2:3], 1, v[2:3]
	v_mov_b32_e32 v11, s5
	v_add_co_u32_e32 v2, vcc, s4, v2
	v_addc_co_u32_e32 v3, vcc, v11, v3, vcc
	s_waitcnt lgkmcnt(9)
	global_store_short v[2:3], v27, off
	s_or_b64 exec, exec, s[2:3]
	v_cmp_gt_u32_e32 vcc, s33, v26
	s_and_saveexec_b64 s[2:3], vcc
	s_cbranch_execnz .LBB274_299
.LBB274_248:
	s_or_b64 exec, exec, s[2:3]
	v_cmp_gt_u32_e32 vcc, s33, v24
	s_and_saveexec_b64 s[2:3], vcc
	s_cbranch_execz .LBB274_304
.LBB274_249:
	v_cmp_ge_u32_e32 vcc, v24, v10
                                        ; implicit-def: $vgpr2_vgpr3
	s_and_saveexec_b64 s[6:7], vcc
	s_xor_b64 s[6:7], exec, s[6:7]
; %bb.250:
	v_xor_b32_e32 v2, 0xfffff3ff, v0
	v_ashrrev_i32_e32 v3, 31, v2
	v_add_co_u32_e32 v2, vcc, v7, v2
	v_addc_co_u32_e32 v3, vcc, v8, v3, vcc
                                        ; implicit-def: $vgpr24
; %bb.251:
	s_andn2_saveexec_b64 s[6:7], s[6:7]
; %bb.252:
	v_add_co_u32_e32 v2, vcc, v1, v24
	v_addc_co_u32_e32 v3, vcc, 0, v4, vcc
; %bb.253:
	s_or_b64 exec, exec, s[6:7]
	v_lshlrev_b64 v[2:3], 1, v[2:3]
	v_mov_b32_e32 v11, s5
	v_add_co_u32_e32 v2, vcc, s4, v2
	v_addc_co_u32_e32 v3, vcc, v11, v3, vcc
	s_waitcnt lgkmcnt(7)
	global_store_short v[2:3], v23, off
	s_or_b64 exec, exec, s[2:3]
	v_cmp_gt_u32_e32 vcc, s33, v22
	s_and_saveexec_b64 s[2:3], vcc
	s_cbranch_execnz .LBB274_305
.LBB274_254:
	s_or_b64 exec, exec, s[2:3]
	v_cmp_gt_u32_e32 vcc, s33, v20
	s_and_saveexec_b64 s[2:3], vcc
	s_cbranch_execz .LBB274_310
.LBB274_255:
	v_cmp_ge_u32_e32 vcc, v20, v10
                                        ; implicit-def: $vgpr2_vgpr3
	s_and_saveexec_b64 s[6:7], vcc
	s_xor_b64 s[6:7], exec, s[6:7]
; %bb.256:
	v_xor_b32_e32 v2, 0xfffff1ff, v0
	v_ashrrev_i32_e32 v3, 31, v2
	v_add_co_u32_e32 v2, vcc, v7, v2
	v_addc_co_u32_e32 v3, vcc, v8, v3, vcc
                                        ; implicit-def: $vgpr20
; %bb.257:
	s_andn2_saveexec_b64 s[6:7], s[6:7]
; %bb.258:
	v_add_co_u32_e32 v2, vcc, v1, v20
	v_addc_co_u32_e32 v3, vcc, 0, v4, vcc
; %bb.259:
	s_or_b64 exec, exec, s[6:7]
	v_lshlrev_b64 v[2:3], 1, v[2:3]
	v_mov_b32_e32 v11, s5
	v_add_co_u32_e32 v2, vcc, s4, v2
	v_addc_co_u32_e32 v3, vcc, v11, v3, vcc
	s_waitcnt lgkmcnt(5)
	global_store_short v[2:3], v19, off
	s_or_b64 exec, exec, s[2:3]
	v_cmp_gt_u32_e32 vcc, s33, v18
	s_and_saveexec_b64 s[2:3], vcc
	s_cbranch_execnz .LBB274_311
.LBB274_260:
	s_or_b64 exec, exec, s[2:3]
	v_cmp_gt_u32_e32 vcc, s33, v16
	s_and_saveexec_b64 s[2:3], vcc
	s_cbranch_execz .LBB274_316
.LBB274_261:
	v_cmp_ge_u32_e32 vcc, v16, v10
                                        ; implicit-def: $vgpr2_vgpr3
	s_and_saveexec_b64 s[6:7], vcc
	s_xor_b64 s[6:7], exec, s[6:7]
; %bb.262:
	v_xor_b32_e32 v2, 0xffffefff, v0
	v_ashrrev_i32_e32 v3, 31, v2
	v_add_co_u32_e32 v2, vcc, v7, v2
	v_addc_co_u32_e32 v3, vcc, v8, v3, vcc
                                        ; implicit-def: $vgpr16
; %bb.263:
	s_andn2_saveexec_b64 s[6:7], s[6:7]
; %bb.264:
	v_add_co_u32_e32 v2, vcc, v1, v16
	v_addc_co_u32_e32 v3, vcc, 0, v4, vcc
; %bb.265:
	s_or_b64 exec, exec, s[6:7]
	v_lshlrev_b64 v[2:3], 1, v[2:3]
	v_mov_b32_e32 v11, s5
	v_add_co_u32_e32 v2, vcc, s4, v2
	v_addc_co_u32_e32 v3, vcc, v11, v3, vcc
	s_waitcnt lgkmcnt(3)
	global_store_short v[2:3], v15, off
	s_or_b64 exec, exec, s[2:3]
	v_cmp_gt_u32_e32 vcc, s33, v14
	s_and_saveexec_b64 s[2:3], vcc
	s_cbranch_execnz .LBB274_317
.LBB274_266:
	s_or_b64 exec, exec, s[2:3]
	v_cmp_gt_u32_e32 vcc, s33, v12
	s_and_saveexec_b64 s[2:3], vcc
	s_cbranch_execnz .LBB274_322
.LBB274_267:
	s_or_b64 exec, exec, s[2:3]
	v_cmp_gt_u32_e32 vcc, s33, v6
                                        ; implicit-def: $vgpr2_vgpr3
	s_and_saveexec_b64 s[2:3], vcc
	s_cbranch_execz .LBB274_332
	s_branch .LBB274_327
.LBB274_268:
	s_or_b64 exec, exec, s[2:3]
	v_cmp_gt_u32_e32 vcc, s33, v46
	s_and_saveexec_b64 s[2:3], vcc
	s_cbranch_execz .LBB274_218
.LBB274_269:
	v_cmp_ge_u32_e32 vcc, v46, v10
                                        ; implicit-def: $vgpr2_vgpr3
	s_and_saveexec_b64 s[6:7], vcc
	s_xor_b64 s[6:7], exec, s[6:7]
; %bb.270:
	v_xor_b32_e32 v2, 0xfffffeff, v0
	v_ashrrev_i32_e32 v3, 31, v2
	v_add_co_u32_e32 v2, vcc, v7, v2
	v_addc_co_u32_e32 v3, vcc, v8, v3, vcc
                                        ; implicit-def: $vgpr46
; %bb.271:
	s_andn2_saveexec_b64 s[6:7], s[6:7]
; %bb.272:
	v_add_co_u32_e32 v2, vcc, v1, v46
	v_addc_co_u32_e32 v3, vcc, 0, v4, vcc
; %bb.273:
	s_or_b64 exec, exec, s[6:7]
	v_lshlrev_b64 v[2:3], 1, v[2:3]
	v_mov_b32_e32 v11, s5
	v_add_co_u32_e32 v2, vcc, s4, v2
	v_addc_co_u32_e32 v3, vcc, v11, v3, vcc
	s_waitcnt lgkmcnt(14)
	global_store_short v[2:3], v45, off
	s_or_b64 exec, exec, s[2:3]
	v_cmp_gt_u32_e32 vcc, s33, v44
	s_and_saveexec_b64 s[2:3], vcc
	s_cbranch_execnz .LBB274_219
.LBB274_274:
	s_or_b64 exec, exec, s[2:3]
	v_cmp_gt_u32_e32 vcc, s33, v42
	s_and_saveexec_b64 s[2:3], vcc
	s_cbranch_execz .LBB274_224
.LBB274_275:
	v_cmp_ge_u32_e32 vcc, v42, v10
                                        ; implicit-def: $vgpr2_vgpr3
	s_and_saveexec_b64 s[6:7], vcc
	s_xor_b64 s[6:7], exec, s[6:7]
; %bb.276:
	v_xor_b32_e32 v2, 0xfffffcff, v0
	v_ashrrev_i32_e32 v3, 31, v2
	v_add_co_u32_e32 v2, vcc, v7, v2
	v_addc_co_u32_e32 v3, vcc, v8, v3, vcc
                                        ; implicit-def: $vgpr42
; %bb.277:
	s_andn2_saveexec_b64 s[6:7], s[6:7]
; %bb.278:
	v_add_co_u32_e32 v2, vcc, v1, v42
	v_addc_co_u32_e32 v3, vcc, 0, v4, vcc
; %bb.279:
	s_or_b64 exec, exec, s[6:7]
	v_lshlrev_b64 v[2:3], 1, v[2:3]
	v_mov_b32_e32 v11, s5
	v_add_co_u32_e32 v2, vcc, s4, v2
	v_addc_co_u32_e32 v3, vcc, v11, v3, vcc
	s_waitcnt lgkmcnt(14)
	global_store_short v[2:3], v41, off
	s_or_b64 exec, exec, s[2:3]
	v_cmp_gt_u32_e32 vcc, s33, v40
	s_and_saveexec_b64 s[2:3], vcc
	s_cbranch_execnz .LBB274_225
.LBB274_280:
	s_or_b64 exec, exec, s[2:3]
	v_cmp_gt_u32_e32 vcc, s33, v38
	s_and_saveexec_b64 s[2:3], vcc
	s_cbranch_execz .LBB274_230
.LBB274_281:
	v_cmp_ge_u32_e32 vcc, v38, v10
                                        ; implicit-def: $vgpr2_vgpr3
	s_and_saveexec_b64 s[6:7], vcc
	s_xor_b64 s[6:7], exec, s[6:7]
; %bb.282:
	v_xor_b32_e32 v2, 0xfffffaff, v0
	v_ashrrev_i32_e32 v3, 31, v2
	v_add_co_u32_e32 v2, vcc, v7, v2
	v_addc_co_u32_e32 v3, vcc, v8, v3, vcc
                                        ; implicit-def: $vgpr38
; %bb.283:
	s_andn2_saveexec_b64 s[6:7], s[6:7]
; %bb.284:
	v_add_co_u32_e32 v2, vcc, v1, v38
	v_addc_co_u32_e32 v3, vcc, 0, v4, vcc
; %bb.285:
	s_or_b64 exec, exec, s[6:7]
	v_lshlrev_b64 v[2:3], 1, v[2:3]
	v_mov_b32_e32 v11, s5
	v_add_co_u32_e32 v2, vcc, s4, v2
	v_addc_co_u32_e32 v3, vcc, v11, v3, vcc
	s_waitcnt lgkmcnt(14)
	global_store_short v[2:3], v37, off
	s_or_b64 exec, exec, s[2:3]
	v_cmp_gt_u32_e32 vcc, s33, v36
	s_and_saveexec_b64 s[2:3], vcc
	s_cbranch_execnz .LBB274_231
.LBB274_286:
	s_or_b64 exec, exec, s[2:3]
	v_cmp_gt_u32_e32 vcc, s33, v34
	s_and_saveexec_b64 s[2:3], vcc
	s_cbranch_execz .LBB274_236
.LBB274_287:
	v_cmp_ge_u32_e32 vcc, v34, v10
                                        ; implicit-def: $vgpr2_vgpr3
	s_and_saveexec_b64 s[6:7], vcc
	s_xor_b64 s[6:7], exec, s[6:7]
; %bb.288:
	v_xor_b32_e32 v2, 0xfffff8ff, v0
	v_ashrrev_i32_e32 v3, 31, v2
	v_add_co_u32_e32 v2, vcc, v7, v2
	v_addc_co_u32_e32 v3, vcc, v8, v3, vcc
                                        ; implicit-def: $vgpr34
; %bb.289:
	s_andn2_saveexec_b64 s[6:7], s[6:7]
; %bb.290:
	v_add_co_u32_e32 v2, vcc, v1, v34
	v_addc_co_u32_e32 v3, vcc, 0, v4, vcc
; %bb.291:
	s_or_b64 exec, exec, s[6:7]
	v_lshlrev_b64 v[2:3], 1, v[2:3]
	v_mov_b32_e32 v11, s5
	v_add_co_u32_e32 v2, vcc, s4, v2
	v_addc_co_u32_e32 v3, vcc, v11, v3, vcc
	s_waitcnt lgkmcnt(12)
	global_store_short v[2:3], v33, off
	s_or_b64 exec, exec, s[2:3]
	v_cmp_gt_u32_e32 vcc, s33, v32
	s_and_saveexec_b64 s[2:3], vcc
	s_cbranch_execnz .LBB274_237
.LBB274_292:
	s_or_b64 exec, exec, s[2:3]
	v_cmp_gt_u32_e32 vcc, s33, v30
	s_and_saveexec_b64 s[2:3], vcc
	s_cbranch_execz .LBB274_242
.LBB274_293:
	v_cmp_ge_u32_e32 vcc, v30, v10
                                        ; implicit-def: $vgpr2_vgpr3
	s_and_saveexec_b64 s[6:7], vcc
	s_xor_b64 s[6:7], exec, s[6:7]
; %bb.294:
	v_xor_b32_e32 v2, 0xfffff6ff, v0
	v_ashrrev_i32_e32 v3, 31, v2
	v_add_co_u32_e32 v2, vcc, v7, v2
	v_addc_co_u32_e32 v3, vcc, v8, v3, vcc
                                        ; implicit-def: $vgpr30
; %bb.295:
	s_andn2_saveexec_b64 s[6:7], s[6:7]
; %bb.296:
	v_add_co_u32_e32 v2, vcc, v1, v30
	v_addc_co_u32_e32 v3, vcc, 0, v4, vcc
; %bb.297:
	s_or_b64 exec, exec, s[6:7]
	v_lshlrev_b64 v[2:3], 1, v[2:3]
	v_mov_b32_e32 v11, s5
	v_add_co_u32_e32 v2, vcc, s4, v2
	v_addc_co_u32_e32 v3, vcc, v11, v3, vcc
	s_waitcnt lgkmcnt(10)
	global_store_short v[2:3], v29, off
	s_or_b64 exec, exec, s[2:3]
	v_cmp_gt_u32_e32 vcc, s33, v28
	s_and_saveexec_b64 s[2:3], vcc
	s_cbranch_execnz .LBB274_243
.LBB274_298:
	s_or_b64 exec, exec, s[2:3]
	v_cmp_gt_u32_e32 vcc, s33, v26
	s_and_saveexec_b64 s[2:3], vcc
	s_cbranch_execz .LBB274_248
.LBB274_299:
	v_cmp_ge_u32_e32 vcc, v26, v10
                                        ; implicit-def: $vgpr2_vgpr3
	s_and_saveexec_b64 s[6:7], vcc
	s_xor_b64 s[6:7], exec, s[6:7]
; %bb.300:
	v_xor_b32_e32 v2, 0xfffff4ff, v0
	v_ashrrev_i32_e32 v3, 31, v2
	v_add_co_u32_e32 v2, vcc, v7, v2
	v_addc_co_u32_e32 v3, vcc, v8, v3, vcc
                                        ; implicit-def: $vgpr26
; %bb.301:
	s_andn2_saveexec_b64 s[6:7], s[6:7]
; %bb.302:
	v_add_co_u32_e32 v2, vcc, v1, v26
	v_addc_co_u32_e32 v3, vcc, 0, v4, vcc
; %bb.303:
	s_or_b64 exec, exec, s[6:7]
	v_lshlrev_b64 v[2:3], 1, v[2:3]
	v_mov_b32_e32 v11, s5
	v_add_co_u32_e32 v2, vcc, s4, v2
	v_addc_co_u32_e32 v3, vcc, v11, v3, vcc
	s_waitcnt lgkmcnt(8)
	global_store_short v[2:3], v25, off
	s_or_b64 exec, exec, s[2:3]
	v_cmp_gt_u32_e32 vcc, s33, v24
	s_and_saveexec_b64 s[2:3], vcc
	s_cbranch_execnz .LBB274_249
.LBB274_304:
	s_or_b64 exec, exec, s[2:3]
	v_cmp_gt_u32_e32 vcc, s33, v22
	s_and_saveexec_b64 s[2:3], vcc
	s_cbranch_execz .LBB274_254
.LBB274_305:
	v_cmp_ge_u32_e32 vcc, v22, v10
                                        ; implicit-def: $vgpr2_vgpr3
	s_and_saveexec_b64 s[6:7], vcc
	s_xor_b64 s[6:7], exec, s[6:7]
; %bb.306:
	v_xor_b32_e32 v2, 0xfffff2ff, v0
	v_ashrrev_i32_e32 v3, 31, v2
	v_add_co_u32_e32 v2, vcc, v7, v2
	v_addc_co_u32_e32 v3, vcc, v8, v3, vcc
                                        ; implicit-def: $vgpr22
; %bb.307:
	s_andn2_saveexec_b64 s[6:7], s[6:7]
; %bb.308:
	v_add_co_u32_e32 v2, vcc, v1, v22
	v_addc_co_u32_e32 v3, vcc, 0, v4, vcc
; %bb.309:
	s_or_b64 exec, exec, s[6:7]
	v_lshlrev_b64 v[2:3], 1, v[2:3]
	v_mov_b32_e32 v11, s5
	v_add_co_u32_e32 v2, vcc, s4, v2
	v_addc_co_u32_e32 v3, vcc, v11, v3, vcc
	s_waitcnt lgkmcnt(6)
	global_store_short v[2:3], v21, off
	s_or_b64 exec, exec, s[2:3]
	v_cmp_gt_u32_e32 vcc, s33, v20
	s_and_saveexec_b64 s[2:3], vcc
	s_cbranch_execnz .LBB274_255
.LBB274_310:
	s_or_b64 exec, exec, s[2:3]
	v_cmp_gt_u32_e32 vcc, s33, v18
	s_and_saveexec_b64 s[2:3], vcc
	s_cbranch_execz .LBB274_260
.LBB274_311:
	v_cmp_ge_u32_e32 vcc, v18, v10
                                        ; implicit-def: $vgpr2_vgpr3
	s_and_saveexec_b64 s[6:7], vcc
	s_xor_b64 s[6:7], exec, s[6:7]
; %bb.312:
	v_xor_b32_e32 v2, 0xfffff0ff, v0
	v_ashrrev_i32_e32 v3, 31, v2
	v_add_co_u32_e32 v2, vcc, v7, v2
	v_addc_co_u32_e32 v3, vcc, v8, v3, vcc
                                        ; implicit-def: $vgpr18
; %bb.313:
	s_andn2_saveexec_b64 s[6:7], s[6:7]
; %bb.314:
	v_add_co_u32_e32 v2, vcc, v1, v18
	v_addc_co_u32_e32 v3, vcc, 0, v4, vcc
; %bb.315:
	s_or_b64 exec, exec, s[6:7]
	v_lshlrev_b64 v[2:3], 1, v[2:3]
	v_mov_b32_e32 v11, s5
	v_add_co_u32_e32 v2, vcc, s4, v2
	v_addc_co_u32_e32 v3, vcc, v11, v3, vcc
	s_waitcnt lgkmcnt(4)
	global_store_short v[2:3], v17, off
	s_or_b64 exec, exec, s[2:3]
	v_cmp_gt_u32_e32 vcc, s33, v16
	s_and_saveexec_b64 s[2:3], vcc
	s_cbranch_execnz .LBB274_261
.LBB274_316:
	s_or_b64 exec, exec, s[2:3]
	v_cmp_gt_u32_e32 vcc, s33, v14
	s_and_saveexec_b64 s[2:3], vcc
	s_cbranch_execz .LBB274_266
.LBB274_317:
	v_cmp_ge_u32_e32 vcc, v14, v10
                                        ; implicit-def: $vgpr2_vgpr3
	s_and_saveexec_b64 s[6:7], vcc
	s_xor_b64 s[6:7], exec, s[6:7]
; %bb.318:
	v_xor_b32_e32 v2, 0xffffeeff, v0
	v_ashrrev_i32_e32 v3, 31, v2
	v_add_co_u32_e32 v2, vcc, v7, v2
	v_addc_co_u32_e32 v3, vcc, v8, v3, vcc
                                        ; implicit-def: $vgpr14
; %bb.319:
	s_andn2_saveexec_b64 s[6:7], s[6:7]
; %bb.320:
	v_add_co_u32_e32 v2, vcc, v1, v14
	v_addc_co_u32_e32 v3, vcc, 0, v4, vcc
; %bb.321:
	s_or_b64 exec, exec, s[6:7]
	v_lshlrev_b64 v[2:3], 1, v[2:3]
	v_mov_b32_e32 v11, s5
	v_add_co_u32_e32 v2, vcc, s4, v2
	v_addc_co_u32_e32 v3, vcc, v11, v3, vcc
	s_waitcnt lgkmcnt(2)
	global_store_short v[2:3], v13, off
	s_or_b64 exec, exec, s[2:3]
	v_cmp_gt_u32_e32 vcc, s33, v12
	s_and_saveexec_b64 s[2:3], vcc
	s_cbranch_execz .LBB274_267
.LBB274_322:
	v_cmp_ge_u32_e32 vcc, v12, v10
                                        ; implicit-def: $vgpr2_vgpr3
	s_and_saveexec_b64 s[6:7], vcc
	s_xor_b64 s[6:7], exec, s[6:7]
; %bb.323:
	v_xor_b32_e32 v2, 0xffffedff, v0
	v_ashrrev_i32_e32 v3, 31, v2
	v_add_co_u32_e32 v2, vcc, v7, v2
	v_addc_co_u32_e32 v3, vcc, v8, v3, vcc
                                        ; implicit-def: $vgpr12
; %bb.324:
	s_andn2_saveexec_b64 s[6:7], s[6:7]
; %bb.325:
	v_add_co_u32_e32 v2, vcc, v1, v12
	v_addc_co_u32_e32 v3, vcc, 0, v4, vcc
; %bb.326:
	s_or_b64 exec, exec, s[6:7]
	v_lshlrev_b64 v[2:3], 1, v[2:3]
	v_mov_b32_e32 v11, s5
	v_add_co_u32_e32 v2, vcc, s4, v2
	v_addc_co_u32_e32 v3, vcc, v11, v3, vcc
	s_waitcnt lgkmcnt(1)
	global_store_short v[2:3], v9, off
	s_or_b64 exec, exec, s[2:3]
	v_cmp_gt_u32_e32 vcc, s33, v6
                                        ; implicit-def: $vgpr2_vgpr3
	s_and_saveexec_b64 s[2:3], vcc
	s_cbranch_execz .LBB274_332
.LBB274_327:
	v_cmp_ge_u32_e32 vcc, v6, v10
                                        ; implicit-def: $vgpr2_vgpr3
	s_and_saveexec_b64 s[6:7], vcc
	s_xor_b64 s[6:7], exec, s[6:7]
; %bb.328:
	v_xor_b32_e32 v2, 0xffffecff, v0
	v_ashrrev_i32_e32 v3, 31, v2
	v_add_co_u32_e32 v2, vcc, v7, v2
	v_addc_co_u32_e32 v3, vcc, v8, v3, vcc
                                        ; implicit-def: $vgpr6
; %bb.329:
	s_andn2_saveexec_b64 s[6:7], s[6:7]
; %bb.330:
	v_add_co_u32_e32 v2, vcc, v1, v6
	v_addc_co_u32_e32 v3, vcc, 0, v4, vcc
; %bb.331:
	s_or_b64 exec, exec, s[6:7]
	s_or_b64 s[0:1], s[0:1], exec
.LBB274_332:
	s_or_b64 exec, exec, s[2:3]
.LBB274_333:
	s_and_saveexec_b64 s[2:3], s[0:1]
	s_cbranch_execz .LBB274_335
; %bb.334:
	v_lshlrev_b64 v[2:3], 1, v[2:3]
	v_mov_b32_e32 v6, s5
	v_add_co_u32_e32 v2, vcc, s4, v2
	v_addc_co_u32_e32 v3, vcc, v6, v3, vcc
	s_waitcnt lgkmcnt(0)
	global_store_short v[2:3], v5, off
.LBB274_335:
	s_or_b64 exec, exec, s[2:3]
	v_cmp_eq_u32_e32 vcc, 0, v0
	s_and_b64 s[0:1], vcc, s[22:23]
	s_and_saveexec_b64 s[2:3], s[0:1]
	s_cbranch_execz .LBB274_337
; %bb.336:
	v_add_co_u32_e32 v0, vcc, v1, v10
	v_mov_b32_e32 v2, 0
	v_addc_co_u32_e32 v1, vcc, 0, v4, vcc
	global_store_dwordx2 v2, v[0:1], s[20:21]
.LBB274_337:
	s_endpgm
	.section	.rodata,"a",@progbits
	.p2align	6, 0x0
	.amdhsa_kernel _ZN7rocprim17ROCPRIM_400000_NS6detail17trampoline_kernelINS0_14default_configENS1_25partition_config_selectorILNS1_17partition_subalgoE2EsNS0_10empty_typeEbEEZZNS1_14partition_implILS5_2ELb0ES3_jN6thrust23THRUST_200600_302600_NS6detail15normal_iteratorINSA_7pointerIsNSA_11hip_rocprim3tagENSA_11use_defaultESG_EEEEPS6_NSA_18transform_iteratorI7is_evenIsENSC_INSA_10device_ptrIsEEEESG_SG_EENS0_5tupleIJPsSJ_EEENSR_IJSJ_SJ_EEES6_PlJS6_EEE10hipError_tPvRmT3_T4_T5_T6_T7_T9_mT8_P12ihipStream_tbDpT10_ENKUlT_T0_E_clISt17integral_constantIbLb1EES1E_IbLb0EEEEDaS1A_S1B_EUlS1A_E_NS1_11comp_targetILNS1_3genE4ELNS1_11target_archE910ELNS1_3gpuE8ELNS1_3repE0EEENS1_30default_config_static_selectorELNS0_4arch9wavefront6targetE1EEEvT1_
		.amdhsa_group_segment_fixed_size 10248
		.amdhsa_private_segment_fixed_size 0
		.amdhsa_kernarg_size 128
		.amdhsa_user_sgpr_count 6
		.amdhsa_user_sgpr_private_segment_buffer 1
		.amdhsa_user_sgpr_dispatch_ptr 0
		.amdhsa_user_sgpr_queue_ptr 0
		.amdhsa_user_sgpr_kernarg_segment_ptr 1
		.amdhsa_user_sgpr_dispatch_id 0
		.amdhsa_user_sgpr_flat_scratch_init 0
		.amdhsa_user_sgpr_kernarg_preload_length 0
		.amdhsa_user_sgpr_kernarg_preload_offset 0
		.amdhsa_user_sgpr_private_segment_size 0
		.amdhsa_uses_dynamic_stack 0
		.amdhsa_system_sgpr_private_segment_wavefront_offset 0
		.amdhsa_system_sgpr_workgroup_id_x 1
		.amdhsa_system_sgpr_workgroup_id_y 0
		.amdhsa_system_sgpr_workgroup_id_z 0
		.amdhsa_system_sgpr_workgroup_info 0
		.amdhsa_system_vgpr_workitem_id 0
		.amdhsa_next_free_vgpr 65
		.amdhsa_next_free_sgpr 46
		.amdhsa_accum_offset 68
		.amdhsa_reserve_vcc 1
		.amdhsa_reserve_flat_scratch 0
		.amdhsa_float_round_mode_32 0
		.amdhsa_float_round_mode_16_64 0
		.amdhsa_float_denorm_mode_32 3
		.amdhsa_float_denorm_mode_16_64 3
		.amdhsa_dx10_clamp 1
		.amdhsa_ieee_mode 1
		.amdhsa_fp16_overflow 0
		.amdhsa_tg_split 0
		.amdhsa_exception_fp_ieee_invalid_op 0
		.amdhsa_exception_fp_denorm_src 0
		.amdhsa_exception_fp_ieee_div_zero 0
		.amdhsa_exception_fp_ieee_overflow 0
		.amdhsa_exception_fp_ieee_underflow 0
		.amdhsa_exception_fp_ieee_inexact 0
		.amdhsa_exception_int_div_zero 0
	.end_amdhsa_kernel
	.section	.text._ZN7rocprim17ROCPRIM_400000_NS6detail17trampoline_kernelINS0_14default_configENS1_25partition_config_selectorILNS1_17partition_subalgoE2EsNS0_10empty_typeEbEEZZNS1_14partition_implILS5_2ELb0ES3_jN6thrust23THRUST_200600_302600_NS6detail15normal_iteratorINSA_7pointerIsNSA_11hip_rocprim3tagENSA_11use_defaultESG_EEEEPS6_NSA_18transform_iteratorI7is_evenIsENSC_INSA_10device_ptrIsEEEESG_SG_EENS0_5tupleIJPsSJ_EEENSR_IJSJ_SJ_EEES6_PlJS6_EEE10hipError_tPvRmT3_T4_T5_T6_T7_T9_mT8_P12ihipStream_tbDpT10_ENKUlT_T0_E_clISt17integral_constantIbLb1EES1E_IbLb0EEEEDaS1A_S1B_EUlS1A_E_NS1_11comp_targetILNS1_3genE4ELNS1_11target_archE910ELNS1_3gpuE8ELNS1_3repE0EEENS1_30default_config_static_selectorELNS0_4arch9wavefront6targetE1EEEvT1_,"axG",@progbits,_ZN7rocprim17ROCPRIM_400000_NS6detail17trampoline_kernelINS0_14default_configENS1_25partition_config_selectorILNS1_17partition_subalgoE2EsNS0_10empty_typeEbEEZZNS1_14partition_implILS5_2ELb0ES3_jN6thrust23THRUST_200600_302600_NS6detail15normal_iteratorINSA_7pointerIsNSA_11hip_rocprim3tagENSA_11use_defaultESG_EEEEPS6_NSA_18transform_iteratorI7is_evenIsENSC_INSA_10device_ptrIsEEEESG_SG_EENS0_5tupleIJPsSJ_EEENSR_IJSJ_SJ_EEES6_PlJS6_EEE10hipError_tPvRmT3_T4_T5_T6_T7_T9_mT8_P12ihipStream_tbDpT10_ENKUlT_T0_E_clISt17integral_constantIbLb1EES1E_IbLb0EEEEDaS1A_S1B_EUlS1A_E_NS1_11comp_targetILNS1_3genE4ELNS1_11target_archE910ELNS1_3gpuE8ELNS1_3repE0EEENS1_30default_config_static_selectorELNS0_4arch9wavefront6targetE1EEEvT1_,comdat
.Lfunc_end274:
	.size	_ZN7rocprim17ROCPRIM_400000_NS6detail17trampoline_kernelINS0_14default_configENS1_25partition_config_selectorILNS1_17partition_subalgoE2EsNS0_10empty_typeEbEEZZNS1_14partition_implILS5_2ELb0ES3_jN6thrust23THRUST_200600_302600_NS6detail15normal_iteratorINSA_7pointerIsNSA_11hip_rocprim3tagENSA_11use_defaultESG_EEEEPS6_NSA_18transform_iteratorI7is_evenIsENSC_INSA_10device_ptrIsEEEESG_SG_EENS0_5tupleIJPsSJ_EEENSR_IJSJ_SJ_EEES6_PlJS6_EEE10hipError_tPvRmT3_T4_T5_T6_T7_T9_mT8_P12ihipStream_tbDpT10_ENKUlT_T0_E_clISt17integral_constantIbLb1EES1E_IbLb0EEEEDaS1A_S1B_EUlS1A_E_NS1_11comp_targetILNS1_3genE4ELNS1_11target_archE910ELNS1_3gpuE8ELNS1_3repE0EEENS1_30default_config_static_selectorELNS0_4arch9wavefront6targetE1EEEvT1_, .Lfunc_end274-_ZN7rocprim17ROCPRIM_400000_NS6detail17trampoline_kernelINS0_14default_configENS1_25partition_config_selectorILNS1_17partition_subalgoE2EsNS0_10empty_typeEbEEZZNS1_14partition_implILS5_2ELb0ES3_jN6thrust23THRUST_200600_302600_NS6detail15normal_iteratorINSA_7pointerIsNSA_11hip_rocprim3tagENSA_11use_defaultESG_EEEEPS6_NSA_18transform_iteratorI7is_evenIsENSC_INSA_10device_ptrIsEEEESG_SG_EENS0_5tupleIJPsSJ_EEENSR_IJSJ_SJ_EEES6_PlJS6_EEE10hipError_tPvRmT3_T4_T5_T6_T7_T9_mT8_P12ihipStream_tbDpT10_ENKUlT_T0_E_clISt17integral_constantIbLb1EES1E_IbLb0EEEEDaS1A_S1B_EUlS1A_E_NS1_11comp_targetILNS1_3genE4ELNS1_11target_archE910ELNS1_3gpuE8ELNS1_3repE0EEENS1_30default_config_static_selectorELNS0_4arch9wavefront6targetE1EEEvT1_
                                        ; -- End function
	.section	.AMDGPU.csdata,"",@progbits
; Kernel info:
; codeLenInByte = 10832
; NumSgprs: 50
; NumVgprs: 65
; NumAgprs: 0
; TotalNumVgprs: 65
; ScratchSize: 0
; MemoryBound: 0
; FloatMode: 240
; IeeeMode: 1
; LDSByteSize: 10248 bytes/workgroup (compile time only)
; SGPRBlocks: 6
; VGPRBlocks: 8
; NumSGPRsForWavesPerEU: 50
; NumVGPRsForWavesPerEU: 65
; AccumOffset: 68
; Occupancy: 6
; WaveLimiterHint : 1
; COMPUTE_PGM_RSRC2:SCRATCH_EN: 0
; COMPUTE_PGM_RSRC2:USER_SGPR: 6
; COMPUTE_PGM_RSRC2:TRAP_HANDLER: 0
; COMPUTE_PGM_RSRC2:TGID_X_EN: 1
; COMPUTE_PGM_RSRC2:TGID_Y_EN: 0
; COMPUTE_PGM_RSRC2:TGID_Z_EN: 0
; COMPUTE_PGM_RSRC2:TIDIG_COMP_CNT: 0
; COMPUTE_PGM_RSRC3_GFX90A:ACCUM_OFFSET: 16
; COMPUTE_PGM_RSRC3_GFX90A:TG_SPLIT: 0
	.section	.text._ZN7rocprim17ROCPRIM_400000_NS6detail17trampoline_kernelINS0_14default_configENS1_25partition_config_selectorILNS1_17partition_subalgoE2EsNS0_10empty_typeEbEEZZNS1_14partition_implILS5_2ELb0ES3_jN6thrust23THRUST_200600_302600_NS6detail15normal_iteratorINSA_7pointerIsNSA_11hip_rocprim3tagENSA_11use_defaultESG_EEEEPS6_NSA_18transform_iteratorI7is_evenIsENSC_INSA_10device_ptrIsEEEESG_SG_EENS0_5tupleIJPsSJ_EEENSR_IJSJ_SJ_EEES6_PlJS6_EEE10hipError_tPvRmT3_T4_T5_T6_T7_T9_mT8_P12ihipStream_tbDpT10_ENKUlT_T0_E_clISt17integral_constantIbLb1EES1E_IbLb0EEEEDaS1A_S1B_EUlS1A_E_NS1_11comp_targetILNS1_3genE3ELNS1_11target_archE908ELNS1_3gpuE7ELNS1_3repE0EEENS1_30default_config_static_selectorELNS0_4arch9wavefront6targetE1EEEvT1_,"axG",@progbits,_ZN7rocprim17ROCPRIM_400000_NS6detail17trampoline_kernelINS0_14default_configENS1_25partition_config_selectorILNS1_17partition_subalgoE2EsNS0_10empty_typeEbEEZZNS1_14partition_implILS5_2ELb0ES3_jN6thrust23THRUST_200600_302600_NS6detail15normal_iteratorINSA_7pointerIsNSA_11hip_rocprim3tagENSA_11use_defaultESG_EEEEPS6_NSA_18transform_iteratorI7is_evenIsENSC_INSA_10device_ptrIsEEEESG_SG_EENS0_5tupleIJPsSJ_EEENSR_IJSJ_SJ_EEES6_PlJS6_EEE10hipError_tPvRmT3_T4_T5_T6_T7_T9_mT8_P12ihipStream_tbDpT10_ENKUlT_T0_E_clISt17integral_constantIbLb1EES1E_IbLb0EEEEDaS1A_S1B_EUlS1A_E_NS1_11comp_targetILNS1_3genE3ELNS1_11target_archE908ELNS1_3gpuE7ELNS1_3repE0EEENS1_30default_config_static_selectorELNS0_4arch9wavefront6targetE1EEEvT1_,comdat
	.protected	_ZN7rocprim17ROCPRIM_400000_NS6detail17trampoline_kernelINS0_14default_configENS1_25partition_config_selectorILNS1_17partition_subalgoE2EsNS0_10empty_typeEbEEZZNS1_14partition_implILS5_2ELb0ES3_jN6thrust23THRUST_200600_302600_NS6detail15normal_iteratorINSA_7pointerIsNSA_11hip_rocprim3tagENSA_11use_defaultESG_EEEEPS6_NSA_18transform_iteratorI7is_evenIsENSC_INSA_10device_ptrIsEEEESG_SG_EENS0_5tupleIJPsSJ_EEENSR_IJSJ_SJ_EEES6_PlJS6_EEE10hipError_tPvRmT3_T4_T5_T6_T7_T9_mT8_P12ihipStream_tbDpT10_ENKUlT_T0_E_clISt17integral_constantIbLb1EES1E_IbLb0EEEEDaS1A_S1B_EUlS1A_E_NS1_11comp_targetILNS1_3genE3ELNS1_11target_archE908ELNS1_3gpuE7ELNS1_3repE0EEENS1_30default_config_static_selectorELNS0_4arch9wavefront6targetE1EEEvT1_ ; -- Begin function _ZN7rocprim17ROCPRIM_400000_NS6detail17trampoline_kernelINS0_14default_configENS1_25partition_config_selectorILNS1_17partition_subalgoE2EsNS0_10empty_typeEbEEZZNS1_14partition_implILS5_2ELb0ES3_jN6thrust23THRUST_200600_302600_NS6detail15normal_iteratorINSA_7pointerIsNSA_11hip_rocprim3tagENSA_11use_defaultESG_EEEEPS6_NSA_18transform_iteratorI7is_evenIsENSC_INSA_10device_ptrIsEEEESG_SG_EENS0_5tupleIJPsSJ_EEENSR_IJSJ_SJ_EEES6_PlJS6_EEE10hipError_tPvRmT3_T4_T5_T6_T7_T9_mT8_P12ihipStream_tbDpT10_ENKUlT_T0_E_clISt17integral_constantIbLb1EES1E_IbLb0EEEEDaS1A_S1B_EUlS1A_E_NS1_11comp_targetILNS1_3genE3ELNS1_11target_archE908ELNS1_3gpuE7ELNS1_3repE0EEENS1_30default_config_static_selectorELNS0_4arch9wavefront6targetE1EEEvT1_
	.globl	_ZN7rocprim17ROCPRIM_400000_NS6detail17trampoline_kernelINS0_14default_configENS1_25partition_config_selectorILNS1_17partition_subalgoE2EsNS0_10empty_typeEbEEZZNS1_14partition_implILS5_2ELb0ES3_jN6thrust23THRUST_200600_302600_NS6detail15normal_iteratorINSA_7pointerIsNSA_11hip_rocprim3tagENSA_11use_defaultESG_EEEEPS6_NSA_18transform_iteratorI7is_evenIsENSC_INSA_10device_ptrIsEEEESG_SG_EENS0_5tupleIJPsSJ_EEENSR_IJSJ_SJ_EEES6_PlJS6_EEE10hipError_tPvRmT3_T4_T5_T6_T7_T9_mT8_P12ihipStream_tbDpT10_ENKUlT_T0_E_clISt17integral_constantIbLb1EES1E_IbLb0EEEEDaS1A_S1B_EUlS1A_E_NS1_11comp_targetILNS1_3genE3ELNS1_11target_archE908ELNS1_3gpuE7ELNS1_3repE0EEENS1_30default_config_static_selectorELNS0_4arch9wavefront6targetE1EEEvT1_
	.p2align	8
	.type	_ZN7rocprim17ROCPRIM_400000_NS6detail17trampoline_kernelINS0_14default_configENS1_25partition_config_selectorILNS1_17partition_subalgoE2EsNS0_10empty_typeEbEEZZNS1_14partition_implILS5_2ELb0ES3_jN6thrust23THRUST_200600_302600_NS6detail15normal_iteratorINSA_7pointerIsNSA_11hip_rocprim3tagENSA_11use_defaultESG_EEEEPS6_NSA_18transform_iteratorI7is_evenIsENSC_INSA_10device_ptrIsEEEESG_SG_EENS0_5tupleIJPsSJ_EEENSR_IJSJ_SJ_EEES6_PlJS6_EEE10hipError_tPvRmT3_T4_T5_T6_T7_T9_mT8_P12ihipStream_tbDpT10_ENKUlT_T0_E_clISt17integral_constantIbLb1EES1E_IbLb0EEEEDaS1A_S1B_EUlS1A_E_NS1_11comp_targetILNS1_3genE3ELNS1_11target_archE908ELNS1_3gpuE7ELNS1_3repE0EEENS1_30default_config_static_selectorELNS0_4arch9wavefront6targetE1EEEvT1_,@function
_ZN7rocprim17ROCPRIM_400000_NS6detail17trampoline_kernelINS0_14default_configENS1_25partition_config_selectorILNS1_17partition_subalgoE2EsNS0_10empty_typeEbEEZZNS1_14partition_implILS5_2ELb0ES3_jN6thrust23THRUST_200600_302600_NS6detail15normal_iteratorINSA_7pointerIsNSA_11hip_rocprim3tagENSA_11use_defaultESG_EEEEPS6_NSA_18transform_iteratorI7is_evenIsENSC_INSA_10device_ptrIsEEEESG_SG_EENS0_5tupleIJPsSJ_EEENSR_IJSJ_SJ_EEES6_PlJS6_EEE10hipError_tPvRmT3_T4_T5_T6_T7_T9_mT8_P12ihipStream_tbDpT10_ENKUlT_T0_E_clISt17integral_constantIbLb1EES1E_IbLb0EEEEDaS1A_S1B_EUlS1A_E_NS1_11comp_targetILNS1_3genE3ELNS1_11target_archE908ELNS1_3gpuE7ELNS1_3repE0EEENS1_30default_config_static_selectorELNS0_4arch9wavefront6targetE1EEEvT1_: ; @_ZN7rocprim17ROCPRIM_400000_NS6detail17trampoline_kernelINS0_14default_configENS1_25partition_config_selectorILNS1_17partition_subalgoE2EsNS0_10empty_typeEbEEZZNS1_14partition_implILS5_2ELb0ES3_jN6thrust23THRUST_200600_302600_NS6detail15normal_iteratorINSA_7pointerIsNSA_11hip_rocprim3tagENSA_11use_defaultESG_EEEEPS6_NSA_18transform_iteratorI7is_evenIsENSC_INSA_10device_ptrIsEEEESG_SG_EENS0_5tupleIJPsSJ_EEENSR_IJSJ_SJ_EEES6_PlJS6_EEE10hipError_tPvRmT3_T4_T5_T6_T7_T9_mT8_P12ihipStream_tbDpT10_ENKUlT_T0_E_clISt17integral_constantIbLb1EES1E_IbLb0EEEEDaS1A_S1B_EUlS1A_E_NS1_11comp_targetILNS1_3genE3ELNS1_11target_archE908ELNS1_3gpuE7ELNS1_3repE0EEENS1_30default_config_static_selectorELNS0_4arch9wavefront6targetE1EEEvT1_
; %bb.0:
	.section	.rodata,"a",@progbits
	.p2align	6, 0x0
	.amdhsa_kernel _ZN7rocprim17ROCPRIM_400000_NS6detail17trampoline_kernelINS0_14default_configENS1_25partition_config_selectorILNS1_17partition_subalgoE2EsNS0_10empty_typeEbEEZZNS1_14partition_implILS5_2ELb0ES3_jN6thrust23THRUST_200600_302600_NS6detail15normal_iteratorINSA_7pointerIsNSA_11hip_rocprim3tagENSA_11use_defaultESG_EEEEPS6_NSA_18transform_iteratorI7is_evenIsENSC_INSA_10device_ptrIsEEEESG_SG_EENS0_5tupleIJPsSJ_EEENSR_IJSJ_SJ_EEES6_PlJS6_EEE10hipError_tPvRmT3_T4_T5_T6_T7_T9_mT8_P12ihipStream_tbDpT10_ENKUlT_T0_E_clISt17integral_constantIbLb1EES1E_IbLb0EEEEDaS1A_S1B_EUlS1A_E_NS1_11comp_targetILNS1_3genE3ELNS1_11target_archE908ELNS1_3gpuE7ELNS1_3repE0EEENS1_30default_config_static_selectorELNS0_4arch9wavefront6targetE1EEEvT1_
		.amdhsa_group_segment_fixed_size 0
		.amdhsa_private_segment_fixed_size 0
		.amdhsa_kernarg_size 128
		.amdhsa_user_sgpr_count 6
		.amdhsa_user_sgpr_private_segment_buffer 1
		.amdhsa_user_sgpr_dispatch_ptr 0
		.amdhsa_user_sgpr_queue_ptr 0
		.amdhsa_user_sgpr_kernarg_segment_ptr 1
		.amdhsa_user_sgpr_dispatch_id 0
		.amdhsa_user_sgpr_flat_scratch_init 0
		.amdhsa_user_sgpr_kernarg_preload_length 0
		.amdhsa_user_sgpr_kernarg_preload_offset 0
		.amdhsa_user_sgpr_private_segment_size 0
		.amdhsa_uses_dynamic_stack 0
		.amdhsa_system_sgpr_private_segment_wavefront_offset 0
		.amdhsa_system_sgpr_workgroup_id_x 1
		.amdhsa_system_sgpr_workgroup_id_y 0
		.amdhsa_system_sgpr_workgroup_id_z 0
		.amdhsa_system_sgpr_workgroup_info 0
		.amdhsa_system_vgpr_workitem_id 0
		.amdhsa_next_free_vgpr 1
		.amdhsa_next_free_sgpr 0
		.amdhsa_accum_offset 4
		.amdhsa_reserve_vcc 0
		.amdhsa_reserve_flat_scratch 0
		.amdhsa_float_round_mode_32 0
		.amdhsa_float_round_mode_16_64 0
		.amdhsa_float_denorm_mode_32 3
		.amdhsa_float_denorm_mode_16_64 3
		.amdhsa_dx10_clamp 1
		.amdhsa_ieee_mode 1
		.amdhsa_fp16_overflow 0
		.amdhsa_tg_split 0
		.amdhsa_exception_fp_ieee_invalid_op 0
		.amdhsa_exception_fp_denorm_src 0
		.amdhsa_exception_fp_ieee_div_zero 0
		.amdhsa_exception_fp_ieee_overflow 0
		.amdhsa_exception_fp_ieee_underflow 0
		.amdhsa_exception_fp_ieee_inexact 0
		.amdhsa_exception_int_div_zero 0
	.end_amdhsa_kernel
	.section	.text._ZN7rocprim17ROCPRIM_400000_NS6detail17trampoline_kernelINS0_14default_configENS1_25partition_config_selectorILNS1_17partition_subalgoE2EsNS0_10empty_typeEbEEZZNS1_14partition_implILS5_2ELb0ES3_jN6thrust23THRUST_200600_302600_NS6detail15normal_iteratorINSA_7pointerIsNSA_11hip_rocprim3tagENSA_11use_defaultESG_EEEEPS6_NSA_18transform_iteratorI7is_evenIsENSC_INSA_10device_ptrIsEEEESG_SG_EENS0_5tupleIJPsSJ_EEENSR_IJSJ_SJ_EEES6_PlJS6_EEE10hipError_tPvRmT3_T4_T5_T6_T7_T9_mT8_P12ihipStream_tbDpT10_ENKUlT_T0_E_clISt17integral_constantIbLb1EES1E_IbLb0EEEEDaS1A_S1B_EUlS1A_E_NS1_11comp_targetILNS1_3genE3ELNS1_11target_archE908ELNS1_3gpuE7ELNS1_3repE0EEENS1_30default_config_static_selectorELNS0_4arch9wavefront6targetE1EEEvT1_,"axG",@progbits,_ZN7rocprim17ROCPRIM_400000_NS6detail17trampoline_kernelINS0_14default_configENS1_25partition_config_selectorILNS1_17partition_subalgoE2EsNS0_10empty_typeEbEEZZNS1_14partition_implILS5_2ELb0ES3_jN6thrust23THRUST_200600_302600_NS6detail15normal_iteratorINSA_7pointerIsNSA_11hip_rocprim3tagENSA_11use_defaultESG_EEEEPS6_NSA_18transform_iteratorI7is_evenIsENSC_INSA_10device_ptrIsEEEESG_SG_EENS0_5tupleIJPsSJ_EEENSR_IJSJ_SJ_EEES6_PlJS6_EEE10hipError_tPvRmT3_T4_T5_T6_T7_T9_mT8_P12ihipStream_tbDpT10_ENKUlT_T0_E_clISt17integral_constantIbLb1EES1E_IbLb0EEEEDaS1A_S1B_EUlS1A_E_NS1_11comp_targetILNS1_3genE3ELNS1_11target_archE908ELNS1_3gpuE7ELNS1_3repE0EEENS1_30default_config_static_selectorELNS0_4arch9wavefront6targetE1EEEvT1_,comdat
.Lfunc_end275:
	.size	_ZN7rocprim17ROCPRIM_400000_NS6detail17trampoline_kernelINS0_14default_configENS1_25partition_config_selectorILNS1_17partition_subalgoE2EsNS0_10empty_typeEbEEZZNS1_14partition_implILS5_2ELb0ES3_jN6thrust23THRUST_200600_302600_NS6detail15normal_iteratorINSA_7pointerIsNSA_11hip_rocprim3tagENSA_11use_defaultESG_EEEEPS6_NSA_18transform_iteratorI7is_evenIsENSC_INSA_10device_ptrIsEEEESG_SG_EENS0_5tupleIJPsSJ_EEENSR_IJSJ_SJ_EEES6_PlJS6_EEE10hipError_tPvRmT3_T4_T5_T6_T7_T9_mT8_P12ihipStream_tbDpT10_ENKUlT_T0_E_clISt17integral_constantIbLb1EES1E_IbLb0EEEEDaS1A_S1B_EUlS1A_E_NS1_11comp_targetILNS1_3genE3ELNS1_11target_archE908ELNS1_3gpuE7ELNS1_3repE0EEENS1_30default_config_static_selectorELNS0_4arch9wavefront6targetE1EEEvT1_, .Lfunc_end275-_ZN7rocprim17ROCPRIM_400000_NS6detail17trampoline_kernelINS0_14default_configENS1_25partition_config_selectorILNS1_17partition_subalgoE2EsNS0_10empty_typeEbEEZZNS1_14partition_implILS5_2ELb0ES3_jN6thrust23THRUST_200600_302600_NS6detail15normal_iteratorINSA_7pointerIsNSA_11hip_rocprim3tagENSA_11use_defaultESG_EEEEPS6_NSA_18transform_iteratorI7is_evenIsENSC_INSA_10device_ptrIsEEEESG_SG_EENS0_5tupleIJPsSJ_EEENSR_IJSJ_SJ_EEES6_PlJS6_EEE10hipError_tPvRmT3_T4_T5_T6_T7_T9_mT8_P12ihipStream_tbDpT10_ENKUlT_T0_E_clISt17integral_constantIbLb1EES1E_IbLb0EEEEDaS1A_S1B_EUlS1A_E_NS1_11comp_targetILNS1_3genE3ELNS1_11target_archE908ELNS1_3gpuE7ELNS1_3repE0EEENS1_30default_config_static_selectorELNS0_4arch9wavefront6targetE1EEEvT1_
                                        ; -- End function
	.section	.AMDGPU.csdata,"",@progbits
; Kernel info:
; codeLenInByte = 0
; NumSgprs: 4
; NumVgprs: 0
; NumAgprs: 0
; TotalNumVgprs: 0
; ScratchSize: 0
; MemoryBound: 0
; FloatMode: 240
; IeeeMode: 1
; LDSByteSize: 0 bytes/workgroup (compile time only)
; SGPRBlocks: 0
; VGPRBlocks: 0
; NumSGPRsForWavesPerEU: 4
; NumVGPRsForWavesPerEU: 1
; AccumOffset: 4
; Occupancy: 8
; WaveLimiterHint : 0
; COMPUTE_PGM_RSRC2:SCRATCH_EN: 0
; COMPUTE_PGM_RSRC2:USER_SGPR: 6
; COMPUTE_PGM_RSRC2:TRAP_HANDLER: 0
; COMPUTE_PGM_RSRC2:TGID_X_EN: 1
; COMPUTE_PGM_RSRC2:TGID_Y_EN: 0
; COMPUTE_PGM_RSRC2:TGID_Z_EN: 0
; COMPUTE_PGM_RSRC2:TIDIG_COMP_CNT: 0
; COMPUTE_PGM_RSRC3_GFX90A:ACCUM_OFFSET: 0
; COMPUTE_PGM_RSRC3_GFX90A:TG_SPLIT: 0
	.section	.text._ZN7rocprim17ROCPRIM_400000_NS6detail17trampoline_kernelINS0_14default_configENS1_25partition_config_selectorILNS1_17partition_subalgoE2EsNS0_10empty_typeEbEEZZNS1_14partition_implILS5_2ELb0ES3_jN6thrust23THRUST_200600_302600_NS6detail15normal_iteratorINSA_7pointerIsNSA_11hip_rocprim3tagENSA_11use_defaultESG_EEEEPS6_NSA_18transform_iteratorI7is_evenIsENSC_INSA_10device_ptrIsEEEESG_SG_EENS0_5tupleIJPsSJ_EEENSR_IJSJ_SJ_EEES6_PlJS6_EEE10hipError_tPvRmT3_T4_T5_T6_T7_T9_mT8_P12ihipStream_tbDpT10_ENKUlT_T0_E_clISt17integral_constantIbLb1EES1E_IbLb0EEEEDaS1A_S1B_EUlS1A_E_NS1_11comp_targetILNS1_3genE2ELNS1_11target_archE906ELNS1_3gpuE6ELNS1_3repE0EEENS1_30default_config_static_selectorELNS0_4arch9wavefront6targetE1EEEvT1_,"axG",@progbits,_ZN7rocprim17ROCPRIM_400000_NS6detail17trampoline_kernelINS0_14default_configENS1_25partition_config_selectorILNS1_17partition_subalgoE2EsNS0_10empty_typeEbEEZZNS1_14partition_implILS5_2ELb0ES3_jN6thrust23THRUST_200600_302600_NS6detail15normal_iteratorINSA_7pointerIsNSA_11hip_rocprim3tagENSA_11use_defaultESG_EEEEPS6_NSA_18transform_iteratorI7is_evenIsENSC_INSA_10device_ptrIsEEEESG_SG_EENS0_5tupleIJPsSJ_EEENSR_IJSJ_SJ_EEES6_PlJS6_EEE10hipError_tPvRmT3_T4_T5_T6_T7_T9_mT8_P12ihipStream_tbDpT10_ENKUlT_T0_E_clISt17integral_constantIbLb1EES1E_IbLb0EEEEDaS1A_S1B_EUlS1A_E_NS1_11comp_targetILNS1_3genE2ELNS1_11target_archE906ELNS1_3gpuE6ELNS1_3repE0EEENS1_30default_config_static_selectorELNS0_4arch9wavefront6targetE1EEEvT1_,comdat
	.protected	_ZN7rocprim17ROCPRIM_400000_NS6detail17trampoline_kernelINS0_14default_configENS1_25partition_config_selectorILNS1_17partition_subalgoE2EsNS0_10empty_typeEbEEZZNS1_14partition_implILS5_2ELb0ES3_jN6thrust23THRUST_200600_302600_NS6detail15normal_iteratorINSA_7pointerIsNSA_11hip_rocprim3tagENSA_11use_defaultESG_EEEEPS6_NSA_18transform_iteratorI7is_evenIsENSC_INSA_10device_ptrIsEEEESG_SG_EENS0_5tupleIJPsSJ_EEENSR_IJSJ_SJ_EEES6_PlJS6_EEE10hipError_tPvRmT3_T4_T5_T6_T7_T9_mT8_P12ihipStream_tbDpT10_ENKUlT_T0_E_clISt17integral_constantIbLb1EES1E_IbLb0EEEEDaS1A_S1B_EUlS1A_E_NS1_11comp_targetILNS1_3genE2ELNS1_11target_archE906ELNS1_3gpuE6ELNS1_3repE0EEENS1_30default_config_static_selectorELNS0_4arch9wavefront6targetE1EEEvT1_ ; -- Begin function _ZN7rocprim17ROCPRIM_400000_NS6detail17trampoline_kernelINS0_14default_configENS1_25partition_config_selectorILNS1_17partition_subalgoE2EsNS0_10empty_typeEbEEZZNS1_14partition_implILS5_2ELb0ES3_jN6thrust23THRUST_200600_302600_NS6detail15normal_iteratorINSA_7pointerIsNSA_11hip_rocprim3tagENSA_11use_defaultESG_EEEEPS6_NSA_18transform_iteratorI7is_evenIsENSC_INSA_10device_ptrIsEEEESG_SG_EENS0_5tupleIJPsSJ_EEENSR_IJSJ_SJ_EEES6_PlJS6_EEE10hipError_tPvRmT3_T4_T5_T6_T7_T9_mT8_P12ihipStream_tbDpT10_ENKUlT_T0_E_clISt17integral_constantIbLb1EES1E_IbLb0EEEEDaS1A_S1B_EUlS1A_E_NS1_11comp_targetILNS1_3genE2ELNS1_11target_archE906ELNS1_3gpuE6ELNS1_3repE0EEENS1_30default_config_static_selectorELNS0_4arch9wavefront6targetE1EEEvT1_
	.globl	_ZN7rocprim17ROCPRIM_400000_NS6detail17trampoline_kernelINS0_14default_configENS1_25partition_config_selectorILNS1_17partition_subalgoE2EsNS0_10empty_typeEbEEZZNS1_14partition_implILS5_2ELb0ES3_jN6thrust23THRUST_200600_302600_NS6detail15normal_iteratorINSA_7pointerIsNSA_11hip_rocprim3tagENSA_11use_defaultESG_EEEEPS6_NSA_18transform_iteratorI7is_evenIsENSC_INSA_10device_ptrIsEEEESG_SG_EENS0_5tupleIJPsSJ_EEENSR_IJSJ_SJ_EEES6_PlJS6_EEE10hipError_tPvRmT3_T4_T5_T6_T7_T9_mT8_P12ihipStream_tbDpT10_ENKUlT_T0_E_clISt17integral_constantIbLb1EES1E_IbLb0EEEEDaS1A_S1B_EUlS1A_E_NS1_11comp_targetILNS1_3genE2ELNS1_11target_archE906ELNS1_3gpuE6ELNS1_3repE0EEENS1_30default_config_static_selectorELNS0_4arch9wavefront6targetE1EEEvT1_
	.p2align	8
	.type	_ZN7rocprim17ROCPRIM_400000_NS6detail17trampoline_kernelINS0_14default_configENS1_25partition_config_selectorILNS1_17partition_subalgoE2EsNS0_10empty_typeEbEEZZNS1_14partition_implILS5_2ELb0ES3_jN6thrust23THRUST_200600_302600_NS6detail15normal_iteratorINSA_7pointerIsNSA_11hip_rocprim3tagENSA_11use_defaultESG_EEEEPS6_NSA_18transform_iteratorI7is_evenIsENSC_INSA_10device_ptrIsEEEESG_SG_EENS0_5tupleIJPsSJ_EEENSR_IJSJ_SJ_EEES6_PlJS6_EEE10hipError_tPvRmT3_T4_T5_T6_T7_T9_mT8_P12ihipStream_tbDpT10_ENKUlT_T0_E_clISt17integral_constantIbLb1EES1E_IbLb0EEEEDaS1A_S1B_EUlS1A_E_NS1_11comp_targetILNS1_3genE2ELNS1_11target_archE906ELNS1_3gpuE6ELNS1_3repE0EEENS1_30default_config_static_selectorELNS0_4arch9wavefront6targetE1EEEvT1_,@function
_ZN7rocprim17ROCPRIM_400000_NS6detail17trampoline_kernelINS0_14default_configENS1_25partition_config_selectorILNS1_17partition_subalgoE2EsNS0_10empty_typeEbEEZZNS1_14partition_implILS5_2ELb0ES3_jN6thrust23THRUST_200600_302600_NS6detail15normal_iteratorINSA_7pointerIsNSA_11hip_rocprim3tagENSA_11use_defaultESG_EEEEPS6_NSA_18transform_iteratorI7is_evenIsENSC_INSA_10device_ptrIsEEEESG_SG_EENS0_5tupleIJPsSJ_EEENSR_IJSJ_SJ_EEES6_PlJS6_EEE10hipError_tPvRmT3_T4_T5_T6_T7_T9_mT8_P12ihipStream_tbDpT10_ENKUlT_T0_E_clISt17integral_constantIbLb1EES1E_IbLb0EEEEDaS1A_S1B_EUlS1A_E_NS1_11comp_targetILNS1_3genE2ELNS1_11target_archE906ELNS1_3gpuE6ELNS1_3repE0EEENS1_30default_config_static_selectorELNS0_4arch9wavefront6targetE1EEEvT1_: ; @_ZN7rocprim17ROCPRIM_400000_NS6detail17trampoline_kernelINS0_14default_configENS1_25partition_config_selectorILNS1_17partition_subalgoE2EsNS0_10empty_typeEbEEZZNS1_14partition_implILS5_2ELb0ES3_jN6thrust23THRUST_200600_302600_NS6detail15normal_iteratorINSA_7pointerIsNSA_11hip_rocprim3tagENSA_11use_defaultESG_EEEEPS6_NSA_18transform_iteratorI7is_evenIsENSC_INSA_10device_ptrIsEEEESG_SG_EENS0_5tupleIJPsSJ_EEENSR_IJSJ_SJ_EEES6_PlJS6_EEE10hipError_tPvRmT3_T4_T5_T6_T7_T9_mT8_P12ihipStream_tbDpT10_ENKUlT_T0_E_clISt17integral_constantIbLb1EES1E_IbLb0EEEEDaS1A_S1B_EUlS1A_E_NS1_11comp_targetILNS1_3genE2ELNS1_11target_archE906ELNS1_3gpuE6ELNS1_3repE0EEENS1_30default_config_static_selectorELNS0_4arch9wavefront6targetE1EEEvT1_
; %bb.0:
	.section	.rodata,"a",@progbits
	.p2align	6, 0x0
	.amdhsa_kernel _ZN7rocprim17ROCPRIM_400000_NS6detail17trampoline_kernelINS0_14default_configENS1_25partition_config_selectorILNS1_17partition_subalgoE2EsNS0_10empty_typeEbEEZZNS1_14partition_implILS5_2ELb0ES3_jN6thrust23THRUST_200600_302600_NS6detail15normal_iteratorINSA_7pointerIsNSA_11hip_rocprim3tagENSA_11use_defaultESG_EEEEPS6_NSA_18transform_iteratorI7is_evenIsENSC_INSA_10device_ptrIsEEEESG_SG_EENS0_5tupleIJPsSJ_EEENSR_IJSJ_SJ_EEES6_PlJS6_EEE10hipError_tPvRmT3_T4_T5_T6_T7_T9_mT8_P12ihipStream_tbDpT10_ENKUlT_T0_E_clISt17integral_constantIbLb1EES1E_IbLb0EEEEDaS1A_S1B_EUlS1A_E_NS1_11comp_targetILNS1_3genE2ELNS1_11target_archE906ELNS1_3gpuE6ELNS1_3repE0EEENS1_30default_config_static_selectorELNS0_4arch9wavefront6targetE1EEEvT1_
		.amdhsa_group_segment_fixed_size 0
		.amdhsa_private_segment_fixed_size 0
		.amdhsa_kernarg_size 128
		.amdhsa_user_sgpr_count 6
		.amdhsa_user_sgpr_private_segment_buffer 1
		.amdhsa_user_sgpr_dispatch_ptr 0
		.amdhsa_user_sgpr_queue_ptr 0
		.amdhsa_user_sgpr_kernarg_segment_ptr 1
		.amdhsa_user_sgpr_dispatch_id 0
		.amdhsa_user_sgpr_flat_scratch_init 0
		.amdhsa_user_sgpr_kernarg_preload_length 0
		.amdhsa_user_sgpr_kernarg_preload_offset 0
		.amdhsa_user_sgpr_private_segment_size 0
		.amdhsa_uses_dynamic_stack 0
		.amdhsa_system_sgpr_private_segment_wavefront_offset 0
		.amdhsa_system_sgpr_workgroup_id_x 1
		.amdhsa_system_sgpr_workgroup_id_y 0
		.amdhsa_system_sgpr_workgroup_id_z 0
		.amdhsa_system_sgpr_workgroup_info 0
		.amdhsa_system_vgpr_workitem_id 0
		.amdhsa_next_free_vgpr 1
		.amdhsa_next_free_sgpr 0
		.amdhsa_accum_offset 4
		.amdhsa_reserve_vcc 0
		.amdhsa_reserve_flat_scratch 0
		.amdhsa_float_round_mode_32 0
		.amdhsa_float_round_mode_16_64 0
		.amdhsa_float_denorm_mode_32 3
		.amdhsa_float_denorm_mode_16_64 3
		.amdhsa_dx10_clamp 1
		.amdhsa_ieee_mode 1
		.amdhsa_fp16_overflow 0
		.amdhsa_tg_split 0
		.amdhsa_exception_fp_ieee_invalid_op 0
		.amdhsa_exception_fp_denorm_src 0
		.amdhsa_exception_fp_ieee_div_zero 0
		.amdhsa_exception_fp_ieee_overflow 0
		.amdhsa_exception_fp_ieee_underflow 0
		.amdhsa_exception_fp_ieee_inexact 0
		.amdhsa_exception_int_div_zero 0
	.end_amdhsa_kernel
	.section	.text._ZN7rocprim17ROCPRIM_400000_NS6detail17trampoline_kernelINS0_14default_configENS1_25partition_config_selectorILNS1_17partition_subalgoE2EsNS0_10empty_typeEbEEZZNS1_14partition_implILS5_2ELb0ES3_jN6thrust23THRUST_200600_302600_NS6detail15normal_iteratorINSA_7pointerIsNSA_11hip_rocprim3tagENSA_11use_defaultESG_EEEEPS6_NSA_18transform_iteratorI7is_evenIsENSC_INSA_10device_ptrIsEEEESG_SG_EENS0_5tupleIJPsSJ_EEENSR_IJSJ_SJ_EEES6_PlJS6_EEE10hipError_tPvRmT3_T4_T5_T6_T7_T9_mT8_P12ihipStream_tbDpT10_ENKUlT_T0_E_clISt17integral_constantIbLb1EES1E_IbLb0EEEEDaS1A_S1B_EUlS1A_E_NS1_11comp_targetILNS1_3genE2ELNS1_11target_archE906ELNS1_3gpuE6ELNS1_3repE0EEENS1_30default_config_static_selectorELNS0_4arch9wavefront6targetE1EEEvT1_,"axG",@progbits,_ZN7rocprim17ROCPRIM_400000_NS6detail17trampoline_kernelINS0_14default_configENS1_25partition_config_selectorILNS1_17partition_subalgoE2EsNS0_10empty_typeEbEEZZNS1_14partition_implILS5_2ELb0ES3_jN6thrust23THRUST_200600_302600_NS6detail15normal_iteratorINSA_7pointerIsNSA_11hip_rocprim3tagENSA_11use_defaultESG_EEEEPS6_NSA_18transform_iteratorI7is_evenIsENSC_INSA_10device_ptrIsEEEESG_SG_EENS0_5tupleIJPsSJ_EEENSR_IJSJ_SJ_EEES6_PlJS6_EEE10hipError_tPvRmT3_T4_T5_T6_T7_T9_mT8_P12ihipStream_tbDpT10_ENKUlT_T0_E_clISt17integral_constantIbLb1EES1E_IbLb0EEEEDaS1A_S1B_EUlS1A_E_NS1_11comp_targetILNS1_3genE2ELNS1_11target_archE906ELNS1_3gpuE6ELNS1_3repE0EEENS1_30default_config_static_selectorELNS0_4arch9wavefront6targetE1EEEvT1_,comdat
.Lfunc_end276:
	.size	_ZN7rocprim17ROCPRIM_400000_NS6detail17trampoline_kernelINS0_14default_configENS1_25partition_config_selectorILNS1_17partition_subalgoE2EsNS0_10empty_typeEbEEZZNS1_14partition_implILS5_2ELb0ES3_jN6thrust23THRUST_200600_302600_NS6detail15normal_iteratorINSA_7pointerIsNSA_11hip_rocprim3tagENSA_11use_defaultESG_EEEEPS6_NSA_18transform_iteratorI7is_evenIsENSC_INSA_10device_ptrIsEEEESG_SG_EENS0_5tupleIJPsSJ_EEENSR_IJSJ_SJ_EEES6_PlJS6_EEE10hipError_tPvRmT3_T4_T5_T6_T7_T9_mT8_P12ihipStream_tbDpT10_ENKUlT_T0_E_clISt17integral_constantIbLb1EES1E_IbLb0EEEEDaS1A_S1B_EUlS1A_E_NS1_11comp_targetILNS1_3genE2ELNS1_11target_archE906ELNS1_3gpuE6ELNS1_3repE0EEENS1_30default_config_static_selectorELNS0_4arch9wavefront6targetE1EEEvT1_, .Lfunc_end276-_ZN7rocprim17ROCPRIM_400000_NS6detail17trampoline_kernelINS0_14default_configENS1_25partition_config_selectorILNS1_17partition_subalgoE2EsNS0_10empty_typeEbEEZZNS1_14partition_implILS5_2ELb0ES3_jN6thrust23THRUST_200600_302600_NS6detail15normal_iteratorINSA_7pointerIsNSA_11hip_rocprim3tagENSA_11use_defaultESG_EEEEPS6_NSA_18transform_iteratorI7is_evenIsENSC_INSA_10device_ptrIsEEEESG_SG_EENS0_5tupleIJPsSJ_EEENSR_IJSJ_SJ_EEES6_PlJS6_EEE10hipError_tPvRmT3_T4_T5_T6_T7_T9_mT8_P12ihipStream_tbDpT10_ENKUlT_T0_E_clISt17integral_constantIbLb1EES1E_IbLb0EEEEDaS1A_S1B_EUlS1A_E_NS1_11comp_targetILNS1_3genE2ELNS1_11target_archE906ELNS1_3gpuE6ELNS1_3repE0EEENS1_30default_config_static_selectorELNS0_4arch9wavefront6targetE1EEEvT1_
                                        ; -- End function
	.section	.AMDGPU.csdata,"",@progbits
; Kernel info:
; codeLenInByte = 0
; NumSgprs: 4
; NumVgprs: 0
; NumAgprs: 0
; TotalNumVgprs: 0
; ScratchSize: 0
; MemoryBound: 0
; FloatMode: 240
; IeeeMode: 1
; LDSByteSize: 0 bytes/workgroup (compile time only)
; SGPRBlocks: 0
; VGPRBlocks: 0
; NumSGPRsForWavesPerEU: 4
; NumVGPRsForWavesPerEU: 1
; AccumOffset: 4
; Occupancy: 8
; WaveLimiterHint : 0
; COMPUTE_PGM_RSRC2:SCRATCH_EN: 0
; COMPUTE_PGM_RSRC2:USER_SGPR: 6
; COMPUTE_PGM_RSRC2:TRAP_HANDLER: 0
; COMPUTE_PGM_RSRC2:TGID_X_EN: 1
; COMPUTE_PGM_RSRC2:TGID_Y_EN: 0
; COMPUTE_PGM_RSRC2:TGID_Z_EN: 0
; COMPUTE_PGM_RSRC2:TIDIG_COMP_CNT: 0
; COMPUTE_PGM_RSRC3_GFX90A:ACCUM_OFFSET: 0
; COMPUTE_PGM_RSRC3_GFX90A:TG_SPLIT: 0
	.section	.text._ZN7rocprim17ROCPRIM_400000_NS6detail17trampoline_kernelINS0_14default_configENS1_25partition_config_selectorILNS1_17partition_subalgoE2EsNS0_10empty_typeEbEEZZNS1_14partition_implILS5_2ELb0ES3_jN6thrust23THRUST_200600_302600_NS6detail15normal_iteratorINSA_7pointerIsNSA_11hip_rocprim3tagENSA_11use_defaultESG_EEEEPS6_NSA_18transform_iteratorI7is_evenIsENSC_INSA_10device_ptrIsEEEESG_SG_EENS0_5tupleIJPsSJ_EEENSR_IJSJ_SJ_EEES6_PlJS6_EEE10hipError_tPvRmT3_T4_T5_T6_T7_T9_mT8_P12ihipStream_tbDpT10_ENKUlT_T0_E_clISt17integral_constantIbLb1EES1E_IbLb0EEEEDaS1A_S1B_EUlS1A_E_NS1_11comp_targetILNS1_3genE10ELNS1_11target_archE1200ELNS1_3gpuE4ELNS1_3repE0EEENS1_30default_config_static_selectorELNS0_4arch9wavefront6targetE1EEEvT1_,"axG",@progbits,_ZN7rocprim17ROCPRIM_400000_NS6detail17trampoline_kernelINS0_14default_configENS1_25partition_config_selectorILNS1_17partition_subalgoE2EsNS0_10empty_typeEbEEZZNS1_14partition_implILS5_2ELb0ES3_jN6thrust23THRUST_200600_302600_NS6detail15normal_iteratorINSA_7pointerIsNSA_11hip_rocprim3tagENSA_11use_defaultESG_EEEEPS6_NSA_18transform_iteratorI7is_evenIsENSC_INSA_10device_ptrIsEEEESG_SG_EENS0_5tupleIJPsSJ_EEENSR_IJSJ_SJ_EEES6_PlJS6_EEE10hipError_tPvRmT3_T4_T5_T6_T7_T9_mT8_P12ihipStream_tbDpT10_ENKUlT_T0_E_clISt17integral_constantIbLb1EES1E_IbLb0EEEEDaS1A_S1B_EUlS1A_E_NS1_11comp_targetILNS1_3genE10ELNS1_11target_archE1200ELNS1_3gpuE4ELNS1_3repE0EEENS1_30default_config_static_selectorELNS0_4arch9wavefront6targetE1EEEvT1_,comdat
	.protected	_ZN7rocprim17ROCPRIM_400000_NS6detail17trampoline_kernelINS0_14default_configENS1_25partition_config_selectorILNS1_17partition_subalgoE2EsNS0_10empty_typeEbEEZZNS1_14partition_implILS5_2ELb0ES3_jN6thrust23THRUST_200600_302600_NS6detail15normal_iteratorINSA_7pointerIsNSA_11hip_rocprim3tagENSA_11use_defaultESG_EEEEPS6_NSA_18transform_iteratorI7is_evenIsENSC_INSA_10device_ptrIsEEEESG_SG_EENS0_5tupleIJPsSJ_EEENSR_IJSJ_SJ_EEES6_PlJS6_EEE10hipError_tPvRmT3_T4_T5_T6_T7_T9_mT8_P12ihipStream_tbDpT10_ENKUlT_T0_E_clISt17integral_constantIbLb1EES1E_IbLb0EEEEDaS1A_S1B_EUlS1A_E_NS1_11comp_targetILNS1_3genE10ELNS1_11target_archE1200ELNS1_3gpuE4ELNS1_3repE0EEENS1_30default_config_static_selectorELNS0_4arch9wavefront6targetE1EEEvT1_ ; -- Begin function _ZN7rocprim17ROCPRIM_400000_NS6detail17trampoline_kernelINS0_14default_configENS1_25partition_config_selectorILNS1_17partition_subalgoE2EsNS0_10empty_typeEbEEZZNS1_14partition_implILS5_2ELb0ES3_jN6thrust23THRUST_200600_302600_NS6detail15normal_iteratorINSA_7pointerIsNSA_11hip_rocprim3tagENSA_11use_defaultESG_EEEEPS6_NSA_18transform_iteratorI7is_evenIsENSC_INSA_10device_ptrIsEEEESG_SG_EENS0_5tupleIJPsSJ_EEENSR_IJSJ_SJ_EEES6_PlJS6_EEE10hipError_tPvRmT3_T4_T5_T6_T7_T9_mT8_P12ihipStream_tbDpT10_ENKUlT_T0_E_clISt17integral_constantIbLb1EES1E_IbLb0EEEEDaS1A_S1B_EUlS1A_E_NS1_11comp_targetILNS1_3genE10ELNS1_11target_archE1200ELNS1_3gpuE4ELNS1_3repE0EEENS1_30default_config_static_selectorELNS0_4arch9wavefront6targetE1EEEvT1_
	.globl	_ZN7rocprim17ROCPRIM_400000_NS6detail17trampoline_kernelINS0_14default_configENS1_25partition_config_selectorILNS1_17partition_subalgoE2EsNS0_10empty_typeEbEEZZNS1_14partition_implILS5_2ELb0ES3_jN6thrust23THRUST_200600_302600_NS6detail15normal_iteratorINSA_7pointerIsNSA_11hip_rocprim3tagENSA_11use_defaultESG_EEEEPS6_NSA_18transform_iteratorI7is_evenIsENSC_INSA_10device_ptrIsEEEESG_SG_EENS0_5tupleIJPsSJ_EEENSR_IJSJ_SJ_EEES6_PlJS6_EEE10hipError_tPvRmT3_T4_T5_T6_T7_T9_mT8_P12ihipStream_tbDpT10_ENKUlT_T0_E_clISt17integral_constantIbLb1EES1E_IbLb0EEEEDaS1A_S1B_EUlS1A_E_NS1_11comp_targetILNS1_3genE10ELNS1_11target_archE1200ELNS1_3gpuE4ELNS1_3repE0EEENS1_30default_config_static_selectorELNS0_4arch9wavefront6targetE1EEEvT1_
	.p2align	8
	.type	_ZN7rocprim17ROCPRIM_400000_NS6detail17trampoline_kernelINS0_14default_configENS1_25partition_config_selectorILNS1_17partition_subalgoE2EsNS0_10empty_typeEbEEZZNS1_14partition_implILS5_2ELb0ES3_jN6thrust23THRUST_200600_302600_NS6detail15normal_iteratorINSA_7pointerIsNSA_11hip_rocprim3tagENSA_11use_defaultESG_EEEEPS6_NSA_18transform_iteratorI7is_evenIsENSC_INSA_10device_ptrIsEEEESG_SG_EENS0_5tupleIJPsSJ_EEENSR_IJSJ_SJ_EEES6_PlJS6_EEE10hipError_tPvRmT3_T4_T5_T6_T7_T9_mT8_P12ihipStream_tbDpT10_ENKUlT_T0_E_clISt17integral_constantIbLb1EES1E_IbLb0EEEEDaS1A_S1B_EUlS1A_E_NS1_11comp_targetILNS1_3genE10ELNS1_11target_archE1200ELNS1_3gpuE4ELNS1_3repE0EEENS1_30default_config_static_selectorELNS0_4arch9wavefront6targetE1EEEvT1_,@function
_ZN7rocprim17ROCPRIM_400000_NS6detail17trampoline_kernelINS0_14default_configENS1_25partition_config_selectorILNS1_17partition_subalgoE2EsNS0_10empty_typeEbEEZZNS1_14partition_implILS5_2ELb0ES3_jN6thrust23THRUST_200600_302600_NS6detail15normal_iteratorINSA_7pointerIsNSA_11hip_rocprim3tagENSA_11use_defaultESG_EEEEPS6_NSA_18transform_iteratorI7is_evenIsENSC_INSA_10device_ptrIsEEEESG_SG_EENS0_5tupleIJPsSJ_EEENSR_IJSJ_SJ_EEES6_PlJS6_EEE10hipError_tPvRmT3_T4_T5_T6_T7_T9_mT8_P12ihipStream_tbDpT10_ENKUlT_T0_E_clISt17integral_constantIbLb1EES1E_IbLb0EEEEDaS1A_S1B_EUlS1A_E_NS1_11comp_targetILNS1_3genE10ELNS1_11target_archE1200ELNS1_3gpuE4ELNS1_3repE0EEENS1_30default_config_static_selectorELNS0_4arch9wavefront6targetE1EEEvT1_: ; @_ZN7rocprim17ROCPRIM_400000_NS6detail17trampoline_kernelINS0_14default_configENS1_25partition_config_selectorILNS1_17partition_subalgoE2EsNS0_10empty_typeEbEEZZNS1_14partition_implILS5_2ELb0ES3_jN6thrust23THRUST_200600_302600_NS6detail15normal_iteratorINSA_7pointerIsNSA_11hip_rocprim3tagENSA_11use_defaultESG_EEEEPS6_NSA_18transform_iteratorI7is_evenIsENSC_INSA_10device_ptrIsEEEESG_SG_EENS0_5tupleIJPsSJ_EEENSR_IJSJ_SJ_EEES6_PlJS6_EEE10hipError_tPvRmT3_T4_T5_T6_T7_T9_mT8_P12ihipStream_tbDpT10_ENKUlT_T0_E_clISt17integral_constantIbLb1EES1E_IbLb0EEEEDaS1A_S1B_EUlS1A_E_NS1_11comp_targetILNS1_3genE10ELNS1_11target_archE1200ELNS1_3gpuE4ELNS1_3repE0EEENS1_30default_config_static_selectorELNS0_4arch9wavefront6targetE1EEEvT1_
; %bb.0:
	.section	.rodata,"a",@progbits
	.p2align	6, 0x0
	.amdhsa_kernel _ZN7rocprim17ROCPRIM_400000_NS6detail17trampoline_kernelINS0_14default_configENS1_25partition_config_selectorILNS1_17partition_subalgoE2EsNS0_10empty_typeEbEEZZNS1_14partition_implILS5_2ELb0ES3_jN6thrust23THRUST_200600_302600_NS6detail15normal_iteratorINSA_7pointerIsNSA_11hip_rocprim3tagENSA_11use_defaultESG_EEEEPS6_NSA_18transform_iteratorI7is_evenIsENSC_INSA_10device_ptrIsEEEESG_SG_EENS0_5tupleIJPsSJ_EEENSR_IJSJ_SJ_EEES6_PlJS6_EEE10hipError_tPvRmT3_T4_T5_T6_T7_T9_mT8_P12ihipStream_tbDpT10_ENKUlT_T0_E_clISt17integral_constantIbLb1EES1E_IbLb0EEEEDaS1A_S1B_EUlS1A_E_NS1_11comp_targetILNS1_3genE10ELNS1_11target_archE1200ELNS1_3gpuE4ELNS1_3repE0EEENS1_30default_config_static_selectorELNS0_4arch9wavefront6targetE1EEEvT1_
		.amdhsa_group_segment_fixed_size 0
		.amdhsa_private_segment_fixed_size 0
		.amdhsa_kernarg_size 128
		.amdhsa_user_sgpr_count 6
		.amdhsa_user_sgpr_private_segment_buffer 1
		.amdhsa_user_sgpr_dispatch_ptr 0
		.amdhsa_user_sgpr_queue_ptr 0
		.amdhsa_user_sgpr_kernarg_segment_ptr 1
		.amdhsa_user_sgpr_dispatch_id 0
		.amdhsa_user_sgpr_flat_scratch_init 0
		.amdhsa_user_sgpr_kernarg_preload_length 0
		.amdhsa_user_sgpr_kernarg_preload_offset 0
		.amdhsa_user_sgpr_private_segment_size 0
		.amdhsa_uses_dynamic_stack 0
		.amdhsa_system_sgpr_private_segment_wavefront_offset 0
		.amdhsa_system_sgpr_workgroup_id_x 1
		.amdhsa_system_sgpr_workgroup_id_y 0
		.amdhsa_system_sgpr_workgroup_id_z 0
		.amdhsa_system_sgpr_workgroup_info 0
		.amdhsa_system_vgpr_workitem_id 0
		.amdhsa_next_free_vgpr 1
		.amdhsa_next_free_sgpr 0
		.amdhsa_accum_offset 4
		.amdhsa_reserve_vcc 0
		.amdhsa_reserve_flat_scratch 0
		.amdhsa_float_round_mode_32 0
		.amdhsa_float_round_mode_16_64 0
		.amdhsa_float_denorm_mode_32 3
		.amdhsa_float_denorm_mode_16_64 3
		.amdhsa_dx10_clamp 1
		.amdhsa_ieee_mode 1
		.amdhsa_fp16_overflow 0
		.amdhsa_tg_split 0
		.amdhsa_exception_fp_ieee_invalid_op 0
		.amdhsa_exception_fp_denorm_src 0
		.amdhsa_exception_fp_ieee_div_zero 0
		.amdhsa_exception_fp_ieee_overflow 0
		.amdhsa_exception_fp_ieee_underflow 0
		.amdhsa_exception_fp_ieee_inexact 0
		.amdhsa_exception_int_div_zero 0
	.end_amdhsa_kernel
	.section	.text._ZN7rocprim17ROCPRIM_400000_NS6detail17trampoline_kernelINS0_14default_configENS1_25partition_config_selectorILNS1_17partition_subalgoE2EsNS0_10empty_typeEbEEZZNS1_14partition_implILS5_2ELb0ES3_jN6thrust23THRUST_200600_302600_NS6detail15normal_iteratorINSA_7pointerIsNSA_11hip_rocprim3tagENSA_11use_defaultESG_EEEEPS6_NSA_18transform_iteratorI7is_evenIsENSC_INSA_10device_ptrIsEEEESG_SG_EENS0_5tupleIJPsSJ_EEENSR_IJSJ_SJ_EEES6_PlJS6_EEE10hipError_tPvRmT3_T4_T5_T6_T7_T9_mT8_P12ihipStream_tbDpT10_ENKUlT_T0_E_clISt17integral_constantIbLb1EES1E_IbLb0EEEEDaS1A_S1B_EUlS1A_E_NS1_11comp_targetILNS1_3genE10ELNS1_11target_archE1200ELNS1_3gpuE4ELNS1_3repE0EEENS1_30default_config_static_selectorELNS0_4arch9wavefront6targetE1EEEvT1_,"axG",@progbits,_ZN7rocprim17ROCPRIM_400000_NS6detail17trampoline_kernelINS0_14default_configENS1_25partition_config_selectorILNS1_17partition_subalgoE2EsNS0_10empty_typeEbEEZZNS1_14partition_implILS5_2ELb0ES3_jN6thrust23THRUST_200600_302600_NS6detail15normal_iteratorINSA_7pointerIsNSA_11hip_rocprim3tagENSA_11use_defaultESG_EEEEPS6_NSA_18transform_iteratorI7is_evenIsENSC_INSA_10device_ptrIsEEEESG_SG_EENS0_5tupleIJPsSJ_EEENSR_IJSJ_SJ_EEES6_PlJS6_EEE10hipError_tPvRmT3_T4_T5_T6_T7_T9_mT8_P12ihipStream_tbDpT10_ENKUlT_T0_E_clISt17integral_constantIbLb1EES1E_IbLb0EEEEDaS1A_S1B_EUlS1A_E_NS1_11comp_targetILNS1_3genE10ELNS1_11target_archE1200ELNS1_3gpuE4ELNS1_3repE0EEENS1_30default_config_static_selectorELNS0_4arch9wavefront6targetE1EEEvT1_,comdat
.Lfunc_end277:
	.size	_ZN7rocprim17ROCPRIM_400000_NS6detail17trampoline_kernelINS0_14default_configENS1_25partition_config_selectorILNS1_17partition_subalgoE2EsNS0_10empty_typeEbEEZZNS1_14partition_implILS5_2ELb0ES3_jN6thrust23THRUST_200600_302600_NS6detail15normal_iteratorINSA_7pointerIsNSA_11hip_rocprim3tagENSA_11use_defaultESG_EEEEPS6_NSA_18transform_iteratorI7is_evenIsENSC_INSA_10device_ptrIsEEEESG_SG_EENS0_5tupleIJPsSJ_EEENSR_IJSJ_SJ_EEES6_PlJS6_EEE10hipError_tPvRmT3_T4_T5_T6_T7_T9_mT8_P12ihipStream_tbDpT10_ENKUlT_T0_E_clISt17integral_constantIbLb1EES1E_IbLb0EEEEDaS1A_S1B_EUlS1A_E_NS1_11comp_targetILNS1_3genE10ELNS1_11target_archE1200ELNS1_3gpuE4ELNS1_3repE0EEENS1_30default_config_static_selectorELNS0_4arch9wavefront6targetE1EEEvT1_, .Lfunc_end277-_ZN7rocprim17ROCPRIM_400000_NS6detail17trampoline_kernelINS0_14default_configENS1_25partition_config_selectorILNS1_17partition_subalgoE2EsNS0_10empty_typeEbEEZZNS1_14partition_implILS5_2ELb0ES3_jN6thrust23THRUST_200600_302600_NS6detail15normal_iteratorINSA_7pointerIsNSA_11hip_rocprim3tagENSA_11use_defaultESG_EEEEPS6_NSA_18transform_iteratorI7is_evenIsENSC_INSA_10device_ptrIsEEEESG_SG_EENS0_5tupleIJPsSJ_EEENSR_IJSJ_SJ_EEES6_PlJS6_EEE10hipError_tPvRmT3_T4_T5_T6_T7_T9_mT8_P12ihipStream_tbDpT10_ENKUlT_T0_E_clISt17integral_constantIbLb1EES1E_IbLb0EEEEDaS1A_S1B_EUlS1A_E_NS1_11comp_targetILNS1_3genE10ELNS1_11target_archE1200ELNS1_3gpuE4ELNS1_3repE0EEENS1_30default_config_static_selectorELNS0_4arch9wavefront6targetE1EEEvT1_
                                        ; -- End function
	.section	.AMDGPU.csdata,"",@progbits
; Kernel info:
; codeLenInByte = 0
; NumSgprs: 4
; NumVgprs: 0
; NumAgprs: 0
; TotalNumVgprs: 0
; ScratchSize: 0
; MemoryBound: 0
; FloatMode: 240
; IeeeMode: 1
; LDSByteSize: 0 bytes/workgroup (compile time only)
; SGPRBlocks: 0
; VGPRBlocks: 0
; NumSGPRsForWavesPerEU: 4
; NumVGPRsForWavesPerEU: 1
; AccumOffset: 4
; Occupancy: 8
; WaveLimiterHint : 0
; COMPUTE_PGM_RSRC2:SCRATCH_EN: 0
; COMPUTE_PGM_RSRC2:USER_SGPR: 6
; COMPUTE_PGM_RSRC2:TRAP_HANDLER: 0
; COMPUTE_PGM_RSRC2:TGID_X_EN: 1
; COMPUTE_PGM_RSRC2:TGID_Y_EN: 0
; COMPUTE_PGM_RSRC2:TGID_Z_EN: 0
; COMPUTE_PGM_RSRC2:TIDIG_COMP_CNT: 0
; COMPUTE_PGM_RSRC3_GFX90A:ACCUM_OFFSET: 0
; COMPUTE_PGM_RSRC3_GFX90A:TG_SPLIT: 0
	.section	.text._ZN7rocprim17ROCPRIM_400000_NS6detail17trampoline_kernelINS0_14default_configENS1_25partition_config_selectorILNS1_17partition_subalgoE2EsNS0_10empty_typeEbEEZZNS1_14partition_implILS5_2ELb0ES3_jN6thrust23THRUST_200600_302600_NS6detail15normal_iteratorINSA_7pointerIsNSA_11hip_rocprim3tagENSA_11use_defaultESG_EEEEPS6_NSA_18transform_iteratorI7is_evenIsENSC_INSA_10device_ptrIsEEEESG_SG_EENS0_5tupleIJPsSJ_EEENSR_IJSJ_SJ_EEES6_PlJS6_EEE10hipError_tPvRmT3_T4_T5_T6_T7_T9_mT8_P12ihipStream_tbDpT10_ENKUlT_T0_E_clISt17integral_constantIbLb1EES1E_IbLb0EEEEDaS1A_S1B_EUlS1A_E_NS1_11comp_targetILNS1_3genE9ELNS1_11target_archE1100ELNS1_3gpuE3ELNS1_3repE0EEENS1_30default_config_static_selectorELNS0_4arch9wavefront6targetE1EEEvT1_,"axG",@progbits,_ZN7rocprim17ROCPRIM_400000_NS6detail17trampoline_kernelINS0_14default_configENS1_25partition_config_selectorILNS1_17partition_subalgoE2EsNS0_10empty_typeEbEEZZNS1_14partition_implILS5_2ELb0ES3_jN6thrust23THRUST_200600_302600_NS6detail15normal_iteratorINSA_7pointerIsNSA_11hip_rocprim3tagENSA_11use_defaultESG_EEEEPS6_NSA_18transform_iteratorI7is_evenIsENSC_INSA_10device_ptrIsEEEESG_SG_EENS0_5tupleIJPsSJ_EEENSR_IJSJ_SJ_EEES6_PlJS6_EEE10hipError_tPvRmT3_T4_T5_T6_T7_T9_mT8_P12ihipStream_tbDpT10_ENKUlT_T0_E_clISt17integral_constantIbLb1EES1E_IbLb0EEEEDaS1A_S1B_EUlS1A_E_NS1_11comp_targetILNS1_3genE9ELNS1_11target_archE1100ELNS1_3gpuE3ELNS1_3repE0EEENS1_30default_config_static_selectorELNS0_4arch9wavefront6targetE1EEEvT1_,comdat
	.protected	_ZN7rocprim17ROCPRIM_400000_NS6detail17trampoline_kernelINS0_14default_configENS1_25partition_config_selectorILNS1_17partition_subalgoE2EsNS0_10empty_typeEbEEZZNS1_14partition_implILS5_2ELb0ES3_jN6thrust23THRUST_200600_302600_NS6detail15normal_iteratorINSA_7pointerIsNSA_11hip_rocprim3tagENSA_11use_defaultESG_EEEEPS6_NSA_18transform_iteratorI7is_evenIsENSC_INSA_10device_ptrIsEEEESG_SG_EENS0_5tupleIJPsSJ_EEENSR_IJSJ_SJ_EEES6_PlJS6_EEE10hipError_tPvRmT3_T4_T5_T6_T7_T9_mT8_P12ihipStream_tbDpT10_ENKUlT_T0_E_clISt17integral_constantIbLb1EES1E_IbLb0EEEEDaS1A_S1B_EUlS1A_E_NS1_11comp_targetILNS1_3genE9ELNS1_11target_archE1100ELNS1_3gpuE3ELNS1_3repE0EEENS1_30default_config_static_selectorELNS0_4arch9wavefront6targetE1EEEvT1_ ; -- Begin function _ZN7rocprim17ROCPRIM_400000_NS6detail17trampoline_kernelINS0_14default_configENS1_25partition_config_selectorILNS1_17partition_subalgoE2EsNS0_10empty_typeEbEEZZNS1_14partition_implILS5_2ELb0ES3_jN6thrust23THRUST_200600_302600_NS6detail15normal_iteratorINSA_7pointerIsNSA_11hip_rocprim3tagENSA_11use_defaultESG_EEEEPS6_NSA_18transform_iteratorI7is_evenIsENSC_INSA_10device_ptrIsEEEESG_SG_EENS0_5tupleIJPsSJ_EEENSR_IJSJ_SJ_EEES6_PlJS6_EEE10hipError_tPvRmT3_T4_T5_T6_T7_T9_mT8_P12ihipStream_tbDpT10_ENKUlT_T0_E_clISt17integral_constantIbLb1EES1E_IbLb0EEEEDaS1A_S1B_EUlS1A_E_NS1_11comp_targetILNS1_3genE9ELNS1_11target_archE1100ELNS1_3gpuE3ELNS1_3repE0EEENS1_30default_config_static_selectorELNS0_4arch9wavefront6targetE1EEEvT1_
	.globl	_ZN7rocprim17ROCPRIM_400000_NS6detail17trampoline_kernelINS0_14default_configENS1_25partition_config_selectorILNS1_17partition_subalgoE2EsNS0_10empty_typeEbEEZZNS1_14partition_implILS5_2ELb0ES3_jN6thrust23THRUST_200600_302600_NS6detail15normal_iteratorINSA_7pointerIsNSA_11hip_rocprim3tagENSA_11use_defaultESG_EEEEPS6_NSA_18transform_iteratorI7is_evenIsENSC_INSA_10device_ptrIsEEEESG_SG_EENS0_5tupleIJPsSJ_EEENSR_IJSJ_SJ_EEES6_PlJS6_EEE10hipError_tPvRmT3_T4_T5_T6_T7_T9_mT8_P12ihipStream_tbDpT10_ENKUlT_T0_E_clISt17integral_constantIbLb1EES1E_IbLb0EEEEDaS1A_S1B_EUlS1A_E_NS1_11comp_targetILNS1_3genE9ELNS1_11target_archE1100ELNS1_3gpuE3ELNS1_3repE0EEENS1_30default_config_static_selectorELNS0_4arch9wavefront6targetE1EEEvT1_
	.p2align	8
	.type	_ZN7rocprim17ROCPRIM_400000_NS6detail17trampoline_kernelINS0_14default_configENS1_25partition_config_selectorILNS1_17partition_subalgoE2EsNS0_10empty_typeEbEEZZNS1_14partition_implILS5_2ELb0ES3_jN6thrust23THRUST_200600_302600_NS6detail15normal_iteratorINSA_7pointerIsNSA_11hip_rocprim3tagENSA_11use_defaultESG_EEEEPS6_NSA_18transform_iteratorI7is_evenIsENSC_INSA_10device_ptrIsEEEESG_SG_EENS0_5tupleIJPsSJ_EEENSR_IJSJ_SJ_EEES6_PlJS6_EEE10hipError_tPvRmT3_T4_T5_T6_T7_T9_mT8_P12ihipStream_tbDpT10_ENKUlT_T0_E_clISt17integral_constantIbLb1EES1E_IbLb0EEEEDaS1A_S1B_EUlS1A_E_NS1_11comp_targetILNS1_3genE9ELNS1_11target_archE1100ELNS1_3gpuE3ELNS1_3repE0EEENS1_30default_config_static_selectorELNS0_4arch9wavefront6targetE1EEEvT1_,@function
_ZN7rocprim17ROCPRIM_400000_NS6detail17trampoline_kernelINS0_14default_configENS1_25partition_config_selectorILNS1_17partition_subalgoE2EsNS0_10empty_typeEbEEZZNS1_14partition_implILS5_2ELb0ES3_jN6thrust23THRUST_200600_302600_NS6detail15normal_iteratorINSA_7pointerIsNSA_11hip_rocprim3tagENSA_11use_defaultESG_EEEEPS6_NSA_18transform_iteratorI7is_evenIsENSC_INSA_10device_ptrIsEEEESG_SG_EENS0_5tupleIJPsSJ_EEENSR_IJSJ_SJ_EEES6_PlJS6_EEE10hipError_tPvRmT3_T4_T5_T6_T7_T9_mT8_P12ihipStream_tbDpT10_ENKUlT_T0_E_clISt17integral_constantIbLb1EES1E_IbLb0EEEEDaS1A_S1B_EUlS1A_E_NS1_11comp_targetILNS1_3genE9ELNS1_11target_archE1100ELNS1_3gpuE3ELNS1_3repE0EEENS1_30default_config_static_selectorELNS0_4arch9wavefront6targetE1EEEvT1_: ; @_ZN7rocprim17ROCPRIM_400000_NS6detail17trampoline_kernelINS0_14default_configENS1_25partition_config_selectorILNS1_17partition_subalgoE2EsNS0_10empty_typeEbEEZZNS1_14partition_implILS5_2ELb0ES3_jN6thrust23THRUST_200600_302600_NS6detail15normal_iteratorINSA_7pointerIsNSA_11hip_rocprim3tagENSA_11use_defaultESG_EEEEPS6_NSA_18transform_iteratorI7is_evenIsENSC_INSA_10device_ptrIsEEEESG_SG_EENS0_5tupleIJPsSJ_EEENSR_IJSJ_SJ_EEES6_PlJS6_EEE10hipError_tPvRmT3_T4_T5_T6_T7_T9_mT8_P12ihipStream_tbDpT10_ENKUlT_T0_E_clISt17integral_constantIbLb1EES1E_IbLb0EEEEDaS1A_S1B_EUlS1A_E_NS1_11comp_targetILNS1_3genE9ELNS1_11target_archE1100ELNS1_3gpuE3ELNS1_3repE0EEENS1_30default_config_static_selectorELNS0_4arch9wavefront6targetE1EEEvT1_
; %bb.0:
	.section	.rodata,"a",@progbits
	.p2align	6, 0x0
	.amdhsa_kernel _ZN7rocprim17ROCPRIM_400000_NS6detail17trampoline_kernelINS0_14default_configENS1_25partition_config_selectorILNS1_17partition_subalgoE2EsNS0_10empty_typeEbEEZZNS1_14partition_implILS5_2ELb0ES3_jN6thrust23THRUST_200600_302600_NS6detail15normal_iteratorINSA_7pointerIsNSA_11hip_rocprim3tagENSA_11use_defaultESG_EEEEPS6_NSA_18transform_iteratorI7is_evenIsENSC_INSA_10device_ptrIsEEEESG_SG_EENS0_5tupleIJPsSJ_EEENSR_IJSJ_SJ_EEES6_PlJS6_EEE10hipError_tPvRmT3_T4_T5_T6_T7_T9_mT8_P12ihipStream_tbDpT10_ENKUlT_T0_E_clISt17integral_constantIbLb1EES1E_IbLb0EEEEDaS1A_S1B_EUlS1A_E_NS1_11comp_targetILNS1_3genE9ELNS1_11target_archE1100ELNS1_3gpuE3ELNS1_3repE0EEENS1_30default_config_static_selectorELNS0_4arch9wavefront6targetE1EEEvT1_
		.amdhsa_group_segment_fixed_size 0
		.amdhsa_private_segment_fixed_size 0
		.amdhsa_kernarg_size 128
		.amdhsa_user_sgpr_count 6
		.amdhsa_user_sgpr_private_segment_buffer 1
		.amdhsa_user_sgpr_dispatch_ptr 0
		.amdhsa_user_sgpr_queue_ptr 0
		.amdhsa_user_sgpr_kernarg_segment_ptr 1
		.amdhsa_user_sgpr_dispatch_id 0
		.amdhsa_user_sgpr_flat_scratch_init 0
		.amdhsa_user_sgpr_kernarg_preload_length 0
		.amdhsa_user_sgpr_kernarg_preload_offset 0
		.amdhsa_user_sgpr_private_segment_size 0
		.amdhsa_uses_dynamic_stack 0
		.amdhsa_system_sgpr_private_segment_wavefront_offset 0
		.amdhsa_system_sgpr_workgroup_id_x 1
		.amdhsa_system_sgpr_workgroup_id_y 0
		.amdhsa_system_sgpr_workgroup_id_z 0
		.amdhsa_system_sgpr_workgroup_info 0
		.amdhsa_system_vgpr_workitem_id 0
		.amdhsa_next_free_vgpr 1
		.amdhsa_next_free_sgpr 0
		.amdhsa_accum_offset 4
		.amdhsa_reserve_vcc 0
		.amdhsa_reserve_flat_scratch 0
		.amdhsa_float_round_mode_32 0
		.amdhsa_float_round_mode_16_64 0
		.amdhsa_float_denorm_mode_32 3
		.amdhsa_float_denorm_mode_16_64 3
		.amdhsa_dx10_clamp 1
		.amdhsa_ieee_mode 1
		.amdhsa_fp16_overflow 0
		.amdhsa_tg_split 0
		.amdhsa_exception_fp_ieee_invalid_op 0
		.amdhsa_exception_fp_denorm_src 0
		.amdhsa_exception_fp_ieee_div_zero 0
		.amdhsa_exception_fp_ieee_overflow 0
		.amdhsa_exception_fp_ieee_underflow 0
		.amdhsa_exception_fp_ieee_inexact 0
		.amdhsa_exception_int_div_zero 0
	.end_amdhsa_kernel
	.section	.text._ZN7rocprim17ROCPRIM_400000_NS6detail17trampoline_kernelINS0_14default_configENS1_25partition_config_selectorILNS1_17partition_subalgoE2EsNS0_10empty_typeEbEEZZNS1_14partition_implILS5_2ELb0ES3_jN6thrust23THRUST_200600_302600_NS6detail15normal_iteratorINSA_7pointerIsNSA_11hip_rocprim3tagENSA_11use_defaultESG_EEEEPS6_NSA_18transform_iteratorI7is_evenIsENSC_INSA_10device_ptrIsEEEESG_SG_EENS0_5tupleIJPsSJ_EEENSR_IJSJ_SJ_EEES6_PlJS6_EEE10hipError_tPvRmT3_T4_T5_T6_T7_T9_mT8_P12ihipStream_tbDpT10_ENKUlT_T0_E_clISt17integral_constantIbLb1EES1E_IbLb0EEEEDaS1A_S1B_EUlS1A_E_NS1_11comp_targetILNS1_3genE9ELNS1_11target_archE1100ELNS1_3gpuE3ELNS1_3repE0EEENS1_30default_config_static_selectorELNS0_4arch9wavefront6targetE1EEEvT1_,"axG",@progbits,_ZN7rocprim17ROCPRIM_400000_NS6detail17trampoline_kernelINS0_14default_configENS1_25partition_config_selectorILNS1_17partition_subalgoE2EsNS0_10empty_typeEbEEZZNS1_14partition_implILS5_2ELb0ES3_jN6thrust23THRUST_200600_302600_NS6detail15normal_iteratorINSA_7pointerIsNSA_11hip_rocprim3tagENSA_11use_defaultESG_EEEEPS6_NSA_18transform_iteratorI7is_evenIsENSC_INSA_10device_ptrIsEEEESG_SG_EENS0_5tupleIJPsSJ_EEENSR_IJSJ_SJ_EEES6_PlJS6_EEE10hipError_tPvRmT3_T4_T5_T6_T7_T9_mT8_P12ihipStream_tbDpT10_ENKUlT_T0_E_clISt17integral_constantIbLb1EES1E_IbLb0EEEEDaS1A_S1B_EUlS1A_E_NS1_11comp_targetILNS1_3genE9ELNS1_11target_archE1100ELNS1_3gpuE3ELNS1_3repE0EEENS1_30default_config_static_selectorELNS0_4arch9wavefront6targetE1EEEvT1_,comdat
.Lfunc_end278:
	.size	_ZN7rocprim17ROCPRIM_400000_NS6detail17trampoline_kernelINS0_14default_configENS1_25partition_config_selectorILNS1_17partition_subalgoE2EsNS0_10empty_typeEbEEZZNS1_14partition_implILS5_2ELb0ES3_jN6thrust23THRUST_200600_302600_NS6detail15normal_iteratorINSA_7pointerIsNSA_11hip_rocprim3tagENSA_11use_defaultESG_EEEEPS6_NSA_18transform_iteratorI7is_evenIsENSC_INSA_10device_ptrIsEEEESG_SG_EENS0_5tupleIJPsSJ_EEENSR_IJSJ_SJ_EEES6_PlJS6_EEE10hipError_tPvRmT3_T4_T5_T6_T7_T9_mT8_P12ihipStream_tbDpT10_ENKUlT_T0_E_clISt17integral_constantIbLb1EES1E_IbLb0EEEEDaS1A_S1B_EUlS1A_E_NS1_11comp_targetILNS1_3genE9ELNS1_11target_archE1100ELNS1_3gpuE3ELNS1_3repE0EEENS1_30default_config_static_selectorELNS0_4arch9wavefront6targetE1EEEvT1_, .Lfunc_end278-_ZN7rocprim17ROCPRIM_400000_NS6detail17trampoline_kernelINS0_14default_configENS1_25partition_config_selectorILNS1_17partition_subalgoE2EsNS0_10empty_typeEbEEZZNS1_14partition_implILS5_2ELb0ES3_jN6thrust23THRUST_200600_302600_NS6detail15normal_iteratorINSA_7pointerIsNSA_11hip_rocprim3tagENSA_11use_defaultESG_EEEEPS6_NSA_18transform_iteratorI7is_evenIsENSC_INSA_10device_ptrIsEEEESG_SG_EENS0_5tupleIJPsSJ_EEENSR_IJSJ_SJ_EEES6_PlJS6_EEE10hipError_tPvRmT3_T4_T5_T6_T7_T9_mT8_P12ihipStream_tbDpT10_ENKUlT_T0_E_clISt17integral_constantIbLb1EES1E_IbLb0EEEEDaS1A_S1B_EUlS1A_E_NS1_11comp_targetILNS1_3genE9ELNS1_11target_archE1100ELNS1_3gpuE3ELNS1_3repE0EEENS1_30default_config_static_selectorELNS0_4arch9wavefront6targetE1EEEvT1_
                                        ; -- End function
	.section	.AMDGPU.csdata,"",@progbits
; Kernel info:
; codeLenInByte = 0
; NumSgprs: 4
; NumVgprs: 0
; NumAgprs: 0
; TotalNumVgprs: 0
; ScratchSize: 0
; MemoryBound: 0
; FloatMode: 240
; IeeeMode: 1
; LDSByteSize: 0 bytes/workgroup (compile time only)
; SGPRBlocks: 0
; VGPRBlocks: 0
; NumSGPRsForWavesPerEU: 4
; NumVGPRsForWavesPerEU: 1
; AccumOffset: 4
; Occupancy: 8
; WaveLimiterHint : 0
; COMPUTE_PGM_RSRC2:SCRATCH_EN: 0
; COMPUTE_PGM_RSRC2:USER_SGPR: 6
; COMPUTE_PGM_RSRC2:TRAP_HANDLER: 0
; COMPUTE_PGM_RSRC2:TGID_X_EN: 1
; COMPUTE_PGM_RSRC2:TGID_Y_EN: 0
; COMPUTE_PGM_RSRC2:TGID_Z_EN: 0
; COMPUTE_PGM_RSRC2:TIDIG_COMP_CNT: 0
; COMPUTE_PGM_RSRC3_GFX90A:ACCUM_OFFSET: 0
; COMPUTE_PGM_RSRC3_GFX90A:TG_SPLIT: 0
	.section	.text._ZN7rocprim17ROCPRIM_400000_NS6detail17trampoline_kernelINS0_14default_configENS1_25partition_config_selectorILNS1_17partition_subalgoE2EsNS0_10empty_typeEbEEZZNS1_14partition_implILS5_2ELb0ES3_jN6thrust23THRUST_200600_302600_NS6detail15normal_iteratorINSA_7pointerIsNSA_11hip_rocprim3tagENSA_11use_defaultESG_EEEEPS6_NSA_18transform_iteratorI7is_evenIsENSC_INSA_10device_ptrIsEEEESG_SG_EENS0_5tupleIJPsSJ_EEENSR_IJSJ_SJ_EEES6_PlJS6_EEE10hipError_tPvRmT3_T4_T5_T6_T7_T9_mT8_P12ihipStream_tbDpT10_ENKUlT_T0_E_clISt17integral_constantIbLb1EES1E_IbLb0EEEEDaS1A_S1B_EUlS1A_E_NS1_11comp_targetILNS1_3genE8ELNS1_11target_archE1030ELNS1_3gpuE2ELNS1_3repE0EEENS1_30default_config_static_selectorELNS0_4arch9wavefront6targetE1EEEvT1_,"axG",@progbits,_ZN7rocprim17ROCPRIM_400000_NS6detail17trampoline_kernelINS0_14default_configENS1_25partition_config_selectorILNS1_17partition_subalgoE2EsNS0_10empty_typeEbEEZZNS1_14partition_implILS5_2ELb0ES3_jN6thrust23THRUST_200600_302600_NS6detail15normal_iteratorINSA_7pointerIsNSA_11hip_rocprim3tagENSA_11use_defaultESG_EEEEPS6_NSA_18transform_iteratorI7is_evenIsENSC_INSA_10device_ptrIsEEEESG_SG_EENS0_5tupleIJPsSJ_EEENSR_IJSJ_SJ_EEES6_PlJS6_EEE10hipError_tPvRmT3_T4_T5_T6_T7_T9_mT8_P12ihipStream_tbDpT10_ENKUlT_T0_E_clISt17integral_constantIbLb1EES1E_IbLb0EEEEDaS1A_S1B_EUlS1A_E_NS1_11comp_targetILNS1_3genE8ELNS1_11target_archE1030ELNS1_3gpuE2ELNS1_3repE0EEENS1_30default_config_static_selectorELNS0_4arch9wavefront6targetE1EEEvT1_,comdat
	.protected	_ZN7rocprim17ROCPRIM_400000_NS6detail17trampoline_kernelINS0_14default_configENS1_25partition_config_selectorILNS1_17partition_subalgoE2EsNS0_10empty_typeEbEEZZNS1_14partition_implILS5_2ELb0ES3_jN6thrust23THRUST_200600_302600_NS6detail15normal_iteratorINSA_7pointerIsNSA_11hip_rocprim3tagENSA_11use_defaultESG_EEEEPS6_NSA_18transform_iteratorI7is_evenIsENSC_INSA_10device_ptrIsEEEESG_SG_EENS0_5tupleIJPsSJ_EEENSR_IJSJ_SJ_EEES6_PlJS6_EEE10hipError_tPvRmT3_T4_T5_T6_T7_T9_mT8_P12ihipStream_tbDpT10_ENKUlT_T0_E_clISt17integral_constantIbLb1EES1E_IbLb0EEEEDaS1A_S1B_EUlS1A_E_NS1_11comp_targetILNS1_3genE8ELNS1_11target_archE1030ELNS1_3gpuE2ELNS1_3repE0EEENS1_30default_config_static_selectorELNS0_4arch9wavefront6targetE1EEEvT1_ ; -- Begin function _ZN7rocprim17ROCPRIM_400000_NS6detail17trampoline_kernelINS0_14default_configENS1_25partition_config_selectorILNS1_17partition_subalgoE2EsNS0_10empty_typeEbEEZZNS1_14partition_implILS5_2ELb0ES3_jN6thrust23THRUST_200600_302600_NS6detail15normal_iteratorINSA_7pointerIsNSA_11hip_rocprim3tagENSA_11use_defaultESG_EEEEPS6_NSA_18transform_iteratorI7is_evenIsENSC_INSA_10device_ptrIsEEEESG_SG_EENS0_5tupleIJPsSJ_EEENSR_IJSJ_SJ_EEES6_PlJS6_EEE10hipError_tPvRmT3_T4_T5_T6_T7_T9_mT8_P12ihipStream_tbDpT10_ENKUlT_T0_E_clISt17integral_constantIbLb1EES1E_IbLb0EEEEDaS1A_S1B_EUlS1A_E_NS1_11comp_targetILNS1_3genE8ELNS1_11target_archE1030ELNS1_3gpuE2ELNS1_3repE0EEENS1_30default_config_static_selectorELNS0_4arch9wavefront6targetE1EEEvT1_
	.globl	_ZN7rocprim17ROCPRIM_400000_NS6detail17trampoline_kernelINS0_14default_configENS1_25partition_config_selectorILNS1_17partition_subalgoE2EsNS0_10empty_typeEbEEZZNS1_14partition_implILS5_2ELb0ES3_jN6thrust23THRUST_200600_302600_NS6detail15normal_iteratorINSA_7pointerIsNSA_11hip_rocprim3tagENSA_11use_defaultESG_EEEEPS6_NSA_18transform_iteratorI7is_evenIsENSC_INSA_10device_ptrIsEEEESG_SG_EENS0_5tupleIJPsSJ_EEENSR_IJSJ_SJ_EEES6_PlJS6_EEE10hipError_tPvRmT3_T4_T5_T6_T7_T9_mT8_P12ihipStream_tbDpT10_ENKUlT_T0_E_clISt17integral_constantIbLb1EES1E_IbLb0EEEEDaS1A_S1B_EUlS1A_E_NS1_11comp_targetILNS1_3genE8ELNS1_11target_archE1030ELNS1_3gpuE2ELNS1_3repE0EEENS1_30default_config_static_selectorELNS0_4arch9wavefront6targetE1EEEvT1_
	.p2align	8
	.type	_ZN7rocprim17ROCPRIM_400000_NS6detail17trampoline_kernelINS0_14default_configENS1_25partition_config_selectorILNS1_17partition_subalgoE2EsNS0_10empty_typeEbEEZZNS1_14partition_implILS5_2ELb0ES3_jN6thrust23THRUST_200600_302600_NS6detail15normal_iteratorINSA_7pointerIsNSA_11hip_rocprim3tagENSA_11use_defaultESG_EEEEPS6_NSA_18transform_iteratorI7is_evenIsENSC_INSA_10device_ptrIsEEEESG_SG_EENS0_5tupleIJPsSJ_EEENSR_IJSJ_SJ_EEES6_PlJS6_EEE10hipError_tPvRmT3_T4_T5_T6_T7_T9_mT8_P12ihipStream_tbDpT10_ENKUlT_T0_E_clISt17integral_constantIbLb1EES1E_IbLb0EEEEDaS1A_S1B_EUlS1A_E_NS1_11comp_targetILNS1_3genE8ELNS1_11target_archE1030ELNS1_3gpuE2ELNS1_3repE0EEENS1_30default_config_static_selectorELNS0_4arch9wavefront6targetE1EEEvT1_,@function
_ZN7rocprim17ROCPRIM_400000_NS6detail17trampoline_kernelINS0_14default_configENS1_25partition_config_selectorILNS1_17partition_subalgoE2EsNS0_10empty_typeEbEEZZNS1_14partition_implILS5_2ELb0ES3_jN6thrust23THRUST_200600_302600_NS6detail15normal_iteratorINSA_7pointerIsNSA_11hip_rocprim3tagENSA_11use_defaultESG_EEEEPS6_NSA_18transform_iteratorI7is_evenIsENSC_INSA_10device_ptrIsEEEESG_SG_EENS0_5tupleIJPsSJ_EEENSR_IJSJ_SJ_EEES6_PlJS6_EEE10hipError_tPvRmT3_T4_T5_T6_T7_T9_mT8_P12ihipStream_tbDpT10_ENKUlT_T0_E_clISt17integral_constantIbLb1EES1E_IbLb0EEEEDaS1A_S1B_EUlS1A_E_NS1_11comp_targetILNS1_3genE8ELNS1_11target_archE1030ELNS1_3gpuE2ELNS1_3repE0EEENS1_30default_config_static_selectorELNS0_4arch9wavefront6targetE1EEEvT1_: ; @_ZN7rocprim17ROCPRIM_400000_NS6detail17trampoline_kernelINS0_14default_configENS1_25partition_config_selectorILNS1_17partition_subalgoE2EsNS0_10empty_typeEbEEZZNS1_14partition_implILS5_2ELb0ES3_jN6thrust23THRUST_200600_302600_NS6detail15normal_iteratorINSA_7pointerIsNSA_11hip_rocprim3tagENSA_11use_defaultESG_EEEEPS6_NSA_18transform_iteratorI7is_evenIsENSC_INSA_10device_ptrIsEEEESG_SG_EENS0_5tupleIJPsSJ_EEENSR_IJSJ_SJ_EEES6_PlJS6_EEE10hipError_tPvRmT3_T4_T5_T6_T7_T9_mT8_P12ihipStream_tbDpT10_ENKUlT_T0_E_clISt17integral_constantIbLb1EES1E_IbLb0EEEEDaS1A_S1B_EUlS1A_E_NS1_11comp_targetILNS1_3genE8ELNS1_11target_archE1030ELNS1_3gpuE2ELNS1_3repE0EEENS1_30default_config_static_selectorELNS0_4arch9wavefront6targetE1EEEvT1_
; %bb.0:
	.section	.rodata,"a",@progbits
	.p2align	6, 0x0
	.amdhsa_kernel _ZN7rocprim17ROCPRIM_400000_NS6detail17trampoline_kernelINS0_14default_configENS1_25partition_config_selectorILNS1_17partition_subalgoE2EsNS0_10empty_typeEbEEZZNS1_14partition_implILS5_2ELb0ES3_jN6thrust23THRUST_200600_302600_NS6detail15normal_iteratorINSA_7pointerIsNSA_11hip_rocprim3tagENSA_11use_defaultESG_EEEEPS6_NSA_18transform_iteratorI7is_evenIsENSC_INSA_10device_ptrIsEEEESG_SG_EENS0_5tupleIJPsSJ_EEENSR_IJSJ_SJ_EEES6_PlJS6_EEE10hipError_tPvRmT3_T4_T5_T6_T7_T9_mT8_P12ihipStream_tbDpT10_ENKUlT_T0_E_clISt17integral_constantIbLb1EES1E_IbLb0EEEEDaS1A_S1B_EUlS1A_E_NS1_11comp_targetILNS1_3genE8ELNS1_11target_archE1030ELNS1_3gpuE2ELNS1_3repE0EEENS1_30default_config_static_selectorELNS0_4arch9wavefront6targetE1EEEvT1_
		.amdhsa_group_segment_fixed_size 0
		.amdhsa_private_segment_fixed_size 0
		.amdhsa_kernarg_size 128
		.amdhsa_user_sgpr_count 6
		.amdhsa_user_sgpr_private_segment_buffer 1
		.amdhsa_user_sgpr_dispatch_ptr 0
		.amdhsa_user_sgpr_queue_ptr 0
		.amdhsa_user_sgpr_kernarg_segment_ptr 1
		.amdhsa_user_sgpr_dispatch_id 0
		.amdhsa_user_sgpr_flat_scratch_init 0
		.amdhsa_user_sgpr_kernarg_preload_length 0
		.amdhsa_user_sgpr_kernarg_preload_offset 0
		.amdhsa_user_sgpr_private_segment_size 0
		.amdhsa_uses_dynamic_stack 0
		.amdhsa_system_sgpr_private_segment_wavefront_offset 0
		.amdhsa_system_sgpr_workgroup_id_x 1
		.amdhsa_system_sgpr_workgroup_id_y 0
		.amdhsa_system_sgpr_workgroup_id_z 0
		.amdhsa_system_sgpr_workgroup_info 0
		.amdhsa_system_vgpr_workitem_id 0
		.amdhsa_next_free_vgpr 1
		.amdhsa_next_free_sgpr 0
		.amdhsa_accum_offset 4
		.amdhsa_reserve_vcc 0
		.amdhsa_reserve_flat_scratch 0
		.amdhsa_float_round_mode_32 0
		.amdhsa_float_round_mode_16_64 0
		.amdhsa_float_denorm_mode_32 3
		.amdhsa_float_denorm_mode_16_64 3
		.amdhsa_dx10_clamp 1
		.amdhsa_ieee_mode 1
		.amdhsa_fp16_overflow 0
		.amdhsa_tg_split 0
		.amdhsa_exception_fp_ieee_invalid_op 0
		.amdhsa_exception_fp_denorm_src 0
		.amdhsa_exception_fp_ieee_div_zero 0
		.amdhsa_exception_fp_ieee_overflow 0
		.amdhsa_exception_fp_ieee_underflow 0
		.amdhsa_exception_fp_ieee_inexact 0
		.amdhsa_exception_int_div_zero 0
	.end_amdhsa_kernel
	.section	.text._ZN7rocprim17ROCPRIM_400000_NS6detail17trampoline_kernelINS0_14default_configENS1_25partition_config_selectorILNS1_17partition_subalgoE2EsNS0_10empty_typeEbEEZZNS1_14partition_implILS5_2ELb0ES3_jN6thrust23THRUST_200600_302600_NS6detail15normal_iteratorINSA_7pointerIsNSA_11hip_rocprim3tagENSA_11use_defaultESG_EEEEPS6_NSA_18transform_iteratorI7is_evenIsENSC_INSA_10device_ptrIsEEEESG_SG_EENS0_5tupleIJPsSJ_EEENSR_IJSJ_SJ_EEES6_PlJS6_EEE10hipError_tPvRmT3_T4_T5_T6_T7_T9_mT8_P12ihipStream_tbDpT10_ENKUlT_T0_E_clISt17integral_constantIbLb1EES1E_IbLb0EEEEDaS1A_S1B_EUlS1A_E_NS1_11comp_targetILNS1_3genE8ELNS1_11target_archE1030ELNS1_3gpuE2ELNS1_3repE0EEENS1_30default_config_static_selectorELNS0_4arch9wavefront6targetE1EEEvT1_,"axG",@progbits,_ZN7rocprim17ROCPRIM_400000_NS6detail17trampoline_kernelINS0_14default_configENS1_25partition_config_selectorILNS1_17partition_subalgoE2EsNS0_10empty_typeEbEEZZNS1_14partition_implILS5_2ELb0ES3_jN6thrust23THRUST_200600_302600_NS6detail15normal_iteratorINSA_7pointerIsNSA_11hip_rocprim3tagENSA_11use_defaultESG_EEEEPS6_NSA_18transform_iteratorI7is_evenIsENSC_INSA_10device_ptrIsEEEESG_SG_EENS0_5tupleIJPsSJ_EEENSR_IJSJ_SJ_EEES6_PlJS6_EEE10hipError_tPvRmT3_T4_T5_T6_T7_T9_mT8_P12ihipStream_tbDpT10_ENKUlT_T0_E_clISt17integral_constantIbLb1EES1E_IbLb0EEEEDaS1A_S1B_EUlS1A_E_NS1_11comp_targetILNS1_3genE8ELNS1_11target_archE1030ELNS1_3gpuE2ELNS1_3repE0EEENS1_30default_config_static_selectorELNS0_4arch9wavefront6targetE1EEEvT1_,comdat
.Lfunc_end279:
	.size	_ZN7rocprim17ROCPRIM_400000_NS6detail17trampoline_kernelINS0_14default_configENS1_25partition_config_selectorILNS1_17partition_subalgoE2EsNS0_10empty_typeEbEEZZNS1_14partition_implILS5_2ELb0ES3_jN6thrust23THRUST_200600_302600_NS6detail15normal_iteratorINSA_7pointerIsNSA_11hip_rocprim3tagENSA_11use_defaultESG_EEEEPS6_NSA_18transform_iteratorI7is_evenIsENSC_INSA_10device_ptrIsEEEESG_SG_EENS0_5tupleIJPsSJ_EEENSR_IJSJ_SJ_EEES6_PlJS6_EEE10hipError_tPvRmT3_T4_T5_T6_T7_T9_mT8_P12ihipStream_tbDpT10_ENKUlT_T0_E_clISt17integral_constantIbLb1EES1E_IbLb0EEEEDaS1A_S1B_EUlS1A_E_NS1_11comp_targetILNS1_3genE8ELNS1_11target_archE1030ELNS1_3gpuE2ELNS1_3repE0EEENS1_30default_config_static_selectorELNS0_4arch9wavefront6targetE1EEEvT1_, .Lfunc_end279-_ZN7rocprim17ROCPRIM_400000_NS6detail17trampoline_kernelINS0_14default_configENS1_25partition_config_selectorILNS1_17partition_subalgoE2EsNS0_10empty_typeEbEEZZNS1_14partition_implILS5_2ELb0ES3_jN6thrust23THRUST_200600_302600_NS6detail15normal_iteratorINSA_7pointerIsNSA_11hip_rocprim3tagENSA_11use_defaultESG_EEEEPS6_NSA_18transform_iteratorI7is_evenIsENSC_INSA_10device_ptrIsEEEESG_SG_EENS0_5tupleIJPsSJ_EEENSR_IJSJ_SJ_EEES6_PlJS6_EEE10hipError_tPvRmT3_T4_T5_T6_T7_T9_mT8_P12ihipStream_tbDpT10_ENKUlT_T0_E_clISt17integral_constantIbLb1EES1E_IbLb0EEEEDaS1A_S1B_EUlS1A_E_NS1_11comp_targetILNS1_3genE8ELNS1_11target_archE1030ELNS1_3gpuE2ELNS1_3repE0EEENS1_30default_config_static_selectorELNS0_4arch9wavefront6targetE1EEEvT1_
                                        ; -- End function
	.section	.AMDGPU.csdata,"",@progbits
; Kernel info:
; codeLenInByte = 0
; NumSgprs: 4
; NumVgprs: 0
; NumAgprs: 0
; TotalNumVgprs: 0
; ScratchSize: 0
; MemoryBound: 0
; FloatMode: 240
; IeeeMode: 1
; LDSByteSize: 0 bytes/workgroup (compile time only)
; SGPRBlocks: 0
; VGPRBlocks: 0
; NumSGPRsForWavesPerEU: 4
; NumVGPRsForWavesPerEU: 1
; AccumOffset: 4
; Occupancy: 8
; WaveLimiterHint : 0
; COMPUTE_PGM_RSRC2:SCRATCH_EN: 0
; COMPUTE_PGM_RSRC2:USER_SGPR: 6
; COMPUTE_PGM_RSRC2:TRAP_HANDLER: 0
; COMPUTE_PGM_RSRC2:TGID_X_EN: 1
; COMPUTE_PGM_RSRC2:TGID_Y_EN: 0
; COMPUTE_PGM_RSRC2:TGID_Z_EN: 0
; COMPUTE_PGM_RSRC2:TIDIG_COMP_CNT: 0
; COMPUTE_PGM_RSRC3_GFX90A:ACCUM_OFFSET: 0
; COMPUTE_PGM_RSRC3_GFX90A:TG_SPLIT: 0
	.section	.text._ZN7rocprim17ROCPRIM_400000_NS6detail17trampoline_kernelINS0_14default_configENS1_25partition_config_selectorILNS1_17partition_subalgoE2EsNS0_10empty_typeEbEEZZNS1_14partition_implILS5_2ELb0ES3_jN6thrust23THRUST_200600_302600_NS6detail15normal_iteratorINSA_7pointerIsNSA_11hip_rocprim3tagENSA_11use_defaultESG_EEEEPS6_NSA_18transform_iteratorI7is_evenIsENSC_INSA_10device_ptrIsEEEESG_SG_EENS0_5tupleIJPsSJ_EEENSR_IJSJ_SJ_EEES6_PlJS6_EEE10hipError_tPvRmT3_T4_T5_T6_T7_T9_mT8_P12ihipStream_tbDpT10_ENKUlT_T0_E_clISt17integral_constantIbLb0EES1E_IbLb1EEEEDaS1A_S1B_EUlS1A_E_NS1_11comp_targetILNS1_3genE0ELNS1_11target_archE4294967295ELNS1_3gpuE0ELNS1_3repE0EEENS1_30default_config_static_selectorELNS0_4arch9wavefront6targetE1EEEvT1_,"axG",@progbits,_ZN7rocprim17ROCPRIM_400000_NS6detail17trampoline_kernelINS0_14default_configENS1_25partition_config_selectorILNS1_17partition_subalgoE2EsNS0_10empty_typeEbEEZZNS1_14partition_implILS5_2ELb0ES3_jN6thrust23THRUST_200600_302600_NS6detail15normal_iteratorINSA_7pointerIsNSA_11hip_rocprim3tagENSA_11use_defaultESG_EEEEPS6_NSA_18transform_iteratorI7is_evenIsENSC_INSA_10device_ptrIsEEEESG_SG_EENS0_5tupleIJPsSJ_EEENSR_IJSJ_SJ_EEES6_PlJS6_EEE10hipError_tPvRmT3_T4_T5_T6_T7_T9_mT8_P12ihipStream_tbDpT10_ENKUlT_T0_E_clISt17integral_constantIbLb0EES1E_IbLb1EEEEDaS1A_S1B_EUlS1A_E_NS1_11comp_targetILNS1_3genE0ELNS1_11target_archE4294967295ELNS1_3gpuE0ELNS1_3repE0EEENS1_30default_config_static_selectorELNS0_4arch9wavefront6targetE1EEEvT1_,comdat
	.protected	_ZN7rocprim17ROCPRIM_400000_NS6detail17trampoline_kernelINS0_14default_configENS1_25partition_config_selectorILNS1_17partition_subalgoE2EsNS0_10empty_typeEbEEZZNS1_14partition_implILS5_2ELb0ES3_jN6thrust23THRUST_200600_302600_NS6detail15normal_iteratorINSA_7pointerIsNSA_11hip_rocprim3tagENSA_11use_defaultESG_EEEEPS6_NSA_18transform_iteratorI7is_evenIsENSC_INSA_10device_ptrIsEEEESG_SG_EENS0_5tupleIJPsSJ_EEENSR_IJSJ_SJ_EEES6_PlJS6_EEE10hipError_tPvRmT3_T4_T5_T6_T7_T9_mT8_P12ihipStream_tbDpT10_ENKUlT_T0_E_clISt17integral_constantIbLb0EES1E_IbLb1EEEEDaS1A_S1B_EUlS1A_E_NS1_11comp_targetILNS1_3genE0ELNS1_11target_archE4294967295ELNS1_3gpuE0ELNS1_3repE0EEENS1_30default_config_static_selectorELNS0_4arch9wavefront6targetE1EEEvT1_ ; -- Begin function _ZN7rocprim17ROCPRIM_400000_NS6detail17trampoline_kernelINS0_14default_configENS1_25partition_config_selectorILNS1_17partition_subalgoE2EsNS0_10empty_typeEbEEZZNS1_14partition_implILS5_2ELb0ES3_jN6thrust23THRUST_200600_302600_NS6detail15normal_iteratorINSA_7pointerIsNSA_11hip_rocprim3tagENSA_11use_defaultESG_EEEEPS6_NSA_18transform_iteratorI7is_evenIsENSC_INSA_10device_ptrIsEEEESG_SG_EENS0_5tupleIJPsSJ_EEENSR_IJSJ_SJ_EEES6_PlJS6_EEE10hipError_tPvRmT3_T4_T5_T6_T7_T9_mT8_P12ihipStream_tbDpT10_ENKUlT_T0_E_clISt17integral_constantIbLb0EES1E_IbLb1EEEEDaS1A_S1B_EUlS1A_E_NS1_11comp_targetILNS1_3genE0ELNS1_11target_archE4294967295ELNS1_3gpuE0ELNS1_3repE0EEENS1_30default_config_static_selectorELNS0_4arch9wavefront6targetE1EEEvT1_
	.globl	_ZN7rocprim17ROCPRIM_400000_NS6detail17trampoline_kernelINS0_14default_configENS1_25partition_config_selectorILNS1_17partition_subalgoE2EsNS0_10empty_typeEbEEZZNS1_14partition_implILS5_2ELb0ES3_jN6thrust23THRUST_200600_302600_NS6detail15normal_iteratorINSA_7pointerIsNSA_11hip_rocprim3tagENSA_11use_defaultESG_EEEEPS6_NSA_18transform_iteratorI7is_evenIsENSC_INSA_10device_ptrIsEEEESG_SG_EENS0_5tupleIJPsSJ_EEENSR_IJSJ_SJ_EEES6_PlJS6_EEE10hipError_tPvRmT3_T4_T5_T6_T7_T9_mT8_P12ihipStream_tbDpT10_ENKUlT_T0_E_clISt17integral_constantIbLb0EES1E_IbLb1EEEEDaS1A_S1B_EUlS1A_E_NS1_11comp_targetILNS1_3genE0ELNS1_11target_archE4294967295ELNS1_3gpuE0ELNS1_3repE0EEENS1_30default_config_static_selectorELNS0_4arch9wavefront6targetE1EEEvT1_
	.p2align	8
	.type	_ZN7rocprim17ROCPRIM_400000_NS6detail17trampoline_kernelINS0_14default_configENS1_25partition_config_selectorILNS1_17partition_subalgoE2EsNS0_10empty_typeEbEEZZNS1_14partition_implILS5_2ELb0ES3_jN6thrust23THRUST_200600_302600_NS6detail15normal_iteratorINSA_7pointerIsNSA_11hip_rocprim3tagENSA_11use_defaultESG_EEEEPS6_NSA_18transform_iteratorI7is_evenIsENSC_INSA_10device_ptrIsEEEESG_SG_EENS0_5tupleIJPsSJ_EEENSR_IJSJ_SJ_EEES6_PlJS6_EEE10hipError_tPvRmT3_T4_T5_T6_T7_T9_mT8_P12ihipStream_tbDpT10_ENKUlT_T0_E_clISt17integral_constantIbLb0EES1E_IbLb1EEEEDaS1A_S1B_EUlS1A_E_NS1_11comp_targetILNS1_3genE0ELNS1_11target_archE4294967295ELNS1_3gpuE0ELNS1_3repE0EEENS1_30default_config_static_selectorELNS0_4arch9wavefront6targetE1EEEvT1_,@function
_ZN7rocprim17ROCPRIM_400000_NS6detail17trampoline_kernelINS0_14default_configENS1_25partition_config_selectorILNS1_17partition_subalgoE2EsNS0_10empty_typeEbEEZZNS1_14partition_implILS5_2ELb0ES3_jN6thrust23THRUST_200600_302600_NS6detail15normal_iteratorINSA_7pointerIsNSA_11hip_rocprim3tagENSA_11use_defaultESG_EEEEPS6_NSA_18transform_iteratorI7is_evenIsENSC_INSA_10device_ptrIsEEEESG_SG_EENS0_5tupleIJPsSJ_EEENSR_IJSJ_SJ_EEES6_PlJS6_EEE10hipError_tPvRmT3_T4_T5_T6_T7_T9_mT8_P12ihipStream_tbDpT10_ENKUlT_T0_E_clISt17integral_constantIbLb0EES1E_IbLb1EEEEDaS1A_S1B_EUlS1A_E_NS1_11comp_targetILNS1_3genE0ELNS1_11target_archE4294967295ELNS1_3gpuE0ELNS1_3repE0EEENS1_30default_config_static_selectorELNS0_4arch9wavefront6targetE1EEEvT1_: ; @_ZN7rocprim17ROCPRIM_400000_NS6detail17trampoline_kernelINS0_14default_configENS1_25partition_config_selectorILNS1_17partition_subalgoE2EsNS0_10empty_typeEbEEZZNS1_14partition_implILS5_2ELb0ES3_jN6thrust23THRUST_200600_302600_NS6detail15normal_iteratorINSA_7pointerIsNSA_11hip_rocprim3tagENSA_11use_defaultESG_EEEEPS6_NSA_18transform_iteratorI7is_evenIsENSC_INSA_10device_ptrIsEEEESG_SG_EENS0_5tupleIJPsSJ_EEENSR_IJSJ_SJ_EEES6_PlJS6_EEE10hipError_tPvRmT3_T4_T5_T6_T7_T9_mT8_P12ihipStream_tbDpT10_ENKUlT_T0_E_clISt17integral_constantIbLb0EES1E_IbLb1EEEEDaS1A_S1B_EUlS1A_E_NS1_11comp_targetILNS1_3genE0ELNS1_11target_archE4294967295ELNS1_3gpuE0ELNS1_3repE0EEENS1_30default_config_static_selectorELNS0_4arch9wavefront6targetE1EEEvT1_
; %bb.0:
	.section	.rodata,"a",@progbits
	.p2align	6, 0x0
	.amdhsa_kernel _ZN7rocprim17ROCPRIM_400000_NS6detail17trampoline_kernelINS0_14default_configENS1_25partition_config_selectorILNS1_17partition_subalgoE2EsNS0_10empty_typeEbEEZZNS1_14partition_implILS5_2ELb0ES3_jN6thrust23THRUST_200600_302600_NS6detail15normal_iteratorINSA_7pointerIsNSA_11hip_rocprim3tagENSA_11use_defaultESG_EEEEPS6_NSA_18transform_iteratorI7is_evenIsENSC_INSA_10device_ptrIsEEEESG_SG_EENS0_5tupleIJPsSJ_EEENSR_IJSJ_SJ_EEES6_PlJS6_EEE10hipError_tPvRmT3_T4_T5_T6_T7_T9_mT8_P12ihipStream_tbDpT10_ENKUlT_T0_E_clISt17integral_constantIbLb0EES1E_IbLb1EEEEDaS1A_S1B_EUlS1A_E_NS1_11comp_targetILNS1_3genE0ELNS1_11target_archE4294967295ELNS1_3gpuE0ELNS1_3repE0EEENS1_30default_config_static_selectorELNS0_4arch9wavefront6targetE1EEEvT1_
		.amdhsa_group_segment_fixed_size 0
		.amdhsa_private_segment_fixed_size 0
		.amdhsa_kernarg_size 144
		.amdhsa_user_sgpr_count 6
		.amdhsa_user_sgpr_private_segment_buffer 1
		.amdhsa_user_sgpr_dispatch_ptr 0
		.amdhsa_user_sgpr_queue_ptr 0
		.amdhsa_user_sgpr_kernarg_segment_ptr 1
		.amdhsa_user_sgpr_dispatch_id 0
		.amdhsa_user_sgpr_flat_scratch_init 0
		.amdhsa_user_sgpr_kernarg_preload_length 0
		.amdhsa_user_sgpr_kernarg_preload_offset 0
		.amdhsa_user_sgpr_private_segment_size 0
		.amdhsa_uses_dynamic_stack 0
		.amdhsa_system_sgpr_private_segment_wavefront_offset 0
		.amdhsa_system_sgpr_workgroup_id_x 1
		.amdhsa_system_sgpr_workgroup_id_y 0
		.amdhsa_system_sgpr_workgroup_id_z 0
		.amdhsa_system_sgpr_workgroup_info 0
		.amdhsa_system_vgpr_workitem_id 0
		.amdhsa_next_free_vgpr 1
		.amdhsa_next_free_sgpr 0
		.amdhsa_accum_offset 4
		.amdhsa_reserve_vcc 0
		.amdhsa_reserve_flat_scratch 0
		.amdhsa_float_round_mode_32 0
		.amdhsa_float_round_mode_16_64 0
		.amdhsa_float_denorm_mode_32 3
		.amdhsa_float_denorm_mode_16_64 3
		.amdhsa_dx10_clamp 1
		.amdhsa_ieee_mode 1
		.amdhsa_fp16_overflow 0
		.amdhsa_tg_split 0
		.amdhsa_exception_fp_ieee_invalid_op 0
		.amdhsa_exception_fp_denorm_src 0
		.amdhsa_exception_fp_ieee_div_zero 0
		.amdhsa_exception_fp_ieee_overflow 0
		.amdhsa_exception_fp_ieee_underflow 0
		.amdhsa_exception_fp_ieee_inexact 0
		.amdhsa_exception_int_div_zero 0
	.end_amdhsa_kernel
	.section	.text._ZN7rocprim17ROCPRIM_400000_NS6detail17trampoline_kernelINS0_14default_configENS1_25partition_config_selectorILNS1_17partition_subalgoE2EsNS0_10empty_typeEbEEZZNS1_14partition_implILS5_2ELb0ES3_jN6thrust23THRUST_200600_302600_NS6detail15normal_iteratorINSA_7pointerIsNSA_11hip_rocprim3tagENSA_11use_defaultESG_EEEEPS6_NSA_18transform_iteratorI7is_evenIsENSC_INSA_10device_ptrIsEEEESG_SG_EENS0_5tupleIJPsSJ_EEENSR_IJSJ_SJ_EEES6_PlJS6_EEE10hipError_tPvRmT3_T4_T5_T6_T7_T9_mT8_P12ihipStream_tbDpT10_ENKUlT_T0_E_clISt17integral_constantIbLb0EES1E_IbLb1EEEEDaS1A_S1B_EUlS1A_E_NS1_11comp_targetILNS1_3genE0ELNS1_11target_archE4294967295ELNS1_3gpuE0ELNS1_3repE0EEENS1_30default_config_static_selectorELNS0_4arch9wavefront6targetE1EEEvT1_,"axG",@progbits,_ZN7rocprim17ROCPRIM_400000_NS6detail17trampoline_kernelINS0_14default_configENS1_25partition_config_selectorILNS1_17partition_subalgoE2EsNS0_10empty_typeEbEEZZNS1_14partition_implILS5_2ELb0ES3_jN6thrust23THRUST_200600_302600_NS6detail15normal_iteratorINSA_7pointerIsNSA_11hip_rocprim3tagENSA_11use_defaultESG_EEEEPS6_NSA_18transform_iteratorI7is_evenIsENSC_INSA_10device_ptrIsEEEESG_SG_EENS0_5tupleIJPsSJ_EEENSR_IJSJ_SJ_EEES6_PlJS6_EEE10hipError_tPvRmT3_T4_T5_T6_T7_T9_mT8_P12ihipStream_tbDpT10_ENKUlT_T0_E_clISt17integral_constantIbLb0EES1E_IbLb1EEEEDaS1A_S1B_EUlS1A_E_NS1_11comp_targetILNS1_3genE0ELNS1_11target_archE4294967295ELNS1_3gpuE0ELNS1_3repE0EEENS1_30default_config_static_selectorELNS0_4arch9wavefront6targetE1EEEvT1_,comdat
.Lfunc_end280:
	.size	_ZN7rocprim17ROCPRIM_400000_NS6detail17trampoline_kernelINS0_14default_configENS1_25partition_config_selectorILNS1_17partition_subalgoE2EsNS0_10empty_typeEbEEZZNS1_14partition_implILS5_2ELb0ES3_jN6thrust23THRUST_200600_302600_NS6detail15normal_iteratorINSA_7pointerIsNSA_11hip_rocprim3tagENSA_11use_defaultESG_EEEEPS6_NSA_18transform_iteratorI7is_evenIsENSC_INSA_10device_ptrIsEEEESG_SG_EENS0_5tupleIJPsSJ_EEENSR_IJSJ_SJ_EEES6_PlJS6_EEE10hipError_tPvRmT3_T4_T5_T6_T7_T9_mT8_P12ihipStream_tbDpT10_ENKUlT_T0_E_clISt17integral_constantIbLb0EES1E_IbLb1EEEEDaS1A_S1B_EUlS1A_E_NS1_11comp_targetILNS1_3genE0ELNS1_11target_archE4294967295ELNS1_3gpuE0ELNS1_3repE0EEENS1_30default_config_static_selectorELNS0_4arch9wavefront6targetE1EEEvT1_, .Lfunc_end280-_ZN7rocprim17ROCPRIM_400000_NS6detail17trampoline_kernelINS0_14default_configENS1_25partition_config_selectorILNS1_17partition_subalgoE2EsNS0_10empty_typeEbEEZZNS1_14partition_implILS5_2ELb0ES3_jN6thrust23THRUST_200600_302600_NS6detail15normal_iteratorINSA_7pointerIsNSA_11hip_rocprim3tagENSA_11use_defaultESG_EEEEPS6_NSA_18transform_iteratorI7is_evenIsENSC_INSA_10device_ptrIsEEEESG_SG_EENS0_5tupleIJPsSJ_EEENSR_IJSJ_SJ_EEES6_PlJS6_EEE10hipError_tPvRmT3_T4_T5_T6_T7_T9_mT8_P12ihipStream_tbDpT10_ENKUlT_T0_E_clISt17integral_constantIbLb0EES1E_IbLb1EEEEDaS1A_S1B_EUlS1A_E_NS1_11comp_targetILNS1_3genE0ELNS1_11target_archE4294967295ELNS1_3gpuE0ELNS1_3repE0EEENS1_30default_config_static_selectorELNS0_4arch9wavefront6targetE1EEEvT1_
                                        ; -- End function
	.section	.AMDGPU.csdata,"",@progbits
; Kernel info:
; codeLenInByte = 0
; NumSgprs: 4
; NumVgprs: 0
; NumAgprs: 0
; TotalNumVgprs: 0
; ScratchSize: 0
; MemoryBound: 0
; FloatMode: 240
; IeeeMode: 1
; LDSByteSize: 0 bytes/workgroup (compile time only)
; SGPRBlocks: 0
; VGPRBlocks: 0
; NumSGPRsForWavesPerEU: 4
; NumVGPRsForWavesPerEU: 1
; AccumOffset: 4
; Occupancy: 8
; WaveLimiterHint : 0
; COMPUTE_PGM_RSRC2:SCRATCH_EN: 0
; COMPUTE_PGM_RSRC2:USER_SGPR: 6
; COMPUTE_PGM_RSRC2:TRAP_HANDLER: 0
; COMPUTE_PGM_RSRC2:TGID_X_EN: 1
; COMPUTE_PGM_RSRC2:TGID_Y_EN: 0
; COMPUTE_PGM_RSRC2:TGID_Z_EN: 0
; COMPUTE_PGM_RSRC2:TIDIG_COMP_CNT: 0
; COMPUTE_PGM_RSRC3_GFX90A:ACCUM_OFFSET: 0
; COMPUTE_PGM_RSRC3_GFX90A:TG_SPLIT: 0
	.section	.text._ZN7rocprim17ROCPRIM_400000_NS6detail17trampoline_kernelINS0_14default_configENS1_25partition_config_selectorILNS1_17partition_subalgoE2EsNS0_10empty_typeEbEEZZNS1_14partition_implILS5_2ELb0ES3_jN6thrust23THRUST_200600_302600_NS6detail15normal_iteratorINSA_7pointerIsNSA_11hip_rocprim3tagENSA_11use_defaultESG_EEEEPS6_NSA_18transform_iteratorI7is_evenIsENSC_INSA_10device_ptrIsEEEESG_SG_EENS0_5tupleIJPsSJ_EEENSR_IJSJ_SJ_EEES6_PlJS6_EEE10hipError_tPvRmT3_T4_T5_T6_T7_T9_mT8_P12ihipStream_tbDpT10_ENKUlT_T0_E_clISt17integral_constantIbLb0EES1E_IbLb1EEEEDaS1A_S1B_EUlS1A_E_NS1_11comp_targetILNS1_3genE5ELNS1_11target_archE942ELNS1_3gpuE9ELNS1_3repE0EEENS1_30default_config_static_selectorELNS0_4arch9wavefront6targetE1EEEvT1_,"axG",@progbits,_ZN7rocprim17ROCPRIM_400000_NS6detail17trampoline_kernelINS0_14default_configENS1_25partition_config_selectorILNS1_17partition_subalgoE2EsNS0_10empty_typeEbEEZZNS1_14partition_implILS5_2ELb0ES3_jN6thrust23THRUST_200600_302600_NS6detail15normal_iteratorINSA_7pointerIsNSA_11hip_rocprim3tagENSA_11use_defaultESG_EEEEPS6_NSA_18transform_iteratorI7is_evenIsENSC_INSA_10device_ptrIsEEEESG_SG_EENS0_5tupleIJPsSJ_EEENSR_IJSJ_SJ_EEES6_PlJS6_EEE10hipError_tPvRmT3_T4_T5_T6_T7_T9_mT8_P12ihipStream_tbDpT10_ENKUlT_T0_E_clISt17integral_constantIbLb0EES1E_IbLb1EEEEDaS1A_S1B_EUlS1A_E_NS1_11comp_targetILNS1_3genE5ELNS1_11target_archE942ELNS1_3gpuE9ELNS1_3repE0EEENS1_30default_config_static_selectorELNS0_4arch9wavefront6targetE1EEEvT1_,comdat
	.protected	_ZN7rocprim17ROCPRIM_400000_NS6detail17trampoline_kernelINS0_14default_configENS1_25partition_config_selectorILNS1_17partition_subalgoE2EsNS0_10empty_typeEbEEZZNS1_14partition_implILS5_2ELb0ES3_jN6thrust23THRUST_200600_302600_NS6detail15normal_iteratorINSA_7pointerIsNSA_11hip_rocprim3tagENSA_11use_defaultESG_EEEEPS6_NSA_18transform_iteratorI7is_evenIsENSC_INSA_10device_ptrIsEEEESG_SG_EENS0_5tupleIJPsSJ_EEENSR_IJSJ_SJ_EEES6_PlJS6_EEE10hipError_tPvRmT3_T4_T5_T6_T7_T9_mT8_P12ihipStream_tbDpT10_ENKUlT_T0_E_clISt17integral_constantIbLb0EES1E_IbLb1EEEEDaS1A_S1B_EUlS1A_E_NS1_11comp_targetILNS1_3genE5ELNS1_11target_archE942ELNS1_3gpuE9ELNS1_3repE0EEENS1_30default_config_static_selectorELNS0_4arch9wavefront6targetE1EEEvT1_ ; -- Begin function _ZN7rocprim17ROCPRIM_400000_NS6detail17trampoline_kernelINS0_14default_configENS1_25partition_config_selectorILNS1_17partition_subalgoE2EsNS0_10empty_typeEbEEZZNS1_14partition_implILS5_2ELb0ES3_jN6thrust23THRUST_200600_302600_NS6detail15normal_iteratorINSA_7pointerIsNSA_11hip_rocprim3tagENSA_11use_defaultESG_EEEEPS6_NSA_18transform_iteratorI7is_evenIsENSC_INSA_10device_ptrIsEEEESG_SG_EENS0_5tupleIJPsSJ_EEENSR_IJSJ_SJ_EEES6_PlJS6_EEE10hipError_tPvRmT3_T4_T5_T6_T7_T9_mT8_P12ihipStream_tbDpT10_ENKUlT_T0_E_clISt17integral_constantIbLb0EES1E_IbLb1EEEEDaS1A_S1B_EUlS1A_E_NS1_11comp_targetILNS1_3genE5ELNS1_11target_archE942ELNS1_3gpuE9ELNS1_3repE0EEENS1_30default_config_static_selectorELNS0_4arch9wavefront6targetE1EEEvT1_
	.globl	_ZN7rocprim17ROCPRIM_400000_NS6detail17trampoline_kernelINS0_14default_configENS1_25partition_config_selectorILNS1_17partition_subalgoE2EsNS0_10empty_typeEbEEZZNS1_14partition_implILS5_2ELb0ES3_jN6thrust23THRUST_200600_302600_NS6detail15normal_iteratorINSA_7pointerIsNSA_11hip_rocprim3tagENSA_11use_defaultESG_EEEEPS6_NSA_18transform_iteratorI7is_evenIsENSC_INSA_10device_ptrIsEEEESG_SG_EENS0_5tupleIJPsSJ_EEENSR_IJSJ_SJ_EEES6_PlJS6_EEE10hipError_tPvRmT3_T4_T5_T6_T7_T9_mT8_P12ihipStream_tbDpT10_ENKUlT_T0_E_clISt17integral_constantIbLb0EES1E_IbLb1EEEEDaS1A_S1B_EUlS1A_E_NS1_11comp_targetILNS1_3genE5ELNS1_11target_archE942ELNS1_3gpuE9ELNS1_3repE0EEENS1_30default_config_static_selectorELNS0_4arch9wavefront6targetE1EEEvT1_
	.p2align	8
	.type	_ZN7rocprim17ROCPRIM_400000_NS6detail17trampoline_kernelINS0_14default_configENS1_25partition_config_selectorILNS1_17partition_subalgoE2EsNS0_10empty_typeEbEEZZNS1_14partition_implILS5_2ELb0ES3_jN6thrust23THRUST_200600_302600_NS6detail15normal_iteratorINSA_7pointerIsNSA_11hip_rocprim3tagENSA_11use_defaultESG_EEEEPS6_NSA_18transform_iteratorI7is_evenIsENSC_INSA_10device_ptrIsEEEESG_SG_EENS0_5tupleIJPsSJ_EEENSR_IJSJ_SJ_EEES6_PlJS6_EEE10hipError_tPvRmT3_T4_T5_T6_T7_T9_mT8_P12ihipStream_tbDpT10_ENKUlT_T0_E_clISt17integral_constantIbLb0EES1E_IbLb1EEEEDaS1A_S1B_EUlS1A_E_NS1_11comp_targetILNS1_3genE5ELNS1_11target_archE942ELNS1_3gpuE9ELNS1_3repE0EEENS1_30default_config_static_selectorELNS0_4arch9wavefront6targetE1EEEvT1_,@function
_ZN7rocprim17ROCPRIM_400000_NS6detail17trampoline_kernelINS0_14default_configENS1_25partition_config_selectorILNS1_17partition_subalgoE2EsNS0_10empty_typeEbEEZZNS1_14partition_implILS5_2ELb0ES3_jN6thrust23THRUST_200600_302600_NS6detail15normal_iteratorINSA_7pointerIsNSA_11hip_rocprim3tagENSA_11use_defaultESG_EEEEPS6_NSA_18transform_iteratorI7is_evenIsENSC_INSA_10device_ptrIsEEEESG_SG_EENS0_5tupleIJPsSJ_EEENSR_IJSJ_SJ_EEES6_PlJS6_EEE10hipError_tPvRmT3_T4_T5_T6_T7_T9_mT8_P12ihipStream_tbDpT10_ENKUlT_T0_E_clISt17integral_constantIbLb0EES1E_IbLb1EEEEDaS1A_S1B_EUlS1A_E_NS1_11comp_targetILNS1_3genE5ELNS1_11target_archE942ELNS1_3gpuE9ELNS1_3repE0EEENS1_30default_config_static_selectorELNS0_4arch9wavefront6targetE1EEEvT1_: ; @_ZN7rocprim17ROCPRIM_400000_NS6detail17trampoline_kernelINS0_14default_configENS1_25partition_config_selectorILNS1_17partition_subalgoE2EsNS0_10empty_typeEbEEZZNS1_14partition_implILS5_2ELb0ES3_jN6thrust23THRUST_200600_302600_NS6detail15normal_iteratorINSA_7pointerIsNSA_11hip_rocprim3tagENSA_11use_defaultESG_EEEEPS6_NSA_18transform_iteratorI7is_evenIsENSC_INSA_10device_ptrIsEEEESG_SG_EENS0_5tupleIJPsSJ_EEENSR_IJSJ_SJ_EEES6_PlJS6_EEE10hipError_tPvRmT3_T4_T5_T6_T7_T9_mT8_P12ihipStream_tbDpT10_ENKUlT_T0_E_clISt17integral_constantIbLb0EES1E_IbLb1EEEEDaS1A_S1B_EUlS1A_E_NS1_11comp_targetILNS1_3genE5ELNS1_11target_archE942ELNS1_3gpuE9ELNS1_3repE0EEENS1_30default_config_static_selectorELNS0_4arch9wavefront6targetE1EEEvT1_
; %bb.0:
	.section	.rodata,"a",@progbits
	.p2align	6, 0x0
	.amdhsa_kernel _ZN7rocprim17ROCPRIM_400000_NS6detail17trampoline_kernelINS0_14default_configENS1_25partition_config_selectorILNS1_17partition_subalgoE2EsNS0_10empty_typeEbEEZZNS1_14partition_implILS5_2ELb0ES3_jN6thrust23THRUST_200600_302600_NS6detail15normal_iteratorINSA_7pointerIsNSA_11hip_rocprim3tagENSA_11use_defaultESG_EEEEPS6_NSA_18transform_iteratorI7is_evenIsENSC_INSA_10device_ptrIsEEEESG_SG_EENS0_5tupleIJPsSJ_EEENSR_IJSJ_SJ_EEES6_PlJS6_EEE10hipError_tPvRmT3_T4_T5_T6_T7_T9_mT8_P12ihipStream_tbDpT10_ENKUlT_T0_E_clISt17integral_constantIbLb0EES1E_IbLb1EEEEDaS1A_S1B_EUlS1A_E_NS1_11comp_targetILNS1_3genE5ELNS1_11target_archE942ELNS1_3gpuE9ELNS1_3repE0EEENS1_30default_config_static_selectorELNS0_4arch9wavefront6targetE1EEEvT1_
		.amdhsa_group_segment_fixed_size 0
		.amdhsa_private_segment_fixed_size 0
		.amdhsa_kernarg_size 144
		.amdhsa_user_sgpr_count 6
		.amdhsa_user_sgpr_private_segment_buffer 1
		.amdhsa_user_sgpr_dispatch_ptr 0
		.amdhsa_user_sgpr_queue_ptr 0
		.amdhsa_user_sgpr_kernarg_segment_ptr 1
		.amdhsa_user_sgpr_dispatch_id 0
		.amdhsa_user_sgpr_flat_scratch_init 0
		.amdhsa_user_sgpr_kernarg_preload_length 0
		.amdhsa_user_sgpr_kernarg_preload_offset 0
		.amdhsa_user_sgpr_private_segment_size 0
		.amdhsa_uses_dynamic_stack 0
		.amdhsa_system_sgpr_private_segment_wavefront_offset 0
		.amdhsa_system_sgpr_workgroup_id_x 1
		.amdhsa_system_sgpr_workgroup_id_y 0
		.amdhsa_system_sgpr_workgroup_id_z 0
		.amdhsa_system_sgpr_workgroup_info 0
		.amdhsa_system_vgpr_workitem_id 0
		.amdhsa_next_free_vgpr 1
		.amdhsa_next_free_sgpr 0
		.amdhsa_accum_offset 4
		.amdhsa_reserve_vcc 0
		.amdhsa_reserve_flat_scratch 0
		.amdhsa_float_round_mode_32 0
		.amdhsa_float_round_mode_16_64 0
		.amdhsa_float_denorm_mode_32 3
		.amdhsa_float_denorm_mode_16_64 3
		.amdhsa_dx10_clamp 1
		.amdhsa_ieee_mode 1
		.amdhsa_fp16_overflow 0
		.amdhsa_tg_split 0
		.amdhsa_exception_fp_ieee_invalid_op 0
		.amdhsa_exception_fp_denorm_src 0
		.amdhsa_exception_fp_ieee_div_zero 0
		.amdhsa_exception_fp_ieee_overflow 0
		.amdhsa_exception_fp_ieee_underflow 0
		.amdhsa_exception_fp_ieee_inexact 0
		.amdhsa_exception_int_div_zero 0
	.end_amdhsa_kernel
	.section	.text._ZN7rocprim17ROCPRIM_400000_NS6detail17trampoline_kernelINS0_14default_configENS1_25partition_config_selectorILNS1_17partition_subalgoE2EsNS0_10empty_typeEbEEZZNS1_14partition_implILS5_2ELb0ES3_jN6thrust23THRUST_200600_302600_NS6detail15normal_iteratorINSA_7pointerIsNSA_11hip_rocprim3tagENSA_11use_defaultESG_EEEEPS6_NSA_18transform_iteratorI7is_evenIsENSC_INSA_10device_ptrIsEEEESG_SG_EENS0_5tupleIJPsSJ_EEENSR_IJSJ_SJ_EEES6_PlJS6_EEE10hipError_tPvRmT3_T4_T5_T6_T7_T9_mT8_P12ihipStream_tbDpT10_ENKUlT_T0_E_clISt17integral_constantIbLb0EES1E_IbLb1EEEEDaS1A_S1B_EUlS1A_E_NS1_11comp_targetILNS1_3genE5ELNS1_11target_archE942ELNS1_3gpuE9ELNS1_3repE0EEENS1_30default_config_static_selectorELNS0_4arch9wavefront6targetE1EEEvT1_,"axG",@progbits,_ZN7rocprim17ROCPRIM_400000_NS6detail17trampoline_kernelINS0_14default_configENS1_25partition_config_selectorILNS1_17partition_subalgoE2EsNS0_10empty_typeEbEEZZNS1_14partition_implILS5_2ELb0ES3_jN6thrust23THRUST_200600_302600_NS6detail15normal_iteratorINSA_7pointerIsNSA_11hip_rocprim3tagENSA_11use_defaultESG_EEEEPS6_NSA_18transform_iteratorI7is_evenIsENSC_INSA_10device_ptrIsEEEESG_SG_EENS0_5tupleIJPsSJ_EEENSR_IJSJ_SJ_EEES6_PlJS6_EEE10hipError_tPvRmT3_T4_T5_T6_T7_T9_mT8_P12ihipStream_tbDpT10_ENKUlT_T0_E_clISt17integral_constantIbLb0EES1E_IbLb1EEEEDaS1A_S1B_EUlS1A_E_NS1_11comp_targetILNS1_3genE5ELNS1_11target_archE942ELNS1_3gpuE9ELNS1_3repE0EEENS1_30default_config_static_selectorELNS0_4arch9wavefront6targetE1EEEvT1_,comdat
.Lfunc_end281:
	.size	_ZN7rocprim17ROCPRIM_400000_NS6detail17trampoline_kernelINS0_14default_configENS1_25partition_config_selectorILNS1_17partition_subalgoE2EsNS0_10empty_typeEbEEZZNS1_14partition_implILS5_2ELb0ES3_jN6thrust23THRUST_200600_302600_NS6detail15normal_iteratorINSA_7pointerIsNSA_11hip_rocprim3tagENSA_11use_defaultESG_EEEEPS6_NSA_18transform_iteratorI7is_evenIsENSC_INSA_10device_ptrIsEEEESG_SG_EENS0_5tupleIJPsSJ_EEENSR_IJSJ_SJ_EEES6_PlJS6_EEE10hipError_tPvRmT3_T4_T5_T6_T7_T9_mT8_P12ihipStream_tbDpT10_ENKUlT_T0_E_clISt17integral_constantIbLb0EES1E_IbLb1EEEEDaS1A_S1B_EUlS1A_E_NS1_11comp_targetILNS1_3genE5ELNS1_11target_archE942ELNS1_3gpuE9ELNS1_3repE0EEENS1_30default_config_static_selectorELNS0_4arch9wavefront6targetE1EEEvT1_, .Lfunc_end281-_ZN7rocprim17ROCPRIM_400000_NS6detail17trampoline_kernelINS0_14default_configENS1_25partition_config_selectorILNS1_17partition_subalgoE2EsNS0_10empty_typeEbEEZZNS1_14partition_implILS5_2ELb0ES3_jN6thrust23THRUST_200600_302600_NS6detail15normal_iteratorINSA_7pointerIsNSA_11hip_rocprim3tagENSA_11use_defaultESG_EEEEPS6_NSA_18transform_iteratorI7is_evenIsENSC_INSA_10device_ptrIsEEEESG_SG_EENS0_5tupleIJPsSJ_EEENSR_IJSJ_SJ_EEES6_PlJS6_EEE10hipError_tPvRmT3_T4_T5_T6_T7_T9_mT8_P12ihipStream_tbDpT10_ENKUlT_T0_E_clISt17integral_constantIbLb0EES1E_IbLb1EEEEDaS1A_S1B_EUlS1A_E_NS1_11comp_targetILNS1_3genE5ELNS1_11target_archE942ELNS1_3gpuE9ELNS1_3repE0EEENS1_30default_config_static_selectorELNS0_4arch9wavefront6targetE1EEEvT1_
                                        ; -- End function
	.section	.AMDGPU.csdata,"",@progbits
; Kernel info:
; codeLenInByte = 0
; NumSgprs: 4
; NumVgprs: 0
; NumAgprs: 0
; TotalNumVgprs: 0
; ScratchSize: 0
; MemoryBound: 0
; FloatMode: 240
; IeeeMode: 1
; LDSByteSize: 0 bytes/workgroup (compile time only)
; SGPRBlocks: 0
; VGPRBlocks: 0
; NumSGPRsForWavesPerEU: 4
; NumVGPRsForWavesPerEU: 1
; AccumOffset: 4
; Occupancy: 8
; WaveLimiterHint : 0
; COMPUTE_PGM_RSRC2:SCRATCH_EN: 0
; COMPUTE_PGM_RSRC2:USER_SGPR: 6
; COMPUTE_PGM_RSRC2:TRAP_HANDLER: 0
; COMPUTE_PGM_RSRC2:TGID_X_EN: 1
; COMPUTE_PGM_RSRC2:TGID_Y_EN: 0
; COMPUTE_PGM_RSRC2:TGID_Z_EN: 0
; COMPUTE_PGM_RSRC2:TIDIG_COMP_CNT: 0
; COMPUTE_PGM_RSRC3_GFX90A:ACCUM_OFFSET: 0
; COMPUTE_PGM_RSRC3_GFX90A:TG_SPLIT: 0
	.section	.text._ZN7rocprim17ROCPRIM_400000_NS6detail17trampoline_kernelINS0_14default_configENS1_25partition_config_selectorILNS1_17partition_subalgoE2EsNS0_10empty_typeEbEEZZNS1_14partition_implILS5_2ELb0ES3_jN6thrust23THRUST_200600_302600_NS6detail15normal_iteratorINSA_7pointerIsNSA_11hip_rocprim3tagENSA_11use_defaultESG_EEEEPS6_NSA_18transform_iteratorI7is_evenIsENSC_INSA_10device_ptrIsEEEESG_SG_EENS0_5tupleIJPsSJ_EEENSR_IJSJ_SJ_EEES6_PlJS6_EEE10hipError_tPvRmT3_T4_T5_T6_T7_T9_mT8_P12ihipStream_tbDpT10_ENKUlT_T0_E_clISt17integral_constantIbLb0EES1E_IbLb1EEEEDaS1A_S1B_EUlS1A_E_NS1_11comp_targetILNS1_3genE4ELNS1_11target_archE910ELNS1_3gpuE8ELNS1_3repE0EEENS1_30default_config_static_selectorELNS0_4arch9wavefront6targetE1EEEvT1_,"axG",@progbits,_ZN7rocprim17ROCPRIM_400000_NS6detail17trampoline_kernelINS0_14default_configENS1_25partition_config_selectorILNS1_17partition_subalgoE2EsNS0_10empty_typeEbEEZZNS1_14partition_implILS5_2ELb0ES3_jN6thrust23THRUST_200600_302600_NS6detail15normal_iteratorINSA_7pointerIsNSA_11hip_rocprim3tagENSA_11use_defaultESG_EEEEPS6_NSA_18transform_iteratorI7is_evenIsENSC_INSA_10device_ptrIsEEEESG_SG_EENS0_5tupleIJPsSJ_EEENSR_IJSJ_SJ_EEES6_PlJS6_EEE10hipError_tPvRmT3_T4_T5_T6_T7_T9_mT8_P12ihipStream_tbDpT10_ENKUlT_T0_E_clISt17integral_constantIbLb0EES1E_IbLb1EEEEDaS1A_S1B_EUlS1A_E_NS1_11comp_targetILNS1_3genE4ELNS1_11target_archE910ELNS1_3gpuE8ELNS1_3repE0EEENS1_30default_config_static_selectorELNS0_4arch9wavefront6targetE1EEEvT1_,comdat
	.protected	_ZN7rocprim17ROCPRIM_400000_NS6detail17trampoline_kernelINS0_14default_configENS1_25partition_config_selectorILNS1_17partition_subalgoE2EsNS0_10empty_typeEbEEZZNS1_14partition_implILS5_2ELb0ES3_jN6thrust23THRUST_200600_302600_NS6detail15normal_iteratorINSA_7pointerIsNSA_11hip_rocprim3tagENSA_11use_defaultESG_EEEEPS6_NSA_18transform_iteratorI7is_evenIsENSC_INSA_10device_ptrIsEEEESG_SG_EENS0_5tupleIJPsSJ_EEENSR_IJSJ_SJ_EEES6_PlJS6_EEE10hipError_tPvRmT3_T4_T5_T6_T7_T9_mT8_P12ihipStream_tbDpT10_ENKUlT_T0_E_clISt17integral_constantIbLb0EES1E_IbLb1EEEEDaS1A_S1B_EUlS1A_E_NS1_11comp_targetILNS1_3genE4ELNS1_11target_archE910ELNS1_3gpuE8ELNS1_3repE0EEENS1_30default_config_static_selectorELNS0_4arch9wavefront6targetE1EEEvT1_ ; -- Begin function _ZN7rocprim17ROCPRIM_400000_NS6detail17trampoline_kernelINS0_14default_configENS1_25partition_config_selectorILNS1_17partition_subalgoE2EsNS0_10empty_typeEbEEZZNS1_14partition_implILS5_2ELb0ES3_jN6thrust23THRUST_200600_302600_NS6detail15normal_iteratorINSA_7pointerIsNSA_11hip_rocprim3tagENSA_11use_defaultESG_EEEEPS6_NSA_18transform_iteratorI7is_evenIsENSC_INSA_10device_ptrIsEEEESG_SG_EENS0_5tupleIJPsSJ_EEENSR_IJSJ_SJ_EEES6_PlJS6_EEE10hipError_tPvRmT3_T4_T5_T6_T7_T9_mT8_P12ihipStream_tbDpT10_ENKUlT_T0_E_clISt17integral_constantIbLb0EES1E_IbLb1EEEEDaS1A_S1B_EUlS1A_E_NS1_11comp_targetILNS1_3genE4ELNS1_11target_archE910ELNS1_3gpuE8ELNS1_3repE0EEENS1_30default_config_static_selectorELNS0_4arch9wavefront6targetE1EEEvT1_
	.globl	_ZN7rocprim17ROCPRIM_400000_NS6detail17trampoline_kernelINS0_14default_configENS1_25partition_config_selectorILNS1_17partition_subalgoE2EsNS0_10empty_typeEbEEZZNS1_14partition_implILS5_2ELb0ES3_jN6thrust23THRUST_200600_302600_NS6detail15normal_iteratorINSA_7pointerIsNSA_11hip_rocprim3tagENSA_11use_defaultESG_EEEEPS6_NSA_18transform_iteratorI7is_evenIsENSC_INSA_10device_ptrIsEEEESG_SG_EENS0_5tupleIJPsSJ_EEENSR_IJSJ_SJ_EEES6_PlJS6_EEE10hipError_tPvRmT3_T4_T5_T6_T7_T9_mT8_P12ihipStream_tbDpT10_ENKUlT_T0_E_clISt17integral_constantIbLb0EES1E_IbLb1EEEEDaS1A_S1B_EUlS1A_E_NS1_11comp_targetILNS1_3genE4ELNS1_11target_archE910ELNS1_3gpuE8ELNS1_3repE0EEENS1_30default_config_static_selectorELNS0_4arch9wavefront6targetE1EEEvT1_
	.p2align	8
	.type	_ZN7rocprim17ROCPRIM_400000_NS6detail17trampoline_kernelINS0_14default_configENS1_25partition_config_selectorILNS1_17partition_subalgoE2EsNS0_10empty_typeEbEEZZNS1_14partition_implILS5_2ELb0ES3_jN6thrust23THRUST_200600_302600_NS6detail15normal_iteratorINSA_7pointerIsNSA_11hip_rocprim3tagENSA_11use_defaultESG_EEEEPS6_NSA_18transform_iteratorI7is_evenIsENSC_INSA_10device_ptrIsEEEESG_SG_EENS0_5tupleIJPsSJ_EEENSR_IJSJ_SJ_EEES6_PlJS6_EEE10hipError_tPvRmT3_T4_T5_T6_T7_T9_mT8_P12ihipStream_tbDpT10_ENKUlT_T0_E_clISt17integral_constantIbLb0EES1E_IbLb1EEEEDaS1A_S1B_EUlS1A_E_NS1_11comp_targetILNS1_3genE4ELNS1_11target_archE910ELNS1_3gpuE8ELNS1_3repE0EEENS1_30default_config_static_selectorELNS0_4arch9wavefront6targetE1EEEvT1_,@function
_ZN7rocprim17ROCPRIM_400000_NS6detail17trampoline_kernelINS0_14default_configENS1_25partition_config_selectorILNS1_17partition_subalgoE2EsNS0_10empty_typeEbEEZZNS1_14partition_implILS5_2ELb0ES3_jN6thrust23THRUST_200600_302600_NS6detail15normal_iteratorINSA_7pointerIsNSA_11hip_rocprim3tagENSA_11use_defaultESG_EEEEPS6_NSA_18transform_iteratorI7is_evenIsENSC_INSA_10device_ptrIsEEEESG_SG_EENS0_5tupleIJPsSJ_EEENSR_IJSJ_SJ_EEES6_PlJS6_EEE10hipError_tPvRmT3_T4_T5_T6_T7_T9_mT8_P12ihipStream_tbDpT10_ENKUlT_T0_E_clISt17integral_constantIbLb0EES1E_IbLb1EEEEDaS1A_S1B_EUlS1A_E_NS1_11comp_targetILNS1_3genE4ELNS1_11target_archE910ELNS1_3gpuE8ELNS1_3repE0EEENS1_30default_config_static_selectorELNS0_4arch9wavefront6targetE1EEEvT1_: ; @_ZN7rocprim17ROCPRIM_400000_NS6detail17trampoline_kernelINS0_14default_configENS1_25partition_config_selectorILNS1_17partition_subalgoE2EsNS0_10empty_typeEbEEZZNS1_14partition_implILS5_2ELb0ES3_jN6thrust23THRUST_200600_302600_NS6detail15normal_iteratorINSA_7pointerIsNSA_11hip_rocprim3tagENSA_11use_defaultESG_EEEEPS6_NSA_18transform_iteratorI7is_evenIsENSC_INSA_10device_ptrIsEEEESG_SG_EENS0_5tupleIJPsSJ_EEENSR_IJSJ_SJ_EEES6_PlJS6_EEE10hipError_tPvRmT3_T4_T5_T6_T7_T9_mT8_P12ihipStream_tbDpT10_ENKUlT_T0_E_clISt17integral_constantIbLb0EES1E_IbLb1EEEEDaS1A_S1B_EUlS1A_E_NS1_11comp_targetILNS1_3genE4ELNS1_11target_archE910ELNS1_3gpuE8ELNS1_3repE0EEENS1_30default_config_static_selectorELNS0_4arch9wavefront6targetE1EEEvT1_
; %bb.0:
	s_load_dwordx2 s[6:7], s[4:5], 0x20
	s_load_dwordx2 s[24:25], s[4:5], 0x30
	s_load_dwordx2 s[26:27], s[4:5], 0x60
	s_load_dwordx4 s[20:23], s[4:5], 0x50
	s_load_dwordx2 s[34:35], s[4:5], 0x70
	v_cmp_eq_u32_e64 s[0:1], 0, v0
	s_and_saveexec_b64 s[2:3], s[0:1]
	s_cbranch_execz .LBB282_4
; %bb.1:
	s_mov_b64 s[10:11], exec
	v_mbcnt_lo_u32_b32 v1, s10, 0
	v_mbcnt_hi_u32_b32 v1, s11, v1
	v_cmp_eq_u32_e32 vcc, 0, v1
                                        ; implicit-def: $vgpr2
	s_and_saveexec_b64 s[8:9], vcc
	s_cbranch_execz .LBB282_3
; %bb.2:
	s_load_dwordx2 s[12:13], s[4:5], 0x80
	s_bcnt1_i32_b64 s10, s[10:11]
	v_mov_b32_e32 v2, 0
	v_mov_b32_e32 v3, s10
	s_waitcnt lgkmcnt(0)
	global_atomic_add v2, v2, v3, s[12:13] glc
.LBB282_3:
	s_or_b64 exec, exec, s[8:9]
	s_waitcnt vmcnt(0)
	v_readfirstlane_b32 s8, v2
	v_add_u32_e32 v1, s8, v1
	v_mov_b32_e32 v2, 0
	ds_write_b32 v2, v1
.LBB282_4:
	s_or_b64 exec, exec, s[2:3]
	v_mov_b32_e32 v1, 0
	s_load_dwordx4 s[16:19], s[4:5], 0x8
	s_load_dword s2, s[4:5], 0x78
	s_waitcnt lgkmcnt(0)
	s_barrier
	ds_read_b32 v2, v1
	s_waitcnt lgkmcnt(0)
	s_barrier
	global_load_dwordx2 v[12:13], v1, s[22:23]
	s_lshl_b64 s[4:5], s[18:19], 1
	s_add_u32 s10, s16, s4
	s_addc_u32 s11, s17, s5
	s_add_i32 s8, s2, -1
	s_mulk_i32 s2, 0x1400
	s_add_i32 s3, s2, s18
	s_sub_i32 s33, s26, s3
	s_addk_i32 s33, 0x1400
	s_add_u32 s2, s18, s2
	v_readfirstlane_b32 s42, v2
	s_addc_u32 s3, s19, 0
	s_cmp_eq_u32 s42, s8
	v_pk_mov_b32 v[2:3], s[26:27], s[26:27] op_sel:[0,1]
	s_cselect_b64 s[22:23], -1, 0
	s_cmp_lg_u32 s42, s8
	s_mul_i32 s28, s42, 0x1400
	s_mov_b32 s29, 0
	v_cmp_lt_u64_e32 vcc, s[2:3], v[2:3]
	s_cselect_b64 s[2:3], -1, 0
	s_or_b64 s[30:31], vcc, s[2:3]
	s_lshl_b64 s[8:9], s[28:29], 1
	s_add_u32 s12, s10, s8
	s_addc_u32 s13, s11, s9
	s_mov_b64 s[2:3], -1
	s_and_b64 vcc, exec, s[30:31]
	v_lshlrev_b32_e32 v1, 1, v0
	s_cbranch_vccz .LBB282_6
; %bb.5:
	v_mov_b32_e32 v3, s13
	v_add_co_u32_e32 v2, vcc, s12, v1
	v_addc_co_u32_e32 v3, vcc, 0, v3, vcc
	v_add_co_u32_e32 v4, vcc, 0x1000, v2
	v_addc_co_u32_e32 v5, vcc, 0, v3, vcc
	flat_load_ushort v6, v[2:3]
	flat_load_ushort v7, v[2:3] offset:512
	flat_load_ushort v8, v[2:3] offset:1024
	;; [unrolled: 1-line block ×7, first 2 shown]
	v_add_co_u32_e32 v2, vcc, 0x2000, v2
	v_addc_co_u32_e32 v3, vcc, 0, v3, vcc
	flat_load_ushort v16, v[4:5]
	flat_load_ushort v17, v[4:5] offset:512
	flat_load_ushort v18, v[4:5] offset:1024
	;; [unrolled: 1-line block ×7, first 2 shown]
	s_nop 0
	flat_load_ushort v4, v[2:3]
	flat_load_ushort v5, v[2:3] offset:512
	flat_load_ushort v24, v[2:3] offset:1024
	;; [unrolled: 1-line block ×3, first 2 shown]
	s_mov_b64 s[2:3], 0
	s_waitcnt vmcnt(0) lgkmcnt(0)
	ds_write_b16 v1, v6
	ds_write_b16 v1, v7 offset:512
	ds_write_b16 v1, v8 offset:1024
	;; [unrolled: 1-line block ×19, first 2 shown]
	s_waitcnt lgkmcnt(0)
	s_barrier
.LBB282_6:
	s_andn2_b64 vcc, exec, s[2:3]
	v_cmp_gt_u32_e64 s[2:3], s33, v0
	s_cbranch_vccnz .LBB282_48
; %bb.7:
                                        ; implicit-def: $vgpr2
	s_and_saveexec_b64 s[10:11], s[2:3]
	s_cbranch_execz .LBB282_9
; %bb.8:
	v_mov_b32_e32 v3, s13
	v_add_co_u32_e32 v2, vcc, s12, v1
	v_addc_co_u32_e32 v3, vcc, 0, v3, vcc
	flat_load_ushort v2, v[2:3]
.LBB282_9:
	s_or_b64 exec, exec, s[10:11]
	v_or_b32_e32 v3, 0x100, v0
	v_cmp_gt_u32_e32 vcc, s33, v3
                                        ; implicit-def: $vgpr3
	s_and_saveexec_b64 s[2:3], vcc
	s_cbranch_execz .LBB282_11
; %bb.10:
	v_mov_b32_e32 v3, s13
	v_add_co_u32_e32 v4, vcc, s12, v1
	v_addc_co_u32_e32 v5, vcc, 0, v3, vcc
	flat_load_ushort v3, v[4:5] offset:512
.LBB282_11:
	s_or_b64 exec, exec, s[2:3]
	v_or_b32_e32 v4, 0x200, v0
	v_cmp_gt_u32_e32 vcc, s33, v4
                                        ; implicit-def: $vgpr4
	s_and_saveexec_b64 s[2:3], vcc
	s_cbranch_execz .LBB282_13
; %bb.12:
	v_mov_b32_e32 v5, s13
	v_add_co_u32_e32 v4, vcc, s12, v1
	v_addc_co_u32_e32 v5, vcc, 0, v5, vcc
	flat_load_ushort v4, v[4:5] offset:1024
.LBB282_13:
	s_or_b64 exec, exec, s[2:3]
	v_or_b32_e32 v5, 0x300, v0
	v_cmp_gt_u32_e32 vcc, s33, v5
                                        ; implicit-def: $vgpr5
	s_and_saveexec_b64 s[2:3], vcc
	s_cbranch_execz .LBB282_15
; %bb.14:
	v_mov_b32_e32 v5, s13
	v_add_co_u32_e32 v6, vcc, s12, v1
	v_addc_co_u32_e32 v7, vcc, 0, v5, vcc
	flat_load_ushort v5, v[6:7] offset:1536
.LBB282_15:
	s_or_b64 exec, exec, s[2:3]
	v_or_b32_e32 v6, 0x400, v0
	v_cmp_gt_u32_e32 vcc, s33, v6
                                        ; implicit-def: $vgpr6
	s_and_saveexec_b64 s[2:3], vcc
	s_cbranch_execz .LBB282_17
; %bb.16:
	v_mov_b32_e32 v7, s13
	v_add_co_u32_e32 v6, vcc, s12, v1
	v_addc_co_u32_e32 v7, vcc, 0, v7, vcc
	flat_load_ushort v6, v[6:7] offset:2048
.LBB282_17:
	s_or_b64 exec, exec, s[2:3]
	v_or_b32_e32 v7, 0x500, v0
	v_cmp_gt_u32_e32 vcc, s33, v7
                                        ; implicit-def: $vgpr7
	s_and_saveexec_b64 s[2:3], vcc
	s_cbranch_execz .LBB282_19
; %bb.18:
	v_mov_b32_e32 v7, s13
	v_add_co_u32_e32 v8, vcc, s12, v1
	v_addc_co_u32_e32 v9, vcc, 0, v7, vcc
	flat_load_ushort v7, v[8:9] offset:2560
.LBB282_19:
	s_or_b64 exec, exec, s[2:3]
	v_or_b32_e32 v8, 0x600, v0
	v_cmp_gt_u32_e32 vcc, s33, v8
                                        ; implicit-def: $vgpr8
	s_and_saveexec_b64 s[2:3], vcc
	s_cbranch_execz .LBB282_21
; %bb.20:
	v_mov_b32_e32 v9, s13
	v_add_co_u32_e32 v8, vcc, s12, v1
	v_addc_co_u32_e32 v9, vcc, 0, v9, vcc
	flat_load_ushort v8, v[8:9] offset:3072
.LBB282_21:
	s_or_b64 exec, exec, s[2:3]
	v_or_b32_e32 v9, 0x700, v0
	v_cmp_gt_u32_e32 vcc, s33, v9
                                        ; implicit-def: $vgpr9
	s_and_saveexec_b64 s[2:3], vcc
	s_cbranch_execz .LBB282_23
; %bb.22:
	v_mov_b32_e32 v9, s13
	v_add_co_u32_e32 v10, vcc, s12, v1
	v_addc_co_u32_e32 v11, vcc, 0, v9, vcc
	flat_load_ushort v9, v[10:11] offset:3584
.LBB282_23:
	s_or_b64 exec, exec, s[2:3]
	v_or_b32_e32 v11, 0x800, v0
	v_cmp_gt_u32_e32 vcc, s33, v11
                                        ; implicit-def: $vgpr10
	s_and_saveexec_b64 s[2:3], vcc
	s_cbranch_execz .LBB282_25
; %bb.24:
	v_lshlrev_b32_e32 v10, 1, v11
	v_mov_b32_e32 v11, s13
	v_add_co_u32_e32 v10, vcc, s12, v10
	v_addc_co_u32_e32 v11, vcc, 0, v11, vcc
	flat_load_ushort v10, v[10:11]
.LBB282_25:
	s_or_b64 exec, exec, s[2:3]
	v_or_b32_e32 v14, 0x900, v0
	v_cmp_gt_u32_e32 vcc, s33, v14
                                        ; implicit-def: $vgpr11
	s_and_saveexec_b64 s[2:3], vcc
	s_cbranch_execz .LBB282_27
; %bb.26:
	v_lshlrev_b32_e32 v11, 1, v14
	v_mov_b32_e32 v15, s13
	v_add_co_u32_e32 v14, vcc, s12, v11
	v_addc_co_u32_e32 v15, vcc, 0, v15, vcc
	flat_load_ushort v11, v[14:15]
.LBB282_27:
	s_or_b64 exec, exec, s[2:3]
	v_or_b32_e32 v15, 0xa00, v0
	v_cmp_gt_u32_e32 vcc, s33, v15
                                        ; implicit-def: $vgpr14
	s_and_saveexec_b64 s[2:3], vcc
	s_cbranch_execz .LBB282_29
; %bb.28:
	v_lshlrev_b32_e32 v14, 1, v15
	v_mov_b32_e32 v15, s13
	v_add_co_u32_e32 v14, vcc, s12, v14
	v_addc_co_u32_e32 v15, vcc, 0, v15, vcc
	flat_load_ushort v14, v[14:15]
.LBB282_29:
	s_or_b64 exec, exec, s[2:3]
	v_or_b32_e32 v16, 0xb00, v0
	v_cmp_gt_u32_e32 vcc, s33, v16
                                        ; implicit-def: $vgpr15
	s_and_saveexec_b64 s[2:3], vcc
	s_cbranch_execz .LBB282_31
; %bb.30:
	v_lshlrev_b32_e32 v15, 1, v16
	v_mov_b32_e32 v17, s13
	v_add_co_u32_e32 v16, vcc, s12, v15
	v_addc_co_u32_e32 v17, vcc, 0, v17, vcc
	flat_load_ushort v15, v[16:17]
.LBB282_31:
	s_or_b64 exec, exec, s[2:3]
	v_or_b32_e32 v17, 0xc00, v0
	v_cmp_gt_u32_e32 vcc, s33, v17
                                        ; implicit-def: $vgpr16
	s_and_saveexec_b64 s[2:3], vcc
	s_cbranch_execz .LBB282_33
; %bb.32:
	v_lshlrev_b32_e32 v16, 1, v17
	v_mov_b32_e32 v17, s13
	v_add_co_u32_e32 v16, vcc, s12, v16
	v_addc_co_u32_e32 v17, vcc, 0, v17, vcc
	flat_load_ushort v16, v[16:17]
.LBB282_33:
	s_or_b64 exec, exec, s[2:3]
	v_or_b32_e32 v18, 0xd00, v0
	v_cmp_gt_u32_e32 vcc, s33, v18
                                        ; implicit-def: $vgpr17
	s_and_saveexec_b64 s[2:3], vcc
	s_cbranch_execz .LBB282_35
; %bb.34:
	v_lshlrev_b32_e32 v17, 1, v18
	v_mov_b32_e32 v19, s13
	v_add_co_u32_e32 v18, vcc, s12, v17
	v_addc_co_u32_e32 v19, vcc, 0, v19, vcc
	flat_load_ushort v17, v[18:19]
.LBB282_35:
	s_or_b64 exec, exec, s[2:3]
	v_or_b32_e32 v19, 0xe00, v0
	v_cmp_gt_u32_e32 vcc, s33, v19
                                        ; implicit-def: $vgpr18
	s_and_saveexec_b64 s[2:3], vcc
	s_cbranch_execz .LBB282_37
; %bb.36:
	v_lshlrev_b32_e32 v18, 1, v19
	v_mov_b32_e32 v19, s13
	v_add_co_u32_e32 v18, vcc, s12, v18
	v_addc_co_u32_e32 v19, vcc, 0, v19, vcc
	flat_load_ushort v18, v[18:19]
.LBB282_37:
	s_or_b64 exec, exec, s[2:3]
	v_or_b32_e32 v20, 0xf00, v0
	v_cmp_gt_u32_e32 vcc, s33, v20
                                        ; implicit-def: $vgpr19
	s_and_saveexec_b64 s[2:3], vcc
	s_cbranch_execz .LBB282_39
; %bb.38:
	v_lshlrev_b32_e32 v19, 1, v20
	v_mov_b32_e32 v21, s13
	v_add_co_u32_e32 v20, vcc, s12, v19
	v_addc_co_u32_e32 v21, vcc, 0, v21, vcc
	flat_load_ushort v19, v[20:21]
.LBB282_39:
	s_or_b64 exec, exec, s[2:3]
	v_or_b32_e32 v21, 0x1000, v0
	v_cmp_gt_u32_e32 vcc, s33, v21
                                        ; implicit-def: $vgpr20
	s_and_saveexec_b64 s[2:3], vcc
	s_cbranch_execz .LBB282_41
; %bb.40:
	v_lshlrev_b32_e32 v20, 1, v21
	v_mov_b32_e32 v21, s13
	v_add_co_u32_e32 v20, vcc, s12, v20
	v_addc_co_u32_e32 v21, vcc, 0, v21, vcc
	flat_load_ushort v20, v[20:21]
.LBB282_41:
	s_or_b64 exec, exec, s[2:3]
	v_or_b32_e32 v22, 0x1100, v0
	v_cmp_gt_u32_e32 vcc, s33, v22
                                        ; implicit-def: $vgpr21
	s_and_saveexec_b64 s[2:3], vcc
	s_cbranch_execz .LBB282_43
; %bb.42:
	v_lshlrev_b32_e32 v21, 1, v22
	v_mov_b32_e32 v23, s13
	v_add_co_u32_e32 v22, vcc, s12, v21
	v_addc_co_u32_e32 v23, vcc, 0, v23, vcc
	flat_load_ushort v21, v[22:23]
.LBB282_43:
	s_or_b64 exec, exec, s[2:3]
	v_or_b32_e32 v23, 0x1200, v0
	v_cmp_gt_u32_e32 vcc, s33, v23
                                        ; implicit-def: $vgpr22
	s_and_saveexec_b64 s[2:3], vcc
	s_cbranch_execz .LBB282_45
; %bb.44:
	v_lshlrev_b32_e32 v22, 1, v23
	v_mov_b32_e32 v23, s13
	v_add_co_u32_e32 v22, vcc, s12, v22
	v_addc_co_u32_e32 v23, vcc, 0, v23, vcc
	flat_load_ushort v22, v[22:23]
.LBB282_45:
	s_or_b64 exec, exec, s[2:3]
	v_or_b32_e32 v24, 0x1300, v0
	v_cmp_gt_u32_e32 vcc, s33, v24
                                        ; implicit-def: $vgpr23
	s_and_saveexec_b64 s[2:3], vcc
	s_cbranch_execz .LBB282_47
; %bb.46:
	v_lshlrev_b32_e32 v23, 1, v24
	v_mov_b32_e32 v25, s13
	v_add_co_u32_e32 v24, vcc, s12, v23
	v_addc_co_u32_e32 v25, vcc, 0, v25, vcc
	flat_load_ushort v23, v[24:25]
.LBB282_47:
	s_or_b64 exec, exec, s[2:3]
	s_waitcnt vmcnt(0) lgkmcnt(0)
	ds_write_b16 v1, v2
	ds_write_b16 v1, v3 offset:512
	ds_write_b16 v1, v4 offset:1024
	ds_write_b16 v1, v5 offset:1536
	ds_write_b16 v1, v6 offset:2048
	ds_write_b16 v1, v7 offset:2560
	ds_write_b16 v1, v8 offset:3072
	ds_write_b16 v1, v9 offset:3584
	ds_write_b16 v1, v10 offset:4096
	ds_write_b16 v1, v11 offset:4608
	ds_write_b16 v1, v14 offset:5120
	ds_write_b16 v1, v15 offset:5632
	ds_write_b16 v1, v16 offset:6144
	ds_write_b16 v1, v17 offset:6656
	ds_write_b16 v1, v18 offset:7168
	ds_write_b16 v1, v19 offset:7680
	ds_write_b16 v1, v20 offset:8192
	ds_write_b16 v1, v21 offset:8704
	ds_write_b16 v1, v22 offset:9216
	ds_write_b16 v1, v23 offset:9728
	s_waitcnt lgkmcnt(0)
	s_barrier
.LBB282_48:
	v_mul_u32_u24_e32 v28, 20, v0
	v_lshlrev_b32_e32 v6, 1, v28
	ds_read_b64 v[14:15], v6 offset:32
	ds_read2_b64 v[2:5], v6 offset0:2 offset1:3
	ds_read2_b64 v[6:9], v6 offset1:1
	s_add_u32 s2, s6, s4
	s_addc_u32 s3, s7, s5
	s_add_u32 s2, s2, s8
	s_addc_u32 s3, s3, s9
	s_mov_b64 s[4:5], -1
	s_and_b64 vcc, exec, s[30:31]
	s_waitcnt lgkmcnt(0)
	s_barrier
	s_cbranch_vccz .LBB282_50
; %bb.49:
	v_mov_b32_e32 v10, s3
	v_add_co_u32_e32 v16, vcc, s2, v1
	s_movk_i32 s4, 0x1000
	v_addc_co_u32_e32 v17, vcc, 0, v10, vcc
	v_add_co_u32_e32 v10, vcc, s4, v16
	s_movk_i32 s5, 0x2000
	v_addc_co_u32_e32 v11, vcc, 0, v17, vcc
	global_load_ubyte v18, v1, s[2:3]
	global_load_ubyte v19, v1, s[2:3] offset:512
	global_load_ubyte v20, v1, s[2:3] offset:1024
	;; [unrolled: 1-line block ×7, first 2 shown]
	v_add_co_u32_e32 v16, vcc, s5, v16
	v_addc_co_u32_e32 v17, vcc, 0, v17, vcc
	global_load_ubyte v26, v[16:17], off offset:-4096
	global_load_ubyte v27, v[10:11], off offset:512
	global_load_ubyte v29, v[10:11], off offset:1024
	;; [unrolled: 1-line block ×7, first 2 shown]
	global_load_ubyte v35, v[16:17], off
	global_load_ubyte v36, v[16:17], off offset:512
	global_load_ubyte v37, v[16:17], off offset:1024
	;; [unrolled: 1-line block ×3, first 2 shown]
	s_mov_b64 s[4:5], 0
	s_waitcnt vmcnt(19)
	v_xor_b32_e32 v10, -1, v18
	s_waitcnt vmcnt(18)
	v_xor_b32_e32 v11, -1, v19
	;; [unrolled: 2-line block ×8, first 2 shown]
	v_and_b32_e32 v10, 1, v10
	v_and_b32_e32 v11, 1, v11
	;; [unrolled: 1-line block ×8, first 2 shown]
	ds_write_b8 v0, v10
	ds_write_b8 v0, v11 offset:256
	ds_write_b8 v0, v16 offset:512
	;; [unrolled: 1-line block ×7, first 2 shown]
	s_waitcnt vmcnt(11)
	v_xor_b32_e32 v10, -1, v26
	s_waitcnt vmcnt(10)
	v_xor_b32_e32 v11, -1, v27
	;; [unrolled: 2-line block ×12, first 2 shown]
	v_and_b32_e32 v10, 1, v10
	v_and_b32_e32 v11, 1, v11
	;; [unrolled: 1-line block ×12, first 2 shown]
	ds_write_b8 v0, v10 offset:2048
	ds_write_b8 v0, v11 offset:2304
	;; [unrolled: 1-line block ×12, first 2 shown]
	s_waitcnt lgkmcnt(0)
	s_barrier
.LBB282_50:
	s_andn2_b64 vcc, exec, s[4:5]
	s_cbranch_vccnz .LBB282_92
; %bb.51:
	v_cmp_gt_u32_e32 vcc, s33, v0
	v_mov_b32_e32 v10, 0
	v_mov_b32_e32 v11, 0
	s_and_saveexec_b64 s[4:5], vcc
	s_cbranch_execz .LBB282_53
; %bb.52:
	global_load_ubyte v11, v1, s[2:3]
	s_waitcnt vmcnt(0)
	v_xor_b32_e32 v11, -1, v11
	v_and_b32_e32 v11, 1, v11
.LBB282_53:
	s_or_b64 exec, exec, s[4:5]
	v_or_b32_e32 v16, 0x100, v0
	v_cmp_gt_u32_e32 vcc, s33, v16
	s_and_saveexec_b64 s[4:5], vcc
	s_cbranch_execz .LBB282_55
; %bb.54:
	global_load_ubyte v10, v1, s[2:3] offset:512
	s_waitcnt vmcnt(0)
	v_xor_b32_e32 v10, -1, v10
	v_and_b32_e32 v10, 1, v10
.LBB282_55:
	s_or_b64 exec, exec, s[4:5]
	v_or_b32_e32 v16, 0x200, v0
	v_cmp_gt_u32_e32 vcc, s33, v16
	v_mov_b32_e32 v16, 0
	v_mov_b32_e32 v17, 0
	s_and_saveexec_b64 s[4:5], vcc
	s_cbranch_execz .LBB282_57
; %bb.56:
	global_load_ubyte v17, v1, s[2:3] offset:1024
	s_waitcnt vmcnt(0)
	v_xor_b32_e32 v17, -1, v17
	v_and_b32_e32 v17, 1, v17
.LBB282_57:
	s_or_b64 exec, exec, s[4:5]
	v_or_b32_e32 v18, 0x300, v0
	v_cmp_gt_u32_e32 vcc, s33, v18
	s_and_saveexec_b64 s[4:5], vcc
	s_cbranch_execz .LBB282_59
; %bb.58:
	global_load_ubyte v16, v1, s[2:3] offset:1536
	s_waitcnt vmcnt(0)
	v_xor_b32_e32 v16, -1, v16
	v_and_b32_e32 v16, 1, v16
.LBB282_59:
	s_or_b64 exec, exec, s[4:5]
	v_or_b32_e32 v18, 0x400, v0
	v_cmp_gt_u32_e32 vcc, s33, v18
	v_mov_b32_e32 v18, 0
	v_mov_b32_e32 v19, 0
	s_and_saveexec_b64 s[4:5], vcc
	s_cbranch_execz .LBB282_61
; %bb.60:
	global_load_ubyte v19, v1, s[2:3] offset:2048
	s_waitcnt vmcnt(0)
	v_xor_b32_e32 v19, -1, v19
	v_and_b32_e32 v19, 1, v19
.LBB282_61:
	;; [unrolled: 24-line block ×3, first 2 shown]
	s_or_b64 exec, exec, s[4:5]
	v_or_b32_e32 v22, 0x700, v0
	v_cmp_gt_u32_e32 vcc, s33, v22
	s_and_saveexec_b64 s[4:5], vcc
	s_cbranch_execz .LBB282_67
; %bb.66:
	global_load_ubyte v20, v1, s[2:3] offset:3584
	s_waitcnt vmcnt(0)
	v_xor_b32_e32 v20, -1, v20
	v_and_b32_e32 v20, 1, v20
.LBB282_67:
	s_or_b64 exec, exec, s[4:5]
	v_or_b32_e32 v24, 0x800, v0
	v_cmp_gt_u32_e32 vcc, s33, v24
	v_mov_b32_e32 v22, 0
	v_mov_b32_e32 v23, 0
	s_and_saveexec_b64 s[4:5], vcc
	s_cbranch_execz .LBB282_69
; %bb.68:
	v_lshlrev_b32_e32 v23, 1, v24
	global_load_ubyte v23, v23, s[2:3]
	s_waitcnt vmcnt(0)
	v_xor_b32_e32 v23, -1, v23
	v_and_b32_e32 v23, 1, v23
.LBB282_69:
	s_or_b64 exec, exec, s[4:5]
	v_or_b32_e32 v24, 0x900, v0
	v_cmp_gt_u32_e32 vcc, s33, v24
	s_and_saveexec_b64 s[4:5], vcc
	s_cbranch_execz .LBB282_71
; %bb.70:
	v_lshlrev_b32_e32 v22, 1, v24
	global_load_ubyte v22, v22, s[2:3]
	s_waitcnt vmcnt(0)
	v_xor_b32_e32 v22, -1, v22
	v_and_b32_e32 v22, 1, v22
.LBB282_71:
	s_or_b64 exec, exec, s[4:5]
	v_or_b32_e32 v26, 0xa00, v0
	v_cmp_gt_u32_e32 vcc, s33, v26
	v_mov_b32_e32 v24, 0
	v_mov_b32_e32 v25, 0
	s_and_saveexec_b64 s[4:5], vcc
	s_cbranch_execz .LBB282_73
; %bb.72:
	v_lshlrev_b32_e32 v25, 1, v26
	global_load_ubyte v25, v25, s[2:3]
	s_waitcnt vmcnt(0)
	v_xor_b32_e32 v25, -1, v25
	v_and_b32_e32 v25, 1, v25
.LBB282_73:
	s_or_b64 exec, exec, s[4:5]
	v_or_b32_e32 v26, 0xb00, v0
	v_cmp_gt_u32_e32 vcc, s33, v26
	s_and_saveexec_b64 s[4:5], vcc
	s_cbranch_execz .LBB282_75
; %bb.74:
	v_lshlrev_b32_e32 v24, 1, v26
	global_load_ubyte v24, v24, s[2:3]
	s_waitcnt vmcnt(0)
	v_xor_b32_e32 v24, -1, v24
	v_and_b32_e32 v24, 1, v24
.LBB282_75:
	;; [unrolled: 26-line block ×6, first 2 shown]
	s_or_b64 exec, exec, s[4:5]
	ds_write_b8 v0, v11
	ds_write_b8 v0, v10 offset:256
	ds_write_b8 v0, v17 offset:512
	;; [unrolled: 1-line block ×19, first 2 shown]
	s_waitcnt lgkmcnt(0)
	s_barrier
.LBB282_92:
	ds_read2_b32 v[18:19], v28 offset1:1
	ds_read2_b32 v[16:17], v28 offset0:2 offset1:3
	ds_read_b32 v30, v28 offset:16
	s_cmp_lg_u32 s42, 0
	v_lshrrev_b32_e32 v49, 6, v0
	s_waitcnt lgkmcnt(2)
	v_lshrrev_b32_e32 v35, 24, v18
	v_bfe_u32 v47, v18, 16, 8
	v_add_u32_sdwa v10, v18, v18 dst_sel:DWORD dst_unused:UNUSED_PAD src0_sel:BYTE_1 src1_sel:BYTE_0
	v_and_b32_e32 v44, 0xff, v19
	v_bfe_u32 v45, v19, 8, 8
	v_add3_u32 v10, v10, v47, v35
	v_lshrrev_b32_e32 v34, 24, v19
	v_bfe_u32 v46, v19, 16, 8
	v_add3_u32 v10, v10, v44, v45
	s_waitcnt lgkmcnt(1)
	v_and_b32_e32 v41, 0xff, v16
	v_bfe_u32 v42, v16, 8, 8
	v_add3_u32 v10, v10, v46, v34
	v_lshrrev_b32_e32 v33, 24, v16
	v_bfe_u32 v43, v16, 16, 8
	v_add3_u32 v10, v10, v41, v42
	v_and_b32_e32 v38, 0xff, v17
	v_bfe_u32 v39, v17, 8, 8
	v_add3_u32 v10, v10, v43, v33
	v_lshrrev_b32_e32 v32, 24, v17
	v_bfe_u32 v40, v17, 16, 8
	v_add3_u32 v10, v10, v38, v39
	s_waitcnt lgkmcnt(0)
	v_and_b32_e32 v36, 0xff, v30
	v_bfe_u32 v37, v30, 8, 8
	v_add3_u32 v10, v10, v40, v32
	v_lshrrev_b32_e32 v29, 24, v30
	v_bfe_u32 v31, v30, 16, 8
	v_add3_u32 v10, v10, v36, v37
	v_add3_u32 v50, v10, v31, v29
	v_mbcnt_lo_u32_b32 v10, -1, 0
	v_mbcnt_hi_u32_b32 v48, -1, v10
	v_and_b32_e32 v10, 15, v48
	v_cmp_eq_u32_e64 s[14:15], 0, v10
	v_cmp_lt_u32_e64 s[12:13], 1, v10
	v_cmp_lt_u32_e64 s[10:11], 3, v10
	;; [unrolled: 1-line block ×3, first 2 shown]
	v_and_b32_e32 v10, 16, v48
	v_cmp_eq_u32_e64 s[6:7], 0, v10
	v_or_b32_e32 v10, 63, v0
	v_cmp_lt_u32_e64 s[2:3], 31, v48
	v_cmp_eq_u32_e64 s[4:5], v10, v0
	s_barrier
	s_cbranch_scc0 .LBB282_119
; %bb.93:
	v_mov_b32_dpp v10, v50 row_shr:1 row_mask:0xf bank_mask:0xf
	v_cndmask_b32_e64 v10, v10, 0, s[14:15]
	v_add_u32_e32 v10, v10, v50
	s_nop 1
	v_mov_b32_dpp v11, v10 row_shr:2 row_mask:0xf bank_mask:0xf
	v_cndmask_b32_e64 v11, 0, v11, s[12:13]
	v_add_u32_e32 v10, v10, v11
	s_nop 1
	;; [unrolled: 4-line block ×4, first 2 shown]
	v_mov_b32_dpp v11, v10 row_bcast:15 row_mask:0xf bank_mask:0xf
	v_cndmask_b32_e64 v11, v11, 0, s[6:7]
	v_add_u32_e32 v10, v10, v11
	s_nop 1
	v_mov_b32_dpp v11, v10 row_bcast:31 row_mask:0xf bank_mask:0xf
	v_cndmask_b32_e64 v11, 0, v11, s[2:3]
	v_add_u32_e32 v10, v10, v11
	s_and_saveexec_b64 s[16:17], s[4:5]
	s_cbranch_execz .LBB282_95
; %bb.94:
	v_lshlrev_b32_e32 v11, 2, v49
	ds_write_b32 v11, v10
.LBB282_95:
	s_or_b64 exec, exec, s[16:17]
	v_cmp_gt_u32_e32 vcc, 4, v0
	s_waitcnt lgkmcnt(0)
	s_barrier
	s_and_saveexec_b64 s[16:17], vcc
	s_cbranch_execz .LBB282_97
; %bb.96:
	v_lshlrev_b32_e32 v11, 2, v0
	ds_read_b32 v20, v11
	v_and_b32_e32 v21, 3, v48
	v_cmp_ne_u32_e32 vcc, 0, v21
	s_waitcnt lgkmcnt(0)
	v_mov_b32_dpp v22, v20 row_shr:1 row_mask:0xf bank_mask:0xf
	v_cndmask_b32_e32 v22, 0, v22, vcc
	v_add_u32_e32 v20, v22, v20
	v_cmp_lt_u32_e32 vcc, 1, v21
	s_nop 0
	v_mov_b32_dpp v22, v20 row_shr:2 row_mask:0xf bank_mask:0xf
	v_cndmask_b32_e32 v21, 0, v22, vcc
	v_add_u32_e32 v20, v20, v21
	ds_write_b32 v11, v20
.LBB282_97:
	s_or_b64 exec, exec, s[16:17]
	v_cmp_gt_u32_e32 vcc, 64, v0
	v_cmp_lt_u32_e64 s[16:17], 63, v0
	s_waitcnt lgkmcnt(0)
	s_barrier
	s_waitcnt lgkmcnt(0)
                                        ; implicit-def: $vgpr51
	s_and_saveexec_b64 s[36:37], s[16:17]
	s_cbranch_execz .LBB282_99
; %bb.98:
	v_lshl_add_u32 v11, v49, 2, -4
	ds_read_b32 v51, v11
	s_waitcnt lgkmcnt(0)
	v_add_u32_e32 v10, v51, v10
.LBB282_99:
	s_or_b64 exec, exec, s[36:37]
	v_add_u32_e32 v11, -1, v48
	v_and_b32_e32 v20, 64, v48
	v_cmp_lt_i32_e64 s[16:17], v11, v20
	v_cndmask_b32_e64 v11, v11, v48, s[16:17]
	v_lshlrev_b32_e32 v11, 2, v11
	ds_bpermute_b32 v52, v11, v10
	v_cmp_eq_u32_e64 s[16:17], 0, v48
	s_and_saveexec_b64 s[36:37], vcc
	s_cbranch_execz .LBB282_118
; %bb.100:
	v_mov_b32_e32 v25, 0
	ds_read_b32 v10, v25 offset:12
	s_and_saveexec_b64 s[38:39], s[16:17]
	s_cbranch_execz .LBB282_102
; %bb.101:
	s_add_i32 s40, s42, 64
	s_mov_b32 s41, 0
	s_lshl_b64 s[40:41], s[40:41], 3
	s_add_u32 s40, s34, s40
	v_mov_b32_e32 v11, 1
	s_addc_u32 s41, s35, s41
	s_waitcnt lgkmcnt(0)
	global_store_dwordx2 v25, v[10:11], s[40:41]
.LBB282_102:
	s_or_b64 exec, exec, s[38:39]
	v_xad_u32 v20, v48, -1, s42
	v_add_u32_e32 v24, 64, v20
	v_lshlrev_b64 v[22:23], 3, v[24:25]
	v_mov_b32_e32 v11, s35
	v_add_co_u32_e32 v26, vcc, s34, v22
	v_addc_co_u32_e32 v27, vcc, v11, v23, vcc
	global_load_dwordx2 v[22:23], v[26:27], off glc
	s_waitcnt vmcnt(0)
	v_cmp_eq_u16_sdwa s[40:41], v23, v25 src0_sel:BYTE_0 src1_sel:DWORD
	s_and_saveexec_b64 s[38:39], s[40:41]
	s_cbranch_execz .LBB282_106
; %bb.103:
	s_mov_b64 s[40:41], 0
	v_mov_b32_e32 v11, 0
.LBB282_104:                            ; =>This Inner Loop Header: Depth=1
	global_load_dwordx2 v[22:23], v[26:27], off glc
	s_waitcnt vmcnt(0)
	v_cmp_ne_u16_sdwa s[44:45], v23, v11 src0_sel:BYTE_0 src1_sel:DWORD
	s_or_b64 s[40:41], s[44:45], s[40:41]
	s_andn2_b64 exec, exec, s[40:41]
	s_cbranch_execnz .LBB282_104
; %bb.105:
	s_or_b64 exec, exec, s[40:41]
.LBB282_106:
	s_or_b64 exec, exec, s[38:39]
	v_and_b32_e32 v54, 63, v48
	v_mov_b32_e32 v53, 2
	v_cmp_ne_u32_e32 vcc, 63, v54
	v_cmp_eq_u16_sdwa s[38:39], v23, v53 src0_sel:BYTE_0 src1_sel:DWORD
	v_lshlrev_b64 v[24:25], v48, -1
	v_addc_co_u32_e32 v26, vcc, 0, v48, vcc
	v_and_b32_e32 v11, s39, v25
	v_lshlrev_b32_e32 v55, 2, v26
	v_or_b32_e32 v11, 0x80000000, v11
	ds_bpermute_b32 v26, v55, v22
	v_and_b32_e32 v21, s38, v24
	v_ffbl_b32_e32 v11, v11
	v_add_u32_e32 v11, 32, v11
	v_ffbl_b32_e32 v21, v21
	v_min_u32_e32 v11, v21, v11
	v_cmp_lt_u32_e32 vcc, v54, v11
	s_waitcnt lgkmcnt(0)
	v_cndmask_b32_e32 v21, 0, v26, vcc
	v_cmp_gt_u32_e32 vcc, 62, v54
	v_add_u32_e32 v21, v21, v22
	v_cndmask_b32_e64 v22, 0, 1, vcc
	v_lshlrev_b32_e32 v22, 1, v22
	v_add_lshl_u32 v56, v22, v48, 2
	ds_bpermute_b32 v22, v56, v21
	v_add_u32_e32 v57, 2, v54
	v_cmp_le_u32_e32 vcc, v57, v11
	v_add_u32_e32 v59, 4, v54
	v_add_u32_e32 v61, 8, v54
	s_waitcnt lgkmcnt(0)
	v_cndmask_b32_e32 v22, 0, v22, vcc
	v_cmp_gt_u32_e32 vcc, 60, v54
	v_add_u32_e32 v21, v21, v22
	v_cndmask_b32_e64 v22, 0, 1, vcc
	v_lshlrev_b32_e32 v22, 2, v22
	v_add_lshl_u32 v58, v22, v48, 2
	ds_bpermute_b32 v22, v58, v21
	v_cmp_le_u32_e32 vcc, v59, v11
	v_add_u32_e32 v63, 16, v54
	v_add_u32_e32 v65, 32, v54
	s_waitcnt lgkmcnt(0)
	v_cndmask_b32_e32 v22, 0, v22, vcc
	v_cmp_gt_u32_e32 vcc, 56, v54
	v_add_u32_e32 v21, v21, v22
	v_cndmask_b32_e64 v22, 0, 1, vcc
	v_lshlrev_b32_e32 v22, 3, v22
	v_add_lshl_u32 v60, v22, v48, 2
	ds_bpermute_b32 v22, v60, v21
	v_cmp_le_u32_e32 vcc, v61, v11
	s_waitcnt lgkmcnt(0)
	v_cndmask_b32_e32 v22, 0, v22, vcc
	v_cmp_gt_u32_e32 vcc, 48, v54
	v_add_u32_e32 v21, v21, v22
	v_cndmask_b32_e64 v22, 0, 1, vcc
	v_lshlrev_b32_e32 v22, 4, v22
	v_add_lshl_u32 v62, v22, v48, 2
	ds_bpermute_b32 v22, v62, v21
	v_cmp_le_u32_e32 vcc, v63, v11
	;; [unrolled: 9-line block ×3, first 2 shown]
	s_waitcnt lgkmcnt(0)
	v_cndmask_b32_e32 v11, 0, v22, vcc
	v_add_u32_e32 v22, v21, v11
	v_mov_b32_e32 v21, 0
	s_branch .LBB282_108
.LBB282_107:                            ;   in Loop: Header=BB282_108 Depth=1
	s_or_b64 exec, exec, s[38:39]
	v_cmp_eq_u16_sdwa s[38:39], v23, v53 src0_sel:BYTE_0 src1_sel:DWORD
	v_and_b32_e32 v26, s39, v25
	v_or_b32_e32 v26, 0x80000000, v26
	ds_bpermute_b32 v66, v55, v22
	v_and_b32_e32 v27, s38, v24
	v_ffbl_b32_e32 v26, v26
	v_add_u32_e32 v26, 32, v26
	v_ffbl_b32_e32 v27, v27
	v_min_u32_e32 v26, v27, v26
	v_cmp_lt_u32_e32 vcc, v54, v26
	s_waitcnt lgkmcnt(0)
	v_cndmask_b32_e32 v27, 0, v66, vcc
	v_add_u32_e32 v22, v27, v22
	ds_bpermute_b32 v27, v56, v22
	v_cmp_le_u32_e32 vcc, v57, v26
	v_subrev_u32_e32 v20, 64, v20
	s_waitcnt lgkmcnt(0)
	v_cndmask_b32_e32 v27, 0, v27, vcc
	v_add_u32_e32 v22, v22, v27
	ds_bpermute_b32 v27, v58, v22
	v_cmp_le_u32_e32 vcc, v59, v26
	s_waitcnt lgkmcnt(0)
	v_cndmask_b32_e32 v27, 0, v27, vcc
	v_add_u32_e32 v22, v22, v27
	ds_bpermute_b32 v27, v60, v22
	v_cmp_le_u32_e32 vcc, v61, v26
	;; [unrolled: 5-line block ×4, first 2 shown]
	s_waitcnt lgkmcnt(0)
	v_cndmask_b32_e32 v26, 0, v27, vcc
	v_add3_u32 v22, v26, v11, v22
.LBB282_108:                            ; =>This Loop Header: Depth=1
                                        ;     Child Loop BB282_111 Depth 2
	v_cmp_ne_u16_sdwa s[38:39], v23, v53 src0_sel:BYTE_0 src1_sel:DWORD
	v_cndmask_b32_e64 v11, 0, 1, s[38:39]
	;;#ASMSTART
	;;#ASMEND
	v_cmp_ne_u32_e32 vcc, 0, v11
	s_cmp_lg_u64 vcc, exec
	v_mov_b32_e32 v11, v22
	s_cbranch_scc1 .LBB282_113
; %bb.109:                              ;   in Loop: Header=BB282_108 Depth=1
	v_lshlrev_b64 v[22:23], 3, v[20:21]
	v_mov_b32_e32 v27, s35
	v_add_co_u32_e32 v26, vcc, s34, v22
	v_addc_co_u32_e32 v27, vcc, v27, v23, vcc
	global_load_dwordx2 v[22:23], v[26:27], off glc
	s_waitcnt vmcnt(0)
	v_cmp_eq_u16_sdwa s[40:41], v23, v21 src0_sel:BYTE_0 src1_sel:DWORD
	s_and_saveexec_b64 s[38:39], s[40:41]
	s_cbranch_execz .LBB282_107
; %bb.110:                              ;   in Loop: Header=BB282_108 Depth=1
	s_mov_b64 s[40:41], 0
.LBB282_111:                            ;   Parent Loop BB282_108 Depth=1
                                        ; =>  This Inner Loop Header: Depth=2
	global_load_dwordx2 v[22:23], v[26:27], off glc
	s_waitcnt vmcnt(0)
	v_cmp_ne_u16_sdwa s[44:45], v23, v21 src0_sel:BYTE_0 src1_sel:DWORD
	s_or_b64 s[40:41], s[44:45], s[40:41]
	s_andn2_b64 exec, exec, s[40:41]
	s_cbranch_execnz .LBB282_111
; %bb.112:                              ;   in Loop: Header=BB282_108 Depth=1
	s_or_b64 exec, exec, s[40:41]
	s_branch .LBB282_107
.LBB282_113:                            ;   in Loop: Header=BB282_108 Depth=1
                                        ; implicit-def: $vgpr22
                                        ; implicit-def: $vgpr23
	s_cbranch_execz .LBB282_108
; %bb.114:
	s_and_saveexec_b64 s[38:39], s[16:17]
	s_cbranch_execz .LBB282_116
; %bb.115:
	s_add_i32 s40, s42, 64
	s_mov_b32 s41, 0
	s_lshl_b64 s[40:41], s[40:41], 3
	s_add_u32 s40, s34, s40
	v_add_u32_e32 v20, v11, v10
	v_mov_b32_e32 v21, 2
	s_addc_u32 s41, s35, s41
	v_mov_b32_e32 v22, 0
	global_store_dwordx2 v22, v[20:21], s[40:41]
	ds_write_b64 v22, v[10:11] offset:10240
.LBB282_116:
	s_or_b64 exec, exec, s[38:39]
	s_and_b64 exec, exec, s[0:1]
	s_cbranch_execz .LBB282_118
; %bb.117:
	v_mov_b32_e32 v10, 0
	ds_write_b32 v10, v11 offset:12
.LBB282_118:
	s_or_b64 exec, exec, s[36:37]
	v_mov_b32_e32 v10, 0
	s_waitcnt lgkmcnt(0)
	s_barrier
	ds_read_b32 v20, v10 offset:12
	s_waitcnt lgkmcnt(0)
	s_barrier
	ds_read_b64 v[10:11], v10 offset:10240
	v_cndmask_b32_e64 v21, v52, v51, s[16:17]
	v_cndmask_b32_e64 v21, v21, 0, s[0:1]
	v_add_u32_e32 v24, v20, v21
	s_branch .LBB282_129
.LBB282_119:
                                        ; implicit-def: $vgpr11
                                        ; implicit-def: $vgpr24
	s_cbranch_execz .LBB282_129
; %bb.120:
	s_waitcnt lgkmcnt(0)
	v_mov_b32_dpp v10, v50 row_shr:1 row_mask:0xf bank_mask:0xf
	v_cndmask_b32_e64 v10, v10, 0, s[14:15]
	v_add_u32_e32 v10, v10, v50
	s_nop 1
	v_mov_b32_dpp v11, v10 row_shr:2 row_mask:0xf bank_mask:0xf
	v_cndmask_b32_e64 v11, 0, v11, s[12:13]
	v_add_u32_e32 v10, v10, v11
	s_nop 1
	v_mov_b32_dpp v11, v10 row_shr:4 row_mask:0xf bank_mask:0xf
	v_cndmask_b32_e64 v11, 0, v11, s[10:11]
	v_add_u32_e32 v10, v10, v11
	s_nop 1
	v_mov_b32_dpp v11, v10 row_shr:8 row_mask:0xf bank_mask:0xf
	v_cndmask_b32_e64 v11, 0, v11, s[8:9]
	v_add_u32_e32 v10, v10, v11
	s_nop 1
	v_mov_b32_dpp v11, v10 row_bcast:15 row_mask:0xf bank_mask:0xf
	v_cndmask_b32_e64 v11, v11, 0, s[6:7]
	v_add_u32_e32 v10, v10, v11
	s_nop 1
	v_mov_b32_dpp v11, v10 row_bcast:31 row_mask:0xf bank_mask:0xf
	v_cndmask_b32_e64 v11, 0, v11, s[2:3]
	v_add_u32_e32 v10, v10, v11
	s_and_saveexec_b64 s[2:3], s[4:5]
	s_cbranch_execz .LBB282_122
; %bb.121:
	v_lshlrev_b32_e32 v11, 2, v49
	ds_write_b32 v11, v10
.LBB282_122:
	s_or_b64 exec, exec, s[2:3]
	v_cmp_gt_u32_e32 vcc, 4, v0
	s_waitcnt lgkmcnt(0)
	s_barrier
	s_and_saveexec_b64 s[2:3], vcc
	s_cbranch_execz .LBB282_124
; %bb.123:
	v_lshlrev_b32_e32 v11, 2, v0
	ds_read_b32 v20, v11
	v_and_b32_e32 v21, 3, v48
	v_cmp_ne_u32_e32 vcc, 0, v21
	s_waitcnt lgkmcnt(0)
	v_mov_b32_dpp v22, v20 row_shr:1 row_mask:0xf bank_mask:0xf
	v_cndmask_b32_e32 v22, 0, v22, vcc
	v_add_u32_e32 v20, v22, v20
	v_cmp_lt_u32_e32 vcc, 1, v21
	s_nop 0
	v_mov_b32_dpp v22, v20 row_shr:2 row_mask:0xf bank_mask:0xf
	v_cndmask_b32_e32 v21, 0, v22, vcc
	v_add_u32_e32 v20, v20, v21
	ds_write_b32 v11, v20
.LBB282_124:
	s_or_b64 exec, exec, s[2:3]
	v_cmp_lt_u32_e32 vcc, 63, v0
	v_mov_b32_e32 v11, 0
	v_mov_b32_e32 v20, 0
	s_waitcnt lgkmcnt(0)
	s_barrier
	s_and_saveexec_b64 s[2:3], vcc
	s_cbranch_execz .LBB282_126
; %bb.125:
	v_lshl_add_u32 v20, v49, 2, -4
	ds_read_b32 v20, v20
.LBB282_126:
	s_or_b64 exec, exec, s[2:3]
	v_add_u32_e32 v21, -1, v48
	v_and_b32_e32 v22, 64, v48
	v_cmp_lt_i32_e32 vcc, v21, v22
	v_cndmask_b32_e32 v21, v21, v48, vcc
	s_waitcnt lgkmcnt(0)
	v_add_u32_e32 v10, v20, v10
	v_lshlrev_b32_e32 v21, 2, v21
	ds_bpermute_b32 v21, v21, v10
	ds_read_b32 v10, v11 offset:12
	s_and_saveexec_b64 s[2:3], s[0:1]
	s_cbranch_execz .LBB282_128
; %bb.127:
	v_mov_b32_e32 v22, 0
	v_mov_b32_e32 v11, 2
	s_waitcnt lgkmcnt(0)
	global_store_dwordx2 v22, v[10:11], s[34:35] offset:512
.LBB282_128:
	s_or_b64 exec, exec, s[2:3]
	v_cmp_eq_u32_e32 vcc, 0, v48
	s_waitcnt lgkmcnt(1)
	v_cndmask_b32_e32 v20, v21, v20, vcc
	v_mov_b32_e32 v11, 0
	v_cndmask_b32_e64 v24, v20, 0, s[0:1]
	s_waitcnt lgkmcnt(0)
	s_barrier
.LBB282_129:
	v_add_u32_sdwa v26, v24, v18 dst_sel:DWORD dst_unused:UNUSED_PAD src0_sel:DWORD src1_sel:BYTE_0
	s_waitcnt lgkmcnt(0)
	v_add_u32_e32 v28, v10, v28
	v_sub_u32_e32 v24, v24, v11
	v_and_b32_e32 v53, 1, v18
	v_sub_u32_e32 v52, v28, v24
	v_cmp_eq_u32_e32 vcc, 1, v53
	v_cndmask_b32_e32 v24, v52, v24, vcc
	v_lshlrev_b32_e32 v24, 1, v24
	v_lshrrev_b32_e32 v25, 8, v18
	ds_write_b16 v24, v6
	v_sub_u32_e32 v24, v26, v11
	v_add_u32_sdwa v27, v26, v18 dst_sel:DWORD dst_unused:UNUSED_PAD src0_sel:DWORD src1_sel:BYTE_1
	v_sub_u32_e32 v26, v28, v24
	v_and_b32_e32 v25, 1, v25
	v_add_u32_e32 v26, 1, v26
	v_cmp_eq_u32_e32 vcc, 1, v25
	v_cndmask_b32_e32 v24, v26, v24, vcc
	v_lshlrev_b32_e32 v24, 1, v24
	ds_write_b16_d16_hi v24, v6
	v_sub_u32_e32 v6, v27, v11
	v_mov_b32_e32 v25, 1
	v_sub_u32_e32 v24, v28, v6
	v_and_b32_sdwa v18, v25, v18 dst_sel:DWORD dst_unused:UNUSED_PAD src0_sel:DWORD src1_sel:WORD_1
	v_add_u32_e32 v24, 2, v24
	v_cmp_eq_u32_e32 vcc, 1, v18
	v_cndmask_b32_e32 v6, v24, v6, vcc
	v_add_u32_e32 v47, v27, v47
	v_lshlrev_b32_e32 v6, 1, v6
	ds_write_b16 v6, v7
	v_sub_u32_e32 v6, v47, v11
	v_sub_u32_e32 v18, v28, v6
	v_and_b32_e32 v24, 1, v35
	v_add_u32_e32 v18, 3, v18
	v_cmp_eq_u32_e32 vcc, 1, v24
	v_cndmask_b32_e32 v6, v18, v6, vcc
	v_add_u32_e32 v48, v47, v35
	v_lshlrev_b32_e32 v6, 1, v6
	ds_write_b16_d16_hi v6, v7
	v_sub_u32_e32 v6, v48, v11
	v_sub_u32_e32 v7, v28, v6
	v_and_b32_e32 v18, 1, v19
	v_add_u32_e32 v7, 4, v7
	v_cmp_eq_u32_e32 vcc, 1, v18
	v_cndmask_b32_e32 v6, v7, v6, vcc
	v_add_u32_e32 v44, v48, v44
	v_lshlrev_b32_e32 v6, 1, v6
	v_lshrrev_b32_e32 v23, 8, v19
	ds_write_b16 v6, v8
	v_sub_u32_e32 v6, v44, v11
	v_sub_u32_e32 v7, v28, v6
	v_and_b32_e32 v18, 1, v23
	v_add_u32_e32 v7, 5, v7
	v_cmp_eq_u32_e32 vcc, 1, v18
	v_cndmask_b32_e32 v6, v7, v6, vcc
	v_add_u32_e32 v45, v44, v45
	v_lshlrev_b32_e32 v6, 1, v6
	ds_write_b16_d16_hi v6, v8
	v_sub_u32_e32 v6, v45, v11
	v_sub_u32_e32 v7, v28, v6
	v_and_b32_sdwa v8, v25, v19 dst_sel:DWORD dst_unused:UNUSED_PAD src0_sel:DWORD src1_sel:WORD_1
	v_add_u32_e32 v7, 6, v7
	v_cmp_eq_u32_e32 vcc, 1, v8
	v_cndmask_b32_e32 v6, v7, v6, vcc
	v_add_u32_e32 v46, v45, v46
	v_lshlrev_b32_e32 v6, 1, v6
	ds_write_b16 v6, v9
	v_sub_u32_e32 v6, v46, v11
	v_sub_u32_e32 v7, v28, v6
	v_and_b32_e32 v8, 1, v34
	v_add_u32_e32 v7, 7, v7
	v_cmp_eq_u32_e32 vcc, 1, v8
	v_cndmask_b32_e32 v6, v7, v6, vcc
	v_add_u32_e32 v49, v46, v34
	v_lshlrev_b32_e32 v6, 1, v6
	ds_write_b16_d16_hi v6, v9
	v_sub_u32_e32 v6, v49, v11
	v_sub_u32_e32 v7, v28, v6
	v_and_b32_e32 v8, 1, v16
	v_add_u32_e32 v7, 8, v7
	v_cmp_eq_u32_e32 vcc, 1, v8
	v_cndmask_b32_e32 v6, v7, v6, vcc
	v_add_u32_e32 v41, v49, v41
	v_lshlrev_b32_e32 v6, 1, v6
	v_lshrrev_b32_e32 v22, 8, v16
	ds_write_b16 v6, v2
	v_sub_u32_e32 v6, v41, v11
	v_sub_u32_e32 v7, v28, v6
	v_and_b32_e32 v8, 1, v22
	v_add_u32_e32 v7, 9, v7
	v_cmp_eq_u32_e32 vcc, 1, v8
	v_cndmask_b32_e32 v6, v7, v6, vcc
	v_add_u32_e32 v42, v41, v42
	v_lshlrev_b32_e32 v6, 1, v6
	ds_write_b16_d16_hi v6, v2
	v_sub_u32_e32 v2, v42, v11
	;; [unrolled: 37-line block ×4, first 2 shown]
	v_sub_u32_e32 v3, v28, v2
	v_and_b32_sdwa v4, v25, v30 dst_sel:DWORD dst_unused:UNUSED_PAD src0_sel:DWORD src1_sel:WORD_1
	v_add_u32_e32 v3, 18, v3
	v_cmp_eq_u32_e32 vcc, 1, v4
	v_cndmask_b32_e32 v2, v3, v2, vcc
	v_lshlrev_b32_e32 v2, 1, v2
	ds_write_b16 v2, v15
	v_sub_u32_e32 v2, v31, v11
	v_add_u32_e32 v2, v37, v2
	v_sub_u32_e32 v3, v28, v2
	v_and_b32_e32 v4, 1, v29
	v_add_u32_e32 v3, 19, v3
	v_cmp_eq_u32_e32 vcc, 1, v4
	v_cndmask_b32_e32 v2, v3, v2, vcc
	v_lshlrev_b32_e32 v2, 1, v2
	ds_write_b16_d16_hi v2, v15
	s_waitcnt lgkmcnt(0)
	s_barrier
	ds_read_u16 v49, v1
	ds_read_u16 v47, v1 offset:512
	ds_read_u16 v45, v1 offset:1024
	;; [unrolled: 1-line block ×19, first 2 shown]
	s_add_u32 s2, s18, s28
	s_addc_u32 s3, s19, 0
	s_waitcnt vmcnt(0)
	v_add_co_u32_e32 v1, vcc, v12, v11
	s_sub_u32 s2, s26, s2
	v_addc_co_u32_e32 v4, vcc, 0, v13, vcc
	s_subb_u32 s3, s27, s3
	v_mov_b32_e32 v2, s3
	v_add_co_u32_e32 v3, vcc, s2, v10
	v_addc_co_u32_e32 v2, vcc, 0, v2, vcc
	v_add_co_u32_e64 v7, s[2:3], v3, v1
	v_or_b32_e32 v48, 0x100, v0
	v_or_b32_e32 v46, 0x200, v0
	v_or_b32_e32 v44, 0x300, v0
	v_or_b32_e32 v42, 0x400, v0
	v_or_b32_e32 v40, 0x500, v0
	v_or_b32_e32 v38, 0x600, v0
	v_or_b32_e32 v36, 0x700, v0
	v_or_b32_e32 v34, 0x800, v0
	v_or_b32_e32 v32, 0x900, v0
	v_or_b32_e32 v30, 0xa00, v0
	v_or_b32_e32 v28, 0xb00, v0
	v_or_b32_e32 v26, 0xc00, v0
	v_or_b32_e32 v24, 0xd00, v0
	v_or_b32_e32 v22, 0xe00, v0
	v_or_b32_e32 v20, 0xf00, v0
	v_or_b32_e32 v18, 0x1000, v0
	v_or_b32_e32 v16, 0x1100, v0
	v_or_b32_e32 v14, 0x1200, v0
	v_or_b32_e32 v6, 0x1300, v0
	s_andn2_b64 vcc, exec, s[30:31]
	v_addc_co_u32_e64 v8, s[2:3], v2, v4, s[2:3]
	s_cbranch_vccnz .LBB282_214
; %bb.130:
	v_cmp_ge_u32_e32 vcc, v0, v10
                                        ; implicit-def: $vgpr2_vgpr3
	s_and_saveexec_b64 s[2:3], vcc
	s_xor_b64 s[2:3], exec, s[2:3]
; %bb.131:
	v_not_b32_e32 v2, v0
	v_ashrrev_i32_e32 v3, 31, v2
	v_add_co_u32_e32 v2, vcc, v7, v2
	v_addc_co_u32_e32 v3, vcc, v8, v3, vcc
; %bb.132:
	s_andn2_saveexec_b64 s[2:3], s[2:3]
; %bb.133:
	v_add_co_u32_e32 v2, vcc, v1, v0
	v_addc_co_u32_e32 v3, vcc, 0, v4, vcc
; %bb.134:
	s_or_b64 exec, exec, s[2:3]
	v_lshlrev_b64 v[2:3], 1, v[2:3]
	v_mov_b32_e32 v11, s25
	v_add_co_u32_e32 v2, vcc, s24, v2
	v_addc_co_u32_e32 v3, vcc, v11, v3, vcc
	v_cmp_ge_u32_e32 vcc, v48, v10
	s_waitcnt lgkmcnt(14)
	global_store_short v[2:3], v49, off
                                        ; implicit-def: $vgpr2_vgpr3
	s_and_saveexec_b64 s[2:3], vcc
	s_xor_b64 s[2:3], exec, s[2:3]
; %bb.135:
	v_xor_b32_e32 v2, 0xfffffeff, v0
	v_ashrrev_i32_e32 v3, 31, v2
	v_add_co_u32_e32 v2, vcc, v7, v2
	v_addc_co_u32_e32 v3, vcc, v8, v3, vcc
; %bb.136:
	s_andn2_saveexec_b64 s[2:3], s[2:3]
; %bb.137:
	v_add_co_u32_e32 v2, vcc, v1, v48
	v_addc_co_u32_e32 v3, vcc, 0, v4, vcc
; %bb.138:
	s_or_b64 exec, exec, s[2:3]
	v_lshlrev_b64 v[2:3], 1, v[2:3]
	v_mov_b32_e32 v11, s25
	v_add_co_u32_e32 v2, vcc, s24, v2
	v_addc_co_u32_e32 v3, vcc, v11, v3, vcc
	v_cmp_ge_u32_e32 vcc, v46, v10
	global_store_short v[2:3], v47, off
                                        ; implicit-def: $vgpr2_vgpr3
	s_and_saveexec_b64 s[2:3], vcc
	s_xor_b64 s[2:3], exec, s[2:3]
; %bb.139:
	v_xor_b32_e32 v2, 0xfffffdff, v0
	v_ashrrev_i32_e32 v3, 31, v2
	v_add_co_u32_e32 v2, vcc, v7, v2
	v_addc_co_u32_e32 v3, vcc, v8, v3, vcc
; %bb.140:
	s_andn2_saveexec_b64 s[2:3], s[2:3]
; %bb.141:
	v_add_co_u32_e32 v2, vcc, v1, v46
	v_addc_co_u32_e32 v3, vcc, 0, v4, vcc
; %bb.142:
	s_or_b64 exec, exec, s[2:3]
	v_lshlrev_b64 v[2:3], 1, v[2:3]
	v_mov_b32_e32 v11, s25
	v_add_co_u32_e32 v2, vcc, s24, v2
	v_addc_co_u32_e32 v3, vcc, v11, v3, vcc
	v_cmp_ge_u32_e32 vcc, v44, v10
	;; [unrolled: 21-line block ×6, first 2 shown]
	s_waitcnt lgkmcnt(13)
	global_store_short v[2:3], v37, off
                                        ; implicit-def: $vgpr2_vgpr3
	s_and_saveexec_b64 s[2:3], vcc
	s_xor_b64 s[2:3], exec, s[2:3]
; %bb.159:
	v_xor_b32_e32 v2, 0xfffff8ff, v0
	v_ashrrev_i32_e32 v3, 31, v2
	v_add_co_u32_e32 v2, vcc, v7, v2
	v_addc_co_u32_e32 v3, vcc, v8, v3, vcc
; %bb.160:
	s_andn2_saveexec_b64 s[2:3], s[2:3]
; %bb.161:
	v_add_co_u32_e32 v2, vcc, v1, v36
	v_addc_co_u32_e32 v3, vcc, 0, v4, vcc
; %bb.162:
	s_or_b64 exec, exec, s[2:3]
	v_lshlrev_b64 v[2:3], 1, v[2:3]
	v_mov_b32_e32 v11, s25
	v_add_co_u32_e32 v2, vcc, s24, v2
	v_addc_co_u32_e32 v3, vcc, v11, v3, vcc
	v_cmp_ge_u32_e32 vcc, v34, v10
	s_waitcnt lgkmcnt(12)
	global_store_short v[2:3], v35, off
                                        ; implicit-def: $vgpr2_vgpr3
	s_and_saveexec_b64 s[2:3], vcc
	s_xor_b64 s[2:3], exec, s[2:3]
; %bb.163:
	v_xor_b32_e32 v2, 0xfffff7ff, v0
	v_ashrrev_i32_e32 v3, 31, v2
	v_add_co_u32_e32 v2, vcc, v7, v2
	v_addc_co_u32_e32 v3, vcc, v8, v3, vcc
; %bb.164:
	s_andn2_saveexec_b64 s[2:3], s[2:3]
; %bb.165:
	v_add_co_u32_e32 v2, vcc, v1, v34
	v_addc_co_u32_e32 v3, vcc, 0, v4, vcc
; %bb.166:
	s_or_b64 exec, exec, s[2:3]
	v_lshlrev_b64 v[2:3], 1, v[2:3]
	v_mov_b32_e32 v11, s25
	v_add_co_u32_e32 v2, vcc, s24, v2
	v_addc_co_u32_e32 v3, vcc, v11, v3, vcc
	v_cmp_ge_u32_e32 vcc, v32, v10
	s_waitcnt lgkmcnt(11)
	global_store_short v[2:3], v33, off
                                        ; implicit-def: $vgpr2_vgpr3
	s_and_saveexec_b64 s[2:3], vcc
	s_xor_b64 s[2:3], exec, s[2:3]
; %bb.167:
	v_xor_b32_e32 v2, 0xfffff6ff, v0
	v_ashrrev_i32_e32 v3, 31, v2
	v_add_co_u32_e32 v2, vcc, v7, v2
	v_addc_co_u32_e32 v3, vcc, v8, v3, vcc
; %bb.168:
	s_andn2_saveexec_b64 s[2:3], s[2:3]
; %bb.169:
	v_add_co_u32_e32 v2, vcc, v1, v32
	v_addc_co_u32_e32 v3, vcc, 0, v4, vcc
; %bb.170:
	s_or_b64 exec, exec, s[2:3]
	v_lshlrev_b64 v[2:3], 1, v[2:3]
	v_mov_b32_e32 v11, s25
	v_add_co_u32_e32 v2, vcc, s24, v2
	v_addc_co_u32_e32 v3, vcc, v11, v3, vcc
	v_cmp_ge_u32_e32 vcc, v30, v10
	s_waitcnt lgkmcnt(10)
	global_store_short v[2:3], v31, off
                                        ; implicit-def: $vgpr2_vgpr3
	s_and_saveexec_b64 s[2:3], vcc
	s_xor_b64 s[2:3], exec, s[2:3]
; %bb.171:
	v_xor_b32_e32 v2, 0xfffff5ff, v0
	v_ashrrev_i32_e32 v3, 31, v2
	v_add_co_u32_e32 v2, vcc, v7, v2
	v_addc_co_u32_e32 v3, vcc, v8, v3, vcc
; %bb.172:
	s_andn2_saveexec_b64 s[2:3], s[2:3]
; %bb.173:
	v_add_co_u32_e32 v2, vcc, v1, v30
	v_addc_co_u32_e32 v3, vcc, 0, v4, vcc
; %bb.174:
	s_or_b64 exec, exec, s[2:3]
	v_lshlrev_b64 v[2:3], 1, v[2:3]
	v_mov_b32_e32 v11, s25
	v_add_co_u32_e32 v2, vcc, s24, v2
	v_addc_co_u32_e32 v3, vcc, v11, v3, vcc
	v_cmp_ge_u32_e32 vcc, v28, v10
	s_waitcnt lgkmcnt(9)
	global_store_short v[2:3], v29, off
                                        ; implicit-def: $vgpr2_vgpr3
	s_and_saveexec_b64 s[2:3], vcc
	s_xor_b64 s[2:3], exec, s[2:3]
; %bb.175:
	v_xor_b32_e32 v2, 0xfffff4ff, v0
	v_ashrrev_i32_e32 v3, 31, v2
	v_add_co_u32_e32 v2, vcc, v7, v2
	v_addc_co_u32_e32 v3, vcc, v8, v3, vcc
; %bb.176:
	s_andn2_saveexec_b64 s[2:3], s[2:3]
; %bb.177:
	v_add_co_u32_e32 v2, vcc, v1, v28
	v_addc_co_u32_e32 v3, vcc, 0, v4, vcc
; %bb.178:
	s_or_b64 exec, exec, s[2:3]
	v_lshlrev_b64 v[2:3], 1, v[2:3]
	v_mov_b32_e32 v11, s25
	v_add_co_u32_e32 v2, vcc, s24, v2
	v_addc_co_u32_e32 v3, vcc, v11, v3, vcc
	v_cmp_ge_u32_e32 vcc, v26, v10
	s_waitcnt lgkmcnt(8)
	global_store_short v[2:3], v27, off
                                        ; implicit-def: $vgpr2_vgpr3
	s_and_saveexec_b64 s[2:3], vcc
	s_xor_b64 s[2:3], exec, s[2:3]
; %bb.179:
	v_xor_b32_e32 v2, 0xfffff3ff, v0
	v_ashrrev_i32_e32 v3, 31, v2
	v_add_co_u32_e32 v2, vcc, v7, v2
	v_addc_co_u32_e32 v3, vcc, v8, v3, vcc
; %bb.180:
	s_andn2_saveexec_b64 s[2:3], s[2:3]
; %bb.181:
	v_add_co_u32_e32 v2, vcc, v1, v26
	v_addc_co_u32_e32 v3, vcc, 0, v4, vcc
; %bb.182:
	s_or_b64 exec, exec, s[2:3]
	v_lshlrev_b64 v[2:3], 1, v[2:3]
	v_mov_b32_e32 v11, s25
	v_add_co_u32_e32 v2, vcc, s24, v2
	v_addc_co_u32_e32 v3, vcc, v11, v3, vcc
	v_cmp_ge_u32_e32 vcc, v24, v10
	s_waitcnt lgkmcnt(7)
	global_store_short v[2:3], v25, off
                                        ; implicit-def: $vgpr2_vgpr3
	s_and_saveexec_b64 s[2:3], vcc
	s_xor_b64 s[2:3], exec, s[2:3]
; %bb.183:
	v_xor_b32_e32 v2, 0xfffff2ff, v0
	v_ashrrev_i32_e32 v3, 31, v2
	v_add_co_u32_e32 v2, vcc, v7, v2
	v_addc_co_u32_e32 v3, vcc, v8, v3, vcc
; %bb.184:
	s_andn2_saveexec_b64 s[2:3], s[2:3]
; %bb.185:
	v_add_co_u32_e32 v2, vcc, v1, v24
	v_addc_co_u32_e32 v3, vcc, 0, v4, vcc
; %bb.186:
	s_or_b64 exec, exec, s[2:3]
	v_lshlrev_b64 v[2:3], 1, v[2:3]
	v_mov_b32_e32 v11, s25
	v_add_co_u32_e32 v2, vcc, s24, v2
	v_addc_co_u32_e32 v3, vcc, v11, v3, vcc
	v_cmp_ge_u32_e32 vcc, v22, v10
	s_waitcnt lgkmcnt(6)
	global_store_short v[2:3], v23, off
                                        ; implicit-def: $vgpr2_vgpr3
	s_and_saveexec_b64 s[2:3], vcc
	s_xor_b64 s[2:3], exec, s[2:3]
; %bb.187:
	v_xor_b32_e32 v2, 0xfffff1ff, v0
	v_ashrrev_i32_e32 v3, 31, v2
	v_add_co_u32_e32 v2, vcc, v7, v2
	v_addc_co_u32_e32 v3, vcc, v8, v3, vcc
; %bb.188:
	s_andn2_saveexec_b64 s[2:3], s[2:3]
; %bb.189:
	v_add_co_u32_e32 v2, vcc, v1, v22
	v_addc_co_u32_e32 v3, vcc, 0, v4, vcc
; %bb.190:
	s_or_b64 exec, exec, s[2:3]
	v_lshlrev_b64 v[2:3], 1, v[2:3]
	v_mov_b32_e32 v11, s25
	v_add_co_u32_e32 v2, vcc, s24, v2
	v_addc_co_u32_e32 v3, vcc, v11, v3, vcc
	v_cmp_ge_u32_e32 vcc, v20, v10
	s_waitcnt lgkmcnt(5)
	global_store_short v[2:3], v21, off
                                        ; implicit-def: $vgpr2_vgpr3
	s_and_saveexec_b64 s[2:3], vcc
	s_xor_b64 s[2:3], exec, s[2:3]
; %bb.191:
	v_xor_b32_e32 v2, 0xfffff0ff, v0
	v_ashrrev_i32_e32 v3, 31, v2
	v_add_co_u32_e32 v2, vcc, v7, v2
	v_addc_co_u32_e32 v3, vcc, v8, v3, vcc
; %bb.192:
	s_andn2_saveexec_b64 s[2:3], s[2:3]
; %bb.193:
	v_add_co_u32_e32 v2, vcc, v1, v20
	v_addc_co_u32_e32 v3, vcc, 0, v4, vcc
; %bb.194:
	s_or_b64 exec, exec, s[2:3]
	v_lshlrev_b64 v[2:3], 1, v[2:3]
	v_mov_b32_e32 v11, s25
	v_add_co_u32_e32 v2, vcc, s24, v2
	v_addc_co_u32_e32 v3, vcc, v11, v3, vcc
	v_cmp_ge_u32_e32 vcc, v18, v10
	s_waitcnt lgkmcnt(4)
	global_store_short v[2:3], v19, off
                                        ; implicit-def: $vgpr2_vgpr3
	s_and_saveexec_b64 s[2:3], vcc
	s_xor_b64 s[2:3], exec, s[2:3]
; %bb.195:
	v_xor_b32_e32 v2, 0xffffefff, v0
	v_ashrrev_i32_e32 v3, 31, v2
	v_add_co_u32_e32 v2, vcc, v7, v2
	v_addc_co_u32_e32 v3, vcc, v8, v3, vcc
; %bb.196:
	s_andn2_saveexec_b64 s[2:3], s[2:3]
; %bb.197:
	v_add_co_u32_e32 v2, vcc, v1, v18
	v_addc_co_u32_e32 v3, vcc, 0, v4, vcc
; %bb.198:
	s_or_b64 exec, exec, s[2:3]
	v_lshlrev_b64 v[2:3], 1, v[2:3]
	v_mov_b32_e32 v11, s25
	v_add_co_u32_e32 v2, vcc, s24, v2
	v_addc_co_u32_e32 v3, vcc, v11, v3, vcc
	v_cmp_ge_u32_e32 vcc, v16, v10
	s_waitcnt lgkmcnt(3)
	global_store_short v[2:3], v17, off
                                        ; implicit-def: $vgpr2_vgpr3
	s_and_saveexec_b64 s[2:3], vcc
	s_xor_b64 s[2:3], exec, s[2:3]
; %bb.199:
	v_xor_b32_e32 v2, 0xffffeeff, v0
	v_ashrrev_i32_e32 v3, 31, v2
	v_add_co_u32_e32 v2, vcc, v7, v2
	v_addc_co_u32_e32 v3, vcc, v8, v3, vcc
; %bb.200:
	s_andn2_saveexec_b64 s[2:3], s[2:3]
; %bb.201:
	v_add_co_u32_e32 v2, vcc, v1, v16
	v_addc_co_u32_e32 v3, vcc, 0, v4, vcc
; %bb.202:
	s_or_b64 exec, exec, s[2:3]
	v_lshlrev_b64 v[2:3], 1, v[2:3]
	v_mov_b32_e32 v11, s25
	v_add_co_u32_e32 v2, vcc, s24, v2
	v_addc_co_u32_e32 v3, vcc, v11, v3, vcc
	v_cmp_ge_u32_e32 vcc, v14, v10
	s_waitcnt lgkmcnt(2)
	global_store_short v[2:3], v15, off
                                        ; implicit-def: $vgpr2_vgpr3
	s_and_saveexec_b64 s[2:3], vcc
	s_xor_b64 s[2:3], exec, s[2:3]
; %bb.203:
	v_xor_b32_e32 v2, 0xffffedff, v0
	v_ashrrev_i32_e32 v3, 31, v2
	v_add_co_u32_e32 v2, vcc, v7, v2
	v_addc_co_u32_e32 v3, vcc, v8, v3, vcc
; %bb.204:
	s_andn2_saveexec_b64 s[2:3], s[2:3]
; %bb.205:
	v_add_co_u32_e32 v2, vcc, v1, v14
	v_addc_co_u32_e32 v3, vcc, 0, v4, vcc
; %bb.206:
	s_or_b64 exec, exec, s[2:3]
	v_lshlrev_b64 v[2:3], 1, v[2:3]
	v_mov_b32_e32 v11, s25
	v_add_co_u32_e32 v2, vcc, s24, v2
	v_addc_co_u32_e32 v3, vcc, v11, v3, vcc
	v_cmp_ge_u32_e32 vcc, v6, v10
	s_waitcnt lgkmcnt(1)
	global_store_short v[2:3], v9, off
                                        ; implicit-def: $vgpr2_vgpr3
	s_and_saveexec_b64 s[2:3], vcc
	s_xor_b64 s[2:3], exec, s[2:3]
; %bb.207:
	v_xor_b32_e32 v2, 0xffffecff, v0
	v_ashrrev_i32_e32 v3, 31, v2
	v_add_co_u32_e32 v2, vcc, v7, v2
	v_addc_co_u32_e32 v3, vcc, v8, v3, vcc
; %bb.208:
	s_andn2_saveexec_b64 s[2:3], s[2:3]
; %bb.209:
	v_add_co_u32_e32 v2, vcc, v1, v6
	v_addc_co_u32_e32 v3, vcc, 0, v4, vcc
; %bb.210:
	s_or_b64 exec, exec, s[2:3]
	s_mov_b64 s[2:3], -1
.LBB282_211:
	s_and_saveexec_b64 s[4:5], s[2:3]
	s_cbranch_execz .LBB282_272
.LBB282_212:
	v_lshlrev_b64 v[2:3], 1, v[2:3]
	v_mov_b32_e32 v0, s25
	v_add_co_u32_e32 v2, vcc, s24, v2
	v_addc_co_u32_e32 v3, vcc, v0, v3, vcc
	s_waitcnt lgkmcnt(0)
	global_store_short v[2:3], v5, off
	s_or_b64 exec, exec, s[4:5]
	s_and_b64 s[0:1], s[0:1], s[22:23]
	s_and_saveexec_b64 s[2:3], s[0:1]
	s_cbranch_execnz .LBB282_273
.LBB282_213:
	s_endpgm
.LBB282_214:
	s_mov_b64 s[2:3], 0
                                        ; implicit-def: $vgpr2_vgpr3
	s_cbranch_execz .LBB282_211
; %bb.215:
	v_cmp_gt_u32_e32 vcc, s33, v0
	s_and_saveexec_b64 s[4:5], vcc
	s_cbranch_execz .LBB282_274
; %bb.216:
	v_cmp_ge_u32_e32 vcc, v0, v10
                                        ; implicit-def: $vgpr2_vgpr3
	s_and_saveexec_b64 s[6:7], vcc
	s_xor_b64 s[6:7], exec, s[6:7]
; %bb.217:
	v_not_b32_e32 v2, v0
	v_ashrrev_i32_e32 v3, 31, v2
	v_add_co_u32_e32 v2, vcc, v7, v2
	v_addc_co_u32_e32 v3, vcc, v8, v3, vcc
; %bb.218:
	s_andn2_saveexec_b64 s[6:7], s[6:7]
; %bb.219:
	v_add_co_u32_e32 v2, vcc, v1, v0
	v_addc_co_u32_e32 v3, vcc, 0, v4, vcc
; %bb.220:
	s_or_b64 exec, exec, s[6:7]
	v_lshlrev_b64 v[2:3], 1, v[2:3]
	v_mov_b32_e32 v11, s25
	v_add_co_u32_e32 v2, vcc, s24, v2
	v_addc_co_u32_e32 v3, vcc, v11, v3, vcc
	s_waitcnt lgkmcnt(14)
	global_store_short v[2:3], v49, off
	s_or_b64 exec, exec, s[4:5]
	v_cmp_gt_u32_e32 vcc, s33, v48
	s_and_saveexec_b64 s[4:5], vcc
	s_cbranch_execnz .LBB282_275
.LBB282_221:
	s_or_b64 exec, exec, s[4:5]
	v_cmp_gt_u32_e32 vcc, s33, v46
	s_and_saveexec_b64 s[4:5], vcc
	s_cbranch_execz .LBB282_280
.LBB282_222:
	v_cmp_ge_u32_e32 vcc, v46, v10
                                        ; implicit-def: $vgpr2_vgpr3
	s_and_saveexec_b64 s[6:7], vcc
	s_xor_b64 s[6:7], exec, s[6:7]
; %bb.223:
	v_xor_b32_e32 v2, 0xfffffdff, v0
	v_ashrrev_i32_e32 v3, 31, v2
	v_add_co_u32_e32 v2, vcc, v7, v2
	v_addc_co_u32_e32 v3, vcc, v8, v3, vcc
                                        ; implicit-def: $vgpr46
; %bb.224:
	s_andn2_saveexec_b64 s[6:7], s[6:7]
; %bb.225:
	v_add_co_u32_e32 v2, vcc, v1, v46
	v_addc_co_u32_e32 v3, vcc, 0, v4, vcc
; %bb.226:
	s_or_b64 exec, exec, s[6:7]
	v_lshlrev_b64 v[2:3], 1, v[2:3]
	v_mov_b32_e32 v11, s25
	v_add_co_u32_e32 v2, vcc, s24, v2
	v_addc_co_u32_e32 v3, vcc, v11, v3, vcc
	s_waitcnt lgkmcnt(14)
	global_store_short v[2:3], v45, off
	s_or_b64 exec, exec, s[4:5]
	v_cmp_gt_u32_e32 vcc, s33, v44
	s_and_saveexec_b64 s[4:5], vcc
	s_cbranch_execnz .LBB282_281
.LBB282_227:
	s_or_b64 exec, exec, s[4:5]
	v_cmp_gt_u32_e32 vcc, s33, v42
	s_and_saveexec_b64 s[4:5], vcc
	s_cbranch_execz .LBB282_286
.LBB282_228:
	v_cmp_ge_u32_e32 vcc, v42, v10
                                        ; implicit-def: $vgpr2_vgpr3
	s_and_saveexec_b64 s[6:7], vcc
	s_xor_b64 s[6:7], exec, s[6:7]
; %bb.229:
	v_xor_b32_e32 v2, 0xfffffbff, v0
	v_ashrrev_i32_e32 v3, 31, v2
	v_add_co_u32_e32 v2, vcc, v7, v2
	v_addc_co_u32_e32 v3, vcc, v8, v3, vcc
                                        ; implicit-def: $vgpr42
; %bb.230:
	s_andn2_saveexec_b64 s[6:7], s[6:7]
; %bb.231:
	v_add_co_u32_e32 v2, vcc, v1, v42
	v_addc_co_u32_e32 v3, vcc, 0, v4, vcc
; %bb.232:
	s_or_b64 exec, exec, s[6:7]
	v_lshlrev_b64 v[2:3], 1, v[2:3]
	v_mov_b32_e32 v11, s25
	v_add_co_u32_e32 v2, vcc, s24, v2
	v_addc_co_u32_e32 v3, vcc, v11, v3, vcc
	s_waitcnt lgkmcnt(14)
	global_store_short v[2:3], v41, off
	s_or_b64 exec, exec, s[4:5]
	v_cmp_gt_u32_e32 vcc, s33, v40
	s_and_saveexec_b64 s[4:5], vcc
	s_cbranch_execnz .LBB282_287
.LBB282_233:
	s_or_b64 exec, exec, s[4:5]
	v_cmp_gt_u32_e32 vcc, s33, v38
	s_and_saveexec_b64 s[4:5], vcc
	s_cbranch_execz .LBB282_292
.LBB282_234:
	v_cmp_ge_u32_e32 vcc, v38, v10
                                        ; implicit-def: $vgpr2_vgpr3
	s_and_saveexec_b64 s[6:7], vcc
	s_xor_b64 s[6:7], exec, s[6:7]
; %bb.235:
	v_xor_b32_e32 v2, 0xfffff9ff, v0
	v_ashrrev_i32_e32 v3, 31, v2
	v_add_co_u32_e32 v2, vcc, v7, v2
	v_addc_co_u32_e32 v3, vcc, v8, v3, vcc
                                        ; implicit-def: $vgpr38
; %bb.236:
	s_andn2_saveexec_b64 s[6:7], s[6:7]
; %bb.237:
	v_add_co_u32_e32 v2, vcc, v1, v38
	v_addc_co_u32_e32 v3, vcc, 0, v4, vcc
; %bb.238:
	s_or_b64 exec, exec, s[6:7]
	v_lshlrev_b64 v[2:3], 1, v[2:3]
	v_mov_b32_e32 v11, s25
	v_add_co_u32_e32 v2, vcc, s24, v2
	v_addc_co_u32_e32 v3, vcc, v11, v3, vcc
	s_waitcnt lgkmcnt(13)
	global_store_short v[2:3], v37, off
	s_or_b64 exec, exec, s[4:5]
	v_cmp_gt_u32_e32 vcc, s33, v36
	s_and_saveexec_b64 s[4:5], vcc
	s_cbranch_execnz .LBB282_293
.LBB282_239:
	s_or_b64 exec, exec, s[4:5]
	v_cmp_gt_u32_e32 vcc, s33, v34
	s_and_saveexec_b64 s[4:5], vcc
	s_cbranch_execz .LBB282_298
.LBB282_240:
	v_cmp_ge_u32_e32 vcc, v34, v10
                                        ; implicit-def: $vgpr2_vgpr3
	s_and_saveexec_b64 s[6:7], vcc
	s_xor_b64 s[6:7], exec, s[6:7]
; %bb.241:
	v_xor_b32_e32 v2, 0xfffff7ff, v0
	v_ashrrev_i32_e32 v3, 31, v2
	v_add_co_u32_e32 v2, vcc, v7, v2
	v_addc_co_u32_e32 v3, vcc, v8, v3, vcc
                                        ; implicit-def: $vgpr34
; %bb.242:
	s_andn2_saveexec_b64 s[6:7], s[6:7]
; %bb.243:
	v_add_co_u32_e32 v2, vcc, v1, v34
	v_addc_co_u32_e32 v3, vcc, 0, v4, vcc
; %bb.244:
	s_or_b64 exec, exec, s[6:7]
	v_lshlrev_b64 v[2:3], 1, v[2:3]
	v_mov_b32_e32 v11, s25
	v_add_co_u32_e32 v2, vcc, s24, v2
	v_addc_co_u32_e32 v3, vcc, v11, v3, vcc
	s_waitcnt lgkmcnt(11)
	global_store_short v[2:3], v33, off
	s_or_b64 exec, exec, s[4:5]
	v_cmp_gt_u32_e32 vcc, s33, v32
	s_and_saveexec_b64 s[4:5], vcc
	s_cbranch_execnz .LBB282_299
.LBB282_245:
	s_or_b64 exec, exec, s[4:5]
	v_cmp_gt_u32_e32 vcc, s33, v30
	s_and_saveexec_b64 s[4:5], vcc
	s_cbranch_execz .LBB282_304
.LBB282_246:
	v_cmp_ge_u32_e32 vcc, v30, v10
                                        ; implicit-def: $vgpr2_vgpr3
	s_and_saveexec_b64 s[6:7], vcc
	s_xor_b64 s[6:7], exec, s[6:7]
; %bb.247:
	v_xor_b32_e32 v2, 0xfffff5ff, v0
	v_ashrrev_i32_e32 v3, 31, v2
	v_add_co_u32_e32 v2, vcc, v7, v2
	v_addc_co_u32_e32 v3, vcc, v8, v3, vcc
                                        ; implicit-def: $vgpr30
; %bb.248:
	s_andn2_saveexec_b64 s[6:7], s[6:7]
; %bb.249:
	v_add_co_u32_e32 v2, vcc, v1, v30
	v_addc_co_u32_e32 v3, vcc, 0, v4, vcc
; %bb.250:
	s_or_b64 exec, exec, s[6:7]
	v_lshlrev_b64 v[2:3], 1, v[2:3]
	v_mov_b32_e32 v11, s25
	v_add_co_u32_e32 v2, vcc, s24, v2
	v_addc_co_u32_e32 v3, vcc, v11, v3, vcc
	s_waitcnt lgkmcnt(9)
	global_store_short v[2:3], v29, off
	s_or_b64 exec, exec, s[4:5]
	v_cmp_gt_u32_e32 vcc, s33, v28
	s_and_saveexec_b64 s[4:5], vcc
	s_cbranch_execnz .LBB282_305
.LBB282_251:
	s_or_b64 exec, exec, s[4:5]
	v_cmp_gt_u32_e32 vcc, s33, v26
	s_and_saveexec_b64 s[4:5], vcc
	s_cbranch_execz .LBB282_310
.LBB282_252:
	v_cmp_ge_u32_e32 vcc, v26, v10
                                        ; implicit-def: $vgpr2_vgpr3
	s_and_saveexec_b64 s[6:7], vcc
	s_xor_b64 s[6:7], exec, s[6:7]
; %bb.253:
	v_xor_b32_e32 v2, 0xfffff3ff, v0
	v_ashrrev_i32_e32 v3, 31, v2
	v_add_co_u32_e32 v2, vcc, v7, v2
	v_addc_co_u32_e32 v3, vcc, v8, v3, vcc
                                        ; implicit-def: $vgpr26
; %bb.254:
	s_andn2_saveexec_b64 s[6:7], s[6:7]
; %bb.255:
	v_add_co_u32_e32 v2, vcc, v1, v26
	v_addc_co_u32_e32 v3, vcc, 0, v4, vcc
; %bb.256:
	s_or_b64 exec, exec, s[6:7]
	v_lshlrev_b64 v[2:3], 1, v[2:3]
	v_mov_b32_e32 v11, s25
	v_add_co_u32_e32 v2, vcc, s24, v2
	v_addc_co_u32_e32 v3, vcc, v11, v3, vcc
	s_waitcnt lgkmcnt(7)
	global_store_short v[2:3], v25, off
	s_or_b64 exec, exec, s[4:5]
	v_cmp_gt_u32_e32 vcc, s33, v24
	s_and_saveexec_b64 s[4:5], vcc
	s_cbranch_execnz .LBB282_311
.LBB282_257:
	s_or_b64 exec, exec, s[4:5]
	v_cmp_gt_u32_e32 vcc, s33, v22
	s_and_saveexec_b64 s[4:5], vcc
	s_cbranch_execz .LBB282_316
.LBB282_258:
	v_cmp_ge_u32_e32 vcc, v22, v10
                                        ; implicit-def: $vgpr2_vgpr3
	s_and_saveexec_b64 s[6:7], vcc
	s_xor_b64 s[6:7], exec, s[6:7]
; %bb.259:
	v_xor_b32_e32 v2, 0xfffff1ff, v0
	v_ashrrev_i32_e32 v3, 31, v2
	v_add_co_u32_e32 v2, vcc, v7, v2
	v_addc_co_u32_e32 v3, vcc, v8, v3, vcc
                                        ; implicit-def: $vgpr22
; %bb.260:
	s_andn2_saveexec_b64 s[6:7], s[6:7]
; %bb.261:
	v_add_co_u32_e32 v2, vcc, v1, v22
	v_addc_co_u32_e32 v3, vcc, 0, v4, vcc
; %bb.262:
	s_or_b64 exec, exec, s[6:7]
	v_lshlrev_b64 v[2:3], 1, v[2:3]
	v_mov_b32_e32 v11, s25
	v_add_co_u32_e32 v2, vcc, s24, v2
	v_addc_co_u32_e32 v3, vcc, v11, v3, vcc
	s_waitcnt lgkmcnt(5)
	global_store_short v[2:3], v21, off
	s_or_b64 exec, exec, s[4:5]
	v_cmp_gt_u32_e32 vcc, s33, v20
	s_and_saveexec_b64 s[4:5], vcc
	s_cbranch_execnz .LBB282_317
.LBB282_263:
	s_or_b64 exec, exec, s[4:5]
	v_cmp_gt_u32_e32 vcc, s33, v18
	s_and_saveexec_b64 s[4:5], vcc
	s_cbranch_execz .LBB282_322
.LBB282_264:
	v_cmp_ge_u32_e32 vcc, v18, v10
                                        ; implicit-def: $vgpr2_vgpr3
	s_and_saveexec_b64 s[6:7], vcc
	s_xor_b64 s[6:7], exec, s[6:7]
; %bb.265:
	v_xor_b32_e32 v2, 0xffffefff, v0
	v_ashrrev_i32_e32 v3, 31, v2
	v_add_co_u32_e32 v2, vcc, v7, v2
	v_addc_co_u32_e32 v3, vcc, v8, v3, vcc
                                        ; implicit-def: $vgpr18
; %bb.266:
	s_andn2_saveexec_b64 s[6:7], s[6:7]
; %bb.267:
	v_add_co_u32_e32 v2, vcc, v1, v18
	v_addc_co_u32_e32 v3, vcc, 0, v4, vcc
; %bb.268:
	s_or_b64 exec, exec, s[6:7]
	v_lshlrev_b64 v[2:3], 1, v[2:3]
	v_mov_b32_e32 v11, s25
	v_add_co_u32_e32 v2, vcc, s24, v2
	v_addc_co_u32_e32 v3, vcc, v11, v3, vcc
	s_waitcnt lgkmcnt(3)
	global_store_short v[2:3], v17, off
	s_or_b64 exec, exec, s[4:5]
	v_cmp_gt_u32_e32 vcc, s33, v16
	s_and_saveexec_b64 s[4:5], vcc
	s_cbranch_execnz .LBB282_323
.LBB282_269:
	s_or_b64 exec, exec, s[4:5]
	v_cmp_gt_u32_e32 vcc, s33, v14
	s_and_saveexec_b64 s[4:5], vcc
	s_cbranch_execnz .LBB282_328
.LBB282_270:
	s_or_b64 exec, exec, s[4:5]
	v_cmp_gt_u32_e32 vcc, s33, v6
                                        ; implicit-def: $vgpr2_vgpr3
	s_and_saveexec_b64 s[4:5], vcc
	s_cbranch_execnz .LBB282_333
.LBB282_271:
	s_or_b64 exec, exec, s[4:5]
	s_and_saveexec_b64 s[4:5], s[2:3]
	s_cbranch_execnz .LBB282_212
.LBB282_272:
	s_or_b64 exec, exec, s[4:5]
	s_and_b64 s[0:1], s[0:1], s[22:23]
	s_and_saveexec_b64 s[2:3], s[0:1]
	s_cbranch_execz .LBB282_213
.LBB282_273:
	v_add_co_u32_e32 v0, vcc, v1, v10
	v_mov_b32_e32 v2, 0
	v_addc_co_u32_e32 v1, vcc, 0, v4, vcc
	global_store_dwordx2 v2, v[0:1], s[20:21]
	s_endpgm
.LBB282_274:
	s_or_b64 exec, exec, s[4:5]
	v_cmp_gt_u32_e32 vcc, s33, v48
	s_and_saveexec_b64 s[4:5], vcc
	s_cbranch_execz .LBB282_221
.LBB282_275:
	v_cmp_ge_u32_e32 vcc, v48, v10
                                        ; implicit-def: $vgpr2_vgpr3
	s_and_saveexec_b64 s[6:7], vcc
	s_xor_b64 s[6:7], exec, s[6:7]
; %bb.276:
	v_xor_b32_e32 v2, 0xfffffeff, v0
	v_ashrrev_i32_e32 v3, 31, v2
	v_add_co_u32_e32 v2, vcc, v7, v2
	v_addc_co_u32_e32 v3, vcc, v8, v3, vcc
                                        ; implicit-def: $vgpr48
; %bb.277:
	s_andn2_saveexec_b64 s[6:7], s[6:7]
; %bb.278:
	v_add_co_u32_e32 v2, vcc, v1, v48
	v_addc_co_u32_e32 v3, vcc, 0, v4, vcc
; %bb.279:
	s_or_b64 exec, exec, s[6:7]
	v_lshlrev_b64 v[2:3], 1, v[2:3]
	v_mov_b32_e32 v11, s25
	v_add_co_u32_e32 v2, vcc, s24, v2
	v_addc_co_u32_e32 v3, vcc, v11, v3, vcc
	s_waitcnt lgkmcnt(14)
	global_store_short v[2:3], v47, off
	s_or_b64 exec, exec, s[4:5]
	v_cmp_gt_u32_e32 vcc, s33, v46
	s_and_saveexec_b64 s[4:5], vcc
	s_cbranch_execnz .LBB282_222
.LBB282_280:
	s_or_b64 exec, exec, s[4:5]
	v_cmp_gt_u32_e32 vcc, s33, v44
	s_and_saveexec_b64 s[4:5], vcc
	s_cbranch_execz .LBB282_227
.LBB282_281:
	v_cmp_ge_u32_e32 vcc, v44, v10
                                        ; implicit-def: $vgpr2_vgpr3
	s_and_saveexec_b64 s[6:7], vcc
	s_xor_b64 s[6:7], exec, s[6:7]
; %bb.282:
	v_xor_b32_e32 v2, 0xfffffcff, v0
	v_ashrrev_i32_e32 v3, 31, v2
	v_add_co_u32_e32 v2, vcc, v7, v2
	v_addc_co_u32_e32 v3, vcc, v8, v3, vcc
                                        ; implicit-def: $vgpr44
; %bb.283:
	s_andn2_saveexec_b64 s[6:7], s[6:7]
; %bb.284:
	v_add_co_u32_e32 v2, vcc, v1, v44
	v_addc_co_u32_e32 v3, vcc, 0, v4, vcc
; %bb.285:
	s_or_b64 exec, exec, s[6:7]
	v_lshlrev_b64 v[2:3], 1, v[2:3]
	v_mov_b32_e32 v11, s25
	v_add_co_u32_e32 v2, vcc, s24, v2
	v_addc_co_u32_e32 v3, vcc, v11, v3, vcc
	s_waitcnt lgkmcnt(14)
	global_store_short v[2:3], v43, off
	s_or_b64 exec, exec, s[4:5]
	v_cmp_gt_u32_e32 vcc, s33, v42
	s_and_saveexec_b64 s[4:5], vcc
	s_cbranch_execnz .LBB282_228
.LBB282_286:
	s_or_b64 exec, exec, s[4:5]
	v_cmp_gt_u32_e32 vcc, s33, v40
	s_and_saveexec_b64 s[4:5], vcc
	s_cbranch_execz .LBB282_233
.LBB282_287:
	v_cmp_ge_u32_e32 vcc, v40, v10
                                        ; implicit-def: $vgpr2_vgpr3
	s_and_saveexec_b64 s[6:7], vcc
	s_xor_b64 s[6:7], exec, s[6:7]
; %bb.288:
	v_xor_b32_e32 v2, 0xfffffaff, v0
	v_ashrrev_i32_e32 v3, 31, v2
	v_add_co_u32_e32 v2, vcc, v7, v2
	v_addc_co_u32_e32 v3, vcc, v8, v3, vcc
                                        ; implicit-def: $vgpr40
; %bb.289:
	s_andn2_saveexec_b64 s[6:7], s[6:7]
; %bb.290:
	v_add_co_u32_e32 v2, vcc, v1, v40
	v_addc_co_u32_e32 v3, vcc, 0, v4, vcc
; %bb.291:
	s_or_b64 exec, exec, s[6:7]
	v_lshlrev_b64 v[2:3], 1, v[2:3]
	v_mov_b32_e32 v11, s25
	v_add_co_u32_e32 v2, vcc, s24, v2
	v_addc_co_u32_e32 v3, vcc, v11, v3, vcc
	s_waitcnt lgkmcnt(14)
	global_store_short v[2:3], v39, off
	s_or_b64 exec, exec, s[4:5]
	v_cmp_gt_u32_e32 vcc, s33, v38
	s_and_saveexec_b64 s[4:5], vcc
	s_cbranch_execnz .LBB282_234
.LBB282_292:
	s_or_b64 exec, exec, s[4:5]
	v_cmp_gt_u32_e32 vcc, s33, v36
	s_and_saveexec_b64 s[4:5], vcc
	s_cbranch_execz .LBB282_239
.LBB282_293:
	v_cmp_ge_u32_e32 vcc, v36, v10
                                        ; implicit-def: $vgpr2_vgpr3
	s_and_saveexec_b64 s[6:7], vcc
	s_xor_b64 s[6:7], exec, s[6:7]
; %bb.294:
	v_xor_b32_e32 v2, 0xfffff8ff, v0
	v_ashrrev_i32_e32 v3, 31, v2
	v_add_co_u32_e32 v2, vcc, v7, v2
	v_addc_co_u32_e32 v3, vcc, v8, v3, vcc
                                        ; implicit-def: $vgpr36
; %bb.295:
	s_andn2_saveexec_b64 s[6:7], s[6:7]
; %bb.296:
	v_add_co_u32_e32 v2, vcc, v1, v36
	v_addc_co_u32_e32 v3, vcc, 0, v4, vcc
; %bb.297:
	s_or_b64 exec, exec, s[6:7]
	v_lshlrev_b64 v[2:3], 1, v[2:3]
	v_mov_b32_e32 v11, s25
	v_add_co_u32_e32 v2, vcc, s24, v2
	v_addc_co_u32_e32 v3, vcc, v11, v3, vcc
	s_waitcnt lgkmcnt(12)
	global_store_short v[2:3], v35, off
	s_or_b64 exec, exec, s[4:5]
	v_cmp_gt_u32_e32 vcc, s33, v34
	s_and_saveexec_b64 s[4:5], vcc
	s_cbranch_execnz .LBB282_240
.LBB282_298:
	s_or_b64 exec, exec, s[4:5]
	v_cmp_gt_u32_e32 vcc, s33, v32
	s_and_saveexec_b64 s[4:5], vcc
	s_cbranch_execz .LBB282_245
.LBB282_299:
	v_cmp_ge_u32_e32 vcc, v32, v10
                                        ; implicit-def: $vgpr2_vgpr3
	s_and_saveexec_b64 s[6:7], vcc
	s_xor_b64 s[6:7], exec, s[6:7]
; %bb.300:
	v_xor_b32_e32 v2, 0xfffff6ff, v0
	v_ashrrev_i32_e32 v3, 31, v2
	v_add_co_u32_e32 v2, vcc, v7, v2
	v_addc_co_u32_e32 v3, vcc, v8, v3, vcc
                                        ; implicit-def: $vgpr32
; %bb.301:
	s_andn2_saveexec_b64 s[6:7], s[6:7]
; %bb.302:
	v_add_co_u32_e32 v2, vcc, v1, v32
	v_addc_co_u32_e32 v3, vcc, 0, v4, vcc
; %bb.303:
	s_or_b64 exec, exec, s[6:7]
	v_lshlrev_b64 v[2:3], 1, v[2:3]
	v_mov_b32_e32 v11, s25
	v_add_co_u32_e32 v2, vcc, s24, v2
	v_addc_co_u32_e32 v3, vcc, v11, v3, vcc
	s_waitcnt lgkmcnt(10)
	global_store_short v[2:3], v31, off
	s_or_b64 exec, exec, s[4:5]
	v_cmp_gt_u32_e32 vcc, s33, v30
	s_and_saveexec_b64 s[4:5], vcc
	s_cbranch_execnz .LBB282_246
.LBB282_304:
	s_or_b64 exec, exec, s[4:5]
	v_cmp_gt_u32_e32 vcc, s33, v28
	s_and_saveexec_b64 s[4:5], vcc
	s_cbranch_execz .LBB282_251
.LBB282_305:
	v_cmp_ge_u32_e32 vcc, v28, v10
                                        ; implicit-def: $vgpr2_vgpr3
	s_and_saveexec_b64 s[6:7], vcc
	s_xor_b64 s[6:7], exec, s[6:7]
; %bb.306:
	v_xor_b32_e32 v2, 0xfffff4ff, v0
	v_ashrrev_i32_e32 v3, 31, v2
	v_add_co_u32_e32 v2, vcc, v7, v2
	v_addc_co_u32_e32 v3, vcc, v8, v3, vcc
                                        ; implicit-def: $vgpr28
; %bb.307:
	s_andn2_saveexec_b64 s[6:7], s[6:7]
; %bb.308:
	v_add_co_u32_e32 v2, vcc, v1, v28
	v_addc_co_u32_e32 v3, vcc, 0, v4, vcc
; %bb.309:
	s_or_b64 exec, exec, s[6:7]
	v_lshlrev_b64 v[2:3], 1, v[2:3]
	v_mov_b32_e32 v11, s25
	v_add_co_u32_e32 v2, vcc, s24, v2
	v_addc_co_u32_e32 v3, vcc, v11, v3, vcc
	s_waitcnt lgkmcnt(8)
	global_store_short v[2:3], v27, off
	s_or_b64 exec, exec, s[4:5]
	v_cmp_gt_u32_e32 vcc, s33, v26
	s_and_saveexec_b64 s[4:5], vcc
	s_cbranch_execnz .LBB282_252
.LBB282_310:
	s_or_b64 exec, exec, s[4:5]
	v_cmp_gt_u32_e32 vcc, s33, v24
	s_and_saveexec_b64 s[4:5], vcc
	s_cbranch_execz .LBB282_257
.LBB282_311:
	v_cmp_ge_u32_e32 vcc, v24, v10
                                        ; implicit-def: $vgpr2_vgpr3
	s_and_saveexec_b64 s[6:7], vcc
	s_xor_b64 s[6:7], exec, s[6:7]
; %bb.312:
	v_xor_b32_e32 v2, 0xfffff2ff, v0
	v_ashrrev_i32_e32 v3, 31, v2
	v_add_co_u32_e32 v2, vcc, v7, v2
	v_addc_co_u32_e32 v3, vcc, v8, v3, vcc
                                        ; implicit-def: $vgpr24
; %bb.313:
	s_andn2_saveexec_b64 s[6:7], s[6:7]
; %bb.314:
	v_add_co_u32_e32 v2, vcc, v1, v24
	v_addc_co_u32_e32 v3, vcc, 0, v4, vcc
; %bb.315:
	s_or_b64 exec, exec, s[6:7]
	v_lshlrev_b64 v[2:3], 1, v[2:3]
	v_mov_b32_e32 v11, s25
	v_add_co_u32_e32 v2, vcc, s24, v2
	v_addc_co_u32_e32 v3, vcc, v11, v3, vcc
	s_waitcnt lgkmcnt(6)
	global_store_short v[2:3], v23, off
	s_or_b64 exec, exec, s[4:5]
	v_cmp_gt_u32_e32 vcc, s33, v22
	s_and_saveexec_b64 s[4:5], vcc
	s_cbranch_execnz .LBB282_258
.LBB282_316:
	s_or_b64 exec, exec, s[4:5]
	v_cmp_gt_u32_e32 vcc, s33, v20
	s_and_saveexec_b64 s[4:5], vcc
	s_cbranch_execz .LBB282_263
.LBB282_317:
	v_cmp_ge_u32_e32 vcc, v20, v10
                                        ; implicit-def: $vgpr2_vgpr3
	s_and_saveexec_b64 s[6:7], vcc
	s_xor_b64 s[6:7], exec, s[6:7]
; %bb.318:
	v_xor_b32_e32 v2, 0xfffff0ff, v0
	v_ashrrev_i32_e32 v3, 31, v2
	v_add_co_u32_e32 v2, vcc, v7, v2
	v_addc_co_u32_e32 v3, vcc, v8, v3, vcc
                                        ; implicit-def: $vgpr20
; %bb.319:
	s_andn2_saveexec_b64 s[6:7], s[6:7]
; %bb.320:
	v_add_co_u32_e32 v2, vcc, v1, v20
	v_addc_co_u32_e32 v3, vcc, 0, v4, vcc
; %bb.321:
	s_or_b64 exec, exec, s[6:7]
	v_lshlrev_b64 v[2:3], 1, v[2:3]
	v_mov_b32_e32 v11, s25
	v_add_co_u32_e32 v2, vcc, s24, v2
	v_addc_co_u32_e32 v3, vcc, v11, v3, vcc
	s_waitcnt lgkmcnt(4)
	global_store_short v[2:3], v19, off
	s_or_b64 exec, exec, s[4:5]
	v_cmp_gt_u32_e32 vcc, s33, v18
	s_and_saveexec_b64 s[4:5], vcc
	s_cbranch_execnz .LBB282_264
.LBB282_322:
	s_or_b64 exec, exec, s[4:5]
	v_cmp_gt_u32_e32 vcc, s33, v16
	s_and_saveexec_b64 s[4:5], vcc
	s_cbranch_execz .LBB282_269
.LBB282_323:
	v_cmp_ge_u32_e32 vcc, v16, v10
                                        ; implicit-def: $vgpr2_vgpr3
	s_and_saveexec_b64 s[6:7], vcc
	s_xor_b64 s[6:7], exec, s[6:7]
; %bb.324:
	v_xor_b32_e32 v2, 0xffffeeff, v0
	v_ashrrev_i32_e32 v3, 31, v2
	v_add_co_u32_e32 v2, vcc, v7, v2
	v_addc_co_u32_e32 v3, vcc, v8, v3, vcc
                                        ; implicit-def: $vgpr16
; %bb.325:
	s_andn2_saveexec_b64 s[6:7], s[6:7]
; %bb.326:
	v_add_co_u32_e32 v2, vcc, v1, v16
	v_addc_co_u32_e32 v3, vcc, 0, v4, vcc
; %bb.327:
	s_or_b64 exec, exec, s[6:7]
	v_lshlrev_b64 v[2:3], 1, v[2:3]
	v_mov_b32_e32 v11, s25
	v_add_co_u32_e32 v2, vcc, s24, v2
	v_addc_co_u32_e32 v3, vcc, v11, v3, vcc
	s_waitcnt lgkmcnt(2)
	global_store_short v[2:3], v15, off
	s_or_b64 exec, exec, s[4:5]
	v_cmp_gt_u32_e32 vcc, s33, v14
	s_and_saveexec_b64 s[4:5], vcc
	s_cbranch_execz .LBB282_270
.LBB282_328:
	v_cmp_ge_u32_e32 vcc, v14, v10
                                        ; implicit-def: $vgpr2_vgpr3
	s_and_saveexec_b64 s[6:7], vcc
	s_xor_b64 s[6:7], exec, s[6:7]
; %bb.329:
	v_xor_b32_e32 v2, 0xffffedff, v0
	v_ashrrev_i32_e32 v3, 31, v2
	v_add_co_u32_e32 v2, vcc, v7, v2
	v_addc_co_u32_e32 v3, vcc, v8, v3, vcc
                                        ; implicit-def: $vgpr14
; %bb.330:
	s_andn2_saveexec_b64 s[6:7], s[6:7]
; %bb.331:
	v_add_co_u32_e32 v2, vcc, v1, v14
	v_addc_co_u32_e32 v3, vcc, 0, v4, vcc
; %bb.332:
	s_or_b64 exec, exec, s[6:7]
	v_lshlrev_b64 v[2:3], 1, v[2:3]
	v_mov_b32_e32 v11, s25
	v_add_co_u32_e32 v2, vcc, s24, v2
	v_addc_co_u32_e32 v3, vcc, v11, v3, vcc
	s_waitcnt lgkmcnt(1)
	global_store_short v[2:3], v9, off
	s_or_b64 exec, exec, s[4:5]
	v_cmp_gt_u32_e32 vcc, s33, v6
                                        ; implicit-def: $vgpr2_vgpr3
	s_and_saveexec_b64 s[4:5], vcc
	s_cbranch_execz .LBB282_271
.LBB282_333:
	v_cmp_ge_u32_e32 vcc, v6, v10
                                        ; implicit-def: $vgpr2_vgpr3
	s_and_saveexec_b64 s[6:7], vcc
	s_xor_b64 s[6:7], exec, s[6:7]
; %bb.334:
	v_xor_b32_e32 v0, 0xffffecff, v0
	v_ashrrev_i32_e32 v3, 31, v0
	v_add_co_u32_e32 v2, vcc, v7, v0
	v_addc_co_u32_e32 v3, vcc, v8, v3, vcc
                                        ; implicit-def: $vgpr6
; %bb.335:
	s_andn2_saveexec_b64 s[6:7], s[6:7]
; %bb.336:
	v_add_co_u32_e32 v2, vcc, v1, v6
	v_addc_co_u32_e32 v3, vcc, 0, v4, vcc
; %bb.337:
	s_or_b64 exec, exec, s[6:7]
	s_or_b64 s[2:3], s[2:3], exec
	s_or_b64 exec, exec, s[4:5]
	s_and_saveexec_b64 s[4:5], s[2:3]
	s_cbranch_execnz .LBB282_212
	s_branch .LBB282_272
	.section	.rodata,"a",@progbits
	.p2align	6, 0x0
	.amdhsa_kernel _ZN7rocprim17ROCPRIM_400000_NS6detail17trampoline_kernelINS0_14default_configENS1_25partition_config_selectorILNS1_17partition_subalgoE2EsNS0_10empty_typeEbEEZZNS1_14partition_implILS5_2ELb0ES3_jN6thrust23THRUST_200600_302600_NS6detail15normal_iteratorINSA_7pointerIsNSA_11hip_rocprim3tagENSA_11use_defaultESG_EEEEPS6_NSA_18transform_iteratorI7is_evenIsENSC_INSA_10device_ptrIsEEEESG_SG_EENS0_5tupleIJPsSJ_EEENSR_IJSJ_SJ_EEES6_PlJS6_EEE10hipError_tPvRmT3_T4_T5_T6_T7_T9_mT8_P12ihipStream_tbDpT10_ENKUlT_T0_E_clISt17integral_constantIbLb0EES1E_IbLb1EEEEDaS1A_S1B_EUlS1A_E_NS1_11comp_targetILNS1_3genE4ELNS1_11target_archE910ELNS1_3gpuE8ELNS1_3repE0EEENS1_30default_config_static_selectorELNS0_4arch9wavefront6targetE1EEEvT1_
		.amdhsa_group_segment_fixed_size 10248
		.amdhsa_private_segment_fixed_size 0
		.amdhsa_kernarg_size 144
		.amdhsa_user_sgpr_count 6
		.amdhsa_user_sgpr_private_segment_buffer 1
		.amdhsa_user_sgpr_dispatch_ptr 0
		.amdhsa_user_sgpr_queue_ptr 0
		.amdhsa_user_sgpr_kernarg_segment_ptr 1
		.amdhsa_user_sgpr_dispatch_id 0
		.amdhsa_user_sgpr_flat_scratch_init 0
		.amdhsa_user_sgpr_kernarg_preload_length 0
		.amdhsa_user_sgpr_kernarg_preload_offset 0
		.amdhsa_user_sgpr_private_segment_size 0
		.amdhsa_uses_dynamic_stack 0
		.amdhsa_system_sgpr_private_segment_wavefront_offset 0
		.amdhsa_system_sgpr_workgroup_id_x 1
		.amdhsa_system_sgpr_workgroup_id_y 0
		.amdhsa_system_sgpr_workgroup_id_z 0
		.amdhsa_system_sgpr_workgroup_info 0
		.amdhsa_system_vgpr_workitem_id 0
		.amdhsa_next_free_vgpr 67
		.amdhsa_next_free_sgpr 46
		.amdhsa_accum_offset 68
		.amdhsa_reserve_vcc 1
		.amdhsa_reserve_flat_scratch 0
		.amdhsa_float_round_mode_32 0
		.amdhsa_float_round_mode_16_64 0
		.amdhsa_float_denorm_mode_32 3
		.amdhsa_float_denorm_mode_16_64 3
		.amdhsa_dx10_clamp 1
		.amdhsa_ieee_mode 1
		.amdhsa_fp16_overflow 0
		.amdhsa_tg_split 0
		.amdhsa_exception_fp_ieee_invalid_op 0
		.amdhsa_exception_fp_denorm_src 0
		.amdhsa_exception_fp_ieee_div_zero 0
		.amdhsa_exception_fp_ieee_overflow 0
		.amdhsa_exception_fp_ieee_underflow 0
		.amdhsa_exception_fp_ieee_inexact 0
		.amdhsa_exception_int_div_zero 0
	.end_amdhsa_kernel
	.section	.text._ZN7rocprim17ROCPRIM_400000_NS6detail17trampoline_kernelINS0_14default_configENS1_25partition_config_selectorILNS1_17partition_subalgoE2EsNS0_10empty_typeEbEEZZNS1_14partition_implILS5_2ELb0ES3_jN6thrust23THRUST_200600_302600_NS6detail15normal_iteratorINSA_7pointerIsNSA_11hip_rocprim3tagENSA_11use_defaultESG_EEEEPS6_NSA_18transform_iteratorI7is_evenIsENSC_INSA_10device_ptrIsEEEESG_SG_EENS0_5tupleIJPsSJ_EEENSR_IJSJ_SJ_EEES6_PlJS6_EEE10hipError_tPvRmT3_T4_T5_T6_T7_T9_mT8_P12ihipStream_tbDpT10_ENKUlT_T0_E_clISt17integral_constantIbLb0EES1E_IbLb1EEEEDaS1A_S1B_EUlS1A_E_NS1_11comp_targetILNS1_3genE4ELNS1_11target_archE910ELNS1_3gpuE8ELNS1_3repE0EEENS1_30default_config_static_selectorELNS0_4arch9wavefront6targetE1EEEvT1_,"axG",@progbits,_ZN7rocprim17ROCPRIM_400000_NS6detail17trampoline_kernelINS0_14default_configENS1_25partition_config_selectorILNS1_17partition_subalgoE2EsNS0_10empty_typeEbEEZZNS1_14partition_implILS5_2ELb0ES3_jN6thrust23THRUST_200600_302600_NS6detail15normal_iteratorINSA_7pointerIsNSA_11hip_rocprim3tagENSA_11use_defaultESG_EEEEPS6_NSA_18transform_iteratorI7is_evenIsENSC_INSA_10device_ptrIsEEEESG_SG_EENS0_5tupleIJPsSJ_EEENSR_IJSJ_SJ_EEES6_PlJS6_EEE10hipError_tPvRmT3_T4_T5_T6_T7_T9_mT8_P12ihipStream_tbDpT10_ENKUlT_T0_E_clISt17integral_constantIbLb0EES1E_IbLb1EEEEDaS1A_S1B_EUlS1A_E_NS1_11comp_targetILNS1_3genE4ELNS1_11target_archE910ELNS1_3gpuE8ELNS1_3repE0EEENS1_30default_config_static_selectorELNS0_4arch9wavefront6targetE1EEEvT1_,comdat
.Lfunc_end282:
	.size	_ZN7rocprim17ROCPRIM_400000_NS6detail17trampoline_kernelINS0_14default_configENS1_25partition_config_selectorILNS1_17partition_subalgoE2EsNS0_10empty_typeEbEEZZNS1_14partition_implILS5_2ELb0ES3_jN6thrust23THRUST_200600_302600_NS6detail15normal_iteratorINSA_7pointerIsNSA_11hip_rocprim3tagENSA_11use_defaultESG_EEEEPS6_NSA_18transform_iteratorI7is_evenIsENSC_INSA_10device_ptrIsEEEESG_SG_EENS0_5tupleIJPsSJ_EEENSR_IJSJ_SJ_EEES6_PlJS6_EEE10hipError_tPvRmT3_T4_T5_T6_T7_T9_mT8_P12ihipStream_tbDpT10_ENKUlT_T0_E_clISt17integral_constantIbLb0EES1E_IbLb1EEEEDaS1A_S1B_EUlS1A_E_NS1_11comp_targetILNS1_3genE4ELNS1_11target_archE910ELNS1_3gpuE8ELNS1_3repE0EEENS1_30default_config_static_selectorELNS0_4arch9wavefront6targetE1EEEvT1_, .Lfunc_end282-_ZN7rocprim17ROCPRIM_400000_NS6detail17trampoline_kernelINS0_14default_configENS1_25partition_config_selectorILNS1_17partition_subalgoE2EsNS0_10empty_typeEbEEZZNS1_14partition_implILS5_2ELb0ES3_jN6thrust23THRUST_200600_302600_NS6detail15normal_iteratorINSA_7pointerIsNSA_11hip_rocprim3tagENSA_11use_defaultESG_EEEEPS6_NSA_18transform_iteratorI7is_evenIsENSC_INSA_10device_ptrIsEEEESG_SG_EENS0_5tupleIJPsSJ_EEENSR_IJSJ_SJ_EEES6_PlJS6_EEE10hipError_tPvRmT3_T4_T5_T6_T7_T9_mT8_P12ihipStream_tbDpT10_ENKUlT_T0_E_clISt17integral_constantIbLb0EES1E_IbLb1EEEEDaS1A_S1B_EUlS1A_E_NS1_11comp_targetILNS1_3genE4ELNS1_11target_archE910ELNS1_3gpuE8ELNS1_3repE0EEENS1_30default_config_static_selectorELNS0_4arch9wavefront6targetE1EEEvT1_
                                        ; -- End function
	.section	.AMDGPU.csdata,"",@progbits
; Kernel info:
; codeLenInByte = 10892
; NumSgprs: 50
; NumVgprs: 67
; NumAgprs: 0
; TotalNumVgprs: 67
; ScratchSize: 0
; MemoryBound: 0
; FloatMode: 240
; IeeeMode: 1
; LDSByteSize: 10248 bytes/workgroup (compile time only)
; SGPRBlocks: 6
; VGPRBlocks: 8
; NumSGPRsForWavesPerEU: 50
; NumVGPRsForWavesPerEU: 67
; AccumOffset: 68
; Occupancy: 6
; WaveLimiterHint : 1
; COMPUTE_PGM_RSRC2:SCRATCH_EN: 0
; COMPUTE_PGM_RSRC2:USER_SGPR: 6
; COMPUTE_PGM_RSRC2:TRAP_HANDLER: 0
; COMPUTE_PGM_RSRC2:TGID_X_EN: 1
; COMPUTE_PGM_RSRC2:TGID_Y_EN: 0
; COMPUTE_PGM_RSRC2:TGID_Z_EN: 0
; COMPUTE_PGM_RSRC2:TIDIG_COMP_CNT: 0
; COMPUTE_PGM_RSRC3_GFX90A:ACCUM_OFFSET: 16
; COMPUTE_PGM_RSRC3_GFX90A:TG_SPLIT: 0
	.section	.text._ZN7rocprim17ROCPRIM_400000_NS6detail17trampoline_kernelINS0_14default_configENS1_25partition_config_selectorILNS1_17partition_subalgoE2EsNS0_10empty_typeEbEEZZNS1_14partition_implILS5_2ELb0ES3_jN6thrust23THRUST_200600_302600_NS6detail15normal_iteratorINSA_7pointerIsNSA_11hip_rocprim3tagENSA_11use_defaultESG_EEEEPS6_NSA_18transform_iteratorI7is_evenIsENSC_INSA_10device_ptrIsEEEESG_SG_EENS0_5tupleIJPsSJ_EEENSR_IJSJ_SJ_EEES6_PlJS6_EEE10hipError_tPvRmT3_T4_T5_T6_T7_T9_mT8_P12ihipStream_tbDpT10_ENKUlT_T0_E_clISt17integral_constantIbLb0EES1E_IbLb1EEEEDaS1A_S1B_EUlS1A_E_NS1_11comp_targetILNS1_3genE3ELNS1_11target_archE908ELNS1_3gpuE7ELNS1_3repE0EEENS1_30default_config_static_selectorELNS0_4arch9wavefront6targetE1EEEvT1_,"axG",@progbits,_ZN7rocprim17ROCPRIM_400000_NS6detail17trampoline_kernelINS0_14default_configENS1_25partition_config_selectorILNS1_17partition_subalgoE2EsNS0_10empty_typeEbEEZZNS1_14partition_implILS5_2ELb0ES3_jN6thrust23THRUST_200600_302600_NS6detail15normal_iteratorINSA_7pointerIsNSA_11hip_rocprim3tagENSA_11use_defaultESG_EEEEPS6_NSA_18transform_iteratorI7is_evenIsENSC_INSA_10device_ptrIsEEEESG_SG_EENS0_5tupleIJPsSJ_EEENSR_IJSJ_SJ_EEES6_PlJS6_EEE10hipError_tPvRmT3_T4_T5_T6_T7_T9_mT8_P12ihipStream_tbDpT10_ENKUlT_T0_E_clISt17integral_constantIbLb0EES1E_IbLb1EEEEDaS1A_S1B_EUlS1A_E_NS1_11comp_targetILNS1_3genE3ELNS1_11target_archE908ELNS1_3gpuE7ELNS1_3repE0EEENS1_30default_config_static_selectorELNS0_4arch9wavefront6targetE1EEEvT1_,comdat
	.protected	_ZN7rocprim17ROCPRIM_400000_NS6detail17trampoline_kernelINS0_14default_configENS1_25partition_config_selectorILNS1_17partition_subalgoE2EsNS0_10empty_typeEbEEZZNS1_14partition_implILS5_2ELb0ES3_jN6thrust23THRUST_200600_302600_NS6detail15normal_iteratorINSA_7pointerIsNSA_11hip_rocprim3tagENSA_11use_defaultESG_EEEEPS6_NSA_18transform_iteratorI7is_evenIsENSC_INSA_10device_ptrIsEEEESG_SG_EENS0_5tupleIJPsSJ_EEENSR_IJSJ_SJ_EEES6_PlJS6_EEE10hipError_tPvRmT3_T4_T5_T6_T7_T9_mT8_P12ihipStream_tbDpT10_ENKUlT_T0_E_clISt17integral_constantIbLb0EES1E_IbLb1EEEEDaS1A_S1B_EUlS1A_E_NS1_11comp_targetILNS1_3genE3ELNS1_11target_archE908ELNS1_3gpuE7ELNS1_3repE0EEENS1_30default_config_static_selectorELNS0_4arch9wavefront6targetE1EEEvT1_ ; -- Begin function _ZN7rocprim17ROCPRIM_400000_NS6detail17trampoline_kernelINS0_14default_configENS1_25partition_config_selectorILNS1_17partition_subalgoE2EsNS0_10empty_typeEbEEZZNS1_14partition_implILS5_2ELb0ES3_jN6thrust23THRUST_200600_302600_NS6detail15normal_iteratorINSA_7pointerIsNSA_11hip_rocprim3tagENSA_11use_defaultESG_EEEEPS6_NSA_18transform_iteratorI7is_evenIsENSC_INSA_10device_ptrIsEEEESG_SG_EENS0_5tupleIJPsSJ_EEENSR_IJSJ_SJ_EEES6_PlJS6_EEE10hipError_tPvRmT3_T4_T5_T6_T7_T9_mT8_P12ihipStream_tbDpT10_ENKUlT_T0_E_clISt17integral_constantIbLb0EES1E_IbLb1EEEEDaS1A_S1B_EUlS1A_E_NS1_11comp_targetILNS1_3genE3ELNS1_11target_archE908ELNS1_3gpuE7ELNS1_3repE0EEENS1_30default_config_static_selectorELNS0_4arch9wavefront6targetE1EEEvT1_
	.globl	_ZN7rocprim17ROCPRIM_400000_NS6detail17trampoline_kernelINS0_14default_configENS1_25partition_config_selectorILNS1_17partition_subalgoE2EsNS0_10empty_typeEbEEZZNS1_14partition_implILS5_2ELb0ES3_jN6thrust23THRUST_200600_302600_NS6detail15normal_iteratorINSA_7pointerIsNSA_11hip_rocprim3tagENSA_11use_defaultESG_EEEEPS6_NSA_18transform_iteratorI7is_evenIsENSC_INSA_10device_ptrIsEEEESG_SG_EENS0_5tupleIJPsSJ_EEENSR_IJSJ_SJ_EEES6_PlJS6_EEE10hipError_tPvRmT3_T4_T5_T6_T7_T9_mT8_P12ihipStream_tbDpT10_ENKUlT_T0_E_clISt17integral_constantIbLb0EES1E_IbLb1EEEEDaS1A_S1B_EUlS1A_E_NS1_11comp_targetILNS1_3genE3ELNS1_11target_archE908ELNS1_3gpuE7ELNS1_3repE0EEENS1_30default_config_static_selectorELNS0_4arch9wavefront6targetE1EEEvT1_
	.p2align	8
	.type	_ZN7rocprim17ROCPRIM_400000_NS6detail17trampoline_kernelINS0_14default_configENS1_25partition_config_selectorILNS1_17partition_subalgoE2EsNS0_10empty_typeEbEEZZNS1_14partition_implILS5_2ELb0ES3_jN6thrust23THRUST_200600_302600_NS6detail15normal_iteratorINSA_7pointerIsNSA_11hip_rocprim3tagENSA_11use_defaultESG_EEEEPS6_NSA_18transform_iteratorI7is_evenIsENSC_INSA_10device_ptrIsEEEESG_SG_EENS0_5tupleIJPsSJ_EEENSR_IJSJ_SJ_EEES6_PlJS6_EEE10hipError_tPvRmT3_T4_T5_T6_T7_T9_mT8_P12ihipStream_tbDpT10_ENKUlT_T0_E_clISt17integral_constantIbLb0EES1E_IbLb1EEEEDaS1A_S1B_EUlS1A_E_NS1_11comp_targetILNS1_3genE3ELNS1_11target_archE908ELNS1_3gpuE7ELNS1_3repE0EEENS1_30default_config_static_selectorELNS0_4arch9wavefront6targetE1EEEvT1_,@function
_ZN7rocprim17ROCPRIM_400000_NS6detail17trampoline_kernelINS0_14default_configENS1_25partition_config_selectorILNS1_17partition_subalgoE2EsNS0_10empty_typeEbEEZZNS1_14partition_implILS5_2ELb0ES3_jN6thrust23THRUST_200600_302600_NS6detail15normal_iteratorINSA_7pointerIsNSA_11hip_rocprim3tagENSA_11use_defaultESG_EEEEPS6_NSA_18transform_iteratorI7is_evenIsENSC_INSA_10device_ptrIsEEEESG_SG_EENS0_5tupleIJPsSJ_EEENSR_IJSJ_SJ_EEES6_PlJS6_EEE10hipError_tPvRmT3_T4_T5_T6_T7_T9_mT8_P12ihipStream_tbDpT10_ENKUlT_T0_E_clISt17integral_constantIbLb0EES1E_IbLb1EEEEDaS1A_S1B_EUlS1A_E_NS1_11comp_targetILNS1_3genE3ELNS1_11target_archE908ELNS1_3gpuE7ELNS1_3repE0EEENS1_30default_config_static_selectorELNS0_4arch9wavefront6targetE1EEEvT1_: ; @_ZN7rocprim17ROCPRIM_400000_NS6detail17trampoline_kernelINS0_14default_configENS1_25partition_config_selectorILNS1_17partition_subalgoE2EsNS0_10empty_typeEbEEZZNS1_14partition_implILS5_2ELb0ES3_jN6thrust23THRUST_200600_302600_NS6detail15normal_iteratorINSA_7pointerIsNSA_11hip_rocprim3tagENSA_11use_defaultESG_EEEEPS6_NSA_18transform_iteratorI7is_evenIsENSC_INSA_10device_ptrIsEEEESG_SG_EENS0_5tupleIJPsSJ_EEENSR_IJSJ_SJ_EEES6_PlJS6_EEE10hipError_tPvRmT3_T4_T5_T6_T7_T9_mT8_P12ihipStream_tbDpT10_ENKUlT_T0_E_clISt17integral_constantIbLb0EES1E_IbLb1EEEEDaS1A_S1B_EUlS1A_E_NS1_11comp_targetILNS1_3genE3ELNS1_11target_archE908ELNS1_3gpuE7ELNS1_3repE0EEENS1_30default_config_static_selectorELNS0_4arch9wavefront6targetE1EEEvT1_
; %bb.0:
	.section	.rodata,"a",@progbits
	.p2align	6, 0x0
	.amdhsa_kernel _ZN7rocprim17ROCPRIM_400000_NS6detail17trampoline_kernelINS0_14default_configENS1_25partition_config_selectorILNS1_17partition_subalgoE2EsNS0_10empty_typeEbEEZZNS1_14partition_implILS5_2ELb0ES3_jN6thrust23THRUST_200600_302600_NS6detail15normal_iteratorINSA_7pointerIsNSA_11hip_rocprim3tagENSA_11use_defaultESG_EEEEPS6_NSA_18transform_iteratorI7is_evenIsENSC_INSA_10device_ptrIsEEEESG_SG_EENS0_5tupleIJPsSJ_EEENSR_IJSJ_SJ_EEES6_PlJS6_EEE10hipError_tPvRmT3_T4_T5_T6_T7_T9_mT8_P12ihipStream_tbDpT10_ENKUlT_T0_E_clISt17integral_constantIbLb0EES1E_IbLb1EEEEDaS1A_S1B_EUlS1A_E_NS1_11comp_targetILNS1_3genE3ELNS1_11target_archE908ELNS1_3gpuE7ELNS1_3repE0EEENS1_30default_config_static_selectorELNS0_4arch9wavefront6targetE1EEEvT1_
		.amdhsa_group_segment_fixed_size 0
		.amdhsa_private_segment_fixed_size 0
		.amdhsa_kernarg_size 144
		.amdhsa_user_sgpr_count 6
		.amdhsa_user_sgpr_private_segment_buffer 1
		.amdhsa_user_sgpr_dispatch_ptr 0
		.amdhsa_user_sgpr_queue_ptr 0
		.amdhsa_user_sgpr_kernarg_segment_ptr 1
		.amdhsa_user_sgpr_dispatch_id 0
		.amdhsa_user_sgpr_flat_scratch_init 0
		.amdhsa_user_sgpr_kernarg_preload_length 0
		.amdhsa_user_sgpr_kernarg_preload_offset 0
		.amdhsa_user_sgpr_private_segment_size 0
		.amdhsa_uses_dynamic_stack 0
		.amdhsa_system_sgpr_private_segment_wavefront_offset 0
		.amdhsa_system_sgpr_workgroup_id_x 1
		.amdhsa_system_sgpr_workgroup_id_y 0
		.amdhsa_system_sgpr_workgroup_id_z 0
		.amdhsa_system_sgpr_workgroup_info 0
		.amdhsa_system_vgpr_workitem_id 0
		.amdhsa_next_free_vgpr 1
		.amdhsa_next_free_sgpr 0
		.amdhsa_accum_offset 4
		.amdhsa_reserve_vcc 0
		.amdhsa_reserve_flat_scratch 0
		.amdhsa_float_round_mode_32 0
		.amdhsa_float_round_mode_16_64 0
		.amdhsa_float_denorm_mode_32 3
		.amdhsa_float_denorm_mode_16_64 3
		.amdhsa_dx10_clamp 1
		.amdhsa_ieee_mode 1
		.amdhsa_fp16_overflow 0
		.amdhsa_tg_split 0
		.amdhsa_exception_fp_ieee_invalid_op 0
		.amdhsa_exception_fp_denorm_src 0
		.amdhsa_exception_fp_ieee_div_zero 0
		.amdhsa_exception_fp_ieee_overflow 0
		.amdhsa_exception_fp_ieee_underflow 0
		.amdhsa_exception_fp_ieee_inexact 0
		.amdhsa_exception_int_div_zero 0
	.end_amdhsa_kernel
	.section	.text._ZN7rocprim17ROCPRIM_400000_NS6detail17trampoline_kernelINS0_14default_configENS1_25partition_config_selectorILNS1_17partition_subalgoE2EsNS0_10empty_typeEbEEZZNS1_14partition_implILS5_2ELb0ES3_jN6thrust23THRUST_200600_302600_NS6detail15normal_iteratorINSA_7pointerIsNSA_11hip_rocprim3tagENSA_11use_defaultESG_EEEEPS6_NSA_18transform_iteratorI7is_evenIsENSC_INSA_10device_ptrIsEEEESG_SG_EENS0_5tupleIJPsSJ_EEENSR_IJSJ_SJ_EEES6_PlJS6_EEE10hipError_tPvRmT3_T4_T5_T6_T7_T9_mT8_P12ihipStream_tbDpT10_ENKUlT_T0_E_clISt17integral_constantIbLb0EES1E_IbLb1EEEEDaS1A_S1B_EUlS1A_E_NS1_11comp_targetILNS1_3genE3ELNS1_11target_archE908ELNS1_3gpuE7ELNS1_3repE0EEENS1_30default_config_static_selectorELNS0_4arch9wavefront6targetE1EEEvT1_,"axG",@progbits,_ZN7rocprim17ROCPRIM_400000_NS6detail17trampoline_kernelINS0_14default_configENS1_25partition_config_selectorILNS1_17partition_subalgoE2EsNS0_10empty_typeEbEEZZNS1_14partition_implILS5_2ELb0ES3_jN6thrust23THRUST_200600_302600_NS6detail15normal_iteratorINSA_7pointerIsNSA_11hip_rocprim3tagENSA_11use_defaultESG_EEEEPS6_NSA_18transform_iteratorI7is_evenIsENSC_INSA_10device_ptrIsEEEESG_SG_EENS0_5tupleIJPsSJ_EEENSR_IJSJ_SJ_EEES6_PlJS6_EEE10hipError_tPvRmT3_T4_T5_T6_T7_T9_mT8_P12ihipStream_tbDpT10_ENKUlT_T0_E_clISt17integral_constantIbLb0EES1E_IbLb1EEEEDaS1A_S1B_EUlS1A_E_NS1_11comp_targetILNS1_3genE3ELNS1_11target_archE908ELNS1_3gpuE7ELNS1_3repE0EEENS1_30default_config_static_selectorELNS0_4arch9wavefront6targetE1EEEvT1_,comdat
.Lfunc_end283:
	.size	_ZN7rocprim17ROCPRIM_400000_NS6detail17trampoline_kernelINS0_14default_configENS1_25partition_config_selectorILNS1_17partition_subalgoE2EsNS0_10empty_typeEbEEZZNS1_14partition_implILS5_2ELb0ES3_jN6thrust23THRUST_200600_302600_NS6detail15normal_iteratorINSA_7pointerIsNSA_11hip_rocprim3tagENSA_11use_defaultESG_EEEEPS6_NSA_18transform_iteratorI7is_evenIsENSC_INSA_10device_ptrIsEEEESG_SG_EENS0_5tupleIJPsSJ_EEENSR_IJSJ_SJ_EEES6_PlJS6_EEE10hipError_tPvRmT3_T4_T5_T6_T7_T9_mT8_P12ihipStream_tbDpT10_ENKUlT_T0_E_clISt17integral_constantIbLb0EES1E_IbLb1EEEEDaS1A_S1B_EUlS1A_E_NS1_11comp_targetILNS1_3genE3ELNS1_11target_archE908ELNS1_3gpuE7ELNS1_3repE0EEENS1_30default_config_static_selectorELNS0_4arch9wavefront6targetE1EEEvT1_, .Lfunc_end283-_ZN7rocprim17ROCPRIM_400000_NS6detail17trampoline_kernelINS0_14default_configENS1_25partition_config_selectorILNS1_17partition_subalgoE2EsNS0_10empty_typeEbEEZZNS1_14partition_implILS5_2ELb0ES3_jN6thrust23THRUST_200600_302600_NS6detail15normal_iteratorINSA_7pointerIsNSA_11hip_rocprim3tagENSA_11use_defaultESG_EEEEPS6_NSA_18transform_iteratorI7is_evenIsENSC_INSA_10device_ptrIsEEEESG_SG_EENS0_5tupleIJPsSJ_EEENSR_IJSJ_SJ_EEES6_PlJS6_EEE10hipError_tPvRmT3_T4_T5_T6_T7_T9_mT8_P12ihipStream_tbDpT10_ENKUlT_T0_E_clISt17integral_constantIbLb0EES1E_IbLb1EEEEDaS1A_S1B_EUlS1A_E_NS1_11comp_targetILNS1_3genE3ELNS1_11target_archE908ELNS1_3gpuE7ELNS1_3repE0EEENS1_30default_config_static_selectorELNS0_4arch9wavefront6targetE1EEEvT1_
                                        ; -- End function
	.section	.AMDGPU.csdata,"",@progbits
; Kernel info:
; codeLenInByte = 0
; NumSgprs: 4
; NumVgprs: 0
; NumAgprs: 0
; TotalNumVgprs: 0
; ScratchSize: 0
; MemoryBound: 0
; FloatMode: 240
; IeeeMode: 1
; LDSByteSize: 0 bytes/workgroup (compile time only)
; SGPRBlocks: 0
; VGPRBlocks: 0
; NumSGPRsForWavesPerEU: 4
; NumVGPRsForWavesPerEU: 1
; AccumOffset: 4
; Occupancy: 8
; WaveLimiterHint : 0
; COMPUTE_PGM_RSRC2:SCRATCH_EN: 0
; COMPUTE_PGM_RSRC2:USER_SGPR: 6
; COMPUTE_PGM_RSRC2:TRAP_HANDLER: 0
; COMPUTE_PGM_RSRC2:TGID_X_EN: 1
; COMPUTE_PGM_RSRC2:TGID_Y_EN: 0
; COMPUTE_PGM_RSRC2:TGID_Z_EN: 0
; COMPUTE_PGM_RSRC2:TIDIG_COMP_CNT: 0
; COMPUTE_PGM_RSRC3_GFX90A:ACCUM_OFFSET: 0
; COMPUTE_PGM_RSRC3_GFX90A:TG_SPLIT: 0
	.section	.text._ZN7rocprim17ROCPRIM_400000_NS6detail17trampoline_kernelINS0_14default_configENS1_25partition_config_selectorILNS1_17partition_subalgoE2EsNS0_10empty_typeEbEEZZNS1_14partition_implILS5_2ELb0ES3_jN6thrust23THRUST_200600_302600_NS6detail15normal_iteratorINSA_7pointerIsNSA_11hip_rocprim3tagENSA_11use_defaultESG_EEEEPS6_NSA_18transform_iteratorI7is_evenIsENSC_INSA_10device_ptrIsEEEESG_SG_EENS0_5tupleIJPsSJ_EEENSR_IJSJ_SJ_EEES6_PlJS6_EEE10hipError_tPvRmT3_T4_T5_T6_T7_T9_mT8_P12ihipStream_tbDpT10_ENKUlT_T0_E_clISt17integral_constantIbLb0EES1E_IbLb1EEEEDaS1A_S1B_EUlS1A_E_NS1_11comp_targetILNS1_3genE2ELNS1_11target_archE906ELNS1_3gpuE6ELNS1_3repE0EEENS1_30default_config_static_selectorELNS0_4arch9wavefront6targetE1EEEvT1_,"axG",@progbits,_ZN7rocprim17ROCPRIM_400000_NS6detail17trampoline_kernelINS0_14default_configENS1_25partition_config_selectorILNS1_17partition_subalgoE2EsNS0_10empty_typeEbEEZZNS1_14partition_implILS5_2ELb0ES3_jN6thrust23THRUST_200600_302600_NS6detail15normal_iteratorINSA_7pointerIsNSA_11hip_rocprim3tagENSA_11use_defaultESG_EEEEPS6_NSA_18transform_iteratorI7is_evenIsENSC_INSA_10device_ptrIsEEEESG_SG_EENS0_5tupleIJPsSJ_EEENSR_IJSJ_SJ_EEES6_PlJS6_EEE10hipError_tPvRmT3_T4_T5_T6_T7_T9_mT8_P12ihipStream_tbDpT10_ENKUlT_T0_E_clISt17integral_constantIbLb0EES1E_IbLb1EEEEDaS1A_S1B_EUlS1A_E_NS1_11comp_targetILNS1_3genE2ELNS1_11target_archE906ELNS1_3gpuE6ELNS1_3repE0EEENS1_30default_config_static_selectorELNS0_4arch9wavefront6targetE1EEEvT1_,comdat
	.protected	_ZN7rocprim17ROCPRIM_400000_NS6detail17trampoline_kernelINS0_14default_configENS1_25partition_config_selectorILNS1_17partition_subalgoE2EsNS0_10empty_typeEbEEZZNS1_14partition_implILS5_2ELb0ES3_jN6thrust23THRUST_200600_302600_NS6detail15normal_iteratorINSA_7pointerIsNSA_11hip_rocprim3tagENSA_11use_defaultESG_EEEEPS6_NSA_18transform_iteratorI7is_evenIsENSC_INSA_10device_ptrIsEEEESG_SG_EENS0_5tupleIJPsSJ_EEENSR_IJSJ_SJ_EEES6_PlJS6_EEE10hipError_tPvRmT3_T4_T5_T6_T7_T9_mT8_P12ihipStream_tbDpT10_ENKUlT_T0_E_clISt17integral_constantIbLb0EES1E_IbLb1EEEEDaS1A_S1B_EUlS1A_E_NS1_11comp_targetILNS1_3genE2ELNS1_11target_archE906ELNS1_3gpuE6ELNS1_3repE0EEENS1_30default_config_static_selectorELNS0_4arch9wavefront6targetE1EEEvT1_ ; -- Begin function _ZN7rocprim17ROCPRIM_400000_NS6detail17trampoline_kernelINS0_14default_configENS1_25partition_config_selectorILNS1_17partition_subalgoE2EsNS0_10empty_typeEbEEZZNS1_14partition_implILS5_2ELb0ES3_jN6thrust23THRUST_200600_302600_NS6detail15normal_iteratorINSA_7pointerIsNSA_11hip_rocprim3tagENSA_11use_defaultESG_EEEEPS6_NSA_18transform_iteratorI7is_evenIsENSC_INSA_10device_ptrIsEEEESG_SG_EENS0_5tupleIJPsSJ_EEENSR_IJSJ_SJ_EEES6_PlJS6_EEE10hipError_tPvRmT3_T4_T5_T6_T7_T9_mT8_P12ihipStream_tbDpT10_ENKUlT_T0_E_clISt17integral_constantIbLb0EES1E_IbLb1EEEEDaS1A_S1B_EUlS1A_E_NS1_11comp_targetILNS1_3genE2ELNS1_11target_archE906ELNS1_3gpuE6ELNS1_3repE0EEENS1_30default_config_static_selectorELNS0_4arch9wavefront6targetE1EEEvT1_
	.globl	_ZN7rocprim17ROCPRIM_400000_NS6detail17trampoline_kernelINS0_14default_configENS1_25partition_config_selectorILNS1_17partition_subalgoE2EsNS0_10empty_typeEbEEZZNS1_14partition_implILS5_2ELb0ES3_jN6thrust23THRUST_200600_302600_NS6detail15normal_iteratorINSA_7pointerIsNSA_11hip_rocprim3tagENSA_11use_defaultESG_EEEEPS6_NSA_18transform_iteratorI7is_evenIsENSC_INSA_10device_ptrIsEEEESG_SG_EENS0_5tupleIJPsSJ_EEENSR_IJSJ_SJ_EEES6_PlJS6_EEE10hipError_tPvRmT3_T4_T5_T6_T7_T9_mT8_P12ihipStream_tbDpT10_ENKUlT_T0_E_clISt17integral_constantIbLb0EES1E_IbLb1EEEEDaS1A_S1B_EUlS1A_E_NS1_11comp_targetILNS1_3genE2ELNS1_11target_archE906ELNS1_3gpuE6ELNS1_3repE0EEENS1_30default_config_static_selectorELNS0_4arch9wavefront6targetE1EEEvT1_
	.p2align	8
	.type	_ZN7rocprim17ROCPRIM_400000_NS6detail17trampoline_kernelINS0_14default_configENS1_25partition_config_selectorILNS1_17partition_subalgoE2EsNS0_10empty_typeEbEEZZNS1_14partition_implILS5_2ELb0ES3_jN6thrust23THRUST_200600_302600_NS6detail15normal_iteratorINSA_7pointerIsNSA_11hip_rocprim3tagENSA_11use_defaultESG_EEEEPS6_NSA_18transform_iteratorI7is_evenIsENSC_INSA_10device_ptrIsEEEESG_SG_EENS0_5tupleIJPsSJ_EEENSR_IJSJ_SJ_EEES6_PlJS6_EEE10hipError_tPvRmT3_T4_T5_T6_T7_T9_mT8_P12ihipStream_tbDpT10_ENKUlT_T0_E_clISt17integral_constantIbLb0EES1E_IbLb1EEEEDaS1A_S1B_EUlS1A_E_NS1_11comp_targetILNS1_3genE2ELNS1_11target_archE906ELNS1_3gpuE6ELNS1_3repE0EEENS1_30default_config_static_selectorELNS0_4arch9wavefront6targetE1EEEvT1_,@function
_ZN7rocprim17ROCPRIM_400000_NS6detail17trampoline_kernelINS0_14default_configENS1_25partition_config_selectorILNS1_17partition_subalgoE2EsNS0_10empty_typeEbEEZZNS1_14partition_implILS5_2ELb0ES3_jN6thrust23THRUST_200600_302600_NS6detail15normal_iteratorINSA_7pointerIsNSA_11hip_rocprim3tagENSA_11use_defaultESG_EEEEPS6_NSA_18transform_iteratorI7is_evenIsENSC_INSA_10device_ptrIsEEEESG_SG_EENS0_5tupleIJPsSJ_EEENSR_IJSJ_SJ_EEES6_PlJS6_EEE10hipError_tPvRmT3_T4_T5_T6_T7_T9_mT8_P12ihipStream_tbDpT10_ENKUlT_T0_E_clISt17integral_constantIbLb0EES1E_IbLb1EEEEDaS1A_S1B_EUlS1A_E_NS1_11comp_targetILNS1_3genE2ELNS1_11target_archE906ELNS1_3gpuE6ELNS1_3repE0EEENS1_30default_config_static_selectorELNS0_4arch9wavefront6targetE1EEEvT1_: ; @_ZN7rocprim17ROCPRIM_400000_NS6detail17trampoline_kernelINS0_14default_configENS1_25partition_config_selectorILNS1_17partition_subalgoE2EsNS0_10empty_typeEbEEZZNS1_14partition_implILS5_2ELb0ES3_jN6thrust23THRUST_200600_302600_NS6detail15normal_iteratorINSA_7pointerIsNSA_11hip_rocprim3tagENSA_11use_defaultESG_EEEEPS6_NSA_18transform_iteratorI7is_evenIsENSC_INSA_10device_ptrIsEEEESG_SG_EENS0_5tupleIJPsSJ_EEENSR_IJSJ_SJ_EEES6_PlJS6_EEE10hipError_tPvRmT3_T4_T5_T6_T7_T9_mT8_P12ihipStream_tbDpT10_ENKUlT_T0_E_clISt17integral_constantIbLb0EES1E_IbLb1EEEEDaS1A_S1B_EUlS1A_E_NS1_11comp_targetILNS1_3genE2ELNS1_11target_archE906ELNS1_3gpuE6ELNS1_3repE0EEENS1_30default_config_static_selectorELNS0_4arch9wavefront6targetE1EEEvT1_
; %bb.0:
	.section	.rodata,"a",@progbits
	.p2align	6, 0x0
	.amdhsa_kernel _ZN7rocprim17ROCPRIM_400000_NS6detail17trampoline_kernelINS0_14default_configENS1_25partition_config_selectorILNS1_17partition_subalgoE2EsNS0_10empty_typeEbEEZZNS1_14partition_implILS5_2ELb0ES3_jN6thrust23THRUST_200600_302600_NS6detail15normal_iteratorINSA_7pointerIsNSA_11hip_rocprim3tagENSA_11use_defaultESG_EEEEPS6_NSA_18transform_iteratorI7is_evenIsENSC_INSA_10device_ptrIsEEEESG_SG_EENS0_5tupleIJPsSJ_EEENSR_IJSJ_SJ_EEES6_PlJS6_EEE10hipError_tPvRmT3_T4_T5_T6_T7_T9_mT8_P12ihipStream_tbDpT10_ENKUlT_T0_E_clISt17integral_constantIbLb0EES1E_IbLb1EEEEDaS1A_S1B_EUlS1A_E_NS1_11comp_targetILNS1_3genE2ELNS1_11target_archE906ELNS1_3gpuE6ELNS1_3repE0EEENS1_30default_config_static_selectorELNS0_4arch9wavefront6targetE1EEEvT1_
		.amdhsa_group_segment_fixed_size 0
		.amdhsa_private_segment_fixed_size 0
		.amdhsa_kernarg_size 144
		.amdhsa_user_sgpr_count 6
		.amdhsa_user_sgpr_private_segment_buffer 1
		.amdhsa_user_sgpr_dispatch_ptr 0
		.amdhsa_user_sgpr_queue_ptr 0
		.amdhsa_user_sgpr_kernarg_segment_ptr 1
		.amdhsa_user_sgpr_dispatch_id 0
		.amdhsa_user_sgpr_flat_scratch_init 0
		.amdhsa_user_sgpr_kernarg_preload_length 0
		.amdhsa_user_sgpr_kernarg_preload_offset 0
		.amdhsa_user_sgpr_private_segment_size 0
		.amdhsa_uses_dynamic_stack 0
		.amdhsa_system_sgpr_private_segment_wavefront_offset 0
		.amdhsa_system_sgpr_workgroup_id_x 1
		.amdhsa_system_sgpr_workgroup_id_y 0
		.amdhsa_system_sgpr_workgroup_id_z 0
		.amdhsa_system_sgpr_workgroup_info 0
		.amdhsa_system_vgpr_workitem_id 0
		.amdhsa_next_free_vgpr 1
		.amdhsa_next_free_sgpr 0
		.amdhsa_accum_offset 4
		.amdhsa_reserve_vcc 0
		.amdhsa_reserve_flat_scratch 0
		.amdhsa_float_round_mode_32 0
		.amdhsa_float_round_mode_16_64 0
		.amdhsa_float_denorm_mode_32 3
		.amdhsa_float_denorm_mode_16_64 3
		.amdhsa_dx10_clamp 1
		.amdhsa_ieee_mode 1
		.amdhsa_fp16_overflow 0
		.amdhsa_tg_split 0
		.amdhsa_exception_fp_ieee_invalid_op 0
		.amdhsa_exception_fp_denorm_src 0
		.amdhsa_exception_fp_ieee_div_zero 0
		.amdhsa_exception_fp_ieee_overflow 0
		.amdhsa_exception_fp_ieee_underflow 0
		.amdhsa_exception_fp_ieee_inexact 0
		.amdhsa_exception_int_div_zero 0
	.end_amdhsa_kernel
	.section	.text._ZN7rocprim17ROCPRIM_400000_NS6detail17trampoline_kernelINS0_14default_configENS1_25partition_config_selectorILNS1_17partition_subalgoE2EsNS0_10empty_typeEbEEZZNS1_14partition_implILS5_2ELb0ES3_jN6thrust23THRUST_200600_302600_NS6detail15normal_iteratorINSA_7pointerIsNSA_11hip_rocprim3tagENSA_11use_defaultESG_EEEEPS6_NSA_18transform_iteratorI7is_evenIsENSC_INSA_10device_ptrIsEEEESG_SG_EENS0_5tupleIJPsSJ_EEENSR_IJSJ_SJ_EEES6_PlJS6_EEE10hipError_tPvRmT3_T4_T5_T6_T7_T9_mT8_P12ihipStream_tbDpT10_ENKUlT_T0_E_clISt17integral_constantIbLb0EES1E_IbLb1EEEEDaS1A_S1B_EUlS1A_E_NS1_11comp_targetILNS1_3genE2ELNS1_11target_archE906ELNS1_3gpuE6ELNS1_3repE0EEENS1_30default_config_static_selectorELNS0_4arch9wavefront6targetE1EEEvT1_,"axG",@progbits,_ZN7rocprim17ROCPRIM_400000_NS6detail17trampoline_kernelINS0_14default_configENS1_25partition_config_selectorILNS1_17partition_subalgoE2EsNS0_10empty_typeEbEEZZNS1_14partition_implILS5_2ELb0ES3_jN6thrust23THRUST_200600_302600_NS6detail15normal_iteratorINSA_7pointerIsNSA_11hip_rocprim3tagENSA_11use_defaultESG_EEEEPS6_NSA_18transform_iteratorI7is_evenIsENSC_INSA_10device_ptrIsEEEESG_SG_EENS0_5tupleIJPsSJ_EEENSR_IJSJ_SJ_EEES6_PlJS6_EEE10hipError_tPvRmT3_T4_T5_T6_T7_T9_mT8_P12ihipStream_tbDpT10_ENKUlT_T0_E_clISt17integral_constantIbLb0EES1E_IbLb1EEEEDaS1A_S1B_EUlS1A_E_NS1_11comp_targetILNS1_3genE2ELNS1_11target_archE906ELNS1_3gpuE6ELNS1_3repE0EEENS1_30default_config_static_selectorELNS0_4arch9wavefront6targetE1EEEvT1_,comdat
.Lfunc_end284:
	.size	_ZN7rocprim17ROCPRIM_400000_NS6detail17trampoline_kernelINS0_14default_configENS1_25partition_config_selectorILNS1_17partition_subalgoE2EsNS0_10empty_typeEbEEZZNS1_14partition_implILS5_2ELb0ES3_jN6thrust23THRUST_200600_302600_NS6detail15normal_iteratorINSA_7pointerIsNSA_11hip_rocprim3tagENSA_11use_defaultESG_EEEEPS6_NSA_18transform_iteratorI7is_evenIsENSC_INSA_10device_ptrIsEEEESG_SG_EENS0_5tupleIJPsSJ_EEENSR_IJSJ_SJ_EEES6_PlJS6_EEE10hipError_tPvRmT3_T4_T5_T6_T7_T9_mT8_P12ihipStream_tbDpT10_ENKUlT_T0_E_clISt17integral_constantIbLb0EES1E_IbLb1EEEEDaS1A_S1B_EUlS1A_E_NS1_11comp_targetILNS1_3genE2ELNS1_11target_archE906ELNS1_3gpuE6ELNS1_3repE0EEENS1_30default_config_static_selectorELNS0_4arch9wavefront6targetE1EEEvT1_, .Lfunc_end284-_ZN7rocprim17ROCPRIM_400000_NS6detail17trampoline_kernelINS0_14default_configENS1_25partition_config_selectorILNS1_17partition_subalgoE2EsNS0_10empty_typeEbEEZZNS1_14partition_implILS5_2ELb0ES3_jN6thrust23THRUST_200600_302600_NS6detail15normal_iteratorINSA_7pointerIsNSA_11hip_rocprim3tagENSA_11use_defaultESG_EEEEPS6_NSA_18transform_iteratorI7is_evenIsENSC_INSA_10device_ptrIsEEEESG_SG_EENS0_5tupleIJPsSJ_EEENSR_IJSJ_SJ_EEES6_PlJS6_EEE10hipError_tPvRmT3_T4_T5_T6_T7_T9_mT8_P12ihipStream_tbDpT10_ENKUlT_T0_E_clISt17integral_constantIbLb0EES1E_IbLb1EEEEDaS1A_S1B_EUlS1A_E_NS1_11comp_targetILNS1_3genE2ELNS1_11target_archE906ELNS1_3gpuE6ELNS1_3repE0EEENS1_30default_config_static_selectorELNS0_4arch9wavefront6targetE1EEEvT1_
                                        ; -- End function
	.section	.AMDGPU.csdata,"",@progbits
; Kernel info:
; codeLenInByte = 0
; NumSgprs: 4
; NumVgprs: 0
; NumAgprs: 0
; TotalNumVgprs: 0
; ScratchSize: 0
; MemoryBound: 0
; FloatMode: 240
; IeeeMode: 1
; LDSByteSize: 0 bytes/workgroup (compile time only)
; SGPRBlocks: 0
; VGPRBlocks: 0
; NumSGPRsForWavesPerEU: 4
; NumVGPRsForWavesPerEU: 1
; AccumOffset: 4
; Occupancy: 8
; WaveLimiterHint : 0
; COMPUTE_PGM_RSRC2:SCRATCH_EN: 0
; COMPUTE_PGM_RSRC2:USER_SGPR: 6
; COMPUTE_PGM_RSRC2:TRAP_HANDLER: 0
; COMPUTE_PGM_RSRC2:TGID_X_EN: 1
; COMPUTE_PGM_RSRC2:TGID_Y_EN: 0
; COMPUTE_PGM_RSRC2:TGID_Z_EN: 0
; COMPUTE_PGM_RSRC2:TIDIG_COMP_CNT: 0
; COMPUTE_PGM_RSRC3_GFX90A:ACCUM_OFFSET: 0
; COMPUTE_PGM_RSRC3_GFX90A:TG_SPLIT: 0
	.section	.text._ZN7rocprim17ROCPRIM_400000_NS6detail17trampoline_kernelINS0_14default_configENS1_25partition_config_selectorILNS1_17partition_subalgoE2EsNS0_10empty_typeEbEEZZNS1_14partition_implILS5_2ELb0ES3_jN6thrust23THRUST_200600_302600_NS6detail15normal_iteratorINSA_7pointerIsNSA_11hip_rocprim3tagENSA_11use_defaultESG_EEEEPS6_NSA_18transform_iteratorI7is_evenIsENSC_INSA_10device_ptrIsEEEESG_SG_EENS0_5tupleIJPsSJ_EEENSR_IJSJ_SJ_EEES6_PlJS6_EEE10hipError_tPvRmT3_T4_T5_T6_T7_T9_mT8_P12ihipStream_tbDpT10_ENKUlT_T0_E_clISt17integral_constantIbLb0EES1E_IbLb1EEEEDaS1A_S1B_EUlS1A_E_NS1_11comp_targetILNS1_3genE10ELNS1_11target_archE1200ELNS1_3gpuE4ELNS1_3repE0EEENS1_30default_config_static_selectorELNS0_4arch9wavefront6targetE1EEEvT1_,"axG",@progbits,_ZN7rocprim17ROCPRIM_400000_NS6detail17trampoline_kernelINS0_14default_configENS1_25partition_config_selectorILNS1_17partition_subalgoE2EsNS0_10empty_typeEbEEZZNS1_14partition_implILS5_2ELb0ES3_jN6thrust23THRUST_200600_302600_NS6detail15normal_iteratorINSA_7pointerIsNSA_11hip_rocprim3tagENSA_11use_defaultESG_EEEEPS6_NSA_18transform_iteratorI7is_evenIsENSC_INSA_10device_ptrIsEEEESG_SG_EENS0_5tupleIJPsSJ_EEENSR_IJSJ_SJ_EEES6_PlJS6_EEE10hipError_tPvRmT3_T4_T5_T6_T7_T9_mT8_P12ihipStream_tbDpT10_ENKUlT_T0_E_clISt17integral_constantIbLb0EES1E_IbLb1EEEEDaS1A_S1B_EUlS1A_E_NS1_11comp_targetILNS1_3genE10ELNS1_11target_archE1200ELNS1_3gpuE4ELNS1_3repE0EEENS1_30default_config_static_selectorELNS0_4arch9wavefront6targetE1EEEvT1_,comdat
	.protected	_ZN7rocprim17ROCPRIM_400000_NS6detail17trampoline_kernelINS0_14default_configENS1_25partition_config_selectorILNS1_17partition_subalgoE2EsNS0_10empty_typeEbEEZZNS1_14partition_implILS5_2ELb0ES3_jN6thrust23THRUST_200600_302600_NS6detail15normal_iteratorINSA_7pointerIsNSA_11hip_rocprim3tagENSA_11use_defaultESG_EEEEPS6_NSA_18transform_iteratorI7is_evenIsENSC_INSA_10device_ptrIsEEEESG_SG_EENS0_5tupleIJPsSJ_EEENSR_IJSJ_SJ_EEES6_PlJS6_EEE10hipError_tPvRmT3_T4_T5_T6_T7_T9_mT8_P12ihipStream_tbDpT10_ENKUlT_T0_E_clISt17integral_constantIbLb0EES1E_IbLb1EEEEDaS1A_S1B_EUlS1A_E_NS1_11comp_targetILNS1_3genE10ELNS1_11target_archE1200ELNS1_3gpuE4ELNS1_3repE0EEENS1_30default_config_static_selectorELNS0_4arch9wavefront6targetE1EEEvT1_ ; -- Begin function _ZN7rocprim17ROCPRIM_400000_NS6detail17trampoline_kernelINS0_14default_configENS1_25partition_config_selectorILNS1_17partition_subalgoE2EsNS0_10empty_typeEbEEZZNS1_14partition_implILS5_2ELb0ES3_jN6thrust23THRUST_200600_302600_NS6detail15normal_iteratorINSA_7pointerIsNSA_11hip_rocprim3tagENSA_11use_defaultESG_EEEEPS6_NSA_18transform_iteratorI7is_evenIsENSC_INSA_10device_ptrIsEEEESG_SG_EENS0_5tupleIJPsSJ_EEENSR_IJSJ_SJ_EEES6_PlJS6_EEE10hipError_tPvRmT3_T4_T5_T6_T7_T9_mT8_P12ihipStream_tbDpT10_ENKUlT_T0_E_clISt17integral_constantIbLb0EES1E_IbLb1EEEEDaS1A_S1B_EUlS1A_E_NS1_11comp_targetILNS1_3genE10ELNS1_11target_archE1200ELNS1_3gpuE4ELNS1_3repE0EEENS1_30default_config_static_selectorELNS0_4arch9wavefront6targetE1EEEvT1_
	.globl	_ZN7rocprim17ROCPRIM_400000_NS6detail17trampoline_kernelINS0_14default_configENS1_25partition_config_selectorILNS1_17partition_subalgoE2EsNS0_10empty_typeEbEEZZNS1_14partition_implILS5_2ELb0ES3_jN6thrust23THRUST_200600_302600_NS6detail15normal_iteratorINSA_7pointerIsNSA_11hip_rocprim3tagENSA_11use_defaultESG_EEEEPS6_NSA_18transform_iteratorI7is_evenIsENSC_INSA_10device_ptrIsEEEESG_SG_EENS0_5tupleIJPsSJ_EEENSR_IJSJ_SJ_EEES6_PlJS6_EEE10hipError_tPvRmT3_T4_T5_T6_T7_T9_mT8_P12ihipStream_tbDpT10_ENKUlT_T0_E_clISt17integral_constantIbLb0EES1E_IbLb1EEEEDaS1A_S1B_EUlS1A_E_NS1_11comp_targetILNS1_3genE10ELNS1_11target_archE1200ELNS1_3gpuE4ELNS1_3repE0EEENS1_30default_config_static_selectorELNS0_4arch9wavefront6targetE1EEEvT1_
	.p2align	8
	.type	_ZN7rocprim17ROCPRIM_400000_NS6detail17trampoline_kernelINS0_14default_configENS1_25partition_config_selectorILNS1_17partition_subalgoE2EsNS0_10empty_typeEbEEZZNS1_14partition_implILS5_2ELb0ES3_jN6thrust23THRUST_200600_302600_NS6detail15normal_iteratorINSA_7pointerIsNSA_11hip_rocprim3tagENSA_11use_defaultESG_EEEEPS6_NSA_18transform_iteratorI7is_evenIsENSC_INSA_10device_ptrIsEEEESG_SG_EENS0_5tupleIJPsSJ_EEENSR_IJSJ_SJ_EEES6_PlJS6_EEE10hipError_tPvRmT3_T4_T5_T6_T7_T9_mT8_P12ihipStream_tbDpT10_ENKUlT_T0_E_clISt17integral_constantIbLb0EES1E_IbLb1EEEEDaS1A_S1B_EUlS1A_E_NS1_11comp_targetILNS1_3genE10ELNS1_11target_archE1200ELNS1_3gpuE4ELNS1_3repE0EEENS1_30default_config_static_selectorELNS0_4arch9wavefront6targetE1EEEvT1_,@function
_ZN7rocprim17ROCPRIM_400000_NS6detail17trampoline_kernelINS0_14default_configENS1_25partition_config_selectorILNS1_17partition_subalgoE2EsNS0_10empty_typeEbEEZZNS1_14partition_implILS5_2ELb0ES3_jN6thrust23THRUST_200600_302600_NS6detail15normal_iteratorINSA_7pointerIsNSA_11hip_rocprim3tagENSA_11use_defaultESG_EEEEPS6_NSA_18transform_iteratorI7is_evenIsENSC_INSA_10device_ptrIsEEEESG_SG_EENS0_5tupleIJPsSJ_EEENSR_IJSJ_SJ_EEES6_PlJS6_EEE10hipError_tPvRmT3_T4_T5_T6_T7_T9_mT8_P12ihipStream_tbDpT10_ENKUlT_T0_E_clISt17integral_constantIbLb0EES1E_IbLb1EEEEDaS1A_S1B_EUlS1A_E_NS1_11comp_targetILNS1_3genE10ELNS1_11target_archE1200ELNS1_3gpuE4ELNS1_3repE0EEENS1_30default_config_static_selectorELNS0_4arch9wavefront6targetE1EEEvT1_: ; @_ZN7rocprim17ROCPRIM_400000_NS6detail17trampoline_kernelINS0_14default_configENS1_25partition_config_selectorILNS1_17partition_subalgoE2EsNS0_10empty_typeEbEEZZNS1_14partition_implILS5_2ELb0ES3_jN6thrust23THRUST_200600_302600_NS6detail15normal_iteratorINSA_7pointerIsNSA_11hip_rocprim3tagENSA_11use_defaultESG_EEEEPS6_NSA_18transform_iteratorI7is_evenIsENSC_INSA_10device_ptrIsEEEESG_SG_EENS0_5tupleIJPsSJ_EEENSR_IJSJ_SJ_EEES6_PlJS6_EEE10hipError_tPvRmT3_T4_T5_T6_T7_T9_mT8_P12ihipStream_tbDpT10_ENKUlT_T0_E_clISt17integral_constantIbLb0EES1E_IbLb1EEEEDaS1A_S1B_EUlS1A_E_NS1_11comp_targetILNS1_3genE10ELNS1_11target_archE1200ELNS1_3gpuE4ELNS1_3repE0EEENS1_30default_config_static_selectorELNS0_4arch9wavefront6targetE1EEEvT1_
; %bb.0:
	.section	.rodata,"a",@progbits
	.p2align	6, 0x0
	.amdhsa_kernel _ZN7rocprim17ROCPRIM_400000_NS6detail17trampoline_kernelINS0_14default_configENS1_25partition_config_selectorILNS1_17partition_subalgoE2EsNS0_10empty_typeEbEEZZNS1_14partition_implILS5_2ELb0ES3_jN6thrust23THRUST_200600_302600_NS6detail15normal_iteratorINSA_7pointerIsNSA_11hip_rocprim3tagENSA_11use_defaultESG_EEEEPS6_NSA_18transform_iteratorI7is_evenIsENSC_INSA_10device_ptrIsEEEESG_SG_EENS0_5tupleIJPsSJ_EEENSR_IJSJ_SJ_EEES6_PlJS6_EEE10hipError_tPvRmT3_T4_T5_T6_T7_T9_mT8_P12ihipStream_tbDpT10_ENKUlT_T0_E_clISt17integral_constantIbLb0EES1E_IbLb1EEEEDaS1A_S1B_EUlS1A_E_NS1_11comp_targetILNS1_3genE10ELNS1_11target_archE1200ELNS1_3gpuE4ELNS1_3repE0EEENS1_30default_config_static_selectorELNS0_4arch9wavefront6targetE1EEEvT1_
		.amdhsa_group_segment_fixed_size 0
		.amdhsa_private_segment_fixed_size 0
		.amdhsa_kernarg_size 144
		.amdhsa_user_sgpr_count 6
		.amdhsa_user_sgpr_private_segment_buffer 1
		.amdhsa_user_sgpr_dispatch_ptr 0
		.amdhsa_user_sgpr_queue_ptr 0
		.amdhsa_user_sgpr_kernarg_segment_ptr 1
		.amdhsa_user_sgpr_dispatch_id 0
		.amdhsa_user_sgpr_flat_scratch_init 0
		.amdhsa_user_sgpr_kernarg_preload_length 0
		.amdhsa_user_sgpr_kernarg_preload_offset 0
		.amdhsa_user_sgpr_private_segment_size 0
		.amdhsa_uses_dynamic_stack 0
		.amdhsa_system_sgpr_private_segment_wavefront_offset 0
		.amdhsa_system_sgpr_workgroup_id_x 1
		.amdhsa_system_sgpr_workgroup_id_y 0
		.amdhsa_system_sgpr_workgroup_id_z 0
		.amdhsa_system_sgpr_workgroup_info 0
		.amdhsa_system_vgpr_workitem_id 0
		.amdhsa_next_free_vgpr 1
		.amdhsa_next_free_sgpr 0
		.amdhsa_accum_offset 4
		.amdhsa_reserve_vcc 0
		.amdhsa_reserve_flat_scratch 0
		.amdhsa_float_round_mode_32 0
		.amdhsa_float_round_mode_16_64 0
		.amdhsa_float_denorm_mode_32 3
		.amdhsa_float_denorm_mode_16_64 3
		.amdhsa_dx10_clamp 1
		.amdhsa_ieee_mode 1
		.amdhsa_fp16_overflow 0
		.amdhsa_tg_split 0
		.amdhsa_exception_fp_ieee_invalid_op 0
		.amdhsa_exception_fp_denorm_src 0
		.amdhsa_exception_fp_ieee_div_zero 0
		.amdhsa_exception_fp_ieee_overflow 0
		.amdhsa_exception_fp_ieee_underflow 0
		.amdhsa_exception_fp_ieee_inexact 0
		.amdhsa_exception_int_div_zero 0
	.end_amdhsa_kernel
	.section	.text._ZN7rocprim17ROCPRIM_400000_NS6detail17trampoline_kernelINS0_14default_configENS1_25partition_config_selectorILNS1_17partition_subalgoE2EsNS0_10empty_typeEbEEZZNS1_14partition_implILS5_2ELb0ES3_jN6thrust23THRUST_200600_302600_NS6detail15normal_iteratorINSA_7pointerIsNSA_11hip_rocprim3tagENSA_11use_defaultESG_EEEEPS6_NSA_18transform_iteratorI7is_evenIsENSC_INSA_10device_ptrIsEEEESG_SG_EENS0_5tupleIJPsSJ_EEENSR_IJSJ_SJ_EEES6_PlJS6_EEE10hipError_tPvRmT3_T4_T5_T6_T7_T9_mT8_P12ihipStream_tbDpT10_ENKUlT_T0_E_clISt17integral_constantIbLb0EES1E_IbLb1EEEEDaS1A_S1B_EUlS1A_E_NS1_11comp_targetILNS1_3genE10ELNS1_11target_archE1200ELNS1_3gpuE4ELNS1_3repE0EEENS1_30default_config_static_selectorELNS0_4arch9wavefront6targetE1EEEvT1_,"axG",@progbits,_ZN7rocprim17ROCPRIM_400000_NS6detail17trampoline_kernelINS0_14default_configENS1_25partition_config_selectorILNS1_17partition_subalgoE2EsNS0_10empty_typeEbEEZZNS1_14partition_implILS5_2ELb0ES3_jN6thrust23THRUST_200600_302600_NS6detail15normal_iteratorINSA_7pointerIsNSA_11hip_rocprim3tagENSA_11use_defaultESG_EEEEPS6_NSA_18transform_iteratorI7is_evenIsENSC_INSA_10device_ptrIsEEEESG_SG_EENS0_5tupleIJPsSJ_EEENSR_IJSJ_SJ_EEES6_PlJS6_EEE10hipError_tPvRmT3_T4_T5_T6_T7_T9_mT8_P12ihipStream_tbDpT10_ENKUlT_T0_E_clISt17integral_constantIbLb0EES1E_IbLb1EEEEDaS1A_S1B_EUlS1A_E_NS1_11comp_targetILNS1_3genE10ELNS1_11target_archE1200ELNS1_3gpuE4ELNS1_3repE0EEENS1_30default_config_static_selectorELNS0_4arch9wavefront6targetE1EEEvT1_,comdat
.Lfunc_end285:
	.size	_ZN7rocprim17ROCPRIM_400000_NS6detail17trampoline_kernelINS0_14default_configENS1_25partition_config_selectorILNS1_17partition_subalgoE2EsNS0_10empty_typeEbEEZZNS1_14partition_implILS5_2ELb0ES3_jN6thrust23THRUST_200600_302600_NS6detail15normal_iteratorINSA_7pointerIsNSA_11hip_rocprim3tagENSA_11use_defaultESG_EEEEPS6_NSA_18transform_iteratorI7is_evenIsENSC_INSA_10device_ptrIsEEEESG_SG_EENS0_5tupleIJPsSJ_EEENSR_IJSJ_SJ_EEES6_PlJS6_EEE10hipError_tPvRmT3_T4_T5_T6_T7_T9_mT8_P12ihipStream_tbDpT10_ENKUlT_T0_E_clISt17integral_constantIbLb0EES1E_IbLb1EEEEDaS1A_S1B_EUlS1A_E_NS1_11comp_targetILNS1_3genE10ELNS1_11target_archE1200ELNS1_3gpuE4ELNS1_3repE0EEENS1_30default_config_static_selectorELNS0_4arch9wavefront6targetE1EEEvT1_, .Lfunc_end285-_ZN7rocprim17ROCPRIM_400000_NS6detail17trampoline_kernelINS0_14default_configENS1_25partition_config_selectorILNS1_17partition_subalgoE2EsNS0_10empty_typeEbEEZZNS1_14partition_implILS5_2ELb0ES3_jN6thrust23THRUST_200600_302600_NS6detail15normal_iteratorINSA_7pointerIsNSA_11hip_rocprim3tagENSA_11use_defaultESG_EEEEPS6_NSA_18transform_iteratorI7is_evenIsENSC_INSA_10device_ptrIsEEEESG_SG_EENS0_5tupleIJPsSJ_EEENSR_IJSJ_SJ_EEES6_PlJS6_EEE10hipError_tPvRmT3_T4_T5_T6_T7_T9_mT8_P12ihipStream_tbDpT10_ENKUlT_T0_E_clISt17integral_constantIbLb0EES1E_IbLb1EEEEDaS1A_S1B_EUlS1A_E_NS1_11comp_targetILNS1_3genE10ELNS1_11target_archE1200ELNS1_3gpuE4ELNS1_3repE0EEENS1_30default_config_static_selectorELNS0_4arch9wavefront6targetE1EEEvT1_
                                        ; -- End function
	.section	.AMDGPU.csdata,"",@progbits
; Kernel info:
; codeLenInByte = 0
; NumSgprs: 4
; NumVgprs: 0
; NumAgprs: 0
; TotalNumVgprs: 0
; ScratchSize: 0
; MemoryBound: 0
; FloatMode: 240
; IeeeMode: 1
; LDSByteSize: 0 bytes/workgroup (compile time only)
; SGPRBlocks: 0
; VGPRBlocks: 0
; NumSGPRsForWavesPerEU: 4
; NumVGPRsForWavesPerEU: 1
; AccumOffset: 4
; Occupancy: 8
; WaveLimiterHint : 0
; COMPUTE_PGM_RSRC2:SCRATCH_EN: 0
; COMPUTE_PGM_RSRC2:USER_SGPR: 6
; COMPUTE_PGM_RSRC2:TRAP_HANDLER: 0
; COMPUTE_PGM_RSRC2:TGID_X_EN: 1
; COMPUTE_PGM_RSRC2:TGID_Y_EN: 0
; COMPUTE_PGM_RSRC2:TGID_Z_EN: 0
; COMPUTE_PGM_RSRC2:TIDIG_COMP_CNT: 0
; COMPUTE_PGM_RSRC3_GFX90A:ACCUM_OFFSET: 0
; COMPUTE_PGM_RSRC3_GFX90A:TG_SPLIT: 0
	.section	.text._ZN7rocprim17ROCPRIM_400000_NS6detail17trampoline_kernelINS0_14default_configENS1_25partition_config_selectorILNS1_17partition_subalgoE2EsNS0_10empty_typeEbEEZZNS1_14partition_implILS5_2ELb0ES3_jN6thrust23THRUST_200600_302600_NS6detail15normal_iteratorINSA_7pointerIsNSA_11hip_rocprim3tagENSA_11use_defaultESG_EEEEPS6_NSA_18transform_iteratorI7is_evenIsENSC_INSA_10device_ptrIsEEEESG_SG_EENS0_5tupleIJPsSJ_EEENSR_IJSJ_SJ_EEES6_PlJS6_EEE10hipError_tPvRmT3_T4_T5_T6_T7_T9_mT8_P12ihipStream_tbDpT10_ENKUlT_T0_E_clISt17integral_constantIbLb0EES1E_IbLb1EEEEDaS1A_S1B_EUlS1A_E_NS1_11comp_targetILNS1_3genE9ELNS1_11target_archE1100ELNS1_3gpuE3ELNS1_3repE0EEENS1_30default_config_static_selectorELNS0_4arch9wavefront6targetE1EEEvT1_,"axG",@progbits,_ZN7rocprim17ROCPRIM_400000_NS6detail17trampoline_kernelINS0_14default_configENS1_25partition_config_selectorILNS1_17partition_subalgoE2EsNS0_10empty_typeEbEEZZNS1_14partition_implILS5_2ELb0ES3_jN6thrust23THRUST_200600_302600_NS6detail15normal_iteratorINSA_7pointerIsNSA_11hip_rocprim3tagENSA_11use_defaultESG_EEEEPS6_NSA_18transform_iteratorI7is_evenIsENSC_INSA_10device_ptrIsEEEESG_SG_EENS0_5tupleIJPsSJ_EEENSR_IJSJ_SJ_EEES6_PlJS6_EEE10hipError_tPvRmT3_T4_T5_T6_T7_T9_mT8_P12ihipStream_tbDpT10_ENKUlT_T0_E_clISt17integral_constantIbLb0EES1E_IbLb1EEEEDaS1A_S1B_EUlS1A_E_NS1_11comp_targetILNS1_3genE9ELNS1_11target_archE1100ELNS1_3gpuE3ELNS1_3repE0EEENS1_30default_config_static_selectorELNS0_4arch9wavefront6targetE1EEEvT1_,comdat
	.protected	_ZN7rocprim17ROCPRIM_400000_NS6detail17trampoline_kernelINS0_14default_configENS1_25partition_config_selectorILNS1_17partition_subalgoE2EsNS0_10empty_typeEbEEZZNS1_14partition_implILS5_2ELb0ES3_jN6thrust23THRUST_200600_302600_NS6detail15normal_iteratorINSA_7pointerIsNSA_11hip_rocprim3tagENSA_11use_defaultESG_EEEEPS6_NSA_18transform_iteratorI7is_evenIsENSC_INSA_10device_ptrIsEEEESG_SG_EENS0_5tupleIJPsSJ_EEENSR_IJSJ_SJ_EEES6_PlJS6_EEE10hipError_tPvRmT3_T4_T5_T6_T7_T9_mT8_P12ihipStream_tbDpT10_ENKUlT_T0_E_clISt17integral_constantIbLb0EES1E_IbLb1EEEEDaS1A_S1B_EUlS1A_E_NS1_11comp_targetILNS1_3genE9ELNS1_11target_archE1100ELNS1_3gpuE3ELNS1_3repE0EEENS1_30default_config_static_selectorELNS0_4arch9wavefront6targetE1EEEvT1_ ; -- Begin function _ZN7rocprim17ROCPRIM_400000_NS6detail17trampoline_kernelINS0_14default_configENS1_25partition_config_selectorILNS1_17partition_subalgoE2EsNS0_10empty_typeEbEEZZNS1_14partition_implILS5_2ELb0ES3_jN6thrust23THRUST_200600_302600_NS6detail15normal_iteratorINSA_7pointerIsNSA_11hip_rocprim3tagENSA_11use_defaultESG_EEEEPS6_NSA_18transform_iteratorI7is_evenIsENSC_INSA_10device_ptrIsEEEESG_SG_EENS0_5tupleIJPsSJ_EEENSR_IJSJ_SJ_EEES6_PlJS6_EEE10hipError_tPvRmT3_T4_T5_T6_T7_T9_mT8_P12ihipStream_tbDpT10_ENKUlT_T0_E_clISt17integral_constantIbLb0EES1E_IbLb1EEEEDaS1A_S1B_EUlS1A_E_NS1_11comp_targetILNS1_3genE9ELNS1_11target_archE1100ELNS1_3gpuE3ELNS1_3repE0EEENS1_30default_config_static_selectorELNS0_4arch9wavefront6targetE1EEEvT1_
	.globl	_ZN7rocprim17ROCPRIM_400000_NS6detail17trampoline_kernelINS0_14default_configENS1_25partition_config_selectorILNS1_17partition_subalgoE2EsNS0_10empty_typeEbEEZZNS1_14partition_implILS5_2ELb0ES3_jN6thrust23THRUST_200600_302600_NS6detail15normal_iteratorINSA_7pointerIsNSA_11hip_rocprim3tagENSA_11use_defaultESG_EEEEPS6_NSA_18transform_iteratorI7is_evenIsENSC_INSA_10device_ptrIsEEEESG_SG_EENS0_5tupleIJPsSJ_EEENSR_IJSJ_SJ_EEES6_PlJS6_EEE10hipError_tPvRmT3_T4_T5_T6_T7_T9_mT8_P12ihipStream_tbDpT10_ENKUlT_T0_E_clISt17integral_constantIbLb0EES1E_IbLb1EEEEDaS1A_S1B_EUlS1A_E_NS1_11comp_targetILNS1_3genE9ELNS1_11target_archE1100ELNS1_3gpuE3ELNS1_3repE0EEENS1_30default_config_static_selectorELNS0_4arch9wavefront6targetE1EEEvT1_
	.p2align	8
	.type	_ZN7rocprim17ROCPRIM_400000_NS6detail17trampoline_kernelINS0_14default_configENS1_25partition_config_selectorILNS1_17partition_subalgoE2EsNS0_10empty_typeEbEEZZNS1_14partition_implILS5_2ELb0ES3_jN6thrust23THRUST_200600_302600_NS6detail15normal_iteratorINSA_7pointerIsNSA_11hip_rocprim3tagENSA_11use_defaultESG_EEEEPS6_NSA_18transform_iteratorI7is_evenIsENSC_INSA_10device_ptrIsEEEESG_SG_EENS0_5tupleIJPsSJ_EEENSR_IJSJ_SJ_EEES6_PlJS6_EEE10hipError_tPvRmT3_T4_T5_T6_T7_T9_mT8_P12ihipStream_tbDpT10_ENKUlT_T0_E_clISt17integral_constantIbLb0EES1E_IbLb1EEEEDaS1A_S1B_EUlS1A_E_NS1_11comp_targetILNS1_3genE9ELNS1_11target_archE1100ELNS1_3gpuE3ELNS1_3repE0EEENS1_30default_config_static_selectorELNS0_4arch9wavefront6targetE1EEEvT1_,@function
_ZN7rocprim17ROCPRIM_400000_NS6detail17trampoline_kernelINS0_14default_configENS1_25partition_config_selectorILNS1_17partition_subalgoE2EsNS0_10empty_typeEbEEZZNS1_14partition_implILS5_2ELb0ES3_jN6thrust23THRUST_200600_302600_NS6detail15normal_iteratorINSA_7pointerIsNSA_11hip_rocprim3tagENSA_11use_defaultESG_EEEEPS6_NSA_18transform_iteratorI7is_evenIsENSC_INSA_10device_ptrIsEEEESG_SG_EENS0_5tupleIJPsSJ_EEENSR_IJSJ_SJ_EEES6_PlJS6_EEE10hipError_tPvRmT3_T4_T5_T6_T7_T9_mT8_P12ihipStream_tbDpT10_ENKUlT_T0_E_clISt17integral_constantIbLb0EES1E_IbLb1EEEEDaS1A_S1B_EUlS1A_E_NS1_11comp_targetILNS1_3genE9ELNS1_11target_archE1100ELNS1_3gpuE3ELNS1_3repE0EEENS1_30default_config_static_selectorELNS0_4arch9wavefront6targetE1EEEvT1_: ; @_ZN7rocprim17ROCPRIM_400000_NS6detail17trampoline_kernelINS0_14default_configENS1_25partition_config_selectorILNS1_17partition_subalgoE2EsNS0_10empty_typeEbEEZZNS1_14partition_implILS5_2ELb0ES3_jN6thrust23THRUST_200600_302600_NS6detail15normal_iteratorINSA_7pointerIsNSA_11hip_rocprim3tagENSA_11use_defaultESG_EEEEPS6_NSA_18transform_iteratorI7is_evenIsENSC_INSA_10device_ptrIsEEEESG_SG_EENS0_5tupleIJPsSJ_EEENSR_IJSJ_SJ_EEES6_PlJS6_EEE10hipError_tPvRmT3_T4_T5_T6_T7_T9_mT8_P12ihipStream_tbDpT10_ENKUlT_T0_E_clISt17integral_constantIbLb0EES1E_IbLb1EEEEDaS1A_S1B_EUlS1A_E_NS1_11comp_targetILNS1_3genE9ELNS1_11target_archE1100ELNS1_3gpuE3ELNS1_3repE0EEENS1_30default_config_static_selectorELNS0_4arch9wavefront6targetE1EEEvT1_
; %bb.0:
	.section	.rodata,"a",@progbits
	.p2align	6, 0x0
	.amdhsa_kernel _ZN7rocprim17ROCPRIM_400000_NS6detail17trampoline_kernelINS0_14default_configENS1_25partition_config_selectorILNS1_17partition_subalgoE2EsNS0_10empty_typeEbEEZZNS1_14partition_implILS5_2ELb0ES3_jN6thrust23THRUST_200600_302600_NS6detail15normal_iteratorINSA_7pointerIsNSA_11hip_rocprim3tagENSA_11use_defaultESG_EEEEPS6_NSA_18transform_iteratorI7is_evenIsENSC_INSA_10device_ptrIsEEEESG_SG_EENS0_5tupleIJPsSJ_EEENSR_IJSJ_SJ_EEES6_PlJS6_EEE10hipError_tPvRmT3_T4_T5_T6_T7_T9_mT8_P12ihipStream_tbDpT10_ENKUlT_T0_E_clISt17integral_constantIbLb0EES1E_IbLb1EEEEDaS1A_S1B_EUlS1A_E_NS1_11comp_targetILNS1_3genE9ELNS1_11target_archE1100ELNS1_3gpuE3ELNS1_3repE0EEENS1_30default_config_static_selectorELNS0_4arch9wavefront6targetE1EEEvT1_
		.amdhsa_group_segment_fixed_size 0
		.amdhsa_private_segment_fixed_size 0
		.amdhsa_kernarg_size 144
		.amdhsa_user_sgpr_count 6
		.amdhsa_user_sgpr_private_segment_buffer 1
		.amdhsa_user_sgpr_dispatch_ptr 0
		.amdhsa_user_sgpr_queue_ptr 0
		.amdhsa_user_sgpr_kernarg_segment_ptr 1
		.amdhsa_user_sgpr_dispatch_id 0
		.amdhsa_user_sgpr_flat_scratch_init 0
		.amdhsa_user_sgpr_kernarg_preload_length 0
		.amdhsa_user_sgpr_kernarg_preload_offset 0
		.amdhsa_user_sgpr_private_segment_size 0
		.amdhsa_uses_dynamic_stack 0
		.amdhsa_system_sgpr_private_segment_wavefront_offset 0
		.amdhsa_system_sgpr_workgroup_id_x 1
		.amdhsa_system_sgpr_workgroup_id_y 0
		.amdhsa_system_sgpr_workgroup_id_z 0
		.amdhsa_system_sgpr_workgroup_info 0
		.amdhsa_system_vgpr_workitem_id 0
		.amdhsa_next_free_vgpr 1
		.amdhsa_next_free_sgpr 0
		.amdhsa_accum_offset 4
		.amdhsa_reserve_vcc 0
		.amdhsa_reserve_flat_scratch 0
		.amdhsa_float_round_mode_32 0
		.amdhsa_float_round_mode_16_64 0
		.amdhsa_float_denorm_mode_32 3
		.amdhsa_float_denorm_mode_16_64 3
		.amdhsa_dx10_clamp 1
		.amdhsa_ieee_mode 1
		.amdhsa_fp16_overflow 0
		.amdhsa_tg_split 0
		.amdhsa_exception_fp_ieee_invalid_op 0
		.amdhsa_exception_fp_denorm_src 0
		.amdhsa_exception_fp_ieee_div_zero 0
		.amdhsa_exception_fp_ieee_overflow 0
		.amdhsa_exception_fp_ieee_underflow 0
		.amdhsa_exception_fp_ieee_inexact 0
		.amdhsa_exception_int_div_zero 0
	.end_amdhsa_kernel
	.section	.text._ZN7rocprim17ROCPRIM_400000_NS6detail17trampoline_kernelINS0_14default_configENS1_25partition_config_selectorILNS1_17partition_subalgoE2EsNS0_10empty_typeEbEEZZNS1_14partition_implILS5_2ELb0ES3_jN6thrust23THRUST_200600_302600_NS6detail15normal_iteratorINSA_7pointerIsNSA_11hip_rocprim3tagENSA_11use_defaultESG_EEEEPS6_NSA_18transform_iteratorI7is_evenIsENSC_INSA_10device_ptrIsEEEESG_SG_EENS0_5tupleIJPsSJ_EEENSR_IJSJ_SJ_EEES6_PlJS6_EEE10hipError_tPvRmT3_T4_T5_T6_T7_T9_mT8_P12ihipStream_tbDpT10_ENKUlT_T0_E_clISt17integral_constantIbLb0EES1E_IbLb1EEEEDaS1A_S1B_EUlS1A_E_NS1_11comp_targetILNS1_3genE9ELNS1_11target_archE1100ELNS1_3gpuE3ELNS1_3repE0EEENS1_30default_config_static_selectorELNS0_4arch9wavefront6targetE1EEEvT1_,"axG",@progbits,_ZN7rocprim17ROCPRIM_400000_NS6detail17trampoline_kernelINS0_14default_configENS1_25partition_config_selectorILNS1_17partition_subalgoE2EsNS0_10empty_typeEbEEZZNS1_14partition_implILS5_2ELb0ES3_jN6thrust23THRUST_200600_302600_NS6detail15normal_iteratorINSA_7pointerIsNSA_11hip_rocprim3tagENSA_11use_defaultESG_EEEEPS6_NSA_18transform_iteratorI7is_evenIsENSC_INSA_10device_ptrIsEEEESG_SG_EENS0_5tupleIJPsSJ_EEENSR_IJSJ_SJ_EEES6_PlJS6_EEE10hipError_tPvRmT3_T4_T5_T6_T7_T9_mT8_P12ihipStream_tbDpT10_ENKUlT_T0_E_clISt17integral_constantIbLb0EES1E_IbLb1EEEEDaS1A_S1B_EUlS1A_E_NS1_11comp_targetILNS1_3genE9ELNS1_11target_archE1100ELNS1_3gpuE3ELNS1_3repE0EEENS1_30default_config_static_selectorELNS0_4arch9wavefront6targetE1EEEvT1_,comdat
.Lfunc_end286:
	.size	_ZN7rocprim17ROCPRIM_400000_NS6detail17trampoline_kernelINS0_14default_configENS1_25partition_config_selectorILNS1_17partition_subalgoE2EsNS0_10empty_typeEbEEZZNS1_14partition_implILS5_2ELb0ES3_jN6thrust23THRUST_200600_302600_NS6detail15normal_iteratorINSA_7pointerIsNSA_11hip_rocprim3tagENSA_11use_defaultESG_EEEEPS6_NSA_18transform_iteratorI7is_evenIsENSC_INSA_10device_ptrIsEEEESG_SG_EENS0_5tupleIJPsSJ_EEENSR_IJSJ_SJ_EEES6_PlJS6_EEE10hipError_tPvRmT3_T4_T5_T6_T7_T9_mT8_P12ihipStream_tbDpT10_ENKUlT_T0_E_clISt17integral_constantIbLb0EES1E_IbLb1EEEEDaS1A_S1B_EUlS1A_E_NS1_11comp_targetILNS1_3genE9ELNS1_11target_archE1100ELNS1_3gpuE3ELNS1_3repE0EEENS1_30default_config_static_selectorELNS0_4arch9wavefront6targetE1EEEvT1_, .Lfunc_end286-_ZN7rocprim17ROCPRIM_400000_NS6detail17trampoline_kernelINS0_14default_configENS1_25partition_config_selectorILNS1_17partition_subalgoE2EsNS0_10empty_typeEbEEZZNS1_14partition_implILS5_2ELb0ES3_jN6thrust23THRUST_200600_302600_NS6detail15normal_iteratorINSA_7pointerIsNSA_11hip_rocprim3tagENSA_11use_defaultESG_EEEEPS6_NSA_18transform_iteratorI7is_evenIsENSC_INSA_10device_ptrIsEEEESG_SG_EENS0_5tupleIJPsSJ_EEENSR_IJSJ_SJ_EEES6_PlJS6_EEE10hipError_tPvRmT3_T4_T5_T6_T7_T9_mT8_P12ihipStream_tbDpT10_ENKUlT_T0_E_clISt17integral_constantIbLb0EES1E_IbLb1EEEEDaS1A_S1B_EUlS1A_E_NS1_11comp_targetILNS1_3genE9ELNS1_11target_archE1100ELNS1_3gpuE3ELNS1_3repE0EEENS1_30default_config_static_selectorELNS0_4arch9wavefront6targetE1EEEvT1_
                                        ; -- End function
	.section	.AMDGPU.csdata,"",@progbits
; Kernel info:
; codeLenInByte = 0
; NumSgprs: 4
; NumVgprs: 0
; NumAgprs: 0
; TotalNumVgprs: 0
; ScratchSize: 0
; MemoryBound: 0
; FloatMode: 240
; IeeeMode: 1
; LDSByteSize: 0 bytes/workgroup (compile time only)
; SGPRBlocks: 0
; VGPRBlocks: 0
; NumSGPRsForWavesPerEU: 4
; NumVGPRsForWavesPerEU: 1
; AccumOffset: 4
; Occupancy: 8
; WaveLimiterHint : 0
; COMPUTE_PGM_RSRC2:SCRATCH_EN: 0
; COMPUTE_PGM_RSRC2:USER_SGPR: 6
; COMPUTE_PGM_RSRC2:TRAP_HANDLER: 0
; COMPUTE_PGM_RSRC2:TGID_X_EN: 1
; COMPUTE_PGM_RSRC2:TGID_Y_EN: 0
; COMPUTE_PGM_RSRC2:TGID_Z_EN: 0
; COMPUTE_PGM_RSRC2:TIDIG_COMP_CNT: 0
; COMPUTE_PGM_RSRC3_GFX90A:ACCUM_OFFSET: 0
; COMPUTE_PGM_RSRC3_GFX90A:TG_SPLIT: 0
	.section	.text._ZN7rocprim17ROCPRIM_400000_NS6detail17trampoline_kernelINS0_14default_configENS1_25partition_config_selectorILNS1_17partition_subalgoE2EsNS0_10empty_typeEbEEZZNS1_14partition_implILS5_2ELb0ES3_jN6thrust23THRUST_200600_302600_NS6detail15normal_iteratorINSA_7pointerIsNSA_11hip_rocprim3tagENSA_11use_defaultESG_EEEEPS6_NSA_18transform_iteratorI7is_evenIsENSC_INSA_10device_ptrIsEEEESG_SG_EENS0_5tupleIJPsSJ_EEENSR_IJSJ_SJ_EEES6_PlJS6_EEE10hipError_tPvRmT3_T4_T5_T6_T7_T9_mT8_P12ihipStream_tbDpT10_ENKUlT_T0_E_clISt17integral_constantIbLb0EES1E_IbLb1EEEEDaS1A_S1B_EUlS1A_E_NS1_11comp_targetILNS1_3genE8ELNS1_11target_archE1030ELNS1_3gpuE2ELNS1_3repE0EEENS1_30default_config_static_selectorELNS0_4arch9wavefront6targetE1EEEvT1_,"axG",@progbits,_ZN7rocprim17ROCPRIM_400000_NS6detail17trampoline_kernelINS0_14default_configENS1_25partition_config_selectorILNS1_17partition_subalgoE2EsNS0_10empty_typeEbEEZZNS1_14partition_implILS5_2ELb0ES3_jN6thrust23THRUST_200600_302600_NS6detail15normal_iteratorINSA_7pointerIsNSA_11hip_rocprim3tagENSA_11use_defaultESG_EEEEPS6_NSA_18transform_iteratorI7is_evenIsENSC_INSA_10device_ptrIsEEEESG_SG_EENS0_5tupleIJPsSJ_EEENSR_IJSJ_SJ_EEES6_PlJS6_EEE10hipError_tPvRmT3_T4_T5_T6_T7_T9_mT8_P12ihipStream_tbDpT10_ENKUlT_T0_E_clISt17integral_constantIbLb0EES1E_IbLb1EEEEDaS1A_S1B_EUlS1A_E_NS1_11comp_targetILNS1_3genE8ELNS1_11target_archE1030ELNS1_3gpuE2ELNS1_3repE0EEENS1_30default_config_static_selectorELNS0_4arch9wavefront6targetE1EEEvT1_,comdat
	.protected	_ZN7rocprim17ROCPRIM_400000_NS6detail17trampoline_kernelINS0_14default_configENS1_25partition_config_selectorILNS1_17partition_subalgoE2EsNS0_10empty_typeEbEEZZNS1_14partition_implILS5_2ELb0ES3_jN6thrust23THRUST_200600_302600_NS6detail15normal_iteratorINSA_7pointerIsNSA_11hip_rocprim3tagENSA_11use_defaultESG_EEEEPS6_NSA_18transform_iteratorI7is_evenIsENSC_INSA_10device_ptrIsEEEESG_SG_EENS0_5tupleIJPsSJ_EEENSR_IJSJ_SJ_EEES6_PlJS6_EEE10hipError_tPvRmT3_T4_T5_T6_T7_T9_mT8_P12ihipStream_tbDpT10_ENKUlT_T0_E_clISt17integral_constantIbLb0EES1E_IbLb1EEEEDaS1A_S1B_EUlS1A_E_NS1_11comp_targetILNS1_3genE8ELNS1_11target_archE1030ELNS1_3gpuE2ELNS1_3repE0EEENS1_30default_config_static_selectorELNS0_4arch9wavefront6targetE1EEEvT1_ ; -- Begin function _ZN7rocprim17ROCPRIM_400000_NS6detail17trampoline_kernelINS0_14default_configENS1_25partition_config_selectorILNS1_17partition_subalgoE2EsNS0_10empty_typeEbEEZZNS1_14partition_implILS5_2ELb0ES3_jN6thrust23THRUST_200600_302600_NS6detail15normal_iteratorINSA_7pointerIsNSA_11hip_rocprim3tagENSA_11use_defaultESG_EEEEPS6_NSA_18transform_iteratorI7is_evenIsENSC_INSA_10device_ptrIsEEEESG_SG_EENS0_5tupleIJPsSJ_EEENSR_IJSJ_SJ_EEES6_PlJS6_EEE10hipError_tPvRmT3_T4_T5_T6_T7_T9_mT8_P12ihipStream_tbDpT10_ENKUlT_T0_E_clISt17integral_constantIbLb0EES1E_IbLb1EEEEDaS1A_S1B_EUlS1A_E_NS1_11comp_targetILNS1_3genE8ELNS1_11target_archE1030ELNS1_3gpuE2ELNS1_3repE0EEENS1_30default_config_static_selectorELNS0_4arch9wavefront6targetE1EEEvT1_
	.globl	_ZN7rocprim17ROCPRIM_400000_NS6detail17trampoline_kernelINS0_14default_configENS1_25partition_config_selectorILNS1_17partition_subalgoE2EsNS0_10empty_typeEbEEZZNS1_14partition_implILS5_2ELb0ES3_jN6thrust23THRUST_200600_302600_NS6detail15normal_iteratorINSA_7pointerIsNSA_11hip_rocprim3tagENSA_11use_defaultESG_EEEEPS6_NSA_18transform_iteratorI7is_evenIsENSC_INSA_10device_ptrIsEEEESG_SG_EENS0_5tupleIJPsSJ_EEENSR_IJSJ_SJ_EEES6_PlJS6_EEE10hipError_tPvRmT3_T4_T5_T6_T7_T9_mT8_P12ihipStream_tbDpT10_ENKUlT_T0_E_clISt17integral_constantIbLb0EES1E_IbLb1EEEEDaS1A_S1B_EUlS1A_E_NS1_11comp_targetILNS1_3genE8ELNS1_11target_archE1030ELNS1_3gpuE2ELNS1_3repE0EEENS1_30default_config_static_selectorELNS0_4arch9wavefront6targetE1EEEvT1_
	.p2align	8
	.type	_ZN7rocprim17ROCPRIM_400000_NS6detail17trampoline_kernelINS0_14default_configENS1_25partition_config_selectorILNS1_17partition_subalgoE2EsNS0_10empty_typeEbEEZZNS1_14partition_implILS5_2ELb0ES3_jN6thrust23THRUST_200600_302600_NS6detail15normal_iteratorINSA_7pointerIsNSA_11hip_rocprim3tagENSA_11use_defaultESG_EEEEPS6_NSA_18transform_iteratorI7is_evenIsENSC_INSA_10device_ptrIsEEEESG_SG_EENS0_5tupleIJPsSJ_EEENSR_IJSJ_SJ_EEES6_PlJS6_EEE10hipError_tPvRmT3_T4_T5_T6_T7_T9_mT8_P12ihipStream_tbDpT10_ENKUlT_T0_E_clISt17integral_constantIbLb0EES1E_IbLb1EEEEDaS1A_S1B_EUlS1A_E_NS1_11comp_targetILNS1_3genE8ELNS1_11target_archE1030ELNS1_3gpuE2ELNS1_3repE0EEENS1_30default_config_static_selectorELNS0_4arch9wavefront6targetE1EEEvT1_,@function
_ZN7rocprim17ROCPRIM_400000_NS6detail17trampoline_kernelINS0_14default_configENS1_25partition_config_selectorILNS1_17partition_subalgoE2EsNS0_10empty_typeEbEEZZNS1_14partition_implILS5_2ELb0ES3_jN6thrust23THRUST_200600_302600_NS6detail15normal_iteratorINSA_7pointerIsNSA_11hip_rocprim3tagENSA_11use_defaultESG_EEEEPS6_NSA_18transform_iteratorI7is_evenIsENSC_INSA_10device_ptrIsEEEESG_SG_EENS0_5tupleIJPsSJ_EEENSR_IJSJ_SJ_EEES6_PlJS6_EEE10hipError_tPvRmT3_T4_T5_T6_T7_T9_mT8_P12ihipStream_tbDpT10_ENKUlT_T0_E_clISt17integral_constantIbLb0EES1E_IbLb1EEEEDaS1A_S1B_EUlS1A_E_NS1_11comp_targetILNS1_3genE8ELNS1_11target_archE1030ELNS1_3gpuE2ELNS1_3repE0EEENS1_30default_config_static_selectorELNS0_4arch9wavefront6targetE1EEEvT1_: ; @_ZN7rocprim17ROCPRIM_400000_NS6detail17trampoline_kernelINS0_14default_configENS1_25partition_config_selectorILNS1_17partition_subalgoE2EsNS0_10empty_typeEbEEZZNS1_14partition_implILS5_2ELb0ES3_jN6thrust23THRUST_200600_302600_NS6detail15normal_iteratorINSA_7pointerIsNSA_11hip_rocprim3tagENSA_11use_defaultESG_EEEEPS6_NSA_18transform_iteratorI7is_evenIsENSC_INSA_10device_ptrIsEEEESG_SG_EENS0_5tupleIJPsSJ_EEENSR_IJSJ_SJ_EEES6_PlJS6_EEE10hipError_tPvRmT3_T4_T5_T6_T7_T9_mT8_P12ihipStream_tbDpT10_ENKUlT_T0_E_clISt17integral_constantIbLb0EES1E_IbLb1EEEEDaS1A_S1B_EUlS1A_E_NS1_11comp_targetILNS1_3genE8ELNS1_11target_archE1030ELNS1_3gpuE2ELNS1_3repE0EEENS1_30default_config_static_selectorELNS0_4arch9wavefront6targetE1EEEvT1_
; %bb.0:
	.section	.rodata,"a",@progbits
	.p2align	6, 0x0
	.amdhsa_kernel _ZN7rocprim17ROCPRIM_400000_NS6detail17trampoline_kernelINS0_14default_configENS1_25partition_config_selectorILNS1_17partition_subalgoE2EsNS0_10empty_typeEbEEZZNS1_14partition_implILS5_2ELb0ES3_jN6thrust23THRUST_200600_302600_NS6detail15normal_iteratorINSA_7pointerIsNSA_11hip_rocprim3tagENSA_11use_defaultESG_EEEEPS6_NSA_18transform_iteratorI7is_evenIsENSC_INSA_10device_ptrIsEEEESG_SG_EENS0_5tupleIJPsSJ_EEENSR_IJSJ_SJ_EEES6_PlJS6_EEE10hipError_tPvRmT3_T4_T5_T6_T7_T9_mT8_P12ihipStream_tbDpT10_ENKUlT_T0_E_clISt17integral_constantIbLb0EES1E_IbLb1EEEEDaS1A_S1B_EUlS1A_E_NS1_11comp_targetILNS1_3genE8ELNS1_11target_archE1030ELNS1_3gpuE2ELNS1_3repE0EEENS1_30default_config_static_selectorELNS0_4arch9wavefront6targetE1EEEvT1_
		.amdhsa_group_segment_fixed_size 0
		.amdhsa_private_segment_fixed_size 0
		.amdhsa_kernarg_size 144
		.amdhsa_user_sgpr_count 6
		.amdhsa_user_sgpr_private_segment_buffer 1
		.amdhsa_user_sgpr_dispatch_ptr 0
		.amdhsa_user_sgpr_queue_ptr 0
		.amdhsa_user_sgpr_kernarg_segment_ptr 1
		.amdhsa_user_sgpr_dispatch_id 0
		.amdhsa_user_sgpr_flat_scratch_init 0
		.amdhsa_user_sgpr_kernarg_preload_length 0
		.amdhsa_user_sgpr_kernarg_preload_offset 0
		.amdhsa_user_sgpr_private_segment_size 0
		.amdhsa_uses_dynamic_stack 0
		.amdhsa_system_sgpr_private_segment_wavefront_offset 0
		.amdhsa_system_sgpr_workgroup_id_x 1
		.amdhsa_system_sgpr_workgroup_id_y 0
		.amdhsa_system_sgpr_workgroup_id_z 0
		.amdhsa_system_sgpr_workgroup_info 0
		.amdhsa_system_vgpr_workitem_id 0
		.amdhsa_next_free_vgpr 1
		.amdhsa_next_free_sgpr 0
		.amdhsa_accum_offset 4
		.amdhsa_reserve_vcc 0
		.amdhsa_reserve_flat_scratch 0
		.amdhsa_float_round_mode_32 0
		.amdhsa_float_round_mode_16_64 0
		.amdhsa_float_denorm_mode_32 3
		.amdhsa_float_denorm_mode_16_64 3
		.amdhsa_dx10_clamp 1
		.amdhsa_ieee_mode 1
		.amdhsa_fp16_overflow 0
		.amdhsa_tg_split 0
		.amdhsa_exception_fp_ieee_invalid_op 0
		.amdhsa_exception_fp_denorm_src 0
		.amdhsa_exception_fp_ieee_div_zero 0
		.amdhsa_exception_fp_ieee_overflow 0
		.amdhsa_exception_fp_ieee_underflow 0
		.amdhsa_exception_fp_ieee_inexact 0
		.amdhsa_exception_int_div_zero 0
	.end_amdhsa_kernel
	.section	.text._ZN7rocprim17ROCPRIM_400000_NS6detail17trampoline_kernelINS0_14default_configENS1_25partition_config_selectorILNS1_17partition_subalgoE2EsNS0_10empty_typeEbEEZZNS1_14partition_implILS5_2ELb0ES3_jN6thrust23THRUST_200600_302600_NS6detail15normal_iteratorINSA_7pointerIsNSA_11hip_rocprim3tagENSA_11use_defaultESG_EEEEPS6_NSA_18transform_iteratorI7is_evenIsENSC_INSA_10device_ptrIsEEEESG_SG_EENS0_5tupleIJPsSJ_EEENSR_IJSJ_SJ_EEES6_PlJS6_EEE10hipError_tPvRmT3_T4_T5_T6_T7_T9_mT8_P12ihipStream_tbDpT10_ENKUlT_T0_E_clISt17integral_constantIbLb0EES1E_IbLb1EEEEDaS1A_S1B_EUlS1A_E_NS1_11comp_targetILNS1_3genE8ELNS1_11target_archE1030ELNS1_3gpuE2ELNS1_3repE0EEENS1_30default_config_static_selectorELNS0_4arch9wavefront6targetE1EEEvT1_,"axG",@progbits,_ZN7rocprim17ROCPRIM_400000_NS6detail17trampoline_kernelINS0_14default_configENS1_25partition_config_selectorILNS1_17partition_subalgoE2EsNS0_10empty_typeEbEEZZNS1_14partition_implILS5_2ELb0ES3_jN6thrust23THRUST_200600_302600_NS6detail15normal_iteratorINSA_7pointerIsNSA_11hip_rocprim3tagENSA_11use_defaultESG_EEEEPS6_NSA_18transform_iteratorI7is_evenIsENSC_INSA_10device_ptrIsEEEESG_SG_EENS0_5tupleIJPsSJ_EEENSR_IJSJ_SJ_EEES6_PlJS6_EEE10hipError_tPvRmT3_T4_T5_T6_T7_T9_mT8_P12ihipStream_tbDpT10_ENKUlT_T0_E_clISt17integral_constantIbLb0EES1E_IbLb1EEEEDaS1A_S1B_EUlS1A_E_NS1_11comp_targetILNS1_3genE8ELNS1_11target_archE1030ELNS1_3gpuE2ELNS1_3repE0EEENS1_30default_config_static_selectorELNS0_4arch9wavefront6targetE1EEEvT1_,comdat
.Lfunc_end287:
	.size	_ZN7rocprim17ROCPRIM_400000_NS6detail17trampoline_kernelINS0_14default_configENS1_25partition_config_selectorILNS1_17partition_subalgoE2EsNS0_10empty_typeEbEEZZNS1_14partition_implILS5_2ELb0ES3_jN6thrust23THRUST_200600_302600_NS6detail15normal_iteratorINSA_7pointerIsNSA_11hip_rocprim3tagENSA_11use_defaultESG_EEEEPS6_NSA_18transform_iteratorI7is_evenIsENSC_INSA_10device_ptrIsEEEESG_SG_EENS0_5tupleIJPsSJ_EEENSR_IJSJ_SJ_EEES6_PlJS6_EEE10hipError_tPvRmT3_T4_T5_T6_T7_T9_mT8_P12ihipStream_tbDpT10_ENKUlT_T0_E_clISt17integral_constantIbLb0EES1E_IbLb1EEEEDaS1A_S1B_EUlS1A_E_NS1_11comp_targetILNS1_3genE8ELNS1_11target_archE1030ELNS1_3gpuE2ELNS1_3repE0EEENS1_30default_config_static_selectorELNS0_4arch9wavefront6targetE1EEEvT1_, .Lfunc_end287-_ZN7rocprim17ROCPRIM_400000_NS6detail17trampoline_kernelINS0_14default_configENS1_25partition_config_selectorILNS1_17partition_subalgoE2EsNS0_10empty_typeEbEEZZNS1_14partition_implILS5_2ELb0ES3_jN6thrust23THRUST_200600_302600_NS6detail15normal_iteratorINSA_7pointerIsNSA_11hip_rocprim3tagENSA_11use_defaultESG_EEEEPS6_NSA_18transform_iteratorI7is_evenIsENSC_INSA_10device_ptrIsEEEESG_SG_EENS0_5tupleIJPsSJ_EEENSR_IJSJ_SJ_EEES6_PlJS6_EEE10hipError_tPvRmT3_T4_T5_T6_T7_T9_mT8_P12ihipStream_tbDpT10_ENKUlT_T0_E_clISt17integral_constantIbLb0EES1E_IbLb1EEEEDaS1A_S1B_EUlS1A_E_NS1_11comp_targetILNS1_3genE8ELNS1_11target_archE1030ELNS1_3gpuE2ELNS1_3repE0EEENS1_30default_config_static_selectorELNS0_4arch9wavefront6targetE1EEEvT1_
                                        ; -- End function
	.section	.AMDGPU.csdata,"",@progbits
; Kernel info:
; codeLenInByte = 0
; NumSgprs: 4
; NumVgprs: 0
; NumAgprs: 0
; TotalNumVgprs: 0
; ScratchSize: 0
; MemoryBound: 0
; FloatMode: 240
; IeeeMode: 1
; LDSByteSize: 0 bytes/workgroup (compile time only)
; SGPRBlocks: 0
; VGPRBlocks: 0
; NumSGPRsForWavesPerEU: 4
; NumVGPRsForWavesPerEU: 1
; AccumOffset: 4
; Occupancy: 8
; WaveLimiterHint : 0
; COMPUTE_PGM_RSRC2:SCRATCH_EN: 0
; COMPUTE_PGM_RSRC2:USER_SGPR: 6
; COMPUTE_PGM_RSRC2:TRAP_HANDLER: 0
; COMPUTE_PGM_RSRC2:TGID_X_EN: 1
; COMPUTE_PGM_RSRC2:TGID_Y_EN: 0
; COMPUTE_PGM_RSRC2:TGID_Z_EN: 0
; COMPUTE_PGM_RSRC2:TIDIG_COMP_CNT: 0
; COMPUTE_PGM_RSRC3_GFX90A:ACCUM_OFFSET: 0
; COMPUTE_PGM_RSRC3_GFX90A:TG_SPLIT: 0
	.section	.text._ZN6thrust23THRUST_200600_302600_NS11hip_rocprim14__parallel_for6kernelILj256ENS1_13__swap_ranges6swap_fINS0_6detail15normal_iteratorINS0_10device_ptrIsEEEENS0_16reverse_iteratorISA_EEEElLj1EEEvT0_T1_SF_,"axG",@progbits,_ZN6thrust23THRUST_200600_302600_NS11hip_rocprim14__parallel_for6kernelILj256ENS1_13__swap_ranges6swap_fINS0_6detail15normal_iteratorINS0_10device_ptrIsEEEENS0_16reverse_iteratorISA_EEEElLj1EEEvT0_T1_SF_,comdat
	.protected	_ZN6thrust23THRUST_200600_302600_NS11hip_rocprim14__parallel_for6kernelILj256ENS1_13__swap_ranges6swap_fINS0_6detail15normal_iteratorINS0_10device_ptrIsEEEENS0_16reverse_iteratorISA_EEEElLj1EEEvT0_T1_SF_ ; -- Begin function _ZN6thrust23THRUST_200600_302600_NS11hip_rocprim14__parallel_for6kernelILj256ENS1_13__swap_ranges6swap_fINS0_6detail15normal_iteratorINS0_10device_ptrIsEEEENS0_16reverse_iteratorISA_EEEElLj1EEEvT0_T1_SF_
	.globl	_ZN6thrust23THRUST_200600_302600_NS11hip_rocprim14__parallel_for6kernelILj256ENS1_13__swap_ranges6swap_fINS0_6detail15normal_iteratorINS0_10device_ptrIsEEEENS0_16reverse_iteratorISA_EEEElLj1EEEvT0_T1_SF_
	.p2align	8
	.type	_ZN6thrust23THRUST_200600_302600_NS11hip_rocprim14__parallel_for6kernelILj256ENS1_13__swap_ranges6swap_fINS0_6detail15normal_iteratorINS0_10device_ptrIsEEEENS0_16reverse_iteratorISA_EEEElLj1EEEvT0_T1_SF_,@function
_ZN6thrust23THRUST_200600_302600_NS11hip_rocprim14__parallel_for6kernelILj256ENS1_13__swap_ranges6swap_fINS0_6detail15normal_iteratorINS0_10device_ptrIsEEEENS0_16reverse_iteratorISA_EEEElLj1EEEvT0_T1_SF_: ; @_ZN6thrust23THRUST_200600_302600_NS11hip_rocprim14__parallel_for6kernelILj256ENS1_13__swap_ranges6swap_fINS0_6detail15normal_iteratorINS0_10device_ptrIsEEEENS0_16reverse_iteratorISA_EEEElLj1EEEvT0_T1_SF_
; %bb.0:
	s_load_dwordx8 s[8:15], s[4:5], 0x0
	s_lshl_b32 s0, s6, 8
	v_mov_b32_e32 v2, 0x100
	v_mov_b32_e32 v3, 0
	s_waitcnt lgkmcnt(0)
	s_add_u32 s2, s0, s14
	s_addc_u32 s3, 0, s15
	s_sub_u32 s0, s12, s2
	s_subb_u32 s1, s13, s3
	v_cmp_lt_i64_e32 vcc, s[0:1], v[2:3]
	s_and_b64 s[4:5], vcc, exec
	s_cselect_b32 s4, s0, 0x100
	s_cmpk_lg_i32 s4, 0x100
	s_mov_b64 s[0:1], -1
	s_cbranch_scc1 .LBB288_3
; %bb.1:
	s_andn2_b64 vcc, exec, s[0:1]
	s_cbranch_vccz .LBB288_6
.LBB288_2:
	s_endpgm
.LBB288_3:
	v_cmp_gt_u32_e32 vcc, s4, v0
	s_and_saveexec_b64 s[0:1], vcc
	s_cbranch_execz .LBB288_5
; %bb.4:
	v_mov_b32_e32 v1, s3
	v_add_co_u32_e32 v2, vcc, s2, v0
	v_addc_co_u32_e32 v3, vcc, 0, v1, vcc
	v_lshlrev_b64 v[2:3], 1, v[2:3]
	v_mov_b32_e32 v1, s11
	v_sub_co_u32_e32 v4, vcc, s10, v2
	v_subb_co_u32_e32 v1, vcc, v1, v3, vcc
	v_mov_b32_e32 v5, s9
	v_add_co_u32_e32 v2, vcc, s8, v2
	v_addc_co_u32_e32 v3, vcc, v5, v3, vcc
	v_add_co_u32_e32 v4, vcc, -2, v4
	v_addc_co_u32_e32 v5, vcc, -1, v1, vcc
	flat_load_ushort v1, v[4:5]
	flat_load_ushort v6, v[2:3]
	s_waitcnt vmcnt(0) lgkmcnt(0)
	flat_store_short v[2:3], v1
	flat_store_short v[4:5], v6
.LBB288_5:
	s_or_b64 exec, exec, s[0:1]
	s_cbranch_execnz .LBB288_2
.LBB288_6:
	v_mov_b32_e32 v1, s3
	v_add_co_u32_e32 v0, vcc, s2, v0
	v_addc_co_u32_e32 v1, vcc, 0, v1, vcc
	v_lshlrev_b64 v[0:1], 1, v[0:1]
	v_mov_b32_e32 v3, s9
	v_add_co_u32_e32 v2, vcc, s8, v0
	v_addc_co_u32_e32 v3, vcc, v3, v1, vcc
	v_mov_b32_e32 v4, s11
	v_sub_co_u32_e32 v0, vcc, s10, v0
	v_subb_co_u32_e32 v1, vcc, v4, v1, vcc
	v_add_co_u32_e32 v0, vcc, -2, v0
	v_addc_co_u32_e32 v1, vcc, -1, v1, vcc
	flat_load_ushort v4, v[0:1]
	flat_load_ushort v5, v[2:3]
	s_waitcnt vmcnt(0) lgkmcnt(0)
	flat_store_short v[2:3], v4
	flat_store_short v[0:1], v5
	s_endpgm
	.section	.rodata,"a",@progbits
	.p2align	6, 0x0
	.amdhsa_kernel _ZN6thrust23THRUST_200600_302600_NS11hip_rocprim14__parallel_for6kernelILj256ENS1_13__swap_ranges6swap_fINS0_6detail15normal_iteratorINS0_10device_ptrIsEEEENS0_16reverse_iteratorISA_EEEElLj1EEEvT0_T1_SF_
		.amdhsa_group_segment_fixed_size 0
		.amdhsa_private_segment_fixed_size 0
		.amdhsa_kernarg_size 32
		.amdhsa_user_sgpr_count 6
		.amdhsa_user_sgpr_private_segment_buffer 1
		.amdhsa_user_sgpr_dispatch_ptr 0
		.amdhsa_user_sgpr_queue_ptr 0
		.amdhsa_user_sgpr_kernarg_segment_ptr 1
		.amdhsa_user_sgpr_dispatch_id 0
		.amdhsa_user_sgpr_flat_scratch_init 0
		.amdhsa_user_sgpr_kernarg_preload_length 0
		.amdhsa_user_sgpr_kernarg_preload_offset 0
		.amdhsa_user_sgpr_private_segment_size 0
		.amdhsa_uses_dynamic_stack 0
		.amdhsa_system_sgpr_private_segment_wavefront_offset 0
		.amdhsa_system_sgpr_workgroup_id_x 1
		.amdhsa_system_sgpr_workgroup_id_y 0
		.amdhsa_system_sgpr_workgroup_id_z 0
		.amdhsa_system_sgpr_workgroup_info 0
		.amdhsa_system_vgpr_workitem_id 0
		.amdhsa_next_free_vgpr 7
		.amdhsa_next_free_sgpr 16
		.amdhsa_accum_offset 8
		.amdhsa_reserve_vcc 1
		.amdhsa_reserve_flat_scratch 0
		.amdhsa_float_round_mode_32 0
		.amdhsa_float_round_mode_16_64 0
		.amdhsa_float_denorm_mode_32 3
		.amdhsa_float_denorm_mode_16_64 3
		.amdhsa_dx10_clamp 1
		.amdhsa_ieee_mode 1
		.amdhsa_fp16_overflow 0
		.amdhsa_tg_split 0
		.amdhsa_exception_fp_ieee_invalid_op 0
		.amdhsa_exception_fp_denorm_src 0
		.amdhsa_exception_fp_ieee_div_zero 0
		.amdhsa_exception_fp_ieee_overflow 0
		.amdhsa_exception_fp_ieee_underflow 0
		.amdhsa_exception_fp_ieee_inexact 0
		.amdhsa_exception_int_div_zero 0
	.end_amdhsa_kernel
	.section	.text._ZN6thrust23THRUST_200600_302600_NS11hip_rocprim14__parallel_for6kernelILj256ENS1_13__swap_ranges6swap_fINS0_6detail15normal_iteratorINS0_10device_ptrIsEEEENS0_16reverse_iteratorISA_EEEElLj1EEEvT0_T1_SF_,"axG",@progbits,_ZN6thrust23THRUST_200600_302600_NS11hip_rocprim14__parallel_for6kernelILj256ENS1_13__swap_ranges6swap_fINS0_6detail15normal_iteratorINS0_10device_ptrIsEEEENS0_16reverse_iteratorISA_EEEElLj1EEEvT0_T1_SF_,comdat
.Lfunc_end288:
	.size	_ZN6thrust23THRUST_200600_302600_NS11hip_rocprim14__parallel_for6kernelILj256ENS1_13__swap_ranges6swap_fINS0_6detail15normal_iteratorINS0_10device_ptrIsEEEENS0_16reverse_iteratorISA_EEEElLj1EEEvT0_T1_SF_, .Lfunc_end288-_ZN6thrust23THRUST_200600_302600_NS11hip_rocprim14__parallel_for6kernelILj256ENS1_13__swap_ranges6swap_fINS0_6detail15normal_iteratorINS0_10device_ptrIsEEEENS0_16reverse_iteratorISA_EEEElLj1EEEvT0_T1_SF_
                                        ; -- End function
	.section	.AMDGPU.csdata,"",@progbits
; Kernel info:
; codeLenInByte = 284
; NumSgprs: 20
; NumVgprs: 7
; NumAgprs: 0
; TotalNumVgprs: 7
; ScratchSize: 0
; MemoryBound: 0
; FloatMode: 240
; IeeeMode: 1
; LDSByteSize: 0 bytes/workgroup (compile time only)
; SGPRBlocks: 2
; VGPRBlocks: 0
; NumSGPRsForWavesPerEU: 20
; NumVGPRsForWavesPerEU: 7
; AccumOffset: 8
; Occupancy: 8
; WaveLimiterHint : 0
; COMPUTE_PGM_RSRC2:SCRATCH_EN: 0
; COMPUTE_PGM_RSRC2:USER_SGPR: 6
; COMPUTE_PGM_RSRC2:TRAP_HANDLER: 0
; COMPUTE_PGM_RSRC2:TGID_X_EN: 1
; COMPUTE_PGM_RSRC2:TGID_Y_EN: 0
; COMPUTE_PGM_RSRC2:TGID_Z_EN: 0
; COMPUTE_PGM_RSRC2:TIDIG_COMP_CNT: 0
; COMPUTE_PGM_RSRC3_GFX90A:ACCUM_OFFSET: 1
; COMPUTE_PGM_RSRC3_GFX90A:TG_SPLIT: 0
	.section	.text._ZN7rocprim17ROCPRIM_400000_NS6detail17trampoline_kernelINS0_14default_configENS1_25partition_config_selectorILNS1_17partition_subalgoE0ExNS0_10empty_typeEbEEZZNS1_14partition_implILS5_0ELb0ES3_jN6thrust23THRUST_200600_302600_NS6detail15normal_iteratorINSA_10device_ptrIxEEEEPS6_SG_NS0_5tupleIJSF_SF_EEENSH_IJSG_SG_EEES6_PlJ7is_evenIxEEEE10hipError_tPvRmT3_T4_T5_T6_T7_T9_mT8_P12ihipStream_tbDpT10_ENKUlT_T0_E_clISt17integral_constantIbLb0EES16_EEDaS11_S12_EUlS11_E_NS1_11comp_targetILNS1_3genE0ELNS1_11target_archE4294967295ELNS1_3gpuE0ELNS1_3repE0EEENS1_30default_config_static_selectorELNS0_4arch9wavefront6targetE1EEEvT1_,"axG",@progbits,_ZN7rocprim17ROCPRIM_400000_NS6detail17trampoline_kernelINS0_14default_configENS1_25partition_config_selectorILNS1_17partition_subalgoE0ExNS0_10empty_typeEbEEZZNS1_14partition_implILS5_0ELb0ES3_jN6thrust23THRUST_200600_302600_NS6detail15normal_iteratorINSA_10device_ptrIxEEEEPS6_SG_NS0_5tupleIJSF_SF_EEENSH_IJSG_SG_EEES6_PlJ7is_evenIxEEEE10hipError_tPvRmT3_T4_T5_T6_T7_T9_mT8_P12ihipStream_tbDpT10_ENKUlT_T0_E_clISt17integral_constantIbLb0EES16_EEDaS11_S12_EUlS11_E_NS1_11comp_targetILNS1_3genE0ELNS1_11target_archE4294967295ELNS1_3gpuE0ELNS1_3repE0EEENS1_30default_config_static_selectorELNS0_4arch9wavefront6targetE1EEEvT1_,comdat
	.protected	_ZN7rocprim17ROCPRIM_400000_NS6detail17trampoline_kernelINS0_14default_configENS1_25partition_config_selectorILNS1_17partition_subalgoE0ExNS0_10empty_typeEbEEZZNS1_14partition_implILS5_0ELb0ES3_jN6thrust23THRUST_200600_302600_NS6detail15normal_iteratorINSA_10device_ptrIxEEEEPS6_SG_NS0_5tupleIJSF_SF_EEENSH_IJSG_SG_EEES6_PlJ7is_evenIxEEEE10hipError_tPvRmT3_T4_T5_T6_T7_T9_mT8_P12ihipStream_tbDpT10_ENKUlT_T0_E_clISt17integral_constantIbLb0EES16_EEDaS11_S12_EUlS11_E_NS1_11comp_targetILNS1_3genE0ELNS1_11target_archE4294967295ELNS1_3gpuE0ELNS1_3repE0EEENS1_30default_config_static_selectorELNS0_4arch9wavefront6targetE1EEEvT1_ ; -- Begin function _ZN7rocprim17ROCPRIM_400000_NS6detail17trampoline_kernelINS0_14default_configENS1_25partition_config_selectorILNS1_17partition_subalgoE0ExNS0_10empty_typeEbEEZZNS1_14partition_implILS5_0ELb0ES3_jN6thrust23THRUST_200600_302600_NS6detail15normal_iteratorINSA_10device_ptrIxEEEEPS6_SG_NS0_5tupleIJSF_SF_EEENSH_IJSG_SG_EEES6_PlJ7is_evenIxEEEE10hipError_tPvRmT3_T4_T5_T6_T7_T9_mT8_P12ihipStream_tbDpT10_ENKUlT_T0_E_clISt17integral_constantIbLb0EES16_EEDaS11_S12_EUlS11_E_NS1_11comp_targetILNS1_3genE0ELNS1_11target_archE4294967295ELNS1_3gpuE0ELNS1_3repE0EEENS1_30default_config_static_selectorELNS0_4arch9wavefront6targetE1EEEvT1_
	.globl	_ZN7rocprim17ROCPRIM_400000_NS6detail17trampoline_kernelINS0_14default_configENS1_25partition_config_selectorILNS1_17partition_subalgoE0ExNS0_10empty_typeEbEEZZNS1_14partition_implILS5_0ELb0ES3_jN6thrust23THRUST_200600_302600_NS6detail15normal_iteratorINSA_10device_ptrIxEEEEPS6_SG_NS0_5tupleIJSF_SF_EEENSH_IJSG_SG_EEES6_PlJ7is_evenIxEEEE10hipError_tPvRmT3_T4_T5_T6_T7_T9_mT8_P12ihipStream_tbDpT10_ENKUlT_T0_E_clISt17integral_constantIbLb0EES16_EEDaS11_S12_EUlS11_E_NS1_11comp_targetILNS1_3genE0ELNS1_11target_archE4294967295ELNS1_3gpuE0ELNS1_3repE0EEENS1_30default_config_static_selectorELNS0_4arch9wavefront6targetE1EEEvT1_
	.p2align	8
	.type	_ZN7rocprim17ROCPRIM_400000_NS6detail17trampoline_kernelINS0_14default_configENS1_25partition_config_selectorILNS1_17partition_subalgoE0ExNS0_10empty_typeEbEEZZNS1_14partition_implILS5_0ELb0ES3_jN6thrust23THRUST_200600_302600_NS6detail15normal_iteratorINSA_10device_ptrIxEEEEPS6_SG_NS0_5tupleIJSF_SF_EEENSH_IJSG_SG_EEES6_PlJ7is_evenIxEEEE10hipError_tPvRmT3_T4_T5_T6_T7_T9_mT8_P12ihipStream_tbDpT10_ENKUlT_T0_E_clISt17integral_constantIbLb0EES16_EEDaS11_S12_EUlS11_E_NS1_11comp_targetILNS1_3genE0ELNS1_11target_archE4294967295ELNS1_3gpuE0ELNS1_3repE0EEENS1_30default_config_static_selectorELNS0_4arch9wavefront6targetE1EEEvT1_,@function
_ZN7rocprim17ROCPRIM_400000_NS6detail17trampoline_kernelINS0_14default_configENS1_25partition_config_selectorILNS1_17partition_subalgoE0ExNS0_10empty_typeEbEEZZNS1_14partition_implILS5_0ELb0ES3_jN6thrust23THRUST_200600_302600_NS6detail15normal_iteratorINSA_10device_ptrIxEEEEPS6_SG_NS0_5tupleIJSF_SF_EEENSH_IJSG_SG_EEES6_PlJ7is_evenIxEEEE10hipError_tPvRmT3_T4_T5_T6_T7_T9_mT8_P12ihipStream_tbDpT10_ENKUlT_T0_E_clISt17integral_constantIbLb0EES16_EEDaS11_S12_EUlS11_E_NS1_11comp_targetILNS1_3genE0ELNS1_11target_archE4294967295ELNS1_3gpuE0ELNS1_3repE0EEENS1_30default_config_static_selectorELNS0_4arch9wavefront6targetE1EEEvT1_: ; @_ZN7rocprim17ROCPRIM_400000_NS6detail17trampoline_kernelINS0_14default_configENS1_25partition_config_selectorILNS1_17partition_subalgoE0ExNS0_10empty_typeEbEEZZNS1_14partition_implILS5_0ELb0ES3_jN6thrust23THRUST_200600_302600_NS6detail15normal_iteratorINSA_10device_ptrIxEEEEPS6_SG_NS0_5tupleIJSF_SF_EEENSH_IJSG_SG_EEES6_PlJ7is_evenIxEEEE10hipError_tPvRmT3_T4_T5_T6_T7_T9_mT8_P12ihipStream_tbDpT10_ENKUlT_T0_E_clISt17integral_constantIbLb0EES16_EEDaS11_S12_EUlS11_E_NS1_11comp_targetILNS1_3genE0ELNS1_11target_archE4294967295ELNS1_3gpuE0ELNS1_3repE0EEENS1_30default_config_static_selectorELNS0_4arch9wavefront6targetE1EEEvT1_
; %bb.0:
	.section	.rodata,"a",@progbits
	.p2align	6, 0x0
	.amdhsa_kernel _ZN7rocprim17ROCPRIM_400000_NS6detail17trampoline_kernelINS0_14default_configENS1_25partition_config_selectorILNS1_17partition_subalgoE0ExNS0_10empty_typeEbEEZZNS1_14partition_implILS5_0ELb0ES3_jN6thrust23THRUST_200600_302600_NS6detail15normal_iteratorINSA_10device_ptrIxEEEEPS6_SG_NS0_5tupleIJSF_SF_EEENSH_IJSG_SG_EEES6_PlJ7is_evenIxEEEE10hipError_tPvRmT3_T4_T5_T6_T7_T9_mT8_P12ihipStream_tbDpT10_ENKUlT_T0_E_clISt17integral_constantIbLb0EES16_EEDaS11_S12_EUlS11_E_NS1_11comp_targetILNS1_3genE0ELNS1_11target_archE4294967295ELNS1_3gpuE0ELNS1_3repE0EEENS1_30default_config_static_selectorELNS0_4arch9wavefront6targetE1EEEvT1_
		.amdhsa_group_segment_fixed_size 0
		.amdhsa_private_segment_fixed_size 0
		.amdhsa_kernarg_size 120
		.amdhsa_user_sgpr_count 6
		.amdhsa_user_sgpr_private_segment_buffer 1
		.amdhsa_user_sgpr_dispatch_ptr 0
		.amdhsa_user_sgpr_queue_ptr 0
		.amdhsa_user_sgpr_kernarg_segment_ptr 1
		.amdhsa_user_sgpr_dispatch_id 0
		.amdhsa_user_sgpr_flat_scratch_init 0
		.amdhsa_user_sgpr_kernarg_preload_length 0
		.amdhsa_user_sgpr_kernarg_preload_offset 0
		.amdhsa_user_sgpr_private_segment_size 0
		.amdhsa_uses_dynamic_stack 0
		.amdhsa_system_sgpr_private_segment_wavefront_offset 0
		.amdhsa_system_sgpr_workgroup_id_x 1
		.amdhsa_system_sgpr_workgroup_id_y 0
		.amdhsa_system_sgpr_workgroup_id_z 0
		.amdhsa_system_sgpr_workgroup_info 0
		.amdhsa_system_vgpr_workitem_id 0
		.amdhsa_next_free_vgpr 1
		.amdhsa_next_free_sgpr 0
		.amdhsa_accum_offset 4
		.amdhsa_reserve_vcc 0
		.amdhsa_reserve_flat_scratch 0
		.amdhsa_float_round_mode_32 0
		.amdhsa_float_round_mode_16_64 0
		.amdhsa_float_denorm_mode_32 3
		.amdhsa_float_denorm_mode_16_64 3
		.amdhsa_dx10_clamp 1
		.amdhsa_ieee_mode 1
		.amdhsa_fp16_overflow 0
		.amdhsa_tg_split 0
		.amdhsa_exception_fp_ieee_invalid_op 0
		.amdhsa_exception_fp_denorm_src 0
		.amdhsa_exception_fp_ieee_div_zero 0
		.amdhsa_exception_fp_ieee_overflow 0
		.amdhsa_exception_fp_ieee_underflow 0
		.amdhsa_exception_fp_ieee_inexact 0
		.amdhsa_exception_int_div_zero 0
	.end_amdhsa_kernel
	.section	.text._ZN7rocprim17ROCPRIM_400000_NS6detail17trampoline_kernelINS0_14default_configENS1_25partition_config_selectorILNS1_17partition_subalgoE0ExNS0_10empty_typeEbEEZZNS1_14partition_implILS5_0ELb0ES3_jN6thrust23THRUST_200600_302600_NS6detail15normal_iteratorINSA_10device_ptrIxEEEEPS6_SG_NS0_5tupleIJSF_SF_EEENSH_IJSG_SG_EEES6_PlJ7is_evenIxEEEE10hipError_tPvRmT3_T4_T5_T6_T7_T9_mT8_P12ihipStream_tbDpT10_ENKUlT_T0_E_clISt17integral_constantIbLb0EES16_EEDaS11_S12_EUlS11_E_NS1_11comp_targetILNS1_3genE0ELNS1_11target_archE4294967295ELNS1_3gpuE0ELNS1_3repE0EEENS1_30default_config_static_selectorELNS0_4arch9wavefront6targetE1EEEvT1_,"axG",@progbits,_ZN7rocprim17ROCPRIM_400000_NS6detail17trampoline_kernelINS0_14default_configENS1_25partition_config_selectorILNS1_17partition_subalgoE0ExNS0_10empty_typeEbEEZZNS1_14partition_implILS5_0ELb0ES3_jN6thrust23THRUST_200600_302600_NS6detail15normal_iteratorINSA_10device_ptrIxEEEEPS6_SG_NS0_5tupleIJSF_SF_EEENSH_IJSG_SG_EEES6_PlJ7is_evenIxEEEE10hipError_tPvRmT3_T4_T5_T6_T7_T9_mT8_P12ihipStream_tbDpT10_ENKUlT_T0_E_clISt17integral_constantIbLb0EES16_EEDaS11_S12_EUlS11_E_NS1_11comp_targetILNS1_3genE0ELNS1_11target_archE4294967295ELNS1_3gpuE0ELNS1_3repE0EEENS1_30default_config_static_selectorELNS0_4arch9wavefront6targetE1EEEvT1_,comdat
.Lfunc_end289:
	.size	_ZN7rocprim17ROCPRIM_400000_NS6detail17trampoline_kernelINS0_14default_configENS1_25partition_config_selectorILNS1_17partition_subalgoE0ExNS0_10empty_typeEbEEZZNS1_14partition_implILS5_0ELb0ES3_jN6thrust23THRUST_200600_302600_NS6detail15normal_iteratorINSA_10device_ptrIxEEEEPS6_SG_NS0_5tupleIJSF_SF_EEENSH_IJSG_SG_EEES6_PlJ7is_evenIxEEEE10hipError_tPvRmT3_T4_T5_T6_T7_T9_mT8_P12ihipStream_tbDpT10_ENKUlT_T0_E_clISt17integral_constantIbLb0EES16_EEDaS11_S12_EUlS11_E_NS1_11comp_targetILNS1_3genE0ELNS1_11target_archE4294967295ELNS1_3gpuE0ELNS1_3repE0EEENS1_30default_config_static_selectorELNS0_4arch9wavefront6targetE1EEEvT1_, .Lfunc_end289-_ZN7rocprim17ROCPRIM_400000_NS6detail17trampoline_kernelINS0_14default_configENS1_25partition_config_selectorILNS1_17partition_subalgoE0ExNS0_10empty_typeEbEEZZNS1_14partition_implILS5_0ELb0ES3_jN6thrust23THRUST_200600_302600_NS6detail15normal_iteratorINSA_10device_ptrIxEEEEPS6_SG_NS0_5tupleIJSF_SF_EEENSH_IJSG_SG_EEES6_PlJ7is_evenIxEEEE10hipError_tPvRmT3_T4_T5_T6_T7_T9_mT8_P12ihipStream_tbDpT10_ENKUlT_T0_E_clISt17integral_constantIbLb0EES16_EEDaS11_S12_EUlS11_E_NS1_11comp_targetILNS1_3genE0ELNS1_11target_archE4294967295ELNS1_3gpuE0ELNS1_3repE0EEENS1_30default_config_static_selectorELNS0_4arch9wavefront6targetE1EEEvT1_
                                        ; -- End function
	.section	.AMDGPU.csdata,"",@progbits
; Kernel info:
; codeLenInByte = 0
; NumSgprs: 4
; NumVgprs: 0
; NumAgprs: 0
; TotalNumVgprs: 0
; ScratchSize: 0
; MemoryBound: 0
; FloatMode: 240
; IeeeMode: 1
; LDSByteSize: 0 bytes/workgroup (compile time only)
; SGPRBlocks: 0
; VGPRBlocks: 0
; NumSGPRsForWavesPerEU: 4
; NumVGPRsForWavesPerEU: 1
; AccumOffset: 4
; Occupancy: 8
; WaveLimiterHint : 0
; COMPUTE_PGM_RSRC2:SCRATCH_EN: 0
; COMPUTE_PGM_RSRC2:USER_SGPR: 6
; COMPUTE_PGM_RSRC2:TRAP_HANDLER: 0
; COMPUTE_PGM_RSRC2:TGID_X_EN: 1
; COMPUTE_PGM_RSRC2:TGID_Y_EN: 0
; COMPUTE_PGM_RSRC2:TGID_Z_EN: 0
; COMPUTE_PGM_RSRC2:TIDIG_COMP_CNT: 0
; COMPUTE_PGM_RSRC3_GFX90A:ACCUM_OFFSET: 0
; COMPUTE_PGM_RSRC3_GFX90A:TG_SPLIT: 0
	.section	.text._ZN7rocprim17ROCPRIM_400000_NS6detail17trampoline_kernelINS0_14default_configENS1_25partition_config_selectorILNS1_17partition_subalgoE0ExNS0_10empty_typeEbEEZZNS1_14partition_implILS5_0ELb0ES3_jN6thrust23THRUST_200600_302600_NS6detail15normal_iteratorINSA_10device_ptrIxEEEEPS6_SG_NS0_5tupleIJSF_SF_EEENSH_IJSG_SG_EEES6_PlJ7is_evenIxEEEE10hipError_tPvRmT3_T4_T5_T6_T7_T9_mT8_P12ihipStream_tbDpT10_ENKUlT_T0_E_clISt17integral_constantIbLb0EES16_EEDaS11_S12_EUlS11_E_NS1_11comp_targetILNS1_3genE5ELNS1_11target_archE942ELNS1_3gpuE9ELNS1_3repE0EEENS1_30default_config_static_selectorELNS0_4arch9wavefront6targetE1EEEvT1_,"axG",@progbits,_ZN7rocprim17ROCPRIM_400000_NS6detail17trampoline_kernelINS0_14default_configENS1_25partition_config_selectorILNS1_17partition_subalgoE0ExNS0_10empty_typeEbEEZZNS1_14partition_implILS5_0ELb0ES3_jN6thrust23THRUST_200600_302600_NS6detail15normal_iteratorINSA_10device_ptrIxEEEEPS6_SG_NS0_5tupleIJSF_SF_EEENSH_IJSG_SG_EEES6_PlJ7is_evenIxEEEE10hipError_tPvRmT3_T4_T5_T6_T7_T9_mT8_P12ihipStream_tbDpT10_ENKUlT_T0_E_clISt17integral_constantIbLb0EES16_EEDaS11_S12_EUlS11_E_NS1_11comp_targetILNS1_3genE5ELNS1_11target_archE942ELNS1_3gpuE9ELNS1_3repE0EEENS1_30default_config_static_selectorELNS0_4arch9wavefront6targetE1EEEvT1_,comdat
	.protected	_ZN7rocprim17ROCPRIM_400000_NS6detail17trampoline_kernelINS0_14default_configENS1_25partition_config_selectorILNS1_17partition_subalgoE0ExNS0_10empty_typeEbEEZZNS1_14partition_implILS5_0ELb0ES3_jN6thrust23THRUST_200600_302600_NS6detail15normal_iteratorINSA_10device_ptrIxEEEEPS6_SG_NS0_5tupleIJSF_SF_EEENSH_IJSG_SG_EEES6_PlJ7is_evenIxEEEE10hipError_tPvRmT3_T4_T5_T6_T7_T9_mT8_P12ihipStream_tbDpT10_ENKUlT_T0_E_clISt17integral_constantIbLb0EES16_EEDaS11_S12_EUlS11_E_NS1_11comp_targetILNS1_3genE5ELNS1_11target_archE942ELNS1_3gpuE9ELNS1_3repE0EEENS1_30default_config_static_selectorELNS0_4arch9wavefront6targetE1EEEvT1_ ; -- Begin function _ZN7rocprim17ROCPRIM_400000_NS6detail17trampoline_kernelINS0_14default_configENS1_25partition_config_selectorILNS1_17partition_subalgoE0ExNS0_10empty_typeEbEEZZNS1_14partition_implILS5_0ELb0ES3_jN6thrust23THRUST_200600_302600_NS6detail15normal_iteratorINSA_10device_ptrIxEEEEPS6_SG_NS0_5tupleIJSF_SF_EEENSH_IJSG_SG_EEES6_PlJ7is_evenIxEEEE10hipError_tPvRmT3_T4_T5_T6_T7_T9_mT8_P12ihipStream_tbDpT10_ENKUlT_T0_E_clISt17integral_constantIbLb0EES16_EEDaS11_S12_EUlS11_E_NS1_11comp_targetILNS1_3genE5ELNS1_11target_archE942ELNS1_3gpuE9ELNS1_3repE0EEENS1_30default_config_static_selectorELNS0_4arch9wavefront6targetE1EEEvT1_
	.globl	_ZN7rocprim17ROCPRIM_400000_NS6detail17trampoline_kernelINS0_14default_configENS1_25partition_config_selectorILNS1_17partition_subalgoE0ExNS0_10empty_typeEbEEZZNS1_14partition_implILS5_0ELb0ES3_jN6thrust23THRUST_200600_302600_NS6detail15normal_iteratorINSA_10device_ptrIxEEEEPS6_SG_NS0_5tupleIJSF_SF_EEENSH_IJSG_SG_EEES6_PlJ7is_evenIxEEEE10hipError_tPvRmT3_T4_T5_T6_T7_T9_mT8_P12ihipStream_tbDpT10_ENKUlT_T0_E_clISt17integral_constantIbLb0EES16_EEDaS11_S12_EUlS11_E_NS1_11comp_targetILNS1_3genE5ELNS1_11target_archE942ELNS1_3gpuE9ELNS1_3repE0EEENS1_30default_config_static_selectorELNS0_4arch9wavefront6targetE1EEEvT1_
	.p2align	8
	.type	_ZN7rocprim17ROCPRIM_400000_NS6detail17trampoline_kernelINS0_14default_configENS1_25partition_config_selectorILNS1_17partition_subalgoE0ExNS0_10empty_typeEbEEZZNS1_14partition_implILS5_0ELb0ES3_jN6thrust23THRUST_200600_302600_NS6detail15normal_iteratorINSA_10device_ptrIxEEEEPS6_SG_NS0_5tupleIJSF_SF_EEENSH_IJSG_SG_EEES6_PlJ7is_evenIxEEEE10hipError_tPvRmT3_T4_T5_T6_T7_T9_mT8_P12ihipStream_tbDpT10_ENKUlT_T0_E_clISt17integral_constantIbLb0EES16_EEDaS11_S12_EUlS11_E_NS1_11comp_targetILNS1_3genE5ELNS1_11target_archE942ELNS1_3gpuE9ELNS1_3repE0EEENS1_30default_config_static_selectorELNS0_4arch9wavefront6targetE1EEEvT1_,@function
_ZN7rocprim17ROCPRIM_400000_NS6detail17trampoline_kernelINS0_14default_configENS1_25partition_config_selectorILNS1_17partition_subalgoE0ExNS0_10empty_typeEbEEZZNS1_14partition_implILS5_0ELb0ES3_jN6thrust23THRUST_200600_302600_NS6detail15normal_iteratorINSA_10device_ptrIxEEEEPS6_SG_NS0_5tupleIJSF_SF_EEENSH_IJSG_SG_EEES6_PlJ7is_evenIxEEEE10hipError_tPvRmT3_T4_T5_T6_T7_T9_mT8_P12ihipStream_tbDpT10_ENKUlT_T0_E_clISt17integral_constantIbLb0EES16_EEDaS11_S12_EUlS11_E_NS1_11comp_targetILNS1_3genE5ELNS1_11target_archE942ELNS1_3gpuE9ELNS1_3repE0EEENS1_30default_config_static_selectorELNS0_4arch9wavefront6targetE1EEEvT1_: ; @_ZN7rocprim17ROCPRIM_400000_NS6detail17trampoline_kernelINS0_14default_configENS1_25partition_config_selectorILNS1_17partition_subalgoE0ExNS0_10empty_typeEbEEZZNS1_14partition_implILS5_0ELb0ES3_jN6thrust23THRUST_200600_302600_NS6detail15normal_iteratorINSA_10device_ptrIxEEEEPS6_SG_NS0_5tupleIJSF_SF_EEENSH_IJSG_SG_EEES6_PlJ7is_evenIxEEEE10hipError_tPvRmT3_T4_T5_T6_T7_T9_mT8_P12ihipStream_tbDpT10_ENKUlT_T0_E_clISt17integral_constantIbLb0EES16_EEDaS11_S12_EUlS11_E_NS1_11comp_targetILNS1_3genE5ELNS1_11target_archE942ELNS1_3gpuE9ELNS1_3repE0EEENS1_30default_config_static_selectorELNS0_4arch9wavefront6targetE1EEEvT1_
; %bb.0:
	.section	.rodata,"a",@progbits
	.p2align	6, 0x0
	.amdhsa_kernel _ZN7rocprim17ROCPRIM_400000_NS6detail17trampoline_kernelINS0_14default_configENS1_25partition_config_selectorILNS1_17partition_subalgoE0ExNS0_10empty_typeEbEEZZNS1_14partition_implILS5_0ELb0ES3_jN6thrust23THRUST_200600_302600_NS6detail15normal_iteratorINSA_10device_ptrIxEEEEPS6_SG_NS0_5tupleIJSF_SF_EEENSH_IJSG_SG_EEES6_PlJ7is_evenIxEEEE10hipError_tPvRmT3_T4_T5_T6_T7_T9_mT8_P12ihipStream_tbDpT10_ENKUlT_T0_E_clISt17integral_constantIbLb0EES16_EEDaS11_S12_EUlS11_E_NS1_11comp_targetILNS1_3genE5ELNS1_11target_archE942ELNS1_3gpuE9ELNS1_3repE0EEENS1_30default_config_static_selectorELNS0_4arch9wavefront6targetE1EEEvT1_
		.amdhsa_group_segment_fixed_size 0
		.amdhsa_private_segment_fixed_size 0
		.amdhsa_kernarg_size 120
		.amdhsa_user_sgpr_count 6
		.amdhsa_user_sgpr_private_segment_buffer 1
		.amdhsa_user_sgpr_dispatch_ptr 0
		.amdhsa_user_sgpr_queue_ptr 0
		.amdhsa_user_sgpr_kernarg_segment_ptr 1
		.amdhsa_user_sgpr_dispatch_id 0
		.amdhsa_user_sgpr_flat_scratch_init 0
		.amdhsa_user_sgpr_kernarg_preload_length 0
		.amdhsa_user_sgpr_kernarg_preload_offset 0
		.amdhsa_user_sgpr_private_segment_size 0
		.amdhsa_uses_dynamic_stack 0
		.amdhsa_system_sgpr_private_segment_wavefront_offset 0
		.amdhsa_system_sgpr_workgroup_id_x 1
		.amdhsa_system_sgpr_workgroup_id_y 0
		.amdhsa_system_sgpr_workgroup_id_z 0
		.amdhsa_system_sgpr_workgroup_info 0
		.amdhsa_system_vgpr_workitem_id 0
		.amdhsa_next_free_vgpr 1
		.amdhsa_next_free_sgpr 0
		.amdhsa_accum_offset 4
		.amdhsa_reserve_vcc 0
		.amdhsa_reserve_flat_scratch 0
		.amdhsa_float_round_mode_32 0
		.amdhsa_float_round_mode_16_64 0
		.amdhsa_float_denorm_mode_32 3
		.amdhsa_float_denorm_mode_16_64 3
		.amdhsa_dx10_clamp 1
		.amdhsa_ieee_mode 1
		.amdhsa_fp16_overflow 0
		.amdhsa_tg_split 0
		.amdhsa_exception_fp_ieee_invalid_op 0
		.amdhsa_exception_fp_denorm_src 0
		.amdhsa_exception_fp_ieee_div_zero 0
		.amdhsa_exception_fp_ieee_overflow 0
		.amdhsa_exception_fp_ieee_underflow 0
		.amdhsa_exception_fp_ieee_inexact 0
		.amdhsa_exception_int_div_zero 0
	.end_amdhsa_kernel
	.section	.text._ZN7rocprim17ROCPRIM_400000_NS6detail17trampoline_kernelINS0_14default_configENS1_25partition_config_selectorILNS1_17partition_subalgoE0ExNS0_10empty_typeEbEEZZNS1_14partition_implILS5_0ELb0ES3_jN6thrust23THRUST_200600_302600_NS6detail15normal_iteratorINSA_10device_ptrIxEEEEPS6_SG_NS0_5tupleIJSF_SF_EEENSH_IJSG_SG_EEES6_PlJ7is_evenIxEEEE10hipError_tPvRmT3_T4_T5_T6_T7_T9_mT8_P12ihipStream_tbDpT10_ENKUlT_T0_E_clISt17integral_constantIbLb0EES16_EEDaS11_S12_EUlS11_E_NS1_11comp_targetILNS1_3genE5ELNS1_11target_archE942ELNS1_3gpuE9ELNS1_3repE0EEENS1_30default_config_static_selectorELNS0_4arch9wavefront6targetE1EEEvT1_,"axG",@progbits,_ZN7rocprim17ROCPRIM_400000_NS6detail17trampoline_kernelINS0_14default_configENS1_25partition_config_selectorILNS1_17partition_subalgoE0ExNS0_10empty_typeEbEEZZNS1_14partition_implILS5_0ELb0ES3_jN6thrust23THRUST_200600_302600_NS6detail15normal_iteratorINSA_10device_ptrIxEEEEPS6_SG_NS0_5tupleIJSF_SF_EEENSH_IJSG_SG_EEES6_PlJ7is_evenIxEEEE10hipError_tPvRmT3_T4_T5_T6_T7_T9_mT8_P12ihipStream_tbDpT10_ENKUlT_T0_E_clISt17integral_constantIbLb0EES16_EEDaS11_S12_EUlS11_E_NS1_11comp_targetILNS1_3genE5ELNS1_11target_archE942ELNS1_3gpuE9ELNS1_3repE0EEENS1_30default_config_static_selectorELNS0_4arch9wavefront6targetE1EEEvT1_,comdat
.Lfunc_end290:
	.size	_ZN7rocprim17ROCPRIM_400000_NS6detail17trampoline_kernelINS0_14default_configENS1_25partition_config_selectorILNS1_17partition_subalgoE0ExNS0_10empty_typeEbEEZZNS1_14partition_implILS5_0ELb0ES3_jN6thrust23THRUST_200600_302600_NS6detail15normal_iteratorINSA_10device_ptrIxEEEEPS6_SG_NS0_5tupleIJSF_SF_EEENSH_IJSG_SG_EEES6_PlJ7is_evenIxEEEE10hipError_tPvRmT3_T4_T5_T6_T7_T9_mT8_P12ihipStream_tbDpT10_ENKUlT_T0_E_clISt17integral_constantIbLb0EES16_EEDaS11_S12_EUlS11_E_NS1_11comp_targetILNS1_3genE5ELNS1_11target_archE942ELNS1_3gpuE9ELNS1_3repE0EEENS1_30default_config_static_selectorELNS0_4arch9wavefront6targetE1EEEvT1_, .Lfunc_end290-_ZN7rocprim17ROCPRIM_400000_NS6detail17trampoline_kernelINS0_14default_configENS1_25partition_config_selectorILNS1_17partition_subalgoE0ExNS0_10empty_typeEbEEZZNS1_14partition_implILS5_0ELb0ES3_jN6thrust23THRUST_200600_302600_NS6detail15normal_iteratorINSA_10device_ptrIxEEEEPS6_SG_NS0_5tupleIJSF_SF_EEENSH_IJSG_SG_EEES6_PlJ7is_evenIxEEEE10hipError_tPvRmT3_T4_T5_T6_T7_T9_mT8_P12ihipStream_tbDpT10_ENKUlT_T0_E_clISt17integral_constantIbLb0EES16_EEDaS11_S12_EUlS11_E_NS1_11comp_targetILNS1_3genE5ELNS1_11target_archE942ELNS1_3gpuE9ELNS1_3repE0EEENS1_30default_config_static_selectorELNS0_4arch9wavefront6targetE1EEEvT1_
                                        ; -- End function
	.section	.AMDGPU.csdata,"",@progbits
; Kernel info:
; codeLenInByte = 0
; NumSgprs: 4
; NumVgprs: 0
; NumAgprs: 0
; TotalNumVgprs: 0
; ScratchSize: 0
; MemoryBound: 0
; FloatMode: 240
; IeeeMode: 1
; LDSByteSize: 0 bytes/workgroup (compile time only)
; SGPRBlocks: 0
; VGPRBlocks: 0
; NumSGPRsForWavesPerEU: 4
; NumVGPRsForWavesPerEU: 1
; AccumOffset: 4
; Occupancy: 8
; WaveLimiterHint : 0
; COMPUTE_PGM_RSRC2:SCRATCH_EN: 0
; COMPUTE_PGM_RSRC2:USER_SGPR: 6
; COMPUTE_PGM_RSRC2:TRAP_HANDLER: 0
; COMPUTE_PGM_RSRC2:TGID_X_EN: 1
; COMPUTE_PGM_RSRC2:TGID_Y_EN: 0
; COMPUTE_PGM_RSRC2:TGID_Z_EN: 0
; COMPUTE_PGM_RSRC2:TIDIG_COMP_CNT: 0
; COMPUTE_PGM_RSRC3_GFX90A:ACCUM_OFFSET: 0
; COMPUTE_PGM_RSRC3_GFX90A:TG_SPLIT: 0
	.section	.text._ZN7rocprim17ROCPRIM_400000_NS6detail17trampoline_kernelINS0_14default_configENS1_25partition_config_selectorILNS1_17partition_subalgoE0ExNS0_10empty_typeEbEEZZNS1_14partition_implILS5_0ELb0ES3_jN6thrust23THRUST_200600_302600_NS6detail15normal_iteratorINSA_10device_ptrIxEEEEPS6_SG_NS0_5tupleIJSF_SF_EEENSH_IJSG_SG_EEES6_PlJ7is_evenIxEEEE10hipError_tPvRmT3_T4_T5_T6_T7_T9_mT8_P12ihipStream_tbDpT10_ENKUlT_T0_E_clISt17integral_constantIbLb0EES16_EEDaS11_S12_EUlS11_E_NS1_11comp_targetILNS1_3genE4ELNS1_11target_archE910ELNS1_3gpuE8ELNS1_3repE0EEENS1_30default_config_static_selectorELNS0_4arch9wavefront6targetE1EEEvT1_,"axG",@progbits,_ZN7rocprim17ROCPRIM_400000_NS6detail17trampoline_kernelINS0_14default_configENS1_25partition_config_selectorILNS1_17partition_subalgoE0ExNS0_10empty_typeEbEEZZNS1_14partition_implILS5_0ELb0ES3_jN6thrust23THRUST_200600_302600_NS6detail15normal_iteratorINSA_10device_ptrIxEEEEPS6_SG_NS0_5tupleIJSF_SF_EEENSH_IJSG_SG_EEES6_PlJ7is_evenIxEEEE10hipError_tPvRmT3_T4_T5_T6_T7_T9_mT8_P12ihipStream_tbDpT10_ENKUlT_T0_E_clISt17integral_constantIbLb0EES16_EEDaS11_S12_EUlS11_E_NS1_11comp_targetILNS1_3genE4ELNS1_11target_archE910ELNS1_3gpuE8ELNS1_3repE0EEENS1_30default_config_static_selectorELNS0_4arch9wavefront6targetE1EEEvT1_,comdat
	.protected	_ZN7rocprim17ROCPRIM_400000_NS6detail17trampoline_kernelINS0_14default_configENS1_25partition_config_selectorILNS1_17partition_subalgoE0ExNS0_10empty_typeEbEEZZNS1_14partition_implILS5_0ELb0ES3_jN6thrust23THRUST_200600_302600_NS6detail15normal_iteratorINSA_10device_ptrIxEEEEPS6_SG_NS0_5tupleIJSF_SF_EEENSH_IJSG_SG_EEES6_PlJ7is_evenIxEEEE10hipError_tPvRmT3_T4_T5_T6_T7_T9_mT8_P12ihipStream_tbDpT10_ENKUlT_T0_E_clISt17integral_constantIbLb0EES16_EEDaS11_S12_EUlS11_E_NS1_11comp_targetILNS1_3genE4ELNS1_11target_archE910ELNS1_3gpuE8ELNS1_3repE0EEENS1_30default_config_static_selectorELNS0_4arch9wavefront6targetE1EEEvT1_ ; -- Begin function _ZN7rocprim17ROCPRIM_400000_NS6detail17trampoline_kernelINS0_14default_configENS1_25partition_config_selectorILNS1_17partition_subalgoE0ExNS0_10empty_typeEbEEZZNS1_14partition_implILS5_0ELb0ES3_jN6thrust23THRUST_200600_302600_NS6detail15normal_iteratorINSA_10device_ptrIxEEEEPS6_SG_NS0_5tupleIJSF_SF_EEENSH_IJSG_SG_EEES6_PlJ7is_evenIxEEEE10hipError_tPvRmT3_T4_T5_T6_T7_T9_mT8_P12ihipStream_tbDpT10_ENKUlT_T0_E_clISt17integral_constantIbLb0EES16_EEDaS11_S12_EUlS11_E_NS1_11comp_targetILNS1_3genE4ELNS1_11target_archE910ELNS1_3gpuE8ELNS1_3repE0EEENS1_30default_config_static_selectorELNS0_4arch9wavefront6targetE1EEEvT1_
	.globl	_ZN7rocprim17ROCPRIM_400000_NS6detail17trampoline_kernelINS0_14default_configENS1_25partition_config_selectorILNS1_17partition_subalgoE0ExNS0_10empty_typeEbEEZZNS1_14partition_implILS5_0ELb0ES3_jN6thrust23THRUST_200600_302600_NS6detail15normal_iteratorINSA_10device_ptrIxEEEEPS6_SG_NS0_5tupleIJSF_SF_EEENSH_IJSG_SG_EEES6_PlJ7is_evenIxEEEE10hipError_tPvRmT3_T4_T5_T6_T7_T9_mT8_P12ihipStream_tbDpT10_ENKUlT_T0_E_clISt17integral_constantIbLb0EES16_EEDaS11_S12_EUlS11_E_NS1_11comp_targetILNS1_3genE4ELNS1_11target_archE910ELNS1_3gpuE8ELNS1_3repE0EEENS1_30default_config_static_selectorELNS0_4arch9wavefront6targetE1EEEvT1_
	.p2align	8
	.type	_ZN7rocprim17ROCPRIM_400000_NS6detail17trampoline_kernelINS0_14default_configENS1_25partition_config_selectorILNS1_17partition_subalgoE0ExNS0_10empty_typeEbEEZZNS1_14partition_implILS5_0ELb0ES3_jN6thrust23THRUST_200600_302600_NS6detail15normal_iteratorINSA_10device_ptrIxEEEEPS6_SG_NS0_5tupleIJSF_SF_EEENSH_IJSG_SG_EEES6_PlJ7is_evenIxEEEE10hipError_tPvRmT3_T4_T5_T6_T7_T9_mT8_P12ihipStream_tbDpT10_ENKUlT_T0_E_clISt17integral_constantIbLb0EES16_EEDaS11_S12_EUlS11_E_NS1_11comp_targetILNS1_3genE4ELNS1_11target_archE910ELNS1_3gpuE8ELNS1_3repE0EEENS1_30default_config_static_selectorELNS0_4arch9wavefront6targetE1EEEvT1_,@function
_ZN7rocprim17ROCPRIM_400000_NS6detail17trampoline_kernelINS0_14default_configENS1_25partition_config_selectorILNS1_17partition_subalgoE0ExNS0_10empty_typeEbEEZZNS1_14partition_implILS5_0ELb0ES3_jN6thrust23THRUST_200600_302600_NS6detail15normal_iteratorINSA_10device_ptrIxEEEEPS6_SG_NS0_5tupleIJSF_SF_EEENSH_IJSG_SG_EEES6_PlJ7is_evenIxEEEE10hipError_tPvRmT3_T4_T5_T6_T7_T9_mT8_P12ihipStream_tbDpT10_ENKUlT_T0_E_clISt17integral_constantIbLb0EES16_EEDaS11_S12_EUlS11_E_NS1_11comp_targetILNS1_3genE4ELNS1_11target_archE910ELNS1_3gpuE8ELNS1_3repE0EEENS1_30default_config_static_selectorELNS0_4arch9wavefront6targetE1EEEvT1_: ; @_ZN7rocprim17ROCPRIM_400000_NS6detail17trampoline_kernelINS0_14default_configENS1_25partition_config_selectorILNS1_17partition_subalgoE0ExNS0_10empty_typeEbEEZZNS1_14partition_implILS5_0ELb0ES3_jN6thrust23THRUST_200600_302600_NS6detail15normal_iteratorINSA_10device_ptrIxEEEEPS6_SG_NS0_5tupleIJSF_SF_EEENSH_IJSG_SG_EEES6_PlJ7is_evenIxEEEE10hipError_tPvRmT3_T4_T5_T6_T7_T9_mT8_P12ihipStream_tbDpT10_ENKUlT_T0_E_clISt17integral_constantIbLb0EES16_EEDaS11_S12_EUlS11_E_NS1_11comp_targetILNS1_3genE4ELNS1_11target_archE910ELNS1_3gpuE8ELNS1_3repE0EEENS1_30default_config_static_selectorELNS0_4arch9wavefront6targetE1EEEvT1_
; %bb.0:
	s_load_dwordx2 s[0:1], s[4:5], 0x58
	s_load_dwordx4 s[20:23], s[4:5], 0x8
	s_load_dwordx4 s[24:27], s[4:5], 0x48
	s_load_dword s7, s[4:5], 0x70
	s_mul_i32 s8, s6, 0x300
	s_waitcnt lgkmcnt(0)
	v_mov_b32_e32 v3, s1
	s_lshl_b64 s[2:3], s[22:23], 3
	s_add_u32 s10, s20, s2
	s_mul_i32 s1, s7, 0x300
	s_addc_u32 s11, s21, s3
	s_add_i32 s3, s1, s22
	s_sub_i32 s33, s0, s3
	s_add_i32 s2, s7, -1
	s_addk_i32 s33, 0x300
	v_mov_b32_e32 v2, s0
	s_add_u32 s0, s22, s1
	s_addc_u32 s1, s23, 0
	s_cmp_eq_u32 s6, s2
	s_load_dwordx2 s[30:31], s[26:27], 0x0
	s_cselect_b64 s[26:27], -1, 0
	s_cmp_lg_u32 s6, s2
	s_mov_b32 s9, 0
	v_cmp_lt_u64_e32 vcc, s[0:1], v[2:3]
	s_cselect_b64 s[0:1], -1, 0
	s_or_b64 s[2:3], s[0:1], vcc
	s_lshl_b64 s[28:29], s[8:9], 3
	s_add_u32 s7, s10, s28
	s_addc_u32 s10, s11, s29
	s_mov_b64 s[0:1], -1
	s_and_b64 vcc, exec, s[2:3]
	v_lshlrev_b32_e32 v1, 3, v0
	v_lshrrev_b32_e32 v10, 2, v0
	s_cbranch_vccz .LBB291_2
; %bb.1:
	v_mov_b32_e32 v3, s10
	v_add_co_u32_e32 v2, vcc, s7, v1
	v_addc_co_u32_e32 v3, vcc, 0, v3, vcc
	v_add_co_u32_e32 v4, vcc, 0x1000, v2
	v_addc_co_u32_e32 v5, vcc, 0, v3, vcc
	flat_load_dwordx2 v[6:7], v[2:3]
	flat_load_dwordx2 v[8:9], v[2:3] offset:1536
	flat_load_dwordx2 v[12:13], v[2:3] offset:3072
	;; [unrolled: 1-line block ×3, first 2 shown]
	v_add_u32_e32 v3, 0xc0, v0
	v_add_u32_e32 v4, 0x180, v0
	;; [unrolled: 1-line block ×3, first 2 shown]
	v_and_b32_e32 v2, 56, v10
	v_lshrrev_b32_e32 v3, 2, v3
	v_lshrrev_b32_e32 v4, 2, v4
	;; [unrolled: 1-line block ×3, first 2 shown]
	v_add_u32_e32 v2, v2, v1
	v_and_b32_e32 v3, 0x78, v3
	v_and_b32_e32 v4, 0xf8, v4
	;; [unrolled: 1-line block ×3, first 2 shown]
	v_add_u32_e32 v3, v3, v1
	v_add_u32_e32 v4, v4, v1
	;; [unrolled: 1-line block ×3, first 2 shown]
	s_mov_b64 s[0:1], 0
	s_waitcnt vmcnt(0) lgkmcnt(0)
	ds_write_b64 v2, v[6:7]
	ds_write_b64 v3, v[8:9] offset:1536
	ds_write_b64 v4, v[12:13] offset:3072
	;; [unrolled: 1-line block ×3, first 2 shown]
	s_waitcnt lgkmcnt(0)
	s_barrier
.LBB291_2:
	s_andn2_b64 vcc, exec, s[0:1]
	v_cmp_gt_u32_e64 s[0:1], s33, v0
	s_cbranch_vccnz .LBB291_12
; %bb.3:
                                        ; implicit-def: $vgpr2_vgpr3_vgpr4_vgpr5_vgpr6_vgpr7_vgpr8_vgpr9
	s_and_saveexec_b64 s[8:9], s[0:1]
	s_cbranch_execz .LBB291_5
; %bb.4:
	v_mov_b32_e32 v3, s10
	v_add_co_u32_e32 v2, vcc, s7, v1
	v_addc_co_u32_e32 v3, vcc, 0, v3, vcc
	flat_load_dwordx2 v[2:3], v[2:3]
.LBB291_5:
	s_or_b64 exec, exec, s[8:9]
	v_add_u32_e32 v11, 0xc0, v0
	v_cmp_gt_u32_e32 vcc, s33, v11
	s_and_saveexec_b64 s[0:1], vcc
	s_cbranch_execz .LBB291_7
; %bb.6:
	v_mov_b32_e32 v5, s10
	v_add_co_u32_e32 v4, vcc, s7, v1
	v_addc_co_u32_e32 v5, vcc, 0, v5, vcc
	flat_load_dwordx2 v[4:5], v[4:5] offset:1536
.LBB291_7:
	s_or_b64 exec, exec, s[0:1]
	v_add_u32_e32 v12, 0x180, v0
	v_cmp_gt_u32_e32 vcc, s33, v12
	s_and_saveexec_b64 s[0:1], vcc
	s_cbranch_execz .LBB291_9
; %bb.8:
	v_mov_b32_e32 v7, s10
	v_add_co_u32_e32 v6, vcc, s7, v1
	v_addc_co_u32_e32 v7, vcc, 0, v7, vcc
	flat_load_dwordx2 v[6:7], v[6:7] offset:3072
.LBB291_9:
	s_or_b64 exec, exec, s[0:1]
	v_add_u32_e32 v13, 0x240, v0
	v_cmp_gt_u32_e32 vcc, s33, v13
	s_and_saveexec_b64 s[0:1], vcc
	s_cbranch_execz .LBB291_11
; %bb.10:
	v_lshlrev_b32_e32 v8, 3, v13
	v_mov_b32_e32 v9, s10
	v_add_co_u32_e32 v8, vcc, s7, v8
	v_addc_co_u32_e32 v9, vcc, 0, v9, vcc
	flat_load_dwordx2 v[8:9], v[8:9]
.LBB291_11:
	s_or_b64 exec, exec, s[0:1]
	v_and_b32_e32 v10, 56, v10
	v_add_u32_e32 v10, v10, v1
	s_waitcnt vmcnt(0) lgkmcnt(0)
	ds_write_b64 v10, v[2:3]
	v_lshrrev_b32_e32 v2, 2, v11
	v_and_b32_e32 v2, 0x78, v2
	v_add_u32_e32 v2, v2, v1
	ds_write_b64 v2, v[4:5] offset:1536
	v_lshrrev_b32_e32 v2, 2, v12
	v_and_b32_e32 v2, 0xf8, v2
	v_add_u32_e32 v2, v2, v1
	ds_write_b64 v2, v[6:7] offset:3072
	;; [unrolled: 4-line block ×3, first 2 shown]
	s_waitcnt lgkmcnt(0)
	s_barrier
.LBB291_12:
	v_lshlrev_b32_e32 v20, 2, v0
	v_lshrrev_b32_e32 v2, 3, v0
	v_add_lshl_u32 v2, v2, v20, 3
	s_waitcnt lgkmcnt(0)
	ds_read2_b64 v[6:9], v2 offset1:1
	ds_read2_b64 v[2:5], v2 offset0:2 offset1:3
	v_cndmask_b32_e64 v10, 0, 1, s[2:3]
	v_cmp_ne_u32_e64 s[0:1], 1, v10
	s_andn2_b64 vcc, exec, s[2:3]
	s_waitcnt lgkmcnt(1)
	v_xor_b32_e32 v13, -1, v6
	v_xor_b32_e32 v12, -1, v8
	s_waitcnt lgkmcnt(0)
	v_xor_b32_e32 v11, -1, v2
	v_xor_b32_e32 v10, -1, v4
	s_barrier
	s_cbranch_vccnz .LBB291_14
; %bb.13:
	v_mov_b32_e32 v15, 1
	v_and_b32_e32 v14, 1, v13
	v_and_b32_sdwa v16, v12, v15 dst_sel:BYTE_1 dst_unused:UNUSED_PAD src0_sel:DWORD src1_sel:DWORD
	v_and_b32_e32 v17, 1, v11
	v_and_b32_sdwa v15, v10, v15 dst_sel:BYTE_1 dst_unused:UNUSED_PAD src0_sel:DWORD src1_sel:DWORD
	v_or_b32_e32 v14, v14, v16
	v_or_b32_sdwa v15, v17, v15 dst_sel:WORD_1 dst_unused:UNUSED_PAD src0_sel:DWORD src1_sel:DWORD
	v_or_b32_sdwa v21, v14, v15 dst_sel:DWORD dst_unused:UNUSED_PAD src0_sel:WORD_0 src1_sel:DWORD
	s_load_dwordx2 s[34:35], s[4:5], 0x68
	s_cbranch_execz .LBB291_15
	s_branch .LBB291_16
.LBB291_14:
                                        ; implicit-def: $vgpr21
	s_load_dwordx2 s[34:35], s[4:5], 0x68
.LBB291_15:
	v_cmp_gt_u32_e32 vcc, s33, v20
	v_cndmask_b32_e64 v14, 0, 1, vcc
	v_and_b32_e32 v13, v14, v13
	v_or_b32_e32 v14, 1, v20
	v_cmp_gt_u32_e32 vcc, s33, v14
	v_cndmask_b32_e64 v14, 0, 1, vcc
	v_and_b32_sdwa v12, v14, v12 dst_sel:BYTE_1 dst_unused:UNUSED_PAD src0_sel:DWORD src1_sel:DWORD
	v_or_b32_e32 v14, 2, v20
	v_cmp_gt_u32_e32 vcc, s33, v14
	v_cndmask_b32_e64 v14, 0, 1, vcc
	v_and_b32_e32 v11, v14, v11
	v_or_b32_e32 v14, 3, v20
	v_cmp_gt_u32_e32 vcc, s33, v14
	v_cndmask_b32_e64 v14, 0, 1, vcc
	v_and_b32_sdwa v10, v14, v10 dst_sel:BYTE_1 dst_unused:UNUSED_PAD src0_sel:DWORD src1_sel:DWORD
	v_or_b32_e32 v12, v13, v12
	v_or_b32_sdwa v10, v11, v10 dst_sel:WORD_1 dst_unused:UNUSED_PAD src0_sel:DWORD src1_sel:DWORD
	v_or_b32_sdwa v21, v12, v10 dst_sel:DWORD dst_unused:UNUSED_PAD src0_sel:WORD_0 src1_sel:DWORD
.LBB291_16:
	v_bfe_u32 v23, v21, 16, 8
	v_lshrrev_b32_e32 v22, 24, v21
	v_add_u32_sdwa v10, v21, v21 dst_sel:DWORD dst_unused:UNUSED_PAD src0_sel:BYTE_1 src1_sel:BYTE_0
	v_add3_u32 v26, v10, v23, v22
	v_mbcnt_lo_u32_b32 v10, -1, 0
	v_mbcnt_hi_u32_b32 v24, -1, v10
	v_and_b32_e32 v10, 15, v24
	v_cmp_eq_u32_e64 s[16:17], 0, v10
	v_cmp_lt_u32_e64 s[14:15], 1, v10
	v_cmp_lt_u32_e64 s[12:13], 3, v10
	v_cmp_lt_u32_e64 s[10:11], 7, v10
	v_and_b32_e32 v10, 16, v24
	v_cmp_eq_u32_e64 s[20:21], 0, v10
	v_and_b32_e32 v10, 0xc0, v0
	v_min_u32_e32 v10, 0x80, v10
	v_or_b32_e32 v10, 63, v10
	s_cmp_lg_u32 s6, 0
	v_cmp_lt_u32_e64 s[2:3], 31, v24
	v_lshrrev_b32_e32 v25, 6, v0
	v_cmp_eq_u32_e64 s[8:9], v10, v0
	s_cbranch_scc0 .LBB291_43
; %bb.17:
	v_mov_b32_dpp v10, v26 row_shr:1 row_mask:0xf bank_mask:0xf
	v_cndmask_b32_e64 v10, v10, 0, s[16:17]
	v_add_u32_e32 v10, v10, v26
	s_nop 1
	v_mov_b32_dpp v11, v10 row_shr:2 row_mask:0xf bank_mask:0xf
	v_cndmask_b32_e64 v11, 0, v11, s[14:15]
	v_add_u32_e32 v10, v10, v11
	s_nop 1
	;; [unrolled: 4-line block ×4, first 2 shown]
	v_mov_b32_dpp v11, v10 row_bcast:15 row_mask:0xf bank_mask:0xf
	v_cndmask_b32_e64 v11, v11, 0, s[20:21]
	v_add_u32_e32 v10, v10, v11
	s_nop 1
	v_mov_b32_dpp v11, v10 row_bcast:31 row_mask:0xf bank_mask:0xf
	v_cndmask_b32_e64 v11, 0, v11, s[2:3]
	v_add_u32_e32 v10, v10, v11
	s_and_saveexec_b64 s[18:19], s[8:9]
	s_cbranch_execz .LBB291_19
; %bb.18:
	v_lshlrev_b32_e32 v11, 2, v25
	ds_write_b32 v11, v10
.LBB291_19:
	s_or_b64 exec, exec, s[18:19]
	v_cmp_gt_u32_e32 vcc, 3, v0
	s_waitcnt lgkmcnt(0)
	s_barrier
	s_and_saveexec_b64 s[18:19], vcc
	s_cbranch_execz .LBB291_21
; %bb.20:
	ds_read_b32 v11, v20
	v_and_b32_e32 v12, 3, v24
	v_cmp_ne_u32_e32 vcc, 0, v12
	s_waitcnt lgkmcnt(0)
	v_mov_b32_dpp v13, v11 row_shr:1 row_mask:0xf bank_mask:0xf
	v_cndmask_b32_e32 v13, 0, v13, vcc
	v_add_u32_e32 v11, v13, v11
	v_cmp_lt_u32_e32 vcc, 1, v12
	s_nop 0
	v_mov_b32_dpp v13, v11 row_shr:2 row_mask:0xf bank_mask:0xf
	v_cndmask_b32_e32 v12, 0, v13, vcc
	v_add_u32_e32 v11, v11, v12
	ds_write_b32 v20, v11
.LBB291_21:
	s_or_b64 exec, exec, s[18:19]
	v_cmp_gt_u32_e32 vcc, 64, v0
	v_cmp_lt_u32_e64 s[18:19], 63, v0
	s_waitcnt lgkmcnt(0)
	s_barrier
	s_waitcnt lgkmcnt(0)
                                        ; implicit-def: $vgpr27
	s_and_saveexec_b64 s[36:37], s[18:19]
	s_cbranch_execz .LBB291_23
; %bb.22:
	v_lshl_add_u32 v11, v25, 2, -4
	ds_read_b32 v27, v11
	s_waitcnt lgkmcnt(0)
	v_add_u32_e32 v10, v27, v10
.LBB291_23:
	s_or_b64 exec, exec, s[36:37]
	v_add_u32_e32 v11, -1, v24
	v_and_b32_e32 v12, 64, v24
	v_cmp_lt_i32_e64 s[18:19], v11, v12
	v_cndmask_b32_e64 v11, v11, v24, s[18:19]
	v_lshlrev_b32_e32 v11, 2, v11
	ds_bpermute_b32 v28, v11, v10
	v_cmp_eq_u32_e64 s[18:19], 0, v24
	s_and_saveexec_b64 s[36:37], vcc
	s_cbranch_execz .LBB291_42
; %bb.24:
	v_mov_b32_e32 v17, 0
	ds_read_b32 v10, v17 offset:8
	s_and_saveexec_b64 s[38:39], s[18:19]
	s_cbranch_execz .LBB291_26
; %bb.25:
	s_add_i32 s40, s6, 64
	s_mov_b32 s41, 0
	s_lshl_b64 s[40:41], s[40:41], 3
	s_add_u32 s40, s34, s40
	v_mov_b32_e32 v11, 1
	s_addc_u32 s41, s35, s41
	s_waitcnt lgkmcnt(0)
	global_store_dwordx2 v17, v[10:11], s[40:41]
.LBB291_26:
	s_or_b64 exec, exec, s[38:39]
	v_xad_u32 v12, v24, -1, s6
	v_add_u32_e32 v16, 64, v12
	v_lshlrev_b64 v[14:15], 3, v[16:17]
	v_mov_b32_e32 v11, s35
	v_add_co_u32_e32 v18, vcc, s34, v14
	v_addc_co_u32_e32 v19, vcc, v11, v15, vcc
	global_load_dwordx2 v[14:15], v[18:19], off glc
	s_waitcnt vmcnt(0)
	v_cmp_eq_u16_sdwa s[40:41], v15, v17 src0_sel:BYTE_0 src1_sel:DWORD
	s_and_saveexec_b64 s[38:39], s[40:41]
	s_cbranch_execz .LBB291_30
; %bb.27:
	s_mov_b64 s[40:41], 0
	v_mov_b32_e32 v11, 0
.LBB291_28:                             ; =>This Inner Loop Header: Depth=1
	global_load_dwordx2 v[14:15], v[18:19], off glc
	s_waitcnt vmcnt(0)
	v_cmp_ne_u16_sdwa s[42:43], v15, v11 src0_sel:BYTE_0 src1_sel:DWORD
	s_or_b64 s[40:41], s[42:43], s[40:41]
	s_andn2_b64 exec, exec, s[40:41]
	s_cbranch_execnz .LBB291_28
; %bb.29:
	s_or_b64 exec, exec, s[40:41]
.LBB291_30:
	s_or_b64 exec, exec, s[38:39]
	v_and_b32_e32 v30, 63, v24
	v_mov_b32_e32 v29, 2
	v_cmp_ne_u32_e32 vcc, 63, v30
	v_cmp_eq_u16_sdwa s[38:39], v15, v29 src0_sel:BYTE_0 src1_sel:DWORD
	v_lshlrev_b64 v[16:17], v24, -1
	v_addc_co_u32_e32 v18, vcc, 0, v24, vcc
	v_and_b32_e32 v11, s39, v17
	v_lshlrev_b32_e32 v31, 2, v18
	v_or_b32_e32 v11, 0x80000000, v11
	ds_bpermute_b32 v18, v31, v14
	v_and_b32_e32 v13, s38, v16
	v_ffbl_b32_e32 v11, v11
	v_add_u32_e32 v11, 32, v11
	v_ffbl_b32_e32 v13, v13
	v_min_u32_e32 v11, v13, v11
	v_cmp_lt_u32_e32 vcc, v30, v11
	s_waitcnt lgkmcnt(0)
	v_cndmask_b32_e32 v13, 0, v18, vcc
	v_cmp_gt_u32_e32 vcc, 62, v30
	v_add_u32_e32 v13, v13, v14
	v_cndmask_b32_e64 v14, 0, 1, vcc
	v_lshlrev_b32_e32 v14, 1, v14
	v_add_lshl_u32 v32, v14, v24, 2
	ds_bpermute_b32 v14, v32, v13
	v_add_u32_e32 v33, 2, v30
	v_cmp_le_u32_e32 vcc, v33, v11
	v_add_u32_e32 v35, 4, v30
	v_add_u32_e32 v37, 8, v30
	s_waitcnt lgkmcnt(0)
	v_cndmask_b32_e32 v14, 0, v14, vcc
	v_cmp_gt_u32_e32 vcc, 60, v30
	v_add_u32_e32 v13, v13, v14
	v_cndmask_b32_e64 v14, 0, 1, vcc
	v_lshlrev_b32_e32 v14, 2, v14
	v_add_lshl_u32 v34, v14, v24, 2
	ds_bpermute_b32 v14, v34, v13
	v_cmp_le_u32_e32 vcc, v35, v11
	v_add_u32_e32 v39, 16, v30
	v_add_u32_e32 v41, 32, v30
	s_waitcnt lgkmcnt(0)
	v_cndmask_b32_e32 v14, 0, v14, vcc
	v_cmp_gt_u32_e32 vcc, 56, v30
	v_add_u32_e32 v13, v13, v14
	v_cndmask_b32_e64 v14, 0, 1, vcc
	v_lshlrev_b32_e32 v14, 3, v14
	v_add_lshl_u32 v36, v14, v24, 2
	ds_bpermute_b32 v14, v36, v13
	v_cmp_le_u32_e32 vcc, v37, v11
	s_waitcnt lgkmcnt(0)
	v_cndmask_b32_e32 v14, 0, v14, vcc
	v_cmp_gt_u32_e32 vcc, 48, v30
	v_add_u32_e32 v13, v13, v14
	v_cndmask_b32_e64 v14, 0, 1, vcc
	v_lshlrev_b32_e32 v14, 4, v14
	v_add_lshl_u32 v38, v14, v24, 2
	ds_bpermute_b32 v14, v38, v13
	v_cmp_le_u32_e32 vcc, v39, v11
	;; [unrolled: 9-line block ×3, first 2 shown]
	s_waitcnt lgkmcnt(0)
	v_cndmask_b32_e32 v11, 0, v14, vcc
	v_add_u32_e32 v14, v13, v11
	v_mov_b32_e32 v13, 0
	s_branch .LBB291_32
.LBB291_31:                             ;   in Loop: Header=BB291_32 Depth=1
	s_or_b64 exec, exec, s[38:39]
	v_cmp_eq_u16_sdwa s[38:39], v15, v29 src0_sel:BYTE_0 src1_sel:DWORD
	v_and_b32_e32 v18, s39, v17
	v_or_b32_e32 v18, 0x80000000, v18
	ds_bpermute_b32 v42, v31, v14
	v_and_b32_e32 v19, s38, v16
	v_ffbl_b32_e32 v18, v18
	v_add_u32_e32 v18, 32, v18
	v_ffbl_b32_e32 v19, v19
	v_min_u32_e32 v18, v19, v18
	v_cmp_lt_u32_e32 vcc, v30, v18
	s_waitcnt lgkmcnt(0)
	v_cndmask_b32_e32 v19, 0, v42, vcc
	v_add_u32_e32 v14, v19, v14
	ds_bpermute_b32 v19, v32, v14
	v_cmp_le_u32_e32 vcc, v33, v18
	v_subrev_u32_e32 v12, 64, v12
	s_waitcnt lgkmcnt(0)
	v_cndmask_b32_e32 v19, 0, v19, vcc
	v_add_u32_e32 v14, v14, v19
	ds_bpermute_b32 v19, v34, v14
	v_cmp_le_u32_e32 vcc, v35, v18
	s_waitcnt lgkmcnt(0)
	v_cndmask_b32_e32 v19, 0, v19, vcc
	v_add_u32_e32 v14, v14, v19
	ds_bpermute_b32 v19, v36, v14
	v_cmp_le_u32_e32 vcc, v37, v18
	;; [unrolled: 5-line block ×4, first 2 shown]
	s_waitcnt lgkmcnt(0)
	v_cndmask_b32_e32 v18, 0, v19, vcc
	v_add3_u32 v14, v18, v11, v14
.LBB291_32:                             ; =>This Loop Header: Depth=1
                                        ;     Child Loop BB291_35 Depth 2
	v_cmp_ne_u16_sdwa s[38:39], v15, v29 src0_sel:BYTE_0 src1_sel:DWORD
	v_cndmask_b32_e64 v11, 0, 1, s[38:39]
	;;#ASMSTART
	;;#ASMEND
	v_cmp_ne_u32_e32 vcc, 0, v11
	s_cmp_lg_u64 vcc, exec
	v_mov_b32_e32 v11, v14
	s_cbranch_scc1 .LBB291_37
; %bb.33:                               ;   in Loop: Header=BB291_32 Depth=1
	v_lshlrev_b64 v[14:15], 3, v[12:13]
	v_mov_b32_e32 v19, s35
	v_add_co_u32_e32 v18, vcc, s34, v14
	v_addc_co_u32_e32 v19, vcc, v19, v15, vcc
	global_load_dwordx2 v[14:15], v[18:19], off glc
	s_waitcnt vmcnt(0)
	v_cmp_eq_u16_sdwa s[40:41], v15, v13 src0_sel:BYTE_0 src1_sel:DWORD
	s_and_saveexec_b64 s[38:39], s[40:41]
	s_cbranch_execz .LBB291_31
; %bb.34:                               ;   in Loop: Header=BB291_32 Depth=1
	s_mov_b64 s[40:41], 0
.LBB291_35:                             ;   Parent Loop BB291_32 Depth=1
                                        ; =>  This Inner Loop Header: Depth=2
	global_load_dwordx2 v[14:15], v[18:19], off glc
	s_waitcnt vmcnt(0)
	v_cmp_ne_u16_sdwa s[42:43], v15, v13 src0_sel:BYTE_0 src1_sel:DWORD
	s_or_b64 s[40:41], s[42:43], s[40:41]
	s_andn2_b64 exec, exec, s[40:41]
	s_cbranch_execnz .LBB291_35
; %bb.36:                               ;   in Loop: Header=BB291_32 Depth=1
	s_or_b64 exec, exec, s[40:41]
	s_branch .LBB291_31
.LBB291_37:                             ;   in Loop: Header=BB291_32 Depth=1
                                        ; implicit-def: $vgpr14
                                        ; implicit-def: $vgpr15
	s_cbranch_execz .LBB291_32
; %bb.38:
	s_and_saveexec_b64 s[38:39], s[18:19]
	s_cbranch_execz .LBB291_40
; %bb.39:
	s_add_i32 s6, s6, 64
	s_mov_b32 s7, 0
	s_lshl_b64 s[6:7], s[6:7], 3
	s_add_u32 s6, s34, s6
	v_add_u32_e32 v12, v11, v10
	v_mov_b32_e32 v13, 2
	s_addc_u32 s7, s35, s7
	v_mov_b32_e32 v14, 0
	global_store_dwordx2 v14, v[12:13], s[6:7]
	ds_write_b64 v14, v[10:11] offset:6336
.LBB291_40:
	s_or_b64 exec, exec, s[38:39]
	v_cmp_eq_u32_e32 vcc, 0, v0
	s_and_b64 exec, exec, vcc
	s_cbranch_execz .LBB291_42
; %bb.41:
	v_mov_b32_e32 v10, 0
	ds_write_b32 v10, v11 offset:8
.LBB291_42:
	s_or_b64 exec, exec, s[36:37]
	v_mov_b32_e32 v10, 0
	s_waitcnt lgkmcnt(0)
	s_barrier
	ds_read_b32 v11, v10 offset:8
	v_cndmask_b32_e64 v12, v28, v27, s[18:19]
	v_cmp_ne_u32_e32 vcc, 0, v0
	v_cndmask_b32_e32 v12, 0, v12, vcc
	s_waitcnt lgkmcnt(0)
	v_add_u32_e32 v14, v11, v12
	s_barrier
	ds_read_b64 v[10:11], v10 offset:6336
	v_add_u32_sdwa v15, v14, v21 dst_sel:DWORD dst_unused:UNUSED_PAD src0_sel:DWORD src1_sel:BYTE_0
	v_add_u32_sdwa v13, v15, v21 dst_sel:DWORD dst_unused:UNUSED_PAD src0_sel:DWORD src1_sel:BYTE_1
	v_add_u32_e32 v12, v13, v23
	s_branch .LBB291_53
.LBB291_43:
                                        ; implicit-def: $vgpr11
                                        ; implicit-def: $vgpr12
                                        ; implicit-def: $vgpr13
                                        ; implicit-def: $vgpr15
                                        ; implicit-def: $vgpr14
	s_cbranch_execz .LBB291_53
; %bb.44:
	s_waitcnt lgkmcnt(0)
	v_mov_b32_dpp v10, v26 row_shr:1 row_mask:0xf bank_mask:0xf
	v_cndmask_b32_e64 v10, v10, 0, s[16:17]
	v_add_u32_e32 v10, v10, v26
	s_nop 1
	v_mov_b32_dpp v11, v10 row_shr:2 row_mask:0xf bank_mask:0xf
	v_cndmask_b32_e64 v11, 0, v11, s[14:15]
	v_add_u32_e32 v10, v10, v11
	s_nop 1
	;; [unrolled: 4-line block ×4, first 2 shown]
	v_mov_b32_dpp v11, v10 row_bcast:15 row_mask:0xf bank_mask:0xf
	v_cndmask_b32_e64 v11, v11, 0, s[20:21]
	v_add_u32_e32 v10, v10, v11
	s_nop 1
	v_mov_b32_dpp v11, v10 row_bcast:31 row_mask:0xf bank_mask:0xf
	v_cndmask_b32_e64 v11, 0, v11, s[2:3]
	v_add_u32_e32 v10, v10, v11
	s_and_saveexec_b64 s[2:3], s[8:9]
	s_cbranch_execz .LBB291_46
; %bb.45:
	v_lshlrev_b32_e32 v11, 2, v25
	ds_write_b32 v11, v10
.LBB291_46:
	s_or_b64 exec, exec, s[2:3]
	v_cmp_gt_u32_e32 vcc, 3, v0
	s_waitcnt lgkmcnt(0)
	s_barrier
	s_and_saveexec_b64 s[2:3], vcc
	s_cbranch_execz .LBB291_48
; %bb.47:
	ds_read_b32 v11, v20
	v_and_b32_e32 v12, 3, v24
	v_cmp_ne_u32_e32 vcc, 0, v12
	s_waitcnt lgkmcnt(0)
	v_mov_b32_dpp v13, v11 row_shr:1 row_mask:0xf bank_mask:0xf
	v_cndmask_b32_e32 v13, 0, v13, vcc
	v_add_u32_e32 v11, v13, v11
	v_cmp_lt_u32_e32 vcc, 1, v12
	s_nop 0
	v_mov_b32_dpp v13, v11 row_shr:2 row_mask:0xf bank_mask:0xf
	v_cndmask_b32_e32 v12, 0, v13, vcc
	v_add_u32_e32 v11, v11, v12
	ds_write_b32 v20, v11
.LBB291_48:
	s_or_b64 exec, exec, s[2:3]
	v_cmp_lt_u32_e32 vcc, 63, v0
	v_mov_b32_e32 v11, 0
	v_mov_b32_e32 v12, 0
	s_waitcnt lgkmcnt(0)
	s_barrier
	s_and_saveexec_b64 s[2:3], vcc
	s_cbranch_execz .LBB291_50
; %bb.49:
	v_lshl_add_u32 v12, v25, 2, -4
	ds_read_b32 v12, v12
.LBB291_50:
	s_or_b64 exec, exec, s[2:3]
	v_add_u32_e32 v13, -1, v24
	v_and_b32_e32 v14, 64, v24
	v_cmp_lt_i32_e32 vcc, v13, v14
	v_cndmask_b32_e32 v13, v13, v24, vcc
	s_waitcnt lgkmcnt(0)
	v_add_u32_e32 v10, v12, v10
	v_lshlrev_b32_e32 v13, 2, v13
	ds_bpermute_b32 v13, v13, v10
	ds_read_b32 v10, v11 offset:8
	v_cmp_eq_u32_e32 vcc, 0, v0
	s_and_saveexec_b64 s[2:3], vcc
	s_cbranch_execz .LBB291_52
; %bb.51:
	v_mov_b32_e32 v14, 0
	v_mov_b32_e32 v11, 2
	s_waitcnt lgkmcnt(0)
	global_store_dwordx2 v14, v[10:11], s[34:35] offset:512
.LBB291_52:
	s_or_b64 exec, exec, s[2:3]
	v_cmp_eq_u32_e64 s[2:3], 0, v24
	s_waitcnt lgkmcnt(1)
	v_cndmask_b32_e64 v12, v13, v12, s[2:3]
	v_cndmask_b32_e64 v14, v12, 0, vcc
	v_add_u32_sdwa v15, v14, v21 dst_sel:DWORD dst_unused:UNUSED_PAD src0_sel:DWORD src1_sel:BYTE_0
	v_add_u32_sdwa v13, v15, v21 dst_sel:DWORD dst_unused:UNUSED_PAD src0_sel:DWORD src1_sel:BYTE_1
	v_mov_b32_e32 v11, 0
	v_add_u32_e32 v12, v13, v23
	s_waitcnt lgkmcnt(0)
	s_barrier
.LBB291_53:
	s_waitcnt lgkmcnt(0)
	v_add_u32_e32 v17, v10, v20
	v_sub_u32_e32 v14, v14, v11
	v_and_b32_e32 v19, 1, v21
	v_sub_u32_e32 v18, v17, v14
	v_cmp_eq_u32_e32 vcc, 1, v19
	v_cndmask_b32_e32 v14, v18, v14, vcc
	v_lshlrev_b32_e32 v14, 3, v14
	v_lshrrev_b32_e32 v16, 8, v21
	ds_write_b64 v14, v[6:7]
	v_sub_u32_e32 v6, v15, v11
	v_sub_u32_e32 v7, v17, v6
	v_and_b32_e32 v14, 1, v16
	v_add_u32_e32 v7, 1, v7
	v_cmp_eq_u32_e32 vcc, 1, v14
	v_cndmask_b32_e32 v6, v7, v6, vcc
	v_lshlrev_b32_e32 v6, 3, v6
	ds_write_b64 v6, v[8:9]
	v_sub_u32_e32 v6, v13, v11
	v_mov_b32_e32 v8, 1
	v_sub_u32_e32 v7, v17, v6
	v_and_b32_sdwa v8, v8, v21 dst_sel:DWORD dst_unused:UNUSED_PAD src0_sel:DWORD src1_sel:WORD_1
	v_add_u32_e32 v7, 2, v7
	v_cmp_eq_u32_e32 vcc, 1, v8
	v_cndmask_b32_e32 v6, v7, v6, vcc
	v_lshlrev_b32_e32 v6, 3, v6
	ds_write_b64 v6, v[2:3]
	v_sub_u32_e32 v2, v12, v11
	v_sub_u32_e32 v3, v17, v2
	v_and_b32_e32 v6, 1, v22
	v_add_u32_e32 v3, 3, v3
	v_cmp_eq_u32_e32 vcc, 1, v6
	v_cndmask_b32_e32 v2, v3, v2, vcc
	v_mov_b32_e32 v12, s31
	v_add_co_u32_e32 v20, vcc, s30, v11
	v_addc_co_u32_e32 v21, vcc, 0, v12, vcc
	s_load_dwordx4 s[4:7], s[4:5], 0x28
	v_add_co_u32_e32 v12, vcc, v20, v10
	v_addc_co_u32_e32 v13, vcc, 0, v21, vcc
	v_mov_b32_e32 v11, s23
	v_sub_co_u32_e32 v16, vcc, s22, v12
	v_subb_co_u32_e32 v17, vcc, v11, v13, vcc
	v_lshlrev_b64 v[16:17], 3, v[16:17]
	v_lshlrev_b32_e32 v2, 3, v2
	s_waitcnt lgkmcnt(0)
	v_mov_b32_e32 v11, s7
	v_add_co_u32_e32 v16, vcc, s6, v16
	ds_write_b64 v2, v[4:5]
	s_waitcnt lgkmcnt(0)
	s_barrier
	ds_read2st64_b64 v[6:9], v1 offset1:3
	ds_read2st64_b64 v[2:5], v1 offset0:6 offset1:9
	v_addc_co_u32_e32 v17, vcc, v11, v17, vcc
	v_mov_b32_e32 v18, s29
	v_add_co_u32_e32 v11, vcc, s28, v16
	v_addc_co_u32_e32 v16, vcc, v17, v18, vcc
	v_lshlrev_b64 v[20:21], 3, v[20:21]
	v_mov_b32_e32 v18, s5
	s_and_b64 vcc, exec, s[0:1]
	v_add_co_u32_e64 v17, s[0:1], s4, v20
	v_add_u32_e32 v19, 0xc0, v0
	v_add_u32_e32 v15, 0x180, v0
	;; [unrolled: 1-line block ×3, first 2 shown]
	v_addc_co_u32_e64 v18, s[0:1], v18, v21, s[0:1]
	s_cbranch_vccnz .LBB291_55
; %bb.54:
	v_cmp_lt_u32_e32 vcc, v0, v10
	v_cndmask_b32_e32 v20, v11, v17, vcc
	v_cndmask_b32_e32 v21, v16, v18, vcc
	v_add_co_u32_e32 v20, vcc, v20, v1
	v_addc_co_u32_e32 v21, vcc, 0, v21, vcc
	v_cmp_lt_u32_e32 vcc, v19, v10
	s_waitcnt lgkmcnt(1)
	global_store_dwordx2 v[20:21], v[6:7], off
	v_cndmask_b32_e32 v20, v11, v17, vcc
	v_cndmask_b32_e32 v21, v16, v18, vcc
	v_add_co_u32_e32 v20, vcc, v20, v1
	v_addc_co_u32_e32 v21, vcc, 0, v21, vcc
	v_cmp_lt_u32_e32 vcc, v15, v10
	global_store_dwordx2 v[20:21], v[8:9], off offset:1536
	v_cndmask_b32_e32 v20, v11, v17, vcc
	v_cndmask_b32_e32 v21, v16, v18, vcc
	v_add_co_u32_e32 v20, vcc, v20, v1
	v_addc_co_u32_e32 v21, vcc, 0, v21, vcc
	s_mov_b64 s[0:1], -1
	s_waitcnt lgkmcnt(0)
	global_store_dwordx2 v[20:21], v[2:3], off offset:3072
	s_cbranch_execz .LBB291_56
	s_branch .LBB291_61
.LBB291_55:
	s_mov_b64 s[0:1], 0
.LBB291_56:
	v_cmp_gt_u32_e32 vcc, s33, v0
	s_and_saveexec_b64 s[0:1], vcc
	s_cbranch_execnz .LBB291_66
; %bb.57:
	s_or_b64 exec, exec, s[0:1]
	v_cmp_gt_u32_e32 vcc, s33, v19
	s_and_saveexec_b64 s[0:1], vcc
	s_cbranch_execnz .LBB291_67
.LBB291_58:
	s_or_b64 exec, exec, s[0:1]
	v_cmp_gt_u32_e32 vcc, s33, v15
	s_and_saveexec_b64 s[0:1], vcc
	s_cbranch_execz .LBB291_60
.LBB291_59:
	v_cmp_lt_u32_e32 vcc, v15, v10
	s_waitcnt lgkmcnt(1)
	v_cndmask_b32_e32 v6, v11, v17, vcc
	v_cndmask_b32_e32 v7, v16, v18, vcc
	v_add_co_u32_e32 v6, vcc, v6, v1
	v_addc_co_u32_e32 v7, vcc, 0, v7, vcc
	s_waitcnt lgkmcnt(0)
	global_store_dwordx2 v[6:7], v[2:3], off offset:3072
.LBB291_60:
	s_or_b64 exec, exec, s[0:1]
	v_cmp_gt_u32_e64 s[0:1], s33, v14
.LBB291_61:
	s_and_saveexec_b64 s[2:3], s[0:1]
	s_cbranch_execz .LBB291_63
; %bb.62:
	v_cmp_lt_u32_e32 vcc, v14, v10
	s_waitcnt lgkmcnt(0)
	v_cndmask_b32_e32 v2, v11, v17, vcc
	v_lshlrev_b32_e32 v3, 3, v14
	v_cndmask_b32_e32 v1, v16, v18, vcc
	v_add_co_u32_e32 v2, vcc, v2, v3
	v_addc_co_u32_e32 v3, vcc, 0, v1, vcc
	global_store_dwordx2 v[2:3], v[4:5], off
.LBB291_63:
	s_or_b64 exec, exec, s[2:3]
	v_cmp_eq_u32_e32 vcc, 0, v0
	s_and_b64 s[0:1], vcc, s[26:27]
	s_and_saveexec_b64 s[2:3], s[0:1]
	s_cbranch_execz .LBB291_65
; %bb.64:
	v_mov_b32_e32 v0, 0
	global_store_dwordx2 v0, v[12:13], s[24:25]
.LBB291_65:
	s_endpgm
.LBB291_66:
	v_cmp_lt_u32_e32 vcc, v0, v10
	v_cndmask_b32_e32 v20, v11, v17, vcc
	v_cndmask_b32_e32 v21, v16, v18, vcc
	v_add_co_u32_e32 v20, vcc, v20, v1
	v_addc_co_u32_e32 v21, vcc, 0, v21, vcc
	s_waitcnt lgkmcnt(1)
	global_store_dwordx2 v[20:21], v[6:7], off
	s_or_b64 exec, exec, s[0:1]
	v_cmp_gt_u32_e32 vcc, s33, v19
	s_and_saveexec_b64 s[0:1], vcc
	s_cbranch_execz .LBB291_58
.LBB291_67:
	v_cmp_lt_u32_e32 vcc, v19, v10
	s_waitcnt lgkmcnt(1)
	v_cndmask_b32_e32 v6, v11, v17, vcc
	v_cndmask_b32_e32 v7, v16, v18, vcc
	v_add_co_u32_e32 v6, vcc, v6, v1
	v_addc_co_u32_e32 v7, vcc, 0, v7, vcc
	global_store_dwordx2 v[6:7], v[8:9], off offset:1536
	s_or_b64 exec, exec, s[0:1]
	v_cmp_gt_u32_e32 vcc, s33, v15
	s_and_saveexec_b64 s[0:1], vcc
	s_cbranch_execnz .LBB291_59
	s_branch .LBB291_60
	.section	.rodata,"a",@progbits
	.p2align	6, 0x0
	.amdhsa_kernel _ZN7rocprim17ROCPRIM_400000_NS6detail17trampoline_kernelINS0_14default_configENS1_25partition_config_selectorILNS1_17partition_subalgoE0ExNS0_10empty_typeEbEEZZNS1_14partition_implILS5_0ELb0ES3_jN6thrust23THRUST_200600_302600_NS6detail15normal_iteratorINSA_10device_ptrIxEEEEPS6_SG_NS0_5tupleIJSF_SF_EEENSH_IJSG_SG_EEES6_PlJ7is_evenIxEEEE10hipError_tPvRmT3_T4_T5_T6_T7_T9_mT8_P12ihipStream_tbDpT10_ENKUlT_T0_E_clISt17integral_constantIbLb0EES16_EEDaS11_S12_EUlS11_E_NS1_11comp_targetILNS1_3genE4ELNS1_11target_archE910ELNS1_3gpuE8ELNS1_3repE0EEENS1_30default_config_static_selectorELNS0_4arch9wavefront6targetE1EEEvT1_
		.amdhsa_group_segment_fixed_size 6344
		.amdhsa_private_segment_fixed_size 0
		.amdhsa_kernarg_size 120
		.amdhsa_user_sgpr_count 6
		.amdhsa_user_sgpr_private_segment_buffer 1
		.amdhsa_user_sgpr_dispatch_ptr 0
		.amdhsa_user_sgpr_queue_ptr 0
		.amdhsa_user_sgpr_kernarg_segment_ptr 1
		.amdhsa_user_sgpr_dispatch_id 0
		.amdhsa_user_sgpr_flat_scratch_init 0
		.amdhsa_user_sgpr_kernarg_preload_length 0
		.amdhsa_user_sgpr_kernarg_preload_offset 0
		.amdhsa_user_sgpr_private_segment_size 0
		.amdhsa_uses_dynamic_stack 0
		.amdhsa_system_sgpr_private_segment_wavefront_offset 0
		.amdhsa_system_sgpr_workgroup_id_x 1
		.amdhsa_system_sgpr_workgroup_id_y 0
		.amdhsa_system_sgpr_workgroup_id_z 0
		.amdhsa_system_sgpr_workgroup_info 0
		.amdhsa_system_vgpr_workitem_id 0
		.amdhsa_next_free_vgpr 43
		.amdhsa_next_free_sgpr 44
		.amdhsa_accum_offset 44
		.amdhsa_reserve_vcc 1
		.amdhsa_reserve_flat_scratch 0
		.amdhsa_float_round_mode_32 0
		.amdhsa_float_round_mode_16_64 0
		.amdhsa_float_denorm_mode_32 3
		.amdhsa_float_denorm_mode_16_64 3
		.amdhsa_dx10_clamp 1
		.amdhsa_ieee_mode 1
		.amdhsa_fp16_overflow 0
		.amdhsa_tg_split 0
		.amdhsa_exception_fp_ieee_invalid_op 0
		.amdhsa_exception_fp_denorm_src 0
		.amdhsa_exception_fp_ieee_div_zero 0
		.amdhsa_exception_fp_ieee_overflow 0
		.amdhsa_exception_fp_ieee_underflow 0
		.amdhsa_exception_fp_ieee_inexact 0
		.amdhsa_exception_int_div_zero 0
	.end_amdhsa_kernel
	.section	.text._ZN7rocprim17ROCPRIM_400000_NS6detail17trampoline_kernelINS0_14default_configENS1_25partition_config_selectorILNS1_17partition_subalgoE0ExNS0_10empty_typeEbEEZZNS1_14partition_implILS5_0ELb0ES3_jN6thrust23THRUST_200600_302600_NS6detail15normal_iteratorINSA_10device_ptrIxEEEEPS6_SG_NS0_5tupleIJSF_SF_EEENSH_IJSG_SG_EEES6_PlJ7is_evenIxEEEE10hipError_tPvRmT3_T4_T5_T6_T7_T9_mT8_P12ihipStream_tbDpT10_ENKUlT_T0_E_clISt17integral_constantIbLb0EES16_EEDaS11_S12_EUlS11_E_NS1_11comp_targetILNS1_3genE4ELNS1_11target_archE910ELNS1_3gpuE8ELNS1_3repE0EEENS1_30default_config_static_selectorELNS0_4arch9wavefront6targetE1EEEvT1_,"axG",@progbits,_ZN7rocprim17ROCPRIM_400000_NS6detail17trampoline_kernelINS0_14default_configENS1_25partition_config_selectorILNS1_17partition_subalgoE0ExNS0_10empty_typeEbEEZZNS1_14partition_implILS5_0ELb0ES3_jN6thrust23THRUST_200600_302600_NS6detail15normal_iteratorINSA_10device_ptrIxEEEEPS6_SG_NS0_5tupleIJSF_SF_EEENSH_IJSG_SG_EEES6_PlJ7is_evenIxEEEE10hipError_tPvRmT3_T4_T5_T6_T7_T9_mT8_P12ihipStream_tbDpT10_ENKUlT_T0_E_clISt17integral_constantIbLb0EES16_EEDaS11_S12_EUlS11_E_NS1_11comp_targetILNS1_3genE4ELNS1_11target_archE910ELNS1_3gpuE8ELNS1_3repE0EEENS1_30default_config_static_selectorELNS0_4arch9wavefront6targetE1EEEvT1_,comdat
.Lfunc_end291:
	.size	_ZN7rocprim17ROCPRIM_400000_NS6detail17trampoline_kernelINS0_14default_configENS1_25partition_config_selectorILNS1_17partition_subalgoE0ExNS0_10empty_typeEbEEZZNS1_14partition_implILS5_0ELb0ES3_jN6thrust23THRUST_200600_302600_NS6detail15normal_iteratorINSA_10device_ptrIxEEEEPS6_SG_NS0_5tupleIJSF_SF_EEENSH_IJSG_SG_EEES6_PlJ7is_evenIxEEEE10hipError_tPvRmT3_T4_T5_T6_T7_T9_mT8_P12ihipStream_tbDpT10_ENKUlT_T0_E_clISt17integral_constantIbLb0EES16_EEDaS11_S12_EUlS11_E_NS1_11comp_targetILNS1_3genE4ELNS1_11target_archE910ELNS1_3gpuE8ELNS1_3repE0EEENS1_30default_config_static_selectorELNS0_4arch9wavefront6targetE1EEEvT1_, .Lfunc_end291-_ZN7rocprim17ROCPRIM_400000_NS6detail17trampoline_kernelINS0_14default_configENS1_25partition_config_selectorILNS1_17partition_subalgoE0ExNS0_10empty_typeEbEEZZNS1_14partition_implILS5_0ELb0ES3_jN6thrust23THRUST_200600_302600_NS6detail15normal_iteratorINSA_10device_ptrIxEEEEPS6_SG_NS0_5tupleIJSF_SF_EEENSH_IJSG_SG_EEES6_PlJ7is_evenIxEEEE10hipError_tPvRmT3_T4_T5_T6_T7_T9_mT8_P12ihipStream_tbDpT10_ENKUlT_T0_E_clISt17integral_constantIbLb0EES16_EEDaS11_S12_EUlS11_E_NS1_11comp_targetILNS1_3genE4ELNS1_11target_archE910ELNS1_3gpuE8ELNS1_3repE0EEENS1_30default_config_static_selectorELNS0_4arch9wavefront6targetE1EEEvT1_
                                        ; -- End function
	.section	.AMDGPU.csdata,"",@progbits
; Kernel info:
; codeLenInByte = 3576
; NumSgprs: 48
; NumVgprs: 43
; NumAgprs: 0
; TotalNumVgprs: 43
; ScratchSize: 0
; MemoryBound: 0
; FloatMode: 240
; IeeeMode: 1
; LDSByteSize: 6344 bytes/workgroup (compile time only)
; SGPRBlocks: 5
; VGPRBlocks: 5
; NumSGPRsForWavesPerEU: 48
; NumVGPRsForWavesPerEU: 43
; AccumOffset: 44
; Occupancy: 8
; WaveLimiterHint : 1
; COMPUTE_PGM_RSRC2:SCRATCH_EN: 0
; COMPUTE_PGM_RSRC2:USER_SGPR: 6
; COMPUTE_PGM_RSRC2:TRAP_HANDLER: 0
; COMPUTE_PGM_RSRC2:TGID_X_EN: 1
; COMPUTE_PGM_RSRC2:TGID_Y_EN: 0
; COMPUTE_PGM_RSRC2:TGID_Z_EN: 0
; COMPUTE_PGM_RSRC2:TIDIG_COMP_CNT: 0
; COMPUTE_PGM_RSRC3_GFX90A:ACCUM_OFFSET: 10
; COMPUTE_PGM_RSRC3_GFX90A:TG_SPLIT: 0
	.section	.text._ZN7rocprim17ROCPRIM_400000_NS6detail17trampoline_kernelINS0_14default_configENS1_25partition_config_selectorILNS1_17partition_subalgoE0ExNS0_10empty_typeEbEEZZNS1_14partition_implILS5_0ELb0ES3_jN6thrust23THRUST_200600_302600_NS6detail15normal_iteratorINSA_10device_ptrIxEEEEPS6_SG_NS0_5tupleIJSF_SF_EEENSH_IJSG_SG_EEES6_PlJ7is_evenIxEEEE10hipError_tPvRmT3_T4_T5_T6_T7_T9_mT8_P12ihipStream_tbDpT10_ENKUlT_T0_E_clISt17integral_constantIbLb0EES16_EEDaS11_S12_EUlS11_E_NS1_11comp_targetILNS1_3genE3ELNS1_11target_archE908ELNS1_3gpuE7ELNS1_3repE0EEENS1_30default_config_static_selectorELNS0_4arch9wavefront6targetE1EEEvT1_,"axG",@progbits,_ZN7rocprim17ROCPRIM_400000_NS6detail17trampoline_kernelINS0_14default_configENS1_25partition_config_selectorILNS1_17partition_subalgoE0ExNS0_10empty_typeEbEEZZNS1_14partition_implILS5_0ELb0ES3_jN6thrust23THRUST_200600_302600_NS6detail15normal_iteratorINSA_10device_ptrIxEEEEPS6_SG_NS0_5tupleIJSF_SF_EEENSH_IJSG_SG_EEES6_PlJ7is_evenIxEEEE10hipError_tPvRmT3_T4_T5_T6_T7_T9_mT8_P12ihipStream_tbDpT10_ENKUlT_T0_E_clISt17integral_constantIbLb0EES16_EEDaS11_S12_EUlS11_E_NS1_11comp_targetILNS1_3genE3ELNS1_11target_archE908ELNS1_3gpuE7ELNS1_3repE0EEENS1_30default_config_static_selectorELNS0_4arch9wavefront6targetE1EEEvT1_,comdat
	.protected	_ZN7rocprim17ROCPRIM_400000_NS6detail17trampoline_kernelINS0_14default_configENS1_25partition_config_selectorILNS1_17partition_subalgoE0ExNS0_10empty_typeEbEEZZNS1_14partition_implILS5_0ELb0ES3_jN6thrust23THRUST_200600_302600_NS6detail15normal_iteratorINSA_10device_ptrIxEEEEPS6_SG_NS0_5tupleIJSF_SF_EEENSH_IJSG_SG_EEES6_PlJ7is_evenIxEEEE10hipError_tPvRmT3_T4_T5_T6_T7_T9_mT8_P12ihipStream_tbDpT10_ENKUlT_T0_E_clISt17integral_constantIbLb0EES16_EEDaS11_S12_EUlS11_E_NS1_11comp_targetILNS1_3genE3ELNS1_11target_archE908ELNS1_3gpuE7ELNS1_3repE0EEENS1_30default_config_static_selectorELNS0_4arch9wavefront6targetE1EEEvT1_ ; -- Begin function _ZN7rocprim17ROCPRIM_400000_NS6detail17trampoline_kernelINS0_14default_configENS1_25partition_config_selectorILNS1_17partition_subalgoE0ExNS0_10empty_typeEbEEZZNS1_14partition_implILS5_0ELb0ES3_jN6thrust23THRUST_200600_302600_NS6detail15normal_iteratorINSA_10device_ptrIxEEEEPS6_SG_NS0_5tupleIJSF_SF_EEENSH_IJSG_SG_EEES6_PlJ7is_evenIxEEEE10hipError_tPvRmT3_T4_T5_T6_T7_T9_mT8_P12ihipStream_tbDpT10_ENKUlT_T0_E_clISt17integral_constantIbLb0EES16_EEDaS11_S12_EUlS11_E_NS1_11comp_targetILNS1_3genE3ELNS1_11target_archE908ELNS1_3gpuE7ELNS1_3repE0EEENS1_30default_config_static_selectorELNS0_4arch9wavefront6targetE1EEEvT1_
	.globl	_ZN7rocprim17ROCPRIM_400000_NS6detail17trampoline_kernelINS0_14default_configENS1_25partition_config_selectorILNS1_17partition_subalgoE0ExNS0_10empty_typeEbEEZZNS1_14partition_implILS5_0ELb0ES3_jN6thrust23THRUST_200600_302600_NS6detail15normal_iteratorINSA_10device_ptrIxEEEEPS6_SG_NS0_5tupleIJSF_SF_EEENSH_IJSG_SG_EEES6_PlJ7is_evenIxEEEE10hipError_tPvRmT3_T4_T5_T6_T7_T9_mT8_P12ihipStream_tbDpT10_ENKUlT_T0_E_clISt17integral_constantIbLb0EES16_EEDaS11_S12_EUlS11_E_NS1_11comp_targetILNS1_3genE3ELNS1_11target_archE908ELNS1_3gpuE7ELNS1_3repE0EEENS1_30default_config_static_selectorELNS0_4arch9wavefront6targetE1EEEvT1_
	.p2align	8
	.type	_ZN7rocprim17ROCPRIM_400000_NS6detail17trampoline_kernelINS0_14default_configENS1_25partition_config_selectorILNS1_17partition_subalgoE0ExNS0_10empty_typeEbEEZZNS1_14partition_implILS5_0ELb0ES3_jN6thrust23THRUST_200600_302600_NS6detail15normal_iteratorINSA_10device_ptrIxEEEEPS6_SG_NS0_5tupleIJSF_SF_EEENSH_IJSG_SG_EEES6_PlJ7is_evenIxEEEE10hipError_tPvRmT3_T4_T5_T6_T7_T9_mT8_P12ihipStream_tbDpT10_ENKUlT_T0_E_clISt17integral_constantIbLb0EES16_EEDaS11_S12_EUlS11_E_NS1_11comp_targetILNS1_3genE3ELNS1_11target_archE908ELNS1_3gpuE7ELNS1_3repE0EEENS1_30default_config_static_selectorELNS0_4arch9wavefront6targetE1EEEvT1_,@function
_ZN7rocprim17ROCPRIM_400000_NS6detail17trampoline_kernelINS0_14default_configENS1_25partition_config_selectorILNS1_17partition_subalgoE0ExNS0_10empty_typeEbEEZZNS1_14partition_implILS5_0ELb0ES3_jN6thrust23THRUST_200600_302600_NS6detail15normal_iteratorINSA_10device_ptrIxEEEEPS6_SG_NS0_5tupleIJSF_SF_EEENSH_IJSG_SG_EEES6_PlJ7is_evenIxEEEE10hipError_tPvRmT3_T4_T5_T6_T7_T9_mT8_P12ihipStream_tbDpT10_ENKUlT_T0_E_clISt17integral_constantIbLb0EES16_EEDaS11_S12_EUlS11_E_NS1_11comp_targetILNS1_3genE3ELNS1_11target_archE908ELNS1_3gpuE7ELNS1_3repE0EEENS1_30default_config_static_selectorELNS0_4arch9wavefront6targetE1EEEvT1_: ; @_ZN7rocprim17ROCPRIM_400000_NS6detail17trampoline_kernelINS0_14default_configENS1_25partition_config_selectorILNS1_17partition_subalgoE0ExNS0_10empty_typeEbEEZZNS1_14partition_implILS5_0ELb0ES3_jN6thrust23THRUST_200600_302600_NS6detail15normal_iteratorINSA_10device_ptrIxEEEEPS6_SG_NS0_5tupleIJSF_SF_EEENSH_IJSG_SG_EEES6_PlJ7is_evenIxEEEE10hipError_tPvRmT3_T4_T5_T6_T7_T9_mT8_P12ihipStream_tbDpT10_ENKUlT_T0_E_clISt17integral_constantIbLb0EES16_EEDaS11_S12_EUlS11_E_NS1_11comp_targetILNS1_3genE3ELNS1_11target_archE908ELNS1_3gpuE7ELNS1_3repE0EEENS1_30default_config_static_selectorELNS0_4arch9wavefront6targetE1EEEvT1_
; %bb.0:
	.section	.rodata,"a",@progbits
	.p2align	6, 0x0
	.amdhsa_kernel _ZN7rocprim17ROCPRIM_400000_NS6detail17trampoline_kernelINS0_14default_configENS1_25partition_config_selectorILNS1_17partition_subalgoE0ExNS0_10empty_typeEbEEZZNS1_14partition_implILS5_0ELb0ES3_jN6thrust23THRUST_200600_302600_NS6detail15normal_iteratorINSA_10device_ptrIxEEEEPS6_SG_NS0_5tupleIJSF_SF_EEENSH_IJSG_SG_EEES6_PlJ7is_evenIxEEEE10hipError_tPvRmT3_T4_T5_T6_T7_T9_mT8_P12ihipStream_tbDpT10_ENKUlT_T0_E_clISt17integral_constantIbLb0EES16_EEDaS11_S12_EUlS11_E_NS1_11comp_targetILNS1_3genE3ELNS1_11target_archE908ELNS1_3gpuE7ELNS1_3repE0EEENS1_30default_config_static_selectorELNS0_4arch9wavefront6targetE1EEEvT1_
		.amdhsa_group_segment_fixed_size 0
		.amdhsa_private_segment_fixed_size 0
		.amdhsa_kernarg_size 120
		.amdhsa_user_sgpr_count 6
		.amdhsa_user_sgpr_private_segment_buffer 1
		.amdhsa_user_sgpr_dispatch_ptr 0
		.amdhsa_user_sgpr_queue_ptr 0
		.amdhsa_user_sgpr_kernarg_segment_ptr 1
		.amdhsa_user_sgpr_dispatch_id 0
		.amdhsa_user_sgpr_flat_scratch_init 0
		.amdhsa_user_sgpr_kernarg_preload_length 0
		.amdhsa_user_sgpr_kernarg_preload_offset 0
		.amdhsa_user_sgpr_private_segment_size 0
		.amdhsa_uses_dynamic_stack 0
		.amdhsa_system_sgpr_private_segment_wavefront_offset 0
		.amdhsa_system_sgpr_workgroup_id_x 1
		.amdhsa_system_sgpr_workgroup_id_y 0
		.amdhsa_system_sgpr_workgroup_id_z 0
		.amdhsa_system_sgpr_workgroup_info 0
		.amdhsa_system_vgpr_workitem_id 0
		.amdhsa_next_free_vgpr 1
		.amdhsa_next_free_sgpr 0
		.amdhsa_accum_offset 4
		.amdhsa_reserve_vcc 0
		.amdhsa_reserve_flat_scratch 0
		.amdhsa_float_round_mode_32 0
		.amdhsa_float_round_mode_16_64 0
		.amdhsa_float_denorm_mode_32 3
		.amdhsa_float_denorm_mode_16_64 3
		.amdhsa_dx10_clamp 1
		.amdhsa_ieee_mode 1
		.amdhsa_fp16_overflow 0
		.amdhsa_tg_split 0
		.amdhsa_exception_fp_ieee_invalid_op 0
		.amdhsa_exception_fp_denorm_src 0
		.amdhsa_exception_fp_ieee_div_zero 0
		.amdhsa_exception_fp_ieee_overflow 0
		.amdhsa_exception_fp_ieee_underflow 0
		.amdhsa_exception_fp_ieee_inexact 0
		.amdhsa_exception_int_div_zero 0
	.end_amdhsa_kernel
	.section	.text._ZN7rocprim17ROCPRIM_400000_NS6detail17trampoline_kernelINS0_14default_configENS1_25partition_config_selectorILNS1_17partition_subalgoE0ExNS0_10empty_typeEbEEZZNS1_14partition_implILS5_0ELb0ES3_jN6thrust23THRUST_200600_302600_NS6detail15normal_iteratorINSA_10device_ptrIxEEEEPS6_SG_NS0_5tupleIJSF_SF_EEENSH_IJSG_SG_EEES6_PlJ7is_evenIxEEEE10hipError_tPvRmT3_T4_T5_T6_T7_T9_mT8_P12ihipStream_tbDpT10_ENKUlT_T0_E_clISt17integral_constantIbLb0EES16_EEDaS11_S12_EUlS11_E_NS1_11comp_targetILNS1_3genE3ELNS1_11target_archE908ELNS1_3gpuE7ELNS1_3repE0EEENS1_30default_config_static_selectorELNS0_4arch9wavefront6targetE1EEEvT1_,"axG",@progbits,_ZN7rocprim17ROCPRIM_400000_NS6detail17trampoline_kernelINS0_14default_configENS1_25partition_config_selectorILNS1_17partition_subalgoE0ExNS0_10empty_typeEbEEZZNS1_14partition_implILS5_0ELb0ES3_jN6thrust23THRUST_200600_302600_NS6detail15normal_iteratorINSA_10device_ptrIxEEEEPS6_SG_NS0_5tupleIJSF_SF_EEENSH_IJSG_SG_EEES6_PlJ7is_evenIxEEEE10hipError_tPvRmT3_T4_T5_T6_T7_T9_mT8_P12ihipStream_tbDpT10_ENKUlT_T0_E_clISt17integral_constantIbLb0EES16_EEDaS11_S12_EUlS11_E_NS1_11comp_targetILNS1_3genE3ELNS1_11target_archE908ELNS1_3gpuE7ELNS1_3repE0EEENS1_30default_config_static_selectorELNS0_4arch9wavefront6targetE1EEEvT1_,comdat
.Lfunc_end292:
	.size	_ZN7rocprim17ROCPRIM_400000_NS6detail17trampoline_kernelINS0_14default_configENS1_25partition_config_selectorILNS1_17partition_subalgoE0ExNS0_10empty_typeEbEEZZNS1_14partition_implILS5_0ELb0ES3_jN6thrust23THRUST_200600_302600_NS6detail15normal_iteratorINSA_10device_ptrIxEEEEPS6_SG_NS0_5tupleIJSF_SF_EEENSH_IJSG_SG_EEES6_PlJ7is_evenIxEEEE10hipError_tPvRmT3_T4_T5_T6_T7_T9_mT8_P12ihipStream_tbDpT10_ENKUlT_T0_E_clISt17integral_constantIbLb0EES16_EEDaS11_S12_EUlS11_E_NS1_11comp_targetILNS1_3genE3ELNS1_11target_archE908ELNS1_3gpuE7ELNS1_3repE0EEENS1_30default_config_static_selectorELNS0_4arch9wavefront6targetE1EEEvT1_, .Lfunc_end292-_ZN7rocprim17ROCPRIM_400000_NS6detail17trampoline_kernelINS0_14default_configENS1_25partition_config_selectorILNS1_17partition_subalgoE0ExNS0_10empty_typeEbEEZZNS1_14partition_implILS5_0ELb0ES3_jN6thrust23THRUST_200600_302600_NS6detail15normal_iteratorINSA_10device_ptrIxEEEEPS6_SG_NS0_5tupleIJSF_SF_EEENSH_IJSG_SG_EEES6_PlJ7is_evenIxEEEE10hipError_tPvRmT3_T4_T5_T6_T7_T9_mT8_P12ihipStream_tbDpT10_ENKUlT_T0_E_clISt17integral_constantIbLb0EES16_EEDaS11_S12_EUlS11_E_NS1_11comp_targetILNS1_3genE3ELNS1_11target_archE908ELNS1_3gpuE7ELNS1_3repE0EEENS1_30default_config_static_selectorELNS0_4arch9wavefront6targetE1EEEvT1_
                                        ; -- End function
	.section	.AMDGPU.csdata,"",@progbits
; Kernel info:
; codeLenInByte = 0
; NumSgprs: 4
; NumVgprs: 0
; NumAgprs: 0
; TotalNumVgprs: 0
; ScratchSize: 0
; MemoryBound: 0
; FloatMode: 240
; IeeeMode: 1
; LDSByteSize: 0 bytes/workgroup (compile time only)
; SGPRBlocks: 0
; VGPRBlocks: 0
; NumSGPRsForWavesPerEU: 4
; NumVGPRsForWavesPerEU: 1
; AccumOffset: 4
; Occupancy: 8
; WaveLimiterHint : 0
; COMPUTE_PGM_RSRC2:SCRATCH_EN: 0
; COMPUTE_PGM_RSRC2:USER_SGPR: 6
; COMPUTE_PGM_RSRC2:TRAP_HANDLER: 0
; COMPUTE_PGM_RSRC2:TGID_X_EN: 1
; COMPUTE_PGM_RSRC2:TGID_Y_EN: 0
; COMPUTE_PGM_RSRC2:TGID_Z_EN: 0
; COMPUTE_PGM_RSRC2:TIDIG_COMP_CNT: 0
; COMPUTE_PGM_RSRC3_GFX90A:ACCUM_OFFSET: 0
; COMPUTE_PGM_RSRC3_GFX90A:TG_SPLIT: 0
	.section	.text._ZN7rocprim17ROCPRIM_400000_NS6detail17trampoline_kernelINS0_14default_configENS1_25partition_config_selectorILNS1_17partition_subalgoE0ExNS0_10empty_typeEbEEZZNS1_14partition_implILS5_0ELb0ES3_jN6thrust23THRUST_200600_302600_NS6detail15normal_iteratorINSA_10device_ptrIxEEEEPS6_SG_NS0_5tupleIJSF_SF_EEENSH_IJSG_SG_EEES6_PlJ7is_evenIxEEEE10hipError_tPvRmT3_T4_T5_T6_T7_T9_mT8_P12ihipStream_tbDpT10_ENKUlT_T0_E_clISt17integral_constantIbLb0EES16_EEDaS11_S12_EUlS11_E_NS1_11comp_targetILNS1_3genE2ELNS1_11target_archE906ELNS1_3gpuE6ELNS1_3repE0EEENS1_30default_config_static_selectorELNS0_4arch9wavefront6targetE1EEEvT1_,"axG",@progbits,_ZN7rocprim17ROCPRIM_400000_NS6detail17trampoline_kernelINS0_14default_configENS1_25partition_config_selectorILNS1_17partition_subalgoE0ExNS0_10empty_typeEbEEZZNS1_14partition_implILS5_0ELb0ES3_jN6thrust23THRUST_200600_302600_NS6detail15normal_iteratorINSA_10device_ptrIxEEEEPS6_SG_NS0_5tupleIJSF_SF_EEENSH_IJSG_SG_EEES6_PlJ7is_evenIxEEEE10hipError_tPvRmT3_T4_T5_T6_T7_T9_mT8_P12ihipStream_tbDpT10_ENKUlT_T0_E_clISt17integral_constantIbLb0EES16_EEDaS11_S12_EUlS11_E_NS1_11comp_targetILNS1_3genE2ELNS1_11target_archE906ELNS1_3gpuE6ELNS1_3repE0EEENS1_30default_config_static_selectorELNS0_4arch9wavefront6targetE1EEEvT1_,comdat
	.protected	_ZN7rocprim17ROCPRIM_400000_NS6detail17trampoline_kernelINS0_14default_configENS1_25partition_config_selectorILNS1_17partition_subalgoE0ExNS0_10empty_typeEbEEZZNS1_14partition_implILS5_0ELb0ES3_jN6thrust23THRUST_200600_302600_NS6detail15normal_iteratorINSA_10device_ptrIxEEEEPS6_SG_NS0_5tupleIJSF_SF_EEENSH_IJSG_SG_EEES6_PlJ7is_evenIxEEEE10hipError_tPvRmT3_T4_T5_T6_T7_T9_mT8_P12ihipStream_tbDpT10_ENKUlT_T0_E_clISt17integral_constantIbLb0EES16_EEDaS11_S12_EUlS11_E_NS1_11comp_targetILNS1_3genE2ELNS1_11target_archE906ELNS1_3gpuE6ELNS1_3repE0EEENS1_30default_config_static_selectorELNS0_4arch9wavefront6targetE1EEEvT1_ ; -- Begin function _ZN7rocprim17ROCPRIM_400000_NS6detail17trampoline_kernelINS0_14default_configENS1_25partition_config_selectorILNS1_17partition_subalgoE0ExNS0_10empty_typeEbEEZZNS1_14partition_implILS5_0ELb0ES3_jN6thrust23THRUST_200600_302600_NS6detail15normal_iteratorINSA_10device_ptrIxEEEEPS6_SG_NS0_5tupleIJSF_SF_EEENSH_IJSG_SG_EEES6_PlJ7is_evenIxEEEE10hipError_tPvRmT3_T4_T5_T6_T7_T9_mT8_P12ihipStream_tbDpT10_ENKUlT_T0_E_clISt17integral_constantIbLb0EES16_EEDaS11_S12_EUlS11_E_NS1_11comp_targetILNS1_3genE2ELNS1_11target_archE906ELNS1_3gpuE6ELNS1_3repE0EEENS1_30default_config_static_selectorELNS0_4arch9wavefront6targetE1EEEvT1_
	.globl	_ZN7rocprim17ROCPRIM_400000_NS6detail17trampoline_kernelINS0_14default_configENS1_25partition_config_selectorILNS1_17partition_subalgoE0ExNS0_10empty_typeEbEEZZNS1_14partition_implILS5_0ELb0ES3_jN6thrust23THRUST_200600_302600_NS6detail15normal_iteratorINSA_10device_ptrIxEEEEPS6_SG_NS0_5tupleIJSF_SF_EEENSH_IJSG_SG_EEES6_PlJ7is_evenIxEEEE10hipError_tPvRmT3_T4_T5_T6_T7_T9_mT8_P12ihipStream_tbDpT10_ENKUlT_T0_E_clISt17integral_constantIbLb0EES16_EEDaS11_S12_EUlS11_E_NS1_11comp_targetILNS1_3genE2ELNS1_11target_archE906ELNS1_3gpuE6ELNS1_3repE0EEENS1_30default_config_static_selectorELNS0_4arch9wavefront6targetE1EEEvT1_
	.p2align	8
	.type	_ZN7rocprim17ROCPRIM_400000_NS6detail17trampoline_kernelINS0_14default_configENS1_25partition_config_selectorILNS1_17partition_subalgoE0ExNS0_10empty_typeEbEEZZNS1_14partition_implILS5_0ELb0ES3_jN6thrust23THRUST_200600_302600_NS6detail15normal_iteratorINSA_10device_ptrIxEEEEPS6_SG_NS0_5tupleIJSF_SF_EEENSH_IJSG_SG_EEES6_PlJ7is_evenIxEEEE10hipError_tPvRmT3_T4_T5_T6_T7_T9_mT8_P12ihipStream_tbDpT10_ENKUlT_T0_E_clISt17integral_constantIbLb0EES16_EEDaS11_S12_EUlS11_E_NS1_11comp_targetILNS1_3genE2ELNS1_11target_archE906ELNS1_3gpuE6ELNS1_3repE0EEENS1_30default_config_static_selectorELNS0_4arch9wavefront6targetE1EEEvT1_,@function
_ZN7rocprim17ROCPRIM_400000_NS6detail17trampoline_kernelINS0_14default_configENS1_25partition_config_selectorILNS1_17partition_subalgoE0ExNS0_10empty_typeEbEEZZNS1_14partition_implILS5_0ELb0ES3_jN6thrust23THRUST_200600_302600_NS6detail15normal_iteratorINSA_10device_ptrIxEEEEPS6_SG_NS0_5tupleIJSF_SF_EEENSH_IJSG_SG_EEES6_PlJ7is_evenIxEEEE10hipError_tPvRmT3_T4_T5_T6_T7_T9_mT8_P12ihipStream_tbDpT10_ENKUlT_T0_E_clISt17integral_constantIbLb0EES16_EEDaS11_S12_EUlS11_E_NS1_11comp_targetILNS1_3genE2ELNS1_11target_archE906ELNS1_3gpuE6ELNS1_3repE0EEENS1_30default_config_static_selectorELNS0_4arch9wavefront6targetE1EEEvT1_: ; @_ZN7rocprim17ROCPRIM_400000_NS6detail17trampoline_kernelINS0_14default_configENS1_25partition_config_selectorILNS1_17partition_subalgoE0ExNS0_10empty_typeEbEEZZNS1_14partition_implILS5_0ELb0ES3_jN6thrust23THRUST_200600_302600_NS6detail15normal_iteratorINSA_10device_ptrIxEEEEPS6_SG_NS0_5tupleIJSF_SF_EEENSH_IJSG_SG_EEES6_PlJ7is_evenIxEEEE10hipError_tPvRmT3_T4_T5_T6_T7_T9_mT8_P12ihipStream_tbDpT10_ENKUlT_T0_E_clISt17integral_constantIbLb0EES16_EEDaS11_S12_EUlS11_E_NS1_11comp_targetILNS1_3genE2ELNS1_11target_archE906ELNS1_3gpuE6ELNS1_3repE0EEENS1_30default_config_static_selectorELNS0_4arch9wavefront6targetE1EEEvT1_
; %bb.0:
	.section	.rodata,"a",@progbits
	.p2align	6, 0x0
	.amdhsa_kernel _ZN7rocprim17ROCPRIM_400000_NS6detail17trampoline_kernelINS0_14default_configENS1_25partition_config_selectorILNS1_17partition_subalgoE0ExNS0_10empty_typeEbEEZZNS1_14partition_implILS5_0ELb0ES3_jN6thrust23THRUST_200600_302600_NS6detail15normal_iteratorINSA_10device_ptrIxEEEEPS6_SG_NS0_5tupleIJSF_SF_EEENSH_IJSG_SG_EEES6_PlJ7is_evenIxEEEE10hipError_tPvRmT3_T4_T5_T6_T7_T9_mT8_P12ihipStream_tbDpT10_ENKUlT_T0_E_clISt17integral_constantIbLb0EES16_EEDaS11_S12_EUlS11_E_NS1_11comp_targetILNS1_3genE2ELNS1_11target_archE906ELNS1_3gpuE6ELNS1_3repE0EEENS1_30default_config_static_selectorELNS0_4arch9wavefront6targetE1EEEvT1_
		.amdhsa_group_segment_fixed_size 0
		.amdhsa_private_segment_fixed_size 0
		.amdhsa_kernarg_size 120
		.amdhsa_user_sgpr_count 6
		.amdhsa_user_sgpr_private_segment_buffer 1
		.amdhsa_user_sgpr_dispatch_ptr 0
		.amdhsa_user_sgpr_queue_ptr 0
		.amdhsa_user_sgpr_kernarg_segment_ptr 1
		.amdhsa_user_sgpr_dispatch_id 0
		.amdhsa_user_sgpr_flat_scratch_init 0
		.amdhsa_user_sgpr_kernarg_preload_length 0
		.amdhsa_user_sgpr_kernarg_preload_offset 0
		.amdhsa_user_sgpr_private_segment_size 0
		.amdhsa_uses_dynamic_stack 0
		.amdhsa_system_sgpr_private_segment_wavefront_offset 0
		.amdhsa_system_sgpr_workgroup_id_x 1
		.amdhsa_system_sgpr_workgroup_id_y 0
		.amdhsa_system_sgpr_workgroup_id_z 0
		.amdhsa_system_sgpr_workgroup_info 0
		.amdhsa_system_vgpr_workitem_id 0
		.amdhsa_next_free_vgpr 1
		.amdhsa_next_free_sgpr 0
		.amdhsa_accum_offset 4
		.amdhsa_reserve_vcc 0
		.amdhsa_reserve_flat_scratch 0
		.amdhsa_float_round_mode_32 0
		.amdhsa_float_round_mode_16_64 0
		.amdhsa_float_denorm_mode_32 3
		.amdhsa_float_denorm_mode_16_64 3
		.amdhsa_dx10_clamp 1
		.amdhsa_ieee_mode 1
		.amdhsa_fp16_overflow 0
		.amdhsa_tg_split 0
		.amdhsa_exception_fp_ieee_invalid_op 0
		.amdhsa_exception_fp_denorm_src 0
		.amdhsa_exception_fp_ieee_div_zero 0
		.amdhsa_exception_fp_ieee_overflow 0
		.amdhsa_exception_fp_ieee_underflow 0
		.amdhsa_exception_fp_ieee_inexact 0
		.amdhsa_exception_int_div_zero 0
	.end_amdhsa_kernel
	.section	.text._ZN7rocprim17ROCPRIM_400000_NS6detail17trampoline_kernelINS0_14default_configENS1_25partition_config_selectorILNS1_17partition_subalgoE0ExNS0_10empty_typeEbEEZZNS1_14partition_implILS5_0ELb0ES3_jN6thrust23THRUST_200600_302600_NS6detail15normal_iteratorINSA_10device_ptrIxEEEEPS6_SG_NS0_5tupleIJSF_SF_EEENSH_IJSG_SG_EEES6_PlJ7is_evenIxEEEE10hipError_tPvRmT3_T4_T5_T6_T7_T9_mT8_P12ihipStream_tbDpT10_ENKUlT_T0_E_clISt17integral_constantIbLb0EES16_EEDaS11_S12_EUlS11_E_NS1_11comp_targetILNS1_3genE2ELNS1_11target_archE906ELNS1_3gpuE6ELNS1_3repE0EEENS1_30default_config_static_selectorELNS0_4arch9wavefront6targetE1EEEvT1_,"axG",@progbits,_ZN7rocprim17ROCPRIM_400000_NS6detail17trampoline_kernelINS0_14default_configENS1_25partition_config_selectorILNS1_17partition_subalgoE0ExNS0_10empty_typeEbEEZZNS1_14partition_implILS5_0ELb0ES3_jN6thrust23THRUST_200600_302600_NS6detail15normal_iteratorINSA_10device_ptrIxEEEEPS6_SG_NS0_5tupleIJSF_SF_EEENSH_IJSG_SG_EEES6_PlJ7is_evenIxEEEE10hipError_tPvRmT3_T4_T5_T6_T7_T9_mT8_P12ihipStream_tbDpT10_ENKUlT_T0_E_clISt17integral_constantIbLb0EES16_EEDaS11_S12_EUlS11_E_NS1_11comp_targetILNS1_3genE2ELNS1_11target_archE906ELNS1_3gpuE6ELNS1_3repE0EEENS1_30default_config_static_selectorELNS0_4arch9wavefront6targetE1EEEvT1_,comdat
.Lfunc_end293:
	.size	_ZN7rocprim17ROCPRIM_400000_NS6detail17trampoline_kernelINS0_14default_configENS1_25partition_config_selectorILNS1_17partition_subalgoE0ExNS0_10empty_typeEbEEZZNS1_14partition_implILS5_0ELb0ES3_jN6thrust23THRUST_200600_302600_NS6detail15normal_iteratorINSA_10device_ptrIxEEEEPS6_SG_NS0_5tupleIJSF_SF_EEENSH_IJSG_SG_EEES6_PlJ7is_evenIxEEEE10hipError_tPvRmT3_T4_T5_T6_T7_T9_mT8_P12ihipStream_tbDpT10_ENKUlT_T0_E_clISt17integral_constantIbLb0EES16_EEDaS11_S12_EUlS11_E_NS1_11comp_targetILNS1_3genE2ELNS1_11target_archE906ELNS1_3gpuE6ELNS1_3repE0EEENS1_30default_config_static_selectorELNS0_4arch9wavefront6targetE1EEEvT1_, .Lfunc_end293-_ZN7rocprim17ROCPRIM_400000_NS6detail17trampoline_kernelINS0_14default_configENS1_25partition_config_selectorILNS1_17partition_subalgoE0ExNS0_10empty_typeEbEEZZNS1_14partition_implILS5_0ELb0ES3_jN6thrust23THRUST_200600_302600_NS6detail15normal_iteratorINSA_10device_ptrIxEEEEPS6_SG_NS0_5tupleIJSF_SF_EEENSH_IJSG_SG_EEES6_PlJ7is_evenIxEEEE10hipError_tPvRmT3_T4_T5_T6_T7_T9_mT8_P12ihipStream_tbDpT10_ENKUlT_T0_E_clISt17integral_constantIbLb0EES16_EEDaS11_S12_EUlS11_E_NS1_11comp_targetILNS1_3genE2ELNS1_11target_archE906ELNS1_3gpuE6ELNS1_3repE0EEENS1_30default_config_static_selectorELNS0_4arch9wavefront6targetE1EEEvT1_
                                        ; -- End function
	.section	.AMDGPU.csdata,"",@progbits
; Kernel info:
; codeLenInByte = 0
; NumSgprs: 4
; NumVgprs: 0
; NumAgprs: 0
; TotalNumVgprs: 0
; ScratchSize: 0
; MemoryBound: 0
; FloatMode: 240
; IeeeMode: 1
; LDSByteSize: 0 bytes/workgroup (compile time only)
; SGPRBlocks: 0
; VGPRBlocks: 0
; NumSGPRsForWavesPerEU: 4
; NumVGPRsForWavesPerEU: 1
; AccumOffset: 4
; Occupancy: 8
; WaveLimiterHint : 0
; COMPUTE_PGM_RSRC2:SCRATCH_EN: 0
; COMPUTE_PGM_RSRC2:USER_SGPR: 6
; COMPUTE_PGM_RSRC2:TRAP_HANDLER: 0
; COMPUTE_PGM_RSRC2:TGID_X_EN: 1
; COMPUTE_PGM_RSRC2:TGID_Y_EN: 0
; COMPUTE_PGM_RSRC2:TGID_Z_EN: 0
; COMPUTE_PGM_RSRC2:TIDIG_COMP_CNT: 0
; COMPUTE_PGM_RSRC3_GFX90A:ACCUM_OFFSET: 0
; COMPUTE_PGM_RSRC3_GFX90A:TG_SPLIT: 0
	.section	.text._ZN7rocprim17ROCPRIM_400000_NS6detail17trampoline_kernelINS0_14default_configENS1_25partition_config_selectorILNS1_17partition_subalgoE0ExNS0_10empty_typeEbEEZZNS1_14partition_implILS5_0ELb0ES3_jN6thrust23THRUST_200600_302600_NS6detail15normal_iteratorINSA_10device_ptrIxEEEEPS6_SG_NS0_5tupleIJSF_SF_EEENSH_IJSG_SG_EEES6_PlJ7is_evenIxEEEE10hipError_tPvRmT3_T4_T5_T6_T7_T9_mT8_P12ihipStream_tbDpT10_ENKUlT_T0_E_clISt17integral_constantIbLb0EES16_EEDaS11_S12_EUlS11_E_NS1_11comp_targetILNS1_3genE10ELNS1_11target_archE1200ELNS1_3gpuE4ELNS1_3repE0EEENS1_30default_config_static_selectorELNS0_4arch9wavefront6targetE1EEEvT1_,"axG",@progbits,_ZN7rocprim17ROCPRIM_400000_NS6detail17trampoline_kernelINS0_14default_configENS1_25partition_config_selectorILNS1_17partition_subalgoE0ExNS0_10empty_typeEbEEZZNS1_14partition_implILS5_0ELb0ES3_jN6thrust23THRUST_200600_302600_NS6detail15normal_iteratorINSA_10device_ptrIxEEEEPS6_SG_NS0_5tupleIJSF_SF_EEENSH_IJSG_SG_EEES6_PlJ7is_evenIxEEEE10hipError_tPvRmT3_T4_T5_T6_T7_T9_mT8_P12ihipStream_tbDpT10_ENKUlT_T0_E_clISt17integral_constantIbLb0EES16_EEDaS11_S12_EUlS11_E_NS1_11comp_targetILNS1_3genE10ELNS1_11target_archE1200ELNS1_3gpuE4ELNS1_3repE0EEENS1_30default_config_static_selectorELNS0_4arch9wavefront6targetE1EEEvT1_,comdat
	.protected	_ZN7rocprim17ROCPRIM_400000_NS6detail17trampoline_kernelINS0_14default_configENS1_25partition_config_selectorILNS1_17partition_subalgoE0ExNS0_10empty_typeEbEEZZNS1_14partition_implILS5_0ELb0ES3_jN6thrust23THRUST_200600_302600_NS6detail15normal_iteratorINSA_10device_ptrIxEEEEPS6_SG_NS0_5tupleIJSF_SF_EEENSH_IJSG_SG_EEES6_PlJ7is_evenIxEEEE10hipError_tPvRmT3_T4_T5_T6_T7_T9_mT8_P12ihipStream_tbDpT10_ENKUlT_T0_E_clISt17integral_constantIbLb0EES16_EEDaS11_S12_EUlS11_E_NS1_11comp_targetILNS1_3genE10ELNS1_11target_archE1200ELNS1_3gpuE4ELNS1_3repE0EEENS1_30default_config_static_selectorELNS0_4arch9wavefront6targetE1EEEvT1_ ; -- Begin function _ZN7rocprim17ROCPRIM_400000_NS6detail17trampoline_kernelINS0_14default_configENS1_25partition_config_selectorILNS1_17partition_subalgoE0ExNS0_10empty_typeEbEEZZNS1_14partition_implILS5_0ELb0ES3_jN6thrust23THRUST_200600_302600_NS6detail15normal_iteratorINSA_10device_ptrIxEEEEPS6_SG_NS0_5tupleIJSF_SF_EEENSH_IJSG_SG_EEES6_PlJ7is_evenIxEEEE10hipError_tPvRmT3_T4_T5_T6_T7_T9_mT8_P12ihipStream_tbDpT10_ENKUlT_T0_E_clISt17integral_constantIbLb0EES16_EEDaS11_S12_EUlS11_E_NS1_11comp_targetILNS1_3genE10ELNS1_11target_archE1200ELNS1_3gpuE4ELNS1_3repE0EEENS1_30default_config_static_selectorELNS0_4arch9wavefront6targetE1EEEvT1_
	.globl	_ZN7rocprim17ROCPRIM_400000_NS6detail17trampoline_kernelINS0_14default_configENS1_25partition_config_selectorILNS1_17partition_subalgoE0ExNS0_10empty_typeEbEEZZNS1_14partition_implILS5_0ELb0ES3_jN6thrust23THRUST_200600_302600_NS6detail15normal_iteratorINSA_10device_ptrIxEEEEPS6_SG_NS0_5tupleIJSF_SF_EEENSH_IJSG_SG_EEES6_PlJ7is_evenIxEEEE10hipError_tPvRmT3_T4_T5_T6_T7_T9_mT8_P12ihipStream_tbDpT10_ENKUlT_T0_E_clISt17integral_constantIbLb0EES16_EEDaS11_S12_EUlS11_E_NS1_11comp_targetILNS1_3genE10ELNS1_11target_archE1200ELNS1_3gpuE4ELNS1_3repE0EEENS1_30default_config_static_selectorELNS0_4arch9wavefront6targetE1EEEvT1_
	.p2align	8
	.type	_ZN7rocprim17ROCPRIM_400000_NS6detail17trampoline_kernelINS0_14default_configENS1_25partition_config_selectorILNS1_17partition_subalgoE0ExNS0_10empty_typeEbEEZZNS1_14partition_implILS5_0ELb0ES3_jN6thrust23THRUST_200600_302600_NS6detail15normal_iteratorINSA_10device_ptrIxEEEEPS6_SG_NS0_5tupleIJSF_SF_EEENSH_IJSG_SG_EEES6_PlJ7is_evenIxEEEE10hipError_tPvRmT3_T4_T5_T6_T7_T9_mT8_P12ihipStream_tbDpT10_ENKUlT_T0_E_clISt17integral_constantIbLb0EES16_EEDaS11_S12_EUlS11_E_NS1_11comp_targetILNS1_3genE10ELNS1_11target_archE1200ELNS1_3gpuE4ELNS1_3repE0EEENS1_30default_config_static_selectorELNS0_4arch9wavefront6targetE1EEEvT1_,@function
_ZN7rocprim17ROCPRIM_400000_NS6detail17trampoline_kernelINS0_14default_configENS1_25partition_config_selectorILNS1_17partition_subalgoE0ExNS0_10empty_typeEbEEZZNS1_14partition_implILS5_0ELb0ES3_jN6thrust23THRUST_200600_302600_NS6detail15normal_iteratorINSA_10device_ptrIxEEEEPS6_SG_NS0_5tupleIJSF_SF_EEENSH_IJSG_SG_EEES6_PlJ7is_evenIxEEEE10hipError_tPvRmT3_T4_T5_T6_T7_T9_mT8_P12ihipStream_tbDpT10_ENKUlT_T0_E_clISt17integral_constantIbLb0EES16_EEDaS11_S12_EUlS11_E_NS1_11comp_targetILNS1_3genE10ELNS1_11target_archE1200ELNS1_3gpuE4ELNS1_3repE0EEENS1_30default_config_static_selectorELNS0_4arch9wavefront6targetE1EEEvT1_: ; @_ZN7rocprim17ROCPRIM_400000_NS6detail17trampoline_kernelINS0_14default_configENS1_25partition_config_selectorILNS1_17partition_subalgoE0ExNS0_10empty_typeEbEEZZNS1_14partition_implILS5_0ELb0ES3_jN6thrust23THRUST_200600_302600_NS6detail15normal_iteratorINSA_10device_ptrIxEEEEPS6_SG_NS0_5tupleIJSF_SF_EEENSH_IJSG_SG_EEES6_PlJ7is_evenIxEEEE10hipError_tPvRmT3_T4_T5_T6_T7_T9_mT8_P12ihipStream_tbDpT10_ENKUlT_T0_E_clISt17integral_constantIbLb0EES16_EEDaS11_S12_EUlS11_E_NS1_11comp_targetILNS1_3genE10ELNS1_11target_archE1200ELNS1_3gpuE4ELNS1_3repE0EEENS1_30default_config_static_selectorELNS0_4arch9wavefront6targetE1EEEvT1_
; %bb.0:
	.section	.rodata,"a",@progbits
	.p2align	6, 0x0
	.amdhsa_kernel _ZN7rocprim17ROCPRIM_400000_NS6detail17trampoline_kernelINS0_14default_configENS1_25partition_config_selectorILNS1_17partition_subalgoE0ExNS0_10empty_typeEbEEZZNS1_14partition_implILS5_0ELb0ES3_jN6thrust23THRUST_200600_302600_NS6detail15normal_iteratorINSA_10device_ptrIxEEEEPS6_SG_NS0_5tupleIJSF_SF_EEENSH_IJSG_SG_EEES6_PlJ7is_evenIxEEEE10hipError_tPvRmT3_T4_T5_T6_T7_T9_mT8_P12ihipStream_tbDpT10_ENKUlT_T0_E_clISt17integral_constantIbLb0EES16_EEDaS11_S12_EUlS11_E_NS1_11comp_targetILNS1_3genE10ELNS1_11target_archE1200ELNS1_3gpuE4ELNS1_3repE0EEENS1_30default_config_static_selectorELNS0_4arch9wavefront6targetE1EEEvT1_
		.amdhsa_group_segment_fixed_size 0
		.amdhsa_private_segment_fixed_size 0
		.amdhsa_kernarg_size 120
		.amdhsa_user_sgpr_count 6
		.amdhsa_user_sgpr_private_segment_buffer 1
		.amdhsa_user_sgpr_dispatch_ptr 0
		.amdhsa_user_sgpr_queue_ptr 0
		.amdhsa_user_sgpr_kernarg_segment_ptr 1
		.amdhsa_user_sgpr_dispatch_id 0
		.amdhsa_user_sgpr_flat_scratch_init 0
		.amdhsa_user_sgpr_kernarg_preload_length 0
		.amdhsa_user_sgpr_kernarg_preload_offset 0
		.amdhsa_user_sgpr_private_segment_size 0
		.amdhsa_uses_dynamic_stack 0
		.amdhsa_system_sgpr_private_segment_wavefront_offset 0
		.amdhsa_system_sgpr_workgroup_id_x 1
		.amdhsa_system_sgpr_workgroup_id_y 0
		.amdhsa_system_sgpr_workgroup_id_z 0
		.amdhsa_system_sgpr_workgroup_info 0
		.amdhsa_system_vgpr_workitem_id 0
		.amdhsa_next_free_vgpr 1
		.amdhsa_next_free_sgpr 0
		.amdhsa_accum_offset 4
		.amdhsa_reserve_vcc 0
		.amdhsa_reserve_flat_scratch 0
		.amdhsa_float_round_mode_32 0
		.amdhsa_float_round_mode_16_64 0
		.amdhsa_float_denorm_mode_32 3
		.amdhsa_float_denorm_mode_16_64 3
		.amdhsa_dx10_clamp 1
		.amdhsa_ieee_mode 1
		.amdhsa_fp16_overflow 0
		.amdhsa_tg_split 0
		.amdhsa_exception_fp_ieee_invalid_op 0
		.amdhsa_exception_fp_denorm_src 0
		.amdhsa_exception_fp_ieee_div_zero 0
		.amdhsa_exception_fp_ieee_overflow 0
		.amdhsa_exception_fp_ieee_underflow 0
		.amdhsa_exception_fp_ieee_inexact 0
		.amdhsa_exception_int_div_zero 0
	.end_amdhsa_kernel
	.section	.text._ZN7rocprim17ROCPRIM_400000_NS6detail17trampoline_kernelINS0_14default_configENS1_25partition_config_selectorILNS1_17partition_subalgoE0ExNS0_10empty_typeEbEEZZNS1_14partition_implILS5_0ELb0ES3_jN6thrust23THRUST_200600_302600_NS6detail15normal_iteratorINSA_10device_ptrIxEEEEPS6_SG_NS0_5tupleIJSF_SF_EEENSH_IJSG_SG_EEES6_PlJ7is_evenIxEEEE10hipError_tPvRmT3_T4_T5_T6_T7_T9_mT8_P12ihipStream_tbDpT10_ENKUlT_T0_E_clISt17integral_constantIbLb0EES16_EEDaS11_S12_EUlS11_E_NS1_11comp_targetILNS1_3genE10ELNS1_11target_archE1200ELNS1_3gpuE4ELNS1_3repE0EEENS1_30default_config_static_selectorELNS0_4arch9wavefront6targetE1EEEvT1_,"axG",@progbits,_ZN7rocprim17ROCPRIM_400000_NS6detail17trampoline_kernelINS0_14default_configENS1_25partition_config_selectorILNS1_17partition_subalgoE0ExNS0_10empty_typeEbEEZZNS1_14partition_implILS5_0ELb0ES3_jN6thrust23THRUST_200600_302600_NS6detail15normal_iteratorINSA_10device_ptrIxEEEEPS6_SG_NS0_5tupleIJSF_SF_EEENSH_IJSG_SG_EEES6_PlJ7is_evenIxEEEE10hipError_tPvRmT3_T4_T5_T6_T7_T9_mT8_P12ihipStream_tbDpT10_ENKUlT_T0_E_clISt17integral_constantIbLb0EES16_EEDaS11_S12_EUlS11_E_NS1_11comp_targetILNS1_3genE10ELNS1_11target_archE1200ELNS1_3gpuE4ELNS1_3repE0EEENS1_30default_config_static_selectorELNS0_4arch9wavefront6targetE1EEEvT1_,comdat
.Lfunc_end294:
	.size	_ZN7rocprim17ROCPRIM_400000_NS6detail17trampoline_kernelINS0_14default_configENS1_25partition_config_selectorILNS1_17partition_subalgoE0ExNS0_10empty_typeEbEEZZNS1_14partition_implILS5_0ELb0ES3_jN6thrust23THRUST_200600_302600_NS6detail15normal_iteratorINSA_10device_ptrIxEEEEPS6_SG_NS0_5tupleIJSF_SF_EEENSH_IJSG_SG_EEES6_PlJ7is_evenIxEEEE10hipError_tPvRmT3_T4_T5_T6_T7_T9_mT8_P12ihipStream_tbDpT10_ENKUlT_T0_E_clISt17integral_constantIbLb0EES16_EEDaS11_S12_EUlS11_E_NS1_11comp_targetILNS1_3genE10ELNS1_11target_archE1200ELNS1_3gpuE4ELNS1_3repE0EEENS1_30default_config_static_selectorELNS0_4arch9wavefront6targetE1EEEvT1_, .Lfunc_end294-_ZN7rocprim17ROCPRIM_400000_NS6detail17trampoline_kernelINS0_14default_configENS1_25partition_config_selectorILNS1_17partition_subalgoE0ExNS0_10empty_typeEbEEZZNS1_14partition_implILS5_0ELb0ES3_jN6thrust23THRUST_200600_302600_NS6detail15normal_iteratorINSA_10device_ptrIxEEEEPS6_SG_NS0_5tupleIJSF_SF_EEENSH_IJSG_SG_EEES6_PlJ7is_evenIxEEEE10hipError_tPvRmT3_T4_T5_T6_T7_T9_mT8_P12ihipStream_tbDpT10_ENKUlT_T0_E_clISt17integral_constantIbLb0EES16_EEDaS11_S12_EUlS11_E_NS1_11comp_targetILNS1_3genE10ELNS1_11target_archE1200ELNS1_3gpuE4ELNS1_3repE0EEENS1_30default_config_static_selectorELNS0_4arch9wavefront6targetE1EEEvT1_
                                        ; -- End function
	.section	.AMDGPU.csdata,"",@progbits
; Kernel info:
; codeLenInByte = 0
; NumSgprs: 4
; NumVgprs: 0
; NumAgprs: 0
; TotalNumVgprs: 0
; ScratchSize: 0
; MemoryBound: 0
; FloatMode: 240
; IeeeMode: 1
; LDSByteSize: 0 bytes/workgroup (compile time only)
; SGPRBlocks: 0
; VGPRBlocks: 0
; NumSGPRsForWavesPerEU: 4
; NumVGPRsForWavesPerEU: 1
; AccumOffset: 4
; Occupancy: 8
; WaveLimiterHint : 0
; COMPUTE_PGM_RSRC2:SCRATCH_EN: 0
; COMPUTE_PGM_RSRC2:USER_SGPR: 6
; COMPUTE_PGM_RSRC2:TRAP_HANDLER: 0
; COMPUTE_PGM_RSRC2:TGID_X_EN: 1
; COMPUTE_PGM_RSRC2:TGID_Y_EN: 0
; COMPUTE_PGM_RSRC2:TGID_Z_EN: 0
; COMPUTE_PGM_RSRC2:TIDIG_COMP_CNT: 0
; COMPUTE_PGM_RSRC3_GFX90A:ACCUM_OFFSET: 0
; COMPUTE_PGM_RSRC3_GFX90A:TG_SPLIT: 0
	.section	.text._ZN7rocprim17ROCPRIM_400000_NS6detail17trampoline_kernelINS0_14default_configENS1_25partition_config_selectorILNS1_17partition_subalgoE0ExNS0_10empty_typeEbEEZZNS1_14partition_implILS5_0ELb0ES3_jN6thrust23THRUST_200600_302600_NS6detail15normal_iteratorINSA_10device_ptrIxEEEEPS6_SG_NS0_5tupleIJSF_SF_EEENSH_IJSG_SG_EEES6_PlJ7is_evenIxEEEE10hipError_tPvRmT3_T4_T5_T6_T7_T9_mT8_P12ihipStream_tbDpT10_ENKUlT_T0_E_clISt17integral_constantIbLb0EES16_EEDaS11_S12_EUlS11_E_NS1_11comp_targetILNS1_3genE9ELNS1_11target_archE1100ELNS1_3gpuE3ELNS1_3repE0EEENS1_30default_config_static_selectorELNS0_4arch9wavefront6targetE1EEEvT1_,"axG",@progbits,_ZN7rocprim17ROCPRIM_400000_NS6detail17trampoline_kernelINS0_14default_configENS1_25partition_config_selectorILNS1_17partition_subalgoE0ExNS0_10empty_typeEbEEZZNS1_14partition_implILS5_0ELb0ES3_jN6thrust23THRUST_200600_302600_NS6detail15normal_iteratorINSA_10device_ptrIxEEEEPS6_SG_NS0_5tupleIJSF_SF_EEENSH_IJSG_SG_EEES6_PlJ7is_evenIxEEEE10hipError_tPvRmT3_T4_T5_T6_T7_T9_mT8_P12ihipStream_tbDpT10_ENKUlT_T0_E_clISt17integral_constantIbLb0EES16_EEDaS11_S12_EUlS11_E_NS1_11comp_targetILNS1_3genE9ELNS1_11target_archE1100ELNS1_3gpuE3ELNS1_3repE0EEENS1_30default_config_static_selectorELNS0_4arch9wavefront6targetE1EEEvT1_,comdat
	.protected	_ZN7rocprim17ROCPRIM_400000_NS6detail17trampoline_kernelINS0_14default_configENS1_25partition_config_selectorILNS1_17partition_subalgoE0ExNS0_10empty_typeEbEEZZNS1_14partition_implILS5_0ELb0ES3_jN6thrust23THRUST_200600_302600_NS6detail15normal_iteratorINSA_10device_ptrIxEEEEPS6_SG_NS0_5tupleIJSF_SF_EEENSH_IJSG_SG_EEES6_PlJ7is_evenIxEEEE10hipError_tPvRmT3_T4_T5_T6_T7_T9_mT8_P12ihipStream_tbDpT10_ENKUlT_T0_E_clISt17integral_constantIbLb0EES16_EEDaS11_S12_EUlS11_E_NS1_11comp_targetILNS1_3genE9ELNS1_11target_archE1100ELNS1_3gpuE3ELNS1_3repE0EEENS1_30default_config_static_selectorELNS0_4arch9wavefront6targetE1EEEvT1_ ; -- Begin function _ZN7rocprim17ROCPRIM_400000_NS6detail17trampoline_kernelINS0_14default_configENS1_25partition_config_selectorILNS1_17partition_subalgoE0ExNS0_10empty_typeEbEEZZNS1_14partition_implILS5_0ELb0ES3_jN6thrust23THRUST_200600_302600_NS6detail15normal_iteratorINSA_10device_ptrIxEEEEPS6_SG_NS0_5tupleIJSF_SF_EEENSH_IJSG_SG_EEES6_PlJ7is_evenIxEEEE10hipError_tPvRmT3_T4_T5_T6_T7_T9_mT8_P12ihipStream_tbDpT10_ENKUlT_T0_E_clISt17integral_constantIbLb0EES16_EEDaS11_S12_EUlS11_E_NS1_11comp_targetILNS1_3genE9ELNS1_11target_archE1100ELNS1_3gpuE3ELNS1_3repE0EEENS1_30default_config_static_selectorELNS0_4arch9wavefront6targetE1EEEvT1_
	.globl	_ZN7rocprim17ROCPRIM_400000_NS6detail17trampoline_kernelINS0_14default_configENS1_25partition_config_selectorILNS1_17partition_subalgoE0ExNS0_10empty_typeEbEEZZNS1_14partition_implILS5_0ELb0ES3_jN6thrust23THRUST_200600_302600_NS6detail15normal_iteratorINSA_10device_ptrIxEEEEPS6_SG_NS0_5tupleIJSF_SF_EEENSH_IJSG_SG_EEES6_PlJ7is_evenIxEEEE10hipError_tPvRmT3_T4_T5_T6_T7_T9_mT8_P12ihipStream_tbDpT10_ENKUlT_T0_E_clISt17integral_constantIbLb0EES16_EEDaS11_S12_EUlS11_E_NS1_11comp_targetILNS1_3genE9ELNS1_11target_archE1100ELNS1_3gpuE3ELNS1_3repE0EEENS1_30default_config_static_selectorELNS0_4arch9wavefront6targetE1EEEvT1_
	.p2align	8
	.type	_ZN7rocprim17ROCPRIM_400000_NS6detail17trampoline_kernelINS0_14default_configENS1_25partition_config_selectorILNS1_17partition_subalgoE0ExNS0_10empty_typeEbEEZZNS1_14partition_implILS5_0ELb0ES3_jN6thrust23THRUST_200600_302600_NS6detail15normal_iteratorINSA_10device_ptrIxEEEEPS6_SG_NS0_5tupleIJSF_SF_EEENSH_IJSG_SG_EEES6_PlJ7is_evenIxEEEE10hipError_tPvRmT3_T4_T5_T6_T7_T9_mT8_P12ihipStream_tbDpT10_ENKUlT_T0_E_clISt17integral_constantIbLb0EES16_EEDaS11_S12_EUlS11_E_NS1_11comp_targetILNS1_3genE9ELNS1_11target_archE1100ELNS1_3gpuE3ELNS1_3repE0EEENS1_30default_config_static_selectorELNS0_4arch9wavefront6targetE1EEEvT1_,@function
_ZN7rocprim17ROCPRIM_400000_NS6detail17trampoline_kernelINS0_14default_configENS1_25partition_config_selectorILNS1_17partition_subalgoE0ExNS0_10empty_typeEbEEZZNS1_14partition_implILS5_0ELb0ES3_jN6thrust23THRUST_200600_302600_NS6detail15normal_iteratorINSA_10device_ptrIxEEEEPS6_SG_NS0_5tupleIJSF_SF_EEENSH_IJSG_SG_EEES6_PlJ7is_evenIxEEEE10hipError_tPvRmT3_T4_T5_T6_T7_T9_mT8_P12ihipStream_tbDpT10_ENKUlT_T0_E_clISt17integral_constantIbLb0EES16_EEDaS11_S12_EUlS11_E_NS1_11comp_targetILNS1_3genE9ELNS1_11target_archE1100ELNS1_3gpuE3ELNS1_3repE0EEENS1_30default_config_static_selectorELNS0_4arch9wavefront6targetE1EEEvT1_: ; @_ZN7rocprim17ROCPRIM_400000_NS6detail17trampoline_kernelINS0_14default_configENS1_25partition_config_selectorILNS1_17partition_subalgoE0ExNS0_10empty_typeEbEEZZNS1_14partition_implILS5_0ELb0ES3_jN6thrust23THRUST_200600_302600_NS6detail15normal_iteratorINSA_10device_ptrIxEEEEPS6_SG_NS0_5tupleIJSF_SF_EEENSH_IJSG_SG_EEES6_PlJ7is_evenIxEEEE10hipError_tPvRmT3_T4_T5_T6_T7_T9_mT8_P12ihipStream_tbDpT10_ENKUlT_T0_E_clISt17integral_constantIbLb0EES16_EEDaS11_S12_EUlS11_E_NS1_11comp_targetILNS1_3genE9ELNS1_11target_archE1100ELNS1_3gpuE3ELNS1_3repE0EEENS1_30default_config_static_selectorELNS0_4arch9wavefront6targetE1EEEvT1_
; %bb.0:
	.section	.rodata,"a",@progbits
	.p2align	6, 0x0
	.amdhsa_kernel _ZN7rocprim17ROCPRIM_400000_NS6detail17trampoline_kernelINS0_14default_configENS1_25partition_config_selectorILNS1_17partition_subalgoE0ExNS0_10empty_typeEbEEZZNS1_14partition_implILS5_0ELb0ES3_jN6thrust23THRUST_200600_302600_NS6detail15normal_iteratorINSA_10device_ptrIxEEEEPS6_SG_NS0_5tupleIJSF_SF_EEENSH_IJSG_SG_EEES6_PlJ7is_evenIxEEEE10hipError_tPvRmT3_T4_T5_T6_T7_T9_mT8_P12ihipStream_tbDpT10_ENKUlT_T0_E_clISt17integral_constantIbLb0EES16_EEDaS11_S12_EUlS11_E_NS1_11comp_targetILNS1_3genE9ELNS1_11target_archE1100ELNS1_3gpuE3ELNS1_3repE0EEENS1_30default_config_static_selectorELNS0_4arch9wavefront6targetE1EEEvT1_
		.amdhsa_group_segment_fixed_size 0
		.amdhsa_private_segment_fixed_size 0
		.amdhsa_kernarg_size 120
		.amdhsa_user_sgpr_count 6
		.amdhsa_user_sgpr_private_segment_buffer 1
		.amdhsa_user_sgpr_dispatch_ptr 0
		.amdhsa_user_sgpr_queue_ptr 0
		.amdhsa_user_sgpr_kernarg_segment_ptr 1
		.amdhsa_user_sgpr_dispatch_id 0
		.amdhsa_user_sgpr_flat_scratch_init 0
		.amdhsa_user_sgpr_kernarg_preload_length 0
		.amdhsa_user_sgpr_kernarg_preload_offset 0
		.amdhsa_user_sgpr_private_segment_size 0
		.amdhsa_uses_dynamic_stack 0
		.amdhsa_system_sgpr_private_segment_wavefront_offset 0
		.amdhsa_system_sgpr_workgroup_id_x 1
		.amdhsa_system_sgpr_workgroup_id_y 0
		.amdhsa_system_sgpr_workgroup_id_z 0
		.amdhsa_system_sgpr_workgroup_info 0
		.amdhsa_system_vgpr_workitem_id 0
		.amdhsa_next_free_vgpr 1
		.amdhsa_next_free_sgpr 0
		.amdhsa_accum_offset 4
		.amdhsa_reserve_vcc 0
		.amdhsa_reserve_flat_scratch 0
		.amdhsa_float_round_mode_32 0
		.amdhsa_float_round_mode_16_64 0
		.amdhsa_float_denorm_mode_32 3
		.amdhsa_float_denorm_mode_16_64 3
		.amdhsa_dx10_clamp 1
		.amdhsa_ieee_mode 1
		.amdhsa_fp16_overflow 0
		.amdhsa_tg_split 0
		.amdhsa_exception_fp_ieee_invalid_op 0
		.amdhsa_exception_fp_denorm_src 0
		.amdhsa_exception_fp_ieee_div_zero 0
		.amdhsa_exception_fp_ieee_overflow 0
		.amdhsa_exception_fp_ieee_underflow 0
		.amdhsa_exception_fp_ieee_inexact 0
		.amdhsa_exception_int_div_zero 0
	.end_amdhsa_kernel
	.section	.text._ZN7rocprim17ROCPRIM_400000_NS6detail17trampoline_kernelINS0_14default_configENS1_25partition_config_selectorILNS1_17partition_subalgoE0ExNS0_10empty_typeEbEEZZNS1_14partition_implILS5_0ELb0ES3_jN6thrust23THRUST_200600_302600_NS6detail15normal_iteratorINSA_10device_ptrIxEEEEPS6_SG_NS0_5tupleIJSF_SF_EEENSH_IJSG_SG_EEES6_PlJ7is_evenIxEEEE10hipError_tPvRmT3_T4_T5_T6_T7_T9_mT8_P12ihipStream_tbDpT10_ENKUlT_T0_E_clISt17integral_constantIbLb0EES16_EEDaS11_S12_EUlS11_E_NS1_11comp_targetILNS1_3genE9ELNS1_11target_archE1100ELNS1_3gpuE3ELNS1_3repE0EEENS1_30default_config_static_selectorELNS0_4arch9wavefront6targetE1EEEvT1_,"axG",@progbits,_ZN7rocprim17ROCPRIM_400000_NS6detail17trampoline_kernelINS0_14default_configENS1_25partition_config_selectorILNS1_17partition_subalgoE0ExNS0_10empty_typeEbEEZZNS1_14partition_implILS5_0ELb0ES3_jN6thrust23THRUST_200600_302600_NS6detail15normal_iteratorINSA_10device_ptrIxEEEEPS6_SG_NS0_5tupleIJSF_SF_EEENSH_IJSG_SG_EEES6_PlJ7is_evenIxEEEE10hipError_tPvRmT3_T4_T5_T6_T7_T9_mT8_P12ihipStream_tbDpT10_ENKUlT_T0_E_clISt17integral_constantIbLb0EES16_EEDaS11_S12_EUlS11_E_NS1_11comp_targetILNS1_3genE9ELNS1_11target_archE1100ELNS1_3gpuE3ELNS1_3repE0EEENS1_30default_config_static_selectorELNS0_4arch9wavefront6targetE1EEEvT1_,comdat
.Lfunc_end295:
	.size	_ZN7rocprim17ROCPRIM_400000_NS6detail17trampoline_kernelINS0_14default_configENS1_25partition_config_selectorILNS1_17partition_subalgoE0ExNS0_10empty_typeEbEEZZNS1_14partition_implILS5_0ELb0ES3_jN6thrust23THRUST_200600_302600_NS6detail15normal_iteratorINSA_10device_ptrIxEEEEPS6_SG_NS0_5tupleIJSF_SF_EEENSH_IJSG_SG_EEES6_PlJ7is_evenIxEEEE10hipError_tPvRmT3_T4_T5_T6_T7_T9_mT8_P12ihipStream_tbDpT10_ENKUlT_T0_E_clISt17integral_constantIbLb0EES16_EEDaS11_S12_EUlS11_E_NS1_11comp_targetILNS1_3genE9ELNS1_11target_archE1100ELNS1_3gpuE3ELNS1_3repE0EEENS1_30default_config_static_selectorELNS0_4arch9wavefront6targetE1EEEvT1_, .Lfunc_end295-_ZN7rocprim17ROCPRIM_400000_NS6detail17trampoline_kernelINS0_14default_configENS1_25partition_config_selectorILNS1_17partition_subalgoE0ExNS0_10empty_typeEbEEZZNS1_14partition_implILS5_0ELb0ES3_jN6thrust23THRUST_200600_302600_NS6detail15normal_iteratorINSA_10device_ptrIxEEEEPS6_SG_NS0_5tupleIJSF_SF_EEENSH_IJSG_SG_EEES6_PlJ7is_evenIxEEEE10hipError_tPvRmT3_T4_T5_T6_T7_T9_mT8_P12ihipStream_tbDpT10_ENKUlT_T0_E_clISt17integral_constantIbLb0EES16_EEDaS11_S12_EUlS11_E_NS1_11comp_targetILNS1_3genE9ELNS1_11target_archE1100ELNS1_3gpuE3ELNS1_3repE0EEENS1_30default_config_static_selectorELNS0_4arch9wavefront6targetE1EEEvT1_
                                        ; -- End function
	.section	.AMDGPU.csdata,"",@progbits
; Kernel info:
; codeLenInByte = 0
; NumSgprs: 4
; NumVgprs: 0
; NumAgprs: 0
; TotalNumVgprs: 0
; ScratchSize: 0
; MemoryBound: 0
; FloatMode: 240
; IeeeMode: 1
; LDSByteSize: 0 bytes/workgroup (compile time only)
; SGPRBlocks: 0
; VGPRBlocks: 0
; NumSGPRsForWavesPerEU: 4
; NumVGPRsForWavesPerEU: 1
; AccumOffset: 4
; Occupancy: 8
; WaveLimiterHint : 0
; COMPUTE_PGM_RSRC2:SCRATCH_EN: 0
; COMPUTE_PGM_RSRC2:USER_SGPR: 6
; COMPUTE_PGM_RSRC2:TRAP_HANDLER: 0
; COMPUTE_PGM_RSRC2:TGID_X_EN: 1
; COMPUTE_PGM_RSRC2:TGID_Y_EN: 0
; COMPUTE_PGM_RSRC2:TGID_Z_EN: 0
; COMPUTE_PGM_RSRC2:TIDIG_COMP_CNT: 0
; COMPUTE_PGM_RSRC3_GFX90A:ACCUM_OFFSET: 0
; COMPUTE_PGM_RSRC3_GFX90A:TG_SPLIT: 0
	.section	.text._ZN7rocprim17ROCPRIM_400000_NS6detail17trampoline_kernelINS0_14default_configENS1_25partition_config_selectorILNS1_17partition_subalgoE0ExNS0_10empty_typeEbEEZZNS1_14partition_implILS5_0ELb0ES3_jN6thrust23THRUST_200600_302600_NS6detail15normal_iteratorINSA_10device_ptrIxEEEEPS6_SG_NS0_5tupleIJSF_SF_EEENSH_IJSG_SG_EEES6_PlJ7is_evenIxEEEE10hipError_tPvRmT3_T4_T5_T6_T7_T9_mT8_P12ihipStream_tbDpT10_ENKUlT_T0_E_clISt17integral_constantIbLb0EES16_EEDaS11_S12_EUlS11_E_NS1_11comp_targetILNS1_3genE8ELNS1_11target_archE1030ELNS1_3gpuE2ELNS1_3repE0EEENS1_30default_config_static_selectorELNS0_4arch9wavefront6targetE1EEEvT1_,"axG",@progbits,_ZN7rocprim17ROCPRIM_400000_NS6detail17trampoline_kernelINS0_14default_configENS1_25partition_config_selectorILNS1_17partition_subalgoE0ExNS0_10empty_typeEbEEZZNS1_14partition_implILS5_0ELb0ES3_jN6thrust23THRUST_200600_302600_NS6detail15normal_iteratorINSA_10device_ptrIxEEEEPS6_SG_NS0_5tupleIJSF_SF_EEENSH_IJSG_SG_EEES6_PlJ7is_evenIxEEEE10hipError_tPvRmT3_T4_T5_T6_T7_T9_mT8_P12ihipStream_tbDpT10_ENKUlT_T0_E_clISt17integral_constantIbLb0EES16_EEDaS11_S12_EUlS11_E_NS1_11comp_targetILNS1_3genE8ELNS1_11target_archE1030ELNS1_3gpuE2ELNS1_3repE0EEENS1_30default_config_static_selectorELNS0_4arch9wavefront6targetE1EEEvT1_,comdat
	.protected	_ZN7rocprim17ROCPRIM_400000_NS6detail17trampoline_kernelINS0_14default_configENS1_25partition_config_selectorILNS1_17partition_subalgoE0ExNS0_10empty_typeEbEEZZNS1_14partition_implILS5_0ELb0ES3_jN6thrust23THRUST_200600_302600_NS6detail15normal_iteratorINSA_10device_ptrIxEEEEPS6_SG_NS0_5tupleIJSF_SF_EEENSH_IJSG_SG_EEES6_PlJ7is_evenIxEEEE10hipError_tPvRmT3_T4_T5_T6_T7_T9_mT8_P12ihipStream_tbDpT10_ENKUlT_T0_E_clISt17integral_constantIbLb0EES16_EEDaS11_S12_EUlS11_E_NS1_11comp_targetILNS1_3genE8ELNS1_11target_archE1030ELNS1_3gpuE2ELNS1_3repE0EEENS1_30default_config_static_selectorELNS0_4arch9wavefront6targetE1EEEvT1_ ; -- Begin function _ZN7rocprim17ROCPRIM_400000_NS6detail17trampoline_kernelINS0_14default_configENS1_25partition_config_selectorILNS1_17partition_subalgoE0ExNS0_10empty_typeEbEEZZNS1_14partition_implILS5_0ELb0ES3_jN6thrust23THRUST_200600_302600_NS6detail15normal_iteratorINSA_10device_ptrIxEEEEPS6_SG_NS0_5tupleIJSF_SF_EEENSH_IJSG_SG_EEES6_PlJ7is_evenIxEEEE10hipError_tPvRmT3_T4_T5_T6_T7_T9_mT8_P12ihipStream_tbDpT10_ENKUlT_T0_E_clISt17integral_constantIbLb0EES16_EEDaS11_S12_EUlS11_E_NS1_11comp_targetILNS1_3genE8ELNS1_11target_archE1030ELNS1_3gpuE2ELNS1_3repE0EEENS1_30default_config_static_selectorELNS0_4arch9wavefront6targetE1EEEvT1_
	.globl	_ZN7rocprim17ROCPRIM_400000_NS6detail17trampoline_kernelINS0_14default_configENS1_25partition_config_selectorILNS1_17partition_subalgoE0ExNS0_10empty_typeEbEEZZNS1_14partition_implILS5_0ELb0ES3_jN6thrust23THRUST_200600_302600_NS6detail15normal_iteratorINSA_10device_ptrIxEEEEPS6_SG_NS0_5tupleIJSF_SF_EEENSH_IJSG_SG_EEES6_PlJ7is_evenIxEEEE10hipError_tPvRmT3_T4_T5_T6_T7_T9_mT8_P12ihipStream_tbDpT10_ENKUlT_T0_E_clISt17integral_constantIbLb0EES16_EEDaS11_S12_EUlS11_E_NS1_11comp_targetILNS1_3genE8ELNS1_11target_archE1030ELNS1_3gpuE2ELNS1_3repE0EEENS1_30default_config_static_selectorELNS0_4arch9wavefront6targetE1EEEvT1_
	.p2align	8
	.type	_ZN7rocprim17ROCPRIM_400000_NS6detail17trampoline_kernelINS0_14default_configENS1_25partition_config_selectorILNS1_17partition_subalgoE0ExNS0_10empty_typeEbEEZZNS1_14partition_implILS5_0ELb0ES3_jN6thrust23THRUST_200600_302600_NS6detail15normal_iteratorINSA_10device_ptrIxEEEEPS6_SG_NS0_5tupleIJSF_SF_EEENSH_IJSG_SG_EEES6_PlJ7is_evenIxEEEE10hipError_tPvRmT3_T4_T5_T6_T7_T9_mT8_P12ihipStream_tbDpT10_ENKUlT_T0_E_clISt17integral_constantIbLb0EES16_EEDaS11_S12_EUlS11_E_NS1_11comp_targetILNS1_3genE8ELNS1_11target_archE1030ELNS1_3gpuE2ELNS1_3repE0EEENS1_30default_config_static_selectorELNS0_4arch9wavefront6targetE1EEEvT1_,@function
_ZN7rocprim17ROCPRIM_400000_NS6detail17trampoline_kernelINS0_14default_configENS1_25partition_config_selectorILNS1_17partition_subalgoE0ExNS0_10empty_typeEbEEZZNS1_14partition_implILS5_0ELb0ES3_jN6thrust23THRUST_200600_302600_NS6detail15normal_iteratorINSA_10device_ptrIxEEEEPS6_SG_NS0_5tupleIJSF_SF_EEENSH_IJSG_SG_EEES6_PlJ7is_evenIxEEEE10hipError_tPvRmT3_T4_T5_T6_T7_T9_mT8_P12ihipStream_tbDpT10_ENKUlT_T0_E_clISt17integral_constantIbLb0EES16_EEDaS11_S12_EUlS11_E_NS1_11comp_targetILNS1_3genE8ELNS1_11target_archE1030ELNS1_3gpuE2ELNS1_3repE0EEENS1_30default_config_static_selectorELNS0_4arch9wavefront6targetE1EEEvT1_: ; @_ZN7rocprim17ROCPRIM_400000_NS6detail17trampoline_kernelINS0_14default_configENS1_25partition_config_selectorILNS1_17partition_subalgoE0ExNS0_10empty_typeEbEEZZNS1_14partition_implILS5_0ELb0ES3_jN6thrust23THRUST_200600_302600_NS6detail15normal_iteratorINSA_10device_ptrIxEEEEPS6_SG_NS0_5tupleIJSF_SF_EEENSH_IJSG_SG_EEES6_PlJ7is_evenIxEEEE10hipError_tPvRmT3_T4_T5_T6_T7_T9_mT8_P12ihipStream_tbDpT10_ENKUlT_T0_E_clISt17integral_constantIbLb0EES16_EEDaS11_S12_EUlS11_E_NS1_11comp_targetILNS1_3genE8ELNS1_11target_archE1030ELNS1_3gpuE2ELNS1_3repE0EEENS1_30default_config_static_selectorELNS0_4arch9wavefront6targetE1EEEvT1_
; %bb.0:
	.section	.rodata,"a",@progbits
	.p2align	6, 0x0
	.amdhsa_kernel _ZN7rocprim17ROCPRIM_400000_NS6detail17trampoline_kernelINS0_14default_configENS1_25partition_config_selectorILNS1_17partition_subalgoE0ExNS0_10empty_typeEbEEZZNS1_14partition_implILS5_0ELb0ES3_jN6thrust23THRUST_200600_302600_NS6detail15normal_iteratorINSA_10device_ptrIxEEEEPS6_SG_NS0_5tupleIJSF_SF_EEENSH_IJSG_SG_EEES6_PlJ7is_evenIxEEEE10hipError_tPvRmT3_T4_T5_T6_T7_T9_mT8_P12ihipStream_tbDpT10_ENKUlT_T0_E_clISt17integral_constantIbLb0EES16_EEDaS11_S12_EUlS11_E_NS1_11comp_targetILNS1_3genE8ELNS1_11target_archE1030ELNS1_3gpuE2ELNS1_3repE0EEENS1_30default_config_static_selectorELNS0_4arch9wavefront6targetE1EEEvT1_
		.amdhsa_group_segment_fixed_size 0
		.amdhsa_private_segment_fixed_size 0
		.amdhsa_kernarg_size 120
		.amdhsa_user_sgpr_count 6
		.amdhsa_user_sgpr_private_segment_buffer 1
		.amdhsa_user_sgpr_dispatch_ptr 0
		.amdhsa_user_sgpr_queue_ptr 0
		.amdhsa_user_sgpr_kernarg_segment_ptr 1
		.amdhsa_user_sgpr_dispatch_id 0
		.amdhsa_user_sgpr_flat_scratch_init 0
		.amdhsa_user_sgpr_kernarg_preload_length 0
		.amdhsa_user_sgpr_kernarg_preload_offset 0
		.amdhsa_user_sgpr_private_segment_size 0
		.amdhsa_uses_dynamic_stack 0
		.amdhsa_system_sgpr_private_segment_wavefront_offset 0
		.amdhsa_system_sgpr_workgroup_id_x 1
		.amdhsa_system_sgpr_workgroup_id_y 0
		.amdhsa_system_sgpr_workgroup_id_z 0
		.amdhsa_system_sgpr_workgroup_info 0
		.amdhsa_system_vgpr_workitem_id 0
		.amdhsa_next_free_vgpr 1
		.amdhsa_next_free_sgpr 0
		.amdhsa_accum_offset 4
		.amdhsa_reserve_vcc 0
		.amdhsa_reserve_flat_scratch 0
		.amdhsa_float_round_mode_32 0
		.amdhsa_float_round_mode_16_64 0
		.amdhsa_float_denorm_mode_32 3
		.amdhsa_float_denorm_mode_16_64 3
		.amdhsa_dx10_clamp 1
		.amdhsa_ieee_mode 1
		.amdhsa_fp16_overflow 0
		.amdhsa_tg_split 0
		.amdhsa_exception_fp_ieee_invalid_op 0
		.amdhsa_exception_fp_denorm_src 0
		.amdhsa_exception_fp_ieee_div_zero 0
		.amdhsa_exception_fp_ieee_overflow 0
		.amdhsa_exception_fp_ieee_underflow 0
		.amdhsa_exception_fp_ieee_inexact 0
		.amdhsa_exception_int_div_zero 0
	.end_amdhsa_kernel
	.section	.text._ZN7rocprim17ROCPRIM_400000_NS6detail17trampoline_kernelINS0_14default_configENS1_25partition_config_selectorILNS1_17partition_subalgoE0ExNS0_10empty_typeEbEEZZNS1_14partition_implILS5_0ELb0ES3_jN6thrust23THRUST_200600_302600_NS6detail15normal_iteratorINSA_10device_ptrIxEEEEPS6_SG_NS0_5tupleIJSF_SF_EEENSH_IJSG_SG_EEES6_PlJ7is_evenIxEEEE10hipError_tPvRmT3_T4_T5_T6_T7_T9_mT8_P12ihipStream_tbDpT10_ENKUlT_T0_E_clISt17integral_constantIbLb0EES16_EEDaS11_S12_EUlS11_E_NS1_11comp_targetILNS1_3genE8ELNS1_11target_archE1030ELNS1_3gpuE2ELNS1_3repE0EEENS1_30default_config_static_selectorELNS0_4arch9wavefront6targetE1EEEvT1_,"axG",@progbits,_ZN7rocprim17ROCPRIM_400000_NS6detail17trampoline_kernelINS0_14default_configENS1_25partition_config_selectorILNS1_17partition_subalgoE0ExNS0_10empty_typeEbEEZZNS1_14partition_implILS5_0ELb0ES3_jN6thrust23THRUST_200600_302600_NS6detail15normal_iteratorINSA_10device_ptrIxEEEEPS6_SG_NS0_5tupleIJSF_SF_EEENSH_IJSG_SG_EEES6_PlJ7is_evenIxEEEE10hipError_tPvRmT3_T4_T5_T6_T7_T9_mT8_P12ihipStream_tbDpT10_ENKUlT_T0_E_clISt17integral_constantIbLb0EES16_EEDaS11_S12_EUlS11_E_NS1_11comp_targetILNS1_3genE8ELNS1_11target_archE1030ELNS1_3gpuE2ELNS1_3repE0EEENS1_30default_config_static_selectorELNS0_4arch9wavefront6targetE1EEEvT1_,comdat
.Lfunc_end296:
	.size	_ZN7rocprim17ROCPRIM_400000_NS6detail17trampoline_kernelINS0_14default_configENS1_25partition_config_selectorILNS1_17partition_subalgoE0ExNS0_10empty_typeEbEEZZNS1_14partition_implILS5_0ELb0ES3_jN6thrust23THRUST_200600_302600_NS6detail15normal_iteratorINSA_10device_ptrIxEEEEPS6_SG_NS0_5tupleIJSF_SF_EEENSH_IJSG_SG_EEES6_PlJ7is_evenIxEEEE10hipError_tPvRmT3_T4_T5_T6_T7_T9_mT8_P12ihipStream_tbDpT10_ENKUlT_T0_E_clISt17integral_constantIbLb0EES16_EEDaS11_S12_EUlS11_E_NS1_11comp_targetILNS1_3genE8ELNS1_11target_archE1030ELNS1_3gpuE2ELNS1_3repE0EEENS1_30default_config_static_selectorELNS0_4arch9wavefront6targetE1EEEvT1_, .Lfunc_end296-_ZN7rocprim17ROCPRIM_400000_NS6detail17trampoline_kernelINS0_14default_configENS1_25partition_config_selectorILNS1_17partition_subalgoE0ExNS0_10empty_typeEbEEZZNS1_14partition_implILS5_0ELb0ES3_jN6thrust23THRUST_200600_302600_NS6detail15normal_iteratorINSA_10device_ptrIxEEEEPS6_SG_NS0_5tupleIJSF_SF_EEENSH_IJSG_SG_EEES6_PlJ7is_evenIxEEEE10hipError_tPvRmT3_T4_T5_T6_T7_T9_mT8_P12ihipStream_tbDpT10_ENKUlT_T0_E_clISt17integral_constantIbLb0EES16_EEDaS11_S12_EUlS11_E_NS1_11comp_targetILNS1_3genE8ELNS1_11target_archE1030ELNS1_3gpuE2ELNS1_3repE0EEENS1_30default_config_static_selectorELNS0_4arch9wavefront6targetE1EEEvT1_
                                        ; -- End function
	.section	.AMDGPU.csdata,"",@progbits
; Kernel info:
; codeLenInByte = 0
; NumSgprs: 4
; NumVgprs: 0
; NumAgprs: 0
; TotalNumVgprs: 0
; ScratchSize: 0
; MemoryBound: 0
; FloatMode: 240
; IeeeMode: 1
; LDSByteSize: 0 bytes/workgroup (compile time only)
; SGPRBlocks: 0
; VGPRBlocks: 0
; NumSGPRsForWavesPerEU: 4
; NumVGPRsForWavesPerEU: 1
; AccumOffset: 4
; Occupancy: 8
; WaveLimiterHint : 0
; COMPUTE_PGM_RSRC2:SCRATCH_EN: 0
; COMPUTE_PGM_RSRC2:USER_SGPR: 6
; COMPUTE_PGM_RSRC2:TRAP_HANDLER: 0
; COMPUTE_PGM_RSRC2:TGID_X_EN: 1
; COMPUTE_PGM_RSRC2:TGID_Y_EN: 0
; COMPUTE_PGM_RSRC2:TGID_Z_EN: 0
; COMPUTE_PGM_RSRC2:TIDIG_COMP_CNT: 0
; COMPUTE_PGM_RSRC3_GFX90A:ACCUM_OFFSET: 0
; COMPUTE_PGM_RSRC3_GFX90A:TG_SPLIT: 0
	.section	.text._ZN7rocprim17ROCPRIM_400000_NS6detail17trampoline_kernelINS0_14default_configENS1_25partition_config_selectorILNS1_17partition_subalgoE0ExNS0_10empty_typeEbEEZZNS1_14partition_implILS5_0ELb0ES3_jN6thrust23THRUST_200600_302600_NS6detail15normal_iteratorINSA_10device_ptrIxEEEEPS6_SG_NS0_5tupleIJSF_SF_EEENSH_IJSG_SG_EEES6_PlJ7is_evenIxEEEE10hipError_tPvRmT3_T4_T5_T6_T7_T9_mT8_P12ihipStream_tbDpT10_ENKUlT_T0_E_clISt17integral_constantIbLb1EES16_EEDaS11_S12_EUlS11_E_NS1_11comp_targetILNS1_3genE0ELNS1_11target_archE4294967295ELNS1_3gpuE0ELNS1_3repE0EEENS1_30default_config_static_selectorELNS0_4arch9wavefront6targetE1EEEvT1_,"axG",@progbits,_ZN7rocprim17ROCPRIM_400000_NS6detail17trampoline_kernelINS0_14default_configENS1_25partition_config_selectorILNS1_17partition_subalgoE0ExNS0_10empty_typeEbEEZZNS1_14partition_implILS5_0ELb0ES3_jN6thrust23THRUST_200600_302600_NS6detail15normal_iteratorINSA_10device_ptrIxEEEEPS6_SG_NS0_5tupleIJSF_SF_EEENSH_IJSG_SG_EEES6_PlJ7is_evenIxEEEE10hipError_tPvRmT3_T4_T5_T6_T7_T9_mT8_P12ihipStream_tbDpT10_ENKUlT_T0_E_clISt17integral_constantIbLb1EES16_EEDaS11_S12_EUlS11_E_NS1_11comp_targetILNS1_3genE0ELNS1_11target_archE4294967295ELNS1_3gpuE0ELNS1_3repE0EEENS1_30default_config_static_selectorELNS0_4arch9wavefront6targetE1EEEvT1_,comdat
	.protected	_ZN7rocprim17ROCPRIM_400000_NS6detail17trampoline_kernelINS0_14default_configENS1_25partition_config_selectorILNS1_17partition_subalgoE0ExNS0_10empty_typeEbEEZZNS1_14partition_implILS5_0ELb0ES3_jN6thrust23THRUST_200600_302600_NS6detail15normal_iteratorINSA_10device_ptrIxEEEEPS6_SG_NS0_5tupleIJSF_SF_EEENSH_IJSG_SG_EEES6_PlJ7is_evenIxEEEE10hipError_tPvRmT3_T4_T5_T6_T7_T9_mT8_P12ihipStream_tbDpT10_ENKUlT_T0_E_clISt17integral_constantIbLb1EES16_EEDaS11_S12_EUlS11_E_NS1_11comp_targetILNS1_3genE0ELNS1_11target_archE4294967295ELNS1_3gpuE0ELNS1_3repE0EEENS1_30default_config_static_selectorELNS0_4arch9wavefront6targetE1EEEvT1_ ; -- Begin function _ZN7rocprim17ROCPRIM_400000_NS6detail17trampoline_kernelINS0_14default_configENS1_25partition_config_selectorILNS1_17partition_subalgoE0ExNS0_10empty_typeEbEEZZNS1_14partition_implILS5_0ELb0ES3_jN6thrust23THRUST_200600_302600_NS6detail15normal_iteratorINSA_10device_ptrIxEEEEPS6_SG_NS0_5tupleIJSF_SF_EEENSH_IJSG_SG_EEES6_PlJ7is_evenIxEEEE10hipError_tPvRmT3_T4_T5_T6_T7_T9_mT8_P12ihipStream_tbDpT10_ENKUlT_T0_E_clISt17integral_constantIbLb1EES16_EEDaS11_S12_EUlS11_E_NS1_11comp_targetILNS1_3genE0ELNS1_11target_archE4294967295ELNS1_3gpuE0ELNS1_3repE0EEENS1_30default_config_static_selectorELNS0_4arch9wavefront6targetE1EEEvT1_
	.globl	_ZN7rocprim17ROCPRIM_400000_NS6detail17trampoline_kernelINS0_14default_configENS1_25partition_config_selectorILNS1_17partition_subalgoE0ExNS0_10empty_typeEbEEZZNS1_14partition_implILS5_0ELb0ES3_jN6thrust23THRUST_200600_302600_NS6detail15normal_iteratorINSA_10device_ptrIxEEEEPS6_SG_NS0_5tupleIJSF_SF_EEENSH_IJSG_SG_EEES6_PlJ7is_evenIxEEEE10hipError_tPvRmT3_T4_T5_T6_T7_T9_mT8_P12ihipStream_tbDpT10_ENKUlT_T0_E_clISt17integral_constantIbLb1EES16_EEDaS11_S12_EUlS11_E_NS1_11comp_targetILNS1_3genE0ELNS1_11target_archE4294967295ELNS1_3gpuE0ELNS1_3repE0EEENS1_30default_config_static_selectorELNS0_4arch9wavefront6targetE1EEEvT1_
	.p2align	8
	.type	_ZN7rocprim17ROCPRIM_400000_NS6detail17trampoline_kernelINS0_14default_configENS1_25partition_config_selectorILNS1_17partition_subalgoE0ExNS0_10empty_typeEbEEZZNS1_14partition_implILS5_0ELb0ES3_jN6thrust23THRUST_200600_302600_NS6detail15normal_iteratorINSA_10device_ptrIxEEEEPS6_SG_NS0_5tupleIJSF_SF_EEENSH_IJSG_SG_EEES6_PlJ7is_evenIxEEEE10hipError_tPvRmT3_T4_T5_T6_T7_T9_mT8_P12ihipStream_tbDpT10_ENKUlT_T0_E_clISt17integral_constantIbLb1EES16_EEDaS11_S12_EUlS11_E_NS1_11comp_targetILNS1_3genE0ELNS1_11target_archE4294967295ELNS1_3gpuE0ELNS1_3repE0EEENS1_30default_config_static_selectorELNS0_4arch9wavefront6targetE1EEEvT1_,@function
_ZN7rocprim17ROCPRIM_400000_NS6detail17trampoline_kernelINS0_14default_configENS1_25partition_config_selectorILNS1_17partition_subalgoE0ExNS0_10empty_typeEbEEZZNS1_14partition_implILS5_0ELb0ES3_jN6thrust23THRUST_200600_302600_NS6detail15normal_iteratorINSA_10device_ptrIxEEEEPS6_SG_NS0_5tupleIJSF_SF_EEENSH_IJSG_SG_EEES6_PlJ7is_evenIxEEEE10hipError_tPvRmT3_T4_T5_T6_T7_T9_mT8_P12ihipStream_tbDpT10_ENKUlT_T0_E_clISt17integral_constantIbLb1EES16_EEDaS11_S12_EUlS11_E_NS1_11comp_targetILNS1_3genE0ELNS1_11target_archE4294967295ELNS1_3gpuE0ELNS1_3repE0EEENS1_30default_config_static_selectorELNS0_4arch9wavefront6targetE1EEEvT1_: ; @_ZN7rocprim17ROCPRIM_400000_NS6detail17trampoline_kernelINS0_14default_configENS1_25partition_config_selectorILNS1_17partition_subalgoE0ExNS0_10empty_typeEbEEZZNS1_14partition_implILS5_0ELb0ES3_jN6thrust23THRUST_200600_302600_NS6detail15normal_iteratorINSA_10device_ptrIxEEEEPS6_SG_NS0_5tupleIJSF_SF_EEENSH_IJSG_SG_EEES6_PlJ7is_evenIxEEEE10hipError_tPvRmT3_T4_T5_T6_T7_T9_mT8_P12ihipStream_tbDpT10_ENKUlT_T0_E_clISt17integral_constantIbLb1EES16_EEDaS11_S12_EUlS11_E_NS1_11comp_targetILNS1_3genE0ELNS1_11target_archE4294967295ELNS1_3gpuE0ELNS1_3repE0EEENS1_30default_config_static_selectorELNS0_4arch9wavefront6targetE1EEEvT1_
; %bb.0:
	.section	.rodata,"a",@progbits
	.p2align	6, 0x0
	.amdhsa_kernel _ZN7rocprim17ROCPRIM_400000_NS6detail17trampoline_kernelINS0_14default_configENS1_25partition_config_selectorILNS1_17partition_subalgoE0ExNS0_10empty_typeEbEEZZNS1_14partition_implILS5_0ELb0ES3_jN6thrust23THRUST_200600_302600_NS6detail15normal_iteratorINSA_10device_ptrIxEEEEPS6_SG_NS0_5tupleIJSF_SF_EEENSH_IJSG_SG_EEES6_PlJ7is_evenIxEEEE10hipError_tPvRmT3_T4_T5_T6_T7_T9_mT8_P12ihipStream_tbDpT10_ENKUlT_T0_E_clISt17integral_constantIbLb1EES16_EEDaS11_S12_EUlS11_E_NS1_11comp_targetILNS1_3genE0ELNS1_11target_archE4294967295ELNS1_3gpuE0ELNS1_3repE0EEENS1_30default_config_static_selectorELNS0_4arch9wavefront6targetE1EEEvT1_
		.amdhsa_group_segment_fixed_size 0
		.amdhsa_private_segment_fixed_size 0
		.amdhsa_kernarg_size 136
		.amdhsa_user_sgpr_count 6
		.amdhsa_user_sgpr_private_segment_buffer 1
		.amdhsa_user_sgpr_dispatch_ptr 0
		.amdhsa_user_sgpr_queue_ptr 0
		.amdhsa_user_sgpr_kernarg_segment_ptr 1
		.amdhsa_user_sgpr_dispatch_id 0
		.amdhsa_user_sgpr_flat_scratch_init 0
		.amdhsa_user_sgpr_kernarg_preload_length 0
		.amdhsa_user_sgpr_kernarg_preload_offset 0
		.amdhsa_user_sgpr_private_segment_size 0
		.amdhsa_uses_dynamic_stack 0
		.amdhsa_system_sgpr_private_segment_wavefront_offset 0
		.amdhsa_system_sgpr_workgroup_id_x 1
		.amdhsa_system_sgpr_workgroup_id_y 0
		.amdhsa_system_sgpr_workgroup_id_z 0
		.amdhsa_system_sgpr_workgroup_info 0
		.amdhsa_system_vgpr_workitem_id 0
		.amdhsa_next_free_vgpr 1
		.amdhsa_next_free_sgpr 0
		.amdhsa_accum_offset 4
		.amdhsa_reserve_vcc 0
		.amdhsa_reserve_flat_scratch 0
		.amdhsa_float_round_mode_32 0
		.amdhsa_float_round_mode_16_64 0
		.amdhsa_float_denorm_mode_32 3
		.amdhsa_float_denorm_mode_16_64 3
		.amdhsa_dx10_clamp 1
		.amdhsa_ieee_mode 1
		.amdhsa_fp16_overflow 0
		.amdhsa_tg_split 0
		.amdhsa_exception_fp_ieee_invalid_op 0
		.amdhsa_exception_fp_denorm_src 0
		.amdhsa_exception_fp_ieee_div_zero 0
		.amdhsa_exception_fp_ieee_overflow 0
		.amdhsa_exception_fp_ieee_underflow 0
		.amdhsa_exception_fp_ieee_inexact 0
		.amdhsa_exception_int_div_zero 0
	.end_amdhsa_kernel
	.section	.text._ZN7rocprim17ROCPRIM_400000_NS6detail17trampoline_kernelINS0_14default_configENS1_25partition_config_selectorILNS1_17partition_subalgoE0ExNS0_10empty_typeEbEEZZNS1_14partition_implILS5_0ELb0ES3_jN6thrust23THRUST_200600_302600_NS6detail15normal_iteratorINSA_10device_ptrIxEEEEPS6_SG_NS0_5tupleIJSF_SF_EEENSH_IJSG_SG_EEES6_PlJ7is_evenIxEEEE10hipError_tPvRmT3_T4_T5_T6_T7_T9_mT8_P12ihipStream_tbDpT10_ENKUlT_T0_E_clISt17integral_constantIbLb1EES16_EEDaS11_S12_EUlS11_E_NS1_11comp_targetILNS1_3genE0ELNS1_11target_archE4294967295ELNS1_3gpuE0ELNS1_3repE0EEENS1_30default_config_static_selectorELNS0_4arch9wavefront6targetE1EEEvT1_,"axG",@progbits,_ZN7rocprim17ROCPRIM_400000_NS6detail17trampoline_kernelINS0_14default_configENS1_25partition_config_selectorILNS1_17partition_subalgoE0ExNS0_10empty_typeEbEEZZNS1_14partition_implILS5_0ELb0ES3_jN6thrust23THRUST_200600_302600_NS6detail15normal_iteratorINSA_10device_ptrIxEEEEPS6_SG_NS0_5tupleIJSF_SF_EEENSH_IJSG_SG_EEES6_PlJ7is_evenIxEEEE10hipError_tPvRmT3_T4_T5_T6_T7_T9_mT8_P12ihipStream_tbDpT10_ENKUlT_T0_E_clISt17integral_constantIbLb1EES16_EEDaS11_S12_EUlS11_E_NS1_11comp_targetILNS1_3genE0ELNS1_11target_archE4294967295ELNS1_3gpuE0ELNS1_3repE0EEENS1_30default_config_static_selectorELNS0_4arch9wavefront6targetE1EEEvT1_,comdat
.Lfunc_end297:
	.size	_ZN7rocprim17ROCPRIM_400000_NS6detail17trampoline_kernelINS0_14default_configENS1_25partition_config_selectorILNS1_17partition_subalgoE0ExNS0_10empty_typeEbEEZZNS1_14partition_implILS5_0ELb0ES3_jN6thrust23THRUST_200600_302600_NS6detail15normal_iteratorINSA_10device_ptrIxEEEEPS6_SG_NS0_5tupleIJSF_SF_EEENSH_IJSG_SG_EEES6_PlJ7is_evenIxEEEE10hipError_tPvRmT3_T4_T5_T6_T7_T9_mT8_P12ihipStream_tbDpT10_ENKUlT_T0_E_clISt17integral_constantIbLb1EES16_EEDaS11_S12_EUlS11_E_NS1_11comp_targetILNS1_3genE0ELNS1_11target_archE4294967295ELNS1_3gpuE0ELNS1_3repE0EEENS1_30default_config_static_selectorELNS0_4arch9wavefront6targetE1EEEvT1_, .Lfunc_end297-_ZN7rocprim17ROCPRIM_400000_NS6detail17trampoline_kernelINS0_14default_configENS1_25partition_config_selectorILNS1_17partition_subalgoE0ExNS0_10empty_typeEbEEZZNS1_14partition_implILS5_0ELb0ES3_jN6thrust23THRUST_200600_302600_NS6detail15normal_iteratorINSA_10device_ptrIxEEEEPS6_SG_NS0_5tupleIJSF_SF_EEENSH_IJSG_SG_EEES6_PlJ7is_evenIxEEEE10hipError_tPvRmT3_T4_T5_T6_T7_T9_mT8_P12ihipStream_tbDpT10_ENKUlT_T0_E_clISt17integral_constantIbLb1EES16_EEDaS11_S12_EUlS11_E_NS1_11comp_targetILNS1_3genE0ELNS1_11target_archE4294967295ELNS1_3gpuE0ELNS1_3repE0EEENS1_30default_config_static_selectorELNS0_4arch9wavefront6targetE1EEEvT1_
                                        ; -- End function
	.section	.AMDGPU.csdata,"",@progbits
; Kernel info:
; codeLenInByte = 0
; NumSgprs: 4
; NumVgprs: 0
; NumAgprs: 0
; TotalNumVgprs: 0
; ScratchSize: 0
; MemoryBound: 0
; FloatMode: 240
; IeeeMode: 1
; LDSByteSize: 0 bytes/workgroup (compile time only)
; SGPRBlocks: 0
; VGPRBlocks: 0
; NumSGPRsForWavesPerEU: 4
; NumVGPRsForWavesPerEU: 1
; AccumOffset: 4
; Occupancy: 8
; WaveLimiterHint : 0
; COMPUTE_PGM_RSRC2:SCRATCH_EN: 0
; COMPUTE_PGM_RSRC2:USER_SGPR: 6
; COMPUTE_PGM_RSRC2:TRAP_HANDLER: 0
; COMPUTE_PGM_RSRC2:TGID_X_EN: 1
; COMPUTE_PGM_RSRC2:TGID_Y_EN: 0
; COMPUTE_PGM_RSRC2:TGID_Z_EN: 0
; COMPUTE_PGM_RSRC2:TIDIG_COMP_CNT: 0
; COMPUTE_PGM_RSRC3_GFX90A:ACCUM_OFFSET: 0
; COMPUTE_PGM_RSRC3_GFX90A:TG_SPLIT: 0
	.section	.text._ZN7rocprim17ROCPRIM_400000_NS6detail17trampoline_kernelINS0_14default_configENS1_25partition_config_selectorILNS1_17partition_subalgoE0ExNS0_10empty_typeEbEEZZNS1_14partition_implILS5_0ELb0ES3_jN6thrust23THRUST_200600_302600_NS6detail15normal_iteratorINSA_10device_ptrIxEEEEPS6_SG_NS0_5tupleIJSF_SF_EEENSH_IJSG_SG_EEES6_PlJ7is_evenIxEEEE10hipError_tPvRmT3_T4_T5_T6_T7_T9_mT8_P12ihipStream_tbDpT10_ENKUlT_T0_E_clISt17integral_constantIbLb1EES16_EEDaS11_S12_EUlS11_E_NS1_11comp_targetILNS1_3genE5ELNS1_11target_archE942ELNS1_3gpuE9ELNS1_3repE0EEENS1_30default_config_static_selectorELNS0_4arch9wavefront6targetE1EEEvT1_,"axG",@progbits,_ZN7rocprim17ROCPRIM_400000_NS6detail17trampoline_kernelINS0_14default_configENS1_25partition_config_selectorILNS1_17partition_subalgoE0ExNS0_10empty_typeEbEEZZNS1_14partition_implILS5_0ELb0ES3_jN6thrust23THRUST_200600_302600_NS6detail15normal_iteratorINSA_10device_ptrIxEEEEPS6_SG_NS0_5tupleIJSF_SF_EEENSH_IJSG_SG_EEES6_PlJ7is_evenIxEEEE10hipError_tPvRmT3_T4_T5_T6_T7_T9_mT8_P12ihipStream_tbDpT10_ENKUlT_T0_E_clISt17integral_constantIbLb1EES16_EEDaS11_S12_EUlS11_E_NS1_11comp_targetILNS1_3genE5ELNS1_11target_archE942ELNS1_3gpuE9ELNS1_3repE0EEENS1_30default_config_static_selectorELNS0_4arch9wavefront6targetE1EEEvT1_,comdat
	.protected	_ZN7rocprim17ROCPRIM_400000_NS6detail17trampoline_kernelINS0_14default_configENS1_25partition_config_selectorILNS1_17partition_subalgoE0ExNS0_10empty_typeEbEEZZNS1_14partition_implILS5_0ELb0ES3_jN6thrust23THRUST_200600_302600_NS6detail15normal_iteratorINSA_10device_ptrIxEEEEPS6_SG_NS0_5tupleIJSF_SF_EEENSH_IJSG_SG_EEES6_PlJ7is_evenIxEEEE10hipError_tPvRmT3_T4_T5_T6_T7_T9_mT8_P12ihipStream_tbDpT10_ENKUlT_T0_E_clISt17integral_constantIbLb1EES16_EEDaS11_S12_EUlS11_E_NS1_11comp_targetILNS1_3genE5ELNS1_11target_archE942ELNS1_3gpuE9ELNS1_3repE0EEENS1_30default_config_static_selectorELNS0_4arch9wavefront6targetE1EEEvT1_ ; -- Begin function _ZN7rocprim17ROCPRIM_400000_NS6detail17trampoline_kernelINS0_14default_configENS1_25partition_config_selectorILNS1_17partition_subalgoE0ExNS0_10empty_typeEbEEZZNS1_14partition_implILS5_0ELb0ES3_jN6thrust23THRUST_200600_302600_NS6detail15normal_iteratorINSA_10device_ptrIxEEEEPS6_SG_NS0_5tupleIJSF_SF_EEENSH_IJSG_SG_EEES6_PlJ7is_evenIxEEEE10hipError_tPvRmT3_T4_T5_T6_T7_T9_mT8_P12ihipStream_tbDpT10_ENKUlT_T0_E_clISt17integral_constantIbLb1EES16_EEDaS11_S12_EUlS11_E_NS1_11comp_targetILNS1_3genE5ELNS1_11target_archE942ELNS1_3gpuE9ELNS1_3repE0EEENS1_30default_config_static_selectorELNS0_4arch9wavefront6targetE1EEEvT1_
	.globl	_ZN7rocprim17ROCPRIM_400000_NS6detail17trampoline_kernelINS0_14default_configENS1_25partition_config_selectorILNS1_17partition_subalgoE0ExNS0_10empty_typeEbEEZZNS1_14partition_implILS5_0ELb0ES3_jN6thrust23THRUST_200600_302600_NS6detail15normal_iteratorINSA_10device_ptrIxEEEEPS6_SG_NS0_5tupleIJSF_SF_EEENSH_IJSG_SG_EEES6_PlJ7is_evenIxEEEE10hipError_tPvRmT3_T4_T5_T6_T7_T9_mT8_P12ihipStream_tbDpT10_ENKUlT_T0_E_clISt17integral_constantIbLb1EES16_EEDaS11_S12_EUlS11_E_NS1_11comp_targetILNS1_3genE5ELNS1_11target_archE942ELNS1_3gpuE9ELNS1_3repE0EEENS1_30default_config_static_selectorELNS0_4arch9wavefront6targetE1EEEvT1_
	.p2align	8
	.type	_ZN7rocprim17ROCPRIM_400000_NS6detail17trampoline_kernelINS0_14default_configENS1_25partition_config_selectorILNS1_17partition_subalgoE0ExNS0_10empty_typeEbEEZZNS1_14partition_implILS5_0ELb0ES3_jN6thrust23THRUST_200600_302600_NS6detail15normal_iteratorINSA_10device_ptrIxEEEEPS6_SG_NS0_5tupleIJSF_SF_EEENSH_IJSG_SG_EEES6_PlJ7is_evenIxEEEE10hipError_tPvRmT3_T4_T5_T6_T7_T9_mT8_P12ihipStream_tbDpT10_ENKUlT_T0_E_clISt17integral_constantIbLb1EES16_EEDaS11_S12_EUlS11_E_NS1_11comp_targetILNS1_3genE5ELNS1_11target_archE942ELNS1_3gpuE9ELNS1_3repE0EEENS1_30default_config_static_selectorELNS0_4arch9wavefront6targetE1EEEvT1_,@function
_ZN7rocprim17ROCPRIM_400000_NS6detail17trampoline_kernelINS0_14default_configENS1_25partition_config_selectorILNS1_17partition_subalgoE0ExNS0_10empty_typeEbEEZZNS1_14partition_implILS5_0ELb0ES3_jN6thrust23THRUST_200600_302600_NS6detail15normal_iteratorINSA_10device_ptrIxEEEEPS6_SG_NS0_5tupleIJSF_SF_EEENSH_IJSG_SG_EEES6_PlJ7is_evenIxEEEE10hipError_tPvRmT3_T4_T5_T6_T7_T9_mT8_P12ihipStream_tbDpT10_ENKUlT_T0_E_clISt17integral_constantIbLb1EES16_EEDaS11_S12_EUlS11_E_NS1_11comp_targetILNS1_3genE5ELNS1_11target_archE942ELNS1_3gpuE9ELNS1_3repE0EEENS1_30default_config_static_selectorELNS0_4arch9wavefront6targetE1EEEvT1_: ; @_ZN7rocprim17ROCPRIM_400000_NS6detail17trampoline_kernelINS0_14default_configENS1_25partition_config_selectorILNS1_17partition_subalgoE0ExNS0_10empty_typeEbEEZZNS1_14partition_implILS5_0ELb0ES3_jN6thrust23THRUST_200600_302600_NS6detail15normal_iteratorINSA_10device_ptrIxEEEEPS6_SG_NS0_5tupleIJSF_SF_EEENSH_IJSG_SG_EEES6_PlJ7is_evenIxEEEE10hipError_tPvRmT3_T4_T5_T6_T7_T9_mT8_P12ihipStream_tbDpT10_ENKUlT_T0_E_clISt17integral_constantIbLb1EES16_EEDaS11_S12_EUlS11_E_NS1_11comp_targetILNS1_3genE5ELNS1_11target_archE942ELNS1_3gpuE9ELNS1_3repE0EEENS1_30default_config_static_selectorELNS0_4arch9wavefront6targetE1EEEvT1_
; %bb.0:
	.section	.rodata,"a",@progbits
	.p2align	6, 0x0
	.amdhsa_kernel _ZN7rocprim17ROCPRIM_400000_NS6detail17trampoline_kernelINS0_14default_configENS1_25partition_config_selectorILNS1_17partition_subalgoE0ExNS0_10empty_typeEbEEZZNS1_14partition_implILS5_0ELb0ES3_jN6thrust23THRUST_200600_302600_NS6detail15normal_iteratorINSA_10device_ptrIxEEEEPS6_SG_NS0_5tupleIJSF_SF_EEENSH_IJSG_SG_EEES6_PlJ7is_evenIxEEEE10hipError_tPvRmT3_T4_T5_T6_T7_T9_mT8_P12ihipStream_tbDpT10_ENKUlT_T0_E_clISt17integral_constantIbLb1EES16_EEDaS11_S12_EUlS11_E_NS1_11comp_targetILNS1_3genE5ELNS1_11target_archE942ELNS1_3gpuE9ELNS1_3repE0EEENS1_30default_config_static_selectorELNS0_4arch9wavefront6targetE1EEEvT1_
		.amdhsa_group_segment_fixed_size 0
		.amdhsa_private_segment_fixed_size 0
		.amdhsa_kernarg_size 136
		.amdhsa_user_sgpr_count 6
		.amdhsa_user_sgpr_private_segment_buffer 1
		.amdhsa_user_sgpr_dispatch_ptr 0
		.amdhsa_user_sgpr_queue_ptr 0
		.amdhsa_user_sgpr_kernarg_segment_ptr 1
		.amdhsa_user_sgpr_dispatch_id 0
		.amdhsa_user_sgpr_flat_scratch_init 0
		.amdhsa_user_sgpr_kernarg_preload_length 0
		.amdhsa_user_sgpr_kernarg_preload_offset 0
		.amdhsa_user_sgpr_private_segment_size 0
		.amdhsa_uses_dynamic_stack 0
		.amdhsa_system_sgpr_private_segment_wavefront_offset 0
		.amdhsa_system_sgpr_workgroup_id_x 1
		.amdhsa_system_sgpr_workgroup_id_y 0
		.amdhsa_system_sgpr_workgroup_id_z 0
		.amdhsa_system_sgpr_workgroup_info 0
		.amdhsa_system_vgpr_workitem_id 0
		.amdhsa_next_free_vgpr 1
		.amdhsa_next_free_sgpr 0
		.amdhsa_accum_offset 4
		.amdhsa_reserve_vcc 0
		.amdhsa_reserve_flat_scratch 0
		.amdhsa_float_round_mode_32 0
		.amdhsa_float_round_mode_16_64 0
		.amdhsa_float_denorm_mode_32 3
		.amdhsa_float_denorm_mode_16_64 3
		.amdhsa_dx10_clamp 1
		.amdhsa_ieee_mode 1
		.amdhsa_fp16_overflow 0
		.amdhsa_tg_split 0
		.amdhsa_exception_fp_ieee_invalid_op 0
		.amdhsa_exception_fp_denorm_src 0
		.amdhsa_exception_fp_ieee_div_zero 0
		.amdhsa_exception_fp_ieee_overflow 0
		.amdhsa_exception_fp_ieee_underflow 0
		.amdhsa_exception_fp_ieee_inexact 0
		.amdhsa_exception_int_div_zero 0
	.end_amdhsa_kernel
	.section	.text._ZN7rocprim17ROCPRIM_400000_NS6detail17trampoline_kernelINS0_14default_configENS1_25partition_config_selectorILNS1_17partition_subalgoE0ExNS0_10empty_typeEbEEZZNS1_14partition_implILS5_0ELb0ES3_jN6thrust23THRUST_200600_302600_NS6detail15normal_iteratorINSA_10device_ptrIxEEEEPS6_SG_NS0_5tupleIJSF_SF_EEENSH_IJSG_SG_EEES6_PlJ7is_evenIxEEEE10hipError_tPvRmT3_T4_T5_T6_T7_T9_mT8_P12ihipStream_tbDpT10_ENKUlT_T0_E_clISt17integral_constantIbLb1EES16_EEDaS11_S12_EUlS11_E_NS1_11comp_targetILNS1_3genE5ELNS1_11target_archE942ELNS1_3gpuE9ELNS1_3repE0EEENS1_30default_config_static_selectorELNS0_4arch9wavefront6targetE1EEEvT1_,"axG",@progbits,_ZN7rocprim17ROCPRIM_400000_NS6detail17trampoline_kernelINS0_14default_configENS1_25partition_config_selectorILNS1_17partition_subalgoE0ExNS0_10empty_typeEbEEZZNS1_14partition_implILS5_0ELb0ES3_jN6thrust23THRUST_200600_302600_NS6detail15normal_iteratorINSA_10device_ptrIxEEEEPS6_SG_NS0_5tupleIJSF_SF_EEENSH_IJSG_SG_EEES6_PlJ7is_evenIxEEEE10hipError_tPvRmT3_T4_T5_T6_T7_T9_mT8_P12ihipStream_tbDpT10_ENKUlT_T0_E_clISt17integral_constantIbLb1EES16_EEDaS11_S12_EUlS11_E_NS1_11comp_targetILNS1_3genE5ELNS1_11target_archE942ELNS1_3gpuE9ELNS1_3repE0EEENS1_30default_config_static_selectorELNS0_4arch9wavefront6targetE1EEEvT1_,comdat
.Lfunc_end298:
	.size	_ZN7rocprim17ROCPRIM_400000_NS6detail17trampoline_kernelINS0_14default_configENS1_25partition_config_selectorILNS1_17partition_subalgoE0ExNS0_10empty_typeEbEEZZNS1_14partition_implILS5_0ELb0ES3_jN6thrust23THRUST_200600_302600_NS6detail15normal_iteratorINSA_10device_ptrIxEEEEPS6_SG_NS0_5tupleIJSF_SF_EEENSH_IJSG_SG_EEES6_PlJ7is_evenIxEEEE10hipError_tPvRmT3_T4_T5_T6_T7_T9_mT8_P12ihipStream_tbDpT10_ENKUlT_T0_E_clISt17integral_constantIbLb1EES16_EEDaS11_S12_EUlS11_E_NS1_11comp_targetILNS1_3genE5ELNS1_11target_archE942ELNS1_3gpuE9ELNS1_3repE0EEENS1_30default_config_static_selectorELNS0_4arch9wavefront6targetE1EEEvT1_, .Lfunc_end298-_ZN7rocprim17ROCPRIM_400000_NS6detail17trampoline_kernelINS0_14default_configENS1_25partition_config_selectorILNS1_17partition_subalgoE0ExNS0_10empty_typeEbEEZZNS1_14partition_implILS5_0ELb0ES3_jN6thrust23THRUST_200600_302600_NS6detail15normal_iteratorINSA_10device_ptrIxEEEEPS6_SG_NS0_5tupleIJSF_SF_EEENSH_IJSG_SG_EEES6_PlJ7is_evenIxEEEE10hipError_tPvRmT3_T4_T5_T6_T7_T9_mT8_P12ihipStream_tbDpT10_ENKUlT_T0_E_clISt17integral_constantIbLb1EES16_EEDaS11_S12_EUlS11_E_NS1_11comp_targetILNS1_3genE5ELNS1_11target_archE942ELNS1_3gpuE9ELNS1_3repE0EEENS1_30default_config_static_selectorELNS0_4arch9wavefront6targetE1EEEvT1_
                                        ; -- End function
	.section	.AMDGPU.csdata,"",@progbits
; Kernel info:
; codeLenInByte = 0
; NumSgprs: 4
; NumVgprs: 0
; NumAgprs: 0
; TotalNumVgprs: 0
; ScratchSize: 0
; MemoryBound: 0
; FloatMode: 240
; IeeeMode: 1
; LDSByteSize: 0 bytes/workgroup (compile time only)
; SGPRBlocks: 0
; VGPRBlocks: 0
; NumSGPRsForWavesPerEU: 4
; NumVGPRsForWavesPerEU: 1
; AccumOffset: 4
; Occupancy: 8
; WaveLimiterHint : 0
; COMPUTE_PGM_RSRC2:SCRATCH_EN: 0
; COMPUTE_PGM_RSRC2:USER_SGPR: 6
; COMPUTE_PGM_RSRC2:TRAP_HANDLER: 0
; COMPUTE_PGM_RSRC2:TGID_X_EN: 1
; COMPUTE_PGM_RSRC2:TGID_Y_EN: 0
; COMPUTE_PGM_RSRC2:TGID_Z_EN: 0
; COMPUTE_PGM_RSRC2:TIDIG_COMP_CNT: 0
; COMPUTE_PGM_RSRC3_GFX90A:ACCUM_OFFSET: 0
; COMPUTE_PGM_RSRC3_GFX90A:TG_SPLIT: 0
	.section	.text._ZN7rocprim17ROCPRIM_400000_NS6detail17trampoline_kernelINS0_14default_configENS1_25partition_config_selectorILNS1_17partition_subalgoE0ExNS0_10empty_typeEbEEZZNS1_14partition_implILS5_0ELb0ES3_jN6thrust23THRUST_200600_302600_NS6detail15normal_iteratorINSA_10device_ptrIxEEEEPS6_SG_NS0_5tupleIJSF_SF_EEENSH_IJSG_SG_EEES6_PlJ7is_evenIxEEEE10hipError_tPvRmT3_T4_T5_T6_T7_T9_mT8_P12ihipStream_tbDpT10_ENKUlT_T0_E_clISt17integral_constantIbLb1EES16_EEDaS11_S12_EUlS11_E_NS1_11comp_targetILNS1_3genE4ELNS1_11target_archE910ELNS1_3gpuE8ELNS1_3repE0EEENS1_30default_config_static_selectorELNS0_4arch9wavefront6targetE1EEEvT1_,"axG",@progbits,_ZN7rocprim17ROCPRIM_400000_NS6detail17trampoline_kernelINS0_14default_configENS1_25partition_config_selectorILNS1_17partition_subalgoE0ExNS0_10empty_typeEbEEZZNS1_14partition_implILS5_0ELb0ES3_jN6thrust23THRUST_200600_302600_NS6detail15normal_iteratorINSA_10device_ptrIxEEEEPS6_SG_NS0_5tupleIJSF_SF_EEENSH_IJSG_SG_EEES6_PlJ7is_evenIxEEEE10hipError_tPvRmT3_T4_T5_T6_T7_T9_mT8_P12ihipStream_tbDpT10_ENKUlT_T0_E_clISt17integral_constantIbLb1EES16_EEDaS11_S12_EUlS11_E_NS1_11comp_targetILNS1_3genE4ELNS1_11target_archE910ELNS1_3gpuE8ELNS1_3repE0EEENS1_30default_config_static_selectorELNS0_4arch9wavefront6targetE1EEEvT1_,comdat
	.protected	_ZN7rocprim17ROCPRIM_400000_NS6detail17trampoline_kernelINS0_14default_configENS1_25partition_config_selectorILNS1_17partition_subalgoE0ExNS0_10empty_typeEbEEZZNS1_14partition_implILS5_0ELb0ES3_jN6thrust23THRUST_200600_302600_NS6detail15normal_iteratorINSA_10device_ptrIxEEEEPS6_SG_NS0_5tupleIJSF_SF_EEENSH_IJSG_SG_EEES6_PlJ7is_evenIxEEEE10hipError_tPvRmT3_T4_T5_T6_T7_T9_mT8_P12ihipStream_tbDpT10_ENKUlT_T0_E_clISt17integral_constantIbLb1EES16_EEDaS11_S12_EUlS11_E_NS1_11comp_targetILNS1_3genE4ELNS1_11target_archE910ELNS1_3gpuE8ELNS1_3repE0EEENS1_30default_config_static_selectorELNS0_4arch9wavefront6targetE1EEEvT1_ ; -- Begin function _ZN7rocprim17ROCPRIM_400000_NS6detail17trampoline_kernelINS0_14default_configENS1_25partition_config_selectorILNS1_17partition_subalgoE0ExNS0_10empty_typeEbEEZZNS1_14partition_implILS5_0ELb0ES3_jN6thrust23THRUST_200600_302600_NS6detail15normal_iteratorINSA_10device_ptrIxEEEEPS6_SG_NS0_5tupleIJSF_SF_EEENSH_IJSG_SG_EEES6_PlJ7is_evenIxEEEE10hipError_tPvRmT3_T4_T5_T6_T7_T9_mT8_P12ihipStream_tbDpT10_ENKUlT_T0_E_clISt17integral_constantIbLb1EES16_EEDaS11_S12_EUlS11_E_NS1_11comp_targetILNS1_3genE4ELNS1_11target_archE910ELNS1_3gpuE8ELNS1_3repE0EEENS1_30default_config_static_selectorELNS0_4arch9wavefront6targetE1EEEvT1_
	.globl	_ZN7rocprim17ROCPRIM_400000_NS6detail17trampoline_kernelINS0_14default_configENS1_25partition_config_selectorILNS1_17partition_subalgoE0ExNS0_10empty_typeEbEEZZNS1_14partition_implILS5_0ELb0ES3_jN6thrust23THRUST_200600_302600_NS6detail15normal_iteratorINSA_10device_ptrIxEEEEPS6_SG_NS0_5tupleIJSF_SF_EEENSH_IJSG_SG_EEES6_PlJ7is_evenIxEEEE10hipError_tPvRmT3_T4_T5_T6_T7_T9_mT8_P12ihipStream_tbDpT10_ENKUlT_T0_E_clISt17integral_constantIbLb1EES16_EEDaS11_S12_EUlS11_E_NS1_11comp_targetILNS1_3genE4ELNS1_11target_archE910ELNS1_3gpuE8ELNS1_3repE0EEENS1_30default_config_static_selectorELNS0_4arch9wavefront6targetE1EEEvT1_
	.p2align	8
	.type	_ZN7rocprim17ROCPRIM_400000_NS6detail17trampoline_kernelINS0_14default_configENS1_25partition_config_selectorILNS1_17partition_subalgoE0ExNS0_10empty_typeEbEEZZNS1_14partition_implILS5_0ELb0ES3_jN6thrust23THRUST_200600_302600_NS6detail15normal_iteratorINSA_10device_ptrIxEEEEPS6_SG_NS0_5tupleIJSF_SF_EEENSH_IJSG_SG_EEES6_PlJ7is_evenIxEEEE10hipError_tPvRmT3_T4_T5_T6_T7_T9_mT8_P12ihipStream_tbDpT10_ENKUlT_T0_E_clISt17integral_constantIbLb1EES16_EEDaS11_S12_EUlS11_E_NS1_11comp_targetILNS1_3genE4ELNS1_11target_archE910ELNS1_3gpuE8ELNS1_3repE0EEENS1_30default_config_static_selectorELNS0_4arch9wavefront6targetE1EEEvT1_,@function
_ZN7rocprim17ROCPRIM_400000_NS6detail17trampoline_kernelINS0_14default_configENS1_25partition_config_selectorILNS1_17partition_subalgoE0ExNS0_10empty_typeEbEEZZNS1_14partition_implILS5_0ELb0ES3_jN6thrust23THRUST_200600_302600_NS6detail15normal_iteratorINSA_10device_ptrIxEEEEPS6_SG_NS0_5tupleIJSF_SF_EEENSH_IJSG_SG_EEES6_PlJ7is_evenIxEEEE10hipError_tPvRmT3_T4_T5_T6_T7_T9_mT8_P12ihipStream_tbDpT10_ENKUlT_T0_E_clISt17integral_constantIbLb1EES16_EEDaS11_S12_EUlS11_E_NS1_11comp_targetILNS1_3genE4ELNS1_11target_archE910ELNS1_3gpuE8ELNS1_3repE0EEENS1_30default_config_static_selectorELNS0_4arch9wavefront6targetE1EEEvT1_: ; @_ZN7rocprim17ROCPRIM_400000_NS6detail17trampoline_kernelINS0_14default_configENS1_25partition_config_selectorILNS1_17partition_subalgoE0ExNS0_10empty_typeEbEEZZNS1_14partition_implILS5_0ELb0ES3_jN6thrust23THRUST_200600_302600_NS6detail15normal_iteratorINSA_10device_ptrIxEEEEPS6_SG_NS0_5tupleIJSF_SF_EEENSH_IJSG_SG_EEES6_PlJ7is_evenIxEEEE10hipError_tPvRmT3_T4_T5_T6_T7_T9_mT8_P12ihipStream_tbDpT10_ENKUlT_T0_E_clISt17integral_constantIbLb1EES16_EEDaS11_S12_EUlS11_E_NS1_11comp_targetILNS1_3genE4ELNS1_11target_archE910ELNS1_3gpuE8ELNS1_3repE0EEENS1_30default_config_static_selectorELNS0_4arch9wavefront6targetE1EEEvT1_
; %bb.0:
	s_load_dwordx2 s[2:3], s[4:5], 0x58
	s_load_dwordx4 s[20:23], s[4:5], 0x48
	s_load_dwordx2 s[34:35], s[4:5], 0x68
	v_cmp_eq_u32_e64 s[0:1], 0, v0
	s_and_saveexec_b64 s[6:7], s[0:1]
	s_cbranch_execz .LBB299_4
; %bb.1:
	s_mov_b64 s[10:11], exec
	v_mbcnt_lo_u32_b32 v1, s10, 0
	v_mbcnt_hi_u32_b32 v1, s11, v1
	v_cmp_eq_u32_e32 vcc, 0, v1
                                        ; implicit-def: $vgpr2
	s_and_saveexec_b64 s[8:9], vcc
	s_cbranch_execz .LBB299_3
; %bb.2:
	s_load_dwordx2 s[12:13], s[4:5], 0x78
	s_bcnt1_i32_b64 s10, s[10:11]
	v_mov_b32_e32 v2, 0
	v_mov_b32_e32 v3, s10
	s_waitcnt lgkmcnt(0)
	global_atomic_add v2, v2, v3, s[12:13] glc
.LBB299_3:
	s_or_b64 exec, exec, s[8:9]
	s_waitcnt vmcnt(0)
	v_readfirstlane_b32 s8, v2
	v_add_u32_e32 v1, s8, v1
	v_mov_b32_e32 v2, 0
	ds_write_b32 v2, v1
.LBB299_4:
	s_or_b64 exec, exec, s[6:7]
	v_mov_b32_e32 v3, 0
	s_load_dwordx4 s[28:31], s[4:5], 0x8
	s_load_dwordx4 s[24:27], s[4:5], 0x28
	s_load_dword s6, s[4:5], 0x70
	s_waitcnt lgkmcnt(0)
	s_barrier
	ds_read_b32 v1, v3
	s_waitcnt lgkmcnt(0)
	s_barrier
	global_load_dwordx2 v[10:11], v3, s[22:23]
	v_mov_b32_e32 v5, s3
	s_lshl_b64 s[4:5], s[30:31], 3
	s_movk_i32 s3, 0x300
	s_add_u32 s7, s28, s4
	v_mul_lo_u32 v2, v1, s3
	s_mul_i32 s3, s6, 0x300
	s_addc_u32 s8, s29, s5
	s_add_i32 s5, s3, s30
	s_sub_i32 s33, s2, s5
	s_add_i32 s4, s6, -1
	s_addk_i32 s33, 0x300
	v_mov_b32_e32 v4, s2
	s_add_u32 s2, s30, s3
	v_readfirstlane_b32 s40, v1
	s_addc_u32 s3, s31, 0
	s_cmp_eq_u32 s40, s4
	s_cselect_b64 s[22:23], -1, 0
	s_cmp_lg_u32 s40, s4
	v_cmp_lt_u64_e32 vcc, s[2:3], v[4:5]
	s_cselect_b64 s[2:3], -1, 0
	v_lshlrev_b64 v[12:13], 3, v[2:3]
	s_or_b64 s[4:5], vcc, s[2:3]
	v_mov_b32_e32 v1, s8
	v_add_co_u32_e32 v15, vcc, s7, v12
	v_addc_co_u32_e32 v16, vcc, v1, v13, vcc
	s_mov_b64 s[2:3], -1
	s_and_b64 vcc, exec, s[4:5]
	v_lshlrev_b32_e32 v1, 3, v0
	v_lshrrev_b32_e32 v14, 2, v0
	s_cbranch_vccz .LBB299_6
; %bb.5:
	v_add_co_u32_e32 v2, vcc, v15, v1
	v_addc_co_u32_e32 v3, vcc, 0, v16, vcc
	v_add_co_u32_e32 v4, vcc, 0x1000, v2
	v_addc_co_u32_e32 v5, vcc, 0, v3, vcc
	flat_load_dwordx2 v[6:7], v[2:3]
	flat_load_dwordx2 v[8:9], v[2:3] offset:1536
	flat_load_dwordx2 v[18:19], v[2:3] offset:3072
	;; [unrolled: 1-line block ×3, first 2 shown]
	v_add_u32_e32 v3, 0xc0, v0
	v_add_u32_e32 v4, 0x180, v0
	;; [unrolled: 1-line block ×3, first 2 shown]
	v_and_b32_e32 v2, 56, v14
	v_lshrrev_b32_e32 v3, 2, v3
	v_lshrrev_b32_e32 v4, 2, v4
	;; [unrolled: 1-line block ×3, first 2 shown]
	v_add_u32_e32 v2, v2, v1
	v_and_b32_e32 v3, 0x78, v3
	v_and_b32_e32 v4, 0xf8, v4
	;; [unrolled: 1-line block ×3, first 2 shown]
	v_add_u32_e32 v3, v3, v1
	v_add_u32_e32 v4, v4, v1
	v_add_u32_e32 v5, v5, v1
	s_mov_b64 s[2:3], 0
	s_waitcnt vmcnt(0) lgkmcnt(0)
	ds_write_b64 v2, v[6:7]
	ds_write_b64 v3, v[8:9] offset:1536
	ds_write_b64 v4, v[18:19] offset:3072
	;; [unrolled: 1-line block ×3, first 2 shown]
	s_waitcnt lgkmcnt(0)
	s_barrier
.LBB299_6:
	s_andn2_b64 vcc, exec, s[2:3]
	v_cmp_gt_u32_e64 s[2:3], s33, v0
	s_cbranch_vccnz .LBB299_16
; %bb.7:
                                        ; implicit-def: $vgpr2_vgpr3_vgpr4_vgpr5_vgpr6_vgpr7_vgpr8_vgpr9
	s_and_saveexec_b64 s[6:7], s[2:3]
	s_cbranch_execz .LBB299_9
; %bb.8:
	v_add_co_u32_e32 v2, vcc, v15, v1
	v_addc_co_u32_e32 v3, vcc, 0, v16, vcc
	flat_load_dwordx2 v[2:3], v[2:3]
.LBB299_9:
	s_or_b64 exec, exec, s[6:7]
	v_add_u32_e32 v17, 0xc0, v0
	v_cmp_gt_u32_e32 vcc, s33, v17
	s_and_saveexec_b64 s[2:3], vcc
	s_cbranch_execz .LBB299_11
; %bb.10:
	v_add_co_u32_e32 v4, vcc, v15, v1
	v_addc_co_u32_e32 v5, vcc, 0, v16, vcc
	flat_load_dwordx2 v[4:5], v[4:5] offset:1536
.LBB299_11:
	s_or_b64 exec, exec, s[2:3]
	v_add_u32_e32 v18, 0x180, v0
	v_cmp_gt_u32_e32 vcc, s33, v18
	s_and_saveexec_b64 s[2:3], vcc
	s_cbranch_execz .LBB299_13
; %bb.12:
	v_add_co_u32_e32 v6, vcc, v15, v1
	v_addc_co_u32_e32 v7, vcc, 0, v16, vcc
	flat_load_dwordx2 v[6:7], v[6:7] offset:3072
.LBB299_13:
	s_or_b64 exec, exec, s[2:3]
	v_add_u32_e32 v19, 0x240, v0
	v_cmp_gt_u32_e32 vcc, s33, v19
	s_and_saveexec_b64 s[2:3], vcc
	s_cbranch_execz .LBB299_15
; %bb.14:
	v_lshlrev_b32_e32 v8, 3, v19
	v_add_co_u32_e32 v8, vcc, v15, v8
	v_addc_co_u32_e32 v9, vcc, 0, v16, vcc
	flat_load_dwordx2 v[8:9], v[8:9]
.LBB299_15:
	s_or_b64 exec, exec, s[2:3]
	v_and_b32_e32 v14, 56, v14
	v_add_u32_e32 v14, v14, v1
	s_waitcnt vmcnt(0) lgkmcnt(0)
	ds_write_b64 v14, v[2:3]
	v_lshrrev_b32_e32 v2, 2, v17
	v_and_b32_e32 v2, 0x78, v2
	v_add_u32_e32 v2, v2, v1
	ds_write_b64 v2, v[4:5] offset:1536
	v_lshrrev_b32_e32 v2, 2, v18
	v_and_b32_e32 v2, 0xf8, v2
	v_add_u32_e32 v2, v2, v1
	ds_write_b64 v2, v[6:7] offset:3072
	;; [unrolled: 4-line block ×3, first 2 shown]
	s_waitcnt lgkmcnt(0)
	s_barrier
.LBB299_16:
	v_lshlrev_b32_e32 v24, 2, v0
	v_lshrrev_b32_e32 v2, 3, v0
	v_add_lshl_u32 v2, v2, v24, 3
	ds_read2_b64 v[6:9], v2 offset1:1
	ds_read2_b64 v[2:5], v2 offset0:2 offset1:3
	v_cndmask_b32_e64 v14, 0, 1, s[4:5]
	v_cmp_ne_u32_e64 s[2:3], 1, v14
	s_andn2_b64 vcc, exec, s[4:5]
	s_waitcnt lgkmcnt(1)
	v_xor_b32_e32 v17, -1, v6
	v_xor_b32_e32 v16, -1, v8
	s_waitcnt lgkmcnt(0)
	v_xor_b32_e32 v15, -1, v2
	v_xor_b32_e32 v14, -1, v4
	s_barrier
	s_cbranch_vccnz .LBB299_18
; %bb.17:
	v_mov_b32_e32 v19, 1
	v_and_b32_e32 v18, 1, v17
	v_and_b32_sdwa v20, v16, v19 dst_sel:BYTE_1 dst_unused:UNUSED_PAD src0_sel:DWORD src1_sel:DWORD
	v_and_b32_e32 v21, 1, v15
	v_and_b32_sdwa v19, v14, v19 dst_sel:BYTE_1 dst_unused:UNUSED_PAD src0_sel:DWORD src1_sel:DWORD
	v_or_b32_e32 v18, v18, v20
	v_or_b32_sdwa v19, v21, v19 dst_sel:WORD_1 dst_unused:UNUSED_PAD src0_sel:DWORD src1_sel:DWORD
	v_or_b32_sdwa v25, v18, v19 dst_sel:DWORD dst_unused:UNUSED_PAD src0_sel:WORD_0 src1_sel:DWORD
	s_cbranch_execz .LBB299_19
	s_branch .LBB299_20
.LBB299_18:
                                        ; implicit-def: $vgpr25
.LBB299_19:
	v_cmp_gt_u32_e32 vcc, s33, v24
	v_cndmask_b32_e64 v18, 0, 1, vcc
	v_and_b32_e32 v17, v18, v17
	v_or_b32_e32 v18, 1, v24
	v_cmp_gt_u32_e32 vcc, s33, v18
	v_cndmask_b32_e64 v18, 0, 1, vcc
	v_and_b32_sdwa v16, v18, v16 dst_sel:BYTE_1 dst_unused:UNUSED_PAD src0_sel:DWORD src1_sel:DWORD
	v_or_b32_e32 v18, 2, v24
	v_cmp_gt_u32_e32 vcc, s33, v18
	v_cndmask_b32_e64 v18, 0, 1, vcc
	v_and_b32_e32 v15, v18, v15
	v_or_b32_e32 v18, 3, v24
	v_cmp_gt_u32_e32 vcc, s33, v18
	v_cndmask_b32_e64 v18, 0, 1, vcc
	v_and_b32_sdwa v14, v18, v14 dst_sel:BYTE_1 dst_unused:UNUSED_PAD src0_sel:DWORD src1_sel:DWORD
	v_or_b32_e32 v16, v17, v16
	v_or_b32_sdwa v14, v15, v14 dst_sel:WORD_1 dst_unused:UNUSED_PAD src0_sel:DWORD src1_sel:DWORD
	v_or_b32_sdwa v25, v16, v14 dst_sel:DWORD dst_unused:UNUSED_PAD src0_sel:WORD_0 src1_sel:DWORD
.LBB299_20:
	v_bfe_u32 v27, v25, 16, 8
	v_lshrrev_b32_e32 v26, 24, v25
	v_add_u32_sdwa v14, v25, v25 dst_sel:DWORD dst_unused:UNUSED_PAD src0_sel:BYTE_1 src1_sel:BYTE_0
	v_add3_u32 v30, v14, v27, v26
	v_mbcnt_lo_u32_b32 v14, -1, 0
	v_mbcnt_hi_u32_b32 v28, -1, v14
	v_and_b32_e32 v14, 15, v28
	v_cmp_eq_u32_e64 s[16:17], 0, v14
	v_cmp_lt_u32_e64 s[14:15], 1, v14
	v_cmp_lt_u32_e64 s[12:13], 3, v14
	;; [unrolled: 1-line block ×3, first 2 shown]
	v_and_b32_e32 v14, 16, v28
	v_cmp_eq_u32_e64 s[6:7], 0, v14
	v_and_b32_e32 v14, 0xc0, v0
	v_min_u32_e32 v14, 0x80, v14
	v_or_b32_e32 v14, 63, v14
	s_cmp_lg_u32 s40, 0
	v_cmp_lt_u32_e64 s[4:5], 31, v28
	v_lshrrev_b32_e32 v29, 6, v0
	v_cmp_eq_u32_e64 s[8:9], v14, v0
	s_cbranch_scc0 .LBB299_51
; %bb.21:
	v_mov_b32_dpp v14, v30 row_shr:1 row_mask:0xf bank_mask:0xf
	v_cndmask_b32_e64 v14, v14, 0, s[16:17]
	v_add_u32_e32 v14, v14, v30
	s_nop 1
	v_mov_b32_dpp v15, v14 row_shr:2 row_mask:0xf bank_mask:0xf
	v_cndmask_b32_e64 v15, 0, v15, s[14:15]
	v_add_u32_e32 v14, v14, v15
	s_nop 1
	;; [unrolled: 4-line block ×4, first 2 shown]
	v_mov_b32_dpp v15, v14 row_bcast:15 row_mask:0xf bank_mask:0xf
	v_cndmask_b32_e64 v15, v15, 0, s[6:7]
	v_add_u32_e32 v14, v14, v15
	s_nop 1
	v_mov_b32_dpp v15, v14 row_bcast:31 row_mask:0xf bank_mask:0xf
	v_cndmask_b32_e64 v15, 0, v15, s[4:5]
	v_add_u32_e32 v14, v14, v15
	s_and_saveexec_b64 s[18:19], s[8:9]
	s_cbranch_execz .LBB299_23
; %bb.22:
	v_lshlrev_b32_e32 v15, 2, v29
	ds_write_b32 v15, v14
.LBB299_23:
	s_or_b64 exec, exec, s[18:19]
	v_cmp_gt_u32_e32 vcc, 3, v0
	s_waitcnt lgkmcnt(0)
	s_barrier
	s_and_saveexec_b64 s[18:19], vcc
	s_cbranch_execz .LBB299_25
; %bb.24:
	ds_read_b32 v15, v24
	v_and_b32_e32 v16, 3, v28
	v_cmp_ne_u32_e32 vcc, 0, v16
	s_waitcnt lgkmcnt(0)
	v_mov_b32_dpp v17, v15 row_shr:1 row_mask:0xf bank_mask:0xf
	v_cndmask_b32_e32 v17, 0, v17, vcc
	v_add_u32_e32 v15, v17, v15
	v_cmp_lt_u32_e32 vcc, 1, v16
	s_nop 0
	v_mov_b32_dpp v17, v15 row_shr:2 row_mask:0xf bank_mask:0xf
	v_cndmask_b32_e32 v16, 0, v17, vcc
	v_add_u32_e32 v15, v15, v16
	ds_write_b32 v24, v15
.LBB299_25:
	s_or_b64 exec, exec, s[18:19]
	v_cmp_gt_u32_e32 vcc, 64, v0
	v_cmp_lt_u32_e64 s[18:19], 63, v0
	s_waitcnt lgkmcnt(0)
	s_barrier
	s_waitcnt lgkmcnt(0)
                                        ; implicit-def: $vgpr31
	s_and_saveexec_b64 s[28:29], s[18:19]
	s_cbranch_execz .LBB299_27
; %bb.26:
	v_lshl_add_u32 v15, v29, 2, -4
	ds_read_b32 v31, v15
	s_waitcnt lgkmcnt(0)
	v_add_u32_e32 v14, v31, v14
.LBB299_27:
	s_or_b64 exec, exec, s[28:29]
	v_add_u32_e32 v15, -1, v28
	v_and_b32_e32 v16, 64, v28
	v_cmp_lt_i32_e64 s[18:19], v15, v16
	v_cndmask_b32_e64 v15, v15, v28, s[18:19]
	v_lshlrev_b32_e32 v15, 2, v15
	ds_bpermute_b32 v32, v15, v14
	v_cmp_eq_u32_e64 s[18:19], 0, v28
	s_and_saveexec_b64 s[28:29], vcc
	s_cbranch_execz .LBB299_50
; %bb.28:
	v_mov_b32_e32 v23, 0
	ds_read_b32 v14, v23 offset:8
	s_and_saveexec_b64 s[36:37], s[18:19]
	s_cbranch_execz .LBB299_30
; %bb.29:
	s_add_i32 s38, s40, 64
	s_mov_b32 s39, 0
	s_lshl_b64 s[38:39], s[38:39], 3
	s_add_u32 s38, s34, s38
	v_mov_b32_e32 v15, 1
	s_addc_u32 s39, s35, s39
	s_waitcnt lgkmcnt(0)
	global_store_dwordx2 v23, v[14:15], s[38:39]
.LBB299_30:
	s_or_b64 exec, exec, s[36:37]
	v_xad_u32 v16, v28, -1, s40
	v_add_u32_e32 v22, 64, v16
	v_lshlrev_b64 v[18:19], 3, v[22:23]
	v_mov_b32_e32 v15, s35
	v_add_co_u32_e32 v18, vcc, s34, v18
	v_addc_co_u32_e32 v19, vcc, v15, v19, vcc
	global_load_dwordx2 v[20:21], v[18:19], off glc
	s_waitcnt vmcnt(0)
	v_cmp_eq_u16_sdwa s[38:39], v21, v23 src0_sel:BYTE_0 src1_sel:DWORD
	s_and_saveexec_b64 s[36:37], s[38:39]
	s_cbranch_execz .LBB299_36
; %bb.31:
	s_mov_b32 s41, 1
	s_mov_b64 s[38:39], 0
	v_mov_b32_e32 v15, 0
.LBB299_32:                             ; =>This Loop Header: Depth=1
                                        ;     Child Loop BB299_33 Depth 2
	s_max_u32 s42, s41, 1
.LBB299_33:                             ;   Parent Loop BB299_32 Depth=1
                                        ; =>  This Inner Loop Header: Depth=2
	s_add_i32 s42, s42, -1
	s_cmp_eq_u32 s42, 0
	s_sleep 1
	s_cbranch_scc0 .LBB299_33
; %bb.34:                               ;   in Loop: Header=BB299_32 Depth=1
	global_load_dwordx2 v[20:21], v[18:19], off glc
	s_cmp_lt_u32 s41, 32
	s_cselect_b64 s[42:43], -1, 0
	s_cmp_lg_u64 s[42:43], 0
	s_addc_u32 s41, s41, 0
	s_waitcnt vmcnt(0)
	v_cmp_ne_u16_sdwa s[42:43], v21, v15 src0_sel:BYTE_0 src1_sel:DWORD
	s_or_b64 s[38:39], s[42:43], s[38:39]
	s_andn2_b64 exec, exec, s[38:39]
	s_cbranch_execnz .LBB299_32
; %bb.35:
	s_or_b64 exec, exec, s[38:39]
.LBB299_36:
	s_or_b64 exec, exec, s[36:37]
	v_and_b32_e32 v34, 63, v28
	v_mov_b32_e32 v33, 2
	v_cmp_ne_u32_e32 vcc, 63, v34
	v_cmp_eq_u16_sdwa s[36:37], v21, v33 src0_sel:BYTE_0 src1_sel:DWORD
	v_lshlrev_b64 v[18:19], v28, -1
	v_addc_co_u32_e32 v22, vcc, 0, v28, vcc
	v_and_b32_e32 v15, s37, v19
	v_lshlrev_b32_e32 v35, 2, v22
	v_or_b32_e32 v15, 0x80000000, v15
	ds_bpermute_b32 v22, v35, v20
	v_and_b32_e32 v17, s36, v18
	v_ffbl_b32_e32 v15, v15
	v_add_u32_e32 v15, 32, v15
	v_ffbl_b32_e32 v17, v17
	v_min_u32_e32 v15, v17, v15
	v_cmp_lt_u32_e32 vcc, v34, v15
	s_waitcnt lgkmcnt(0)
	v_cndmask_b32_e32 v17, 0, v22, vcc
	v_cmp_gt_u32_e32 vcc, 62, v34
	v_add_u32_e32 v17, v17, v20
	v_cndmask_b32_e64 v20, 0, 1, vcc
	v_lshlrev_b32_e32 v20, 1, v20
	v_add_lshl_u32 v36, v20, v28, 2
	ds_bpermute_b32 v20, v36, v17
	v_add_u32_e32 v37, 2, v34
	v_cmp_le_u32_e32 vcc, v37, v15
	v_add_u32_e32 v39, 4, v34
	v_add_u32_e32 v41, 8, v34
	s_waitcnt lgkmcnt(0)
	v_cndmask_b32_e32 v20, 0, v20, vcc
	v_cmp_gt_u32_e32 vcc, 60, v34
	v_add_u32_e32 v17, v17, v20
	v_cndmask_b32_e64 v20, 0, 1, vcc
	v_lshlrev_b32_e32 v20, 2, v20
	v_add_lshl_u32 v38, v20, v28, 2
	ds_bpermute_b32 v20, v38, v17
	v_cmp_le_u32_e32 vcc, v39, v15
	v_add_u32_e32 v43, 16, v34
	v_add_u32_e32 v45, 32, v34
	s_waitcnt lgkmcnt(0)
	v_cndmask_b32_e32 v20, 0, v20, vcc
	v_cmp_gt_u32_e32 vcc, 56, v34
	v_add_u32_e32 v17, v17, v20
	v_cndmask_b32_e64 v20, 0, 1, vcc
	v_lshlrev_b32_e32 v20, 3, v20
	v_add_lshl_u32 v40, v20, v28, 2
	ds_bpermute_b32 v20, v40, v17
	v_cmp_le_u32_e32 vcc, v41, v15
	s_waitcnt lgkmcnt(0)
	v_cndmask_b32_e32 v20, 0, v20, vcc
	v_cmp_gt_u32_e32 vcc, 48, v34
	v_add_u32_e32 v17, v17, v20
	v_cndmask_b32_e64 v20, 0, 1, vcc
	v_lshlrev_b32_e32 v20, 4, v20
	v_add_lshl_u32 v42, v20, v28, 2
	ds_bpermute_b32 v20, v42, v17
	v_cmp_le_u32_e32 vcc, v43, v15
	;; [unrolled: 9-line block ×3, first 2 shown]
	s_waitcnt lgkmcnt(0)
	v_cndmask_b32_e32 v15, 0, v20, vcc
	v_add_u32_e32 v20, v17, v15
	v_mov_b32_e32 v17, 0
	s_branch .LBB299_38
.LBB299_37:                             ;   in Loop: Header=BB299_38 Depth=1
	s_or_b64 exec, exec, s[36:37]
	v_cmp_eq_u16_sdwa s[36:37], v21, v33 src0_sel:BYTE_0 src1_sel:DWORD
	v_and_b32_e32 v22, s37, v19
	v_or_b32_e32 v22, 0x80000000, v22
	ds_bpermute_b32 v46, v35, v20
	v_and_b32_e32 v23, s36, v18
	v_ffbl_b32_e32 v22, v22
	v_add_u32_e32 v22, 32, v22
	v_ffbl_b32_e32 v23, v23
	v_min_u32_e32 v22, v23, v22
	v_cmp_lt_u32_e32 vcc, v34, v22
	s_waitcnt lgkmcnt(0)
	v_cndmask_b32_e32 v23, 0, v46, vcc
	v_add_u32_e32 v20, v23, v20
	ds_bpermute_b32 v23, v36, v20
	v_cmp_le_u32_e32 vcc, v37, v22
	v_subrev_u32_e32 v16, 64, v16
	s_waitcnt lgkmcnt(0)
	v_cndmask_b32_e32 v23, 0, v23, vcc
	v_add_u32_e32 v20, v20, v23
	ds_bpermute_b32 v23, v38, v20
	v_cmp_le_u32_e32 vcc, v39, v22
	s_waitcnt lgkmcnt(0)
	v_cndmask_b32_e32 v23, 0, v23, vcc
	v_add_u32_e32 v20, v20, v23
	ds_bpermute_b32 v23, v40, v20
	v_cmp_le_u32_e32 vcc, v41, v22
	;; [unrolled: 5-line block ×4, first 2 shown]
	s_waitcnt lgkmcnt(0)
	v_cndmask_b32_e32 v22, 0, v23, vcc
	v_add3_u32 v20, v22, v15, v20
.LBB299_38:                             ; =>This Loop Header: Depth=1
                                        ;     Child Loop BB299_41 Depth 2
                                        ;       Child Loop BB299_42 Depth 3
	v_cmp_ne_u16_sdwa s[36:37], v21, v33 src0_sel:BYTE_0 src1_sel:DWORD
	v_cndmask_b32_e64 v15, 0, 1, s[36:37]
	;;#ASMSTART
	;;#ASMEND
	v_cmp_ne_u32_e32 vcc, 0, v15
	s_cmp_lg_u64 vcc, exec
	v_mov_b32_e32 v15, v20
	s_cbranch_scc1 .LBB299_45
; %bb.39:                               ;   in Loop: Header=BB299_38 Depth=1
	v_lshlrev_b64 v[20:21], 3, v[16:17]
	v_mov_b32_e32 v23, s35
	v_add_co_u32_e32 v22, vcc, s34, v20
	v_addc_co_u32_e32 v23, vcc, v23, v21, vcc
	global_load_dwordx2 v[20:21], v[22:23], off glc
	s_waitcnt vmcnt(0)
	v_cmp_eq_u16_sdwa s[38:39], v21, v17 src0_sel:BYTE_0 src1_sel:DWORD
	s_and_saveexec_b64 s[36:37], s[38:39]
	s_cbranch_execz .LBB299_37
; %bb.40:                               ;   in Loop: Header=BB299_38 Depth=1
	s_mov_b32 s41, 1
	s_mov_b64 s[38:39], 0
.LBB299_41:                             ;   Parent Loop BB299_38 Depth=1
                                        ; =>  This Loop Header: Depth=2
                                        ;       Child Loop BB299_42 Depth 3
	s_max_u32 s42, s41, 1
.LBB299_42:                             ;   Parent Loop BB299_38 Depth=1
                                        ;     Parent Loop BB299_41 Depth=2
                                        ; =>    This Inner Loop Header: Depth=3
	s_add_i32 s42, s42, -1
	s_cmp_eq_u32 s42, 0
	s_sleep 1
	s_cbranch_scc0 .LBB299_42
; %bb.43:                               ;   in Loop: Header=BB299_41 Depth=2
	global_load_dwordx2 v[20:21], v[22:23], off glc
	s_cmp_lt_u32 s41, 32
	s_cselect_b64 s[42:43], -1, 0
	s_cmp_lg_u64 s[42:43], 0
	s_addc_u32 s41, s41, 0
	s_waitcnt vmcnt(0)
	v_cmp_ne_u16_sdwa s[42:43], v21, v17 src0_sel:BYTE_0 src1_sel:DWORD
	s_or_b64 s[38:39], s[42:43], s[38:39]
	s_andn2_b64 exec, exec, s[38:39]
	s_cbranch_execnz .LBB299_41
; %bb.44:                               ;   in Loop: Header=BB299_38 Depth=1
	s_or_b64 exec, exec, s[38:39]
	s_branch .LBB299_37
.LBB299_45:                             ;   in Loop: Header=BB299_38 Depth=1
                                        ; implicit-def: $vgpr20
                                        ; implicit-def: $vgpr21
	s_cbranch_execz .LBB299_38
; %bb.46:
	s_and_saveexec_b64 s[36:37], s[18:19]
	s_cbranch_execz .LBB299_48
; %bb.47:
	s_add_i32 s38, s40, 64
	s_mov_b32 s39, 0
	s_lshl_b64 s[38:39], s[38:39], 3
	s_add_u32 s38, s34, s38
	v_add_u32_e32 v16, v15, v14
	v_mov_b32_e32 v17, 2
	s_addc_u32 s39, s35, s39
	v_mov_b32_e32 v18, 0
	global_store_dwordx2 v18, v[16:17], s[38:39]
	ds_write_b64 v18, v[14:15] offset:6336
.LBB299_48:
	s_or_b64 exec, exec, s[36:37]
	s_and_b64 exec, exec, s[0:1]
	s_cbranch_execz .LBB299_50
; %bb.49:
	v_mov_b32_e32 v14, 0
	ds_write_b32 v14, v15 offset:8
.LBB299_50:
	s_or_b64 exec, exec, s[28:29]
	v_mov_b32_e32 v14, 0
	s_waitcnt lgkmcnt(0)
	s_barrier
	ds_read_b32 v15, v14 offset:8
	v_cndmask_b32_e64 v16, v32, v31, s[18:19]
	v_cndmask_b32_e64 v16, v16, 0, s[0:1]
	s_waitcnt lgkmcnt(0)
	s_barrier
	v_add_u32_e32 v18, v15, v16
	ds_read_b64 v[14:15], v14 offset:6336
	v_add_u32_sdwa v19, v18, v25 dst_sel:DWORD dst_unused:UNUSED_PAD src0_sel:DWORD src1_sel:BYTE_0
	v_add_u32_sdwa v17, v19, v25 dst_sel:DWORD dst_unused:UNUSED_PAD src0_sel:DWORD src1_sel:BYTE_1
	v_add_u32_e32 v16, v17, v27
	s_branch .LBB299_61
.LBB299_51:
                                        ; implicit-def: $vgpr15
                                        ; implicit-def: $vgpr16
                                        ; implicit-def: $vgpr17
                                        ; implicit-def: $vgpr19
                                        ; implicit-def: $vgpr18
	s_cbranch_execz .LBB299_61
; %bb.52:
	s_waitcnt lgkmcnt(0)
	v_mov_b32_dpp v14, v30 row_shr:1 row_mask:0xf bank_mask:0xf
	v_cndmask_b32_e64 v14, v14, 0, s[16:17]
	v_add_u32_e32 v14, v14, v30
	s_nop 1
	v_mov_b32_dpp v15, v14 row_shr:2 row_mask:0xf bank_mask:0xf
	v_cndmask_b32_e64 v15, 0, v15, s[14:15]
	v_add_u32_e32 v14, v14, v15
	s_nop 1
	;; [unrolled: 4-line block ×4, first 2 shown]
	v_mov_b32_dpp v15, v14 row_bcast:15 row_mask:0xf bank_mask:0xf
	v_cndmask_b32_e64 v15, v15, 0, s[6:7]
	v_add_u32_e32 v14, v14, v15
	s_nop 1
	v_mov_b32_dpp v15, v14 row_bcast:31 row_mask:0xf bank_mask:0xf
	v_cndmask_b32_e64 v15, 0, v15, s[4:5]
	v_add_u32_e32 v14, v14, v15
	s_and_saveexec_b64 s[4:5], s[8:9]
	s_cbranch_execz .LBB299_54
; %bb.53:
	v_lshlrev_b32_e32 v15, 2, v29
	ds_write_b32 v15, v14
.LBB299_54:
	s_or_b64 exec, exec, s[4:5]
	v_cmp_gt_u32_e32 vcc, 3, v0
	s_waitcnt lgkmcnt(0)
	s_barrier
	s_and_saveexec_b64 s[4:5], vcc
	s_cbranch_execz .LBB299_56
; %bb.55:
	ds_read_b32 v15, v24
	v_and_b32_e32 v16, 3, v28
	v_cmp_ne_u32_e32 vcc, 0, v16
	s_waitcnt lgkmcnt(0)
	v_mov_b32_dpp v17, v15 row_shr:1 row_mask:0xf bank_mask:0xf
	v_cndmask_b32_e32 v17, 0, v17, vcc
	v_add_u32_e32 v15, v17, v15
	v_cmp_lt_u32_e32 vcc, 1, v16
	s_nop 0
	v_mov_b32_dpp v17, v15 row_shr:2 row_mask:0xf bank_mask:0xf
	v_cndmask_b32_e32 v16, 0, v17, vcc
	v_add_u32_e32 v15, v15, v16
	ds_write_b32 v24, v15
.LBB299_56:
	s_or_b64 exec, exec, s[4:5]
	v_cmp_lt_u32_e32 vcc, 63, v0
	v_mov_b32_e32 v15, 0
	v_mov_b32_e32 v16, 0
	s_waitcnt lgkmcnt(0)
	s_barrier
	s_and_saveexec_b64 s[4:5], vcc
	s_cbranch_execz .LBB299_58
; %bb.57:
	v_lshl_add_u32 v16, v29, 2, -4
	ds_read_b32 v16, v16
.LBB299_58:
	s_or_b64 exec, exec, s[4:5]
	v_add_u32_e32 v17, -1, v28
	v_and_b32_e32 v18, 64, v28
	v_cmp_lt_i32_e32 vcc, v17, v18
	v_cndmask_b32_e32 v17, v17, v28, vcc
	s_waitcnt lgkmcnt(0)
	v_add_u32_e32 v14, v16, v14
	v_lshlrev_b32_e32 v17, 2, v17
	ds_bpermute_b32 v17, v17, v14
	ds_read_b32 v14, v15 offset:8
	s_and_saveexec_b64 s[4:5], s[0:1]
	s_cbranch_execz .LBB299_60
; %bb.59:
	v_mov_b32_e32 v18, 0
	v_mov_b32_e32 v15, 2
	s_waitcnt lgkmcnt(0)
	global_store_dwordx2 v18, v[14:15], s[34:35] offset:512
.LBB299_60:
	s_or_b64 exec, exec, s[4:5]
	v_cmp_eq_u32_e32 vcc, 0, v28
	s_waitcnt lgkmcnt(1)
	v_cndmask_b32_e32 v16, v17, v16, vcc
	v_cndmask_b32_e64 v18, v16, 0, s[0:1]
	v_add_u32_sdwa v19, v18, v25 dst_sel:DWORD dst_unused:UNUSED_PAD src0_sel:DWORD src1_sel:BYTE_0
	v_add_u32_sdwa v17, v19, v25 dst_sel:DWORD dst_unused:UNUSED_PAD src0_sel:DWORD src1_sel:BYTE_1
	v_mov_b32_e32 v15, 0
	v_add_u32_e32 v16, v17, v27
	s_waitcnt lgkmcnt(0)
	s_barrier
.LBB299_61:
	s_waitcnt lgkmcnt(0)
	v_add_u32_e32 v21, v14, v24
	v_sub_u32_e32 v18, v18, v15
	v_and_b32_e32 v23, 1, v25
	v_sub_u32_e32 v22, v21, v18
	v_cmp_eq_u32_e32 vcc, 1, v23
	v_cndmask_b32_e32 v18, v22, v18, vcc
	v_lshlrev_b32_e32 v18, 3, v18
	v_lshrrev_b32_e32 v20, 8, v25
	ds_write_b64 v18, v[6:7]
	v_sub_u32_e32 v6, v19, v15
	v_sub_u32_e32 v7, v21, v6
	v_and_b32_e32 v18, 1, v20
	v_add_u32_e32 v7, 1, v7
	v_cmp_eq_u32_e32 vcc, 1, v18
	v_cndmask_b32_e32 v6, v7, v6, vcc
	v_lshlrev_b32_e32 v6, 3, v6
	ds_write_b64 v6, v[8:9]
	v_sub_u32_e32 v6, v17, v15
	v_mov_b32_e32 v8, 1
	v_sub_u32_e32 v7, v21, v6
	v_and_b32_sdwa v8, v8, v25 dst_sel:DWORD dst_unused:UNUSED_PAD src0_sel:DWORD src1_sel:WORD_1
	v_add_u32_e32 v7, 2, v7
	v_cmp_eq_u32_e32 vcc, 1, v8
	v_cndmask_b32_e32 v6, v7, v6, vcc
	v_lshlrev_b32_e32 v6, 3, v6
	ds_write_b64 v6, v[2:3]
	v_sub_u32_e32 v2, v16, v15
	v_sub_u32_e32 v3, v21, v2
	v_and_b32_e32 v6, 1, v26
	v_add_u32_e32 v3, 3, v3
	v_cmp_eq_u32_e32 vcc, 1, v6
	v_cndmask_b32_e32 v2, v3, v2, vcc
	s_waitcnt vmcnt(0)
	v_add_co_u32_e32 v20, vcc, v10, v15
	v_addc_co_u32_e32 v21, vcc, 0, v11, vcc
	v_add_co_u32_e32 v10, vcc, v20, v14
	v_addc_co_u32_e32 v11, vcc, 0, v21, vcc
	v_mov_b32_e32 v15, s31
	v_sub_co_u32_e32 v22, vcc, s30, v10
	v_subb_co_u32_e32 v23, vcc, v15, v11, vcc
	v_lshlrev_b64 v[22:23], 3, v[22:23]
	v_lshlrev_b32_e32 v2, 3, v2
	v_mov_b32_e32 v15, s27
	v_add_co_u32_e32 v18, vcc, s26, v22
	ds_write_b64 v2, v[4:5]
	s_waitcnt lgkmcnt(0)
	s_barrier
	ds_read2st64_b64 v[6:9], v1 offset1:3
	ds_read2st64_b64 v[2:5], v1 offset0:6 offset1:9
	v_addc_co_u32_e32 v15, vcc, v15, v23, vcc
	v_add_co_u32_e32 v12, vcc, v18, v12
	v_addc_co_u32_e32 v13, vcc, v15, v13, vcc
	v_lshlrev_b64 v[20:21], 3, v[20:21]
	v_mov_b32_e32 v18, s25
	s_and_b64 vcc, exec, s[2:3]
	v_add_co_u32_e64 v15, s[2:3], s24, v20
	v_add_u32_e32 v19, 0xc0, v0
	v_add_u32_e32 v17, 0x180, v0
	;; [unrolled: 1-line block ×3, first 2 shown]
	v_addc_co_u32_e64 v18, s[2:3], v18, v21, s[2:3]
	s_cbranch_vccnz .LBB299_63
; %bb.62:
	v_cmp_lt_u32_e32 vcc, v0, v14
	v_cndmask_b32_e32 v20, v12, v15, vcc
	v_cndmask_b32_e32 v21, v13, v18, vcc
	v_add_co_u32_e32 v20, vcc, v20, v1
	v_addc_co_u32_e32 v21, vcc, 0, v21, vcc
	v_cmp_lt_u32_e32 vcc, v19, v14
	s_waitcnt lgkmcnt(1)
	global_store_dwordx2 v[20:21], v[6:7], off
	v_cndmask_b32_e32 v20, v12, v15, vcc
	v_cndmask_b32_e32 v21, v13, v18, vcc
	v_add_co_u32_e32 v20, vcc, v20, v1
	v_addc_co_u32_e32 v21, vcc, 0, v21, vcc
	v_cmp_lt_u32_e32 vcc, v17, v14
	global_store_dwordx2 v[20:21], v[8:9], off offset:1536
	v_cndmask_b32_e32 v20, v12, v15, vcc
	v_cndmask_b32_e32 v21, v13, v18, vcc
	v_add_co_u32_e32 v20, vcc, v20, v1
	v_addc_co_u32_e32 v21, vcc, 0, v21, vcc
	s_mov_b64 s[2:3], -1
	s_waitcnt lgkmcnt(0)
	global_store_dwordx2 v[20:21], v[2:3], off offset:3072
	s_cbranch_execz .LBB299_64
	s_branch .LBB299_69
.LBB299_63:
	s_mov_b64 s[2:3], 0
.LBB299_64:
	v_cmp_gt_u32_e32 vcc, s33, v0
	s_and_saveexec_b64 s[2:3], vcc
	s_cbranch_execnz .LBB299_74
; %bb.65:
	s_or_b64 exec, exec, s[2:3]
	v_cmp_gt_u32_e32 vcc, s33, v19
	s_and_saveexec_b64 s[2:3], vcc
	s_cbranch_execnz .LBB299_75
.LBB299_66:
	s_or_b64 exec, exec, s[2:3]
	v_cmp_gt_u32_e32 vcc, s33, v17
	s_and_saveexec_b64 s[2:3], vcc
	s_cbranch_execz .LBB299_68
.LBB299_67:
	v_cmp_lt_u32_e32 vcc, v17, v14
	v_cndmask_b32_e32 v0, v12, v15, vcc
	s_waitcnt lgkmcnt(1)
	v_cndmask_b32_e32 v6, v13, v18, vcc
	v_add_co_u32_e32 v0, vcc, v0, v1
	v_addc_co_u32_e32 v1, vcc, 0, v6, vcc
	s_waitcnt lgkmcnt(0)
	global_store_dwordx2 v[0:1], v[2:3], off offset:3072
.LBB299_68:
	s_or_b64 exec, exec, s[2:3]
	v_cmp_gt_u32_e64 s[2:3], s33, v16
.LBB299_69:
	s_and_saveexec_b64 s[4:5], s[2:3]
	s_cbranch_execnz .LBB299_72
; %bb.70:
	s_or_b64 exec, exec, s[4:5]
	s_and_b64 s[0:1], s[0:1], s[22:23]
	s_and_saveexec_b64 s[2:3], s[0:1]
	s_cbranch_execnz .LBB299_73
.LBB299_71:
	s_endpgm
.LBB299_72:
	v_cmp_lt_u32_e32 vcc, v16, v14
	v_cndmask_b32_e32 v0, v12, v15, vcc
	s_waitcnt lgkmcnt(0)
	v_lshlrev_b32_e32 v2, 3, v16
	v_cndmask_b32_e32 v1, v13, v18, vcc
	v_add_co_u32_e32 v0, vcc, v0, v2
	v_addc_co_u32_e32 v1, vcc, 0, v1, vcc
	global_store_dwordx2 v[0:1], v[4:5], off
	s_or_b64 exec, exec, s[4:5]
	s_and_b64 s[0:1], s[0:1], s[22:23]
	s_and_saveexec_b64 s[2:3], s[0:1]
	s_cbranch_execz .LBB299_71
.LBB299_73:
	v_mov_b32_e32 v0, 0
	global_store_dwordx2 v0, v[10:11], s[20:21]
	s_endpgm
.LBB299_74:
	v_cmp_lt_u32_e32 vcc, v0, v14
	v_cndmask_b32_e32 v20, v12, v15, vcc
	v_cndmask_b32_e32 v0, v13, v18, vcc
	v_add_co_u32_e32 v20, vcc, v20, v1
	v_addc_co_u32_e32 v21, vcc, 0, v0, vcc
	s_waitcnt lgkmcnt(1)
	global_store_dwordx2 v[20:21], v[6:7], off
	s_or_b64 exec, exec, s[2:3]
	v_cmp_gt_u32_e32 vcc, s33, v19
	s_and_saveexec_b64 s[2:3], vcc
	s_cbranch_execz .LBB299_66
.LBB299_75:
	v_cmp_lt_u32_e32 vcc, v19, v14
	s_waitcnt lgkmcnt(1)
	v_cndmask_b32_e32 v6, v12, v15, vcc
	v_cndmask_b32_e32 v0, v13, v18, vcc
	v_add_co_u32_e32 v6, vcc, v6, v1
	v_addc_co_u32_e32 v7, vcc, 0, v0, vcc
	global_store_dwordx2 v[6:7], v[8:9], off offset:1536
	s_or_b64 exec, exec, s[2:3]
	v_cmp_gt_u32_e32 vcc, s33, v17
	s_and_saveexec_b64 s[2:3], vcc
	s_cbranch_execnz .LBB299_67
	s_branch .LBB299_68
	.section	.rodata,"a",@progbits
	.p2align	6, 0x0
	.amdhsa_kernel _ZN7rocprim17ROCPRIM_400000_NS6detail17trampoline_kernelINS0_14default_configENS1_25partition_config_selectorILNS1_17partition_subalgoE0ExNS0_10empty_typeEbEEZZNS1_14partition_implILS5_0ELb0ES3_jN6thrust23THRUST_200600_302600_NS6detail15normal_iteratorINSA_10device_ptrIxEEEEPS6_SG_NS0_5tupleIJSF_SF_EEENSH_IJSG_SG_EEES6_PlJ7is_evenIxEEEE10hipError_tPvRmT3_T4_T5_T6_T7_T9_mT8_P12ihipStream_tbDpT10_ENKUlT_T0_E_clISt17integral_constantIbLb1EES16_EEDaS11_S12_EUlS11_E_NS1_11comp_targetILNS1_3genE4ELNS1_11target_archE910ELNS1_3gpuE8ELNS1_3repE0EEENS1_30default_config_static_selectorELNS0_4arch9wavefront6targetE1EEEvT1_
		.amdhsa_group_segment_fixed_size 6344
		.amdhsa_private_segment_fixed_size 0
		.amdhsa_kernarg_size 136
		.amdhsa_user_sgpr_count 6
		.amdhsa_user_sgpr_private_segment_buffer 1
		.amdhsa_user_sgpr_dispatch_ptr 0
		.amdhsa_user_sgpr_queue_ptr 0
		.amdhsa_user_sgpr_kernarg_segment_ptr 1
		.amdhsa_user_sgpr_dispatch_id 0
		.amdhsa_user_sgpr_flat_scratch_init 0
		.amdhsa_user_sgpr_kernarg_preload_length 0
		.amdhsa_user_sgpr_kernarg_preload_offset 0
		.amdhsa_user_sgpr_private_segment_size 0
		.amdhsa_uses_dynamic_stack 0
		.amdhsa_system_sgpr_private_segment_wavefront_offset 0
		.amdhsa_system_sgpr_workgroup_id_x 1
		.amdhsa_system_sgpr_workgroup_id_y 0
		.amdhsa_system_sgpr_workgroup_id_z 0
		.amdhsa_system_sgpr_workgroup_info 0
		.amdhsa_system_vgpr_workitem_id 0
		.amdhsa_next_free_vgpr 47
		.amdhsa_next_free_sgpr 44
		.amdhsa_accum_offset 48
		.amdhsa_reserve_vcc 1
		.amdhsa_reserve_flat_scratch 0
		.amdhsa_float_round_mode_32 0
		.amdhsa_float_round_mode_16_64 0
		.amdhsa_float_denorm_mode_32 3
		.amdhsa_float_denorm_mode_16_64 3
		.amdhsa_dx10_clamp 1
		.amdhsa_ieee_mode 1
		.amdhsa_fp16_overflow 0
		.amdhsa_tg_split 0
		.amdhsa_exception_fp_ieee_invalid_op 0
		.amdhsa_exception_fp_denorm_src 0
		.amdhsa_exception_fp_ieee_div_zero 0
		.amdhsa_exception_fp_ieee_overflow 0
		.amdhsa_exception_fp_ieee_underflow 0
		.amdhsa_exception_fp_ieee_inexact 0
		.amdhsa_exception_int_div_zero 0
	.end_amdhsa_kernel
	.section	.text._ZN7rocprim17ROCPRIM_400000_NS6detail17trampoline_kernelINS0_14default_configENS1_25partition_config_selectorILNS1_17partition_subalgoE0ExNS0_10empty_typeEbEEZZNS1_14partition_implILS5_0ELb0ES3_jN6thrust23THRUST_200600_302600_NS6detail15normal_iteratorINSA_10device_ptrIxEEEEPS6_SG_NS0_5tupleIJSF_SF_EEENSH_IJSG_SG_EEES6_PlJ7is_evenIxEEEE10hipError_tPvRmT3_T4_T5_T6_T7_T9_mT8_P12ihipStream_tbDpT10_ENKUlT_T0_E_clISt17integral_constantIbLb1EES16_EEDaS11_S12_EUlS11_E_NS1_11comp_targetILNS1_3genE4ELNS1_11target_archE910ELNS1_3gpuE8ELNS1_3repE0EEENS1_30default_config_static_selectorELNS0_4arch9wavefront6targetE1EEEvT1_,"axG",@progbits,_ZN7rocprim17ROCPRIM_400000_NS6detail17trampoline_kernelINS0_14default_configENS1_25partition_config_selectorILNS1_17partition_subalgoE0ExNS0_10empty_typeEbEEZZNS1_14partition_implILS5_0ELb0ES3_jN6thrust23THRUST_200600_302600_NS6detail15normal_iteratorINSA_10device_ptrIxEEEEPS6_SG_NS0_5tupleIJSF_SF_EEENSH_IJSG_SG_EEES6_PlJ7is_evenIxEEEE10hipError_tPvRmT3_T4_T5_T6_T7_T9_mT8_P12ihipStream_tbDpT10_ENKUlT_T0_E_clISt17integral_constantIbLb1EES16_EEDaS11_S12_EUlS11_E_NS1_11comp_targetILNS1_3genE4ELNS1_11target_archE910ELNS1_3gpuE8ELNS1_3repE0EEENS1_30default_config_static_selectorELNS0_4arch9wavefront6targetE1EEEvT1_,comdat
.Lfunc_end299:
	.size	_ZN7rocprim17ROCPRIM_400000_NS6detail17trampoline_kernelINS0_14default_configENS1_25partition_config_selectorILNS1_17partition_subalgoE0ExNS0_10empty_typeEbEEZZNS1_14partition_implILS5_0ELb0ES3_jN6thrust23THRUST_200600_302600_NS6detail15normal_iteratorINSA_10device_ptrIxEEEEPS6_SG_NS0_5tupleIJSF_SF_EEENSH_IJSG_SG_EEES6_PlJ7is_evenIxEEEE10hipError_tPvRmT3_T4_T5_T6_T7_T9_mT8_P12ihipStream_tbDpT10_ENKUlT_T0_E_clISt17integral_constantIbLb1EES16_EEDaS11_S12_EUlS11_E_NS1_11comp_targetILNS1_3genE4ELNS1_11target_archE910ELNS1_3gpuE8ELNS1_3repE0EEENS1_30default_config_static_selectorELNS0_4arch9wavefront6targetE1EEEvT1_, .Lfunc_end299-_ZN7rocprim17ROCPRIM_400000_NS6detail17trampoline_kernelINS0_14default_configENS1_25partition_config_selectorILNS1_17partition_subalgoE0ExNS0_10empty_typeEbEEZZNS1_14partition_implILS5_0ELb0ES3_jN6thrust23THRUST_200600_302600_NS6detail15normal_iteratorINSA_10device_ptrIxEEEEPS6_SG_NS0_5tupleIJSF_SF_EEENSH_IJSG_SG_EEES6_PlJ7is_evenIxEEEE10hipError_tPvRmT3_T4_T5_T6_T7_T9_mT8_P12ihipStream_tbDpT10_ENKUlT_T0_E_clISt17integral_constantIbLb1EES16_EEDaS11_S12_EUlS11_E_NS1_11comp_targetILNS1_3genE4ELNS1_11target_archE910ELNS1_3gpuE8ELNS1_3repE0EEENS1_30default_config_static_selectorELNS0_4arch9wavefront6targetE1EEEvT1_
                                        ; -- End function
	.section	.AMDGPU.csdata,"",@progbits
; Kernel info:
; codeLenInByte = 3764
; NumSgprs: 48
; NumVgprs: 47
; NumAgprs: 0
; TotalNumVgprs: 47
; ScratchSize: 0
; MemoryBound: 0
; FloatMode: 240
; IeeeMode: 1
; LDSByteSize: 6344 bytes/workgroup (compile time only)
; SGPRBlocks: 5
; VGPRBlocks: 5
; NumSGPRsForWavesPerEU: 48
; NumVGPRsForWavesPerEU: 47
; AccumOffset: 48
; Occupancy: 8
; WaveLimiterHint : 1
; COMPUTE_PGM_RSRC2:SCRATCH_EN: 0
; COMPUTE_PGM_RSRC2:USER_SGPR: 6
; COMPUTE_PGM_RSRC2:TRAP_HANDLER: 0
; COMPUTE_PGM_RSRC2:TGID_X_EN: 1
; COMPUTE_PGM_RSRC2:TGID_Y_EN: 0
; COMPUTE_PGM_RSRC2:TGID_Z_EN: 0
; COMPUTE_PGM_RSRC2:TIDIG_COMP_CNT: 0
; COMPUTE_PGM_RSRC3_GFX90A:ACCUM_OFFSET: 11
; COMPUTE_PGM_RSRC3_GFX90A:TG_SPLIT: 0
	.section	.text._ZN7rocprim17ROCPRIM_400000_NS6detail17trampoline_kernelINS0_14default_configENS1_25partition_config_selectorILNS1_17partition_subalgoE0ExNS0_10empty_typeEbEEZZNS1_14partition_implILS5_0ELb0ES3_jN6thrust23THRUST_200600_302600_NS6detail15normal_iteratorINSA_10device_ptrIxEEEEPS6_SG_NS0_5tupleIJSF_SF_EEENSH_IJSG_SG_EEES6_PlJ7is_evenIxEEEE10hipError_tPvRmT3_T4_T5_T6_T7_T9_mT8_P12ihipStream_tbDpT10_ENKUlT_T0_E_clISt17integral_constantIbLb1EES16_EEDaS11_S12_EUlS11_E_NS1_11comp_targetILNS1_3genE3ELNS1_11target_archE908ELNS1_3gpuE7ELNS1_3repE0EEENS1_30default_config_static_selectorELNS0_4arch9wavefront6targetE1EEEvT1_,"axG",@progbits,_ZN7rocprim17ROCPRIM_400000_NS6detail17trampoline_kernelINS0_14default_configENS1_25partition_config_selectorILNS1_17partition_subalgoE0ExNS0_10empty_typeEbEEZZNS1_14partition_implILS5_0ELb0ES3_jN6thrust23THRUST_200600_302600_NS6detail15normal_iteratorINSA_10device_ptrIxEEEEPS6_SG_NS0_5tupleIJSF_SF_EEENSH_IJSG_SG_EEES6_PlJ7is_evenIxEEEE10hipError_tPvRmT3_T4_T5_T6_T7_T9_mT8_P12ihipStream_tbDpT10_ENKUlT_T0_E_clISt17integral_constantIbLb1EES16_EEDaS11_S12_EUlS11_E_NS1_11comp_targetILNS1_3genE3ELNS1_11target_archE908ELNS1_3gpuE7ELNS1_3repE0EEENS1_30default_config_static_selectorELNS0_4arch9wavefront6targetE1EEEvT1_,comdat
	.protected	_ZN7rocprim17ROCPRIM_400000_NS6detail17trampoline_kernelINS0_14default_configENS1_25partition_config_selectorILNS1_17partition_subalgoE0ExNS0_10empty_typeEbEEZZNS1_14partition_implILS5_0ELb0ES3_jN6thrust23THRUST_200600_302600_NS6detail15normal_iteratorINSA_10device_ptrIxEEEEPS6_SG_NS0_5tupleIJSF_SF_EEENSH_IJSG_SG_EEES6_PlJ7is_evenIxEEEE10hipError_tPvRmT3_T4_T5_T6_T7_T9_mT8_P12ihipStream_tbDpT10_ENKUlT_T0_E_clISt17integral_constantIbLb1EES16_EEDaS11_S12_EUlS11_E_NS1_11comp_targetILNS1_3genE3ELNS1_11target_archE908ELNS1_3gpuE7ELNS1_3repE0EEENS1_30default_config_static_selectorELNS0_4arch9wavefront6targetE1EEEvT1_ ; -- Begin function _ZN7rocprim17ROCPRIM_400000_NS6detail17trampoline_kernelINS0_14default_configENS1_25partition_config_selectorILNS1_17partition_subalgoE0ExNS0_10empty_typeEbEEZZNS1_14partition_implILS5_0ELb0ES3_jN6thrust23THRUST_200600_302600_NS6detail15normal_iteratorINSA_10device_ptrIxEEEEPS6_SG_NS0_5tupleIJSF_SF_EEENSH_IJSG_SG_EEES6_PlJ7is_evenIxEEEE10hipError_tPvRmT3_T4_T5_T6_T7_T9_mT8_P12ihipStream_tbDpT10_ENKUlT_T0_E_clISt17integral_constantIbLb1EES16_EEDaS11_S12_EUlS11_E_NS1_11comp_targetILNS1_3genE3ELNS1_11target_archE908ELNS1_3gpuE7ELNS1_3repE0EEENS1_30default_config_static_selectorELNS0_4arch9wavefront6targetE1EEEvT1_
	.globl	_ZN7rocprim17ROCPRIM_400000_NS6detail17trampoline_kernelINS0_14default_configENS1_25partition_config_selectorILNS1_17partition_subalgoE0ExNS0_10empty_typeEbEEZZNS1_14partition_implILS5_0ELb0ES3_jN6thrust23THRUST_200600_302600_NS6detail15normal_iteratorINSA_10device_ptrIxEEEEPS6_SG_NS0_5tupleIJSF_SF_EEENSH_IJSG_SG_EEES6_PlJ7is_evenIxEEEE10hipError_tPvRmT3_T4_T5_T6_T7_T9_mT8_P12ihipStream_tbDpT10_ENKUlT_T0_E_clISt17integral_constantIbLb1EES16_EEDaS11_S12_EUlS11_E_NS1_11comp_targetILNS1_3genE3ELNS1_11target_archE908ELNS1_3gpuE7ELNS1_3repE0EEENS1_30default_config_static_selectorELNS0_4arch9wavefront6targetE1EEEvT1_
	.p2align	8
	.type	_ZN7rocprim17ROCPRIM_400000_NS6detail17trampoline_kernelINS0_14default_configENS1_25partition_config_selectorILNS1_17partition_subalgoE0ExNS0_10empty_typeEbEEZZNS1_14partition_implILS5_0ELb0ES3_jN6thrust23THRUST_200600_302600_NS6detail15normal_iteratorINSA_10device_ptrIxEEEEPS6_SG_NS0_5tupleIJSF_SF_EEENSH_IJSG_SG_EEES6_PlJ7is_evenIxEEEE10hipError_tPvRmT3_T4_T5_T6_T7_T9_mT8_P12ihipStream_tbDpT10_ENKUlT_T0_E_clISt17integral_constantIbLb1EES16_EEDaS11_S12_EUlS11_E_NS1_11comp_targetILNS1_3genE3ELNS1_11target_archE908ELNS1_3gpuE7ELNS1_3repE0EEENS1_30default_config_static_selectorELNS0_4arch9wavefront6targetE1EEEvT1_,@function
_ZN7rocprim17ROCPRIM_400000_NS6detail17trampoline_kernelINS0_14default_configENS1_25partition_config_selectorILNS1_17partition_subalgoE0ExNS0_10empty_typeEbEEZZNS1_14partition_implILS5_0ELb0ES3_jN6thrust23THRUST_200600_302600_NS6detail15normal_iteratorINSA_10device_ptrIxEEEEPS6_SG_NS0_5tupleIJSF_SF_EEENSH_IJSG_SG_EEES6_PlJ7is_evenIxEEEE10hipError_tPvRmT3_T4_T5_T6_T7_T9_mT8_P12ihipStream_tbDpT10_ENKUlT_T0_E_clISt17integral_constantIbLb1EES16_EEDaS11_S12_EUlS11_E_NS1_11comp_targetILNS1_3genE3ELNS1_11target_archE908ELNS1_3gpuE7ELNS1_3repE0EEENS1_30default_config_static_selectorELNS0_4arch9wavefront6targetE1EEEvT1_: ; @_ZN7rocprim17ROCPRIM_400000_NS6detail17trampoline_kernelINS0_14default_configENS1_25partition_config_selectorILNS1_17partition_subalgoE0ExNS0_10empty_typeEbEEZZNS1_14partition_implILS5_0ELb0ES3_jN6thrust23THRUST_200600_302600_NS6detail15normal_iteratorINSA_10device_ptrIxEEEEPS6_SG_NS0_5tupleIJSF_SF_EEENSH_IJSG_SG_EEES6_PlJ7is_evenIxEEEE10hipError_tPvRmT3_T4_T5_T6_T7_T9_mT8_P12ihipStream_tbDpT10_ENKUlT_T0_E_clISt17integral_constantIbLb1EES16_EEDaS11_S12_EUlS11_E_NS1_11comp_targetILNS1_3genE3ELNS1_11target_archE908ELNS1_3gpuE7ELNS1_3repE0EEENS1_30default_config_static_selectorELNS0_4arch9wavefront6targetE1EEEvT1_
; %bb.0:
	.section	.rodata,"a",@progbits
	.p2align	6, 0x0
	.amdhsa_kernel _ZN7rocprim17ROCPRIM_400000_NS6detail17trampoline_kernelINS0_14default_configENS1_25partition_config_selectorILNS1_17partition_subalgoE0ExNS0_10empty_typeEbEEZZNS1_14partition_implILS5_0ELb0ES3_jN6thrust23THRUST_200600_302600_NS6detail15normal_iteratorINSA_10device_ptrIxEEEEPS6_SG_NS0_5tupleIJSF_SF_EEENSH_IJSG_SG_EEES6_PlJ7is_evenIxEEEE10hipError_tPvRmT3_T4_T5_T6_T7_T9_mT8_P12ihipStream_tbDpT10_ENKUlT_T0_E_clISt17integral_constantIbLb1EES16_EEDaS11_S12_EUlS11_E_NS1_11comp_targetILNS1_3genE3ELNS1_11target_archE908ELNS1_3gpuE7ELNS1_3repE0EEENS1_30default_config_static_selectorELNS0_4arch9wavefront6targetE1EEEvT1_
		.amdhsa_group_segment_fixed_size 0
		.amdhsa_private_segment_fixed_size 0
		.amdhsa_kernarg_size 136
		.amdhsa_user_sgpr_count 6
		.amdhsa_user_sgpr_private_segment_buffer 1
		.amdhsa_user_sgpr_dispatch_ptr 0
		.amdhsa_user_sgpr_queue_ptr 0
		.amdhsa_user_sgpr_kernarg_segment_ptr 1
		.amdhsa_user_sgpr_dispatch_id 0
		.amdhsa_user_sgpr_flat_scratch_init 0
		.amdhsa_user_sgpr_kernarg_preload_length 0
		.amdhsa_user_sgpr_kernarg_preload_offset 0
		.amdhsa_user_sgpr_private_segment_size 0
		.amdhsa_uses_dynamic_stack 0
		.amdhsa_system_sgpr_private_segment_wavefront_offset 0
		.amdhsa_system_sgpr_workgroup_id_x 1
		.amdhsa_system_sgpr_workgroup_id_y 0
		.amdhsa_system_sgpr_workgroup_id_z 0
		.amdhsa_system_sgpr_workgroup_info 0
		.amdhsa_system_vgpr_workitem_id 0
		.amdhsa_next_free_vgpr 1
		.amdhsa_next_free_sgpr 0
		.amdhsa_accum_offset 4
		.amdhsa_reserve_vcc 0
		.amdhsa_reserve_flat_scratch 0
		.amdhsa_float_round_mode_32 0
		.amdhsa_float_round_mode_16_64 0
		.amdhsa_float_denorm_mode_32 3
		.amdhsa_float_denorm_mode_16_64 3
		.amdhsa_dx10_clamp 1
		.amdhsa_ieee_mode 1
		.amdhsa_fp16_overflow 0
		.amdhsa_tg_split 0
		.amdhsa_exception_fp_ieee_invalid_op 0
		.amdhsa_exception_fp_denorm_src 0
		.amdhsa_exception_fp_ieee_div_zero 0
		.amdhsa_exception_fp_ieee_overflow 0
		.amdhsa_exception_fp_ieee_underflow 0
		.amdhsa_exception_fp_ieee_inexact 0
		.amdhsa_exception_int_div_zero 0
	.end_amdhsa_kernel
	.section	.text._ZN7rocprim17ROCPRIM_400000_NS6detail17trampoline_kernelINS0_14default_configENS1_25partition_config_selectorILNS1_17partition_subalgoE0ExNS0_10empty_typeEbEEZZNS1_14partition_implILS5_0ELb0ES3_jN6thrust23THRUST_200600_302600_NS6detail15normal_iteratorINSA_10device_ptrIxEEEEPS6_SG_NS0_5tupleIJSF_SF_EEENSH_IJSG_SG_EEES6_PlJ7is_evenIxEEEE10hipError_tPvRmT3_T4_T5_T6_T7_T9_mT8_P12ihipStream_tbDpT10_ENKUlT_T0_E_clISt17integral_constantIbLb1EES16_EEDaS11_S12_EUlS11_E_NS1_11comp_targetILNS1_3genE3ELNS1_11target_archE908ELNS1_3gpuE7ELNS1_3repE0EEENS1_30default_config_static_selectorELNS0_4arch9wavefront6targetE1EEEvT1_,"axG",@progbits,_ZN7rocprim17ROCPRIM_400000_NS6detail17trampoline_kernelINS0_14default_configENS1_25partition_config_selectorILNS1_17partition_subalgoE0ExNS0_10empty_typeEbEEZZNS1_14partition_implILS5_0ELb0ES3_jN6thrust23THRUST_200600_302600_NS6detail15normal_iteratorINSA_10device_ptrIxEEEEPS6_SG_NS0_5tupleIJSF_SF_EEENSH_IJSG_SG_EEES6_PlJ7is_evenIxEEEE10hipError_tPvRmT3_T4_T5_T6_T7_T9_mT8_P12ihipStream_tbDpT10_ENKUlT_T0_E_clISt17integral_constantIbLb1EES16_EEDaS11_S12_EUlS11_E_NS1_11comp_targetILNS1_3genE3ELNS1_11target_archE908ELNS1_3gpuE7ELNS1_3repE0EEENS1_30default_config_static_selectorELNS0_4arch9wavefront6targetE1EEEvT1_,comdat
.Lfunc_end300:
	.size	_ZN7rocprim17ROCPRIM_400000_NS6detail17trampoline_kernelINS0_14default_configENS1_25partition_config_selectorILNS1_17partition_subalgoE0ExNS0_10empty_typeEbEEZZNS1_14partition_implILS5_0ELb0ES3_jN6thrust23THRUST_200600_302600_NS6detail15normal_iteratorINSA_10device_ptrIxEEEEPS6_SG_NS0_5tupleIJSF_SF_EEENSH_IJSG_SG_EEES6_PlJ7is_evenIxEEEE10hipError_tPvRmT3_T4_T5_T6_T7_T9_mT8_P12ihipStream_tbDpT10_ENKUlT_T0_E_clISt17integral_constantIbLb1EES16_EEDaS11_S12_EUlS11_E_NS1_11comp_targetILNS1_3genE3ELNS1_11target_archE908ELNS1_3gpuE7ELNS1_3repE0EEENS1_30default_config_static_selectorELNS0_4arch9wavefront6targetE1EEEvT1_, .Lfunc_end300-_ZN7rocprim17ROCPRIM_400000_NS6detail17trampoline_kernelINS0_14default_configENS1_25partition_config_selectorILNS1_17partition_subalgoE0ExNS0_10empty_typeEbEEZZNS1_14partition_implILS5_0ELb0ES3_jN6thrust23THRUST_200600_302600_NS6detail15normal_iteratorINSA_10device_ptrIxEEEEPS6_SG_NS0_5tupleIJSF_SF_EEENSH_IJSG_SG_EEES6_PlJ7is_evenIxEEEE10hipError_tPvRmT3_T4_T5_T6_T7_T9_mT8_P12ihipStream_tbDpT10_ENKUlT_T0_E_clISt17integral_constantIbLb1EES16_EEDaS11_S12_EUlS11_E_NS1_11comp_targetILNS1_3genE3ELNS1_11target_archE908ELNS1_3gpuE7ELNS1_3repE0EEENS1_30default_config_static_selectorELNS0_4arch9wavefront6targetE1EEEvT1_
                                        ; -- End function
	.section	.AMDGPU.csdata,"",@progbits
; Kernel info:
; codeLenInByte = 0
; NumSgprs: 4
; NumVgprs: 0
; NumAgprs: 0
; TotalNumVgprs: 0
; ScratchSize: 0
; MemoryBound: 0
; FloatMode: 240
; IeeeMode: 1
; LDSByteSize: 0 bytes/workgroup (compile time only)
; SGPRBlocks: 0
; VGPRBlocks: 0
; NumSGPRsForWavesPerEU: 4
; NumVGPRsForWavesPerEU: 1
; AccumOffset: 4
; Occupancy: 8
; WaveLimiterHint : 0
; COMPUTE_PGM_RSRC2:SCRATCH_EN: 0
; COMPUTE_PGM_RSRC2:USER_SGPR: 6
; COMPUTE_PGM_RSRC2:TRAP_HANDLER: 0
; COMPUTE_PGM_RSRC2:TGID_X_EN: 1
; COMPUTE_PGM_RSRC2:TGID_Y_EN: 0
; COMPUTE_PGM_RSRC2:TGID_Z_EN: 0
; COMPUTE_PGM_RSRC2:TIDIG_COMP_CNT: 0
; COMPUTE_PGM_RSRC3_GFX90A:ACCUM_OFFSET: 0
; COMPUTE_PGM_RSRC3_GFX90A:TG_SPLIT: 0
	.section	.text._ZN7rocprim17ROCPRIM_400000_NS6detail17trampoline_kernelINS0_14default_configENS1_25partition_config_selectorILNS1_17partition_subalgoE0ExNS0_10empty_typeEbEEZZNS1_14partition_implILS5_0ELb0ES3_jN6thrust23THRUST_200600_302600_NS6detail15normal_iteratorINSA_10device_ptrIxEEEEPS6_SG_NS0_5tupleIJSF_SF_EEENSH_IJSG_SG_EEES6_PlJ7is_evenIxEEEE10hipError_tPvRmT3_T4_T5_T6_T7_T9_mT8_P12ihipStream_tbDpT10_ENKUlT_T0_E_clISt17integral_constantIbLb1EES16_EEDaS11_S12_EUlS11_E_NS1_11comp_targetILNS1_3genE2ELNS1_11target_archE906ELNS1_3gpuE6ELNS1_3repE0EEENS1_30default_config_static_selectorELNS0_4arch9wavefront6targetE1EEEvT1_,"axG",@progbits,_ZN7rocprim17ROCPRIM_400000_NS6detail17trampoline_kernelINS0_14default_configENS1_25partition_config_selectorILNS1_17partition_subalgoE0ExNS0_10empty_typeEbEEZZNS1_14partition_implILS5_0ELb0ES3_jN6thrust23THRUST_200600_302600_NS6detail15normal_iteratorINSA_10device_ptrIxEEEEPS6_SG_NS0_5tupleIJSF_SF_EEENSH_IJSG_SG_EEES6_PlJ7is_evenIxEEEE10hipError_tPvRmT3_T4_T5_T6_T7_T9_mT8_P12ihipStream_tbDpT10_ENKUlT_T0_E_clISt17integral_constantIbLb1EES16_EEDaS11_S12_EUlS11_E_NS1_11comp_targetILNS1_3genE2ELNS1_11target_archE906ELNS1_3gpuE6ELNS1_3repE0EEENS1_30default_config_static_selectorELNS0_4arch9wavefront6targetE1EEEvT1_,comdat
	.protected	_ZN7rocprim17ROCPRIM_400000_NS6detail17trampoline_kernelINS0_14default_configENS1_25partition_config_selectorILNS1_17partition_subalgoE0ExNS0_10empty_typeEbEEZZNS1_14partition_implILS5_0ELb0ES3_jN6thrust23THRUST_200600_302600_NS6detail15normal_iteratorINSA_10device_ptrIxEEEEPS6_SG_NS0_5tupleIJSF_SF_EEENSH_IJSG_SG_EEES6_PlJ7is_evenIxEEEE10hipError_tPvRmT3_T4_T5_T6_T7_T9_mT8_P12ihipStream_tbDpT10_ENKUlT_T0_E_clISt17integral_constantIbLb1EES16_EEDaS11_S12_EUlS11_E_NS1_11comp_targetILNS1_3genE2ELNS1_11target_archE906ELNS1_3gpuE6ELNS1_3repE0EEENS1_30default_config_static_selectorELNS0_4arch9wavefront6targetE1EEEvT1_ ; -- Begin function _ZN7rocprim17ROCPRIM_400000_NS6detail17trampoline_kernelINS0_14default_configENS1_25partition_config_selectorILNS1_17partition_subalgoE0ExNS0_10empty_typeEbEEZZNS1_14partition_implILS5_0ELb0ES3_jN6thrust23THRUST_200600_302600_NS6detail15normal_iteratorINSA_10device_ptrIxEEEEPS6_SG_NS0_5tupleIJSF_SF_EEENSH_IJSG_SG_EEES6_PlJ7is_evenIxEEEE10hipError_tPvRmT3_T4_T5_T6_T7_T9_mT8_P12ihipStream_tbDpT10_ENKUlT_T0_E_clISt17integral_constantIbLb1EES16_EEDaS11_S12_EUlS11_E_NS1_11comp_targetILNS1_3genE2ELNS1_11target_archE906ELNS1_3gpuE6ELNS1_3repE0EEENS1_30default_config_static_selectorELNS0_4arch9wavefront6targetE1EEEvT1_
	.globl	_ZN7rocprim17ROCPRIM_400000_NS6detail17trampoline_kernelINS0_14default_configENS1_25partition_config_selectorILNS1_17partition_subalgoE0ExNS0_10empty_typeEbEEZZNS1_14partition_implILS5_0ELb0ES3_jN6thrust23THRUST_200600_302600_NS6detail15normal_iteratorINSA_10device_ptrIxEEEEPS6_SG_NS0_5tupleIJSF_SF_EEENSH_IJSG_SG_EEES6_PlJ7is_evenIxEEEE10hipError_tPvRmT3_T4_T5_T6_T7_T9_mT8_P12ihipStream_tbDpT10_ENKUlT_T0_E_clISt17integral_constantIbLb1EES16_EEDaS11_S12_EUlS11_E_NS1_11comp_targetILNS1_3genE2ELNS1_11target_archE906ELNS1_3gpuE6ELNS1_3repE0EEENS1_30default_config_static_selectorELNS0_4arch9wavefront6targetE1EEEvT1_
	.p2align	8
	.type	_ZN7rocprim17ROCPRIM_400000_NS6detail17trampoline_kernelINS0_14default_configENS1_25partition_config_selectorILNS1_17partition_subalgoE0ExNS0_10empty_typeEbEEZZNS1_14partition_implILS5_0ELb0ES3_jN6thrust23THRUST_200600_302600_NS6detail15normal_iteratorINSA_10device_ptrIxEEEEPS6_SG_NS0_5tupleIJSF_SF_EEENSH_IJSG_SG_EEES6_PlJ7is_evenIxEEEE10hipError_tPvRmT3_T4_T5_T6_T7_T9_mT8_P12ihipStream_tbDpT10_ENKUlT_T0_E_clISt17integral_constantIbLb1EES16_EEDaS11_S12_EUlS11_E_NS1_11comp_targetILNS1_3genE2ELNS1_11target_archE906ELNS1_3gpuE6ELNS1_3repE0EEENS1_30default_config_static_selectorELNS0_4arch9wavefront6targetE1EEEvT1_,@function
_ZN7rocprim17ROCPRIM_400000_NS6detail17trampoline_kernelINS0_14default_configENS1_25partition_config_selectorILNS1_17partition_subalgoE0ExNS0_10empty_typeEbEEZZNS1_14partition_implILS5_0ELb0ES3_jN6thrust23THRUST_200600_302600_NS6detail15normal_iteratorINSA_10device_ptrIxEEEEPS6_SG_NS0_5tupleIJSF_SF_EEENSH_IJSG_SG_EEES6_PlJ7is_evenIxEEEE10hipError_tPvRmT3_T4_T5_T6_T7_T9_mT8_P12ihipStream_tbDpT10_ENKUlT_T0_E_clISt17integral_constantIbLb1EES16_EEDaS11_S12_EUlS11_E_NS1_11comp_targetILNS1_3genE2ELNS1_11target_archE906ELNS1_3gpuE6ELNS1_3repE0EEENS1_30default_config_static_selectorELNS0_4arch9wavefront6targetE1EEEvT1_: ; @_ZN7rocprim17ROCPRIM_400000_NS6detail17trampoline_kernelINS0_14default_configENS1_25partition_config_selectorILNS1_17partition_subalgoE0ExNS0_10empty_typeEbEEZZNS1_14partition_implILS5_0ELb0ES3_jN6thrust23THRUST_200600_302600_NS6detail15normal_iteratorINSA_10device_ptrIxEEEEPS6_SG_NS0_5tupleIJSF_SF_EEENSH_IJSG_SG_EEES6_PlJ7is_evenIxEEEE10hipError_tPvRmT3_T4_T5_T6_T7_T9_mT8_P12ihipStream_tbDpT10_ENKUlT_T0_E_clISt17integral_constantIbLb1EES16_EEDaS11_S12_EUlS11_E_NS1_11comp_targetILNS1_3genE2ELNS1_11target_archE906ELNS1_3gpuE6ELNS1_3repE0EEENS1_30default_config_static_selectorELNS0_4arch9wavefront6targetE1EEEvT1_
; %bb.0:
	.section	.rodata,"a",@progbits
	.p2align	6, 0x0
	.amdhsa_kernel _ZN7rocprim17ROCPRIM_400000_NS6detail17trampoline_kernelINS0_14default_configENS1_25partition_config_selectorILNS1_17partition_subalgoE0ExNS0_10empty_typeEbEEZZNS1_14partition_implILS5_0ELb0ES3_jN6thrust23THRUST_200600_302600_NS6detail15normal_iteratorINSA_10device_ptrIxEEEEPS6_SG_NS0_5tupleIJSF_SF_EEENSH_IJSG_SG_EEES6_PlJ7is_evenIxEEEE10hipError_tPvRmT3_T4_T5_T6_T7_T9_mT8_P12ihipStream_tbDpT10_ENKUlT_T0_E_clISt17integral_constantIbLb1EES16_EEDaS11_S12_EUlS11_E_NS1_11comp_targetILNS1_3genE2ELNS1_11target_archE906ELNS1_3gpuE6ELNS1_3repE0EEENS1_30default_config_static_selectorELNS0_4arch9wavefront6targetE1EEEvT1_
		.amdhsa_group_segment_fixed_size 0
		.amdhsa_private_segment_fixed_size 0
		.amdhsa_kernarg_size 136
		.amdhsa_user_sgpr_count 6
		.amdhsa_user_sgpr_private_segment_buffer 1
		.amdhsa_user_sgpr_dispatch_ptr 0
		.amdhsa_user_sgpr_queue_ptr 0
		.amdhsa_user_sgpr_kernarg_segment_ptr 1
		.amdhsa_user_sgpr_dispatch_id 0
		.amdhsa_user_sgpr_flat_scratch_init 0
		.amdhsa_user_sgpr_kernarg_preload_length 0
		.amdhsa_user_sgpr_kernarg_preload_offset 0
		.amdhsa_user_sgpr_private_segment_size 0
		.amdhsa_uses_dynamic_stack 0
		.amdhsa_system_sgpr_private_segment_wavefront_offset 0
		.amdhsa_system_sgpr_workgroup_id_x 1
		.amdhsa_system_sgpr_workgroup_id_y 0
		.amdhsa_system_sgpr_workgroup_id_z 0
		.amdhsa_system_sgpr_workgroup_info 0
		.amdhsa_system_vgpr_workitem_id 0
		.amdhsa_next_free_vgpr 1
		.amdhsa_next_free_sgpr 0
		.amdhsa_accum_offset 4
		.amdhsa_reserve_vcc 0
		.amdhsa_reserve_flat_scratch 0
		.amdhsa_float_round_mode_32 0
		.amdhsa_float_round_mode_16_64 0
		.amdhsa_float_denorm_mode_32 3
		.amdhsa_float_denorm_mode_16_64 3
		.amdhsa_dx10_clamp 1
		.amdhsa_ieee_mode 1
		.amdhsa_fp16_overflow 0
		.amdhsa_tg_split 0
		.amdhsa_exception_fp_ieee_invalid_op 0
		.amdhsa_exception_fp_denorm_src 0
		.amdhsa_exception_fp_ieee_div_zero 0
		.amdhsa_exception_fp_ieee_overflow 0
		.amdhsa_exception_fp_ieee_underflow 0
		.amdhsa_exception_fp_ieee_inexact 0
		.amdhsa_exception_int_div_zero 0
	.end_amdhsa_kernel
	.section	.text._ZN7rocprim17ROCPRIM_400000_NS6detail17trampoline_kernelINS0_14default_configENS1_25partition_config_selectorILNS1_17partition_subalgoE0ExNS0_10empty_typeEbEEZZNS1_14partition_implILS5_0ELb0ES3_jN6thrust23THRUST_200600_302600_NS6detail15normal_iteratorINSA_10device_ptrIxEEEEPS6_SG_NS0_5tupleIJSF_SF_EEENSH_IJSG_SG_EEES6_PlJ7is_evenIxEEEE10hipError_tPvRmT3_T4_T5_T6_T7_T9_mT8_P12ihipStream_tbDpT10_ENKUlT_T0_E_clISt17integral_constantIbLb1EES16_EEDaS11_S12_EUlS11_E_NS1_11comp_targetILNS1_3genE2ELNS1_11target_archE906ELNS1_3gpuE6ELNS1_3repE0EEENS1_30default_config_static_selectorELNS0_4arch9wavefront6targetE1EEEvT1_,"axG",@progbits,_ZN7rocprim17ROCPRIM_400000_NS6detail17trampoline_kernelINS0_14default_configENS1_25partition_config_selectorILNS1_17partition_subalgoE0ExNS0_10empty_typeEbEEZZNS1_14partition_implILS5_0ELb0ES3_jN6thrust23THRUST_200600_302600_NS6detail15normal_iteratorINSA_10device_ptrIxEEEEPS6_SG_NS0_5tupleIJSF_SF_EEENSH_IJSG_SG_EEES6_PlJ7is_evenIxEEEE10hipError_tPvRmT3_T4_T5_T6_T7_T9_mT8_P12ihipStream_tbDpT10_ENKUlT_T0_E_clISt17integral_constantIbLb1EES16_EEDaS11_S12_EUlS11_E_NS1_11comp_targetILNS1_3genE2ELNS1_11target_archE906ELNS1_3gpuE6ELNS1_3repE0EEENS1_30default_config_static_selectorELNS0_4arch9wavefront6targetE1EEEvT1_,comdat
.Lfunc_end301:
	.size	_ZN7rocprim17ROCPRIM_400000_NS6detail17trampoline_kernelINS0_14default_configENS1_25partition_config_selectorILNS1_17partition_subalgoE0ExNS0_10empty_typeEbEEZZNS1_14partition_implILS5_0ELb0ES3_jN6thrust23THRUST_200600_302600_NS6detail15normal_iteratorINSA_10device_ptrIxEEEEPS6_SG_NS0_5tupleIJSF_SF_EEENSH_IJSG_SG_EEES6_PlJ7is_evenIxEEEE10hipError_tPvRmT3_T4_T5_T6_T7_T9_mT8_P12ihipStream_tbDpT10_ENKUlT_T0_E_clISt17integral_constantIbLb1EES16_EEDaS11_S12_EUlS11_E_NS1_11comp_targetILNS1_3genE2ELNS1_11target_archE906ELNS1_3gpuE6ELNS1_3repE0EEENS1_30default_config_static_selectorELNS0_4arch9wavefront6targetE1EEEvT1_, .Lfunc_end301-_ZN7rocprim17ROCPRIM_400000_NS6detail17trampoline_kernelINS0_14default_configENS1_25partition_config_selectorILNS1_17partition_subalgoE0ExNS0_10empty_typeEbEEZZNS1_14partition_implILS5_0ELb0ES3_jN6thrust23THRUST_200600_302600_NS6detail15normal_iteratorINSA_10device_ptrIxEEEEPS6_SG_NS0_5tupleIJSF_SF_EEENSH_IJSG_SG_EEES6_PlJ7is_evenIxEEEE10hipError_tPvRmT3_T4_T5_T6_T7_T9_mT8_P12ihipStream_tbDpT10_ENKUlT_T0_E_clISt17integral_constantIbLb1EES16_EEDaS11_S12_EUlS11_E_NS1_11comp_targetILNS1_3genE2ELNS1_11target_archE906ELNS1_3gpuE6ELNS1_3repE0EEENS1_30default_config_static_selectorELNS0_4arch9wavefront6targetE1EEEvT1_
                                        ; -- End function
	.section	.AMDGPU.csdata,"",@progbits
; Kernel info:
; codeLenInByte = 0
; NumSgprs: 4
; NumVgprs: 0
; NumAgprs: 0
; TotalNumVgprs: 0
; ScratchSize: 0
; MemoryBound: 0
; FloatMode: 240
; IeeeMode: 1
; LDSByteSize: 0 bytes/workgroup (compile time only)
; SGPRBlocks: 0
; VGPRBlocks: 0
; NumSGPRsForWavesPerEU: 4
; NumVGPRsForWavesPerEU: 1
; AccumOffset: 4
; Occupancy: 8
; WaveLimiterHint : 0
; COMPUTE_PGM_RSRC2:SCRATCH_EN: 0
; COMPUTE_PGM_RSRC2:USER_SGPR: 6
; COMPUTE_PGM_RSRC2:TRAP_HANDLER: 0
; COMPUTE_PGM_RSRC2:TGID_X_EN: 1
; COMPUTE_PGM_RSRC2:TGID_Y_EN: 0
; COMPUTE_PGM_RSRC2:TGID_Z_EN: 0
; COMPUTE_PGM_RSRC2:TIDIG_COMP_CNT: 0
; COMPUTE_PGM_RSRC3_GFX90A:ACCUM_OFFSET: 0
; COMPUTE_PGM_RSRC3_GFX90A:TG_SPLIT: 0
	.section	.text._ZN7rocprim17ROCPRIM_400000_NS6detail17trampoline_kernelINS0_14default_configENS1_25partition_config_selectorILNS1_17partition_subalgoE0ExNS0_10empty_typeEbEEZZNS1_14partition_implILS5_0ELb0ES3_jN6thrust23THRUST_200600_302600_NS6detail15normal_iteratorINSA_10device_ptrIxEEEEPS6_SG_NS0_5tupleIJSF_SF_EEENSH_IJSG_SG_EEES6_PlJ7is_evenIxEEEE10hipError_tPvRmT3_T4_T5_T6_T7_T9_mT8_P12ihipStream_tbDpT10_ENKUlT_T0_E_clISt17integral_constantIbLb1EES16_EEDaS11_S12_EUlS11_E_NS1_11comp_targetILNS1_3genE10ELNS1_11target_archE1200ELNS1_3gpuE4ELNS1_3repE0EEENS1_30default_config_static_selectorELNS0_4arch9wavefront6targetE1EEEvT1_,"axG",@progbits,_ZN7rocprim17ROCPRIM_400000_NS6detail17trampoline_kernelINS0_14default_configENS1_25partition_config_selectorILNS1_17partition_subalgoE0ExNS0_10empty_typeEbEEZZNS1_14partition_implILS5_0ELb0ES3_jN6thrust23THRUST_200600_302600_NS6detail15normal_iteratorINSA_10device_ptrIxEEEEPS6_SG_NS0_5tupleIJSF_SF_EEENSH_IJSG_SG_EEES6_PlJ7is_evenIxEEEE10hipError_tPvRmT3_T4_T5_T6_T7_T9_mT8_P12ihipStream_tbDpT10_ENKUlT_T0_E_clISt17integral_constantIbLb1EES16_EEDaS11_S12_EUlS11_E_NS1_11comp_targetILNS1_3genE10ELNS1_11target_archE1200ELNS1_3gpuE4ELNS1_3repE0EEENS1_30default_config_static_selectorELNS0_4arch9wavefront6targetE1EEEvT1_,comdat
	.protected	_ZN7rocprim17ROCPRIM_400000_NS6detail17trampoline_kernelINS0_14default_configENS1_25partition_config_selectorILNS1_17partition_subalgoE0ExNS0_10empty_typeEbEEZZNS1_14partition_implILS5_0ELb0ES3_jN6thrust23THRUST_200600_302600_NS6detail15normal_iteratorINSA_10device_ptrIxEEEEPS6_SG_NS0_5tupleIJSF_SF_EEENSH_IJSG_SG_EEES6_PlJ7is_evenIxEEEE10hipError_tPvRmT3_T4_T5_T6_T7_T9_mT8_P12ihipStream_tbDpT10_ENKUlT_T0_E_clISt17integral_constantIbLb1EES16_EEDaS11_S12_EUlS11_E_NS1_11comp_targetILNS1_3genE10ELNS1_11target_archE1200ELNS1_3gpuE4ELNS1_3repE0EEENS1_30default_config_static_selectorELNS0_4arch9wavefront6targetE1EEEvT1_ ; -- Begin function _ZN7rocprim17ROCPRIM_400000_NS6detail17trampoline_kernelINS0_14default_configENS1_25partition_config_selectorILNS1_17partition_subalgoE0ExNS0_10empty_typeEbEEZZNS1_14partition_implILS5_0ELb0ES3_jN6thrust23THRUST_200600_302600_NS6detail15normal_iteratorINSA_10device_ptrIxEEEEPS6_SG_NS0_5tupleIJSF_SF_EEENSH_IJSG_SG_EEES6_PlJ7is_evenIxEEEE10hipError_tPvRmT3_T4_T5_T6_T7_T9_mT8_P12ihipStream_tbDpT10_ENKUlT_T0_E_clISt17integral_constantIbLb1EES16_EEDaS11_S12_EUlS11_E_NS1_11comp_targetILNS1_3genE10ELNS1_11target_archE1200ELNS1_3gpuE4ELNS1_3repE0EEENS1_30default_config_static_selectorELNS0_4arch9wavefront6targetE1EEEvT1_
	.globl	_ZN7rocprim17ROCPRIM_400000_NS6detail17trampoline_kernelINS0_14default_configENS1_25partition_config_selectorILNS1_17partition_subalgoE0ExNS0_10empty_typeEbEEZZNS1_14partition_implILS5_0ELb0ES3_jN6thrust23THRUST_200600_302600_NS6detail15normal_iteratorINSA_10device_ptrIxEEEEPS6_SG_NS0_5tupleIJSF_SF_EEENSH_IJSG_SG_EEES6_PlJ7is_evenIxEEEE10hipError_tPvRmT3_T4_T5_T6_T7_T9_mT8_P12ihipStream_tbDpT10_ENKUlT_T0_E_clISt17integral_constantIbLb1EES16_EEDaS11_S12_EUlS11_E_NS1_11comp_targetILNS1_3genE10ELNS1_11target_archE1200ELNS1_3gpuE4ELNS1_3repE0EEENS1_30default_config_static_selectorELNS0_4arch9wavefront6targetE1EEEvT1_
	.p2align	8
	.type	_ZN7rocprim17ROCPRIM_400000_NS6detail17trampoline_kernelINS0_14default_configENS1_25partition_config_selectorILNS1_17partition_subalgoE0ExNS0_10empty_typeEbEEZZNS1_14partition_implILS5_0ELb0ES3_jN6thrust23THRUST_200600_302600_NS6detail15normal_iteratorINSA_10device_ptrIxEEEEPS6_SG_NS0_5tupleIJSF_SF_EEENSH_IJSG_SG_EEES6_PlJ7is_evenIxEEEE10hipError_tPvRmT3_T4_T5_T6_T7_T9_mT8_P12ihipStream_tbDpT10_ENKUlT_T0_E_clISt17integral_constantIbLb1EES16_EEDaS11_S12_EUlS11_E_NS1_11comp_targetILNS1_3genE10ELNS1_11target_archE1200ELNS1_3gpuE4ELNS1_3repE0EEENS1_30default_config_static_selectorELNS0_4arch9wavefront6targetE1EEEvT1_,@function
_ZN7rocprim17ROCPRIM_400000_NS6detail17trampoline_kernelINS0_14default_configENS1_25partition_config_selectorILNS1_17partition_subalgoE0ExNS0_10empty_typeEbEEZZNS1_14partition_implILS5_0ELb0ES3_jN6thrust23THRUST_200600_302600_NS6detail15normal_iteratorINSA_10device_ptrIxEEEEPS6_SG_NS0_5tupleIJSF_SF_EEENSH_IJSG_SG_EEES6_PlJ7is_evenIxEEEE10hipError_tPvRmT3_T4_T5_T6_T7_T9_mT8_P12ihipStream_tbDpT10_ENKUlT_T0_E_clISt17integral_constantIbLb1EES16_EEDaS11_S12_EUlS11_E_NS1_11comp_targetILNS1_3genE10ELNS1_11target_archE1200ELNS1_3gpuE4ELNS1_3repE0EEENS1_30default_config_static_selectorELNS0_4arch9wavefront6targetE1EEEvT1_: ; @_ZN7rocprim17ROCPRIM_400000_NS6detail17trampoline_kernelINS0_14default_configENS1_25partition_config_selectorILNS1_17partition_subalgoE0ExNS0_10empty_typeEbEEZZNS1_14partition_implILS5_0ELb0ES3_jN6thrust23THRUST_200600_302600_NS6detail15normal_iteratorINSA_10device_ptrIxEEEEPS6_SG_NS0_5tupleIJSF_SF_EEENSH_IJSG_SG_EEES6_PlJ7is_evenIxEEEE10hipError_tPvRmT3_T4_T5_T6_T7_T9_mT8_P12ihipStream_tbDpT10_ENKUlT_T0_E_clISt17integral_constantIbLb1EES16_EEDaS11_S12_EUlS11_E_NS1_11comp_targetILNS1_3genE10ELNS1_11target_archE1200ELNS1_3gpuE4ELNS1_3repE0EEENS1_30default_config_static_selectorELNS0_4arch9wavefront6targetE1EEEvT1_
; %bb.0:
	.section	.rodata,"a",@progbits
	.p2align	6, 0x0
	.amdhsa_kernel _ZN7rocprim17ROCPRIM_400000_NS6detail17trampoline_kernelINS0_14default_configENS1_25partition_config_selectorILNS1_17partition_subalgoE0ExNS0_10empty_typeEbEEZZNS1_14partition_implILS5_0ELb0ES3_jN6thrust23THRUST_200600_302600_NS6detail15normal_iteratorINSA_10device_ptrIxEEEEPS6_SG_NS0_5tupleIJSF_SF_EEENSH_IJSG_SG_EEES6_PlJ7is_evenIxEEEE10hipError_tPvRmT3_T4_T5_T6_T7_T9_mT8_P12ihipStream_tbDpT10_ENKUlT_T0_E_clISt17integral_constantIbLb1EES16_EEDaS11_S12_EUlS11_E_NS1_11comp_targetILNS1_3genE10ELNS1_11target_archE1200ELNS1_3gpuE4ELNS1_3repE0EEENS1_30default_config_static_selectorELNS0_4arch9wavefront6targetE1EEEvT1_
		.amdhsa_group_segment_fixed_size 0
		.amdhsa_private_segment_fixed_size 0
		.amdhsa_kernarg_size 136
		.amdhsa_user_sgpr_count 6
		.amdhsa_user_sgpr_private_segment_buffer 1
		.amdhsa_user_sgpr_dispatch_ptr 0
		.amdhsa_user_sgpr_queue_ptr 0
		.amdhsa_user_sgpr_kernarg_segment_ptr 1
		.amdhsa_user_sgpr_dispatch_id 0
		.amdhsa_user_sgpr_flat_scratch_init 0
		.amdhsa_user_sgpr_kernarg_preload_length 0
		.amdhsa_user_sgpr_kernarg_preload_offset 0
		.amdhsa_user_sgpr_private_segment_size 0
		.amdhsa_uses_dynamic_stack 0
		.amdhsa_system_sgpr_private_segment_wavefront_offset 0
		.amdhsa_system_sgpr_workgroup_id_x 1
		.amdhsa_system_sgpr_workgroup_id_y 0
		.amdhsa_system_sgpr_workgroup_id_z 0
		.amdhsa_system_sgpr_workgroup_info 0
		.amdhsa_system_vgpr_workitem_id 0
		.amdhsa_next_free_vgpr 1
		.amdhsa_next_free_sgpr 0
		.amdhsa_accum_offset 4
		.amdhsa_reserve_vcc 0
		.amdhsa_reserve_flat_scratch 0
		.amdhsa_float_round_mode_32 0
		.amdhsa_float_round_mode_16_64 0
		.amdhsa_float_denorm_mode_32 3
		.amdhsa_float_denorm_mode_16_64 3
		.amdhsa_dx10_clamp 1
		.amdhsa_ieee_mode 1
		.amdhsa_fp16_overflow 0
		.amdhsa_tg_split 0
		.amdhsa_exception_fp_ieee_invalid_op 0
		.amdhsa_exception_fp_denorm_src 0
		.amdhsa_exception_fp_ieee_div_zero 0
		.amdhsa_exception_fp_ieee_overflow 0
		.amdhsa_exception_fp_ieee_underflow 0
		.amdhsa_exception_fp_ieee_inexact 0
		.amdhsa_exception_int_div_zero 0
	.end_amdhsa_kernel
	.section	.text._ZN7rocprim17ROCPRIM_400000_NS6detail17trampoline_kernelINS0_14default_configENS1_25partition_config_selectorILNS1_17partition_subalgoE0ExNS0_10empty_typeEbEEZZNS1_14partition_implILS5_0ELb0ES3_jN6thrust23THRUST_200600_302600_NS6detail15normal_iteratorINSA_10device_ptrIxEEEEPS6_SG_NS0_5tupleIJSF_SF_EEENSH_IJSG_SG_EEES6_PlJ7is_evenIxEEEE10hipError_tPvRmT3_T4_T5_T6_T7_T9_mT8_P12ihipStream_tbDpT10_ENKUlT_T0_E_clISt17integral_constantIbLb1EES16_EEDaS11_S12_EUlS11_E_NS1_11comp_targetILNS1_3genE10ELNS1_11target_archE1200ELNS1_3gpuE4ELNS1_3repE0EEENS1_30default_config_static_selectorELNS0_4arch9wavefront6targetE1EEEvT1_,"axG",@progbits,_ZN7rocprim17ROCPRIM_400000_NS6detail17trampoline_kernelINS0_14default_configENS1_25partition_config_selectorILNS1_17partition_subalgoE0ExNS0_10empty_typeEbEEZZNS1_14partition_implILS5_0ELb0ES3_jN6thrust23THRUST_200600_302600_NS6detail15normal_iteratorINSA_10device_ptrIxEEEEPS6_SG_NS0_5tupleIJSF_SF_EEENSH_IJSG_SG_EEES6_PlJ7is_evenIxEEEE10hipError_tPvRmT3_T4_T5_T6_T7_T9_mT8_P12ihipStream_tbDpT10_ENKUlT_T0_E_clISt17integral_constantIbLb1EES16_EEDaS11_S12_EUlS11_E_NS1_11comp_targetILNS1_3genE10ELNS1_11target_archE1200ELNS1_3gpuE4ELNS1_3repE0EEENS1_30default_config_static_selectorELNS0_4arch9wavefront6targetE1EEEvT1_,comdat
.Lfunc_end302:
	.size	_ZN7rocprim17ROCPRIM_400000_NS6detail17trampoline_kernelINS0_14default_configENS1_25partition_config_selectorILNS1_17partition_subalgoE0ExNS0_10empty_typeEbEEZZNS1_14partition_implILS5_0ELb0ES3_jN6thrust23THRUST_200600_302600_NS6detail15normal_iteratorINSA_10device_ptrIxEEEEPS6_SG_NS0_5tupleIJSF_SF_EEENSH_IJSG_SG_EEES6_PlJ7is_evenIxEEEE10hipError_tPvRmT3_T4_T5_T6_T7_T9_mT8_P12ihipStream_tbDpT10_ENKUlT_T0_E_clISt17integral_constantIbLb1EES16_EEDaS11_S12_EUlS11_E_NS1_11comp_targetILNS1_3genE10ELNS1_11target_archE1200ELNS1_3gpuE4ELNS1_3repE0EEENS1_30default_config_static_selectorELNS0_4arch9wavefront6targetE1EEEvT1_, .Lfunc_end302-_ZN7rocprim17ROCPRIM_400000_NS6detail17trampoline_kernelINS0_14default_configENS1_25partition_config_selectorILNS1_17partition_subalgoE0ExNS0_10empty_typeEbEEZZNS1_14partition_implILS5_0ELb0ES3_jN6thrust23THRUST_200600_302600_NS6detail15normal_iteratorINSA_10device_ptrIxEEEEPS6_SG_NS0_5tupleIJSF_SF_EEENSH_IJSG_SG_EEES6_PlJ7is_evenIxEEEE10hipError_tPvRmT3_T4_T5_T6_T7_T9_mT8_P12ihipStream_tbDpT10_ENKUlT_T0_E_clISt17integral_constantIbLb1EES16_EEDaS11_S12_EUlS11_E_NS1_11comp_targetILNS1_3genE10ELNS1_11target_archE1200ELNS1_3gpuE4ELNS1_3repE0EEENS1_30default_config_static_selectorELNS0_4arch9wavefront6targetE1EEEvT1_
                                        ; -- End function
	.section	.AMDGPU.csdata,"",@progbits
; Kernel info:
; codeLenInByte = 0
; NumSgprs: 4
; NumVgprs: 0
; NumAgprs: 0
; TotalNumVgprs: 0
; ScratchSize: 0
; MemoryBound: 0
; FloatMode: 240
; IeeeMode: 1
; LDSByteSize: 0 bytes/workgroup (compile time only)
; SGPRBlocks: 0
; VGPRBlocks: 0
; NumSGPRsForWavesPerEU: 4
; NumVGPRsForWavesPerEU: 1
; AccumOffset: 4
; Occupancy: 8
; WaveLimiterHint : 0
; COMPUTE_PGM_RSRC2:SCRATCH_EN: 0
; COMPUTE_PGM_RSRC2:USER_SGPR: 6
; COMPUTE_PGM_RSRC2:TRAP_HANDLER: 0
; COMPUTE_PGM_RSRC2:TGID_X_EN: 1
; COMPUTE_PGM_RSRC2:TGID_Y_EN: 0
; COMPUTE_PGM_RSRC2:TGID_Z_EN: 0
; COMPUTE_PGM_RSRC2:TIDIG_COMP_CNT: 0
; COMPUTE_PGM_RSRC3_GFX90A:ACCUM_OFFSET: 0
; COMPUTE_PGM_RSRC3_GFX90A:TG_SPLIT: 0
	.section	.text._ZN7rocprim17ROCPRIM_400000_NS6detail17trampoline_kernelINS0_14default_configENS1_25partition_config_selectorILNS1_17partition_subalgoE0ExNS0_10empty_typeEbEEZZNS1_14partition_implILS5_0ELb0ES3_jN6thrust23THRUST_200600_302600_NS6detail15normal_iteratorINSA_10device_ptrIxEEEEPS6_SG_NS0_5tupleIJSF_SF_EEENSH_IJSG_SG_EEES6_PlJ7is_evenIxEEEE10hipError_tPvRmT3_T4_T5_T6_T7_T9_mT8_P12ihipStream_tbDpT10_ENKUlT_T0_E_clISt17integral_constantIbLb1EES16_EEDaS11_S12_EUlS11_E_NS1_11comp_targetILNS1_3genE9ELNS1_11target_archE1100ELNS1_3gpuE3ELNS1_3repE0EEENS1_30default_config_static_selectorELNS0_4arch9wavefront6targetE1EEEvT1_,"axG",@progbits,_ZN7rocprim17ROCPRIM_400000_NS6detail17trampoline_kernelINS0_14default_configENS1_25partition_config_selectorILNS1_17partition_subalgoE0ExNS0_10empty_typeEbEEZZNS1_14partition_implILS5_0ELb0ES3_jN6thrust23THRUST_200600_302600_NS6detail15normal_iteratorINSA_10device_ptrIxEEEEPS6_SG_NS0_5tupleIJSF_SF_EEENSH_IJSG_SG_EEES6_PlJ7is_evenIxEEEE10hipError_tPvRmT3_T4_T5_T6_T7_T9_mT8_P12ihipStream_tbDpT10_ENKUlT_T0_E_clISt17integral_constantIbLb1EES16_EEDaS11_S12_EUlS11_E_NS1_11comp_targetILNS1_3genE9ELNS1_11target_archE1100ELNS1_3gpuE3ELNS1_3repE0EEENS1_30default_config_static_selectorELNS0_4arch9wavefront6targetE1EEEvT1_,comdat
	.protected	_ZN7rocprim17ROCPRIM_400000_NS6detail17trampoline_kernelINS0_14default_configENS1_25partition_config_selectorILNS1_17partition_subalgoE0ExNS0_10empty_typeEbEEZZNS1_14partition_implILS5_0ELb0ES3_jN6thrust23THRUST_200600_302600_NS6detail15normal_iteratorINSA_10device_ptrIxEEEEPS6_SG_NS0_5tupleIJSF_SF_EEENSH_IJSG_SG_EEES6_PlJ7is_evenIxEEEE10hipError_tPvRmT3_T4_T5_T6_T7_T9_mT8_P12ihipStream_tbDpT10_ENKUlT_T0_E_clISt17integral_constantIbLb1EES16_EEDaS11_S12_EUlS11_E_NS1_11comp_targetILNS1_3genE9ELNS1_11target_archE1100ELNS1_3gpuE3ELNS1_3repE0EEENS1_30default_config_static_selectorELNS0_4arch9wavefront6targetE1EEEvT1_ ; -- Begin function _ZN7rocprim17ROCPRIM_400000_NS6detail17trampoline_kernelINS0_14default_configENS1_25partition_config_selectorILNS1_17partition_subalgoE0ExNS0_10empty_typeEbEEZZNS1_14partition_implILS5_0ELb0ES3_jN6thrust23THRUST_200600_302600_NS6detail15normal_iteratorINSA_10device_ptrIxEEEEPS6_SG_NS0_5tupleIJSF_SF_EEENSH_IJSG_SG_EEES6_PlJ7is_evenIxEEEE10hipError_tPvRmT3_T4_T5_T6_T7_T9_mT8_P12ihipStream_tbDpT10_ENKUlT_T0_E_clISt17integral_constantIbLb1EES16_EEDaS11_S12_EUlS11_E_NS1_11comp_targetILNS1_3genE9ELNS1_11target_archE1100ELNS1_3gpuE3ELNS1_3repE0EEENS1_30default_config_static_selectorELNS0_4arch9wavefront6targetE1EEEvT1_
	.globl	_ZN7rocprim17ROCPRIM_400000_NS6detail17trampoline_kernelINS0_14default_configENS1_25partition_config_selectorILNS1_17partition_subalgoE0ExNS0_10empty_typeEbEEZZNS1_14partition_implILS5_0ELb0ES3_jN6thrust23THRUST_200600_302600_NS6detail15normal_iteratorINSA_10device_ptrIxEEEEPS6_SG_NS0_5tupleIJSF_SF_EEENSH_IJSG_SG_EEES6_PlJ7is_evenIxEEEE10hipError_tPvRmT3_T4_T5_T6_T7_T9_mT8_P12ihipStream_tbDpT10_ENKUlT_T0_E_clISt17integral_constantIbLb1EES16_EEDaS11_S12_EUlS11_E_NS1_11comp_targetILNS1_3genE9ELNS1_11target_archE1100ELNS1_3gpuE3ELNS1_3repE0EEENS1_30default_config_static_selectorELNS0_4arch9wavefront6targetE1EEEvT1_
	.p2align	8
	.type	_ZN7rocprim17ROCPRIM_400000_NS6detail17trampoline_kernelINS0_14default_configENS1_25partition_config_selectorILNS1_17partition_subalgoE0ExNS0_10empty_typeEbEEZZNS1_14partition_implILS5_0ELb0ES3_jN6thrust23THRUST_200600_302600_NS6detail15normal_iteratorINSA_10device_ptrIxEEEEPS6_SG_NS0_5tupleIJSF_SF_EEENSH_IJSG_SG_EEES6_PlJ7is_evenIxEEEE10hipError_tPvRmT3_T4_T5_T6_T7_T9_mT8_P12ihipStream_tbDpT10_ENKUlT_T0_E_clISt17integral_constantIbLb1EES16_EEDaS11_S12_EUlS11_E_NS1_11comp_targetILNS1_3genE9ELNS1_11target_archE1100ELNS1_3gpuE3ELNS1_3repE0EEENS1_30default_config_static_selectorELNS0_4arch9wavefront6targetE1EEEvT1_,@function
_ZN7rocprim17ROCPRIM_400000_NS6detail17trampoline_kernelINS0_14default_configENS1_25partition_config_selectorILNS1_17partition_subalgoE0ExNS0_10empty_typeEbEEZZNS1_14partition_implILS5_0ELb0ES3_jN6thrust23THRUST_200600_302600_NS6detail15normal_iteratorINSA_10device_ptrIxEEEEPS6_SG_NS0_5tupleIJSF_SF_EEENSH_IJSG_SG_EEES6_PlJ7is_evenIxEEEE10hipError_tPvRmT3_T4_T5_T6_T7_T9_mT8_P12ihipStream_tbDpT10_ENKUlT_T0_E_clISt17integral_constantIbLb1EES16_EEDaS11_S12_EUlS11_E_NS1_11comp_targetILNS1_3genE9ELNS1_11target_archE1100ELNS1_3gpuE3ELNS1_3repE0EEENS1_30default_config_static_selectorELNS0_4arch9wavefront6targetE1EEEvT1_: ; @_ZN7rocprim17ROCPRIM_400000_NS6detail17trampoline_kernelINS0_14default_configENS1_25partition_config_selectorILNS1_17partition_subalgoE0ExNS0_10empty_typeEbEEZZNS1_14partition_implILS5_0ELb0ES3_jN6thrust23THRUST_200600_302600_NS6detail15normal_iteratorINSA_10device_ptrIxEEEEPS6_SG_NS0_5tupleIJSF_SF_EEENSH_IJSG_SG_EEES6_PlJ7is_evenIxEEEE10hipError_tPvRmT3_T4_T5_T6_T7_T9_mT8_P12ihipStream_tbDpT10_ENKUlT_T0_E_clISt17integral_constantIbLb1EES16_EEDaS11_S12_EUlS11_E_NS1_11comp_targetILNS1_3genE9ELNS1_11target_archE1100ELNS1_3gpuE3ELNS1_3repE0EEENS1_30default_config_static_selectorELNS0_4arch9wavefront6targetE1EEEvT1_
; %bb.0:
	.section	.rodata,"a",@progbits
	.p2align	6, 0x0
	.amdhsa_kernel _ZN7rocprim17ROCPRIM_400000_NS6detail17trampoline_kernelINS0_14default_configENS1_25partition_config_selectorILNS1_17partition_subalgoE0ExNS0_10empty_typeEbEEZZNS1_14partition_implILS5_0ELb0ES3_jN6thrust23THRUST_200600_302600_NS6detail15normal_iteratorINSA_10device_ptrIxEEEEPS6_SG_NS0_5tupleIJSF_SF_EEENSH_IJSG_SG_EEES6_PlJ7is_evenIxEEEE10hipError_tPvRmT3_T4_T5_T6_T7_T9_mT8_P12ihipStream_tbDpT10_ENKUlT_T0_E_clISt17integral_constantIbLb1EES16_EEDaS11_S12_EUlS11_E_NS1_11comp_targetILNS1_3genE9ELNS1_11target_archE1100ELNS1_3gpuE3ELNS1_3repE0EEENS1_30default_config_static_selectorELNS0_4arch9wavefront6targetE1EEEvT1_
		.amdhsa_group_segment_fixed_size 0
		.amdhsa_private_segment_fixed_size 0
		.amdhsa_kernarg_size 136
		.amdhsa_user_sgpr_count 6
		.amdhsa_user_sgpr_private_segment_buffer 1
		.amdhsa_user_sgpr_dispatch_ptr 0
		.amdhsa_user_sgpr_queue_ptr 0
		.amdhsa_user_sgpr_kernarg_segment_ptr 1
		.amdhsa_user_sgpr_dispatch_id 0
		.amdhsa_user_sgpr_flat_scratch_init 0
		.amdhsa_user_sgpr_kernarg_preload_length 0
		.amdhsa_user_sgpr_kernarg_preload_offset 0
		.amdhsa_user_sgpr_private_segment_size 0
		.amdhsa_uses_dynamic_stack 0
		.amdhsa_system_sgpr_private_segment_wavefront_offset 0
		.amdhsa_system_sgpr_workgroup_id_x 1
		.amdhsa_system_sgpr_workgroup_id_y 0
		.amdhsa_system_sgpr_workgroup_id_z 0
		.amdhsa_system_sgpr_workgroup_info 0
		.amdhsa_system_vgpr_workitem_id 0
		.amdhsa_next_free_vgpr 1
		.amdhsa_next_free_sgpr 0
		.amdhsa_accum_offset 4
		.amdhsa_reserve_vcc 0
		.amdhsa_reserve_flat_scratch 0
		.amdhsa_float_round_mode_32 0
		.amdhsa_float_round_mode_16_64 0
		.amdhsa_float_denorm_mode_32 3
		.amdhsa_float_denorm_mode_16_64 3
		.amdhsa_dx10_clamp 1
		.amdhsa_ieee_mode 1
		.amdhsa_fp16_overflow 0
		.amdhsa_tg_split 0
		.amdhsa_exception_fp_ieee_invalid_op 0
		.amdhsa_exception_fp_denorm_src 0
		.amdhsa_exception_fp_ieee_div_zero 0
		.amdhsa_exception_fp_ieee_overflow 0
		.amdhsa_exception_fp_ieee_underflow 0
		.amdhsa_exception_fp_ieee_inexact 0
		.amdhsa_exception_int_div_zero 0
	.end_amdhsa_kernel
	.section	.text._ZN7rocprim17ROCPRIM_400000_NS6detail17trampoline_kernelINS0_14default_configENS1_25partition_config_selectorILNS1_17partition_subalgoE0ExNS0_10empty_typeEbEEZZNS1_14partition_implILS5_0ELb0ES3_jN6thrust23THRUST_200600_302600_NS6detail15normal_iteratorINSA_10device_ptrIxEEEEPS6_SG_NS0_5tupleIJSF_SF_EEENSH_IJSG_SG_EEES6_PlJ7is_evenIxEEEE10hipError_tPvRmT3_T4_T5_T6_T7_T9_mT8_P12ihipStream_tbDpT10_ENKUlT_T0_E_clISt17integral_constantIbLb1EES16_EEDaS11_S12_EUlS11_E_NS1_11comp_targetILNS1_3genE9ELNS1_11target_archE1100ELNS1_3gpuE3ELNS1_3repE0EEENS1_30default_config_static_selectorELNS0_4arch9wavefront6targetE1EEEvT1_,"axG",@progbits,_ZN7rocprim17ROCPRIM_400000_NS6detail17trampoline_kernelINS0_14default_configENS1_25partition_config_selectorILNS1_17partition_subalgoE0ExNS0_10empty_typeEbEEZZNS1_14partition_implILS5_0ELb0ES3_jN6thrust23THRUST_200600_302600_NS6detail15normal_iteratorINSA_10device_ptrIxEEEEPS6_SG_NS0_5tupleIJSF_SF_EEENSH_IJSG_SG_EEES6_PlJ7is_evenIxEEEE10hipError_tPvRmT3_T4_T5_T6_T7_T9_mT8_P12ihipStream_tbDpT10_ENKUlT_T0_E_clISt17integral_constantIbLb1EES16_EEDaS11_S12_EUlS11_E_NS1_11comp_targetILNS1_3genE9ELNS1_11target_archE1100ELNS1_3gpuE3ELNS1_3repE0EEENS1_30default_config_static_selectorELNS0_4arch9wavefront6targetE1EEEvT1_,comdat
.Lfunc_end303:
	.size	_ZN7rocprim17ROCPRIM_400000_NS6detail17trampoline_kernelINS0_14default_configENS1_25partition_config_selectorILNS1_17partition_subalgoE0ExNS0_10empty_typeEbEEZZNS1_14partition_implILS5_0ELb0ES3_jN6thrust23THRUST_200600_302600_NS6detail15normal_iteratorINSA_10device_ptrIxEEEEPS6_SG_NS0_5tupleIJSF_SF_EEENSH_IJSG_SG_EEES6_PlJ7is_evenIxEEEE10hipError_tPvRmT3_T4_T5_T6_T7_T9_mT8_P12ihipStream_tbDpT10_ENKUlT_T0_E_clISt17integral_constantIbLb1EES16_EEDaS11_S12_EUlS11_E_NS1_11comp_targetILNS1_3genE9ELNS1_11target_archE1100ELNS1_3gpuE3ELNS1_3repE0EEENS1_30default_config_static_selectorELNS0_4arch9wavefront6targetE1EEEvT1_, .Lfunc_end303-_ZN7rocprim17ROCPRIM_400000_NS6detail17trampoline_kernelINS0_14default_configENS1_25partition_config_selectorILNS1_17partition_subalgoE0ExNS0_10empty_typeEbEEZZNS1_14partition_implILS5_0ELb0ES3_jN6thrust23THRUST_200600_302600_NS6detail15normal_iteratorINSA_10device_ptrIxEEEEPS6_SG_NS0_5tupleIJSF_SF_EEENSH_IJSG_SG_EEES6_PlJ7is_evenIxEEEE10hipError_tPvRmT3_T4_T5_T6_T7_T9_mT8_P12ihipStream_tbDpT10_ENKUlT_T0_E_clISt17integral_constantIbLb1EES16_EEDaS11_S12_EUlS11_E_NS1_11comp_targetILNS1_3genE9ELNS1_11target_archE1100ELNS1_3gpuE3ELNS1_3repE0EEENS1_30default_config_static_selectorELNS0_4arch9wavefront6targetE1EEEvT1_
                                        ; -- End function
	.section	.AMDGPU.csdata,"",@progbits
; Kernel info:
; codeLenInByte = 0
; NumSgprs: 4
; NumVgprs: 0
; NumAgprs: 0
; TotalNumVgprs: 0
; ScratchSize: 0
; MemoryBound: 0
; FloatMode: 240
; IeeeMode: 1
; LDSByteSize: 0 bytes/workgroup (compile time only)
; SGPRBlocks: 0
; VGPRBlocks: 0
; NumSGPRsForWavesPerEU: 4
; NumVGPRsForWavesPerEU: 1
; AccumOffset: 4
; Occupancy: 8
; WaveLimiterHint : 0
; COMPUTE_PGM_RSRC2:SCRATCH_EN: 0
; COMPUTE_PGM_RSRC2:USER_SGPR: 6
; COMPUTE_PGM_RSRC2:TRAP_HANDLER: 0
; COMPUTE_PGM_RSRC2:TGID_X_EN: 1
; COMPUTE_PGM_RSRC2:TGID_Y_EN: 0
; COMPUTE_PGM_RSRC2:TGID_Z_EN: 0
; COMPUTE_PGM_RSRC2:TIDIG_COMP_CNT: 0
; COMPUTE_PGM_RSRC3_GFX90A:ACCUM_OFFSET: 0
; COMPUTE_PGM_RSRC3_GFX90A:TG_SPLIT: 0
	.section	.text._ZN7rocprim17ROCPRIM_400000_NS6detail17trampoline_kernelINS0_14default_configENS1_25partition_config_selectorILNS1_17partition_subalgoE0ExNS0_10empty_typeEbEEZZNS1_14partition_implILS5_0ELb0ES3_jN6thrust23THRUST_200600_302600_NS6detail15normal_iteratorINSA_10device_ptrIxEEEEPS6_SG_NS0_5tupleIJSF_SF_EEENSH_IJSG_SG_EEES6_PlJ7is_evenIxEEEE10hipError_tPvRmT3_T4_T5_T6_T7_T9_mT8_P12ihipStream_tbDpT10_ENKUlT_T0_E_clISt17integral_constantIbLb1EES16_EEDaS11_S12_EUlS11_E_NS1_11comp_targetILNS1_3genE8ELNS1_11target_archE1030ELNS1_3gpuE2ELNS1_3repE0EEENS1_30default_config_static_selectorELNS0_4arch9wavefront6targetE1EEEvT1_,"axG",@progbits,_ZN7rocprim17ROCPRIM_400000_NS6detail17trampoline_kernelINS0_14default_configENS1_25partition_config_selectorILNS1_17partition_subalgoE0ExNS0_10empty_typeEbEEZZNS1_14partition_implILS5_0ELb0ES3_jN6thrust23THRUST_200600_302600_NS6detail15normal_iteratorINSA_10device_ptrIxEEEEPS6_SG_NS0_5tupleIJSF_SF_EEENSH_IJSG_SG_EEES6_PlJ7is_evenIxEEEE10hipError_tPvRmT3_T4_T5_T6_T7_T9_mT8_P12ihipStream_tbDpT10_ENKUlT_T0_E_clISt17integral_constantIbLb1EES16_EEDaS11_S12_EUlS11_E_NS1_11comp_targetILNS1_3genE8ELNS1_11target_archE1030ELNS1_3gpuE2ELNS1_3repE0EEENS1_30default_config_static_selectorELNS0_4arch9wavefront6targetE1EEEvT1_,comdat
	.protected	_ZN7rocprim17ROCPRIM_400000_NS6detail17trampoline_kernelINS0_14default_configENS1_25partition_config_selectorILNS1_17partition_subalgoE0ExNS0_10empty_typeEbEEZZNS1_14partition_implILS5_0ELb0ES3_jN6thrust23THRUST_200600_302600_NS6detail15normal_iteratorINSA_10device_ptrIxEEEEPS6_SG_NS0_5tupleIJSF_SF_EEENSH_IJSG_SG_EEES6_PlJ7is_evenIxEEEE10hipError_tPvRmT3_T4_T5_T6_T7_T9_mT8_P12ihipStream_tbDpT10_ENKUlT_T0_E_clISt17integral_constantIbLb1EES16_EEDaS11_S12_EUlS11_E_NS1_11comp_targetILNS1_3genE8ELNS1_11target_archE1030ELNS1_3gpuE2ELNS1_3repE0EEENS1_30default_config_static_selectorELNS0_4arch9wavefront6targetE1EEEvT1_ ; -- Begin function _ZN7rocprim17ROCPRIM_400000_NS6detail17trampoline_kernelINS0_14default_configENS1_25partition_config_selectorILNS1_17partition_subalgoE0ExNS0_10empty_typeEbEEZZNS1_14partition_implILS5_0ELb0ES3_jN6thrust23THRUST_200600_302600_NS6detail15normal_iteratorINSA_10device_ptrIxEEEEPS6_SG_NS0_5tupleIJSF_SF_EEENSH_IJSG_SG_EEES6_PlJ7is_evenIxEEEE10hipError_tPvRmT3_T4_T5_T6_T7_T9_mT8_P12ihipStream_tbDpT10_ENKUlT_T0_E_clISt17integral_constantIbLb1EES16_EEDaS11_S12_EUlS11_E_NS1_11comp_targetILNS1_3genE8ELNS1_11target_archE1030ELNS1_3gpuE2ELNS1_3repE0EEENS1_30default_config_static_selectorELNS0_4arch9wavefront6targetE1EEEvT1_
	.globl	_ZN7rocprim17ROCPRIM_400000_NS6detail17trampoline_kernelINS0_14default_configENS1_25partition_config_selectorILNS1_17partition_subalgoE0ExNS0_10empty_typeEbEEZZNS1_14partition_implILS5_0ELb0ES3_jN6thrust23THRUST_200600_302600_NS6detail15normal_iteratorINSA_10device_ptrIxEEEEPS6_SG_NS0_5tupleIJSF_SF_EEENSH_IJSG_SG_EEES6_PlJ7is_evenIxEEEE10hipError_tPvRmT3_T4_T5_T6_T7_T9_mT8_P12ihipStream_tbDpT10_ENKUlT_T0_E_clISt17integral_constantIbLb1EES16_EEDaS11_S12_EUlS11_E_NS1_11comp_targetILNS1_3genE8ELNS1_11target_archE1030ELNS1_3gpuE2ELNS1_3repE0EEENS1_30default_config_static_selectorELNS0_4arch9wavefront6targetE1EEEvT1_
	.p2align	8
	.type	_ZN7rocprim17ROCPRIM_400000_NS6detail17trampoline_kernelINS0_14default_configENS1_25partition_config_selectorILNS1_17partition_subalgoE0ExNS0_10empty_typeEbEEZZNS1_14partition_implILS5_0ELb0ES3_jN6thrust23THRUST_200600_302600_NS6detail15normal_iteratorINSA_10device_ptrIxEEEEPS6_SG_NS0_5tupleIJSF_SF_EEENSH_IJSG_SG_EEES6_PlJ7is_evenIxEEEE10hipError_tPvRmT3_T4_T5_T6_T7_T9_mT8_P12ihipStream_tbDpT10_ENKUlT_T0_E_clISt17integral_constantIbLb1EES16_EEDaS11_S12_EUlS11_E_NS1_11comp_targetILNS1_3genE8ELNS1_11target_archE1030ELNS1_3gpuE2ELNS1_3repE0EEENS1_30default_config_static_selectorELNS0_4arch9wavefront6targetE1EEEvT1_,@function
_ZN7rocprim17ROCPRIM_400000_NS6detail17trampoline_kernelINS0_14default_configENS1_25partition_config_selectorILNS1_17partition_subalgoE0ExNS0_10empty_typeEbEEZZNS1_14partition_implILS5_0ELb0ES3_jN6thrust23THRUST_200600_302600_NS6detail15normal_iteratorINSA_10device_ptrIxEEEEPS6_SG_NS0_5tupleIJSF_SF_EEENSH_IJSG_SG_EEES6_PlJ7is_evenIxEEEE10hipError_tPvRmT3_T4_T5_T6_T7_T9_mT8_P12ihipStream_tbDpT10_ENKUlT_T0_E_clISt17integral_constantIbLb1EES16_EEDaS11_S12_EUlS11_E_NS1_11comp_targetILNS1_3genE8ELNS1_11target_archE1030ELNS1_3gpuE2ELNS1_3repE0EEENS1_30default_config_static_selectorELNS0_4arch9wavefront6targetE1EEEvT1_: ; @_ZN7rocprim17ROCPRIM_400000_NS6detail17trampoline_kernelINS0_14default_configENS1_25partition_config_selectorILNS1_17partition_subalgoE0ExNS0_10empty_typeEbEEZZNS1_14partition_implILS5_0ELb0ES3_jN6thrust23THRUST_200600_302600_NS6detail15normal_iteratorINSA_10device_ptrIxEEEEPS6_SG_NS0_5tupleIJSF_SF_EEENSH_IJSG_SG_EEES6_PlJ7is_evenIxEEEE10hipError_tPvRmT3_T4_T5_T6_T7_T9_mT8_P12ihipStream_tbDpT10_ENKUlT_T0_E_clISt17integral_constantIbLb1EES16_EEDaS11_S12_EUlS11_E_NS1_11comp_targetILNS1_3genE8ELNS1_11target_archE1030ELNS1_3gpuE2ELNS1_3repE0EEENS1_30default_config_static_selectorELNS0_4arch9wavefront6targetE1EEEvT1_
; %bb.0:
	.section	.rodata,"a",@progbits
	.p2align	6, 0x0
	.amdhsa_kernel _ZN7rocprim17ROCPRIM_400000_NS6detail17trampoline_kernelINS0_14default_configENS1_25partition_config_selectorILNS1_17partition_subalgoE0ExNS0_10empty_typeEbEEZZNS1_14partition_implILS5_0ELb0ES3_jN6thrust23THRUST_200600_302600_NS6detail15normal_iteratorINSA_10device_ptrIxEEEEPS6_SG_NS0_5tupleIJSF_SF_EEENSH_IJSG_SG_EEES6_PlJ7is_evenIxEEEE10hipError_tPvRmT3_T4_T5_T6_T7_T9_mT8_P12ihipStream_tbDpT10_ENKUlT_T0_E_clISt17integral_constantIbLb1EES16_EEDaS11_S12_EUlS11_E_NS1_11comp_targetILNS1_3genE8ELNS1_11target_archE1030ELNS1_3gpuE2ELNS1_3repE0EEENS1_30default_config_static_selectorELNS0_4arch9wavefront6targetE1EEEvT1_
		.amdhsa_group_segment_fixed_size 0
		.amdhsa_private_segment_fixed_size 0
		.amdhsa_kernarg_size 136
		.amdhsa_user_sgpr_count 6
		.amdhsa_user_sgpr_private_segment_buffer 1
		.amdhsa_user_sgpr_dispatch_ptr 0
		.amdhsa_user_sgpr_queue_ptr 0
		.amdhsa_user_sgpr_kernarg_segment_ptr 1
		.amdhsa_user_sgpr_dispatch_id 0
		.amdhsa_user_sgpr_flat_scratch_init 0
		.amdhsa_user_sgpr_kernarg_preload_length 0
		.amdhsa_user_sgpr_kernarg_preload_offset 0
		.amdhsa_user_sgpr_private_segment_size 0
		.amdhsa_uses_dynamic_stack 0
		.amdhsa_system_sgpr_private_segment_wavefront_offset 0
		.amdhsa_system_sgpr_workgroup_id_x 1
		.amdhsa_system_sgpr_workgroup_id_y 0
		.amdhsa_system_sgpr_workgroup_id_z 0
		.amdhsa_system_sgpr_workgroup_info 0
		.amdhsa_system_vgpr_workitem_id 0
		.amdhsa_next_free_vgpr 1
		.amdhsa_next_free_sgpr 0
		.amdhsa_accum_offset 4
		.amdhsa_reserve_vcc 0
		.amdhsa_reserve_flat_scratch 0
		.amdhsa_float_round_mode_32 0
		.amdhsa_float_round_mode_16_64 0
		.amdhsa_float_denorm_mode_32 3
		.amdhsa_float_denorm_mode_16_64 3
		.amdhsa_dx10_clamp 1
		.amdhsa_ieee_mode 1
		.amdhsa_fp16_overflow 0
		.amdhsa_tg_split 0
		.amdhsa_exception_fp_ieee_invalid_op 0
		.amdhsa_exception_fp_denorm_src 0
		.amdhsa_exception_fp_ieee_div_zero 0
		.amdhsa_exception_fp_ieee_overflow 0
		.amdhsa_exception_fp_ieee_underflow 0
		.amdhsa_exception_fp_ieee_inexact 0
		.amdhsa_exception_int_div_zero 0
	.end_amdhsa_kernel
	.section	.text._ZN7rocprim17ROCPRIM_400000_NS6detail17trampoline_kernelINS0_14default_configENS1_25partition_config_selectorILNS1_17partition_subalgoE0ExNS0_10empty_typeEbEEZZNS1_14partition_implILS5_0ELb0ES3_jN6thrust23THRUST_200600_302600_NS6detail15normal_iteratorINSA_10device_ptrIxEEEEPS6_SG_NS0_5tupleIJSF_SF_EEENSH_IJSG_SG_EEES6_PlJ7is_evenIxEEEE10hipError_tPvRmT3_T4_T5_T6_T7_T9_mT8_P12ihipStream_tbDpT10_ENKUlT_T0_E_clISt17integral_constantIbLb1EES16_EEDaS11_S12_EUlS11_E_NS1_11comp_targetILNS1_3genE8ELNS1_11target_archE1030ELNS1_3gpuE2ELNS1_3repE0EEENS1_30default_config_static_selectorELNS0_4arch9wavefront6targetE1EEEvT1_,"axG",@progbits,_ZN7rocprim17ROCPRIM_400000_NS6detail17trampoline_kernelINS0_14default_configENS1_25partition_config_selectorILNS1_17partition_subalgoE0ExNS0_10empty_typeEbEEZZNS1_14partition_implILS5_0ELb0ES3_jN6thrust23THRUST_200600_302600_NS6detail15normal_iteratorINSA_10device_ptrIxEEEEPS6_SG_NS0_5tupleIJSF_SF_EEENSH_IJSG_SG_EEES6_PlJ7is_evenIxEEEE10hipError_tPvRmT3_T4_T5_T6_T7_T9_mT8_P12ihipStream_tbDpT10_ENKUlT_T0_E_clISt17integral_constantIbLb1EES16_EEDaS11_S12_EUlS11_E_NS1_11comp_targetILNS1_3genE8ELNS1_11target_archE1030ELNS1_3gpuE2ELNS1_3repE0EEENS1_30default_config_static_selectorELNS0_4arch9wavefront6targetE1EEEvT1_,comdat
.Lfunc_end304:
	.size	_ZN7rocprim17ROCPRIM_400000_NS6detail17trampoline_kernelINS0_14default_configENS1_25partition_config_selectorILNS1_17partition_subalgoE0ExNS0_10empty_typeEbEEZZNS1_14partition_implILS5_0ELb0ES3_jN6thrust23THRUST_200600_302600_NS6detail15normal_iteratorINSA_10device_ptrIxEEEEPS6_SG_NS0_5tupleIJSF_SF_EEENSH_IJSG_SG_EEES6_PlJ7is_evenIxEEEE10hipError_tPvRmT3_T4_T5_T6_T7_T9_mT8_P12ihipStream_tbDpT10_ENKUlT_T0_E_clISt17integral_constantIbLb1EES16_EEDaS11_S12_EUlS11_E_NS1_11comp_targetILNS1_3genE8ELNS1_11target_archE1030ELNS1_3gpuE2ELNS1_3repE0EEENS1_30default_config_static_selectorELNS0_4arch9wavefront6targetE1EEEvT1_, .Lfunc_end304-_ZN7rocprim17ROCPRIM_400000_NS6detail17trampoline_kernelINS0_14default_configENS1_25partition_config_selectorILNS1_17partition_subalgoE0ExNS0_10empty_typeEbEEZZNS1_14partition_implILS5_0ELb0ES3_jN6thrust23THRUST_200600_302600_NS6detail15normal_iteratorINSA_10device_ptrIxEEEEPS6_SG_NS0_5tupleIJSF_SF_EEENSH_IJSG_SG_EEES6_PlJ7is_evenIxEEEE10hipError_tPvRmT3_T4_T5_T6_T7_T9_mT8_P12ihipStream_tbDpT10_ENKUlT_T0_E_clISt17integral_constantIbLb1EES16_EEDaS11_S12_EUlS11_E_NS1_11comp_targetILNS1_3genE8ELNS1_11target_archE1030ELNS1_3gpuE2ELNS1_3repE0EEENS1_30default_config_static_selectorELNS0_4arch9wavefront6targetE1EEEvT1_
                                        ; -- End function
	.section	.AMDGPU.csdata,"",@progbits
; Kernel info:
; codeLenInByte = 0
; NumSgprs: 4
; NumVgprs: 0
; NumAgprs: 0
; TotalNumVgprs: 0
; ScratchSize: 0
; MemoryBound: 0
; FloatMode: 240
; IeeeMode: 1
; LDSByteSize: 0 bytes/workgroup (compile time only)
; SGPRBlocks: 0
; VGPRBlocks: 0
; NumSGPRsForWavesPerEU: 4
; NumVGPRsForWavesPerEU: 1
; AccumOffset: 4
; Occupancy: 8
; WaveLimiterHint : 0
; COMPUTE_PGM_RSRC2:SCRATCH_EN: 0
; COMPUTE_PGM_RSRC2:USER_SGPR: 6
; COMPUTE_PGM_RSRC2:TRAP_HANDLER: 0
; COMPUTE_PGM_RSRC2:TGID_X_EN: 1
; COMPUTE_PGM_RSRC2:TGID_Y_EN: 0
; COMPUTE_PGM_RSRC2:TGID_Z_EN: 0
; COMPUTE_PGM_RSRC2:TIDIG_COMP_CNT: 0
; COMPUTE_PGM_RSRC3_GFX90A:ACCUM_OFFSET: 0
; COMPUTE_PGM_RSRC3_GFX90A:TG_SPLIT: 0
	.section	.text._ZN7rocprim17ROCPRIM_400000_NS6detail17trampoline_kernelINS0_14default_configENS1_25partition_config_selectorILNS1_17partition_subalgoE0ExNS0_10empty_typeEbEEZZNS1_14partition_implILS5_0ELb0ES3_jN6thrust23THRUST_200600_302600_NS6detail15normal_iteratorINSA_10device_ptrIxEEEEPS6_SG_NS0_5tupleIJSF_SF_EEENSH_IJSG_SG_EEES6_PlJ7is_evenIxEEEE10hipError_tPvRmT3_T4_T5_T6_T7_T9_mT8_P12ihipStream_tbDpT10_ENKUlT_T0_E_clISt17integral_constantIbLb1EES15_IbLb0EEEEDaS11_S12_EUlS11_E_NS1_11comp_targetILNS1_3genE0ELNS1_11target_archE4294967295ELNS1_3gpuE0ELNS1_3repE0EEENS1_30default_config_static_selectorELNS0_4arch9wavefront6targetE1EEEvT1_,"axG",@progbits,_ZN7rocprim17ROCPRIM_400000_NS6detail17trampoline_kernelINS0_14default_configENS1_25partition_config_selectorILNS1_17partition_subalgoE0ExNS0_10empty_typeEbEEZZNS1_14partition_implILS5_0ELb0ES3_jN6thrust23THRUST_200600_302600_NS6detail15normal_iteratorINSA_10device_ptrIxEEEEPS6_SG_NS0_5tupleIJSF_SF_EEENSH_IJSG_SG_EEES6_PlJ7is_evenIxEEEE10hipError_tPvRmT3_T4_T5_T6_T7_T9_mT8_P12ihipStream_tbDpT10_ENKUlT_T0_E_clISt17integral_constantIbLb1EES15_IbLb0EEEEDaS11_S12_EUlS11_E_NS1_11comp_targetILNS1_3genE0ELNS1_11target_archE4294967295ELNS1_3gpuE0ELNS1_3repE0EEENS1_30default_config_static_selectorELNS0_4arch9wavefront6targetE1EEEvT1_,comdat
	.protected	_ZN7rocprim17ROCPRIM_400000_NS6detail17trampoline_kernelINS0_14default_configENS1_25partition_config_selectorILNS1_17partition_subalgoE0ExNS0_10empty_typeEbEEZZNS1_14partition_implILS5_0ELb0ES3_jN6thrust23THRUST_200600_302600_NS6detail15normal_iteratorINSA_10device_ptrIxEEEEPS6_SG_NS0_5tupleIJSF_SF_EEENSH_IJSG_SG_EEES6_PlJ7is_evenIxEEEE10hipError_tPvRmT3_T4_T5_T6_T7_T9_mT8_P12ihipStream_tbDpT10_ENKUlT_T0_E_clISt17integral_constantIbLb1EES15_IbLb0EEEEDaS11_S12_EUlS11_E_NS1_11comp_targetILNS1_3genE0ELNS1_11target_archE4294967295ELNS1_3gpuE0ELNS1_3repE0EEENS1_30default_config_static_selectorELNS0_4arch9wavefront6targetE1EEEvT1_ ; -- Begin function _ZN7rocprim17ROCPRIM_400000_NS6detail17trampoline_kernelINS0_14default_configENS1_25partition_config_selectorILNS1_17partition_subalgoE0ExNS0_10empty_typeEbEEZZNS1_14partition_implILS5_0ELb0ES3_jN6thrust23THRUST_200600_302600_NS6detail15normal_iteratorINSA_10device_ptrIxEEEEPS6_SG_NS0_5tupleIJSF_SF_EEENSH_IJSG_SG_EEES6_PlJ7is_evenIxEEEE10hipError_tPvRmT3_T4_T5_T6_T7_T9_mT8_P12ihipStream_tbDpT10_ENKUlT_T0_E_clISt17integral_constantIbLb1EES15_IbLb0EEEEDaS11_S12_EUlS11_E_NS1_11comp_targetILNS1_3genE0ELNS1_11target_archE4294967295ELNS1_3gpuE0ELNS1_3repE0EEENS1_30default_config_static_selectorELNS0_4arch9wavefront6targetE1EEEvT1_
	.globl	_ZN7rocprim17ROCPRIM_400000_NS6detail17trampoline_kernelINS0_14default_configENS1_25partition_config_selectorILNS1_17partition_subalgoE0ExNS0_10empty_typeEbEEZZNS1_14partition_implILS5_0ELb0ES3_jN6thrust23THRUST_200600_302600_NS6detail15normal_iteratorINSA_10device_ptrIxEEEEPS6_SG_NS0_5tupleIJSF_SF_EEENSH_IJSG_SG_EEES6_PlJ7is_evenIxEEEE10hipError_tPvRmT3_T4_T5_T6_T7_T9_mT8_P12ihipStream_tbDpT10_ENKUlT_T0_E_clISt17integral_constantIbLb1EES15_IbLb0EEEEDaS11_S12_EUlS11_E_NS1_11comp_targetILNS1_3genE0ELNS1_11target_archE4294967295ELNS1_3gpuE0ELNS1_3repE0EEENS1_30default_config_static_selectorELNS0_4arch9wavefront6targetE1EEEvT1_
	.p2align	8
	.type	_ZN7rocprim17ROCPRIM_400000_NS6detail17trampoline_kernelINS0_14default_configENS1_25partition_config_selectorILNS1_17partition_subalgoE0ExNS0_10empty_typeEbEEZZNS1_14partition_implILS5_0ELb0ES3_jN6thrust23THRUST_200600_302600_NS6detail15normal_iteratorINSA_10device_ptrIxEEEEPS6_SG_NS0_5tupleIJSF_SF_EEENSH_IJSG_SG_EEES6_PlJ7is_evenIxEEEE10hipError_tPvRmT3_T4_T5_T6_T7_T9_mT8_P12ihipStream_tbDpT10_ENKUlT_T0_E_clISt17integral_constantIbLb1EES15_IbLb0EEEEDaS11_S12_EUlS11_E_NS1_11comp_targetILNS1_3genE0ELNS1_11target_archE4294967295ELNS1_3gpuE0ELNS1_3repE0EEENS1_30default_config_static_selectorELNS0_4arch9wavefront6targetE1EEEvT1_,@function
_ZN7rocprim17ROCPRIM_400000_NS6detail17trampoline_kernelINS0_14default_configENS1_25partition_config_selectorILNS1_17partition_subalgoE0ExNS0_10empty_typeEbEEZZNS1_14partition_implILS5_0ELb0ES3_jN6thrust23THRUST_200600_302600_NS6detail15normal_iteratorINSA_10device_ptrIxEEEEPS6_SG_NS0_5tupleIJSF_SF_EEENSH_IJSG_SG_EEES6_PlJ7is_evenIxEEEE10hipError_tPvRmT3_T4_T5_T6_T7_T9_mT8_P12ihipStream_tbDpT10_ENKUlT_T0_E_clISt17integral_constantIbLb1EES15_IbLb0EEEEDaS11_S12_EUlS11_E_NS1_11comp_targetILNS1_3genE0ELNS1_11target_archE4294967295ELNS1_3gpuE0ELNS1_3repE0EEENS1_30default_config_static_selectorELNS0_4arch9wavefront6targetE1EEEvT1_: ; @_ZN7rocprim17ROCPRIM_400000_NS6detail17trampoline_kernelINS0_14default_configENS1_25partition_config_selectorILNS1_17partition_subalgoE0ExNS0_10empty_typeEbEEZZNS1_14partition_implILS5_0ELb0ES3_jN6thrust23THRUST_200600_302600_NS6detail15normal_iteratorINSA_10device_ptrIxEEEEPS6_SG_NS0_5tupleIJSF_SF_EEENSH_IJSG_SG_EEES6_PlJ7is_evenIxEEEE10hipError_tPvRmT3_T4_T5_T6_T7_T9_mT8_P12ihipStream_tbDpT10_ENKUlT_T0_E_clISt17integral_constantIbLb1EES15_IbLb0EEEEDaS11_S12_EUlS11_E_NS1_11comp_targetILNS1_3genE0ELNS1_11target_archE4294967295ELNS1_3gpuE0ELNS1_3repE0EEENS1_30default_config_static_selectorELNS0_4arch9wavefront6targetE1EEEvT1_
; %bb.0:
	.section	.rodata,"a",@progbits
	.p2align	6, 0x0
	.amdhsa_kernel _ZN7rocprim17ROCPRIM_400000_NS6detail17trampoline_kernelINS0_14default_configENS1_25partition_config_selectorILNS1_17partition_subalgoE0ExNS0_10empty_typeEbEEZZNS1_14partition_implILS5_0ELb0ES3_jN6thrust23THRUST_200600_302600_NS6detail15normal_iteratorINSA_10device_ptrIxEEEEPS6_SG_NS0_5tupleIJSF_SF_EEENSH_IJSG_SG_EEES6_PlJ7is_evenIxEEEE10hipError_tPvRmT3_T4_T5_T6_T7_T9_mT8_P12ihipStream_tbDpT10_ENKUlT_T0_E_clISt17integral_constantIbLb1EES15_IbLb0EEEEDaS11_S12_EUlS11_E_NS1_11comp_targetILNS1_3genE0ELNS1_11target_archE4294967295ELNS1_3gpuE0ELNS1_3repE0EEENS1_30default_config_static_selectorELNS0_4arch9wavefront6targetE1EEEvT1_
		.amdhsa_group_segment_fixed_size 0
		.amdhsa_private_segment_fixed_size 0
		.amdhsa_kernarg_size 120
		.amdhsa_user_sgpr_count 6
		.amdhsa_user_sgpr_private_segment_buffer 1
		.amdhsa_user_sgpr_dispatch_ptr 0
		.amdhsa_user_sgpr_queue_ptr 0
		.amdhsa_user_sgpr_kernarg_segment_ptr 1
		.amdhsa_user_sgpr_dispatch_id 0
		.amdhsa_user_sgpr_flat_scratch_init 0
		.amdhsa_user_sgpr_kernarg_preload_length 0
		.amdhsa_user_sgpr_kernarg_preload_offset 0
		.amdhsa_user_sgpr_private_segment_size 0
		.amdhsa_uses_dynamic_stack 0
		.amdhsa_system_sgpr_private_segment_wavefront_offset 0
		.amdhsa_system_sgpr_workgroup_id_x 1
		.amdhsa_system_sgpr_workgroup_id_y 0
		.amdhsa_system_sgpr_workgroup_id_z 0
		.amdhsa_system_sgpr_workgroup_info 0
		.amdhsa_system_vgpr_workitem_id 0
		.amdhsa_next_free_vgpr 1
		.amdhsa_next_free_sgpr 0
		.amdhsa_accum_offset 4
		.amdhsa_reserve_vcc 0
		.amdhsa_reserve_flat_scratch 0
		.amdhsa_float_round_mode_32 0
		.amdhsa_float_round_mode_16_64 0
		.amdhsa_float_denorm_mode_32 3
		.amdhsa_float_denorm_mode_16_64 3
		.amdhsa_dx10_clamp 1
		.amdhsa_ieee_mode 1
		.amdhsa_fp16_overflow 0
		.amdhsa_tg_split 0
		.amdhsa_exception_fp_ieee_invalid_op 0
		.amdhsa_exception_fp_denorm_src 0
		.amdhsa_exception_fp_ieee_div_zero 0
		.amdhsa_exception_fp_ieee_overflow 0
		.amdhsa_exception_fp_ieee_underflow 0
		.amdhsa_exception_fp_ieee_inexact 0
		.amdhsa_exception_int_div_zero 0
	.end_amdhsa_kernel
	.section	.text._ZN7rocprim17ROCPRIM_400000_NS6detail17trampoline_kernelINS0_14default_configENS1_25partition_config_selectorILNS1_17partition_subalgoE0ExNS0_10empty_typeEbEEZZNS1_14partition_implILS5_0ELb0ES3_jN6thrust23THRUST_200600_302600_NS6detail15normal_iteratorINSA_10device_ptrIxEEEEPS6_SG_NS0_5tupleIJSF_SF_EEENSH_IJSG_SG_EEES6_PlJ7is_evenIxEEEE10hipError_tPvRmT3_T4_T5_T6_T7_T9_mT8_P12ihipStream_tbDpT10_ENKUlT_T0_E_clISt17integral_constantIbLb1EES15_IbLb0EEEEDaS11_S12_EUlS11_E_NS1_11comp_targetILNS1_3genE0ELNS1_11target_archE4294967295ELNS1_3gpuE0ELNS1_3repE0EEENS1_30default_config_static_selectorELNS0_4arch9wavefront6targetE1EEEvT1_,"axG",@progbits,_ZN7rocprim17ROCPRIM_400000_NS6detail17trampoline_kernelINS0_14default_configENS1_25partition_config_selectorILNS1_17partition_subalgoE0ExNS0_10empty_typeEbEEZZNS1_14partition_implILS5_0ELb0ES3_jN6thrust23THRUST_200600_302600_NS6detail15normal_iteratorINSA_10device_ptrIxEEEEPS6_SG_NS0_5tupleIJSF_SF_EEENSH_IJSG_SG_EEES6_PlJ7is_evenIxEEEE10hipError_tPvRmT3_T4_T5_T6_T7_T9_mT8_P12ihipStream_tbDpT10_ENKUlT_T0_E_clISt17integral_constantIbLb1EES15_IbLb0EEEEDaS11_S12_EUlS11_E_NS1_11comp_targetILNS1_3genE0ELNS1_11target_archE4294967295ELNS1_3gpuE0ELNS1_3repE0EEENS1_30default_config_static_selectorELNS0_4arch9wavefront6targetE1EEEvT1_,comdat
.Lfunc_end305:
	.size	_ZN7rocprim17ROCPRIM_400000_NS6detail17trampoline_kernelINS0_14default_configENS1_25partition_config_selectorILNS1_17partition_subalgoE0ExNS0_10empty_typeEbEEZZNS1_14partition_implILS5_0ELb0ES3_jN6thrust23THRUST_200600_302600_NS6detail15normal_iteratorINSA_10device_ptrIxEEEEPS6_SG_NS0_5tupleIJSF_SF_EEENSH_IJSG_SG_EEES6_PlJ7is_evenIxEEEE10hipError_tPvRmT3_T4_T5_T6_T7_T9_mT8_P12ihipStream_tbDpT10_ENKUlT_T0_E_clISt17integral_constantIbLb1EES15_IbLb0EEEEDaS11_S12_EUlS11_E_NS1_11comp_targetILNS1_3genE0ELNS1_11target_archE4294967295ELNS1_3gpuE0ELNS1_3repE0EEENS1_30default_config_static_selectorELNS0_4arch9wavefront6targetE1EEEvT1_, .Lfunc_end305-_ZN7rocprim17ROCPRIM_400000_NS6detail17trampoline_kernelINS0_14default_configENS1_25partition_config_selectorILNS1_17partition_subalgoE0ExNS0_10empty_typeEbEEZZNS1_14partition_implILS5_0ELb0ES3_jN6thrust23THRUST_200600_302600_NS6detail15normal_iteratorINSA_10device_ptrIxEEEEPS6_SG_NS0_5tupleIJSF_SF_EEENSH_IJSG_SG_EEES6_PlJ7is_evenIxEEEE10hipError_tPvRmT3_T4_T5_T6_T7_T9_mT8_P12ihipStream_tbDpT10_ENKUlT_T0_E_clISt17integral_constantIbLb1EES15_IbLb0EEEEDaS11_S12_EUlS11_E_NS1_11comp_targetILNS1_3genE0ELNS1_11target_archE4294967295ELNS1_3gpuE0ELNS1_3repE0EEENS1_30default_config_static_selectorELNS0_4arch9wavefront6targetE1EEEvT1_
                                        ; -- End function
	.section	.AMDGPU.csdata,"",@progbits
; Kernel info:
; codeLenInByte = 0
; NumSgprs: 4
; NumVgprs: 0
; NumAgprs: 0
; TotalNumVgprs: 0
; ScratchSize: 0
; MemoryBound: 0
; FloatMode: 240
; IeeeMode: 1
; LDSByteSize: 0 bytes/workgroup (compile time only)
; SGPRBlocks: 0
; VGPRBlocks: 0
; NumSGPRsForWavesPerEU: 4
; NumVGPRsForWavesPerEU: 1
; AccumOffset: 4
; Occupancy: 8
; WaveLimiterHint : 0
; COMPUTE_PGM_RSRC2:SCRATCH_EN: 0
; COMPUTE_PGM_RSRC2:USER_SGPR: 6
; COMPUTE_PGM_RSRC2:TRAP_HANDLER: 0
; COMPUTE_PGM_RSRC2:TGID_X_EN: 1
; COMPUTE_PGM_RSRC2:TGID_Y_EN: 0
; COMPUTE_PGM_RSRC2:TGID_Z_EN: 0
; COMPUTE_PGM_RSRC2:TIDIG_COMP_CNT: 0
; COMPUTE_PGM_RSRC3_GFX90A:ACCUM_OFFSET: 0
; COMPUTE_PGM_RSRC3_GFX90A:TG_SPLIT: 0
	.section	.text._ZN7rocprim17ROCPRIM_400000_NS6detail17trampoline_kernelINS0_14default_configENS1_25partition_config_selectorILNS1_17partition_subalgoE0ExNS0_10empty_typeEbEEZZNS1_14partition_implILS5_0ELb0ES3_jN6thrust23THRUST_200600_302600_NS6detail15normal_iteratorINSA_10device_ptrIxEEEEPS6_SG_NS0_5tupleIJSF_SF_EEENSH_IJSG_SG_EEES6_PlJ7is_evenIxEEEE10hipError_tPvRmT3_T4_T5_T6_T7_T9_mT8_P12ihipStream_tbDpT10_ENKUlT_T0_E_clISt17integral_constantIbLb1EES15_IbLb0EEEEDaS11_S12_EUlS11_E_NS1_11comp_targetILNS1_3genE5ELNS1_11target_archE942ELNS1_3gpuE9ELNS1_3repE0EEENS1_30default_config_static_selectorELNS0_4arch9wavefront6targetE1EEEvT1_,"axG",@progbits,_ZN7rocprim17ROCPRIM_400000_NS6detail17trampoline_kernelINS0_14default_configENS1_25partition_config_selectorILNS1_17partition_subalgoE0ExNS0_10empty_typeEbEEZZNS1_14partition_implILS5_0ELb0ES3_jN6thrust23THRUST_200600_302600_NS6detail15normal_iteratorINSA_10device_ptrIxEEEEPS6_SG_NS0_5tupleIJSF_SF_EEENSH_IJSG_SG_EEES6_PlJ7is_evenIxEEEE10hipError_tPvRmT3_T4_T5_T6_T7_T9_mT8_P12ihipStream_tbDpT10_ENKUlT_T0_E_clISt17integral_constantIbLb1EES15_IbLb0EEEEDaS11_S12_EUlS11_E_NS1_11comp_targetILNS1_3genE5ELNS1_11target_archE942ELNS1_3gpuE9ELNS1_3repE0EEENS1_30default_config_static_selectorELNS0_4arch9wavefront6targetE1EEEvT1_,comdat
	.protected	_ZN7rocprim17ROCPRIM_400000_NS6detail17trampoline_kernelINS0_14default_configENS1_25partition_config_selectorILNS1_17partition_subalgoE0ExNS0_10empty_typeEbEEZZNS1_14partition_implILS5_0ELb0ES3_jN6thrust23THRUST_200600_302600_NS6detail15normal_iteratorINSA_10device_ptrIxEEEEPS6_SG_NS0_5tupleIJSF_SF_EEENSH_IJSG_SG_EEES6_PlJ7is_evenIxEEEE10hipError_tPvRmT3_T4_T5_T6_T7_T9_mT8_P12ihipStream_tbDpT10_ENKUlT_T0_E_clISt17integral_constantIbLb1EES15_IbLb0EEEEDaS11_S12_EUlS11_E_NS1_11comp_targetILNS1_3genE5ELNS1_11target_archE942ELNS1_3gpuE9ELNS1_3repE0EEENS1_30default_config_static_selectorELNS0_4arch9wavefront6targetE1EEEvT1_ ; -- Begin function _ZN7rocprim17ROCPRIM_400000_NS6detail17trampoline_kernelINS0_14default_configENS1_25partition_config_selectorILNS1_17partition_subalgoE0ExNS0_10empty_typeEbEEZZNS1_14partition_implILS5_0ELb0ES3_jN6thrust23THRUST_200600_302600_NS6detail15normal_iteratorINSA_10device_ptrIxEEEEPS6_SG_NS0_5tupleIJSF_SF_EEENSH_IJSG_SG_EEES6_PlJ7is_evenIxEEEE10hipError_tPvRmT3_T4_T5_T6_T7_T9_mT8_P12ihipStream_tbDpT10_ENKUlT_T0_E_clISt17integral_constantIbLb1EES15_IbLb0EEEEDaS11_S12_EUlS11_E_NS1_11comp_targetILNS1_3genE5ELNS1_11target_archE942ELNS1_3gpuE9ELNS1_3repE0EEENS1_30default_config_static_selectorELNS0_4arch9wavefront6targetE1EEEvT1_
	.globl	_ZN7rocprim17ROCPRIM_400000_NS6detail17trampoline_kernelINS0_14default_configENS1_25partition_config_selectorILNS1_17partition_subalgoE0ExNS0_10empty_typeEbEEZZNS1_14partition_implILS5_0ELb0ES3_jN6thrust23THRUST_200600_302600_NS6detail15normal_iteratorINSA_10device_ptrIxEEEEPS6_SG_NS0_5tupleIJSF_SF_EEENSH_IJSG_SG_EEES6_PlJ7is_evenIxEEEE10hipError_tPvRmT3_T4_T5_T6_T7_T9_mT8_P12ihipStream_tbDpT10_ENKUlT_T0_E_clISt17integral_constantIbLb1EES15_IbLb0EEEEDaS11_S12_EUlS11_E_NS1_11comp_targetILNS1_3genE5ELNS1_11target_archE942ELNS1_3gpuE9ELNS1_3repE0EEENS1_30default_config_static_selectorELNS0_4arch9wavefront6targetE1EEEvT1_
	.p2align	8
	.type	_ZN7rocprim17ROCPRIM_400000_NS6detail17trampoline_kernelINS0_14default_configENS1_25partition_config_selectorILNS1_17partition_subalgoE0ExNS0_10empty_typeEbEEZZNS1_14partition_implILS5_0ELb0ES3_jN6thrust23THRUST_200600_302600_NS6detail15normal_iteratorINSA_10device_ptrIxEEEEPS6_SG_NS0_5tupleIJSF_SF_EEENSH_IJSG_SG_EEES6_PlJ7is_evenIxEEEE10hipError_tPvRmT3_T4_T5_T6_T7_T9_mT8_P12ihipStream_tbDpT10_ENKUlT_T0_E_clISt17integral_constantIbLb1EES15_IbLb0EEEEDaS11_S12_EUlS11_E_NS1_11comp_targetILNS1_3genE5ELNS1_11target_archE942ELNS1_3gpuE9ELNS1_3repE0EEENS1_30default_config_static_selectorELNS0_4arch9wavefront6targetE1EEEvT1_,@function
_ZN7rocprim17ROCPRIM_400000_NS6detail17trampoline_kernelINS0_14default_configENS1_25partition_config_selectorILNS1_17partition_subalgoE0ExNS0_10empty_typeEbEEZZNS1_14partition_implILS5_0ELb0ES3_jN6thrust23THRUST_200600_302600_NS6detail15normal_iteratorINSA_10device_ptrIxEEEEPS6_SG_NS0_5tupleIJSF_SF_EEENSH_IJSG_SG_EEES6_PlJ7is_evenIxEEEE10hipError_tPvRmT3_T4_T5_T6_T7_T9_mT8_P12ihipStream_tbDpT10_ENKUlT_T0_E_clISt17integral_constantIbLb1EES15_IbLb0EEEEDaS11_S12_EUlS11_E_NS1_11comp_targetILNS1_3genE5ELNS1_11target_archE942ELNS1_3gpuE9ELNS1_3repE0EEENS1_30default_config_static_selectorELNS0_4arch9wavefront6targetE1EEEvT1_: ; @_ZN7rocprim17ROCPRIM_400000_NS6detail17trampoline_kernelINS0_14default_configENS1_25partition_config_selectorILNS1_17partition_subalgoE0ExNS0_10empty_typeEbEEZZNS1_14partition_implILS5_0ELb0ES3_jN6thrust23THRUST_200600_302600_NS6detail15normal_iteratorINSA_10device_ptrIxEEEEPS6_SG_NS0_5tupleIJSF_SF_EEENSH_IJSG_SG_EEES6_PlJ7is_evenIxEEEE10hipError_tPvRmT3_T4_T5_T6_T7_T9_mT8_P12ihipStream_tbDpT10_ENKUlT_T0_E_clISt17integral_constantIbLb1EES15_IbLb0EEEEDaS11_S12_EUlS11_E_NS1_11comp_targetILNS1_3genE5ELNS1_11target_archE942ELNS1_3gpuE9ELNS1_3repE0EEENS1_30default_config_static_selectorELNS0_4arch9wavefront6targetE1EEEvT1_
; %bb.0:
	.section	.rodata,"a",@progbits
	.p2align	6, 0x0
	.amdhsa_kernel _ZN7rocprim17ROCPRIM_400000_NS6detail17trampoline_kernelINS0_14default_configENS1_25partition_config_selectorILNS1_17partition_subalgoE0ExNS0_10empty_typeEbEEZZNS1_14partition_implILS5_0ELb0ES3_jN6thrust23THRUST_200600_302600_NS6detail15normal_iteratorINSA_10device_ptrIxEEEEPS6_SG_NS0_5tupleIJSF_SF_EEENSH_IJSG_SG_EEES6_PlJ7is_evenIxEEEE10hipError_tPvRmT3_T4_T5_T6_T7_T9_mT8_P12ihipStream_tbDpT10_ENKUlT_T0_E_clISt17integral_constantIbLb1EES15_IbLb0EEEEDaS11_S12_EUlS11_E_NS1_11comp_targetILNS1_3genE5ELNS1_11target_archE942ELNS1_3gpuE9ELNS1_3repE0EEENS1_30default_config_static_selectorELNS0_4arch9wavefront6targetE1EEEvT1_
		.amdhsa_group_segment_fixed_size 0
		.amdhsa_private_segment_fixed_size 0
		.amdhsa_kernarg_size 120
		.amdhsa_user_sgpr_count 6
		.amdhsa_user_sgpr_private_segment_buffer 1
		.amdhsa_user_sgpr_dispatch_ptr 0
		.amdhsa_user_sgpr_queue_ptr 0
		.amdhsa_user_sgpr_kernarg_segment_ptr 1
		.amdhsa_user_sgpr_dispatch_id 0
		.amdhsa_user_sgpr_flat_scratch_init 0
		.amdhsa_user_sgpr_kernarg_preload_length 0
		.amdhsa_user_sgpr_kernarg_preload_offset 0
		.amdhsa_user_sgpr_private_segment_size 0
		.amdhsa_uses_dynamic_stack 0
		.amdhsa_system_sgpr_private_segment_wavefront_offset 0
		.amdhsa_system_sgpr_workgroup_id_x 1
		.amdhsa_system_sgpr_workgroup_id_y 0
		.amdhsa_system_sgpr_workgroup_id_z 0
		.amdhsa_system_sgpr_workgroup_info 0
		.amdhsa_system_vgpr_workitem_id 0
		.amdhsa_next_free_vgpr 1
		.amdhsa_next_free_sgpr 0
		.amdhsa_accum_offset 4
		.amdhsa_reserve_vcc 0
		.amdhsa_reserve_flat_scratch 0
		.amdhsa_float_round_mode_32 0
		.amdhsa_float_round_mode_16_64 0
		.amdhsa_float_denorm_mode_32 3
		.amdhsa_float_denorm_mode_16_64 3
		.amdhsa_dx10_clamp 1
		.amdhsa_ieee_mode 1
		.amdhsa_fp16_overflow 0
		.amdhsa_tg_split 0
		.amdhsa_exception_fp_ieee_invalid_op 0
		.amdhsa_exception_fp_denorm_src 0
		.amdhsa_exception_fp_ieee_div_zero 0
		.amdhsa_exception_fp_ieee_overflow 0
		.amdhsa_exception_fp_ieee_underflow 0
		.amdhsa_exception_fp_ieee_inexact 0
		.amdhsa_exception_int_div_zero 0
	.end_amdhsa_kernel
	.section	.text._ZN7rocprim17ROCPRIM_400000_NS6detail17trampoline_kernelINS0_14default_configENS1_25partition_config_selectorILNS1_17partition_subalgoE0ExNS0_10empty_typeEbEEZZNS1_14partition_implILS5_0ELb0ES3_jN6thrust23THRUST_200600_302600_NS6detail15normal_iteratorINSA_10device_ptrIxEEEEPS6_SG_NS0_5tupleIJSF_SF_EEENSH_IJSG_SG_EEES6_PlJ7is_evenIxEEEE10hipError_tPvRmT3_T4_T5_T6_T7_T9_mT8_P12ihipStream_tbDpT10_ENKUlT_T0_E_clISt17integral_constantIbLb1EES15_IbLb0EEEEDaS11_S12_EUlS11_E_NS1_11comp_targetILNS1_3genE5ELNS1_11target_archE942ELNS1_3gpuE9ELNS1_3repE0EEENS1_30default_config_static_selectorELNS0_4arch9wavefront6targetE1EEEvT1_,"axG",@progbits,_ZN7rocprim17ROCPRIM_400000_NS6detail17trampoline_kernelINS0_14default_configENS1_25partition_config_selectorILNS1_17partition_subalgoE0ExNS0_10empty_typeEbEEZZNS1_14partition_implILS5_0ELb0ES3_jN6thrust23THRUST_200600_302600_NS6detail15normal_iteratorINSA_10device_ptrIxEEEEPS6_SG_NS0_5tupleIJSF_SF_EEENSH_IJSG_SG_EEES6_PlJ7is_evenIxEEEE10hipError_tPvRmT3_T4_T5_T6_T7_T9_mT8_P12ihipStream_tbDpT10_ENKUlT_T0_E_clISt17integral_constantIbLb1EES15_IbLb0EEEEDaS11_S12_EUlS11_E_NS1_11comp_targetILNS1_3genE5ELNS1_11target_archE942ELNS1_3gpuE9ELNS1_3repE0EEENS1_30default_config_static_selectorELNS0_4arch9wavefront6targetE1EEEvT1_,comdat
.Lfunc_end306:
	.size	_ZN7rocprim17ROCPRIM_400000_NS6detail17trampoline_kernelINS0_14default_configENS1_25partition_config_selectorILNS1_17partition_subalgoE0ExNS0_10empty_typeEbEEZZNS1_14partition_implILS5_0ELb0ES3_jN6thrust23THRUST_200600_302600_NS6detail15normal_iteratorINSA_10device_ptrIxEEEEPS6_SG_NS0_5tupleIJSF_SF_EEENSH_IJSG_SG_EEES6_PlJ7is_evenIxEEEE10hipError_tPvRmT3_T4_T5_T6_T7_T9_mT8_P12ihipStream_tbDpT10_ENKUlT_T0_E_clISt17integral_constantIbLb1EES15_IbLb0EEEEDaS11_S12_EUlS11_E_NS1_11comp_targetILNS1_3genE5ELNS1_11target_archE942ELNS1_3gpuE9ELNS1_3repE0EEENS1_30default_config_static_selectorELNS0_4arch9wavefront6targetE1EEEvT1_, .Lfunc_end306-_ZN7rocprim17ROCPRIM_400000_NS6detail17trampoline_kernelINS0_14default_configENS1_25partition_config_selectorILNS1_17partition_subalgoE0ExNS0_10empty_typeEbEEZZNS1_14partition_implILS5_0ELb0ES3_jN6thrust23THRUST_200600_302600_NS6detail15normal_iteratorINSA_10device_ptrIxEEEEPS6_SG_NS0_5tupleIJSF_SF_EEENSH_IJSG_SG_EEES6_PlJ7is_evenIxEEEE10hipError_tPvRmT3_T4_T5_T6_T7_T9_mT8_P12ihipStream_tbDpT10_ENKUlT_T0_E_clISt17integral_constantIbLb1EES15_IbLb0EEEEDaS11_S12_EUlS11_E_NS1_11comp_targetILNS1_3genE5ELNS1_11target_archE942ELNS1_3gpuE9ELNS1_3repE0EEENS1_30default_config_static_selectorELNS0_4arch9wavefront6targetE1EEEvT1_
                                        ; -- End function
	.section	.AMDGPU.csdata,"",@progbits
; Kernel info:
; codeLenInByte = 0
; NumSgprs: 4
; NumVgprs: 0
; NumAgprs: 0
; TotalNumVgprs: 0
; ScratchSize: 0
; MemoryBound: 0
; FloatMode: 240
; IeeeMode: 1
; LDSByteSize: 0 bytes/workgroup (compile time only)
; SGPRBlocks: 0
; VGPRBlocks: 0
; NumSGPRsForWavesPerEU: 4
; NumVGPRsForWavesPerEU: 1
; AccumOffset: 4
; Occupancy: 8
; WaveLimiterHint : 0
; COMPUTE_PGM_RSRC2:SCRATCH_EN: 0
; COMPUTE_PGM_RSRC2:USER_SGPR: 6
; COMPUTE_PGM_RSRC2:TRAP_HANDLER: 0
; COMPUTE_PGM_RSRC2:TGID_X_EN: 1
; COMPUTE_PGM_RSRC2:TGID_Y_EN: 0
; COMPUTE_PGM_RSRC2:TGID_Z_EN: 0
; COMPUTE_PGM_RSRC2:TIDIG_COMP_CNT: 0
; COMPUTE_PGM_RSRC3_GFX90A:ACCUM_OFFSET: 0
; COMPUTE_PGM_RSRC3_GFX90A:TG_SPLIT: 0
	.section	.text._ZN7rocprim17ROCPRIM_400000_NS6detail17trampoline_kernelINS0_14default_configENS1_25partition_config_selectorILNS1_17partition_subalgoE0ExNS0_10empty_typeEbEEZZNS1_14partition_implILS5_0ELb0ES3_jN6thrust23THRUST_200600_302600_NS6detail15normal_iteratorINSA_10device_ptrIxEEEEPS6_SG_NS0_5tupleIJSF_SF_EEENSH_IJSG_SG_EEES6_PlJ7is_evenIxEEEE10hipError_tPvRmT3_T4_T5_T6_T7_T9_mT8_P12ihipStream_tbDpT10_ENKUlT_T0_E_clISt17integral_constantIbLb1EES15_IbLb0EEEEDaS11_S12_EUlS11_E_NS1_11comp_targetILNS1_3genE4ELNS1_11target_archE910ELNS1_3gpuE8ELNS1_3repE0EEENS1_30default_config_static_selectorELNS0_4arch9wavefront6targetE1EEEvT1_,"axG",@progbits,_ZN7rocprim17ROCPRIM_400000_NS6detail17trampoline_kernelINS0_14default_configENS1_25partition_config_selectorILNS1_17partition_subalgoE0ExNS0_10empty_typeEbEEZZNS1_14partition_implILS5_0ELb0ES3_jN6thrust23THRUST_200600_302600_NS6detail15normal_iteratorINSA_10device_ptrIxEEEEPS6_SG_NS0_5tupleIJSF_SF_EEENSH_IJSG_SG_EEES6_PlJ7is_evenIxEEEE10hipError_tPvRmT3_T4_T5_T6_T7_T9_mT8_P12ihipStream_tbDpT10_ENKUlT_T0_E_clISt17integral_constantIbLb1EES15_IbLb0EEEEDaS11_S12_EUlS11_E_NS1_11comp_targetILNS1_3genE4ELNS1_11target_archE910ELNS1_3gpuE8ELNS1_3repE0EEENS1_30default_config_static_selectorELNS0_4arch9wavefront6targetE1EEEvT1_,comdat
	.protected	_ZN7rocprim17ROCPRIM_400000_NS6detail17trampoline_kernelINS0_14default_configENS1_25partition_config_selectorILNS1_17partition_subalgoE0ExNS0_10empty_typeEbEEZZNS1_14partition_implILS5_0ELb0ES3_jN6thrust23THRUST_200600_302600_NS6detail15normal_iteratorINSA_10device_ptrIxEEEEPS6_SG_NS0_5tupleIJSF_SF_EEENSH_IJSG_SG_EEES6_PlJ7is_evenIxEEEE10hipError_tPvRmT3_T4_T5_T6_T7_T9_mT8_P12ihipStream_tbDpT10_ENKUlT_T0_E_clISt17integral_constantIbLb1EES15_IbLb0EEEEDaS11_S12_EUlS11_E_NS1_11comp_targetILNS1_3genE4ELNS1_11target_archE910ELNS1_3gpuE8ELNS1_3repE0EEENS1_30default_config_static_selectorELNS0_4arch9wavefront6targetE1EEEvT1_ ; -- Begin function _ZN7rocprim17ROCPRIM_400000_NS6detail17trampoline_kernelINS0_14default_configENS1_25partition_config_selectorILNS1_17partition_subalgoE0ExNS0_10empty_typeEbEEZZNS1_14partition_implILS5_0ELb0ES3_jN6thrust23THRUST_200600_302600_NS6detail15normal_iteratorINSA_10device_ptrIxEEEEPS6_SG_NS0_5tupleIJSF_SF_EEENSH_IJSG_SG_EEES6_PlJ7is_evenIxEEEE10hipError_tPvRmT3_T4_T5_T6_T7_T9_mT8_P12ihipStream_tbDpT10_ENKUlT_T0_E_clISt17integral_constantIbLb1EES15_IbLb0EEEEDaS11_S12_EUlS11_E_NS1_11comp_targetILNS1_3genE4ELNS1_11target_archE910ELNS1_3gpuE8ELNS1_3repE0EEENS1_30default_config_static_selectorELNS0_4arch9wavefront6targetE1EEEvT1_
	.globl	_ZN7rocprim17ROCPRIM_400000_NS6detail17trampoline_kernelINS0_14default_configENS1_25partition_config_selectorILNS1_17partition_subalgoE0ExNS0_10empty_typeEbEEZZNS1_14partition_implILS5_0ELb0ES3_jN6thrust23THRUST_200600_302600_NS6detail15normal_iteratorINSA_10device_ptrIxEEEEPS6_SG_NS0_5tupleIJSF_SF_EEENSH_IJSG_SG_EEES6_PlJ7is_evenIxEEEE10hipError_tPvRmT3_T4_T5_T6_T7_T9_mT8_P12ihipStream_tbDpT10_ENKUlT_T0_E_clISt17integral_constantIbLb1EES15_IbLb0EEEEDaS11_S12_EUlS11_E_NS1_11comp_targetILNS1_3genE4ELNS1_11target_archE910ELNS1_3gpuE8ELNS1_3repE0EEENS1_30default_config_static_selectorELNS0_4arch9wavefront6targetE1EEEvT1_
	.p2align	8
	.type	_ZN7rocprim17ROCPRIM_400000_NS6detail17trampoline_kernelINS0_14default_configENS1_25partition_config_selectorILNS1_17partition_subalgoE0ExNS0_10empty_typeEbEEZZNS1_14partition_implILS5_0ELb0ES3_jN6thrust23THRUST_200600_302600_NS6detail15normal_iteratorINSA_10device_ptrIxEEEEPS6_SG_NS0_5tupleIJSF_SF_EEENSH_IJSG_SG_EEES6_PlJ7is_evenIxEEEE10hipError_tPvRmT3_T4_T5_T6_T7_T9_mT8_P12ihipStream_tbDpT10_ENKUlT_T0_E_clISt17integral_constantIbLb1EES15_IbLb0EEEEDaS11_S12_EUlS11_E_NS1_11comp_targetILNS1_3genE4ELNS1_11target_archE910ELNS1_3gpuE8ELNS1_3repE0EEENS1_30default_config_static_selectorELNS0_4arch9wavefront6targetE1EEEvT1_,@function
_ZN7rocprim17ROCPRIM_400000_NS6detail17trampoline_kernelINS0_14default_configENS1_25partition_config_selectorILNS1_17partition_subalgoE0ExNS0_10empty_typeEbEEZZNS1_14partition_implILS5_0ELb0ES3_jN6thrust23THRUST_200600_302600_NS6detail15normal_iteratorINSA_10device_ptrIxEEEEPS6_SG_NS0_5tupleIJSF_SF_EEENSH_IJSG_SG_EEES6_PlJ7is_evenIxEEEE10hipError_tPvRmT3_T4_T5_T6_T7_T9_mT8_P12ihipStream_tbDpT10_ENKUlT_T0_E_clISt17integral_constantIbLb1EES15_IbLb0EEEEDaS11_S12_EUlS11_E_NS1_11comp_targetILNS1_3genE4ELNS1_11target_archE910ELNS1_3gpuE8ELNS1_3repE0EEENS1_30default_config_static_selectorELNS0_4arch9wavefront6targetE1EEEvT1_: ; @_ZN7rocprim17ROCPRIM_400000_NS6detail17trampoline_kernelINS0_14default_configENS1_25partition_config_selectorILNS1_17partition_subalgoE0ExNS0_10empty_typeEbEEZZNS1_14partition_implILS5_0ELb0ES3_jN6thrust23THRUST_200600_302600_NS6detail15normal_iteratorINSA_10device_ptrIxEEEEPS6_SG_NS0_5tupleIJSF_SF_EEENSH_IJSG_SG_EEES6_PlJ7is_evenIxEEEE10hipError_tPvRmT3_T4_T5_T6_T7_T9_mT8_P12ihipStream_tbDpT10_ENKUlT_T0_E_clISt17integral_constantIbLb1EES15_IbLb0EEEEDaS11_S12_EUlS11_E_NS1_11comp_targetILNS1_3genE4ELNS1_11target_archE910ELNS1_3gpuE8ELNS1_3repE0EEENS1_30default_config_static_selectorELNS0_4arch9wavefront6targetE1EEEvT1_
; %bb.0:
	s_load_dwordx2 s[0:1], s[4:5], 0x58
	s_load_dwordx4 s[20:23], s[4:5], 0x8
	s_load_dwordx4 s[24:27], s[4:5], 0x48
	s_load_dword s7, s[4:5], 0x70
	s_mul_i32 s8, s6, 0x300
	s_waitcnt lgkmcnt(0)
	v_mov_b32_e32 v3, s1
	s_lshl_b64 s[2:3], s[22:23], 3
	s_add_u32 s10, s20, s2
	s_mul_i32 s1, s7, 0x300
	s_addc_u32 s11, s21, s3
	s_add_i32 s3, s1, s22
	s_sub_i32 s33, s0, s3
	s_add_i32 s2, s7, -1
	s_addk_i32 s33, 0x300
	v_mov_b32_e32 v2, s0
	s_add_u32 s0, s22, s1
	s_addc_u32 s1, s23, 0
	s_cmp_eq_u32 s6, s2
	s_load_dwordx2 s[30:31], s[26:27], 0x0
	s_cselect_b64 s[26:27], -1, 0
	s_cmp_lg_u32 s6, s2
	s_mov_b32 s9, 0
	v_cmp_lt_u64_e32 vcc, s[0:1], v[2:3]
	s_cselect_b64 s[0:1], -1, 0
	s_or_b64 s[2:3], s[0:1], vcc
	s_lshl_b64 s[28:29], s[8:9], 3
	s_add_u32 s7, s10, s28
	s_addc_u32 s10, s11, s29
	s_mov_b64 s[0:1], -1
	s_and_b64 vcc, exec, s[2:3]
	v_lshlrev_b32_e32 v1, 3, v0
	v_lshrrev_b32_e32 v10, 2, v0
	s_cbranch_vccz .LBB307_2
; %bb.1:
	v_mov_b32_e32 v3, s10
	v_add_co_u32_e32 v2, vcc, s7, v1
	v_addc_co_u32_e32 v3, vcc, 0, v3, vcc
	v_add_co_u32_e32 v4, vcc, 0x1000, v2
	v_addc_co_u32_e32 v5, vcc, 0, v3, vcc
	flat_load_dwordx2 v[6:7], v[2:3]
	flat_load_dwordx2 v[8:9], v[2:3] offset:1536
	flat_load_dwordx2 v[12:13], v[2:3] offset:3072
	;; [unrolled: 1-line block ×3, first 2 shown]
	v_add_u32_e32 v3, 0xc0, v0
	v_add_u32_e32 v4, 0x180, v0
	;; [unrolled: 1-line block ×3, first 2 shown]
	v_and_b32_e32 v2, 56, v10
	v_lshrrev_b32_e32 v3, 2, v3
	v_lshrrev_b32_e32 v4, 2, v4
	;; [unrolled: 1-line block ×3, first 2 shown]
	v_add_u32_e32 v2, v2, v1
	v_and_b32_e32 v3, 0x78, v3
	v_and_b32_e32 v4, 0xf8, v4
	;; [unrolled: 1-line block ×3, first 2 shown]
	v_add_u32_e32 v3, v3, v1
	v_add_u32_e32 v4, v4, v1
	;; [unrolled: 1-line block ×3, first 2 shown]
	s_mov_b64 s[0:1], 0
	s_waitcnt vmcnt(0) lgkmcnt(0)
	ds_write_b64 v2, v[6:7]
	ds_write_b64 v3, v[8:9] offset:1536
	ds_write_b64 v4, v[12:13] offset:3072
	;; [unrolled: 1-line block ×3, first 2 shown]
	s_waitcnt lgkmcnt(0)
	s_barrier
.LBB307_2:
	s_andn2_b64 vcc, exec, s[0:1]
	v_cmp_gt_u32_e64 s[0:1], s33, v0
	s_cbranch_vccnz .LBB307_12
; %bb.3:
                                        ; implicit-def: $vgpr2_vgpr3_vgpr4_vgpr5_vgpr6_vgpr7_vgpr8_vgpr9
	s_and_saveexec_b64 s[8:9], s[0:1]
	s_cbranch_execz .LBB307_5
; %bb.4:
	v_mov_b32_e32 v3, s10
	v_add_co_u32_e32 v2, vcc, s7, v1
	v_addc_co_u32_e32 v3, vcc, 0, v3, vcc
	flat_load_dwordx2 v[2:3], v[2:3]
.LBB307_5:
	s_or_b64 exec, exec, s[8:9]
	v_add_u32_e32 v11, 0xc0, v0
	v_cmp_gt_u32_e32 vcc, s33, v11
	s_and_saveexec_b64 s[0:1], vcc
	s_cbranch_execz .LBB307_7
; %bb.6:
	v_mov_b32_e32 v5, s10
	v_add_co_u32_e32 v4, vcc, s7, v1
	v_addc_co_u32_e32 v5, vcc, 0, v5, vcc
	flat_load_dwordx2 v[4:5], v[4:5] offset:1536
.LBB307_7:
	s_or_b64 exec, exec, s[0:1]
	v_add_u32_e32 v12, 0x180, v0
	v_cmp_gt_u32_e32 vcc, s33, v12
	s_and_saveexec_b64 s[0:1], vcc
	s_cbranch_execz .LBB307_9
; %bb.8:
	v_mov_b32_e32 v7, s10
	v_add_co_u32_e32 v6, vcc, s7, v1
	v_addc_co_u32_e32 v7, vcc, 0, v7, vcc
	flat_load_dwordx2 v[6:7], v[6:7] offset:3072
.LBB307_9:
	s_or_b64 exec, exec, s[0:1]
	v_add_u32_e32 v13, 0x240, v0
	v_cmp_gt_u32_e32 vcc, s33, v13
	s_and_saveexec_b64 s[0:1], vcc
	s_cbranch_execz .LBB307_11
; %bb.10:
	v_lshlrev_b32_e32 v8, 3, v13
	v_mov_b32_e32 v9, s10
	v_add_co_u32_e32 v8, vcc, s7, v8
	v_addc_co_u32_e32 v9, vcc, 0, v9, vcc
	flat_load_dwordx2 v[8:9], v[8:9]
.LBB307_11:
	s_or_b64 exec, exec, s[0:1]
	v_and_b32_e32 v10, 56, v10
	v_add_u32_e32 v10, v10, v1
	s_waitcnt vmcnt(0) lgkmcnt(0)
	ds_write_b64 v10, v[2:3]
	v_lshrrev_b32_e32 v2, 2, v11
	v_and_b32_e32 v2, 0x78, v2
	v_add_u32_e32 v2, v2, v1
	ds_write_b64 v2, v[4:5] offset:1536
	v_lshrrev_b32_e32 v2, 2, v12
	v_and_b32_e32 v2, 0xf8, v2
	v_add_u32_e32 v2, v2, v1
	ds_write_b64 v2, v[6:7] offset:3072
	;; [unrolled: 4-line block ×3, first 2 shown]
	s_waitcnt lgkmcnt(0)
	s_barrier
.LBB307_12:
	v_lshlrev_b32_e32 v20, 2, v0
	v_lshrrev_b32_e32 v2, 3, v0
	v_add_lshl_u32 v2, v2, v20, 3
	s_waitcnt lgkmcnt(0)
	ds_read2_b64 v[6:9], v2 offset1:1
	ds_read2_b64 v[2:5], v2 offset0:2 offset1:3
	v_cndmask_b32_e64 v10, 0, 1, s[2:3]
	v_cmp_ne_u32_e64 s[0:1], 1, v10
	s_andn2_b64 vcc, exec, s[2:3]
	s_waitcnt lgkmcnt(1)
	v_xor_b32_e32 v13, -1, v6
	v_xor_b32_e32 v12, -1, v8
	s_waitcnt lgkmcnt(0)
	v_xor_b32_e32 v11, -1, v2
	v_xor_b32_e32 v10, -1, v4
	s_barrier
	s_cbranch_vccnz .LBB307_14
; %bb.13:
	v_mov_b32_e32 v15, 1
	v_and_b32_e32 v14, 1, v13
	v_and_b32_sdwa v16, v12, v15 dst_sel:BYTE_1 dst_unused:UNUSED_PAD src0_sel:DWORD src1_sel:DWORD
	v_and_b32_e32 v17, 1, v11
	v_and_b32_sdwa v15, v10, v15 dst_sel:BYTE_1 dst_unused:UNUSED_PAD src0_sel:DWORD src1_sel:DWORD
	v_or_b32_e32 v14, v14, v16
	v_or_b32_sdwa v15, v17, v15 dst_sel:WORD_1 dst_unused:UNUSED_PAD src0_sel:DWORD src1_sel:DWORD
	v_or_b32_sdwa v21, v14, v15 dst_sel:DWORD dst_unused:UNUSED_PAD src0_sel:WORD_0 src1_sel:DWORD
	s_load_dwordx2 s[34:35], s[4:5], 0x68
	s_cbranch_execz .LBB307_15
	s_branch .LBB307_16
.LBB307_14:
                                        ; implicit-def: $vgpr21
	s_load_dwordx2 s[34:35], s[4:5], 0x68
.LBB307_15:
	v_cmp_gt_u32_e32 vcc, s33, v20
	v_cndmask_b32_e64 v14, 0, 1, vcc
	v_and_b32_e32 v13, v14, v13
	v_or_b32_e32 v14, 1, v20
	v_cmp_gt_u32_e32 vcc, s33, v14
	v_cndmask_b32_e64 v14, 0, 1, vcc
	v_and_b32_sdwa v12, v14, v12 dst_sel:BYTE_1 dst_unused:UNUSED_PAD src0_sel:DWORD src1_sel:DWORD
	v_or_b32_e32 v14, 2, v20
	v_cmp_gt_u32_e32 vcc, s33, v14
	v_cndmask_b32_e64 v14, 0, 1, vcc
	v_and_b32_e32 v11, v14, v11
	v_or_b32_e32 v14, 3, v20
	v_cmp_gt_u32_e32 vcc, s33, v14
	v_cndmask_b32_e64 v14, 0, 1, vcc
	v_and_b32_sdwa v10, v14, v10 dst_sel:BYTE_1 dst_unused:UNUSED_PAD src0_sel:DWORD src1_sel:DWORD
	v_or_b32_e32 v12, v13, v12
	v_or_b32_sdwa v10, v11, v10 dst_sel:WORD_1 dst_unused:UNUSED_PAD src0_sel:DWORD src1_sel:DWORD
	v_or_b32_sdwa v21, v12, v10 dst_sel:DWORD dst_unused:UNUSED_PAD src0_sel:WORD_0 src1_sel:DWORD
.LBB307_16:
	v_bfe_u32 v23, v21, 16, 8
	v_lshrrev_b32_e32 v22, 24, v21
	v_add_u32_sdwa v10, v21, v21 dst_sel:DWORD dst_unused:UNUSED_PAD src0_sel:BYTE_1 src1_sel:BYTE_0
	v_add3_u32 v26, v10, v23, v22
	v_mbcnt_lo_u32_b32 v10, -1, 0
	v_mbcnt_hi_u32_b32 v24, -1, v10
	v_and_b32_e32 v10, 15, v24
	v_cmp_eq_u32_e64 s[16:17], 0, v10
	v_cmp_lt_u32_e64 s[14:15], 1, v10
	v_cmp_lt_u32_e64 s[12:13], 3, v10
	v_cmp_lt_u32_e64 s[10:11], 7, v10
	v_and_b32_e32 v10, 16, v24
	v_cmp_eq_u32_e64 s[20:21], 0, v10
	v_and_b32_e32 v10, 0xc0, v0
	v_min_u32_e32 v10, 0x80, v10
	v_or_b32_e32 v10, 63, v10
	s_cmp_lg_u32 s6, 0
	v_cmp_lt_u32_e64 s[2:3], 31, v24
	v_lshrrev_b32_e32 v25, 6, v0
	v_cmp_eq_u32_e64 s[8:9], v10, v0
	s_cbranch_scc0 .LBB307_47
; %bb.17:
	v_mov_b32_dpp v10, v26 row_shr:1 row_mask:0xf bank_mask:0xf
	v_cndmask_b32_e64 v10, v10, 0, s[16:17]
	v_add_u32_e32 v10, v10, v26
	s_nop 1
	v_mov_b32_dpp v11, v10 row_shr:2 row_mask:0xf bank_mask:0xf
	v_cndmask_b32_e64 v11, 0, v11, s[14:15]
	v_add_u32_e32 v10, v10, v11
	s_nop 1
	v_mov_b32_dpp v11, v10 row_shr:4 row_mask:0xf bank_mask:0xf
	v_cndmask_b32_e64 v11, 0, v11, s[12:13]
	v_add_u32_e32 v10, v10, v11
	s_nop 1
	v_mov_b32_dpp v11, v10 row_shr:8 row_mask:0xf bank_mask:0xf
	v_cndmask_b32_e64 v11, 0, v11, s[10:11]
	v_add_u32_e32 v10, v10, v11
	s_nop 1
	v_mov_b32_dpp v11, v10 row_bcast:15 row_mask:0xf bank_mask:0xf
	v_cndmask_b32_e64 v11, v11, 0, s[20:21]
	v_add_u32_e32 v10, v10, v11
	s_nop 1
	v_mov_b32_dpp v11, v10 row_bcast:31 row_mask:0xf bank_mask:0xf
	v_cndmask_b32_e64 v11, 0, v11, s[2:3]
	v_add_u32_e32 v10, v10, v11
	s_and_saveexec_b64 s[18:19], s[8:9]
	s_cbranch_execz .LBB307_19
; %bb.18:
	v_lshlrev_b32_e32 v11, 2, v25
	ds_write_b32 v11, v10
.LBB307_19:
	s_or_b64 exec, exec, s[18:19]
	v_cmp_gt_u32_e32 vcc, 3, v0
	s_waitcnt lgkmcnt(0)
	s_barrier
	s_and_saveexec_b64 s[18:19], vcc
	s_cbranch_execz .LBB307_21
; %bb.20:
	ds_read_b32 v11, v20
	v_and_b32_e32 v12, 3, v24
	v_cmp_ne_u32_e32 vcc, 0, v12
	s_waitcnt lgkmcnt(0)
	v_mov_b32_dpp v13, v11 row_shr:1 row_mask:0xf bank_mask:0xf
	v_cndmask_b32_e32 v13, 0, v13, vcc
	v_add_u32_e32 v11, v13, v11
	v_cmp_lt_u32_e32 vcc, 1, v12
	s_nop 0
	v_mov_b32_dpp v13, v11 row_shr:2 row_mask:0xf bank_mask:0xf
	v_cndmask_b32_e32 v12, 0, v13, vcc
	v_add_u32_e32 v11, v11, v12
	ds_write_b32 v20, v11
.LBB307_21:
	s_or_b64 exec, exec, s[18:19]
	v_cmp_gt_u32_e32 vcc, 64, v0
	v_cmp_lt_u32_e64 s[18:19], 63, v0
	s_waitcnt lgkmcnt(0)
	s_barrier
	s_waitcnt lgkmcnt(0)
                                        ; implicit-def: $vgpr27
	s_and_saveexec_b64 s[36:37], s[18:19]
	s_cbranch_execz .LBB307_23
; %bb.22:
	v_lshl_add_u32 v11, v25, 2, -4
	ds_read_b32 v27, v11
	s_waitcnt lgkmcnt(0)
	v_add_u32_e32 v10, v27, v10
.LBB307_23:
	s_or_b64 exec, exec, s[36:37]
	v_add_u32_e32 v11, -1, v24
	v_and_b32_e32 v12, 64, v24
	v_cmp_lt_i32_e64 s[18:19], v11, v12
	v_cndmask_b32_e64 v11, v11, v24, s[18:19]
	v_lshlrev_b32_e32 v11, 2, v11
	ds_bpermute_b32 v28, v11, v10
	v_cmp_eq_u32_e64 s[18:19], 0, v24
	s_and_saveexec_b64 s[36:37], vcc
	s_cbranch_execz .LBB307_46
; %bb.24:
	v_mov_b32_e32 v19, 0
	ds_read_b32 v10, v19 offset:8
	s_and_saveexec_b64 s[38:39], s[18:19]
	s_cbranch_execz .LBB307_26
; %bb.25:
	s_add_i32 s40, s6, 64
	s_mov_b32 s41, 0
	s_lshl_b64 s[40:41], s[40:41], 3
	s_add_u32 s40, s34, s40
	v_mov_b32_e32 v11, 1
	s_addc_u32 s41, s35, s41
	s_waitcnt lgkmcnt(0)
	global_store_dwordx2 v19, v[10:11], s[40:41]
.LBB307_26:
	s_or_b64 exec, exec, s[38:39]
	v_xad_u32 v12, v24, -1, s6
	v_add_u32_e32 v18, 64, v12
	v_lshlrev_b64 v[14:15], 3, v[18:19]
	v_mov_b32_e32 v11, s35
	v_add_co_u32_e32 v14, vcc, s34, v14
	v_addc_co_u32_e32 v15, vcc, v11, v15, vcc
	global_load_dwordx2 v[16:17], v[14:15], off glc
	s_waitcnt vmcnt(0)
	v_cmp_eq_u16_sdwa s[40:41], v17, v19 src0_sel:BYTE_0 src1_sel:DWORD
	s_and_saveexec_b64 s[38:39], s[40:41]
	s_cbranch_execz .LBB307_32
; %bb.27:
	s_mov_b32 s7, 1
	s_mov_b64 s[40:41], 0
	v_mov_b32_e32 v11, 0
.LBB307_28:                             ; =>This Loop Header: Depth=1
                                        ;     Child Loop BB307_29 Depth 2
	s_max_u32 s42, s7, 1
.LBB307_29:                             ;   Parent Loop BB307_28 Depth=1
                                        ; =>  This Inner Loop Header: Depth=2
	s_add_i32 s42, s42, -1
	s_cmp_eq_u32 s42, 0
	s_sleep 1
	s_cbranch_scc0 .LBB307_29
; %bb.30:                               ;   in Loop: Header=BB307_28 Depth=1
	global_load_dwordx2 v[16:17], v[14:15], off glc
	s_cmp_lt_u32 s7, 32
	s_cselect_b64 s[42:43], -1, 0
	s_cmp_lg_u64 s[42:43], 0
	s_addc_u32 s7, s7, 0
	s_waitcnt vmcnt(0)
	v_cmp_ne_u16_sdwa s[42:43], v17, v11 src0_sel:BYTE_0 src1_sel:DWORD
	s_or_b64 s[40:41], s[42:43], s[40:41]
	s_andn2_b64 exec, exec, s[40:41]
	s_cbranch_execnz .LBB307_28
; %bb.31:
	s_or_b64 exec, exec, s[40:41]
.LBB307_32:
	s_or_b64 exec, exec, s[38:39]
	v_and_b32_e32 v30, 63, v24
	v_mov_b32_e32 v29, 2
	v_cmp_ne_u32_e32 vcc, 63, v30
	v_cmp_eq_u16_sdwa s[38:39], v17, v29 src0_sel:BYTE_0 src1_sel:DWORD
	v_lshlrev_b64 v[14:15], v24, -1
	v_addc_co_u32_e32 v18, vcc, 0, v24, vcc
	v_and_b32_e32 v11, s39, v15
	v_lshlrev_b32_e32 v31, 2, v18
	v_or_b32_e32 v11, 0x80000000, v11
	ds_bpermute_b32 v18, v31, v16
	v_and_b32_e32 v13, s38, v14
	v_ffbl_b32_e32 v11, v11
	v_add_u32_e32 v11, 32, v11
	v_ffbl_b32_e32 v13, v13
	v_min_u32_e32 v11, v13, v11
	v_cmp_lt_u32_e32 vcc, v30, v11
	s_waitcnt lgkmcnt(0)
	v_cndmask_b32_e32 v13, 0, v18, vcc
	v_cmp_gt_u32_e32 vcc, 62, v30
	v_add_u32_e32 v13, v13, v16
	v_cndmask_b32_e64 v16, 0, 1, vcc
	v_lshlrev_b32_e32 v16, 1, v16
	v_add_lshl_u32 v32, v16, v24, 2
	ds_bpermute_b32 v16, v32, v13
	v_add_u32_e32 v33, 2, v30
	v_cmp_le_u32_e32 vcc, v33, v11
	v_add_u32_e32 v35, 4, v30
	v_add_u32_e32 v37, 8, v30
	s_waitcnt lgkmcnt(0)
	v_cndmask_b32_e32 v16, 0, v16, vcc
	v_cmp_gt_u32_e32 vcc, 60, v30
	v_add_u32_e32 v13, v13, v16
	v_cndmask_b32_e64 v16, 0, 1, vcc
	v_lshlrev_b32_e32 v16, 2, v16
	v_add_lshl_u32 v34, v16, v24, 2
	ds_bpermute_b32 v16, v34, v13
	v_cmp_le_u32_e32 vcc, v35, v11
	v_add_u32_e32 v39, 16, v30
	v_add_u32_e32 v41, 32, v30
	s_waitcnt lgkmcnt(0)
	v_cndmask_b32_e32 v16, 0, v16, vcc
	v_cmp_gt_u32_e32 vcc, 56, v30
	v_add_u32_e32 v13, v13, v16
	v_cndmask_b32_e64 v16, 0, 1, vcc
	v_lshlrev_b32_e32 v16, 3, v16
	v_add_lshl_u32 v36, v16, v24, 2
	ds_bpermute_b32 v16, v36, v13
	v_cmp_le_u32_e32 vcc, v37, v11
	s_waitcnt lgkmcnt(0)
	v_cndmask_b32_e32 v16, 0, v16, vcc
	v_cmp_gt_u32_e32 vcc, 48, v30
	v_add_u32_e32 v13, v13, v16
	v_cndmask_b32_e64 v16, 0, 1, vcc
	v_lshlrev_b32_e32 v16, 4, v16
	v_add_lshl_u32 v38, v16, v24, 2
	ds_bpermute_b32 v16, v38, v13
	v_cmp_le_u32_e32 vcc, v39, v11
	;; [unrolled: 9-line block ×3, first 2 shown]
	s_waitcnt lgkmcnt(0)
	v_cndmask_b32_e32 v11, 0, v16, vcc
	v_add_u32_e32 v16, v13, v11
	v_mov_b32_e32 v13, 0
	s_branch .LBB307_34
.LBB307_33:                             ;   in Loop: Header=BB307_34 Depth=1
	s_or_b64 exec, exec, s[38:39]
	v_cmp_eq_u16_sdwa s[38:39], v17, v29 src0_sel:BYTE_0 src1_sel:DWORD
	v_and_b32_e32 v18, s39, v15
	v_or_b32_e32 v18, 0x80000000, v18
	ds_bpermute_b32 v42, v31, v16
	v_and_b32_e32 v19, s38, v14
	v_ffbl_b32_e32 v18, v18
	v_add_u32_e32 v18, 32, v18
	v_ffbl_b32_e32 v19, v19
	v_min_u32_e32 v18, v19, v18
	v_cmp_lt_u32_e32 vcc, v30, v18
	s_waitcnt lgkmcnt(0)
	v_cndmask_b32_e32 v19, 0, v42, vcc
	v_add_u32_e32 v16, v19, v16
	ds_bpermute_b32 v19, v32, v16
	v_cmp_le_u32_e32 vcc, v33, v18
	v_subrev_u32_e32 v12, 64, v12
	s_waitcnt lgkmcnt(0)
	v_cndmask_b32_e32 v19, 0, v19, vcc
	v_add_u32_e32 v16, v16, v19
	ds_bpermute_b32 v19, v34, v16
	v_cmp_le_u32_e32 vcc, v35, v18
	s_waitcnt lgkmcnt(0)
	v_cndmask_b32_e32 v19, 0, v19, vcc
	v_add_u32_e32 v16, v16, v19
	ds_bpermute_b32 v19, v36, v16
	v_cmp_le_u32_e32 vcc, v37, v18
	;; [unrolled: 5-line block ×4, first 2 shown]
	s_waitcnt lgkmcnt(0)
	v_cndmask_b32_e32 v18, 0, v19, vcc
	v_add3_u32 v16, v18, v11, v16
.LBB307_34:                             ; =>This Loop Header: Depth=1
                                        ;     Child Loop BB307_37 Depth 2
                                        ;       Child Loop BB307_38 Depth 3
	v_cmp_ne_u16_sdwa s[38:39], v17, v29 src0_sel:BYTE_0 src1_sel:DWORD
	v_cndmask_b32_e64 v11, 0, 1, s[38:39]
	;;#ASMSTART
	;;#ASMEND
	v_cmp_ne_u32_e32 vcc, 0, v11
	s_cmp_lg_u64 vcc, exec
	v_mov_b32_e32 v11, v16
	s_cbranch_scc1 .LBB307_41
; %bb.35:                               ;   in Loop: Header=BB307_34 Depth=1
	v_lshlrev_b64 v[16:17], 3, v[12:13]
	v_mov_b32_e32 v19, s35
	v_add_co_u32_e32 v18, vcc, s34, v16
	v_addc_co_u32_e32 v19, vcc, v19, v17, vcc
	global_load_dwordx2 v[16:17], v[18:19], off glc
	s_waitcnt vmcnt(0)
	v_cmp_eq_u16_sdwa s[40:41], v17, v13 src0_sel:BYTE_0 src1_sel:DWORD
	s_and_saveexec_b64 s[38:39], s[40:41]
	s_cbranch_execz .LBB307_33
; %bb.36:                               ;   in Loop: Header=BB307_34 Depth=1
	s_mov_b32 s7, 1
	s_mov_b64 s[40:41], 0
.LBB307_37:                             ;   Parent Loop BB307_34 Depth=1
                                        ; =>  This Loop Header: Depth=2
                                        ;       Child Loop BB307_38 Depth 3
	s_max_u32 s42, s7, 1
.LBB307_38:                             ;   Parent Loop BB307_34 Depth=1
                                        ;     Parent Loop BB307_37 Depth=2
                                        ; =>    This Inner Loop Header: Depth=3
	s_add_i32 s42, s42, -1
	s_cmp_eq_u32 s42, 0
	s_sleep 1
	s_cbranch_scc0 .LBB307_38
; %bb.39:                               ;   in Loop: Header=BB307_37 Depth=2
	global_load_dwordx2 v[16:17], v[18:19], off glc
	s_cmp_lt_u32 s7, 32
	s_cselect_b64 s[42:43], -1, 0
	s_cmp_lg_u64 s[42:43], 0
	s_addc_u32 s7, s7, 0
	s_waitcnt vmcnt(0)
	v_cmp_ne_u16_sdwa s[42:43], v17, v13 src0_sel:BYTE_0 src1_sel:DWORD
	s_or_b64 s[40:41], s[42:43], s[40:41]
	s_andn2_b64 exec, exec, s[40:41]
	s_cbranch_execnz .LBB307_37
; %bb.40:                               ;   in Loop: Header=BB307_34 Depth=1
	s_or_b64 exec, exec, s[40:41]
	s_branch .LBB307_33
.LBB307_41:                             ;   in Loop: Header=BB307_34 Depth=1
                                        ; implicit-def: $vgpr16
                                        ; implicit-def: $vgpr17
	s_cbranch_execz .LBB307_34
; %bb.42:
	s_and_saveexec_b64 s[38:39], s[18:19]
	s_cbranch_execz .LBB307_44
; %bb.43:
	s_add_i32 s6, s6, 64
	s_mov_b32 s7, 0
	s_lshl_b64 s[6:7], s[6:7], 3
	s_add_u32 s6, s34, s6
	v_add_u32_e32 v12, v11, v10
	v_mov_b32_e32 v13, 2
	s_addc_u32 s7, s35, s7
	v_mov_b32_e32 v14, 0
	global_store_dwordx2 v14, v[12:13], s[6:7]
	ds_write_b64 v14, v[10:11] offset:6336
.LBB307_44:
	s_or_b64 exec, exec, s[38:39]
	v_cmp_eq_u32_e32 vcc, 0, v0
	s_and_b64 exec, exec, vcc
	s_cbranch_execz .LBB307_46
; %bb.45:
	v_mov_b32_e32 v10, 0
	ds_write_b32 v10, v11 offset:8
.LBB307_46:
	s_or_b64 exec, exec, s[36:37]
	v_mov_b32_e32 v10, 0
	s_waitcnt lgkmcnt(0)
	s_barrier
	ds_read_b32 v11, v10 offset:8
	v_cndmask_b32_e64 v12, v28, v27, s[18:19]
	v_cmp_ne_u32_e32 vcc, 0, v0
	v_cndmask_b32_e32 v12, 0, v12, vcc
	s_waitcnt lgkmcnt(0)
	v_add_u32_e32 v14, v11, v12
	s_barrier
	ds_read_b64 v[10:11], v10 offset:6336
	v_add_u32_sdwa v15, v14, v21 dst_sel:DWORD dst_unused:UNUSED_PAD src0_sel:DWORD src1_sel:BYTE_0
	v_add_u32_sdwa v13, v15, v21 dst_sel:DWORD dst_unused:UNUSED_PAD src0_sel:DWORD src1_sel:BYTE_1
	v_add_u32_e32 v12, v13, v23
	s_branch .LBB307_57
.LBB307_47:
                                        ; implicit-def: $vgpr11
                                        ; implicit-def: $vgpr12
                                        ; implicit-def: $vgpr13
                                        ; implicit-def: $vgpr15
                                        ; implicit-def: $vgpr14
	s_cbranch_execz .LBB307_57
; %bb.48:
	s_waitcnt lgkmcnt(0)
	v_mov_b32_dpp v10, v26 row_shr:1 row_mask:0xf bank_mask:0xf
	v_cndmask_b32_e64 v10, v10, 0, s[16:17]
	v_add_u32_e32 v10, v10, v26
	s_nop 1
	v_mov_b32_dpp v11, v10 row_shr:2 row_mask:0xf bank_mask:0xf
	v_cndmask_b32_e64 v11, 0, v11, s[14:15]
	v_add_u32_e32 v10, v10, v11
	s_nop 1
	;; [unrolled: 4-line block ×4, first 2 shown]
	v_mov_b32_dpp v11, v10 row_bcast:15 row_mask:0xf bank_mask:0xf
	v_cndmask_b32_e64 v11, v11, 0, s[20:21]
	v_add_u32_e32 v10, v10, v11
	s_nop 1
	v_mov_b32_dpp v11, v10 row_bcast:31 row_mask:0xf bank_mask:0xf
	v_cndmask_b32_e64 v11, 0, v11, s[2:3]
	v_add_u32_e32 v10, v10, v11
	s_and_saveexec_b64 s[2:3], s[8:9]
	s_cbranch_execz .LBB307_50
; %bb.49:
	v_lshlrev_b32_e32 v11, 2, v25
	ds_write_b32 v11, v10
.LBB307_50:
	s_or_b64 exec, exec, s[2:3]
	v_cmp_gt_u32_e32 vcc, 3, v0
	s_waitcnt lgkmcnt(0)
	s_barrier
	s_and_saveexec_b64 s[2:3], vcc
	s_cbranch_execz .LBB307_52
; %bb.51:
	ds_read_b32 v11, v20
	v_and_b32_e32 v12, 3, v24
	v_cmp_ne_u32_e32 vcc, 0, v12
	s_waitcnt lgkmcnt(0)
	v_mov_b32_dpp v13, v11 row_shr:1 row_mask:0xf bank_mask:0xf
	v_cndmask_b32_e32 v13, 0, v13, vcc
	v_add_u32_e32 v11, v13, v11
	v_cmp_lt_u32_e32 vcc, 1, v12
	s_nop 0
	v_mov_b32_dpp v13, v11 row_shr:2 row_mask:0xf bank_mask:0xf
	v_cndmask_b32_e32 v12, 0, v13, vcc
	v_add_u32_e32 v11, v11, v12
	ds_write_b32 v20, v11
.LBB307_52:
	s_or_b64 exec, exec, s[2:3]
	v_cmp_lt_u32_e32 vcc, 63, v0
	v_mov_b32_e32 v11, 0
	v_mov_b32_e32 v12, 0
	s_waitcnt lgkmcnt(0)
	s_barrier
	s_and_saveexec_b64 s[2:3], vcc
	s_cbranch_execz .LBB307_54
; %bb.53:
	v_lshl_add_u32 v12, v25, 2, -4
	ds_read_b32 v12, v12
.LBB307_54:
	s_or_b64 exec, exec, s[2:3]
	v_add_u32_e32 v13, -1, v24
	v_and_b32_e32 v14, 64, v24
	v_cmp_lt_i32_e32 vcc, v13, v14
	v_cndmask_b32_e32 v13, v13, v24, vcc
	s_waitcnt lgkmcnt(0)
	v_add_u32_e32 v10, v12, v10
	v_lshlrev_b32_e32 v13, 2, v13
	ds_bpermute_b32 v13, v13, v10
	ds_read_b32 v10, v11 offset:8
	v_cmp_eq_u32_e32 vcc, 0, v0
	s_and_saveexec_b64 s[2:3], vcc
	s_cbranch_execz .LBB307_56
; %bb.55:
	v_mov_b32_e32 v14, 0
	v_mov_b32_e32 v11, 2
	s_waitcnt lgkmcnt(0)
	global_store_dwordx2 v14, v[10:11], s[34:35] offset:512
.LBB307_56:
	s_or_b64 exec, exec, s[2:3]
	v_cmp_eq_u32_e64 s[2:3], 0, v24
	s_waitcnt lgkmcnt(1)
	v_cndmask_b32_e64 v12, v13, v12, s[2:3]
	v_cndmask_b32_e64 v14, v12, 0, vcc
	v_add_u32_sdwa v15, v14, v21 dst_sel:DWORD dst_unused:UNUSED_PAD src0_sel:DWORD src1_sel:BYTE_0
	v_add_u32_sdwa v13, v15, v21 dst_sel:DWORD dst_unused:UNUSED_PAD src0_sel:DWORD src1_sel:BYTE_1
	v_mov_b32_e32 v11, 0
	v_add_u32_e32 v12, v13, v23
	s_waitcnt lgkmcnt(0)
	s_barrier
.LBB307_57:
	s_waitcnt lgkmcnt(0)
	v_add_u32_e32 v17, v10, v20
	v_sub_u32_e32 v14, v14, v11
	v_and_b32_e32 v19, 1, v21
	v_sub_u32_e32 v18, v17, v14
	v_cmp_eq_u32_e32 vcc, 1, v19
	v_cndmask_b32_e32 v14, v18, v14, vcc
	v_lshlrev_b32_e32 v14, 3, v14
	v_lshrrev_b32_e32 v16, 8, v21
	ds_write_b64 v14, v[6:7]
	v_sub_u32_e32 v6, v15, v11
	v_sub_u32_e32 v7, v17, v6
	v_and_b32_e32 v14, 1, v16
	v_add_u32_e32 v7, 1, v7
	v_cmp_eq_u32_e32 vcc, 1, v14
	v_cndmask_b32_e32 v6, v7, v6, vcc
	v_lshlrev_b32_e32 v6, 3, v6
	ds_write_b64 v6, v[8:9]
	v_sub_u32_e32 v6, v13, v11
	v_mov_b32_e32 v8, 1
	v_sub_u32_e32 v7, v17, v6
	v_and_b32_sdwa v8, v8, v21 dst_sel:DWORD dst_unused:UNUSED_PAD src0_sel:DWORD src1_sel:WORD_1
	v_add_u32_e32 v7, 2, v7
	v_cmp_eq_u32_e32 vcc, 1, v8
	v_cndmask_b32_e32 v6, v7, v6, vcc
	v_lshlrev_b32_e32 v6, 3, v6
	ds_write_b64 v6, v[2:3]
	v_sub_u32_e32 v2, v12, v11
	v_sub_u32_e32 v3, v17, v2
	v_and_b32_e32 v6, 1, v22
	v_add_u32_e32 v3, 3, v3
	v_cmp_eq_u32_e32 vcc, 1, v6
	v_cndmask_b32_e32 v2, v3, v2, vcc
	v_mov_b32_e32 v12, s31
	v_add_co_u32_e32 v20, vcc, s30, v11
	v_addc_co_u32_e32 v21, vcc, 0, v12, vcc
	s_load_dwordx4 s[4:7], s[4:5], 0x28
	v_add_co_u32_e32 v12, vcc, v20, v10
	v_addc_co_u32_e32 v13, vcc, 0, v21, vcc
	v_mov_b32_e32 v11, s23
	v_sub_co_u32_e32 v16, vcc, s22, v12
	v_subb_co_u32_e32 v17, vcc, v11, v13, vcc
	v_lshlrev_b64 v[16:17], 3, v[16:17]
	v_lshlrev_b32_e32 v2, 3, v2
	s_waitcnt lgkmcnt(0)
	v_mov_b32_e32 v11, s7
	v_add_co_u32_e32 v16, vcc, s6, v16
	ds_write_b64 v2, v[4:5]
	s_waitcnt lgkmcnt(0)
	s_barrier
	ds_read2st64_b64 v[6:9], v1 offset1:3
	ds_read2st64_b64 v[2:5], v1 offset0:6 offset1:9
	v_addc_co_u32_e32 v17, vcc, v11, v17, vcc
	v_mov_b32_e32 v18, s29
	v_add_co_u32_e32 v11, vcc, s28, v16
	v_addc_co_u32_e32 v16, vcc, v17, v18, vcc
	v_lshlrev_b64 v[20:21], 3, v[20:21]
	v_mov_b32_e32 v18, s5
	s_and_b64 vcc, exec, s[0:1]
	v_add_co_u32_e64 v17, s[0:1], s4, v20
	v_add_u32_e32 v19, 0xc0, v0
	v_add_u32_e32 v15, 0x180, v0
	;; [unrolled: 1-line block ×3, first 2 shown]
	v_addc_co_u32_e64 v18, s[0:1], v18, v21, s[0:1]
	s_cbranch_vccnz .LBB307_59
; %bb.58:
	v_cmp_lt_u32_e32 vcc, v0, v10
	v_cndmask_b32_e32 v20, v11, v17, vcc
	v_cndmask_b32_e32 v21, v16, v18, vcc
	v_add_co_u32_e32 v20, vcc, v20, v1
	v_addc_co_u32_e32 v21, vcc, 0, v21, vcc
	v_cmp_lt_u32_e32 vcc, v19, v10
	s_waitcnt lgkmcnt(1)
	global_store_dwordx2 v[20:21], v[6:7], off
	v_cndmask_b32_e32 v20, v11, v17, vcc
	v_cndmask_b32_e32 v21, v16, v18, vcc
	v_add_co_u32_e32 v20, vcc, v20, v1
	v_addc_co_u32_e32 v21, vcc, 0, v21, vcc
	v_cmp_lt_u32_e32 vcc, v15, v10
	global_store_dwordx2 v[20:21], v[8:9], off offset:1536
	v_cndmask_b32_e32 v20, v11, v17, vcc
	v_cndmask_b32_e32 v21, v16, v18, vcc
	v_add_co_u32_e32 v20, vcc, v20, v1
	v_addc_co_u32_e32 v21, vcc, 0, v21, vcc
	s_mov_b64 s[0:1], -1
	s_waitcnt lgkmcnt(0)
	global_store_dwordx2 v[20:21], v[2:3], off offset:3072
	s_cbranch_execz .LBB307_60
	s_branch .LBB307_65
.LBB307_59:
	s_mov_b64 s[0:1], 0
.LBB307_60:
	v_cmp_gt_u32_e32 vcc, s33, v0
	s_and_saveexec_b64 s[0:1], vcc
	s_cbranch_execnz .LBB307_70
; %bb.61:
	s_or_b64 exec, exec, s[0:1]
	v_cmp_gt_u32_e32 vcc, s33, v19
	s_and_saveexec_b64 s[0:1], vcc
	s_cbranch_execnz .LBB307_71
.LBB307_62:
	s_or_b64 exec, exec, s[0:1]
	v_cmp_gt_u32_e32 vcc, s33, v15
	s_and_saveexec_b64 s[0:1], vcc
	s_cbranch_execz .LBB307_64
.LBB307_63:
	v_cmp_lt_u32_e32 vcc, v15, v10
	s_waitcnt lgkmcnt(1)
	v_cndmask_b32_e32 v6, v11, v17, vcc
	v_cndmask_b32_e32 v7, v16, v18, vcc
	v_add_co_u32_e32 v6, vcc, v6, v1
	v_addc_co_u32_e32 v7, vcc, 0, v7, vcc
	s_waitcnt lgkmcnt(0)
	global_store_dwordx2 v[6:7], v[2:3], off offset:3072
.LBB307_64:
	s_or_b64 exec, exec, s[0:1]
	v_cmp_gt_u32_e64 s[0:1], s33, v14
.LBB307_65:
	s_and_saveexec_b64 s[2:3], s[0:1]
	s_cbranch_execz .LBB307_67
; %bb.66:
	v_cmp_lt_u32_e32 vcc, v14, v10
	s_waitcnt lgkmcnt(0)
	v_cndmask_b32_e32 v2, v11, v17, vcc
	v_lshlrev_b32_e32 v3, 3, v14
	v_cndmask_b32_e32 v1, v16, v18, vcc
	v_add_co_u32_e32 v2, vcc, v2, v3
	v_addc_co_u32_e32 v3, vcc, 0, v1, vcc
	global_store_dwordx2 v[2:3], v[4:5], off
.LBB307_67:
	s_or_b64 exec, exec, s[2:3]
	v_cmp_eq_u32_e32 vcc, 0, v0
	s_and_b64 s[0:1], vcc, s[26:27]
	s_and_saveexec_b64 s[2:3], s[0:1]
	s_cbranch_execz .LBB307_69
; %bb.68:
	v_mov_b32_e32 v0, 0
	global_store_dwordx2 v0, v[12:13], s[24:25]
.LBB307_69:
	s_endpgm
.LBB307_70:
	v_cmp_lt_u32_e32 vcc, v0, v10
	v_cndmask_b32_e32 v20, v11, v17, vcc
	v_cndmask_b32_e32 v21, v16, v18, vcc
	v_add_co_u32_e32 v20, vcc, v20, v1
	v_addc_co_u32_e32 v21, vcc, 0, v21, vcc
	s_waitcnt lgkmcnt(1)
	global_store_dwordx2 v[20:21], v[6:7], off
	s_or_b64 exec, exec, s[0:1]
	v_cmp_gt_u32_e32 vcc, s33, v19
	s_and_saveexec_b64 s[0:1], vcc
	s_cbranch_execz .LBB307_62
.LBB307_71:
	v_cmp_lt_u32_e32 vcc, v19, v10
	s_waitcnt lgkmcnt(1)
	v_cndmask_b32_e32 v6, v11, v17, vcc
	v_cndmask_b32_e32 v7, v16, v18, vcc
	v_add_co_u32_e32 v6, vcc, v6, v1
	v_addc_co_u32_e32 v7, vcc, 0, v7, vcc
	global_store_dwordx2 v[6:7], v[8:9], off offset:1536
	s_or_b64 exec, exec, s[0:1]
	v_cmp_gt_u32_e32 vcc, s33, v15
	s_and_saveexec_b64 s[0:1], vcc
	s_cbranch_execnz .LBB307_63
	s_branch .LBB307_64
	.section	.rodata,"a",@progbits
	.p2align	6, 0x0
	.amdhsa_kernel _ZN7rocprim17ROCPRIM_400000_NS6detail17trampoline_kernelINS0_14default_configENS1_25partition_config_selectorILNS1_17partition_subalgoE0ExNS0_10empty_typeEbEEZZNS1_14partition_implILS5_0ELb0ES3_jN6thrust23THRUST_200600_302600_NS6detail15normal_iteratorINSA_10device_ptrIxEEEEPS6_SG_NS0_5tupleIJSF_SF_EEENSH_IJSG_SG_EEES6_PlJ7is_evenIxEEEE10hipError_tPvRmT3_T4_T5_T6_T7_T9_mT8_P12ihipStream_tbDpT10_ENKUlT_T0_E_clISt17integral_constantIbLb1EES15_IbLb0EEEEDaS11_S12_EUlS11_E_NS1_11comp_targetILNS1_3genE4ELNS1_11target_archE910ELNS1_3gpuE8ELNS1_3repE0EEENS1_30default_config_static_selectorELNS0_4arch9wavefront6targetE1EEEvT1_
		.amdhsa_group_segment_fixed_size 6344
		.amdhsa_private_segment_fixed_size 0
		.amdhsa_kernarg_size 120
		.amdhsa_user_sgpr_count 6
		.amdhsa_user_sgpr_private_segment_buffer 1
		.amdhsa_user_sgpr_dispatch_ptr 0
		.amdhsa_user_sgpr_queue_ptr 0
		.amdhsa_user_sgpr_kernarg_segment_ptr 1
		.amdhsa_user_sgpr_dispatch_id 0
		.amdhsa_user_sgpr_flat_scratch_init 0
		.amdhsa_user_sgpr_kernarg_preload_length 0
		.amdhsa_user_sgpr_kernarg_preload_offset 0
		.amdhsa_user_sgpr_private_segment_size 0
		.amdhsa_uses_dynamic_stack 0
		.amdhsa_system_sgpr_private_segment_wavefront_offset 0
		.amdhsa_system_sgpr_workgroup_id_x 1
		.amdhsa_system_sgpr_workgroup_id_y 0
		.amdhsa_system_sgpr_workgroup_id_z 0
		.amdhsa_system_sgpr_workgroup_info 0
		.amdhsa_system_vgpr_workitem_id 0
		.amdhsa_next_free_vgpr 43
		.amdhsa_next_free_sgpr 44
		.amdhsa_accum_offset 44
		.amdhsa_reserve_vcc 1
		.amdhsa_reserve_flat_scratch 0
		.amdhsa_float_round_mode_32 0
		.amdhsa_float_round_mode_16_64 0
		.amdhsa_float_denorm_mode_32 3
		.amdhsa_float_denorm_mode_16_64 3
		.amdhsa_dx10_clamp 1
		.amdhsa_ieee_mode 1
		.amdhsa_fp16_overflow 0
		.amdhsa_tg_split 0
		.amdhsa_exception_fp_ieee_invalid_op 0
		.amdhsa_exception_fp_denorm_src 0
		.amdhsa_exception_fp_ieee_div_zero 0
		.amdhsa_exception_fp_ieee_overflow 0
		.amdhsa_exception_fp_ieee_underflow 0
		.amdhsa_exception_fp_ieee_inexact 0
		.amdhsa_exception_int_div_zero 0
	.end_amdhsa_kernel
	.section	.text._ZN7rocprim17ROCPRIM_400000_NS6detail17trampoline_kernelINS0_14default_configENS1_25partition_config_selectorILNS1_17partition_subalgoE0ExNS0_10empty_typeEbEEZZNS1_14partition_implILS5_0ELb0ES3_jN6thrust23THRUST_200600_302600_NS6detail15normal_iteratorINSA_10device_ptrIxEEEEPS6_SG_NS0_5tupleIJSF_SF_EEENSH_IJSG_SG_EEES6_PlJ7is_evenIxEEEE10hipError_tPvRmT3_T4_T5_T6_T7_T9_mT8_P12ihipStream_tbDpT10_ENKUlT_T0_E_clISt17integral_constantIbLb1EES15_IbLb0EEEEDaS11_S12_EUlS11_E_NS1_11comp_targetILNS1_3genE4ELNS1_11target_archE910ELNS1_3gpuE8ELNS1_3repE0EEENS1_30default_config_static_selectorELNS0_4arch9wavefront6targetE1EEEvT1_,"axG",@progbits,_ZN7rocprim17ROCPRIM_400000_NS6detail17trampoline_kernelINS0_14default_configENS1_25partition_config_selectorILNS1_17partition_subalgoE0ExNS0_10empty_typeEbEEZZNS1_14partition_implILS5_0ELb0ES3_jN6thrust23THRUST_200600_302600_NS6detail15normal_iteratorINSA_10device_ptrIxEEEEPS6_SG_NS0_5tupleIJSF_SF_EEENSH_IJSG_SG_EEES6_PlJ7is_evenIxEEEE10hipError_tPvRmT3_T4_T5_T6_T7_T9_mT8_P12ihipStream_tbDpT10_ENKUlT_T0_E_clISt17integral_constantIbLb1EES15_IbLb0EEEEDaS11_S12_EUlS11_E_NS1_11comp_targetILNS1_3genE4ELNS1_11target_archE910ELNS1_3gpuE8ELNS1_3repE0EEENS1_30default_config_static_selectorELNS0_4arch9wavefront6targetE1EEEvT1_,comdat
.Lfunc_end307:
	.size	_ZN7rocprim17ROCPRIM_400000_NS6detail17trampoline_kernelINS0_14default_configENS1_25partition_config_selectorILNS1_17partition_subalgoE0ExNS0_10empty_typeEbEEZZNS1_14partition_implILS5_0ELb0ES3_jN6thrust23THRUST_200600_302600_NS6detail15normal_iteratorINSA_10device_ptrIxEEEEPS6_SG_NS0_5tupleIJSF_SF_EEENSH_IJSG_SG_EEES6_PlJ7is_evenIxEEEE10hipError_tPvRmT3_T4_T5_T6_T7_T9_mT8_P12ihipStream_tbDpT10_ENKUlT_T0_E_clISt17integral_constantIbLb1EES15_IbLb0EEEEDaS11_S12_EUlS11_E_NS1_11comp_targetILNS1_3genE4ELNS1_11target_archE910ELNS1_3gpuE8ELNS1_3repE0EEENS1_30default_config_static_selectorELNS0_4arch9wavefront6targetE1EEEvT1_, .Lfunc_end307-_ZN7rocprim17ROCPRIM_400000_NS6detail17trampoline_kernelINS0_14default_configENS1_25partition_config_selectorILNS1_17partition_subalgoE0ExNS0_10empty_typeEbEEZZNS1_14partition_implILS5_0ELb0ES3_jN6thrust23THRUST_200600_302600_NS6detail15normal_iteratorINSA_10device_ptrIxEEEEPS6_SG_NS0_5tupleIJSF_SF_EEENSH_IJSG_SG_EEES6_PlJ7is_evenIxEEEE10hipError_tPvRmT3_T4_T5_T6_T7_T9_mT8_P12ihipStream_tbDpT10_ENKUlT_T0_E_clISt17integral_constantIbLb1EES15_IbLb0EEEEDaS11_S12_EUlS11_E_NS1_11comp_targetILNS1_3genE4ELNS1_11target_archE910ELNS1_3gpuE8ELNS1_3repE0EEENS1_30default_config_static_selectorELNS0_4arch9wavefront6targetE1EEEvT1_
                                        ; -- End function
	.section	.AMDGPU.csdata,"",@progbits
; Kernel info:
; codeLenInByte = 3656
; NumSgprs: 48
; NumVgprs: 43
; NumAgprs: 0
; TotalNumVgprs: 43
; ScratchSize: 0
; MemoryBound: 0
; FloatMode: 240
; IeeeMode: 1
; LDSByteSize: 6344 bytes/workgroup (compile time only)
; SGPRBlocks: 5
; VGPRBlocks: 5
; NumSGPRsForWavesPerEU: 48
; NumVGPRsForWavesPerEU: 43
; AccumOffset: 44
; Occupancy: 8
; WaveLimiterHint : 1
; COMPUTE_PGM_RSRC2:SCRATCH_EN: 0
; COMPUTE_PGM_RSRC2:USER_SGPR: 6
; COMPUTE_PGM_RSRC2:TRAP_HANDLER: 0
; COMPUTE_PGM_RSRC2:TGID_X_EN: 1
; COMPUTE_PGM_RSRC2:TGID_Y_EN: 0
; COMPUTE_PGM_RSRC2:TGID_Z_EN: 0
; COMPUTE_PGM_RSRC2:TIDIG_COMP_CNT: 0
; COMPUTE_PGM_RSRC3_GFX90A:ACCUM_OFFSET: 10
; COMPUTE_PGM_RSRC3_GFX90A:TG_SPLIT: 0
	.section	.text._ZN7rocprim17ROCPRIM_400000_NS6detail17trampoline_kernelINS0_14default_configENS1_25partition_config_selectorILNS1_17partition_subalgoE0ExNS0_10empty_typeEbEEZZNS1_14partition_implILS5_0ELb0ES3_jN6thrust23THRUST_200600_302600_NS6detail15normal_iteratorINSA_10device_ptrIxEEEEPS6_SG_NS0_5tupleIJSF_SF_EEENSH_IJSG_SG_EEES6_PlJ7is_evenIxEEEE10hipError_tPvRmT3_T4_T5_T6_T7_T9_mT8_P12ihipStream_tbDpT10_ENKUlT_T0_E_clISt17integral_constantIbLb1EES15_IbLb0EEEEDaS11_S12_EUlS11_E_NS1_11comp_targetILNS1_3genE3ELNS1_11target_archE908ELNS1_3gpuE7ELNS1_3repE0EEENS1_30default_config_static_selectorELNS0_4arch9wavefront6targetE1EEEvT1_,"axG",@progbits,_ZN7rocprim17ROCPRIM_400000_NS6detail17trampoline_kernelINS0_14default_configENS1_25partition_config_selectorILNS1_17partition_subalgoE0ExNS0_10empty_typeEbEEZZNS1_14partition_implILS5_0ELb0ES3_jN6thrust23THRUST_200600_302600_NS6detail15normal_iteratorINSA_10device_ptrIxEEEEPS6_SG_NS0_5tupleIJSF_SF_EEENSH_IJSG_SG_EEES6_PlJ7is_evenIxEEEE10hipError_tPvRmT3_T4_T5_T6_T7_T9_mT8_P12ihipStream_tbDpT10_ENKUlT_T0_E_clISt17integral_constantIbLb1EES15_IbLb0EEEEDaS11_S12_EUlS11_E_NS1_11comp_targetILNS1_3genE3ELNS1_11target_archE908ELNS1_3gpuE7ELNS1_3repE0EEENS1_30default_config_static_selectorELNS0_4arch9wavefront6targetE1EEEvT1_,comdat
	.protected	_ZN7rocprim17ROCPRIM_400000_NS6detail17trampoline_kernelINS0_14default_configENS1_25partition_config_selectorILNS1_17partition_subalgoE0ExNS0_10empty_typeEbEEZZNS1_14partition_implILS5_0ELb0ES3_jN6thrust23THRUST_200600_302600_NS6detail15normal_iteratorINSA_10device_ptrIxEEEEPS6_SG_NS0_5tupleIJSF_SF_EEENSH_IJSG_SG_EEES6_PlJ7is_evenIxEEEE10hipError_tPvRmT3_T4_T5_T6_T7_T9_mT8_P12ihipStream_tbDpT10_ENKUlT_T0_E_clISt17integral_constantIbLb1EES15_IbLb0EEEEDaS11_S12_EUlS11_E_NS1_11comp_targetILNS1_3genE3ELNS1_11target_archE908ELNS1_3gpuE7ELNS1_3repE0EEENS1_30default_config_static_selectorELNS0_4arch9wavefront6targetE1EEEvT1_ ; -- Begin function _ZN7rocprim17ROCPRIM_400000_NS6detail17trampoline_kernelINS0_14default_configENS1_25partition_config_selectorILNS1_17partition_subalgoE0ExNS0_10empty_typeEbEEZZNS1_14partition_implILS5_0ELb0ES3_jN6thrust23THRUST_200600_302600_NS6detail15normal_iteratorINSA_10device_ptrIxEEEEPS6_SG_NS0_5tupleIJSF_SF_EEENSH_IJSG_SG_EEES6_PlJ7is_evenIxEEEE10hipError_tPvRmT3_T4_T5_T6_T7_T9_mT8_P12ihipStream_tbDpT10_ENKUlT_T0_E_clISt17integral_constantIbLb1EES15_IbLb0EEEEDaS11_S12_EUlS11_E_NS1_11comp_targetILNS1_3genE3ELNS1_11target_archE908ELNS1_3gpuE7ELNS1_3repE0EEENS1_30default_config_static_selectorELNS0_4arch9wavefront6targetE1EEEvT1_
	.globl	_ZN7rocprim17ROCPRIM_400000_NS6detail17trampoline_kernelINS0_14default_configENS1_25partition_config_selectorILNS1_17partition_subalgoE0ExNS0_10empty_typeEbEEZZNS1_14partition_implILS5_0ELb0ES3_jN6thrust23THRUST_200600_302600_NS6detail15normal_iteratorINSA_10device_ptrIxEEEEPS6_SG_NS0_5tupleIJSF_SF_EEENSH_IJSG_SG_EEES6_PlJ7is_evenIxEEEE10hipError_tPvRmT3_T4_T5_T6_T7_T9_mT8_P12ihipStream_tbDpT10_ENKUlT_T0_E_clISt17integral_constantIbLb1EES15_IbLb0EEEEDaS11_S12_EUlS11_E_NS1_11comp_targetILNS1_3genE3ELNS1_11target_archE908ELNS1_3gpuE7ELNS1_3repE0EEENS1_30default_config_static_selectorELNS0_4arch9wavefront6targetE1EEEvT1_
	.p2align	8
	.type	_ZN7rocprim17ROCPRIM_400000_NS6detail17trampoline_kernelINS0_14default_configENS1_25partition_config_selectorILNS1_17partition_subalgoE0ExNS0_10empty_typeEbEEZZNS1_14partition_implILS5_0ELb0ES3_jN6thrust23THRUST_200600_302600_NS6detail15normal_iteratorINSA_10device_ptrIxEEEEPS6_SG_NS0_5tupleIJSF_SF_EEENSH_IJSG_SG_EEES6_PlJ7is_evenIxEEEE10hipError_tPvRmT3_T4_T5_T6_T7_T9_mT8_P12ihipStream_tbDpT10_ENKUlT_T0_E_clISt17integral_constantIbLb1EES15_IbLb0EEEEDaS11_S12_EUlS11_E_NS1_11comp_targetILNS1_3genE3ELNS1_11target_archE908ELNS1_3gpuE7ELNS1_3repE0EEENS1_30default_config_static_selectorELNS0_4arch9wavefront6targetE1EEEvT1_,@function
_ZN7rocprim17ROCPRIM_400000_NS6detail17trampoline_kernelINS0_14default_configENS1_25partition_config_selectorILNS1_17partition_subalgoE0ExNS0_10empty_typeEbEEZZNS1_14partition_implILS5_0ELb0ES3_jN6thrust23THRUST_200600_302600_NS6detail15normal_iteratorINSA_10device_ptrIxEEEEPS6_SG_NS0_5tupleIJSF_SF_EEENSH_IJSG_SG_EEES6_PlJ7is_evenIxEEEE10hipError_tPvRmT3_T4_T5_T6_T7_T9_mT8_P12ihipStream_tbDpT10_ENKUlT_T0_E_clISt17integral_constantIbLb1EES15_IbLb0EEEEDaS11_S12_EUlS11_E_NS1_11comp_targetILNS1_3genE3ELNS1_11target_archE908ELNS1_3gpuE7ELNS1_3repE0EEENS1_30default_config_static_selectorELNS0_4arch9wavefront6targetE1EEEvT1_: ; @_ZN7rocprim17ROCPRIM_400000_NS6detail17trampoline_kernelINS0_14default_configENS1_25partition_config_selectorILNS1_17partition_subalgoE0ExNS0_10empty_typeEbEEZZNS1_14partition_implILS5_0ELb0ES3_jN6thrust23THRUST_200600_302600_NS6detail15normal_iteratorINSA_10device_ptrIxEEEEPS6_SG_NS0_5tupleIJSF_SF_EEENSH_IJSG_SG_EEES6_PlJ7is_evenIxEEEE10hipError_tPvRmT3_T4_T5_T6_T7_T9_mT8_P12ihipStream_tbDpT10_ENKUlT_T0_E_clISt17integral_constantIbLb1EES15_IbLb0EEEEDaS11_S12_EUlS11_E_NS1_11comp_targetILNS1_3genE3ELNS1_11target_archE908ELNS1_3gpuE7ELNS1_3repE0EEENS1_30default_config_static_selectorELNS0_4arch9wavefront6targetE1EEEvT1_
; %bb.0:
	.section	.rodata,"a",@progbits
	.p2align	6, 0x0
	.amdhsa_kernel _ZN7rocprim17ROCPRIM_400000_NS6detail17trampoline_kernelINS0_14default_configENS1_25partition_config_selectorILNS1_17partition_subalgoE0ExNS0_10empty_typeEbEEZZNS1_14partition_implILS5_0ELb0ES3_jN6thrust23THRUST_200600_302600_NS6detail15normal_iteratorINSA_10device_ptrIxEEEEPS6_SG_NS0_5tupleIJSF_SF_EEENSH_IJSG_SG_EEES6_PlJ7is_evenIxEEEE10hipError_tPvRmT3_T4_T5_T6_T7_T9_mT8_P12ihipStream_tbDpT10_ENKUlT_T0_E_clISt17integral_constantIbLb1EES15_IbLb0EEEEDaS11_S12_EUlS11_E_NS1_11comp_targetILNS1_3genE3ELNS1_11target_archE908ELNS1_3gpuE7ELNS1_3repE0EEENS1_30default_config_static_selectorELNS0_4arch9wavefront6targetE1EEEvT1_
		.amdhsa_group_segment_fixed_size 0
		.amdhsa_private_segment_fixed_size 0
		.amdhsa_kernarg_size 120
		.amdhsa_user_sgpr_count 6
		.amdhsa_user_sgpr_private_segment_buffer 1
		.amdhsa_user_sgpr_dispatch_ptr 0
		.amdhsa_user_sgpr_queue_ptr 0
		.amdhsa_user_sgpr_kernarg_segment_ptr 1
		.amdhsa_user_sgpr_dispatch_id 0
		.amdhsa_user_sgpr_flat_scratch_init 0
		.amdhsa_user_sgpr_kernarg_preload_length 0
		.amdhsa_user_sgpr_kernarg_preload_offset 0
		.amdhsa_user_sgpr_private_segment_size 0
		.amdhsa_uses_dynamic_stack 0
		.amdhsa_system_sgpr_private_segment_wavefront_offset 0
		.amdhsa_system_sgpr_workgroup_id_x 1
		.amdhsa_system_sgpr_workgroup_id_y 0
		.amdhsa_system_sgpr_workgroup_id_z 0
		.amdhsa_system_sgpr_workgroup_info 0
		.amdhsa_system_vgpr_workitem_id 0
		.amdhsa_next_free_vgpr 1
		.amdhsa_next_free_sgpr 0
		.amdhsa_accum_offset 4
		.amdhsa_reserve_vcc 0
		.amdhsa_reserve_flat_scratch 0
		.amdhsa_float_round_mode_32 0
		.amdhsa_float_round_mode_16_64 0
		.amdhsa_float_denorm_mode_32 3
		.amdhsa_float_denorm_mode_16_64 3
		.amdhsa_dx10_clamp 1
		.amdhsa_ieee_mode 1
		.amdhsa_fp16_overflow 0
		.amdhsa_tg_split 0
		.amdhsa_exception_fp_ieee_invalid_op 0
		.amdhsa_exception_fp_denorm_src 0
		.amdhsa_exception_fp_ieee_div_zero 0
		.amdhsa_exception_fp_ieee_overflow 0
		.amdhsa_exception_fp_ieee_underflow 0
		.amdhsa_exception_fp_ieee_inexact 0
		.amdhsa_exception_int_div_zero 0
	.end_amdhsa_kernel
	.section	.text._ZN7rocprim17ROCPRIM_400000_NS6detail17trampoline_kernelINS0_14default_configENS1_25partition_config_selectorILNS1_17partition_subalgoE0ExNS0_10empty_typeEbEEZZNS1_14partition_implILS5_0ELb0ES3_jN6thrust23THRUST_200600_302600_NS6detail15normal_iteratorINSA_10device_ptrIxEEEEPS6_SG_NS0_5tupleIJSF_SF_EEENSH_IJSG_SG_EEES6_PlJ7is_evenIxEEEE10hipError_tPvRmT3_T4_T5_T6_T7_T9_mT8_P12ihipStream_tbDpT10_ENKUlT_T0_E_clISt17integral_constantIbLb1EES15_IbLb0EEEEDaS11_S12_EUlS11_E_NS1_11comp_targetILNS1_3genE3ELNS1_11target_archE908ELNS1_3gpuE7ELNS1_3repE0EEENS1_30default_config_static_selectorELNS0_4arch9wavefront6targetE1EEEvT1_,"axG",@progbits,_ZN7rocprim17ROCPRIM_400000_NS6detail17trampoline_kernelINS0_14default_configENS1_25partition_config_selectorILNS1_17partition_subalgoE0ExNS0_10empty_typeEbEEZZNS1_14partition_implILS5_0ELb0ES3_jN6thrust23THRUST_200600_302600_NS6detail15normal_iteratorINSA_10device_ptrIxEEEEPS6_SG_NS0_5tupleIJSF_SF_EEENSH_IJSG_SG_EEES6_PlJ7is_evenIxEEEE10hipError_tPvRmT3_T4_T5_T6_T7_T9_mT8_P12ihipStream_tbDpT10_ENKUlT_T0_E_clISt17integral_constantIbLb1EES15_IbLb0EEEEDaS11_S12_EUlS11_E_NS1_11comp_targetILNS1_3genE3ELNS1_11target_archE908ELNS1_3gpuE7ELNS1_3repE0EEENS1_30default_config_static_selectorELNS0_4arch9wavefront6targetE1EEEvT1_,comdat
.Lfunc_end308:
	.size	_ZN7rocprim17ROCPRIM_400000_NS6detail17trampoline_kernelINS0_14default_configENS1_25partition_config_selectorILNS1_17partition_subalgoE0ExNS0_10empty_typeEbEEZZNS1_14partition_implILS5_0ELb0ES3_jN6thrust23THRUST_200600_302600_NS6detail15normal_iteratorINSA_10device_ptrIxEEEEPS6_SG_NS0_5tupleIJSF_SF_EEENSH_IJSG_SG_EEES6_PlJ7is_evenIxEEEE10hipError_tPvRmT3_T4_T5_T6_T7_T9_mT8_P12ihipStream_tbDpT10_ENKUlT_T0_E_clISt17integral_constantIbLb1EES15_IbLb0EEEEDaS11_S12_EUlS11_E_NS1_11comp_targetILNS1_3genE3ELNS1_11target_archE908ELNS1_3gpuE7ELNS1_3repE0EEENS1_30default_config_static_selectorELNS0_4arch9wavefront6targetE1EEEvT1_, .Lfunc_end308-_ZN7rocprim17ROCPRIM_400000_NS6detail17trampoline_kernelINS0_14default_configENS1_25partition_config_selectorILNS1_17partition_subalgoE0ExNS0_10empty_typeEbEEZZNS1_14partition_implILS5_0ELb0ES3_jN6thrust23THRUST_200600_302600_NS6detail15normal_iteratorINSA_10device_ptrIxEEEEPS6_SG_NS0_5tupleIJSF_SF_EEENSH_IJSG_SG_EEES6_PlJ7is_evenIxEEEE10hipError_tPvRmT3_T4_T5_T6_T7_T9_mT8_P12ihipStream_tbDpT10_ENKUlT_T0_E_clISt17integral_constantIbLb1EES15_IbLb0EEEEDaS11_S12_EUlS11_E_NS1_11comp_targetILNS1_3genE3ELNS1_11target_archE908ELNS1_3gpuE7ELNS1_3repE0EEENS1_30default_config_static_selectorELNS0_4arch9wavefront6targetE1EEEvT1_
                                        ; -- End function
	.section	.AMDGPU.csdata,"",@progbits
; Kernel info:
; codeLenInByte = 0
; NumSgprs: 4
; NumVgprs: 0
; NumAgprs: 0
; TotalNumVgprs: 0
; ScratchSize: 0
; MemoryBound: 0
; FloatMode: 240
; IeeeMode: 1
; LDSByteSize: 0 bytes/workgroup (compile time only)
; SGPRBlocks: 0
; VGPRBlocks: 0
; NumSGPRsForWavesPerEU: 4
; NumVGPRsForWavesPerEU: 1
; AccumOffset: 4
; Occupancy: 8
; WaveLimiterHint : 0
; COMPUTE_PGM_RSRC2:SCRATCH_EN: 0
; COMPUTE_PGM_RSRC2:USER_SGPR: 6
; COMPUTE_PGM_RSRC2:TRAP_HANDLER: 0
; COMPUTE_PGM_RSRC2:TGID_X_EN: 1
; COMPUTE_PGM_RSRC2:TGID_Y_EN: 0
; COMPUTE_PGM_RSRC2:TGID_Z_EN: 0
; COMPUTE_PGM_RSRC2:TIDIG_COMP_CNT: 0
; COMPUTE_PGM_RSRC3_GFX90A:ACCUM_OFFSET: 0
; COMPUTE_PGM_RSRC3_GFX90A:TG_SPLIT: 0
	.section	.text._ZN7rocprim17ROCPRIM_400000_NS6detail17trampoline_kernelINS0_14default_configENS1_25partition_config_selectorILNS1_17partition_subalgoE0ExNS0_10empty_typeEbEEZZNS1_14partition_implILS5_0ELb0ES3_jN6thrust23THRUST_200600_302600_NS6detail15normal_iteratorINSA_10device_ptrIxEEEEPS6_SG_NS0_5tupleIJSF_SF_EEENSH_IJSG_SG_EEES6_PlJ7is_evenIxEEEE10hipError_tPvRmT3_T4_T5_T6_T7_T9_mT8_P12ihipStream_tbDpT10_ENKUlT_T0_E_clISt17integral_constantIbLb1EES15_IbLb0EEEEDaS11_S12_EUlS11_E_NS1_11comp_targetILNS1_3genE2ELNS1_11target_archE906ELNS1_3gpuE6ELNS1_3repE0EEENS1_30default_config_static_selectorELNS0_4arch9wavefront6targetE1EEEvT1_,"axG",@progbits,_ZN7rocprim17ROCPRIM_400000_NS6detail17trampoline_kernelINS0_14default_configENS1_25partition_config_selectorILNS1_17partition_subalgoE0ExNS0_10empty_typeEbEEZZNS1_14partition_implILS5_0ELb0ES3_jN6thrust23THRUST_200600_302600_NS6detail15normal_iteratorINSA_10device_ptrIxEEEEPS6_SG_NS0_5tupleIJSF_SF_EEENSH_IJSG_SG_EEES6_PlJ7is_evenIxEEEE10hipError_tPvRmT3_T4_T5_T6_T7_T9_mT8_P12ihipStream_tbDpT10_ENKUlT_T0_E_clISt17integral_constantIbLb1EES15_IbLb0EEEEDaS11_S12_EUlS11_E_NS1_11comp_targetILNS1_3genE2ELNS1_11target_archE906ELNS1_3gpuE6ELNS1_3repE0EEENS1_30default_config_static_selectorELNS0_4arch9wavefront6targetE1EEEvT1_,comdat
	.protected	_ZN7rocprim17ROCPRIM_400000_NS6detail17trampoline_kernelINS0_14default_configENS1_25partition_config_selectorILNS1_17partition_subalgoE0ExNS0_10empty_typeEbEEZZNS1_14partition_implILS5_0ELb0ES3_jN6thrust23THRUST_200600_302600_NS6detail15normal_iteratorINSA_10device_ptrIxEEEEPS6_SG_NS0_5tupleIJSF_SF_EEENSH_IJSG_SG_EEES6_PlJ7is_evenIxEEEE10hipError_tPvRmT3_T4_T5_T6_T7_T9_mT8_P12ihipStream_tbDpT10_ENKUlT_T0_E_clISt17integral_constantIbLb1EES15_IbLb0EEEEDaS11_S12_EUlS11_E_NS1_11comp_targetILNS1_3genE2ELNS1_11target_archE906ELNS1_3gpuE6ELNS1_3repE0EEENS1_30default_config_static_selectorELNS0_4arch9wavefront6targetE1EEEvT1_ ; -- Begin function _ZN7rocprim17ROCPRIM_400000_NS6detail17trampoline_kernelINS0_14default_configENS1_25partition_config_selectorILNS1_17partition_subalgoE0ExNS0_10empty_typeEbEEZZNS1_14partition_implILS5_0ELb0ES3_jN6thrust23THRUST_200600_302600_NS6detail15normal_iteratorINSA_10device_ptrIxEEEEPS6_SG_NS0_5tupleIJSF_SF_EEENSH_IJSG_SG_EEES6_PlJ7is_evenIxEEEE10hipError_tPvRmT3_T4_T5_T6_T7_T9_mT8_P12ihipStream_tbDpT10_ENKUlT_T0_E_clISt17integral_constantIbLb1EES15_IbLb0EEEEDaS11_S12_EUlS11_E_NS1_11comp_targetILNS1_3genE2ELNS1_11target_archE906ELNS1_3gpuE6ELNS1_3repE0EEENS1_30default_config_static_selectorELNS0_4arch9wavefront6targetE1EEEvT1_
	.globl	_ZN7rocprim17ROCPRIM_400000_NS6detail17trampoline_kernelINS0_14default_configENS1_25partition_config_selectorILNS1_17partition_subalgoE0ExNS0_10empty_typeEbEEZZNS1_14partition_implILS5_0ELb0ES3_jN6thrust23THRUST_200600_302600_NS6detail15normal_iteratorINSA_10device_ptrIxEEEEPS6_SG_NS0_5tupleIJSF_SF_EEENSH_IJSG_SG_EEES6_PlJ7is_evenIxEEEE10hipError_tPvRmT3_T4_T5_T6_T7_T9_mT8_P12ihipStream_tbDpT10_ENKUlT_T0_E_clISt17integral_constantIbLb1EES15_IbLb0EEEEDaS11_S12_EUlS11_E_NS1_11comp_targetILNS1_3genE2ELNS1_11target_archE906ELNS1_3gpuE6ELNS1_3repE0EEENS1_30default_config_static_selectorELNS0_4arch9wavefront6targetE1EEEvT1_
	.p2align	8
	.type	_ZN7rocprim17ROCPRIM_400000_NS6detail17trampoline_kernelINS0_14default_configENS1_25partition_config_selectorILNS1_17partition_subalgoE0ExNS0_10empty_typeEbEEZZNS1_14partition_implILS5_0ELb0ES3_jN6thrust23THRUST_200600_302600_NS6detail15normal_iteratorINSA_10device_ptrIxEEEEPS6_SG_NS0_5tupleIJSF_SF_EEENSH_IJSG_SG_EEES6_PlJ7is_evenIxEEEE10hipError_tPvRmT3_T4_T5_T6_T7_T9_mT8_P12ihipStream_tbDpT10_ENKUlT_T0_E_clISt17integral_constantIbLb1EES15_IbLb0EEEEDaS11_S12_EUlS11_E_NS1_11comp_targetILNS1_3genE2ELNS1_11target_archE906ELNS1_3gpuE6ELNS1_3repE0EEENS1_30default_config_static_selectorELNS0_4arch9wavefront6targetE1EEEvT1_,@function
_ZN7rocprim17ROCPRIM_400000_NS6detail17trampoline_kernelINS0_14default_configENS1_25partition_config_selectorILNS1_17partition_subalgoE0ExNS0_10empty_typeEbEEZZNS1_14partition_implILS5_0ELb0ES3_jN6thrust23THRUST_200600_302600_NS6detail15normal_iteratorINSA_10device_ptrIxEEEEPS6_SG_NS0_5tupleIJSF_SF_EEENSH_IJSG_SG_EEES6_PlJ7is_evenIxEEEE10hipError_tPvRmT3_T4_T5_T6_T7_T9_mT8_P12ihipStream_tbDpT10_ENKUlT_T0_E_clISt17integral_constantIbLb1EES15_IbLb0EEEEDaS11_S12_EUlS11_E_NS1_11comp_targetILNS1_3genE2ELNS1_11target_archE906ELNS1_3gpuE6ELNS1_3repE0EEENS1_30default_config_static_selectorELNS0_4arch9wavefront6targetE1EEEvT1_: ; @_ZN7rocprim17ROCPRIM_400000_NS6detail17trampoline_kernelINS0_14default_configENS1_25partition_config_selectorILNS1_17partition_subalgoE0ExNS0_10empty_typeEbEEZZNS1_14partition_implILS5_0ELb0ES3_jN6thrust23THRUST_200600_302600_NS6detail15normal_iteratorINSA_10device_ptrIxEEEEPS6_SG_NS0_5tupleIJSF_SF_EEENSH_IJSG_SG_EEES6_PlJ7is_evenIxEEEE10hipError_tPvRmT3_T4_T5_T6_T7_T9_mT8_P12ihipStream_tbDpT10_ENKUlT_T0_E_clISt17integral_constantIbLb1EES15_IbLb0EEEEDaS11_S12_EUlS11_E_NS1_11comp_targetILNS1_3genE2ELNS1_11target_archE906ELNS1_3gpuE6ELNS1_3repE0EEENS1_30default_config_static_selectorELNS0_4arch9wavefront6targetE1EEEvT1_
; %bb.0:
	.section	.rodata,"a",@progbits
	.p2align	6, 0x0
	.amdhsa_kernel _ZN7rocprim17ROCPRIM_400000_NS6detail17trampoline_kernelINS0_14default_configENS1_25partition_config_selectorILNS1_17partition_subalgoE0ExNS0_10empty_typeEbEEZZNS1_14partition_implILS5_0ELb0ES3_jN6thrust23THRUST_200600_302600_NS6detail15normal_iteratorINSA_10device_ptrIxEEEEPS6_SG_NS0_5tupleIJSF_SF_EEENSH_IJSG_SG_EEES6_PlJ7is_evenIxEEEE10hipError_tPvRmT3_T4_T5_T6_T7_T9_mT8_P12ihipStream_tbDpT10_ENKUlT_T0_E_clISt17integral_constantIbLb1EES15_IbLb0EEEEDaS11_S12_EUlS11_E_NS1_11comp_targetILNS1_3genE2ELNS1_11target_archE906ELNS1_3gpuE6ELNS1_3repE0EEENS1_30default_config_static_selectorELNS0_4arch9wavefront6targetE1EEEvT1_
		.amdhsa_group_segment_fixed_size 0
		.amdhsa_private_segment_fixed_size 0
		.amdhsa_kernarg_size 120
		.amdhsa_user_sgpr_count 6
		.amdhsa_user_sgpr_private_segment_buffer 1
		.amdhsa_user_sgpr_dispatch_ptr 0
		.amdhsa_user_sgpr_queue_ptr 0
		.amdhsa_user_sgpr_kernarg_segment_ptr 1
		.amdhsa_user_sgpr_dispatch_id 0
		.amdhsa_user_sgpr_flat_scratch_init 0
		.amdhsa_user_sgpr_kernarg_preload_length 0
		.amdhsa_user_sgpr_kernarg_preload_offset 0
		.amdhsa_user_sgpr_private_segment_size 0
		.amdhsa_uses_dynamic_stack 0
		.amdhsa_system_sgpr_private_segment_wavefront_offset 0
		.amdhsa_system_sgpr_workgroup_id_x 1
		.amdhsa_system_sgpr_workgroup_id_y 0
		.amdhsa_system_sgpr_workgroup_id_z 0
		.amdhsa_system_sgpr_workgroup_info 0
		.amdhsa_system_vgpr_workitem_id 0
		.amdhsa_next_free_vgpr 1
		.amdhsa_next_free_sgpr 0
		.amdhsa_accum_offset 4
		.amdhsa_reserve_vcc 0
		.amdhsa_reserve_flat_scratch 0
		.amdhsa_float_round_mode_32 0
		.amdhsa_float_round_mode_16_64 0
		.amdhsa_float_denorm_mode_32 3
		.amdhsa_float_denorm_mode_16_64 3
		.amdhsa_dx10_clamp 1
		.amdhsa_ieee_mode 1
		.amdhsa_fp16_overflow 0
		.amdhsa_tg_split 0
		.amdhsa_exception_fp_ieee_invalid_op 0
		.amdhsa_exception_fp_denorm_src 0
		.amdhsa_exception_fp_ieee_div_zero 0
		.amdhsa_exception_fp_ieee_overflow 0
		.amdhsa_exception_fp_ieee_underflow 0
		.amdhsa_exception_fp_ieee_inexact 0
		.amdhsa_exception_int_div_zero 0
	.end_amdhsa_kernel
	.section	.text._ZN7rocprim17ROCPRIM_400000_NS6detail17trampoline_kernelINS0_14default_configENS1_25partition_config_selectorILNS1_17partition_subalgoE0ExNS0_10empty_typeEbEEZZNS1_14partition_implILS5_0ELb0ES3_jN6thrust23THRUST_200600_302600_NS6detail15normal_iteratorINSA_10device_ptrIxEEEEPS6_SG_NS0_5tupleIJSF_SF_EEENSH_IJSG_SG_EEES6_PlJ7is_evenIxEEEE10hipError_tPvRmT3_T4_T5_T6_T7_T9_mT8_P12ihipStream_tbDpT10_ENKUlT_T0_E_clISt17integral_constantIbLb1EES15_IbLb0EEEEDaS11_S12_EUlS11_E_NS1_11comp_targetILNS1_3genE2ELNS1_11target_archE906ELNS1_3gpuE6ELNS1_3repE0EEENS1_30default_config_static_selectorELNS0_4arch9wavefront6targetE1EEEvT1_,"axG",@progbits,_ZN7rocprim17ROCPRIM_400000_NS6detail17trampoline_kernelINS0_14default_configENS1_25partition_config_selectorILNS1_17partition_subalgoE0ExNS0_10empty_typeEbEEZZNS1_14partition_implILS5_0ELb0ES3_jN6thrust23THRUST_200600_302600_NS6detail15normal_iteratorINSA_10device_ptrIxEEEEPS6_SG_NS0_5tupleIJSF_SF_EEENSH_IJSG_SG_EEES6_PlJ7is_evenIxEEEE10hipError_tPvRmT3_T4_T5_T6_T7_T9_mT8_P12ihipStream_tbDpT10_ENKUlT_T0_E_clISt17integral_constantIbLb1EES15_IbLb0EEEEDaS11_S12_EUlS11_E_NS1_11comp_targetILNS1_3genE2ELNS1_11target_archE906ELNS1_3gpuE6ELNS1_3repE0EEENS1_30default_config_static_selectorELNS0_4arch9wavefront6targetE1EEEvT1_,comdat
.Lfunc_end309:
	.size	_ZN7rocprim17ROCPRIM_400000_NS6detail17trampoline_kernelINS0_14default_configENS1_25partition_config_selectorILNS1_17partition_subalgoE0ExNS0_10empty_typeEbEEZZNS1_14partition_implILS5_0ELb0ES3_jN6thrust23THRUST_200600_302600_NS6detail15normal_iteratorINSA_10device_ptrIxEEEEPS6_SG_NS0_5tupleIJSF_SF_EEENSH_IJSG_SG_EEES6_PlJ7is_evenIxEEEE10hipError_tPvRmT3_T4_T5_T6_T7_T9_mT8_P12ihipStream_tbDpT10_ENKUlT_T0_E_clISt17integral_constantIbLb1EES15_IbLb0EEEEDaS11_S12_EUlS11_E_NS1_11comp_targetILNS1_3genE2ELNS1_11target_archE906ELNS1_3gpuE6ELNS1_3repE0EEENS1_30default_config_static_selectorELNS0_4arch9wavefront6targetE1EEEvT1_, .Lfunc_end309-_ZN7rocprim17ROCPRIM_400000_NS6detail17trampoline_kernelINS0_14default_configENS1_25partition_config_selectorILNS1_17partition_subalgoE0ExNS0_10empty_typeEbEEZZNS1_14partition_implILS5_0ELb0ES3_jN6thrust23THRUST_200600_302600_NS6detail15normal_iteratorINSA_10device_ptrIxEEEEPS6_SG_NS0_5tupleIJSF_SF_EEENSH_IJSG_SG_EEES6_PlJ7is_evenIxEEEE10hipError_tPvRmT3_T4_T5_T6_T7_T9_mT8_P12ihipStream_tbDpT10_ENKUlT_T0_E_clISt17integral_constantIbLb1EES15_IbLb0EEEEDaS11_S12_EUlS11_E_NS1_11comp_targetILNS1_3genE2ELNS1_11target_archE906ELNS1_3gpuE6ELNS1_3repE0EEENS1_30default_config_static_selectorELNS0_4arch9wavefront6targetE1EEEvT1_
                                        ; -- End function
	.section	.AMDGPU.csdata,"",@progbits
; Kernel info:
; codeLenInByte = 0
; NumSgprs: 4
; NumVgprs: 0
; NumAgprs: 0
; TotalNumVgprs: 0
; ScratchSize: 0
; MemoryBound: 0
; FloatMode: 240
; IeeeMode: 1
; LDSByteSize: 0 bytes/workgroup (compile time only)
; SGPRBlocks: 0
; VGPRBlocks: 0
; NumSGPRsForWavesPerEU: 4
; NumVGPRsForWavesPerEU: 1
; AccumOffset: 4
; Occupancy: 8
; WaveLimiterHint : 0
; COMPUTE_PGM_RSRC2:SCRATCH_EN: 0
; COMPUTE_PGM_RSRC2:USER_SGPR: 6
; COMPUTE_PGM_RSRC2:TRAP_HANDLER: 0
; COMPUTE_PGM_RSRC2:TGID_X_EN: 1
; COMPUTE_PGM_RSRC2:TGID_Y_EN: 0
; COMPUTE_PGM_RSRC2:TGID_Z_EN: 0
; COMPUTE_PGM_RSRC2:TIDIG_COMP_CNT: 0
; COMPUTE_PGM_RSRC3_GFX90A:ACCUM_OFFSET: 0
; COMPUTE_PGM_RSRC3_GFX90A:TG_SPLIT: 0
	.section	.text._ZN7rocprim17ROCPRIM_400000_NS6detail17trampoline_kernelINS0_14default_configENS1_25partition_config_selectorILNS1_17partition_subalgoE0ExNS0_10empty_typeEbEEZZNS1_14partition_implILS5_0ELb0ES3_jN6thrust23THRUST_200600_302600_NS6detail15normal_iteratorINSA_10device_ptrIxEEEEPS6_SG_NS0_5tupleIJSF_SF_EEENSH_IJSG_SG_EEES6_PlJ7is_evenIxEEEE10hipError_tPvRmT3_T4_T5_T6_T7_T9_mT8_P12ihipStream_tbDpT10_ENKUlT_T0_E_clISt17integral_constantIbLb1EES15_IbLb0EEEEDaS11_S12_EUlS11_E_NS1_11comp_targetILNS1_3genE10ELNS1_11target_archE1200ELNS1_3gpuE4ELNS1_3repE0EEENS1_30default_config_static_selectorELNS0_4arch9wavefront6targetE1EEEvT1_,"axG",@progbits,_ZN7rocprim17ROCPRIM_400000_NS6detail17trampoline_kernelINS0_14default_configENS1_25partition_config_selectorILNS1_17partition_subalgoE0ExNS0_10empty_typeEbEEZZNS1_14partition_implILS5_0ELb0ES3_jN6thrust23THRUST_200600_302600_NS6detail15normal_iteratorINSA_10device_ptrIxEEEEPS6_SG_NS0_5tupleIJSF_SF_EEENSH_IJSG_SG_EEES6_PlJ7is_evenIxEEEE10hipError_tPvRmT3_T4_T5_T6_T7_T9_mT8_P12ihipStream_tbDpT10_ENKUlT_T0_E_clISt17integral_constantIbLb1EES15_IbLb0EEEEDaS11_S12_EUlS11_E_NS1_11comp_targetILNS1_3genE10ELNS1_11target_archE1200ELNS1_3gpuE4ELNS1_3repE0EEENS1_30default_config_static_selectorELNS0_4arch9wavefront6targetE1EEEvT1_,comdat
	.protected	_ZN7rocprim17ROCPRIM_400000_NS6detail17trampoline_kernelINS0_14default_configENS1_25partition_config_selectorILNS1_17partition_subalgoE0ExNS0_10empty_typeEbEEZZNS1_14partition_implILS5_0ELb0ES3_jN6thrust23THRUST_200600_302600_NS6detail15normal_iteratorINSA_10device_ptrIxEEEEPS6_SG_NS0_5tupleIJSF_SF_EEENSH_IJSG_SG_EEES6_PlJ7is_evenIxEEEE10hipError_tPvRmT3_T4_T5_T6_T7_T9_mT8_P12ihipStream_tbDpT10_ENKUlT_T0_E_clISt17integral_constantIbLb1EES15_IbLb0EEEEDaS11_S12_EUlS11_E_NS1_11comp_targetILNS1_3genE10ELNS1_11target_archE1200ELNS1_3gpuE4ELNS1_3repE0EEENS1_30default_config_static_selectorELNS0_4arch9wavefront6targetE1EEEvT1_ ; -- Begin function _ZN7rocprim17ROCPRIM_400000_NS6detail17trampoline_kernelINS0_14default_configENS1_25partition_config_selectorILNS1_17partition_subalgoE0ExNS0_10empty_typeEbEEZZNS1_14partition_implILS5_0ELb0ES3_jN6thrust23THRUST_200600_302600_NS6detail15normal_iteratorINSA_10device_ptrIxEEEEPS6_SG_NS0_5tupleIJSF_SF_EEENSH_IJSG_SG_EEES6_PlJ7is_evenIxEEEE10hipError_tPvRmT3_T4_T5_T6_T7_T9_mT8_P12ihipStream_tbDpT10_ENKUlT_T0_E_clISt17integral_constantIbLb1EES15_IbLb0EEEEDaS11_S12_EUlS11_E_NS1_11comp_targetILNS1_3genE10ELNS1_11target_archE1200ELNS1_3gpuE4ELNS1_3repE0EEENS1_30default_config_static_selectorELNS0_4arch9wavefront6targetE1EEEvT1_
	.globl	_ZN7rocprim17ROCPRIM_400000_NS6detail17trampoline_kernelINS0_14default_configENS1_25partition_config_selectorILNS1_17partition_subalgoE0ExNS0_10empty_typeEbEEZZNS1_14partition_implILS5_0ELb0ES3_jN6thrust23THRUST_200600_302600_NS6detail15normal_iteratorINSA_10device_ptrIxEEEEPS6_SG_NS0_5tupleIJSF_SF_EEENSH_IJSG_SG_EEES6_PlJ7is_evenIxEEEE10hipError_tPvRmT3_T4_T5_T6_T7_T9_mT8_P12ihipStream_tbDpT10_ENKUlT_T0_E_clISt17integral_constantIbLb1EES15_IbLb0EEEEDaS11_S12_EUlS11_E_NS1_11comp_targetILNS1_3genE10ELNS1_11target_archE1200ELNS1_3gpuE4ELNS1_3repE0EEENS1_30default_config_static_selectorELNS0_4arch9wavefront6targetE1EEEvT1_
	.p2align	8
	.type	_ZN7rocprim17ROCPRIM_400000_NS6detail17trampoline_kernelINS0_14default_configENS1_25partition_config_selectorILNS1_17partition_subalgoE0ExNS0_10empty_typeEbEEZZNS1_14partition_implILS5_0ELb0ES3_jN6thrust23THRUST_200600_302600_NS6detail15normal_iteratorINSA_10device_ptrIxEEEEPS6_SG_NS0_5tupleIJSF_SF_EEENSH_IJSG_SG_EEES6_PlJ7is_evenIxEEEE10hipError_tPvRmT3_T4_T5_T6_T7_T9_mT8_P12ihipStream_tbDpT10_ENKUlT_T0_E_clISt17integral_constantIbLb1EES15_IbLb0EEEEDaS11_S12_EUlS11_E_NS1_11comp_targetILNS1_3genE10ELNS1_11target_archE1200ELNS1_3gpuE4ELNS1_3repE0EEENS1_30default_config_static_selectorELNS0_4arch9wavefront6targetE1EEEvT1_,@function
_ZN7rocprim17ROCPRIM_400000_NS6detail17trampoline_kernelINS0_14default_configENS1_25partition_config_selectorILNS1_17partition_subalgoE0ExNS0_10empty_typeEbEEZZNS1_14partition_implILS5_0ELb0ES3_jN6thrust23THRUST_200600_302600_NS6detail15normal_iteratorINSA_10device_ptrIxEEEEPS6_SG_NS0_5tupleIJSF_SF_EEENSH_IJSG_SG_EEES6_PlJ7is_evenIxEEEE10hipError_tPvRmT3_T4_T5_T6_T7_T9_mT8_P12ihipStream_tbDpT10_ENKUlT_T0_E_clISt17integral_constantIbLb1EES15_IbLb0EEEEDaS11_S12_EUlS11_E_NS1_11comp_targetILNS1_3genE10ELNS1_11target_archE1200ELNS1_3gpuE4ELNS1_3repE0EEENS1_30default_config_static_selectorELNS0_4arch9wavefront6targetE1EEEvT1_: ; @_ZN7rocprim17ROCPRIM_400000_NS6detail17trampoline_kernelINS0_14default_configENS1_25partition_config_selectorILNS1_17partition_subalgoE0ExNS0_10empty_typeEbEEZZNS1_14partition_implILS5_0ELb0ES3_jN6thrust23THRUST_200600_302600_NS6detail15normal_iteratorINSA_10device_ptrIxEEEEPS6_SG_NS0_5tupleIJSF_SF_EEENSH_IJSG_SG_EEES6_PlJ7is_evenIxEEEE10hipError_tPvRmT3_T4_T5_T6_T7_T9_mT8_P12ihipStream_tbDpT10_ENKUlT_T0_E_clISt17integral_constantIbLb1EES15_IbLb0EEEEDaS11_S12_EUlS11_E_NS1_11comp_targetILNS1_3genE10ELNS1_11target_archE1200ELNS1_3gpuE4ELNS1_3repE0EEENS1_30default_config_static_selectorELNS0_4arch9wavefront6targetE1EEEvT1_
; %bb.0:
	.section	.rodata,"a",@progbits
	.p2align	6, 0x0
	.amdhsa_kernel _ZN7rocprim17ROCPRIM_400000_NS6detail17trampoline_kernelINS0_14default_configENS1_25partition_config_selectorILNS1_17partition_subalgoE0ExNS0_10empty_typeEbEEZZNS1_14partition_implILS5_0ELb0ES3_jN6thrust23THRUST_200600_302600_NS6detail15normal_iteratorINSA_10device_ptrIxEEEEPS6_SG_NS0_5tupleIJSF_SF_EEENSH_IJSG_SG_EEES6_PlJ7is_evenIxEEEE10hipError_tPvRmT3_T4_T5_T6_T7_T9_mT8_P12ihipStream_tbDpT10_ENKUlT_T0_E_clISt17integral_constantIbLb1EES15_IbLb0EEEEDaS11_S12_EUlS11_E_NS1_11comp_targetILNS1_3genE10ELNS1_11target_archE1200ELNS1_3gpuE4ELNS1_3repE0EEENS1_30default_config_static_selectorELNS0_4arch9wavefront6targetE1EEEvT1_
		.amdhsa_group_segment_fixed_size 0
		.amdhsa_private_segment_fixed_size 0
		.amdhsa_kernarg_size 120
		.amdhsa_user_sgpr_count 6
		.amdhsa_user_sgpr_private_segment_buffer 1
		.amdhsa_user_sgpr_dispatch_ptr 0
		.amdhsa_user_sgpr_queue_ptr 0
		.amdhsa_user_sgpr_kernarg_segment_ptr 1
		.amdhsa_user_sgpr_dispatch_id 0
		.amdhsa_user_sgpr_flat_scratch_init 0
		.amdhsa_user_sgpr_kernarg_preload_length 0
		.amdhsa_user_sgpr_kernarg_preload_offset 0
		.amdhsa_user_sgpr_private_segment_size 0
		.amdhsa_uses_dynamic_stack 0
		.amdhsa_system_sgpr_private_segment_wavefront_offset 0
		.amdhsa_system_sgpr_workgroup_id_x 1
		.amdhsa_system_sgpr_workgroup_id_y 0
		.amdhsa_system_sgpr_workgroup_id_z 0
		.amdhsa_system_sgpr_workgroup_info 0
		.amdhsa_system_vgpr_workitem_id 0
		.amdhsa_next_free_vgpr 1
		.amdhsa_next_free_sgpr 0
		.amdhsa_accum_offset 4
		.amdhsa_reserve_vcc 0
		.amdhsa_reserve_flat_scratch 0
		.amdhsa_float_round_mode_32 0
		.amdhsa_float_round_mode_16_64 0
		.amdhsa_float_denorm_mode_32 3
		.amdhsa_float_denorm_mode_16_64 3
		.amdhsa_dx10_clamp 1
		.amdhsa_ieee_mode 1
		.amdhsa_fp16_overflow 0
		.amdhsa_tg_split 0
		.amdhsa_exception_fp_ieee_invalid_op 0
		.amdhsa_exception_fp_denorm_src 0
		.amdhsa_exception_fp_ieee_div_zero 0
		.amdhsa_exception_fp_ieee_overflow 0
		.amdhsa_exception_fp_ieee_underflow 0
		.amdhsa_exception_fp_ieee_inexact 0
		.amdhsa_exception_int_div_zero 0
	.end_amdhsa_kernel
	.section	.text._ZN7rocprim17ROCPRIM_400000_NS6detail17trampoline_kernelINS0_14default_configENS1_25partition_config_selectorILNS1_17partition_subalgoE0ExNS0_10empty_typeEbEEZZNS1_14partition_implILS5_0ELb0ES3_jN6thrust23THRUST_200600_302600_NS6detail15normal_iteratorINSA_10device_ptrIxEEEEPS6_SG_NS0_5tupleIJSF_SF_EEENSH_IJSG_SG_EEES6_PlJ7is_evenIxEEEE10hipError_tPvRmT3_T4_T5_T6_T7_T9_mT8_P12ihipStream_tbDpT10_ENKUlT_T0_E_clISt17integral_constantIbLb1EES15_IbLb0EEEEDaS11_S12_EUlS11_E_NS1_11comp_targetILNS1_3genE10ELNS1_11target_archE1200ELNS1_3gpuE4ELNS1_3repE0EEENS1_30default_config_static_selectorELNS0_4arch9wavefront6targetE1EEEvT1_,"axG",@progbits,_ZN7rocprim17ROCPRIM_400000_NS6detail17trampoline_kernelINS0_14default_configENS1_25partition_config_selectorILNS1_17partition_subalgoE0ExNS0_10empty_typeEbEEZZNS1_14partition_implILS5_0ELb0ES3_jN6thrust23THRUST_200600_302600_NS6detail15normal_iteratorINSA_10device_ptrIxEEEEPS6_SG_NS0_5tupleIJSF_SF_EEENSH_IJSG_SG_EEES6_PlJ7is_evenIxEEEE10hipError_tPvRmT3_T4_T5_T6_T7_T9_mT8_P12ihipStream_tbDpT10_ENKUlT_T0_E_clISt17integral_constantIbLb1EES15_IbLb0EEEEDaS11_S12_EUlS11_E_NS1_11comp_targetILNS1_3genE10ELNS1_11target_archE1200ELNS1_3gpuE4ELNS1_3repE0EEENS1_30default_config_static_selectorELNS0_4arch9wavefront6targetE1EEEvT1_,comdat
.Lfunc_end310:
	.size	_ZN7rocprim17ROCPRIM_400000_NS6detail17trampoline_kernelINS0_14default_configENS1_25partition_config_selectorILNS1_17partition_subalgoE0ExNS0_10empty_typeEbEEZZNS1_14partition_implILS5_0ELb0ES3_jN6thrust23THRUST_200600_302600_NS6detail15normal_iteratorINSA_10device_ptrIxEEEEPS6_SG_NS0_5tupleIJSF_SF_EEENSH_IJSG_SG_EEES6_PlJ7is_evenIxEEEE10hipError_tPvRmT3_T4_T5_T6_T7_T9_mT8_P12ihipStream_tbDpT10_ENKUlT_T0_E_clISt17integral_constantIbLb1EES15_IbLb0EEEEDaS11_S12_EUlS11_E_NS1_11comp_targetILNS1_3genE10ELNS1_11target_archE1200ELNS1_3gpuE4ELNS1_3repE0EEENS1_30default_config_static_selectorELNS0_4arch9wavefront6targetE1EEEvT1_, .Lfunc_end310-_ZN7rocprim17ROCPRIM_400000_NS6detail17trampoline_kernelINS0_14default_configENS1_25partition_config_selectorILNS1_17partition_subalgoE0ExNS0_10empty_typeEbEEZZNS1_14partition_implILS5_0ELb0ES3_jN6thrust23THRUST_200600_302600_NS6detail15normal_iteratorINSA_10device_ptrIxEEEEPS6_SG_NS0_5tupleIJSF_SF_EEENSH_IJSG_SG_EEES6_PlJ7is_evenIxEEEE10hipError_tPvRmT3_T4_T5_T6_T7_T9_mT8_P12ihipStream_tbDpT10_ENKUlT_T0_E_clISt17integral_constantIbLb1EES15_IbLb0EEEEDaS11_S12_EUlS11_E_NS1_11comp_targetILNS1_3genE10ELNS1_11target_archE1200ELNS1_3gpuE4ELNS1_3repE0EEENS1_30default_config_static_selectorELNS0_4arch9wavefront6targetE1EEEvT1_
                                        ; -- End function
	.section	.AMDGPU.csdata,"",@progbits
; Kernel info:
; codeLenInByte = 0
; NumSgprs: 4
; NumVgprs: 0
; NumAgprs: 0
; TotalNumVgprs: 0
; ScratchSize: 0
; MemoryBound: 0
; FloatMode: 240
; IeeeMode: 1
; LDSByteSize: 0 bytes/workgroup (compile time only)
; SGPRBlocks: 0
; VGPRBlocks: 0
; NumSGPRsForWavesPerEU: 4
; NumVGPRsForWavesPerEU: 1
; AccumOffset: 4
; Occupancy: 8
; WaveLimiterHint : 0
; COMPUTE_PGM_RSRC2:SCRATCH_EN: 0
; COMPUTE_PGM_RSRC2:USER_SGPR: 6
; COMPUTE_PGM_RSRC2:TRAP_HANDLER: 0
; COMPUTE_PGM_RSRC2:TGID_X_EN: 1
; COMPUTE_PGM_RSRC2:TGID_Y_EN: 0
; COMPUTE_PGM_RSRC2:TGID_Z_EN: 0
; COMPUTE_PGM_RSRC2:TIDIG_COMP_CNT: 0
; COMPUTE_PGM_RSRC3_GFX90A:ACCUM_OFFSET: 0
; COMPUTE_PGM_RSRC3_GFX90A:TG_SPLIT: 0
	.section	.text._ZN7rocprim17ROCPRIM_400000_NS6detail17trampoline_kernelINS0_14default_configENS1_25partition_config_selectorILNS1_17partition_subalgoE0ExNS0_10empty_typeEbEEZZNS1_14partition_implILS5_0ELb0ES3_jN6thrust23THRUST_200600_302600_NS6detail15normal_iteratorINSA_10device_ptrIxEEEEPS6_SG_NS0_5tupleIJSF_SF_EEENSH_IJSG_SG_EEES6_PlJ7is_evenIxEEEE10hipError_tPvRmT3_T4_T5_T6_T7_T9_mT8_P12ihipStream_tbDpT10_ENKUlT_T0_E_clISt17integral_constantIbLb1EES15_IbLb0EEEEDaS11_S12_EUlS11_E_NS1_11comp_targetILNS1_3genE9ELNS1_11target_archE1100ELNS1_3gpuE3ELNS1_3repE0EEENS1_30default_config_static_selectorELNS0_4arch9wavefront6targetE1EEEvT1_,"axG",@progbits,_ZN7rocprim17ROCPRIM_400000_NS6detail17trampoline_kernelINS0_14default_configENS1_25partition_config_selectorILNS1_17partition_subalgoE0ExNS0_10empty_typeEbEEZZNS1_14partition_implILS5_0ELb0ES3_jN6thrust23THRUST_200600_302600_NS6detail15normal_iteratorINSA_10device_ptrIxEEEEPS6_SG_NS0_5tupleIJSF_SF_EEENSH_IJSG_SG_EEES6_PlJ7is_evenIxEEEE10hipError_tPvRmT3_T4_T5_T6_T7_T9_mT8_P12ihipStream_tbDpT10_ENKUlT_T0_E_clISt17integral_constantIbLb1EES15_IbLb0EEEEDaS11_S12_EUlS11_E_NS1_11comp_targetILNS1_3genE9ELNS1_11target_archE1100ELNS1_3gpuE3ELNS1_3repE0EEENS1_30default_config_static_selectorELNS0_4arch9wavefront6targetE1EEEvT1_,comdat
	.protected	_ZN7rocprim17ROCPRIM_400000_NS6detail17trampoline_kernelINS0_14default_configENS1_25partition_config_selectorILNS1_17partition_subalgoE0ExNS0_10empty_typeEbEEZZNS1_14partition_implILS5_0ELb0ES3_jN6thrust23THRUST_200600_302600_NS6detail15normal_iteratorINSA_10device_ptrIxEEEEPS6_SG_NS0_5tupleIJSF_SF_EEENSH_IJSG_SG_EEES6_PlJ7is_evenIxEEEE10hipError_tPvRmT3_T4_T5_T6_T7_T9_mT8_P12ihipStream_tbDpT10_ENKUlT_T0_E_clISt17integral_constantIbLb1EES15_IbLb0EEEEDaS11_S12_EUlS11_E_NS1_11comp_targetILNS1_3genE9ELNS1_11target_archE1100ELNS1_3gpuE3ELNS1_3repE0EEENS1_30default_config_static_selectorELNS0_4arch9wavefront6targetE1EEEvT1_ ; -- Begin function _ZN7rocprim17ROCPRIM_400000_NS6detail17trampoline_kernelINS0_14default_configENS1_25partition_config_selectorILNS1_17partition_subalgoE0ExNS0_10empty_typeEbEEZZNS1_14partition_implILS5_0ELb0ES3_jN6thrust23THRUST_200600_302600_NS6detail15normal_iteratorINSA_10device_ptrIxEEEEPS6_SG_NS0_5tupleIJSF_SF_EEENSH_IJSG_SG_EEES6_PlJ7is_evenIxEEEE10hipError_tPvRmT3_T4_T5_T6_T7_T9_mT8_P12ihipStream_tbDpT10_ENKUlT_T0_E_clISt17integral_constantIbLb1EES15_IbLb0EEEEDaS11_S12_EUlS11_E_NS1_11comp_targetILNS1_3genE9ELNS1_11target_archE1100ELNS1_3gpuE3ELNS1_3repE0EEENS1_30default_config_static_selectorELNS0_4arch9wavefront6targetE1EEEvT1_
	.globl	_ZN7rocprim17ROCPRIM_400000_NS6detail17trampoline_kernelINS0_14default_configENS1_25partition_config_selectorILNS1_17partition_subalgoE0ExNS0_10empty_typeEbEEZZNS1_14partition_implILS5_0ELb0ES3_jN6thrust23THRUST_200600_302600_NS6detail15normal_iteratorINSA_10device_ptrIxEEEEPS6_SG_NS0_5tupleIJSF_SF_EEENSH_IJSG_SG_EEES6_PlJ7is_evenIxEEEE10hipError_tPvRmT3_T4_T5_T6_T7_T9_mT8_P12ihipStream_tbDpT10_ENKUlT_T0_E_clISt17integral_constantIbLb1EES15_IbLb0EEEEDaS11_S12_EUlS11_E_NS1_11comp_targetILNS1_3genE9ELNS1_11target_archE1100ELNS1_3gpuE3ELNS1_3repE0EEENS1_30default_config_static_selectorELNS0_4arch9wavefront6targetE1EEEvT1_
	.p2align	8
	.type	_ZN7rocprim17ROCPRIM_400000_NS6detail17trampoline_kernelINS0_14default_configENS1_25partition_config_selectorILNS1_17partition_subalgoE0ExNS0_10empty_typeEbEEZZNS1_14partition_implILS5_0ELb0ES3_jN6thrust23THRUST_200600_302600_NS6detail15normal_iteratorINSA_10device_ptrIxEEEEPS6_SG_NS0_5tupleIJSF_SF_EEENSH_IJSG_SG_EEES6_PlJ7is_evenIxEEEE10hipError_tPvRmT3_T4_T5_T6_T7_T9_mT8_P12ihipStream_tbDpT10_ENKUlT_T0_E_clISt17integral_constantIbLb1EES15_IbLb0EEEEDaS11_S12_EUlS11_E_NS1_11comp_targetILNS1_3genE9ELNS1_11target_archE1100ELNS1_3gpuE3ELNS1_3repE0EEENS1_30default_config_static_selectorELNS0_4arch9wavefront6targetE1EEEvT1_,@function
_ZN7rocprim17ROCPRIM_400000_NS6detail17trampoline_kernelINS0_14default_configENS1_25partition_config_selectorILNS1_17partition_subalgoE0ExNS0_10empty_typeEbEEZZNS1_14partition_implILS5_0ELb0ES3_jN6thrust23THRUST_200600_302600_NS6detail15normal_iteratorINSA_10device_ptrIxEEEEPS6_SG_NS0_5tupleIJSF_SF_EEENSH_IJSG_SG_EEES6_PlJ7is_evenIxEEEE10hipError_tPvRmT3_T4_T5_T6_T7_T9_mT8_P12ihipStream_tbDpT10_ENKUlT_T0_E_clISt17integral_constantIbLb1EES15_IbLb0EEEEDaS11_S12_EUlS11_E_NS1_11comp_targetILNS1_3genE9ELNS1_11target_archE1100ELNS1_3gpuE3ELNS1_3repE0EEENS1_30default_config_static_selectorELNS0_4arch9wavefront6targetE1EEEvT1_: ; @_ZN7rocprim17ROCPRIM_400000_NS6detail17trampoline_kernelINS0_14default_configENS1_25partition_config_selectorILNS1_17partition_subalgoE0ExNS0_10empty_typeEbEEZZNS1_14partition_implILS5_0ELb0ES3_jN6thrust23THRUST_200600_302600_NS6detail15normal_iteratorINSA_10device_ptrIxEEEEPS6_SG_NS0_5tupleIJSF_SF_EEENSH_IJSG_SG_EEES6_PlJ7is_evenIxEEEE10hipError_tPvRmT3_T4_T5_T6_T7_T9_mT8_P12ihipStream_tbDpT10_ENKUlT_T0_E_clISt17integral_constantIbLb1EES15_IbLb0EEEEDaS11_S12_EUlS11_E_NS1_11comp_targetILNS1_3genE9ELNS1_11target_archE1100ELNS1_3gpuE3ELNS1_3repE0EEENS1_30default_config_static_selectorELNS0_4arch9wavefront6targetE1EEEvT1_
; %bb.0:
	.section	.rodata,"a",@progbits
	.p2align	6, 0x0
	.amdhsa_kernel _ZN7rocprim17ROCPRIM_400000_NS6detail17trampoline_kernelINS0_14default_configENS1_25partition_config_selectorILNS1_17partition_subalgoE0ExNS0_10empty_typeEbEEZZNS1_14partition_implILS5_0ELb0ES3_jN6thrust23THRUST_200600_302600_NS6detail15normal_iteratorINSA_10device_ptrIxEEEEPS6_SG_NS0_5tupleIJSF_SF_EEENSH_IJSG_SG_EEES6_PlJ7is_evenIxEEEE10hipError_tPvRmT3_T4_T5_T6_T7_T9_mT8_P12ihipStream_tbDpT10_ENKUlT_T0_E_clISt17integral_constantIbLb1EES15_IbLb0EEEEDaS11_S12_EUlS11_E_NS1_11comp_targetILNS1_3genE9ELNS1_11target_archE1100ELNS1_3gpuE3ELNS1_3repE0EEENS1_30default_config_static_selectorELNS0_4arch9wavefront6targetE1EEEvT1_
		.amdhsa_group_segment_fixed_size 0
		.amdhsa_private_segment_fixed_size 0
		.amdhsa_kernarg_size 120
		.amdhsa_user_sgpr_count 6
		.amdhsa_user_sgpr_private_segment_buffer 1
		.amdhsa_user_sgpr_dispatch_ptr 0
		.amdhsa_user_sgpr_queue_ptr 0
		.amdhsa_user_sgpr_kernarg_segment_ptr 1
		.amdhsa_user_sgpr_dispatch_id 0
		.amdhsa_user_sgpr_flat_scratch_init 0
		.amdhsa_user_sgpr_kernarg_preload_length 0
		.amdhsa_user_sgpr_kernarg_preload_offset 0
		.amdhsa_user_sgpr_private_segment_size 0
		.amdhsa_uses_dynamic_stack 0
		.amdhsa_system_sgpr_private_segment_wavefront_offset 0
		.amdhsa_system_sgpr_workgroup_id_x 1
		.amdhsa_system_sgpr_workgroup_id_y 0
		.amdhsa_system_sgpr_workgroup_id_z 0
		.amdhsa_system_sgpr_workgroup_info 0
		.amdhsa_system_vgpr_workitem_id 0
		.amdhsa_next_free_vgpr 1
		.amdhsa_next_free_sgpr 0
		.amdhsa_accum_offset 4
		.amdhsa_reserve_vcc 0
		.amdhsa_reserve_flat_scratch 0
		.amdhsa_float_round_mode_32 0
		.amdhsa_float_round_mode_16_64 0
		.amdhsa_float_denorm_mode_32 3
		.amdhsa_float_denorm_mode_16_64 3
		.amdhsa_dx10_clamp 1
		.amdhsa_ieee_mode 1
		.amdhsa_fp16_overflow 0
		.amdhsa_tg_split 0
		.amdhsa_exception_fp_ieee_invalid_op 0
		.amdhsa_exception_fp_denorm_src 0
		.amdhsa_exception_fp_ieee_div_zero 0
		.amdhsa_exception_fp_ieee_overflow 0
		.amdhsa_exception_fp_ieee_underflow 0
		.amdhsa_exception_fp_ieee_inexact 0
		.amdhsa_exception_int_div_zero 0
	.end_amdhsa_kernel
	.section	.text._ZN7rocprim17ROCPRIM_400000_NS6detail17trampoline_kernelINS0_14default_configENS1_25partition_config_selectorILNS1_17partition_subalgoE0ExNS0_10empty_typeEbEEZZNS1_14partition_implILS5_0ELb0ES3_jN6thrust23THRUST_200600_302600_NS6detail15normal_iteratorINSA_10device_ptrIxEEEEPS6_SG_NS0_5tupleIJSF_SF_EEENSH_IJSG_SG_EEES6_PlJ7is_evenIxEEEE10hipError_tPvRmT3_T4_T5_T6_T7_T9_mT8_P12ihipStream_tbDpT10_ENKUlT_T0_E_clISt17integral_constantIbLb1EES15_IbLb0EEEEDaS11_S12_EUlS11_E_NS1_11comp_targetILNS1_3genE9ELNS1_11target_archE1100ELNS1_3gpuE3ELNS1_3repE0EEENS1_30default_config_static_selectorELNS0_4arch9wavefront6targetE1EEEvT1_,"axG",@progbits,_ZN7rocprim17ROCPRIM_400000_NS6detail17trampoline_kernelINS0_14default_configENS1_25partition_config_selectorILNS1_17partition_subalgoE0ExNS0_10empty_typeEbEEZZNS1_14partition_implILS5_0ELb0ES3_jN6thrust23THRUST_200600_302600_NS6detail15normal_iteratorINSA_10device_ptrIxEEEEPS6_SG_NS0_5tupleIJSF_SF_EEENSH_IJSG_SG_EEES6_PlJ7is_evenIxEEEE10hipError_tPvRmT3_T4_T5_T6_T7_T9_mT8_P12ihipStream_tbDpT10_ENKUlT_T0_E_clISt17integral_constantIbLb1EES15_IbLb0EEEEDaS11_S12_EUlS11_E_NS1_11comp_targetILNS1_3genE9ELNS1_11target_archE1100ELNS1_3gpuE3ELNS1_3repE0EEENS1_30default_config_static_selectorELNS0_4arch9wavefront6targetE1EEEvT1_,comdat
.Lfunc_end311:
	.size	_ZN7rocprim17ROCPRIM_400000_NS6detail17trampoline_kernelINS0_14default_configENS1_25partition_config_selectorILNS1_17partition_subalgoE0ExNS0_10empty_typeEbEEZZNS1_14partition_implILS5_0ELb0ES3_jN6thrust23THRUST_200600_302600_NS6detail15normal_iteratorINSA_10device_ptrIxEEEEPS6_SG_NS0_5tupleIJSF_SF_EEENSH_IJSG_SG_EEES6_PlJ7is_evenIxEEEE10hipError_tPvRmT3_T4_T5_T6_T7_T9_mT8_P12ihipStream_tbDpT10_ENKUlT_T0_E_clISt17integral_constantIbLb1EES15_IbLb0EEEEDaS11_S12_EUlS11_E_NS1_11comp_targetILNS1_3genE9ELNS1_11target_archE1100ELNS1_3gpuE3ELNS1_3repE0EEENS1_30default_config_static_selectorELNS0_4arch9wavefront6targetE1EEEvT1_, .Lfunc_end311-_ZN7rocprim17ROCPRIM_400000_NS6detail17trampoline_kernelINS0_14default_configENS1_25partition_config_selectorILNS1_17partition_subalgoE0ExNS0_10empty_typeEbEEZZNS1_14partition_implILS5_0ELb0ES3_jN6thrust23THRUST_200600_302600_NS6detail15normal_iteratorINSA_10device_ptrIxEEEEPS6_SG_NS0_5tupleIJSF_SF_EEENSH_IJSG_SG_EEES6_PlJ7is_evenIxEEEE10hipError_tPvRmT3_T4_T5_T6_T7_T9_mT8_P12ihipStream_tbDpT10_ENKUlT_T0_E_clISt17integral_constantIbLb1EES15_IbLb0EEEEDaS11_S12_EUlS11_E_NS1_11comp_targetILNS1_3genE9ELNS1_11target_archE1100ELNS1_3gpuE3ELNS1_3repE0EEENS1_30default_config_static_selectorELNS0_4arch9wavefront6targetE1EEEvT1_
                                        ; -- End function
	.section	.AMDGPU.csdata,"",@progbits
; Kernel info:
; codeLenInByte = 0
; NumSgprs: 4
; NumVgprs: 0
; NumAgprs: 0
; TotalNumVgprs: 0
; ScratchSize: 0
; MemoryBound: 0
; FloatMode: 240
; IeeeMode: 1
; LDSByteSize: 0 bytes/workgroup (compile time only)
; SGPRBlocks: 0
; VGPRBlocks: 0
; NumSGPRsForWavesPerEU: 4
; NumVGPRsForWavesPerEU: 1
; AccumOffset: 4
; Occupancy: 8
; WaveLimiterHint : 0
; COMPUTE_PGM_RSRC2:SCRATCH_EN: 0
; COMPUTE_PGM_RSRC2:USER_SGPR: 6
; COMPUTE_PGM_RSRC2:TRAP_HANDLER: 0
; COMPUTE_PGM_RSRC2:TGID_X_EN: 1
; COMPUTE_PGM_RSRC2:TGID_Y_EN: 0
; COMPUTE_PGM_RSRC2:TGID_Z_EN: 0
; COMPUTE_PGM_RSRC2:TIDIG_COMP_CNT: 0
; COMPUTE_PGM_RSRC3_GFX90A:ACCUM_OFFSET: 0
; COMPUTE_PGM_RSRC3_GFX90A:TG_SPLIT: 0
	.section	.text._ZN7rocprim17ROCPRIM_400000_NS6detail17trampoline_kernelINS0_14default_configENS1_25partition_config_selectorILNS1_17partition_subalgoE0ExNS0_10empty_typeEbEEZZNS1_14partition_implILS5_0ELb0ES3_jN6thrust23THRUST_200600_302600_NS6detail15normal_iteratorINSA_10device_ptrIxEEEEPS6_SG_NS0_5tupleIJSF_SF_EEENSH_IJSG_SG_EEES6_PlJ7is_evenIxEEEE10hipError_tPvRmT3_T4_T5_T6_T7_T9_mT8_P12ihipStream_tbDpT10_ENKUlT_T0_E_clISt17integral_constantIbLb1EES15_IbLb0EEEEDaS11_S12_EUlS11_E_NS1_11comp_targetILNS1_3genE8ELNS1_11target_archE1030ELNS1_3gpuE2ELNS1_3repE0EEENS1_30default_config_static_selectorELNS0_4arch9wavefront6targetE1EEEvT1_,"axG",@progbits,_ZN7rocprim17ROCPRIM_400000_NS6detail17trampoline_kernelINS0_14default_configENS1_25partition_config_selectorILNS1_17partition_subalgoE0ExNS0_10empty_typeEbEEZZNS1_14partition_implILS5_0ELb0ES3_jN6thrust23THRUST_200600_302600_NS6detail15normal_iteratorINSA_10device_ptrIxEEEEPS6_SG_NS0_5tupleIJSF_SF_EEENSH_IJSG_SG_EEES6_PlJ7is_evenIxEEEE10hipError_tPvRmT3_T4_T5_T6_T7_T9_mT8_P12ihipStream_tbDpT10_ENKUlT_T0_E_clISt17integral_constantIbLb1EES15_IbLb0EEEEDaS11_S12_EUlS11_E_NS1_11comp_targetILNS1_3genE8ELNS1_11target_archE1030ELNS1_3gpuE2ELNS1_3repE0EEENS1_30default_config_static_selectorELNS0_4arch9wavefront6targetE1EEEvT1_,comdat
	.protected	_ZN7rocprim17ROCPRIM_400000_NS6detail17trampoline_kernelINS0_14default_configENS1_25partition_config_selectorILNS1_17partition_subalgoE0ExNS0_10empty_typeEbEEZZNS1_14partition_implILS5_0ELb0ES3_jN6thrust23THRUST_200600_302600_NS6detail15normal_iteratorINSA_10device_ptrIxEEEEPS6_SG_NS0_5tupleIJSF_SF_EEENSH_IJSG_SG_EEES6_PlJ7is_evenIxEEEE10hipError_tPvRmT3_T4_T5_T6_T7_T9_mT8_P12ihipStream_tbDpT10_ENKUlT_T0_E_clISt17integral_constantIbLb1EES15_IbLb0EEEEDaS11_S12_EUlS11_E_NS1_11comp_targetILNS1_3genE8ELNS1_11target_archE1030ELNS1_3gpuE2ELNS1_3repE0EEENS1_30default_config_static_selectorELNS0_4arch9wavefront6targetE1EEEvT1_ ; -- Begin function _ZN7rocprim17ROCPRIM_400000_NS6detail17trampoline_kernelINS0_14default_configENS1_25partition_config_selectorILNS1_17partition_subalgoE0ExNS0_10empty_typeEbEEZZNS1_14partition_implILS5_0ELb0ES3_jN6thrust23THRUST_200600_302600_NS6detail15normal_iteratorINSA_10device_ptrIxEEEEPS6_SG_NS0_5tupleIJSF_SF_EEENSH_IJSG_SG_EEES6_PlJ7is_evenIxEEEE10hipError_tPvRmT3_T4_T5_T6_T7_T9_mT8_P12ihipStream_tbDpT10_ENKUlT_T0_E_clISt17integral_constantIbLb1EES15_IbLb0EEEEDaS11_S12_EUlS11_E_NS1_11comp_targetILNS1_3genE8ELNS1_11target_archE1030ELNS1_3gpuE2ELNS1_3repE0EEENS1_30default_config_static_selectorELNS0_4arch9wavefront6targetE1EEEvT1_
	.globl	_ZN7rocprim17ROCPRIM_400000_NS6detail17trampoline_kernelINS0_14default_configENS1_25partition_config_selectorILNS1_17partition_subalgoE0ExNS0_10empty_typeEbEEZZNS1_14partition_implILS5_0ELb0ES3_jN6thrust23THRUST_200600_302600_NS6detail15normal_iteratorINSA_10device_ptrIxEEEEPS6_SG_NS0_5tupleIJSF_SF_EEENSH_IJSG_SG_EEES6_PlJ7is_evenIxEEEE10hipError_tPvRmT3_T4_T5_T6_T7_T9_mT8_P12ihipStream_tbDpT10_ENKUlT_T0_E_clISt17integral_constantIbLb1EES15_IbLb0EEEEDaS11_S12_EUlS11_E_NS1_11comp_targetILNS1_3genE8ELNS1_11target_archE1030ELNS1_3gpuE2ELNS1_3repE0EEENS1_30default_config_static_selectorELNS0_4arch9wavefront6targetE1EEEvT1_
	.p2align	8
	.type	_ZN7rocprim17ROCPRIM_400000_NS6detail17trampoline_kernelINS0_14default_configENS1_25partition_config_selectorILNS1_17partition_subalgoE0ExNS0_10empty_typeEbEEZZNS1_14partition_implILS5_0ELb0ES3_jN6thrust23THRUST_200600_302600_NS6detail15normal_iteratorINSA_10device_ptrIxEEEEPS6_SG_NS0_5tupleIJSF_SF_EEENSH_IJSG_SG_EEES6_PlJ7is_evenIxEEEE10hipError_tPvRmT3_T4_T5_T6_T7_T9_mT8_P12ihipStream_tbDpT10_ENKUlT_T0_E_clISt17integral_constantIbLb1EES15_IbLb0EEEEDaS11_S12_EUlS11_E_NS1_11comp_targetILNS1_3genE8ELNS1_11target_archE1030ELNS1_3gpuE2ELNS1_3repE0EEENS1_30default_config_static_selectorELNS0_4arch9wavefront6targetE1EEEvT1_,@function
_ZN7rocprim17ROCPRIM_400000_NS6detail17trampoline_kernelINS0_14default_configENS1_25partition_config_selectorILNS1_17partition_subalgoE0ExNS0_10empty_typeEbEEZZNS1_14partition_implILS5_0ELb0ES3_jN6thrust23THRUST_200600_302600_NS6detail15normal_iteratorINSA_10device_ptrIxEEEEPS6_SG_NS0_5tupleIJSF_SF_EEENSH_IJSG_SG_EEES6_PlJ7is_evenIxEEEE10hipError_tPvRmT3_T4_T5_T6_T7_T9_mT8_P12ihipStream_tbDpT10_ENKUlT_T0_E_clISt17integral_constantIbLb1EES15_IbLb0EEEEDaS11_S12_EUlS11_E_NS1_11comp_targetILNS1_3genE8ELNS1_11target_archE1030ELNS1_3gpuE2ELNS1_3repE0EEENS1_30default_config_static_selectorELNS0_4arch9wavefront6targetE1EEEvT1_: ; @_ZN7rocprim17ROCPRIM_400000_NS6detail17trampoline_kernelINS0_14default_configENS1_25partition_config_selectorILNS1_17partition_subalgoE0ExNS0_10empty_typeEbEEZZNS1_14partition_implILS5_0ELb0ES3_jN6thrust23THRUST_200600_302600_NS6detail15normal_iteratorINSA_10device_ptrIxEEEEPS6_SG_NS0_5tupleIJSF_SF_EEENSH_IJSG_SG_EEES6_PlJ7is_evenIxEEEE10hipError_tPvRmT3_T4_T5_T6_T7_T9_mT8_P12ihipStream_tbDpT10_ENKUlT_T0_E_clISt17integral_constantIbLb1EES15_IbLb0EEEEDaS11_S12_EUlS11_E_NS1_11comp_targetILNS1_3genE8ELNS1_11target_archE1030ELNS1_3gpuE2ELNS1_3repE0EEENS1_30default_config_static_selectorELNS0_4arch9wavefront6targetE1EEEvT1_
; %bb.0:
	.section	.rodata,"a",@progbits
	.p2align	6, 0x0
	.amdhsa_kernel _ZN7rocprim17ROCPRIM_400000_NS6detail17trampoline_kernelINS0_14default_configENS1_25partition_config_selectorILNS1_17partition_subalgoE0ExNS0_10empty_typeEbEEZZNS1_14partition_implILS5_0ELb0ES3_jN6thrust23THRUST_200600_302600_NS6detail15normal_iteratorINSA_10device_ptrIxEEEEPS6_SG_NS0_5tupleIJSF_SF_EEENSH_IJSG_SG_EEES6_PlJ7is_evenIxEEEE10hipError_tPvRmT3_T4_T5_T6_T7_T9_mT8_P12ihipStream_tbDpT10_ENKUlT_T0_E_clISt17integral_constantIbLb1EES15_IbLb0EEEEDaS11_S12_EUlS11_E_NS1_11comp_targetILNS1_3genE8ELNS1_11target_archE1030ELNS1_3gpuE2ELNS1_3repE0EEENS1_30default_config_static_selectorELNS0_4arch9wavefront6targetE1EEEvT1_
		.amdhsa_group_segment_fixed_size 0
		.amdhsa_private_segment_fixed_size 0
		.amdhsa_kernarg_size 120
		.amdhsa_user_sgpr_count 6
		.amdhsa_user_sgpr_private_segment_buffer 1
		.amdhsa_user_sgpr_dispatch_ptr 0
		.amdhsa_user_sgpr_queue_ptr 0
		.amdhsa_user_sgpr_kernarg_segment_ptr 1
		.amdhsa_user_sgpr_dispatch_id 0
		.amdhsa_user_sgpr_flat_scratch_init 0
		.amdhsa_user_sgpr_kernarg_preload_length 0
		.amdhsa_user_sgpr_kernarg_preload_offset 0
		.amdhsa_user_sgpr_private_segment_size 0
		.amdhsa_uses_dynamic_stack 0
		.amdhsa_system_sgpr_private_segment_wavefront_offset 0
		.amdhsa_system_sgpr_workgroup_id_x 1
		.amdhsa_system_sgpr_workgroup_id_y 0
		.amdhsa_system_sgpr_workgroup_id_z 0
		.amdhsa_system_sgpr_workgroup_info 0
		.amdhsa_system_vgpr_workitem_id 0
		.amdhsa_next_free_vgpr 1
		.amdhsa_next_free_sgpr 0
		.amdhsa_accum_offset 4
		.amdhsa_reserve_vcc 0
		.amdhsa_reserve_flat_scratch 0
		.amdhsa_float_round_mode_32 0
		.amdhsa_float_round_mode_16_64 0
		.amdhsa_float_denorm_mode_32 3
		.amdhsa_float_denorm_mode_16_64 3
		.amdhsa_dx10_clamp 1
		.amdhsa_ieee_mode 1
		.amdhsa_fp16_overflow 0
		.amdhsa_tg_split 0
		.amdhsa_exception_fp_ieee_invalid_op 0
		.amdhsa_exception_fp_denorm_src 0
		.amdhsa_exception_fp_ieee_div_zero 0
		.amdhsa_exception_fp_ieee_overflow 0
		.amdhsa_exception_fp_ieee_underflow 0
		.amdhsa_exception_fp_ieee_inexact 0
		.amdhsa_exception_int_div_zero 0
	.end_amdhsa_kernel
	.section	.text._ZN7rocprim17ROCPRIM_400000_NS6detail17trampoline_kernelINS0_14default_configENS1_25partition_config_selectorILNS1_17partition_subalgoE0ExNS0_10empty_typeEbEEZZNS1_14partition_implILS5_0ELb0ES3_jN6thrust23THRUST_200600_302600_NS6detail15normal_iteratorINSA_10device_ptrIxEEEEPS6_SG_NS0_5tupleIJSF_SF_EEENSH_IJSG_SG_EEES6_PlJ7is_evenIxEEEE10hipError_tPvRmT3_T4_T5_T6_T7_T9_mT8_P12ihipStream_tbDpT10_ENKUlT_T0_E_clISt17integral_constantIbLb1EES15_IbLb0EEEEDaS11_S12_EUlS11_E_NS1_11comp_targetILNS1_3genE8ELNS1_11target_archE1030ELNS1_3gpuE2ELNS1_3repE0EEENS1_30default_config_static_selectorELNS0_4arch9wavefront6targetE1EEEvT1_,"axG",@progbits,_ZN7rocprim17ROCPRIM_400000_NS6detail17trampoline_kernelINS0_14default_configENS1_25partition_config_selectorILNS1_17partition_subalgoE0ExNS0_10empty_typeEbEEZZNS1_14partition_implILS5_0ELb0ES3_jN6thrust23THRUST_200600_302600_NS6detail15normal_iteratorINSA_10device_ptrIxEEEEPS6_SG_NS0_5tupleIJSF_SF_EEENSH_IJSG_SG_EEES6_PlJ7is_evenIxEEEE10hipError_tPvRmT3_T4_T5_T6_T7_T9_mT8_P12ihipStream_tbDpT10_ENKUlT_T0_E_clISt17integral_constantIbLb1EES15_IbLb0EEEEDaS11_S12_EUlS11_E_NS1_11comp_targetILNS1_3genE8ELNS1_11target_archE1030ELNS1_3gpuE2ELNS1_3repE0EEENS1_30default_config_static_selectorELNS0_4arch9wavefront6targetE1EEEvT1_,comdat
.Lfunc_end312:
	.size	_ZN7rocprim17ROCPRIM_400000_NS6detail17trampoline_kernelINS0_14default_configENS1_25partition_config_selectorILNS1_17partition_subalgoE0ExNS0_10empty_typeEbEEZZNS1_14partition_implILS5_0ELb0ES3_jN6thrust23THRUST_200600_302600_NS6detail15normal_iteratorINSA_10device_ptrIxEEEEPS6_SG_NS0_5tupleIJSF_SF_EEENSH_IJSG_SG_EEES6_PlJ7is_evenIxEEEE10hipError_tPvRmT3_T4_T5_T6_T7_T9_mT8_P12ihipStream_tbDpT10_ENKUlT_T0_E_clISt17integral_constantIbLb1EES15_IbLb0EEEEDaS11_S12_EUlS11_E_NS1_11comp_targetILNS1_3genE8ELNS1_11target_archE1030ELNS1_3gpuE2ELNS1_3repE0EEENS1_30default_config_static_selectorELNS0_4arch9wavefront6targetE1EEEvT1_, .Lfunc_end312-_ZN7rocprim17ROCPRIM_400000_NS6detail17trampoline_kernelINS0_14default_configENS1_25partition_config_selectorILNS1_17partition_subalgoE0ExNS0_10empty_typeEbEEZZNS1_14partition_implILS5_0ELb0ES3_jN6thrust23THRUST_200600_302600_NS6detail15normal_iteratorINSA_10device_ptrIxEEEEPS6_SG_NS0_5tupleIJSF_SF_EEENSH_IJSG_SG_EEES6_PlJ7is_evenIxEEEE10hipError_tPvRmT3_T4_T5_T6_T7_T9_mT8_P12ihipStream_tbDpT10_ENKUlT_T0_E_clISt17integral_constantIbLb1EES15_IbLb0EEEEDaS11_S12_EUlS11_E_NS1_11comp_targetILNS1_3genE8ELNS1_11target_archE1030ELNS1_3gpuE2ELNS1_3repE0EEENS1_30default_config_static_selectorELNS0_4arch9wavefront6targetE1EEEvT1_
                                        ; -- End function
	.section	.AMDGPU.csdata,"",@progbits
; Kernel info:
; codeLenInByte = 0
; NumSgprs: 4
; NumVgprs: 0
; NumAgprs: 0
; TotalNumVgprs: 0
; ScratchSize: 0
; MemoryBound: 0
; FloatMode: 240
; IeeeMode: 1
; LDSByteSize: 0 bytes/workgroup (compile time only)
; SGPRBlocks: 0
; VGPRBlocks: 0
; NumSGPRsForWavesPerEU: 4
; NumVGPRsForWavesPerEU: 1
; AccumOffset: 4
; Occupancy: 8
; WaveLimiterHint : 0
; COMPUTE_PGM_RSRC2:SCRATCH_EN: 0
; COMPUTE_PGM_RSRC2:USER_SGPR: 6
; COMPUTE_PGM_RSRC2:TRAP_HANDLER: 0
; COMPUTE_PGM_RSRC2:TGID_X_EN: 1
; COMPUTE_PGM_RSRC2:TGID_Y_EN: 0
; COMPUTE_PGM_RSRC2:TGID_Z_EN: 0
; COMPUTE_PGM_RSRC2:TIDIG_COMP_CNT: 0
; COMPUTE_PGM_RSRC3_GFX90A:ACCUM_OFFSET: 0
; COMPUTE_PGM_RSRC3_GFX90A:TG_SPLIT: 0
	.section	.text._ZN7rocprim17ROCPRIM_400000_NS6detail17trampoline_kernelINS0_14default_configENS1_25partition_config_selectorILNS1_17partition_subalgoE0ExNS0_10empty_typeEbEEZZNS1_14partition_implILS5_0ELb0ES3_jN6thrust23THRUST_200600_302600_NS6detail15normal_iteratorINSA_10device_ptrIxEEEEPS6_SG_NS0_5tupleIJSF_SF_EEENSH_IJSG_SG_EEES6_PlJ7is_evenIxEEEE10hipError_tPvRmT3_T4_T5_T6_T7_T9_mT8_P12ihipStream_tbDpT10_ENKUlT_T0_E_clISt17integral_constantIbLb0EES15_IbLb1EEEEDaS11_S12_EUlS11_E_NS1_11comp_targetILNS1_3genE0ELNS1_11target_archE4294967295ELNS1_3gpuE0ELNS1_3repE0EEENS1_30default_config_static_selectorELNS0_4arch9wavefront6targetE1EEEvT1_,"axG",@progbits,_ZN7rocprim17ROCPRIM_400000_NS6detail17trampoline_kernelINS0_14default_configENS1_25partition_config_selectorILNS1_17partition_subalgoE0ExNS0_10empty_typeEbEEZZNS1_14partition_implILS5_0ELb0ES3_jN6thrust23THRUST_200600_302600_NS6detail15normal_iteratorINSA_10device_ptrIxEEEEPS6_SG_NS0_5tupleIJSF_SF_EEENSH_IJSG_SG_EEES6_PlJ7is_evenIxEEEE10hipError_tPvRmT3_T4_T5_T6_T7_T9_mT8_P12ihipStream_tbDpT10_ENKUlT_T0_E_clISt17integral_constantIbLb0EES15_IbLb1EEEEDaS11_S12_EUlS11_E_NS1_11comp_targetILNS1_3genE0ELNS1_11target_archE4294967295ELNS1_3gpuE0ELNS1_3repE0EEENS1_30default_config_static_selectorELNS0_4arch9wavefront6targetE1EEEvT1_,comdat
	.protected	_ZN7rocprim17ROCPRIM_400000_NS6detail17trampoline_kernelINS0_14default_configENS1_25partition_config_selectorILNS1_17partition_subalgoE0ExNS0_10empty_typeEbEEZZNS1_14partition_implILS5_0ELb0ES3_jN6thrust23THRUST_200600_302600_NS6detail15normal_iteratorINSA_10device_ptrIxEEEEPS6_SG_NS0_5tupleIJSF_SF_EEENSH_IJSG_SG_EEES6_PlJ7is_evenIxEEEE10hipError_tPvRmT3_T4_T5_T6_T7_T9_mT8_P12ihipStream_tbDpT10_ENKUlT_T0_E_clISt17integral_constantIbLb0EES15_IbLb1EEEEDaS11_S12_EUlS11_E_NS1_11comp_targetILNS1_3genE0ELNS1_11target_archE4294967295ELNS1_3gpuE0ELNS1_3repE0EEENS1_30default_config_static_selectorELNS0_4arch9wavefront6targetE1EEEvT1_ ; -- Begin function _ZN7rocprim17ROCPRIM_400000_NS6detail17trampoline_kernelINS0_14default_configENS1_25partition_config_selectorILNS1_17partition_subalgoE0ExNS0_10empty_typeEbEEZZNS1_14partition_implILS5_0ELb0ES3_jN6thrust23THRUST_200600_302600_NS6detail15normal_iteratorINSA_10device_ptrIxEEEEPS6_SG_NS0_5tupleIJSF_SF_EEENSH_IJSG_SG_EEES6_PlJ7is_evenIxEEEE10hipError_tPvRmT3_T4_T5_T6_T7_T9_mT8_P12ihipStream_tbDpT10_ENKUlT_T0_E_clISt17integral_constantIbLb0EES15_IbLb1EEEEDaS11_S12_EUlS11_E_NS1_11comp_targetILNS1_3genE0ELNS1_11target_archE4294967295ELNS1_3gpuE0ELNS1_3repE0EEENS1_30default_config_static_selectorELNS0_4arch9wavefront6targetE1EEEvT1_
	.globl	_ZN7rocprim17ROCPRIM_400000_NS6detail17trampoline_kernelINS0_14default_configENS1_25partition_config_selectorILNS1_17partition_subalgoE0ExNS0_10empty_typeEbEEZZNS1_14partition_implILS5_0ELb0ES3_jN6thrust23THRUST_200600_302600_NS6detail15normal_iteratorINSA_10device_ptrIxEEEEPS6_SG_NS0_5tupleIJSF_SF_EEENSH_IJSG_SG_EEES6_PlJ7is_evenIxEEEE10hipError_tPvRmT3_T4_T5_T6_T7_T9_mT8_P12ihipStream_tbDpT10_ENKUlT_T0_E_clISt17integral_constantIbLb0EES15_IbLb1EEEEDaS11_S12_EUlS11_E_NS1_11comp_targetILNS1_3genE0ELNS1_11target_archE4294967295ELNS1_3gpuE0ELNS1_3repE0EEENS1_30default_config_static_selectorELNS0_4arch9wavefront6targetE1EEEvT1_
	.p2align	8
	.type	_ZN7rocprim17ROCPRIM_400000_NS6detail17trampoline_kernelINS0_14default_configENS1_25partition_config_selectorILNS1_17partition_subalgoE0ExNS0_10empty_typeEbEEZZNS1_14partition_implILS5_0ELb0ES3_jN6thrust23THRUST_200600_302600_NS6detail15normal_iteratorINSA_10device_ptrIxEEEEPS6_SG_NS0_5tupleIJSF_SF_EEENSH_IJSG_SG_EEES6_PlJ7is_evenIxEEEE10hipError_tPvRmT3_T4_T5_T6_T7_T9_mT8_P12ihipStream_tbDpT10_ENKUlT_T0_E_clISt17integral_constantIbLb0EES15_IbLb1EEEEDaS11_S12_EUlS11_E_NS1_11comp_targetILNS1_3genE0ELNS1_11target_archE4294967295ELNS1_3gpuE0ELNS1_3repE0EEENS1_30default_config_static_selectorELNS0_4arch9wavefront6targetE1EEEvT1_,@function
_ZN7rocprim17ROCPRIM_400000_NS6detail17trampoline_kernelINS0_14default_configENS1_25partition_config_selectorILNS1_17partition_subalgoE0ExNS0_10empty_typeEbEEZZNS1_14partition_implILS5_0ELb0ES3_jN6thrust23THRUST_200600_302600_NS6detail15normal_iteratorINSA_10device_ptrIxEEEEPS6_SG_NS0_5tupleIJSF_SF_EEENSH_IJSG_SG_EEES6_PlJ7is_evenIxEEEE10hipError_tPvRmT3_T4_T5_T6_T7_T9_mT8_P12ihipStream_tbDpT10_ENKUlT_T0_E_clISt17integral_constantIbLb0EES15_IbLb1EEEEDaS11_S12_EUlS11_E_NS1_11comp_targetILNS1_3genE0ELNS1_11target_archE4294967295ELNS1_3gpuE0ELNS1_3repE0EEENS1_30default_config_static_selectorELNS0_4arch9wavefront6targetE1EEEvT1_: ; @_ZN7rocprim17ROCPRIM_400000_NS6detail17trampoline_kernelINS0_14default_configENS1_25partition_config_selectorILNS1_17partition_subalgoE0ExNS0_10empty_typeEbEEZZNS1_14partition_implILS5_0ELb0ES3_jN6thrust23THRUST_200600_302600_NS6detail15normal_iteratorINSA_10device_ptrIxEEEEPS6_SG_NS0_5tupleIJSF_SF_EEENSH_IJSG_SG_EEES6_PlJ7is_evenIxEEEE10hipError_tPvRmT3_T4_T5_T6_T7_T9_mT8_P12ihipStream_tbDpT10_ENKUlT_T0_E_clISt17integral_constantIbLb0EES15_IbLb1EEEEDaS11_S12_EUlS11_E_NS1_11comp_targetILNS1_3genE0ELNS1_11target_archE4294967295ELNS1_3gpuE0ELNS1_3repE0EEENS1_30default_config_static_selectorELNS0_4arch9wavefront6targetE1EEEvT1_
; %bb.0:
	.section	.rodata,"a",@progbits
	.p2align	6, 0x0
	.amdhsa_kernel _ZN7rocprim17ROCPRIM_400000_NS6detail17trampoline_kernelINS0_14default_configENS1_25partition_config_selectorILNS1_17partition_subalgoE0ExNS0_10empty_typeEbEEZZNS1_14partition_implILS5_0ELb0ES3_jN6thrust23THRUST_200600_302600_NS6detail15normal_iteratorINSA_10device_ptrIxEEEEPS6_SG_NS0_5tupleIJSF_SF_EEENSH_IJSG_SG_EEES6_PlJ7is_evenIxEEEE10hipError_tPvRmT3_T4_T5_T6_T7_T9_mT8_P12ihipStream_tbDpT10_ENKUlT_T0_E_clISt17integral_constantIbLb0EES15_IbLb1EEEEDaS11_S12_EUlS11_E_NS1_11comp_targetILNS1_3genE0ELNS1_11target_archE4294967295ELNS1_3gpuE0ELNS1_3repE0EEENS1_30default_config_static_selectorELNS0_4arch9wavefront6targetE1EEEvT1_
		.amdhsa_group_segment_fixed_size 0
		.amdhsa_private_segment_fixed_size 0
		.amdhsa_kernarg_size 136
		.amdhsa_user_sgpr_count 6
		.amdhsa_user_sgpr_private_segment_buffer 1
		.amdhsa_user_sgpr_dispatch_ptr 0
		.amdhsa_user_sgpr_queue_ptr 0
		.amdhsa_user_sgpr_kernarg_segment_ptr 1
		.amdhsa_user_sgpr_dispatch_id 0
		.amdhsa_user_sgpr_flat_scratch_init 0
		.amdhsa_user_sgpr_kernarg_preload_length 0
		.amdhsa_user_sgpr_kernarg_preload_offset 0
		.amdhsa_user_sgpr_private_segment_size 0
		.amdhsa_uses_dynamic_stack 0
		.amdhsa_system_sgpr_private_segment_wavefront_offset 0
		.amdhsa_system_sgpr_workgroup_id_x 1
		.amdhsa_system_sgpr_workgroup_id_y 0
		.amdhsa_system_sgpr_workgroup_id_z 0
		.amdhsa_system_sgpr_workgroup_info 0
		.amdhsa_system_vgpr_workitem_id 0
		.amdhsa_next_free_vgpr 1
		.amdhsa_next_free_sgpr 0
		.amdhsa_accum_offset 4
		.amdhsa_reserve_vcc 0
		.amdhsa_reserve_flat_scratch 0
		.amdhsa_float_round_mode_32 0
		.amdhsa_float_round_mode_16_64 0
		.amdhsa_float_denorm_mode_32 3
		.amdhsa_float_denorm_mode_16_64 3
		.amdhsa_dx10_clamp 1
		.amdhsa_ieee_mode 1
		.amdhsa_fp16_overflow 0
		.amdhsa_tg_split 0
		.amdhsa_exception_fp_ieee_invalid_op 0
		.amdhsa_exception_fp_denorm_src 0
		.amdhsa_exception_fp_ieee_div_zero 0
		.amdhsa_exception_fp_ieee_overflow 0
		.amdhsa_exception_fp_ieee_underflow 0
		.amdhsa_exception_fp_ieee_inexact 0
		.amdhsa_exception_int_div_zero 0
	.end_amdhsa_kernel
	.section	.text._ZN7rocprim17ROCPRIM_400000_NS6detail17trampoline_kernelINS0_14default_configENS1_25partition_config_selectorILNS1_17partition_subalgoE0ExNS0_10empty_typeEbEEZZNS1_14partition_implILS5_0ELb0ES3_jN6thrust23THRUST_200600_302600_NS6detail15normal_iteratorINSA_10device_ptrIxEEEEPS6_SG_NS0_5tupleIJSF_SF_EEENSH_IJSG_SG_EEES6_PlJ7is_evenIxEEEE10hipError_tPvRmT3_T4_T5_T6_T7_T9_mT8_P12ihipStream_tbDpT10_ENKUlT_T0_E_clISt17integral_constantIbLb0EES15_IbLb1EEEEDaS11_S12_EUlS11_E_NS1_11comp_targetILNS1_3genE0ELNS1_11target_archE4294967295ELNS1_3gpuE0ELNS1_3repE0EEENS1_30default_config_static_selectorELNS0_4arch9wavefront6targetE1EEEvT1_,"axG",@progbits,_ZN7rocprim17ROCPRIM_400000_NS6detail17trampoline_kernelINS0_14default_configENS1_25partition_config_selectorILNS1_17partition_subalgoE0ExNS0_10empty_typeEbEEZZNS1_14partition_implILS5_0ELb0ES3_jN6thrust23THRUST_200600_302600_NS6detail15normal_iteratorINSA_10device_ptrIxEEEEPS6_SG_NS0_5tupleIJSF_SF_EEENSH_IJSG_SG_EEES6_PlJ7is_evenIxEEEE10hipError_tPvRmT3_T4_T5_T6_T7_T9_mT8_P12ihipStream_tbDpT10_ENKUlT_T0_E_clISt17integral_constantIbLb0EES15_IbLb1EEEEDaS11_S12_EUlS11_E_NS1_11comp_targetILNS1_3genE0ELNS1_11target_archE4294967295ELNS1_3gpuE0ELNS1_3repE0EEENS1_30default_config_static_selectorELNS0_4arch9wavefront6targetE1EEEvT1_,comdat
.Lfunc_end313:
	.size	_ZN7rocprim17ROCPRIM_400000_NS6detail17trampoline_kernelINS0_14default_configENS1_25partition_config_selectorILNS1_17partition_subalgoE0ExNS0_10empty_typeEbEEZZNS1_14partition_implILS5_0ELb0ES3_jN6thrust23THRUST_200600_302600_NS6detail15normal_iteratorINSA_10device_ptrIxEEEEPS6_SG_NS0_5tupleIJSF_SF_EEENSH_IJSG_SG_EEES6_PlJ7is_evenIxEEEE10hipError_tPvRmT3_T4_T5_T6_T7_T9_mT8_P12ihipStream_tbDpT10_ENKUlT_T0_E_clISt17integral_constantIbLb0EES15_IbLb1EEEEDaS11_S12_EUlS11_E_NS1_11comp_targetILNS1_3genE0ELNS1_11target_archE4294967295ELNS1_3gpuE0ELNS1_3repE0EEENS1_30default_config_static_selectorELNS0_4arch9wavefront6targetE1EEEvT1_, .Lfunc_end313-_ZN7rocprim17ROCPRIM_400000_NS6detail17trampoline_kernelINS0_14default_configENS1_25partition_config_selectorILNS1_17partition_subalgoE0ExNS0_10empty_typeEbEEZZNS1_14partition_implILS5_0ELb0ES3_jN6thrust23THRUST_200600_302600_NS6detail15normal_iteratorINSA_10device_ptrIxEEEEPS6_SG_NS0_5tupleIJSF_SF_EEENSH_IJSG_SG_EEES6_PlJ7is_evenIxEEEE10hipError_tPvRmT3_T4_T5_T6_T7_T9_mT8_P12ihipStream_tbDpT10_ENKUlT_T0_E_clISt17integral_constantIbLb0EES15_IbLb1EEEEDaS11_S12_EUlS11_E_NS1_11comp_targetILNS1_3genE0ELNS1_11target_archE4294967295ELNS1_3gpuE0ELNS1_3repE0EEENS1_30default_config_static_selectorELNS0_4arch9wavefront6targetE1EEEvT1_
                                        ; -- End function
	.section	.AMDGPU.csdata,"",@progbits
; Kernel info:
; codeLenInByte = 0
; NumSgprs: 4
; NumVgprs: 0
; NumAgprs: 0
; TotalNumVgprs: 0
; ScratchSize: 0
; MemoryBound: 0
; FloatMode: 240
; IeeeMode: 1
; LDSByteSize: 0 bytes/workgroup (compile time only)
; SGPRBlocks: 0
; VGPRBlocks: 0
; NumSGPRsForWavesPerEU: 4
; NumVGPRsForWavesPerEU: 1
; AccumOffset: 4
; Occupancy: 8
; WaveLimiterHint : 0
; COMPUTE_PGM_RSRC2:SCRATCH_EN: 0
; COMPUTE_PGM_RSRC2:USER_SGPR: 6
; COMPUTE_PGM_RSRC2:TRAP_HANDLER: 0
; COMPUTE_PGM_RSRC2:TGID_X_EN: 1
; COMPUTE_PGM_RSRC2:TGID_Y_EN: 0
; COMPUTE_PGM_RSRC2:TGID_Z_EN: 0
; COMPUTE_PGM_RSRC2:TIDIG_COMP_CNT: 0
; COMPUTE_PGM_RSRC3_GFX90A:ACCUM_OFFSET: 0
; COMPUTE_PGM_RSRC3_GFX90A:TG_SPLIT: 0
	.section	.text._ZN7rocprim17ROCPRIM_400000_NS6detail17trampoline_kernelINS0_14default_configENS1_25partition_config_selectorILNS1_17partition_subalgoE0ExNS0_10empty_typeEbEEZZNS1_14partition_implILS5_0ELb0ES3_jN6thrust23THRUST_200600_302600_NS6detail15normal_iteratorINSA_10device_ptrIxEEEEPS6_SG_NS0_5tupleIJSF_SF_EEENSH_IJSG_SG_EEES6_PlJ7is_evenIxEEEE10hipError_tPvRmT3_T4_T5_T6_T7_T9_mT8_P12ihipStream_tbDpT10_ENKUlT_T0_E_clISt17integral_constantIbLb0EES15_IbLb1EEEEDaS11_S12_EUlS11_E_NS1_11comp_targetILNS1_3genE5ELNS1_11target_archE942ELNS1_3gpuE9ELNS1_3repE0EEENS1_30default_config_static_selectorELNS0_4arch9wavefront6targetE1EEEvT1_,"axG",@progbits,_ZN7rocprim17ROCPRIM_400000_NS6detail17trampoline_kernelINS0_14default_configENS1_25partition_config_selectorILNS1_17partition_subalgoE0ExNS0_10empty_typeEbEEZZNS1_14partition_implILS5_0ELb0ES3_jN6thrust23THRUST_200600_302600_NS6detail15normal_iteratorINSA_10device_ptrIxEEEEPS6_SG_NS0_5tupleIJSF_SF_EEENSH_IJSG_SG_EEES6_PlJ7is_evenIxEEEE10hipError_tPvRmT3_T4_T5_T6_T7_T9_mT8_P12ihipStream_tbDpT10_ENKUlT_T0_E_clISt17integral_constantIbLb0EES15_IbLb1EEEEDaS11_S12_EUlS11_E_NS1_11comp_targetILNS1_3genE5ELNS1_11target_archE942ELNS1_3gpuE9ELNS1_3repE0EEENS1_30default_config_static_selectorELNS0_4arch9wavefront6targetE1EEEvT1_,comdat
	.protected	_ZN7rocprim17ROCPRIM_400000_NS6detail17trampoline_kernelINS0_14default_configENS1_25partition_config_selectorILNS1_17partition_subalgoE0ExNS0_10empty_typeEbEEZZNS1_14partition_implILS5_0ELb0ES3_jN6thrust23THRUST_200600_302600_NS6detail15normal_iteratorINSA_10device_ptrIxEEEEPS6_SG_NS0_5tupleIJSF_SF_EEENSH_IJSG_SG_EEES6_PlJ7is_evenIxEEEE10hipError_tPvRmT3_T4_T5_T6_T7_T9_mT8_P12ihipStream_tbDpT10_ENKUlT_T0_E_clISt17integral_constantIbLb0EES15_IbLb1EEEEDaS11_S12_EUlS11_E_NS1_11comp_targetILNS1_3genE5ELNS1_11target_archE942ELNS1_3gpuE9ELNS1_3repE0EEENS1_30default_config_static_selectorELNS0_4arch9wavefront6targetE1EEEvT1_ ; -- Begin function _ZN7rocprim17ROCPRIM_400000_NS6detail17trampoline_kernelINS0_14default_configENS1_25partition_config_selectorILNS1_17partition_subalgoE0ExNS0_10empty_typeEbEEZZNS1_14partition_implILS5_0ELb0ES3_jN6thrust23THRUST_200600_302600_NS6detail15normal_iteratorINSA_10device_ptrIxEEEEPS6_SG_NS0_5tupleIJSF_SF_EEENSH_IJSG_SG_EEES6_PlJ7is_evenIxEEEE10hipError_tPvRmT3_T4_T5_T6_T7_T9_mT8_P12ihipStream_tbDpT10_ENKUlT_T0_E_clISt17integral_constantIbLb0EES15_IbLb1EEEEDaS11_S12_EUlS11_E_NS1_11comp_targetILNS1_3genE5ELNS1_11target_archE942ELNS1_3gpuE9ELNS1_3repE0EEENS1_30default_config_static_selectorELNS0_4arch9wavefront6targetE1EEEvT1_
	.globl	_ZN7rocprim17ROCPRIM_400000_NS6detail17trampoline_kernelINS0_14default_configENS1_25partition_config_selectorILNS1_17partition_subalgoE0ExNS0_10empty_typeEbEEZZNS1_14partition_implILS5_0ELb0ES3_jN6thrust23THRUST_200600_302600_NS6detail15normal_iteratorINSA_10device_ptrIxEEEEPS6_SG_NS0_5tupleIJSF_SF_EEENSH_IJSG_SG_EEES6_PlJ7is_evenIxEEEE10hipError_tPvRmT3_T4_T5_T6_T7_T9_mT8_P12ihipStream_tbDpT10_ENKUlT_T0_E_clISt17integral_constantIbLb0EES15_IbLb1EEEEDaS11_S12_EUlS11_E_NS1_11comp_targetILNS1_3genE5ELNS1_11target_archE942ELNS1_3gpuE9ELNS1_3repE0EEENS1_30default_config_static_selectorELNS0_4arch9wavefront6targetE1EEEvT1_
	.p2align	8
	.type	_ZN7rocprim17ROCPRIM_400000_NS6detail17trampoline_kernelINS0_14default_configENS1_25partition_config_selectorILNS1_17partition_subalgoE0ExNS0_10empty_typeEbEEZZNS1_14partition_implILS5_0ELb0ES3_jN6thrust23THRUST_200600_302600_NS6detail15normal_iteratorINSA_10device_ptrIxEEEEPS6_SG_NS0_5tupleIJSF_SF_EEENSH_IJSG_SG_EEES6_PlJ7is_evenIxEEEE10hipError_tPvRmT3_T4_T5_T6_T7_T9_mT8_P12ihipStream_tbDpT10_ENKUlT_T0_E_clISt17integral_constantIbLb0EES15_IbLb1EEEEDaS11_S12_EUlS11_E_NS1_11comp_targetILNS1_3genE5ELNS1_11target_archE942ELNS1_3gpuE9ELNS1_3repE0EEENS1_30default_config_static_selectorELNS0_4arch9wavefront6targetE1EEEvT1_,@function
_ZN7rocprim17ROCPRIM_400000_NS6detail17trampoline_kernelINS0_14default_configENS1_25partition_config_selectorILNS1_17partition_subalgoE0ExNS0_10empty_typeEbEEZZNS1_14partition_implILS5_0ELb0ES3_jN6thrust23THRUST_200600_302600_NS6detail15normal_iteratorINSA_10device_ptrIxEEEEPS6_SG_NS0_5tupleIJSF_SF_EEENSH_IJSG_SG_EEES6_PlJ7is_evenIxEEEE10hipError_tPvRmT3_T4_T5_T6_T7_T9_mT8_P12ihipStream_tbDpT10_ENKUlT_T0_E_clISt17integral_constantIbLb0EES15_IbLb1EEEEDaS11_S12_EUlS11_E_NS1_11comp_targetILNS1_3genE5ELNS1_11target_archE942ELNS1_3gpuE9ELNS1_3repE0EEENS1_30default_config_static_selectorELNS0_4arch9wavefront6targetE1EEEvT1_: ; @_ZN7rocprim17ROCPRIM_400000_NS6detail17trampoline_kernelINS0_14default_configENS1_25partition_config_selectorILNS1_17partition_subalgoE0ExNS0_10empty_typeEbEEZZNS1_14partition_implILS5_0ELb0ES3_jN6thrust23THRUST_200600_302600_NS6detail15normal_iteratorINSA_10device_ptrIxEEEEPS6_SG_NS0_5tupleIJSF_SF_EEENSH_IJSG_SG_EEES6_PlJ7is_evenIxEEEE10hipError_tPvRmT3_T4_T5_T6_T7_T9_mT8_P12ihipStream_tbDpT10_ENKUlT_T0_E_clISt17integral_constantIbLb0EES15_IbLb1EEEEDaS11_S12_EUlS11_E_NS1_11comp_targetILNS1_3genE5ELNS1_11target_archE942ELNS1_3gpuE9ELNS1_3repE0EEENS1_30default_config_static_selectorELNS0_4arch9wavefront6targetE1EEEvT1_
; %bb.0:
	.section	.rodata,"a",@progbits
	.p2align	6, 0x0
	.amdhsa_kernel _ZN7rocprim17ROCPRIM_400000_NS6detail17trampoline_kernelINS0_14default_configENS1_25partition_config_selectorILNS1_17partition_subalgoE0ExNS0_10empty_typeEbEEZZNS1_14partition_implILS5_0ELb0ES3_jN6thrust23THRUST_200600_302600_NS6detail15normal_iteratorINSA_10device_ptrIxEEEEPS6_SG_NS0_5tupleIJSF_SF_EEENSH_IJSG_SG_EEES6_PlJ7is_evenIxEEEE10hipError_tPvRmT3_T4_T5_T6_T7_T9_mT8_P12ihipStream_tbDpT10_ENKUlT_T0_E_clISt17integral_constantIbLb0EES15_IbLb1EEEEDaS11_S12_EUlS11_E_NS1_11comp_targetILNS1_3genE5ELNS1_11target_archE942ELNS1_3gpuE9ELNS1_3repE0EEENS1_30default_config_static_selectorELNS0_4arch9wavefront6targetE1EEEvT1_
		.amdhsa_group_segment_fixed_size 0
		.amdhsa_private_segment_fixed_size 0
		.amdhsa_kernarg_size 136
		.amdhsa_user_sgpr_count 6
		.amdhsa_user_sgpr_private_segment_buffer 1
		.amdhsa_user_sgpr_dispatch_ptr 0
		.amdhsa_user_sgpr_queue_ptr 0
		.amdhsa_user_sgpr_kernarg_segment_ptr 1
		.amdhsa_user_sgpr_dispatch_id 0
		.amdhsa_user_sgpr_flat_scratch_init 0
		.amdhsa_user_sgpr_kernarg_preload_length 0
		.amdhsa_user_sgpr_kernarg_preload_offset 0
		.amdhsa_user_sgpr_private_segment_size 0
		.amdhsa_uses_dynamic_stack 0
		.amdhsa_system_sgpr_private_segment_wavefront_offset 0
		.amdhsa_system_sgpr_workgroup_id_x 1
		.amdhsa_system_sgpr_workgroup_id_y 0
		.amdhsa_system_sgpr_workgroup_id_z 0
		.amdhsa_system_sgpr_workgroup_info 0
		.amdhsa_system_vgpr_workitem_id 0
		.amdhsa_next_free_vgpr 1
		.amdhsa_next_free_sgpr 0
		.amdhsa_accum_offset 4
		.amdhsa_reserve_vcc 0
		.amdhsa_reserve_flat_scratch 0
		.amdhsa_float_round_mode_32 0
		.amdhsa_float_round_mode_16_64 0
		.amdhsa_float_denorm_mode_32 3
		.amdhsa_float_denorm_mode_16_64 3
		.amdhsa_dx10_clamp 1
		.amdhsa_ieee_mode 1
		.amdhsa_fp16_overflow 0
		.amdhsa_tg_split 0
		.amdhsa_exception_fp_ieee_invalid_op 0
		.amdhsa_exception_fp_denorm_src 0
		.amdhsa_exception_fp_ieee_div_zero 0
		.amdhsa_exception_fp_ieee_overflow 0
		.amdhsa_exception_fp_ieee_underflow 0
		.amdhsa_exception_fp_ieee_inexact 0
		.amdhsa_exception_int_div_zero 0
	.end_amdhsa_kernel
	.section	.text._ZN7rocprim17ROCPRIM_400000_NS6detail17trampoline_kernelINS0_14default_configENS1_25partition_config_selectorILNS1_17partition_subalgoE0ExNS0_10empty_typeEbEEZZNS1_14partition_implILS5_0ELb0ES3_jN6thrust23THRUST_200600_302600_NS6detail15normal_iteratorINSA_10device_ptrIxEEEEPS6_SG_NS0_5tupleIJSF_SF_EEENSH_IJSG_SG_EEES6_PlJ7is_evenIxEEEE10hipError_tPvRmT3_T4_T5_T6_T7_T9_mT8_P12ihipStream_tbDpT10_ENKUlT_T0_E_clISt17integral_constantIbLb0EES15_IbLb1EEEEDaS11_S12_EUlS11_E_NS1_11comp_targetILNS1_3genE5ELNS1_11target_archE942ELNS1_3gpuE9ELNS1_3repE0EEENS1_30default_config_static_selectorELNS0_4arch9wavefront6targetE1EEEvT1_,"axG",@progbits,_ZN7rocprim17ROCPRIM_400000_NS6detail17trampoline_kernelINS0_14default_configENS1_25partition_config_selectorILNS1_17partition_subalgoE0ExNS0_10empty_typeEbEEZZNS1_14partition_implILS5_0ELb0ES3_jN6thrust23THRUST_200600_302600_NS6detail15normal_iteratorINSA_10device_ptrIxEEEEPS6_SG_NS0_5tupleIJSF_SF_EEENSH_IJSG_SG_EEES6_PlJ7is_evenIxEEEE10hipError_tPvRmT3_T4_T5_T6_T7_T9_mT8_P12ihipStream_tbDpT10_ENKUlT_T0_E_clISt17integral_constantIbLb0EES15_IbLb1EEEEDaS11_S12_EUlS11_E_NS1_11comp_targetILNS1_3genE5ELNS1_11target_archE942ELNS1_3gpuE9ELNS1_3repE0EEENS1_30default_config_static_selectorELNS0_4arch9wavefront6targetE1EEEvT1_,comdat
.Lfunc_end314:
	.size	_ZN7rocprim17ROCPRIM_400000_NS6detail17trampoline_kernelINS0_14default_configENS1_25partition_config_selectorILNS1_17partition_subalgoE0ExNS0_10empty_typeEbEEZZNS1_14partition_implILS5_0ELb0ES3_jN6thrust23THRUST_200600_302600_NS6detail15normal_iteratorINSA_10device_ptrIxEEEEPS6_SG_NS0_5tupleIJSF_SF_EEENSH_IJSG_SG_EEES6_PlJ7is_evenIxEEEE10hipError_tPvRmT3_T4_T5_T6_T7_T9_mT8_P12ihipStream_tbDpT10_ENKUlT_T0_E_clISt17integral_constantIbLb0EES15_IbLb1EEEEDaS11_S12_EUlS11_E_NS1_11comp_targetILNS1_3genE5ELNS1_11target_archE942ELNS1_3gpuE9ELNS1_3repE0EEENS1_30default_config_static_selectorELNS0_4arch9wavefront6targetE1EEEvT1_, .Lfunc_end314-_ZN7rocprim17ROCPRIM_400000_NS6detail17trampoline_kernelINS0_14default_configENS1_25partition_config_selectorILNS1_17partition_subalgoE0ExNS0_10empty_typeEbEEZZNS1_14partition_implILS5_0ELb0ES3_jN6thrust23THRUST_200600_302600_NS6detail15normal_iteratorINSA_10device_ptrIxEEEEPS6_SG_NS0_5tupleIJSF_SF_EEENSH_IJSG_SG_EEES6_PlJ7is_evenIxEEEE10hipError_tPvRmT3_T4_T5_T6_T7_T9_mT8_P12ihipStream_tbDpT10_ENKUlT_T0_E_clISt17integral_constantIbLb0EES15_IbLb1EEEEDaS11_S12_EUlS11_E_NS1_11comp_targetILNS1_3genE5ELNS1_11target_archE942ELNS1_3gpuE9ELNS1_3repE0EEENS1_30default_config_static_selectorELNS0_4arch9wavefront6targetE1EEEvT1_
                                        ; -- End function
	.section	.AMDGPU.csdata,"",@progbits
; Kernel info:
; codeLenInByte = 0
; NumSgprs: 4
; NumVgprs: 0
; NumAgprs: 0
; TotalNumVgprs: 0
; ScratchSize: 0
; MemoryBound: 0
; FloatMode: 240
; IeeeMode: 1
; LDSByteSize: 0 bytes/workgroup (compile time only)
; SGPRBlocks: 0
; VGPRBlocks: 0
; NumSGPRsForWavesPerEU: 4
; NumVGPRsForWavesPerEU: 1
; AccumOffset: 4
; Occupancy: 8
; WaveLimiterHint : 0
; COMPUTE_PGM_RSRC2:SCRATCH_EN: 0
; COMPUTE_PGM_RSRC2:USER_SGPR: 6
; COMPUTE_PGM_RSRC2:TRAP_HANDLER: 0
; COMPUTE_PGM_RSRC2:TGID_X_EN: 1
; COMPUTE_PGM_RSRC2:TGID_Y_EN: 0
; COMPUTE_PGM_RSRC2:TGID_Z_EN: 0
; COMPUTE_PGM_RSRC2:TIDIG_COMP_CNT: 0
; COMPUTE_PGM_RSRC3_GFX90A:ACCUM_OFFSET: 0
; COMPUTE_PGM_RSRC3_GFX90A:TG_SPLIT: 0
	.section	.text._ZN7rocprim17ROCPRIM_400000_NS6detail17trampoline_kernelINS0_14default_configENS1_25partition_config_selectorILNS1_17partition_subalgoE0ExNS0_10empty_typeEbEEZZNS1_14partition_implILS5_0ELb0ES3_jN6thrust23THRUST_200600_302600_NS6detail15normal_iteratorINSA_10device_ptrIxEEEEPS6_SG_NS0_5tupleIJSF_SF_EEENSH_IJSG_SG_EEES6_PlJ7is_evenIxEEEE10hipError_tPvRmT3_T4_T5_T6_T7_T9_mT8_P12ihipStream_tbDpT10_ENKUlT_T0_E_clISt17integral_constantIbLb0EES15_IbLb1EEEEDaS11_S12_EUlS11_E_NS1_11comp_targetILNS1_3genE4ELNS1_11target_archE910ELNS1_3gpuE8ELNS1_3repE0EEENS1_30default_config_static_selectorELNS0_4arch9wavefront6targetE1EEEvT1_,"axG",@progbits,_ZN7rocprim17ROCPRIM_400000_NS6detail17trampoline_kernelINS0_14default_configENS1_25partition_config_selectorILNS1_17partition_subalgoE0ExNS0_10empty_typeEbEEZZNS1_14partition_implILS5_0ELb0ES3_jN6thrust23THRUST_200600_302600_NS6detail15normal_iteratorINSA_10device_ptrIxEEEEPS6_SG_NS0_5tupleIJSF_SF_EEENSH_IJSG_SG_EEES6_PlJ7is_evenIxEEEE10hipError_tPvRmT3_T4_T5_T6_T7_T9_mT8_P12ihipStream_tbDpT10_ENKUlT_T0_E_clISt17integral_constantIbLb0EES15_IbLb1EEEEDaS11_S12_EUlS11_E_NS1_11comp_targetILNS1_3genE4ELNS1_11target_archE910ELNS1_3gpuE8ELNS1_3repE0EEENS1_30default_config_static_selectorELNS0_4arch9wavefront6targetE1EEEvT1_,comdat
	.protected	_ZN7rocprim17ROCPRIM_400000_NS6detail17trampoline_kernelINS0_14default_configENS1_25partition_config_selectorILNS1_17partition_subalgoE0ExNS0_10empty_typeEbEEZZNS1_14partition_implILS5_0ELb0ES3_jN6thrust23THRUST_200600_302600_NS6detail15normal_iteratorINSA_10device_ptrIxEEEEPS6_SG_NS0_5tupleIJSF_SF_EEENSH_IJSG_SG_EEES6_PlJ7is_evenIxEEEE10hipError_tPvRmT3_T4_T5_T6_T7_T9_mT8_P12ihipStream_tbDpT10_ENKUlT_T0_E_clISt17integral_constantIbLb0EES15_IbLb1EEEEDaS11_S12_EUlS11_E_NS1_11comp_targetILNS1_3genE4ELNS1_11target_archE910ELNS1_3gpuE8ELNS1_3repE0EEENS1_30default_config_static_selectorELNS0_4arch9wavefront6targetE1EEEvT1_ ; -- Begin function _ZN7rocprim17ROCPRIM_400000_NS6detail17trampoline_kernelINS0_14default_configENS1_25partition_config_selectorILNS1_17partition_subalgoE0ExNS0_10empty_typeEbEEZZNS1_14partition_implILS5_0ELb0ES3_jN6thrust23THRUST_200600_302600_NS6detail15normal_iteratorINSA_10device_ptrIxEEEEPS6_SG_NS0_5tupleIJSF_SF_EEENSH_IJSG_SG_EEES6_PlJ7is_evenIxEEEE10hipError_tPvRmT3_T4_T5_T6_T7_T9_mT8_P12ihipStream_tbDpT10_ENKUlT_T0_E_clISt17integral_constantIbLb0EES15_IbLb1EEEEDaS11_S12_EUlS11_E_NS1_11comp_targetILNS1_3genE4ELNS1_11target_archE910ELNS1_3gpuE8ELNS1_3repE0EEENS1_30default_config_static_selectorELNS0_4arch9wavefront6targetE1EEEvT1_
	.globl	_ZN7rocprim17ROCPRIM_400000_NS6detail17trampoline_kernelINS0_14default_configENS1_25partition_config_selectorILNS1_17partition_subalgoE0ExNS0_10empty_typeEbEEZZNS1_14partition_implILS5_0ELb0ES3_jN6thrust23THRUST_200600_302600_NS6detail15normal_iteratorINSA_10device_ptrIxEEEEPS6_SG_NS0_5tupleIJSF_SF_EEENSH_IJSG_SG_EEES6_PlJ7is_evenIxEEEE10hipError_tPvRmT3_T4_T5_T6_T7_T9_mT8_P12ihipStream_tbDpT10_ENKUlT_T0_E_clISt17integral_constantIbLb0EES15_IbLb1EEEEDaS11_S12_EUlS11_E_NS1_11comp_targetILNS1_3genE4ELNS1_11target_archE910ELNS1_3gpuE8ELNS1_3repE0EEENS1_30default_config_static_selectorELNS0_4arch9wavefront6targetE1EEEvT1_
	.p2align	8
	.type	_ZN7rocprim17ROCPRIM_400000_NS6detail17trampoline_kernelINS0_14default_configENS1_25partition_config_selectorILNS1_17partition_subalgoE0ExNS0_10empty_typeEbEEZZNS1_14partition_implILS5_0ELb0ES3_jN6thrust23THRUST_200600_302600_NS6detail15normal_iteratorINSA_10device_ptrIxEEEEPS6_SG_NS0_5tupleIJSF_SF_EEENSH_IJSG_SG_EEES6_PlJ7is_evenIxEEEE10hipError_tPvRmT3_T4_T5_T6_T7_T9_mT8_P12ihipStream_tbDpT10_ENKUlT_T0_E_clISt17integral_constantIbLb0EES15_IbLb1EEEEDaS11_S12_EUlS11_E_NS1_11comp_targetILNS1_3genE4ELNS1_11target_archE910ELNS1_3gpuE8ELNS1_3repE0EEENS1_30default_config_static_selectorELNS0_4arch9wavefront6targetE1EEEvT1_,@function
_ZN7rocprim17ROCPRIM_400000_NS6detail17trampoline_kernelINS0_14default_configENS1_25partition_config_selectorILNS1_17partition_subalgoE0ExNS0_10empty_typeEbEEZZNS1_14partition_implILS5_0ELb0ES3_jN6thrust23THRUST_200600_302600_NS6detail15normal_iteratorINSA_10device_ptrIxEEEEPS6_SG_NS0_5tupleIJSF_SF_EEENSH_IJSG_SG_EEES6_PlJ7is_evenIxEEEE10hipError_tPvRmT3_T4_T5_T6_T7_T9_mT8_P12ihipStream_tbDpT10_ENKUlT_T0_E_clISt17integral_constantIbLb0EES15_IbLb1EEEEDaS11_S12_EUlS11_E_NS1_11comp_targetILNS1_3genE4ELNS1_11target_archE910ELNS1_3gpuE8ELNS1_3repE0EEENS1_30default_config_static_selectorELNS0_4arch9wavefront6targetE1EEEvT1_: ; @_ZN7rocprim17ROCPRIM_400000_NS6detail17trampoline_kernelINS0_14default_configENS1_25partition_config_selectorILNS1_17partition_subalgoE0ExNS0_10empty_typeEbEEZZNS1_14partition_implILS5_0ELb0ES3_jN6thrust23THRUST_200600_302600_NS6detail15normal_iteratorINSA_10device_ptrIxEEEEPS6_SG_NS0_5tupleIJSF_SF_EEENSH_IJSG_SG_EEES6_PlJ7is_evenIxEEEE10hipError_tPvRmT3_T4_T5_T6_T7_T9_mT8_P12ihipStream_tbDpT10_ENKUlT_T0_E_clISt17integral_constantIbLb0EES15_IbLb1EEEEDaS11_S12_EUlS11_E_NS1_11comp_targetILNS1_3genE4ELNS1_11target_archE910ELNS1_3gpuE8ELNS1_3repE0EEENS1_30default_config_static_selectorELNS0_4arch9wavefront6targetE1EEEvT1_
; %bb.0:
	s_load_dwordx2 s[2:3], s[4:5], 0x58
	s_load_dwordx4 s[20:23], s[4:5], 0x48
	s_load_dwordx2 s[34:35], s[4:5], 0x68
	v_cmp_eq_u32_e64 s[0:1], 0, v0
	s_and_saveexec_b64 s[6:7], s[0:1]
	s_cbranch_execz .LBB315_4
; %bb.1:
	s_mov_b64 s[10:11], exec
	v_mbcnt_lo_u32_b32 v1, s10, 0
	v_mbcnt_hi_u32_b32 v1, s11, v1
	v_cmp_eq_u32_e32 vcc, 0, v1
                                        ; implicit-def: $vgpr2
	s_and_saveexec_b64 s[8:9], vcc
	s_cbranch_execz .LBB315_3
; %bb.2:
	s_load_dwordx2 s[12:13], s[4:5], 0x78
	s_bcnt1_i32_b64 s10, s[10:11]
	v_mov_b32_e32 v2, 0
	v_mov_b32_e32 v3, s10
	s_waitcnt lgkmcnt(0)
	global_atomic_add v2, v2, v3, s[12:13] glc
.LBB315_3:
	s_or_b64 exec, exec, s[8:9]
	s_waitcnt vmcnt(0)
	v_readfirstlane_b32 s8, v2
	v_add_u32_e32 v1, s8, v1
	v_mov_b32_e32 v2, 0
	ds_write_b32 v2, v1
.LBB315_4:
	s_or_b64 exec, exec, s[6:7]
	v_mov_b32_e32 v3, 0
	s_load_dwordx4 s[28:31], s[4:5], 0x8
	s_load_dwordx4 s[24:27], s[4:5], 0x28
	s_load_dword s6, s[4:5], 0x70
	s_waitcnt lgkmcnt(0)
	s_barrier
	ds_read_b32 v1, v3
	s_waitcnt lgkmcnt(0)
	s_barrier
	global_load_dwordx2 v[10:11], v3, s[22:23]
	v_mov_b32_e32 v5, s3
	s_lshl_b64 s[4:5], s[30:31], 3
	s_movk_i32 s3, 0x300
	s_add_u32 s7, s28, s4
	v_mul_lo_u32 v2, v1, s3
	s_mul_i32 s3, s6, 0x300
	s_addc_u32 s8, s29, s5
	s_add_i32 s5, s3, s30
	s_sub_i32 s33, s2, s5
	s_add_i32 s4, s6, -1
	s_addk_i32 s33, 0x300
	v_mov_b32_e32 v4, s2
	s_add_u32 s2, s30, s3
	v_readfirstlane_b32 s40, v1
	s_addc_u32 s3, s31, 0
	s_cmp_eq_u32 s40, s4
	s_cselect_b64 s[22:23], -1, 0
	s_cmp_lg_u32 s40, s4
	v_cmp_lt_u64_e32 vcc, s[2:3], v[4:5]
	s_cselect_b64 s[2:3], -1, 0
	v_lshlrev_b64 v[12:13], 3, v[2:3]
	s_or_b64 s[4:5], vcc, s[2:3]
	v_mov_b32_e32 v1, s8
	v_add_co_u32_e32 v15, vcc, s7, v12
	v_addc_co_u32_e32 v16, vcc, v1, v13, vcc
	s_mov_b64 s[2:3], -1
	s_and_b64 vcc, exec, s[4:5]
	v_lshlrev_b32_e32 v1, 3, v0
	v_lshrrev_b32_e32 v14, 2, v0
	s_cbranch_vccz .LBB315_6
; %bb.5:
	v_add_co_u32_e32 v2, vcc, v15, v1
	v_addc_co_u32_e32 v3, vcc, 0, v16, vcc
	v_add_co_u32_e32 v4, vcc, 0x1000, v2
	v_addc_co_u32_e32 v5, vcc, 0, v3, vcc
	flat_load_dwordx2 v[6:7], v[2:3]
	flat_load_dwordx2 v[8:9], v[2:3] offset:1536
	flat_load_dwordx2 v[18:19], v[2:3] offset:3072
	;; [unrolled: 1-line block ×3, first 2 shown]
	v_add_u32_e32 v3, 0xc0, v0
	v_add_u32_e32 v4, 0x180, v0
	;; [unrolled: 1-line block ×3, first 2 shown]
	v_and_b32_e32 v2, 56, v14
	v_lshrrev_b32_e32 v3, 2, v3
	v_lshrrev_b32_e32 v4, 2, v4
	;; [unrolled: 1-line block ×3, first 2 shown]
	v_add_u32_e32 v2, v2, v1
	v_and_b32_e32 v3, 0x78, v3
	v_and_b32_e32 v4, 0xf8, v4
	;; [unrolled: 1-line block ×3, first 2 shown]
	v_add_u32_e32 v3, v3, v1
	v_add_u32_e32 v4, v4, v1
	;; [unrolled: 1-line block ×3, first 2 shown]
	s_mov_b64 s[2:3], 0
	s_waitcnt vmcnt(0) lgkmcnt(0)
	ds_write_b64 v2, v[6:7]
	ds_write_b64 v3, v[8:9] offset:1536
	ds_write_b64 v4, v[18:19] offset:3072
	;; [unrolled: 1-line block ×3, first 2 shown]
	s_waitcnt lgkmcnt(0)
	s_barrier
.LBB315_6:
	s_andn2_b64 vcc, exec, s[2:3]
	v_cmp_gt_u32_e64 s[2:3], s33, v0
	s_cbranch_vccnz .LBB315_16
; %bb.7:
                                        ; implicit-def: $vgpr2_vgpr3_vgpr4_vgpr5_vgpr6_vgpr7_vgpr8_vgpr9
	s_and_saveexec_b64 s[6:7], s[2:3]
	s_cbranch_execz .LBB315_9
; %bb.8:
	v_add_co_u32_e32 v2, vcc, v15, v1
	v_addc_co_u32_e32 v3, vcc, 0, v16, vcc
	flat_load_dwordx2 v[2:3], v[2:3]
.LBB315_9:
	s_or_b64 exec, exec, s[6:7]
	v_add_u32_e32 v17, 0xc0, v0
	v_cmp_gt_u32_e32 vcc, s33, v17
	s_and_saveexec_b64 s[2:3], vcc
	s_cbranch_execz .LBB315_11
; %bb.10:
	v_add_co_u32_e32 v4, vcc, v15, v1
	v_addc_co_u32_e32 v5, vcc, 0, v16, vcc
	flat_load_dwordx2 v[4:5], v[4:5] offset:1536
.LBB315_11:
	s_or_b64 exec, exec, s[2:3]
	v_add_u32_e32 v18, 0x180, v0
	v_cmp_gt_u32_e32 vcc, s33, v18
	s_and_saveexec_b64 s[2:3], vcc
	s_cbranch_execz .LBB315_13
; %bb.12:
	v_add_co_u32_e32 v6, vcc, v15, v1
	v_addc_co_u32_e32 v7, vcc, 0, v16, vcc
	flat_load_dwordx2 v[6:7], v[6:7] offset:3072
.LBB315_13:
	s_or_b64 exec, exec, s[2:3]
	v_add_u32_e32 v19, 0x240, v0
	v_cmp_gt_u32_e32 vcc, s33, v19
	s_and_saveexec_b64 s[2:3], vcc
	s_cbranch_execz .LBB315_15
; %bb.14:
	v_lshlrev_b32_e32 v8, 3, v19
	v_add_co_u32_e32 v8, vcc, v15, v8
	v_addc_co_u32_e32 v9, vcc, 0, v16, vcc
	flat_load_dwordx2 v[8:9], v[8:9]
.LBB315_15:
	s_or_b64 exec, exec, s[2:3]
	v_and_b32_e32 v14, 56, v14
	v_add_u32_e32 v14, v14, v1
	s_waitcnt vmcnt(0) lgkmcnt(0)
	ds_write_b64 v14, v[2:3]
	v_lshrrev_b32_e32 v2, 2, v17
	v_and_b32_e32 v2, 0x78, v2
	v_add_u32_e32 v2, v2, v1
	ds_write_b64 v2, v[4:5] offset:1536
	v_lshrrev_b32_e32 v2, 2, v18
	v_and_b32_e32 v2, 0xf8, v2
	v_add_u32_e32 v2, v2, v1
	ds_write_b64 v2, v[6:7] offset:3072
	;; [unrolled: 4-line block ×3, first 2 shown]
	s_waitcnt lgkmcnt(0)
	s_barrier
.LBB315_16:
	v_lshlrev_b32_e32 v24, 2, v0
	v_lshrrev_b32_e32 v2, 3, v0
	v_add_lshl_u32 v2, v2, v24, 3
	ds_read2_b64 v[6:9], v2 offset1:1
	ds_read2_b64 v[2:5], v2 offset0:2 offset1:3
	v_cndmask_b32_e64 v14, 0, 1, s[4:5]
	v_cmp_ne_u32_e64 s[2:3], 1, v14
	s_andn2_b64 vcc, exec, s[4:5]
	s_waitcnt lgkmcnt(1)
	v_xor_b32_e32 v17, -1, v6
	v_xor_b32_e32 v16, -1, v8
	s_waitcnt lgkmcnt(0)
	v_xor_b32_e32 v15, -1, v2
	v_xor_b32_e32 v14, -1, v4
	s_barrier
	s_cbranch_vccnz .LBB315_18
; %bb.17:
	v_mov_b32_e32 v19, 1
	v_and_b32_e32 v18, 1, v17
	v_and_b32_sdwa v20, v16, v19 dst_sel:BYTE_1 dst_unused:UNUSED_PAD src0_sel:DWORD src1_sel:DWORD
	v_and_b32_e32 v21, 1, v15
	v_and_b32_sdwa v19, v14, v19 dst_sel:BYTE_1 dst_unused:UNUSED_PAD src0_sel:DWORD src1_sel:DWORD
	v_or_b32_e32 v18, v18, v20
	v_or_b32_sdwa v19, v21, v19 dst_sel:WORD_1 dst_unused:UNUSED_PAD src0_sel:DWORD src1_sel:DWORD
	v_or_b32_sdwa v25, v18, v19 dst_sel:DWORD dst_unused:UNUSED_PAD src0_sel:WORD_0 src1_sel:DWORD
	s_cbranch_execz .LBB315_19
	s_branch .LBB315_20
.LBB315_18:
                                        ; implicit-def: $vgpr25
.LBB315_19:
	v_cmp_gt_u32_e32 vcc, s33, v24
	v_cndmask_b32_e64 v18, 0, 1, vcc
	v_and_b32_e32 v17, v18, v17
	v_or_b32_e32 v18, 1, v24
	v_cmp_gt_u32_e32 vcc, s33, v18
	v_cndmask_b32_e64 v18, 0, 1, vcc
	v_and_b32_sdwa v16, v18, v16 dst_sel:BYTE_1 dst_unused:UNUSED_PAD src0_sel:DWORD src1_sel:DWORD
	v_or_b32_e32 v18, 2, v24
	v_cmp_gt_u32_e32 vcc, s33, v18
	v_cndmask_b32_e64 v18, 0, 1, vcc
	v_and_b32_e32 v15, v18, v15
	v_or_b32_e32 v18, 3, v24
	v_cmp_gt_u32_e32 vcc, s33, v18
	v_cndmask_b32_e64 v18, 0, 1, vcc
	v_and_b32_sdwa v14, v18, v14 dst_sel:BYTE_1 dst_unused:UNUSED_PAD src0_sel:DWORD src1_sel:DWORD
	v_or_b32_e32 v16, v17, v16
	v_or_b32_sdwa v14, v15, v14 dst_sel:WORD_1 dst_unused:UNUSED_PAD src0_sel:DWORD src1_sel:DWORD
	v_or_b32_sdwa v25, v16, v14 dst_sel:DWORD dst_unused:UNUSED_PAD src0_sel:WORD_0 src1_sel:DWORD
.LBB315_20:
	v_bfe_u32 v27, v25, 16, 8
	v_lshrrev_b32_e32 v26, 24, v25
	v_add_u32_sdwa v14, v25, v25 dst_sel:DWORD dst_unused:UNUSED_PAD src0_sel:BYTE_1 src1_sel:BYTE_0
	v_add3_u32 v30, v14, v27, v26
	v_mbcnt_lo_u32_b32 v14, -1, 0
	v_mbcnt_hi_u32_b32 v28, -1, v14
	v_and_b32_e32 v14, 15, v28
	v_cmp_eq_u32_e64 s[16:17], 0, v14
	v_cmp_lt_u32_e64 s[14:15], 1, v14
	v_cmp_lt_u32_e64 s[12:13], 3, v14
	;; [unrolled: 1-line block ×3, first 2 shown]
	v_and_b32_e32 v14, 16, v28
	v_cmp_eq_u32_e64 s[6:7], 0, v14
	v_and_b32_e32 v14, 0xc0, v0
	v_min_u32_e32 v14, 0x80, v14
	v_or_b32_e32 v14, 63, v14
	s_cmp_lg_u32 s40, 0
	v_cmp_lt_u32_e64 s[4:5], 31, v28
	v_lshrrev_b32_e32 v29, 6, v0
	v_cmp_eq_u32_e64 s[8:9], v14, v0
	s_cbranch_scc0 .LBB315_47
; %bb.21:
	v_mov_b32_dpp v14, v30 row_shr:1 row_mask:0xf bank_mask:0xf
	v_cndmask_b32_e64 v14, v14, 0, s[16:17]
	v_add_u32_e32 v14, v14, v30
	s_nop 1
	v_mov_b32_dpp v15, v14 row_shr:2 row_mask:0xf bank_mask:0xf
	v_cndmask_b32_e64 v15, 0, v15, s[14:15]
	v_add_u32_e32 v14, v14, v15
	s_nop 1
	;; [unrolled: 4-line block ×4, first 2 shown]
	v_mov_b32_dpp v15, v14 row_bcast:15 row_mask:0xf bank_mask:0xf
	v_cndmask_b32_e64 v15, v15, 0, s[6:7]
	v_add_u32_e32 v14, v14, v15
	s_nop 1
	v_mov_b32_dpp v15, v14 row_bcast:31 row_mask:0xf bank_mask:0xf
	v_cndmask_b32_e64 v15, 0, v15, s[4:5]
	v_add_u32_e32 v14, v14, v15
	s_and_saveexec_b64 s[18:19], s[8:9]
	s_cbranch_execz .LBB315_23
; %bb.22:
	v_lshlrev_b32_e32 v15, 2, v29
	ds_write_b32 v15, v14
.LBB315_23:
	s_or_b64 exec, exec, s[18:19]
	v_cmp_gt_u32_e32 vcc, 3, v0
	s_waitcnt lgkmcnt(0)
	s_barrier
	s_and_saveexec_b64 s[18:19], vcc
	s_cbranch_execz .LBB315_25
; %bb.24:
	ds_read_b32 v15, v24
	v_and_b32_e32 v16, 3, v28
	v_cmp_ne_u32_e32 vcc, 0, v16
	s_waitcnt lgkmcnt(0)
	v_mov_b32_dpp v17, v15 row_shr:1 row_mask:0xf bank_mask:0xf
	v_cndmask_b32_e32 v17, 0, v17, vcc
	v_add_u32_e32 v15, v17, v15
	v_cmp_lt_u32_e32 vcc, 1, v16
	s_nop 0
	v_mov_b32_dpp v17, v15 row_shr:2 row_mask:0xf bank_mask:0xf
	v_cndmask_b32_e32 v16, 0, v17, vcc
	v_add_u32_e32 v15, v15, v16
	ds_write_b32 v24, v15
.LBB315_25:
	s_or_b64 exec, exec, s[18:19]
	v_cmp_gt_u32_e32 vcc, 64, v0
	v_cmp_lt_u32_e64 s[18:19], 63, v0
	s_waitcnt lgkmcnt(0)
	s_barrier
	s_waitcnt lgkmcnt(0)
                                        ; implicit-def: $vgpr31
	s_and_saveexec_b64 s[28:29], s[18:19]
	s_cbranch_execz .LBB315_27
; %bb.26:
	v_lshl_add_u32 v15, v29, 2, -4
	ds_read_b32 v31, v15
	s_waitcnt lgkmcnt(0)
	v_add_u32_e32 v14, v31, v14
.LBB315_27:
	s_or_b64 exec, exec, s[28:29]
	v_add_u32_e32 v15, -1, v28
	v_and_b32_e32 v16, 64, v28
	v_cmp_lt_i32_e64 s[18:19], v15, v16
	v_cndmask_b32_e64 v15, v15, v28, s[18:19]
	v_lshlrev_b32_e32 v15, 2, v15
	ds_bpermute_b32 v32, v15, v14
	v_cmp_eq_u32_e64 s[18:19], 0, v28
	s_and_saveexec_b64 s[28:29], vcc
	s_cbranch_execz .LBB315_46
; %bb.28:
	v_mov_b32_e32 v21, 0
	ds_read_b32 v14, v21 offset:8
	s_and_saveexec_b64 s[36:37], s[18:19]
	s_cbranch_execz .LBB315_30
; %bb.29:
	s_add_i32 s38, s40, 64
	s_mov_b32 s39, 0
	s_lshl_b64 s[38:39], s[38:39], 3
	s_add_u32 s38, s34, s38
	v_mov_b32_e32 v15, 1
	s_addc_u32 s39, s35, s39
	s_waitcnt lgkmcnt(0)
	global_store_dwordx2 v21, v[14:15], s[38:39]
.LBB315_30:
	s_or_b64 exec, exec, s[36:37]
	v_xad_u32 v16, v28, -1, s40
	v_add_u32_e32 v20, 64, v16
	v_lshlrev_b64 v[18:19], 3, v[20:21]
	v_mov_b32_e32 v15, s35
	v_add_co_u32_e32 v22, vcc, s34, v18
	v_addc_co_u32_e32 v23, vcc, v15, v19, vcc
	global_load_dwordx2 v[18:19], v[22:23], off glc
	s_waitcnt vmcnt(0)
	v_cmp_eq_u16_sdwa s[38:39], v19, v21 src0_sel:BYTE_0 src1_sel:DWORD
	s_and_saveexec_b64 s[36:37], s[38:39]
	s_cbranch_execz .LBB315_34
; %bb.31:
	s_mov_b64 s[38:39], 0
	v_mov_b32_e32 v15, 0
.LBB315_32:                             ; =>This Inner Loop Header: Depth=1
	global_load_dwordx2 v[18:19], v[22:23], off glc
	s_waitcnt vmcnt(0)
	v_cmp_ne_u16_sdwa s[42:43], v19, v15 src0_sel:BYTE_0 src1_sel:DWORD
	s_or_b64 s[38:39], s[42:43], s[38:39]
	s_andn2_b64 exec, exec, s[38:39]
	s_cbranch_execnz .LBB315_32
; %bb.33:
	s_or_b64 exec, exec, s[38:39]
.LBB315_34:
	s_or_b64 exec, exec, s[36:37]
	v_and_b32_e32 v34, 63, v28
	v_mov_b32_e32 v33, 2
	v_cmp_ne_u32_e32 vcc, 63, v34
	v_cmp_eq_u16_sdwa s[36:37], v19, v33 src0_sel:BYTE_0 src1_sel:DWORD
	v_lshlrev_b64 v[20:21], v28, -1
	v_addc_co_u32_e32 v22, vcc, 0, v28, vcc
	v_and_b32_e32 v15, s37, v21
	v_lshlrev_b32_e32 v35, 2, v22
	v_or_b32_e32 v15, 0x80000000, v15
	ds_bpermute_b32 v22, v35, v18
	v_and_b32_e32 v17, s36, v20
	v_ffbl_b32_e32 v15, v15
	v_add_u32_e32 v15, 32, v15
	v_ffbl_b32_e32 v17, v17
	v_min_u32_e32 v15, v17, v15
	v_cmp_lt_u32_e32 vcc, v34, v15
	s_waitcnt lgkmcnt(0)
	v_cndmask_b32_e32 v17, 0, v22, vcc
	v_cmp_gt_u32_e32 vcc, 62, v34
	v_add_u32_e32 v17, v17, v18
	v_cndmask_b32_e64 v18, 0, 1, vcc
	v_lshlrev_b32_e32 v18, 1, v18
	v_add_lshl_u32 v36, v18, v28, 2
	ds_bpermute_b32 v18, v36, v17
	v_add_u32_e32 v37, 2, v34
	v_cmp_le_u32_e32 vcc, v37, v15
	v_add_u32_e32 v39, 4, v34
	v_add_u32_e32 v41, 8, v34
	s_waitcnt lgkmcnt(0)
	v_cndmask_b32_e32 v18, 0, v18, vcc
	v_cmp_gt_u32_e32 vcc, 60, v34
	v_add_u32_e32 v17, v17, v18
	v_cndmask_b32_e64 v18, 0, 1, vcc
	v_lshlrev_b32_e32 v18, 2, v18
	v_add_lshl_u32 v38, v18, v28, 2
	ds_bpermute_b32 v18, v38, v17
	v_cmp_le_u32_e32 vcc, v39, v15
	v_add_u32_e32 v43, 16, v34
	v_add_u32_e32 v45, 32, v34
	s_waitcnt lgkmcnt(0)
	v_cndmask_b32_e32 v18, 0, v18, vcc
	v_cmp_gt_u32_e32 vcc, 56, v34
	v_add_u32_e32 v17, v17, v18
	v_cndmask_b32_e64 v18, 0, 1, vcc
	v_lshlrev_b32_e32 v18, 3, v18
	v_add_lshl_u32 v40, v18, v28, 2
	ds_bpermute_b32 v18, v40, v17
	v_cmp_le_u32_e32 vcc, v41, v15
	s_waitcnt lgkmcnt(0)
	v_cndmask_b32_e32 v18, 0, v18, vcc
	v_cmp_gt_u32_e32 vcc, 48, v34
	v_add_u32_e32 v17, v17, v18
	v_cndmask_b32_e64 v18, 0, 1, vcc
	v_lshlrev_b32_e32 v18, 4, v18
	v_add_lshl_u32 v42, v18, v28, 2
	ds_bpermute_b32 v18, v42, v17
	v_cmp_le_u32_e32 vcc, v43, v15
	;; [unrolled: 9-line block ×3, first 2 shown]
	s_waitcnt lgkmcnt(0)
	v_cndmask_b32_e32 v15, 0, v18, vcc
	v_add_u32_e32 v18, v17, v15
	v_mov_b32_e32 v17, 0
	s_branch .LBB315_36
.LBB315_35:                             ;   in Loop: Header=BB315_36 Depth=1
	s_or_b64 exec, exec, s[36:37]
	v_cmp_eq_u16_sdwa s[36:37], v19, v33 src0_sel:BYTE_0 src1_sel:DWORD
	v_and_b32_e32 v22, s37, v21
	v_or_b32_e32 v22, 0x80000000, v22
	ds_bpermute_b32 v46, v35, v18
	v_and_b32_e32 v23, s36, v20
	v_ffbl_b32_e32 v22, v22
	v_add_u32_e32 v22, 32, v22
	v_ffbl_b32_e32 v23, v23
	v_min_u32_e32 v22, v23, v22
	v_cmp_lt_u32_e32 vcc, v34, v22
	s_waitcnt lgkmcnt(0)
	v_cndmask_b32_e32 v23, 0, v46, vcc
	v_add_u32_e32 v18, v23, v18
	ds_bpermute_b32 v23, v36, v18
	v_cmp_le_u32_e32 vcc, v37, v22
	v_subrev_u32_e32 v16, 64, v16
	s_waitcnt lgkmcnt(0)
	v_cndmask_b32_e32 v23, 0, v23, vcc
	v_add_u32_e32 v18, v18, v23
	ds_bpermute_b32 v23, v38, v18
	v_cmp_le_u32_e32 vcc, v39, v22
	s_waitcnt lgkmcnt(0)
	v_cndmask_b32_e32 v23, 0, v23, vcc
	v_add_u32_e32 v18, v18, v23
	ds_bpermute_b32 v23, v40, v18
	v_cmp_le_u32_e32 vcc, v41, v22
	;; [unrolled: 5-line block ×4, first 2 shown]
	s_waitcnt lgkmcnt(0)
	v_cndmask_b32_e32 v22, 0, v23, vcc
	v_add3_u32 v18, v22, v15, v18
.LBB315_36:                             ; =>This Loop Header: Depth=1
                                        ;     Child Loop BB315_39 Depth 2
	v_cmp_ne_u16_sdwa s[36:37], v19, v33 src0_sel:BYTE_0 src1_sel:DWORD
	v_cndmask_b32_e64 v15, 0, 1, s[36:37]
	;;#ASMSTART
	;;#ASMEND
	v_cmp_ne_u32_e32 vcc, 0, v15
	s_cmp_lg_u64 vcc, exec
	v_mov_b32_e32 v15, v18
	s_cbranch_scc1 .LBB315_41
; %bb.37:                               ;   in Loop: Header=BB315_36 Depth=1
	v_lshlrev_b64 v[18:19], 3, v[16:17]
	v_mov_b32_e32 v23, s35
	v_add_co_u32_e32 v22, vcc, s34, v18
	v_addc_co_u32_e32 v23, vcc, v23, v19, vcc
	global_load_dwordx2 v[18:19], v[22:23], off glc
	s_waitcnt vmcnt(0)
	v_cmp_eq_u16_sdwa s[38:39], v19, v17 src0_sel:BYTE_0 src1_sel:DWORD
	s_and_saveexec_b64 s[36:37], s[38:39]
	s_cbranch_execz .LBB315_35
; %bb.38:                               ;   in Loop: Header=BB315_36 Depth=1
	s_mov_b64 s[38:39], 0
.LBB315_39:                             ;   Parent Loop BB315_36 Depth=1
                                        ; =>  This Inner Loop Header: Depth=2
	global_load_dwordx2 v[18:19], v[22:23], off glc
	s_waitcnt vmcnt(0)
	v_cmp_ne_u16_sdwa s[42:43], v19, v17 src0_sel:BYTE_0 src1_sel:DWORD
	s_or_b64 s[38:39], s[42:43], s[38:39]
	s_andn2_b64 exec, exec, s[38:39]
	s_cbranch_execnz .LBB315_39
; %bb.40:                               ;   in Loop: Header=BB315_36 Depth=1
	s_or_b64 exec, exec, s[38:39]
	s_branch .LBB315_35
.LBB315_41:                             ;   in Loop: Header=BB315_36 Depth=1
                                        ; implicit-def: $vgpr18
                                        ; implicit-def: $vgpr19
	s_cbranch_execz .LBB315_36
; %bb.42:
	s_and_saveexec_b64 s[36:37], s[18:19]
	s_cbranch_execz .LBB315_44
; %bb.43:
	s_add_i32 s38, s40, 64
	s_mov_b32 s39, 0
	s_lshl_b64 s[38:39], s[38:39], 3
	s_add_u32 s38, s34, s38
	v_add_u32_e32 v16, v15, v14
	v_mov_b32_e32 v17, 2
	s_addc_u32 s39, s35, s39
	v_mov_b32_e32 v18, 0
	global_store_dwordx2 v18, v[16:17], s[38:39]
	ds_write_b64 v18, v[14:15] offset:6336
.LBB315_44:
	s_or_b64 exec, exec, s[36:37]
	s_and_b64 exec, exec, s[0:1]
	s_cbranch_execz .LBB315_46
; %bb.45:
	v_mov_b32_e32 v14, 0
	ds_write_b32 v14, v15 offset:8
.LBB315_46:
	s_or_b64 exec, exec, s[28:29]
	v_mov_b32_e32 v14, 0
	s_waitcnt lgkmcnt(0)
	s_barrier
	ds_read_b32 v15, v14 offset:8
	v_cndmask_b32_e64 v16, v32, v31, s[18:19]
	v_cndmask_b32_e64 v16, v16, 0, s[0:1]
	s_waitcnt lgkmcnt(0)
	s_barrier
	v_add_u32_e32 v18, v15, v16
	ds_read_b64 v[14:15], v14 offset:6336
	v_add_u32_sdwa v19, v18, v25 dst_sel:DWORD dst_unused:UNUSED_PAD src0_sel:DWORD src1_sel:BYTE_0
	v_add_u32_sdwa v17, v19, v25 dst_sel:DWORD dst_unused:UNUSED_PAD src0_sel:DWORD src1_sel:BYTE_1
	v_add_u32_e32 v16, v17, v27
	s_branch .LBB315_57
.LBB315_47:
                                        ; implicit-def: $vgpr15
                                        ; implicit-def: $vgpr16
                                        ; implicit-def: $vgpr17
                                        ; implicit-def: $vgpr19
                                        ; implicit-def: $vgpr18
	s_cbranch_execz .LBB315_57
; %bb.48:
	s_waitcnt lgkmcnt(0)
	v_mov_b32_dpp v14, v30 row_shr:1 row_mask:0xf bank_mask:0xf
	v_cndmask_b32_e64 v14, v14, 0, s[16:17]
	v_add_u32_e32 v14, v14, v30
	s_nop 1
	v_mov_b32_dpp v15, v14 row_shr:2 row_mask:0xf bank_mask:0xf
	v_cndmask_b32_e64 v15, 0, v15, s[14:15]
	v_add_u32_e32 v14, v14, v15
	s_nop 1
	;; [unrolled: 4-line block ×4, first 2 shown]
	v_mov_b32_dpp v15, v14 row_bcast:15 row_mask:0xf bank_mask:0xf
	v_cndmask_b32_e64 v15, v15, 0, s[6:7]
	v_add_u32_e32 v14, v14, v15
	s_nop 1
	v_mov_b32_dpp v15, v14 row_bcast:31 row_mask:0xf bank_mask:0xf
	v_cndmask_b32_e64 v15, 0, v15, s[4:5]
	v_add_u32_e32 v14, v14, v15
	s_and_saveexec_b64 s[4:5], s[8:9]
	s_cbranch_execz .LBB315_50
; %bb.49:
	v_lshlrev_b32_e32 v15, 2, v29
	ds_write_b32 v15, v14
.LBB315_50:
	s_or_b64 exec, exec, s[4:5]
	v_cmp_gt_u32_e32 vcc, 3, v0
	s_waitcnt lgkmcnt(0)
	s_barrier
	s_and_saveexec_b64 s[4:5], vcc
	s_cbranch_execz .LBB315_52
; %bb.51:
	ds_read_b32 v15, v24
	v_and_b32_e32 v16, 3, v28
	v_cmp_ne_u32_e32 vcc, 0, v16
	s_waitcnt lgkmcnt(0)
	v_mov_b32_dpp v17, v15 row_shr:1 row_mask:0xf bank_mask:0xf
	v_cndmask_b32_e32 v17, 0, v17, vcc
	v_add_u32_e32 v15, v17, v15
	v_cmp_lt_u32_e32 vcc, 1, v16
	s_nop 0
	v_mov_b32_dpp v17, v15 row_shr:2 row_mask:0xf bank_mask:0xf
	v_cndmask_b32_e32 v16, 0, v17, vcc
	v_add_u32_e32 v15, v15, v16
	ds_write_b32 v24, v15
.LBB315_52:
	s_or_b64 exec, exec, s[4:5]
	v_cmp_lt_u32_e32 vcc, 63, v0
	v_mov_b32_e32 v15, 0
	v_mov_b32_e32 v16, 0
	s_waitcnt lgkmcnt(0)
	s_barrier
	s_and_saveexec_b64 s[4:5], vcc
	s_cbranch_execz .LBB315_54
; %bb.53:
	v_lshl_add_u32 v16, v29, 2, -4
	ds_read_b32 v16, v16
.LBB315_54:
	s_or_b64 exec, exec, s[4:5]
	v_add_u32_e32 v17, -1, v28
	v_and_b32_e32 v18, 64, v28
	v_cmp_lt_i32_e32 vcc, v17, v18
	v_cndmask_b32_e32 v17, v17, v28, vcc
	s_waitcnt lgkmcnt(0)
	v_add_u32_e32 v14, v16, v14
	v_lshlrev_b32_e32 v17, 2, v17
	ds_bpermute_b32 v17, v17, v14
	ds_read_b32 v14, v15 offset:8
	s_and_saveexec_b64 s[4:5], s[0:1]
	s_cbranch_execz .LBB315_56
; %bb.55:
	v_mov_b32_e32 v18, 0
	v_mov_b32_e32 v15, 2
	s_waitcnt lgkmcnt(0)
	global_store_dwordx2 v18, v[14:15], s[34:35] offset:512
.LBB315_56:
	s_or_b64 exec, exec, s[4:5]
	v_cmp_eq_u32_e32 vcc, 0, v28
	s_waitcnt lgkmcnt(1)
	v_cndmask_b32_e32 v16, v17, v16, vcc
	v_cndmask_b32_e64 v18, v16, 0, s[0:1]
	v_add_u32_sdwa v19, v18, v25 dst_sel:DWORD dst_unused:UNUSED_PAD src0_sel:DWORD src1_sel:BYTE_0
	v_add_u32_sdwa v17, v19, v25 dst_sel:DWORD dst_unused:UNUSED_PAD src0_sel:DWORD src1_sel:BYTE_1
	v_mov_b32_e32 v15, 0
	v_add_u32_e32 v16, v17, v27
	s_waitcnt lgkmcnt(0)
	s_barrier
.LBB315_57:
	s_waitcnt lgkmcnt(0)
	v_add_u32_e32 v21, v14, v24
	v_sub_u32_e32 v18, v18, v15
	v_and_b32_e32 v23, 1, v25
	v_sub_u32_e32 v22, v21, v18
	v_cmp_eq_u32_e32 vcc, 1, v23
	v_cndmask_b32_e32 v18, v22, v18, vcc
	v_lshlrev_b32_e32 v18, 3, v18
	v_lshrrev_b32_e32 v20, 8, v25
	ds_write_b64 v18, v[6:7]
	v_sub_u32_e32 v6, v19, v15
	v_sub_u32_e32 v7, v21, v6
	v_and_b32_e32 v18, 1, v20
	v_add_u32_e32 v7, 1, v7
	v_cmp_eq_u32_e32 vcc, 1, v18
	v_cndmask_b32_e32 v6, v7, v6, vcc
	v_lshlrev_b32_e32 v6, 3, v6
	ds_write_b64 v6, v[8:9]
	v_sub_u32_e32 v6, v17, v15
	v_mov_b32_e32 v8, 1
	v_sub_u32_e32 v7, v21, v6
	v_and_b32_sdwa v8, v8, v25 dst_sel:DWORD dst_unused:UNUSED_PAD src0_sel:DWORD src1_sel:WORD_1
	v_add_u32_e32 v7, 2, v7
	v_cmp_eq_u32_e32 vcc, 1, v8
	v_cndmask_b32_e32 v6, v7, v6, vcc
	v_lshlrev_b32_e32 v6, 3, v6
	ds_write_b64 v6, v[2:3]
	v_sub_u32_e32 v2, v16, v15
	v_sub_u32_e32 v3, v21, v2
	v_and_b32_e32 v6, 1, v26
	v_add_u32_e32 v3, 3, v3
	v_cmp_eq_u32_e32 vcc, 1, v6
	v_cndmask_b32_e32 v2, v3, v2, vcc
	s_waitcnt vmcnt(0)
	v_add_co_u32_e32 v20, vcc, v10, v15
	v_addc_co_u32_e32 v21, vcc, 0, v11, vcc
	v_add_co_u32_e32 v10, vcc, v20, v14
	v_addc_co_u32_e32 v11, vcc, 0, v21, vcc
	v_mov_b32_e32 v15, s31
	v_sub_co_u32_e32 v22, vcc, s30, v10
	v_subb_co_u32_e32 v23, vcc, v15, v11, vcc
	v_lshlrev_b64 v[22:23], 3, v[22:23]
	v_lshlrev_b32_e32 v2, 3, v2
	v_mov_b32_e32 v15, s27
	v_add_co_u32_e32 v18, vcc, s26, v22
	ds_write_b64 v2, v[4:5]
	s_waitcnt lgkmcnt(0)
	s_barrier
	ds_read2st64_b64 v[6:9], v1 offset1:3
	ds_read2st64_b64 v[2:5], v1 offset0:6 offset1:9
	v_addc_co_u32_e32 v15, vcc, v15, v23, vcc
	v_add_co_u32_e32 v12, vcc, v18, v12
	v_addc_co_u32_e32 v13, vcc, v15, v13, vcc
	v_lshlrev_b64 v[20:21], 3, v[20:21]
	v_mov_b32_e32 v18, s25
	s_and_b64 vcc, exec, s[2:3]
	v_add_co_u32_e64 v15, s[2:3], s24, v20
	v_add_u32_e32 v19, 0xc0, v0
	v_add_u32_e32 v17, 0x180, v0
	;; [unrolled: 1-line block ×3, first 2 shown]
	v_addc_co_u32_e64 v18, s[2:3], v18, v21, s[2:3]
	s_cbranch_vccnz .LBB315_59
; %bb.58:
	v_cmp_lt_u32_e32 vcc, v0, v14
	v_cndmask_b32_e32 v20, v12, v15, vcc
	v_cndmask_b32_e32 v21, v13, v18, vcc
	v_add_co_u32_e32 v20, vcc, v20, v1
	v_addc_co_u32_e32 v21, vcc, 0, v21, vcc
	v_cmp_lt_u32_e32 vcc, v19, v14
	s_waitcnt lgkmcnt(1)
	global_store_dwordx2 v[20:21], v[6:7], off
	v_cndmask_b32_e32 v20, v12, v15, vcc
	v_cndmask_b32_e32 v21, v13, v18, vcc
	v_add_co_u32_e32 v20, vcc, v20, v1
	v_addc_co_u32_e32 v21, vcc, 0, v21, vcc
	v_cmp_lt_u32_e32 vcc, v17, v14
	global_store_dwordx2 v[20:21], v[8:9], off offset:1536
	v_cndmask_b32_e32 v20, v12, v15, vcc
	v_cndmask_b32_e32 v21, v13, v18, vcc
	v_add_co_u32_e32 v20, vcc, v20, v1
	v_addc_co_u32_e32 v21, vcc, 0, v21, vcc
	s_mov_b64 s[2:3], -1
	s_waitcnt lgkmcnt(0)
	global_store_dwordx2 v[20:21], v[2:3], off offset:3072
	s_cbranch_execz .LBB315_60
	s_branch .LBB315_65
.LBB315_59:
	s_mov_b64 s[2:3], 0
.LBB315_60:
	v_cmp_gt_u32_e32 vcc, s33, v0
	s_and_saveexec_b64 s[2:3], vcc
	s_cbranch_execnz .LBB315_70
; %bb.61:
	s_or_b64 exec, exec, s[2:3]
	v_cmp_gt_u32_e32 vcc, s33, v19
	s_and_saveexec_b64 s[2:3], vcc
	s_cbranch_execnz .LBB315_71
.LBB315_62:
	s_or_b64 exec, exec, s[2:3]
	v_cmp_gt_u32_e32 vcc, s33, v17
	s_and_saveexec_b64 s[2:3], vcc
	s_cbranch_execz .LBB315_64
.LBB315_63:
	v_cmp_lt_u32_e32 vcc, v17, v14
	v_cndmask_b32_e32 v0, v12, v15, vcc
	s_waitcnt lgkmcnt(1)
	v_cndmask_b32_e32 v6, v13, v18, vcc
	v_add_co_u32_e32 v0, vcc, v0, v1
	v_addc_co_u32_e32 v1, vcc, 0, v6, vcc
	s_waitcnt lgkmcnt(0)
	global_store_dwordx2 v[0:1], v[2:3], off offset:3072
.LBB315_64:
	s_or_b64 exec, exec, s[2:3]
	v_cmp_gt_u32_e64 s[2:3], s33, v16
.LBB315_65:
	s_and_saveexec_b64 s[4:5], s[2:3]
	s_cbranch_execnz .LBB315_68
; %bb.66:
	s_or_b64 exec, exec, s[4:5]
	s_and_b64 s[0:1], s[0:1], s[22:23]
	s_and_saveexec_b64 s[2:3], s[0:1]
	s_cbranch_execnz .LBB315_69
.LBB315_67:
	s_endpgm
.LBB315_68:
	v_cmp_lt_u32_e32 vcc, v16, v14
	v_cndmask_b32_e32 v0, v12, v15, vcc
	s_waitcnt lgkmcnt(0)
	v_lshlrev_b32_e32 v2, 3, v16
	v_cndmask_b32_e32 v1, v13, v18, vcc
	v_add_co_u32_e32 v0, vcc, v0, v2
	v_addc_co_u32_e32 v1, vcc, 0, v1, vcc
	global_store_dwordx2 v[0:1], v[4:5], off
	s_or_b64 exec, exec, s[4:5]
	s_and_b64 s[0:1], s[0:1], s[22:23]
	s_and_saveexec_b64 s[2:3], s[0:1]
	s_cbranch_execz .LBB315_67
.LBB315_69:
	v_mov_b32_e32 v0, 0
	global_store_dwordx2 v0, v[10:11], s[20:21]
	s_endpgm
.LBB315_70:
	v_cmp_lt_u32_e32 vcc, v0, v14
	v_cndmask_b32_e32 v20, v12, v15, vcc
	v_cndmask_b32_e32 v0, v13, v18, vcc
	v_add_co_u32_e32 v20, vcc, v20, v1
	v_addc_co_u32_e32 v21, vcc, 0, v0, vcc
	s_waitcnt lgkmcnt(1)
	global_store_dwordx2 v[20:21], v[6:7], off
	s_or_b64 exec, exec, s[2:3]
	v_cmp_gt_u32_e32 vcc, s33, v19
	s_and_saveexec_b64 s[2:3], vcc
	s_cbranch_execz .LBB315_62
.LBB315_71:
	v_cmp_lt_u32_e32 vcc, v19, v14
	s_waitcnt lgkmcnt(1)
	v_cndmask_b32_e32 v6, v12, v15, vcc
	v_cndmask_b32_e32 v0, v13, v18, vcc
	v_add_co_u32_e32 v6, vcc, v6, v1
	v_addc_co_u32_e32 v7, vcc, 0, v0, vcc
	global_store_dwordx2 v[6:7], v[8:9], off offset:1536
	s_or_b64 exec, exec, s[2:3]
	v_cmp_gt_u32_e32 vcc, s33, v17
	s_and_saveexec_b64 s[2:3], vcc
	s_cbranch_execnz .LBB315_63
	s_branch .LBB315_64
	.section	.rodata,"a",@progbits
	.p2align	6, 0x0
	.amdhsa_kernel _ZN7rocprim17ROCPRIM_400000_NS6detail17trampoline_kernelINS0_14default_configENS1_25partition_config_selectorILNS1_17partition_subalgoE0ExNS0_10empty_typeEbEEZZNS1_14partition_implILS5_0ELb0ES3_jN6thrust23THRUST_200600_302600_NS6detail15normal_iteratorINSA_10device_ptrIxEEEEPS6_SG_NS0_5tupleIJSF_SF_EEENSH_IJSG_SG_EEES6_PlJ7is_evenIxEEEE10hipError_tPvRmT3_T4_T5_T6_T7_T9_mT8_P12ihipStream_tbDpT10_ENKUlT_T0_E_clISt17integral_constantIbLb0EES15_IbLb1EEEEDaS11_S12_EUlS11_E_NS1_11comp_targetILNS1_3genE4ELNS1_11target_archE910ELNS1_3gpuE8ELNS1_3repE0EEENS1_30default_config_static_selectorELNS0_4arch9wavefront6targetE1EEEvT1_
		.amdhsa_group_segment_fixed_size 6344
		.amdhsa_private_segment_fixed_size 0
		.amdhsa_kernarg_size 136
		.amdhsa_user_sgpr_count 6
		.amdhsa_user_sgpr_private_segment_buffer 1
		.amdhsa_user_sgpr_dispatch_ptr 0
		.amdhsa_user_sgpr_queue_ptr 0
		.amdhsa_user_sgpr_kernarg_segment_ptr 1
		.amdhsa_user_sgpr_dispatch_id 0
		.amdhsa_user_sgpr_flat_scratch_init 0
		.amdhsa_user_sgpr_kernarg_preload_length 0
		.amdhsa_user_sgpr_kernarg_preload_offset 0
		.amdhsa_user_sgpr_private_segment_size 0
		.amdhsa_uses_dynamic_stack 0
		.amdhsa_system_sgpr_private_segment_wavefront_offset 0
		.amdhsa_system_sgpr_workgroup_id_x 1
		.amdhsa_system_sgpr_workgroup_id_y 0
		.amdhsa_system_sgpr_workgroup_id_z 0
		.amdhsa_system_sgpr_workgroup_info 0
		.amdhsa_system_vgpr_workitem_id 0
		.amdhsa_next_free_vgpr 47
		.amdhsa_next_free_sgpr 44
		.amdhsa_accum_offset 48
		.amdhsa_reserve_vcc 1
		.amdhsa_reserve_flat_scratch 0
		.amdhsa_float_round_mode_32 0
		.amdhsa_float_round_mode_16_64 0
		.amdhsa_float_denorm_mode_32 3
		.amdhsa_float_denorm_mode_16_64 3
		.amdhsa_dx10_clamp 1
		.amdhsa_ieee_mode 1
		.amdhsa_fp16_overflow 0
		.amdhsa_tg_split 0
		.amdhsa_exception_fp_ieee_invalid_op 0
		.amdhsa_exception_fp_denorm_src 0
		.amdhsa_exception_fp_ieee_div_zero 0
		.amdhsa_exception_fp_ieee_overflow 0
		.amdhsa_exception_fp_ieee_underflow 0
		.amdhsa_exception_fp_ieee_inexact 0
		.amdhsa_exception_int_div_zero 0
	.end_amdhsa_kernel
	.section	.text._ZN7rocprim17ROCPRIM_400000_NS6detail17trampoline_kernelINS0_14default_configENS1_25partition_config_selectorILNS1_17partition_subalgoE0ExNS0_10empty_typeEbEEZZNS1_14partition_implILS5_0ELb0ES3_jN6thrust23THRUST_200600_302600_NS6detail15normal_iteratorINSA_10device_ptrIxEEEEPS6_SG_NS0_5tupleIJSF_SF_EEENSH_IJSG_SG_EEES6_PlJ7is_evenIxEEEE10hipError_tPvRmT3_T4_T5_T6_T7_T9_mT8_P12ihipStream_tbDpT10_ENKUlT_T0_E_clISt17integral_constantIbLb0EES15_IbLb1EEEEDaS11_S12_EUlS11_E_NS1_11comp_targetILNS1_3genE4ELNS1_11target_archE910ELNS1_3gpuE8ELNS1_3repE0EEENS1_30default_config_static_selectorELNS0_4arch9wavefront6targetE1EEEvT1_,"axG",@progbits,_ZN7rocprim17ROCPRIM_400000_NS6detail17trampoline_kernelINS0_14default_configENS1_25partition_config_selectorILNS1_17partition_subalgoE0ExNS0_10empty_typeEbEEZZNS1_14partition_implILS5_0ELb0ES3_jN6thrust23THRUST_200600_302600_NS6detail15normal_iteratorINSA_10device_ptrIxEEEEPS6_SG_NS0_5tupleIJSF_SF_EEENSH_IJSG_SG_EEES6_PlJ7is_evenIxEEEE10hipError_tPvRmT3_T4_T5_T6_T7_T9_mT8_P12ihipStream_tbDpT10_ENKUlT_T0_E_clISt17integral_constantIbLb0EES15_IbLb1EEEEDaS11_S12_EUlS11_E_NS1_11comp_targetILNS1_3genE4ELNS1_11target_archE910ELNS1_3gpuE8ELNS1_3repE0EEENS1_30default_config_static_selectorELNS0_4arch9wavefront6targetE1EEEvT1_,comdat
.Lfunc_end315:
	.size	_ZN7rocprim17ROCPRIM_400000_NS6detail17trampoline_kernelINS0_14default_configENS1_25partition_config_selectorILNS1_17partition_subalgoE0ExNS0_10empty_typeEbEEZZNS1_14partition_implILS5_0ELb0ES3_jN6thrust23THRUST_200600_302600_NS6detail15normal_iteratorINSA_10device_ptrIxEEEEPS6_SG_NS0_5tupleIJSF_SF_EEENSH_IJSG_SG_EEES6_PlJ7is_evenIxEEEE10hipError_tPvRmT3_T4_T5_T6_T7_T9_mT8_P12ihipStream_tbDpT10_ENKUlT_T0_E_clISt17integral_constantIbLb0EES15_IbLb1EEEEDaS11_S12_EUlS11_E_NS1_11comp_targetILNS1_3genE4ELNS1_11target_archE910ELNS1_3gpuE8ELNS1_3repE0EEENS1_30default_config_static_selectorELNS0_4arch9wavefront6targetE1EEEvT1_, .Lfunc_end315-_ZN7rocprim17ROCPRIM_400000_NS6detail17trampoline_kernelINS0_14default_configENS1_25partition_config_selectorILNS1_17partition_subalgoE0ExNS0_10empty_typeEbEEZZNS1_14partition_implILS5_0ELb0ES3_jN6thrust23THRUST_200600_302600_NS6detail15normal_iteratorINSA_10device_ptrIxEEEEPS6_SG_NS0_5tupleIJSF_SF_EEENSH_IJSG_SG_EEES6_PlJ7is_evenIxEEEE10hipError_tPvRmT3_T4_T5_T6_T7_T9_mT8_P12ihipStream_tbDpT10_ENKUlT_T0_E_clISt17integral_constantIbLb0EES15_IbLb1EEEEDaS11_S12_EUlS11_E_NS1_11comp_targetILNS1_3genE4ELNS1_11target_archE910ELNS1_3gpuE8ELNS1_3repE0EEENS1_30default_config_static_selectorELNS0_4arch9wavefront6targetE1EEEvT1_
                                        ; -- End function
	.section	.AMDGPU.csdata,"",@progbits
; Kernel info:
; codeLenInByte = 3684
; NumSgprs: 48
; NumVgprs: 47
; NumAgprs: 0
; TotalNumVgprs: 47
; ScratchSize: 0
; MemoryBound: 0
; FloatMode: 240
; IeeeMode: 1
; LDSByteSize: 6344 bytes/workgroup (compile time only)
; SGPRBlocks: 5
; VGPRBlocks: 5
; NumSGPRsForWavesPerEU: 48
; NumVGPRsForWavesPerEU: 47
; AccumOffset: 48
; Occupancy: 8
; WaveLimiterHint : 1
; COMPUTE_PGM_RSRC2:SCRATCH_EN: 0
; COMPUTE_PGM_RSRC2:USER_SGPR: 6
; COMPUTE_PGM_RSRC2:TRAP_HANDLER: 0
; COMPUTE_PGM_RSRC2:TGID_X_EN: 1
; COMPUTE_PGM_RSRC2:TGID_Y_EN: 0
; COMPUTE_PGM_RSRC2:TGID_Z_EN: 0
; COMPUTE_PGM_RSRC2:TIDIG_COMP_CNT: 0
; COMPUTE_PGM_RSRC3_GFX90A:ACCUM_OFFSET: 11
; COMPUTE_PGM_RSRC3_GFX90A:TG_SPLIT: 0
	.section	.text._ZN7rocprim17ROCPRIM_400000_NS6detail17trampoline_kernelINS0_14default_configENS1_25partition_config_selectorILNS1_17partition_subalgoE0ExNS0_10empty_typeEbEEZZNS1_14partition_implILS5_0ELb0ES3_jN6thrust23THRUST_200600_302600_NS6detail15normal_iteratorINSA_10device_ptrIxEEEEPS6_SG_NS0_5tupleIJSF_SF_EEENSH_IJSG_SG_EEES6_PlJ7is_evenIxEEEE10hipError_tPvRmT3_T4_T5_T6_T7_T9_mT8_P12ihipStream_tbDpT10_ENKUlT_T0_E_clISt17integral_constantIbLb0EES15_IbLb1EEEEDaS11_S12_EUlS11_E_NS1_11comp_targetILNS1_3genE3ELNS1_11target_archE908ELNS1_3gpuE7ELNS1_3repE0EEENS1_30default_config_static_selectorELNS0_4arch9wavefront6targetE1EEEvT1_,"axG",@progbits,_ZN7rocprim17ROCPRIM_400000_NS6detail17trampoline_kernelINS0_14default_configENS1_25partition_config_selectorILNS1_17partition_subalgoE0ExNS0_10empty_typeEbEEZZNS1_14partition_implILS5_0ELb0ES3_jN6thrust23THRUST_200600_302600_NS6detail15normal_iteratorINSA_10device_ptrIxEEEEPS6_SG_NS0_5tupleIJSF_SF_EEENSH_IJSG_SG_EEES6_PlJ7is_evenIxEEEE10hipError_tPvRmT3_T4_T5_T6_T7_T9_mT8_P12ihipStream_tbDpT10_ENKUlT_T0_E_clISt17integral_constantIbLb0EES15_IbLb1EEEEDaS11_S12_EUlS11_E_NS1_11comp_targetILNS1_3genE3ELNS1_11target_archE908ELNS1_3gpuE7ELNS1_3repE0EEENS1_30default_config_static_selectorELNS0_4arch9wavefront6targetE1EEEvT1_,comdat
	.protected	_ZN7rocprim17ROCPRIM_400000_NS6detail17trampoline_kernelINS0_14default_configENS1_25partition_config_selectorILNS1_17partition_subalgoE0ExNS0_10empty_typeEbEEZZNS1_14partition_implILS5_0ELb0ES3_jN6thrust23THRUST_200600_302600_NS6detail15normal_iteratorINSA_10device_ptrIxEEEEPS6_SG_NS0_5tupleIJSF_SF_EEENSH_IJSG_SG_EEES6_PlJ7is_evenIxEEEE10hipError_tPvRmT3_T4_T5_T6_T7_T9_mT8_P12ihipStream_tbDpT10_ENKUlT_T0_E_clISt17integral_constantIbLb0EES15_IbLb1EEEEDaS11_S12_EUlS11_E_NS1_11comp_targetILNS1_3genE3ELNS1_11target_archE908ELNS1_3gpuE7ELNS1_3repE0EEENS1_30default_config_static_selectorELNS0_4arch9wavefront6targetE1EEEvT1_ ; -- Begin function _ZN7rocprim17ROCPRIM_400000_NS6detail17trampoline_kernelINS0_14default_configENS1_25partition_config_selectorILNS1_17partition_subalgoE0ExNS0_10empty_typeEbEEZZNS1_14partition_implILS5_0ELb0ES3_jN6thrust23THRUST_200600_302600_NS6detail15normal_iteratorINSA_10device_ptrIxEEEEPS6_SG_NS0_5tupleIJSF_SF_EEENSH_IJSG_SG_EEES6_PlJ7is_evenIxEEEE10hipError_tPvRmT3_T4_T5_T6_T7_T9_mT8_P12ihipStream_tbDpT10_ENKUlT_T0_E_clISt17integral_constantIbLb0EES15_IbLb1EEEEDaS11_S12_EUlS11_E_NS1_11comp_targetILNS1_3genE3ELNS1_11target_archE908ELNS1_3gpuE7ELNS1_3repE0EEENS1_30default_config_static_selectorELNS0_4arch9wavefront6targetE1EEEvT1_
	.globl	_ZN7rocprim17ROCPRIM_400000_NS6detail17trampoline_kernelINS0_14default_configENS1_25partition_config_selectorILNS1_17partition_subalgoE0ExNS0_10empty_typeEbEEZZNS1_14partition_implILS5_0ELb0ES3_jN6thrust23THRUST_200600_302600_NS6detail15normal_iteratorINSA_10device_ptrIxEEEEPS6_SG_NS0_5tupleIJSF_SF_EEENSH_IJSG_SG_EEES6_PlJ7is_evenIxEEEE10hipError_tPvRmT3_T4_T5_T6_T7_T9_mT8_P12ihipStream_tbDpT10_ENKUlT_T0_E_clISt17integral_constantIbLb0EES15_IbLb1EEEEDaS11_S12_EUlS11_E_NS1_11comp_targetILNS1_3genE3ELNS1_11target_archE908ELNS1_3gpuE7ELNS1_3repE0EEENS1_30default_config_static_selectorELNS0_4arch9wavefront6targetE1EEEvT1_
	.p2align	8
	.type	_ZN7rocprim17ROCPRIM_400000_NS6detail17trampoline_kernelINS0_14default_configENS1_25partition_config_selectorILNS1_17partition_subalgoE0ExNS0_10empty_typeEbEEZZNS1_14partition_implILS5_0ELb0ES3_jN6thrust23THRUST_200600_302600_NS6detail15normal_iteratorINSA_10device_ptrIxEEEEPS6_SG_NS0_5tupleIJSF_SF_EEENSH_IJSG_SG_EEES6_PlJ7is_evenIxEEEE10hipError_tPvRmT3_T4_T5_T6_T7_T9_mT8_P12ihipStream_tbDpT10_ENKUlT_T0_E_clISt17integral_constantIbLb0EES15_IbLb1EEEEDaS11_S12_EUlS11_E_NS1_11comp_targetILNS1_3genE3ELNS1_11target_archE908ELNS1_3gpuE7ELNS1_3repE0EEENS1_30default_config_static_selectorELNS0_4arch9wavefront6targetE1EEEvT1_,@function
_ZN7rocprim17ROCPRIM_400000_NS6detail17trampoline_kernelINS0_14default_configENS1_25partition_config_selectorILNS1_17partition_subalgoE0ExNS0_10empty_typeEbEEZZNS1_14partition_implILS5_0ELb0ES3_jN6thrust23THRUST_200600_302600_NS6detail15normal_iteratorINSA_10device_ptrIxEEEEPS6_SG_NS0_5tupleIJSF_SF_EEENSH_IJSG_SG_EEES6_PlJ7is_evenIxEEEE10hipError_tPvRmT3_T4_T5_T6_T7_T9_mT8_P12ihipStream_tbDpT10_ENKUlT_T0_E_clISt17integral_constantIbLb0EES15_IbLb1EEEEDaS11_S12_EUlS11_E_NS1_11comp_targetILNS1_3genE3ELNS1_11target_archE908ELNS1_3gpuE7ELNS1_3repE0EEENS1_30default_config_static_selectorELNS0_4arch9wavefront6targetE1EEEvT1_: ; @_ZN7rocprim17ROCPRIM_400000_NS6detail17trampoline_kernelINS0_14default_configENS1_25partition_config_selectorILNS1_17partition_subalgoE0ExNS0_10empty_typeEbEEZZNS1_14partition_implILS5_0ELb0ES3_jN6thrust23THRUST_200600_302600_NS6detail15normal_iteratorINSA_10device_ptrIxEEEEPS6_SG_NS0_5tupleIJSF_SF_EEENSH_IJSG_SG_EEES6_PlJ7is_evenIxEEEE10hipError_tPvRmT3_T4_T5_T6_T7_T9_mT8_P12ihipStream_tbDpT10_ENKUlT_T0_E_clISt17integral_constantIbLb0EES15_IbLb1EEEEDaS11_S12_EUlS11_E_NS1_11comp_targetILNS1_3genE3ELNS1_11target_archE908ELNS1_3gpuE7ELNS1_3repE0EEENS1_30default_config_static_selectorELNS0_4arch9wavefront6targetE1EEEvT1_
; %bb.0:
	.section	.rodata,"a",@progbits
	.p2align	6, 0x0
	.amdhsa_kernel _ZN7rocprim17ROCPRIM_400000_NS6detail17trampoline_kernelINS0_14default_configENS1_25partition_config_selectorILNS1_17partition_subalgoE0ExNS0_10empty_typeEbEEZZNS1_14partition_implILS5_0ELb0ES3_jN6thrust23THRUST_200600_302600_NS6detail15normal_iteratorINSA_10device_ptrIxEEEEPS6_SG_NS0_5tupleIJSF_SF_EEENSH_IJSG_SG_EEES6_PlJ7is_evenIxEEEE10hipError_tPvRmT3_T4_T5_T6_T7_T9_mT8_P12ihipStream_tbDpT10_ENKUlT_T0_E_clISt17integral_constantIbLb0EES15_IbLb1EEEEDaS11_S12_EUlS11_E_NS1_11comp_targetILNS1_3genE3ELNS1_11target_archE908ELNS1_3gpuE7ELNS1_3repE0EEENS1_30default_config_static_selectorELNS0_4arch9wavefront6targetE1EEEvT1_
		.amdhsa_group_segment_fixed_size 0
		.amdhsa_private_segment_fixed_size 0
		.amdhsa_kernarg_size 136
		.amdhsa_user_sgpr_count 6
		.amdhsa_user_sgpr_private_segment_buffer 1
		.amdhsa_user_sgpr_dispatch_ptr 0
		.amdhsa_user_sgpr_queue_ptr 0
		.amdhsa_user_sgpr_kernarg_segment_ptr 1
		.amdhsa_user_sgpr_dispatch_id 0
		.amdhsa_user_sgpr_flat_scratch_init 0
		.amdhsa_user_sgpr_kernarg_preload_length 0
		.amdhsa_user_sgpr_kernarg_preload_offset 0
		.amdhsa_user_sgpr_private_segment_size 0
		.amdhsa_uses_dynamic_stack 0
		.amdhsa_system_sgpr_private_segment_wavefront_offset 0
		.amdhsa_system_sgpr_workgroup_id_x 1
		.amdhsa_system_sgpr_workgroup_id_y 0
		.amdhsa_system_sgpr_workgroup_id_z 0
		.amdhsa_system_sgpr_workgroup_info 0
		.amdhsa_system_vgpr_workitem_id 0
		.amdhsa_next_free_vgpr 1
		.amdhsa_next_free_sgpr 0
		.amdhsa_accum_offset 4
		.amdhsa_reserve_vcc 0
		.amdhsa_reserve_flat_scratch 0
		.amdhsa_float_round_mode_32 0
		.amdhsa_float_round_mode_16_64 0
		.amdhsa_float_denorm_mode_32 3
		.amdhsa_float_denorm_mode_16_64 3
		.amdhsa_dx10_clamp 1
		.amdhsa_ieee_mode 1
		.amdhsa_fp16_overflow 0
		.amdhsa_tg_split 0
		.amdhsa_exception_fp_ieee_invalid_op 0
		.amdhsa_exception_fp_denorm_src 0
		.amdhsa_exception_fp_ieee_div_zero 0
		.amdhsa_exception_fp_ieee_overflow 0
		.amdhsa_exception_fp_ieee_underflow 0
		.amdhsa_exception_fp_ieee_inexact 0
		.amdhsa_exception_int_div_zero 0
	.end_amdhsa_kernel
	.section	.text._ZN7rocprim17ROCPRIM_400000_NS6detail17trampoline_kernelINS0_14default_configENS1_25partition_config_selectorILNS1_17partition_subalgoE0ExNS0_10empty_typeEbEEZZNS1_14partition_implILS5_0ELb0ES3_jN6thrust23THRUST_200600_302600_NS6detail15normal_iteratorINSA_10device_ptrIxEEEEPS6_SG_NS0_5tupleIJSF_SF_EEENSH_IJSG_SG_EEES6_PlJ7is_evenIxEEEE10hipError_tPvRmT3_T4_T5_T6_T7_T9_mT8_P12ihipStream_tbDpT10_ENKUlT_T0_E_clISt17integral_constantIbLb0EES15_IbLb1EEEEDaS11_S12_EUlS11_E_NS1_11comp_targetILNS1_3genE3ELNS1_11target_archE908ELNS1_3gpuE7ELNS1_3repE0EEENS1_30default_config_static_selectorELNS0_4arch9wavefront6targetE1EEEvT1_,"axG",@progbits,_ZN7rocprim17ROCPRIM_400000_NS6detail17trampoline_kernelINS0_14default_configENS1_25partition_config_selectorILNS1_17partition_subalgoE0ExNS0_10empty_typeEbEEZZNS1_14partition_implILS5_0ELb0ES3_jN6thrust23THRUST_200600_302600_NS6detail15normal_iteratorINSA_10device_ptrIxEEEEPS6_SG_NS0_5tupleIJSF_SF_EEENSH_IJSG_SG_EEES6_PlJ7is_evenIxEEEE10hipError_tPvRmT3_T4_T5_T6_T7_T9_mT8_P12ihipStream_tbDpT10_ENKUlT_T0_E_clISt17integral_constantIbLb0EES15_IbLb1EEEEDaS11_S12_EUlS11_E_NS1_11comp_targetILNS1_3genE3ELNS1_11target_archE908ELNS1_3gpuE7ELNS1_3repE0EEENS1_30default_config_static_selectorELNS0_4arch9wavefront6targetE1EEEvT1_,comdat
.Lfunc_end316:
	.size	_ZN7rocprim17ROCPRIM_400000_NS6detail17trampoline_kernelINS0_14default_configENS1_25partition_config_selectorILNS1_17partition_subalgoE0ExNS0_10empty_typeEbEEZZNS1_14partition_implILS5_0ELb0ES3_jN6thrust23THRUST_200600_302600_NS6detail15normal_iteratorINSA_10device_ptrIxEEEEPS6_SG_NS0_5tupleIJSF_SF_EEENSH_IJSG_SG_EEES6_PlJ7is_evenIxEEEE10hipError_tPvRmT3_T4_T5_T6_T7_T9_mT8_P12ihipStream_tbDpT10_ENKUlT_T0_E_clISt17integral_constantIbLb0EES15_IbLb1EEEEDaS11_S12_EUlS11_E_NS1_11comp_targetILNS1_3genE3ELNS1_11target_archE908ELNS1_3gpuE7ELNS1_3repE0EEENS1_30default_config_static_selectorELNS0_4arch9wavefront6targetE1EEEvT1_, .Lfunc_end316-_ZN7rocprim17ROCPRIM_400000_NS6detail17trampoline_kernelINS0_14default_configENS1_25partition_config_selectorILNS1_17partition_subalgoE0ExNS0_10empty_typeEbEEZZNS1_14partition_implILS5_0ELb0ES3_jN6thrust23THRUST_200600_302600_NS6detail15normal_iteratorINSA_10device_ptrIxEEEEPS6_SG_NS0_5tupleIJSF_SF_EEENSH_IJSG_SG_EEES6_PlJ7is_evenIxEEEE10hipError_tPvRmT3_T4_T5_T6_T7_T9_mT8_P12ihipStream_tbDpT10_ENKUlT_T0_E_clISt17integral_constantIbLb0EES15_IbLb1EEEEDaS11_S12_EUlS11_E_NS1_11comp_targetILNS1_3genE3ELNS1_11target_archE908ELNS1_3gpuE7ELNS1_3repE0EEENS1_30default_config_static_selectorELNS0_4arch9wavefront6targetE1EEEvT1_
                                        ; -- End function
	.section	.AMDGPU.csdata,"",@progbits
; Kernel info:
; codeLenInByte = 0
; NumSgprs: 4
; NumVgprs: 0
; NumAgprs: 0
; TotalNumVgprs: 0
; ScratchSize: 0
; MemoryBound: 0
; FloatMode: 240
; IeeeMode: 1
; LDSByteSize: 0 bytes/workgroup (compile time only)
; SGPRBlocks: 0
; VGPRBlocks: 0
; NumSGPRsForWavesPerEU: 4
; NumVGPRsForWavesPerEU: 1
; AccumOffset: 4
; Occupancy: 8
; WaveLimiterHint : 0
; COMPUTE_PGM_RSRC2:SCRATCH_EN: 0
; COMPUTE_PGM_RSRC2:USER_SGPR: 6
; COMPUTE_PGM_RSRC2:TRAP_HANDLER: 0
; COMPUTE_PGM_RSRC2:TGID_X_EN: 1
; COMPUTE_PGM_RSRC2:TGID_Y_EN: 0
; COMPUTE_PGM_RSRC2:TGID_Z_EN: 0
; COMPUTE_PGM_RSRC2:TIDIG_COMP_CNT: 0
; COMPUTE_PGM_RSRC3_GFX90A:ACCUM_OFFSET: 0
; COMPUTE_PGM_RSRC3_GFX90A:TG_SPLIT: 0
	.section	.text._ZN7rocprim17ROCPRIM_400000_NS6detail17trampoline_kernelINS0_14default_configENS1_25partition_config_selectorILNS1_17partition_subalgoE0ExNS0_10empty_typeEbEEZZNS1_14partition_implILS5_0ELb0ES3_jN6thrust23THRUST_200600_302600_NS6detail15normal_iteratorINSA_10device_ptrIxEEEEPS6_SG_NS0_5tupleIJSF_SF_EEENSH_IJSG_SG_EEES6_PlJ7is_evenIxEEEE10hipError_tPvRmT3_T4_T5_T6_T7_T9_mT8_P12ihipStream_tbDpT10_ENKUlT_T0_E_clISt17integral_constantIbLb0EES15_IbLb1EEEEDaS11_S12_EUlS11_E_NS1_11comp_targetILNS1_3genE2ELNS1_11target_archE906ELNS1_3gpuE6ELNS1_3repE0EEENS1_30default_config_static_selectorELNS0_4arch9wavefront6targetE1EEEvT1_,"axG",@progbits,_ZN7rocprim17ROCPRIM_400000_NS6detail17trampoline_kernelINS0_14default_configENS1_25partition_config_selectorILNS1_17partition_subalgoE0ExNS0_10empty_typeEbEEZZNS1_14partition_implILS5_0ELb0ES3_jN6thrust23THRUST_200600_302600_NS6detail15normal_iteratorINSA_10device_ptrIxEEEEPS6_SG_NS0_5tupleIJSF_SF_EEENSH_IJSG_SG_EEES6_PlJ7is_evenIxEEEE10hipError_tPvRmT3_T4_T5_T6_T7_T9_mT8_P12ihipStream_tbDpT10_ENKUlT_T0_E_clISt17integral_constantIbLb0EES15_IbLb1EEEEDaS11_S12_EUlS11_E_NS1_11comp_targetILNS1_3genE2ELNS1_11target_archE906ELNS1_3gpuE6ELNS1_3repE0EEENS1_30default_config_static_selectorELNS0_4arch9wavefront6targetE1EEEvT1_,comdat
	.protected	_ZN7rocprim17ROCPRIM_400000_NS6detail17trampoline_kernelINS0_14default_configENS1_25partition_config_selectorILNS1_17partition_subalgoE0ExNS0_10empty_typeEbEEZZNS1_14partition_implILS5_0ELb0ES3_jN6thrust23THRUST_200600_302600_NS6detail15normal_iteratorINSA_10device_ptrIxEEEEPS6_SG_NS0_5tupleIJSF_SF_EEENSH_IJSG_SG_EEES6_PlJ7is_evenIxEEEE10hipError_tPvRmT3_T4_T5_T6_T7_T9_mT8_P12ihipStream_tbDpT10_ENKUlT_T0_E_clISt17integral_constantIbLb0EES15_IbLb1EEEEDaS11_S12_EUlS11_E_NS1_11comp_targetILNS1_3genE2ELNS1_11target_archE906ELNS1_3gpuE6ELNS1_3repE0EEENS1_30default_config_static_selectorELNS0_4arch9wavefront6targetE1EEEvT1_ ; -- Begin function _ZN7rocprim17ROCPRIM_400000_NS6detail17trampoline_kernelINS0_14default_configENS1_25partition_config_selectorILNS1_17partition_subalgoE0ExNS0_10empty_typeEbEEZZNS1_14partition_implILS5_0ELb0ES3_jN6thrust23THRUST_200600_302600_NS6detail15normal_iteratorINSA_10device_ptrIxEEEEPS6_SG_NS0_5tupleIJSF_SF_EEENSH_IJSG_SG_EEES6_PlJ7is_evenIxEEEE10hipError_tPvRmT3_T4_T5_T6_T7_T9_mT8_P12ihipStream_tbDpT10_ENKUlT_T0_E_clISt17integral_constantIbLb0EES15_IbLb1EEEEDaS11_S12_EUlS11_E_NS1_11comp_targetILNS1_3genE2ELNS1_11target_archE906ELNS1_3gpuE6ELNS1_3repE0EEENS1_30default_config_static_selectorELNS0_4arch9wavefront6targetE1EEEvT1_
	.globl	_ZN7rocprim17ROCPRIM_400000_NS6detail17trampoline_kernelINS0_14default_configENS1_25partition_config_selectorILNS1_17partition_subalgoE0ExNS0_10empty_typeEbEEZZNS1_14partition_implILS5_0ELb0ES3_jN6thrust23THRUST_200600_302600_NS6detail15normal_iteratorINSA_10device_ptrIxEEEEPS6_SG_NS0_5tupleIJSF_SF_EEENSH_IJSG_SG_EEES6_PlJ7is_evenIxEEEE10hipError_tPvRmT3_T4_T5_T6_T7_T9_mT8_P12ihipStream_tbDpT10_ENKUlT_T0_E_clISt17integral_constantIbLb0EES15_IbLb1EEEEDaS11_S12_EUlS11_E_NS1_11comp_targetILNS1_3genE2ELNS1_11target_archE906ELNS1_3gpuE6ELNS1_3repE0EEENS1_30default_config_static_selectorELNS0_4arch9wavefront6targetE1EEEvT1_
	.p2align	8
	.type	_ZN7rocprim17ROCPRIM_400000_NS6detail17trampoline_kernelINS0_14default_configENS1_25partition_config_selectorILNS1_17partition_subalgoE0ExNS0_10empty_typeEbEEZZNS1_14partition_implILS5_0ELb0ES3_jN6thrust23THRUST_200600_302600_NS6detail15normal_iteratorINSA_10device_ptrIxEEEEPS6_SG_NS0_5tupleIJSF_SF_EEENSH_IJSG_SG_EEES6_PlJ7is_evenIxEEEE10hipError_tPvRmT3_T4_T5_T6_T7_T9_mT8_P12ihipStream_tbDpT10_ENKUlT_T0_E_clISt17integral_constantIbLb0EES15_IbLb1EEEEDaS11_S12_EUlS11_E_NS1_11comp_targetILNS1_3genE2ELNS1_11target_archE906ELNS1_3gpuE6ELNS1_3repE0EEENS1_30default_config_static_selectorELNS0_4arch9wavefront6targetE1EEEvT1_,@function
_ZN7rocprim17ROCPRIM_400000_NS6detail17trampoline_kernelINS0_14default_configENS1_25partition_config_selectorILNS1_17partition_subalgoE0ExNS0_10empty_typeEbEEZZNS1_14partition_implILS5_0ELb0ES3_jN6thrust23THRUST_200600_302600_NS6detail15normal_iteratorINSA_10device_ptrIxEEEEPS6_SG_NS0_5tupleIJSF_SF_EEENSH_IJSG_SG_EEES6_PlJ7is_evenIxEEEE10hipError_tPvRmT3_T4_T5_T6_T7_T9_mT8_P12ihipStream_tbDpT10_ENKUlT_T0_E_clISt17integral_constantIbLb0EES15_IbLb1EEEEDaS11_S12_EUlS11_E_NS1_11comp_targetILNS1_3genE2ELNS1_11target_archE906ELNS1_3gpuE6ELNS1_3repE0EEENS1_30default_config_static_selectorELNS0_4arch9wavefront6targetE1EEEvT1_: ; @_ZN7rocprim17ROCPRIM_400000_NS6detail17trampoline_kernelINS0_14default_configENS1_25partition_config_selectorILNS1_17partition_subalgoE0ExNS0_10empty_typeEbEEZZNS1_14partition_implILS5_0ELb0ES3_jN6thrust23THRUST_200600_302600_NS6detail15normal_iteratorINSA_10device_ptrIxEEEEPS6_SG_NS0_5tupleIJSF_SF_EEENSH_IJSG_SG_EEES6_PlJ7is_evenIxEEEE10hipError_tPvRmT3_T4_T5_T6_T7_T9_mT8_P12ihipStream_tbDpT10_ENKUlT_T0_E_clISt17integral_constantIbLb0EES15_IbLb1EEEEDaS11_S12_EUlS11_E_NS1_11comp_targetILNS1_3genE2ELNS1_11target_archE906ELNS1_3gpuE6ELNS1_3repE0EEENS1_30default_config_static_selectorELNS0_4arch9wavefront6targetE1EEEvT1_
; %bb.0:
	.section	.rodata,"a",@progbits
	.p2align	6, 0x0
	.amdhsa_kernel _ZN7rocprim17ROCPRIM_400000_NS6detail17trampoline_kernelINS0_14default_configENS1_25partition_config_selectorILNS1_17partition_subalgoE0ExNS0_10empty_typeEbEEZZNS1_14partition_implILS5_0ELb0ES3_jN6thrust23THRUST_200600_302600_NS6detail15normal_iteratorINSA_10device_ptrIxEEEEPS6_SG_NS0_5tupleIJSF_SF_EEENSH_IJSG_SG_EEES6_PlJ7is_evenIxEEEE10hipError_tPvRmT3_T4_T5_T6_T7_T9_mT8_P12ihipStream_tbDpT10_ENKUlT_T0_E_clISt17integral_constantIbLb0EES15_IbLb1EEEEDaS11_S12_EUlS11_E_NS1_11comp_targetILNS1_3genE2ELNS1_11target_archE906ELNS1_3gpuE6ELNS1_3repE0EEENS1_30default_config_static_selectorELNS0_4arch9wavefront6targetE1EEEvT1_
		.amdhsa_group_segment_fixed_size 0
		.amdhsa_private_segment_fixed_size 0
		.amdhsa_kernarg_size 136
		.amdhsa_user_sgpr_count 6
		.amdhsa_user_sgpr_private_segment_buffer 1
		.amdhsa_user_sgpr_dispatch_ptr 0
		.amdhsa_user_sgpr_queue_ptr 0
		.amdhsa_user_sgpr_kernarg_segment_ptr 1
		.amdhsa_user_sgpr_dispatch_id 0
		.amdhsa_user_sgpr_flat_scratch_init 0
		.amdhsa_user_sgpr_kernarg_preload_length 0
		.amdhsa_user_sgpr_kernarg_preload_offset 0
		.amdhsa_user_sgpr_private_segment_size 0
		.amdhsa_uses_dynamic_stack 0
		.amdhsa_system_sgpr_private_segment_wavefront_offset 0
		.amdhsa_system_sgpr_workgroup_id_x 1
		.amdhsa_system_sgpr_workgroup_id_y 0
		.amdhsa_system_sgpr_workgroup_id_z 0
		.amdhsa_system_sgpr_workgroup_info 0
		.amdhsa_system_vgpr_workitem_id 0
		.amdhsa_next_free_vgpr 1
		.amdhsa_next_free_sgpr 0
		.amdhsa_accum_offset 4
		.amdhsa_reserve_vcc 0
		.amdhsa_reserve_flat_scratch 0
		.amdhsa_float_round_mode_32 0
		.amdhsa_float_round_mode_16_64 0
		.amdhsa_float_denorm_mode_32 3
		.amdhsa_float_denorm_mode_16_64 3
		.amdhsa_dx10_clamp 1
		.amdhsa_ieee_mode 1
		.amdhsa_fp16_overflow 0
		.amdhsa_tg_split 0
		.amdhsa_exception_fp_ieee_invalid_op 0
		.amdhsa_exception_fp_denorm_src 0
		.amdhsa_exception_fp_ieee_div_zero 0
		.amdhsa_exception_fp_ieee_overflow 0
		.amdhsa_exception_fp_ieee_underflow 0
		.amdhsa_exception_fp_ieee_inexact 0
		.amdhsa_exception_int_div_zero 0
	.end_amdhsa_kernel
	.section	.text._ZN7rocprim17ROCPRIM_400000_NS6detail17trampoline_kernelINS0_14default_configENS1_25partition_config_selectorILNS1_17partition_subalgoE0ExNS0_10empty_typeEbEEZZNS1_14partition_implILS5_0ELb0ES3_jN6thrust23THRUST_200600_302600_NS6detail15normal_iteratorINSA_10device_ptrIxEEEEPS6_SG_NS0_5tupleIJSF_SF_EEENSH_IJSG_SG_EEES6_PlJ7is_evenIxEEEE10hipError_tPvRmT3_T4_T5_T6_T7_T9_mT8_P12ihipStream_tbDpT10_ENKUlT_T0_E_clISt17integral_constantIbLb0EES15_IbLb1EEEEDaS11_S12_EUlS11_E_NS1_11comp_targetILNS1_3genE2ELNS1_11target_archE906ELNS1_3gpuE6ELNS1_3repE0EEENS1_30default_config_static_selectorELNS0_4arch9wavefront6targetE1EEEvT1_,"axG",@progbits,_ZN7rocprim17ROCPRIM_400000_NS6detail17trampoline_kernelINS0_14default_configENS1_25partition_config_selectorILNS1_17partition_subalgoE0ExNS0_10empty_typeEbEEZZNS1_14partition_implILS5_0ELb0ES3_jN6thrust23THRUST_200600_302600_NS6detail15normal_iteratorINSA_10device_ptrIxEEEEPS6_SG_NS0_5tupleIJSF_SF_EEENSH_IJSG_SG_EEES6_PlJ7is_evenIxEEEE10hipError_tPvRmT3_T4_T5_T6_T7_T9_mT8_P12ihipStream_tbDpT10_ENKUlT_T0_E_clISt17integral_constantIbLb0EES15_IbLb1EEEEDaS11_S12_EUlS11_E_NS1_11comp_targetILNS1_3genE2ELNS1_11target_archE906ELNS1_3gpuE6ELNS1_3repE0EEENS1_30default_config_static_selectorELNS0_4arch9wavefront6targetE1EEEvT1_,comdat
.Lfunc_end317:
	.size	_ZN7rocprim17ROCPRIM_400000_NS6detail17trampoline_kernelINS0_14default_configENS1_25partition_config_selectorILNS1_17partition_subalgoE0ExNS0_10empty_typeEbEEZZNS1_14partition_implILS5_0ELb0ES3_jN6thrust23THRUST_200600_302600_NS6detail15normal_iteratorINSA_10device_ptrIxEEEEPS6_SG_NS0_5tupleIJSF_SF_EEENSH_IJSG_SG_EEES6_PlJ7is_evenIxEEEE10hipError_tPvRmT3_T4_T5_T6_T7_T9_mT8_P12ihipStream_tbDpT10_ENKUlT_T0_E_clISt17integral_constantIbLb0EES15_IbLb1EEEEDaS11_S12_EUlS11_E_NS1_11comp_targetILNS1_3genE2ELNS1_11target_archE906ELNS1_3gpuE6ELNS1_3repE0EEENS1_30default_config_static_selectorELNS0_4arch9wavefront6targetE1EEEvT1_, .Lfunc_end317-_ZN7rocprim17ROCPRIM_400000_NS6detail17trampoline_kernelINS0_14default_configENS1_25partition_config_selectorILNS1_17partition_subalgoE0ExNS0_10empty_typeEbEEZZNS1_14partition_implILS5_0ELb0ES3_jN6thrust23THRUST_200600_302600_NS6detail15normal_iteratorINSA_10device_ptrIxEEEEPS6_SG_NS0_5tupleIJSF_SF_EEENSH_IJSG_SG_EEES6_PlJ7is_evenIxEEEE10hipError_tPvRmT3_T4_T5_T6_T7_T9_mT8_P12ihipStream_tbDpT10_ENKUlT_T0_E_clISt17integral_constantIbLb0EES15_IbLb1EEEEDaS11_S12_EUlS11_E_NS1_11comp_targetILNS1_3genE2ELNS1_11target_archE906ELNS1_3gpuE6ELNS1_3repE0EEENS1_30default_config_static_selectorELNS0_4arch9wavefront6targetE1EEEvT1_
                                        ; -- End function
	.section	.AMDGPU.csdata,"",@progbits
; Kernel info:
; codeLenInByte = 0
; NumSgprs: 4
; NumVgprs: 0
; NumAgprs: 0
; TotalNumVgprs: 0
; ScratchSize: 0
; MemoryBound: 0
; FloatMode: 240
; IeeeMode: 1
; LDSByteSize: 0 bytes/workgroup (compile time only)
; SGPRBlocks: 0
; VGPRBlocks: 0
; NumSGPRsForWavesPerEU: 4
; NumVGPRsForWavesPerEU: 1
; AccumOffset: 4
; Occupancy: 8
; WaveLimiterHint : 0
; COMPUTE_PGM_RSRC2:SCRATCH_EN: 0
; COMPUTE_PGM_RSRC2:USER_SGPR: 6
; COMPUTE_PGM_RSRC2:TRAP_HANDLER: 0
; COMPUTE_PGM_RSRC2:TGID_X_EN: 1
; COMPUTE_PGM_RSRC2:TGID_Y_EN: 0
; COMPUTE_PGM_RSRC2:TGID_Z_EN: 0
; COMPUTE_PGM_RSRC2:TIDIG_COMP_CNT: 0
; COMPUTE_PGM_RSRC3_GFX90A:ACCUM_OFFSET: 0
; COMPUTE_PGM_RSRC3_GFX90A:TG_SPLIT: 0
	.section	.text._ZN7rocprim17ROCPRIM_400000_NS6detail17trampoline_kernelINS0_14default_configENS1_25partition_config_selectorILNS1_17partition_subalgoE0ExNS0_10empty_typeEbEEZZNS1_14partition_implILS5_0ELb0ES3_jN6thrust23THRUST_200600_302600_NS6detail15normal_iteratorINSA_10device_ptrIxEEEEPS6_SG_NS0_5tupleIJSF_SF_EEENSH_IJSG_SG_EEES6_PlJ7is_evenIxEEEE10hipError_tPvRmT3_T4_T5_T6_T7_T9_mT8_P12ihipStream_tbDpT10_ENKUlT_T0_E_clISt17integral_constantIbLb0EES15_IbLb1EEEEDaS11_S12_EUlS11_E_NS1_11comp_targetILNS1_3genE10ELNS1_11target_archE1200ELNS1_3gpuE4ELNS1_3repE0EEENS1_30default_config_static_selectorELNS0_4arch9wavefront6targetE1EEEvT1_,"axG",@progbits,_ZN7rocprim17ROCPRIM_400000_NS6detail17trampoline_kernelINS0_14default_configENS1_25partition_config_selectorILNS1_17partition_subalgoE0ExNS0_10empty_typeEbEEZZNS1_14partition_implILS5_0ELb0ES3_jN6thrust23THRUST_200600_302600_NS6detail15normal_iteratorINSA_10device_ptrIxEEEEPS6_SG_NS0_5tupleIJSF_SF_EEENSH_IJSG_SG_EEES6_PlJ7is_evenIxEEEE10hipError_tPvRmT3_T4_T5_T6_T7_T9_mT8_P12ihipStream_tbDpT10_ENKUlT_T0_E_clISt17integral_constantIbLb0EES15_IbLb1EEEEDaS11_S12_EUlS11_E_NS1_11comp_targetILNS1_3genE10ELNS1_11target_archE1200ELNS1_3gpuE4ELNS1_3repE0EEENS1_30default_config_static_selectorELNS0_4arch9wavefront6targetE1EEEvT1_,comdat
	.protected	_ZN7rocprim17ROCPRIM_400000_NS6detail17trampoline_kernelINS0_14default_configENS1_25partition_config_selectorILNS1_17partition_subalgoE0ExNS0_10empty_typeEbEEZZNS1_14partition_implILS5_0ELb0ES3_jN6thrust23THRUST_200600_302600_NS6detail15normal_iteratorINSA_10device_ptrIxEEEEPS6_SG_NS0_5tupleIJSF_SF_EEENSH_IJSG_SG_EEES6_PlJ7is_evenIxEEEE10hipError_tPvRmT3_T4_T5_T6_T7_T9_mT8_P12ihipStream_tbDpT10_ENKUlT_T0_E_clISt17integral_constantIbLb0EES15_IbLb1EEEEDaS11_S12_EUlS11_E_NS1_11comp_targetILNS1_3genE10ELNS1_11target_archE1200ELNS1_3gpuE4ELNS1_3repE0EEENS1_30default_config_static_selectorELNS0_4arch9wavefront6targetE1EEEvT1_ ; -- Begin function _ZN7rocprim17ROCPRIM_400000_NS6detail17trampoline_kernelINS0_14default_configENS1_25partition_config_selectorILNS1_17partition_subalgoE0ExNS0_10empty_typeEbEEZZNS1_14partition_implILS5_0ELb0ES3_jN6thrust23THRUST_200600_302600_NS6detail15normal_iteratorINSA_10device_ptrIxEEEEPS6_SG_NS0_5tupleIJSF_SF_EEENSH_IJSG_SG_EEES6_PlJ7is_evenIxEEEE10hipError_tPvRmT3_T4_T5_T6_T7_T9_mT8_P12ihipStream_tbDpT10_ENKUlT_T0_E_clISt17integral_constantIbLb0EES15_IbLb1EEEEDaS11_S12_EUlS11_E_NS1_11comp_targetILNS1_3genE10ELNS1_11target_archE1200ELNS1_3gpuE4ELNS1_3repE0EEENS1_30default_config_static_selectorELNS0_4arch9wavefront6targetE1EEEvT1_
	.globl	_ZN7rocprim17ROCPRIM_400000_NS6detail17trampoline_kernelINS0_14default_configENS1_25partition_config_selectorILNS1_17partition_subalgoE0ExNS0_10empty_typeEbEEZZNS1_14partition_implILS5_0ELb0ES3_jN6thrust23THRUST_200600_302600_NS6detail15normal_iteratorINSA_10device_ptrIxEEEEPS6_SG_NS0_5tupleIJSF_SF_EEENSH_IJSG_SG_EEES6_PlJ7is_evenIxEEEE10hipError_tPvRmT3_T4_T5_T6_T7_T9_mT8_P12ihipStream_tbDpT10_ENKUlT_T0_E_clISt17integral_constantIbLb0EES15_IbLb1EEEEDaS11_S12_EUlS11_E_NS1_11comp_targetILNS1_3genE10ELNS1_11target_archE1200ELNS1_3gpuE4ELNS1_3repE0EEENS1_30default_config_static_selectorELNS0_4arch9wavefront6targetE1EEEvT1_
	.p2align	8
	.type	_ZN7rocprim17ROCPRIM_400000_NS6detail17trampoline_kernelINS0_14default_configENS1_25partition_config_selectorILNS1_17partition_subalgoE0ExNS0_10empty_typeEbEEZZNS1_14partition_implILS5_0ELb0ES3_jN6thrust23THRUST_200600_302600_NS6detail15normal_iteratorINSA_10device_ptrIxEEEEPS6_SG_NS0_5tupleIJSF_SF_EEENSH_IJSG_SG_EEES6_PlJ7is_evenIxEEEE10hipError_tPvRmT3_T4_T5_T6_T7_T9_mT8_P12ihipStream_tbDpT10_ENKUlT_T0_E_clISt17integral_constantIbLb0EES15_IbLb1EEEEDaS11_S12_EUlS11_E_NS1_11comp_targetILNS1_3genE10ELNS1_11target_archE1200ELNS1_3gpuE4ELNS1_3repE0EEENS1_30default_config_static_selectorELNS0_4arch9wavefront6targetE1EEEvT1_,@function
_ZN7rocprim17ROCPRIM_400000_NS6detail17trampoline_kernelINS0_14default_configENS1_25partition_config_selectorILNS1_17partition_subalgoE0ExNS0_10empty_typeEbEEZZNS1_14partition_implILS5_0ELb0ES3_jN6thrust23THRUST_200600_302600_NS6detail15normal_iteratorINSA_10device_ptrIxEEEEPS6_SG_NS0_5tupleIJSF_SF_EEENSH_IJSG_SG_EEES6_PlJ7is_evenIxEEEE10hipError_tPvRmT3_T4_T5_T6_T7_T9_mT8_P12ihipStream_tbDpT10_ENKUlT_T0_E_clISt17integral_constantIbLb0EES15_IbLb1EEEEDaS11_S12_EUlS11_E_NS1_11comp_targetILNS1_3genE10ELNS1_11target_archE1200ELNS1_3gpuE4ELNS1_3repE0EEENS1_30default_config_static_selectorELNS0_4arch9wavefront6targetE1EEEvT1_: ; @_ZN7rocprim17ROCPRIM_400000_NS6detail17trampoline_kernelINS0_14default_configENS1_25partition_config_selectorILNS1_17partition_subalgoE0ExNS0_10empty_typeEbEEZZNS1_14partition_implILS5_0ELb0ES3_jN6thrust23THRUST_200600_302600_NS6detail15normal_iteratorINSA_10device_ptrIxEEEEPS6_SG_NS0_5tupleIJSF_SF_EEENSH_IJSG_SG_EEES6_PlJ7is_evenIxEEEE10hipError_tPvRmT3_T4_T5_T6_T7_T9_mT8_P12ihipStream_tbDpT10_ENKUlT_T0_E_clISt17integral_constantIbLb0EES15_IbLb1EEEEDaS11_S12_EUlS11_E_NS1_11comp_targetILNS1_3genE10ELNS1_11target_archE1200ELNS1_3gpuE4ELNS1_3repE0EEENS1_30default_config_static_selectorELNS0_4arch9wavefront6targetE1EEEvT1_
; %bb.0:
	.section	.rodata,"a",@progbits
	.p2align	6, 0x0
	.amdhsa_kernel _ZN7rocprim17ROCPRIM_400000_NS6detail17trampoline_kernelINS0_14default_configENS1_25partition_config_selectorILNS1_17partition_subalgoE0ExNS0_10empty_typeEbEEZZNS1_14partition_implILS5_0ELb0ES3_jN6thrust23THRUST_200600_302600_NS6detail15normal_iteratorINSA_10device_ptrIxEEEEPS6_SG_NS0_5tupleIJSF_SF_EEENSH_IJSG_SG_EEES6_PlJ7is_evenIxEEEE10hipError_tPvRmT3_T4_T5_T6_T7_T9_mT8_P12ihipStream_tbDpT10_ENKUlT_T0_E_clISt17integral_constantIbLb0EES15_IbLb1EEEEDaS11_S12_EUlS11_E_NS1_11comp_targetILNS1_3genE10ELNS1_11target_archE1200ELNS1_3gpuE4ELNS1_3repE0EEENS1_30default_config_static_selectorELNS0_4arch9wavefront6targetE1EEEvT1_
		.amdhsa_group_segment_fixed_size 0
		.amdhsa_private_segment_fixed_size 0
		.amdhsa_kernarg_size 136
		.amdhsa_user_sgpr_count 6
		.amdhsa_user_sgpr_private_segment_buffer 1
		.amdhsa_user_sgpr_dispatch_ptr 0
		.amdhsa_user_sgpr_queue_ptr 0
		.amdhsa_user_sgpr_kernarg_segment_ptr 1
		.amdhsa_user_sgpr_dispatch_id 0
		.amdhsa_user_sgpr_flat_scratch_init 0
		.amdhsa_user_sgpr_kernarg_preload_length 0
		.amdhsa_user_sgpr_kernarg_preload_offset 0
		.amdhsa_user_sgpr_private_segment_size 0
		.amdhsa_uses_dynamic_stack 0
		.amdhsa_system_sgpr_private_segment_wavefront_offset 0
		.amdhsa_system_sgpr_workgroup_id_x 1
		.amdhsa_system_sgpr_workgroup_id_y 0
		.amdhsa_system_sgpr_workgroup_id_z 0
		.amdhsa_system_sgpr_workgroup_info 0
		.amdhsa_system_vgpr_workitem_id 0
		.amdhsa_next_free_vgpr 1
		.amdhsa_next_free_sgpr 0
		.amdhsa_accum_offset 4
		.amdhsa_reserve_vcc 0
		.amdhsa_reserve_flat_scratch 0
		.amdhsa_float_round_mode_32 0
		.amdhsa_float_round_mode_16_64 0
		.amdhsa_float_denorm_mode_32 3
		.amdhsa_float_denorm_mode_16_64 3
		.amdhsa_dx10_clamp 1
		.amdhsa_ieee_mode 1
		.amdhsa_fp16_overflow 0
		.amdhsa_tg_split 0
		.amdhsa_exception_fp_ieee_invalid_op 0
		.amdhsa_exception_fp_denorm_src 0
		.amdhsa_exception_fp_ieee_div_zero 0
		.amdhsa_exception_fp_ieee_overflow 0
		.amdhsa_exception_fp_ieee_underflow 0
		.amdhsa_exception_fp_ieee_inexact 0
		.amdhsa_exception_int_div_zero 0
	.end_amdhsa_kernel
	.section	.text._ZN7rocprim17ROCPRIM_400000_NS6detail17trampoline_kernelINS0_14default_configENS1_25partition_config_selectorILNS1_17partition_subalgoE0ExNS0_10empty_typeEbEEZZNS1_14partition_implILS5_0ELb0ES3_jN6thrust23THRUST_200600_302600_NS6detail15normal_iteratorINSA_10device_ptrIxEEEEPS6_SG_NS0_5tupleIJSF_SF_EEENSH_IJSG_SG_EEES6_PlJ7is_evenIxEEEE10hipError_tPvRmT3_T4_T5_T6_T7_T9_mT8_P12ihipStream_tbDpT10_ENKUlT_T0_E_clISt17integral_constantIbLb0EES15_IbLb1EEEEDaS11_S12_EUlS11_E_NS1_11comp_targetILNS1_3genE10ELNS1_11target_archE1200ELNS1_3gpuE4ELNS1_3repE0EEENS1_30default_config_static_selectorELNS0_4arch9wavefront6targetE1EEEvT1_,"axG",@progbits,_ZN7rocprim17ROCPRIM_400000_NS6detail17trampoline_kernelINS0_14default_configENS1_25partition_config_selectorILNS1_17partition_subalgoE0ExNS0_10empty_typeEbEEZZNS1_14partition_implILS5_0ELb0ES3_jN6thrust23THRUST_200600_302600_NS6detail15normal_iteratorINSA_10device_ptrIxEEEEPS6_SG_NS0_5tupleIJSF_SF_EEENSH_IJSG_SG_EEES6_PlJ7is_evenIxEEEE10hipError_tPvRmT3_T4_T5_T6_T7_T9_mT8_P12ihipStream_tbDpT10_ENKUlT_T0_E_clISt17integral_constantIbLb0EES15_IbLb1EEEEDaS11_S12_EUlS11_E_NS1_11comp_targetILNS1_3genE10ELNS1_11target_archE1200ELNS1_3gpuE4ELNS1_3repE0EEENS1_30default_config_static_selectorELNS0_4arch9wavefront6targetE1EEEvT1_,comdat
.Lfunc_end318:
	.size	_ZN7rocprim17ROCPRIM_400000_NS6detail17trampoline_kernelINS0_14default_configENS1_25partition_config_selectorILNS1_17partition_subalgoE0ExNS0_10empty_typeEbEEZZNS1_14partition_implILS5_0ELb0ES3_jN6thrust23THRUST_200600_302600_NS6detail15normal_iteratorINSA_10device_ptrIxEEEEPS6_SG_NS0_5tupleIJSF_SF_EEENSH_IJSG_SG_EEES6_PlJ7is_evenIxEEEE10hipError_tPvRmT3_T4_T5_T6_T7_T9_mT8_P12ihipStream_tbDpT10_ENKUlT_T0_E_clISt17integral_constantIbLb0EES15_IbLb1EEEEDaS11_S12_EUlS11_E_NS1_11comp_targetILNS1_3genE10ELNS1_11target_archE1200ELNS1_3gpuE4ELNS1_3repE0EEENS1_30default_config_static_selectorELNS0_4arch9wavefront6targetE1EEEvT1_, .Lfunc_end318-_ZN7rocprim17ROCPRIM_400000_NS6detail17trampoline_kernelINS0_14default_configENS1_25partition_config_selectorILNS1_17partition_subalgoE0ExNS0_10empty_typeEbEEZZNS1_14partition_implILS5_0ELb0ES3_jN6thrust23THRUST_200600_302600_NS6detail15normal_iteratorINSA_10device_ptrIxEEEEPS6_SG_NS0_5tupleIJSF_SF_EEENSH_IJSG_SG_EEES6_PlJ7is_evenIxEEEE10hipError_tPvRmT3_T4_T5_T6_T7_T9_mT8_P12ihipStream_tbDpT10_ENKUlT_T0_E_clISt17integral_constantIbLb0EES15_IbLb1EEEEDaS11_S12_EUlS11_E_NS1_11comp_targetILNS1_3genE10ELNS1_11target_archE1200ELNS1_3gpuE4ELNS1_3repE0EEENS1_30default_config_static_selectorELNS0_4arch9wavefront6targetE1EEEvT1_
                                        ; -- End function
	.section	.AMDGPU.csdata,"",@progbits
; Kernel info:
; codeLenInByte = 0
; NumSgprs: 4
; NumVgprs: 0
; NumAgprs: 0
; TotalNumVgprs: 0
; ScratchSize: 0
; MemoryBound: 0
; FloatMode: 240
; IeeeMode: 1
; LDSByteSize: 0 bytes/workgroup (compile time only)
; SGPRBlocks: 0
; VGPRBlocks: 0
; NumSGPRsForWavesPerEU: 4
; NumVGPRsForWavesPerEU: 1
; AccumOffset: 4
; Occupancy: 8
; WaveLimiterHint : 0
; COMPUTE_PGM_RSRC2:SCRATCH_EN: 0
; COMPUTE_PGM_RSRC2:USER_SGPR: 6
; COMPUTE_PGM_RSRC2:TRAP_HANDLER: 0
; COMPUTE_PGM_RSRC2:TGID_X_EN: 1
; COMPUTE_PGM_RSRC2:TGID_Y_EN: 0
; COMPUTE_PGM_RSRC2:TGID_Z_EN: 0
; COMPUTE_PGM_RSRC2:TIDIG_COMP_CNT: 0
; COMPUTE_PGM_RSRC3_GFX90A:ACCUM_OFFSET: 0
; COMPUTE_PGM_RSRC3_GFX90A:TG_SPLIT: 0
	.section	.text._ZN7rocprim17ROCPRIM_400000_NS6detail17trampoline_kernelINS0_14default_configENS1_25partition_config_selectorILNS1_17partition_subalgoE0ExNS0_10empty_typeEbEEZZNS1_14partition_implILS5_0ELb0ES3_jN6thrust23THRUST_200600_302600_NS6detail15normal_iteratorINSA_10device_ptrIxEEEEPS6_SG_NS0_5tupleIJSF_SF_EEENSH_IJSG_SG_EEES6_PlJ7is_evenIxEEEE10hipError_tPvRmT3_T4_T5_T6_T7_T9_mT8_P12ihipStream_tbDpT10_ENKUlT_T0_E_clISt17integral_constantIbLb0EES15_IbLb1EEEEDaS11_S12_EUlS11_E_NS1_11comp_targetILNS1_3genE9ELNS1_11target_archE1100ELNS1_3gpuE3ELNS1_3repE0EEENS1_30default_config_static_selectorELNS0_4arch9wavefront6targetE1EEEvT1_,"axG",@progbits,_ZN7rocprim17ROCPRIM_400000_NS6detail17trampoline_kernelINS0_14default_configENS1_25partition_config_selectorILNS1_17partition_subalgoE0ExNS0_10empty_typeEbEEZZNS1_14partition_implILS5_0ELb0ES3_jN6thrust23THRUST_200600_302600_NS6detail15normal_iteratorINSA_10device_ptrIxEEEEPS6_SG_NS0_5tupleIJSF_SF_EEENSH_IJSG_SG_EEES6_PlJ7is_evenIxEEEE10hipError_tPvRmT3_T4_T5_T6_T7_T9_mT8_P12ihipStream_tbDpT10_ENKUlT_T0_E_clISt17integral_constantIbLb0EES15_IbLb1EEEEDaS11_S12_EUlS11_E_NS1_11comp_targetILNS1_3genE9ELNS1_11target_archE1100ELNS1_3gpuE3ELNS1_3repE0EEENS1_30default_config_static_selectorELNS0_4arch9wavefront6targetE1EEEvT1_,comdat
	.protected	_ZN7rocprim17ROCPRIM_400000_NS6detail17trampoline_kernelINS0_14default_configENS1_25partition_config_selectorILNS1_17partition_subalgoE0ExNS0_10empty_typeEbEEZZNS1_14partition_implILS5_0ELb0ES3_jN6thrust23THRUST_200600_302600_NS6detail15normal_iteratorINSA_10device_ptrIxEEEEPS6_SG_NS0_5tupleIJSF_SF_EEENSH_IJSG_SG_EEES6_PlJ7is_evenIxEEEE10hipError_tPvRmT3_T4_T5_T6_T7_T9_mT8_P12ihipStream_tbDpT10_ENKUlT_T0_E_clISt17integral_constantIbLb0EES15_IbLb1EEEEDaS11_S12_EUlS11_E_NS1_11comp_targetILNS1_3genE9ELNS1_11target_archE1100ELNS1_3gpuE3ELNS1_3repE0EEENS1_30default_config_static_selectorELNS0_4arch9wavefront6targetE1EEEvT1_ ; -- Begin function _ZN7rocprim17ROCPRIM_400000_NS6detail17trampoline_kernelINS0_14default_configENS1_25partition_config_selectorILNS1_17partition_subalgoE0ExNS0_10empty_typeEbEEZZNS1_14partition_implILS5_0ELb0ES3_jN6thrust23THRUST_200600_302600_NS6detail15normal_iteratorINSA_10device_ptrIxEEEEPS6_SG_NS0_5tupleIJSF_SF_EEENSH_IJSG_SG_EEES6_PlJ7is_evenIxEEEE10hipError_tPvRmT3_T4_T5_T6_T7_T9_mT8_P12ihipStream_tbDpT10_ENKUlT_T0_E_clISt17integral_constantIbLb0EES15_IbLb1EEEEDaS11_S12_EUlS11_E_NS1_11comp_targetILNS1_3genE9ELNS1_11target_archE1100ELNS1_3gpuE3ELNS1_3repE0EEENS1_30default_config_static_selectorELNS0_4arch9wavefront6targetE1EEEvT1_
	.globl	_ZN7rocprim17ROCPRIM_400000_NS6detail17trampoline_kernelINS0_14default_configENS1_25partition_config_selectorILNS1_17partition_subalgoE0ExNS0_10empty_typeEbEEZZNS1_14partition_implILS5_0ELb0ES3_jN6thrust23THRUST_200600_302600_NS6detail15normal_iteratorINSA_10device_ptrIxEEEEPS6_SG_NS0_5tupleIJSF_SF_EEENSH_IJSG_SG_EEES6_PlJ7is_evenIxEEEE10hipError_tPvRmT3_T4_T5_T6_T7_T9_mT8_P12ihipStream_tbDpT10_ENKUlT_T0_E_clISt17integral_constantIbLb0EES15_IbLb1EEEEDaS11_S12_EUlS11_E_NS1_11comp_targetILNS1_3genE9ELNS1_11target_archE1100ELNS1_3gpuE3ELNS1_3repE0EEENS1_30default_config_static_selectorELNS0_4arch9wavefront6targetE1EEEvT1_
	.p2align	8
	.type	_ZN7rocprim17ROCPRIM_400000_NS6detail17trampoline_kernelINS0_14default_configENS1_25partition_config_selectorILNS1_17partition_subalgoE0ExNS0_10empty_typeEbEEZZNS1_14partition_implILS5_0ELb0ES3_jN6thrust23THRUST_200600_302600_NS6detail15normal_iteratorINSA_10device_ptrIxEEEEPS6_SG_NS0_5tupleIJSF_SF_EEENSH_IJSG_SG_EEES6_PlJ7is_evenIxEEEE10hipError_tPvRmT3_T4_T5_T6_T7_T9_mT8_P12ihipStream_tbDpT10_ENKUlT_T0_E_clISt17integral_constantIbLb0EES15_IbLb1EEEEDaS11_S12_EUlS11_E_NS1_11comp_targetILNS1_3genE9ELNS1_11target_archE1100ELNS1_3gpuE3ELNS1_3repE0EEENS1_30default_config_static_selectorELNS0_4arch9wavefront6targetE1EEEvT1_,@function
_ZN7rocprim17ROCPRIM_400000_NS6detail17trampoline_kernelINS0_14default_configENS1_25partition_config_selectorILNS1_17partition_subalgoE0ExNS0_10empty_typeEbEEZZNS1_14partition_implILS5_0ELb0ES3_jN6thrust23THRUST_200600_302600_NS6detail15normal_iteratorINSA_10device_ptrIxEEEEPS6_SG_NS0_5tupleIJSF_SF_EEENSH_IJSG_SG_EEES6_PlJ7is_evenIxEEEE10hipError_tPvRmT3_T4_T5_T6_T7_T9_mT8_P12ihipStream_tbDpT10_ENKUlT_T0_E_clISt17integral_constantIbLb0EES15_IbLb1EEEEDaS11_S12_EUlS11_E_NS1_11comp_targetILNS1_3genE9ELNS1_11target_archE1100ELNS1_3gpuE3ELNS1_3repE0EEENS1_30default_config_static_selectorELNS0_4arch9wavefront6targetE1EEEvT1_: ; @_ZN7rocprim17ROCPRIM_400000_NS6detail17trampoline_kernelINS0_14default_configENS1_25partition_config_selectorILNS1_17partition_subalgoE0ExNS0_10empty_typeEbEEZZNS1_14partition_implILS5_0ELb0ES3_jN6thrust23THRUST_200600_302600_NS6detail15normal_iteratorINSA_10device_ptrIxEEEEPS6_SG_NS0_5tupleIJSF_SF_EEENSH_IJSG_SG_EEES6_PlJ7is_evenIxEEEE10hipError_tPvRmT3_T4_T5_T6_T7_T9_mT8_P12ihipStream_tbDpT10_ENKUlT_T0_E_clISt17integral_constantIbLb0EES15_IbLb1EEEEDaS11_S12_EUlS11_E_NS1_11comp_targetILNS1_3genE9ELNS1_11target_archE1100ELNS1_3gpuE3ELNS1_3repE0EEENS1_30default_config_static_selectorELNS0_4arch9wavefront6targetE1EEEvT1_
; %bb.0:
	.section	.rodata,"a",@progbits
	.p2align	6, 0x0
	.amdhsa_kernel _ZN7rocprim17ROCPRIM_400000_NS6detail17trampoline_kernelINS0_14default_configENS1_25partition_config_selectorILNS1_17partition_subalgoE0ExNS0_10empty_typeEbEEZZNS1_14partition_implILS5_0ELb0ES3_jN6thrust23THRUST_200600_302600_NS6detail15normal_iteratorINSA_10device_ptrIxEEEEPS6_SG_NS0_5tupleIJSF_SF_EEENSH_IJSG_SG_EEES6_PlJ7is_evenIxEEEE10hipError_tPvRmT3_T4_T5_T6_T7_T9_mT8_P12ihipStream_tbDpT10_ENKUlT_T0_E_clISt17integral_constantIbLb0EES15_IbLb1EEEEDaS11_S12_EUlS11_E_NS1_11comp_targetILNS1_3genE9ELNS1_11target_archE1100ELNS1_3gpuE3ELNS1_3repE0EEENS1_30default_config_static_selectorELNS0_4arch9wavefront6targetE1EEEvT1_
		.amdhsa_group_segment_fixed_size 0
		.amdhsa_private_segment_fixed_size 0
		.amdhsa_kernarg_size 136
		.amdhsa_user_sgpr_count 6
		.amdhsa_user_sgpr_private_segment_buffer 1
		.amdhsa_user_sgpr_dispatch_ptr 0
		.amdhsa_user_sgpr_queue_ptr 0
		.amdhsa_user_sgpr_kernarg_segment_ptr 1
		.amdhsa_user_sgpr_dispatch_id 0
		.amdhsa_user_sgpr_flat_scratch_init 0
		.amdhsa_user_sgpr_kernarg_preload_length 0
		.amdhsa_user_sgpr_kernarg_preload_offset 0
		.amdhsa_user_sgpr_private_segment_size 0
		.amdhsa_uses_dynamic_stack 0
		.amdhsa_system_sgpr_private_segment_wavefront_offset 0
		.amdhsa_system_sgpr_workgroup_id_x 1
		.amdhsa_system_sgpr_workgroup_id_y 0
		.amdhsa_system_sgpr_workgroup_id_z 0
		.amdhsa_system_sgpr_workgroup_info 0
		.amdhsa_system_vgpr_workitem_id 0
		.amdhsa_next_free_vgpr 1
		.amdhsa_next_free_sgpr 0
		.amdhsa_accum_offset 4
		.amdhsa_reserve_vcc 0
		.amdhsa_reserve_flat_scratch 0
		.amdhsa_float_round_mode_32 0
		.amdhsa_float_round_mode_16_64 0
		.amdhsa_float_denorm_mode_32 3
		.amdhsa_float_denorm_mode_16_64 3
		.amdhsa_dx10_clamp 1
		.amdhsa_ieee_mode 1
		.amdhsa_fp16_overflow 0
		.amdhsa_tg_split 0
		.amdhsa_exception_fp_ieee_invalid_op 0
		.amdhsa_exception_fp_denorm_src 0
		.amdhsa_exception_fp_ieee_div_zero 0
		.amdhsa_exception_fp_ieee_overflow 0
		.amdhsa_exception_fp_ieee_underflow 0
		.amdhsa_exception_fp_ieee_inexact 0
		.amdhsa_exception_int_div_zero 0
	.end_amdhsa_kernel
	.section	.text._ZN7rocprim17ROCPRIM_400000_NS6detail17trampoline_kernelINS0_14default_configENS1_25partition_config_selectorILNS1_17partition_subalgoE0ExNS0_10empty_typeEbEEZZNS1_14partition_implILS5_0ELb0ES3_jN6thrust23THRUST_200600_302600_NS6detail15normal_iteratorINSA_10device_ptrIxEEEEPS6_SG_NS0_5tupleIJSF_SF_EEENSH_IJSG_SG_EEES6_PlJ7is_evenIxEEEE10hipError_tPvRmT3_T4_T5_T6_T7_T9_mT8_P12ihipStream_tbDpT10_ENKUlT_T0_E_clISt17integral_constantIbLb0EES15_IbLb1EEEEDaS11_S12_EUlS11_E_NS1_11comp_targetILNS1_3genE9ELNS1_11target_archE1100ELNS1_3gpuE3ELNS1_3repE0EEENS1_30default_config_static_selectorELNS0_4arch9wavefront6targetE1EEEvT1_,"axG",@progbits,_ZN7rocprim17ROCPRIM_400000_NS6detail17trampoline_kernelINS0_14default_configENS1_25partition_config_selectorILNS1_17partition_subalgoE0ExNS0_10empty_typeEbEEZZNS1_14partition_implILS5_0ELb0ES3_jN6thrust23THRUST_200600_302600_NS6detail15normal_iteratorINSA_10device_ptrIxEEEEPS6_SG_NS0_5tupleIJSF_SF_EEENSH_IJSG_SG_EEES6_PlJ7is_evenIxEEEE10hipError_tPvRmT3_T4_T5_T6_T7_T9_mT8_P12ihipStream_tbDpT10_ENKUlT_T0_E_clISt17integral_constantIbLb0EES15_IbLb1EEEEDaS11_S12_EUlS11_E_NS1_11comp_targetILNS1_3genE9ELNS1_11target_archE1100ELNS1_3gpuE3ELNS1_3repE0EEENS1_30default_config_static_selectorELNS0_4arch9wavefront6targetE1EEEvT1_,comdat
.Lfunc_end319:
	.size	_ZN7rocprim17ROCPRIM_400000_NS6detail17trampoline_kernelINS0_14default_configENS1_25partition_config_selectorILNS1_17partition_subalgoE0ExNS0_10empty_typeEbEEZZNS1_14partition_implILS5_0ELb0ES3_jN6thrust23THRUST_200600_302600_NS6detail15normal_iteratorINSA_10device_ptrIxEEEEPS6_SG_NS0_5tupleIJSF_SF_EEENSH_IJSG_SG_EEES6_PlJ7is_evenIxEEEE10hipError_tPvRmT3_T4_T5_T6_T7_T9_mT8_P12ihipStream_tbDpT10_ENKUlT_T0_E_clISt17integral_constantIbLb0EES15_IbLb1EEEEDaS11_S12_EUlS11_E_NS1_11comp_targetILNS1_3genE9ELNS1_11target_archE1100ELNS1_3gpuE3ELNS1_3repE0EEENS1_30default_config_static_selectorELNS0_4arch9wavefront6targetE1EEEvT1_, .Lfunc_end319-_ZN7rocprim17ROCPRIM_400000_NS6detail17trampoline_kernelINS0_14default_configENS1_25partition_config_selectorILNS1_17partition_subalgoE0ExNS0_10empty_typeEbEEZZNS1_14partition_implILS5_0ELb0ES3_jN6thrust23THRUST_200600_302600_NS6detail15normal_iteratorINSA_10device_ptrIxEEEEPS6_SG_NS0_5tupleIJSF_SF_EEENSH_IJSG_SG_EEES6_PlJ7is_evenIxEEEE10hipError_tPvRmT3_T4_T5_T6_T7_T9_mT8_P12ihipStream_tbDpT10_ENKUlT_T0_E_clISt17integral_constantIbLb0EES15_IbLb1EEEEDaS11_S12_EUlS11_E_NS1_11comp_targetILNS1_3genE9ELNS1_11target_archE1100ELNS1_3gpuE3ELNS1_3repE0EEENS1_30default_config_static_selectorELNS0_4arch9wavefront6targetE1EEEvT1_
                                        ; -- End function
	.section	.AMDGPU.csdata,"",@progbits
; Kernel info:
; codeLenInByte = 0
; NumSgprs: 4
; NumVgprs: 0
; NumAgprs: 0
; TotalNumVgprs: 0
; ScratchSize: 0
; MemoryBound: 0
; FloatMode: 240
; IeeeMode: 1
; LDSByteSize: 0 bytes/workgroup (compile time only)
; SGPRBlocks: 0
; VGPRBlocks: 0
; NumSGPRsForWavesPerEU: 4
; NumVGPRsForWavesPerEU: 1
; AccumOffset: 4
; Occupancy: 8
; WaveLimiterHint : 0
; COMPUTE_PGM_RSRC2:SCRATCH_EN: 0
; COMPUTE_PGM_RSRC2:USER_SGPR: 6
; COMPUTE_PGM_RSRC2:TRAP_HANDLER: 0
; COMPUTE_PGM_RSRC2:TGID_X_EN: 1
; COMPUTE_PGM_RSRC2:TGID_Y_EN: 0
; COMPUTE_PGM_RSRC2:TGID_Z_EN: 0
; COMPUTE_PGM_RSRC2:TIDIG_COMP_CNT: 0
; COMPUTE_PGM_RSRC3_GFX90A:ACCUM_OFFSET: 0
; COMPUTE_PGM_RSRC3_GFX90A:TG_SPLIT: 0
	.section	.text._ZN7rocprim17ROCPRIM_400000_NS6detail17trampoline_kernelINS0_14default_configENS1_25partition_config_selectorILNS1_17partition_subalgoE0ExNS0_10empty_typeEbEEZZNS1_14partition_implILS5_0ELb0ES3_jN6thrust23THRUST_200600_302600_NS6detail15normal_iteratorINSA_10device_ptrIxEEEEPS6_SG_NS0_5tupleIJSF_SF_EEENSH_IJSG_SG_EEES6_PlJ7is_evenIxEEEE10hipError_tPvRmT3_T4_T5_T6_T7_T9_mT8_P12ihipStream_tbDpT10_ENKUlT_T0_E_clISt17integral_constantIbLb0EES15_IbLb1EEEEDaS11_S12_EUlS11_E_NS1_11comp_targetILNS1_3genE8ELNS1_11target_archE1030ELNS1_3gpuE2ELNS1_3repE0EEENS1_30default_config_static_selectorELNS0_4arch9wavefront6targetE1EEEvT1_,"axG",@progbits,_ZN7rocprim17ROCPRIM_400000_NS6detail17trampoline_kernelINS0_14default_configENS1_25partition_config_selectorILNS1_17partition_subalgoE0ExNS0_10empty_typeEbEEZZNS1_14partition_implILS5_0ELb0ES3_jN6thrust23THRUST_200600_302600_NS6detail15normal_iteratorINSA_10device_ptrIxEEEEPS6_SG_NS0_5tupleIJSF_SF_EEENSH_IJSG_SG_EEES6_PlJ7is_evenIxEEEE10hipError_tPvRmT3_T4_T5_T6_T7_T9_mT8_P12ihipStream_tbDpT10_ENKUlT_T0_E_clISt17integral_constantIbLb0EES15_IbLb1EEEEDaS11_S12_EUlS11_E_NS1_11comp_targetILNS1_3genE8ELNS1_11target_archE1030ELNS1_3gpuE2ELNS1_3repE0EEENS1_30default_config_static_selectorELNS0_4arch9wavefront6targetE1EEEvT1_,comdat
	.protected	_ZN7rocprim17ROCPRIM_400000_NS6detail17trampoline_kernelINS0_14default_configENS1_25partition_config_selectorILNS1_17partition_subalgoE0ExNS0_10empty_typeEbEEZZNS1_14partition_implILS5_0ELb0ES3_jN6thrust23THRUST_200600_302600_NS6detail15normal_iteratorINSA_10device_ptrIxEEEEPS6_SG_NS0_5tupleIJSF_SF_EEENSH_IJSG_SG_EEES6_PlJ7is_evenIxEEEE10hipError_tPvRmT3_T4_T5_T6_T7_T9_mT8_P12ihipStream_tbDpT10_ENKUlT_T0_E_clISt17integral_constantIbLb0EES15_IbLb1EEEEDaS11_S12_EUlS11_E_NS1_11comp_targetILNS1_3genE8ELNS1_11target_archE1030ELNS1_3gpuE2ELNS1_3repE0EEENS1_30default_config_static_selectorELNS0_4arch9wavefront6targetE1EEEvT1_ ; -- Begin function _ZN7rocprim17ROCPRIM_400000_NS6detail17trampoline_kernelINS0_14default_configENS1_25partition_config_selectorILNS1_17partition_subalgoE0ExNS0_10empty_typeEbEEZZNS1_14partition_implILS5_0ELb0ES3_jN6thrust23THRUST_200600_302600_NS6detail15normal_iteratorINSA_10device_ptrIxEEEEPS6_SG_NS0_5tupleIJSF_SF_EEENSH_IJSG_SG_EEES6_PlJ7is_evenIxEEEE10hipError_tPvRmT3_T4_T5_T6_T7_T9_mT8_P12ihipStream_tbDpT10_ENKUlT_T0_E_clISt17integral_constantIbLb0EES15_IbLb1EEEEDaS11_S12_EUlS11_E_NS1_11comp_targetILNS1_3genE8ELNS1_11target_archE1030ELNS1_3gpuE2ELNS1_3repE0EEENS1_30default_config_static_selectorELNS0_4arch9wavefront6targetE1EEEvT1_
	.globl	_ZN7rocprim17ROCPRIM_400000_NS6detail17trampoline_kernelINS0_14default_configENS1_25partition_config_selectorILNS1_17partition_subalgoE0ExNS0_10empty_typeEbEEZZNS1_14partition_implILS5_0ELb0ES3_jN6thrust23THRUST_200600_302600_NS6detail15normal_iteratorINSA_10device_ptrIxEEEEPS6_SG_NS0_5tupleIJSF_SF_EEENSH_IJSG_SG_EEES6_PlJ7is_evenIxEEEE10hipError_tPvRmT3_T4_T5_T6_T7_T9_mT8_P12ihipStream_tbDpT10_ENKUlT_T0_E_clISt17integral_constantIbLb0EES15_IbLb1EEEEDaS11_S12_EUlS11_E_NS1_11comp_targetILNS1_3genE8ELNS1_11target_archE1030ELNS1_3gpuE2ELNS1_3repE0EEENS1_30default_config_static_selectorELNS0_4arch9wavefront6targetE1EEEvT1_
	.p2align	8
	.type	_ZN7rocprim17ROCPRIM_400000_NS6detail17trampoline_kernelINS0_14default_configENS1_25partition_config_selectorILNS1_17partition_subalgoE0ExNS0_10empty_typeEbEEZZNS1_14partition_implILS5_0ELb0ES3_jN6thrust23THRUST_200600_302600_NS6detail15normal_iteratorINSA_10device_ptrIxEEEEPS6_SG_NS0_5tupleIJSF_SF_EEENSH_IJSG_SG_EEES6_PlJ7is_evenIxEEEE10hipError_tPvRmT3_T4_T5_T6_T7_T9_mT8_P12ihipStream_tbDpT10_ENKUlT_T0_E_clISt17integral_constantIbLb0EES15_IbLb1EEEEDaS11_S12_EUlS11_E_NS1_11comp_targetILNS1_3genE8ELNS1_11target_archE1030ELNS1_3gpuE2ELNS1_3repE0EEENS1_30default_config_static_selectorELNS0_4arch9wavefront6targetE1EEEvT1_,@function
_ZN7rocprim17ROCPRIM_400000_NS6detail17trampoline_kernelINS0_14default_configENS1_25partition_config_selectorILNS1_17partition_subalgoE0ExNS0_10empty_typeEbEEZZNS1_14partition_implILS5_0ELb0ES3_jN6thrust23THRUST_200600_302600_NS6detail15normal_iteratorINSA_10device_ptrIxEEEEPS6_SG_NS0_5tupleIJSF_SF_EEENSH_IJSG_SG_EEES6_PlJ7is_evenIxEEEE10hipError_tPvRmT3_T4_T5_T6_T7_T9_mT8_P12ihipStream_tbDpT10_ENKUlT_T0_E_clISt17integral_constantIbLb0EES15_IbLb1EEEEDaS11_S12_EUlS11_E_NS1_11comp_targetILNS1_3genE8ELNS1_11target_archE1030ELNS1_3gpuE2ELNS1_3repE0EEENS1_30default_config_static_selectorELNS0_4arch9wavefront6targetE1EEEvT1_: ; @_ZN7rocprim17ROCPRIM_400000_NS6detail17trampoline_kernelINS0_14default_configENS1_25partition_config_selectorILNS1_17partition_subalgoE0ExNS0_10empty_typeEbEEZZNS1_14partition_implILS5_0ELb0ES3_jN6thrust23THRUST_200600_302600_NS6detail15normal_iteratorINSA_10device_ptrIxEEEEPS6_SG_NS0_5tupleIJSF_SF_EEENSH_IJSG_SG_EEES6_PlJ7is_evenIxEEEE10hipError_tPvRmT3_T4_T5_T6_T7_T9_mT8_P12ihipStream_tbDpT10_ENKUlT_T0_E_clISt17integral_constantIbLb0EES15_IbLb1EEEEDaS11_S12_EUlS11_E_NS1_11comp_targetILNS1_3genE8ELNS1_11target_archE1030ELNS1_3gpuE2ELNS1_3repE0EEENS1_30default_config_static_selectorELNS0_4arch9wavefront6targetE1EEEvT1_
; %bb.0:
	.section	.rodata,"a",@progbits
	.p2align	6, 0x0
	.amdhsa_kernel _ZN7rocprim17ROCPRIM_400000_NS6detail17trampoline_kernelINS0_14default_configENS1_25partition_config_selectorILNS1_17partition_subalgoE0ExNS0_10empty_typeEbEEZZNS1_14partition_implILS5_0ELb0ES3_jN6thrust23THRUST_200600_302600_NS6detail15normal_iteratorINSA_10device_ptrIxEEEEPS6_SG_NS0_5tupleIJSF_SF_EEENSH_IJSG_SG_EEES6_PlJ7is_evenIxEEEE10hipError_tPvRmT3_T4_T5_T6_T7_T9_mT8_P12ihipStream_tbDpT10_ENKUlT_T0_E_clISt17integral_constantIbLb0EES15_IbLb1EEEEDaS11_S12_EUlS11_E_NS1_11comp_targetILNS1_3genE8ELNS1_11target_archE1030ELNS1_3gpuE2ELNS1_3repE0EEENS1_30default_config_static_selectorELNS0_4arch9wavefront6targetE1EEEvT1_
		.amdhsa_group_segment_fixed_size 0
		.amdhsa_private_segment_fixed_size 0
		.amdhsa_kernarg_size 136
		.amdhsa_user_sgpr_count 6
		.amdhsa_user_sgpr_private_segment_buffer 1
		.amdhsa_user_sgpr_dispatch_ptr 0
		.amdhsa_user_sgpr_queue_ptr 0
		.amdhsa_user_sgpr_kernarg_segment_ptr 1
		.amdhsa_user_sgpr_dispatch_id 0
		.amdhsa_user_sgpr_flat_scratch_init 0
		.amdhsa_user_sgpr_kernarg_preload_length 0
		.amdhsa_user_sgpr_kernarg_preload_offset 0
		.amdhsa_user_sgpr_private_segment_size 0
		.amdhsa_uses_dynamic_stack 0
		.amdhsa_system_sgpr_private_segment_wavefront_offset 0
		.amdhsa_system_sgpr_workgroup_id_x 1
		.amdhsa_system_sgpr_workgroup_id_y 0
		.amdhsa_system_sgpr_workgroup_id_z 0
		.amdhsa_system_sgpr_workgroup_info 0
		.amdhsa_system_vgpr_workitem_id 0
		.amdhsa_next_free_vgpr 1
		.amdhsa_next_free_sgpr 0
		.amdhsa_accum_offset 4
		.amdhsa_reserve_vcc 0
		.amdhsa_reserve_flat_scratch 0
		.amdhsa_float_round_mode_32 0
		.amdhsa_float_round_mode_16_64 0
		.amdhsa_float_denorm_mode_32 3
		.amdhsa_float_denorm_mode_16_64 3
		.amdhsa_dx10_clamp 1
		.amdhsa_ieee_mode 1
		.amdhsa_fp16_overflow 0
		.amdhsa_tg_split 0
		.amdhsa_exception_fp_ieee_invalid_op 0
		.amdhsa_exception_fp_denorm_src 0
		.amdhsa_exception_fp_ieee_div_zero 0
		.amdhsa_exception_fp_ieee_overflow 0
		.amdhsa_exception_fp_ieee_underflow 0
		.amdhsa_exception_fp_ieee_inexact 0
		.amdhsa_exception_int_div_zero 0
	.end_amdhsa_kernel
	.section	.text._ZN7rocprim17ROCPRIM_400000_NS6detail17trampoline_kernelINS0_14default_configENS1_25partition_config_selectorILNS1_17partition_subalgoE0ExNS0_10empty_typeEbEEZZNS1_14partition_implILS5_0ELb0ES3_jN6thrust23THRUST_200600_302600_NS6detail15normal_iteratorINSA_10device_ptrIxEEEEPS6_SG_NS0_5tupleIJSF_SF_EEENSH_IJSG_SG_EEES6_PlJ7is_evenIxEEEE10hipError_tPvRmT3_T4_T5_T6_T7_T9_mT8_P12ihipStream_tbDpT10_ENKUlT_T0_E_clISt17integral_constantIbLb0EES15_IbLb1EEEEDaS11_S12_EUlS11_E_NS1_11comp_targetILNS1_3genE8ELNS1_11target_archE1030ELNS1_3gpuE2ELNS1_3repE0EEENS1_30default_config_static_selectorELNS0_4arch9wavefront6targetE1EEEvT1_,"axG",@progbits,_ZN7rocprim17ROCPRIM_400000_NS6detail17trampoline_kernelINS0_14default_configENS1_25partition_config_selectorILNS1_17partition_subalgoE0ExNS0_10empty_typeEbEEZZNS1_14partition_implILS5_0ELb0ES3_jN6thrust23THRUST_200600_302600_NS6detail15normal_iteratorINSA_10device_ptrIxEEEEPS6_SG_NS0_5tupleIJSF_SF_EEENSH_IJSG_SG_EEES6_PlJ7is_evenIxEEEE10hipError_tPvRmT3_T4_T5_T6_T7_T9_mT8_P12ihipStream_tbDpT10_ENKUlT_T0_E_clISt17integral_constantIbLb0EES15_IbLb1EEEEDaS11_S12_EUlS11_E_NS1_11comp_targetILNS1_3genE8ELNS1_11target_archE1030ELNS1_3gpuE2ELNS1_3repE0EEENS1_30default_config_static_selectorELNS0_4arch9wavefront6targetE1EEEvT1_,comdat
.Lfunc_end320:
	.size	_ZN7rocprim17ROCPRIM_400000_NS6detail17trampoline_kernelINS0_14default_configENS1_25partition_config_selectorILNS1_17partition_subalgoE0ExNS0_10empty_typeEbEEZZNS1_14partition_implILS5_0ELb0ES3_jN6thrust23THRUST_200600_302600_NS6detail15normal_iteratorINSA_10device_ptrIxEEEEPS6_SG_NS0_5tupleIJSF_SF_EEENSH_IJSG_SG_EEES6_PlJ7is_evenIxEEEE10hipError_tPvRmT3_T4_T5_T6_T7_T9_mT8_P12ihipStream_tbDpT10_ENKUlT_T0_E_clISt17integral_constantIbLb0EES15_IbLb1EEEEDaS11_S12_EUlS11_E_NS1_11comp_targetILNS1_3genE8ELNS1_11target_archE1030ELNS1_3gpuE2ELNS1_3repE0EEENS1_30default_config_static_selectorELNS0_4arch9wavefront6targetE1EEEvT1_, .Lfunc_end320-_ZN7rocprim17ROCPRIM_400000_NS6detail17trampoline_kernelINS0_14default_configENS1_25partition_config_selectorILNS1_17partition_subalgoE0ExNS0_10empty_typeEbEEZZNS1_14partition_implILS5_0ELb0ES3_jN6thrust23THRUST_200600_302600_NS6detail15normal_iteratorINSA_10device_ptrIxEEEEPS6_SG_NS0_5tupleIJSF_SF_EEENSH_IJSG_SG_EEES6_PlJ7is_evenIxEEEE10hipError_tPvRmT3_T4_T5_T6_T7_T9_mT8_P12ihipStream_tbDpT10_ENKUlT_T0_E_clISt17integral_constantIbLb0EES15_IbLb1EEEEDaS11_S12_EUlS11_E_NS1_11comp_targetILNS1_3genE8ELNS1_11target_archE1030ELNS1_3gpuE2ELNS1_3repE0EEENS1_30default_config_static_selectorELNS0_4arch9wavefront6targetE1EEEvT1_
                                        ; -- End function
	.section	.AMDGPU.csdata,"",@progbits
; Kernel info:
; codeLenInByte = 0
; NumSgprs: 4
; NumVgprs: 0
; NumAgprs: 0
; TotalNumVgprs: 0
; ScratchSize: 0
; MemoryBound: 0
; FloatMode: 240
; IeeeMode: 1
; LDSByteSize: 0 bytes/workgroup (compile time only)
; SGPRBlocks: 0
; VGPRBlocks: 0
; NumSGPRsForWavesPerEU: 4
; NumVGPRsForWavesPerEU: 1
; AccumOffset: 4
; Occupancy: 8
; WaveLimiterHint : 0
; COMPUTE_PGM_RSRC2:SCRATCH_EN: 0
; COMPUTE_PGM_RSRC2:USER_SGPR: 6
; COMPUTE_PGM_RSRC2:TRAP_HANDLER: 0
; COMPUTE_PGM_RSRC2:TGID_X_EN: 1
; COMPUTE_PGM_RSRC2:TGID_Y_EN: 0
; COMPUTE_PGM_RSRC2:TGID_Z_EN: 0
; COMPUTE_PGM_RSRC2:TIDIG_COMP_CNT: 0
; COMPUTE_PGM_RSRC3_GFX90A:ACCUM_OFFSET: 0
; COMPUTE_PGM_RSRC3_GFX90A:TG_SPLIT: 0
	.section	.text._ZN7rocprim17ROCPRIM_400000_NS6detail17trampoline_kernelINS0_14default_configENS1_25partition_config_selectorILNS1_17partition_subalgoE0EiNS0_10empty_typeEbEEZZNS1_14partition_implILS5_0ELb0ES3_jN6thrust23THRUST_200600_302600_NS6detail15normal_iteratorINSA_10device_ptrIiEEEEPS6_SG_NS0_5tupleIJSF_SF_EEENSH_IJSG_SG_EEES6_PlJ7is_evenIiEEEE10hipError_tPvRmT3_T4_T5_T6_T7_T9_mT8_P12ihipStream_tbDpT10_ENKUlT_T0_E_clISt17integral_constantIbLb0EES16_EEDaS11_S12_EUlS11_E_NS1_11comp_targetILNS1_3genE0ELNS1_11target_archE4294967295ELNS1_3gpuE0ELNS1_3repE0EEENS1_30default_config_static_selectorELNS0_4arch9wavefront6targetE1EEEvT1_,"axG",@progbits,_ZN7rocprim17ROCPRIM_400000_NS6detail17trampoline_kernelINS0_14default_configENS1_25partition_config_selectorILNS1_17partition_subalgoE0EiNS0_10empty_typeEbEEZZNS1_14partition_implILS5_0ELb0ES3_jN6thrust23THRUST_200600_302600_NS6detail15normal_iteratorINSA_10device_ptrIiEEEEPS6_SG_NS0_5tupleIJSF_SF_EEENSH_IJSG_SG_EEES6_PlJ7is_evenIiEEEE10hipError_tPvRmT3_T4_T5_T6_T7_T9_mT8_P12ihipStream_tbDpT10_ENKUlT_T0_E_clISt17integral_constantIbLb0EES16_EEDaS11_S12_EUlS11_E_NS1_11comp_targetILNS1_3genE0ELNS1_11target_archE4294967295ELNS1_3gpuE0ELNS1_3repE0EEENS1_30default_config_static_selectorELNS0_4arch9wavefront6targetE1EEEvT1_,comdat
	.protected	_ZN7rocprim17ROCPRIM_400000_NS6detail17trampoline_kernelINS0_14default_configENS1_25partition_config_selectorILNS1_17partition_subalgoE0EiNS0_10empty_typeEbEEZZNS1_14partition_implILS5_0ELb0ES3_jN6thrust23THRUST_200600_302600_NS6detail15normal_iteratorINSA_10device_ptrIiEEEEPS6_SG_NS0_5tupleIJSF_SF_EEENSH_IJSG_SG_EEES6_PlJ7is_evenIiEEEE10hipError_tPvRmT3_T4_T5_T6_T7_T9_mT8_P12ihipStream_tbDpT10_ENKUlT_T0_E_clISt17integral_constantIbLb0EES16_EEDaS11_S12_EUlS11_E_NS1_11comp_targetILNS1_3genE0ELNS1_11target_archE4294967295ELNS1_3gpuE0ELNS1_3repE0EEENS1_30default_config_static_selectorELNS0_4arch9wavefront6targetE1EEEvT1_ ; -- Begin function _ZN7rocprim17ROCPRIM_400000_NS6detail17trampoline_kernelINS0_14default_configENS1_25partition_config_selectorILNS1_17partition_subalgoE0EiNS0_10empty_typeEbEEZZNS1_14partition_implILS5_0ELb0ES3_jN6thrust23THRUST_200600_302600_NS6detail15normal_iteratorINSA_10device_ptrIiEEEEPS6_SG_NS0_5tupleIJSF_SF_EEENSH_IJSG_SG_EEES6_PlJ7is_evenIiEEEE10hipError_tPvRmT3_T4_T5_T6_T7_T9_mT8_P12ihipStream_tbDpT10_ENKUlT_T0_E_clISt17integral_constantIbLb0EES16_EEDaS11_S12_EUlS11_E_NS1_11comp_targetILNS1_3genE0ELNS1_11target_archE4294967295ELNS1_3gpuE0ELNS1_3repE0EEENS1_30default_config_static_selectorELNS0_4arch9wavefront6targetE1EEEvT1_
	.globl	_ZN7rocprim17ROCPRIM_400000_NS6detail17trampoline_kernelINS0_14default_configENS1_25partition_config_selectorILNS1_17partition_subalgoE0EiNS0_10empty_typeEbEEZZNS1_14partition_implILS5_0ELb0ES3_jN6thrust23THRUST_200600_302600_NS6detail15normal_iteratorINSA_10device_ptrIiEEEEPS6_SG_NS0_5tupleIJSF_SF_EEENSH_IJSG_SG_EEES6_PlJ7is_evenIiEEEE10hipError_tPvRmT3_T4_T5_T6_T7_T9_mT8_P12ihipStream_tbDpT10_ENKUlT_T0_E_clISt17integral_constantIbLb0EES16_EEDaS11_S12_EUlS11_E_NS1_11comp_targetILNS1_3genE0ELNS1_11target_archE4294967295ELNS1_3gpuE0ELNS1_3repE0EEENS1_30default_config_static_selectorELNS0_4arch9wavefront6targetE1EEEvT1_
	.p2align	8
	.type	_ZN7rocprim17ROCPRIM_400000_NS6detail17trampoline_kernelINS0_14default_configENS1_25partition_config_selectorILNS1_17partition_subalgoE0EiNS0_10empty_typeEbEEZZNS1_14partition_implILS5_0ELb0ES3_jN6thrust23THRUST_200600_302600_NS6detail15normal_iteratorINSA_10device_ptrIiEEEEPS6_SG_NS0_5tupleIJSF_SF_EEENSH_IJSG_SG_EEES6_PlJ7is_evenIiEEEE10hipError_tPvRmT3_T4_T5_T6_T7_T9_mT8_P12ihipStream_tbDpT10_ENKUlT_T0_E_clISt17integral_constantIbLb0EES16_EEDaS11_S12_EUlS11_E_NS1_11comp_targetILNS1_3genE0ELNS1_11target_archE4294967295ELNS1_3gpuE0ELNS1_3repE0EEENS1_30default_config_static_selectorELNS0_4arch9wavefront6targetE1EEEvT1_,@function
_ZN7rocprim17ROCPRIM_400000_NS6detail17trampoline_kernelINS0_14default_configENS1_25partition_config_selectorILNS1_17partition_subalgoE0EiNS0_10empty_typeEbEEZZNS1_14partition_implILS5_0ELb0ES3_jN6thrust23THRUST_200600_302600_NS6detail15normal_iteratorINSA_10device_ptrIiEEEEPS6_SG_NS0_5tupleIJSF_SF_EEENSH_IJSG_SG_EEES6_PlJ7is_evenIiEEEE10hipError_tPvRmT3_T4_T5_T6_T7_T9_mT8_P12ihipStream_tbDpT10_ENKUlT_T0_E_clISt17integral_constantIbLb0EES16_EEDaS11_S12_EUlS11_E_NS1_11comp_targetILNS1_3genE0ELNS1_11target_archE4294967295ELNS1_3gpuE0ELNS1_3repE0EEENS1_30default_config_static_selectorELNS0_4arch9wavefront6targetE1EEEvT1_: ; @_ZN7rocprim17ROCPRIM_400000_NS6detail17trampoline_kernelINS0_14default_configENS1_25partition_config_selectorILNS1_17partition_subalgoE0EiNS0_10empty_typeEbEEZZNS1_14partition_implILS5_0ELb0ES3_jN6thrust23THRUST_200600_302600_NS6detail15normal_iteratorINSA_10device_ptrIiEEEEPS6_SG_NS0_5tupleIJSF_SF_EEENSH_IJSG_SG_EEES6_PlJ7is_evenIiEEEE10hipError_tPvRmT3_T4_T5_T6_T7_T9_mT8_P12ihipStream_tbDpT10_ENKUlT_T0_E_clISt17integral_constantIbLb0EES16_EEDaS11_S12_EUlS11_E_NS1_11comp_targetILNS1_3genE0ELNS1_11target_archE4294967295ELNS1_3gpuE0ELNS1_3repE0EEENS1_30default_config_static_selectorELNS0_4arch9wavefront6targetE1EEEvT1_
; %bb.0:
	.section	.rodata,"a",@progbits
	.p2align	6, 0x0
	.amdhsa_kernel _ZN7rocprim17ROCPRIM_400000_NS6detail17trampoline_kernelINS0_14default_configENS1_25partition_config_selectorILNS1_17partition_subalgoE0EiNS0_10empty_typeEbEEZZNS1_14partition_implILS5_0ELb0ES3_jN6thrust23THRUST_200600_302600_NS6detail15normal_iteratorINSA_10device_ptrIiEEEEPS6_SG_NS0_5tupleIJSF_SF_EEENSH_IJSG_SG_EEES6_PlJ7is_evenIiEEEE10hipError_tPvRmT3_T4_T5_T6_T7_T9_mT8_P12ihipStream_tbDpT10_ENKUlT_T0_E_clISt17integral_constantIbLb0EES16_EEDaS11_S12_EUlS11_E_NS1_11comp_targetILNS1_3genE0ELNS1_11target_archE4294967295ELNS1_3gpuE0ELNS1_3repE0EEENS1_30default_config_static_selectorELNS0_4arch9wavefront6targetE1EEEvT1_
		.amdhsa_group_segment_fixed_size 0
		.amdhsa_private_segment_fixed_size 0
		.amdhsa_kernarg_size 120
		.amdhsa_user_sgpr_count 6
		.amdhsa_user_sgpr_private_segment_buffer 1
		.amdhsa_user_sgpr_dispatch_ptr 0
		.amdhsa_user_sgpr_queue_ptr 0
		.amdhsa_user_sgpr_kernarg_segment_ptr 1
		.amdhsa_user_sgpr_dispatch_id 0
		.amdhsa_user_sgpr_flat_scratch_init 0
		.amdhsa_user_sgpr_kernarg_preload_length 0
		.amdhsa_user_sgpr_kernarg_preload_offset 0
		.amdhsa_user_sgpr_private_segment_size 0
		.amdhsa_uses_dynamic_stack 0
		.amdhsa_system_sgpr_private_segment_wavefront_offset 0
		.amdhsa_system_sgpr_workgroup_id_x 1
		.amdhsa_system_sgpr_workgroup_id_y 0
		.amdhsa_system_sgpr_workgroup_id_z 0
		.amdhsa_system_sgpr_workgroup_info 0
		.amdhsa_system_vgpr_workitem_id 0
		.amdhsa_next_free_vgpr 1
		.amdhsa_next_free_sgpr 0
		.amdhsa_accum_offset 4
		.amdhsa_reserve_vcc 0
		.amdhsa_reserve_flat_scratch 0
		.amdhsa_float_round_mode_32 0
		.amdhsa_float_round_mode_16_64 0
		.amdhsa_float_denorm_mode_32 3
		.amdhsa_float_denorm_mode_16_64 3
		.amdhsa_dx10_clamp 1
		.amdhsa_ieee_mode 1
		.amdhsa_fp16_overflow 0
		.amdhsa_tg_split 0
		.amdhsa_exception_fp_ieee_invalid_op 0
		.amdhsa_exception_fp_denorm_src 0
		.amdhsa_exception_fp_ieee_div_zero 0
		.amdhsa_exception_fp_ieee_overflow 0
		.amdhsa_exception_fp_ieee_underflow 0
		.amdhsa_exception_fp_ieee_inexact 0
		.amdhsa_exception_int_div_zero 0
	.end_amdhsa_kernel
	.section	.text._ZN7rocprim17ROCPRIM_400000_NS6detail17trampoline_kernelINS0_14default_configENS1_25partition_config_selectorILNS1_17partition_subalgoE0EiNS0_10empty_typeEbEEZZNS1_14partition_implILS5_0ELb0ES3_jN6thrust23THRUST_200600_302600_NS6detail15normal_iteratorINSA_10device_ptrIiEEEEPS6_SG_NS0_5tupleIJSF_SF_EEENSH_IJSG_SG_EEES6_PlJ7is_evenIiEEEE10hipError_tPvRmT3_T4_T5_T6_T7_T9_mT8_P12ihipStream_tbDpT10_ENKUlT_T0_E_clISt17integral_constantIbLb0EES16_EEDaS11_S12_EUlS11_E_NS1_11comp_targetILNS1_3genE0ELNS1_11target_archE4294967295ELNS1_3gpuE0ELNS1_3repE0EEENS1_30default_config_static_selectorELNS0_4arch9wavefront6targetE1EEEvT1_,"axG",@progbits,_ZN7rocprim17ROCPRIM_400000_NS6detail17trampoline_kernelINS0_14default_configENS1_25partition_config_selectorILNS1_17partition_subalgoE0EiNS0_10empty_typeEbEEZZNS1_14partition_implILS5_0ELb0ES3_jN6thrust23THRUST_200600_302600_NS6detail15normal_iteratorINSA_10device_ptrIiEEEEPS6_SG_NS0_5tupleIJSF_SF_EEENSH_IJSG_SG_EEES6_PlJ7is_evenIiEEEE10hipError_tPvRmT3_T4_T5_T6_T7_T9_mT8_P12ihipStream_tbDpT10_ENKUlT_T0_E_clISt17integral_constantIbLb0EES16_EEDaS11_S12_EUlS11_E_NS1_11comp_targetILNS1_3genE0ELNS1_11target_archE4294967295ELNS1_3gpuE0ELNS1_3repE0EEENS1_30default_config_static_selectorELNS0_4arch9wavefront6targetE1EEEvT1_,comdat
.Lfunc_end321:
	.size	_ZN7rocprim17ROCPRIM_400000_NS6detail17trampoline_kernelINS0_14default_configENS1_25partition_config_selectorILNS1_17partition_subalgoE0EiNS0_10empty_typeEbEEZZNS1_14partition_implILS5_0ELb0ES3_jN6thrust23THRUST_200600_302600_NS6detail15normal_iteratorINSA_10device_ptrIiEEEEPS6_SG_NS0_5tupleIJSF_SF_EEENSH_IJSG_SG_EEES6_PlJ7is_evenIiEEEE10hipError_tPvRmT3_T4_T5_T6_T7_T9_mT8_P12ihipStream_tbDpT10_ENKUlT_T0_E_clISt17integral_constantIbLb0EES16_EEDaS11_S12_EUlS11_E_NS1_11comp_targetILNS1_3genE0ELNS1_11target_archE4294967295ELNS1_3gpuE0ELNS1_3repE0EEENS1_30default_config_static_selectorELNS0_4arch9wavefront6targetE1EEEvT1_, .Lfunc_end321-_ZN7rocprim17ROCPRIM_400000_NS6detail17trampoline_kernelINS0_14default_configENS1_25partition_config_selectorILNS1_17partition_subalgoE0EiNS0_10empty_typeEbEEZZNS1_14partition_implILS5_0ELb0ES3_jN6thrust23THRUST_200600_302600_NS6detail15normal_iteratorINSA_10device_ptrIiEEEEPS6_SG_NS0_5tupleIJSF_SF_EEENSH_IJSG_SG_EEES6_PlJ7is_evenIiEEEE10hipError_tPvRmT3_T4_T5_T6_T7_T9_mT8_P12ihipStream_tbDpT10_ENKUlT_T0_E_clISt17integral_constantIbLb0EES16_EEDaS11_S12_EUlS11_E_NS1_11comp_targetILNS1_3genE0ELNS1_11target_archE4294967295ELNS1_3gpuE0ELNS1_3repE0EEENS1_30default_config_static_selectorELNS0_4arch9wavefront6targetE1EEEvT1_
                                        ; -- End function
	.section	.AMDGPU.csdata,"",@progbits
; Kernel info:
; codeLenInByte = 0
; NumSgprs: 4
; NumVgprs: 0
; NumAgprs: 0
; TotalNumVgprs: 0
; ScratchSize: 0
; MemoryBound: 0
; FloatMode: 240
; IeeeMode: 1
; LDSByteSize: 0 bytes/workgroup (compile time only)
; SGPRBlocks: 0
; VGPRBlocks: 0
; NumSGPRsForWavesPerEU: 4
; NumVGPRsForWavesPerEU: 1
; AccumOffset: 4
; Occupancy: 8
; WaveLimiterHint : 0
; COMPUTE_PGM_RSRC2:SCRATCH_EN: 0
; COMPUTE_PGM_RSRC2:USER_SGPR: 6
; COMPUTE_PGM_RSRC2:TRAP_HANDLER: 0
; COMPUTE_PGM_RSRC2:TGID_X_EN: 1
; COMPUTE_PGM_RSRC2:TGID_Y_EN: 0
; COMPUTE_PGM_RSRC2:TGID_Z_EN: 0
; COMPUTE_PGM_RSRC2:TIDIG_COMP_CNT: 0
; COMPUTE_PGM_RSRC3_GFX90A:ACCUM_OFFSET: 0
; COMPUTE_PGM_RSRC3_GFX90A:TG_SPLIT: 0
	.section	.text._ZN7rocprim17ROCPRIM_400000_NS6detail17trampoline_kernelINS0_14default_configENS1_25partition_config_selectorILNS1_17partition_subalgoE0EiNS0_10empty_typeEbEEZZNS1_14partition_implILS5_0ELb0ES3_jN6thrust23THRUST_200600_302600_NS6detail15normal_iteratorINSA_10device_ptrIiEEEEPS6_SG_NS0_5tupleIJSF_SF_EEENSH_IJSG_SG_EEES6_PlJ7is_evenIiEEEE10hipError_tPvRmT3_T4_T5_T6_T7_T9_mT8_P12ihipStream_tbDpT10_ENKUlT_T0_E_clISt17integral_constantIbLb0EES16_EEDaS11_S12_EUlS11_E_NS1_11comp_targetILNS1_3genE5ELNS1_11target_archE942ELNS1_3gpuE9ELNS1_3repE0EEENS1_30default_config_static_selectorELNS0_4arch9wavefront6targetE1EEEvT1_,"axG",@progbits,_ZN7rocprim17ROCPRIM_400000_NS6detail17trampoline_kernelINS0_14default_configENS1_25partition_config_selectorILNS1_17partition_subalgoE0EiNS0_10empty_typeEbEEZZNS1_14partition_implILS5_0ELb0ES3_jN6thrust23THRUST_200600_302600_NS6detail15normal_iteratorINSA_10device_ptrIiEEEEPS6_SG_NS0_5tupleIJSF_SF_EEENSH_IJSG_SG_EEES6_PlJ7is_evenIiEEEE10hipError_tPvRmT3_T4_T5_T6_T7_T9_mT8_P12ihipStream_tbDpT10_ENKUlT_T0_E_clISt17integral_constantIbLb0EES16_EEDaS11_S12_EUlS11_E_NS1_11comp_targetILNS1_3genE5ELNS1_11target_archE942ELNS1_3gpuE9ELNS1_3repE0EEENS1_30default_config_static_selectorELNS0_4arch9wavefront6targetE1EEEvT1_,comdat
	.protected	_ZN7rocprim17ROCPRIM_400000_NS6detail17trampoline_kernelINS0_14default_configENS1_25partition_config_selectorILNS1_17partition_subalgoE0EiNS0_10empty_typeEbEEZZNS1_14partition_implILS5_0ELb0ES3_jN6thrust23THRUST_200600_302600_NS6detail15normal_iteratorINSA_10device_ptrIiEEEEPS6_SG_NS0_5tupleIJSF_SF_EEENSH_IJSG_SG_EEES6_PlJ7is_evenIiEEEE10hipError_tPvRmT3_T4_T5_T6_T7_T9_mT8_P12ihipStream_tbDpT10_ENKUlT_T0_E_clISt17integral_constantIbLb0EES16_EEDaS11_S12_EUlS11_E_NS1_11comp_targetILNS1_3genE5ELNS1_11target_archE942ELNS1_3gpuE9ELNS1_3repE0EEENS1_30default_config_static_selectorELNS0_4arch9wavefront6targetE1EEEvT1_ ; -- Begin function _ZN7rocprim17ROCPRIM_400000_NS6detail17trampoline_kernelINS0_14default_configENS1_25partition_config_selectorILNS1_17partition_subalgoE0EiNS0_10empty_typeEbEEZZNS1_14partition_implILS5_0ELb0ES3_jN6thrust23THRUST_200600_302600_NS6detail15normal_iteratorINSA_10device_ptrIiEEEEPS6_SG_NS0_5tupleIJSF_SF_EEENSH_IJSG_SG_EEES6_PlJ7is_evenIiEEEE10hipError_tPvRmT3_T4_T5_T6_T7_T9_mT8_P12ihipStream_tbDpT10_ENKUlT_T0_E_clISt17integral_constantIbLb0EES16_EEDaS11_S12_EUlS11_E_NS1_11comp_targetILNS1_3genE5ELNS1_11target_archE942ELNS1_3gpuE9ELNS1_3repE0EEENS1_30default_config_static_selectorELNS0_4arch9wavefront6targetE1EEEvT1_
	.globl	_ZN7rocprim17ROCPRIM_400000_NS6detail17trampoline_kernelINS0_14default_configENS1_25partition_config_selectorILNS1_17partition_subalgoE0EiNS0_10empty_typeEbEEZZNS1_14partition_implILS5_0ELb0ES3_jN6thrust23THRUST_200600_302600_NS6detail15normal_iteratorINSA_10device_ptrIiEEEEPS6_SG_NS0_5tupleIJSF_SF_EEENSH_IJSG_SG_EEES6_PlJ7is_evenIiEEEE10hipError_tPvRmT3_T4_T5_T6_T7_T9_mT8_P12ihipStream_tbDpT10_ENKUlT_T0_E_clISt17integral_constantIbLb0EES16_EEDaS11_S12_EUlS11_E_NS1_11comp_targetILNS1_3genE5ELNS1_11target_archE942ELNS1_3gpuE9ELNS1_3repE0EEENS1_30default_config_static_selectorELNS0_4arch9wavefront6targetE1EEEvT1_
	.p2align	8
	.type	_ZN7rocprim17ROCPRIM_400000_NS6detail17trampoline_kernelINS0_14default_configENS1_25partition_config_selectorILNS1_17partition_subalgoE0EiNS0_10empty_typeEbEEZZNS1_14partition_implILS5_0ELb0ES3_jN6thrust23THRUST_200600_302600_NS6detail15normal_iteratorINSA_10device_ptrIiEEEEPS6_SG_NS0_5tupleIJSF_SF_EEENSH_IJSG_SG_EEES6_PlJ7is_evenIiEEEE10hipError_tPvRmT3_T4_T5_T6_T7_T9_mT8_P12ihipStream_tbDpT10_ENKUlT_T0_E_clISt17integral_constantIbLb0EES16_EEDaS11_S12_EUlS11_E_NS1_11comp_targetILNS1_3genE5ELNS1_11target_archE942ELNS1_3gpuE9ELNS1_3repE0EEENS1_30default_config_static_selectorELNS0_4arch9wavefront6targetE1EEEvT1_,@function
_ZN7rocprim17ROCPRIM_400000_NS6detail17trampoline_kernelINS0_14default_configENS1_25partition_config_selectorILNS1_17partition_subalgoE0EiNS0_10empty_typeEbEEZZNS1_14partition_implILS5_0ELb0ES3_jN6thrust23THRUST_200600_302600_NS6detail15normal_iteratorINSA_10device_ptrIiEEEEPS6_SG_NS0_5tupleIJSF_SF_EEENSH_IJSG_SG_EEES6_PlJ7is_evenIiEEEE10hipError_tPvRmT3_T4_T5_T6_T7_T9_mT8_P12ihipStream_tbDpT10_ENKUlT_T0_E_clISt17integral_constantIbLb0EES16_EEDaS11_S12_EUlS11_E_NS1_11comp_targetILNS1_3genE5ELNS1_11target_archE942ELNS1_3gpuE9ELNS1_3repE0EEENS1_30default_config_static_selectorELNS0_4arch9wavefront6targetE1EEEvT1_: ; @_ZN7rocprim17ROCPRIM_400000_NS6detail17trampoline_kernelINS0_14default_configENS1_25partition_config_selectorILNS1_17partition_subalgoE0EiNS0_10empty_typeEbEEZZNS1_14partition_implILS5_0ELb0ES3_jN6thrust23THRUST_200600_302600_NS6detail15normal_iteratorINSA_10device_ptrIiEEEEPS6_SG_NS0_5tupleIJSF_SF_EEENSH_IJSG_SG_EEES6_PlJ7is_evenIiEEEE10hipError_tPvRmT3_T4_T5_T6_T7_T9_mT8_P12ihipStream_tbDpT10_ENKUlT_T0_E_clISt17integral_constantIbLb0EES16_EEDaS11_S12_EUlS11_E_NS1_11comp_targetILNS1_3genE5ELNS1_11target_archE942ELNS1_3gpuE9ELNS1_3repE0EEENS1_30default_config_static_selectorELNS0_4arch9wavefront6targetE1EEEvT1_
; %bb.0:
	.section	.rodata,"a",@progbits
	.p2align	6, 0x0
	.amdhsa_kernel _ZN7rocprim17ROCPRIM_400000_NS6detail17trampoline_kernelINS0_14default_configENS1_25partition_config_selectorILNS1_17partition_subalgoE0EiNS0_10empty_typeEbEEZZNS1_14partition_implILS5_0ELb0ES3_jN6thrust23THRUST_200600_302600_NS6detail15normal_iteratorINSA_10device_ptrIiEEEEPS6_SG_NS0_5tupleIJSF_SF_EEENSH_IJSG_SG_EEES6_PlJ7is_evenIiEEEE10hipError_tPvRmT3_T4_T5_T6_T7_T9_mT8_P12ihipStream_tbDpT10_ENKUlT_T0_E_clISt17integral_constantIbLb0EES16_EEDaS11_S12_EUlS11_E_NS1_11comp_targetILNS1_3genE5ELNS1_11target_archE942ELNS1_3gpuE9ELNS1_3repE0EEENS1_30default_config_static_selectorELNS0_4arch9wavefront6targetE1EEEvT1_
		.amdhsa_group_segment_fixed_size 0
		.amdhsa_private_segment_fixed_size 0
		.amdhsa_kernarg_size 120
		.amdhsa_user_sgpr_count 6
		.amdhsa_user_sgpr_private_segment_buffer 1
		.amdhsa_user_sgpr_dispatch_ptr 0
		.amdhsa_user_sgpr_queue_ptr 0
		.amdhsa_user_sgpr_kernarg_segment_ptr 1
		.amdhsa_user_sgpr_dispatch_id 0
		.amdhsa_user_sgpr_flat_scratch_init 0
		.amdhsa_user_sgpr_kernarg_preload_length 0
		.amdhsa_user_sgpr_kernarg_preload_offset 0
		.amdhsa_user_sgpr_private_segment_size 0
		.amdhsa_uses_dynamic_stack 0
		.amdhsa_system_sgpr_private_segment_wavefront_offset 0
		.amdhsa_system_sgpr_workgroup_id_x 1
		.amdhsa_system_sgpr_workgroup_id_y 0
		.amdhsa_system_sgpr_workgroup_id_z 0
		.amdhsa_system_sgpr_workgroup_info 0
		.amdhsa_system_vgpr_workitem_id 0
		.amdhsa_next_free_vgpr 1
		.amdhsa_next_free_sgpr 0
		.amdhsa_accum_offset 4
		.amdhsa_reserve_vcc 0
		.amdhsa_reserve_flat_scratch 0
		.amdhsa_float_round_mode_32 0
		.amdhsa_float_round_mode_16_64 0
		.amdhsa_float_denorm_mode_32 3
		.amdhsa_float_denorm_mode_16_64 3
		.amdhsa_dx10_clamp 1
		.amdhsa_ieee_mode 1
		.amdhsa_fp16_overflow 0
		.amdhsa_tg_split 0
		.amdhsa_exception_fp_ieee_invalid_op 0
		.amdhsa_exception_fp_denorm_src 0
		.amdhsa_exception_fp_ieee_div_zero 0
		.amdhsa_exception_fp_ieee_overflow 0
		.amdhsa_exception_fp_ieee_underflow 0
		.amdhsa_exception_fp_ieee_inexact 0
		.amdhsa_exception_int_div_zero 0
	.end_amdhsa_kernel
	.section	.text._ZN7rocprim17ROCPRIM_400000_NS6detail17trampoline_kernelINS0_14default_configENS1_25partition_config_selectorILNS1_17partition_subalgoE0EiNS0_10empty_typeEbEEZZNS1_14partition_implILS5_0ELb0ES3_jN6thrust23THRUST_200600_302600_NS6detail15normal_iteratorINSA_10device_ptrIiEEEEPS6_SG_NS0_5tupleIJSF_SF_EEENSH_IJSG_SG_EEES6_PlJ7is_evenIiEEEE10hipError_tPvRmT3_T4_T5_T6_T7_T9_mT8_P12ihipStream_tbDpT10_ENKUlT_T0_E_clISt17integral_constantIbLb0EES16_EEDaS11_S12_EUlS11_E_NS1_11comp_targetILNS1_3genE5ELNS1_11target_archE942ELNS1_3gpuE9ELNS1_3repE0EEENS1_30default_config_static_selectorELNS0_4arch9wavefront6targetE1EEEvT1_,"axG",@progbits,_ZN7rocprim17ROCPRIM_400000_NS6detail17trampoline_kernelINS0_14default_configENS1_25partition_config_selectorILNS1_17partition_subalgoE0EiNS0_10empty_typeEbEEZZNS1_14partition_implILS5_0ELb0ES3_jN6thrust23THRUST_200600_302600_NS6detail15normal_iteratorINSA_10device_ptrIiEEEEPS6_SG_NS0_5tupleIJSF_SF_EEENSH_IJSG_SG_EEES6_PlJ7is_evenIiEEEE10hipError_tPvRmT3_T4_T5_T6_T7_T9_mT8_P12ihipStream_tbDpT10_ENKUlT_T0_E_clISt17integral_constantIbLb0EES16_EEDaS11_S12_EUlS11_E_NS1_11comp_targetILNS1_3genE5ELNS1_11target_archE942ELNS1_3gpuE9ELNS1_3repE0EEENS1_30default_config_static_selectorELNS0_4arch9wavefront6targetE1EEEvT1_,comdat
.Lfunc_end322:
	.size	_ZN7rocprim17ROCPRIM_400000_NS6detail17trampoline_kernelINS0_14default_configENS1_25partition_config_selectorILNS1_17partition_subalgoE0EiNS0_10empty_typeEbEEZZNS1_14partition_implILS5_0ELb0ES3_jN6thrust23THRUST_200600_302600_NS6detail15normal_iteratorINSA_10device_ptrIiEEEEPS6_SG_NS0_5tupleIJSF_SF_EEENSH_IJSG_SG_EEES6_PlJ7is_evenIiEEEE10hipError_tPvRmT3_T4_T5_T6_T7_T9_mT8_P12ihipStream_tbDpT10_ENKUlT_T0_E_clISt17integral_constantIbLb0EES16_EEDaS11_S12_EUlS11_E_NS1_11comp_targetILNS1_3genE5ELNS1_11target_archE942ELNS1_3gpuE9ELNS1_3repE0EEENS1_30default_config_static_selectorELNS0_4arch9wavefront6targetE1EEEvT1_, .Lfunc_end322-_ZN7rocprim17ROCPRIM_400000_NS6detail17trampoline_kernelINS0_14default_configENS1_25partition_config_selectorILNS1_17partition_subalgoE0EiNS0_10empty_typeEbEEZZNS1_14partition_implILS5_0ELb0ES3_jN6thrust23THRUST_200600_302600_NS6detail15normal_iteratorINSA_10device_ptrIiEEEEPS6_SG_NS0_5tupleIJSF_SF_EEENSH_IJSG_SG_EEES6_PlJ7is_evenIiEEEE10hipError_tPvRmT3_T4_T5_T6_T7_T9_mT8_P12ihipStream_tbDpT10_ENKUlT_T0_E_clISt17integral_constantIbLb0EES16_EEDaS11_S12_EUlS11_E_NS1_11comp_targetILNS1_3genE5ELNS1_11target_archE942ELNS1_3gpuE9ELNS1_3repE0EEENS1_30default_config_static_selectorELNS0_4arch9wavefront6targetE1EEEvT1_
                                        ; -- End function
	.section	.AMDGPU.csdata,"",@progbits
; Kernel info:
; codeLenInByte = 0
; NumSgprs: 4
; NumVgprs: 0
; NumAgprs: 0
; TotalNumVgprs: 0
; ScratchSize: 0
; MemoryBound: 0
; FloatMode: 240
; IeeeMode: 1
; LDSByteSize: 0 bytes/workgroup (compile time only)
; SGPRBlocks: 0
; VGPRBlocks: 0
; NumSGPRsForWavesPerEU: 4
; NumVGPRsForWavesPerEU: 1
; AccumOffset: 4
; Occupancy: 8
; WaveLimiterHint : 0
; COMPUTE_PGM_RSRC2:SCRATCH_EN: 0
; COMPUTE_PGM_RSRC2:USER_SGPR: 6
; COMPUTE_PGM_RSRC2:TRAP_HANDLER: 0
; COMPUTE_PGM_RSRC2:TGID_X_EN: 1
; COMPUTE_PGM_RSRC2:TGID_Y_EN: 0
; COMPUTE_PGM_RSRC2:TGID_Z_EN: 0
; COMPUTE_PGM_RSRC2:TIDIG_COMP_CNT: 0
; COMPUTE_PGM_RSRC3_GFX90A:ACCUM_OFFSET: 0
; COMPUTE_PGM_RSRC3_GFX90A:TG_SPLIT: 0
	.section	.text._ZN7rocprim17ROCPRIM_400000_NS6detail17trampoline_kernelINS0_14default_configENS1_25partition_config_selectorILNS1_17partition_subalgoE0EiNS0_10empty_typeEbEEZZNS1_14partition_implILS5_0ELb0ES3_jN6thrust23THRUST_200600_302600_NS6detail15normal_iteratorINSA_10device_ptrIiEEEEPS6_SG_NS0_5tupleIJSF_SF_EEENSH_IJSG_SG_EEES6_PlJ7is_evenIiEEEE10hipError_tPvRmT3_T4_T5_T6_T7_T9_mT8_P12ihipStream_tbDpT10_ENKUlT_T0_E_clISt17integral_constantIbLb0EES16_EEDaS11_S12_EUlS11_E_NS1_11comp_targetILNS1_3genE4ELNS1_11target_archE910ELNS1_3gpuE8ELNS1_3repE0EEENS1_30default_config_static_selectorELNS0_4arch9wavefront6targetE1EEEvT1_,"axG",@progbits,_ZN7rocprim17ROCPRIM_400000_NS6detail17trampoline_kernelINS0_14default_configENS1_25partition_config_selectorILNS1_17partition_subalgoE0EiNS0_10empty_typeEbEEZZNS1_14partition_implILS5_0ELb0ES3_jN6thrust23THRUST_200600_302600_NS6detail15normal_iteratorINSA_10device_ptrIiEEEEPS6_SG_NS0_5tupleIJSF_SF_EEENSH_IJSG_SG_EEES6_PlJ7is_evenIiEEEE10hipError_tPvRmT3_T4_T5_T6_T7_T9_mT8_P12ihipStream_tbDpT10_ENKUlT_T0_E_clISt17integral_constantIbLb0EES16_EEDaS11_S12_EUlS11_E_NS1_11comp_targetILNS1_3genE4ELNS1_11target_archE910ELNS1_3gpuE8ELNS1_3repE0EEENS1_30default_config_static_selectorELNS0_4arch9wavefront6targetE1EEEvT1_,comdat
	.protected	_ZN7rocprim17ROCPRIM_400000_NS6detail17trampoline_kernelINS0_14default_configENS1_25partition_config_selectorILNS1_17partition_subalgoE0EiNS0_10empty_typeEbEEZZNS1_14partition_implILS5_0ELb0ES3_jN6thrust23THRUST_200600_302600_NS6detail15normal_iteratorINSA_10device_ptrIiEEEEPS6_SG_NS0_5tupleIJSF_SF_EEENSH_IJSG_SG_EEES6_PlJ7is_evenIiEEEE10hipError_tPvRmT3_T4_T5_T6_T7_T9_mT8_P12ihipStream_tbDpT10_ENKUlT_T0_E_clISt17integral_constantIbLb0EES16_EEDaS11_S12_EUlS11_E_NS1_11comp_targetILNS1_3genE4ELNS1_11target_archE910ELNS1_3gpuE8ELNS1_3repE0EEENS1_30default_config_static_selectorELNS0_4arch9wavefront6targetE1EEEvT1_ ; -- Begin function _ZN7rocprim17ROCPRIM_400000_NS6detail17trampoline_kernelINS0_14default_configENS1_25partition_config_selectorILNS1_17partition_subalgoE0EiNS0_10empty_typeEbEEZZNS1_14partition_implILS5_0ELb0ES3_jN6thrust23THRUST_200600_302600_NS6detail15normal_iteratorINSA_10device_ptrIiEEEEPS6_SG_NS0_5tupleIJSF_SF_EEENSH_IJSG_SG_EEES6_PlJ7is_evenIiEEEE10hipError_tPvRmT3_T4_T5_T6_T7_T9_mT8_P12ihipStream_tbDpT10_ENKUlT_T0_E_clISt17integral_constantIbLb0EES16_EEDaS11_S12_EUlS11_E_NS1_11comp_targetILNS1_3genE4ELNS1_11target_archE910ELNS1_3gpuE8ELNS1_3repE0EEENS1_30default_config_static_selectorELNS0_4arch9wavefront6targetE1EEEvT1_
	.globl	_ZN7rocprim17ROCPRIM_400000_NS6detail17trampoline_kernelINS0_14default_configENS1_25partition_config_selectorILNS1_17partition_subalgoE0EiNS0_10empty_typeEbEEZZNS1_14partition_implILS5_0ELb0ES3_jN6thrust23THRUST_200600_302600_NS6detail15normal_iteratorINSA_10device_ptrIiEEEEPS6_SG_NS0_5tupleIJSF_SF_EEENSH_IJSG_SG_EEES6_PlJ7is_evenIiEEEE10hipError_tPvRmT3_T4_T5_T6_T7_T9_mT8_P12ihipStream_tbDpT10_ENKUlT_T0_E_clISt17integral_constantIbLb0EES16_EEDaS11_S12_EUlS11_E_NS1_11comp_targetILNS1_3genE4ELNS1_11target_archE910ELNS1_3gpuE8ELNS1_3repE0EEENS1_30default_config_static_selectorELNS0_4arch9wavefront6targetE1EEEvT1_
	.p2align	8
	.type	_ZN7rocprim17ROCPRIM_400000_NS6detail17trampoline_kernelINS0_14default_configENS1_25partition_config_selectorILNS1_17partition_subalgoE0EiNS0_10empty_typeEbEEZZNS1_14partition_implILS5_0ELb0ES3_jN6thrust23THRUST_200600_302600_NS6detail15normal_iteratorINSA_10device_ptrIiEEEEPS6_SG_NS0_5tupleIJSF_SF_EEENSH_IJSG_SG_EEES6_PlJ7is_evenIiEEEE10hipError_tPvRmT3_T4_T5_T6_T7_T9_mT8_P12ihipStream_tbDpT10_ENKUlT_T0_E_clISt17integral_constantIbLb0EES16_EEDaS11_S12_EUlS11_E_NS1_11comp_targetILNS1_3genE4ELNS1_11target_archE910ELNS1_3gpuE8ELNS1_3repE0EEENS1_30default_config_static_selectorELNS0_4arch9wavefront6targetE1EEEvT1_,@function
_ZN7rocprim17ROCPRIM_400000_NS6detail17trampoline_kernelINS0_14default_configENS1_25partition_config_selectorILNS1_17partition_subalgoE0EiNS0_10empty_typeEbEEZZNS1_14partition_implILS5_0ELb0ES3_jN6thrust23THRUST_200600_302600_NS6detail15normal_iteratorINSA_10device_ptrIiEEEEPS6_SG_NS0_5tupleIJSF_SF_EEENSH_IJSG_SG_EEES6_PlJ7is_evenIiEEEE10hipError_tPvRmT3_T4_T5_T6_T7_T9_mT8_P12ihipStream_tbDpT10_ENKUlT_T0_E_clISt17integral_constantIbLb0EES16_EEDaS11_S12_EUlS11_E_NS1_11comp_targetILNS1_3genE4ELNS1_11target_archE910ELNS1_3gpuE8ELNS1_3repE0EEENS1_30default_config_static_selectorELNS0_4arch9wavefront6targetE1EEEvT1_: ; @_ZN7rocprim17ROCPRIM_400000_NS6detail17trampoline_kernelINS0_14default_configENS1_25partition_config_selectorILNS1_17partition_subalgoE0EiNS0_10empty_typeEbEEZZNS1_14partition_implILS5_0ELb0ES3_jN6thrust23THRUST_200600_302600_NS6detail15normal_iteratorINSA_10device_ptrIiEEEEPS6_SG_NS0_5tupleIJSF_SF_EEENSH_IJSG_SG_EEES6_PlJ7is_evenIiEEEE10hipError_tPvRmT3_T4_T5_T6_T7_T9_mT8_P12ihipStream_tbDpT10_ENKUlT_T0_E_clISt17integral_constantIbLb0EES16_EEDaS11_S12_EUlS11_E_NS1_11comp_targetILNS1_3genE4ELNS1_11target_archE910ELNS1_3gpuE8ELNS1_3repE0EEENS1_30default_config_static_selectorELNS0_4arch9wavefront6targetE1EEEvT1_
; %bb.0:
	s_load_dwordx2 s[0:1], s[4:5], 0x58
	s_load_dwordx4 s[20:23], s[4:5], 0x8
	s_load_dwordx4 s[24:27], s[4:5], 0x48
	s_load_dword s7, s[4:5], 0x70
	s_mul_i32 s8, s6, 0xa00
	s_waitcnt lgkmcnt(0)
	v_mov_b32_e32 v3, s1
	s_lshl_b64 s[2:3], s[22:23], 2
	s_add_u32 s10, s20, s2
	s_mul_i32 s1, s7, 0xa00
	s_addc_u32 s11, s21, s3
	s_add_i32 s3, s1, s22
	s_sub_i32 s33, s0, s3
	s_add_i32 s2, s7, -1
	s_addk_i32 s33, 0xa00
	v_mov_b32_e32 v2, s0
	s_add_u32 s0, s22, s1
	s_addc_u32 s1, s23, 0
	s_cmp_eq_u32 s6, s2
	s_load_dwordx2 s[30:31], s[26:27], 0x0
	s_cselect_b64 s[26:27], -1, 0
	s_cmp_lg_u32 s6, s2
	s_mov_b32 s9, 0
	v_cmp_lt_u64_e32 vcc, s[0:1], v[2:3]
	s_cselect_b64 s[0:1], -1, 0
	s_or_b64 s[2:3], s[0:1], vcc
	s_lshl_b64 s[28:29], s[8:9], 2
	s_add_u32 s7, s10, s28
	s_addc_u32 s10, s11, s29
	s_mov_b64 s[0:1], -1
	s_and_b64 vcc, exec, s[2:3]
	v_lshlrev_b32_e32 v1, 2, v0
	s_cbranch_vccz .LBB323_2
; %bb.1:
	v_mov_b32_e32 v3, s10
	v_add_co_u32_e32 v2, vcc, s7, v1
	v_addc_co_u32_e32 v3, vcc, 0, v3, vcc
	v_add_co_u32_e32 v4, vcc, 0x1000, v2
	v_addc_co_u32_e32 v5, vcc, 0, v3, vcc
	flat_load_dword v6, v[2:3]
	flat_load_dword v7, v[2:3] offset:1024
	flat_load_dword v8, v[2:3] offset:2048
	;; [unrolled: 1-line block ×3, first 2 shown]
	flat_load_dword v10, v[4:5]
	flat_load_dword v11, v[4:5] offset:1024
	flat_load_dword v12, v[4:5] offset:2048
	;; [unrolled: 1-line block ×3, first 2 shown]
	v_add_co_u32_e32 v2, vcc, 0x2000, v2
	v_addc_co_u32_e32 v3, vcc, 0, v3, vcc
	flat_load_dword v4, v[2:3]
	flat_load_dword v5, v[2:3] offset:1024
	s_mov_b64 s[0:1], 0
	s_waitcnt vmcnt(0) lgkmcnt(0)
	ds_write2st64_b32 v1, v6, v7 offset1:4
	ds_write2st64_b32 v1, v8, v9 offset0:8 offset1:12
	ds_write2st64_b32 v1, v10, v11 offset0:16 offset1:20
	;; [unrolled: 1-line block ×4, first 2 shown]
	s_waitcnt lgkmcnt(0)
	s_barrier
.LBB323_2:
	s_andn2_b64 vcc, exec, s[0:1]
	v_cmp_gt_u32_e64 s[0:1], s33, v0
	s_cbranch_vccnz .LBB323_24
; %bb.3:
                                        ; implicit-def: $vgpr2_vgpr3_vgpr4_vgpr5_vgpr6_vgpr7_vgpr8_vgpr9_vgpr10_vgpr11
	s_and_saveexec_b64 s[8:9], s[0:1]
	s_cbranch_execz .LBB323_5
; %bb.4:
	v_mov_b32_e32 v3, s10
	v_add_co_u32_e32 v2, vcc, s7, v1
	v_addc_co_u32_e32 v3, vcc, 0, v3, vcc
	flat_load_dword v2, v[2:3]
.LBB323_5:
	s_or_b64 exec, exec, s[8:9]
	v_or_b32_e32 v12, 0x100, v0
	v_cmp_gt_u32_e32 vcc, s33, v12
	s_and_saveexec_b64 s[0:1], vcc
	s_cbranch_execz .LBB323_7
; %bb.6:
	v_mov_b32_e32 v3, s10
	v_add_co_u32_e32 v12, vcc, s7, v1
	v_addc_co_u32_e32 v13, vcc, 0, v3, vcc
	flat_load_dword v3, v[12:13] offset:1024
.LBB323_7:
	s_or_b64 exec, exec, s[0:1]
	v_or_b32_e32 v12, 0x200, v0
	v_cmp_gt_u32_e32 vcc, s33, v12
	s_and_saveexec_b64 s[0:1], vcc
	s_cbranch_execz .LBB323_9
; %bb.8:
	v_mov_b32_e32 v4, s10
	v_add_co_u32_e32 v12, vcc, s7, v1
	v_addc_co_u32_e32 v13, vcc, 0, v4, vcc
	flat_load_dword v4, v[12:13] offset:2048
.LBB323_9:
	;; [unrolled: 11-line block ×3, first 2 shown]
	s_or_b64 exec, exec, s[0:1]
	v_or_b32_e32 v12, 0x400, v0
	v_cmp_gt_u32_e32 vcc, s33, v12
	s_and_saveexec_b64 s[0:1], vcc
	s_cbranch_execz .LBB323_13
; %bb.12:
	v_lshlrev_b32_e32 v6, 2, v12
	v_mov_b32_e32 v13, s10
	v_add_co_u32_e32 v12, vcc, s7, v6
	v_addc_co_u32_e32 v13, vcc, 0, v13, vcc
	flat_load_dword v6, v[12:13]
.LBB323_13:
	s_or_b64 exec, exec, s[0:1]
	v_or_b32_e32 v12, 0x500, v0
	v_cmp_gt_u32_e32 vcc, s33, v12
	s_and_saveexec_b64 s[0:1], vcc
	s_cbranch_execz .LBB323_15
; %bb.14:
	v_lshlrev_b32_e32 v7, 2, v12
	v_mov_b32_e32 v13, s10
	v_add_co_u32_e32 v12, vcc, s7, v7
	v_addc_co_u32_e32 v13, vcc, 0, v13, vcc
	flat_load_dword v7, v[12:13]
.LBB323_15:
	;; [unrolled: 12-line block ×6, first 2 shown]
	s_or_b64 exec, exec, s[0:1]
	s_waitcnt vmcnt(0) lgkmcnt(0)
	ds_write2st64_b32 v1, v2, v3 offset1:4
	ds_write2st64_b32 v1, v4, v5 offset0:8 offset1:12
	ds_write2st64_b32 v1, v6, v7 offset0:16 offset1:20
	ds_write2st64_b32 v1, v8, v9 offset0:24 offset1:28
	ds_write2st64_b32 v1, v10, v11 offset0:32 offset1:36
	s_waitcnt lgkmcnt(0)
	s_barrier
.LBB323_24:
	v_mul_u32_u24_e32 v23, 10, v0
	v_lshlrev_b32_e32 v29, 2, v23
	s_waitcnt lgkmcnt(0)
	ds_read2_b64 v[6:9], v29 offset1:1
	ds_read2_b64 v[2:5], v29 offset0:2 offset1:3
	ds_read_b64 v[10:11], v29 offset:32
	v_cndmask_b32_e64 v12, 0, 1, s[2:3]
	v_cmp_ne_u32_e64 s[0:1], 1, v12
	s_andn2_b64 vcc, exec, s[2:3]
	s_waitcnt lgkmcnt(2)
	v_xor_b32_e32 v21, -1, v6
	v_xor_b32_e32 v20, -1, v7
	;; [unrolled: 1-line block ×4, first 2 shown]
	s_waitcnt lgkmcnt(1)
	v_xor_b32_e32 v17, -1, v2
	v_xor_b32_e32 v16, -1, v3
	;; [unrolled: 1-line block ×4, first 2 shown]
	s_waitcnt lgkmcnt(0)
	v_xor_b32_e32 v13, -1, v10
	v_xor_b32_e32 v12, -1, v11
	s_barrier
	s_cbranch_vccnz .LBB323_26
; %bb.25:
	v_mov_b32_e32 v22, 1
	v_and_b32_e32 v25, 1, v21
	v_and_b32_sdwa v26, v20, v22 dst_sel:BYTE_1 dst_unused:UNUSED_PAD src0_sel:DWORD src1_sel:DWORD
	v_and_b32_e32 v27, 1, v19
	v_and_b32_sdwa v28, v18, v22 dst_sel:BYTE_1 dst_unused:UNUSED_PAD src0_sel:DWORD src1_sel:DWORD
	;; [unrolled: 2-line block ×4, first 2 shown]
	v_or_b32_e32 v25, v25, v26
	v_or_b32_sdwa v26, v27, v28 dst_sel:WORD_1 dst_unused:UNUSED_PAD src0_sel:DWORD src1_sel:DWORD
	v_or_b32_sdwa v26, v25, v26 dst_sel:DWORD dst_unused:UNUSED_PAD src0_sel:WORD_0 src1_sel:DWORD
	v_or_b32_e32 v25, v30, v31
	v_or_b32_sdwa v27, v32, v33 dst_sel:WORD_1 dst_unused:UNUSED_PAD src0_sel:DWORD src1_sel:DWORD
	v_and_b32_e32 v24, 1, v13
	v_and_b32_e32 v22, 1, v12
	v_or_b32_sdwa v25, v25, v27 dst_sel:DWORD dst_unused:UNUSED_PAD src0_sel:WORD_0 src1_sel:DWORD
	s_load_dwordx2 s[34:35], s[4:5], 0x68
	s_cbranch_execz .LBB323_27
	s_branch .LBB323_28
.LBB323_26:
                                        ; implicit-def: $vgpr22
                                        ; implicit-def: $vgpr24
                                        ; implicit-def: $vgpr25
                                        ; implicit-def: $vgpr26
	s_load_dwordx2 s[34:35], s[4:5], 0x68
.LBB323_27:
	v_or_b32_e32 v32, 1, v23
	v_cmp_gt_u32_e32 vcc, s33, v23
	v_add_u32_e32 v22, 2, v23
	v_cndmask_b32_e64 v33, 0, 1, vcc
	v_cmp_gt_u32_e32 vcc, s33, v32
	v_add_u32_e32 v31, 3, v23
	v_cndmask_b32_e64 v32, 0, 1, vcc
	;; [unrolled: 3-line block ×3, first 2 shown]
	v_cmp_gt_u32_e32 vcc, s33, v31
	v_add_u32_e32 v30, 5, v23
	v_and_b32_e32 v19, v22, v19
	v_cndmask_b32_e64 v22, 0, 1, vcc
	v_cmp_gt_u32_e32 vcc, s33, v24
	v_add_u32_e32 v25, 6, v23
	v_and_b32_sdwa v18, v22, v18 dst_sel:BYTE_1 dst_unused:UNUSED_PAD src0_sel:DWORD src1_sel:DWORD
	v_cndmask_b32_e64 v22, 0, 1, vcc
	v_cmp_gt_u32_e32 vcc, s33, v30
	v_add_u32_e32 v28, 7, v23
	v_and_b32_e32 v17, v22, v17
	v_cndmask_b32_e64 v22, 0, 1, vcc
	v_cmp_gt_u32_e32 vcc, s33, v25
	v_add_u32_e32 v26, 8, v23
	v_and_b32_sdwa v16, v22, v16 dst_sel:BYTE_1 dst_unused:UNUSED_PAD src0_sel:DWORD src1_sel:DWORD
	v_cndmask_b32_e64 v22, 0, 1, vcc
	v_cmp_gt_u32_e32 vcc, s33, v28
	v_add_u32_e32 v27, 9, v23
	v_and_b32_e32 v15, v22, v15
	v_cndmask_b32_e64 v22, 0, 1, vcc
	v_cmp_gt_u32_e32 vcc, s33, v26
	v_and_b32_sdwa v14, v22, v14 dst_sel:BYTE_1 dst_unused:UNUSED_PAD src0_sel:DWORD src1_sel:DWORD
	v_cndmask_b32_e64 v22, 0, 1, vcc
	v_cmp_gt_u32_e32 vcc, s33, v27
	v_and_b32_e32 v21, v33, v21
	v_and_b32_sdwa v20, v32, v20 dst_sel:BYTE_1 dst_unused:UNUSED_PAD src0_sel:DWORD src1_sel:DWORD
	v_and_b32_e32 v24, v22, v13
	v_cndmask_b32_e64 v13, 0, 1, vcc
	v_and_b32_e32 v22, v13, v12
	v_or_b32_e32 v12, v21, v20
	v_or_b32_sdwa v13, v19, v18 dst_sel:WORD_1 dst_unused:UNUSED_PAD src0_sel:DWORD src1_sel:DWORD
	v_or_b32_sdwa v26, v12, v13 dst_sel:DWORD dst_unused:UNUSED_PAD src0_sel:WORD_0 src1_sel:DWORD
	v_or_b32_e32 v12, v17, v16
	v_or_b32_sdwa v13, v15, v14 dst_sel:WORD_1 dst_unused:UNUSED_PAD src0_sel:DWORD src1_sel:DWORD
	v_or_b32_sdwa v25, v12, v13 dst_sel:DWORD dst_unused:UNUSED_PAD src0_sel:WORD_0 src1_sel:DWORD
.LBB323_28:
	v_bfe_u32 v30, v26, 16, 8
	v_lshrrev_b32_e32 v28, 24, v26
	v_add_u32_sdwa v13, v26, v26 dst_sel:DWORD dst_unused:UNUSED_PAD src0_sel:BYTE_1 src1_sel:BYTE_0
	v_and_b32_e32 v31, 0xff, v25
	v_bfe_u32 v32, v25, 8, 8
	v_add3_u32 v13, v13, v30, v28
	v_bfe_u32 v33, v25, 16, 8
	v_lshrrev_b32_e32 v27, 24, v25
	v_add3_u32 v13, v13, v31, v32
	v_and_b32_e32 v34, 0xff, v24
	v_and_b32_e32 v12, 0xff, v22
	v_add3_u32 v13, v13, v33, v27
	v_add3_u32 v37, v13, v34, v12
	v_mbcnt_lo_u32_b32 v12, -1, 0
	v_mbcnt_hi_u32_b32 v35, -1, v12
	v_and_b32_e32 v12, 15, v35
	v_cmp_eq_u32_e64 s[16:17], 0, v12
	v_cmp_lt_u32_e64 s[14:15], 1, v12
	v_cmp_lt_u32_e64 s[12:13], 3, v12
	;; [unrolled: 1-line block ×3, first 2 shown]
	v_and_b32_e32 v12, 16, v35
	v_cmp_eq_u32_e64 s[8:9], 0, v12
	v_or_b32_e32 v12, 63, v0
	s_cmp_lg_u32 s6, 0
	v_cmp_lt_u32_e64 s[2:3], 31, v35
	v_lshrrev_b32_e32 v36, 6, v0
	v_cmp_eq_u32_e64 s[20:21], v12, v0
	s_cbranch_scc0 .LBB323_55
; %bb.29:
	v_mov_b32_dpp v12, v37 row_shr:1 row_mask:0xf bank_mask:0xf
	v_cndmask_b32_e64 v12, v12, 0, s[16:17]
	v_add_u32_e32 v12, v12, v37
	s_nop 1
	v_mov_b32_dpp v13, v12 row_shr:2 row_mask:0xf bank_mask:0xf
	v_cndmask_b32_e64 v13, 0, v13, s[14:15]
	v_add_u32_e32 v12, v12, v13
	s_nop 1
	v_mov_b32_dpp v13, v12 row_shr:4 row_mask:0xf bank_mask:0xf
	v_cndmask_b32_e64 v13, 0, v13, s[12:13]
	v_add_u32_e32 v12, v12, v13
	s_nop 1
	v_mov_b32_dpp v13, v12 row_shr:8 row_mask:0xf bank_mask:0xf
	v_cndmask_b32_e64 v13, 0, v13, s[10:11]
	v_add_u32_e32 v12, v12, v13
	s_nop 1
	v_mov_b32_dpp v13, v12 row_bcast:15 row_mask:0xf bank_mask:0xf
	v_cndmask_b32_e64 v13, v13, 0, s[8:9]
	v_add_u32_e32 v12, v12, v13
	s_nop 1
	v_mov_b32_dpp v13, v12 row_bcast:31 row_mask:0xf bank_mask:0xf
	v_cndmask_b32_e64 v13, 0, v13, s[2:3]
	v_add_u32_e32 v12, v12, v13
	s_and_saveexec_b64 s[18:19], s[20:21]
	s_cbranch_execz .LBB323_31
; %bb.30:
	v_lshlrev_b32_e32 v13, 2, v36
	ds_write_b32 v13, v12
.LBB323_31:
	s_or_b64 exec, exec, s[18:19]
	v_cmp_gt_u32_e32 vcc, 4, v0
	s_waitcnt lgkmcnt(0)
	s_barrier
	s_and_saveexec_b64 s[18:19], vcc
	s_cbranch_execz .LBB323_33
; %bb.32:
	ds_read_b32 v13, v1
	v_and_b32_e32 v14, 3, v35
	v_cmp_ne_u32_e32 vcc, 0, v14
	s_waitcnt lgkmcnt(0)
	v_mov_b32_dpp v15, v13 row_shr:1 row_mask:0xf bank_mask:0xf
	v_cndmask_b32_e32 v15, 0, v15, vcc
	v_add_u32_e32 v13, v15, v13
	v_cmp_lt_u32_e32 vcc, 1, v14
	s_nop 0
	v_mov_b32_dpp v15, v13 row_shr:2 row_mask:0xf bank_mask:0xf
	v_cndmask_b32_e32 v14, 0, v15, vcc
	v_add_u32_e32 v13, v13, v14
	ds_write_b32 v1, v13
.LBB323_33:
	s_or_b64 exec, exec, s[18:19]
	v_cmp_gt_u32_e32 vcc, 64, v0
	v_cmp_lt_u32_e64 s[18:19], 63, v0
	s_waitcnt lgkmcnt(0)
	s_barrier
	s_waitcnt lgkmcnt(0)
                                        ; implicit-def: $vgpr38
	s_and_saveexec_b64 s[36:37], s[18:19]
	s_cbranch_execz .LBB323_35
; %bb.34:
	v_lshl_add_u32 v13, v36, 2, -4
	ds_read_b32 v38, v13
	s_waitcnt lgkmcnt(0)
	v_add_u32_e32 v12, v38, v12
.LBB323_35:
	s_or_b64 exec, exec, s[36:37]
	v_add_u32_e32 v13, -1, v35
	v_and_b32_e32 v14, 64, v35
	v_cmp_lt_i32_e64 s[18:19], v13, v14
	v_cndmask_b32_e64 v13, v13, v35, s[18:19]
	v_lshlrev_b32_e32 v13, 2, v13
	ds_bpermute_b32 v39, v13, v12
	v_cmp_eq_u32_e64 s[18:19], 0, v35
	s_and_saveexec_b64 s[36:37], vcc
	s_cbranch_execz .LBB323_54
; %bb.36:
	v_mov_b32_e32 v19, 0
	ds_read_b32 v12, v19 offset:12
	s_and_saveexec_b64 s[38:39], s[18:19]
	s_cbranch_execz .LBB323_38
; %bb.37:
	s_add_i32 s40, s6, 64
	s_mov_b32 s41, 0
	s_lshl_b64 s[40:41], s[40:41], 3
	s_add_u32 s40, s34, s40
	v_mov_b32_e32 v13, 1
	s_addc_u32 s41, s35, s41
	s_waitcnt lgkmcnt(0)
	global_store_dwordx2 v19, v[12:13], s[40:41]
.LBB323_38:
	s_or_b64 exec, exec, s[38:39]
	v_xad_u32 v14, v35, -1, s6
	v_add_u32_e32 v18, 64, v14
	v_lshlrev_b64 v[16:17], 3, v[18:19]
	v_mov_b32_e32 v13, s35
	v_add_co_u32_e32 v20, vcc, s34, v16
	v_addc_co_u32_e32 v21, vcc, v13, v17, vcc
	global_load_dwordx2 v[16:17], v[20:21], off glc
	s_waitcnt vmcnt(0)
	v_cmp_eq_u16_sdwa s[40:41], v17, v19 src0_sel:BYTE_0 src1_sel:DWORD
	s_and_saveexec_b64 s[38:39], s[40:41]
	s_cbranch_execz .LBB323_42
; %bb.39:
	s_mov_b64 s[40:41], 0
	v_mov_b32_e32 v13, 0
.LBB323_40:                             ; =>This Inner Loop Header: Depth=1
	global_load_dwordx2 v[16:17], v[20:21], off glc
	s_waitcnt vmcnt(0)
	v_cmp_ne_u16_sdwa s[42:43], v17, v13 src0_sel:BYTE_0 src1_sel:DWORD
	s_or_b64 s[40:41], s[42:43], s[40:41]
	s_andn2_b64 exec, exec, s[40:41]
	s_cbranch_execnz .LBB323_40
; %bb.41:
	s_or_b64 exec, exec, s[40:41]
.LBB323_42:
	s_or_b64 exec, exec, s[38:39]
	v_and_b32_e32 v41, 63, v35
	v_mov_b32_e32 v40, 2
	v_cmp_ne_u32_e32 vcc, 63, v41
	v_cmp_eq_u16_sdwa s[38:39], v17, v40 src0_sel:BYTE_0 src1_sel:DWORD
	v_lshlrev_b64 v[18:19], v35, -1
	v_addc_co_u32_e32 v20, vcc, 0, v35, vcc
	v_and_b32_e32 v13, s39, v19
	v_lshlrev_b32_e32 v42, 2, v20
	v_or_b32_e32 v13, 0x80000000, v13
	ds_bpermute_b32 v20, v42, v16
	v_and_b32_e32 v15, s38, v18
	v_ffbl_b32_e32 v13, v13
	v_add_u32_e32 v13, 32, v13
	v_ffbl_b32_e32 v15, v15
	v_min_u32_e32 v13, v15, v13
	v_cmp_lt_u32_e32 vcc, v41, v13
	s_waitcnt lgkmcnt(0)
	v_cndmask_b32_e32 v15, 0, v20, vcc
	v_cmp_gt_u32_e32 vcc, 62, v41
	v_add_u32_e32 v15, v15, v16
	v_cndmask_b32_e64 v16, 0, 1, vcc
	v_lshlrev_b32_e32 v16, 1, v16
	v_add_lshl_u32 v43, v16, v35, 2
	ds_bpermute_b32 v16, v43, v15
	v_add_u32_e32 v44, 2, v41
	v_cmp_le_u32_e32 vcc, v44, v13
	v_add_u32_e32 v46, 4, v41
	v_add_u32_e32 v48, 8, v41
	s_waitcnt lgkmcnt(0)
	v_cndmask_b32_e32 v16, 0, v16, vcc
	v_cmp_gt_u32_e32 vcc, 60, v41
	v_add_u32_e32 v15, v15, v16
	v_cndmask_b32_e64 v16, 0, 1, vcc
	v_lshlrev_b32_e32 v16, 2, v16
	v_add_lshl_u32 v45, v16, v35, 2
	ds_bpermute_b32 v16, v45, v15
	v_cmp_le_u32_e32 vcc, v46, v13
	v_add_u32_e32 v50, 16, v41
	v_add_u32_e32 v52, 32, v41
	s_waitcnt lgkmcnt(0)
	v_cndmask_b32_e32 v16, 0, v16, vcc
	v_cmp_gt_u32_e32 vcc, 56, v41
	v_add_u32_e32 v15, v15, v16
	v_cndmask_b32_e64 v16, 0, 1, vcc
	v_lshlrev_b32_e32 v16, 3, v16
	v_add_lshl_u32 v47, v16, v35, 2
	ds_bpermute_b32 v16, v47, v15
	v_cmp_le_u32_e32 vcc, v48, v13
	s_waitcnt lgkmcnt(0)
	v_cndmask_b32_e32 v16, 0, v16, vcc
	v_cmp_gt_u32_e32 vcc, 48, v41
	v_add_u32_e32 v15, v15, v16
	v_cndmask_b32_e64 v16, 0, 1, vcc
	v_lshlrev_b32_e32 v16, 4, v16
	v_add_lshl_u32 v49, v16, v35, 2
	ds_bpermute_b32 v16, v49, v15
	v_cmp_le_u32_e32 vcc, v50, v13
	;; [unrolled: 9-line block ×3, first 2 shown]
	s_waitcnt lgkmcnt(0)
	v_cndmask_b32_e32 v13, 0, v16, vcc
	v_add_u32_e32 v16, v15, v13
	v_mov_b32_e32 v15, 0
	s_branch .LBB323_44
.LBB323_43:                             ;   in Loop: Header=BB323_44 Depth=1
	s_or_b64 exec, exec, s[38:39]
	v_cmp_eq_u16_sdwa s[38:39], v17, v40 src0_sel:BYTE_0 src1_sel:DWORD
	v_and_b32_e32 v20, s39, v19
	v_or_b32_e32 v20, 0x80000000, v20
	ds_bpermute_b32 v53, v42, v16
	v_and_b32_e32 v21, s38, v18
	v_ffbl_b32_e32 v20, v20
	v_add_u32_e32 v20, 32, v20
	v_ffbl_b32_e32 v21, v21
	v_min_u32_e32 v20, v21, v20
	v_cmp_lt_u32_e32 vcc, v41, v20
	s_waitcnt lgkmcnt(0)
	v_cndmask_b32_e32 v21, 0, v53, vcc
	v_add_u32_e32 v16, v21, v16
	ds_bpermute_b32 v21, v43, v16
	v_cmp_le_u32_e32 vcc, v44, v20
	v_subrev_u32_e32 v14, 64, v14
	s_waitcnt lgkmcnt(0)
	v_cndmask_b32_e32 v21, 0, v21, vcc
	v_add_u32_e32 v16, v16, v21
	ds_bpermute_b32 v21, v45, v16
	v_cmp_le_u32_e32 vcc, v46, v20
	s_waitcnt lgkmcnt(0)
	v_cndmask_b32_e32 v21, 0, v21, vcc
	v_add_u32_e32 v16, v16, v21
	ds_bpermute_b32 v21, v47, v16
	v_cmp_le_u32_e32 vcc, v48, v20
	;; [unrolled: 5-line block ×4, first 2 shown]
	s_waitcnt lgkmcnt(0)
	v_cndmask_b32_e32 v20, 0, v21, vcc
	v_add3_u32 v16, v20, v13, v16
.LBB323_44:                             ; =>This Loop Header: Depth=1
                                        ;     Child Loop BB323_47 Depth 2
	v_cmp_ne_u16_sdwa s[38:39], v17, v40 src0_sel:BYTE_0 src1_sel:DWORD
	v_cndmask_b32_e64 v13, 0, 1, s[38:39]
	;;#ASMSTART
	;;#ASMEND
	v_cmp_ne_u32_e32 vcc, 0, v13
	s_cmp_lg_u64 vcc, exec
	v_mov_b32_e32 v13, v16
	s_cbranch_scc1 .LBB323_49
; %bb.45:                               ;   in Loop: Header=BB323_44 Depth=1
	v_lshlrev_b64 v[16:17], 3, v[14:15]
	v_mov_b32_e32 v21, s35
	v_add_co_u32_e32 v20, vcc, s34, v16
	v_addc_co_u32_e32 v21, vcc, v21, v17, vcc
	global_load_dwordx2 v[16:17], v[20:21], off glc
	s_waitcnt vmcnt(0)
	v_cmp_eq_u16_sdwa s[40:41], v17, v15 src0_sel:BYTE_0 src1_sel:DWORD
	s_and_saveexec_b64 s[38:39], s[40:41]
	s_cbranch_execz .LBB323_43
; %bb.46:                               ;   in Loop: Header=BB323_44 Depth=1
	s_mov_b64 s[40:41], 0
.LBB323_47:                             ;   Parent Loop BB323_44 Depth=1
                                        ; =>  This Inner Loop Header: Depth=2
	global_load_dwordx2 v[16:17], v[20:21], off glc
	s_waitcnt vmcnt(0)
	v_cmp_ne_u16_sdwa s[42:43], v17, v15 src0_sel:BYTE_0 src1_sel:DWORD
	s_or_b64 s[40:41], s[42:43], s[40:41]
	s_andn2_b64 exec, exec, s[40:41]
	s_cbranch_execnz .LBB323_47
; %bb.48:                               ;   in Loop: Header=BB323_44 Depth=1
	s_or_b64 exec, exec, s[40:41]
	s_branch .LBB323_43
.LBB323_49:                             ;   in Loop: Header=BB323_44 Depth=1
                                        ; implicit-def: $vgpr16
                                        ; implicit-def: $vgpr17
	s_cbranch_execz .LBB323_44
; %bb.50:
	s_and_saveexec_b64 s[38:39], s[18:19]
	s_cbranch_execz .LBB323_52
; %bb.51:
	s_add_i32 s6, s6, 64
	s_mov_b32 s7, 0
	s_lshl_b64 s[6:7], s[6:7], 3
	s_add_u32 s6, s34, s6
	v_add_u32_e32 v14, v13, v12
	v_mov_b32_e32 v15, 2
	s_addc_u32 s7, s35, s7
	v_mov_b32_e32 v16, 0
	global_store_dwordx2 v16, v[14:15], s[6:7]
	ds_write_b64 v16, v[12:13] offset:10240
.LBB323_52:
	s_or_b64 exec, exec, s[38:39]
	v_cmp_eq_u32_e32 vcc, 0, v0
	s_and_b64 exec, exec, vcc
	s_cbranch_execz .LBB323_54
; %bb.53:
	v_mov_b32_e32 v12, 0
	ds_write_b32 v12, v13 offset:12
.LBB323_54:
	s_or_b64 exec, exec, s[36:37]
	v_mov_b32_e32 v12, 0
	s_waitcnt lgkmcnt(0)
	s_barrier
	ds_read_b32 v13, v12 offset:12
	v_cndmask_b32_e64 v14, v39, v38, s[18:19]
	v_cmp_ne_u32_e32 vcc, 0, v0
	v_cndmask_b32_e32 v14, 0, v14, vcc
	s_waitcnt lgkmcnt(0)
	v_add_u32_e32 v39, v13, v14
	v_add_u32_sdwa v38, v39, v26 dst_sel:DWORD dst_unused:UNUSED_PAD src0_sel:DWORD src1_sel:BYTE_0
	v_add_u32_sdwa v21, v38, v26 dst_sel:DWORD dst_unused:UNUSED_PAD src0_sel:DWORD src1_sel:BYTE_1
	v_add_u32_e32 v20, v21, v30
	v_add_u32_e32 v19, v20, v28
	;; [unrolled: 1-line block ×3, first 2 shown]
	s_barrier
	ds_read_b64 v[12:13], v12 offset:10240
	v_add_u32_e32 v17, v18, v32
	v_add_u32_e32 v16, v17, v33
	;; [unrolled: 1-line block ×4, first 2 shown]
	s_branch .LBB323_65
.LBB323_55:
                                        ; implicit-def: $vgpr13
                                        ; implicit-def: $vgpr14
                                        ; implicit-def: $vgpr15
                                        ; implicit-def: $vgpr16
                                        ; implicit-def: $vgpr17
                                        ; implicit-def: $vgpr18
                                        ; implicit-def: $vgpr19
                                        ; implicit-def: $vgpr20
                                        ; implicit-def: $vgpr21
                                        ; implicit-def: $vgpr38
                                        ; implicit-def: $vgpr39
	s_cbranch_execz .LBB323_65
; %bb.56:
	s_waitcnt lgkmcnt(0)
	v_mov_b32_dpp v12, v37 row_shr:1 row_mask:0xf bank_mask:0xf
	v_cndmask_b32_e64 v12, v12, 0, s[16:17]
	v_add_u32_e32 v12, v12, v37
	s_nop 1
	v_mov_b32_dpp v13, v12 row_shr:2 row_mask:0xf bank_mask:0xf
	v_cndmask_b32_e64 v13, 0, v13, s[14:15]
	v_add_u32_e32 v12, v12, v13
	s_nop 1
	v_mov_b32_dpp v13, v12 row_shr:4 row_mask:0xf bank_mask:0xf
	v_cndmask_b32_e64 v13, 0, v13, s[12:13]
	v_add_u32_e32 v12, v12, v13
	s_nop 1
	v_mov_b32_dpp v13, v12 row_shr:8 row_mask:0xf bank_mask:0xf
	v_cndmask_b32_e64 v13, 0, v13, s[10:11]
	v_add_u32_e32 v12, v12, v13
	s_nop 1
	v_mov_b32_dpp v13, v12 row_bcast:15 row_mask:0xf bank_mask:0xf
	v_cndmask_b32_e64 v13, v13, 0, s[8:9]
	v_add_u32_e32 v12, v12, v13
	s_nop 1
	v_mov_b32_dpp v13, v12 row_bcast:31 row_mask:0xf bank_mask:0xf
	v_cndmask_b32_e64 v13, 0, v13, s[2:3]
	v_add_u32_e32 v12, v12, v13
	s_and_saveexec_b64 s[2:3], s[20:21]
	s_cbranch_execz .LBB323_58
; %bb.57:
	v_lshlrev_b32_e32 v13, 2, v36
	ds_write_b32 v13, v12
.LBB323_58:
	s_or_b64 exec, exec, s[2:3]
	v_cmp_gt_u32_e32 vcc, 4, v0
	s_waitcnt lgkmcnt(0)
	s_barrier
	s_and_saveexec_b64 s[2:3], vcc
	s_cbranch_execz .LBB323_60
; %bb.59:
	s_movk_i32 s6, 0xffdc
	v_mad_i32_i24 v13, v0, s6, v29
	ds_read_b32 v14, v13
	v_and_b32_e32 v15, 3, v35
	v_cmp_ne_u32_e32 vcc, 0, v15
	s_waitcnt lgkmcnt(0)
	v_mov_b32_dpp v16, v14 row_shr:1 row_mask:0xf bank_mask:0xf
	v_cndmask_b32_e32 v16, 0, v16, vcc
	v_add_u32_e32 v14, v16, v14
	v_cmp_lt_u32_e32 vcc, 1, v15
	s_nop 0
	v_mov_b32_dpp v16, v14 row_shr:2 row_mask:0xf bank_mask:0xf
	v_cndmask_b32_e32 v15, 0, v16, vcc
	v_add_u32_e32 v14, v14, v15
	ds_write_b32 v13, v14
.LBB323_60:
	s_or_b64 exec, exec, s[2:3]
	v_cmp_lt_u32_e32 vcc, 63, v0
	v_mov_b32_e32 v13, 0
	v_mov_b32_e32 v14, 0
	s_waitcnt lgkmcnt(0)
	s_barrier
	s_and_saveexec_b64 s[2:3], vcc
	s_cbranch_execz .LBB323_62
; %bb.61:
	v_lshl_add_u32 v14, v36, 2, -4
	ds_read_b32 v14, v14
.LBB323_62:
	s_or_b64 exec, exec, s[2:3]
	v_add_u32_e32 v15, -1, v35
	v_and_b32_e32 v16, 64, v35
	v_cmp_lt_i32_e32 vcc, v15, v16
	v_cndmask_b32_e32 v15, v15, v35, vcc
	s_waitcnt lgkmcnt(0)
	v_add_u32_e32 v12, v14, v12
	v_lshlrev_b32_e32 v15, 2, v15
	ds_bpermute_b32 v15, v15, v12
	ds_read_b32 v12, v13 offset:12
	v_cmp_eq_u32_e32 vcc, 0, v0
	s_and_saveexec_b64 s[2:3], vcc
	s_cbranch_execz .LBB323_64
; %bb.63:
	v_mov_b32_e32 v16, 0
	v_mov_b32_e32 v13, 2
	s_waitcnt lgkmcnt(0)
	global_store_dwordx2 v16, v[12:13], s[34:35] offset:512
.LBB323_64:
	s_or_b64 exec, exec, s[2:3]
	v_cmp_eq_u32_e64 s[2:3], 0, v35
	s_waitcnt lgkmcnt(1)
	v_cndmask_b32_e64 v14, v15, v14, s[2:3]
	v_cndmask_b32_e64 v39, v14, 0, vcc
	v_add_u32_sdwa v38, v39, v26 dst_sel:DWORD dst_unused:UNUSED_PAD src0_sel:DWORD src1_sel:BYTE_0
	v_add_u32_sdwa v21, v38, v26 dst_sel:DWORD dst_unused:UNUSED_PAD src0_sel:DWORD src1_sel:BYTE_1
	v_add_u32_e32 v20, v21, v30
	v_add_u32_e32 v19, v20, v28
	;; [unrolled: 1-line block ×6, first 2 shown]
	v_mov_b32_e32 v13, 0
	v_add_u32_e32 v14, v15, v34
	s_waitcnt lgkmcnt(0)
	s_barrier
.LBB323_65:
	s_waitcnt lgkmcnt(0)
	v_add_u32_e32 v23, v12, v23
	v_sub_u32_e32 v31, v39, v13
	v_and_b32_e32 v33, 1, v26
	v_sub_u32_e32 v32, v23, v31
	v_cmp_eq_u32_e32 vcc, 1, v33
	v_cndmask_b32_e32 v31, v32, v31, vcc
	v_lshlrev_b32_e32 v31, 2, v31
	v_lshrrev_b32_e32 v30, 8, v26
	ds_write_b32 v31, v6
	v_sub_u32_e32 v6, v38, v13
	v_sub_u32_e32 v31, v23, v6
	v_and_b32_e32 v30, 1, v30
	v_add_u32_e32 v31, 1, v31
	v_cmp_eq_u32_e32 vcc, 1, v30
	v_cndmask_b32_e32 v6, v31, v6, vcc
	v_lshlrev_b32_e32 v6, 2, v6
	ds_write_b32 v6, v7
	v_sub_u32_e32 v6, v21, v13
	v_mov_b32_e32 v21, 1
	v_sub_u32_e32 v7, v23, v6
	v_and_b32_sdwa v26, v21, v26 dst_sel:DWORD dst_unused:UNUSED_PAD src0_sel:DWORD src1_sel:WORD_1
	v_add_u32_e32 v7, 2, v7
	v_cmp_eq_u32_e32 vcc, 1, v26
	v_cndmask_b32_e32 v6, v7, v6, vcc
	v_lshlrev_b32_e32 v6, 2, v6
	ds_write_b32 v6, v8
	v_sub_u32_e32 v6, v20, v13
	v_sub_u32_e32 v7, v23, v6
	v_and_b32_e32 v8, 1, v28
	v_add_u32_e32 v7, 3, v7
	v_cmp_eq_u32_e32 vcc, 1, v8
	v_cndmask_b32_e32 v6, v7, v6, vcc
	v_lshlrev_b32_e32 v6, 2, v6
	ds_write_b32 v6, v9
	v_sub_u32_e32 v6, v19, v13
	v_sub_u32_e32 v7, v23, v6
	v_and_b32_e32 v8, 1, v25
	v_add_u32_e32 v7, 4, v7
	v_cmp_eq_u32_e32 vcc, 1, v8
	v_cndmask_b32_e32 v6, v7, v6, vcc
	v_lshlrev_b32_e32 v6, 2, v6
	v_lshrrev_b32_e32 v29, 8, v25
	ds_write_b32 v6, v2
	v_sub_u32_e32 v2, v18, v13
	v_sub_u32_e32 v6, v23, v2
	v_and_b32_e32 v7, 1, v29
	v_add_u32_e32 v6, 5, v6
	v_cmp_eq_u32_e32 vcc, 1, v7
	v_cndmask_b32_e32 v2, v6, v2, vcc
	v_lshlrev_b32_e32 v2, 2, v2
	ds_write_b32 v2, v3
	v_sub_u32_e32 v2, v17, v13
	v_sub_u32_e32 v3, v23, v2
	v_and_b32_sdwa v6, v21, v25 dst_sel:DWORD dst_unused:UNUSED_PAD src0_sel:DWORD src1_sel:WORD_1
	v_add_u32_e32 v3, 6, v3
	v_cmp_eq_u32_e32 vcc, 1, v6
	v_cndmask_b32_e32 v2, v3, v2, vcc
	v_lshlrev_b32_e32 v2, 2, v2
	ds_write_b32 v2, v4
	v_sub_u32_e32 v2, v16, v13
	v_sub_u32_e32 v3, v23, v2
	v_and_b32_e32 v4, 1, v27
	v_add_u32_e32 v3, 7, v3
	v_cmp_eq_u32_e32 vcc, 1, v4
	v_cndmask_b32_e32 v2, v3, v2, vcc
	v_lshlrev_b32_e32 v2, 2, v2
	ds_write_b32 v2, v5
	v_sub_u32_e32 v2, v15, v13
	v_sub_u32_e32 v3, v23, v2
	v_and_b32_e32 v4, 1, v24
	;; [unrolled: 8-line block ×3, first 2 shown]
	v_add_u32_e32 v3, 9, v3
	v_cmp_eq_u32_e32 vcc, 1, v4
	v_cndmask_b32_e32 v2, v3, v2, vcc
	v_lshlrev_b32_e32 v2, 2, v2
	ds_write_b32 v2, v11
	v_mov_b32_e32 v2, s31
	v_add_co_u32_e32 v28, vcc, s30, v13
	v_addc_co_u32_e32 v29, vcc, 0, v2, vcc
	s_load_dwordx4 s[4:7], s[4:5], 0x28
	v_add_co_u32_e32 v2, vcc, v28, v12
	v_addc_co_u32_e32 v3, vcc, 0, v29, vcc
	v_mov_b32_e32 v13, s23
	v_sub_co_u32_e32 v18, vcc, s22, v2
	v_subb_co_u32_e32 v19, vcc, v13, v3, vcc
	v_lshlrev_b64 v[18:19], 2, v[18:19]
	s_waitcnt lgkmcnt(0)
	v_mov_b32_e32 v13, s7
	v_add_co_u32_e32 v18, vcc, s6, v18
	s_barrier
	ds_read2st64_b32 v[14:15], v1 offset1:4
	ds_read2st64_b32 v[10:11], v1 offset0:8 offset1:12
	ds_read2st64_b32 v[8:9], v1 offset0:16 offset1:20
	;; [unrolled: 1-line block ×4, first 2 shown]
	v_addc_co_u32_e32 v19, vcc, v13, v19, vcc
	v_mov_b32_e32 v20, s29
	v_add_co_u32_e32 v13, vcc, s28, v18
	v_addc_co_u32_e32 v18, vcc, v19, v20, vcc
	v_lshlrev_b64 v[28:29], 2, v[28:29]
	v_mov_b32_e32 v20, s5
	s_and_b64 vcc, exec, s[0:1]
	v_add_co_u32_e64 v19, s[0:1], s4, v28
	v_or_b32_e32 v27, 0x100, v0
	v_or_b32_e32 v26, 0x200, v0
	;; [unrolled: 1-line block ×9, first 2 shown]
	v_addc_co_u32_e64 v20, s[0:1], v20, v29, s[0:1]
	s_cbranch_vccnz .LBB323_67
; %bb.66:
	v_cmp_gt_u32_e32 vcc, v12, v0
	v_cndmask_b32_e32 v28, v13, v19, vcc
	v_cndmask_b32_e32 v29, v18, v20, vcc
	v_add_co_u32_e32 v28, vcc, v28, v1
	v_addc_co_u32_e32 v29, vcc, 0, v29, vcc
	v_cmp_lt_u32_e32 vcc, v27, v12
	s_waitcnt lgkmcnt(4)
	global_store_dword v[28:29], v14, off
	v_cndmask_b32_e32 v28, v13, v19, vcc
	v_cndmask_b32_e32 v29, v18, v20, vcc
	v_add_co_u32_e32 v28, vcc, v28, v1
	v_addc_co_u32_e32 v29, vcc, 0, v29, vcc
	v_cmp_lt_u32_e32 vcc, v26, v12
	global_store_dword v[28:29], v15, off offset:1024
	v_cndmask_b32_e32 v28, v13, v19, vcc
	v_cndmask_b32_e32 v29, v18, v20, vcc
	v_add_co_u32_e32 v28, vcc, v28, v1
	v_addc_co_u32_e32 v29, vcc, 0, v29, vcc
	v_cmp_lt_u32_e32 vcc, v25, v12
	s_waitcnt lgkmcnt(3)
	global_store_dword v[28:29], v10, off offset:2048
	v_cndmask_b32_e32 v28, v13, v19, vcc
	v_cndmask_b32_e32 v29, v18, v20, vcc
	v_add_co_u32_e32 v28, vcc, v28, v1
	v_addc_co_u32_e32 v29, vcc, 0, v29, vcc
	v_cmp_lt_u32_e32 vcc, v24, v12
	global_store_dword v[28:29], v11, off offset:3072
	v_cndmask_b32_e32 v28, v13, v19, vcc
	v_lshlrev_b32_e32 v30, 2, v24
	v_cndmask_b32_e32 v29, v18, v20, vcc
	v_add_co_u32_e32 v28, vcc, v28, v30
	v_addc_co_u32_e32 v29, vcc, 0, v29, vcc
	v_cmp_lt_u32_e32 vcc, v23, v12
	s_waitcnt lgkmcnt(2)
	global_store_dword v[28:29], v8, off
	v_cndmask_b32_e32 v28, v13, v19, vcc
	v_lshlrev_b32_e32 v30, 2, v23
	v_cndmask_b32_e32 v29, v18, v20, vcc
	v_add_co_u32_e32 v28, vcc, v28, v30
	v_addc_co_u32_e32 v29, vcc, 0, v29, vcc
	v_cmp_lt_u32_e32 vcc, v22, v12
	global_store_dword v[28:29], v9, off
	v_cndmask_b32_e32 v28, v13, v19, vcc
	v_lshlrev_b32_e32 v30, 2, v22
	v_cndmask_b32_e32 v29, v18, v20, vcc
	v_add_co_u32_e32 v28, vcc, v28, v30
	v_addc_co_u32_e32 v29, vcc, 0, v29, vcc
	v_cmp_lt_u32_e32 vcc, v21, v12
	s_waitcnt lgkmcnt(1)
	global_store_dword v[28:29], v6, off
	v_cndmask_b32_e32 v28, v13, v19, vcc
	v_lshlrev_b32_e32 v30, 2, v21
	v_cndmask_b32_e32 v29, v18, v20, vcc
	v_add_co_u32_e32 v28, vcc, v28, v30
	v_addc_co_u32_e32 v29, vcc, 0, v29, vcc
	v_cmp_lt_u32_e32 vcc, v17, v12
	global_store_dword v[28:29], v7, off
	v_cndmask_b32_e32 v28, v13, v19, vcc
	v_lshlrev_b32_e32 v30, 2, v17
	v_cndmask_b32_e32 v29, v18, v20, vcc
	v_add_co_u32_e32 v28, vcc, v28, v30
	v_addc_co_u32_e32 v29, vcc, 0, v29, vcc
	s_mov_b64 s[0:1], -1
	s_waitcnt lgkmcnt(0)
	global_store_dword v[28:29], v4, off
	s_cbranch_execz .LBB323_68
	s_branch .LBB323_79
.LBB323_67:
	s_mov_b64 s[0:1], 0
.LBB323_68:
	v_cmp_gt_u32_e32 vcc, s33, v0
	s_and_saveexec_b64 s[0:1], vcc
	s_cbranch_execnz .LBB323_84
; %bb.69:
	s_or_b64 exec, exec, s[0:1]
	v_cmp_gt_u32_e32 vcc, s33, v27
	s_and_saveexec_b64 s[0:1], vcc
	s_cbranch_execnz .LBB323_85
.LBB323_70:
	s_or_b64 exec, exec, s[0:1]
	v_cmp_gt_u32_e32 vcc, s33, v26
	s_and_saveexec_b64 s[0:1], vcc
	s_cbranch_execnz .LBB323_86
.LBB323_71:
	s_or_b64 exec, exec, s[0:1]
	v_cmp_gt_u32_e32 vcc, s33, v25
	s_and_saveexec_b64 s[0:1], vcc
	s_cbranch_execnz .LBB323_87
.LBB323_72:
	s_or_b64 exec, exec, s[0:1]
	v_cmp_gt_u32_e32 vcc, s33, v24
	s_and_saveexec_b64 s[0:1], vcc
	s_cbranch_execnz .LBB323_88
.LBB323_73:
	s_or_b64 exec, exec, s[0:1]
	v_cmp_gt_u32_e32 vcc, s33, v23
	s_and_saveexec_b64 s[0:1], vcc
	s_cbranch_execnz .LBB323_89
.LBB323_74:
	s_or_b64 exec, exec, s[0:1]
	v_cmp_gt_u32_e32 vcc, s33, v22
	s_and_saveexec_b64 s[0:1], vcc
	s_cbranch_execnz .LBB323_90
.LBB323_75:
	s_or_b64 exec, exec, s[0:1]
	v_cmp_gt_u32_e32 vcc, s33, v21
	s_and_saveexec_b64 s[0:1], vcc
	s_cbranch_execnz .LBB323_91
.LBB323_76:
	s_or_b64 exec, exec, s[0:1]
	v_cmp_gt_u32_e32 vcc, s33, v17
	s_and_saveexec_b64 s[0:1], vcc
	s_cbranch_execz .LBB323_78
.LBB323_77:
	v_cmp_lt_u32_e32 vcc, v17, v12
	s_waitcnt lgkmcnt(1)
	v_cndmask_b32_e32 v6, v13, v19, vcc
	v_lshlrev_b32_e32 v7, 2, v17
	v_cndmask_b32_e32 v1, v18, v20, vcc
	v_add_co_u32_e32 v6, vcc, v6, v7
	v_addc_co_u32_e32 v7, vcc, 0, v1, vcc
	s_waitcnt lgkmcnt(0)
	global_store_dword v[6:7], v4, off
.LBB323_78:
	s_or_b64 exec, exec, s[0:1]
	v_cmp_gt_u32_e64 s[0:1], s33, v16
.LBB323_79:
	s_and_saveexec_b64 s[2:3], s[0:1]
	s_cbranch_execz .LBB323_81
; %bb.80:
	v_cmp_lt_u32_e32 vcc, v16, v12
	s_waitcnt lgkmcnt(0)
	v_cndmask_b32_e32 v4, v13, v19, vcc
	v_lshlrev_b32_e32 v6, 2, v16
	v_cndmask_b32_e32 v1, v18, v20, vcc
	v_add_co_u32_e32 v6, vcc, v4, v6
	v_addc_co_u32_e32 v7, vcc, 0, v1, vcc
	global_store_dword v[6:7], v5, off
.LBB323_81:
	s_or_b64 exec, exec, s[2:3]
	v_cmp_eq_u32_e32 vcc, 0, v0
	s_and_b64 s[0:1], vcc, s[26:27]
	s_and_saveexec_b64 s[2:3], s[0:1]
	s_cbranch_execz .LBB323_83
; %bb.82:
	v_mov_b32_e32 v0, 0
	global_store_dwordx2 v0, v[2:3], s[24:25]
.LBB323_83:
	s_endpgm
.LBB323_84:
	v_cmp_gt_u32_e32 vcc, v12, v0
	v_cndmask_b32_e32 v28, v13, v19, vcc
	v_cndmask_b32_e32 v29, v18, v20, vcc
	v_add_co_u32_e32 v28, vcc, v28, v1
	v_addc_co_u32_e32 v29, vcc, 0, v29, vcc
	s_waitcnt lgkmcnt(4)
	global_store_dword v[28:29], v14, off
	s_or_b64 exec, exec, s[0:1]
	v_cmp_gt_u32_e32 vcc, s33, v27
	s_and_saveexec_b64 s[0:1], vcc
	s_cbranch_execz .LBB323_70
.LBB323_85:
	v_cmp_lt_u32_e32 vcc, v27, v12
	v_cndmask_b32_e32 v27, v13, v19, vcc
	s_waitcnt lgkmcnt(4)
	v_cndmask_b32_e32 v14, v18, v20, vcc
	v_add_co_u32_e32 v28, vcc, v27, v1
	v_addc_co_u32_e32 v29, vcc, 0, v14, vcc
	global_store_dword v[28:29], v15, off offset:1024
	s_or_b64 exec, exec, s[0:1]
	v_cmp_gt_u32_e32 vcc, s33, v26
	s_and_saveexec_b64 s[0:1], vcc
	s_cbranch_execz .LBB323_71
.LBB323_86:
	v_cmp_lt_u32_e32 vcc, v26, v12
	s_waitcnt lgkmcnt(4)
	v_cndmask_b32_e32 v14, v13, v19, vcc
	v_cndmask_b32_e32 v15, v18, v20, vcc
	v_add_co_u32_e32 v14, vcc, v14, v1
	v_addc_co_u32_e32 v15, vcc, 0, v15, vcc
	s_waitcnt lgkmcnt(3)
	global_store_dword v[14:15], v10, off offset:2048
	s_or_b64 exec, exec, s[0:1]
	v_cmp_gt_u32_e32 vcc, s33, v25
	s_and_saveexec_b64 s[0:1], vcc
	s_cbranch_execz .LBB323_72
.LBB323_87:
	v_cmp_lt_u32_e32 vcc, v25, v12
	s_waitcnt lgkmcnt(4)
	v_cndmask_b32_e32 v14, v13, v19, vcc
	s_waitcnt lgkmcnt(3)
	v_cndmask_b32_e32 v10, v18, v20, vcc
	v_add_co_u32_e32 v14, vcc, v14, v1
	v_addc_co_u32_e32 v15, vcc, 0, v10, vcc
	global_store_dword v[14:15], v11, off offset:3072
	s_or_b64 exec, exec, s[0:1]
	v_cmp_gt_u32_e32 vcc, s33, v24
	s_and_saveexec_b64 s[0:1], vcc
	s_cbranch_execz .LBB323_73
.LBB323_88:
	v_cmp_lt_u32_e32 vcc, v24, v12
	s_waitcnt lgkmcnt(3)
	v_cndmask_b32_e32 v10, v13, v19, vcc
	v_lshlrev_b32_e32 v11, 2, v24
	v_cndmask_b32_e32 v1, v18, v20, vcc
	v_add_co_u32_e32 v10, vcc, v10, v11
	v_addc_co_u32_e32 v11, vcc, 0, v1, vcc
	s_waitcnt lgkmcnt(2)
	global_store_dword v[10:11], v8, off
	s_or_b64 exec, exec, s[0:1]
	v_cmp_gt_u32_e32 vcc, s33, v23
	s_and_saveexec_b64 s[0:1], vcc
	s_cbranch_execz .LBB323_74
.LBB323_89:
	v_cmp_lt_u32_e32 vcc, v23, v12
	s_waitcnt lgkmcnt(2)
	v_cndmask_b32_e32 v8, v13, v19, vcc
	v_lshlrev_b32_e32 v10, 2, v23
	v_cndmask_b32_e32 v1, v18, v20, vcc
	v_add_co_u32_e32 v10, vcc, v8, v10
	v_addc_co_u32_e32 v11, vcc, 0, v1, vcc
	global_store_dword v[10:11], v9, off
	s_or_b64 exec, exec, s[0:1]
	v_cmp_gt_u32_e32 vcc, s33, v22
	s_and_saveexec_b64 s[0:1], vcc
	s_cbranch_execz .LBB323_75
.LBB323_90:
	v_cmp_lt_u32_e32 vcc, v22, v12
	s_waitcnt lgkmcnt(2)
	v_cndmask_b32_e32 v8, v13, v19, vcc
	v_lshlrev_b32_e32 v9, 2, v22
	v_cndmask_b32_e32 v1, v18, v20, vcc
	v_add_co_u32_e32 v8, vcc, v8, v9
	v_addc_co_u32_e32 v9, vcc, 0, v1, vcc
	s_waitcnt lgkmcnt(1)
	global_store_dword v[8:9], v6, off
	s_or_b64 exec, exec, s[0:1]
	v_cmp_gt_u32_e32 vcc, s33, v21
	s_and_saveexec_b64 s[0:1], vcc
	s_cbranch_execz .LBB323_76
.LBB323_91:
	v_cmp_lt_u32_e32 vcc, v21, v12
	s_waitcnt lgkmcnt(1)
	v_cndmask_b32_e32 v6, v13, v19, vcc
	v_lshlrev_b32_e32 v8, 2, v21
	v_cndmask_b32_e32 v1, v18, v20, vcc
	v_add_co_u32_e32 v8, vcc, v6, v8
	v_addc_co_u32_e32 v9, vcc, 0, v1, vcc
	global_store_dword v[8:9], v7, off
	s_or_b64 exec, exec, s[0:1]
	v_cmp_gt_u32_e32 vcc, s33, v17
	s_and_saveexec_b64 s[0:1], vcc
	s_cbranch_execnz .LBB323_77
	s_branch .LBB323_78
	.section	.rodata,"a",@progbits
	.p2align	6, 0x0
	.amdhsa_kernel _ZN7rocprim17ROCPRIM_400000_NS6detail17trampoline_kernelINS0_14default_configENS1_25partition_config_selectorILNS1_17partition_subalgoE0EiNS0_10empty_typeEbEEZZNS1_14partition_implILS5_0ELb0ES3_jN6thrust23THRUST_200600_302600_NS6detail15normal_iteratorINSA_10device_ptrIiEEEEPS6_SG_NS0_5tupleIJSF_SF_EEENSH_IJSG_SG_EEES6_PlJ7is_evenIiEEEE10hipError_tPvRmT3_T4_T5_T6_T7_T9_mT8_P12ihipStream_tbDpT10_ENKUlT_T0_E_clISt17integral_constantIbLb0EES16_EEDaS11_S12_EUlS11_E_NS1_11comp_targetILNS1_3genE4ELNS1_11target_archE910ELNS1_3gpuE8ELNS1_3repE0EEENS1_30default_config_static_selectorELNS0_4arch9wavefront6targetE1EEEvT1_
		.amdhsa_group_segment_fixed_size 10248
		.amdhsa_private_segment_fixed_size 0
		.amdhsa_kernarg_size 120
		.amdhsa_user_sgpr_count 6
		.amdhsa_user_sgpr_private_segment_buffer 1
		.amdhsa_user_sgpr_dispatch_ptr 0
		.amdhsa_user_sgpr_queue_ptr 0
		.amdhsa_user_sgpr_kernarg_segment_ptr 1
		.amdhsa_user_sgpr_dispatch_id 0
		.amdhsa_user_sgpr_flat_scratch_init 0
		.amdhsa_user_sgpr_kernarg_preload_length 0
		.amdhsa_user_sgpr_kernarg_preload_offset 0
		.amdhsa_user_sgpr_private_segment_size 0
		.amdhsa_uses_dynamic_stack 0
		.amdhsa_system_sgpr_private_segment_wavefront_offset 0
		.amdhsa_system_sgpr_workgroup_id_x 1
		.amdhsa_system_sgpr_workgroup_id_y 0
		.amdhsa_system_sgpr_workgroup_id_z 0
		.amdhsa_system_sgpr_workgroup_info 0
		.amdhsa_system_vgpr_workitem_id 0
		.amdhsa_next_free_vgpr 54
		.amdhsa_next_free_sgpr 44
		.amdhsa_accum_offset 56
		.amdhsa_reserve_vcc 1
		.amdhsa_reserve_flat_scratch 0
		.amdhsa_float_round_mode_32 0
		.amdhsa_float_round_mode_16_64 0
		.amdhsa_float_denorm_mode_32 3
		.amdhsa_float_denorm_mode_16_64 3
		.amdhsa_dx10_clamp 1
		.amdhsa_ieee_mode 1
		.amdhsa_fp16_overflow 0
		.amdhsa_tg_split 0
		.amdhsa_exception_fp_ieee_invalid_op 0
		.amdhsa_exception_fp_denorm_src 0
		.amdhsa_exception_fp_ieee_div_zero 0
		.amdhsa_exception_fp_ieee_overflow 0
		.amdhsa_exception_fp_ieee_underflow 0
		.amdhsa_exception_fp_ieee_inexact 0
		.amdhsa_exception_int_div_zero 0
	.end_amdhsa_kernel
	.section	.text._ZN7rocprim17ROCPRIM_400000_NS6detail17trampoline_kernelINS0_14default_configENS1_25partition_config_selectorILNS1_17partition_subalgoE0EiNS0_10empty_typeEbEEZZNS1_14partition_implILS5_0ELb0ES3_jN6thrust23THRUST_200600_302600_NS6detail15normal_iteratorINSA_10device_ptrIiEEEEPS6_SG_NS0_5tupleIJSF_SF_EEENSH_IJSG_SG_EEES6_PlJ7is_evenIiEEEE10hipError_tPvRmT3_T4_T5_T6_T7_T9_mT8_P12ihipStream_tbDpT10_ENKUlT_T0_E_clISt17integral_constantIbLb0EES16_EEDaS11_S12_EUlS11_E_NS1_11comp_targetILNS1_3genE4ELNS1_11target_archE910ELNS1_3gpuE8ELNS1_3repE0EEENS1_30default_config_static_selectorELNS0_4arch9wavefront6targetE1EEEvT1_,"axG",@progbits,_ZN7rocprim17ROCPRIM_400000_NS6detail17trampoline_kernelINS0_14default_configENS1_25partition_config_selectorILNS1_17partition_subalgoE0EiNS0_10empty_typeEbEEZZNS1_14partition_implILS5_0ELb0ES3_jN6thrust23THRUST_200600_302600_NS6detail15normal_iteratorINSA_10device_ptrIiEEEEPS6_SG_NS0_5tupleIJSF_SF_EEENSH_IJSG_SG_EEES6_PlJ7is_evenIiEEEE10hipError_tPvRmT3_T4_T5_T6_T7_T9_mT8_P12ihipStream_tbDpT10_ENKUlT_T0_E_clISt17integral_constantIbLb0EES16_EEDaS11_S12_EUlS11_E_NS1_11comp_targetILNS1_3genE4ELNS1_11target_archE910ELNS1_3gpuE8ELNS1_3repE0EEENS1_30default_config_static_selectorELNS0_4arch9wavefront6targetE1EEEvT1_,comdat
.Lfunc_end323:
	.size	_ZN7rocprim17ROCPRIM_400000_NS6detail17trampoline_kernelINS0_14default_configENS1_25partition_config_selectorILNS1_17partition_subalgoE0EiNS0_10empty_typeEbEEZZNS1_14partition_implILS5_0ELb0ES3_jN6thrust23THRUST_200600_302600_NS6detail15normal_iteratorINSA_10device_ptrIiEEEEPS6_SG_NS0_5tupleIJSF_SF_EEENSH_IJSG_SG_EEES6_PlJ7is_evenIiEEEE10hipError_tPvRmT3_T4_T5_T6_T7_T9_mT8_P12ihipStream_tbDpT10_ENKUlT_T0_E_clISt17integral_constantIbLb0EES16_EEDaS11_S12_EUlS11_E_NS1_11comp_targetILNS1_3genE4ELNS1_11target_archE910ELNS1_3gpuE8ELNS1_3repE0EEENS1_30default_config_static_selectorELNS0_4arch9wavefront6targetE1EEEvT1_, .Lfunc_end323-_ZN7rocprim17ROCPRIM_400000_NS6detail17trampoline_kernelINS0_14default_configENS1_25partition_config_selectorILNS1_17partition_subalgoE0EiNS0_10empty_typeEbEEZZNS1_14partition_implILS5_0ELb0ES3_jN6thrust23THRUST_200600_302600_NS6detail15normal_iteratorINSA_10device_ptrIiEEEEPS6_SG_NS0_5tupleIJSF_SF_EEENSH_IJSG_SG_EEES6_PlJ7is_evenIiEEEE10hipError_tPvRmT3_T4_T5_T6_T7_T9_mT8_P12ihipStream_tbDpT10_ENKUlT_T0_E_clISt17integral_constantIbLb0EES16_EEDaS11_S12_EUlS11_E_NS1_11comp_targetILNS1_3genE4ELNS1_11target_archE910ELNS1_3gpuE8ELNS1_3repE0EEENS1_30default_config_static_selectorELNS0_4arch9wavefront6targetE1EEEvT1_
                                        ; -- End function
	.section	.AMDGPU.csdata,"",@progbits
; Kernel info:
; codeLenInByte = 5048
; NumSgprs: 48
; NumVgprs: 54
; NumAgprs: 0
; TotalNumVgprs: 54
; ScratchSize: 0
; MemoryBound: 0
; FloatMode: 240
; IeeeMode: 1
; LDSByteSize: 10248 bytes/workgroup (compile time only)
; SGPRBlocks: 5
; VGPRBlocks: 6
; NumSGPRsForWavesPerEU: 48
; NumVGPRsForWavesPerEU: 54
; AccumOffset: 56
; Occupancy: 6
; WaveLimiterHint : 1
; COMPUTE_PGM_RSRC2:SCRATCH_EN: 0
; COMPUTE_PGM_RSRC2:USER_SGPR: 6
; COMPUTE_PGM_RSRC2:TRAP_HANDLER: 0
; COMPUTE_PGM_RSRC2:TGID_X_EN: 1
; COMPUTE_PGM_RSRC2:TGID_Y_EN: 0
; COMPUTE_PGM_RSRC2:TGID_Z_EN: 0
; COMPUTE_PGM_RSRC2:TIDIG_COMP_CNT: 0
; COMPUTE_PGM_RSRC3_GFX90A:ACCUM_OFFSET: 13
; COMPUTE_PGM_RSRC3_GFX90A:TG_SPLIT: 0
	.section	.text._ZN7rocprim17ROCPRIM_400000_NS6detail17trampoline_kernelINS0_14default_configENS1_25partition_config_selectorILNS1_17partition_subalgoE0EiNS0_10empty_typeEbEEZZNS1_14partition_implILS5_0ELb0ES3_jN6thrust23THRUST_200600_302600_NS6detail15normal_iteratorINSA_10device_ptrIiEEEEPS6_SG_NS0_5tupleIJSF_SF_EEENSH_IJSG_SG_EEES6_PlJ7is_evenIiEEEE10hipError_tPvRmT3_T4_T5_T6_T7_T9_mT8_P12ihipStream_tbDpT10_ENKUlT_T0_E_clISt17integral_constantIbLb0EES16_EEDaS11_S12_EUlS11_E_NS1_11comp_targetILNS1_3genE3ELNS1_11target_archE908ELNS1_3gpuE7ELNS1_3repE0EEENS1_30default_config_static_selectorELNS0_4arch9wavefront6targetE1EEEvT1_,"axG",@progbits,_ZN7rocprim17ROCPRIM_400000_NS6detail17trampoline_kernelINS0_14default_configENS1_25partition_config_selectorILNS1_17partition_subalgoE0EiNS0_10empty_typeEbEEZZNS1_14partition_implILS5_0ELb0ES3_jN6thrust23THRUST_200600_302600_NS6detail15normal_iteratorINSA_10device_ptrIiEEEEPS6_SG_NS0_5tupleIJSF_SF_EEENSH_IJSG_SG_EEES6_PlJ7is_evenIiEEEE10hipError_tPvRmT3_T4_T5_T6_T7_T9_mT8_P12ihipStream_tbDpT10_ENKUlT_T0_E_clISt17integral_constantIbLb0EES16_EEDaS11_S12_EUlS11_E_NS1_11comp_targetILNS1_3genE3ELNS1_11target_archE908ELNS1_3gpuE7ELNS1_3repE0EEENS1_30default_config_static_selectorELNS0_4arch9wavefront6targetE1EEEvT1_,comdat
	.protected	_ZN7rocprim17ROCPRIM_400000_NS6detail17trampoline_kernelINS0_14default_configENS1_25partition_config_selectorILNS1_17partition_subalgoE0EiNS0_10empty_typeEbEEZZNS1_14partition_implILS5_0ELb0ES3_jN6thrust23THRUST_200600_302600_NS6detail15normal_iteratorINSA_10device_ptrIiEEEEPS6_SG_NS0_5tupleIJSF_SF_EEENSH_IJSG_SG_EEES6_PlJ7is_evenIiEEEE10hipError_tPvRmT3_T4_T5_T6_T7_T9_mT8_P12ihipStream_tbDpT10_ENKUlT_T0_E_clISt17integral_constantIbLb0EES16_EEDaS11_S12_EUlS11_E_NS1_11comp_targetILNS1_3genE3ELNS1_11target_archE908ELNS1_3gpuE7ELNS1_3repE0EEENS1_30default_config_static_selectorELNS0_4arch9wavefront6targetE1EEEvT1_ ; -- Begin function _ZN7rocprim17ROCPRIM_400000_NS6detail17trampoline_kernelINS0_14default_configENS1_25partition_config_selectorILNS1_17partition_subalgoE0EiNS0_10empty_typeEbEEZZNS1_14partition_implILS5_0ELb0ES3_jN6thrust23THRUST_200600_302600_NS6detail15normal_iteratorINSA_10device_ptrIiEEEEPS6_SG_NS0_5tupleIJSF_SF_EEENSH_IJSG_SG_EEES6_PlJ7is_evenIiEEEE10hipError_tPvRmT3_T4_T5_T6_T7_T9_mT8_P12ihipStream_tbDpT10_ENKUlT_T0_E_clISt17integral_constantIbLb0EES16_EEDaS11_S12_EUlS11_E_NS1_11comp_targetILNS1_3genE3ELNS1_11target_archE908ELNS1_3gpuE7ELNS1_3repE0EEENS1_30default_config_static_selectorELNS0_4arch9wavefront6targetE1EEEvT1_
	.globl	_ZN7rocprim17ROCPRIM_400000_NS6detail17trampoline_kernelINS0_14default_configENS1_25partition_config_selectorILNS1_17partition_subalgoE0EiNS0_10empty_typeEbEEZZNS1_14partition_implILS5_0ELb0ES3_jN6thrust23THRUST_200600_302600_NS6detail15normal_iteratorINSA_10device_ptrIiEEEEPS6_SG_NS0_5tupleIJSF_SF_EEENSH_IJSG_SG_EEES6_PlJ7is_evenIiEEEE10hipError_tPvRmT3_T4_T5_T6_T7_T9_mT8_P12ihipStream_tbDpT10_ENKUlT_T0_E_clISt17integral_constantIbLb0EES16_EEDaS11_S12_EUlS11_E_NS1_11comp_targetILNS1_3genE3ELNS1_11target_archE908ELNS1_3gpuE7ELNS1_3repE0EEENS1_30default_config_static_selectorELNS0_4arch9wavefront6targetE1EEEvT1_
	.p2align	8
	.type	_ZN7rocprim17ROCPRIM_400000_NS6detail17trampoline_kernelINS0_14default_configENS1_25partition_config_selectorILNS1_17partition_subalgoE0EiNS0_10empty_typeEbEEZZNS1_14partition_implILS5_0ELb0ES3_jN6thrust23THRUST_200600_302600_NS6detail15normal_iteratorINSA_10device_ptrIiEEEEPS6_SG_NS0_5tupleIJSF_SF_EEENSH_IJSG_SG_EEES6_PlJ7is_evenIiEEEE10hipError_tPvRmT3_T4_T5_T6_T7_T9_mT8_P12ihipStream_tbDpT10_ENKUlT_T0_E_clISt17integral_constantIbLb0EES16_EEDaS11_S12_EUlS11_E_NS1_11comp_targetILNS1_3genE3ELNS1_11target_archE908ELNS1_3gpuE7ELNS1_3repE0EEENS1_30default_config_static_selectorELNS0_4arch9wavefront6targetE1EEEvT1_,@function
_ZN7rocprim17ROCPRIM_400000_NS6detail17trampoline_kernelINS0_14default_configENS1_25partition_config_selectorILNS1_17partition_subalgoE0EiNS0_10empty_typeEbEEZZNS1_14partition_implILS5_0ELb0ES3_jN6thrust23THRUST_200600_302600_NS6detail15normal_iteratorINSA_10device_ptrIiEEEEPS6_SG_NS0_5tupleIJSF_SF_EEENSH_IJSG_SG_EEES6_PlJ7is_evenIiEEEE10hipError_tPvRmT3_T4_T5_T6_T7_T9_mT8_P12ihipStream_tbDpT10_ENKUlT_T0_E_clISt17integral_constantIbLb0EES16_EEDaS11_S12_EUlS11_E_NS1_11comp_targetILNS1_3genE3ELNS1_11target_archE908ELNS1_3gpuE7ELNS1_3repE0EEENS1_30default_config_static_selectorELNS0_4arch9wavefront6targetE1EEEvT1_: ; @_ZN7rocprim17ROCPRIM_400000_NS6detail17trampoline_kernelINS0_14default_configENS1_25partition_config_selectorILNS1_17partition_subalgoE0EiNS0_10empty_typeEbEEZZNS1_14partition_implILS5_0ELb0ES3_jN6thrust23THRUST_200600_302600_NS6detail15normal_iteratorINSA_10device_ptrIiEEEEPS6_SG_NS0_5tupleIJSF_SF_EEENSH_IJSG_SG_EEES6_PlJ7is_evenIiEEEE10hipError_tPvRmT3_T4_T5_T6_T7_T9_mT8_P12ihipStream_tbDpT10_ENKUlT_T0_E_clISt17integral_constantIbLb0EES16_EEDaS11_S12_EUlS11_E_NS1_11comp_targetILNS1_3genE3ELNS1_11target_archE908ELNS1_3gpuE7ELNS1_3repE0EEENS1_30default_config_static_selectorELNS0_4arch9wavefront6targetE1EEEvT1_
; %bb.0:
	.section	.rodata,"a",@progbits
	.p2align	6, 0x0
	.amdhsa_kernel _ZN7rocprim17ROCPRIM_400000_NS6detail17trampoline_kernelINS0_14default_configENS1_25partition_config_selectorILNS1_17partition_subalgoE0EiNS0_10empty_typeEbEEZZNS1_14partition_implILS5_0ELb0ES3_jN6thrust23THRUST_200600_302600_NS6detail15normal_iteratorINSA_10device_ptrIiEEEEPS6_SG_NS0_5tupleIJSF_SF_EEENSH_IJSG_SG_EEES6_PlJ7is_evenIiEEEE10hipError_tPvRmT3_T4_T5_T6_T7_T9_mT8_P12ihipStream_tbDpT10_ENKUlT_T0_E_clISt17integral_constantIbLb0EES16_EEDaS11_S12_EUlS11_E_NS1_11comp_targetILNS1_3genE3ELNS1_11target_archE908ELNS1_3gpuE7ELNS1_3repE0EEENS1_30default_config_static_selectorELNS0_4arch9wavefront6targetE1EEEvT1_
		.amdhsa_group_segment_fixed_size 0
		.amdhsa_private_segment_fixed_size 0
		.amdhsa_kernarg_size 120
		.amdhsa_user_sgpr_count 6
		.amdhsa_user_sgpr_private_segment_buffer 1
		.amdhsa_user_sgpr_dispatch_ptr 0
		.amdhsa_user_sgpr_queue_ptr 0
		.amdhsa_user_sgpr_kernarg_segment_ptr 1
		.amdhsa_user_sgpr_dispatch_id 0
		.amdhsa_user_sgpr_flat_scratch_init 0
		.amdhsa_user_sgpr_kernarg_preload_length 0
		.amdhsa_user_sgpr_kernarg_preload_offset 0
		.amdhsa_user_sgpr_private_segment_size 0
		.amdhsa_uses_dynamic_stack 0
		.amdhsa_system_sgpr_private_segment_wavefront_offset 0
		.amdhsa_system_sgpr_workgroup_id_x 1
		.amdhsa_system_sgpr_workgroup_id_y 0
		.amdhsa_system_sgpr_workgroup_id_z 0
		.amdhsa_system_sgpr_workgroup_info 0
		.amdhsa_system_vgpr_workitem_id 0
		.amdhsa_next_free_vgpr 1
		.amdhsa_next_free_sgpr 0
		.amdhsa_accum_offset 4
		.amdhsa_reserve_vcc 0
		.amdhsa_reserve_flat_scratch 0
		.amdhsa_float_round_mode_32 0
		.amdhsa_float_round_mode_16_64 0
		.amdhsa_float_denorm_mode_32 3
		.amdhsa_float_denorm_mode_16_64 3
		.amdhsa_dx10_clamp 1
		.amdhsa_ieee_mode 1
		.amdhsa_fp16_overflow 0
		.amdhsa_tg_split 0
		.amdhsa_exception_fp_ieee_invalid_op 0
		.amdhsa_exception_fp_denorm_src 0
		.amdhsa_exception_fp_ieee_div_zero 0
		.amdhsa_exception_fp_ieee_overflow 0
		.amdhsa_exception_fp_ieee_underflow 0
		.amdhsa_exception_fp_ieee_inexact 0
		.amdhsa_exception_int_div_zero 0
	.end_amdhsa_kernel
	.section	.text._ZN7rocprim17ROCPRIM_400000_NS6detail17trampoline_kernelINS0_14default_configENS1_25partition_config_selectorILNS1_17partition_subalgoE0EiNS0_10empty_typeEbEEZZNS1_14partition_implILS5_0ELb0ES3_jN6thrust23THRUST_200600_302600_NS6detail15normal_iteratorINSA_10device_ptrIiEEEEPS6_SG_NS0_5tupleIJSF_SF_EEENSH_IJSG_SG_EEES6_PlJ7is_evenIiEEEE10hipError_tPvRmT3_T4_T5_T6_T7_T9_mT8_P12ihipStream_tbDpT10_ENKUlT_T0_E_clISt17integral_constantIbLb0EES16_EEDaS11_S12_EUlS11_E_NS1_11comp_targetILNS1_3genE3ELNS1_11target_archE908ELNS1_3gpuE7ELNS1_3repE0EEENS1_30default_config_static_selectorELNS0_4arch9wavefront6targetE1EEEvT1_,"axG",@progbits,_ZN7rocprim17ROCPRIM_400000_NS6detail17trampoline_kernelINS0_14default_configENS1_25partition_config_selectorILNS1_17partition_subalgoE0EiNS0_10empty_typeEbEEZZNS1_14partition_implILS5_0ELb0ES3_jN6thrust23THRUST_200600_302600_NS6detail15normal_iteratorINSA_10device_ptrIiEEEEPS6_SG_NS0_5tupleIJSF_SF_EEENSH_IJSG_SG_EEES6_PlJ7is_evenIiEEEE10hipError_tPvRmT3_T4_T5_T6_T7_T9_mT8_P12ihipStream_tbDpT10_ENKUlT_T0_E_clISt17integral_constantIbLb0EES16_EEDaS11_S12_EUlS11_E_NS1_11comp_targetILNS1_3genE3ELNS1_11target_archE908ELNS1_3gpuE7ELNS1_3repE0EEENS1_30default_config_static_selectorELNS0_4arch9wavefront6targetE1EEEvT1_,comdat
.Lfunc_end324:
	.size	_ZN7rocprim17ROCPRIM_400000_NS6detail17trampoline_kernelINS0_14default_configENS1_25partition_config_selectorILNS1_17partition_subalgoE0EiNS0_10empty_typeEbEEZZNS1_14partition_implILS5_0ELb0ES3_jN6thrust23THRUST_200600_302600_NS6detail15normal_iteratorINSA_10device_ptrIiEEEEPS6_SG_NS0_5tupleIJSF_SF_EEENSH_IJSG_SG_EEES6_PlJ7is_evenIiEEEE10hipError_tPvRmT3_T4_T5_T6_T7_T9_mT8_P12ihipStream_tbDpT10_ENKUlT_T0_E_clISt17integral_constantIbLb0EES16_EEDaS11_S12_EUlS11_E_NS1_11comp_targetILNS1_3genE3ELNS1_11target_archE908ELNS1_3gpuE7ELNS1_3repE0EEENS1_30default_config_static_selectorELNS0_4arch9wavefront6targetE1EEEvT1_, .Lfunc_end324-_ZN7rocprim17ROCPRIM_400000_NS6detail17trampoline_kernelINS0_14default_configENS1_25partition_config_selectorILNS1_17partition_subalgoE0EiNS0_10empty_typeEbEEZZNS1_14partition_implILS5_0ELb0ES3_jN6thrust23THRUST_200600_302600_NS6detail15normal_iteratorINSA_10device_ptrIiEEEEPS6_SG_NS0_5tupleIJSF_SF_EEENSH_IJSG_SG_EEES6_PlJ7is_evenIiEEEE10hipError_tPvRmT3_T4_T5_T6_T7_T9_mT8_P12ihipStream_tbDpT10_ENKUlT_T0_E_clISt17integral_constantIbLb0EES16_EEDaS11_S12_EUlS11_E_NS1_11comp_targetILNS1_3genE3ELNS1_11target_archE908ELNS1_3gpuE7ELNS1_3repE0EEENS1_30default_config_static_selectorELNS0_4arch9wavefront6targetE1EEEvT1_
                                        ; -- End function
	.section	.AMDGPU.csdata,"",@progbits
; Kernel info:
; codeLenInByte = 0
; NumSgprs: 4
; NumVgprs: 0
; NumAgprs: 0
; TotalNumVgprs: 0
; ScratchSize: 0
; MemoryBound: 0
; FloatMode: 240
; IeeeMode: 1
; LDSByteSize: 0 bytes/workgroup (compile time only)
; SGPRBlocks: 0
; VGPRBlocks: 0
; NumSGPRsForWavesPerEU: 4
; NumVGPRsForWavesPerEU: 1
; AccumOffset: 4
; Occupancy: 8
; WaveLimiterHint : 0
; COMPUTE_PGM_RSRC2:SCRATCH_EN: 0
; COMPUTE_PGM_RSRC2:USER_SGPR: 6
; COMPUTE_PGM_RSRC2:TRAP_HANDLER: 0
; COMPUTE_PGM_RSRC2:TGID_X_EN: 1
; COMPUTE_PGM_RSRC2:TGID_Y_EN: 0
; COMPUTE_PGM_RSRC2:TGID_Z_EN: 0
; COMPUTE_PGM_RSRC2:TIDIG_COMP_CNT: 0
; COMPUTE_PGM_RSRC3_GFX90A:ACCUM_OFFSET: 0
; COMPUTE_PGM_RSRC3_GFX90A:TG_SPLIT: 0
	.section	.text._ZN7rocprim17ROCPRIM_400000_NS6detail17trampoline_kernelINS0_14default_configENS1_25partition_config_selectorILNS1_17partition_subalgoE0EiNS0_10empty_typeEbEEZZNS1_14partition_implILS5_0ELb0ES3_jN6thrust23THRUST_200600_302600_NS6detail15normal_iteratorINSA_10device_ptrIiEEEEPS6_SG_NS0_5tupleIJSF_SF_EEENSH_IJSG_SG_EEES6_PlJ7is_evenIiEEEE10hipError_tPvRmT3_T4_T5_T6_T7_T9_mT8_P12ihipStream_tbDpT10_ENKUlT_T0_E_clISt17integral_constantIbLb0EES16_EEDaS11_S12_EUlS11_E_NS1_11comp_targetILNS1_3genE2ELNS1_11target_archE906ELNS1_3gpuE6ELNS1_3repE0EEENS1_30default_config_static_selectorELNS0_4arch9wavefront6targetE1EEEvT1_,"axG",@progbits,_ZN7rocprim17ROCPRIM_400000_NS6detail17trampoline_kernelINS0_14default_configENS1_25partition_config_selectorILNS1_17partition_subalgoE0EiNS0_10empty_typeEbEEZZNS1_14partition_implILS5_0ELb0ES3_jN6thrust23THRUST_200600_302600_NS6detail15normal_iteratorINSA_10device_ptrIiEEEEPS6_SG_NS0_5tupleIJSF_SF_EEENSH_IJSG_SG_EEES6_PlJ7is_evenIiEEEE10hipError_tPvRmT3_T4_T5_T6_T7_T9_mT8_P12ihipStream_tbDpT10_ENKUlT_T0_E_clISt17integral_constantIbLb0EES16_EEDaS11_S12_EUlS11_E_NS1_11comp_targetILNS1_3genE2ELNS1_11target_archE906ELNS1_3gpuE6ELNS1_3repE0EEENS1_30default_config_static_selectorELNS0_4arch9wavefront6targetE1EEEvT1_,comdat
	.protected	_ZN7rocprim17ROCPRIM_400000_NS6detail17trampoline_kernelINS0_14default_configENS1_25partition_config_selectorILNS1_17partition_subalgoE0EiNS0_10empty_typeEbEEZZNS1_14partition_implILS5_0ELb0ES3_jN6thrust23THRUST_200600_302600_NS6detail15normal_iteratorINSA_10device_ptrIiEEEEPS6_SG_NS0_5tupleIJSF_SF_EEENSH_IJSG_SG_EEES6_PlJ7is_evenIiEEEE10hipError_tPvRmT3_T4_T5_T6_T7_T9_mT8_P12ihipStream_tbDpT10_ENKUlT_T0_E_clISt17integral_constantIbLb0EES16_EEDaS11_S12_EUlS11_E_NS1_11comp_targetILNS1_3genE2ELNS1_11target_archE906ELNS1_3gpuE6ELNS1_3repE0EEENS1_30default_config_static_selectorELNS0_4arch9wavefront6targetE1EEEvT1_ ; -- Begin function _ZN7rocprim17ROCPRIM_400000_NS6detail17trampoline_kernelINS0_14default_configENS1_25partition_config_selectorILNS1_17partition_subalgoE0EiNS0_10empty_typeEbEEZZNS1_14partition_implILS5_0ELb0ES3_jN6thrust23THRUST_200600_302600_NS6detail15normal_iteratorINSA_10device_ptrIiEEEEPS6_SG_NS0_5tupleIJSF_SF_EEENSH_IJSG_SG_EEES6_PlJ7is_evenIiEEEE10hipError_tPvRmT3_T4_T5_T6_T7_T9_mT8_P12ihipStream_tbDpT10_ENKUlT_T0_E_clISt17integral_constantIbLb0EES16_EEDaS11_S12_EUlS11_E_NS1_11comp_targetILNS1_3genE2ELNS1_11target_archE906ELNS1_3gpuE6ELNS1_3repE0EEENS1_30default_config_static_selectorELNS0_4arch9wavefront6targetE1EEEvT1_
	.globl	_ZN7rocprim17ROCPRIM_400000_NS6detail17trampoline_kernelINS0_14default_configENS1_25partition_config_selectorILNS1_17partition_subalgoE0EiNS0_10empty_typeEbEEZZNS1_14partition_implILS5_0ELb0ES3_jN6thrust23THRUST_200600_302600_NS6detail15normal_iteratorINSA_10device_ptrIiEEEEPS6_SG_NS0_5tupleIJSF_SF_EEENSH_IJSG_SG_EEES6_PlJ7is_evenIiEEEE10hipError_tPvRmT3_T4_T5_T6_T7_T9_mT8_P12ihipStream_tbDpT10_ENKUlT_T0_E_clISt17integral_constantIbLb0EES16_EEDaS11_S12_EUlS11_E_NS1_11comp_targetILNS1_3genE2ELNS1_11target_archE906ELNS1_3gpuE6ELNS1_3repE0EEENS1_30default_config_static_selectorELNS0_4arch9wavefront6targetE1EEEvT1_
	.p2align	8
	.type	_ZN7rocprim17ROCPRIM_400000_NS6detail17trampoline_kernelINS0_14default_configENS1_25partition_config_selectorILNS1_17partition_subalgoE0EiNS0_10empty_typeEbEEZZNS1_14partition_implILS5_0ELb0ES3_jN6thrust23THRUST_200600_302600_NS6detail15normal_iteratorINSA_10device_ptrIiEEEEPS6_SG_NS0_5tupleIJSF_SF_EEENSH_IJSG_SG_EEES6_PlJ7is_evenIiEEEE10hipError_tPvRmT3_T4_T5_T6_T7_T9_mT8_P12ihipStream_tbDpT10_ENKUlT_T0_E_clISt17integral_constantIbLb0EES16_EEDaS11_S12_EUlS11_E_NS1_11comp_targetILNS1_3genE2ELNS1_11target_archE906ELNS1_3gpuE6ELNS1_3repE0EEENS1_30default_config_static_selectorELNS0_4arch9wavefront6targetE1EEEvT1_,@function
_ZN7rocprim17ROCPRIM_400000_NS6detail17trampoline_kernelINS0_14default_configENS1_25partition_config_selectorILNS1_17partition_subalgoE0EiNS0_10empty_typeEbEEZZNS1_14partition_implILS5_0ELb0ES3_jN6thrust23THRUST_200600_302600_NS6detail15normal_iteratorINSA_10device_ptrIiEEEEPS6_SG_NS0_5tupleIJSF_SF_EEENSH_IJSG_SG_EEES6_PlJ7is_evenIiEEEE10hipError_tPvRmT3_T4_T5_T6_T7_T9_mT8_P12ihipStream_tbDpT10_ENKUlT_T0_E_clISt17integral_constantIbLb0EES16_EEDaS11_S12_EUlS11_E_NS1_11comp_targetILNS1_3genE2ELNS1_11target_archE906ELNS1_3gpuE6ELNS1_3repE0EEENS1_30default_config_static_selectorELNS0_4arch9wavefront6targetE1EEEvT1_: ; @_ZN7rocprim17ROCPRIM_400000_NS6detail17trampoline_kernelINS0_14default_configENS1_25partition_config_selectorILNS1_17partition_subalgoE0EiNS0_10empty_typeEbEEZZNS1_14partition_implILS5_0ELb0ES3_jN6thrust23THRUST_200600_302600_NS6detail15normal_iteratorINSA_10device_ptrIiEEEEPS6_SG_NS0_5tupleIJSF_SF_EEENSH_IJSG_SG_EEES6_PlJ7is_evenIiEEEE10hipError_tPvRmT3_T4_T5_T6_T7_T9_mT8_P12ihipStream_tbDpT10_ENKUlT_T0_E_clISt17integral_constantIbLb0EES16_EEDaS11_S12_EUlS11_E_NS1_11comp_targetILNS1_3genE2ELNS1_11target_archE906ELNS1_3gpuE6ELNS1_3repE0EEENS1_30default_config_static_selectorELNS0_4arch9wavefront6targetE1EEEvT1_
; %bb.0:
	.section	.rodata,"a",@progbits
	.p2align	6, 0x0
	.amdhsa_kernel _ZN7rocprim17ROCPRIM_400000_NS6detail17trampoline_kernelINS0_14default_configENS1_25partition_config_selectorILNS1_17partition_subalgoE0EiNS0_10empty_typeEbEEZZNS1_14partition_implILS5_0ELb0ES3_jN6thrust23THRUST_200600_302600_NS6detail15normal_iteratorINSA_10device_ptrIiEEEEPS6_SG_NS0_5tupleIJSF_SF_EEENSH_IJSG_SG_EEES6_PlJ7is_evenIiEEEE10hipError_tPvRmT3_T4_T5_T6_T7_T9_mT8_P12ihipStream_tbDpT10_ENKUlT_T0_E_clISt17integral_constantIbLb0EES16_EEDaS11_S12_EUlS11_E_NS1_11comp_targetILNS1_3genE2ELNS1_11target_archE906ELNS1_3gpuE6ELNS1_3repE0EEENS1_30default_config_static_selectorELNS0_4arch9wavefront6targetE1EEEvT1_
		.amdhsa_group_segment_fixed_size 0
		.amdhsa_private_segment_fixed_size 0
		.amdhsa_kernarg_size 120
		.amdhsa_user_sgpr_count 6
		.amdhsa_user_sgpr_private_segment_buffer 1
		.amdhsa_user_sgpr_dispatch_ptr 0
		.amdhsa_user_sgpr_queue_ptr 0
		.amdhsa_user_sgpr_kernarg_segment_ptr 1
		.amdhsa_user_sgpr_dispatch_id 0
		.amdhsa_user_sgpr_flat_scratch_init 0
		.amdhsa_user_sgpr_kernarg_preload_length 0
		.amdhsa_user_sgpr_kernarg_preload_offset 0
		.amdhsa_user_sgpr_private_segment_size 0
		.amdhsa_uses_dynamic_stack 0
		.amdhsa_system_sgpr_private_segment_wavefront_offset 0
		.amdhsa_system_sgpr_workgroup_id_x 1
		.amdhsa_system_sgpr_workgroup_id_y 0
		.amdhsa_system_sgpr_workgroup_id_z 0
		.amdhsa_system_sgpr_workgroup_info 0
		.amdhsa_system_vgpr_workitem_id 0
		.amdhsa_next_free_vgpr 1
		.amdhsa_next_free_sgpr 0
		.amdhsa_accum_offset 4
		.amdhsa_reserve_vcc 0
		.amdhsa_reserve_flat_scratch 0
		.amdhsa_float_round_mode_32 0
		.amdhsa_float_round_mode_16_64 0
		.amdhsa_float_denorm_mode_32 3
		.amdhsa_float_denorm_mode_16_64 3
		.amdhsa_dx10_clamp 1
		.amdhsa_ieee_mode 1
		.amdhsa_fp16_overflow 0
		.amdhsa_tg_split 0
		.amdhsa_exception_fp_ieee_invalid_op 0
		.amdhsa_exception_fp_denorm_src 0
		.amdhsa_exception_fp_ieee_div_zero 0
		.amdhsa_exception_fp_ieee_overflow 0
		.amdhsa_exception_fp_ieee_underflow 0
		.amdhsa_exception_fp_ieee_inexact 0
		.amdhsa_exception_int_div_zero 0
	.end_amdhsa_kernel
	.section	.text._ZN7rocprim17ROCPRIM_400000_NS6detail17trampoline_kernelINS0_14default_configENS1_25partition_config_selectorILNS1_17partition_subalgoE0EiNS0_10empty_typeEbEEZZNS1_14partition_implILS5_0ELb0ES3_jN6thrust23THRUST_200600_302600_NS6detail15normal_iteratorINSA_10device_ptrIiEEEEPS6_SG_NS0_5tupleIJSF_SF_EEENSH_IJSG_SG_EEES6_PlJ7is_evenIiEEEE10hipError_tPvRmT3_T4_T5_T6_T7_T9_mT8_P12ihipStream_tbDpT10_ENKUlT_T0_E_clISt17integral_constantIbLb0EES16_EEDaS11_S12_EUlS11_E_NS1_11comp_targetILNS1_3genE2ELNS1_11target_archE906ELNS1_3gpuE6ELNS1_3repE0EEENS1_30default_config_static_selectorELNS0_4arch9wavefront6targetE1EEEvT1_,"axG",@progbits,_ZN7rocprim17ROCPRIM_400000_NS6detail17trampoline_kernelINS0_14default_configENS1_25partition_config_selectorILNS1_17partition_subalgoE0EiNS0_10empty_typeEbEEZZNS1_14partition_implILS5_0ELb0ES3_jN6thrust23THRUST_200600_302600_NS6detail15normal_iteratorINSA_10device_ptrIiEEEEPS6_SG_NS0_5tupleIJSF_SF_EEENSH_IJSG_SG_EEES6_PlJ7is_evenIiEEEE10hipError_tPvRmT3_T4_T5_T6_T7_T9_mT8_P12ihipStream_tbDpT10_ENKUlT_T0_E_clISt17integral_constantIbLb0EES16_EEDaS11_S12_EUlS11_E_NS1_11comp_targetILNS1_3genE2ELNS1_11target_archE906ELNS1_3gpuE6ELNS1_3repE0EEENS1_30default_config_static_selectorELNS0_4arch9wavefront6targetE1EEEvT1_,comdat
.Lfunc_end325:
	.size	_ZN7rocprim17ROCPRIM_400000_NS6detail17trampoline_kernelINS0_14default_configENS1_25partition_config_selectorILNS1_17partition_subalgoE0EiNS0_10empty_typeEbEEZZNS1_14partition_implILS5_0ELb0ES3_jN6thrust23THRUST_200600_302600_NS6detail15normal_iteratorINSA_10device_ptrIiEEEEPS6_SG_NS0_5tupleIJSF_SF_EEENSH_IJSG_SG_EEES6_PlJ7is_evenIiEEEE10hipError_tPvRmT3_T4_T5_T6_T7_T9_mT8_P12ihipStream_tbDpT10_ENKUlT_T0_E_clISt17integral_constantIbLb0EES16_EEDaS11_S12_EUlS11_E_NS1_11comp_targetILNS1_3genE2ELNS1_11target_archE906ELNS1_3gpuE6ELNS1_3repE0EEENS1_30default_config_static_selectorELNS0_4arch9wavefront6targetE1EEEvT1_, .Lfunc_end325-_ZN7rocprim17ROCPRIM_400000_NS6detail17trampoline_kernelINS0_14default_configENS1_25partition_config_selectorILNS1_17partition_subalgoE0EiNS0_10empty_typeEbEEZZNS1_14partition_implILS5_0ELb0ES3_jN6thrust23THRUST_200600_302600_NS6detail15normal_iteratorINSA_10device_ptrIiEEEEPS6_SG_NS0_5tupleIJSF_SF_EEENSH_IJSG_SG_EEES6_PlJ7is_evenIiEEEE10hipError_tPvRmT3_T4_T5_T6_T7_T9_mT8_P12ihipStream_tbDpT10_ENKUlT_T0_E_clISt17integral_constantIbLb0EES16_EEDaS11_S12_EUlS11_E_NS1_11comp_targetILNS1_3genE2ELNS1_11target_archE906ELNS1_3gpuE6ELNS1_3repE0EEENS1_30default_config_static_selectorELNS0_4arch9wavefront6targetE1EEEvT1_
                                        ; -- End function
	.section	.AMDGPU.csdata,"",@progbits
; Kernel info:
; codeLenInByte = 0
; NumSgprs: 4
; NumVgprs: 0
; NumAgprs: 0
; TotalNumVgprs: 0
; ScratchSize: 0
; MemoryBound: 0
; FloatMode: 240
; IeeeMode: 1
; LDSByteSize: 0 bytes/workgroup (compile time only)
; SGPRBlocks: 0
; VGPRBlocks: 0
; NumSGPRsForWavesPerEU: 4
; NumVGPRsForWavesPerEU: 1
; AccumOffset: 4
; Occupancy: 8
; WaveLimiterHint : 0
; COMPUTE_PGM_RSRC2:SCRATCH_EN: 0
; COMPUTE_PGM_RSRC2:USER_SGPR: 6
; COMPUTE_PGM_RSRC2:TRAP_HANDLER: 0
; COMPUTE_PGM_RSRC2:TGID_X_EN: 1
; COMPUTE_PGM_RSRC2:TGID_Y_EN: 0
; COMPUTE_PGM_RSRC2:TGID_Z_EN: 0
; COMPUTE_PGM_RSRC2:TIDIG_COMP_CNT: 0
; COMPUTE_PGM_RSRC3_GFX90A:ACCUM_OFFSET: 0
; COMPUTE_PGM_RSRC3_GFX90A:TG_SPLIT: 0
	.section	.text._ZN7rocprim17ROCPRIM_400000_NS6detail17trampoline_kernelINS0_14default_configENS1_25partition_config_selectorILNS1_17partition_subalgoE0EiNS0_10empty_typeEbEEZZNS1_14partition_implILS5_0ELb0ES3_jN6thrust23THRUST_200600_302600_NS6detail15normal_iteratorINSA_10device_ptrIiEEEEPS6_SG_NS0_5tupleIJSF_SF_EEENSH_IJSG_SG_EEES6_PlJ7is_evenIiEEEE10hipError_tPvRmT3_T4_T5_T6_T7_T9_mT8_P12ihipStream_tbDpT10_ENKUlT_T0_E_clISt17integral_constantIbLb0EES16_EEDaS11_S12_EUlS11_E_NS1_11comp_targetILNS1_3genE10ELNS1_11target_archE1200ELNS1_3gpuE4ELNS1_3repE0EEENS1_30default_config_static_selectorELNS0_4arch9wavefront6targetE1EEEvT1_,"axG",@progbits,_ZN7rocprim17ROCPRIM_400000_NS6detail17trampoline_kernelINS0_14default_configENS1_25partition_config_selectorILNS1_17partition_subalgoE0EiNS0_10empty_typeEbEEZZNS1_14partition_implILS5_0ELb0ES3_jN6thrust23THRUST_200600_302600_NS6detail15normal_iteratorINSA_10device_ptrIiEEEEPS6_SG_NS0_5tupleIJSF_SF_EEENSH_IJSG_SG_EEES6_PlJ7is_evenIiEEEE10hipError_tPvRmT3_T4_T5_T6_T7_T9_mT8_P12ihipStream_tbDpT10_ENKUlT_T0_E_clISt17integral_constantIbLb0EES16_EEDaS11_S12_EUlS11_E_NS1_11comp_targetILNS1_3genE10ELNS1_11target_archE1200ELNS1_3gpuE4ELNS1_3repE0EEENS1_30default_config_static_selectorELNS0_4arch9wavefront6targetE1EEEvT1_,comdat
	.protected	_ZN7rocprim17ROCPRIM_400000_NS6detail17trampoline_kernelINS0_14default_configENS1_25partition_config_selectorILNS1_17partition_subalgoE0EiNS0_10empty_typeEbEEZZNS1_14partition_implILS5_0ELb0ES3_jN6thrust23THRUST_200600_302600_NS6detail15normal_iteratorINSA_10device_ptrIiEEEEPS6_SG_NS0_5tupleIJSF_SF_EEENSH_IJSG_SG_EEES6_PlJ7is_evenIiEEEE10hipError_tPvRmT3_T4_T5_T6_T7_T9_mT8_P12ihipStream_tbDpT10_ENKUlT_T0_E_clISt17integral_constantIbLb0EES16_EEDaS11_S12_EUlS11_E_NS1_11comp_targetILNS1_3genE10ELNS1_11target_archE1200ELNS1_3gpuE4ELNS1_3repE0EEENS1_30default_config_static_selectorELNS0_4arch9wavefront6targetE1EEEvT1_ ; -- Begin function _ZN7rocprim17ROCPRIM_400000_NS6detail17trampoline_kernelINS0_14default_configENS1_25partition_config_selectorILNS1_17partition_subalgoE0EiNS0_10empty_typeEbEEZZNS1_14partition_implILS5_0ELb0ES3_jN6thrust23THRUST_200600_302600_NS6detail15normal_iteratorINSA_10device_ptrIiEEEEPS6_SG_NS0_5tupleIJSF_SF_EEENSH_IJSG_SG_EEES6_PlJ7is_evenIiEEEE10hipError_tPvRmT3_T4_T5_T6_T7_T9_mT8_P12ihipStream_tbDpT10_ENKUlT_T0_E_clISt17integral_constantIbLb0EES16_EEDaS11_S12_EUlS11_E_NS1_11comp_targetILNS1_3genE10ELNS1_11target_archE1200ELNS1_3gpuE4ELNS1_3repE0EEENS1_30default_config_static_selectorELNS0_4arch9wavefront6targetE1EEEvT1_
	.globl	_ZN7rocprim17ROCPRIM_400000_NS6detail17trampoline_kernelINS0_14default_configENS1_25partition_config_selectorILNS1_17partition_subalgoE0EiNS0_10empty_typeEbEEZZNS1_14partition_implILS5_0ELb0ES3_jN6thrust23THRUST_200600_302600_NS6detail15normal_iteratorINSA_10device_ptrIiEEEEPS6_SG_NS0_5tupleIJSF_SF_EEENSH_IJSG_SG_EEES6_PlJ7is_evenIiEEEE10hipError_tPvRmT3_T4_T5_T6_T7_T9_mT8_P12ihipStream_tbDpT10_ENKUlT_T0_E_clISt17integral_constantIbLb0EES16_EEDaS11_S12_EUlS11_E_NS1_11comp_targetILNS1_3genE10ELNS1_11target_archE1200ELNS1_3gpuE4ELNS1_3repE0EEENS1_30default_config_static_selectorELNS0_4arch9wavefront6targetE1EEEvT1_
	.p2align	8
	.type	_ZN7rocprim17ROCPRIM_400000_NS6detail17trampoline_kernelINS0_14default_configENS1_25partition_config_selectorILNS1_17partition_subalgoE0EiNS0_10empty_typeEbEEZZNS1_14partition_implILS5_0ELb0ES3_jN6thrust23THRUST_200600_302600_NS6detail15normal_iteratorINSA_10device_ptrIiEEEEPS6_SG_NS0_5tupleIJSF_SF_EEENSH_IJSG_SG_EEES6_PlJ7is_evenIiEEEE10hipError_tPvRmT3_T4_T5_T6_T7_T9_mT8_P12ihipStream_tbDpT10_ENKUlT_T0_E_clISt17integral_constantIbLb0EES16_EEDaS11_S12_EUlS11_E_NS1_11comp_targetILNS1_3genE10ELNS1_11target_archE1200ELNS1_3gpuE4ELNS1_3repE0EEENS1_30default_config_static_selectorELNS0_4arch9wavefront6targetE1EEEvT1_,@function
_ZN7rocprim17ROCPRIM_400000_NS6detail17trampoline_kernelINS0_14default_configENS1_25partition_config_selectorILNS1_17partition_subalgoE0EiNS0_10empty_typeEbEEZZNS1_14partition_implILS5_0ELb0ES3_jN6thrust23THRUST_200600_302600_NS6detail15normal_iteratorINSA_10device_ptrIiEEEEPS6_SG_NS0_5tupleIJSF_SF_EEENSH_IJSG_SG_EEES6_PlJ7is_evenIiEEEE10hipError_tPvRmT3_T4_T5_T6_T7_T9_mT8_P12ihipStream_tbDpT10_ENKUlT_T0_E_clISt17integral_constantIbLb0EES16_EEDaS11_S12_EUlS11_E_NS1_11comp_targetILNS1_3genE10ELNS1_11target_archE1200ELNS1_3gpuE4ELNS1_3repE0EEENS1_30default_config_static_selectorELNS0_4arch9wavefront6targetE1EEEvT1_: ; @_ZN7rocprim17ROCPRIM_400000_NS6detail17trampoline_kernelINS0_14default_configENS1_25partition_config_selectorILNS1_17partition_subalgoE0EiNS0_10empty_typeEbEEZZNS1_14partition_implILS5_0ELb0ES3_jN6thrust23THRUST_200600_302600_NS6detail15normal_iteratorINSA_10device_ptrIiEEEEPS6_SG_NS0_5tupleIJSF_SF_EEENSH_IJSG_SG_EEES6_PlJ7is_evenIiEEEE10hipError_tPvRmT3_T4_T5_T6_T7_T9_mT8_P12ihipStream_tbDpT10_ENKUlT_T0_E_clISt17integral_constantIbLb0EES16_EEDaS11_S12_EUlS11_E_NS1_11comp_targetILNS1_3genE10ELNS1_11target_archE1200ELNS1_3gpuE4ELNS1_3repE0EEENS1_30default_config_static_selectorELNS0_4arch9wavefront6targetE1EEEvT1_
; %bb.0:
	.section	.rodata,"a",@progbits
	.p2align	6, 0x0
	.amdhsa_kernel _ZN7rocprim17ROCPRIM_400000_NS6detail17trampoline_kernelINS0_14default_configENS1_25partition_config_selectorILNS1_17partition_subalgoE0EiNS0_10empty_typeEbEEZZNS1_14partition_implILS5_0ELb0ES3_jN6thrust23THRUST_200600_302600_NS6detail15normal_iteratorINSA_10device_ptrIiEEEEPS6_SG_NS0_5tupleIJSF_SF_EEENSH_IJSG_SG_EEES6_PlJ7is_evenIiEEEE10hipError_tPvRmT3_T4_T5_T6_T7_T9_mT8_P12ihipStream_tbDpT10_ENKUlT_T0_E_clISt17integral_constantIbLb0EES16_EEDaS11_S12_EUlS11_E_NS1_11comp_targetILNS1_3genE10ELNS1_11target_archE1200ELNS1_3gpuE4ELNS1_3repE0EEENS1_30default_config_static_selectorELNS0_4arch9wavefront6targetE1EEEvT1_
		.amdhsa_group_segment_fixed_size 0
		.amdhsa_private_segment_fixed_size 0
		.amdhsa_kernarg_size 120
		.amdhsa_user_sgpr_count 6
		.amdhsa_user_sgpr_private_segment_buffer 1
		.amdhsa_user_sgpr_dispatch_ptr 0
		.amdhsa_user_sgpr_queue_ptr 0
		.amdhsa_user_sgpr_kernarg_segment_ptr 1
		.amdhsa_user_sgpr_dispatch_id 0
		.amdhsa_user_sgpr_flat_scratch_init 0
		.amdhsa_user_sgpr_kernarg_preload_length 0
		.amdhsa_user_sgpr_kernarg_preload_offset 0
		.amdhsa_user_sgpr_private_segment_size 0
		.amdhsa_uses_dynamic_stack 0
		.amdhsa_system_sgpr_private_segment_wavefront_offset 0
		.amdhsa_system_sgpr_workgroup_id_x 1
		.amdhsa_system_sgpr_workgroup_id_y 0
		.amdhsa_system_sgpr_workgroup_id_z 0
		.amdhsa_system_sgpr_workgroup_info 0
		.amdhsa_system_vgpr_workitem_id 0
		.amdhsa_next_free_vgpr 1
		.amdhsa_next_free_sgpr 0
		.amdhsa_accum_offset 4
		.amdhsa_reserve_vcc 0
		.amdhsa_reserve_flat_scratch 0
		.amdhsa_float_round_mode_32 0
		.amdhsa_float_round_mode_16_64 0
		.amdhsa_float_denorm_mode_32 3
		.amdhsa_float_denorm_mode_16_64 3
		.amdhsa_dx10_clamp 1
		.amdhsa_ieee_mode 1
		.amdhsa_fp16_overflow 0
		.amdhsa_tg_split 0
		.amdhsa_exception_fp_ieee_invalid_op 0
		.amdhsa_exception_fp_denorm_src 0
		.amdhsa_exception_fp_ieee_div_zero 0
		.amdhsa_exception_fp_ieee_overflow 0
		.amdhsa_exception_fp_ieee_underflow 0
		.amdhsa_exception_fp_ieee_inexact 0
		.amdhsa_exception_int_div_zero 0
	.end_amdhsa_kernel
	.section	.text._ZN7rocprim17ROCPRIM_400000_NS6detail17trampoline_kernelINS0_14default_configENS1_25partition_config_selectorILNS1_17partition_subalgoE0EiNS0_10empty_typeEbEEZZNS1_14partition_implILS5_0ELb0ES3_jN6thrust23THRUST_200600_302600_NS6detail15normal_iteratorINSA_10device_ptrIiEEEEPS6_SG_NS0_5tupleIJSF_SF_EEENSH_IJSG_SG_EEES6_PlJ7is_evenIiEEEE10hipError_tPvRmT3_T4_T5_T6_T7_T9_mT8_P12ihipStream_tbDpT10_ENKUlT_T0_E_clISt17integral_constantIbLb0EES16_EEDaS11_S12_EUlS11_E_NS1_11comp_targetILNS1_3genE10ELNS1_11target_archE1200ELNS1_3gpuE4ELNS1_3repE0EEENS1_30default_config_static_selectorELNS0_4arch9wavefront6targetE1EEEvT1_,"axG",@progbits,_ZN7rocprim17ROCPRIM_400000_NS6detail17trampoline_kernelINS0_14default_configENS1_25partition_config_selectorILNS1_17partition_subalgoE0EiNS0_10empty_typeEbEEZZNS1_14partition_implILS5_0ELb0ES3_jN6thrust23THRUST_200600_302600_NS6detail15normal_iteratorINSA_10device_ptrIiEEEEPS6_SG_NS0_5tupleIJSF_SF_EEENSH_IJSG_SG_EEES6_PlJ7is_evenIiEEEE10hipError_tPvRmT3_T4_T5_T6_T7_T9_mT8_P12ihipStream_tbDpT10_ENKUlT_T0_E_clISt17integral_constantIbLb0EES16_EEDaS11_S12_EUlS11_E_NS1_11comp_targetILNS1_3genE10ELNS1_11target_archE1200ELNS1_3gpuE4ELNS1_3repE0EEENS1_30default_config_static_selectorELNS0_4arch9wavefront6targetE1EEEvT1_,comdat
.Lfunc_end326:
	.size	_ZN7rocprim17ROCPRIM_400000_NS6detail17trampoline_kernelINS0_14default_configENS1_25partition_config_selectorILNS1_17partition_subalgoE0EiNS0_10empty_typeEbEEZZNS1_14partition_implILS5_0ELb0ES3_jN6thrust23THRUST_200600_302600_NS6detail15normal_iteratorINSA_10device_ptrIiEEEEPS6_SG_NS0_5tupleIJSF_SF_EEENSH_IJSG_SG_EEES6_PlJ7is_evenIiEEEE10hipError_tPvRmT3_T4_T5_T6_T7_T9_mT8_P12ihipStream_tbDpT10_ENKUlT_T0_E_clISt17integral_constantIbLb0EES16_EEDaS11_S12_EUlS11_E_NS1_11comp_targetILNS1_3genE10ELNS1_11target_archE1200ELNS1_3gpuE4ELNS1_3repE0EEENS1_30default_config_static_selectorELNS0_4arch9wavefront6targetE1EEEvT1_, .Lfunc_end326-_ZN7rocprim17ROCPRIM_400000_NS6detail17trampoline_kernelINS0_14default_configENS1_25partition_config_selectorILNS1_17partition_subalgoE0EiNS0_10empty_typeEbEEZZNS1_14partition_implILS5_0ELb0ES3_jN6thrust23THRUST_200600_302600_NS6detail15normal_iteratorINSA_10device_ptrIiEEEEPS6_SG_NS0_5tupleIJSF_SF_EEENSH_IJSG_SG_EEES6_PlJ7is_evenIiEEEE10hipError_tPvRmT3_T4_T5_T6_T7_T9_mT8_P12ihipStream_tbDpT10_ENKUlT_T0_E_clISt17integral_constantIbLb0EES16_EEDaS11_S12_EUlS11_E_NS1_11comp_targetILNS1_3genE10ELNS1_11target_archE1200ELNS1_3gpuE4ELNS1_3repE0EEENS1_30default_config_static_selectorELNS0_4arch9wavefront6targetE1EEEvT1_
                                        ; -- End function
	.section	.AMDGPU.csdata,"",@progbits
; Kernel info:
; codeLenInByte = 0
; NumSgprs: 4
; NumVgprs: 0
; NumAgprs: 0
; TotalNumVgprs: 0
; ScratchSize: 0
; MemoryBound: 0
; FloatMode: 240
; IeeeMode: 1
; LDSByteSize: 0 bytes/workgroup (compile time only)
; SGPRBlocks: 0
; VGPRBlocks: 0
; NumSGPRsForWavesPerEU: 4
; NumVGPRsForWavesPerEU: 1
; AccumOffset: 4
; Occupancy: 8
; WaveLimiterHint : 0
; COMPUTE_PGM_RSRC2:SCRATCH_EN: 0
; COMPUTE_PGM_RSRC2:USER_SGPR: 6
; COMPUTE_PGM_RSRC2:TRAP_HANDLER: 0
; COMPUTE_PGM_RSRC2:TGID_X_EN: 1
; COMPUTE_PGM_RSRC2:TGID_Y_EN: 0
; COMPUTE_PGM_RSRC2:TGID_Z_EN: 0
; COMPUTE_PGM_RSRC2:TIDIG_COMP_CNT: 0
; COMPUTE_PGM_RSRC3_GFX90A:ACCUM_OFFSET: 0
; COMPUTE_PGM_RSRC3_GFX90A:TG_SPLIT: 0
	.section	.text._ZN7rocprim17ROCPRIM_400000_NS6detail17trampoline_kernelINS0_14default_configENS1_25partition_config_selectorILNS1_17partition_subalgoE0EiNS0_10empty_typeEbEEZZNS1_14partition_implILS5_0ELb0ES3_jN6thrust23THRUST_200600_302600_NS6detail15normal_iteratorINSA_10device_ptrIiEEEEPS6_SG_NS0_5tupleIJSF_SF_EEENSH_IJSG_SG_EEES6_PlJ7is_evenIiEEEE10hipError_tPvRmT3_T4_T5_T6_T7_T9_mT8_P12ihipStream_tbDpT10_ENKUlT_T0_E_clISt17integral_constantIbLb0EES16_EEDaS11_S12_EUlS11_E_NS1_11comp_targetILNS1_3genE9ELNS1_11target_archE1100ELNS1_3gpuE3ELNS1_3repE0EEENS1_30default_config_static_selectorELNS0_4arch9wavefront6targetE1EEEvT1_,"axG",@progbits,_ZN7rocprim17ROCPRIM_400000_NS6detail17trampoline_kernelINS0_14default_configENS1_25partition_config_selectorILNS1_17partition_subalgoE0EiNS0_10empty_typeEbEEZZNS1_14partition_implILS5_0ELb0ES3_jN6thrust23THRUST_200600_302600_NS6detail15normal_iteratorINSA_10device_ptrIiEEEEPS6_SG_NS0_5tupleIJSF_SF_EEENSH_IJSG_SG_EEES6_PlJ7is_evenIiEEEE10hipError_tPvRmT3_T4_T5_T6_T7_T9_mT8_P12ihipStream_tbDpT10_ENKUlT_T0_E_clISt17integral_constantIbLb0EES16_EEDaS11_S12_EUlS11_E_NS1_11comp_targetILNS1_3genE9ELNS1_11target_archE1100ELNS1_3gpuE3ELNS1_3repE0EEENS1_30default_config_static_selectorELNS0_4arch9wavefront6targetE1EEEvT1_,comdat
	.protected	_ZN7rocprim17ROCPRIM_400000_NS6detail17trampoline_kernelINS0_14default_configENS1_25partition_config_selectorILNS1_17partition_subalgoE0EiNS0_10empty_typeEbEEZZNS1_14partition_implILS5_0ELb0ES3_jN6thrust23THRUST_200600_302600_NS6detail15normal_iteratorINSA_10device_ptrIiEEEEPS6_SG_NS0_5tupleIJSF_SF_EEENSH_IJSG_SG_EEES6_PlJ7is_evenIiEEEE10hipError_tPvRmT3_T4_T5_T6_T7_T9_mT8_P12ihipStream_tbDpT10_ENKUlT_T0_E_clISt17integral_constantIbLb0EES16_EEDaS11_S12_EUlS11_E_NS1_11comp_targetILNS1_3genE9ELNS1_11target_archE1100ELNS1_3gpuE3ELNS1_3repE0EEENS1_30default_config_static_selectorELNS0_4arch9wavefront6targetE1EEEvT1_ ; -- Begin function _ZN7rocprim17ROCPRIM_400000_NS6detail17trampoline_kernelINS0_14default_configENS1_25partition_config_selectorILNS1_17partition_subalgoE0EiNS0_10empty_typeEbEEZZNS1_14partition_implILS5_0ELb0ES3_jN6thrust23THRUST_200600_302600_NS6detail15normal_iteratorINSA_10device_ptrIiEEEEPS6_SG_NS0_5tupleIJSF_SF_EEENSH_IJSG_SG_EEES6_PlJ7is_evenIiEEEE10hipError_tPvRmT3_T4_T5_T6_T7_T9_mT8_P12ihipStream_tbDpT10_ENKUlT_T0_E_clISt17integral_constantIbLb0EES16_EEDaS11_S12_EUlS11_E_NS1_11comp_targetILNS1_3genE9ELNS1_11target_archE1100ELNS1_3gpuE3ELNS1_3repE0EEENS1_30default_config_static_selectorELNS0_4arch9wavefront6targetE1EEEvT1_
	.globl	_ZN7rocprim17ROCPRIM_400000_NS6detail17trampoline_kernelINS0_14default_configENS1_25partition_config_selectorILNS1_17partition_subalgoE0EiNS0_10empty_typeEbEEZZNS1_14partition_implILS5_0ELb0ES3_jN6thrust23THRUST_200600_302600_NS6detail15normal_iteratorINSA_10device_ptrIiEEEEPS6_SG_NS0_5tupleIJSF_SF_EEENSH_IJSG_SG_EEES6_PlJ7is_evenIiEEEE10hipError_tPvRmT3_T4_T5_T6_T7_T9_mT8_P12ihipStream_tbDpT10_ENKUlT_T0_E_clISt17integral_constantIbLb0EES16_EEDaS11_S12_EUlS11_E_NS1_11comp_targetILNS1_3genE9ELNS1_11target_archE1100ELNS1_3gpuE3ELNS1_3repE0EEENS1_30default_config_static_selectorELNS0_4arch9wavefront6targetE1EEEvT1_
	.p2align	8
	.type	_ZN7rocprim17ROCPRIM_400000_NS6detail17trampoline_kernelINS0_14default_configENS1_25partition_config_selectorILNS1_17partition_subalgoE0EiNS0_10empty_typeEbEEZZNS1_14partition_implILS5_0ELb0ES3_jN6thrust23THRUST_200600_302600_NS6detail15normal_iteratorINSA_10device_ptrIiEEEEPS6_SG_NS0_5tupleIJSF_SF_EEENSH_IJSG_SG_EEES6_PlJ7is_evenIiEEEE10hipError_tPvRmT3_T4_T5_T6_T7_T9_mT8_P12ihipStream_tbDpT10_ENKUlT_T0_E_clISt17integral_constantIbLb0EES16_EEDaS11_S12_EUlS11_E_NS1_11comp_targetILNS1_3genE9ELNS1_11target_archE1100ELNS1_3gpuE3ELNS1_3repE0EEENS1_30default_config_static_selectorELNS0_4arch9wavefront6targetE1EEEvT1_,@function
_ZN7rocprim17ROCPRIM_400000_NS6detail17trampoline_kernelINS0_14default_configENS1_25partition_config_selectorILNS1_17partition_subalgoE0EiNS0_10empty_typeEbEEZZNS1_14partition_implILS5_0ELb0ES3_jN6thrust23THRUST_200600_302600_NS6detail15normal_iteratorINSA_10device_ptrIiEEEEPS6_SG_NS0_5tupleIJSF_SF_EEENSH_IJSG_SG_EEES6_PlJ7is_evenIiEEEE10hipError_tPvRmT3_T4_T5_T6_T7_T9_mT8_P12ihipStream_tbDpT10_ENKUlT_T0_E_clISt17integral_constantIbLb0EES16_EEDaS11_S12_EUlS11_E_NS1_11comp_targetILNS1_3genE9ELNS1_11target_archE1100ELNS1_3gpuE3ELNS1_3repE0EEENS1_30default_config_static_selectorELNS0_4arch9wavefront6targetE1EEEvT1_: ; @_ZN7rocprim17ROCPRIM_400000_NS6detail17trampoline_kernelINS0_14default_configENS1_25partition_config_selectorILNS1_17partition_subalgoE0EiNS0_10empty_typeEbEEZZNS1_14partition_implILS5_0ELb0ES3_jN6thrust23THRUST_200600_302600_NS6detail15normal_iteratorINSA_10device_ptrIiEEEEPS6_SG_NS0_5tupleIJSF_SF_EEENSH_IJSG_SG_EEES6_PlJ7is_evenIiEEEE10hipError_tPvRmT3_T4_T5_T6_T7_T9_mT8_P12ihipStream_tbDpT10_ENKUlT_T0_E_clISt17integral_constantIbLb0EES16_EEDaS11_S12_EUlS11_E_NS1_11comp_targetILNS1_3genE9ELNS1_11target_archE1100ELNS1_3gpuE3ELNS1_3repE0EEENS1_30default_config_static_selectorELNS0_4arch9wavefront6targetE1EEEvT1_
; %bb.0:
	.section	.rodata,"a",@progbits
	.p2align	6, 0x0
	.amdhsa_kernel _ZN7rocprim17ROCPRIM_400000_NS6detail17trampoline_kernelINS0_14default_configENS1_25partition_config_selectorILNS1_17partition_subalgoE0EiNS0_10empty_typeEbEEZZNS1_14partition_implILS5_0ELb0ES3_jN6thrust23THRUST_200600_302600_NS6detail15normal_iteratorINSA_10device_ptrIiEEEEPS6_SG_NS0_5tupleIJSF_SF_EEENSH_IJSG_SG_EEES6_PlJ7is_evenIiEEEE10hipError_tPvRmT3_T4_T5_T6_T7_T9_mT8_P12ihipStream_tbDpT10_ENKUlT_T0_E_clISt17integral_constantIbLb0EES16_EEDaS11_S12_EUlS11_E_NS1_11comp_targetILNS1_3genE9ELNS1_11target_archE1100ELNS1_3gpuE3ELNS1_3repE0EEENS1_30default_config_static_selectorELNS0_4arch9wavefront6targetE1EEEvT1_
		.amdhsa_group_segment_fixed_size 0
		.amdhsa_private_segment_fixed_size 0
		.amdhsa_kernarg_size 120
		.amdhsa_user_sgpr_count 6
		.amdhsa_user_sgpr_private_segment_buffer 1
		.amdhsa_user_sgpr_dispatch_ptr 0
		.amdhsa_user_sgpr_queue_ptr 0
		.amdhsa_user_sgpr_kernarg_segment_ptr 1
		.amdhsa_user_sgpr_dispatch_id 0
		.amdhsa_user_sgpr_flat_scratch_init 0
		.amdhsa_user_sgpr_kernarg_preload_length 0
		.amdhsa_user_sgpr_kernarg_preload_offset 0
		.amdhsa_user_sgpr_private_segment_size 0
		.amdhsa_uses_dynamic_stack 0
		.amdhsa_system_sgpr_private_segment_wavefront_offset 0
		.amdhsa_system_sgpr_workgroup_id_x 1
		.amdhsa_system_sgpr_workgroup_id_y 0
		.amdhsa_system_sgpr_workgroup_id_z 0
		.amdhsa_system_sgpr_workgroup_info 0
		.amdhsa_system_vgpr_workitem_id 0
		.amdhsa_next_free_vgpr 1
		.amdhsa_next_free_sgpr 0
		.amdhsa_accum_offset 4
		.amdhsa_reserve_vcc 0
		.amdhsa_reserve_flat_scratch 0
		.amdhsa_float_round_mode_32 0
		.amdhsa_float_round_mode_16_64 0
		.amdhsa_float_denorm_mode_32 3
		.amdhsa_float_denorm_mode_16_64 3
		.amdhsa_dx10_clamp 1
		.amdhsa_ieee_mode 1
		.amdhsa_fp16_overflow 0
		.amdhsa_tg_split 0
		.amdhsa_exception_fp_ieee_invalid_op 0
		.amdhsa_exception_fp_denorm_src 0
		.amdhsa_exception_fp_ieee_div_zero 0
		.amdhsa_exception_fp_ieee_overflow 0
		.amdhsa_exception_fp_ieee_underflow 0
		.amdhsa_exception_fp_ieee_inexact 0
		.amdhsa_exception_int_div_zero 0
	.end_amdhsa_kernel
	.section	.text._ZN7rocprim17ROCPRIM_400000_NS6detail17trampoline_kernelINS0_14default_configENS1_25partition_config_selectorILNS1_17partition_subalgoE0EiNS0_10empty_typeEbEEZZNS1_14partition_implILS5_0ELb0ES3_jN6thrust23THRUST_200600_302600_NS6detail15normal_iteratorINSA_10device_ptrIiEEEEPS6_SG_NS0_5tupleIJSF_SF_EEENSH_IJSG_SG_EEES6_PlJ7is_evenIiEEEE10hipError_tPvRmT3_T4_T5_T6_T7_T9_mT8_P12ihipStream_tbDpT10_ENKUlT_T0_E_clISt17integral_constantIbLb0EES16_EEDaS11_S12_EUlS11_E_NS1_11comp_targetILNS1_3genE9ELNS1_11target_archE1100ELNS1_3gpuE3ELNS1_3repE0EEENS1_30default_config_static_selectorELNS0_4arch9wavefront6targetE1EEEvT1_,"axG",@progbits,_ZN7rocprim17ROCPRIM_400000_NS6detail17trampoline_kernelINS0_14default_configENS1_25partition_config_selectorILNS1_17partition_subalgoE0EiNS0_10empty_typeEbEEZZNS1_14partition_implILS5_0ELb0ES3_jN6thrust23THRUST_200600_302600_NS6detail15normal_iteratorINSA_10device_ptrIiEEEEPS6_SG_NS0_5tupleIJSF_SF_EEENSH_IJSG_SG_EEES6_PlJ7is_evenIiEEEE10hipError_tPvRmT3_T4_T5_T6_T7_T9_mT8_P12ihipStream_tbDpT10_ENKUlT_T0_E_clISt17integral_constantIbLb0EES16_EEDaS11_S12_EUlS11_E_NS1_11comp_targetILNS1_3genE9ELNS1_11target_archE1100ELNS1_3gpuE3ELNS1_3repE0EEENS1_30default_config_static_selectorELNS0_4arch9wavefront6targetE1EEEvT1_,comdat
.Lfunc_end327:
	.size	_ZN7rocprim17ROCPRIM_400000_NS6detail17trampoline_kernelINS0_14default_configENS1_25partition_config_selectorILNS1_17partition_subalgoE0EiNS0_10empty_typeEbEEZZNS1_14partition_implILS5_0ELb0ES3_jN6thrust23THRUST_200600_302600_NS6detail15normal_iteratorINSA_10device_ptrIiEEEEPS6_SG_NS0_5tupleIJSF_SF_EEENSH_IJSG_SG_EEES6_PlJ7is_evenIiEEEE10hipError_tPvRmT3_T4_T5_T6_T7_T9_mT8_P12ihipStream_tbDpT10_ENKUlT_T0_E_clISt17integral_constantIbLb0EES16_EEDaS11_S12_EUlS11_E_NS1_11comp_targetILNS1_3genE9ELNS1_11target_archE1100ELNS1_3gpuE3ELNS1_3repE0EEENS1_30default_config_static_selectorELNS0_4arch9wavefront6targetE1EEEvT1_, .Lfunc_end327-_ZN7rocprim17ROCPRIM_400000_NS6detail17trampoline_kernelINS0_14default_configENS1_25partition_config_selectorILNS1_17partition_subalgoE0EiNS0_10empty_typeEbEEZZNS1_14partition_implILS5_0ELb0ES3_jN6thrust23THRUST_200600_302600_NS6detail15normal_iteratorINSA_10device_ptrIiEEEEPS6_SG_NS0_5tupleIJSF_SF_EEENSH_IJSG_SG_EEES6_PlJ7is_evenIiEEEE10hipError_tPvRmT3_T4_T5_T6_T7_T9_mT8_P12ihipStream_tbDpT10_ENKUlT_T0_E_clISt17integral_constantIbLb0EES16_EEDaS11_S12_EUlS11_E_NS1_11comp_targetILNS1_3genE9ELNS1_11target_archE1100ELNS1_3gpuE3ELNS1_3repE0EEENS1_30default_config_static_selectorELNS0_4arch9wavefront6targetE1EEEvT1_
                                        ; -- End function
	.section	.AMDGPU.csdata,"",@progbits
; Kernel info:
; codeLenInByte = 0
; NumSgprs: 4
; NumVgprs: 0
; NumAgprs: 0
; TotalNumVgprs: 0
; ScratchSize: 0
; MemoryBound: 0
; FloatMode: 240
; IeeeMode: 1
; LDSByteSize: 0 bytes/workgroup (compile time only)
; SGPRBlocks: 0
; VGPRBlocks: 0
; NumSGPRsForWavesPerEU: 4
; NumVGPRsForWavesPerEU: 1
; AccumOffset: 4
; Occupancy: 8
; WaveLimiterHint : 0
; COMPUTE_PGM_RSRC2:SCRATCH_EN: 0
; COMPUTE_PGM_RSRC2:USER_SGPR: 6
; COMPUTE_PGM_RSRC2:TRAP_HANDLER: 0
; COMPUTE_PGM_RSRC2:TGID_X_EN: 1
; COMPUTE_PGM_RSRC2:TGID_Y_EN: 0
; COMPUTE_PGM_RSRC2:TGID_Z_EN: 0
; COMPUTE_PGM_RSRC2:TIDIG_COMP_CNT: 0
; COMPUTE_PGM_RSRC3_GFX90A:ACCUM_OFFSET: 0
; COMPUTE_PGM_RSRC3_GFX90A:TG_SPLIT: 0
	.section	.text._ZN7rocprim17ROCPRIM_400000_NS6detail17trampoline_kernelINS0_14default_configENS1_25partition_config_selectorILNS1_17partition_subalgoE0EiNS0_10empty_typeEbEEZZNS1_14partition_implILS5_0ELb0ES3_jN6thrust23THRUST_200600_302600_NS6detail15normal_iteratorINSA_10device_ptrIiEEEEPS6_SG_NS0_5tupleIJSF_SF_EEENSH_IJSG_SG_EEES6_PlJ7is_evenIiEEEE10hipError_tPvRmT3_T4_T5_T6_T7_T9_mT8_P12ihipStream_tbDpT10_ENKUlT_T0_E_clISt17integral_constantIbLb0EES16_EEDaS11_S12_EUlS11_E_NS1_11comp_targetILNS1_3genE8ELNS1_11target_archE1030ELNS1_3gpuE2ELNS1_3repE0EEENS1_30default_config_static_selectorELNS0_4arch9wavefront6targetE1EEEvT1_,"axG",@progbits,_ZN7rocprim17ROCPRIM_400000_NS6detail17trampoline_kernelINS0_14default_configENS1_25partition_config_selectorILNS1_17partition_subalgoE0EiNS0_10empty_typeEbEEZZNS1_14partition_implILS5_0ELb0ES3_jN6thrust23THRUST_200600_302600_NS6detail15normal_iteratorINSA_10device_ptrIiEEEEPS6_SG_NS0_5tupleIJSF_SF_EEENSH_IJSG_SG_EEES6_PlJ7is_evenIiEEEE10hipError_tPvRmT3_T4_T5_T6_T7_T9_mT8_P12ihipStream_tbDpT10_ENKUlT_T0_E_clISt17integral_constantIbLb0EES16_EEDaS11_S12_EUlS11_E_NS1_11comp_targetILNS1_3genE8ELNS1_11target_archE1030ELNS1_3gpuE2ELNS1_3repE0EEENS1_30default_config_static_selectorELNS0_4arch9wavefront6targetE1EEEvT1_,comdat
	.protected	_ZN7rocprim17ROCPRIM_400000_NS6detail17trampoline_kernelINS0_14default_configENS1_25partition_config_selectorILNS1_17partition_subalgoE0EiNS0_10empty_typeEbEEZZNS1_14partition_implILS5_0ELb0ES3_jN6thrust23THRUST_200600_302600_NS6detail15normal_iteratorINSA_10device_ptrIiEEEEPS6_SG_NS0_5tupleIJSF_SF_EEENSH_IJSG_SG_EEES6_PlJ7is_evenIiEEEE10hipError_tPvRmT3_T4_T5_T6_T7_T9_mT8_P12ihipStream_tbDpT10_ENKUlT_T0_E_clISt17integral_constantIbLb0EES16_EEDaS11_S12_EUlS11_E_NS1_11comp_targetILNS1_3genE8ELNS1_11target_archE1030ELNS1_3gpuE2ELNS1_3repE0EEENS1_30default_config_static_selectorELNS0_4arch9wavefront6targetE1EEEvT1_ ; -- Begin function _ZN7rocprim17ROCPRIM_400000_NS6detail17trampoline_kernelINS0_14default_configENS1_25partition_config_selectorILNS1_17partition_subalgoE0EiNS0_10empty_typeEbEEZZNS1_14partition_implILS5_0ELb0ES3_jN6thrust23THRUST_200600_302600_NS6detail15normal_iteratorINSA_10device_ptrIiEEEEPS6_SG_NS0_5tupleIJSF_SF_EEENSH_IJSG_SG_EEES6_PlJ7is_evenIiEEEE10hipError_tPvRmT3_T4_T5_T6_T7_T9_mT8_P12ihipStream_tbDpT10_ENKUlT_T0_E_clISt17integral_constantIbLb0EES16_EEDaS11_S12_EUlS11_E_NS1_11comp_targetILNS1_3genE8ELNS1_11target_archE1030ELNS1_3gpuE2ELNS1_3repE0EEENS1_30default_config_static_selectorELNS0_4arch9wavefront6targetE1EEEvT1_
	.globl	_ZN7rocprim17ROCPRIM_400000_NS6detail17trampoline_kernelINS0_14default_configENS1_25partition_config_selectorILNS1_17partition_subalgoE0EiNS0_10empty_typeEbEEZZNS1_14partition_implILS5_0ELb0ES3_jN6thrust23THRUST_200600_302600_NS6detail15normal_iteratorINSA_10device_ptrIiEEEEPS6_SG_NS0_5tupleIJSF_SF_EEENSH_IJSG_SG_EEES6_PlJ7is_evenIiEEEE10hipError_tPvRmT3_T4_T5_T6_T7_T9_mT8_P12ihipStream_tbDpT10_ENKUlT_T0_E_clISt17integral_constantIbLb0EES16_EEDaS11_S12_EUlS11_E_NS1_11comp_targetILNS1_3genE8ELNS1_11target_archE1030ELNS1_3gpuE2ELNS1_3repE0EEENS1_30default_config_static_selectorELNS0_4arch9wavefront6targetE1EEEvT1_
	.p2align	8
	.type	_ZN7rocprim17ROCPRIM_400000_NS6detail17trampoline_kernelINS0_14default_configENS1_25partition_config_selectorILNS1_17partition_subalgoE0EiNS0_10empty_typeEbEEZZNS1_14partition_implILS5_0ELb0ES3_jN6thrust23THRUST_200600_302600_NS6detail15normal_iteratorINSA_10device_ptrIiEEEEPS6_SG_NS0_5tupleIJSF_SF_EEENSH_IJSG_SG_EEES6_PlJ7is_evenIiEEEE10hipError_tPvRmT3_T4_T5_T6_T7_T9_mT8_P12ihipStream_tbDpT10_ENKUlT_T0_E_clISt17integral_constantIbLb0EES16_EEDaS11_S12_EUlS11_E_NS1_11comp_targetILNS1_3genE8ELNS1_11target_archE1030ELNS1_3gpuE2ELNS1_3repE0EEENS1_30default_config_static_selectorELNS0_4arch9wavefront6targetE1EEEvT1_,@function
_ZN7rocprim17ROCPRIM_400000_NS6detail17trampoline_kernelINS0_14default_configENS1_25partition_config_selectorILNS1_17partition_subalgoE0EiNS0_10empty_typeEbEEZZNS1_14partition_implILS5_0ELb0ES3_jN6thrust23THRUST_200600_302600_NS6detail15normal_iteratorINSA_10device_ptrIiEEEEPS6_SG_NS0_5tupleIJSF_SF_EEENSH_IJSG_SG_EEES6_PlJ7is_evenIiEEEE10hipError_tPvRmT3_T4_T5_T6_T7_T9_mT8_P12ihipStream_tbDpT10_ENKUlT_T0_E_clISt17integral_constantIbLb0EES16_EEDaS11_S12_EUlS11_E_NS1_11comp_targetILNS1_3genE8ELNS1_11target_archE1030ELNS1_3gpuE2ELNS1_3repE0EEENS1_30default_config_static_selectorELNS0_4arch9wavefront6targetE1EEEvT1_: ; @_ZN7rocprim17ROCPRIM_400000_NS6detail17trampoline_kernelINS0_14default_configENS1_25partition_config_selectorILNS1_17partition_subalgoE0EiNS0_10empty_typeEbEEZZNS1_14partition_implILS5_0ELb0ES3_jN6thrust23THRUST_200600_302600_NS6detail15normal_iteratorINSA_10device_ptrIiEEEEPS6_SG_NS0_5tupleIJSF_SF_EEENSH_IJSG_SG_EEES6_PlJ7is_evenIiEEEE10hipError_tPvRmT3_T4_T5_T6_T7_T9_mT8_P12ihipStream_tbDpT10_ENKUlT_T0_E_clISt17integral_constantIbLb0EES16_EEDaS11_S12_EUlS11_E_NS1_11comp_targetILNS1_3genE8ELNS1_11target_archE1030ELNS1_3gpuE2ELNS1_3repE0EEENS1_30default_config_static_selectorELNS0_4arch9wavefront6targetE1EEEvT1_
; %bb.0:
	.section	.rodata,"a",@progbits
	.p2align	6, 0x0
	.amdhsa_kernel _ZN7rocprim17ROCPRIM_400000_NS6detail17trampoline_kernelINS0_14default_configENS1_25partition_config_selectorILNS1_17partition_subalgoE0EiNS0_10empty_typeEbEEZZNS1_14partition_implILS5_0ELb0ES3_jN6thrust23THRUST_200600_302600_NS6detail15normal_iteratorINSA_10device_ptrIiEEEEPS6_SG_NS0_5tupleIJSF_SF_EEENSH_IJSG_SG_EEES6_PlJ7is_evenIiEEEE10hipError_tPvRmT3_T4_T5_T6_T7_T9_mT8_P12ihipStream_tbDpT10_ENKUlT_T0_E_clISt17integral_constantIbLb0EES16_EEDaS11_S12_EUlS11_E_NS1_11comp_targetILNS1_3genE8ELNS1_11target_archE1030ELNS1_3gpuE2ELNS1_3repE0EEENS1_30default_config_static_selectorELNS0_4arch9wavefront6targetE1EEEvT1_
		.amdhsa_group_segment_fixed_size 0
		.amdhsa_private_segment_fixed_size 0
		.amdhsa_kernarg_size 120
		.amdhsa_user_sgpr_count 6
		.amdhsa_user_sgpr_private_segment_buffer 1
		.amdhsa_user_sgpr_dispatch_ptr 0
		.amdhsa_user_sgpr_queue_ptr 0
		.amdhsa_user_sgpr_kernarg_segment_ptr 1
		.amdhsa_user_sgpr_dispatch_id 0
		.amdhsa_user_sgpr_flat_scratch_init 0
		.amdhsa_user_sgpr_kernarg_preload_length 0
		.amdhsa_user_sgpr_kernarg_preload_offset 0
		.amdhsa_user_sgpr_private_segment_size 0
		.amdhsa_uses_dynamic_stack 0
		.amdhsa_system_sgpr_private_segment_wavefront_offset 0
		.amdhsa_system_sgpr_workgroup_id_x 1
		.amdhsa_system_sgpr_workgroup_id_y 0
		.amdhsa_system_sgpr_workgroup_id_z 0
		.amdhsa_system_sgpr_workgroup_info 0
		.amdhsa_system_vgpr_workitem_id 0
		.amdhsa_next_free_vgpr 1
		.amdhsa_next_free_sgpr 0
		.amdhsa_accum_offset 4
		.amdhsa_reserve_vcc 0
		.amdhsa_reserve_flat_scratch 0
		.amdhsa_float_round_mode_32 0
		.amdhsa_float_round_mode_16_64 0
		.amdhsa_float_denorm_mode_32 3
		.amdhsa_float_denorm_mode_16_64 3
		.amdhsa_dx10_clamp 1
		.amdhsa_ieee_mode 1
		.amdhsa_fp16_overflow 0
		.amdhsa_tg_split 0
		.amdhsa_exception_fp_ieee_invalid_op 0
		.amdhsa_exception_fp_denorm_src 0
		.amdhsa_exception_fp_ieee_div_zero 0
		.amdhsa_exception_fp_ieee_overflow 0
		.amdhsa_exception_fp_ieee_underflow 0
		.amdhsa_exception_fp_ieee_inexact 0
		.amdhsa_exception_int_div_zero 0
	.end_amdhsa_kernel
	.section	.text._ZN7rocprim17ROCPRIM_400000_NS6detail17trampoline_kernelINS0_14default_configENS1_25partition_config_selectorILNS1_17partition_subalgoE0EiNS0_10empty_typeEbEEZZNS1_14partition_implILS5_0ELb0ES3_jN6thrust23THRUST_200600_302600_NS6detail15normal_iteratorINSA_10device_ptrIiEEEEPS6_SG_NS0_5tupleIJSF_SF_EEENSH_IJSG_SG_EEES6_PlJ7is_evenIiEEEE10hipError_tPvRmT3_T4_T5_T6_T7_T9_mT8_P12ihipStream_tbDpT10_ENKUlT_T0_E_clISt17integral_constantIbLb0EES16_EEDaS11_S12_EUlS11_E_NS1_11comp_targetILNS1_3genE8ELNS1_11target_archE1030ELNS1_3gpuE2ELNS1_3repE0EEENS1_30default_config_static_selectorELNS0_4arch9wavefront6targetE1EEEvT1_,"axG",@progbits,_ZN7rocprim17ROCPRIM_400000_NS6detail17trampoline_kernelINS0_14default_configENS1_25partition_config_selectorILNS1_17partition_subalgoE0EiNS0_10empty_typeEbEEZZNS1_14partition_implILS5_0ELb0ES3_jN6thrust23THRUST_200600_302600_NS6detail15normal_iteratorINSA_10device_ptrIiEEEEPS6_SG_NS0_5tupleIJSF_SF_EEENSH_IJSG_SG_EEES6_PlJ7is_evenIiEEEE10hipError_tPvRmT3_T4_T5_T6_T7_T9_mT8_P12ihipStream_tbDpT10_ENKUlT_T0_E_clISt17integral_constantIbLb0EES16_EEDaS11_S12_EUlS11_E_NS1_11comp_targetILNS1_3genE8ELNS1_11target_archE1030ELNS1_3gpuE2ELNS1_3repE0EEENS1_30default_config_static_selectorELNS0_4arch9wavefront6targetE1EEEvT1_,comdat
.Lfunc_end328:
	.size	_ZN7rocprim17ROCPRIM_400000_NS6detail17trampoline_kernelINS0_14default_configENS1_25partition_config_selectorILNS1_17partition_subalgoE0EiNS0_10empty_typeEbEEZZNS1_14partition_implILS5_0ELb0ES3_jN6thrust23THRUST_200600_302600_NS6detail15normal_iteratorINSA_10device_ptrIiEEEEPS6_SG_NS0_5tupleIJSF_SF_EEENSH_IJSG_SG_EEES6_PlJ7is_evenIiEEEE10hipError_tPvRmT3_T4_T5_T6_T7_T9_mT8_P12ihipStream_tbDpT10_ENKUlT_T0_E_clISt17integral_constantIbLb0EES16_EEDaS11_S12_EUlS11_E_NS1_11comp_targetILNS1_3genE8ELNS1_11target_archE1030ELNS1_3gpuE2ELNS1_3repE0EEENS1_30default_config_static_selectorELNS0_4arch9wavefront6targetE1EEEvT1_, .Lfunc_end328-_ZN7rocprim17ROCPRIM_400000_NS6detail17trampoline_kernelINS0_14default_configENS1_25partition_config_selectorILNS1_17partition_subalgoE0EiNS0_10empty_typeEbEEZZNS1_14partition_implILS5_0ELb0ES3_jN6thrust23THRUST_200600_302600_NS6detail15normal_iteratorINSA_10device_ptrIiEEEEPS6_SG_NS0_5tupleIJSF_SF_EEENSH_IJSG_SG_EEES6_PlJ7is_evenIiEEEE10hipError_tPvRmT3_T4_T5_T6_T7_T9_mT8_P12ihipStream_tbDpT10_ENKUlT_T0_E_clISt17integral_constantIbLb0EES16_EEDaS11_S12_EUlS11_E_NS1_11comp_targetILNS1_3genE8ELNS1_11target_archE1030ELNS1_3gpuE2ELNS1_3repE0EEENS1_30default_config_static_selectorELNS0_4arch9wavefront6targetE1EEEvT1_
                                        ; -- End function
	.section	.AMDGPU.csdata,"",@progbits
; Kernel info:
; codeLenInByte = 0
; NumSgprs: 4
; NumVgprs: 0
; NumAgprs: 0
; TotalNumVgprs: 0
; ScratchSize: 0
; MemoryBound: 0
; FloatMode: 240
; IeeeMode: 1
; LDSByteSize: 0 bytes/workgroup (compile time only)
; SGPRBlocks: 0
; VGPRBlocks: 0
; NumSGPRsForWavesPerEU: 4
; NumVGPRsForWavesPerEU: 1
; AccumOffset: 4
; Occupancy: 8
; WaveLimiterHint : 0
; COMPUTE_PGM_RSRC2:SCRATCH_EN: 0
; COMPUTE_PGM_RSRC2:USER_SGPR: 6
; COMPUTE_PGM_RSRC2:TRAP_HANDLER: 0
; COMPUTE_PGM_RSRC2:TGID_X_EN: 1
; COMPUTE_PGM_RSRC2:TGID_Y_EN: 0
; COMPUTE_PGM_RSRC2:TGID_Z_EN: 0
; COMPUTE_PGM_RSRC2:TIDIG_COMP_CNT: 0
; COMPUTE_PGM_RSRC3_GFX90A:ACCUM_OFFSET: 0
; COMPUTE_PGM_RSRC3_GFX90A:TG_SPLIT: 0
	.section	.text._ZN7rocprim17ROCPRIM_400000_NS6detail17trampoline_kernelINS0_14default_configENS1_25partition_config_selectorILNS1_17partition_subalgoE0EiNS0_10empty_typeEbEEZZNS1_14partition_implILS5_0ELb0ES3_jN6thrust23THRUST_200600_302600_NS6detail15normal_iteratorINSA_10device_ptrIiEEEEPS6_SG_NS0_5tupleIJSF_SF_EEENSH_IJSG_SG_EEES6_PlJ7is_evenIiEEEE10hipError_tPvRmT3_T4_T5_T6_T7_T9_mT8_P12ihipStream_tbDpT10_ENKUlT_T0_E_clISt17integral_constantIbLb1EES16_EEDaS11_S12_EUlS11_E_NS1_11comp_targetILNS1_3genE0ELNS1_11target_archE4294967295ELNS1_3gpuE0ELNS1_3repE0EEENS1_30default_config_static_selectorELNS0_4arch9wavefront6targetE1EEEvT1_,"axG",@progbits,_ZN7rocprim17ROCPRIM_400000_NS6detail17trampoline_kernelINS0_14default_configENS1_25partition_config_selectorILNS1_17partition_subalgoE0EiNS0_10empty_typeEbEEZZNS1_14partition_implILS5_0ELb0ES3_jN6thrust23THRUST_200600_302600_NS6detail15normal_iteratorINSA_10device_ptrIiEEEEPS6_SG_NS0_5tupleIJSF_SF_EEENSH_IJSG_SG_EEES6_PlJ7is_evenIiEEEE10hipError_tPvRmT3_T4_T5_T6_T7_T9_mT8_P12ihipStream_tbDpT10_ENKUlT_T0_E_clISt17integral_constantIbLb1EES16_EEDaS11_S12_EUlS11_E_NS1_11comp_targetILNS1_3genE0ELNS1_11target_archE4294967295ELNS1_3gpuE0ELNS1_3repE0EEENS1_30default_config_static_selectorELNS0_4arch9wavefront6targetE1EEEvT1_,comdat
	.protected	_ZN7rocprim17ROCPRIM_400000_NS6detail17trampoline_kernelINS0_14default_configENS1_25partition_config_selectorILNS1_17partition_subalgoE0EiNS0_10empty_typeEbEEZZNS1_14partition_implILS5_0ELb0ES3_jN6thrust23THRUST_200600_302600_NS6detail15normal_iteratorINSA_10device_ptrIiEEEEPS6_SG_NS0_5tupleIJSF_SF_EEENSH_IJSG_SG_EEES6_PlJ7is_evenIiEEEE10hipError_tPvRmT3_T4_T5_T6_T7_T9_mT8_P12ihipStream_tbDpT10_ENKUlT_T0_E_clISt17integral_constantIbLb1EES16_EEDaS11_S12_EUlS11_E_NS1_11comp_targetILNS1_3genE0ELNS1_11target_archE4294967295ELNS1_3gpuE0ELNS1_3repE0EEENS1_30default_config_static_selectorELNS0_4arch9wavefront6targetE1EEEvT1_ ; -- Begin function _ZN7rocprim17ROCPRIM_400000_NS6detail17trampoline_kernelINS0_14default_configENS1_25partition_config_selectorILNS1_17partition_subalgoE0EiNS0_10empty_typeEbEEZZNS1_14partition_implILS5_0ELb0ES3_jN6thrust23THRUST_200600_302600_NS6detail15normal_iteratorINSA_10device_ptrIiEEEEPS6_SG_NS0_5tupleIJSF_SF_EEENSH_IJSG_SG_EEES6_PlJ7is_evenIiEEEE10hipError_tPvRmT3_T4_T5_T6_T7_T9_mT8_P12ihipStream_tbDpT10_ENKUlT_T0_E_clISt17integral_constantIbLb1EES16_EEDaS11_S12_EUlS11_E_NS1_11comp_targetILNS1_3genE0ELNS1_11target_archE4294967295ELNS1_3gpuE0ELNS1_3repE0EEENS1_30default_config_static_selectorELNS0_4arch9wavefront6targetE1EEEvT1_
	.globl	_ZN7rocprim17ROCPRIM_400000_NS6detail17trampoline_kernelINS0_14default_configENS1_25partition_config_selectorILNS1_17partition_subalgoE0EiNS0_10empty_typeEbEEZZNS1_14partition_implILS5_0ELb0ES3_jN6thrust23THRUST_200600_302600_NS6detail15normal_iteratorINSA_10device_ptrIiEEEEPS6_SG_NS0_5tupleIJSF_SF_EEENSH_IJSG_SG_EEES6_PlJ7is_evenIiEEEE10hipError_tPvRmT3_T4_T5_T6_T7_T9_mT8_P12ihipStream_tbDpT10_ENKUlT_T0_E_clISt17integral_constantIbLb1EES16_EEDaS11_S12_EUlS11_E_NS1_11comp_targetILNS1_3genE0ELNS1_11target_archE4294967295ELNS1_3gpuE0ELNS1_3repE0EEENS1_30default_config_static_selectorELNS0_4arch9wavefront6targetE1EEEvT1_
	.p2align	8
	.type	_ZN7rocprim17ROCPRIM_400000_NS6detail17trampoline_kernelINS0_14default_configENS1_25partition_config_selectorILNS1_17partition_subalgoE0EiNS0_10empty_typeEbEEZZNS1_14partition_implILS5_0ELb0ES3_jN6thrust23THRUST_200600_302600_NS6detail15normal_iteratorINSA_10device_ptrIiEEEEPS6_SG_NS0_5tupleIJSF_SF_EEENSH_IJSG_SG_EEES6_PlJ7is_evenIiEEEE10hipError_tPvRmT3_T4_T5_T6_T7_T9_mT8_P12ihipStream_tbDpT10_ENKUlT_T0_E_clISt17integral_constantIbLb1EES16_EEDaS11_S12_EUlS11_E_NS1_11comp_targetILNS1_3genE0ELNS1_11target_archE4294967295ELNS1_3gpuE0ELNS1_3repE0EEENS1_30default_config_static_selectorELNS0_4arch9wavefront6targetE1EEEvT1_,@function
_ZN7rocprim17ROCPRIM_400000_NS6detail17trampoline_kernelINS0_14default_configENS1_25partition_config_selectorILNS1_17partition_subalgoE0EiNS0_10empty_typeEbEEZZNS1_14partition_implILS5_0ELb0ES3_jN6thrust23THRUST_200600_302600_NS6detail15normal_iteratorINSA_10device_ptrIiEEEEPS6_SG_NS0_5tupleIJSF_SF_EEENSH_IJSG_SG_EEES6_PlJ7is_evenIiEEEE10hipError_tPvRmT3_T4_T5_T6_T7_T9_mT8_P12ihipStream_tbDpT10_ENKUlT_T0_E_clISt17integral_constantIbLb1EES16_EEDaS11_S12_EUlS11_E_NS1_11comp_targetILNS1_3genE0ELNS1_11target_archE4294967295ELNS1_3gpuE0ELNS1_3repE0EEENS1_30default_config_static_selectorELNS0_4arch9wavefront6targetE1EEEvT1_: ; @_ZN7rocprim17ROCPRIM_400000_NS6detail17trampoline_kernelINS0_14default_configENS1_25partition_config_selectorILNS1_17partition_subalgoE0EiNS0_10empty_typeEbEEZZNS1_14partition_implILS5_0ELb0ES3_jN6thrust23THRUST_200600_302600_NS6detail15normal_iteratorINSA_10device_ptrIiEEEEPS6_SG_NS0_5tupleIJSF_SF_EEENSH_IJSG_SG_EEES6_PlJ7is_evenIiEEEE10hipError_tPvRmT3_T4_T5_T6_T7_T9_mT8_P12ihipStream_tbDpT10_ENKUlT_T0_E_clISt17integral_constantIbLb1EES16_EEDaS11_S12_EUlS11_E_NS1_11comp_targetILNS1_3genE0ELNS1_11target_archE4294967295ELNS1_3gpuE0ELNS1_3repE0EEENS1_30default_config_static_selectorELNS0_4arch9wavefront6targetE1EEEvT1_
; %bb.0:
	.section	.rodata,"a",@progbits
	.p2align	6, 0x0
	.amdhsa_kernel _ZN7rocprim17ROCPRIM_400000_NS6detail17trampoline_kernelINS0_14default_configENS1_25partition_config_selectorILNS1_17partition_subalgoE0EiNS0_10empty_typeEbEEZZNS1_14partition_implILS5_0ELb0ES3_jN6thrust23THRUST_200600_302600_NS6detail15normal_iteratorINSA_10device_ptrIiEEEEPS6_SG_NS0_5tupleIJSF_SF_EEENSH_IJSG_SG_EEES6_PlJ7is_evenIiEEEE10hipError_tPvRmT3_T4_T5_T6_T7_T9_mT8_P12ihipStream_tbDpT10_ENKUlT_T0_E_clISt17integral_constantIbLb1EES16_EEDaS11_S12_EUlS11_E_NS1_11comp_targetILNS1_3genE0ELNS1_11target_archE4294967295ELNS1_3gpuE0ELNS1_3repE0EEENS1_30default_config_static_selectorELNS0_4arch9wavefront6targetE1EEEvT1_
		.amdhsa_group_segment_fixed_size 0
		.amdhsa_private_segment_fixed_size 0
		.amdhsa_kernarg_size 136
		.amdhsa_user_sgpr_count 6
		.amdhsa_user_sgpr_private_segment_buffer 1
		.amdhsa_user_sgpr_dispatch_ptr 0
		.amdhsa_user_sgpr_queue_ptr 0
		.amdhsa_user_sgpr_kernarg_segment_ptr 1
		.amdhsa_user_sgpr_dispatch_id 0
		.amdhsa_user_sgpr_flat_scratch_init 0
		.amdhsa_user_sgpr_kernarg_preload_length 0
		.amdhsa_user_sgpr_kernarg_preload_offset 0
		.amdhsa_user_sgpr_private_segment_size 0
		.amdhsa_uses_dynamic_stack 0
		.amdhsa_system_sgpr_private_segment_wavefront_offset 0
		.amdhsa_system_sgpr_workgroup_id_x 1
		.amdhsa_system_sgpr_workgroup_id_y 0
		.amdhsa_system_sgpr_workgroup_id_z 0
		.amdhsa_system_sgpr_workgroup_info 0
		.amdhsa_system_vgpr_workitem_id 0
		.amdhsa_next_free_vgpr 1
		.amdhsa_next_free_sgpr 0
		.amdhsa_accum_offset 4
		.amdhsa_reserve_vcc 0
		.amdhsa_reserve_flat_scratch 0
		.amdhsa_float_round_mode_32 0
		.amdhsa_float_round_mode_16_64 0
		.amdhsa_float_denorm_mode_32 3
		.amdhsa_float_denorm_mode_16_64 3
		.amdhsa_dx10_clamp 1
		.amdhsa_ieee_mode 1
		.amdhsa_fp16_overflow 0
		.amdhsa_tg_split 0
		.amdhsa_exception_fp_ieee_invalid_op 0
		.amdhsa_exception_fp_denorm_src 0
		.amdhsa_exception_fp_ieee_div_zero 0
		.amdhsa_exception_fp_ieee_overflow 0
		.amdhsa_exception_fp_ieee_underflow 0
		.amdhsa_exception_fp_ieee_inexact 0
		.amdhsa_exception_int_div_zero 0
	.end_amdhsa_kernel
	.section	.text._ZN7rocprim17ROCPRIM_400000_NS6detail17trampoline_kernelINS0_14default_configENS1_25partition_config_selectorILNS1_17partition_subalgoE0EiNS0_10empty_typeEbEEZZNS1_14partition_implILS5_0ELb0ES3_jN6thrust23THRUST_200600_302600_NS6detail15normal_iteratorINSA_10device_ptrIiEEEEPS6_SG_NS0_5tupleIJSF_SF_EEENSH_IJSG_SG_EEES6_PlJ7is_evenIiEEEE10hipError_tPvRmT3_T4_T5_T6_T7_T9_mT8_P12ihipStream_tbDpT10_ENKUlT_T0_E_clISt17integral_constantIbLb1EES16_EEDaS11_S12_EUlS11_E_NS1_11comp_targetILNS1_3genE0ELNS1_11target_archE4294967295ELNS1_3gpuE0ELNS1_3repE0EEENS1_30default_config_static_selectorELNS0_4arch9wavefront6targetE1EEEvT1_,"axG",@progbits,_ZN7rocprim17ROCPRIM_400000_NS6detail17trampoline_kernelINS0_14default_configENS1_25partition_config_selectorILNS1_17partition_subalgoE0EiNS0_10empty_typeEbEEZZNS1_14partition_implILS5_0ELb0ES3_jN6thrust23THRUST_200600_302600_NS6detail15normal_iteratorINSA_10device_ptrIiEEEEPS6_SG_NS0_5tupleIJSF_SF_EEENSH_IJSG_SG_EEES6_PlJ7is_evenIiEEEE10hipError_tPvRmT3_T4_T5_T6_T7_T9_mT8_P12ihipStream_tbDpT10_ENKUlT_T0_E_clISt17integral_constantIbLb1EES16_EEDaS11_S12_EUlS11_E_NS1_11comp_targetILNS1_3genE0ELNS1_11target_archE4294967295ELNS1_3gpuE0ELNS1_3repE0EEENS1_30default_config_static_selectorELNS0_4arch9wavefront6targetE1EEEvT1_,comdat
.Lfunc_end329:
	.size	_ZN7rocprim17ROCPRIM_400000_NS6detail17trampoline_kernelINS0_14default_configENS1_25partition_config_selectorILNS1_17partition_subalgoE0EiNS0_10empty_typeEbEEZZNS1_14partition_implILS5_0ELb0ES3_jN6thrust23THRUST_200600_302600_NS6detail15normal_iteratorINSA_10device_ptrIiEEEEPS6_SG_NS0_5tupleIJSF_SF_EEENSH_IJSG_SG_EEES6_PlJ7is_evenIiEEEE10hipError_tPvRmT3_T4_T5_T6_T7_T9_mT8_P12ihipStream_tbDpT10_ENKUlT_T0_E_clISt17integral_constantIbLb1EES16_EEDaS11_S12_EUlS11_E_NS1_11comp_targetILNS1_3genE0ELNS1_11target_archE4294967295ELNS1_3gpuE0ELNS1_3repE0EEENS1_30default_config_static_selectorELNS0_4arch9wavefront6targetE1EEEvT1_, .Lfunc_end329-_ZN7rocprim17ROCPRIM_400000_NS6detail17trampoline_kernelINS0_14default_configENS1_25partition_config_selectorILNS1_17partition_subalgoE0EiNS0_10empty_typeEbEEZZNS1_14partition_implILS5_0ELb0ES3_jN6thrust23THRUST_200600_302600_NS6detail15normal_iteratorINSA_10device_ptrIiEEEEPS6_SG_NS0_5tupleIJSF_SF_EEENSH_IJSG_SG_EEES6_PlJ7is_evenIiEEEE10hipError_tPvRmT3_T4_T5_T6_T7_T9_mT8_P12ihipStream_tbDpT10_ENKUlT_T0_E_clISt17integral_constantIbLb1EES16_EEDaS11_S12_EUlS11_E_NS1_11comp_targetILNS1_3genE0ELNS1_11target_archE4294967295ELNS1_3gpuE0ELNS1_3repE0EEENS1_30default_config_static_selectorELNS0_4arch9wavefront6targetE1EEEvT1_
                                        ; -- End function
	.section	.AMDGPU.csdata,"",@progbits
; Kernel info:
; codeLenInByte = 0
; NumSgprs: 4
; NumVgprs: 0
; NumAgprs: 0
; TotalNumVgprs: 0
; ScratchSize: 0
; MemoryBound: 0
; FloatMode: 240
; IeeeMode: 1
; LDSByteSize: 0 bytes/workgroup (compile time only)
; SGPRBlocks: 0
; VGPRBlocks: 0
; NumSGPRsForWavesPerEU: 4
; NumVGPRsForWavesPerEU: 1
; AccumOffset: 4
; Occupancy: 8
; WaveLimiterHint : 0
; COMPUTE_PGM_RSRC2:SCRATCH_EN: 0
; COMPUTE_PGM_RSRC2:USER_SGPR: 6
; COMPUTE_PGM_RSRC2:TRAP_HANDLER: 0
; COMPUTE_PGM_RSRC2:TGID_X_EN: 1
; COMPUTE_PGM_RSRC2:TGID_Y_EN: 0
; COMPUTE_PGM_RSRC2:TGID_Z_EN: 0
; COMPUTE_PGM_RSRC2:TIDIG_COMP_CNT: 0
; COMPUTE_PGM_RSRC3_GFX90A:ACCUM_OFFSET: 0
; COMPUTE_PGM_RSRC3_GFX90A:TG_SPLIT: 0
	.section	.text._ZN7rocprim17ROCPRIM_400000_NS6detail17trampoline_kernelINS0_14default_configENS1_25partition_config_selectorILNS1_17partition_subalgoE0EiNS0_10empty_typeEbEEZZNS1_14partition_implILS5_0ELb0ES3_jN6thrust23THRUST_200600_302600_NS6detail15normal_iteratorINSA_10device_ptrIiEEEEPS6_SG_NS0_5tupleIJSF_SF_EEENSH_IJSG_SG_EEES6_PlJ7is_evenIiEEEE10hipError_tPvRmT3_T4_T5_T6_T7_T9_mT8_P12ihipStream_tbDpT10_ENKUlT_T0_E_clISt17integral_constantIbLb1EES16_EEDaS11_S12_EUlS11_E_NS1_11comp_targetILNS1_3genE5ELNS1_11target_archE942ELNS1_3gpuE9ELNS1_3repE0EEENS1_30default_config_static_selectorELNS0_4arch9wavefront6targetE1EEEvT1_,"axG",@progbits,_ZN7rocprim17ROCPRIM_400000_NS6detail17trampoline_kernelINS0_14default_configENS1_25partition_config_selectorILNS1_17partition_subalgoE0EiNS0_10empty_typeEbEEZZNS1_14partition_implILS5_0ELb0ES3_jN6thrust23THRUST_200600_302600_NS6detail15normal_iteratorINSA_10device_ptrIiEEEEPS6_SG_NS0_5tupleIJSF_SF_EEENSH_IJSG_SG_EEES6_PlJ7is_evenIiEEEE10hipError_tPvRmT3_T4_T5_T6_T7_T9_mT8_P12ihipStream_tbDpT10_ENKUlT_T0_E_clISt17integral_constantIbLb1EES16_EEDaS11_S12_EUlS11_E_NS1_11comp_targetILNS1_3genE5ELNS1_11target_archE942ELNS1_3gpuE9ELNS1_3repE0EEENS1_30default_config_static_selectorELNS0_4arch9wavefront6targetE1EEEvT1_,comdat
	.protected	_ZN7rocprim17ROCPRIM_400000_NS6detail17trampoline_kernelINS0_14default_configENS1_25partition_config_selectorILNS1_17partition_subalgoE0EiNS0_10empty_typeEbEEZZNS1_14partition_implILS5_0ELb0ES3_jN6thrust23THRUST_200600_302600_NS6detail15normal_iteratorINSA_10device_ptrIiEEEEPS6_SG_NS0_5tupleIJSF_SF_EEENSH_IJSG_SG_EEES6_PlJ7is_evenIiEEEE10hipError_tPvRmT3_T4_T5_T6_T7_T9_mT8_P12ihipStream_tbDpT10_ENKUlT_T0_E_clISt17integral_constantIbLb1EES16_EEDaS11_S12_EUlS11_E_NS1_11comp_targetILNS1_3genE5ELNS1_11target_archE942ELNS1_3gpuE9ELNS1_3repE0EEENS1_30default_config_static_selectorELNS0_4arch9wavefront6targetE1EEEvT1_ ; -- Begin function _ZN7rocprim17ROCPRIM_400000_NS6detail17trampoline_kernelINS0_14default_configENS1_25partition_config_selectorILNS1_17partition_subalgoE0EiNS0_10empty_typeEbEEZZNS1_14partition_implILS5_0ELb0ES3_jN6thrust23THRUST_200600_302600_NS6detail15normal_iteratorINSA_10device_ptrIiEEEEPS6_SG_NS0_5tupleIJSF_SF_EEENSH_IJSG_SG_EEES6_PlJ7is_evenIiEEEE10hipError_tPvRmT3_T4_T5_T6_T7_T9_mT8_P12ihipStream_tbDpT10_ENKUlT_T0_E_clISt17integral_constantIbLb1EES16_EEDaS11_S12_EUlS11_E_NS1_11comp_targetILNS1_3genE5ELNS1_11target_archE942ELNS1_3gpuE9ELNS1_3repE0EEENS1_30default_config_static_selectorELNS0_4arch9wavefront6targetE1EEEvT1_
	.globl	_ZN7rocprim17ROCPRIM_400000_NS6detail17trampoline_kernelINS0_14default_configENS1_25partition_config_selectorILNS1_17partition_subalgoE0EiNS0_10empty_typeEbEEZZNS1_14partition_implILS5_0ELb0ES3_jN6thrust23THRUST_200600_302600_NS6detail15normal_iteratorINSA_10device_ptrIiEEEEPS6_SG_NS0_5tupleIJSF_SF_EEENSH_IJSG_SG_EEES6_PlJ7is_evenIiEEEE10hipError_tPvRmT3_T4_T5_T6_T7_T9_mT8_P12ihipStream_tbDpT10_ENKUlT_T0_E_clISt17integral_constantIbLb1EES16_EEDaS11_S12_EUlS11_E_NS1_11comp_targetILNS1_3genE5ELNS1_11target_archE942ELNS1_3gpuE9ELNS1_3repE0EEENS1_30default_config_static_selectorELNS0_4arch9wavefront6targetE1EEEvT1_
	.p2align	8
	.type	_ZN7rocprim17ROCPRIM_400000_NS6detail17trampoline_kernelINS0_14default_configENS1_25partition_config_selectorILNS1_17partition_subalgoE0EiNS0_10empty_typeEbEEZZNS1_14partition_implILS5_0ELb0ES3_jN6thrust23THRUST_200600_302600_NS6detail15normal_iteratorINSA_10device_ptrIiEEEEPS6_SG_NS0_5tupleIJSF_SF_EEENSH_IJSG_SG_EEES6_PlJ7is_evenIiEEEE10hipError_tPvRmT3_T4_T5_T6_T7_T9_mT8_P12ihipStream_tbDpT10_ENKUlT_T0_E_clISt17integral_constantIbLb1EES16_EEDaS11_S12_EUlS11_E_NS1_11comp_targetILNS1_3genE5ELNS1_11target_archE942ELNS1_3gpuE9ELNS1_3repE0EEENS1_30default_config_static_selectorELNS0_4arch9wavefront6targetE1EEEvT1_,@function
_ZN7rocprim17ROCPRIM_400000_NS6detail17trampoline_kernelINS0_14default_configENS1_25partition_config_selectorILNS1_17partition_subalgoE0EiNS0_10empty_typeEbEEZZNS1_14partition_implILS5_0ELb0ES3_jN6thrust23THRUST_200600_302600_NS6detail15normal_iteratorINSA_10device_ptrIiEEEEPS6_SG_NS0_5tupleIJSF_SF_EEENSH_IJSG_SG_EEES6_PlJ7is_evenIiEEEE10hipError_tPvRmT3_T4_T5_T6_T7_T9_mT8_P12ihipStream_tbDpT10_ENKUlT_T0_E_clISt17integral_constantIbLb1EES16_EEDaS11_S12_EUlS11_E_NS1_11comp_targetILNS1_3genE5ELNS1_11target_archE942ELNS1_3gpuE9ELNS1_3repE0EEENS1_30default_config_static_selectorELNS0_4arch9wavefront6targetE1EEEvT1_: ; @_ZN7rocprim17ROCPRIM_400000_NS6detail17trampoline_kernelINS0_14default_configENS1_25partition_config_selectorILNS1_17partition_subalgoE0EiNS0_10empty_typeEbEEZZNS1_14partition_implILS5_0ELb0ES3_jN6thrust23THRUST_200600_302600_NS6detail15normal_iteratorINSA_10device_ptrIiEEEEPS6_SG_NS0_5tupleIJSF_SF_EEENSH_IJSG_SG_EEES6_PlJ7is_evenIiEEEE10hipError_tPvRmT3_T4_T5_T6_T7_T9_mT8_P12ihipStream_tbDpT10_ENKUlT_T0_E_clISt17integral_constantIbLb1EES16_EEDaS11_S12_EUlS11_E_NS1_11comp_targetILNS1_3genE5ELNS1_11target_archE942ELNS1_3gpuE9ELNS1_3repE0EEENS1_30default_config_static_selectorELNS0_4arch9wavefront6targetE1EEEvT1_
; %bb.0:
	.section	.rodata,"a",@progbits
	.p2align	6, 0x0
	.amdhsa_kernel _ZN7rocprim17ROCPRIM_400000_NS6detail17trampoline_kernelINS0_14default_configENS1_25partition_config_selectorILNS1_17partition_subalgoE0EiNS0_10empty_typeEbEEZZNS1_14partition_implILS5_0ELb0ES3_jN6thrust23THRUST_200600_302600_NS6detail15normal_iteratorINSA_10device_ptrIiEEEEPS6_SG_NS0_5tupleIJSF_SF_EEENSH_IJSG_SG_EEES6_PlJ7is_evenIiEEEE10hipError_tPvRmT3_T4_T5_T6_T7_T9_mT8_P12ihipStream_tbDpT10_ENKUlT_T0_E_clISt17integral_constantIbLb1EES16_EEDaS11_S12_EUlS11_E_NS1_11comp_targetILNS1_3genE5ELNS1_11target_archE942ELNS1_3gpuE9ELNS1_3repE0EEENS1_30default_config_static_selectorELNS0_4arch9wavefront6targetE1EEEvT1_
		.amdhsa_group_segment_fixed_size 0
		.amdhsa_private_segment_fixed_size 0
		.amdhsa_kernarg_size 136
		.amdhsa_user_sgpr_count 6
		.amdhsa_user_sgpr_private_segment_buffer 1
		.amdhsa_user_sgpr_dispatch_ptr 0
		.amdhsa_user_sgpr_queue_ptr 0
		.amdhsa_user_sgpr_kernarg_segment_ptr 1
		.amdhsa_user_sgpr_dispatch_id 0
		.amdhsa_user_sgpr_flat_scratch_init 0
		.amdhsa_user_sgpr_kernarg_preload_length 0
		.amdhsa_user_sgpr_kernarg_preload_offset 0
		.amdhsa_user_sgpr_private_segment_size 0
		.amdhsa_uses_dynamic_stack 0
		.amdhsa_system_sgpr_private_segment_wavefront_offset 0
		.amdhsa_system_sgpr_workgroup_id_x 1
		.amdhsa_system_sgpr_workgroup_id_y 0
		.amdhsa_system_sgpr_workgroup_id_z 0
		.amdhsa_system_sgpr_workgroup_info 0
		.amdhsa_system_vgpr_workitem_id 0
		.amdhsa_next_free_vgpr 1
		.amdhsa_next_free_sgpr 0
		.amdhsa_accum_offset 4
		.amdhsa_reserve_vcc 0
		.amdhsa_reserve_flat_scratch 0
		.amdhsa_float_round_mode_32 0
		.amdhsa_float_round_mode_16_64 0
		.amdhsa_float_denorm_mode_32 3
		.amdhsa_float_denorm_mode_16_64 3
		.amdhsa_dx10_clamp 1
		.amdhsa_ieee_mode 1
		.amdhsa_fp16_overflow 0
		.amdhsa_tg_split 0
		.amdhsa_exception_fp_ieee_invalid_op 0
		.amdhsa_exception_fp_denorm_src 0
		.amdhsa_exception_fp_ieee_div_zero 0
		.amdhsa_exception_fp_ieee_overflow 0
		.amdhsa_exception_fp_ieee_underflow 0
		.amdhsa_exception_fp_ieee_inexact 0
		.amdhsa_exception_int_div_zero 0
	.end_amdhsa_kernel
	.section	.text._ZN7rocprim17ROCPRIM_400000_NS6detail17trampoline_kernelINS0_14default_configENS1_25partition_config_selectorILNS1_17partition_subalgoE0EiNS0_10empty_typeEbEEZZNS1_14partition_implILS5_0ELb0ES3_jN6thrust23THRUST_200600_302600_NS6detail15normal_iteratorINSA_10device_ptrIiEEEEPS6_SG_NS0_5tupleIJSF_SF_EEENSH_IJSG_SG_EEES6_PlJ7is_evenIiEEEE10hipError_tPvRmT3_T4_T5_T6_T7_T9_mT8_P12ihipStream_tbDpT10_ENKUlT_T0_E_clISt17integral_constantIbLb1EES16_EEDaS11_S12_EUlS11_E_NS1_11comp_targetILNS1_3genE5ELNS1_11target_archE942ELNS1_3gpuE9ELNS1_3repE0EEENS1_30default_config_static_selectorELNS0_4arch9wavefront6targetE1EEEvT1_,"axG",@progbits,_ZN7rocprim17ROCPRIM_400000_NS6detail17trampoline_kernelINS0_14default_configENS1_25partition_config_selectorILNS1_17partition_subalgoE0EiNS0_10empty_typeEbEEZZNS1_14partition_implILS5_0ELb0ES3_jN6thrust23THRUST_200600_302600_NS6detail15normal_iteratorINSA_10device_ptrIiEEEEPS6_SG_NS0_5tupleIJSF_SF_EEENSH_IJSG_SG_EEES6_PlJ7is_evenIiEEEE10hipError_tPvRmT3_T4_T5_T6_T7_T9_mT8_P12ihipStream_tbDpT10_ENKUlT_T0_E_clISt17integral_constantIbLb1EES16_EEDaS11_S12_EUlS11_E_NS1_11comp_targetILNS1_3genE5ELNS1_11target_archE942ELNS1_3gpuE9ELNS1_3repE0EEENS1_30default_config_static_selectorELNS0_4arch9wavefront6targetE1EEEvT1_,comdat
.Lfunc_end330:
	.size	_ZN7rocprim17ROCPRIM_400000_NS6detail17trampoline_kernelINS0_14default_configENS1_25partition_config_selectorILNS1_17partition_subalgoE0EiNS0_10empty_typeEbEEZZNS1_14partition_implILS5_0ELb0ES3_jN6thrust23THRUST_200600_302600_NS6detail15normal_iteratorINSA_10device_ptrIiEEEEPS6_SG_NS0_5tupleIJSF_SF_EEENSH_IJSG_SG_EEES6_PlJ7is_evenIiEEEE10hipError_tPvRmT3_T4_T5_T6_T7_T9_mT8_P12ihipStream_tbDpT10_ENKUlT_T0_E_clISt17integral_constantIbLb1EES16_EEDaS11_S12_EUlS11_E_NS1_11comp_targetILNS1_3genE5ELNS1_11target_archE942ELNS1_3gpuE9ELNS1_3repE0EEENS1_30default_config_static_selectorELNS0_4arch9wavefront6targetE1EEEvT1_, .Lfunc_end330-_ZN7rocprim17ROCPRIM_400000_NS6detail17trampoline_kernelINS0_14default_configENS1_25partition_config_selectorILNS1_17partition_subalgoE0EiNS0_10empty_typeEbEEZZNS1_14partition_implILS5_0ELb0ES3_jN6thrust23THRUST_200600_302600_NS6detail15normal_iteratorINSA_10device_ptrIiEEEEPS6_SG_NS0_5tupleIJSF_SF_EEENSH_IJSG_SG_EEES6_PlJ7is_evenIiEEEE10hipError_tPvRmT3_T4_T5_T6_T7_T9_mT8_P12ihipStream_tbDpT10_ENKUlT_T0_E_clISt17integral_constantIbLb1EES16_EEDaS11_S12_EUlS11_E_NS1_11comp_targetILNS1_3genE5ELNS1_11target_archE942ELNS1_3gpuE9ELNS1_3repE0EEENS1_30default_config_static_selectorELNS0_4arch9wavefront6targetE1EEEvT1_
                                        ; -- End function
	.section	.AMDGPU.csdata,"",@progbits
; Kernel info:
; codeLenInByte = 0
; NumSgprs: 4
; NumVgprs: 0
; NumAgprs: 0
; TotalNumVgprs: 0
; ScratchSize: 0
; MemoryBound: 0
; FloatMode: 240
; IeeeMode: 1
; LDSByteSize: 0 bytes/workgroup (compile time only)
; SGPRBlocks: 0
; VGPRBlocks: 0
; NumSGPRsForWavesPerEU: 4
; NumVGPRsForWavesPerEU: 1
; AccumOffset: 4
; Occupancy: 8
; WaveLimiterHint : 0
; COMPUTE_PGM_RSRC2:SCRATCH_EN: 0
; COMPUTE_PGM_RSRC2:USER_SGPR: 6
; COMPUTE_PGM_RSRC2:TRAP_HANDLER: 0
; COMPUTE_PGM_RSRC2:TGID_X_EN: 1
; COMPUTE_PGM_RSRC2:TGID_Y_EN: 0
; COMPUTE_PGM_RSRC2:TGID_Z_EN: 0
; COMPUTE_PGM_RSRC2:TIDIG_COMP_CNT: 0
; COMPUTE_PGM_RSRC3_GFX90A:ACCUM_OFFSET: 0
; COMPUTE_PGM_RSRC3_GFX90A:TG_SPLIT: 0
	.section	.text._ZN7rocprim17ROCPRIM_400000_NS6detail17trampoline_kernelINS0_14default_configENS1_25partition_config_selectorILNS1_17partition_subalgoE0EiNS0_10empty_typeEbEEZZNS1_14partition_implILS5_0ELb0ES3_jN6thrust23THRUST_200600_302600_NS6detail15normal_iteratorINSA_10device_ptrIiEEEEPS6_SG_NS0_5tupleIJSF_SF_EEENSH_IJSG_SG_EEES6_PlJ7is_evenIiEEEE10hipError_tPvRmT3_T4_T5_T6_T7_T9_mT8_P12ihipStream_tbDpT10_ENKUlT_T0_E_clISt17integral_constantIbLb1EES16_EEDaS11_S12_EUlS11_E_NS1_11comp_targetILNS1_3genE4ELNS1_11target_archE910ELNS1_3gpuE8ELNS1_3repE0EEENS1_30default_config_static_selectorELNS0_4arch9wavefront6targetE1EEEvT1_,"axG",@progbits,_ZN7rocprim17ROCPRIM_400000_NS6detail17trampoline_kernelINS0_14default_configENS1_25partition_config_selectorILNS1_17partition_subalgoE0EiNS0_10empty_typeEbEEZZNS1_14partition_implILS5_0ELb0ES3_jN6thrust23THRUST_200600_302600_NS6detail15normal_iteratorINSA_10device_ptrIiEEEEPS6_SG_NS0_5tupleIJSF_SF_EEENSH_IJSG_SG_EEES6_PlJ7is_evenIiEEEE10hipError_tPvRmT3_T4_T5_T6_T7_T9_mT8_P12ihipStream_tbDpT10_ENKUlT_T0_E_clISt17integral_constantIbLb1EES16_EEDaS11_S12_EUlS11_E_NS1_11comp_targetILNS1_3genE4ELNS1_11target_archE910ELNS1_3gpuE8ELNS1_3repE0EEENS1_30default_config_static_selectorELNS0_4arch9wavefront6targetE1EEEvT1_,comdat
	.protected	_ZN7rocprim17ROCPRIM_400000_NS6detail17trampoline_kernelINS0_14default_configENS1_25partition_config_selectorILNS1_17partition_subalgoE0EiNS0_10empty_typeEbEEZZNS1_14partition_implILS5_0ELb0ES3_jN6thrust23THRUST_200600_302600_NS6detail15normal_iteratorINSA_10device_ptrIiEEEEPS6_SG_NS0_5tupleIJSF_SF_EEENSH_IJSG_SG_EEES6_PlJ7is_evenIiEEEE10hipError_tPvRmT3_T4_T5_T6_T7_T9_mT8_P12ihipStream_tbDpT10_ENKUlT_T0_E_clISt17integral_constantIbLb1EES16_EEDaS11_S12_EUlS11_E_NS1_11comp_targetILNS1_3genE4ELNS1_11target_archE910ELNS1_3gpuE8ELNS1_3repE0EEENS1_30default_config_static_selectorELNS0_4arch9wavefront6targetE1EEEvT1_ ; -- Begin function _ZN7rocprim17ROCPRIM_400000_NS6detail17trampoline_kernelINS0_14default_configENS1_25partition_config_selectorILNS1_17partition_subalgoE0EiNS0_10empty_typeEbEEZZNS1_14partition_implILS5_0ELb0ES3_jN6thrust23THRUST_200600_302600_NS6detail15normal_iteratorINSA_10device_ptrIiEEEEPS6_SG_NS0_5tupleIJSF_SF_EEENSH_IJSG_SG_EEES6_PlJ7is_evenIiEEEE10hipError_tPvRmT3_T4_T5_T6_T7_T9_mT8_P12ihipStream_tbDpT10_ENKUlT_T0_E_clISt17integral_constantIbLb1EES16_EEDaS11_S12_EUlS11_E_NS1_11comp_targetILNS1_3genE4ELNS1_11target_archE910ELNS1_3gpuE8ELNS1_3repE0EEENS1_30default_config_static_selectorELNS0_4arch9wavefront6targetE1EEEvT1_
	.globl	_ZN7rocprim17ROCPRIM_400000_NS6detail17trampoline_kernelINS0_14default_configENS1_25partition_config_selectorILNS1_17partition_subalgoE0EiNS0_10empty_typeEbEEZZNS1_14partition_implILS5_0ELb0ES3_jN6thrust23THRUST_200600_302600_NS6detail15normal_iteratorINSA_10device_ptrIiEEEEPS6_SG_NS0_5tupleIJSF_SF_EEENSH_IJSG_SG_EEES6_PlJ7is_evenIiEEEE10hipError_tPvRmT3_T4_T5_T6_T7_T9_mT8_P12ihipStream_tbDpT10_ENKUlT_T0_E_clISt17integral_constantIbLb1EES16_EEDaS11_S12_EUlS11_E_NS1_11comp_targetILNS1_3genE4ELNS1_11target_archE910ELNS1_3gpuE8ELNS1_3repE0EEENS1_30default_config_static_selectorELNS0_4arch9wavefront6targetE1EEEvT1_
	.p2align	8
	.type	_ZN7rocprim17ROCPRIM_400000_NS6detail17trampoline_kernelINS0_14default_configENS1_25partition_config_selectorILNS1_17partition_subalgoE0EiNS0_10empty_typeEbEEZZNS1_14partition_implILS5_0ELb0ES3_jN6thrust23THRUST_200600_302600_NS6detail15normal_iteratorINSA_10device_ptrIiEEEEPS6_SG_NS0_5tupleIJSF_SF_EEENSH_IJSG_SG_EEES6_PlJ7is_evenIiEEEE10hipError_tPvRmT3_T4_T5_T6_T7_T9_mT8_P12ihipStream_tbDpT10_ENKUlT_T0_E_clISt17integral_constantIbLb1EES16_EEDaS11_S12_EUlS11_E_NS1_11comp_targetILNS1_3genE4ELNS1_11target_archE910ELNS1_3gpuE8ELNS1_3repE0EEENS1_30default_config_static_selectorELNS0_4arch9wavefront6targetE1EEEvT1_,@function
_ZN7rocprim17ROCPRIM_400000_NS6detail17trampoline_kernelINS0_14default_configENS1_25partition_config_selectorILNS1_17partition_subalgoE0EiNS0_10empty_typeEbEEZZNS1_14partition_implILS5_0ELb0ES3_jN6thrust23THRUST_200600_302600_NS6detail15normal_iteratorINSA_10device_ptrIiEEEEPS6_SG_NS0_5tupleIJSF_SF_EEENSH_IJSG_SG_EEES6_PlJ7is_evenIiEEEE10hipError_tPvRmT3_T4_T5_T6_T7_T9_mT8_P12ihipStream_tbDpT10_ENKUlT_T0_E_clISt17integral_constantIbLb1EES16_EEDaS11_S12_EUlS11_E_NS1_11comp_targetILNS1_3genE4ELNS1_11target_archE910ELNS1_3gpuE8ELNS1_3repE0EEENS1_30default_config_static_selectorELNS0_4arch9wavefront6targetE1EEEvT1_: ; @_ZN7rocprim17ROCPRIM_400000_NS6detail17trampoline_kernelINS0_14default_configENS1_25partition_config_selectorILNS1_17partition_subalgoE0EiNS0_10empty_typeEbEEZZNS1_14partition_implILS5_0ELb0ES3_jN6thrust23THRUST_200600_302600_NS6detail15normal_iteratorINSA_10device_ptrIiEEEEPS6_SG_NS0_5tupleIJSF_SF_EEENSH_IJSG_SG_EEES6_PlJ7is_evenIiEEEE10hipError_tPvRmT3_T4_T5_T6_T7_T9_mT8_P12ihipStream_tbDpT10_ENKUlT_T0_E_clISt17integral_constantIbLb1EES16_EEDaS11_S12_EUlS11_E_NS1_11comp_targetILNS1_3genE4ELNS1_11target_archE910ELNS1_3gpuE8ELNS1_3repE0EEENS1_30default_config_static_selectorELNS0_4arch9wavefront6targetE1EEEvT1_
; %bb.0:
	s_load_dwordx2 s[2:3], s[4:5], 0x58
	s_load_dwordx4 s[20:23], s[4:5], 0x48
	s_load_dwordx2 s[34:35], s[4:5], 0x68
	v_cmp_eq_u32_e64 s[0:1], 0, v0
	s_and_saveexec_b64 s[6:7], s[0:1]
	s_cbranch_execz .LBB331_4
; %bb.1:
	s_mov_b64 s[10:11], exec
	v_mbcnt_lo_u32_b32 v1, s10, 0
	v_mbcnt_hi_u32_b32 v1, s11, v1
	v_cmp_eq_u32_e32 vcc, 0, v1
                                        ; implicit-def: $vgpr2
	s_and_saveexec_b64 s[8:9], vcc
	s_cbranch_execz .LBB331_3
; %bb.2:
	s_load_dwordx2 s[12:13], s[4:5], 0x78
	s_bcnt1_i32_b64 s10, s[10:11]
	v_mov_b32_e32 v2, 0
	v_mov_b32_e32 v3, s10
	s_waitcnt lgkmcnt(0)
	global_atomic_add v2, v2, v3, s[12:13] glc
.LBB331_3:
	s_or_b64 exec, exec, s[8:9]
	s_waitcnt vmcnt(0)
	v_readfirstlane_b32 s8, v2
	v_add_u32_e32 v1, s8, v1
	v_mov_b32_e32 v2, 0
	ds_write_b32 v2, v1
.LBB331_4:
	s_or_b64 exec, exec, s[6:7]
	v_mov_b32_e32 v3, 0
	s_load_dwordx4 s[28:31], s[4:5], 0x8
	s_load_dwordx4 s[24:27], s[4:5], 0x28
	s_load_dword s6, s[4:5], 0x70
	s_waitcnt lgkmcnt(0)
	s_barrier
	ds_read_b32 v1, v3
	s_waitcnt lgkmcnt(0)
	s_barrier
	global_load_dwordx2 v[12:13], v3, s[22:23]
	v_mov_b32_e32 v5, s3
	s_lshl_b64 s[4:5], s[30:31], 2
	s_movk_i32 s3, 0xa00
	s_add_u32 s7, s28, s4
	v_mul_lo_u32 v2, v1, s3
	s_mul_i32 s3, s6, 0xa00
	s_addc_u32 s8, s29, s5
	s_add_i32 s5, s3, s30
	s_sub_i32 s33, s2, s5
	s_add_i32 s4, s6, -1
	s_addk_i32 s33, 0xa00
	v_mov_b32_e32 v4, s2
	s_add_u32 s2, s30, s3
	v_readfirstlane_b32 s40, v1
	s_addc_u32 s3, s31, 0
	s_cmp_eq_u32 s40, s4
	s_cselect_b64 s[22:23], -1, 0
	s_cmp_lg_u32 s40, s4
	v_cmp_lt_u64_e32 vcc, s[2:3], v[4:5]
	s_cselect_b64 s[2:3], -1, 0
	v_lshlrev_b64 v[14:15], 2, v[2:3]
	s_or_b64 s[4:5], vcc, s[2:3]
	v_mov_b32_e32 v1, s8
	v_add_co_u32_e32 v16, vcc, s7, v14
	v_addc_co_u32_e32 v17, vcc, v1, v15, vcc
	s_mov_b64 s[2:3], -1
	s_and_b64 vcc, exec, s[4:5]
	v_lshlrev_b32_e32 v1, 2, v0
	s_cbranch_vccz .LBB331_6
; %bb.5:
	v_add_co_u32_e32 v2, vcc, v16, v1
	v_addc_co_u32_e32 v3, vcc, 0, v17, vcc
	v_add_co_u32_e32 v4, vcc, 0x1000, v2
	v_addc_co_u32_e32 v5, vcc, 0, v3, vcc
	flat_load_dword v6, v[2:3]
	flat_load_dword v7, v[2:3] offset:1024
	flat_load_dword v8, v[2:3] offset:2048
	;; [unrolled: 1-line block ×3, first 2 shown]
	flat_load_dword v10, v[4:5]
	flat_load_dword v11, v[4:5] offset:1024
	flat_load_dword v18, v[4:5] offset:2048
	;; [unrolled: 1-line block ×3, first 2 shown]
	v_add_co_u32_e32 v2, vcc, 0x2000, v2
	v_addc_co_u32_e32 v3, vcc, 0, v3, vcc
	flat_load_dword v4, v[2:3]
	flat_load_dword v5, v[2:3] offset:1024
	s_mov_b64 s[2:3], 0
	s_waitcnt vmcnt(0) lgkmcnt(0)
	ds_write2st64_b32 v1, v6, v7 offset1:4
	ds_write2st64_b32 v1, v8, v9 offset0:8 offset1:12
	ds_write2st64_b32 v1, v10, v11 offset0:16 offset1:20
	;; [unrolled: 1-line block ×4, first 2 shown]
	s_waitcnt lgkmcnt(0)
	s_barrier
.LBB331_6:
	s_andn2_b64 vcc, exec, s[2:3]
	v_cmp_gt_u32_e64 s[2:3], s33, v0
	s_cbranch_vccnz .LBB331_28
; %bb.7:
                                        ; implicit-def: $vgpr2_vgpr3_vgpr4_vgpr5_vgpr6_vgpr7_vgpr8_vgpr9_vgpr10_vgpr11
	s_and_saveexec_b64 s[6:7], s[2:3]
	s_cbranch_execz .LBB331_9
; %bb.8:
	v_add_co_u32_e32 v2, vcc, v16, v1
	v_addc_co_u32_e32 v3, vcc, 0, v17, vcc
	flat_load_dword v2, v[2:3]
.LBB331_9:
	s_or_b64 exec, exec, s[6:7]
	v_or_b32_e32 v18, 0x100, v0
	v_cmp_gt_u32_e32 vcc, s33, v18
	s_and_saveexec_b64 s[2:3], vcc
	s_cbranch_execz .LBB331_11
; %bb.10:
	v_add_co_u32_e32 v18, vcc, v16, v1
	v_addc_co_u32_e32 v19, vcc, 0, v17, vcc
	flat_load_dword v3, v[18:19] offset:1024
.LBB331_11:
	s_or_b64 exec, exec, s[2:3]
	v_or_b32_e32 v18, 0x200, v0
	v_cmp_gt_u32_e32 vcc, s33, v18
	s_and_saveexec_b64 s[2:3], vcc
	s_cbranch_execz .LBB331_13
; %bb.12:
	v_add_co_u32_e32 v18, vcc, v16, v1
	v_addc_co_u32_e32 v19, vcc, 0, v17, vcc
	flat_load_dword v4, v[18:19] offset:2048
.LBB331_13:
	;; [unrolled: 10-line block ×3, first 2 shown]
	s_or_b64 exec, exec, s[2:3]
	v_or_b32_e32 v18, 0x400, v0
	v_cmp_gt_u32_e32 vcc, s33, v18
	s_and_saveexec_b64 s[2:3], vcc
	s_cbranch_execz .LBB331_17
; %bb.16:
	v_lshlrev_b32_e32 v6, 2, v18
	v_add_co_u32_e32 v18, vcc, v16, v6
	v_addc_co_u32_e32 v19, vcc, 0, v17, vcc
	flat_load_dword v6, v[18:19]
.LBB331_17:
	s_or_b64 exec, exec, s[2:3]
	v_or_b32_e32 v18, 0x500, v0
	v_cmp_gt_u32_e32 vcc, s33, v18
	s_and_saveexec_b64 s[2:3], vcc
	s_cbranch_execz .LBB331_19
; %bb.18:
	v_lshlrev_b32_e32 v7, 2, v18
	v_add_co_u32_e32 v18, vcc, v16, v7
	v_addc_co_u32_e32 v19, vcc, 0, v17, vcc
	flat_load_dword v7, v[18:19]
.LBB331_19:
	;; [unrolled: 11-line block ×6, first 2 shown]
	s_or_b64 exec, exec, s[2:3]
	s_waitcnt vmcnt(0) lgkmcnt(0)
	ds_write2st64_b32 v1, v2, v3 offset1:4
	ds_write2st64_b32 v1, v4, v5 offset0:8 offset1:12
	ds_write2st64_b32 v1, v6, v7 offset0:16 offset1:20
	;; [unrolled: 1-line block ×4, first 2 shown]
	s_waitcnt lgkmcnt(0)
	s_barrier
.LBB331_28:
	v_mul_u32_u24_e32 v27, 10, v0
	v_lshlrev_b32_e32 v33, 2, v27
	ds_read2_b64 v[6:9], v33 offset1:1
	ds_read2_b64 v[2:5], v33 offset0:2 offset1:3
	ds_read_b64 v[10:11], v33 offset:32
	v_cndmask_b32_e64 v16, 0, 1, s[4:5]
	v_cmp_ne_u32_e64 s[2:3], 1, v16
	s_andn2_b64 vcc, exec, s[4:5]
	s_waitcnt lgkmcnt(2)
	v_xor_b32_e32 v25, -1, v6
	v_xor_b32_e32 v24, -1, v7
	;; [unrolled: 1-line block ×4, first 2 shown]
	s_waitcnt lgkmcnt(1)
	v_xor_b32_e32 v21, -1, v2
	v_xor_b32_e32 v20, -1, v3
	;; [unrolled: 1-line block ×4, first 2 shown]
	s_waitcnt lgkmcnt(0)
	v_xor_b32_e32 v17, -1, v10
	v_xor_b32_e32 v16, -1, v11
	s_barrier
	s_cbranch_vccnz .LBB331_30
; %bb.29:
	v_mov_b32_e32 v26, 1
	v_and_b32_e32 v29, 1, v25
	v_and_b32_sdwa v30, v24, v26 dst_sel:BYTE_1 dst_unused:UNUSED_PAD src0_sel:DWORD src1_sel:DWORD
	v_and_b32_e32 v31, 1, v23
	v_and_b32_sdwa v32, v22, v26 dst_sel:BYTE_1 dst_unused:UNUSED_PAD src0_sel:DWORD src1_sel:DWORD
	;; [unrolled: 2-line block ×4, first 2 shown]
	v_or_b32_e32 v29, v29, v30
	v_or_b32_sdwa v30, v31, v32 dst_sel:WORD_1 dst_unused:UNUSED_PAD src0_sel:DWORD src1_sel:DWORD
	v_or_b32_sdwa v30, v29, v30 dst_sel:DWORD dst_unused:UNUSED_PAD src0_sel:WORD_0 src1_sel:DWORD
	v_or_b32_e32 v29, v34, v35
	v_or_b32_sdwa v31, v36, v37 dst_sel:WORD_1 dst_unused:UNUSED_PAD src0_sel:DWORD src1_sel:DWORD
	v_and_b32_e32 v28, 1, v17
	v_and_b32_e32 v26, 1, v16
	v_or_b32_sdwa v29, v29, v31 dst_sel:DWORD dst_unused:UNUSED_PAD src0_sel:WORD_0 src1_sel:DWORD
	s_cbranch_execz .LBB331_31
	s_branch .LBB331_32
.LBB331_30:
                                        ; implicit-def: $vgpr26
                                        ; implicit-def: $vgpr28
                                        ; implicit-def: $vgpr29
                                        ; implicit-def: $vgpr30
.LBB331_31:
	v_or_b32_e32 v36, 1, v27
	v_cmp_gt_u32_e32 vcc, s33, v27
	v_add_u32_e32 v26, 2, v27
	v_cndmask_b32_e64 v37, 0, 1, vcc
	v_cmp_gt_u32_e32 vcc, s33, v36
	v_add_u32_e32 v35, 3, v27
	v_cndmask_b32_e64 v36, 0, 1, vcc
	;; [unrolled: 3-line block ×3, first 2 shown]
	v_cmp_gt_u32_e32 vcc, s33, v35
	v_add_u32_e32 v34, 5, v27
	v_and_b32_e32 v23, v26, v23
	v_cndmask_b32_e64 v26, 0, 1, vcc
	v_cmp_gt_u32_e32 vcc, s33, v28
	v_add_u32_e32 v29, 6, v27
	v_and_b32_sdwa v22, v26, v22 dst_sel:BYTE_1 dst_unused:UNUSED_PAD src0_sel:DWORD src1_sel:DWORD
	v_cndmask_b32_e64 v26, 0, 1, vcc
	v_cmp_gt_u32_e32 vcc, s33, v34
	v_add_u32_e32 v32, 7, v27
	v_and_b32_e32 v21, v26, v21
	v_cndmask_b32_e64 v26, 0, 1, vcc
	v_cmp_gt_u32_e32 vcc, s33, v29
	v_add_u32_e32 v30, 8, v27
	v_and_b32_sdwa v20, v26, v20 dst_sel:BYTE_1 dst_unused:UNUSED_PAD src0_sel:DWORD src1_sel:DWORD
	v_cndmask_b32_e64 v26, 0, 1, vcc
	v_cmp_gt_u32_e32 vcc, s33, v32
	v_add_u32_e32 v31, 9, v27
	v_and_b32_e32 v19, v26, v19
	v_cndmask_b32_e64 v26, 0, 1, vcc
	v_cmp_gt_u32_e32 vcc, s33, v30
	v_and_b32_sdwa v18, v26, v18 dst_sel:BYTE_1 dst_unused:UNUSED_PAD src0_sel:DWORD src1_sel:DWORD
	v_cndmask_b32_e64 v26, 0, 1, vcc
	v_cmp_gt_u32_e32 vcc, s33, v31
	v_and_b32_e32 v25, v37, v25
	v_and_b32_sdwa v24, v36, v24 dst_sel:BYTE_1 dst_unused:UNUSED_PAD src0_sel:DWORD src1_sel:DWORD
	v_and_b32_e32 v28, v26, v17
	v_cndmask_b32_e64 v17, 0, 1, vcc
	v_and_b32_e32 v26, v17, v16
	v_or_b32_e32 v16, v25, v24
	v_or_b32_sdwa v17, v23, v22 dst_sel:WORD_1 dst_unused:UNUSED_PAD src0_sel:DWORD src1_sel:DWORD
	v_or_b32_sdwa v30, v16, v17 dst_sel:DWORD dst_unused:UNUSED_PAD src0_sel:WORD_0 src1_sel:DWORD
	v_or_b32_e32 v16, v21, v20
	v_or_b32_sdwa v17, v19, v18 dst_sel:WORD_1 dst_unused:UNUSED_PAD src0_sel:DWORD src1_sel:DWORD
	v_or_b32_sdwa v29, v16, v17 dst_sel:DWORD dst_unused:UNUSED_PAD src0_sel:WORD_0 src1_sel:DWORD
.LBB331_32:
	v_bfe_u32 v34, v30, 16, 8
	v_lshrrev_b32_e32 v32, 24, v30
	v_add_u32_sdwa v17, v30, v30 dst_sel:DWORD dst_unused:UNUSED_PAD src0_sel:BYTE_1 src1_sel:BYTE_0
	v_and_b32_e32 v35, 0xff, v29
	v_bfe_u32 v36, v29, 8, 8
	v_add3_u32 v17, v17, v34, v32
	v_bfe_u32 v37, v29, 16, 8
	v_lshrrev_b32_e32 v31, 24, v29
	v_add3_u32 v17, v17, v35, v36
	v_and_b32_e32 v38, 0xff, v28
	v_and_b32_e32 v16, 0xff, v26
	v_add3_u32 v17, v17, v37, v31
	v_add3_u32 v41, v17, v38, v16
	v_mbcnt_lo_u32_b32 v16, -1, 0
	v_mbcnt_hi_u32_b32 v39, -1, v16
	v_and_b32_e32 v16, 15, v39
	v_cmp_eq_u32_e64 s[16:17], 0, v16
	v_cmp_lt_u32_e64 s[14:15], 1, v16
	v_cmp_lt_u32_e64 s[12:13], 3, v16
	;; [unrolled: 1-line block ×3, first 2 shown]
	v_and_b32_e32 v16, 16, v39
	v_cmp_eq_u32_e64 s[8:9], 0, v16
	v_or_b32_e32 v16, 63, v0
	s_cmp_lg_u32 s40, 0
	v_cmp_lt_u32_e64 s[4:5], 31, v39
	v_lshrrev_b32_e32 v40, 6, v0
	v_cmp_eq_u32_e64 s[6:7], v16, v0
	s_cbranch_scc0 .LBB331_63
; %bb.33:
	v_mov_b32_dpp v16, v41 row_shr:1 row_mask:0xf bank_mask:0xf
	v_cndmask_b32_e64 v16, v16, 0, s[16:17]
	v_add_u32_e32 v16, v16, v41
	s_nop 1
	v_mov_b32_dpp v17, v16 row_shr:2 row_mask:0xf bank_mask:0xf
	v_cndmask_b32_e64 v17, 0, v17, s[14:15]
	v_add_u32_e32 v16, v16, v17
	s_nop 1
	;; [unrolled: 4-line block ×4, first 2 shown]
	v_mov_b32_dpp v17, v16 row_bcast:15 row_mask:0xf bank_mask:0xf
	v_cndmask_b32_e64 v17, v17, 0, s[8:9]
	v_add_u32_e32 v16, v16, v17
	s_nop 1
	v_mov_b32_dpp v17, v16 row_bcast:31 row_mask:0xf bank_mask:0xf
	v_cndmask_b32_e64 v17, 0, v17, s[4:5]
	v_add_u32_e32 v16, v16, v17
	s_and_saveexec_b64 s[18:19], s[6:7]
	s_cbranch_execz .LBB331_35
; %bb.34:
	v_lshlrev_b32_e32 v17, 2, v40
	ds_write_b32 v17, v16
.LBB331_35:
	s_or_b64 exec, exec, s[18:19]
	v_cmp_gt_u32_e32 vcc, 4, v0
	s_waitcnt lgkmcnt(0)
	s_barrier
	s_and_saveexec_b64 s[18:19], vcc
	s_cbranch_execz .LBB331_37
; %bb.36:
	ds_read_b32 v17, v1
	v_and_b32_e32 v18, 3, v39
	v_cmp_ne_u32_e32 vcc, 0, v18
	s_waitcnt lgkmcnt(0)
	v_mov_b32_dpp v19, v17 row_shr:1 row_mask:0xf bank_mask:0xf
	v_cndmask_b32_e32 v19, 0, v19, vcc
	v_add_u32_e32 v17, v19, v17
	v_cmp_lt_u32_e32 vcc, 1, v18
	s_nop 0
	v_mov_b32_dpp v19, v17 row_shr:2 row_mask:0xf bank_mask:0xf
	v_cndmask_b32_e32 v18, 0, v19, vcc
	v_add_u32_e32 v17, v17, v18
	ds_write_b32 v1, v17
.LBB331_37:
	s_or_b64 exec, exec, s[18:19]
	v_cmp_gt_u32_e32 vcc, 64, v0
	v_cmp_lt_u32_e64 s[18:19], 63, v0
	s_waitcnt lgkmcnt(0)
	s_barrier
	s_waitcnt lgkmcnt(0)
                                        ; implicit-def: $vgpr42
	s_and_saveexec_b64 s[28:29], s[18:19]
	s_cbranch_execz .LBB331_39
; %bb.38:
	v_lshl_add_u32 v17, v40, 2, -4
	ds_read_b32 v42, v17
	s_waitcnt lgkmcnt(0)
	v_add_u32_e32 v16, v42, v16
.LBB331_39:
	s_or_b64 exec, exec, s[28:29]
	v_add_u32_e32 v17, -1, v39
	v_and_b32_e32 v18, 64, v39
	v_cmp_lt_i32_e64 s[18:19], v17, v18
	v_cndmask_b32_e64 v17, v17, v39, s[18:19]
	v_lshlrev_b32_e32 v17, 2, v17
	ds_bpermute_b32 v43, v17, v16
	v_cmp_eq_u32_e64 s[18:19], 0, v39
	s_and_saveexec_b64 s[28:29], vcc
	s_cbranch_execz .LBB331_62
; %bb.40:
	v_mov_b32_e32 v25, 0
	ds_read_b32 v16, v25 offset:12
	s_and_saveexec_b64 s[36:37], s[18:19]
	s_cbranch_execz .LBB331_42
; %bb.41:
	s_add_i32 s38, s40, 64
	s_mov_b32 s39, 0
	s_lshl_b64 s[38:39], s[38:39], 3
	s_add_u32 s38, s34, s38
	v_mov_b32_e32 v17, 1
	s_addc_u32 s39, s35, s39
	s_waitcnt lgkmcnt(0)
	global_store_dwordx2 v25, v[16:17], s[38:39]
.LBB331_42:
	s_or_b64 exec, exec, s[36:37]
	v_xad_u32 v18, v39, -1, s40
	v_add_u32_e32 v24, 64, v18
	v_lshlrev_b64 v[20:21], 3, v[24:25]
	v_mov_b32_e32 v17, s35
	v_add_co_u32_e32 v20, vcc, s34, v20
	v_addc_co_u32_e32 v21, vcc, v17, v21, vcc
	global_load_dwordx2 v[22:23], v[20:21], off glc
	s_waitcnt vmcnt(0)
	v_cmp_eq_u16_sdwa s[38:39], v23, v25 src0_sel:BYTE_0 src1_sel:DWORD
	s_and_saveexec_b64 s[36:37], s[38:39]
	s_cbranch_execz .LBB331_48
; %bb.43:
	s_mov_b32 s41, 1
	s_mov_b64 s[38:39], 0
	v_mov_b32_e32 v17, 0
.LBB331_44:                             ; =>This Loop Header: Depth=1
                                        ;     Child Loop BB331_45 Depth 2
	s_max_u32 s42, s41, 1
.LBB331_45:                             ;   Parent Loop BB331_44 Depth=1
                                        ; =>  This Inner Loop Header: Depth=2
	s_add_i32 s42, s42, -1
	s_cmp_eq_u32 s42, 0
	s_sleep 1
	s_cbranch_scc0 .LBB331_45
; %bb.46:                               ;   in Loop: Header=BB331_44 Depth=1
	global_load_dwordx2 v[22:23], v[20:21], off glc
	s_cmp_lt_u32 s41, 32
	s_cselect_b64 s[42:43], -1, 0
	s_cmp_lg_u64 s[42:43], 0
	s_addc_u32 s41, s41, 0
	s_waitcnt vmcnt(0)
	v_cmp_ne_u16_sdwa s[42:43], v23, v17 src0_sel:BYTE_0 src1_sel:DWORD
	s_or_b64 s[38:39], s[42:43], s[38:39]
	s_andn2_b64 exec, exec, s[38:39]
	s_cbranch_execnz .LBB331_44
; %bb.47:
	s_or_b64 exec, exec, s[38:39]
.LBB331_48:
	s_or_b64 exec, exec, s[36:37]
	v_and_b32_e32 v45, 63, v39
	v_mov_b32_e32 v44, 2
	v_cmp_ne_u32_e32 vcc, 63, v45
	v_cmp_eq_u16_sdwa s[36:37], v23, v44 src0_sel:BYTE_0 src1_sel:DWORD
	v_lshlrev_b64 v[20:21], v39, -1
	v_addc_co_u32_e32 v24, vcc, 0, v39, vcc
	v_and_b32_e32 v17, s37, v21
	v_lshlrev_b32_e32 v46, 2, v24
	v_or_b32_e32 v17, 0x80000000, v17
	ds_bpermute_b32 v24, v46, v22
	v_and_b32_e32 v19, s36, v20
	v_ffbl_b32_e32 v17, v17
	v_add_u32_e32 v17, 32, v17
	v_ffbl_b32_e32 v19, v19
	v_min_u32_e32 v17, v19, v17
	v_cmp_lt_u32_e32 vcc, v45, v17
	s_waitcnt lgkmcnt(0)
	v_cndmask_b32_e32 v19, 0, v24, vcc
	v_cmp_gt_u32_e32 vcc, 62, v45
	v_add_u32_e32 v19, v19, v22
	v_cndmask_b32_e64 v22, 0, 1, vcc
	v_lshlrev_b32_e32 v22, 1, v22
	v_add_lshl_u32 v47, v22, v39, 2
	ds_bpermute_b32 v22, v47, v19
	v_add_u32_e32 v48, 2, v45
	v_cmp_le_u32_e32 vcc, v48, v17
	v_add_u32_e32 v50, 4, v45
	v_add_u32_e32 v52, 8, v45
	s_waitcnt lgkmcnt(0)
	v_cndmask_b32_e32 v22, 0, v22, vcc
	v_cmp_gt_u32_e32 vcc, 60, v45
	v_add_u32_e32 v19, v19, v22
	v_cndmask_b32_e64 v22, 0, 1, vcc
	v_lshlrev_b32_e32 v22, 2, v22
	v_add_lshl_u32 v49, v22, v39, 2
	ds_bpermute_b32 v22, v49, v19
	v_cmp_le_u32_e32 vcc, v50, v17
	v_add_u32_e32 v54, 16, v45
	v_add_u32_e32 v56, 32, v45
	s_waitcnt lgkmcnt(0)
	v_cndmask_b32_e32 v22, 0, v22, vcc
	v_cmp_gt_u32_e32 vcc, 56, v45
	v_add_u32_e32 v19, v19, v22
	v_cndmask_b32_e64 v22, 0, 1, vcc
	v_lshlrev_b32_e32 v22, 3, v22
	v_add_lshl_u32 v51, v22, v39, 2
	ds_bpermute_b32 v22, v51, v19
	v_cmp_le_u32_e32 vcc, v52, v17
	s_waitcnt lgkmcnt(0)
	v_cndmask_b32_e32 v22, 0, v22, vcc
	v_cmp_gt_u32_e32 vcc, 48, v45
	v_add_u32_e32 v19, v19, v22
	v_cndmask_b32_e64 v22, 0, 1, vcc
	v_lshlrev_b32_e32 v22, 4, v22
	v_add_lshl_u32 v53, v22, v39, 2
	ds_bpermute_b32 v22, v53, v19
	v_cmp_le_u32_e32 vcc, v54, v17
	;; [unrolled: 9-line block ×3, first 2 shown]
	s_waitcnt lgkmcnt(0)
	v_cndmask_b32_e32 v17, 0, v22, vcc
	v_add_u32_e32 v22, v19, v17
	v_mov_b32_e32 v19, 0
	s_branch .LBB331_50
.LBB331_49:                             ;   in Loop: Header=BB331_50 Depth=1
	s_or_b64 exec, exec, s[36:37]
	v_cmp_eq_u16_sdwa s[36:37], v23, v44 src0_sel:BYTE_0 src1_sel:DWORD
	v_and_b32_e32 v24, s37, v21
	v_or_b32_e32 v24, 0x80000000, v24
	ds_bpermute_b32 v57, v46, v22
	v_and_b32_e32 v25, s36, v20
	v_ffbl_b32_e32 v24, v24
	v_add_u32_e32 v24, 32, v24
	v_ffbl_b32_e32 v25, v25
	v_min_u32_e32 v24, v25, v24
	v_cmp_lt_u32_e32 vcc, v45, v24
	s_waitcnt lgkmcnt(0)
	v_cndmask_b32_e32 v25, 0, v57, vcc
	v_add_u32_e32 v22, v25, v22
	ds_bpermute_b32 v25, v47, v22
	v_cmp_le_u32_e32 vcc, v48, v24
	v_subrev_u32_e32 v18, 64, v18
	s_waitcnt lgkmcnt(0)
	v_cndmask_b32_e32 v25, 0, v25, vcc
	v_add_u32_e32 v22, v22, v25
	ds_bpermute_b32 v25, v49, v22
	v_cmp_le_u32_e32 vcc, v50, v24
	s_waitcnt lgkmcnt(0)
	v_cndmask_b32_e32 v25, 0, v25, vcc
	v_add_u32_e32 v22, v22, v25
	ds_bpermute_b32 v25, v51, v22
	v_cmp_le_u32_e32 vcc, v52, v24
	;; [unrolled: 5-line block ×4, first 2 shown]
	s_waitcnt lgkmcnt(0)
	v_cndmask_b32_e32 v24, 0, v25, vcc
	v_add3_u32 v22, v24, v17, v22
.LBB331_50:                             ; =>This Loop Header: Depth=1
                                        ;     Child Loop BB331_53 Depth 2
                                        ;       Child Loop BB331_54 Depth 3
	v_cmp_ne_u16_sdwa s[36:37], v23, v44 src0_sel:BYTE_0 src1_sel:DWORD
	v_cndmask_b32_e64 v17, 0, 1, s[36:37]
	;;#ASMSTART
	;;#ASMEND
	v_cmp_ne_u32_e32 vcc, 0, v17
	s_cmp_lg_u64 vcc, exec
	v_mov_b32_e32 v17, v22
	s_cbranch_scc1 .LBB331_57
; %bb.51:                               ;   in Loop: Header=BB331_50 Depth=1
	v_lshlrev_b64 v[22:23], 3, v[18:19]
	v_mov_b32_e32 v25, s35
	v_add_co_u32_e32 v24, vcc, s34, v22
	v_addc_co_u32_e32 v25, vcc, v25, v23, vcc
	global_load_dwordx2 v[22:23], v[24:25], off glc
	s_waitcnt vmcnt(0)
	v_cmp_eq_u16_sdwa s[38:39], v23, v19 src0_sel:BYTE_0 src1_sel:DWORD
	s_and_saveexec_b64 s[36:37], s[38:39]
	s_cbranch_execz .LBB331_49
; %bb.52:                               ;   in Loop: Header=BB331_50 Depth=1
	s_mov_b32 s41, 1
	s_mov_b64 s[38:39], 0
.LBB331_53:                             ;   Parent Loop BB331_50 Depth=1
                                        ; =>  This Loop Header: Depth=2
                                        ;       Child Loop BB331_54 Depth 3
	s_max_u32 s42, s41, 1
.LBB331_54:                             ;   Parent Loop BB331_50 Depth=1
                                        ;     Parent Loop BB331_53 Depth=2
                                        ; =>    This Inner Loop Header: Depth=3
	s_add_i32 s42, s42, -1
	s_cmp_eq_u32 s42, 0
	s_sleep 1
	s_cbranch_scc0 .LBB331_54
; %bb.55:                               ;   in Loop: Header=BB331_53 Depth=2
	global_load_dwordx2 v[22:23], v[24:25], off glc
	s_cmp_lt_u32 s41, 32
	s_cselect_b64 s[42:43], -1, 0
	s_cmp_lg_u64 s[42:43], 0
	s_addc_u32 s41, s41, 0
	s_waitcnt vmcnt(0)
	v_cmp_ne_u16_sdwa s[42:43], v23, v19 src0_sel:BYTE_0 src1_sel:DWORD
	s_or_b64 s[38:39], s[42:43], s[38:39]
	s_andn2_b64 exec, exec, s[38:39]
	s_cbranch_execnz .LBB331_53
; %bb.56:                               ;   in Loop: Header=BB331_50 Depth=1
	s_or_b64 exec, exec, s[38:39]
	s_branch .LBB331_49
.LBB331_57:                             ;   in Loop: Header=BB331_50 Depth=1
                                        ; implicit-def: $vgpr22
                                        ; implicit-def: $vgpr23
	s_cbranch_execz .LBB331_50
; %bb.58:
	s_and_saveexec_b64 s[36:37], s[18:19]
	s_cbranch_execz .LBB331_60
; %bb.59:
	s_add_i32 s38, s40, 64
	s_mov_b32 s39, 0
	s_lshl_b64 s[38:39], s[38:39], 3
	s_add_u32 s38, s34, s38
	v_add_u32_e32 v18, v17, v16
	v_mov_b32_e32 v19, 2
	s_addc_u32 s39, s35, s39
	v_mov_b32_e32 v20, 0
	global_store_dwordx2 v20, v[18:19], s[38:39]
	ds_write_b64 v20, v[16:17] offset:10240
.LBB331_60:
	s_or_b64 exec, exec, s[36:37]
	s_and_b64 exec, exec, s[0:1]
	s_cbranch_execz .LBB331_62
; %bb.61:
	v_mov_b32_e32 v16, 0
	ds_write_b32 v16, v17 offset:12
.LBB331_62:
	s_or_b64 exec, exec, s[28:29]
	v_mov_b32_e32 v16, 0
	s_waitcnt lgkmcnt(0)
	s_barrier
	ds_read_b32 v17, v16 offset:12
	v_cndmask_b32_e64 v18, v43, v42, s[18:19]
	v_cndmask_b32_e64 v18, v18, 0, s[0:1]
	s_waitcnt lgkmcnt(0)
	s_barrier
	v_add_u32_e32 v43, v17, v18
	v_add_u32_sdwa v42, v43, v30 dst_sel:DWORD dst_unused:UNUSED_PAD src0_sel:DWORD src1_sel:BYTE_0
	v_add_u32_sdwa v25, v42, v30 dst_sel:DWORD dst_unused:UNUSED_PAD src0_sel:DWORD src1_sel:BYTE_1
	v_add_u32_e32 v24, v25, v34
	v_add_u32_e32 v23, v24, v32
	;; [unrolled: 1-line block ×3, first 2 shown]
	ds_read_b64 v[16:17], v16 offset:10240
	v_add_u32_e32 v21, v22, v36
	v_add_u32_e32 v20, v21, v37
	;; [unrolled: 1-line block ×4, first 2 shown]
	s_branch .LBB331_73
.LBB331_63:
                                        ; implicit-def: $vgpr17
                                        ; implicit-def: $vgpr18
                                        ; implicit-def: $vgpr19
                                        ; implicit-def: $vgpr20
                                        ; implicit-def: $vgpr21
                                        ; implicit-def: $vgpr22
                                        ; implicit-def: $vgpr23
                                        ; implicit-def: $vgpr24
                                        ; implicit-def: $vgpr25
                                        ; implicit-def: $vgpr42
                                        ; implicit-def: $vgpr43
	s_cbranch_execz .LBB331_73
; %bb.64:
	s_waitcnt lgkmcnt(0)
	v_mov_b32_dpp v16, v41 row_shr:1 row_mask:0xf bank_mask:0xf
	v_cndmask_b32_e64 v16, v16, 0, s[16:17]
	v_add_u32_e32 v16, v16, v41
	s_nop 1
	v_mov_b32_dpp v17, v16 row_shr:2 row_mask:0xf bank_mask:0xf
	v_cndmask_b32_e64 v17, 0, v17, s[14:15]
	v_add_u32_e32 v16, v16, v17
	s_nop 1
	v_mov_b32_dpp v17, v16 row_shr:4 row_mask:0xf bank_mask:0xf
	v_cndmask_b32_e64 v17, 0, v17, s[12:13]
	v_add_u32_e32 v16, v16, v17
	s_nop 1
	v_mov_b32_dpp v17, v16 row_shr:8 row_mask:0xf bank_mask:0xf
	v_cndmask_b32_e64 v17, 0, v17, s[10:11]
	v_add_u32_e32 v16, v16, v17
	s_nop 1
	v_mov_b32_dpp v17, v16 row_bcast:15 row_mask:0xf bank_mask:0xf
	v_cndmask_b32_e64 v17, v17, 0, s[8:9]
	v_add_u32_e32 v16, v16, v17
	s_nop 1
	v_mov_b32_dpp v17, v16 row_bcast:31 row_mask:0xf bank_mask:0xf
	v_cndmask_b32_e64 v17, 0, v17, s[4:5]
	v_add_u32_e32 v16, v16, v17
	s_and_saveexec_b64 s[4:5], s[6:7]
	s_cbranch_execz .LBB331_66
; %bb.65:
	v_lshlrev_b32_e32 v17, 2, v40
	ds_write_b32 v17, v16
.LBB331_66:
	s_or_b64 exec, exec, s[4:5]
	v_cmp_gt_u32_e32 vcc, 4, v0
	s_waitcnt lgkmcnt(0)
	s_barrier
	s_and_saveexec_b64 s[4:5], vcc
	s_cbranch_execz .LBB331_68
; %bb.67:
	s_movk_i32 s6, 0xffdc
	v_mad_i32_i24 v17, v0, s6, v33
	ds_read_b32 v18, v17
	v_and_b32_e32 v19, 3, v39
	v_cmp_ne_u32_e32 vcc, 0, v19
	s_waitcnt lgkmcnt(0)
	v_mov_b32_dpp v20, v18 row_shr:1 row_mask:0xf bank_mask:0xf
	v_cndmask_b32_e32 v20, 0, v20, vcc
	v_add_u32_e32 v18, v20, v18
	v_cmp_lt_u32_e32 vcc, 1, v19
	s_nop 0
	v_mov_b32_dpp v20, v18 row_shr:2 row_mask:0xf bank_mask:0xf
	v_cndmask_b32_e32 v19, 0, v20, vcc
	v_add_u32_e32 v18, v18, v19
	ds_write_b32 v17, v18
.LBB331_68:
	s_or_b64 exec, exec, s[4:5]
	v_cmp_lt_u32_e32 vcc, 63, v0
	v_mov_b32_e32 v17, 0
	v_mov_b32_e32 v18, 0
	s_waitcnt lgkmcnt(0)
	s_barrier
	s_and_saveexec_b64 s[4:5], vcc
	s_cbranch_execz .LBB331_70
; %bb.69:
	v_lshl_add_u32 v18, v40, 2, -4
	ds_read_b32 v18, v18
.LBB331_70:
	s_or_b64 exec, exec, s[4:5]
	v_add_u32_e32 v19, -1, v39
	v_and_b32_e32 v20, 64, v39
	v_cmp_lt_i32_e32 vcc, v19, v20
	v_cndmask_b32_e32 v19, v19, v39, vcc
	s_waitcnt lgkmcnt(0)
	v_add_u32_e32 v16, v18, v16
	v_lshlrev_b32_e32 v19, 2, v19
	ds_bpermute_b32 v19, v19, v16
	ds_read_b32 v16, v17 offset:12
	s_and_saveexec_b64 s[4:5], s[0:1]
	s_cbranch_execz .LBB331_72
; %bb.71:
	v_mov_b32_e32 v20, 0
	v_mov_b32_e32 v17, 2
	s_waitcnt lgkmcnt(0)
	global_store_dwordx2 v20, v[16:17], s[34:35] offset:512
.LBB331_72:
	s_or_b64 exec, exec, s[4:5]
	v_cmp_eq_u32_e32 vcc, 0, v39
	s_waitcnt lgkmcnt(1)
	v_cndmask_b32_e32 v18, v19, v18, vcc
	v_cndmask_b32_e64 v43, v18, 0, s[0:1]
	v_add_u32_sdwa v42, v43, v30 dst_sel:DWORD dst_unused:UNUSED_PAD src0_sel:DWORD src1_sel:BYTE_0
	v_add_u32_sdwa v25, v42, v30 dst_sel:DWORD dst_unused:UNUSED_PAD src0_sel:DWORD src1_sel:BYTE_1
	v_add_u32_e32 v24, v25, v34
	v_add_u32_e32 v23, v24, v32
	;; [unrolled: 1-line block ×6, first 2 shown]
	v_mov_b32_e32 v17, 0
	v_add_u32_e32 v18, v19, v38
	s_waitcnt lgkmcnt(0)
	s_barrier
.LBB331_73:
	s_waitcnt lgkmcnt(0)
	v_add_u32_e32 v27, v16, v27
	v_sub_u32_e32 v35, v43, v17
	v_and_b32_e32 v37, 1, v30
	v_sub_u32_e32 v36, v27, v35
	v_cmp_eq_u32_e32 vcc, 1, v37
	v_cndmask_b32_e32 v35, v36, v35, vcc
	v_lshlrev_b32_e32 v35, 2, v35
	v_lshrrev_b32_e32 v34, 8, v30
	ds_write_b32 v35, v6
	v_sub_u32_e32 v6, v42, v17
	v_sub_u32_e32 v35, v27, v6
	v_and_b32_e32 v34, 1, v34
	v_add_u32_e32 v35, 1, v35
	v_cmp_eq_u32_e32 vcc, 1, v34
	v_cndmask_b32_e32 v6, v35, v6, vcc
	v_lshlrev_b32_e32 v6, 2, v6
	ds_write_b32 v6, v7
	v_sub_u32_e32 v6, v25, v17
	v_mov_b32_e32 v25, 1
	v_sub_u32_e32 v7, v27, v6
	v_and_b32_sdwa v30, v25, v30 dst_sel:DWORD dst_unused:UNUSED_PAD src0_sel:DWORD src1_sel:WORD_1
	v_add_u32_e32 v7, 2, v7
	v_cmp_eq_u32_e32 vcc, 1, v30
	v_cndmask_b32_e32 v6, v7, v6, vcc
	v_lshlrev_b32_e32 v6, 2, v6
	ds_write_b32 v6, v8
	v_sub_u32_e32 v6, v24, v17
	v_sub_u32_e32 v7, v27, v6
	v_and_b32_e32 v8, 1, v32
	v_add_u32_e32 v7, 3, v7
	v_cmp_eq_u32_e32 vcc, 1, v8
	v_cndmask_b32_e32 v6, v7, v6, vcc
	v_lshlrev_b32_e32 v6, 2, v6
	ds_write_b32 v6, v9
	v_sub_u32_e32 v6, v23, v17
	v_sub_u32_e32 v7, v27, v6
	v_and_b32_e32 v8, 1, v29
	v_add_u32_e32 v7, 4, v7
	v_cmp_eq_u32_e32 vcc, 1, v8
	v_cndmask_b32_e32 v6, v7, v6, vcc
	v_lshlrev_b32_e32 v6, 2, v6
	v_lshrrev_b32_e32 v33, 8, v29
	ds_write_b32 v6, v2
	v_sub_u32_e32 v2, v22, v17
	v_sub_u32_e32 v6, v27, v2
	v_and_b32_e32 v7, 1, v33
	v_add_u32_e32 v6, 5, v6
	v_cmp_eq_u32_e32 vcc, 1, v7
	v_cndmask_b32_e32 v2, v6, v2, vcc
	v_lshlrev_b32_e32 v2, 2, v2
	ds_write_b32 v2, v3
	v_sub_u32_e32 v2, v21, v17
	v_sub_u32_e32 v3, v27, v2
	v_and_b32_sdwa v6, v25, v29 dst_sel:DWORD dst_unused:UNUSED_PAD src0_sel:DWORD src1_sel:WORD_1
	v_add_u32_e32 v3, 6, v3
	v_cmp_eq_u32_e32 vcc, 1, v6
	v_cndmask_b32_e32 v2, v3, v2, vcc
	v_lshlrev_b32_e32 v2, 2, v2
	ds_write_b32 v2, v4
	v_sub_u32_e32 v2, v20, v17
	v_sub_u32_e32 v3, v27, v2
	v_and_b32_e32 v4, 1, v31
	v_add_u32_e32 v3, 7, v3
	v_cmp_eq_u32_e32 vcc, 1, v4
	v_cndmask_b32_e32 v2, v3, v2, vcc
	v_lshlrev_b32_e32 v2, 2, v2
	ds_write_b32 v2, v5
	v_sub_u32_e32 v2, v19, v17
	v_sub_u32_e32 v3, v27, v2
	v_and_b32_e32 v4, 1, v28
	;; [unrolled: 8-line block ×3, first 2 shown]
	v_add_u32_e32 v3, 9, v3
	v_cmp_eq_u32_e32 vcc, 1, v4
	v_cndmask_b32_e32 v2, v3, v2, vcc
	s_waitcnt vmcnt(0)
	v_add_co_u32_e32 v30, vcc, v12, v17
	v_lshlrev_b32_e32 v2, 2, v2
	v_addc_co_u32_e32 v31, vcc, 0, v13, vcc
	ds_write_b32 v2, v11
	v_add_co_u32_e32 v2, vcc, v30, v16
	v_addc_co_u32_e32 v3, vcc, 0, v31, vcc
	v_mov_b32_e32 v13, s31
	v_sub_co_u32_e32 v12, vcc, s30, v2
	v_subb_co_u32_e32 v13, vcc, v13, v3, vcc
	v_lshlrev_b64 v[12:13], 2, v[12:13]
	v_mov_b32_e32 v17, s27
	v_add_co_u32_e32 v12, vcc, s26, v12
	s_waitcnt lgkmcnt(0)
	s_barrier
	ds_read2st64_b32 v[18:19], v1 offset1:4
	ds_read2st64_b32 v[10:11], v1 offset0:8 offset1:12
	ds_read2st64_b32 v[8:9], v1 offset0:16 offset1:20
	;; [unrolled: 1-line block ×4, first 2 shown]
	v_addc_co_u32_e32 v13, vcc, v17, v13, vcc
	v_add_co_u32_e32 v12, vcc, v12, v14
	v_addc_co_u32_e32 v13, vcc, v13, v15, vcc
	v_lshlrev_b64 v[14:15], 2, v[30:31]
	v_mov_b32_e32 v17, s25
	s_and_b64 vcc, exec, s[2:3]
	v_add_co_u32_e64 v14, s[2:3], s24, v14
	v_or_b32_e32 v28, 0x100, v0
	v_or_b32_e32 v27, 0x200, v0
	;; [unrolled: 1-line block ×9, first 2 shown]
	v_addc_co_u32_e64 v15, s[2:3], v17, v15, s[2:3]
	s_cbranch_vccnz .LBB331_75
; %bb.74:
	v_cmp_gt_u32_e32 vcc, v16, v0
	v_cndmask_b32_e32 v29, v12, v14, vcc
	v_cndmask_b32_e32 v17, v13, v15, vcc
	v_add_co_u32_e32 v30, vcc, v29, v1
	v_addc_co_u32_e32 v31, vcc, 0, v17, vcc
	v_cmp_lt_u32_e32 vcc, v28, v16
	v_cndmask_b32_e32 v29, v12, v14, vcc
	s_waitcnt lgkmcnt(4)
	global_store_dword v[30:31], v18, off
	v_cndmask_b32_e32 v17, v13, v15, vcc
	v_add_co_u32_e32 v30, vcc, v29, v1
	v_addc_co_u32_e32 v31, vcc, 0, v17, vcc
	v_cmp_lt_u32_e32 vcc, v27, v16
	v_cndmask_b32_e32 v29, v12, v14, vcc
	global_store_dword v[30:31], v19, off offset:1024
	v_cndmask_b32_e32 v17, v13, v15, vcc
	v_add_co_u32_e32 v30, vcc, v29, v1
	v_addc_co_u32_e32 v31, vcc, 0, v17, vcc
	v_cmp_lt_u32_e32 vcc, v26, v16
	v_cndmask_b32_e32 v29, v12, v14, vcc
	s_waitcnt lgkmcnt(3)
	global_store_dword v[30:31], v10, off offset:2048
	v_cndmask_b32_e32 v17, v13, v15, vcc
	v_add_co_u32_e32 v30, vcc, v29, v1
	v_addc_co_u32_e32 v31, vcc, 0, v17, vcc
	v_cmp_lt_u32_e32 vcc, v25, v16
	global_store_dword v[30:31], v11, off offset:3072
	v_cndmask_b32_e32 v29, v12, v14, vcc
	v_lshlrev_b32_e32 v30, 2, v25
	v_cndmask_b32_e32 v17, v13, v15, vcc
	v_add_co_u32_e32 v30, vcc, v29, v30
	v_addc_co_u32_e32 v31, vcc, 0, v17, vcc
	v_cmp_lt_u32_e32 vcc, v24, v16
	s_waitcnt lgkmcnt(2)
	global_store_dword v[30:31], v8, off
	v_cndmask_b32_e32 v29, v12, v14, vcc
	v_lshlrev_b32_e32 v30, 2, v24
	v_cndmask_b32_e32 v17, v13, v15, vcc
	v_add_co_u32_e32 v30, vcc, v29, v30
	v_addc_co_u32_e32 v31, vcc, 0, v17, vcc
	v_cmp_lt_u32_e32 vcc, v23, v16
	global_store_dword v[30:31], v9, off
	v_cndmask_b32_e32 v29, v12, v14, vcc
	v_lshlrev_b32_e32 v30, 2, v23
	v_cndmask_b32_e32 v17, v13, v15, vcc
	v_add_co_u32_e32 v30, vcc, v29, v30
	v_addc_co_u32_e32 v31, vcc, 0, v17, vcc
	v_cmp_lt_u32_e32 vcc, v22, v16
	s_waitcnt lgkmcnt(1)
	global_store_dword v[30:31], v6, off
	v_cndmask_b32_e32 v29, v12, v14, vcc
	v_lshlrev_b32_e32 v30, 2, v22
	v_cndmask_b32_e32 v17, v13, v15, vcc
	v_add_co_u32_e32 v30, vcc, v29, v30
	v_addc_co_u32_e32 v31, vcc, 0, v17, vcc
	v_cmp_lt_u32_e32 vcc, v21, v16
	global_store_dword v[30:31], v7, off
	v_cndmask_b32_e32 v29, v12, v14, vcc
	v_lshlrev_b32_e32 v30, 2, v21
	v_cndmask_b32_e32 v17, v13, v15, vcc
	v_add_co_u32_e32 v30, vcc, v29, v30
	v_addc_co_u32_e32 v31, vcc, 0, v17, vcc
	s_mov_b64 s[2:3], -1
	s_waitcnt lgkmcnt(0)
	global_store_dword v[30:31], v4, off
	s_cbranch_execz .LBB331_76
	s_branch .LBB331_87
.LBB331_75:
	s_mov_b64 s[2:3], 0
.LBB331_76:
	v_cmp_gt_u32_e32 vcc, s33, v0
	s_and_saveexec_b64 s[2:3], vcc
	s_cbranch_execnz .LBB331_92
; %bb.77:
	s_or_b64 exec, exec, s[2:3]
	v_cmp_gt_u32_e32 vcc, s33, v28
	s_and_saveexec_b64 s[2:3], vcc
	s_cbranch_execnz .LBB331_93
.LBB331_78:
	s_or_b64 exec, exec, s[2:3]
	v_cmp_gt_u32_e32 vcc, s33, v27
	s_and_saveexec_b64 s[2:3], vcc
	s_cbranch_execnz .LBB331_94
.LBB331_79:
	s_or_b64 exec, exec, s[2:3]
	v_cmp_gt_u32_e32 vcc, s33, v26
	s_and_saveexec_b64 s[2:3], vcc
	s_cbranch_execnz .LBB331_95
.LBB331_80:
	s_or_b64 exec, exec, s[2:3]
	v_cmp_gt_u32_e32 vcc, s33, v25
	s_and_saveexec_b64 s[2:3], vcc
	s_cbranch_execnz .LBB331_96
.LBB331_81:
	s_or_b64 exec, exec, s[2:3]
	v_cmp_gt_u32_e32 vcc, s33, v24
	s_and_saveexec_b64 s[2:3], vcc
	s_cbranch_execnz .LBB331_97
.LBB331_82:
	s_or_b64 exec, exec, s[2:3]
	v_cmp_gt_u32_e32 vcc, s33, v23
	s_and_saveexec_b64 s[2:3], vcc
	s_cbranch_execnz .LBB331_98
.LBB331_83:
	s_or_b64 exec, exec, s[2:3]
	v_cmp_gt_u32_e32 vcc, s33, v22
	s_and_saveexec_b64 s[2:3], vcc
	s_cbranch_execnz .LBB331_99
.LBB331_84:
	s_or_b64 exec, exec, s[2:3]
	v_cmp_gt_u32_e32 vcc, s33, v21
	s_and_saveexec_b64 s[2:3], vcc
	s_cbranch_execz .LBB331_86
.LBB331_85:
	v_cmp_lt_u32_e32 vcc, v21, v16
	v_cndmask_b32_e32 v0, v12, v14, vcc
	s_waitcnt lgkmcnt(1)
	v_lshlrev_b32_e32 v6, 2, v21
	v_cndmask_b32_e32 v1, v13, v15, vcc
	v_add_co_u32_e32 v0, vcc, v0, v6
	v_addc_co_u32_e32 v1, vcc, 0, v1, vcc
	s_waitcnt lgkmcnt(0)
	global_store_dword v[0:1], v4, off
.LBB331_86:
	s_or_b64 exec, exec, s[2:3]
	v_cmp_gt_u32_e64 s[2:3], s33, v20
.LBB331_87:
	s_and_saveexec_b64 s[4:5], s[2:3]
	s_cbranch_execnz .LBB331_90
; %bb.88:
	s_or_b64 exec, exec, s[4:5]
	s_and_b64 s[0:1], s[0:1], s[22:23]
	s_and_saveexec_b64 s[2:3], s[0:1]
	s_cbranch_execnz .LBB331_91
.LBB331_89:
	s_endpgm
.LBB331_90:
	v_cmp_lt_u32_e32 vcc, v20, v16
	v_cndmask_b32_e32 v0, v12, v14, vcc
	s_waitcnt lgkmcnt(0)
	v_lshlrev_b32_e32 v4, 2, v20
	v_cndmask_b32_e32 v1, v13, v15, vcc
	v_add_co_u32_e32 v0, vcc, v0, v4
	v_addc_co_u32_e32 v1, vcc, 0, v1, vcc
	global_store_dword v[0:1], v5, off
	s_or_b64 exec, exec, s[4:5]
	s_and_b64 s[0:1], s[0:1], s[22:23]
	s_and_saveexec_b64 s[2:3], s[0:1]
	s_cbranch_execz .LBB331_89
.LBB331_91:
	v_mov_b32_e32 v0, 0
	global_store_dwordx2 v0, v[2:3], s[20:21]
	s_endpgm
.LBB331_92:
	v_cmp_gt_u32_e32 vcc, v16, v0
	v_cndmask_b32_e32 v17, v12, v14, vcc
	v_cndmask_b32_e32 v0, v13, v15, vcc
	v_add_co_u32_e32 v30, vcc, v17, v1
	v_addc_co_u32_e32 v31, vcc, 0, v0, vcc
	s_waitcnt lgkmcnt(4)
	global_store_dword v[30:31], v18, off
	s_or_b64 exec, exec, s[2:3]
	v_cmp_gt_u32_e32 vcc, s33, v28
	s_and_saveexec_b64 s[2:3], vcc
	s_cbranch_execz .LBB331_78
.LBB331_93:
	v_cmp_lt_u32_e32 vcc, v28, v16
	v_cndmask_b32_e32 v17, v12, v14, vcc
	v_cndmask_b32_e32 v0, v13, v15, vcc
	v_add_co_u32_e32 v28, vcc, v17, v1
	v_addc_co_u32_e32 v29, vcc, 0, v0, vcc
	s_waitcnt lgkmcnt(4)
	global_store_dword v[28:29], v19, off offset:1024
	s_or_b64 exec, exec, s[2:3]
	v_cmp_gt_u32_e32 vcc, s33, v27
	s_and_saveexec_b64 s[2:3], vcc
	s_cbranch_execz .LBB331_79
.LBB331_94:
	v_cmp_lt_u32_e32 vcc, v27, v16
	v_cndmask_b32_e32 v17, v12, v14, vcc
	v_cndmask_b32_e32 v0, v13, v15, vcc
	s_waitcnt lgkmcnt(4)
	v_add_co_u32_e32 v18, vcc, v17, v1
	v_addc_co_u32_e32 v19, vcc, 0, v0, vcc
	s_waitcnt lgkmcnt(3)
	global_store_dword v[18:19], v10, off offset:2048
	s_or_b64 exec, exec, s[2:3]
	v_cmp_gt_u32_e32 vcc, s33, v26
	s_and_saveexec_b64 s[2:3], vcc
	s_cbranch_execz .LBB331_80
.LBB331_95:
	v_cmp_lt_u32_e32 vcc, v26, v16
	v_cndmask_b32_e32 v0, v12, v14, vcc
	s_waitcnt lgkmcnt(3)
	v_cndmask_b32_e32 v10, v13, v15, vcc
	v_add_co_u32_e32 v0, vcc, v0, v1
	v_addc_co_u32_e32 v1, vcc, 0, v10, vcc
	global_store_dword v[0:1], v11, off offset:3072
	s_or_b64 exec, exec, s[2:3]
	v_cmp_gt_u32_e32 vcc, s33, v25
	s_and_saveexec_b64 s[2:3], vcc
	s_cbranch_execz .LBB331_81
.LBB331_96:
	v_cmp_lt_u32_e32 vcc, v25, v16
	v_cndmask_b32_e32 v0, v12, v14, vcc
	s_waitcnt lgkmcnt(3)
	v_lshlrev_b32_e32 v10, 2, v25
	v_cndmask_b32_e32 v1, v13, v15, vcc
	v_add_co_u32_e32 v0, vcc, v0, v10
	v_addc_co_u32_e32 v1, vcc, 0, v1, vcc
	s_waitcnt lgkmcnt(2)
	global_store_dword v[0:1], v8, off
	s_or_b64 exec, exec, s[2:3]
	v_cmp_gt_u32_e32 vcc, s33, v24
	s_and_saveexec_b64 s[2:3], vcc
	s_cbranch_execz .LBB331_82
.LBB331_97:
	v_cmp_lt_u32_e32 vcc, v24, v16
	v_cndmask_b32_e32 v0, v12, v14, vcc
	s_waitcnt lgkmcnt(2)
	v_lshlrev_b32_e32 v8, 2, v24
	v_cndmask_b32_e32 v1, v13, v15, vcc
	v_add_co_u32_e32 v0, vcc, v0, v8
	v_addc_co_u32_e32 v1, vcc, 0, v1, vcc
	global_store_dword v[0:1], v9, off
	s_or_b64 exec, exec, s[2:3]
	v_cmp_gt_u32_e32 vcc, s33, v23
	s_and_saveexec_b64 s[2:3], vcc
	s_cbranch_execz .LBB331_83
.LBB331_98:
	v_cmp_lt_u32_e32 vcc, v23, v16
	v_cndmask_b32_e32 v0, v12, v14, vcc
	s_waitcnt lgkmcnt(2)
	v_lshlrev_b32_e32 v8, 2, v23
	v_cndmask_b32_e32 v1, v13, v15, vcc
	v_add_co_u32_e32 v0, vcc, v0, v8
	v_addc_co_u32_e32 v1, vcc, 0, v1, vcc
	s_waitcnt lgkmcnt(1)
	global_store_dword v[0:1], v6, off
	s_or_b64 exec, exec, s[2:3]
	v_cmp_gt_u32_e32 vcc, s33, v22
	s_and_saveexec_b64 s[2:3], vcc
	s_cbranch_execz .LBB331_84
.LBB331_99:
	v_cmp_lt_u32_e32 vcc, v22, v16
	v_cndmask_b32_e32 v0, v12, v14, vcc
	s_waitcnt lgkmcnt(1)
	v_lshlrev_b32_e32 v6, 2, v22
	v_cndmask_b32_e32 v1, v13, v15, vcc
	v_add_co_u32_e32 v0, vcc, v0, v6
	v_addc_co_u32_e32 v1, vcc, 0, v1, vcc
	global_store_dword v[0:1], v7, off
	s_or_b64 exec, exec, s[2:3]
	v_cmp_gt_u32_e32 vcc, s33, v21
	s_and_saveexec_b64 s[2:3], vcc
	s_cbranch_execnz .LBB331_85
	s_branch .LBB331_86
	.section	.rodata,"a",@progbits
	.p2align	6, 0x0
	.amdhsa_kernel _ZN7rocprim17ROCPRIM_400000_NS6detail17trampoline_kernelINS0_14default_configENS1_25partition_config_selectorILNS1_17partition_subalgoE0EiNS0_10empty_typeEbEEZZNS1_14partition_implILS5_0ELb0ES3_jN6thrust23THRUST_200600_302600_NS6detail15normal_iteratorINSA_10device_ptrIiEEEEPS6_SG_NS0_5tupleIJSF_SF_EEENSH_IJSG_SG_EEES6_PlJ7is_evenIiEEEE10hipError_tPvRmT3_T4_T5_T6_T7_T9_mT8_P12ihipStream_tbDpT10_ENKUlT_T0_E_clISt17integral_constantIbLb1EES16_EEDaS11_S12_EUlS11_E_NS1_11comp_targetILNS1_3genE4ELNS1_11target_archE910ELNS1_3gpuE8ELNS1_3repE0EEENS1_30default_config_static_selectorELNS0_4arch9wavefront6targetE1EEEvT1_
		.amdhsa_group_segment_fixed_size 10248
		.amdhsa_private_segment_fixed_size 0
		.amdhsa_kernarg_size 136
		.amdhsa_user_sgpr_count 6
		.amdhsa_user_sgpr_private_segment_buffer 1
		.amdhsa_user_sgpr_dispatch_ptr 0
		.amdhsa_user_sgpr_queue_ptr 0
		.amdhsa_user_sgpr_kernarg_segment_ptr 1
		.amdhsa_user_sgpr_dispatch_id 0
		.amdhsa_user_sgpr_flat_scratch_init 0
		.amdhsa_user_sgpr_kernarg_preload_length 0
		.amdhsa_user_sgpr_kernarg_preload_offset 0
		.amdhsa_user_sgpr_private_segment_size 0
		.amdhsa_uses_dynamic_stack 0
		.amdhsa_system_sgpr_private_segment_wavefront_offset 0
		.amdhsa_system_sgpr_workgroup_id_x 1
		.amdhsa_system_sgpr_workgroup_id_y 0
		.amdhsa_system_sgpr_workgroup_id_z 0
		.amdhsa_system_sgpr_workgroup_info 0
		.amdhsa_system_vgpr_workitem_id 0
		.amdhsa_next_free_vgpr 58
		.amdhsa_next_free_sgpr 44
		.amdhsa_accum_offset 60
		.amdhsa_reserve_vcc 1
		.amdhsa_reserve_flat_scratch 0
		.amdhsa_float_round_mode_32 0
		.amdhsa_float_round_mode_16_64 0
		.amdhsa_float_denorm_mode_32 3
		.amdhsa_float_denorm_mode_16_64 3
		.amdhsa_dx10_clamp 1
		.amdhsa_ieee_mode 1
		.amdhsa_fp16_overflow 0
		.amdhsa_tg_split 0
		.amdhsa_exception_fp_ieee_invalid_op 0
		.amdhsa_exception_fp_denorm_src 0
		.amdhsa_exception_fp_ieee_div_zero 0
		.amdhsa_exception_fp_ieee_overflow 0
		.amdhsa_exception_fp_ieee_underflow 0
		.amdhsa_exception_fp_ieee_inexact 0
		.amdhsa_exception_int_div_zero 0
	.end_amdhsa_kernel
	.section	.text._ZN7rocprim17ROCPRIM_400000_NS6detail17trampoline_kernelINS0_14default_configENS1_25partition_config_selectorILNS1_17partition_subalgoE0EiNS0_10empty_typeEbEEZZNS1_14partition_implILS5_0ELb0ES3_jN6thrust23THRUST_200600_302600_NS6detail15normal_iteratorINSA_10device_ptrIiEEEEPS6_SG_NS0_5tupleIJSF_SF_EEENSH_IJSG_SG_EEES6_PlJ7is_evenIiEEEE10hipError_tPvRmT3_T4_T5_T6_T7_T9_mT8_P12ihipStream_tbDpT10_ENKUlT_T0_E_clISt17integral_constantIbLb1EES16_EEDaS11_S12_EUlS11_E_NS1_11comp_targetILNS1_3genE4ELNS1_11target_archE910ELNS1_3gpuE8ELNS1_3repE0EEENS1_30default_config_static_selectorELNS0_4arch9wavefront6targetE1EEEvT1_,"axG",@progbits,_ZN7rocprim17ROCPRIM_400000_NS6detail17trampoline_kernelINS0_14default_configENS1_25partition_config_selectorILNS1_17partition_subalgoE0EiNS0_10empty_typeEbEEZZNS1_14partition_implILS5_0ELb0ES3_jN6thrust23THRUST_200600_302600_NS6detail15normal_iteratorINSA_10device_ptrIiEEEEPS6_SG_NS0_5tupleIJSF_SF_EEENSH_IJSG_SG_EEES6_PlJ7is_evenIiEEEE10hipError_tPvRmT3_T4_T5_T6_T7_T9_mT8_P12ihipStream_tbDpT10_ENKUlT_T0_E_clISt17integral_constantIbLb1EES16_EEDaS11_S12_EUlS11_E_NS1_11comp_targetILNS1_3genE4ELNS1_11target_archE910ELNS1_3gpuE8ELNS1_3repE0EEENS1_30default_config_static_selectorELNS0_4arch9wavefront6targetE1EEEvT1_,comdat
.Lfunc_end331:
	.size	_ZN7rocprim17ROCPRIM_400000_NS6detail17trampoline_kernelINS0_14default_configENS1_25partition_config_selectorILNS1_17partition_subalgoE0EiNS0_10empty_typeEbEEZZNS1_14partition_implILS5_0ELb0ES3_jN6thrust23THRUST_200600_302600_NS6detail15normal_iteratorINSA_10device_ptrIiEEEEPS6_SG_NS0_5tupleIJSF_SF_EEENSH_IJSG_SG_EEES6_PlJ7is_evenIiEEEE10hipError_tPvRmT3_T4_T5_T6_T7_T9_mT8_P12ihipStream_tbDpT10_ENKUlT_T0_E_clISt17integral_constantIbLb1EES16_EEDaS11_S12_EUlS11_E_NS1_11comp_targetILNS1_3genE4ELNS1_11target_archE910ELNS1_3gpuE8ELNS1_3repE0EEENS1_30default_config_static_selectorELNS0_4arch9wavefront6targetE1EEEvT1_, .Lfunc_end331-_ZN7rocprim17ROCPRIM_400000_NS6detail17trampoline_kernelINS0_14default_configENS1_25partition_config_selectorILNS1_17partition_subalgoE0EiNS0_10empty_typeEbEEZZNS1_14partition_implILS5_0ELb0ES3_jN6thrust23THRUST_200600_302600_NS6detail15normal_iteratorINSA_10device_ptrIiEEEEPS6_SG_NS0_5tupleIJSF_SF_EEENSH_IJSG_SG_EEES6_PlJ7is_evenIiEEEE10hipError_tPvRmT3_T4_T5_T6_T7_T9_mT8_P12ihipStream_tbDpT10_ENKUlT_T0_E_clISt17integral_constantIbLb1EES16_EEDaS11_S12_EUlS11_E_NS1_11comp_targetILNS1_3genE4ELNS1_11target_archE910ELNS1_3gpuE8ELNS1_3repE0EEENS1_30default_config_static_selectorELNS0_4arch9wavefront6targetE1EEEvT1_
                                        ; -- End function
	.section	.AMDGPU.csdata,"",@progbits
; Kernel info:
; codeLenInByte = 5212
; NumSgprs: 48
; NumVgprs: 58
; NumAgprs: 0
; TotalNumVgprs: 58
; ScratchSize: 0
; MemoryBound: 0
; FloatMode: 240
; IeeeMode: 1
; LDSByteSize: 10248 bytes/workgroup (compile time only)
; SGPRBlocks: 5
; VGPRBlocks: 7
; NumSGPRsForWavesPerEU: 48
; NumVGPRsForWavesPerEU: 58
; AccumOffset: 60
; Occupancy: 6
; WaveLimiterHint : 1
; COMPUTE_PGM_RSRC2:SCRATCH_EN: 0
; COMPUTE_PGM_RSRC2:USER_SGPR: 6
; COMPUTE_PGM_RSRC2:TRAP_HANDLER: 0
; COMPUTE_PGM_RSRC2:TGID_X_EN: 1
; COMPUTE_PGM_RSRC2:TGID_Y_EN: 0
; COMPUTE_PGM_RSRC2:TGID_Z_EN: 0
; COMPUTE_PGM_RSRC2:TIDIG_COMP_CNT: 0
; COMPUTE_PGM_RSRC3_GFX90A:ACCUM_OFFSET: 14
; COMPUTE_PGM_RSRC3_GFX90A:TG_SPLIT: 0
	.section	.text._ZN7rocprim17ROCPRIM_400000_NS6detail17trampoline_kernelINS0_14default_configENS1_25partition_config_selectorILNS1_17partition_subalgoE0EiNS0_10empty_typeEbEEZZNS1_14partition_implILS5_0ELb0ES3_jN6thrust23THRUST_200600_302600_NS6detail15normal_iteratorINSA_10device_ptrIiEEEEPS6_SG_NS0_5tupleIJSF_SF_EEENSH_IJSG_SG_EEES6_PlJ7is_evenIiEEEE10hipError_tPvRmT3_T4_T5_T6_T7_T9_mT8_P12ihipStream_tbDpT10_ENKUlT_T0_E_clISt17integral_constantIbLb1EES16_EEDaS11_S12_EUlS11_E_NS1_11comp_targetILNS1_3genE3ELNS1_11target_archE908ELNS1_3gpuE7ELNS1_3repE0EEENS1_30default_config_static_selectorELNS0_4arch9wavefront6targetE1EEEvT1_,"axG",@progbits,_ZN7rocprim17ROCPRIM_400000_NS6detail17trampoline_kernelINS0_14default_configENS1_25partition_config_selectorILNS1_17partition_subalgoE0EiNS0_10empty_typeEbEEZZNS1_14partition_implILS5_0ELb0ES3_jN6thrust23THRUST_200600_302600_NS6detail15normal_iteratorINSA_10device_ptrIiEEEEPS6_SG_NS0_5tupleIJSF_SF_EEENSH_IJSG_SG_EEES6_PlJ7is_evenIiEEEE10hipError_tPvRmT3_T4_T5_T6_T7_T9_mT8_P12ihipStream_tbDpT10_ENKUlT_T0_E_clISt17integral_constantIbLb1EES16_EEDaS11_S12_EUlS11_E_NS1_11comp_targetILNS1_3genE3ELNS1_11target_archE908ELNS1_3gpuE7ELNS1_3repE0EEENS1_30default_config_static_selectorELNS0_4arch9wavefront6targetE1EEEvT1_,comdat
	.protected	_ZN7rocprim17ROCPRIM_400000_NS6detail17trampoline_kernelINS0_14default_configENS1_25partition_config_selectorILNS1_17partition_subalgoE0EiNS0_10empty_typeEbEEZZNS1_14partition_implILS5_0ELb0ES3_jN6thrust23THRUST_200600_302600_NS6detail15normal_iteratorINSA_10device_ptrIiEEEEPS6_SG_NS0_5tupleIJSF_SF_EEENSH_IJSG_SG_EEES6_PlJ7is_evenIiEEEE10hipError_tPvRmT3_T4_T5_T6_T7_T9_mT8_P12ihipStream_tbDpT10_ENKUlT_T0_E_clISt17integral_constantIbLb1EES16_EEDaS11_S12_EUlS11_E_NS1_11comp_targetILNS1_3genE3ELNS1_11target_archE908ELNS1_3gpuE7ELNS1_3repE0EEENS1_30default_config_static_selectorELNS0_4arch9wavefront6targetE1EEEvT1_ ; -- Begin function _ZN7rocprim17ROCPRIM_400000_NS6detail17trampoline_kernelINS0_14default_configENS1_25partition_config_selectorILNS1_17partition_subalgoE0EiNS0_10empty_typeEbEEZZNS1_14partition_implILS5_0ELb0ES3_jN6thrust23THRUST_200600_302600_NS6detail15normal_iteratorINSA_10device_ptrIiEEEEPS6_SG_NS0_5tupleIJSF_SF_EEENSH_IJSG_SG_EEES6_PlJ7is_evenIiEEEE10hipError_tPvRmT3_T4_T5_T6_T7_T9_mT8_P12ihipStream_tbDpT10_ENKUlT_T0_E_clISt17integral_constantIbLb1EES16_EEDaS11_S12_EUlS11_E_NS1_11comp_targetILNS1_3genE3ELNS1_11target_archE908ELNS1_3gpuE7ELNS1_3repE0EEENS1_30default_config_static_selectorELNS0_4arch9wavefront6targetE1EEEvT1_
	.globl	_ZN7rocprim17ROCPRIM_400000_NS6detail17trampoline_kernelINS0_14default_configENS1_25partition_config_selectorILNS1_17partition_subalgoE0EiNS0_10empty_typeEbEEZZNS1_14partition_implILS5_0ELb0ES3_jN6thrust23THRUST_200600_302600_NS6detail15normal_iteratorINSA_10device_ptrIiEEEEPS6_SG_NS0_5tupleIJSF_SF_EEENSH_IJSG_SG_EEES6_PlJ7is_evenIiEEEE10hipError_tPvRmT3_T4_T5_T6_T7_T9_mT8_P12ihipStream_tbDpT10_ENKUlT_T0_E_clISt17integral_constantIbLb1EES16_EEDaS11_S12_EUlS11_E_NS1_11comp_targetILNS1_3genE3ELNS1_11target_archE908ELNS1_3gpuE7ELNS1_3repE0EEENS1_30default_config_static_selectorELNS0_4arch9wavefront6targetE1EEEvT1_
	.p2align	8
	.type	_ZN7rocprim17ROCPRIM_400000_NS6detail17trampoline_kernelINS0_14default_configENS1_25partition_config_selectorILNS1_17partition_subalgoE0EiNS0_10empty_typeEbEEZZNS1_14partition_implILS5_0ELb0ES3_jN6thrust23THRUST_200600_302600_NS6detail15normal_iteratorINSA_10device_ptrIiEEEEPS6_SG_NS0_5tupleIJSF_SF_EEENSH_IJSG_SG_EEES6_PlJ7is_evenIiEEEE10hipError_tPvRmT3_T4_T5_T6_T7_T9_mT8_P12ihipStream_tbDpT10_ENKUlT_T0_E_clISt17integral_constantIbLb1EES16_EEDaS11_S12_EUlS11_E_NS1_11comp_targetILNS1_3genE3ELNS1_11target_archE908ELNS1_3gpuE7ELNS1_3repE0EEENS1_30default_config_static_selectorELNS0_4arch9wavefront6targetE1EEEvT1_,@function
_ZN7rocprim17ROCPRIM_400000_NS6detail17trampoline_kernelINS0_14default_configENS1_25partition_config_selectorILNS1_17partition_subalgoE0EiNS0_10empty_typeEbEEZZNS1_14partition_implILS5_0ELb0ES3_jN6thrust23THRUST_200600_302600_NS6detail15normal_iteratorINSA_10device_ptrIiEEEEPS6_SG_NS0_5tupleIJSF_SF_EEENSH_IJSG_SG_EEES6_PlJ7is_evenIiEEEE10hipError_tPvRmT3_T4_T5_T6_T7_T9_mT8_P12ihipStream_tbDpT10_ENKUlT_T0_E_clISt17integral_constantIbLb1EES16_EEDaS11_S12_EUlS11_E_NS1_11comp_targetILNS1_3genE3ELNS1_11target_archE908ELNS1_3gpuE7ELNS1_3repE0EEENS1_30default_config_static_selectorELNS0_4arch9wavefront6targetE1EEEvT1_: ; @_ZN7rocprim17ROCPRIM_400000_NS6detail17trampoline_kernelINS0_14default_configENS1_25partition_config_selectorILNS1_17partition_subalgoE0EiNS0_10empty_typeEbEEZZNS1_14partition_implILS5_0ELb0ES3_jN6thrust23THRUST_200600_302600_NS6detail15normal_iteratorINSA_10device_ptrIiEEEEPS6_SG_NS0_5tupleIJSF_SF_EEENSH_IJSG_SG_EEES6_PlJ7is_evenIiEEEE10hipError_tPvRmT3_T4_T5_T6_T7_T9_mT8_P12ihipStream_tbDpT10_ENKUlT_T0_E_clISt17integral_constantIbLb1EES16_EEDaS11_S12_EUlS11_E_NS1_11comp_targetILNS1_3genE3ELNS1_11target_archE908ELNS1_3gpuE7ELNS1_3repE0EEENS1_30default_config_static_selectorELNS0_4arch9wavefront6targetE1EEEvT1_
; %bb.0:
	.section	.rodata,"a",@progbits
	.p2align	6, 0x0
	.amdhsa_kernel _ZN7rocprim17ROCPRIM_400000_NS6detail17trampoline_kernelINS0_14default_configENS1_25partition_config_selectorILNS1_17partition_subalgoE0EiNS0_10empty_typeEbEEZZNS1_14partition_implILS5_0ELb0ES3_jN6thrust23THRUST_200600_302600_NS6detail15normal_iteratorINSA_10device_ptrIiEEEEPS6_SG_NS0_5tupleIJSF_SF_EEENSH_IJSG_SG_EEES6_PlJ7is_evenIiEEEE10hipError_tPvRmT3_T4_T5_T6_T7_T9_mT8_P12ihipStream_tbDpT10_ENKUlT_T0_E_clISt17integral_constantIbLb1EES16_EEDaS11_S12_EUlS11_E_NS1_11comp_targetILNS1_3genE3ELNS1_11target_archE908ELNS1_3gpuE7ELNS1_3repE0EEENS1_30default_config_static_selectorELNS0_4arch9wavefront6targetE1EEEvT1_
		.amdhsa_group_segment_fixed_size 0
		.amdhsa_private_segment_fixed_size 0
		.amdhsa_kernarg_size 136
		.amdhsa_user_sgpr_count 6
		.amdhsa_user_sgpr_private_segment_buffer 1
		.amdhsa_user_sgpr_dispatch_ptr 0
		.amdhsa_user_sgpr_queue_ptr 0
		.amdhsa_user_sgpr_kernarg_segment_ptr 1
		.amdhsa_user_sgpr_dispatch_id 0
		.amdhsa_user_sgpr_flat_scratch_init 0
		.amdhsa_user_sgpr_kernarg_preload_length 0
		.amdhsa_user_sgpr_kernarg_preload_offset 0
		.amdhsa_user_sgpr_private_segment_size 0
		.amdhsa_uses_dynamic_stack 0
		.amdhsa_system_sgpr_private_segment_wavefront_offset 0
		.amdhsa_system_sgpr_workgroup_id_x 1
		.amdhsa_system_sgpr_workgroup_id_y 0
		.amdhsa_system_sgpr_workgroup_id_z 0
		.amdhsa_system_sgpr_workgroup_info 0
		.amdhsa_system_vgpr_workitem_id 0
		.amdhsa_next_free_vgpr 1
		.amdhsa_next_free_sgpr 0
		.amdhsa_accum_offset 4
		.amdhsa_reserve_vcc 0
		.amdhsa_reserve_flat_scratch 0
		.amdhsa_float_round_mode_32 0
		.amdhsa_float_round_mode_16_64 0
		.amdhsa_float_denorm_mode_32 3
		.amdhsa_float_denorm_mode_16_64 3
		.amdhsa_dx10_clamp 1
		.amdhsa_ieee_mode 1
		.amdhsa_fp16_overflow 0
		.amdhsa_tg_split 0
		.amdhsa_exception_fp_ieee_invalid_op 0
		.amdhsa_exception_fp_denorm_src 0
		.amdhsa_exception_fp_ieee_div_zero 0
		.amdhsa_exception_fp_ieee_overflow 0
		.amdhsa_exception_fp_ieee_underflow 0
		.amdhsa_exception_fp_ieee_inexact 0
		.amdhsa_exception_int_div_zero 0
	.end_amdhsa_kernel
	.section	.text._ZN7rocprim17ROCPRIM_400000_NS6detail17trampoline_kernelINS0_14default_configENS1_25partition_config_selectorILNS1_17partition_subalgoE0EiNS0_10empty_typeEbEEZZNS1_14partition_implILS5_0ELb0ES3_jN6thrust23THRUST_200600_302600_NS6detail15normal_iteratorINSA_10device_ptrIiEEEEPS6_SG_NS0_5tupleIJSF_SF_EEENSH_IJSG_SG_EEES6_PlJ7is_evenIiEEEE10hipError_tPvRmT3_T4_T5_T6_T7_T9_mT8_P12ihipStream_tbDpT10_ENKUlT_T0_E_clISt17integral_constantIbLb1EES16_EEDaS11_S12_EUlS11_E_NS1_11comp_targetILNS1_3genE3ELNS1_11target_archE908ELNS1_3gpuE7ELNS1_3repE0EEENS1_30default_config_static_selectorELNS0_4arch9wavefront6targetE1EEEvT1_,"axG",@progbits,_ZN7rocprim17ROCPRIM_400000_NS6detail17trampoline_kernelINS0_14default_configENS1_25partition_config_selectorILNS1_17partition_subalgoE0EiNS0_10empty_typeEbEEZZNS1_14partition_implILS5_0ELb0ES3_jN6thrust23THRUST_200600_302600_NS6detail15normal_iteratorINSA_10device_ptrIiEEEEPS6_SG_NS0_5tupleIJSF_SF_EEENSH_IJSG_SG_EEES6_PlJ7is_evenIiEEEE10hipError_tPvRmT3_T4_T5_T6_T7_T9_mT8_P12ihipStream_tbDpT10_ENKUlT_T0_E_clISt17integral_constantIbLb1EES16_EEDaS11_S12_EUlS11_E_NS1_11comp_targetILNS1_3genE3ELNS1_11target_archE908ELNS1_3gpuE7ELNS1_3repE0EEENS1_30default_config_static_selectorELNS0_4arch9wavefront6targetE1EEEvT1_,comdat
.Lfunc_end332:
	.size	_ZN7rocprim17ROCPRIM_400000_NS6detail17trampoline_kernelINS0_14default_configENS1_25partition_config_selectorILNS1_17partition_subalgoE0EiNS0_10empty_typeEbEEZZNS1_14partition_implILS5_0ELb0ES3_jN6thrust23THRUST_200600_302600_NS6detail15normal_iteratorINSA_10device_ptrIiEEEEPS6_SG_NS0_5tupleIJSF_SF_EEENSH_IJSG_SG_EEES6_PlJ7is_evenIiEEEE10hipError_tPvRmT3_T4_T5_T6_T7_T9_mT8_P12ihipStream_tbDpT10_ENKUlT_T0_E_clISt17integral_constantIbLb1EES16_EEDaS11_S12_EUlS11_E_NS1_11comp_targetILNS1_3genE3ELNS1_11target_archE908ELNS1_3gpuE7ELNS1_3repE0EEENS1_30default_config_static_selectorELNS0_4arch9wavefront6targetE1EEEvT1_, .Lfunc_end332-_ZN7rocprim17ROCPRIM_400000_NS6detail17trampoline_kernelINS0_14default_configENS1_25partition_config_selectorILNS1_17partition_subalgoE0EiNS0_10empty_typeEbEEZZNS1_14partition_implILS5_0ELb0ES3_jN6thrust23THRUST_200600_302600_NS6detail15normal_iteratorINSA_10device_ptrIiEEEEPS6_SG_NS0_5tupleIJSF_SF_EEENSH_IJSG_SG_EEES6_PlJ7is_evenIiEEEE10hipError_tPvRmT3_T4_T5_T6_T7_T9_mT8_P12ihipStream_tbDpT10_ENKUlT_T0_E_clISt17integral_constantIbLb1EES16_EEDaS11_S12_EUlS11_E_NS1_11comp_targetILNS1_3genE3ELNS1_11target_archE908ELNS1_3gpuE7ELNS1_3repE0EEENS1_30default_config_static_selectorELNS0_4arch9wavefront6targetE1EEEvT1_
                                        ; -- End function
	.section	.AMDGPU.csdata,"",@progbits
; Kernel info:
; codeLenInByte = 0
; NumSgprs: 4
; NumVgprs: 0
; NumAgprs: 0
; TotalNumVgprs: 0
; ScratchSize: 0
; MemoryBound: 0
; FloatMode: 240
; IeeeMode: 1
; LDSByteSize: 0 bytes/workgroup (compile time only)
; SGPRBlocks: 0
; VGPRBlocks: 0
; NumSGPRsForWavesPerEU: 4
; NumVGPRsForWavesPerEU: 1
; AccumOffset: 4
; Occupancy: 8
; WaveLimiterHint : 0
; COMPUTE_PGM_RSRC2:SCRATCH_EN: 0
; COMPUTE_PGM_RSRC2:USER_SGPR: 6
; COMPUTE_PGM_RSRC2:TRAP_HANDLER: 0
; COMPUTE_PGM_RSRC2:TGID_X_EN: 1
; COMPUTE_PGM_RSRC2:TGID_Y_EN: 0
; COMPUTE_PGM_RSRC2:TGID_Z_EN: 0
; COMPUTE_PGM_RSRC2:TIDIG_COMP_CNT: 0
; COMPUTE_PGM_RSRC3_GFX90A:ACCUM_OFFSET: 0
; COMPUTE_PGM_RSRC3_GFX90A:TG_SPLIT: 0
	.section	.text._ZN7rocprim17ROCPRIM_400000_NS6detail17trampoline_kernelINS0_14default_configENS1_25partition_config_selectorILNS1_17partition_subalgoE0EiNS0_10empty_typeEbEEZZNS1_14partition_implILS5_0ELb0ES3_jN6thrust23THRUST_200600_302600_NS6detail15normal_iteratorINSA_10device_ptrIiEEEEPS6_SG_NS0_5tupleIJSF_SF_EEENSH_IJSG_SG_EEES6_PlJ7is_evenIiEEEE10hipError_tPvRmT3_T4_T5_T6_T7_T9_mT8_P12ihipStream_tbDpT10_ENKUlT_T0_E_clISt17integral_constantIbLb1EES16_EEDaS11_S12_EUlS11_E_NS1_11comp_targetILNS1_3genE2ELNS1_11target_archE906ELNS1_3gpuE6ELNS1_3repE0EEENS1_30default_config_static_selectorELNS0_4arch9wavefront6targetE1EEEvT1_,"axG",@progbits,_ZN7rocprim17ROCPRIM_400000_NS6detail17trampoline_kernelINS0_14default_configENS1_25partition_config_selectorILNS1_17partition_subalgoE0EiNS0_10empty_typeEbEEZZNS1_14partition_implILS5_0ELb0ES3_jN6thrust23THRUST_200600_302600_NS6detail15normal_iteratorINSA_10device_ptrIiEEEEPS6_SG_NS0_5tupleIJSF_SF_EEENSH_IJSG_SG_EEES6_PlJ7is_evenIiEEEE10hipError_tPvRmT3_T4_T5_T6_T7_T9_mT8_P12ihipStream_tbDpT10_ENKUlT_T0_E_clISt17integral_constantIbLb1EES16_EEDaS11_S12_EUlS11_E_NS1_11comp_targetILNS1_3genE2ELNS1_11target_archE906ELNS1_3gpuE6ELNS1_3repE0EEENS1_30default_config_static_selectorELNS0_4arch9wavefront6targetE1EEEvT1_,comdat
	.protected	_ZN7rocprim17ROCPRIM_400000_NS6detail17trampoline_kernelINS0_14default_configENS1_25partition_config_selectorILNS1_17partition_subalgoE0EiNS0_10empty_typeEbEEZZNS1_14partition_implILS5_0ELb0ES3_jN6thrust23THRUST_200600_302600_NS6detail15normal_iteratorINSA_10device_ptrIiEEEEPS6_SG_NS0_5tupleIJSF_SF_EEENSH_IJSG_SG_EEES6_PlJ7is_evenIiEEEE10hipError_tPvRmT3_T4_T5_T6_T7_T9_mT8_P12ihipStream_tbDpT10_ENKUlT_T0_E_clISt17integral_constantIbLb1EES16_EEDaS11_S12_EUlS11_E_NS1_11comp_targetILNS1_3genE2ELNS1_11target_archE906ELNS1_3gpuE6ELNS1_3repE0EEENS1_30default_config_static_selectorELNS0_4arch9wavefront6targetE1EEEvT1_ ; -- Begin function _ZN7rocprim17ROCPRIM_400000_NS6detail17trampoline_kernelINS0_14default_configENS1_25partition_config_selectorILNS1_17partition_subalgoE0EiNS0_10empty_typeEbEEZZNS1_14partition_implILS5_0ELb0ES3_jN6thrust23THRUST_200600_302600_NS6detail15normal_iteratorINSA_10device_ptrIiEEEEPS6_SG_NS0_5tupleIJSF_SF_EEENSH_IJSG_SG_EEES6_PlJ7is_evenIiEEEE10hipError_tPvRmT3_T4_T5_T6_T7_T9_mT8_P12ihipStream_tbDpT10_ENKUlT_T0_E_clISt17integral_constantIbLb1EES16_EEDaS11_S12_EUlS11_E_NS1_11comp_targetILNS1_3genE2ELNS1_11target_archE906ELNS1_3gpuE6ELNS1_3repE0EEENS1_30default_config_static_selectorELNS0_4arch9wavefront6targetE1EEEvT1_
	.globl	_ZN7rocprim17ROCPRIM_400000_NS6detail17trampoline_kernelINS0_14default_configENS1_25partition_config_selectorILNS1_17partition_subalgoE0EiNS0_10empty_typeEbEEZZNS1_14partition_implILS5_0ELb0ES3_jN6thrust23THRUST_200600_302600_NS6detail15normal_iteratorINSA_10device_ptrIiEEEEPS6_SG_NS0_5tupleIJSF_SF_EEENSH_IJSG_SG_EEES6_PlJ7is_evenIiEEEE10hipError_tPvRmT3_T4_T5_T6_T7_T9_mT8_P12ihipStream_tbDpT10_ENKUlT_T0_E_clISt17integral_constantIbLb1EES16_EEDaS11_S12_EUlS11_E_NS1_11comp_targetILNS1_3genE2ELNS1_11target_archE906ELNS1_3gpuE6ELNS1_3repE0EEENS1_30default_config_static_selectorELNS0_4arch9wavefront6targetE1EEEvT1_
	.p2align	8
	.type	_ZN7rocprim17ROCPRIM_400000_NS6detail17trampoline_kernelINS0_14default_configENS1_25partition_config_selectorILNS1_17partition_subalgoE0EiNS0_10empty_typeEbEEZZNS1_14partition_implILS5_0ELb0ES3_jN6thrust23THRUST_200600_302600_NS6detail15normal_iteratorINSA_10device_ptrIiEEEEPS6_SG_NS0_5tupleIJSF_SF_EEENSH_IJSG_SG_EEES6_PlJ7is_evenIiEEEE10hipError_tPvRmT3_T4_T5_T6_T7_T9_mT8_P12ihipStream_tbDpT10_ENKUlT_T0_E_clISt17integral_constantIbLb1EES16_EEDaS11_S12_EUlS11_E_NS1_11comp_targetILNS1_3genE2ELNS1_11target_archE906ELNS1_3gpuE6ELNS1_3repE0EEENS1_30default_config_static_selectorELNS0_4arch9wavefront6targetE1EEEvT1_,@function
_ZN7rocprim17ROCPRIM_400000_NS6detail17trampoline_kernelINS0_14default_configENS1_25partition_config_selectorILNS1_17partition_subalgoE0EiNS0_10empty_typeEbEEZZNS1_14partition_implILS5_0ELb0ES3_jN6thrust23THRUST_200600_302600_NS6detail15normal_iteratorINSA_10device_ptrIiEEEEPS6_SG_NS0_5tupleIJSF_SF_EEENSH_IJSG_SG_EEES6_PlJ7is_evenIiEEEE10hipError_tPvRmT3_T4_T5_T6_T7_T9_mT8_P12ihipStream_tbDpT10_ENKUlT_T0_E_clISt17integral_constantIbLb1EES16_EEDaS11_S12_EUlS11_E_NS1_11comp_targetILNS1_3genE2ELNS1_11target_archE906ELNS1_3gpuE6ELNS1_3repE0EEENS1_30default_config_static_selectorELNS0_4arch9wavefront6targetE1EEEvT1_: ; @_ZN7rocprim17ROCPRIM_400000_NS6detail17trampoline_kernelINS0_14default_configENS1_25partition_config_selectorILNS1_17partition_subalgoE0EiNS0_10empty_typeEbEEZZNS1_14partition_implILS5_0ELb0ES3_jN6thrust23THRUST_200600_302600_NS6detail15normal_iteratorINSA_10device_ptrIiEEEEPS6_SG_NS0_5tupleIJSF_SF_EEENSH_IJSG_SG_EEES6_PlJ7is_evenIiEEEE10hipError_tPvRmT3_T4_T5_T6_T7_T9_mT8_P12ihipStream_tbDpT10_ENKUlT_T0_E_clISt17integral_constantIbLb1EES16_EEDaS11_S12_EUlS11_E_NS1_11comp_targetILNS1_3genE2ELNS1_11target_archE906ELNS1_3gpuE6ELNS1_3repE0EEENS1_30default_config_static_selectorELNS0_4arch9wavefront6targetE1EEEvT1_
; %bb.0:
	.section	.rodata,"a",@progbits
	.p2align	6, 0x0
	.amdhsa_kernel _ZN7rocprim17ROCPRIM_400000_NS6detail17trampoline_kernelINS0_14default_configENS1_25partition_config_selectorILNS1_17partition_subalgoE0EiNS0_10empty_typeEbEEZZNS1_14partition_implILS5_0ELb0ES3_jN6thrust23THRUST_200600_302600_NS6detail15normal_iteratorINSA_10device_ptrIiEEEEPS6_SG_NS0_5tupleIJSF_SF_EEENSH_IJSG_SG_EEES6_PlJ7is_evenIiEEEE10hipError_tPvRmT3_T4_T5_T6_T7_T9_mT8_P12ihipStream_tbDpT10_ENKUlT_T0_E_clISt17integral_constantIbLb1EES16_EEDaS11_S12_EUlS11_E_NS1_11comp_targetILNS1_3genE2ELNS1_11target_archE906ELNS1_3gpuE6ELNS1_3repE0EEENS1_30default_config_static_selectorELNS0_4arch9wavefront6targetE1EEEvT1_
		.amdhsa_group_segment_fixed_size 0
		.amdhsa_private_segment_fixed_size 0
		.amdhsa_kernarg_size 136
		.amdhsa_user_sgpr_count 6
		.amdhsa_user_sgpr_private_segment_buffer 1
		.amdhsa_user_sgpr_dispatch_ptr 0
		.amdhsa_user_sgpr_queue_ptr 0
		.amdhsa_user_sgpr_kernarg_segment_ptr 1
		.amdhsa_user_sgpr_dispatch_id 0
		.amdhsa_user_sgpr_flat_scratch_init 0
		.amdhsa_user_sgpr_kernarg_preload_length 0
		.amdhsa_user_sgpr_kernarg_preload_offset 0
		.amdhsa_user_sgpr_private_segment_size 0
		.amdhsa_uses_dynamic_stack 0
		.amdhsa_system_sgpr_private_segment_wavefront_offset 0
		.amdhsa_system_sgpr_workgroup_id_x 1
		.amdhsa_system_sgpr_workgroup_id_y 0
		.amdhsa_system_sgpr_workgroup_id_z 0
		.amdhsa_system_sgpr_workgroup_info 0
		.amdhsa_system_vgpr_workitem_id 0
		.amdhsa_next_free_vgpr 1
		.amdhsa_next_free_sgpr 0
		.amdhsa_accum_offset 4
		.amdhsa_reserve_vcc 0
		.amdhsa_reserve_flat_scratch 0
		.amdhsa_float_round_mode_32 0
		.amdhsa_float_round_mode_16_64 0
		.amdhsa_float_denorm_mode_32 3
		.amdhsa_float_denorm_mode_16_64 3
		.amdhsa_dx10_clamp 1
		.amdhsa_ieee_mode 1
		.amdhsa_fp16_overflow 0
		.amdhsa_tg_split 0
		.amdhsa_exception_fp_ieee_invalid_op 0
		.amdhsa_exception_fp_denorm_src 0
		.amdhsa_exception_fp_ieee_div_zero 0
		.amdhsa_exception_fp_ieee_overflow 0
		.amdhsa_exception_fp_ieee_underflow 0
		.amdhsa_exception_fp_ieee_inexact 0
		.amdhsa_exception_int_div_zero 0
	.end_amdhsa_kernel
	.section	.text._ZN7rocprim17ROCPRIM_400000_NS6detail17trampoline_kernelINS0_14default_configENS1_25partition_config_selectorILNS1_17partition_subalgoE0EiNS0_10empty_typeEbEEZZNS1_14partition_implILS5_0ELb0ES3_jN6thrust23THRUST_200600_302600_NS6detail15normal_iteratorINSA_10device_ptrIiEEEEPS6_SG_NS0_5tupleIJSF_SF_EEENSH_IJSG_SG_EEES6_PlJ7is_evenIiEEEE10hipError_tPvRmT3_T4_T5_T6_T7_T9_mT8_P12ihipStream_tbDpT10_ENKUlT_T0_E_clISt17integral_constantIbLb1EES16_EEDaS11_S12_EUlS11_E_NS1_11comp_targetILNS1_3genE2ELNS1_11target_archE906ELNS1_3gpuE6ELNS1_3repE0EEENS1_30default_config_static_selectorELNS0_4arch9wavefront6targetE1EEEvT1_,"axG",@progbits,_ZN7rocprim17ROCPRIM_400000_NS6detail17trampoline_kernelINS0_14default_configENS1_25partition_config_selectorILNS1_17partition_subalgoE0EiNS0_10empty_typeEbEEZZNS1_14partition_implILS5_0ELb0ES3_jN6thrust23THRUST_200600_302600_NS6detail15normal_iteratorINSA_10device_ptrIiEEEEPS6_SG_NS0_5tupleIJSF_SF_EEENSH_IJSG_SG_EEES6_PlJ7is_evenIiEEEE10hipError_tPvRmT3_T4_T5_T6_T7_T9_mT8_P12ihipStream_tbDpT10_ENKUlT_T0_E_clISt17integral_constantIbLb1EES16_EEDaS11_S12_EUlS11_E_NS1_11comp_targetILNS1_3genE2ELNS1_11target_archE906ELNS1_3gpuE6ELNS1_3repE0EEENS1_30default_config_static_selectorELNS0_4arch9wavefront6targetE1EEEvT1_,comdat
.Lfunc_end333:
	.size	_ZN7rocprim17ROCPRIM_400000_NS6detail17trampoline_kernelINS0_14default_configENS1_25partition_config_selectorILNS1_17partition_subalgoE0EiNS0_10empty_typeEbEEZZNS1_14partition_implILS5_0ELb0ES3_jN6thrust23THRUST_200600_302600_NS6detail15normal_iteratorINSA_10device_ptrIiEEEEPS6_SG_NS0_5tupleIJSF_SF_EEENSH_IJSG_SG_EEES6_PlJ7is_evenIiEEEE10hipError_tPvRmT3_T4_T5_T6_T7_T9_mT8_P12ihipStream_tbDpT10_ENKUlT_T0_E_clISt17integral_constantIbLb1EES16_EEDaS11_S12_EUlS11_E_NS1_11comp_targetILNS1_3genE2ELNS1_11target_archE906ELNS1_3gpuE6ELNS1_3repE0EEENS1_30default_config_static_selectorELNS0_4arch9wavefront6targetE1EEEvT1_, .Lfunc_end333-_ZN7rocprim17ROCPRIM_400000_NS6detail17trampoline_kernelINS0_14default_configENS1_25partition_config_selectorILNS1_17partition_subalgoE0EiNS0_10empty_typeEbEEZZNS1_14partition_implILS5_0ELb0ES3_jN6thrust23THRUST_200600_302600_NS6detail15normal_iteratorINSA_10device_ptrIiEEEEPS6_SG_NS0_5tupleIJSF_SF_EEENSH_IJSG_SG_EEES6_PlJ7is_evenIiEEEE10hipError_tPvRmT3_T4_T5_T6_T7_T9_mT8_P12ihipStream_tbDpT10_ENKUlT_T0_E_clISt17integral_constantIbLb1EES16_EEDaS11_S12_EUlS11_E_NS1_11comp_targetILNS1_3genE2ELNS1_11target_archE906ELNS1_3gpuE6ELNS1_3repE0EEENS1_30default_config_static_selectorELNS0_4arch9wavefront6targetE1EEEvT1_
                                        ; -- End function
	.section	.AMDGPU.csdata,"",@progbits
; Kernel info:
; codeLenInByte = 0
; NumSgprs: 4
; NumVgprs: 0
; NumAgprs: 0
; TotalNumVgprs: 0
; ScratchSize: 0
; MemoryBound: 0
; FloatMode: 240
; IeeeMode: 1
; LDSByteSize: 0 bytes/workgroup (compile time only)
; SGPRBlocks: 0
; VGPRBlocks: 0
; NumSGPRsForWavesPerEU: 4
; NumVGPRsForWavesPerEU: 1
; AccumOffset: 4
; Occupancy: 8
; WaveLimiterHint : 0
; COMPUTE_PGM_RSRC2:SCRATCH_EN: 0
; COMPUTE_PGM_RSRC2:USER_SGPR: 6
; COMPUTE_PGM_RSRC2:TRAP_HANDLER: 0
; COMPUTE_PGM_RSRC2:TGID_X_EN: 1
; COMPUTE_PGM_RSRC2:TGID_Y_EN: 0
; COMPUTE_PGM_RSRC2:TGID_Z_EN: 0
; COMPUTE_PGM_RSRC2:TIDIG_COMP_CNT: 0
; COMPUTE_PGM_RSRC3_GFX90A:ACCUM_OFFSET: 0
; COMPUTE_PGM_RSRC3_GFX90A:TG_SPLIT: 0
	.section	.text._ZN7rocprim17ROCPRIM_400000_NS6detail17trampoline_kernelINS0_14default_configENS1_25partition_config_selectorILNS1_17partition_subalgoE0EiNS0_10empty_typeEbEEZZNS1_14partition_implILS5_0ELb0ES3_jN6thrust23THRUST_200600_302600_NS6detail15normal_iteratorINSA_10device_ptrIiEEEEPS6_SG_NS0_5tupleIJSF_SF_EEENSH_IJSG_SG_EEES6_PlJ7is_evenIiEEEE10hipError_tPvRmT3_T4_T5_T6_T7_T9_mT8_P12ihipStream_tbDpT10_ENKUlT_T0_E_clISt17integral_constantIbLb1EES16_EEDaS11_S12_EUlS11_E_NS1_11comp_targetILNS1_3genE10ELNS1_11target_archE1200ELNS1_3gpuE4ELNS1_3repE0EEENS1_30default_config_static_selectorELNS0_4arch9wavefront6targetE1EEEvT1_,"axG",@progbits,_ZN7rocprim17ROCPRIM_400000_NS6detail17trampoline_kernelINS0_14default_configENS1_25partition_config_selectorILNS1_17partition_subalgoE0EiNS0_10empty_typeEbEEZZNS1_14partition_implILS5_0ELb0ES3_jN6thrust23THRUST_200600_302600_NS6detail15normal_iteratorINSA_10device_ptrIiEEEEPS6_SG_NS0_5tupleIJSF_SF_EEENSH_IJSG_SG_EEES6_PlJ7is_evenIiEEEE10hipError_tPvRmT3_T4_T5_T6_T7_T9_mT8_P12ihipStream_tbDpT10_ENKUlT_T0_E_clISt17integral_constantIbLb1EES16_EEDaS11_S12_EUlS11_E_NS1_11comp_targetILNS1_3genE10ELNS1_11target_archE1200ELNS1_3gpuE4ELNS1_3repE0EEENS1_30default_config_static_selectorELNS0_4arch9wavefront6targetE1EEEvT1_,comdat
	.protected	_ZN7rocprim17ROCPRIM_400000_NS6detail17trampoline_kernelINS0_14default_configENS1_25partition_config_selectorILNS1_17partition_subalgoE0EiNS0_10empty_typeEbEEZZNS1_14partition_implILS5_0ELb0ES3_jN6thrust23THRUST_200600_302600_NS6detail15normal_iteratorINSA_10device_ptrIiEEEEPS6_SG_NS0_5tupleIJSF_SF_EEENSH_IJSG_SG_EEES6_PlJ7is_evenIiEEEE10hipError_tPvRmT3_T4_T5_T6_T7_T9_mT8_P12ihipStream_tbDpT10_ENKUlT_T0_E_clISt17integral_constantIbLb1EES16_EEDaS11_S12_EUlS11_E_NS1_11comp_targetILNS1_3genE10ELNS1_11target_archE1200ELNS1_3gpuE4ELNS1_3repE0EEENS1_30default_config_static_selectorELNS0_4arch9wavefront6targetE1EEEvT1_ ; -- Begin function _ZN7rocprim17ROCPRIM_400000_NS6detail17trampoline_kernelINS0_14default_configENS1_25partition_config_selectorILNS1_17partition_subalgoE0EiNS0_10empty_typeEbEEZZNS1_14partition_implILS5_0ELb0ES3_jN6thrust23THRUST_200600_302600_NS6detail15normal_iteratorINSA_10device_ptrIiEEEEPS6_SG_NS0_5tupleIJSF_SF_EEENSH_IJSG_SG_EEES6_PlJ7is_evenIiEEEE10hipError_tPvRmT3_T4_T5_T6_T7_T9_mT8_P12ihipStream_tbDpT10_ENKUlT_T0_E_clISt17integral_constantIbLb1EES16_EEDaS11_S12_EUlS11_E_NS1_11comp_targetILNS1_3genE10ELNS1_11target_archE1200ELNS1_3gpuE4ELNS1_3repE0EEENS1_30default_config_static_selectorELNS0_4arch9wavefront6targetE1EEEvT1_
	.globl	_ZN7rocprim17ROCPRIM_400000_NS6detail17trampoline_kernelINS0_14default_configENS1_25partition_config_selectorILNS1_17partition_subalgoE0EiNS0_10empty_typeEbEEZZNS1_14partition_implILS5_0ELb0ES3_jN6thrust23THRUST_200600_302600_NS6detail15normal_iteratorINSA_10device_ptrIiEEEEPS6_SG_NS0_5tupleIJSF_SF_EEENSH_IJSG_SG_EEES6_PlJ7is_evenIiEEEE10hipError_tPvRmT3_T4_T5_T6_T7_T9_mT8_P12ihipStream_tbDpT10_ENKUlT_T0_E_clISt17integral_constantIbLb1EES16_EEDaS11_S12_EUlS11_E_NS1_11comp_targetILNS1_3genE10ELNS1_11target_archE1200ELNS1_3gpuE4ELNS1_3repE0EEENS1_30default_config_static_selectorELNS0_4arch9wavefront6targetE1EEEvT1_
	.p2align	8
	.type	_ZN7rocprim17ROCPRIM_400000_NS6detail17trampoline_kernelINS0_14default_configENS1_25partition_config_selectorILNS1_17partition_subalgoE0EiNS0_10empty_typeEbEEZZNS1_14partition_implILS5_0ELb0ES3_jN6thrust23THRUST_200600_302600_NS6detail15normal_iteratorINSA_10device_ptrIiEEEEPS6_SG_NS0_5tupleIJSF_SF_EEENSH_IJSG_SG_EEES6_PlJ7is_evenIiEEEE10hipError_tPvRmT3_T4_T5_T6_T7_T9_mT8_P12ihipStream_tbDpT10_ENKUlT_T0_E_clISt17integral_constantIbLb1EES16_EEDaS11_S12_EUlS11_E_NS1_11comp_targetILNS1_3genE10ELNS1_11target_archE1200ELNS1_3gpuE4ELNS1_3repE0EEENS1_30default_config_static_selectorELNS0_4arch9wavefront6targetE1EEEvT1_,@function
_ZN7rocprim17ROCPRIM_400000_NS6detail17trampoline_kernelINS0_14default_configENS1_25partition_config_selectorILNS1_17partition_subalgoE0EiNS0_10empty_typeEbEEZZNS1_14partition_implILS5_0ELb0ES3_jN6thrust23THRUST_200600_302600_NS6detail15normal_iteratorINSA_10device_ptrIiEEEEPS6_SG_NS0_5tupleIJSF_SF_EEENSH_IJSG_SG_EEES6_PlJ7is_evenIiEEEE10hipError_tPvRmT3_T4_T5_T6_T7_T9_mT8_P12ihipStream_tbDpT10_ENKUlT_T0_E_clISt17integral_constantIbLb1EES16_EEDaS11_S12_EUlS11_E_NS1_11comp_targetILNS1_3genE10ELNS1_11target_archE1200ELNS1_3gpuE4ELNS1_3repE0EEENS1_30default_config_static_selectorELNS0_4arch9wavefront6targetE1EEEvT1_: ; @_ZN7rocprim17ROCPRIM_400000_NS6detail17trampoline_kernelINS0_14default_configENS1_25partition_config_selectorILNS1_17partition_subalgoE0EiNS0_10empty_typeEbEEZZNS1_14partition_implILS5_0ELb0ES3_jN6thrust23THRUST_200600_302600_NS6detail15normal_iteratorINSA_10device_ptrIiEEEEPS6_SG_NS0_5tupleIJSF_SF_EEENSH_IJSG_SG_EEES6_PlJ7is_evenIiEEEE10hipError_tPvRmT3_T4_T5_T6_T7_T9_mT8_P12ihipStream_tbDpT10_ENKUlT_T0_E_clISt17integral_constantIbLb1EES16_EEDaS11_S12_EUlS11_E_NS1_11comp_targetILNS1_3genE10ELNS1_11target_archE1200ELNS1_3gpuE4ELNS1_3repE0EEENS1_30default_config_static_selectorELNS0_4arch9wavefront6targetE1EEEvT1_
; %bb.0:
	.section	.rodata,"a",@progbits
	.p2align	6, 0x0
	.amdhsa_kernel _ZN7rocprim17ROCPRIM_400000_NS6detail17trampoline_kernelINS0_14default_configENS1_25partition_config_selectorILNS1_17partition_subalgoE0EiNS0_10empty_typeEbEEZZNS1_14partition_implILS5_0ELb0ES3_jN6thrust23THRUST_200600_302600_NS6detail15normal_iteratorINSA_10device_ptrIiEEEEPS6_SG_NS0_5tupleIJSF_SF_EEENSH_IJSG_SG_EEES6_PlJ7is_evenIiEEEE10hipError_tPvRmT3_T4_T5_T6_T7_T9_mT8_P12ihipStream_tbDpT10_ENKUlT_T0_E_clISt17integral_constantIbLb1EES16_EEDaS11_S12_EUlS11_E_NS1_11comp_targetILNS1_3genE10ELNS1_11target_archE1200ELNS1_3gpuE4ELNS1_3repE0EEENS1_30default_config_static_selectorELNS0_4arch9wavefront6targetE1EEEvT1_
		.amdhsa_group_segment_fixed_size 0
		.amdhsa_private_segment_fixed_size 0
		.amdhsa_kernarg_size 136
		.amdhsa_user_sgpr_count 6
		.amdhsa_user_sgpr_private_segment_buffer 1
		.amdhsa_user_sgpr_dispatch_ptr 0
		.amdhsa_user_sgpr_queue_ptr 0
		.amdhsa_user_sgpr_kernarg_segment_ptr 1
		.amdhsa_user_sgpr_dispatch_id 0
		.amdhsa_user_sgpr_flat_scratch_init 0
		.amdhsa_user_sgpr_kernarg_preload_length 0
		.amdhsa_user_sgpr_kernarg_preload_offset 0
		.amdhsa_user_sgpr_private_segment_size 0
		.amdhsa_uses_dynamic_stack 0
		.amdhsa_system_sgpr_private_segment_wavefront_offset 0
		.amdhsa_system_sgpr_workgroup_id_x 1
		.amdhsa_system_sgpr_workgroup_id_y 0
		.amdhsa_system_sgpr_workgroup_id_z 0
		.amdhsa_system_sgpr_workgroup_info 0
		.amdhsa_system_vgpr_workitem_id 0
		.amdhsa_next_free_vgpr 1
		.amdhsa_next_free_sgpr 0
		.amdhsa_accum_offset 4
		.amdhsa_reserve_vcc 0
		.amdhsa_reserve_flat_scratch 0
		.amdhsa_float_round_mode_32 0
		.amdhsa_float_round_mode_16_64 0
		.amdhsa_float_denorm_mode_32 3
		.amdhsa_float_denorm_mode_16_64 3
		.amdhsa_dx10_clamp 1
		.amdhsa_ieee_mode 1
		.amdhsa_fp16_overflow 0
		.amdhsa_tg_split 0
		.amdhsa_exception_fp_ieee_invalid_op 0
		.amdhsa_exception_fp_denorm_src 0
		.amdhsa_exception_fp_ieee_div_zero 0
		.amdhsa_exception_fp_ieee_overflow 0
		.amdhsa_exception_fp_ieee_underflow 0
		.amdhsa_exception_fp_ieee_inexact 0
		.amdhsa_exception_int_div_zero 0
	.end_amdhsa_kernel
	.section	.text._ZN7rocprim17ROCPRIM_400000_NS6detail17trampoline_kernelINS0_14default_configENS1_25partition_config_selectorILNS1_17partition_subalgoE0EiNS0_10empty_typeEbEEZZNS1_14partition_implILS5_0ELb0ES3_jN6thrust23THRUST_200600_302600_NS6detail15normal_iteratorINSA_10device_ptrIiEEEEPS6_SG_NS0_5tupleIJSF_SF_EEENSH_IJSG_SG_EEES6_PlJ7is_evenIiEEEE10hipError_tPvRmT3_T4_T5_T6_T7_T9_mT8_P12ihipStream_tbDpT10_ENKUlT_T0_E_clISt17integral_constantIbLb1EES16_EEDaS11_S12_EUlS11_E_NS1_11comp_targetILNS1_3genE10ELNS1_11target_archE1200ELNS1_3gpuE4ELNS1_3repE0EEENS1_30default_config_static_selectorELNS0_4arch9wavefront6targetE1EEEvT1_,"axG",@progbits,_ZN7rocprim17ROCPRIM_400000_NS6detail17trampoline_kernelINS0_14default_configENS1_25partition_config_selectorILNS1_17partition_subalgoE0EiNS0_10empty_typeEbEEZZNS1_14partition_implILS5_0ELb0ES3_jN6thrust23THRUST_200600_302600_NS6detail15normal_iteratorINSA_10device_ptrIiEEEEPS6_SG_NS0_5tupleIJSF_SF_EEENSH_IJSG_SG_EEES6_PlJ7is_evenIiEEEE10hipError_tPvRmT3_T4_T5_T6_T7_T9_mT8_P12ihipStream_tbDpT10_ENKUlT_T0_E_clISt17integral_constantIbLb1EES16_EEDaS11_S12_EUlS11_E_NS1_11comp_targetILNS1_3genE10ELNS1_11target_archE1200ELNS1_3gpuE4ELNS1_3repE0EEENS1_30default_config_static_selectorELNS0_4arch9wavefront6targetE1EEEvT1_,comdat
.Lfunc_end334:
	.size	_ZN7rocprim17ROCPRIM_400000_NS6detail17trampoline_kernelINS0_14default_configENS1_25partition_config_selectorILNS1_17partition_subalgoE0EiNS0_10empty_typeEbEEZZNS1_14partition_implILS5_0ELb0ES3_jN6thrust23THRUST_200600_302600_NS6detail15normal_iteratorINSA_10device_ptrIiEEEEPS6_SG_NS0_5tupleIJSF_SF_EEENSH_IJSG_SG_EEES6_PlJ7is_evenIiEEEE10hipError_tPvRmT3_T4_T5_T6_T7_T9_mT8_P12ihipStream_tbDpT10_ENKUlT_T0_E_clISt17integral_constantIbLb1EES16_EEDaS11_S12_EUlS11_E_NS1_11comp_targetILNS1_3genE10ELNS1_11target_archE1200ELNS1_3gpuE4ELNS1_3repE0EEENS1_30default_config_static_selectorELNS0_4arch9wavefront6targetE1EEEvT1_, .Lfunc_end334-_ZN7rocprim17ROCPRIM_400000_NS6detail17trampoline_kernelINS0_14default_configENS1_25partition_config_selectorILNS1_17partition_subalgoE0EiNS0_10empty_typeEbEEZZNS1_14partition_implILS5_0ELb0ES3_jN6thrust23THRUST_200600_302600_NS6detail15normal_iteratorINSA_10device_ptrIiEEEEPS6_SG_NS0_5tupleIJSF_SF_EEENSH_IJSG_SG_EEES6_PlJ7is_evenIiEEEE10hipError_tPvRmT3_T4_T5_T6_T7_T9_mT8_P12ihipStream_tbDpT10_ENKUlT_T0_E_clISt17integral_constantIbLb1EES16_EEDaS11_S12_EUlS11_E_NS1_11comp_targetILNS1_3genE10ELNS1_11target_archE1200ELNS1_3gpuE4ELNS1_3repE0EEENS1_30default_config_static_selectorELNS0_4arch9wavefront6targetE1EEEvT1_
                                        ; -- End function
	.section	.AMDGPU.csdata,"",@progbits
; Kernel info:
; codeLenInByte = 0
; NumSgprs: 4
; NumVgprs: 0
; NumAgprs: 0
; TotalNumVgprs: 0
; ScratchSize: 0
; MemoryBound: 0
; FloatMode: 240
; IeeeMode: 1
; LDSByteSize: 0 bytes/workgroup (compile time only)
; SGPRBlocks: 0
; VGPRBlocks: 0
; NumSGPRsForWavesPerEU: 4
; NumVGPRsForWavesPerEU: 1
; AccumOffset: 4
; Occupancy: 8
; WaveLimiterHint : 0
; COMPUTE_PGM_RSRC2:SCRATCH_EN: 0
; COMPUTE_PGM_RSRC2:USER_SGPR: 6
; COMPUTE_PGM_RSRC2:TRAP_HANDLER: 0
; COMPUTE_PGM_RSRC2:TGID_X_EN: 1
; COMPUTE_PGM_RSRC2:TGID_Y_EN: 0
; COMPUTE_PGM_RSRC2:TGID_Z_EN: 0
; COMPUTE_PGM_RSRC2:TIDIG_COMP_CNT: 0
; COMPUTE_PGM_RSRC3_GFX90A:ACCUM_OFFSET: 0
; COMPUTE_PGM_RSRC3_GFX90A:TG_SPLIT: 0
	.section	.text._ZN7rocprim17ROCPRIM_400000_NS6detail17trampoline_kernelINS0_14default_configENS1_25partition_config_selectorILNS1_17partition_subalgoE0EiNS0_10empty_typeEbEEZZNS1_14partition_implILS5_0ELb0ES3_jN6thrust23THRUST_200600_302600_NS6detail15normal_iteratorINSA_10device_ptrIiEEEEPS6_SG_NS0_5tupleIJSF_SF_EEENSH_IJSG_SG_EEES6_PlJ7is_evenIiEEEE10hipError_tPvRmT3_T4_T5_T6_T7_T9_mT8_P12ihipStream_tbDpT10_ENKUlT_T0_E_clISt17integral_constantIbLb1EES16_EEDaS11_S12_EUlS11_E_NS1_11comp_targetILNS1_3genE9ELNS1_11target_archE1100ELNS1_3gpuE3ELNS1_3repE0EEENS1_30default_config_static_selectorELNS0_4arch9wavefront6targetE1EEEvT1_,"axG",@progbits,_ZN7rocprim17ROCPRIM_400000_NS6detail17trampoline_kernelINS0_14default_configENS1_25partition_config_selectorILNS1_17partition_subalgoE0EiNS0_10empty_typeEbEEZZNS1_14partition_implILS5_0ELb0ES3_jN6thrust23THRUST_200600_302600_NS6detail15normal_iteratorINSA_10device_ptrIiEEEEPS6_SG_NS0_5tupleIJSF_SF_EEENSH_IJSG_SG_EEES6_PlJ7is_evenIiEEEE10hipError_tPvRmT3_T4_T5_T6_T7_T9_mT8_P12ihipStream_tbDpT10_ENKUlT_T0_E_clISt17integral_constantIbLb1EES16_EEDaS11_S12_EUlS11_E_NS1_11comp_targetILNS1_3genE9ELNS1_11target_archE1100ELNS1_3gpuE3ELNS1_3repE0EEENS1_30default_config_static_selectorELNS0_4arch9wavefront6targetE1EEEvT1_,comdat
	.protected	_ZN7rocprim17ROCPRIM_400000_NS6detail17trampoline_kernelINS0_14default_configENS1_25partition_config_selectorILNS1_17partition_subalgoE0EiNS0_10empty_typeEbEEZZNS1_14partition_implILS5_0ELb0ES3_jN6thrust23THRUST_200600_302600_NS6detail15normal_iteratorINSA_10device_ptrIiEEEEPS6_SG_NS0_5tupleIJSF_SF_EEENSH_IJSG_SG_EEES6_PlJ7is_evenIiEEEE10hipError_tPvRmT3_T4_T5_T6_T7_T9_mT8_P12ihipStream_tbDpT10_ENKUlT_T0_E_clISt17integral_constantIbLb1EES16_EEDaS11_S12_EUlS11_E_NS1_11comp_targetILNS1_3genE9ELNS1_11target_archE1100ELNS1_3gpuE3ELNS1_3repE0EEENS1_30default_config_static_selectorELNS0_4arch9wavefront6targetE1EEEvT1_ ; -- Begin function _ZN7rocprim17ROCPRIM_400000_NS6detail17trampoline_kernelINS0_14default_configENS1_25partition_config_selectorILNS1_17partition_subalgoE0EiNS0_10empty_typeEbEEZZNS1_14partition_implILS5_0ELb0ES3_jN6thrust23THRUST_200600_302600_NS6detail15normal_iteratorINSA_10device_ptrIiEEEEPS6_SG_NS0_5tupleIJSF_SF_EEENSH_IJSG_SG_EEES6_PlJ7is_evenIiEEEE10hipError_tPvRmT3_T4_T5_T6_T7_T9_mT8_P12ihipStream_tbDpT10_ENKUlT_T0_E_clISt17integral_constantIbLb1EES16_EEDaS11_S12_EUlS11_E_NS1_11comp_targetILNS1_3genE9ELNS1_11target_archE1100ELNS1_3gpuE3ELNS1_3repE0EEENS1_30default_config_static_selectorELNS0_4arch9wavefront6targetE1EEEvT1_
	.globl	_ZN7rocprim17ROCPRIM_400000_NS6detail17trampoline_kernelINS0_14default_configENS1_25partition_config_selectorILNS1_17partition_subalgoE0EiNS0_10empty_typeEbEEZZNS1_14partition_implILS5_0ELb0ES3_jN6thrust23THRUST_200600_302600_NS6detail15normal_iteratorINSA_10device_ptrIiEEEEPS6_SG_NS0_5tupleIJSF_SF_EEENSH_IJSG_SG_EEES6_PlJ7is_evenIiEEEE10hipError_tPvRmT3_T4_T5_T6_T7_T9_mT8_P12ihipStream_tbDpT10_ENKUlT_T0_E_clISt17integral_constantIbLb1EES16_EEDaS11_S12_EUlS11_E_NS1_11comp_targetILNS1_3genE9ELNS1_11target_archE1100ELNS1_3gpuE3ELNS1_3repE0EEENS1_30default_config_static_selectorELNS0_4arch9wavefront6targetE1EEEvT1_
	.p2align	8
	.type	_ZN7rocprim17ROCPRIM_400000_NS6detail17trampoline_kernelINS0_14default_configENS1_25partition_config_selectorILNS1_17partition_subalgoE0EiNS0_10empty_typeEbEEZZNS1_14partition_implILS5_0ELb0ES3_jN6thrust23THRUST_200600_302600_NS6detail15normal_iteratorINSA_10device_ptrIiEEEEPS6_SG_NS0_5tupleIJSF_SF_EEENSH_IJSG_SG_EEES6_PlJ7is_evenIiEEEE10hipError_tPvRmT3_T4_T5_T6_T7_T9_mT8_P12ihipStream_tbDpT10_ENKUlT_T0_E_clISt17integral_constantIbLb1EES16_EEDaS11_S12_EUlS11_E_NS1_11comp_targetILNS1_3genE9ELNS1_11target_archE1100ELNS1_3gpuE3ELNS1_3repE0EEENS1_30default_config_static_selectorELNS0_4arch9wavefront6targetE1EEEvT1_,@function
_ZN7rocprim17ROCPRIM_400000_NS6detail17trampoline_kernelINS0_14default_configENS1_25partition_config_selectorILNS1_17partition_subalgoE0EiNS0_10empty_typeEbEEZZNS1_14partition_implILS5_0ELb0ES3_jN6thrust23THRUST_200600_302600_NS6detail15normal_iteratorINSA_10device_ptrIiEEEEPS6_SG_NS0_5tupleIJSF_SF_EEENSH_IJSG_SG_EEES6_PlJ7is_evenIiEEEE10hipError_tPvRmT3_T4_T5_T6_T7_T9_mT8_P12ihipStream_tbDpT10_ENKUlT_T0_E_clISt17integral_constantIbLb1EES16_EEDaS11_S12_EUlS11_E_NS1_11comp_targetILNS1_3genE9ELNS1_11target_archE1100ELNS1_3gpuE3ELNS1_3repE0EEENS1_30default_config_static_selectorELNS0_4arch9wavefront6targetE1EEEvT1_: ; @_ZN7rocprim17ROCPRIM_400000_NS6detail17trampoline_kernelINS0_14default_configENS1_25partition_config_selectorILNS1_17partition_subalgoE0EiNS0_10empty_typeEbEEZZNS1_14partition_implILS5_0ELb0ES3_jN6thrust23THRUST_200600_302600_NS6detail15normal_iteratorINSA_10device_ptrIiEEEEPS6_SG_NS0_5tupleIJSF_SF_EEENSH_IJSG_SG_EEES6_PlJ7is_evenIiEEEE10hipError_tPvRmT3_T4_T5_T6_T7_T9_mT8_P12ihipStream_tbDpT10_ENKUlT_T0_E_clISt17integral_constantIbLb1EES16_EEDaS11_S12_EUlS11_E_NS1_11comp_targetILNS1_3genE9ELNS1_11target_archE1100ELNS1_3gpuE3ELNS1_3repE0EEENS1_30default_config_static_selectorELNS0_4arch9wavefront6targetE1EEEvT1_
; %bb.0:
	.section	.rodata,"a",@progbits
	.p2align	6, 0x0
	.amdhsa_kernel _ZN7rocprim17ROCPRIM_400000_NS6detail17trampoline_kernelINS0_14default_configENS1_25partition_config_selectorILNS1_17partition_subalgoE0EiNS0_10empty_typeEbEEZZNS1_14partition_implILS5_0ELb0ES3_jN6thrust23THRUST_200600_302600_NS6detail15normal_iteratorINSA_10device_ptrIiEEEEPS6_SG_NS0_5tupleIJSF_SF_EEENSH_IJSG_SG_EEES6_PlJ7is_evenIiEEEE10hipError_tPvRmT3_T4_T5_T6_T7_T9_mT8_P12ihipStream_tbDpT10_ENKUlT_T0_E_clISt17integral_constantIbLb1EES16_EEDaS11_S12_EUlS11_E_NS1_11comp_targetILNS1_3genE9ELNS1_11target_archE1100ELNS1_3gpuE3ELNS1_3repE0EEENS1_30default_config_static_selectorELNS0_4arch9wavefront6targetE1EEEvT1_
		.amdhsa_group_segment_fixed_size 0
		.amdhsa_private_segment_fixed_size 0
		.amdhsa_kernarg_size 136
		.amdhsa_user_sgpr_count 6
		.amdhsa_user_sgpr_private_segment_buffer 1
		.amdhsa_user_sgpr_dispatch_ptr 0
		.amdhsa_user_sgpr_queue_ptr 0
		.amdhsa_user_sgpr_kernarg_segment_ptr 1
		.amdhsa_user_sgpr_dispatch_id 0
		.amdhsa_user_sgpr_flat_scratch_init 0
		.amdhsa_user_sgpr_kernarg_preload_length 0
		.amdhsa_user_sgpr_kernarg_preload_offset 0
		.amdhsa_user_sgpr_private_segment_size 0
		.amdhsa_uses_dynamic_stack 0
		.amdhsa_system_sgpr_private_segment_wavefront_offset 0
		.amdhsa_system_sgpr_workgroup_id_x 1
		.amdhsa_system_sgpr_workgroup_id_y 0
		.amdhsa_system_sgpr_workgroup_id_z 0
		.amdhsa_system_sgpr_workgroup_info 0
		.amdhsa_system_vgpr_workitem_id 0
		.amdhsa_next_free_vgpr 1
		.amdhsa_next_free_sgpr 0
		.amdhsa_accum_offset 4
		.amdhsa_reserve_vcc 0
		.amdhsa_reserve_flat_scratch 0
		.amdhsa_float_round_mode_32 0
		.amdhsa_float_round_mode_16_64 0
		.amdhsa_float_denorm_mode_32 3
		.amdhsa_float_denorm_mode_16_64 3
		.amdhsa_dx10_clamp 1
		.amdhsa_ieee_mode 1
		.amdhsa_fp16_overflow 0
		.amdhsa_tg_split 0
		.amdhsa_exception_fp_ieee_invalid_op 0
		.amdhsa_exception_fp_denorm_src 0
		.amdhsa_exception_fp_ieee_div_zero 0
		.amdhsa_exception_fp_ieee_overflow 0
		.amdhsa_exception_fp_ieee_underflow 0
		.amdhsa_exception_fp_ieee_inexact 0
		.amdhsa_exception_int_div_zero 0
	.end_amdhsa_kernel
	.section	.text._ZN7rocprim17ROCPRIM_400000_NS6detail17trampoline_kernelINS0_14default_configENS1_25partition_config_selectorILNS1_17partition_subalgoE0EiNS0_10empty_typeEbEEZZNS1_14partition_implILS5_0ELb0ES3_jN6thrust23THRUST_200600_302600_NS6detail15normal_iteratorINSA_10device_ptrIiEEEEPS6_SG_NS0_5tupleIJSF_SF_EEENSH_IJSG_SG_EEES6_PlJ7is_evenIiEEEE10hipError_tPvRmT3_T4_T5_T6_T7_T9_mT8_P12ihipStream_tbDpT10_ENKUlT_T0_E_clISt17integral_constantIbLb1EES16_EEDaS11_S12_EUlS11_E_NS1_11comp_targetILNS1_3genE9ELNS1_11target_archE1100ELNS1_3gpuE3ELNS1_3repE0EEENS1_30default_config_static_selectorELNS0_4arch9wavefront6targetE1EEEvT1_,"axG",@progbits,_ZN7rocprim17ROCPRIM_400000_NS6detail17trampoline_kernelINS0_14default_configENS1_25partition_config_selectorILNS1_17partition_subalgoE0EiNS0_10empty_typeEbEEZZNS1_14partition_implILS5_0ELb0ES3_jN6thrust23THRUST_200600_302600_NS6detail15normal_iteratorINSA_10device_ptrIiEEEEPS6_SG_NS0_5tupleIJSF_SF_EEENSH_IJSG_SG_EEES6_PlJ7is_evenIiEEEE10hipError_tPvRmT3_T4_T5_T6_T7_T9_mT8_P12ihipStream_tbDpT10_ENKUlT_T0_E_clISt17integral_constantIbLb1EES16_EEDaS11_S12_EUlS11_E_NS1_11comp_targetILNS1_3genE9ELNS1_11target_archE1100ELNS1_3gpuE3ELNS1_3repE0EEENS1_30default_config_static_selectorELNS0_4arch9wavefront6targetE1EEEvT1_,comdat
.Lfunc_end335:
	.size	_ZN7rocprim17ROCPRIM_400000_NS6detail17trampoline_kernelINS0_14default_configENS1_25partition_config_selectorILNS1_17partition_subalgoE0EiNS0_10empty_typeEbEEZZNS1_14partition_implILS5_0ELb0ES3_jN6thrust23THRUST_200600_302600_NS6detail15normal_iteratorINSA_10device_ptrIiEEEEPS6_SG_NS0_5tupleIJSF_SF_EEENSH_IJSG_SG_EEES6_PlJ7is_evenIiEEEE10hipError_tPvRmT3_T4_T5_T6_T7_T9_mT8_P12ihipStream_tbDpT10_ENKUlT_T0_E_clISt17integral_constantIbLb1EES16_EEDaS11_S12_EUlS11_E_NS1_11comp_targetILNS1_3genE9ELNS1_11target_archE1100ELNS1_3gpuE3ELNS1_3repE0EEENS1_30default_config_static_selectorELNS0_4arch9wavefront6targetE1EEEvT1_, .Lfunc_end335-_ZN7rocprim17ROCPRIM_400000_NS6detail17trampoline_kernelINS0_14default_configENS1_25partition_config_selectorILNS1_17partition_subalgoE0EiNS0_10empty_typeEbEEZZNS1_14partition_implILS5_0ELb0ES3_jN6thrust23THRUST_200600_302600_NS6detail15normal_iteratorINSA_10device_ptrIiEEEEPS6_SG_NS0_5tupleIJSF_SF_EEENSH_IJSG_SG_EEES6_PlJ7is_evenIiEEEE10hipError_tPvRmT3_T4_T5_T6_T7_T9_mT8_P12ihipStream_tbDpT10_ENKUlT_T0_E_clISt17integral_constantIbLb1EES16_EEDaS11_S12_EUlS11_E_NS1_11comp_targetILNS1_3genE9ELNS1_11target_archE1100ELNS1_3gpuE3ELNS1_3repE0EEENS1_30default_config_static_selectorELNS0_4arch9wavefront6targetE1EEEvT1_
                                        ; -- End function
	.section	.AMDGPU.csdata,"",@progbits
; Kernel info:
; codeLenInByte = 0
; NumSgprs: 4
; NumVgprs: 0
; NumAgprs: 0
; TotalNumVgprs: 0
; ScratchSize: 0
; MemoryBound: 0
; FloatMode: 240
; IeeeMode: 1
; LDSByteSize: 0 bytes/workgroup (compile time only)
; SGPRBlocks: 0
; VGPRBlocks: 0
; NumSGPRsForWavesPerEU: 4
; NumVGPRsForWavesPerEU: 1
; AccumOffset: 4
; Occupancy: 8
; WaveLimiterHint : 0
; COMPUTE_PGM_RSRC2:SCRATCH_EN: 0
; COMPUTE_PGM_RSRC2:USER_SGPR: 6
; COMPUTE_PGM_RSRC2:TRAP_HANDLER: 0
; COMPUTE_PGM_RSRC2:TGID_X_EN: 1
; COMPUTE_PGM_RSRC2:TGID_Y_EN: 0
; COMPUTE_PGM_RSRC2:TGID_Z_EN: 0
; COMPUTE_PGM_RSRC2:TIDIG_COMP_CNT: 0
; COMPUTE_PGM_RSRC3_GFX90A:ACCUM_OFFSET: 0
; COMPUTE_PGM_RSRC3_GFX90A:TG_SPLIT: 0
	.section	.text._ZN7rocprim17ROCPRIM_400000_NS6detail17trampoline_kernelINS0_14default_configENS1_25partition_config_selectorILNS1_17partition_subalgoE0EiNS0_10empty_typeEbEEZZNS1_14partition_implILS5_0ELb0ES3_jN6thrust23THRUST_200600_302600_NS6detail15normal_iteratorINSA_10device_ptrIiEEEEPS6_SG_NS0_5tupleIJSF_SF_EEENSH_IJSG_SG_EEES6_PlJ7is_evenIiEEEE10hipError_tPvRmT3_T4_T5_T6_T7_T9_mT8_P12ihipStream_tbDpT10_ENKUlT_T0_E_clISt17integral_constantIbLb1EES16_EEDaS11_S12_EUlS11_E_NS1_11comp_targetILNS1_3genE8ELNS1_11target_archE1030ELNS1_3gpuE2ELNS1_3repE0EEENS1_30default_config_static_selectorELNS0_4arch9wavefront6targetE1EEEvT1_,"axG",@progbits,_ZN7rocprim17ROCPRIM_400000_NS6detail17trampoline_kernelINS0_14default_configENS1_25partition_config_selectorILNS1_17partition_subalgoE0EiNS0_10empty_typeEbEEZZNS1_14partition_implILS5_0ELb0ES3_jN6thrust23THRUST_200600_302600_NS6detail15normal_iteratorINSA_10device_ptrIiEEEEPS6_SG_NS0_5tupleIJSF_SF_EEENSH_IJSG_SG_EEES6_PlJ7is_evenIiEEEE10hipError_tPvRmT3_T4_T5_T6_T7_T9_mT8_P12ihipStream_tbDpT10_ENKUlT_T0_E_clISt17integral_constantIbLb1EES16_EEDaS11_S12_EUlS11_E_NS1_11comp_targetILNS1_3genE8ELNS1_11target_archE1030ELNS1_3gpuE2ELNS1_3repE0EEENS1_30default_config_static_selectorELNS0_4arch9wavefront6targetE1EEEvT1_,comdat
	.protected	_ZN7rocprim17ROCPRIM_400000_NS6detail17trampoline_kernelINS0_14default_configENS1_25partition_config_selectorILNS1_17partition_subalgoE0EiNS0_10empty_typeEbEEZZNS1_14partition_implILS5_0ELb0ES3_jN6thrust23THRUST_200600_302600_NS6detail15normal_iteratorINSA_10device_ptrIiEEEEPS6_SG_NS0_5tupleIJSF_SF_EEENSH_IJSG_SG_EEES6_PlJ7is_evenIiEEEE10hipError_tPvRmT3_T4_T5_T6_T7_T9_mT8_P12ihipStream_tbDpT10_ENKUlT_T0_E_clISt17integral_constantIbLb1EES16_EEDaS11_S12_EUlS11_E_NS1_11comp_targetILNS1_3genE8ELNS1_11target_archE1030ELNS1_3gpuE2ELNS1_3repE0EEENS1_30default_config_static_selectorELNS0_4arch9wavefront6targetE1EEEvT1_ ; -- Begin function _ZN7rocprim17ROCPRIM_400000_NS6detail17trampoline_kernelINS0_14default_configENS1_25partition_config_selectorILNS1_17partition_subalgoE0EiNS0_10empty_typeEbEEZZNS1_14partition_implILS5_0ELb0ES3_jN6thrust23THRUST_200600_302600_NS6detail15normal_iteratorINSA_10device_ptrIiEEEEPS6_SG_NS0_5tupleIJSF_SF_EEENSH_IJSG_SG_EEES6_PlJ7is_evenIiEEEE10hipError_tPvRmT3_T4_T5_T6_T7_T9_mT8_P12ihipStream_tbDpT10_ENKUlT_T0_E_clISt17integral_constantIbLb1EES16_EEDaS11_S12_EUlS11_E_NS1_11comp_targetILNS1_3genE8ELNS1_11target_archE1030ELNS1_3gpuE2ELNS1_3repE0EEENS1_30default_config_static_selectorELNS0_4arch9wavefront6targetE1EEEvT1_
	.globl	_ZN7rocprim17ROCPRIM_400000_NS6detail17trampoline_kernelINS0_14default_configENS1_25partition_config_selectorILNS1_17partition_subalgoE0EiNS0_10empty_typeEbEEZZNS1_14partition_implILS5_0ELb0ES3_jN6thrust23THRUST_200600_302600_NS6detail15normal_iteratorINSA_10device_ptrIiEEEEPS6_SG_NS0_5tupleIJSF_SF_EEENSH_IJSG_SG_EEES6_PlJ7is_evenIiEEEE10hipError_tPvRmT3_T4_T5_T6_T7_T9_mT8_P12ihipStream_tbDpT10_ENKUlT_T0_E_clISt17integral_constantIbLb1EES16_EEDaS11_S12_EUlS11_E_NS1_11comp_targetILNS1_3genE8ELNS1_11target_archE1030ELNS1_3gpuE2ELNS1_3repE0EEENS1_30default_config_static_selectorELNS0_4arch9wavefront6targetE1EEEvT1_
	.p2align	8
	.type	_ZN7rocprim17ROCPRIM_400000_NS6detail17trampoline_kernelINS0_14default_configENS1_25partition_config_selectorILNS1_17partition_subalgoE0EiNS0_10empty_typeEbEEZZNS1_14partition_implILS5_0ELb0ES3_jN6thrust23THRUST_200600_302600_NS6detail15normal_iteratorINSA_10device_ptrIiEEEEPS6_SG_NS0_5tupleIJSF_SF_EEENSH_IJSG_SG_EEES6_PlJ7is_evenIiEEEE10hipError_tPvRmT3_T4_T5_T6_T7_T9_mT8_P12ihipStream_tbDpT10_ENKUlT_T0_E_clISt17integral_constantIbLb1EES16_EEDaS11_S12_EUlS11_E_NS1_11comp_targetILNS1_3genE8ELNS1_11target_archE1030ELNS1_3gpuE2ELNS1_3repE0EEENS1_30default_config_static_selectorELNS0_4arch9wavefront6targetE1EEEvT1_,@function
_ZN7rocprim17ROCPRIM_400000_NS6detail17trampoline_kernelINS0_14default_configENS1_25partition_config_selectorILNS1_17partition_subalgoE0EiNS0_10empty_typeEbEEZZNS1_14partition_implILS5_0ELb0ES3_jN6thrust23THRUST_200600_302600_NS6detail15normal_iteratorINSA_10device_ptrIiEEEEPS6_SG_NS0_5tupleIJSF_SF_EEENSH_IJSG_SG_EEES6_PlJ7is_evenIiEEEE10hipError_tPvRmT3_T4_T5_T6_T7_T9_mT8_P12ihipStream_tbDpT10_ENKUlT_T0_E_clISt17integral_constantIbLb1EES16_EEDaS11_S12_EUlS11_E_NS1_11comp_targetILNS1_3genE8ELNS1_11target_archE1030ELNS1_3gpuE2ELNS1_3repE0EEENS1_30default_config_static_selectorELNS0_4arch9wavefront6targetE1EEEvT1_: ; @_ZN7rocprim17ROCPRIM_400000_NS6detail17trampoline_kernelINS0_14default_configENS1_25partition_config_selectorILNS1_17partition_subalgoE0EiNS0_10empty_typeEbEEZZNS1_14partition_implILS5_0ELb0ES3_jN6thrust23THRUST_200600_302600_NS6detail15normal_iteratorINSA_10device_ptrIiEEEEPS6_SG_NS0_5tupleIJSF_SF_EEENSH_IJSG_SG_EEES6_PlJ7is_evenIiEEEE10hipError_tPvRmT3_T4_T5_T6_T7_T9_mT8_P12ihipStream_tbDpT10_ENKUlT_T0_E_clISt17integral_constantIbLb1EES16_EEDaS11_S12_EUlS11_E_NS1_11comp_targetILNS1_3genE8ELNS1_11target_archE1030ELNS1_3gpuE2ELNS1_3repE0EEENS1_30default_config_static_selectorELNS0_4arch9wavefront6targetE1EEEvT1_
; %bb.0:
	.section	.rodata,"a",@progbits
	.p2align	6, 0x0
	.amdhsa_kernel _ZN7rocprim17ROCPRIM_400000_NS6detail17trampoline_kernelINS0_14default_configENS1_25partition_config_selectorILNS1_17partition_subalgoE0EiNS0_10empty_typeEbEEZZNS1_14partition_implILS5_0ELb0ES3_jN6thrust23THRUST_200600_302600_NS6detail15normal_iteratorINSA_10device_ptrIiEEEEPS6_SG_NS0_5tupleIJSF_SF_EEENSH_IJSG_SG_EEES6_PlJ7is_evenIiEEEE10hipError_tPvRmT3_T4_T5_T6_T7_T9_mT8_P12ihipStream_tbDpT10_ENKUlT_T0_E_clISt17integral_constantIbLb1EES16_EEDaS11_S12_EUlS11_E_NS1_11comp_targetILNS1_3genE8ELNS1_11target_archE1030ELNS1_3gpuE2ELNS1_3repE0EEENS1_30default_config_static_selectorELNS0_4arch9wavefront6targetE1EEEvT1_
		.amdhsa_group_segment_fixed_size 0
		.amdhsa_private_segment_fixed_size 0
		.amdhsa_kernarg_size 136
		.amdhsa_user_sgpr_count 6
		.amdhsa_user_sgpr_private_segment_buffer 1
		.amdhsa_user_sgpr_dispatch_ptr 0
		.amdhsa_user_sgpr_queue_ptr 0
		.amdhsa_user_sgpr_kernarg_segment_ptr 1
		.amdhsa_user_sgpr_dispatch_id 0
		.amdhsa_user_sgpr_flat_scratch_init 0
		.amdhsa_user_sgpr_kernarg_preload_length 0
		.amdhsa_user_sgpr_kernarg_preload_offset 0
		.amdhsa_user_sgpr_private_segment_size 0
		.amdhsa_uses_dynamic_stack 0
		.amdhsa_system_sgpr_private_segment_wavefront_offset 0
		.amdhsa_system_sgpr_workgroup_id_x 1
		.amdhsa_system_sgpr_workgroup_id_y 0
		.amdhsa_system_sgpr_workgroup_id_z 0
		.amdhsa_system_sgpr_workgroup_info 0
		.amdhsa_system_vgpr_workitem_id 0
		.amdhsa_next_free_vgpr 1
		.amdhsa_next_free_sgpr 0
		.amdhsa_accum_offset 4
		.amdhsa_reserve_vcc 0
		.amdhsa_reserve_flat_scratch 0
		.amdhsa_float_round_mode_32 0
		.amdhsa_float_round_mode_16_64 0
		.amdhsa_float_denorm_mode_32 3
		.amdhsa_float_denorm_mode_16_64 3
		.amdhsa_dx10_clamp 1
		.amdhsa_ieee_mode 1
		.amdhsa_fp16_overflow 0
		.amdhsa_tg_split 0
		.amdhsa_exception_fp_ieee_invalid_op 0
		.amdhsa_exception_fp_denorm_src 0
		.amdhsa_exception_fp_ieee_div_zero 0
		.amdhsa_exception_fp_ieee_overflow 0
		.amdhsa_exception_fp_ieee_underflow 0
		.amdhsa_exception_fp_ieee_inexact 0
		.amdhsa_exception_int_div_zero 0
	.end_amdhsa_kernel
	.section	.text._ZN7rocprim17ROCPRIM_400000_NS6detail17trampoline_kernelINS0_14default_configENS1_25partition_config_selectorILNS1_17partition_subalgoE0EiNS0_10empty_typeEbEEZZNS1_14partition_implILS5_0ELb0ES3_jN6thrust23THRUST_200600_302600_NS6detail15normal_iteratorINSA_10device_ptrIiEEEEPS6_SG_NS0_5tupleIJSF_SF_EEENSH_IJSG_SG_EEES6_PlJ7is_evenIiEEEE10hipError_tPvRmT3_T4_T5_T6_T7_T9_mT8_P12ihipStream_tbDpT10_ENKUlT_T0_E_clISt17integral_constantIbLb1EES16_EEDaS11_S12_EUlS11_E_NS1_11comp_targetILNS1_3genE8ELNS1_11target_archE1030ELNS1_3gpuE2ELNS1_3repE0EEENS1_30default_config_static_selectorELNS0_4arch9wavefront6targetE1EEEvT1_,"axG",@progbits,_ZN7rocprim17ROCPRIM_400000_NS6detail17trampoline_kernelINS0_14default_configENS1_25partition_config_selectorILNS1_17partition_subalgoE0EiNS0_10empty_typeEbEEZZNS1_14partition_implILS5_0ELb0ES3_jN6thrust23THRUST_200600_302600_NS6detail15normal_iteratorINSA_10device_ptrIiEEEEPS6_SG_NS0_5tupleIJSF_SF_EEENSH_IJSG_SG_EEES6_PlJ7is_evenIiEEEE10hipError_tPvRmT3_T4_T5_T6_T7_T9_mT8_P12ihipStream_tbDpT10_ENKUlT_T0_E_clISt17integral_constantIbLb1EES16_EEDaS11_S12_EUlS11_E_NS1_11comp_targetILNS1_3genE8ELNS1_11target_archE1030ELNS1_3gpuE2ELNS1_3repE0EEENS1_30default_config_static_selectorELNS0_4arch9wavefront6targetE1EEEvT1_,comdat
.Lfunc_end336:
	.size	_ZN7rocprim17ROCPRIM_400000_NS6detail17trampoline_kernelINS0_14default_configENS1_25partition_config_selectorILNS1_17partition_subalgoE0EiNS0_10empty_typeEbEEZZNS1_14partition_implILS5_0ELb0ES3_jN6thrust23THRUST_200600_302600_NS6detail15normal_iteratorINSA_10device_ptrIiEEEEPS6_SG_NS0_5tupleIJSF_SF_EEENSH_IJSG_SG_EEES6_PlJ7is_evenIiEEEE10hipError_tPvRmT3_T4_T5_T6_T7_T9_mT8_P12ihipStream_tbDpT10_ENKUlT_T0_E_clISt17integral_constantIbLb1EES16_EEDaS11_S12_EUlS11_E_NS1_11comp_targetILNS1_3genE8ELNS1_11target_archE1030ELNS1_3gpuE2ELNS1_3repE0EEENS1_30default_config_static_selectorELNS0_4arch9wavefront6targetE1EEEvT1_, .Lfunc_end336-_ZN7rocprim17ROCPRIM_400000_NS6detail17trampoline_kernelINS0_14default_configENS1_25partition_config_selectorILNS1_17partition_subalgoE0EiNS0_10empty_typeEbEEZZNS1_14partition_implILS5_0ELb0ES3_jN6thrust23THRUST_200600_302600_NS6detail15normal_iteratorINSA_10device_ptrIiEEEEPS6_SG_NS0_5tupleIJSF_SF_EEENSH_IJSG_SG_EEES6_PlJ7is_evenIiEEEE10hipError_tPvRmT3_T4_T5_T6_T7_T9_mT8_P12ihipStream_tbDpT10_ENKUlT_T0_E_clISt17integral_constantIbLb1EES16_EEDaS11_S12_EUlS11_E_NS1_11comp_targetILNS1_3genE8ELNS1_11target_archE1030ELNS1_3gpuE2ELNS1_3repE0EEENS1_30default_config_static_selectorELNS0_4arch9wavefront6targetE1EEEvT1_
                                        ; -- End function
	.section	.AMDGPU.csdata,"",@progbits
; Kernel info:
; codeLenInByte = 0
; NumSgprs: 4
; NumVgprs: 0
; NumAgprs: 0
; TotalNumVgprs: 0
; ScratchSize: 0
; MemoryBound: 0
; FloatMode: 240
; IeeeMode: 1
; LDSByteSize: 0 bytes/workgroup (compile time only)
; SGPRBlocks: 0
; VGPRBlocks: 0
; NumSGPRsForWavesPerEU: 4
; NumVGPRsForWavesPerEU: 1
; AccumOffset: 4
; Occupancy: 8
; WaveLimiterHint : 0
; COMPUTE_PGM_RSRC2:SCRATCH_EN: 0
; COMPUTE_PGM_RSRC2:USER_SGPR: 6
; COMPUTE_PGM_RSRC2:TRAP_HANDLER: 0
; COMPUTE_PGM_RSRC2:TGID_X_EN: 1
; COMPUTE_PGM_RSRC2:TGID_Y_EN: 0
; COMPUTE_PGM_RSRC2:TGID_Z_EN: 0
; COMPUTE_PGM_RSRC2:TIDIG_COMP_CNT: 0
; COMPUTE_PGM_RSRC3_GFX90A:ACCUM_OFFSET: 0
; COMPUTE_PGM_RSRC3_GFX90A:TG_SPLIT: 0
	.section	.text._ZN7rocprim17ROCPRIM_400000_NS6detail17trampoline_kernelINS0_14default_configENS1_25partition_config_selectorILNS1_17partition_subalgoE0EiNS0_10empty_typeEbEEZZNS1_14partition_implILS5_0ELb0ES3_jN6thrust23THRUST_200600_302600_NS6detail15normal_iteratorINSA_10device_ptrIiEEEEPS6_SG_NS0_5tupleIJSF_SF_EEENSH_IJSG_SG_EEES6_PlJ7is_evenIiEEEE10hipError_tPvRmT3_T4_T5_T6_T7_T9_mT8_P12ihipStream_tbDpT10_ENKUlT_T0_E_clISt17integral_constantIbLb1EES15_IbLb0EEEEDaS11_S12_EUlS11_E_NS1_11comp_targetILNS1_3genE0ELNS1_11target_archE4294967295ELNS1_3gpuE0ELNS1_3repE0EEENS1_30default_config_static_selectorELNS0_4arch9wavefront6targetE1EEEvT1_,"axG",@progbits,_ZN7rocprim17ROCPRIM_400000_NS6detail17trampoline_kernelINS0_14default_configENS1_25partition_config_selectorILNS1_17partition_subalgoE0EiNS0_10empty_typeEbEEZZNS1_14partition_implILS5_0ELb0ES3_jN6thrust23THRUST_200600_302600_NS6detail15normal_iteratorINSA_10device_ptrIiEEEEPS6_SG_NS0_5tupleIJSF_SF_EEENSH_IJSG_SG_EEES6_PlJ7is_evenIiEEEE10hipError_tPvRmT3_T4_T5_T6_T7_T9_mT8_P12ihipStream_tbDpT10_ENKUlT_T0_E_clISt17integral_constantIbLb1EES15_IbLb0EEEEDaS11_S12_EUlS11_E_NS1_11comp_targetILNS1_3genE0ELNS1_11target_archE4294967295ELNS1_3gpuE0ELNS1_3repE0EEENS1_30default_config_static_selectorELNS0_4arch9wavefront6targetE1EEEvT1_,comdat
	.protected	_ZN7rocprim17ROCPRIM_400000_NS6detail17trampoline_kernelINS0_14default_configENS1_25partition_config_selectorILNS1_17partition_subalgoE0EiNS0_10empty_typeEbEEZZNS1_14partition_implILS5_0ELb0ES3_jN6thrust23THRUST_200600_302600_NS6detail15normal_iteratorINSA_10device_ptrIiEEEEPS6_SG_NS0_5tupleIJSF_SF_EEENSH_IJSG_SG_EEES6_PlJ7is_evenIiEEEE10hipError_tPvRmT3_T4_T5_T6_T7_T9_mT8_P12ihipStream_tbDpT10_ENKUlT_T0_E_clISt17integral_constantIbLb1EES15_IbLb0EEEEDaS11_S12_EUlS11_E_NS1_11comp_targetILNS1_3genE0ELNS1_11target_archE4294967295ELNS1_3gpuE0ELNS1_3repE0EEENS1_30default_config_static_selectorELNS0_4arch9wavefront6targetE1EEEvT1_ ; -- Begin function _ZN7rocprim17ROCPRIM_400000_NS6detail17trampoline_kernelINS0_14default_configENS1_25partition_config_selectorILNS1_17partition_subalgoE0EiNS0_10empty_typeEbEEZZNS1_14partition_implILS5_0ELb0ES3_jN6thrust23THRUST_200600_302600_NS6detail15normal_iteratorINSA_10device_ptrIiEEEEPS6_SG_NS0_5tupleIJSF_SF_EEENSH_IJSG_SG_EEES6_PlJ7is_evenIiEEEE10hipError_tPvRmT3_T4_T5_T6_T7_T9_mT8_P12ihipStream_tbDpT10_ENKUlT_T0_E_clISt17integral_constantIbLb1EES15_IbLb0EEEEDaS11_S12_EUlS11_E_NS1_11comp_targetILNS1_3genE0ELNS1_11target_archE4294967295ELNS1_3gpuE0ELNS1_3repE0EEENS1_30default_config_static_selectorELNS0_4arch9wavefront6targetE1EEEvT1_
	.globl	_ZN7rocprim17ROCPRIM_400000_NS6detail17trampoline_kernelINS0_14default_configENS1_25partition_config_selectorILNS1_17partition_subalgoE0EiNS0_10empty_typeEbEEZZNS1_14partition_implILS5_0ELb0ES3_jN6thrust23THRUST_200600_302600_NS6detail15normal_iteratorINSA_10device_ptrIiEEEEPS6_SG_NS0_5tupleIJSF_SF_EEENSH_IJSG_SG_EEES6_PlJ7is_evenIiEEEE10hipError_tPvRmT3_T4_T5_T6_T7_T9_mT8_P12ihipStream_tbDpT10_ENKUlT_T0_E_clISt17integral_constantIbLb1EES15_IbLb0EEEEDaS11_S12_EUlS11_E_NS1_11comp_targetILNS1_3genE0ELNS1_11target_archE4294967295ELNS1_3gpuE0ELNS1_3repE0EEENS1_30default_config_static_selectorELNS0_4arch9wavefront6targetE1EEEvT1_
	.p2align	8
	.type	_ZN7rocprim17ROCPRIM_400000_NS6detail17trampoline_kernelINS0_14default_configENS1_25partition_config_selectorILNS1_17partition_subalgoE0EiNS0_10empty_typeEbEEZZNS1_14partition_implILS5_0ELb0ES3_jN6thrust23THRUST_200600_302600_NS6detail15normal_iteratorINSA_10device_ptrIiEEEEPS6_SG_NS0_5tupleIJSF_SF_EEENSH_IJSG_SG_EEES6_PlJ7is_evenIiEEEE10hipError_tPvRmT3_T4_T5_T6_T7_T9_mT8_P12ihipStream_tbDpT10_ENKUlT_T0_E_clISt17integral_constantIbLb1EES15_IbLb0EEEEDaS11_S12_EUlS11_E_NS1_11comp_targetILNS1_3genE0ELNS1_11target_archE4294967295ELNS1_3gpuE0ELNS1_3repE0EEENS1_30default_config_static_selectorELNS0_4arch9wavefront6targetE1EEEvT1_,@function
_ZN7rocprim17ROCPRIM_400000_NS6detail17trampoline_kernelINS0_14default_configENS1_25partition_config_selectorILNS1_17partition_subalgoE0EiNS0_10empty_typeEbEEZZNS1_14partition_implILS5_0ELb0ES3_jN6thrust23THRUST_200600_302600_NS6detail15normal_iteratorINSA_10device_ptrIiEEEEPS6_SG_NS0_5tupleIJSF_SF_EEENSH_IJSG_SG_EEES6_PlJ7is_evenIiEEEE10hipError_tPvRmT3_T4_T5_T6_T7_T9_mT8_P12ihipStream_tbDpT10_ENKUlT_T0_E_clISt17integral_constantIbLb1EES15_IbLb0EEEEDaS11_S12_EUlS11_E_NS1_11comp_targetILNS1_3genE0ELNS1_11target_archE4294967295ELNS1_3gpuE0ELNS1_3repE0EEENS1_30default_config_static_selectorELNS0_4arch9wavefront6targetE1EEEvT1_: ; @_ZN7rocprim17ROCPRIM_400000_NS6detail17trampoline_kernelINS0_14default_configENS1_25partition_config_selectorILNS1_17partition_subalgoE0EiNS0_10empty_typeEbEEZZNS1_14partition_implILS5_0ELb0ES3_jN6thrust23THRUST_200600_302600_NS6detail15normal_iteratorINSA_10device_ptrIiEEEEPS6_SG_NS0_5tupleIJSF_SF_EEENSH_IJSG_SG_EEES6_PlJ7is_evenIiEEEE10hipError_tPvRmT3_T4_T5_T6_T7_T9_mT8_P12ihipStream_tbDpT10_ENKUlT_T0_E_clISt17integral_constantIbLb1EES15_IbLb0EEEEDaS11_S12_EUlS11_E_NS1_11comp_targetILNS1_3genE0ELNS1_11target_archE4294967295ELNS1_3gpuE0ELNS1_3repE0EEENS1_30default_config_static_selectorELNS0_4arch9wavefront6targetE1EEEvT1_
; %bb.0:
	.section	.rodata,"a",@progbits
	.p2align	6, 0x0
	.amdhsa_kernel _ZN7rocprim17ROCPRIM_400000_NS6detail17trampoline_kernelINS0_14default_configENS1_25partition_config_selectorILNS1_17partition_subalgoE0EiNS0_10empty_typeEbEEZZNS1_14partition_implILS5_0ELb0ES3_jN6thrust23THRUST_200600_302600_NS6detail15normal_iteratorINSA_10device_ptrIiEEEEPS6_SG_NS0_5tupleIJSF_SF_EEENSH_IJSG_SG_EEES6_PlJ7is_evenIiEEEE10hipError_tPvRmT3_T4_T5_T6_T7_T9_mT8_P12ihipStream_tbDpT10_ENKUlT_T0_E_clISt17integral_constantIbLb1EES15_IbLb0EEEEDaS11_S12_EUlS11_E_NS1_11comp_targetILNS1_3genE0ELNS1_11target_archE4294967295ELNS1_3gpuE0ELNS1_3repE0EEENS1_30default_config_static_selectorELNS0_4arch9wavefront6targetE1EEEvT1_
		.amdhsa_group_segment_fixed_size 0
		.amdhsa_private_segment_fixed_size 0
		.amdhsa_kernarg_size 120
		.amdhsa_user_sgpr_count 6
		.amdhsa_user_sgpr_private_segment_buffer 1
		.amdhsa_user_sgpr_dispatch_ptr 0
		.amdhsa_user_sgpr_queue_ptr 0
		.amdhsa_user_sgpr_kernarg_segment_ptr 1
		.amdhsa_user_sgpr_dispatch_id 0
		.amdhsa_user_sgpr_flat_scratch_init 0
		.amdhsa_user_sgpr_kernarg_preload_length 0
		.amdhsa_user_sgpr_kernarg_preload_offset 0
		.amdhsa_user_sgpr_private_segment_size 0
		.amdhsa_uses_dynamic_stack 0
		.amdhsa_system_sgpr_private_segment_wavefront_offset 0
		.amdhsa_system_sgpr_workgroup_id_x 1
		.amdhsa_system_sgpr_workgroup_id_y 0
		.amdhsa_system_sgpr_workgroup_id_z 0
		.amdhsa_system_sgpr_workgroup_info 0
		.amdhsa_system_vgpr_workitem_id 0
		.amdhsa_next_free_vgpr 1
		.amdhsa_next_free_sgpr 0
		.amdhsa_accum_offset 4
		.amdhsa_reserve_vcc 0
		.amdhsa_reserve_flat_scratch 0
		.amdhsa_float_round_mode_32 0
		.amdhsa_float_round_mode_16_64 0
		.amdhsa_float_denorm_mode_32 3
		.amdhsa_float_denorm_mode_16_64 3
		.amdhsa_dx10_clamp 1
		.amdhsa_ieee_mode 1
		.amdhsa_fp16_overflow 0
		.amdhsa_tg_split 0
		.amdhsa_exception_fp_ieee_invalid_op 0
		.amdhsa_exception_fp_denorm_src 0
		.amdhsa_exception_fp_ieee_div_zero 0
		.amdhsa_exception_fp_ieee_overflow 0
		.amdhsa_exception_fp_ieee_underflow 0
		.amdhsa_exception_fp_ieee_inexact 0
		.amdhsa_exception_int_div_zero 0
	.end_amdhsa_kernel
	.section	.text._ZN7rocprim17ROCPRIM_400000_NS6detail17trampoline_kernelINS0_14default_configENS1_25partition_config_selectorILNS1_17partition_subalgoE0EiNS0_10empty_typeEbEEZZNS1_14partition_implILS5_0ELb0ES3_jN6thrust23THRUST_200600_302600_NS6detail15normal_iteratorINSA_10device_ptrIiEEEEPS6_SG_NS0_5tupleIJSF_SF_EEENSH_IJSG_SG_EEES6_PlJ7is_evenIiEEEE10hipError_tPvRmT3_T4_T5_T6_T7_T9_mT8_P12ihipStream_tbDpT10_ENKUlT_T0_E_clISt17integral_constantIbLb1EES15_IbLb0EEEEDaS11_S12_EUlS11_E_NS1_11comp_targetILNS1_3genE0ELNS1_11target_archE4294967295ELNS1_3gpuE0ELNS1_3repE0EEENS1_30default_config_static_selectorELNS0_4arch9wavefront6targetE1EEEvT1_,"axG",@progbits,_ZN7rocprim17ROCPRIM_400000_NS6detail17trampoline_kernelINS0_14default_configENS1_25partition_config_selectorILNS1_17partition_subalgoE0EiNS0_10empty_typeEbEEZZNS1_14partition_implILS5_0ELb0ES3_jN6thrust23THRUST_200600_302600_NS6detail15normal_iteratorINSA_10device_ptrIiEEEEPS6_SG_NS0_5tupleIJSF_SF_EEENSH_IJSG_SG_EEES6_PlJ7is_evenIiEEEE10hipError_tPvRmT3_T4_T5_T6_T7_T9_mT8_P12ihipStream_tbDpT10_ENKUlT_T0_E_clISt17integral_constantIbLb1EES15_IbLb0EEEEDaS11_S12_EUlS11_E_NS1_11comp_targetILNS1_3genE0ELNS1_11target_archE4294967295ELNS1_3gpuE0ELNS1_3repE0EEENS1_30default_config_static_selectorELNS0_4arch9wavefront6targetE1EEEvT1_,comdat
.Lfunc_end337:
	.size	_ZN7rocprim17ROCPRIM_400000_NS6detail17trampoline_kernelINS0_14default_configENS1_25partition_config_selectorILNS1_17partition_subalgoE0EiNS0_10empty_typeEbEEZZNS1_14partition_implILS5_0ELb0ES3_jN6thrust23THRUST_200600_302600_NS6detail15normal_iteratorINSA_10device_ptrIiEEEEPS6_SG_NS0_5tupleIJSF_SF_EEENSH_IJSG_SG_EEES6_PlJ7is_evenIiEEEE10hipError_tPvRmT3_T4_T5_T6_T7_T9_mT8_P12ihipStream_tbDpT10_ENKUlT_T0_E_clISt17integral_constantIbLb1EES15_IbLb0EEEEDaS11_S12_EUlS11_E_NS1_11comp_targetILNS1_3genE0ELNS1_11target_archE4294967295ELNS1_3gpuE0ELNS1_3repE0EEENS1_30default_config_static_selectorELNS0_4arch9wavefront6targetE1EEEvT1_, .Lfunc_end337-_ZN7rocprim17ROCPRIM_400000_NS6detail17trampoline_kernelINS0_14default_configENS1_25partition_config_selectorILNS1_17partition_subalgoE0EiNS0_10empty_typeEbEEZZNS1_14partition_implILS5_0ELb0ES3_jN6thrust23THRUST_200600_302600_NS6detail15normal_iteratorINSA_10device_ptrIiEEEEPS6_SG_NS0_5tupleIJSF_SF_EEENSH_IJSG_SG_EEES6_PlJ7is_evenIiEEEE10hipError_tPvRmT3_T4_T5_T6_T7_T9_mT8_P12ihipStream_tbDpT10_ENKUlT_T0_E_clISt17integral_constantIbLb1EES15_IbLb0EEEEDaS11_S12_EUlS11_E_NS1_11comp_targetILNS1_3genE0ELNS1_11target_archE4294967295ELNS1_3gpuE0ELNS1_3repE0EEENS1_30default_config_static_selectorELNS0_4arch9wavefront6targetE1EEEvT1_
                                        ; -- End function
	.section	.AMDGPU.csdata,"",@progbits
; Kernel info:
; codeLenInByte = 0
; NumSgprs: 4
; NumVgprs: 0
; NumAgprs: 0
; TotalNumVgprs: 0
; ScratchSize: 0
; MemoryBound: 0
; FloatMode: 240
; IeeeMode: 1
; LDSByteSize: 0 bytes/workgroup (compile time only)
; SGPRBlocks: 0
; VGPRBlocks: 0
; NumSGPRsForWavesPerEU: 4
; NumVGPRsForWavesPerEU: 1
; AccumOffset: 4
; Occupancy: 8
; WaveLimiterHint : 0
; COMPUTE_PGM_RSRC2:SCRATCH_EN: 0
; COMPUTE_PGM_RSRC2:USER_SGPR: 6
; COMPUTE_PGM_RSRC2:TRAP_HANDLER: 0
; COMPUTE_PGM_RSRC2:TGID_X_EN: 1
; COMPUTE_PGM_RSRC2:TGID_Y_EN: 0
; COMPUTE_PGM_RSRC2:TGID_Z_EN: 0
; COMPUTE_PGM_RSRC2:TIDIG_COMP_CNT: 0
; COMPUTE_PGM_RSRC3_GFX90A:ACCUM_OFFSET: 0
; COMPUTE_PGM_RSRC3_GFX90A:TG_SPLIT: 0
	.section	.text._ZN7rocprim17ROCPRIM_400000_NS6detail17trampoline_kernelINS0_14default_configENS1_25partition_config_selectorILNS1_17partition_subalgoE0EiNS0_10empty_typeEbEEZZNS1_14partition_implILS5_0ELb0ES3_jN6thrust23THRUST_200600_302600_NS6detail15normal_iteratorINSA_10device_ptrIiEEEEPS6_SG_NS0_5tupleIJSF_SF_EEENSH_IJSG_SG_EEES6_PlJ7is_evenIiEEEE10hipError_tPvRmT3_T4_T5_T6_T7_T9_mT8_P12ihipStream_tbDpT10_ENKUlT_T0_E_clISt17integral_constantIbLb1EES15_IbLb0EEEEDaS11_S12_EUlS11_E_NS1_11comp_targetILNS1_3genE5ELNS1_11target_archE942ELNS1_3gpuE9ELNS1_3repE0EEENS1_30default_config_static_selectorELNS0_4arch9wavefront6targetE1EEEvT1_,"axG",@progbits,_ZN7rocprim17ROCPRIM_400000_NS6detail17trampoline_kernelINS0_14default_configENS1_25partition_config_selectorILNS1_17partition_subalgoE0EiNS0_10empty_typeEbEEZZNS1_14partition_implILS5_0ELb0ES3_jN6thrust23THRUST_200600_302600_NS6detail15normal_iteratorINSA_10device_ptrIiEEEEPS6_SG_NS0_5tupleIJSF_SF_EEENSH_IJSG_SG_EEES6_PlJ7is_evenIiEEEE10hipError_tPvRmT3_T4_T5_T6_T7_T9_mT8_P12ihipStream_tbDpT10_ENKUlT_T0_E_clISt17integral_constantIbLb1EES15_IbLb0EEEEDaS11_S12_EUlS11_E_NS1_11comp_targetILNS1_3genE5ELNS1_11target_archE942ELNS1_3gpuE9ELNS1_3repE0EEENS1_30default_config_static_selectorELNS0_4arch9wavefront6targetE1EEEvT1_,comdat
	.protected	_ZN7rocprim17ROCPRIM_400000_NS6detail17trampoline_kernelINS0_14default_configENS1_25partition_config_selectorILNS1_17partition_subalgoE0EiNS0_10empty_typeEbEEZZNS1_14partition_implILS5_0ELb0ES3_jN6thrust23THRUST_200600_302600_NS6detail15normal_iteratorINSA_10device_ptrIiEEEEPS6_SG_NS0_5tupleIJSF_SF_EEENSH_IJSG_SG_EEES6_PlJ7is_evenIiEEEE10hipError_tPvRmT3_T4_T5_T6_T7_T9_mT8_P12ihipStream_tbDpT10_ENKUlT_T0_E_clISt17integral_constantIbLb1EES15_IbLb0EEEEDaS11_S12_EUlS11_E_NS1_11comp_targetILNS1_3genE5ELNS1_11target_archE942ELNS1_3gpuE9ELNS1_3repE0EEENS1_30default_config_static_selectorELNS0_4arch9wavefront6targetE1EEEvT1_ ; -- Begin function _ZN7rocprim17ROCPRIM_400000_NS6detail17trampoline_kernelINS0_14default_configENS1_25partition_config_selectorILNS1_17partition_subalgoE0EiNS0_10empty_typeEbEEZZNS1_14partition_implILS5_0ELb0ES3_jN6thrust23THRUST_200600_302600_NS6detail15normal_iteratorINSA_10device_ptrIiEEEEPS6_SG_NS0_5tupleIJSF_SF_EEENSH_IJSG_SG_EEES6_PlJ7is_evenIiEEEE10hipError_tPvRmT3_T4_T5_T6_T7_T9_mT8_P12ihipStream_tbDpT10_ENKUlT_T0_E_clISt17integral_constantIbLb1EES15_IbLb0EEEEDaS11_S12_EUlS11_E_NS1_11comp_targetILNS1_3genE5ELNS1_11target_archE942ELNS1_3gpuE9ELNS1_3repE0EEENS1_30default_config_static_selectorELNS0_4arch9wavefront6targetE1EEEvT1_
	.globl	_ZN7rocprim17ROCPRIM_400000_NS6detail17trampoline_kernelINS0_14default_configENS1_25partition_config_selectorILNS1_17partition_subalgoE0EiNS0_10empty_typeEbEEZZNS1_14partition_implILS5_0ELb0ES3_jN6thrust23THRUST_200600_302600_NS6detail15normal_iteratorINSA_10device_ptrIiEEEEPS6_SG_NS0_5tupleIJSF_SF_EEENSH_IJSG_SG_EEES6_PlJ7is_evenIiEEEE10hipError_tPvRmT3_T4_T5_T6_T7_T9_mT8_P12ihipStream_tbDpT10_ENKUlT_T0_E_clISt17integral_constantIbLb1EES15_IbLb0EEEEDaS11_S12_EUlS11_E_NS1_11comp_targetILNS1_3genE5ELNS1_11target_archE942ELNS1_3gpuE9ELNS1_3repE0EEENS1_30default_config_static_selectorELNS0_4arch9wavefront6targetE1EEEvT1_
	.p2align	8
	.type	_ZN7rocprim17ROCPRIM_400000_NS6detail17trampoline_kernelINS0_14default_configENS1_25partition_config_selectorILNS1_17partition_subalgoE0EiNS0_10empty_typeEbEEZZNS1_14partition_implILS5_0ELb0ES3_jN6thrust23THRUST_200600_302600_NS6detail15normal_iteratorINSA_10device_ptrIiEEEEPS6_SG_NS0_5tupleIJSF_SF_EEENSH_IJSG_SG_EEES6_PlJ7is_evenIiEEEE10hipError_tPvRmT3_T4_T5_T6_T7_T9_mT8_P12ihipStream_tbDpT10_ENKUlT_T0_E_clISt17integral_constantIbLb1EES15_IbLb0EEEEDaS11_S12_EUlS11_E_NS1_11comp_targetILNS1_3genE5ELNS1_11target_archE942ELNS1_3gpuE9ELNS1_3repE0EEENS1_30default_config_static_selectorELNS0_4arch9wavefront6targetE1EEEvT1_,@function
_ZN7rocprim17ROCPRIM_400000_NS6detail17trampoline_kernelINS0_14default_configENS1_25partition_config_selectorILNS1_17partition_subalgoE0EiNS0_10empty_typeEbEEZZNS1_14partition_implILS5_0ELb0ES3_jN6thrust23THRUST_200600_302600_NS6detail15normal_iteratorINSA_10device_ptrIiEEEEPS6_SG_NS0_5tupleIJSF_SF_EEENSH_IJSG_SG_EEES6_PlJ7is_evenIiEEEE10hipError_tPvRmT3_T4_T5_T6_T7_T9_mT8_P12ihipStream_tbDpT10_ENKUlT_T0_E_clISt17integral_constantIbLb1EES15_IbLb0EEEEDaS11_S12_EUlS11_E_NS1_11comp_targetILNS1_3genE5ELNS1_11target_archE942ELNS1_3gpuE9ELNS1_3repE0EEENS1_30default_config_static_selectorELNS0_4arch9wavefront6targetE1EEEvT1_: ; @_ZN7rocprim17ROCPRIM_400000_NS6detail17trampoline_kernelINS0_14default_configENS1_25partition_config_selectorILNS1_17partition_subalgoE0EiNS0_10empty_typeEbEEZZNS1_14partition_implILS5_0ELb0ES3_jN6thrust23THRUST_200600_302600_NS6detail15normal_iteratorINSA_10device_ptrIiEEEEPS6_SG_NS0_5tupleIJSF_SF_EEENSH_IJSG_SG_EEES6_PlJ7is_evenIiEEEE10hipError_tPvRmT3_T4_T5_T6_T7_T9_mT8_P12ihipStream_tbDpT10_ENKUlT_T0_E_clISt17integral_constantIbLb1EES15_IbLb0EEEEDaS11_S12_EUlS11_E_NS1_11comp_targetILNS1_3genE5ELNS1_11target_archE942ELNS1_3gpuE9ELNS1_3repE0EEENS1_30default_config_static_selectorELNS0_4arch9wavefront6targetE1EEEvT1_
; %bb.0:
	.section	.rodata,"a",@progbits
	.p2align	6, 0x0
	.amdhsa_kernel _ZN7rocprim17ROCPRIM_400000_NS6detail17trampoline_kernelINS0_14default_configENS1_25partition_config_selectorILNS1_17partition_subalgoE0EiNS0_10empty_typeEbEEZZNS1_14partition_implILS5_0ELb0ES3_jN6thrust23THRUST_200600_302600_NS6detail15normal_iteratorINSA_10device_ptrIiEEEEPS6_SG_NS0_5tupleIJSF_SF_EEENSH_IJSG_SG_EEES6_PlJ7is_evenIiEEEE10hipError_tPvRmT3_T4_T5_T6_T7_T9_mT8_P12ihipStream_tbDpT10_ENKUlT_T0_E_clISt17integral_constantIbLb1EES15_IbLb0EEEEDaS11_S12_EUlS11_E_NS1_11comp_targetILNS1_3genE5ELNS1_11target_archE942ELNS1_3gpuE9ELNS1_3repE0EEENS1_30default_config_static_selectorELNS0_4arch9wavefront6targetE1EEEvT1_
		.amdhsa_group_segment_fixed_size 0
		.amdhsa_private_segment_fixed_size 0
		.amdhsa_kernarg_size 120
		.amdhsa_user_sgpr_count 6
		.amdhsa_user_sgpr_private_segment_buffer 1
		.amdhsa_user_sgpr_dispatch_ptr 0
		.amdhsa_user_sgpr_queue_ptr 0
		.amdhsa_user_sgpr_kernarg_segment_ptr 1
		.amdhsa_user_sgpr_dispatch_id 0
		.amdhsa_user_sgpr_flat_scratch_init 0
		.amdhsa_user_sgpr_kernarg_preload_length 0
		.amdhsa_user_sgpr_kernarg_preload_offset 0
		.amdhsa_user_sgpr_private_segment_size 0
		.amdhsa_uses_dynamic_stack 0
		.amdhsa_system_sgpr_private_segment_wavefront_offset 0
		.amdhsa_system_sgpr_workgroup_id_x 1
		.amdhsa_system_sgpr_workgroup_id_y 0
		.amdhsa_system_sgpr_workgroup_id_z 0
		.amdhsa_system_sgpr_workgroup_info 0
		.amdhsa_system_vgpr_workitem_id 0
		.amdhsa_next_free_vgpr 1
		.amdhsa_next_free_sgpr 0
		.amdhsa_accum_offset 4
		.amdhsa_reserve_vcc 0
		.amdhsa_reserve_flat_scratch 0
		.amdhsa_float_round_mode_32 0
		.amdhsa_float_round_mode_16_64 0
		.amdhsa_float_denorm_mode_32 3
		.amdhsa_float_denorm_mode_16_64 3
		.amdhsa_dx10_clamp 1
		.amdhsa_ieee_mode 1
		.amdhsa_fp16_overflow 0
		.amdhsa_tg_split 0
		.amdhsa_exception_fp_ieee_invalid_op 0
		.amdhsa_exception_fp_denorm_src 0
		.amdhsa_exception_fp_ieee_div_zero 0
		.amdhsa_exception_fp_ieee_overflow 0
		.amdhsa_exception_fp_ieee_underflow 0
		.amdhsa_exception_fp_ieee_inexact 0
		.amdhsa_exception_int_div_zero 0
	.end_amdhsa_kernel
	.section	.text._ZN7rocprim17ROCPRIM_400000_NS6detail17trampoline_kernelINS0_14default_configENS1_25partition_config_selectorILNS1_17partition_subalgoE0EiNS0_10empty_typeEbEEZZNS1_14partition_implILS5_0ELb0ES3_jN6thrust23THRUST_200600_302600_NS6detail15normal_iteratorINSA_10device_ptrIiEEEEPS6_SG_NS0_5tupleIJSF_SF_EEENSH_IJSG_SG_EEES6_PlJ7is_evenIiEEEE10hipError_tPvRmT3_T4_T5_T6_T7_T9_mT8_P12ihipStream_tbDpT10_ENKUlT_T0_E_clISt17integral_constantIbLb1EES15_IbLb0EEEEDaS11_S12_EUlS11_E_NS1_11comp_targetILNS1_3genE5ELNS1_11target_archE942ELNS1_3gpuE9ELNS1_3repE0EEENS1_30default_config_static_selectorELNS0_4arch9wavefront6targetE1EEEvT1_,"axG",@progbits,_ZN7rocprim17ROCPRIM_400000_NS6detail17trampoline_kernelINS0_14default_configENS1_25partition_config_selectorILNS1_17partition_subalgoE0EiNS0_10empty_typeEbEEZZNS1_14partition_implILS5_0ELb0ES3_jN6thrust23THRUST_200600_302600_NS6detail15normal_iteratorINSA_10device_ptrIiEEEEPS6_SG_NS0_5tupleIJSF_SF_EEENSH_IJSG_SG_EEES6_PlJ7is_evenIiEEEE10hipError_tPvRmT3_T4_T5_T6_T7_T9_mT8_P12ihipStream_tbDpT10_ENKUlT_T0_E_clISt17integral_constantIbLb1EES15_IbLb0EEEEDaS11_S12_EUlS11_E_NS1_11comp_targetILNS1_3genE5ELNS1_11target_archE942ELNS1_3gpuE9ELNS1_3repE0EEENS1_30default_config_static_selectorELNS0_4arch9wavefront6targetE1EEEvT1_,comdat
.Lfunc_end338:
	.size	_ZN7rocprim17ROCPRIM_400000_NS6detail17trampoline_kernelINS0_14default_configENS1_25partition_config_selectorILNS1_17partition_subalgoE0EiNS0_10empty_typeEbEEZZNS1_14partition_implILS5_0ELb0ES3_jN6thrust23THRUST_200600_302600_NS6detail15normal_iteratorINSA_10device_ptrIiEEEEPS6_SG_NS0_5tupleIJSF_SF_EEENSH_IJSG_SG_EEES6_PlJ7is_evenIiEEEE10hipError_tPvRmT3_T4_T5_T6_T7_T9_mT8_P12ihipStream_tbDpT10_ENKUlT_T0_E_clISt17integral_constantIbLb1EES15_IbLb0EEEEDaS11_S12_EUlS11_E_NS1_11comp_targetILNS1_3genE5ELNS1_11target_archE942ELNS1_3gpuE9ELNS1_3repE0EEENS1_30default_config_static_selectorELNS0_4arch9wavefront6targetE1EEEvT1_, .Lfunc_end338-_ZN7rocprim17ROCPRIM_400000_NS6detail17trampoline_kernelINS0_14default_configENS1_25partition_config_selectorILNS1_17partition_subalgoE0EiNS0_10empty_typeEbEEZZNS1_14partition_implILS5_0ELb0ES3_jN6thrust23THRUST_200600_302600_NS6detail15normal_iteratorINSA_10device_ptrIiEEEEPS6_SG_NS0_5tupleIJSF_SF_EEENSH_IJSG_SG_EEES6_PlJ7is_evenIiEEEE10hipError_tPvRmT3_T4_T5_T6_T7_T9_mT8_P12ihipStream_tbDpT10_ENKUlT_T0_E_clISt17integral_constantIbLb1EES15_IbLb0EEEEDaS11_S12_EUlS11_E_NS1_11comp_targetILNS1_3genE5ELNS1_11target_archE942ELNS1_3gpuE9ELNS1_3repE0EEENS1_30default_config_static_selectorELNS0_4arch9wavefront6targetE1EEEvT1_
                                        ; -- End function
	.section	.AMDGPU.csdata,"",@progbits
; Kernel info:
; codeLenInByte = 0
; NumSgprs: 4
; NumVgprs: 0
; NumAgprs: 0
; TotalNumVgprs: 0
; ScratchSize: 0
; MemoryBound: 0
; FloatMode: 240
; IeeeMode: 1
; LDSByteSize: 0 bytes/workgroup (compile time only)
; SGPRBlocks: 0
; VGPRBlocks: 0
; NumSGPRsForWavesPerEU: 4
; NumVGPRsForWavesPerEU: 1
; AccumOffset: 4
; Occupancy: 8
; WaveLimiterHint : 0
; COMPUTE_PGM_RSRC2:SCRATCH_EN: 0
; COMPUTE_PGM_RSRC2:USER_SGPR: 6
; COMPUTE_PGM_RSRC2:TRAP_HANDLER: 0
; COMPUTE_PGM_RSRC2:TGID_X_EN: 1
; COMPUTE_PGM_RSRC2:TGID_Y_EN: 0
; COMPUTE_PGM_RSRC2:TGID_Z_EN: 0
; COMPUTE_PGM_RSRC2:TIDIG_COMP_CNT: 0
; COMPUTE_PGM_RSRC3_GFX90A:ACCUM_OFFSET: 0
; COMPUTE_PGM_RSRC3_GFX90A:TG_SPLIT: 0
	.section	.text._ZN7rocprim17ROCPRIM_400000_NS6detail17trampoline_kernelINS0_14default_configENS1_25partition_config_selectorILNS1_17partition_subalgoE0EiNS0_10empty_typeEbEEZZNS1_14partition_implILS5_0ELb0ES3_jN6thrust23THRUST_200600_302600_NS6detail15normal_iteratorINSA_10device_ptrIiEEEEPS6_SG_NS0_5tupleIJSF_SF_EEENSH_IJSG_SG_EEES6_PlJ7is_evenIiEEEE10hipError_tPvRmT3_T4_T5_T6_T7_T9_mT8_P12ihipStream_tbDpT10_ENKUlT_T0_E_clISt17integral_constantIbLb1EES15_IbLb0EEEEDaS11_S12_EUlS11_E_NS1_11comp_targetILNS1_3genE4ELNS1_11target_archE910ELNS1_3gpuE8ELNS1_3repE0EEENS1_30default_config_static_selectorELNS0_4arch9wavefront6targetE1EEEvT1_,"axG",@progbits,_ZN7rocprim17ROCPRIM_400000_NS6detail17trampoline_kernelINS0_14default_configENS1_25partition_config_selectorILNS1_17partition_subalgoE0EiNS0_10empty_typeEbEEZZNS1_14partition_implILS5_0ELb0ES3_jN6thrust23THRUST_200600_302600_NS6detail15normal_iteratorINSA_10device_ptrIiEEEEPS6_SG_NS0_5tupleIJSF_SF_EEENSH_IJSG_SG_EEES6_PlJ7is_evenIiEEEE10hipError_tPvRmT3_T4_T5_T6_T7_T9_mT8_P12ihipStream_tbDpT10_ENKUlT_T0_E_clISt17integral_constantIbLb1EES15_IbLb0EEEEDaS11_S12_EUlS11_E_NS1_11comp_targetILNS1_3genE4ELNS1_11target_archE910ELNS1_3gpuE8ELNS1_3repE0EEENS1_30default_config_static_selectorELNS0_4arch9wavefront6targetE1EEEvT1_,comdat
	.protected	_ZN7rocprim17ROCPRIM_400000_NS6detail17trampoline_kernelINS0_14default_configENS1_25partition_config_selectorILNS1_17partition_subalgoE0EiNS0_10empty_typeEbEEZZNS1_14partition_implILS5_0ELb0ES3_jN6thrust23THRUST_200600_302600_NS6detail15normal_iteratorINSA_10device_ptrIiEEEEPS6_SG_NS0_5tupleIJSF_SF_EEENSH_IJSG_SG_EEES6_PlJ7is_evenIiEEEE10hipError_tPvRmT3_T4_T5_T6_T7_T9_mT8_P12ihipStream_tbDpT10_ENKUlT_T0_E_clISt17integral_constantIbLb1EES15_IbLb0EEEEDaS11_S12_EUlS11_E_NS1_11comp_targetILNS1_3genE4ELNS1_11target_archE910ELNS1_3gpuE8ELNS1_3repE0EEENS1_30default_config_static_selectorELNS0_4arch9wavefront6targetE1EEEvT1_ ; -- Begin function _ZN7rocprim17ROCPRIM_400000_NS6detail17trampoline_kernelINS0_14default_configENS1_25partition_config_selectorILNS1_17partition_subalgoE0EiNS0_10empty_typeEbEEZZNS1_14partition_implILS5_0ELb0ES3_jN6thrust23THRUST_200600_302600_NS6detail15normal_iteratorINSA_10device_ptrIiEEEEPS6_SG_NS0_5tupleIJSF_SF_EEENSH_IJSG_SG_EEES6_PlJ7is_evenIiEEEE10hipError_tPvRmT3_T4_T5_T6_T7_T9_mT8_P12ihipStream_tbDpT10_ENKUlT_T0_E_clISt17integral_constantIbLb1EES15_IbLb0EEEEDaS11_S12_EUlS11_E_NS1_11comp_targetILNS1_3genE4ELNS1_11target_archE910ELNS1_3gpuE8ELNS1_3repE0EEENS1_30default_config_static_selectorELNS0_4arch9wavefront6targetE1EEEvT1_
	.globl	_ZN7rocprim17ROCPRIM_400000_NS6detail17trampoline_kernelINS0_14default_configENS1_25partition_config_selectorILNS1_17partition_subalgoE0EiNS0_10empty_typeEbEEZZNS1_14partition_implILS5_0ELb0ES3_jN6thrust23THRUST_200600_302600_NS6detail15normal_iteratorINSA_10device_ptrIiEEEEPS6_SG_NS0_5tupleIJSF_SF_EEENSH_IJSG_SG_EEES6_PlJ7is_evenIiEEEE10hipError_tPvRmT3_T4_T5_T6_T7_T9_mT8_P12ihipStream_tbDpT10_ENKUlT_T0_E_clISt17integral_constantIbLb1EES15_IbLb0EEEEDaS11_S12_EUlS11_E_NS1_11comp_targetILNS1_3genE4ELNS1_11target_archE910ELNS1_3gpuE8ELNS1_3repE0EEENS1_30default_config_static_selectorELNS0_4arch9wavefront6targetE1EEEvT1_
	.p2align	8
	.type	_ZN7rocprim17ROCPRIM_400000_NS6detail17trampoline_kernelINS0_14default_configENS1_25partition_config_selectorILNS1_17partition_subalgoE0EiNS0_10empty_typeEbEEZZNS1_14partition_implILS5_0ELb0ES3_jN6thrust23THRUST_200600_302600_NS6detail15normal_iteratorINSA_10device_ptrIiEEEEPS6_SG_NS0_5tupleIJSF_SF_EEENSH_IJSG_SG_EEES6_PlJ7is_evenIiEEEE10hipError_tPvRmT3_T4_T5_T6_T7_T9_mT8_P12ihipStream_tbDpT10_ENKUlT_T0_E_clISt17integral_constantIbLb1EES15_IbLb0EEEEDaS11_S12_EUlS11_E_NS1_11comp_targetILNS1_3genE4ELNS1_11target_archE910ELNS1_3gpuE8ELNS1_3repE0EEENS1_30default_config_static_selectorELNS0_4arch9wavefront6targetE1EEEvT1_,@function
_ZN7rocprim17ROCPRIM_400000_NS6detail17trampoline_kernelINS0_14default_configENS1_25partition_config_selectorILNS1_17partition_subalgoE0EiNS0_10empty_typeEbEEZZNS1_14partition_implILS5_0ELb0ES3_jN6thrust23THRUST_200600_302600_NS6detail15normal_iteratorINSA_10device_ptrIiEEEEPS6_SG_NS0_5tupleIJSF_SF_EEENSH_IJSG_SG_EEES6_PlJ7is_evenIiEEEE10hipError_tPvRmT3_T4_T5_T6_T7_T9_mT8_P12ihipStream_tbDpT10_ENKUlT_T0_E_clISt17integral_constantIbLb1EES15_IbLb0EEEEDaS11_S12_EUlS11_E_NS1_11comp_targetILNS1_3genE4ELNS1_11target_archE910ELNS1_3gpuE8ELNS1_3repE0EEENS1_30default_config_static_selectorELNS0_4arch9wavefront6targetE1EEEvT1_: ; @_ZN7rocprim17ROCPRIM_400000_NS6detail17trampoline_kernelINS0_14default_configENS1_25partition_config_selectorILNS1_17partition_subalgoE0EiNS0_10empty_typeEbEEZZNS1_14partition_implILS5_0ELb0ES3_jN6thrust23THRUST_200600_302600_NS6detail15normal_iteratorINSA_10device_ptrIiEEEEPS6_SG_NS0_5tupleIJSF_SF_EEENSH_IJSG_SG_EEES6_PlJ7is_evenIiEEEE10hipError_tPvRmT3_T4_T5_T6_T7_T9_mT8_P12ihipStream_tbDpT10_ENKUlT_T0_E_clISt17integral_constantIbLb1EES15_IbLb0EEEEDaS11_S12_EUlS11_E_NS1_11comp_targetILNS1_3genE4ELNS1_11target_archE910ELNS1_3gpuE8ELNS1_3repE0EEENS1_30default_config_static_selectorELNS0_4arch9wavefront6targetE1EEEvT1_
; %bb.0:
	s_load_dwordx2 s[0:1], s[4:5], 0x58
	s_load_dwordx4 s[20:23], s[4:5], 0x8
	s_load_dwordx4 s[24:27], s[4:5], 0x48
	s_load_dword s7, s[4:5], 0x70
	s_mul_i32 s8, s6, 0xa00
	s_waitcnt lgkmcnt(0)
	v_mov_b32_e32 v3, s1
	s_lshl_b64 s[2:3], s[22:23], 2
	s_add_u32 s10, s20, s2
	s_mul_i32 s1, s7, 0xa00
	s_addc_u32 s11, s21, s3
	s_add_i32 s3, s1, s22
	s_sub_i32 s33, s0, s3
	s_add_i32 s2, s7, -1
	s_addk_i32 s33, 0xa00
	v_mov_b32_e32 v2, s0
	s_add_u32 s0, s22, s1
	s_addc_u32 s1, s23, 0
	s_cmp_eq_u32 s6, s2
	s_load_dwordx2 s[30:31], s[26:27], 0x0
	s_cselect_b64 s[26:27], -1, 0
	s_cmp_lg_u32 s6, s2
	s_mov_b32 s9, 0
	v_cmp_lt_u64_e32 vcc, s[0:1], v[2:3]
	s_cselect_b64 s[0:1], -1, 0
	s_or_b64 s[2:3], s[0:1], vcc
	s_lshl_b64 s[28:29], s[8:9], 2
	s_add_u32 s7, s10, s28
	s_addc_u32 s10, s11, s29
	s_mov_b64 s[0:1], -1
	s_and_b64 vcc, exec, s[2:3]
	v_lshlrev_b32_e32 v1, 2, v0
	s_cbranch_vccz .LBB339_2
; %bb.1:
	v_mov_b32_e32 v3, s10
	v_add_co_u32_e32 v2, vcc, s7, v1
	v_addc_co_u32_e32 v3, vcc, 0, v3, vcc
	v_add_co_u32_e32 v4, vcc, 0x1000, v2
	v_addc_co_u32_e32 v5, vcc, 0, v3, vcc
	flat_load_dword v6, v[2:3]
	flat_load_dword v7, v[2:3] offset:1024
	flat_load_dword v8, v[2:3] offset:2048
	;; [unrolled: 1-line block ×3, first 2 shown]
	flat_load_dword v10, v[4:5]
	flat_load_dword v11, v[4:5] offset:1024
	flat_load_dword v12, v[4:5] offset:2048
	;; [unrolled: 1-line block ×3, first 2 shown]
	v_add_co_u32_e32 v2, vcc, 0x2000, v2
	v_addc_co_u32_e32 v3, vcc, 0, v3, vcc
	flat_load_dword v4, v[2:3]
	flat_load_dword v5, v[2:3] offset:1024
	s_mov_b64 s[0:1], 0
	s_waitcnt vmcnt(0) lgkmcnt(0)
	ds_write2st64_b32 v1, v6, v7 offset1:4
	ds_write2st64_b32 v1, v8, v9 offset0:8 offset1:12
	ds_write2st64_b32 v1, v10, v11 offset0:16 offset1:20
	;; [unrolled: 1-line block ×4, first 2 shown]
	s_waitcnt lgkmcnt(0)
	s_barrier
.LBB339_2:
	s_andn2_b64 vcc, exec, s[0:1]
	v_cmp_gt_u32_e64 s[0:1], s33, v0
	s_cbranch_vccnz .LBB339_24
; %bb.3:
                                        ; implicit-def: $vgpr2_vgpr3_vgpr4_vgpr5_vgpr6_vgpr7_vgpr8_vgpr9_vgpr10_vgpr11
	s_and_saveexec_b64 s[8:9], s[0:1]
	s_cbranch_execz .LBB339_5
; %bb.4:
	v_mov_b32_e32 v3, s10
	v_add_co_u32_e32 v2, vcc, s7, v1
	v_addc_co_u32_e32 v3, vcc, 0, v3, vcc
	flat_load_dword v2, v[2:3]
.LBB339_5:
	s_or_b64 exec, exec, s[8:9]
	v_or_b32_e32 v12, 0x100, v0
	v_cmp_gt_u32_e32 vcc, s33, v12
	s_and_saveexec_b64 s[0:1], vcc
	s_cbranch_execz .LBB339_7
; %bb.6:
	v_mov_b32_e32 v3, s10
	v_add_co_u32_e32 v12, vcc, s7, v1
	v_addc_co_u32_e32 v13, vcc, 0, v3, vcc
	flat_load_dword v3, v[12:13] offset:1024
.LBB339_7:
	s_or_b64 exec, exec, s[0:1]
	v_or_b32_e32 v12, 0x200, v0
	v_cmp_gt_u32_e32 vcc, s33, v12
	s_and_saveexec_b64 s[0:1], vcc
	s_cbranch_execz .LBB339_9
; %bb.8:
	v_mov_b32_e32 v4, s10
	v_add_co_u32_e32 v12, vcc, s7, v1
	v_addc_co_u32_e32 v13, vcc, 0, v4, vcc
	flat_load_dword v4, v[12:13] offset:2048
.LBB339_9:
	s_or_b64 exec, exec, s[0:1]
	v_or_b32_e32 v12, 0x300, v0
	v_cmp_gt_u32_e32 vcc, s33, v12
	s_and_saveexec_b64 s[0:1], vcc
	s_cbranch_execz .LBB339_11
; %bb.10:
	v_mov_b32_e32 v5, s10
	v_add_co_u32_e32 v12, vcc, s7, v1
	v_addc_co_u32_e32 v13, vcc, 0, v5, vcc
	flat_load_dword v5, v[12:13] offset:3072
.LBB339_11:
	s_or_b64 exec, exec, s[0:1]
	v_or_b32_e32 v12, 0x400, v0
	v_cmp_gt_u32_e32 vcc, s33, v12
	s_and_saveexec_b64 s[0:1], vcc
	s_cbranch_execz .LBB339_13
; %bb.12:
	v_lshlrev_b32_e32 v6, 2, v12
	v_mov_b32_e32 v13, s10
	v_add_co_u32_e32 v12, vcc, s7, v6
	v_addc_co_u32_e32 v13, vcc, 0, v13, vcc
	flat_load_dword v6, v[12:13]
.LBB339_13:
	s_or_b64 exec, exec, s[0:1]
	v_or_b32_e32 v12, 0x500, v0
	v_cmp_gt_u32_e32 vcc, s33, v12
	s_and_saveexec_b64 s[0:1], vcc
	s_cbranch_execz .LBB339_15
; %bb.14:
	v_lshlrev_b32_e32 v7, 2, v12
	v_mov_b32_e32 v13, s10
	v_add_co_u32_e32 v12, vcc, s7, v7
	v_addc_co_u32_e32 v13, vcc, 0, v13, vcc
	flat_load_dword v7, v[12:13]
.LBB339_15:
	;; [unrolled: 12-line block ×6, first 2 shown]
	s_or_b64 exec, exec, s[0:1]
	s_waitcnt vmcnt(0) lgkmcnt(0)
	ds_write2st64_b32 v1, v2, v3 offset1:4
	ds_write2st64_b32 v1, v4, v5 offset0:8 offset1:12
	ds_write2st64_b32 v1, v6, v7 offset0:16 offset1:20
	;; [unrolled: 1-line block ×4, first 2 shown]
	s_waitcnt lgkmcnt(0)
	s_barrier
.LBB339_24:
	v_mul_u32_u24_e32 v23, 10, v0
	v_lshlrev_b32_e32 v29, 2, v23
	s_waitcnt lgkmcnt(0)
	ds_read2_b64 v[6:9], v29 offset1:1
	ds_read2_b64 v[2:5], v29 offset0:2 offset1:3
	ds_read_b64 v[10:11], v29 offset:32
	v_cndmask_b32_e64 v12, 0, 1, s[2:3]
	v_cmp_ne_u32_e64 s[0:1], 1, v12
	s_andn2_b64 vcc, exec, s[2:3]
	s_waitcnt lgkmcnt(2)
	v_xor_b32_e32 v21, -1, v6
	v_xor_b32_e32 v20, -1, v7
	;; [unrolled: 1-line block ×4, first 2 shown]
	s_waitcnt lgkmcnt(1)
	v_xor_b32_e32 v17, -1, v2
	v_xor_b32_e32 v16, -1, v3
	;; [unrolled: 1-line block ×4, first 2 shown]
	s_waitcnt lgkmcnt(0)
	v_xor_b32_e32 v13, -1, v10
	v_xor_b32_e32 v12, -1, v11
	s_barrier
	s_cbranch_vccnz .LBB339_26
; %bb.25:
	v_mov_b32_e32 v22, 1
	v_and_b32_e32 v25, 1, v21
	v_and_b32_sdwa v26, v20, v22 dst_sel:BYTE_1 dst_unused:UNUSED_PAD src0_sel:DWORD src1_sel:DWORD
	v_and_b32_e32 v27, 1, v19
	v_and_b32_sdwa v28, v18, v22 dst_sel:BYTE_1 dst_unused:UNUSED_PAD src0_sel:DWORD src1_sel:DWORD
	;; [unrolled: 2-line block ×4, first 2 shown]
	v_or_b32_e32 v25, v25, v26
	v_or_b32_sdwa v26, v27, v28 dst_sel:WORD_1 dst_unused:UNUSED_PAD src0_sel:DWORD src1_sel:DWORD
	v_or_b32_sdwa v26, v25, v26 dst_sel:DWORD dst_unused:UNUSED_PAD src0_sel:WORD_0 src1_sel:DWORD
	v_or_b32_e32 v25, v30, v31
	v_or_b32_sdwa v27, v32, v33 dst_sel:WORD_1 dst_unused:UNUSED_PAD src0_sel:DWORD src1_sel:DWORD
	v_and_b32_e32 v24, 1, v13
	v_and_b32_e32 v22, 1, v12
	v_or_b32_sdwa v25, v25, v27 dst_sel:DWORD dst_unused:UNUSED_PAD src0_sel:WORD_0 src1_sel:DWORD
	s_load_dwordx2 s[34:35], s[4:5], 0x68
	s_cbranch_execz .LBB339_27
	s_branch .LBB339_28
.LBB339_26:
                                        ; implicit-def: $vgpr22
                                        ; implicit-def: $vgpr24
                                        ; implicit-def: $vgpr25
                                        ; implicit-def: $vgpr26
	s_load_dwordx2 s[34:35], s[4:5], 0x68
.LBB339_27:
	v_or_b32_e32 v32, 1, v23
	v_cmp_gt_u32_e32 vcc, s33, v23
	v_add_u32_e32 v22, 2, v23
	v_cndmask_b32_e64 v33, 0, 1, vcc
	v_cmp_gt_u32_e32 vcc, s33, v32
	v_add_u32_e32 v31, 3, v23
	v_cndmask_b32_e64 v32, 0, 1, vcc
	v_cmp_gt_u32_e32 vcc, s33, v22
	v_add_u32_e32 v24, 4, v23
	v_cndmask_b32_e64 v22, 0, 1, vcc
	v_cmp_gt_u32_e32 vcc, s33, v31
	v_add_u32_e32 v30, 5, v23
	v_and_b32_e32 v19, v22, v19
	v_cndmask_b32_e64 v22, 0, 1, vcc
	v_cmp_gt_u32_e32 vcc, s33, v24
	v_add_u32_e32 v25, 6, v23
	v_and_b32_sdwa v18, v22, v18 dst_sel:BYTE_1 dst_unused:UNUSED_PAD src0_sel:DWORD src1_sel:DWORD
	v_cndmask_b32_e64 v22, 0, 1, vcc
	v_cmp_gt_u32_e32 vcc, s33, v30
	v_add_u32_e32 v28, 7, v23
	v_and_b32_e32 v17, v22, v17
	v_cndmask_b32_e64 v22, 0, 1, vcc
	v_cmp_gt_u32_e32 vcc, s33, v25
	v_add_u32_e32 v26, 8, v23
	v_and_b32_sdwa v16, v22, v16 dst_sel:BYTE_1 dst_unused:UNUSED_PAD src0_sel:DWORD src1_sel:DWORD
	v_cndmask_b32_e64 v22, 0, 1, vcc
	v_cmp_gt_u32_e32 vcc, s33, v28
	v_add_u32_e32 v27, 9, v23
	v_and_b32_e32 v15, v22, v15
	v_cndmask_b32_e64 v22, 0, 1, vcc
	v_cmp_gt_u32_e32 vcc, s33, v26
	v_and_b32_sdwa v14, v22, v14 dst_sel:BYTE_1 dst_unused:UNUSED_PAD src0_sel:DWORD src1_sel:DWORD
	v_cndmask_b32_e64 v22, 0, 1, vcc
	v_cmp_gt_u32_e32 vcc, s33, v27
	v_and_b32_e32 v21, v33, v21
	v_and_b32_sdwa v20, v32, v20 dst_sel:BYTE_1 dst_unused:UNUSED_PAD src0_sel:DWORD src1_sel:DWORD
	v_and_b32_e32 v24, v22, v13
	v_cndmask_b32_e64 v13, 0, 1, vcc
	v_and_b32_e32 v22, v13, v12
	v_or_b32_e32 v12, v21, v20
	v_or_b32_sdwa v13, v19, v18 dst_sel:WORD_1 dst_unused:UNUSED_PAD src0_sel:DWORD src1_sel:DWORD
	v_or_b32_sdwa v26, v12, v13 dst_sel:DWORD dst_unused:UNUSED_PAD src0_sel:WORD_0 src1_sel:DWORD
	v_or_b32_e32 v12, v17, v16
	v_or_b32_sdwa v13, v15, v14 dst_sel:WORD_1 dst_unused:UNUSED_PAD src0_sel:DWORD src1_sel:DWORD
	v_or_b32_sdwa v25, v12, v13 dst_sel:DWORD dst_unused:UNUSED_PAD src0_sel:WORD_0 src1_sel:DWORD
.LBB339_28:
	v_bfe_u32 v30, v26, 16, 8
	v_lshrrev_b32_e32 v28, 24, v26
	v_add_u32_sdwa v13, v26, v26 dst_sel:DWORD dst_unused:UNUSED_PAD src0_sel:BYTE_1 src1_sel:BYTE_0
	v_and_b32_e32 v31, 0xff, v25
	v_bfe_u32 v32, v25, 8, 8
	v_add3_u32 v13, v13, v30, v28
	v_bfe_u32 v33, v25, 16, 8
	v_lshrrev_b32_e32 v27, 24, v25
	v_add3_u32 v13, v13, v31, v32
	v_and_b32_e32 v34, 0xff, v24
	v_and_b32_e32 v12, 0xff, v22
	v_add3_u32 v13, v13, v33, v27
	v_add3_u32 v37, v13, v34, v12
	v_mbcnt_lo_u32_b32 v12, -1, 0
	v_mbcnt_hi_u32_b32 v35, -1, v12
	v_and_b32_e32 v12, 15, v35
	v_cmp_eq_u32_e64 s[16:17], 0, v12
	v_cmp_lt_u32_e64 s[14:15], 1, v12
	v_cmp_lt_u32_e64 s[12:13], 3, v12
	;; [unrolled: 1-line block ×3, first 2 shown]
	v_and_b32_e32 v12, 16, v35
	v_cmp_eq_u32_e64 s[8:9], 0, v12
	v_or_b32_e32 v12, 63, v0
	s_cmp_lg_u32 s6, 0
	v_cmp_lt_u32_e64 s[2:3], 31, v35
	v_lshrrev_b32_e32 v36, 6, v0
	v_cmp_eq_u32_e64 s[20:21], v12, v0
	s_cbranch_scc0 .LBB339_59
; %bb.29:
	v_mov_b32_dpp v12, v37 row_shr:1 row_mask:0xf bank_mask:0xf
	v_cndmask_b32_e64 v12, v12, 0, s[16:17]
	v_add_u32_e32 v12, v12, v37
	s_nop 1
	v_mov_b32_dpp v13, v12 row_shr:2 row_mask:0xf bank_mask:0xf
	v_cndmask_b32_e64 v13, 0, v13, s[14:15]
	v_add_u32_e32 v12, v12, v13
	s_nop 1
	;; [unrolled: 4-line block ×4, first 2 shown]
	v_mov_b32_dpp v13, v12 row_bcast:15 row_mask:0xf bank_mask:0xf
	v_cndmask_b32_e64 v13, v13, 0, s[8:9]
	v_add_u32_e32 v12, v12, v13
	s_nop 1
	v_mov_b32_dpp v13, v12 row_bcast:31 row_mask:0xf bank_mask:0xf
	v_cndmask_b32_e64 v13, 0, v13, s[2:3]
	v_add_u32_e32 v12, v12, v13
	s_and_saveexec_b64 s[18:19], s[20:21]
	s_cbranch_execz .LBB339_31
; %bb.30:
	v_lshlrev_b32_e32 v13, 2, v36
	ds_write_b32 v13, v12
.LBB339_31:
	s_or_b64 exec, exec, s[18:19]
	v_cmp_gt_u32_e32 vcc, 4, v0
	s_waitcnt lgkmcnt(0)
	s_barrier
	s_and_saveexec_b64 s[18:19], vcc
	s_cbranch_execz .LBB339_33
; %bb.32:
	ds_read_b32 v13, v1
	v_and_b32_e32 v14, 3, v35
	v_cmp_ne_u32_e32 vcc, 0, v14
	s_waitcnt lgkmcnt(0)
	v_mov_b32_dpp v15, v13 row_shr:1 row_mask:0xf bank_mask:0xf
	v_cndmask_b32_e32 v15, 0, v15, vcc
	v_add_u32_e32 v13, v15, v13
	v_cmp_lt_u32_e32 vcc, 1, v14
	s_nop 0
	v_mov_b32_dpp v15, v13 row_shr:2 row_mask:0xf bank_mask:0xf
	v_cndmask_b32_e32 v14, 0, v15, vcc
	v_add_u32_e32 v13, v13, v14
	ds_write_b32 v1, v13
.LBB339_33:
	s_or_b64 exec, exec, s[18:19]
	v_cmp_gt_u32_e32 vcc, 64, v0
	v_cmp_lt_u32_e64 s[18:19], 63, v0
	s_waitcnt lgkmcnt(0)
	s_barrier
	s_waitcnt lgkmcnt(0)
                                        ; implicit-def: $vgpr38
	s_and_saveexec_b64 s[36:37], s[18:19]
	s_cbranch_execz .LBB339_35
; %bb.34:
	v_lshl_add_u32 v13, v36, 2, -4
	ds_read_b32 v38, v13
	s_waitcnt lgkmcnt(0)
	v_add_u32_e32 v12, v38, v12
.LBB339_35:
	s_or_b64 exec, exec, s[36:37]
	v_add_u32_e32 v13, -1, v35
	v_and_b32_e32 v14, 64, v35
	v_cmp_lt_i32_e64 s[18:19], v13, v14
	v_cndmask_b32_e64 v13, v13, v35, s[18:19]
	v_lshlrev_b32_e32 v13, 2, v13
	ds_bpermute_b32 v39, v13, v12
	v_cmp_eq_u32_e64 s[18:19], 0, v35
	s_and_saveexec_b64 s[36:37], vcc
	s_cbranch_execz .LBB339_58
; %bb.36:
	v_mov_b32_e32 v21, 0
	ds_read_b32 v12, v21 offset:12
	s_and_saveexec_b64 s[38:39], s[18:19]
	s_cbranch_execz .LBB339_38
; %bb.37:
	s_add_i32 s40, s6, 64
	s_mov_b32 s41, 0
	s_lshl_b64 s[40:41], s[40:41], 3
	s_add_u32 s40, s34, s40
	v_mov_b32_e32 v13, 1
	s_addc_u32 s41, s35, s41
	s_waitcnt lgkmcnt(0)
	global_store_dwordx2 v21, v[12:13], s[40:41]
.LBB339_38:
	s_or_b64 exec, exec, s[38:39]
	v_xad_u32 v14, v35, -1, s6
	v_add_u32_e32 v20, 64, v14
	v_lshlrev_b64 v[16:17], 3, v[20:21]
	v_mov_b32_e32 v13, s35
	v_add_co_u32_e32 v16, vcc, s34, v16
	v_addc_co_u32_e32 v17, vcc, v13, v17, vcc
	global_load_dwordx2 v[18:19], v[16:17], off glc
	s_waitcnt vmcnt(0)
	v_cmp_eq_u16_sdwa s[40:41], v19, v21 src0_sel:BYTE_0 src1_sel:DWORD
	s_and_saveexec_b64 s[38:39], s[40:41]
	s_cbranch_execz .LBB339_44
; %bb.39:
	s_mov_b32 s7, 1
	s_mov_b64 s[40:41], 0
	v_mov_b32_e32 v13, 0
.LBB339_40:                             ; =>This Loop Header: Depth=1
                                        ;     Child Loop BB339_41 Depth 2
	s_max_u32 s42, s7, 1
.LBB339_41:                             ;   Parent Loop BB339_40 Depth=1
                                        ; =>  This Inner Loop Header: Depth=2
	s_add_i32 s42, s42, -1
	s_cmp_eq_u32 s42, 0
	s_sleep 1
	s_cbranch_scc0 .LBB339_41
; %bb.42:                               ;   in Loop: Header=BB339_40 Depth=1
	global_load_dwordx2 v[18:19], v[16:17], off glc
	s_cmp_lt_u32 s7, 32
	s_cselect_b64 s[42:43], -1, 0
	s_cmp_lg_u64 s[42:43], 0
	s_addc_u32 s7, s7, 0
	s_waitcnt vmcnt(0)
	v_cmp_ne_u16_sdwa s[42:43], v19, v13 src0_sel:BYTE_0 src1_sel:DWORD
	s_or_b64 s[40:41], s[42:43], s[40:41]
	s_andn2_b64 exec, exec, s[40:41]
	s_cbranch_execnz .LBB339_40
; %bb.43:
	s_or_b64 exec, exec, s[40:41]
.LBB339_44:
	s_or_b64 exec, exec, s[38:39]
	v_and_b32_e32 v41, 63, v35
	v_mov_b32_e32 v40, 2
	v_cmp_ne_u32_e32 vcc, 63, v41
	v_cmp_eq_u16_sdwa s[38:39], v19, v40 src0_sel:BYTE_0 src1_sel:DWORD
	v_lshlrev_b64 v[16:17], v35, -1
	v_addc_co_u32_e32 v20, vcc, 0, v35, vcc
	v_and_b32_e32 v13, s39, v17
	v_lshlrev_b32_e32 v42, 2, v20
	v_or_b32_e32 v13, 0x80000000, v13
	ds_bpermute_b32 v20, v42, v18
	v_and_b32_e32 v15, s38, v16
	v_ffbl_b32_e32 v13, v13
	v_add_u32_e32 v13, 32, v13
	v_ffbl_b32_e32 v15, v15
	v_min_u32_e32 v13, v15, v13
	v_cmp_lt_u32_e32 vcc, v41, v13
	s_waitcnt lgkmcnt(0)
	v_cndmask_b32_e32 v15, 0, v20, vcc
	v_cmp_gt_u32_e32 vcc, 62, v41
	v_add_u32_e32 v15, v15, v18
	v_cndmask_b32_e64 v18, 0, 1, vcc
	v_lshlrev_b32_e32 v18, 1, v18
	v_add_lshl_u32 v43, v18, v35, 2
	ds_bpermute_b32 v18, v43, v15
	v_add_u32_e32 v44, 2, v41
	v_cmp_le_u32_e32 vcc, v44, v13
	v_add_u32_e32 v46, 4, v41
	v_add_u32_e32 v48, 8, v41
	s_waitcnt lgkmcnt(0)
	v_cndmask_b32_e32 v18, 0, v18, vcc
	v_cmp_gt_u32_e32 vcc, 60, v41
	v_add_u32_e32 v15, v15, v18
	v_cndmask_b32_e64 v18, 0, 1, vcc
	v_lshlrev_b32_e32 v18, 2, v18
	v_add_lshl_u32 v45, v18, v35, 2
	ds_bpermute_b32 v18, v45, v15
	v_cmp_le_u32_e32 vcc, v46, v13
	v_add_u32_e32 v50, 16, v41
	v_add_u32_e32 v52, 32, v41
	s_waitcnt lgkmcnt(0)
	v_cndmask_b32_e32 v18, 0, v18, vcc
	v_cmp_gt_u32_e32 vcc, 56, v41
	v_add_u32_e32 v15, v15, v18
	v_cndmask_b32_e64 v18, 0, 1, vcc
	v_lshlrev_b32_e32 v18, 3, v18
	v_add_lshl_u32 v47, v18, v35, 2
	ds_bpermute_b32 v18, v47, v15
	v_cmp_le_u32_e32 vcc, v48, v13
	s_waitcnt lgkmcnt(0)
	v_cndmask_b32_e32 v18, 0, v18, vcc
	v_cmp_gt_u32_e32 vcc, 48, v41
	v_add_u32_e32 v15, v15, v18
	v_cndmask_b32_e64 v18, 0, 1, vcc
	v_lshlrev_b32_e32 v18, 4, v18
	v_add_lshl_u32 v49, v18, v35, 2
	ds_bpermute_b32 v18, v49, v15
	v_cmp_le_u32_e32 vcc, v50, v13
	;; [unrolled: 9-line block ×3, first 2 shown]
	s_waitcnt lgkmcnt(0)
	v_cndmask_b32_e32 v13, 0, v18, vcc
	v_add_u32_e32 v18, v15, v13
	v_mov_b32_e32 v15, 0
	s_branch .LBB339_46
.LBB339_45:                             ;   in Loop: Header=BB339_46 Depth=1
	s_or_b64 exec, exec, s[38:39]
	v_cmp_eq_u16_sdwa s[38:39], v19, v40 src0_sel:BYTE_0 src1_sel:DWORD
	v_and_b32_e32 v20, s39, v17
	v_or_b32_e32 v20, 0x80000000, v20
	ds_bpermute_b32 v53, v42, v18
	v_and_b32_e32 v21, s38, v16
	v_ffbl_b32_e32 v20, v20
	v_add_u32_e32 v20, 32, v20
	v_ffbl_b32_e32 v21, v21
	v_min_u32_e32 v20, v21, v20
	v_cmp_lt_u32_e32 vcc, v41, v20
	s_waitcnt lgkmcnt(0)
	v_cndmask_b32_e32 v21, 0, v53, vcc
	v_add_u32_e32 v18, v21, v18
	ds_bpermute_b32 v21, v43, v18
	v_cmp_le_u32_e32 vcc, v44, v20
	v_subrev_u32_e32 v14, 64, v14
	s_waitcnt lgkmcnt(0)
	v_cndmask_b32_e32 v21, 0, v21, vcc
	v_add_u32_e32 v18, v18, v21
	ds_bpermute_b32 v21, v45, v18
	v_cmp_le_u32_e32 vcc, v46, v20
	s_waitcnt lgkmcnt(0)
	v_cndmask_b32_e32 v21, 0, v21, vcc
	v_add_u32_e32 v18, v18, v21
	ds_bpermute_b32 v21, v47, v18
	v_cmp_le_u32_e32 vcc, v48, v20
	s_waitcnt lgkmcnt(0)
	v_cndmask_b32_e32 v21, 0, v21, vcc
	v_add_u32_e32 v18, v18, v21
	ds_bpermute_b32 v21, v49, v18
	v_cmp_le_u32_e32 vcc, v50, v20
	s_waitcnt lgkmcnt(0)
	v_cndmask_b32_e32 v21, 0, v21, vcc
	v_add_u32_e32 v18, v18, v21
	ds_bpermute_b32 v21, v51, v18
	v_cmp_le_u32_e32 vcc, v52, v20
	s_waitcnt lgkmcnt(0)
	v_cndmask_b32_e32 v20, 0, v21, vcc
	v_add3_u32 v18, v20, v13, v18
.LBB339_46:                             ; =>This Loop Header: Depth=1
                                        ;     Child Loop BB339_49 Depth 2
                                        ;       Child Loop BB339_50 Depth 3
	v_cmp_ne_u16_sdwa s[38:39], v19, v40 src0_sel:BYTE_0 src1_sel:DWORD
	v_cndmask_b32_e64 v13, 0, 1, s[38:39]
	;;#ASMSTART
	;;#ASMEND
	v_cmp_ne_u32_e32 vcc, 0, v13
	s_cmp_lg_u64 vcc, exec
	v_mov_b32_e32 v13, v18
	s_cbranch_scc1 .LBB339_53
; %bb.47:                               ;   in Loop: Header=BB339_46 Depth=1
	v_lshlrev_b64 v[18:19], 3, v[14:15]
	v_mov_b32_e32 v21, s35
	v_add_co_u32_e32 v20, vcc, s34, v18
	v_addc_co_u32_e32 v21, vcc, v21, v19, vcc
	global_load_dwordx2 v[18:19], v[20:21], off glc
	s_waitcnt vmcnt(0)
	v_cmp_eq_u16_sdwa s[40:41], v19, v15 src0_sel:BYTE_0 src1_sel:DWORD
	s_and_saveexec_b64 s[38:39], s[40:41]
	s_cbranch_execz .LBB339_45
; %bb.48:                               ;   in Loop: Header=BB339_46 Depth=1
	s_mov_b32 s7, 1
	s_mov_b64 s[40:41], 0
.LBB339_49:                             ;   Parent Loop BB339_46 Depth=1
                                        ; =>  This Loop Header: Depth=2
                                        ;       Child Loop BB339_50 Depth 3
	s_max_u32 s42, s7, 1
.LBB339_50:                             ;   Parent Loop BB339_46 Depth=1
                                        ;     Parent Loop BB339_49 Depth=2
                                        ; =>    This Inner Loop Header: Depth=3
	s_add_i32 s42, s42, -1
	s_cmp_eq_u32 s42, 0
	s_sleep 1
	s_cbranch_scc0 .LBB339_50
; %bb.51:                               ;   in Loop: Header=BB339_49 Depth=2
	global_load_dwordx2 v[18:19], v[20:21], off glc
	s_cmp_lt_u32 s7, 32
	s_cselect_b64 s[42:43], -1, 0
	s_cmp_lg_u64 s[42:43], 0
	s_addc_u32 s7, s7, 0
	s_waitcnt vmcnt(0)
	v_cmp_ne_u16_sdwa s[42:43], v19, v15 src0_sel:BYTE_0 src1_sel:DWORD
	s_or_b64 s[40:41], s[42:43], s[40:41]
	s_andn2_b64 exec, exec, s[40:41]
	s_cbranch_execnz .LBB339_49
; %bb.52:                               ;   in Loop: Header=BB339_46 Depth=1
	s_or_b64 exec, exec, s[40:41]
	s_branch .LBB339_45
.LBB339_53:                             ;   in Loop: Header=BB339_46 Depth=1
                                        ; implicit-def: $vgpr18
                                        ; implicit-def: $vgpr19
	s_cbranch_execz .LBB339_46
; %bb.54:
	s_and_saveexec_b64 s[38:39], s[18:19]
	s_cbranch_execz .LBB339_56
; %bb.55:
	s_add_i32 s6, s6, 64
	s_mov_b32 s7, 0
	s_lshl_b64 s[6:7], s[6:7], 3
	s_add_u32 s6, s34, s6
	v_add_u32_e32 v14, v13, v12
	v_mov_b32_e32 v15, 2
	s_addc_u32 s7, s35, s7
	v_mov_b32_e32 v16, 0
	global_store_dwordx2 v16, v[14:15], s[6:7]
	ds_write_b64 v16, v[12:13] offset:10240
.LBB339_56:
	s_or_b64 exec, exec, s[38:39]
	v_cmp_eq_u32_e32 vcc, 0, v0
	s_and_b64 exec, exec, vcc
	s_cbranch_execz .LBB339_58
; %bb.57:
	v_mov_b32_e32 v12, 0
	ds_write_b32 v12, v13 offset:12
.LBB339_58:
	s_or_b64 exec, exec, s[36:37]
	v_mov_b32_e32 v12, 0
	s_waitcnt lgkmcnt(0)
	s_barrier
	ds_read_b32 v13, v12 offset:12
	v_cndmask_b32_e64 v14, v39, v38, s[18:19]
	v_cmp_ne_u32_e32 vcc, 0, v0
	v_cndmask_b32_e32 v14, 0, v14, vcc
	s_waitcnt lgkmcnt(0)
	v_add_u32_e32 v39, v13, v14
	v_add_u32_sdwa v38, v39, v26 dst_sel:DWORD dst_unused:UNUSED_PAD src0_sel:DWORD src1_sel:BYTE_0
	v_add_u32_sdwa v21, v38, v26 dst_sel:DWORD dst_unused:UNUSED_PAD src0_sel:DWORD src1_sel:BYTE_1
	v_add_u32_e32 v20, v21, v30
	v_add_u32_e32 v19, v20, v28
	;; [unrolled: 1-line block ×3, first 2 shown]
	s_barrier
	ds_read_b64 v[12:13], v12 offset:10240
	v_add_u32_e32 v17, v18, v32
	v_add_u32_e32 v16, v17, v33
	;; [unrolled: 1-line block ×4, first 2 shown]
	s_branch .LBB339_69
.LBB339_59:
                                        ; implicit-def: $vgpr13
                                        ; implicit-def: $vgpr14
                                        ; implicit-def: $vgpr15
                                        ; implicit-def: $vgpr16
                                        ; implicit-def: $vgpr17
                                        ; implicit-def: $vgpr18
                                        ; implicit-def: $vgpr19
                                        ; implicit-def: $vgpr20
                                        ; implicit-def: $vgpr21
                                        ; implicit-def: $vgpr38
                                        ; implicit-def: $vgpr39
	s_cbranch_execz .LBB339_69
; %bb.60:
	s_waitcnt lgkmcnt(0)
	v_mov_b32_dpp v12, v37 row_shr:1 row_mask:0xf bank_mask:0xf
	v_cndmask_b32_e64 v12, v12, 0, s[16:17]
	v_add_u32_e32 v12, v12, v37
	s_nop 1
	v_mov_b32_dpp v13, v12 row_shr:2 row_mask:0xf bank_mask:0xf
	v_cndmask_b32_e64 v13, 0, v13, s[14:15]
	v_add_u32_e32 v12, v12, v13
	s_nop 1
	;; [unrolled: 4-line block ×4, first 2 shown]
	v_mov_b32_dpp v13, v12 row_bcast:15 row_mask:0xf bank_mask:0xf
	v_cndmask_b32_e64 v13, v13, 0, s[8:9]
	v_add_u32_e32 v12, v12, v13
	s_nop 1
	v_mov_b32_dpp v13, v12 row_bcast:31 row_mask:0xf bank_mask:0xf
	v_cndmask_b32_e64 v13, 0, v13, s[2:3]
	v_add_u32_e32 v12, v12, v13
	s_and_saveexec_b64 s[2:3], s[20:21]
	s_cbranch_execz .LBB339_62
; %bb.61:
	v_lshlrev_b32_e32 v13, 2, v36
	ds_write_b32 v13, v12
.LBB339_62:
	s_or_b64 exec, exec, s[2:3]
	v_cmp_gt_u32_e32 vcc, 4, v0
	s_waitcnt lgkmcnt(0)
	s_barrier
	s_and_saveexec_b64 s[2:3], vcc
	s_cbranch_execz .LBB339_64
; %bb.63:
	s_movk_i32 s6, 0xffdc
	v_mad_i32_i24 v13, v0, s6, v29
	ds_read_b32 v14, v13
	v_and_b32_e32 v15, 3, v35
	v_cmp_ne_u32_e32 vcc, 0, v15
	s_waitcnt lgkmcnt(0)
	v_mov_b32_dpp v16, v14 row_shr:1 row_mask:0xf bank_mask:0xf
	v_cndmask_b32_e32 v16, 0, v16, vcc
	v_add_u32_e32 v14, v16, v14
	v_cmp_lt_u32_e32 vcc, 1, v15
	s_nop 0
	v_mov_b32_dpp v16, v14 row_shr:2 row_mask:0xf bank_mask:0xf
	v_cndmask_b32_e32 v15, 0, v16, vcc
	v_add_u32_e32 v14, v14, v15
	ds_write_b32 v13, v14
.LBB339_64:
	s_or_b64 exec, exec, s[2:3]
	v_cmp_lt_u32_e32 vcc, 63, v0
	v_mov_b32_e32 v13, 0
	v_mov_b32_e32 v14, 0
	s_waitcnt lgkmcnt(0)
	s_barrier
	s_and_saveexec_b64 s[2:3], vcc
	s_cbranch_execz .LBB339_66
; %bb.65:
	v_lshl_add_u32 v14, v36, 2, -4
	ds_read_b32 v14, v14
.LBB339_66:
	s_or_b64 exec, exec, s[2:3]
	v_add_u32_e32 v15, -1, v35
	v_and_b32_e32 v16, 64, v35
	v_cmp_lt_i32_e32 vcc, v15, v16
	v_cndmask_b32_e32 v15, v15, v35, vcc
	s_waitcnt lgkmcnt(0)
	v_add_u32_e32 v12, v14, v12
	v_lshlrev_b32_e32 v15, 2, v15
	ds_bpermute_b32 v15, v15, v12
	ds_read_b32 v12, v13 offset:12
	v_cmp_eq_u32_e32 vcc, 0, v0
	s_and_saveexec_b64 s[2:3], vcc
	s_cbranch_execz .LBB339_68
; %bb.67:
	v_mov_b32_e32 v16, 0
	v_mov_b32_e32 v13, 2
	s_waitcnt lgkmcnt(0)
	global_store_dwordx2 v16, v[12:13], s[34:35] offset:512
.LBB339_68:
	s_or_b64 exec, exec, s[2:3]
	v_cmp_eq_u32_e64 s[2:3], 0, v35
	s_waitcnt lgkmcnt(1)
	v_cndmask_b32_e64 v14, v15, v14, s[2:3]
	v_cndmask_b32_e64 v39, v14, 0, vcc
	v_add_u32_sdwa v38, v39, v26 dst_sel:DWORD dst_unused:UNUSED_PAD src0_sel:DWORD src1_sel:BYTE_0
	v_add_u32_sdwa v21, v38, v26 dst_sel:DWORD dst_unused:UNUSED_PAD src0_sel:DWORD src1_sel:BYTE_1
	v_add_u32_e32 v20, v21, v30
	v_add_u32_e32 v19, v20, v28
	;; [unrolled: 1-line block ×6, first 2 shown]
	v_mov_b32_e32 v13, 0
	v_add_u32_e32 v14, v15, v34
	s_waitcnt lgkmcnt(0)
	s_barrier
.LBB339_69:
	s_waitcnt lgkmcnt(0)
	v_add_u32_e32 v23, v12, v23
	v_sub_u32_e32 v31, v39, v13
	v_and_b32_e32 v33, 1, v26
	v_sub_u32_e32 v32, v23, v31
	v_cmp_eq_u32_e32 vcc, 1, v33
	v_cndmask_b32_e32 v31, v32, v31, vcc
	v_lshlrev_b32_e32 v31, 2, v31
	v_lshrrev_b32_e32 v30, 8, v26
	ds_write_b32 v31, v6
	v_sub_u32_e32 v6, v38, v13
	v_sub_u32_e32 v31, v23, v6
	v_and_b32_e32 v30, 1, v30
	v_add_u32_e32 v31, 1, v31
	v_cmp_eq_u32_e32 vcc, 1, v30
	v_cndmask_b32_e32 v6, v31, v6, vcc
	v_lshlrev_b32_e32 v6, 2, v6
	ds_write_b32 v6, v7
	v_sub_u32_e32 v6, v21, v13
	v_mov_b32_e32 v21, 1
	v_sub_u32_e32 v7, v23, v6
	v_and_b32_sdwa v26, v21, v26 dst_sel:DWORD dst_unused:UNUSED_PAD src0_sel:DWORD src1_sel:WORD_1
	v_add_u32_e32 v7, 2, v7
	v_cmp_eq_u32_e32 vcc, 1, v26
	v_cndmask_b32_e32 v6, v7, v6, vcc
	v_lshlrev_b32_e32 v6, 2, v6
	ds_write_b32 v6, v8
	v_sub_u32_e32 v6, v20, v13
	v_sub_u32_e32 v7, v23, v6
	v_and_b32_e32 v8, 1, v28
	v_add_u32_e32 v7, 3, v7
	v_cmp_eq_u32_e32 vcc, 1, v8
	v_cndmask_b32_e32 v6, v7, v6, vcc
	v_lshlrev_b32_e32 v6, 2, v6
	ds_write_b32 v6, v9
	v_sub_u32_e32 v6, v19, v13
	v_sub_u32_e32 v7, v23, v6
	v_and_b32_e32 v8, 1, v25
	v_add_u32_e32 v7, 4, v7
	v_cmp_eq_u32_e32 vcc, 1, v8
	v_cndmask_b32_e32 v6, v7, v6, vcc
	v_lshlrev_b32_e32 v6, 2, v6
	v_lshrrev_b32_e32 v29, 8, v25
	ds_write_b32 v6, v2
	v_sub_u32_e32 v2, v18, v13
	v_sub_u32_e32 v6, v23, v2
	v_and_b32_e32 v7, 1, v29
	v_add_u32_e32 v6, 5, v6
	v_cmp_eq_u32_e32 vcc, 1, v7
	v_cndmask_b32_e32 v2, v6, v2, vcc
	v_lshlrev_b32_e32 v2, 2, v2
	ds_write_b32 v2, v3
	v_sub_u32_e32 v2, v17, v13
	v_sub_u32_e32 v3, v23, v2
	v_and_b32_sdwa v6, v21, v25 dst_sel:DWORD dst_unused:UNUSED_PAD src0_sel:DWORD src1_sel:WORD_1
	v_add_u32_e32 v3, 6, v3
	v_cmp_eq_u32_e32 vcc, 1, v6
	v_cndmask_b32_e32 v2, v3, v2, vcc
	v_lshlrev_b32_e32 v2, 2, v2
	ds_write_b32 v2, v4
	v_sub_u32_e32 v2, v16, v13
	v_sub_u32_e32 v3, v23, v2
	v_and_b32_e32 v4, 1, v27
	v_add_u32_e32 v3, 7, v3
	v_cmp_eq_u32_e32 vcc, 1, v4
	v_cndmask_b32_e32 v2, v3, v2, vcc
	v_lshlrev_b32_e32 v2, 2, v2
	ds_write_b32 v2, v5
	v_sub_u32_e32 v2, v15, v13
	v_sub_u32_e32 v3, v23, v2
	v_and_b32_e32 v4, 1, v24
	;; [unrolled: 8-line block ×3, first 2 shown]
	v_add_u32_e32 v3, 9, v3
	v_cmp_eq_u32_e32 vcc, 1, v4
	v_cndmask_b32_e32 v2, v3, v2, vcc
	v_lshlrev_b32_e32 v2, 2, v2
	ds_write_b32 v2, v11
	v_mov_b32_e32 v2, s31
	v_add_co_u32_e32 v28, vcc, s30, v13
	v_addc_co_u32_e32 v29, vcc, 0, v2, vcc
	s_load_dwordx4 s[4:7], s[4:5], 0x28
	v_add_co_u32_e32 v2, vcc, v28, v12
	v_addc_co_u32_e32 v3, vcc, 0, v29, vcc
	v_mov_b32_e32 v13, s23
	v_sub_co_u32_e32 v18, vcc, s22, v2
	v_subb_co_u32_e32 v19, vcc, v13, v3, vcc
	v_lshlrev_b64 v[18:19], 2, v[18:19]
	s_waitcnt lgkmcnt(0)
	v_mov_b32_e32 v13, s7
	v_add_co_u32_e32 v18, vcc, s6, v18
	s_barrier
	ds_read2st64_b32 v[14:15], v1 offset1:4
	ds_read2st64_b32 v[10:11], v1 offset0:8 offset1:12
	ds_read2st64_b32 v[8:9], v1 offset0:16 offset1:20
	;; [unrolled: 1-line block ×4, first 2 shown]
	v_addc_co_u32_e32 v19, vcc, v13, v19, vcc
	v_mov_b32_e32 v20, s29
	v_add_co_u32_e32 v13, vcc, s28, v18
	v_addc_co_u32_e32 v18, vcc, v19, v20, vcc
	v_lshlrev_b64 v[28:29], 2, v[28:29]
	v_mov_b32_e32 v20, s5
	s_and_b64 vcc, exec, s[0:1]
	v_add_co_u32_e64 v19, s[0:1], s4, v28
	v_or_b32_e32 v27, 0x100, v0
	v_or_b32_e32 v26, 0x200, v0
	;; [unrolled: 1-line block ×9, first 2 shown]
	v_addc_co_u32_e64 v20, s[0:1], v20, v29, s[0:1]
	s_cbranch_vccnz .LBB339_71
; %bb.70:
	v_cmp_gt_u32_e32 vcc, v12, v0
	v_cndmask_b32_e32 v28, v13, v19, vcc
	v_cndmask_b32_e32 v29, v18, v20, vcc
	v_add_co_u32_e32 v28, vcc, v28, v1
	v_addc_co_u32_e32 v29, vcc, 0, v29, vcc
	v_cmp_lt_u32_e32 vcc, v27, v12
	s_waitcnt lgkmcnt(4)
	global_store_dword v[28:29], v14, off
	v_cndmask_b32_e32 v28, v13, v19, vcc
	v_cndmask_b32_e32 v29, v18, v20, vcc
	v_add_co_u32_e32 v28, vcc, v28, v1
	v_addc_co_u32_e32 v29, vcc, 0, v29, vcc
	v_cmp_lt_u32_e32 vcc, v26, v12
	global_store_dword v[28:29], v15, off offset:1024
	v_cndmask_b32_e32 v28, v13, v19, vcc
	v_cndmask_b32_e32 v29, v18, v20, vcc
	v_add_co_u32_e32 v28, vcc, v28, v1
	v_addc_co_u32_e32 v29, vcc, 0, v29, vcc
	v_cmp_lt_u32_e32 vcc, v25, v12
	s_waitcnt lgkmcnt(3)
	global_store_dword v[28:29], v10, off offset:2048
	v_cndmask_b32_e32 v28, v13, v19, vcc
	v_cndmask_b32_e32 v29, v18, v20, vcc
	v_add_co_u32_e32 v28, vcc, v28, v1
	v_addc_co_u32_e32 v29, vcc, 0, v29, vcc
	v_cmp_lt_u32_e32 vcc, v24, v12
	global_store_dword v[28:29], v11, off offset:3072
	v_cndmask_b32_e32 v28, v13, v19, vcc
	v_lshlrev_b32_e32 v30, 2, v24
	v_cndmask_b32_e32 v29, v18, v20, vcc
	v_add_co_u32_e32 v28, vcc, v28, v30
	v_addc_co_u32_e32 v29, vcc, 0, v29, vcc
	v_cmp_lt_u32_e32 vcc, v23, v12
	s_waitcnt lgkmcnt(2)
	global_store_dword v[28:29], v8, off
	v_cndmask_b32_e32 v28, v13, v19, vcc
	v_lshlrev_b32_e32 v30, 2, v23
	v_cndmask_b32_e32 v29, v18, v20, vcc
	v_add_co_u32_e32 v28, vcc, v28, v30
	v_addc_co_u32_e32 v29, vcc, 0, v29, vcc
	v_cmp_lt_u32_e32 vcc, v22, v12
	global_store_dword v[28:29], v9, off
	v_cndmask_b32_e32 v28, v13, v19, vcc
	v_lshlrev_b32_e32 v30, 2, v22
	v_cndmask_b32_e32 v29, v18, v20, vcc
	v_add_co_u32_e32 v28, vcc, v28, v30
	v_addc_co_u32_e32 v29, vcc, 0, v29, vcc
	v_cmp_lt_u32_e32 vcc, v21, v12
	s_waitcnt lgkmcnt(1)
	global_store_dword v[28:29], v6, off
	v_cndmask_b32_e32 v28, v13, v19, vcc
	v_lshlrev_b32_e32 v30, 2, v21
	v_cndmask_b32_e32 v29, v18, v20, vcc
	v_add_co_u32_e32 v28, vcc, v28, v30
	v_addc_co_u32_e32 v29, vcc, 0, v29, vcc
	v_cmp_lt_u32_e32 vcc, v17, v12
	global_store_dword v[28:29], v7, off
	v_cndmask_b32_e32 v28, v13, v19, vcc
	v_lshlrev_b32_e32 v30, 2, v17
	v_cndmask_b32_e32 v29, v18, v20, vcc
	v_add_co_u32_e32 v28, vcc, v28, v30
	v_addc_co_u32_e32 v29, vcc, 0, v29, vcc
	s_mov_b64 s[0:1], -1
	s_waitcnt lgkmcnt(0)
	global_store_dword v[28:29], v4, off
	s_cbranch_execz .LBB339_72
	s_branch .LBB339_83
.LBB339_71:
	s_mov_b64 s[0:1], 0
.LBB339_72:
	v_cmp_gt_u32_e32 vcc, s33, v0
	s_and_saveexec_b64 s[0:1], vcc
	s_cbranch_execnz .LBB339_88
; %bb.73:
	s_or_b64 exec, exec, s[0:1]
	v_cmp_gt_u32_e32 vcc, s33, v27
	s_and_saveexec_b64 s[0:1], vcc
	s_cbranch_execnz .LBB339_89
.LBB339_74:
	s_or_b64 exec, exec, s[0:1]
	v_cmp_gt_u32_e32 vcc, s33, v26
	s_and_saveexec_b64 s[0:1], vcc
	s_cbranch_execnz .LBB339_90
.LBB339_75:
	s_or_b64 exec, exec, s[0:1]
	v_cmp_gt_u32_e32 vcc, s33, v25
	s_and_saveexec_b64 s[0:1], vcc
	s_cbranch_execnz .LBB339_91
.LBB339_76:
	s_or_b64 exec, exec, s[0:1]
	v_cmp_gt_u32_e32 vcc, s33, v24
	s_and_saveexec_b64 s[0:1], vcc
	s_cbranch_execnz .LBB339_92
.LBB339_77:
	s_or_b64 exec, exec, s[0:1]
	v_cmp_gt_u32_e32 vcc, s33, v23
	s_and_saveexec_b64 s[0:1], vcc
	s_cbranch_execnz .LBB339_93
.LBB339_78:
	s_or_b64 exec, exec, s[0:1]
	v_cmp_gt_u32_e32 vcc, s33, v22
	s_and_saveexec_b64 s[0:1], vcc
	s_cbranch_execnz .LBB339_94
.LBB339_79:
	s_or_b64 exec, exec, s[0:1]
	v_cmp_gt_u32_e32 vcc, s33, v21
	s_and_saveexec_b64 s[0:1], vcc
	s_cbranch_execnz .LBB339_95
.LBB339_80:
	s_or_b64 exec, exec, s[0:1]
	v_cmp_gt_u32_e32 vcc, s33, v17
	s_and_saveexec_b64 s[0:1], vcc
	s_cbranch_execz .LBB339_82
.LBB339_81:
	v_cmp_lt_u32_e32 vcc, v17, v12
	s_waitcnt lgkmcnt(1)
	v_cndmask_b32_e32 v6, v13, v19, vcc
	v_lshlrev_b32_e32 v7, 2, v17
	v_cndmask_b32_e32 v1, v18, v20, vcc
	v_add_co_u32_e32 v6, vcc, v6, v7
	v_addc_co_u32_e32 v7, vcc, 0, v1, vcc
	s_waitcnt lgkmcnt(0)
	global_store_dword v[6:7], v4, off
.LBB339_82:
	s_or_b64 exec, exec, s[0:1]
	v_cmp_gt_u32_e64 s[0:1], s33, v16
.LBB339_83:
	s_and_saveexec_b64 s[2:3], s[0:1]
	s_cbranch_execz .LBB339_85
; %bb.84:
	v_cmp_lt_u32_e32 vcc, v16, v12
	s_waitcnt lgkmcnt(0)
	v_cndmask_b32_e32 v4, v13, v19, vcc
	v_lshlrev_b32_e32 v6, 2, v16
	v_cndmask_b32_e32 v1, v18, v20, vcc
	v_add_co_u32_e32 v6, vcc, v4, v6
	v_addc_co_u32_e32 v7, vcc, 0, v1, vcc
	global_store_dword v[6:7], v5, off
.LBB339_85:
	s_or_b64 exec, exec, s[2:3]
	v_cmp_eq_u32_e32 vcc, 0, v0
	s_and_b64 s[0:1], vcc, s[26:27]
	s_and_saveexec_b64 s[2:3], s[0:1]
	s_cbranch_execz .LBB339_87
; %bb.86:
	v_mov_b32_e32 v0, 0
	global_store_dwordx2 v0, v[2:3], s[24:25]
.LBB339_87:
	s_endpgm
.LBB339_88:
	v_cmp_gt_u32_e32 vcc, v12, v0
	v_cndmask_b32_e32 v28, v13, v19, vcc
	v_cndmask_b32_e32 v29, v18, v20, vcc
	v_add_co_u32_e32 v28, vcc, v28, v1
	v_addc_co_u32_e32 v29, vcc, 0, v29, vcc
	s_waitcnt lgkmcnt(4)
	global_store_dword v[28:29], v14, off
	s_or_b64 exec, exec, s[0:1]
	v_cmp_gt_u32_e32 vcc, s33, v27
	s_and_saveexec_b64 s[0:1], vcc
	s_cbranch_execz .LBB339_74
.LBB339_89:
	v_cmp_lt_u32_e32 vcc, v27, v12
	v_cndmask_b32_e32 v27, v13, v19, vcc
	s_waitcnt lgkmcnt(4)
	v_cndmask_b32_e32 v14, v18, v20, vcc
	v_add_co_u32_e32 v28, vcc, v27, v1
	v_addc_co_u32_e32 v29, vcc, 0, v14, vcc
	global_store_dword v[28:29], v15, off offset:1024
	s_or_b64 exec, exec, s[0:1]
	v_cmp_gt_u32_e32 vcc, s33, v26
	s_and_saveexec_b64 s[0:1], vcc
	s_cbranch_execz .LBB339_75
.LBB339_90:
	v_cmp_lt_u32_e32 vcc, v26, v12
	s_waitcnt lgkmcnt(4)
	v_cndmask_b32_e32 v14, v13, v19, vcc
	v_cndmask_b32_e32 v15, v18, v20, vcc
	v_add_co_u32_e32 v14, vcc, v14, v1
	v_addc_co_u32_e32 v15, vcc, 0, v15, vcc
	s_waitcnt lgkmcnt(3)
	global_store_dword v[14:15], v10, off offset:2048
	s_or_b64 exec, exec, s[0:1]
	v_cmp_gt_u32_e32 vcc, s33, v25
	s_and_saveexec_b64 s[0:1], vcc
	s_cbranch_execz .LBB339_76
.LBB339_91:
	v_cmp_lt_u32_e32 vcc, v25, v12
	s_waitcnt lgkmcnt(4)
	v_cndmask_b32_e32 v14, v13, v19, vcc
	s_waitcnt lgkmcnt(3)
	v_cndmask_b32_e32 v10, v18, v20, vcc
	v_add_co_u32_e32 v14, vcc, v14, v1
	v_addc_co_u32_e32 v15, vcc, 0, v10, vcc
	global_store_dword v[14:15], v11, off offset:3072
	s_or_b64 exec, exec, s[0:1]
	v_cmp_gt_u32_e32 vcc, s33, v24
	s_and_saveexec_b64 s[0:1], vcc
	s_cbranch_execz .LBB339_77
.LBB339_92:
	v_cmp_lt_u32_e32 vcc, v24, v12
	s_waitcnt lgkmcnt(3)
	v_cndmask_b32_e32 v10, v13, v19, vcc
	v_lshlrev_b32_e32 v11, 2, v24
	v_cndmask_b32_e32 v1, v18, v20, vcc
	v_add_co_u32_e32 v10, vcc, v10, v11
	v_addc_co_u32_e32 v11, vcc, 0, v1, vcc
	s_waitcnt lgkmcnt(2)
	global_store_dword v[10:11], v8, off
	s_or_b64 exec, exec, s[0:1]
	v_cmp_gt_u32_e32 vcc, s33, v23
	s_and_saveexec_b64 s[0:1], vcc
	s_cbranch_execz .LBB339_78
.LBB339_93:
	v_cmp_lt_u32_e32 vcc, v23, v12
	s_waitcnt lgkmcnt(2)
	v_cndmask_b32_e32 v8, v13, v19, vcc
	v_lshlrev_b32_e32 v10, 2, v23
	v_cndmask_b32_e32 v1, v18, v20, vcc
	v_add_co_u32_e32 v10, vcc, v8, v10
	v_addc_co_u32_e32 v11, vcc, 0, v1, vcc
	global_store_dword v[10:11], v9, off
	s_or_b64 exec, exec, s[0:1]
	v_cmp_gt_u32_e32 vcc, s33, v22
	s_and_saveexec_b64 s[0:1], vcc
	s_cbranch_execz .LBB339_79
.LBB339_94:
	v_cmp_lt_u32_e32 vcc, v22, v12
	s_waitcnt lgkmcnt(2)
	v_cndmask_b32_e32 v8, v13, v19, vcc
	v_lshlrev_b32_e32 v9, 2, v22
	v_cndmask_b32_e32 v1, v18, v20, vcc
	v_add_co_u32_e32 v8, vcc, v8, v9
	v_addc_co_u32_e32 v9, vcc, 0, v1, vcc
	s_waitcnt lgkmcnt(1)
	global_store_dword v[8:9], v6, off
	s_or_b64 exec, exec, s[0:1]
	v_cmp_gt_u32_e32 vcc, s33, v21
	s_and_saveexec_b64 s[0:1], vcc
	s_cbranch_execz .LBB339_80
.LBB339_95:
	v_cmp_lt_u32_e32 vcc, v21, v12
	s_waitcnt lgkmcnt(1)
	v_cndmask_b32_e32 v6, v13, v19, vcc
	v_lshlrev_b32_e32 v8, 2, v21
	v_cndmask_b32_e32 v1, v18, v20, vcc
	v_add_co_u32_e32 v8, vcc, v6, v8
	v_addc_co_u32_e32 v9, vcc, 0, v1, vcc
	global_store_dword v[8:9], v7, off
	s_or_b64 exec, exec, s[0:1]
	v_cmp_gt_u32_e32 vcc, s33, v17
	s_and_saveexec_b64 s[0:1], vcc
	s_cbranch_execnz .LBB339_81
	s_branch .LBB339_82
	.section	.rodata,"a",@progbits
	.p2align	6, 0x0
	.amdhsa_kernel _ZN7rocprim17ROCPRIM_400000_NS6detail17trampoline_kernelINS0_14default_configENS1_25partition_config_selectorILNS1_17partition_subalgoE0EiNS0_10empty_typeEbEEZZNS1_14partition_implILS5_0ELb0ES3_jN6thrust23THRUST_200600_302600_NS6detail15normal_iteratorINSA_10device_ptrIiEEEEPS6_SG_NS0_5tupleIJSF_SF_EEENSH_IJSG_SG_EEES6_PlJ7is_evenIiEEEE10hipError_tPvRmT3_T4_T5_T6_T7_T9_mT8_P12ihipStream_tbDpT10_ENKUlT_T0_E_clISt17integral_constantIbLb1EES15_IbLb0EEEEDaS11_S12_EUlS11_E_NS1_11comp_targetILNS1_3genE4ELNS1_11target_archE910ELNS1_3gpuE8ELNS1_3repE0EEENS1_30default_config_static_selectorELNS0_4arch9wavefront6targetE1EEEvT1_
		.amdhsa_group_segment_fixed_size 10248
		.amdhsa_private_segment_fixed_size 0
		.amdhsa_kernarg_size 120
		.amdhsa_user_sgpr_count 6
		.amdhsa_user_sgpr_private_segment_buffer 1
		.amdhsa_user_sgpr_dispatch_ptr 0
		.amdhsa_user_sgpr_queue_ptr 0
		.amdhsa_user_sgpr_kernarg_segment_ptr 1
		.amdhsa_user_sgpr_dispatch_id 0
		.amdhsa_user_sgpr_flat_scratch_init 0
		.amdhsa_user_sgpr_kernarg_preload_length 0
		.amdhsa_user_sgpr_kernarg_preload_offset 0
		.amdhsa_user_sgpr_private_segment_size 0
		.amdhsa_uses_dynamic_stack 0
		.amdhsa_system_sgpr_private_segment_wavefront_offset 0
		.amdhsa_system_sgpr_workgroup_id_x 1
		.amdhsa_system_sgpr_workgroup_id_y 0
		.amdhsa_system_sgpr_workgroup_id_z 0
		.amdhsa_system_sgpr_workgroup_info 0
		.amdhsa_system_vgpr_workitem_id 0
		.amdhsa_next_free_vgpr 54
		.amdhsa_next_free_sgpr 44
		.amdhsa_accum_offset 56
		.amdhsa_reserve_vcc 1
		.amdhsa_reserve_flat_scratch 0
		.amdhsa_float_round_mode_32 0
		.amdhsa_float_round_mode_16_64 0
		.amdhsa_float_denorm_mode_32 3
		.amdhsa_float_denorm_mode_16_64 3
		.amdhsa_dx10_clamp 1
		.amdhsa_ieee_mode 1
		.amdhsa_fp16_overflow 0
		.amdhsa_tg_split 0
		.amdhsa_exception_fp_ieee_invalid_op 0
		.amdhsa_exception_fp_denorm_src 0
		.amdhsa_exception_fp_ieee_div_zero 0
		.amdhsa_exception_fp_ieee_overflow 0
		.amdhsa_exception_fp_ieee_underflow 0
		.amdhsa_exception_fp_ieee_inexact 0
		.amdhsa_exception_int_div_zero 0
	.end_amdhsa_kernel
	.section	.text._ZN7rocprim17ROCPRIM_400000_NS6detail17trampoline_kernelINS0_14default_configENS1_25partition_config_selectorILNS1_17partition_subalgoE0EiNS0_10empty_typeEbEEZZNS1_14partition_implILS5_0ELb0ES3_jN6thrust23THRUST_200600_302600_NS6detail15normal_iteratorINSA_10device_ptrIiEEEEPS6_SG_NS0_5tupleIJSF_SF_EEENSH_IJSG_SG_EEES6_PlJ7is_evenIiEEEE10hipError_tPvRmT3_T4_T5_T6_T7_T9_mT8_P12ihipStream_tbDpT10_ENKUlT_T0_E_clISt17integral_constantIbLb1EES15_IbLb0EEEEDaS11_S12_EUlS11_E_NS1_11comp_targetILNS1_3genE4ELNS1_11target_archE910ELNS1_3gpuE8ELNS1_3repE0EEENS1_30default_config_static_selectorELNS0_4arch9wavefront6targetE1EEEvT1_,"axG",@progbits,_ZN7rocprim17ROCPRIM_400000_NS6detail17trampoline_kernelINS0_14default_configENS1_25partition_config_selectorILNS1_17partition_subalgoE0EiNS0_10empty_typeEbEEZZNS1_14partition_implILS5_0ELb0ES3_jN6thrust23THRUST_200600_302600_NS6detail15normal_iteratorINSA_10device_ptrIiEEEEPS6_SG_NS0_5tupleIJSF_SF_EEENSH_IJSG_SG_EEES6_PlJ7is_evenIiEEEE10hipError_tPvRmT3_T4_T5_T6_T7_T9_mT8_P12ihipStream_tbDpT10_ENKUlT_T0_E_clISt17integral_constantIbLb1EES15_IbLb0EEEEDaS11_S12_EUlS11_E_NS1_11comp_targetILNS1_3genE4ELNS1_11target_archE910ELNS1_3gpuE8ELNS1_3repE0EEENS1_30default_config_static_selectorELNS0_4arch9wavefront6targetE1EEEvT1_,comdat
.Lfunc_end339:
	.size	_ZN7rocprim17ROCPRIM_400000_NS6detail17trampoline_kernelINS0_14default_configENS1_25partition_config_selectorILNS1_17partition_subalgoE0EiNS0_10empty_typeEbEEZZNS1_14partition_implILS5_0ELb0ES3_jN6thrust23THRUST_200600_302600_NS6detail15normal_iteratorINSA_10device_ptrIiEEEEPS6_SG_NS0_5tupleIJSF_SF_EEENSH_IJSG_SG_EEES6_PlJ7is_evenIiEEEE10hipError_tPvRmT3_T4_T5_T6_T7_T9_mT8_P12ihipStream_tbDpT10_ENKUlT_T0_E_clISt17integral_constantIbLb1EES15_IbLb0EEEEDaS11_S12_EUlS11_E_NS1_11comp_targetILNS1_3genE4ELNS1_11target_archE910ELNS1_3gpuE8ELNS1_3repE0EEENS1_30default_config_static_selectorELNS0_4arch9wavefront6targetE1EEEvT1_, .Lfunc_end339-_ZN7rocprim17ROCPRIM_400000_NS6detail17trampoline_kernelINS0_14default_configENS1_25partition_config_selectorILNS1_17partition_subalgoE0EiNS0_10empty_typeEbEEZZNS1_14partition_implILS5_0ELb0ES3_jN6thrust23THRUST_200600_302600_NS6detail15normal_iteratorINSA_10device_ptrIiEEEEPS6_SG_NS0_5tupleIJSF_SF_EEENSH_IJSG_SG_EEES6_PlJ7is_evenIiEEEE10hipError_tPvRmT3_T4_T5_T6_T7_T9_mT8_P12ihipStream_tbDpT10_ENKUlT_T0_E_clISt17integral_constantIbLb1EES15_IbLb0EEEEDaS11_S12_EUlS11_E_NS1_11comp_targetILNS1_3genE4ELNS1_11target_archE910ELNS1_3gpuE8ELNS1_3repE0EEENS1_30default_config_static_selectorELNS0_4arch9wavefront6targetE1EEEvT1_
                                        ; -- End function
	.section	.AMDGPU.csdata,"",@progbits
; Kernel info:
; codeLenInByte = 5128
; NumSgprs: 48
; NumVgprs: 54
; NumAgprs: 0
; TotalNumVgprs: 54
; ScratchSize: 0
; MemoryBound: 0
; FloatMode: 240
; IeeeMode: 1
; LDSByteSize: 10248 bytes/workgroup (compile time only)
; SGPRBlocks: 5
; VGPRBlocks: 6
; NumSGPRsForWavesPerEU: 48
; NumVGPRsForWavesPerEU: 54
; AccumOffset: 56
; Occupancy: 6
; WaveLimiterHint : 1
; COMPUTE_PGM_RSRC2:SCRATCH_EN: 0
; COMPUTE_PGM_RSRC2:USER_SGPR: 6
; COMPUTE_PGM_RSRC2:TRAP_HANDLER: 0
; COMPUTE_PGM_RSRC2:TGID_X_EN: 1
; COMPUTE_PGM_RSRC2:TGID_Y_EN: 0
; COMPUTE_PGM_RSRC2:TGID_Z_EN: 0
; COMPUTE_PGM_RSRC2:TIDIG_COMP_CNT: 0
; COMPUTE_PGM_RSRC3_GFX90A:ACCUM_OFFSET: 13
; COMPUTE_PGM_RSRC3_GFX90A:TG_SPLIT: 0
	.section	.text._ZN7rocprim17ROCPRIM_400000_NS6detail17trampoline_kernelINS0_14default_configENS1_25partition_config_selectorILNS1_17partition_subalgoE0EiNS0_10empty_typeEbEEZZNS1_14partition_implILS5_0ELb0ES3_jN6thrust23THRUST_200600_302600_NS6detail15normal_iteratorINSA_10device_ptrIiEEEEPS6_SG_NS0_5tupleIJSF_SF_EEENSH_IJSG_SG_EEES6_PlJ7is_evenIiEEEE10hipError_tPvRmT3_T4_T5_T6_T7_T9_mT8_P12ihipStream_tbDpT10_ENKUlT_T0_E_clISt17integral_constantIbLb1EES15_IbLb0EEEEDaS11_S12_EUlS11_E_NS1_11comp_targetILNS1_3genE3ELNS1_11target_archE908ELNS1_3gpuE7ELNS1_3repE0EEENS1_30default_config_static_selectorELNS0_4arch9wavefront6targetE1EEEvT1_,"axG",@progbits,_ZN7rocprim17ROCPRIM_400000_NS6detail17trampoline_kernelINS0_14default_configENS1_25partition_config_selectorILNS1_17partition_subalgoE0EiNS0_10empty_typeEbEEZZNS1_14partition_implILS5_0ELb0ES3_jN6thrust23THRUST_200600_302600_NS6detail15normal_iteratorINSA_10device_ptrIiEEEEPS6_SG_NS0_5tupleIJSF_SF_EEENSH_IJSG_SG_EEES6_PlJ7is_evenIiEEEE10hipError_tPvRmT3_T4_T5_T6_T7_T9_mT8_P12ihipStream_tbDpT10_ENKUlT_T0_E_clISt17integral_constantIbLb1EES15_IbLb0EEEEDaS11_S12_EUlS11_E_NS1_11comp_targetILNS1_3genE3ELNS1_11target_archE908ELNS1_3gpuE7ELNS1_3repE0EEENS1_30default_config_static_selectorELNS0_4arch9wavefront6targetE1EEEvT1_,comdat
	.protected	_ZN7rocprim17ROCPRIM_400000_NS6detail17trampoline_kernelINS0_14default_configENS1_25partition_config_selectorILNS1_17partition_subalgoE0EiNS0_10empty_typeEbEEZZNS1_14partition_implILS5_0ELb0ES3_jN6thrust23THRUST_200600_302600_NS6detail15normal_iteratorINSA_10device_ptrIiEEEEPS6_SG_NS0_5tupleIJSF_SF_EEENSH_IJSG_SG_EEES6_PlJ7is_evenIiEEEE10hipError_tPvRmT3_T4_T5_T6_T7_T9_mT8_P12ihipStream_tbDpT10_ENKUlT_T0_E_clISt17integral_constantIbLb1EES15_IbLb0EEEEDaS11_S12_EUlS11_E_NS1_11comp_targetILNS1_3genE3ELNS1_11target_archE908ELNS1_3gpuE7ELNS1_3repE0EEENS1_30default_config_static_selectorELNS0_4arch9wavefront6targetE1EEEvT1_ ; -- Begin function _ZN7rocprim17ROCPRIM_400000_NS6detail17trampoline_kernelINS0_14default_configENS1_25partition_config_selectorILNS1_17partition_subalgoE0EiNS0_10empty_typeEbEEZZNS1_14partition_implILS5_0ELb0ES3_jN6thrust23THRUST_200600_302600_NS6detail15normal_iteratorINSA_10device_ptrIiEEEEPS6_SG_NS0_5tupleIJSF_SF_EEENSH_IJSG_SG_EEES6_PlJ7is_evenIiEEEE10hipError_tPvRmT3_T4_T5_T6_T7_T9_mT8_P12ihipStream_tbDpT10_ENKUlT_T0_E_clISt17integral_constantIbLb1EES15_IbLb0EEEEDaS11_S12_EUlS11_E_NS1_11comp_targetILNS1_3genE3ELNS1_11target_archE908ELNS1_3gpuE7ELNS1_3repE0EEENS1_30default_config_static_selectorELNS0_4arch9wavefront6targetE1EEEvT1_
	.globl	_ZN7rocprim17ROCPRIM_400000_NS6detail17trampoline_kernelINS0_14default_configENS1_25partition_config_selectorILNS1_17partition_subalgoE0EiNS0_10empty_typeEbEEZZNS1_14partition_implILS5_0ELb0ES3_jN6thrust23THRUST_200600_302600_NS6detail15normal_iteratorINSA_10device_ptrIiEEEEPS6_SG_NS0_5tupleIJSF_SF_EEENSH_IJSG_SG_EEES6_PlJ7is_evenIiEEEE10hipError_tPvRmT3_T4_T5_T6_T7_T9_mT8_P12ihipStream_tbDpT10_ENKUlT_T0_E_clISt17integral_constantIbLb1EES15_IbLb0EEEEDaS11_S12_EUlS11_E_NS1_11comp_targetILNS1_3genE3ELNS1_11target_archE908ELNS1_3gpuE7ELNS1_3repE0EEENS1_30default_config_static_selectorELNS0_4arch9wavefront6targetE1EEEvT1_
	.p2align	8
	.type	_ZN7rocprim17ROCPRIM_400000_NS6detail17trampoline_kernelINS0_14default_configENS1_25partition_config_selectorILNS1_17partition_subalgoE0EiNS0_10empty_typeEbEEZZNS1_14partition_implILS5_0ELb0ES3_jN6thrust23THRUST_200600_302600_NS6detail15normal_iteratorINSA_10device_ptrIiEEEEPS6_SG_NS0_5tupleIJSF_SF_EEENSH_IJSG_SG_EEES6_PlJ7is_evenIiEEEE10hipError_tPvRmT3_T4_T5_T6_T7_T9_mT8_P12ihipStream_tbDpT10_ENKUlT_T0_E_clISt17integral_constantIbLb1EES15_IbLb0EEEEDaS11_S12_EUlS11_E_NS1_11comp_targetILNS1_3genE3ELNS1_11target_archE908ELNS1_3gpuE7ELNS1_3repE0EEENS1_30default_config_static_selectorELNS0_4arch9wavefront6targetE1EEEvT1_,@function
_ZN7rocprim17ROCPRIM_400000_NS6detail17trampoline_kernelINS0_14default_configENS1_25partition_config_selectorILNS1_17partition_subalgoE0EiNS0_10empty_typeEbEEZZNS1_14partition_implILS5_0ELb0ES3_jN6thrust23THRUST_200600_302600_NS6detail15normal_iteratorINSA_10device_ptrIiEEEEPS6_SG_NS0_5tupleIJSF_SF_EEENSH_IJSG_SG_EEES6_PlJ7is_evenIiEEEE10hipError_tPvRmT3_T4_T5_T6_T7_T9_mT8_P12ihipStream_tbDpT10_ENKUlT_T0_E_clISt17integral_constantIbLb1EES15_IbLb0EEEEDaS11_S12_EUlS11_E_NS1_11comp_targetILNS1_3genE3ELNS1_11target_archE908ELNS1_3gpuE7ELNS1_3repE0EEENS1_30default_config_static_selectorELNS0_4arch9wavefront6targetE1EEEvT1_: ; @_ZN7rocprim17ROCPRIM_400000_NS6detail17trampoline_kernelINS0_14default_configENS1_25partition_config_selectorILNS1_17partition_subalgoE0EiNS0_10empty_typeEbEEZZNS1_14partition_implILS5_0ELb0ES3_jN6thrust23THRUST_200600_302600_NS6detail15normal_iteratorINSA_10device_ptrIiEEEEPS6_SG_NS0_5tupleIJSF_SF_EEENSH_IJSG_SG_EEES6_PlJ7is_evenIiEEEE10hipError_tPvRmT3_T4_T5_T6_T7_T9_mT8_P12ihipStream_tbDpT10_ENKUlT_T0_E_clISt17integral_constantIbLb1EES15_IbLb0EEEEDaS11_S12_EUlS11_E_NS1_11comp_targetILNS1_3genE3ELNS1_11target_archE908ELNS1_3gpuE7ELNS1_3repE0EEENS1_30default_config_static_selectorELNS0_4arch9wavefront6targetE1EEEvT1_
; %bb.0:
	.section	.rodata,"a",@progbits
	.p2align	6, 0x0
	.amdhsa_kernel _ZN7rocprim17ROCPRIM_400000_NS6detail17trampoline_kernelINS0_14default_configENS1_25partition_config_selectorILNS1_17partition_subalgoE0EiNS0_10empty_typeEbEEZZNS1_14partition_implILS5_0ELb0ES3_jN6thrust23THRUST_200600_302600_NS6detail15normal_iteratorINSA_10device_ptrIiEEEEPS6_SG_NS0_5tupleIJSF_SF_EEENSH_IJSG_SG_EEES6_PlJ7is_evenIiEEEE10hipError_tPvRmT3_T4_T5_T6_T7_T9_mT8_P12ihipStream_tbDpT10_ENKUlT_T0_E_clISt17integral_constantIbLb1EES15_IbLb0EEEEDaS11_S12_EUlS11_E_NS1_11comp_targetILNS1_3genE3ELNS1_11target_archE908ELNS1_3gpuE7ELNS1_3repE0EEENS1_30default_config_static_selectorELNS0_4arch9wavefront6targetE1EEEvT1_
		.amdhsa_group_segment_fixed_size 0
		.amdhsa_private_segment_fixed_size 0
		.amdhsa_kernarg_size 120
		.amdhsa_user_sgpr_count 6
		.amdhsa_user_sgpr_private_segment_buffer 1
		.amdhsa_user_sgpr_dispatch_ptr 0
		.amdhsa_user_sgpr_queue_ptr 0
		.amdhsa_user_sgpr_kernarg_segment_ptr 1
		.amdhsa_user_sgpr_dispatch_id 0
		.amdhsa_user_sgpr_flat_scratch_init 0
		.amdhsa_user_sgpr_kernarg_preload_length 0
		.amdhsa_user_sgpr_kernarg_preload_offset 0
		.amdhsa_user_sgpr_private_segment_size 0
		.amdhsa_uses_dynamic_stack 0
		.amdhsa_system_sgpr_private_segment_wavefront_offset 0
		.amdhsa_system_sgpr_workgroup_id_x 1
		.amdhsa_system_sgpr_workgroup_id_y 0
		.amdhsa_system_sgpr_workgroup_id_z 0
		.amdhsa_system_sgpr_workgroup_info 0
		.amdhsa_system_vgpr_workitem_id 0
		.amdhsa_next_free_vgpr 1
		.amdhsa_next_free_sgpr 0
		.amdhsa_accum_offset 4
		.amdhsa_reserve_vcc 0
		.amdhsa_reserve_flat_scratch 0
		.amdhsa_float_round_mode_32 0
		.amdhsa_float_round_mode_16_64 0
		.amdhsa_float_denorm_mode_32 3
		.amdhsa_float_denorm_mode_16_64 3
		.amdhsa_dx10_clamp 1
		.amdhsa_ieee_mode 1
		.amdhsa_fp16_overflow 0
		.amdhsa_tg_split 0
		.amdhsa_exception_fp_ieee_invalid_op 0
		.amdhsa_exception_fp_denorm_src 0
		.amdhsa_exception_fp_ieee_div_zero 0
		.amdhsa_exception_fp_ieee_overflow 0
		.amdhsa_exception_fp_ieee_underflow 0
		.amdhsa_exception_fp_ieee_inexact 0
		.amdhsa_exception_int_div_zero 0
	.end_amdhsa_kernel
	.section	.text._ZN7rocprim17ROCPRIM_400000_NS6detail17trampoline_kernelINS0_14default_configENS1_25partition_config_selectorILNS1_17partition_subalgoE0EiNS0_10empty_typeEbEEZZNS1_14partition_implILS5_0ELb0ES3_jN6thrust23THRUST_200600_302600_NS6detail15normal_iteratorINSA_10device_ptrIiEEEEPS6_SG_NS0_5tupleIJSF_SF_EEENSH_IJSG_SG_EEES6_PlJ7is_evenIiEEEE10hipError_tPvRmT3_T4_T5_T6_T7_T9_mT8_P12ihipStream_tbDpT10_ENKUlT_T0_E_clISt17integral_constantIbLb1EES15_IbLb0EEEEDaS11_S12_EUlS11_E_NS1_11comp_targetILNS1_3genE3ELNS1_11target_archE908ELNS1_3gpuE7ELNS1_3repE0EEENS1_30default_config_static_selectorELNS0_4arch9wavefront6targetE1EEEvT1_,"axG",@progbits,_ZN7rocprim17ROCPRIM_400000_NS6detail17trampoline_kernelINS0_14default_configENS1_25partition_config_selectorILNS1_17partition_subalgoE0EiNS0_10empty_typeEbEEZZNS1_14partition_implILS5_0ELb0ES3_jN6thrust23THRUST_200600_302600_NS6detail15normal_iteratorINSA_10device_ptrIiEEEEPS6_SG_NS0_5tupleIJSF_SF_EEENSH_IJSG_SG_EEES6_PlJ7is_evenIiEEEE10hipError_tPvRmT3_T4_T5_T6_T7_T9_mT8_P12ihipStream_tbDpT10_ENKUlT_T0_E_clISt17integral_constantIbLb1EES15_IbLb0EEEEDaS11_S12_EUlS11_E_NS1_11comp_targetILNS1_3genE3ELNS1_11target_archE908ELNS1_3gpuE7ELNS1_3repE0EEENS1_30default_config_static_selectorELNS0_4arch9wavefront6targetE1EEEvT1_,comdat
.Lfunc_end340:
	.size	_ZN7rocprim17ROCPRIM_400000_NS6detail17trampoline_kernelINS0_14default_configENS1_25partition_config_selectorILNS1_17partition_subalgoE0EiNS0_10empty_typeEbEEZZNS1_14partition_implILS5_0ELb0ES3_jN6thrust23THRUST_200600_302600_NS6detail15normal_iteratorINSA_10device_ptrIiEEEEPS6_SG_NS0_5tupleIJSF_SF_EEENSH_IJSG_SG_EEES6_PlJ7is_evenIiEEEE10hipError_tPvRmT3_T4_T5_T6_T7_T9_mT8_P12ihipStream_tbDpT10_ENKUlT_T0_E_clISt17integral_constantIbLb1EES15_IbLb0EEEEDaS11_S12_EUlS11_E_NS1_11comp_targetILNS1_3genE3ELNS1_11target_archE908ELNS1_3gpuE7ELNS1_3repE0EEENS1_30default_config_static_selectorELNS0_4arch9wavefront6targetE1EEEvT1_, .Lfunc_end340-_ZN7rocprim17ROCPRIM_400000_NS6detail17trampoline_kernelINS0_14default_configENS1_25partition_config_selectorILNS1_17partition_subalgoE0EiNS0_10empty_typeEbEEZZNS1_14partition_implILS5_0ELb0ES3_jN6thrust23THRUST_200600_302600_NS6detail15normal_iteratorINSA_10device_ptrIiEEEEPS6_SG_NS0_5tupleIJSF_SF_EEENSH_IJSG_SG_EEES6_PlJ7is_evenIiEEEE10hipError_tPvRmT3_T4_T5_T6_T7_T9_mT8_P12ihipStream_tbDpT10_ENKUlT_T0_E_clISt17integral_constantIbLb1EES15_IbLb0EEEEDaS11_S12_EUlS11_E_NS1_11comp_targetILNS1_3genE3ELNS1_11target_archE908ELNS1_3gpuE7ELNS1_3repE0EEENS1_30default_config_static_selectorELNS0_4arch9wavefront6targetE1EEEvT1_
                                        ; -- End function
	.section	.AMDGPU.csdata,"",@progbits
; Kernel info:
; codeLenInByte = 0
; NumSgprs: 4
; NumVgprs: 0
; NumAgprs: 0
; TotalNumVgprs: 0
; ScratchSize: 0
; MemoryBound: 0
; FloatMode: 240
; IeeeMode: 1
; LDSByteSize: 0 bytes/workgroup (compile time only)
; SGPRBlocks: 0
; VGPRBlocks: 0
; NumSGPRsForWavesPerEU: 4
; NumVGPRsForWavesPerEU: 1
; AccumOffset: 4
; Occupancy: 8
; WaveLimiterHint : 0
; COMPUTE_PGM_RSRC2:SCRATCH_EN: 0
; COMPUTE_PGM_RSRC2:USER_SGPR: 6
; COMPUTE_PGM_RSRC2:TRAP_HANDLER: 0
; COMPUTE_PGM_RSRC2:TGID_X_EN: 1
; COMPUTE_PGM_RSRC2:TGID_Y_EN: 0
; COMPUTE_PGM_RSRC2:TGID_Z_EN: 0
; COMPUTE_PGM_RSRC2:TIDIG_COMP_CNT: 0
; COMPUTE_PGM_RSRC3_GFX90A:ACCUM_OFFSET: 0
; COMPUTE_PGM_RSRC3_GFX90A:TG_SPLIT: 0
	.section	.text._ZN7rocprim17ROCPRIM_400000_NS6detail17trampoline_kernelINS0_14default_configENS1_25partition_config_selectorILNS1_17partition_subalgoE0EiNS0_10empty_typeEbEEZZNS1_14partition_implILS5_0ELb0ES3_jN6thrust23THRUST_200600_302600_NS6detail15normal_iteratorINSA_10device_ptrIiEEEEPS6_SG_NS0_5tupleIJSF_SF_EEENSH_IJSG_SG_EEES6_PlJ7is_evenIiEEEE10hipError_tPvRmT3_T4_T5_T6_T7_T9_mT8_P12ihipStream_tbDpT10_ENKUlT_T0_E_clISt17integral_constantIbLb1EES15_IbLb0EEEEDaS11_S12_EUlS11_E_NS1_11comp_targetILNS1_3genE2ELNS1_11target_archE906ELNS1_3gpuE6ELNS1_3repE0EEENS1_30default_config_static_selectorELNS0_4arch9wavefront6targetE1EEEvT1_,"axG",@progbits,_ZN7rocprim17ROCPRIM_400000_NS6detail17trampoline_kernelINS0_14default_configENS1_25partition_config_selectorILNS1_17partition_subalgoE0EiNS0_10empty_typeEbEEZZNS1_14partition_implILS5_0ELb0ES3_jN6thrust23THRUST_200600_302600_NS6detail15normal_iteratorINSA_10device_ptrIiEEEEPS6_SG_NS0_5tupleIJSF_SF_EEENSH_IJSG_SG_EEES6_PlJ7is_evenIiEEEE10hipError_tPvRmT3_T4_T5_T6_T7_T9_mT8_P12ihipStream_tbDpT10_ENKUlT_T0_E_clISt17integral_constantIbLb1EES15_IbLb0EEEEDaS11_S12_EUlS11_E_NS1_11comp_targetILNS1_3genE2ELNS1_11target_archE906ELNS1_3gpuE6ELNS1_3repE0EEENS1_30default_config_static_selectorELNS0_4arch9wavefront6targetE1EEEvT1_,comdat
	.protected	_ZN7rocprim17ROCPRIM_400000_NS6detail17trampoline_kernelINS0_14default_configENS1_25partition_config_selectorILNS1_17partition_subalgoE0EiNS0_10empty_typeEbEEZZNS1_14partition_implILS5_0ELb0ES3_jN6thrust23THRUST_200600_302600_NS6detail15normal_iteratorINSA_10device_ptrIiEEEEPS6_SG_NS0_5tupleIJSF_SF_EEENSH_IJSG_SG_EEES6_PlJ7is_evenIiEEEE10hipError_tPvRmT3_T4_T5_T6_T7_T9_mT8_P12ihipStream_tbDpT10_ENKUlT_T0_E_clISt17integral_constantIbLb1EES15_IbLb0EEEEDaS11_S12_EUlS11_E_NS1_11comp_targetILNS1_3genE2ELNS1_11target_archE906ELNS1_3gpuE6ELNS1_3repE0EEENS1_30default_config_static_selectorELNS0_4arch9wavefront6targetE1EEEvT1_ ; -- Begin function _ZN7rocprim17ROCPRIM_400000_NS6detail17trampoline_kernelINS0_14default_configENS1_25partition_config_selectorILNS1_17partition_subalgoE0EiNS0_10empty_typeEbEEZZNS1_14partition_implILS5_0ELb0ES3_jN6thrust23THRUST_200600_302600_NS6detail15normal_iteratorINSA_10device_ptrIiEEEEPS6_SG_NS0_5tupleIJSF_SF_EEENSH_IJSG_SG_EEES6_PlJ7is_evenIiEEEE10hipError_tPvRmT3_T4_T5_T6_T7_T9_mT8_P12ihipStream_tbDpT10_ENKUlT_T0_E_clISt17integral_constantIbLb1EES15_IbLb0EEEEDaS11_S12_EUlS11_E_NS1_11comp_targetILNS1_3genE2ELNS1_11target_archE906ELNS1_3gpuE6ELNS1_3repE0EEENS1_30default_config_static_selectorELNS0_4arch9wavefront6targetE1EEEvT1_
	.globl	_ZN7rocprim17ROCPRIM_400000_NS6detail17trampoline_kernelINS0_14default_configENS1_25partition_config_selectorILNS1_17partition_subalgoE0EiNS0_10empty_typeEbEEZZNS1_14partition_implILS5_0ELb0ES3_jN6thrust23THRUST_200600_302600_NS6detail15normal_iteratorINSA_10device_ptrIiEEEEPS6_SG_NS0_5tupleIJSF_SF_EEENSH_IJSG_SG_EEES6_PlJ7is_evenIiEEEE10hipError_tPvRmT3_T4_T5_T6_T7_T9_mT8_P12ihipStream_tbDpT10_ENKUlT_T0_E_clISt17integral_constantIbLb1EES15_IbLb0EEEEDaS11_S12_EUlS11_E_NS1_11comp_targetILNS1_3genE2ELNS1_11target_archE906ELNS1_3gpuE6ELNS1_3repE0EEENS1_30default_config_static_selectorELNS0_4arch9wavefront6targetE1EEEvT1_
	.p2align	8
	.type	_ZN7rocprim17ROCPRIM_400000_NS6detail17trampoline_kernelINS0_14default_configENS1_25partition_config_selectorILNS1_17partition_subalgoE0EiNS0_10empty_typeEbEEZZNS1_14partition_implILS5_0ELb0ES3_jN6thrust23THRUST_200600_302600_NS6detail15normal_iteratorINSA_10device_ptrIiEEEEPS6_SG_NS0_5tupleIJSF_SF_EEENSH_IJSG_SG_EEES6_PlJ7is_evenIiEEEE10hipError_tPvRmT3_T4_T5_T6_T7_T9_mT8_P12ihipStream_tbDpT10_ENKUlT_T0_E_clISt17integral_constantIbLb1EES15_IbLb0EEEEDaS11_S12_EUlS11_E_NS1_11comp_targetILNS1_3genE2ELNS1_11target_archE906ELNS1_3gpuE6ELNS1_3repE0EEENS1_30default_config_static_selectorELNS0_4arch9wavefront6targetE1EEEvT1_,@function
_ZN7rocprim17ROCPRIM_400000_NS6detail17trampoline_kernelINS0_14default_configENS1_25partition_config_selectorILNS1_17partition_subalgoE0EiNS0_10empty_typeEbEEZZNS1_14partition_implILS5_0ELb0ES3_jN6thrust23THRUST_200600_302600_NS6detail15normal_iteratorINSA_10device_ptrIiEEEEPS6_SG_NS0_5tupleIJSF_SF_EEENSH_IJSG_SG_EEES6_PlJ7is_evenIiEEEE10hipError_tPvRmT3_T4_T5_T6_T7_T9_mT8_P12ihipStream_tbDpT10_ENKUlT_T0_E_clISt17integral_constantIbLb1EES15_IbLb0EEEEDaS11_S12_EUlS11_E_NS1_11comp_targetILNS1_3genE2ELNS1_11target_archE906ELNS1_3gpuE6ELNS1_3repE0EEENS1_30default_config_static_selectorELNS0_4arch9wavefront6targetE1EEEvT1_: ; @_ZN7rocprim17ROCPRIM_400000_NS6detail17trampoline_kernelINS0_14default_configENS1_25partition_config_selectorILNS1_17partition_subalgoE0EiNS0_10empty_typeEbEEZZNS1_14partition_implILS5_0ELb0ES3_jN6thrust23THRUST_200600_302600_NS6detail15normal_iteratorINSA_10device_ptrIiEEEEPS6_SG_NS0_5tupleIJSF_SF_EEENSH_IJSG_SG_EEES6_PlJ7is_evenIiEEEE10hipError_tPvRmT3_T4_T5_T6_T7_T9_mT8_P12ihipStream_tbDpT10_ENKUlT_T0_E_clISt17integral_constantIbLb1EES15_IbLb0EEEEDaS11_S12_EUlS11_E_NS1_11comp_targetILNS1_3genE2ELNS1_11target_archE906ELNS1_3gpuE6ELNS1_3repE0EEENS1_30default_config_static_selectorELNS0_4arch9wavefront6targetE1EEEvT1_
; %bb.0:
	.section	.rodata,"a",@progbits
	.p2align	6, 0x0
	.amdhsa_kernel _ZN7rocprim17ROCPRIM_400000_NS6detail17trampoline_kernelINS0_14default_configENS1_25partition_config_selectorILNS1_17partition_subalgoE0EiNS0_10empty_typeEbEEZZNS1_14partition_implILS5_0ELb0ES3_jN6thrust23THRUST_200600_302600_NS6detail15normal_iteratorINSA_10device_ptrIiEEEEPS6_SG_NS0_5tupleIJSF_SF_EEENSH_IJSG_SG_EEES6_PlJ7is_evenIiEEEE10hipError_tPvRmT3_T4_T5_T6_T7_T9_mT8_P12ihipStream_tbDpT10_ENKUlT_T0_E_clISt17integral_constantIbLb1EES15_IbLb0EEEEDaS11_S12_EUlS11_E_NS1_11comp_targetILNS1_3genE2ELNS1_11target_archE906ELNS1_3gpuE6ELNS1_3repE0EEENS1_30default_config_static_selectorELNS0_4arch9wavefront6targetE1EEEvT1_
		.amdhsa_group_segment_fixed_size 0
		.amdhsa_private_segment_fixed_size 0
		.amdhsa_kernarg_size 120
		.amdhsa_user_sgpr_count 6
		.amdhsa_user_sgpr_private_segment_buffer 1
		.amdhsa_user_sgpr_dispatch_ptr 0
		.amdhsa_user_sgpr_queue_ptr 0
		.amdhsa_user_sgpr_kernarg_segment_ptr 1
		.amdhsa_user_sgpr_dispatch_id 0
		.amdhsa_user_sgpr_flat_scratch_init 0
		.amdhsa_user_sgpr_kernarg_preload_length 0
		.amdhsa_user_sgpr_kernarg_preload_offset 0
		.amdhsa_user_sgpr_private_segment_size 0
		.amdhsa_uses_dynamic_stack 0
		.amdhsa_system_sgpr_private_segment_wavefront_offset 0
		.amdhsa_system_sgpr_workgroup_id_x 1
		.amdhsa_system_sgpr_workgroup_id_y 0
		.amdhsa_system_sgpr_workgroup_id_z 0
		.amdhsa_system_sgpr_workgroup_info 0
		.amdhsa_system_vgpr_workitem_id 0
		.amdhsa_next_free_vgpr 1
		.amdhsa_next_free_sgpr 0
		.amdhsa_accum_offset 4
		.amdhsa_reserve_vcc 0
		.amdhsa_reserve_flat_scratch 0
		.amdhsa_float_round_mode_32 0
		.amdhsa_float_round_mode_16_64 0
		.amdhsa_float_denorm_mode_32 3
		.amdhsa_float_denorm_mode_16_64 3
		.amdhsa_dx10_clamp 1
		.amdhsa_ieee_mode 1
		.amdhsa_fp16_overflow 0
		.amdhsa_tg_split 0
		.amdhsa_exception_fp_ieee_invalid_op 0
		.amdhsa_exception_fp_denorm_src 0
		.amdhsa_exception_fp_ieee_div_zero 0
		.amdhsa_exception_fp_ieee_overflow 0
		.amdhsa_exception_fp_ieee_underflow 0
		.amdhsa_exception_fp_ieee_inexact 0
		.amdhsa_exception_int_div_zero 0
	.end_amdhsa_kernel
	.section	.text._ZN7rocprim17ROCPRIM_400000_NS6detail17trampoline_kernelINS0_14default_configENS1_25partition_config_selectorILNS1_17partition_subalgoE0EiNS0_10empty_typeEbEEZZNS1_14partition_implILS5_0ELb0ES3_jN6thrust23THRUST_200600_302600_NS6detail15normal_iteratorINSA_10device_ptrIiEEEEPS6_SG_NS0_5tupleIJSF_SF_EEENSH_IJSG_SG_EEES6_PlJ7is_evenIiEEEE10hipError_tPvRmT3_T4_T5_T6_T7_T9_mT8_P12ihipStream_tbDpT10_ENKUlT_T0_E_clISt17integral_constantIbLb1EES15_IbLb0EEEEDaS11_S12_EUlS11_E_NS1_11comp_targetILNS1_3genE2ELNS1_11target_archE906ELNS1_3gpuE6ELNS1_3repE0EEENS1_30default_config_static_selectorELNS0_4arch9wavefront6targetE1EEEvT1_,"axG",@progbits,_ZN7rocprim17ROCPRIM_400000_NS6detail17trampoline_kernelINS0_14default_configENS1_25partition_config_selectorILNS1_17partition_subalgoE0EiNS0_10empty_typeEbEEZZNS1_14partition_implILS5_0ELb0ES3_jN6thrust23THRUST_200600_302600_NS6detail15normal_iteratorINSA_10device_ptrIiEEEEPS6_SG_NS0_5tupleIJSF_SF_EEENSH_IJSG_SG_EEES6_PlJ7is_evenIiEEEE10hipError_tPvRmT3_T4_T5_T6_T7_T9_mT8_P12ihipStream_tbDpT10_ENKUlT_T0_E_clISt17integral_constantIbLb1EES15_IbLb0EEEEDaS11_S12_EUlS11_E_NS1_11comp_targetILNS1_3genE2ELNS1_11target_archE906ELNS1_3gpuE6ELNS1_3repE0EEENS1_30default_config_static_selectorELNS0_4arch9wavefront6targetE1EEEvT1_,comdat
.Lfunc_end341:
	.size	_ZN7rocprim17ROCPRIM_400000_NS6detail17trampoline_kernelINS0_14default_configENS1_25partition_config_selectorILNS1_17partition_subalgoE0EiNS0_10empty_typeEbEEZZNS1_14partition_implILS5_0ELb0ES3_jN6thrust23THRUST_200600_302600_NS6detail15normal_iteratorINSA_10device_ptrIiEEEEPS6_SG_NS0_5tupleIJSF_SF_EEENSH_IJSG_SG_EEES6_PlJ7is_evenIiEEEE10hipError_tPvRmT3_T4_T5_T6_T7_T9_mT8_P12ihipStream_tbDpT10_ENKUlT_T0_E_clISt17integral_constantIbLb1EES15_IbLb0EEEEDaS11_S12_EUlS11_E_NS1_11comp_targetILNS1_3genE2ELNS1_11target_archE906ELNS1_3gpuE6ELNS1_3repE0EEENS1_30default_config_static_selectorELNS0_4arch9wavefront6targetE1EEEvT1_, .Lfunc_end341-_ZN7rocprim17ROCPRIM_400000_NS6detail17trampoline_kernelINS0_14default_configENS1_25partition_config_selectorILNS1_17partition_subalgoE0EiNS0_10empty_typeEbEEZZNS1_14partition_implILS5_0ELb0ES3_jN6thrust23THRUST_200600_302600_NS6detail15normal_iteratorINSA_10device_ptrIiEEEEPS6_SG_NS0_5tupleIJSF_SF_EEENSH_IJSG_SG_EEES6_PlJ7is_evenIiEEEE10hipError_tPvRmT3_T4_T5_T6_T7_T9_mT8_P12ihipStream_tbDpT10_ENKUlT_T0_E_clISt17integral_constantIbLb1EES15_IbLb0EEEEDaS11_S12_EUlS11_E_NS1_11comp_targetILNS1_3genE2ELNS1_11target_archE906ELNS1_3gpuE6ELNS1_3repE0EEENS1_30default_config_static_selectorELNS0_4arch9wavefront6targetE1EEEvT1_
                                        ; -- End function
	.section	.AMDGPU.csdata,"",@progbits
; Kernel info:
; codeLenInByte = 0
; NumSgprs: 4
; NumVgprs: 0
; NumAgprs: 0
; TotalNumVgprs: 0
; ScratchSize: 0
; MemoryBound: 0
; FloatMode: 240
; IeeeMode: 1
; LDSByteSize: 0 bytes/workgroup (compile time only)
; SGPRBlocks: 0
; VGPRBlocks: 0
; NumSGPRsForWavesPerEU: 4
; NumVGPRsForWavesPerEU: 1
; AccumOffset: 4
; Occupancy: 8
; WaveLimiterHint : 0
; COMPUTE_PGM_RSRC2:SCRATCH_EN: 0
; COMPUTE_PGM_RSRC2:USER_SGPR: 6
; COMPUTE_PGM_RSRC2:TRAP_HANDLER: 0
; COMPUTE_PGM_RSRC2:TGID_X_EN: 1
; COMPUTE_PGM_RSRC2:TGID_Y_EN: 0
; COMPUTE_PGM_RSRC2:TGID_Z_EN: 0
; COMPUTE_PGM_RSRC2:TIDIG_COMP_CNT: 0
; COMPUTE_PGM_RSRC3_GFX90A:ACCUM_OFFSET: 0
; COMPUTE_PGM_RSRC3_GFX90A:TG_SPLIT: 0
	.section	.text._ZN7rocprim17ROCPRIM_400000_NS6detail17trampoline_kernelINS0_14default_configENS1_25partition_config_selectorILNS1_17partition_subalgoE0EiNS0_10empty_typeEbEEZZNS1_14partition_implILS5_0ELb0ES3_jN6thrust23THRUST_200600_302600_NS6detail15normal_iteratorINSA_10device_ptrIiEEEEPS6_SG_NS0_5tupleIJSF_SF_EEENSH_IJSG_SG_EEES6_PlJ7is_evenIiEEEE10hipError_tPvRmT3_T4_T5_T6_T7_T9_mT8_P12ihipStream_tbDpT10_ENKUlT_T0_E_clISt17integral_constantIbLb1EES15_IbLb0EEEEDaS11_S12_EUlS11_E_NS1_11comp_targetILNS1_3genE10ELNS1_11target_archE1200ELNS1_3gpuE4ELNS1_3repE0EEENS1_30default_config_static_selectorELNS0_4arch9wavefront6targetE1EEEvT1_,"axG",@progbits,_ZN7rocprim17ROCPRIM_400000_NS6detail17trampoline_kernelINS0_14default_configENS1_25partition_config_selectorILNS1_17partition_subalgoE0EiNS0_10empty_typeEbEEZZNS1_14partition_implILS5_0ELb0ES3_jN6thrust23THRUST_200600_302600_NS6detail15normal_iteratorINSA_10device_ptrIiEEEEPS6_SG_NS0_5tupleIJSF_SF_EEENSH_IJSG_SG_EEES6_PlJ7is_evenIiEEEE10hipError_tPvRmT3_T4_T5_T6_T7_T9_mT8_P12ihipStream_tbDpT10_ENKUlT_T0_E_clISt17integral_constantIbLb1EES15_IbLb0EEEEDaS11_S12_EUlS11_E_NS1_11comp_targetILNS1_3genE10ELNS1_11target_archE1200ELNS1_3gpuE4ELNS1_3repE0EEENS1_30default_config_static_selectorELNS0_4arch9wavefront6targetE1EEEvT1_,comdat
	.protected	_ZN7rocprim17ROCPRIM_400000_NS6detail17trampoline_kernelINS0_14default_configENS1_25partition_config_selectorILNS1_17partition_subalgoE0EiNS0_10empty_typeEbEEZZNS1_14partition_implILS5_0ELb0ES3_jN6thrust23THRUST_200600_302600_NS6detail15normal_iteratorINSA_10device_ptrIiEEEEPS6_SG_NS0_5tupleIJSF_SF_EEENSH_IJSG_SG_EEES6_PlJ7is_evenIiEEEE10hipError_tPvRmT3_T4_T5_T6_T7_T9_mT8_P12ihipStream_tbDpT10_ENKUlT_T0_E_clISt17integral_constantIbLb1EES15_IbLb0EEEEDaS11_S12_EUlS11_E_NS1_11comp_targetILNS1_3genE10ELNS1_11target_archE1200ELNS1_3gpuE4ELNS1_3repE0EEENS1_30default_config_static_selectorELNS0_4arch9wavefront6targetE1EEEvT1_ ; -- Begin function _ZN7rocprim17ROCPRIM_400000_NS6detail17trampoline_kernelINS0_14default_configENS1_25partition_config_selectorILNS1_17partition_subalgoE0EiNS0_10empty_typeEbEEZZNS1_14partition_implILS5_0ELb0ES3_jN6thrust23THRUST_200600_302600_NS6detail15normal_iteratorINSA_10device_ptrIiEEEEPS6_SG_NS0_5tupleIJSF_SF_EEENSH_IJSG_SG_EEES6_PlJ7is_evenIiEEEE10hipError_tPvRmT3_T4_T5_T6_T7_T9_mT8_P12ihipStream_tbDpT10_ENKUlT_T0_E_clISt17integral_constantIbLb1EES15_IbLb0EEEEDaS11_S12_EUlS11_E_NS1_11comp_targetILNS1_3genE10ELNS1_11target_archE1200ELNS1_3gpuE4ELNS1_3repE0EEENS1_30default_config_static_selectorELNS0_4arch9wavefront6targetE1EEEvT1_
	.globl	_ZN7rocprim17ROCPRIM_400000_NS6detail17trampoline_kernelINS0_14default_configENS1_25partition_config_selectorILNS1_17partition_subalgoE0EiNS0_10empty_typeEbEEZZNS1_14partition_implILS5_0ELb0ES3_jN6thrust23THRUST_200600_302600_NS6detail15normal_iteratorINSA_10device_ptrIiEEEEPS6_SG_NS0_5tupleIJSF_SF_EEENSH_IJSG_SG_EEES6_PlJ7is_evenIiEEEE10hipError_tPvRmT3_T4_T5_T6_T7_T9_mT8_P12ihipStream_tbDpT10_ENKUlT_T0_E_clISt17integral_constantIbLb1EES15_IbLb0EEEEDaS11_S12_EUlS11_E_NS1_11comp_targetILNS1_3genE10ELNS1_11target_archE1200ELNS1_3gpuE4ELNS1_3repE0EEENS1_30default_config_static_selectorELNS0_4arch9wavefront6targetE1EEEvT1_
	.p2align	8
	.type	_ZN7rocprim17ROCPRIM_400000_NS6detail17trampoline_kernelINS0_14default_configENS1_25partition_config_selectorILNS1_17partition_subalgoE0EiNS0_10empty_typeEbEEZZNS1_14partition_implILS5_0ELb0ES3_jN6thrust23THRUST_200600_302600_NS6detail15normal_iteratorINSA_10device_ptrIiEEEEPS6_SG_NS0_5tupleIJSF_SF_EEENSH_IJSG_SG_EEES6_PlJ7is_evenIiEEEE10hipError_tPvRmT3_T4_T5_T6_T7_T9_mT8_P12ihipStream_tbDpT10_ENKUlT_T0_E_clISt17integral_constantIbLb1EES15_IbLb0EEEEDaS11_S12_EUlS11_E_NS1_11comp_targetILNS1_3genE10ELNS1_11target_archE1200ELNS1_3gpuE4ELNS1_3repE0EEENS1_30default_config_static_selectorELNS0_4arch9wavefront6targetE1EEEvT1_,@function
_ZN7rocprim17ROCPRIM_400000_NS6detail17trampoline_kernelINS0_14default_configENS1_25partition_config_selectorILNS1_17partition_subalgoE0EiNS0_10empty_typeEbEEZZNS1_14partition_implILS5_0ELb0ES3_jN6thrust23THRUST_200600_302600_NS6detail15normal_iteratorINSA_10device_ptrIiEEEEPS6_SG_NS0_5tupleIJSF_SF_EEENSH_IJSG_SG_EEES6_PlJ7is_evenIiEEEE10hipError_tPvRmT3_T4_T5_T6_T7_T9_mT8_P12ihipStream_tbDpT10_ENKUlT_T0_E_clISt17integral_constantIbLb1EES15_IbLb0EEEEDaS11_S12_EUlS11_E_NS1_11comp_targetILNS1_3genE10ELNS1_11target_archE1200ELNS1_3gpuE4ELNS1_3repE0EEENS1_30default_config_static_selectorELNS0_4arch9wavefront6targetE1EEEvT1_: ; @_ZN7rocprim17ROCPRIM_400000_NS6detail17trampoline_kernelINS0_14default_configENS1_25partition_config_selectorILNS1_17partition_subalgoE0EiNS0_10empty_typeEbEEZZNS1_14partition_implILS5_0ELb0ES3_jN6thrust23THRUST_200600_302600_NS6detail15normal_iteratorINSA_10device_ptrIiEEEEPS6_SG_NS0_5tupleIJSF_SF_EEENSH_IJSG_SG_EEES6_PlJ7is_evenIiEEEE10hipError_tPvRmT3_T4_T5_T6_T7_T9_mT8_P12ihipStream_tbDpT10_ENKUlT_T0_E_clISt17integral_constantIbLb1EES15_IbLb0EEEEDaS11_S12_EUlS11_E_NS1_11comp_targetILNS1_3genE10ELNS1_11target_archE1200ELNS1_3gpuE4ELNS1_3repE0EEENS1_30default_config_static_selectorELNS0_4arch9wavefront6targetE1EEEvT1_
; %bb.0:
	.section	.rodata,"a",@progbits
	.p2align	6, 0x0
	.amdhsa_kernel _ZN7rocprim17ROCPRIM_400000_NS6detail17trampoline_kernelINS0_14default_configENS1_25partition_config_selectorILNS1_17partition_subalgoE0EiNS0_10empty_typeEbEEZZNS1_14partition_implILS5_0ELb0ES3_jN6thrust23THRUST_200600_302600_NS6detail15normal_iteratorINSA_10device_ptrIiEEEEPS6_SG_NS0_5tupleIJSF_SF_EEENSH_IJSG_SG_EEES6_PlJ7is_evenIiEEEE10hipError_tPvRmT3_T4_T5_T6_T7_T9_mT8_P12ihipStream_tbDpT10_ENKUlT_T0_E_clISt17integral_constantIbLb1EES15_IbLb0EEEEDaS11_S12_EUlS11_E_NS1_11comp_targetILNS1_3genE10ELNS1_11target_archE1200ELNS1_3gpuE4ELNS1_3repE0EEENS1_30default_config_static_selectorELNS0_4arch9wavefront6targetE1EEEvT1_
		.amdhsa_group_segment_fixed_size 0
		.amdhsa_private_segment_fixed_size 0
		.amdhsa_kernarg_size 120
		.amdhsa_user_sgpr_count 6
		.amdhsa_user_sgpr_private_segment_buffer 1
		.amdhsa_user_sgpr_dispatch_ptr 0
		.amdhsa_user_sgpr_queue_ptr 0
		.amdhsa_user_sgpr_kernarg_segment_ptr 1
		.amdhsa_user_sgpr_dispatch_id 0
		.amdhsa_user_sgpr_flat_scratch_init 0
		.amdhsa_user_sgpr_kernarg_preload_length 0
		.amdhsa_user_sgpr_kernarg_preload_offset 0
		.amdhsa_user_sgpr_private_segment_size 0
		.amdhsa_uses_dynamic_stack 0
		.amdhsa_system_sgpr_private_segment_wavefront_offset 0
		.amdhsa_system_sgpr_workgroup_id_x 1
		.amdhsa_system_sgpr_workgroup_id_y 0
		.amdhsa_system_sgpr_workgroup_id_z 0
		.amdhsa_system_sgpr_workgroup_info 0
		.amdhsa_system_vgpr_workitem_id 0
		.amdhsa_next_free_vgpr 1
		.amdhsa_next_free_sgpr 0
		.amdhsa_accum_offset 4
		.amdhsa_reserve_vcc 0
		.amdhsa_reserve_flat_scratch 0
		.amdhsa_float_round_mode_32 0
		.amdhsa_float_round_mode_16_64 0
		.amdhsa_float_denorm_mode_32 3
		.amdhsa_float_denorm_mode_16_64 3
		.amdhsa_dx10_clamp 1
		.amdhsa_ieee_mode 1
		.amdhsa_fp16_overflow 0
		.amdhsa_tg_split 0
		.amdhsa_exception_fp_ieee_invalid_op 0
		.amdhsa_exception_fp_denorm_src 0
		.amdhsa_exception_fp_ieee_div_zero 0
		.amdhsa_exception_fp_ieee_overflow 0
		.amdhsa_exception_fp_ieee_underflow 0
		.amdhsa_exception_fp_ieee_inexact 0
		.amdhsa_exception_int_div_zero 0
	.end_amdhsa_kernel
	.section	.text._ZN7rocprim17ROCPRIM_400000_NS6detail17trampoline_kernelINS0_14default_configENS1_25partition_config_selectorILNS1_17partition_subalgoE0EiNS0_10empty_typeEbEEZZNS1_14partition_implILS5_0ELb0ES3_jN6thrust23THRUST_200600_302600_NS6detail15normal_iteratorINSA_10device_ptrIiEEEEPS6_SG_NS0_5tupleIJSF_SF_EEENSH_IJSG_SG_EEES6_PlJ7is_evenIiEEEE10hipError_tPvRmT3_T4_T5_T6_T7_T9_mT8_P12ihipStream_tbDpT10_ENKUlT_T0_E_clISt17integral_constantIbLb1EES15_IbLb0EEEEDaS11_S12_EUlS11_E_NS1_11comp_targetILNS1_3genE10ELNS1_11target_archE1200ELNS1_3gpuE4ELNS1_3repE0EEENS1_30default_config_static_selectorELNS0_4arch9wavefront6targetE1EEEvT1_,"axG",@progbits,_ZN7rocprim17ROCPRIM_400000_NS6detail17trampoline_kernelINS0_14default_configENS1_25partition_config_selectorILNS1_17partition_subalgoE0EiNS0_10empty_typeEbEEZZNS1_14partition_implILS5_0ELb0ES3_jN6thrust23THRUST_200600_302600_NS6detail15normal_iteratorINSA_10device_ptrIiEEEEPS6_SG_NS0_5tupleIJSF_SF_EEENSH_IJSG_SG_EEES6_PlJ7is_evenIiEEEE10hipError_tPvRmT3_T4_T5_T6_T7_T9_mT8_P12ihipStream_tbDpT10_ENKUlT_T0_E_clISt17integral_constantIbLb1EES15_IbLb0EEEEDaS11_S12_EUlS11_E_NS1_11comp_targetILNS1_3genE10ELNS1_11target_archE1200ELNS1_3gpuE4ELNS1_3repE0EEENS1_30default_config_static_selectorELNS0_4arch9wavefront6targetE1EEEvT1_,comdat
.Lfunc_end342:
	.size	_ZN7rocprim17ROCPRIM_400000_NS6detail17trampoline_kernelINS0_14default_configENS1_25partition_config_selectorILNS1_17partition_subalgoE0EiNS0_10empty_typeEbEEZZNS1_14partition_implILS5_0ELb0ES3_jN6thrust23THRUST_200600_302600_NS6detail15normal_iteratorINSA_10device_ptrIiEEEEPS6_SG_NS0_5tupleIJSF_SF_EEENSH_IJSG_SG_EEES6_PlJ7is_evenIiEEEE10hipError_tPvRmT3_T4_T5_T6_T7_T9_mT8_P12ihipStream_tbDpT10_ENKUlT_T0_E_clISt17integral_constantIbLb1EES15_IbLb0EEEEDaS11_S12_EUlS11_E_NS1_11comp_targetILNS1_3genE10ELNS1_11target_archE1200ELNS1_3gpuE4ELNS1_3repE0EEENS1_30default_config_static_selectorELNS0_4arch9wavefront6targetE1EEEvT1_, .Lfunc_end342-_ZN7rocprim17ROCPRIM_400000_NS6detail17trampoline_kernelINS0_14default_configENS1_25partition_config_selectorILNS1_17partition_subalgoE0EiNS0_10empty_typeEbEEZZNS1_14partition_implILS5_0ELb0ES3_jN6thrust23THRUST_200600_302600_NS6detail15normal_iteratorINSA_10device_ptrIiEEEEPS6_SG_NS0_5tupleIJSF_SF_EEENSH_IJSG_SG_EEES6_PlJ7is_evenIiEEEE10hipError_tPvRmT3_T4_T5_T6_T7_T9_mT8_P12ihipStream_tbDpT10_ENKUlT_T0_E_clISt17integral_constantIbLb1EES15_IbLb0EEEEDaS11_S12_EUlS11_E_NS1_11comp_targetILNS1_3genE10ELNS1_11target_archE1200ELNS1_3gpuE4ELNS1_3repE0EEENS1_30default_config_static_selectorELNS0_4arch9wavefront6targetE1EEEvT1_
                                        ; -- End function
	.section	.AMDGPU.csdata,"",@progbits
; Kernel info:
; codeLenInByte = 0
; NumSgprs: 4
; NumVgprs: 0
; NumAgprs: 0
; TotalNumVgprs: 0
; ScratchSize: 0
; MemoryBound: 0
; FloatMode: 240
; IeeeMode: 1
; LDSByteSize: 0 bytes/workgroup (compile time only)
; SGPRBlocks: 0
; VGPRBlocks: 0
; NumSGPRsForWavesPerEU: 4
; NumVGPRsForWavesPerEU: 1
; AccumOffset: 4
; Occupancy: 8
; WaveLimiterHint : 0
; COMPUTE_PGM_RSRC2:SCRATCH_EN: 0
; COMPUTE_PGM_RSRC2:USER_SGPR: 6
; COMPUTE_PGM_RSRC2:TRAP_HANDLER: 0
; COMPUTE_PGM_RSRC2:TGID_X_EN: 1
; COMPUTE_PGM_RSRC2:TGID_Y_EN: 0
; COMPUTE_PGM_RSRC2:TGID_Z_EN: 0
; COMPUTE_PGM_RSRC2:TIDIG_COMP_CNT: 0
; COMPUTE_PGM_RSRC3_GFX90A:ACCUM_OFFSET: 0
; COMPUTE_PGM_RSRC3_GFX90A:TG_SPLIT: 0
	.section	.text._ZN7rocprim17ROCPRIM_400000_NS6detail17trampoline_kernelINS0_14default_configENS1_25partition_config_selectorILNS1_17partition_subalgoE0EiNS0_10empty_typeEbEEZZNS1_14partition_implILS5_0ELb0ES3_jN6thrust23THRUST_200600_302600_NS6detail15normal_iteratorINSA_10device_ptrIiEEEEPS6_SG_NS0_5tupleIJSF_SF_EEENSH_IJSG_SG_EEES6_PlJ7is_evenIiEEEE10hipError_tPvRmT3_T4_T5_T6_T7_T9_mT8_P12ihipStream_tbDpT10_ENKUlT_T0_E_clISt17integral_constantIbLb1EES15_IbLb0EEEEDaS11_S12_EUlS11_E_NS1_11comp_targetILNS1_3genE9ELNS1_11target_archE1100ELNS1_3gpuE3ELNS1_3repE0EEENS1_30default_config_static_selectorELNS0_4arch9wavefront6targetE1EEEvT1_,"axG",@progbits,_ZN7rocprim17ROCPRIM_400000_NS6detail17trampoline_kernelINS0_14default_configENS1_25partition_config_selectorILNS1_17partition_subalgoE0EiNS0_10empty_typeEbEEZZNS1_14partition_implILS5_0ELb0ES3_jN6thrust23THRUST_200600_302600_NS6detail15normal_iteratorINSA_10device_ptrIiEEEEPS6_SG_NS0_5tupleIJSF_SF_EEENSH_IJSG_SG_EEES6_PlJ7is_evenIiEEEE10hipError_tPvRmT3_T4_T5_T6_T7_T9_mT8_P12ihipStream_tbDpT10_ENKUlT_T0_E_clISt17integral_constantIbLb1EES15_IbLb0EEEEDaS11_S12_EUlS11_E_NS1_11comp_targetILNS1_3genE9ELNS1_11target_archE1100ELNS1_3gpuE3ELNS1_3repE0EEENS1_30default_config_static_selectorELNS0_4arch9wavefront6targetE1EEEvT1_,comdat
	.protected	_ZN7rocprim17ROCPRIM_400000_NS6detail17trampoline_kernelINS0_14default_configENS1_25partition_config_selectorILNS1_17partition_subalgoE0EiNS0_10empty_typeEbEEZZNS1_14partition_implILS5_0ELb0ES3_jN6thrust23THRUST_200600_302600_NS6detail15normal_iteratorINSA_10device_ptrIiEEEEPS6_SG_NS0_5tupleIJSF_SF_EEENSH_IJSG_SG_EEES6_PlJ7is_evenIiEEEE10hipError_tPvRmT3_T4_T5_T6_T7_T9_mT8_P12ihipStream_tbDpT10_ENKUlT_T0_E_clISt17integral_constantIbLb1EES15_IbLb0EEEEDaS11_S12_EUlS11_E_NS1_11comp_targetILNS1_3genE9ELNS1_11target_archE1100ELNS1_3gpuE3ELNS1_3repE0EEENS1_30default_config_static_selectorELNS0_4arch9wavefront6targetE1EEEvT1_ ; -- Begin function _ZN7rocprim17ROCPRIM_400000_NS6detail17trampoline_kernelINS0_14default_configENS1_25partition_config_selectorILNS1_17partition_subalgoE0EiNS0_10empty_typeEbEEZZNS1_14partition_implILS5_0ELb0ES3_jN6thrust23THRUST_200600_302600_NS6detail15normal_iteratorINSA_10device_ptrIiEEEEPS6_SG_NS0_5tupleIJSF_SF_EEENSH_IJSG_SG_EEES6_PlJ7is_evenIiEEEE10hipError_tPvRmT3_T4_T5_T6_T7_T9_mT8_P12ihipStream_tbDpT10_ENKUlT_T0_E_clISt17integral_constantIbLb1EES15_IbLb0EEEEDaS11_S12_EUlS11_E_NS1_11comp_targetILNS1_3genE9ELNS1_11target_archE1100ELNS1_3gpuE3ELNS1_3repE0EEENS1_30default_config_static_selectorELNS0_4arch9wavefront6targetE1EEEvT1_
	.globl	_ZN7rocprim17ROCPRIM_400000_NS6detail17trampoline_kernelINS0_14default_configENS1_25partition_config_selectorILNS1_17partition_subalgoE0EiNS0_10empty_typeEbEEZZNS1_14partition_implILS5_0ELb0ES3_jN6thrust23THRUST_200600_302600_NS6detail15normal_iteratorINSA_10device_ptrIiEEEEPS6_SG_NS0_5tupleIJSF_SF_EEENSH_IJSG_SG_EEES6_PlJ7is_evenIiEEEE10hipError_tPvRmT3_T4_T5_T6_T7_T9_mT8_P12ihipStream_tbDpT10_ENKUlT_T0_E_clISt17integral_constantIbLb1EES15_IbLb0EEEEDaS11_S12_EUlS11_E_NS1_11comp_targetILNS1_3genE9ELNS1_11target_archE1100ELNS1_3gpuE3ELNS1_3repE0EEENS1_30default_config_static_selectorELNS0_4arch9wavefront6targetE1EEEvT1_
	.p2align	8
	.type	_ZN7rocprim17ROCPRIM_400000_NS6detail17trampoline_kernelINS0_14default_configENS1_25partition_config_selectorILNS1_17partition_subalgoE0EiNS0_10empty_typeEbEEZZNS1_14partition_implILS5_0ELb0ES3_jN6thrust23THRUST_200600_302600_NS6detail15normal_iteratorINSA_10device_ptrIiEEEEPS6_SG_NS0_5tupleIJSF_SF_EEENSH_IJSG_SG_EEES6_PlJ7is_evenIiEEEE10hipError_tPvRmT3_T4_T5_T6_T7_T9_mT8_P12ihipStream_tbDpT10_ENKUlT_T0_E_clISt17integral_constantIbLb1EES15_IbLb0EEEEDaS11_S12_EUlS11_E_NS1_11comp_targetILNS1_3genE9ELNS1_11target_archE1100ELNS1_3gpuE3ELNS1_3repE0EEENS1_30default_config_static_selectorELNS0_4arch9wavefront6targetE1EEEvT1_,@function
_ZN7rocprim17ROCPRIM_400000_NS6detail17trampoline_kernelINS0_14default_configENS1_25partition_config_selectorILNS1_17partition_subalgoE0EiNS0_10empty_typeEbEEZZNS1_14partition_implILS5_0ELb0ES3_jN6thrust23THRUST_200600_302600_NS6detail15normal_iteratorINSA_10device_ptrIiEEEEPS6_SG_NS0_5tupleIJSF_SF_EEENSH_IJSG_SG_EEES6_PlJ7is_evenIiEEEE10hipError_tPvRmT3_T4_T5_T6_T7_T9_mT8_P12ihipStream_tbDpT10_ENKUlT_T0_E_clISt17integral_constantIbLb1EES15_IbLb0EEEEDaS11_S12_EUlS11_E_NS1_11comp_targetILNS1_3genE9ELNS1_11target_archE1100ELNS1_3gpuE3ELNS1_3repE0EEENS1_30default_config_static_selectorELNS0_4arch9wavefront6targetE1EEEvT1_: ; @_ZN7rocprim17ROCPRIM_400000_NS6detail17trampoline_kernelINS0_14default_configENS1_25partition_config_selectorILNS1_17partition_subalgoE0EiNS0_10empty_typeEbEEZZNS1_14partition_implILS5_0ELb0ES3_jN6thrust23THRUST_200600_302600_NS6detail15normal_iteratorINSA_10device_ptrIiEEEEPS6_SG_NS0_5tupleIJSF_SF_EEENSH_IJSG_SG_EEES6_PlJ7is_evenIiEEEE10hipError_tPvRmT3_T4_T5_T6_T7_T9_mT8_P12ihipStream_tbDpT10_ENKUlT_T0_E_clISt17integral_constantIbLb1EES15_IbLb0EEEEDaS11_S12_EUlS11_E_NS1_11comp_targetILNS1_3genE9ELNS1_11target_archE1100ELNS1_3gpuE3ELNS1_3repE0EEENS1_30default_config_static_selectorELNS0_4arch9wavefront6targetE1EEEvT1_
; %bb.0:
	.section	.rodata,"a",@progbits
	.p2align	6, 0x0
	.amdhsa_kernel _ZN7rocprim17ROCPRIM_400000_NS6detail17trampoline_kernelINS0_14default_configENS1_25partition_config_selectorILNS1_17partition_subalgoE0EiNS0_10empty_typeEbEEZZNS1_14partition_implILS5_0ELb0ES3_jN6thrust23THRUST_200600_302600_NS6detail15normal_iteratorINSA_10device_ptrIiEEEEPS6_SG_NS0_5tupleIJSF_SF_EEENSH_IJSG_SG_EEES6_PlJ7is_evenIiEEEE10hipError_tPvRmT3_T4_T5_T6_T7_T9_mT8_P12ihipStream_tbDpT10_ENKUlT_T0_E_clISt17integral_constantIbLb1EES15_IbLb0EEEEDaS11_S12_EUlS11_E_NS1_11comp_targetILNS1_3genE9ELNS1_11target_archE1100ELNS1_3gpuE3ELNS1_3repE0EEENS1_30default_config_static_selectorELNS0_4arch9wavefront6targetE1EEEvT1_
		.amdhsa_group_segment_fixed_size 0
		.amdhsa_private_segment_fixed_size 0
		.amdhsa_kernarg_size 120
		.amdhsa_user_sgpr_count 6
		.amdhsa_user_sgpr_private_segment_buffer 1
		.amdhsa_user_sgpr_dispatch_ptr 0
		.amdhsa_user_sgpr_queue_ptr 0
		.amdhsa_user_sgpr_kernarg_segment_ptr 1
		.amdhsa_user_sgpr_dispatch_id 0
		.amdhsa_user_sgpr_flat_scratch_init 0
		.amdhsa_user_sgpr_kernarg_preload_length 0
		.amdhsa_user_sgpr_kernarg_preload_offset 0
		.amdhsa_user_sgpr_private_segment_size 0
		.amdhsa_uses_dynamic_stack 0
		.amdhsa_system_sgpr_private_segment_wavefront_offset 0
		.amdhsa_system_sgpr_workgroup_id_x 1
		.amdhsa_system_sgpr_workgroup_id_y 0
		.amdhsa_system_sgpr_workgroup_id_z 0
		.amdhsa_system_sgpr_workgroup_info 0
		.amdhsa_system_vgpr_workitem_id 0
		.amdhsa_next_free_vgpr 1
		.amdhsa_next_free_sgpr 0
		.amdhsa_accum_offset 4
		.amdhsa_reserve_vcc 0
		.amdhsa_reserve_flat_scratch 0
		.amdhsa_float_round_mode_32 0
		.amdhsa_float_round_mode_16_64 0
		.amdhsa_float_denorm_mode_32 3
		.amdhsa_float_denorm_mode_16_64 3
		.amdhsa_dx10_clamp 1
		.amdhsa_ieee_mode 1
		.amdhsa_fp16_overflow 0
		.amdhsa_tg_split 0
		.amdhsa_exception_fp_ieee_invalid_op 0
		.amdhsa_exception_fp_denorm_src 0
		.amdhsa_exception_fp_ieee_div_zero 0
		.amdhsa_exception_fp_ieee_overflow 0
		.amdhsa_exception_fp_ieee_underflow 0
		.amdhsa_exception_fp_ieee_inexact 0
		.amdhsa_exception_int_div_zero 0
	.end_amdhsa_kernel
	.section	.text._ZN7rocprim17ROCPRIM_400000_NS6detail17trampoline_kernelINS0_14default_configENS1_25partition_config_selectorILNS1_17partition_subalgoE0EiNS0_10empty_typeEbEEZZNS1_14partition_implILS5_0ELb0ES3_jN6thrust23THRUST_200600_302600_NS6detail15normal_iteratorINSA_10device_ptrIiEEEEPS6_SG_NS0_5tupleIJSF_SF_EEENSH_IJSG_SG_EEES6_PlJ7is_evenIiEEEE10hipError_tPvRmT3_T4_T5_T6_T7_T9_mT8_P12ihipStream_tbDpT10_ENKUlT_T0_E_clISt17integral_constantIbLb1EES15_IbLb0EEEEDaS11_S12_EUlS11_E_NS1_11comp_targetILNS1_3genE9ELNS1_11target_archE1100ELNS1_3gpuE3ELNS1_3repE0EEENS1_30default_config_static_selectorELNS0_4arch9wavefront6targetE1EEEvT1_,"axG",@progbits,_ZN7rocprim17ROCPRIM_400000_NS6detail17trampoline_kernelINS0_14default_configENS1_25partition_config_selectorILNS1_17partition_subalgoE0EiNS0_10empty_typeEbEEZZNS1_14partition_implILS5_0ELb0ES3_jN6thrust23THRUST_200600_302600_NS6detail15normal_iteratorINSA_10device_ptrIiEEEEPS6_SG_NS0_5tupleIJSF_SF_EEENSH_IJSG_SG_EEES6_PlJ7is_evenIiEEEE10hipError_tPvRmT3_T4_T5_T6_T7_T9_mT8_P12ihipStream_tbDpT10_ENKUlT_T0_E_clISt17integral_constantIbLb1EES15_IbLb0EEEEDaS11_S12_EUlS11_E_NS1_11comp_targetILNS1_3genE9ELNS1_11target_archE1100ELNS1_3gpuE3ELNS1_3repE0EEENS1_30default_config_static_selectorELNS0_4arch9wavefront6targetE1EEEvT1_,comdat
.Lfunc_end343:
	.size	_ZN7rocprim17ROCPRIM_400000_NS6detail17trampoline_kernelINS0_14default_configENS1_25partition_config_selectorILNS1_17partition_subalgoE0EiNS0_10empty_typeEbEEZZNS1_14partition_implILS5_0ELb0ES3_jN6thrust23THRUST_200600_302600_NS6detail15normal_iteratorINSA_10device_ptrIiEEEEPS6_SG_NS0_5tupleIJSF_SF_EEENSH_IJSG_SG_EEES6_PlJ7is_evenIiEEEE10hipError_tPvRmT3_T4_T5_T6_T7_T9_mT8_P12ihipStream_tbDpT10_ENKUlT_T0_E_clISt17integral_constantIbLb1EES15_IbLb0EEEEDaS11_S12_EUlS11_E_NS1_11comp_targetILNS1_3genE9ELNS1_11target_archE1100ELNS1_3gpuE3ELNS1_3repE0EEENS1_30default_config_static_selectorELNS0_4arch9wavefront6targetE1EEEvT1_, .Lfunc_end343-_ZN7rocprim17ROCPRIM_400000_NS6detail17trampoline_kernelINS0_14default_configENS1_25partition_config_selectorILNS1_17partition_subalgoE0EiNS0_10empty_typeEbEEZZNS1_14partition_implILS5_0ELb0ES3_jN6thrust23THRUST_200600_302600_NS6detail15normal_iteratorINSA_10device_ptrIiEEEEPS6_SG_NS0_5tupleIJSF_SF_EEENSH_IJSG_SG_EEES6_PlJ7is_evenIiEEEE10hipError_tPvRmT3_T4_T5_T6_T7_T9_mT8_P12ihipStream_tbDpT10_ENKUlT_T0_E_clISt17integral_constantIbLb1EES15_IbLb0EEEEDaS11_S12_EUlS11_E_NS1_11comp_targetILNS1_3genE9ELNS1_11target_archE1100ELNS1_3gpuE3ELNS1_3repE0EEENS1_30default_config_static_selectorELNS0_4arch9wavefront6targetE1EEEvT1_
                                        ; -- End function
	.section	.AMDGPU.csdata,"",@progbits
; Kernel info:
; codeLenInByte = 0
; NumSgprs: 4
; NumVgprs: 0
; NumAgprs: 0
; TotalNumVgprs: 0
; ScratchSize: 0
; MemoryBound: 0
; FloatMode: 240
; IeeeMode: 1
; LDSByteSize: 0 bytes/workgroup (compile time only)
; SGPRBlocks: 0
; VGPRBlocks: 0
; NumSGPRsForWavesPerEU: 4
; NumVGPRsForWavesPerEU: 1
; AccumOffset: 4
; Occupancy: 8
; WaveLimiterHint : 0
; COMPUTE_PGM_RSRC2:SCRATCH_EN: 0
; COMPUTE_PGM_RSRC2:USER_SGPR: 6
; COMPUTE_PGM_RSRC2:TRAP_HANDLER: 0
; COMPUTE_PGM_RSRC2:TGID_X_EN: 1
; COMPUTE_PGM_RSRC2:TGID_Y_EN: 0
; COMPUTE_PGM_RSRC2:TGID_Z_EN: 0
; COMPUTE_PGM_RSRC2:TIDIG_COMP_CNT: 0
; COMPUTE_PGM_RSRC3_GFX90A:ACCUM_OFFSET: 0
; COMPUTE_PGM_RSRC3_GFX90A:TG_SPLIT: 0
	.section	.text._ZN7rocprim17ROCPRIM_400000_NS6detail17trampoline_kernelINS0_14default_configENS1_25partition_config_selectorILNS1_17partition_subalgoE0EiNS0_10empty_typeEbEEZZNS1_14partition_implILS5_0ELb0ES3_jN6thrust23THRUST_200600_302600_NS6detail15normal_iteratorINSA_10device_ptrIiEEEEPS6_SG_NS0_5tupleIJSF_SF_EEENSH_IJSG_SG_EEES6_PlJ7is_evenIiEEEE10hipError_tPvRmT3_T4_T5_T6_T7_T9_mT8_P12ihipStream_tbDpT10_ENKUlT_T0_E_clISt17integral_constantIbLb1EES15_IbLb0EEEEDaS11_S12_EUlS11_E_NS1_11comp_targetILNS1_3genE8ELNS1_11target_archE1030ELNS1_3gpuE2ELNS1_3repE0EEENS1_30default_config_static_selectorELNS0_4arch9wavefront6targetE1EEEvT1_,"axG",@progbits,_ZN7rocprim17ROCPRIM_400000_NS6detail17trampoline_kernelINS0_14default_configENS1_25partition_config_selectorILNS1_17partition_subalgoE0EiNS0_10empty_typeEbEEZZNS1_14partition_implILS5_0ELb0ES3_jN6thrust23THRUST_200600_302600_NS6detail15normal_iteratorINSA_10device_ptrIiEEEEPS6_SG_NS0_5tupleIJSF_SF_EEENSH_IJSG_SG_EEES6_PlJ7is_evenIiEEEE10hipError_tPvRmT3_T4_T5_T6_T7_T9_mT8_P12ihipStream_tbDpT10_ENKUlT_T0_E_clISt17integral_constantIbLb1EES15_IbLb0EEEEDaS11_S12_EUlS11_E_NS1_11comp_targetILNS1_3genE8ELNS1_11target_archE1030ELNS1_3gpuE2ELNS1_3repE0EEENS1_30default_config_static_selectorELNS0_4arch9wavefront6targetE1EEEvT1_,comdat
	.protected	_ZN7rocprim17ROCPRIM_400000_NS6detail17trampoline_kernelINS0_14default_configENS1_25partition_config_selectorILNS1_17partition_subalgoE0EiNS0_10empty_typeEbEEZZNS1_14partition_implILS5_0ELb0ES3_jN6thrust23THRUST_200600_302600_NS6detail15normal_iteratorINSA_10device_ptrIiEEEEPS6_SG_NS0_5tupleIJSF_SF_EEENSH_IJSG_SG_EEES6_PlJ7is_evenIiEEEE10hipError_tPvRmT3_T4_T5_T6_T7_T9_mT8_P12ihipStream_tbDpT10_ENKUlT_T0_E_clISt17integral_constantIbLb1EES15_IbLb0EEEEDaS11_S12_EUlS11_E_NS1_11comp_targetILNS1_3genE8ELNS1_11target_archE1030ELNS1_3gpuE2ELNS1_3repE0EEENS1_30default_config_static_selectorELNS0_4arch9wavefront6targetE1EEEvT1_ ; -- Begin function _ZN7rocprim17ROCPRIM_400000_NS6detail17trampoline_kernelINS0_14default_configENS1_25partition_config_selectorILNS1_17partition_subalgoE0EiNS0_10empty_typeEbEEZZNS1_14partition_implILS5_0ELb0ES3_jN6thrust23THRUST_200600_302600_NS6detail15normal_iteratorINSA_10device_ptrIiEEEEPS6_SG_NS0_5tupleIJSF_SF_EEENSH_IJSG_SG_EEES6_PlJ7is_evenIiEEEE10hipError_tPvRmT3_T4_T5_T6_T7_T9_mT8_P12ihipStream_tbDpT10_ENKUlT_T0_E_clISt17integral_constantIbLb1EES15_IbLb0EEEEDaS11_S12_EUlS11_E_NS1_11comp_targetILNS1_3genE8ELNS1_11target_archE1030ELNS1_3gpuE2ELNS1_3repE0EEENS1_30default_config_static_selectorELNS0_4arch9wavefront6targetE1EEEvT1_
	.globl	_ZN7rocprim17ROCPRIM_400000_NS6detail17trampoline_kernelINS0_14default_configENS1_25partition_config_selectorILNS1_17partition_subalgoE0EiNS0_10empty_typeEbEEZZNS1_14partition_implILS5_0ELb0ES3_jN6thrust23THRUST_200600_302600_NS6detail15normal_iteratorINSA_10device_ptrIiEEEEPS6_SG_NS0_5tupleIJSF_SF_EEENSH_IJSG_SG_EEES6_PlJ7is_evenIiEEEE10hipError_tPvRmT3_T4_T5_T6_T7_T9_mT8_P12ihipStream_tbDpT10_ENKUlT_T0_E_clISt17integral_constantIbLb1EES15_IbLb0EEEEDaS11_S12_EUlS11_E_NS1_11comp_targetILNS1_3genE8ELNS1_11target_archE1030ELNS1_3gpuE2ELNS1_3repE0EEENS1_30default_config_static_selectorELNS0_4arch9wavefront6targetE1EEEvT1_
	.p2align	8
	.type	_ZN7rocprim17ROCPRIM_400000_NS6detail17trampoline_kernelINS0_14default_configENS1_25partition_config_selectorILNS1_17partition_subalgoE0EiNS0_10empty_typeEbEEZZNS1_14partition_implILS5_0ELb0ES3_jN6thrust23THRUST_200600_302600_NS6detail15normal_iteratorINSA_10device_ptrIiEEEEPS6_SG_NS0_5tupleIJSF_SF_EEENSH_IJSG_SG_EEES6_PlJ7is_evenIiEEEE10hipError_tPvRmT3_T4_T5_T6_T7_T9_mT8_P12ihipStream_tbDpT10_ENKUlT_T0_E_clISt17integral_constantIbLb1EES15_IbLb0EEEEDaS11_S12_EUlS11_E_NS1_11comp_targetILNS1_3genE8ELNS1_11target_archE1030ELNS1_3gpuE2ELNS1_3repE0EEENS1_30default_config_static_selectorELNS0_4arch9wavefront6targetE1EEEvT1_,@function
_ZN7rocprim17ROCPRIM_400000_NS6detail17trampoline_kernelINS0_14default_configENS1_25partition_config_selectorILNS1_17partition_subalgoE0EiNS0_10empty_typeEbEEZZNS1_14partition_implILS5_0ELb0ES3_jN6thrust23THRUST_200600_302600_NS6detail15normal_iteratorINSA_10device_ptrIiEEEEPS6_SG_NS0_5tupleIJSF_SF_EEENSH_IJSG_SG_EEES6_PlJ7is_evenIiEEEE10hipError_tPvRmT3_T4_T5_T6_T7_T9_mT8_P12ihipStream_tbDpT10_ENKUlT_T0_E_clISt17integral_constantIbLb1EES15_IbLb0EEEEDaS11_S12_EUlS11_E_NS1_11comp_targetILNS1_3genE8ELNS1_11target_archE1030ELNS1_3gpuE2ELNS1_3repE0EEENS1_30default_config_static_selectorELNS0_4arch9wavefront6targetE1EEEvT1_: ; @_ZN7rocprim17ROCPRIM_400000_NS6detail17trampoline_kernelINS0_14default_configENS1_25partition_config_selectorILNS1_17partition_subalgoE0EiNS0_10empty_typeEbEEZZNS1_14partition_implILS5_0ELb0ES3_jN6thrust23THRUST_200600_302600_NS6detail15normal_iteratorINSA_10device_ptrIiEEEEPS6_SG_NS0_5tupleIJSF_SF_EEENSH_IJSG_SG_EEES6_PlJ7is_evenIiEEEE10hipError_tPvRmT3_T4_T5_T6_T7_T9_mT8_P12ihipStream_tbDpT10_ENKUlT_T0_E_clISt17integral_constantIbLb1EES15_IbLb0EEEEDaS11_S12_EUlS11_E_NS1_11comp_targetILNS1_3genE8ELNS1_11target_archE1030ELNS1_3gpuE2ELNS1_3repE0EEENS1_30default_config_static_selectorELNS0_4arch9wavefront6targetE1EEEvT1_
; %bb.0:
	.section	.rodata,"a",@progbits
	.p2align	6, 0x0
	.amdhsa_kernel _ZN7rocprim17ROCPRIM_400000_NS6detail17trampoline_kernelINS0_14default_configENS1_25partition_config_selectorILNS1_17partition_subalgoE0EiNS0_10empty_typeEbEEZZNS1_14partition_implILS5_0ELb0ES3_jN6thrust23THRUST_200600_302600_NS6detail15normal_iteratorINSA_10device_ptrIiEEEEPS6_SG_NS0_5tupleIJSF_SF_EEENSH_IJSG_SG_EEES6_PlJ7is_evenIiEEEE10hipError_tPvRmT3_T4_T5_T6_T7_T9_mT8_P12ihipStream_tbDpT10_ENKUlT_T0_E_clISt17integral_constantIbLb1EES15_IbLb0EEEEDaS11_S12_EUlS11_E_NS1_11comp_targetILNS1_3genE8ELNS1_11target_archE1030ELNS1_3gpuE2ELNS1_3repE0EEENS1_30default_config_static_selectorELNS0_4arch9wavefront6targetE1EEEvT1_
		.amdhsa_group_segment_fixed_size 0
		.amdhsa_private_segment_fixed_size 0
		.amdhsa_kernarg_size 120
		.amdhsa_user_sgpr_count 6
		.amdhsa_user_sgpr_private_segment_buffer 1
		.amdhsa_user_sgpr_dispatch_ptr 0
		.amdhsa_user_sgpr_queue_ptr 0
		.amdhsa_user_sgpr_kernarg_segment_ptr 1
		.amdhsa_user_sgpr_dispatch_id 0
		.amdhsa_user_sgpr_flat_scratch_init 0
		.amdhsa_user_sgpr_kernarg_preload_length 0
		.amdhsa_user_sgpr_kernarg_preload_offset 0
		.amdhsa_user_sgpr_private_segment_size 0
		.amdhsa_uses_dynamic_stack 0
		.amdhsa_system_sgpr_private_segment_wavefront_offset 0
		.amdhsa_system_sgpr_workgroup_id_x 1
		.amdhsa_system_sgpr_workgroup_id_y 0
		.amdhsa_system_sgpr_workgroup_id_z 0
		.amdhsa_system_sgpr_workgroup_info 0
		.amdhsa_system_vgpr_workitem_id 0
		.amdhsa_next_free_vgpr 1
		.amdhsa_next_free_sgpr 0
		.amdhsa_accum_offset 4
		.amdhsa_reserve_vcc 0
		.amdhsa_reserve_flat_scratch 0
		.amdhsa_float_round_mode_32 0
		.amdhsa_float_round_mode_16_64 0
		.amdhsa_float_denorm_mode_32 3
		.amdhsa_float_denorm_mode_16_64 3
		.amdhsa_dx10_clamp 1
		.amdhsa_ieee_mode 1
		.amdhsa_fp16_overflow 0
		.amdhsa_tg_split 0
		.amdhsa_exception_fp_ieee_invalid_op 0
		.amdhsa_exception_fp_denorm_src 0
		.amdhsa_exception_fp_ieee_div_zero 0
		.amdhsa_exception_fp_ieee_overflow 0
		.amdhsa_exception_fp_ieee_underflow 0
		.amdhsa_exception_fp_ieee_inexact 0
		.amdhsa_exception_int_div_zero 0
	.end_amdhsa_kernel
	.section	.text._ZN7rocprim17ROCPRIM_400000_NS6detail17trampoline_kernelINS0_14default_configENS1_25partition_config_selectorILNS1_17partition_subalgoE0EiNS0_10empty_typeEbEEZZNS1_14partition_implILS5_0ELb0ES3_jN6thrust23THRUST_200600_302600_NS6detail15normal_iteratorINSA_10device_ptrIiEEEEPS6_SG_NS0_5tupleIJSF_SF_EEENSH_IJSG_SG_EEES6_PlJ7is_evenIiEEEE10hipError_tPvRmT3_T4_T5_T6_T7_T9_mT8_P12ihipStream_tbDpT10_ENKUlT_T0_E_clISt17integral_constantIbLb1EES15_IbLb0EEEEDaS11_S12_EUlS11_E_NS1_11comp_targetILNS1_3genE8ELNS1_11target_archE1030ELNS1_3gpuE2ELNS1_3repE0EEENS1_30default_config_static_selectorELNS0_4arch9wavefront6targetE1EEEvT1_,"axG",@progbits,_ZN7rocprim17ROCPRIM_400000_NS6detail17trampoline_kernelINS0_14default_configENS1_25partition_config_selectorILNS1_17partition_subalgoE0EiNS0_10empty_typeEbEEZZNS1_14partition_implILS5_0ELb0ES3_jN6thrust23THRUST_200600_302600_NS6detail15normal_iteratorINSA_10device_ptrIiEEEEPS6_SG_NS0_5tupleIJSF_SF_EEENSH_IJSG_SG_EEES6_PlJ7is_evenIiEEEE10hipError_tPvRmT3_T4_T5_T6_T7_T9_mT8_P12ihipStream_tbDpT10_ENKUlT_T0_E_clISt17integral_constantIbLb1EES15_IbLb0EEEEDaS11_S12_EUlS11_E_NS1_11comp_targetILNS1_3genE8ELNS1_11target_archE1030ELNS1_3gpuE2ELNS1_3repE0EEENS1_30default_config_static_selectorELNS0_4arch9wavefront6targetE1EEEvT1_,comdat
.Lfunc_end344:
	.size	_ZN7rocprim17ROCPRIM_400000_NS6detail17trampoline_kernelINS0_14default_configENS1_25partition_config_selectorILNS1_17partition_subalgoE0EiNS0_10empty_typeEbEEZZNS1_14partition_implILS5_0ELb0ES3_jN6thrust23THRUST_200600_302600_NS6detail15normal_iteratorINSA_10device_ptrIiEEEEPS6_SG_NS0_5tupleIJSF_SF_EEENSH_IJSG_SG_EEES6_PlJ7is_evenIiEEEE10hipError_tPvRmT3_T4_T5_T6_T7_T9_mT8_P12ihipStream_tbDpT10_ENKUlT_T0_E_clISt17integral_constantIbLb1EES15_IbLb0EEEEDaS11_S12_EUlS11_E_NS1_11comp_targetILNS1_3genE8ELNS1_11target_archE1030ELNS1_3gpuE2ELNS1_3repE0EEENS1_30default_config_static_selectorELNS0_4arch9wavefront6targetE1EEEvT1_, .Lfunc_end344-_ZN7rocprim17ROCPRIM_400000_NS6detail17trampoline_kernelINS0_14default_configENS1_25partition_config_selectorILNS1_17partition_subalgoE0EiNS0_10empty_typeEbEEZZNS1_14partition_implILS5_0ELb0ES3_jN6thrust23THRUST_200600_302600_NS6detail15normal_iteratorINSA_10device_ptrIiEEEEPS6_SG_NS0_5tupleIJSF_SF_EEENSH_IJSG_SG_EEES6_PlJ7is_evenIiEEEE10hipError_tPvRmT3_T4_T5_T6_T7_T9_mT8_P12ihipStream_tbDpT10_ENKUlT_T0_E_clISt17integral_constantIbLb1EES15_IbLb0EEEEDaS11_S12_EUlS11_E_NS1_11comp_targetILNS1_3genE8ELNS1_11target_archE1030ELNS1_3gpuE2ELNS1_3repE0EEENS1_30default_config_static_selectorELNS0_4arch9wavefront6targetE1EEEvT1_
                                        ; -- End function
	.section	.AMDGPU.csdata,"",@progbits
; Kernel info:
; codeLenInByte = 0
; NumSgprs: 4
; NumVgprs: 0
; NumAgprs: 0
; TotalNumVgprs: 0
; ScratchSize: 0
; MemoryBound: 0
; FloatMode: 240
; IeeeMode: 1
; LDSByteSize: 0 bytes/workgroup (compile time only)
; SGPRBlocks: 0
; VGPRBlocks: 0
; NumSGPRsForWavesPerEU: 4
; NumVGPRsForWavesPerEU: 1
; AccumOffset: 4
; Occupancy: 8
; WaveLimiterHint : 0
; COMPUTE_PGM_RSRC2:SCRATCH_EN: 0
; COMPUTE_PGM_RSRC2:USER_SGPR: 6
; COMPUTE_PGM_RSRC2:TRAP_HANDLER: 0
; COMPUTE_PGM_RSRC2:TGID_X_EN: 1
; COMPUTE_PGM_RSRC2:TGID_Y_EN: 0
; COMPUTE_PGM_RSRC2:TGID_Z_EN: 0
; COMPUTE_PGM_RSRC2:TIDIG_COMP_CNT: 0
; COMPUTE_PGM_RSRC3_GFX90A:ACCUM_OFFSET: 0
; COMPUTE_PGM_RSRC3_GFX90A:TG_SPLIT: 0
	.section	.text._ZN7rocprim17ROCPRIM_400000_NS6detail17trampoline_kernelINS0_14default_configENS1_25partition_config_selectorILNS1_17partition_subalgoE0EiNS0_10empty_typeEbEEZZNS1_14partition_implILS5_0ELb0ES3_jN6thrust23THRUST_200600_302600_NS6detail15normal_iteratorINSA_10device_ptrIiEEEEPS6_SG_NS0_5tupleIJSF_SF_EEENSH_IJSG_SG_EEES6_PlJ7is_evenIiEEEE10hipError_tPvRmT3_T4_T5_T6_T7_T9_mT8_P12ihipStream_tbDpT10_ENKUlT_T0_E_clISt17integral_constantIbLb0EES15_IbLb1EEEEDaS11_S12_EUlS11_E_NS1_11comp_targetILNS1_3genE0ELNS1_11target_archE4294967295ELNS1_3gpuE0ELNS1_3repE0EEENS1_30default_config_static_selectorELNS0_4arch9wavefront6targetE1EEEvT1_,"axG",@progbits,_ZN7rocprim17ROCPRIM_400000_NS6detail17trampoline_kernelINS0_14default_configENS1_25partition_config_selectorILNS1_17partition_subalgoE0EiNS0_10empty_typeEbEEZZNS1_14partition_implILS5_0ELb0ES3_jN6thrust23THRUST_200600_302600_NS6detail15normal_iteratorINSA_10device_ptrIiEEEEPS6_SG_NS0_5tupleIJSF_SF_EEENSH_IJSG_SG_EEES6_PlJ7is_evenIiEEEE10hipError_tPvRmT3_T4_T5_T6_T7_T9_mT8_P12ihipStream_tbDpT10_ENKUlT_T0_E_clISt17integral_constantIbLb0EES15_IbLb1EEEEDaS11_S12_EUlS11_E_NS1_11comp_targetILNS1_3genE0ELNS1_11target_archE4294967295ELNS1_3gpuE0ELNS1_3repE0EEENS1_30default_config_static_selectorELNS0_4arch9wavefront6targetE1EEEvT1_,comdat
	.protected	_ZN7rocprim17ROCPRIM_400000_NS6detail17trampoline_kernelINS0_14default_configENS1_25partition_config_selectorILNS1_17partition_subalgoE0EiNS0_10empty_typeEbEEZZNS1_14partition_implILS5_0ELb0ES3_jN6thrust23THRUST_200600_302600_NS6detail15normal_iteratorINSA_10device_ptrIiEEEEPS6_SG_NS0_5tupleIJSF_SF_EEENSH_IJSG_SG_EEES6_PlJ7is_evenIiEEEE10hipError_tPvRmT3_T4_T5_T6_T7_T9_mT8_P12ihipStream_tbDpT10_ENKUlT_T0_E_clISt17integral_constantIbLb0EES15_IbLb1EEEEDaS11_S12_EUlS11_E_NS1_11comp_targetILNS1_3genE0ELNS1_11target_archE4294967295ELNS1_3gpuE0ELNS1_3repE0EEENS1_30default_config_static_selectorELNS0_4arch9wavefront6targetE1EEEvT1_ ; -- Begin function _ZN7rocprim17ROCPRIM_400000_NS6detail17trampoline_kernelINS0_14default_configENS1_25partition_config_selectorILNS1_17partition_subalgoE0EiNS0_10empty_typeEbEEZZNS1_14partition_implILS5_0ELb0ES3_jN6thrust23THRUST_200600_302600_NS6detail15normal_iteratorINSA_10device_ptrIiEEEEPS6_SG_NS0_5tupleIJSF_SF_EEENSH_IJSG_SG_EEES6_PlJ7is_evenIiEEEE10hipError_tPvRmT3_T4_T5_T6_T7_T9_mT8_P12ihipStream_tbDpT10_ENKUlT_T0_E_clISt17integral_constantIbLb0EES15_IbLb1EEEEDaS11_S12_EUlS11_E_NS1_11comp_targetILNS1_3genE0ELNS1_11target_archE4294967295ELNS1_3gpuE0ELNS1_3repE0EEENS1_30default_config_static_selectorELNS0_4arch9wavefront6targetE1EEEvT1_
	.globl	_ZN7rocprim17ROCPRIM_400000_NS6detail17trampoline_kernelINS0_14default_configENS1_25partition_config_selectorILNS1_17partition_subalgoE0EiNS0_10empty_typeEbEEZZNS1_14partition_implILS5_0ELb0ES3_jN6thrust23THRUST_200600_302600_NS6detail15normal_iteratorINSA_10device_ptrIiEEEEPS6_SG_NS0_5tupleIJSF_SF_EEENSH_IJSG_SG_EEES6_PlJ7is_evenIiEEEE10hipError_tPvRmT3_T4_T5_T6_T7_T9_mT8_P12ihipStream_tbDpT10_ENKUlT_T0_E_clISt17integral_constantIbLb0EES15_IbLb1EEEEDaS11_S12_EUlS11_E_NS1_11comp_targetILNS1_3genE0ELNS1_11target_archE4294967295ELNS1_3gpuE0ELNS1_3repE0EEENS1_30default_config_static_selectorELNS0_4arch9wavefront6targetE1EEEvT1_
	.p2align	8
	.type	_ZN7rocprim17ROCPRIM_400000_NS6detail17trampoline_kernelINS0_14default_configENS1_25partition_config_selectorILNS1_17partition_subalgoE0EiNS0_10empty_typeEbEEZZNS1_14partition_implILS5_0ELb0ES3_jN6thrust23THRUST_200600_302600_NS6detail15normal_iteratorINSA_10device_ptrIiEEEEPS6_SG_NS0_5tupleIJSF_SF_EEENSH_IJSG_SG_EEES6_PlJ7is_evenIiEEEE10hipError_tPvRmT3_T4_T5_T6_T7_T9_mT8_P12ihipStream_tbDpT10_ENKUlT_T0_E_clISt17integral_constantIbLb0EES15_IbLb1EEEEDaS11_S12_EUlS11_E_NS1_11comp_targetILNS1_3genE0ELNS1_11target_archE4294967295ELNS1_3gpuE0ELNS1_3repE0EEENS1_30default_config_static_selectorELNS0_4arch9wavefront6targetE1EEEvT1_,@function
_ZN7rocprim17ROCPRIM_400000_NS6detail17trampoline_kernelINS0_14default_configENS1_25partition_config_selectorILNS1_17partition_subalgoE0EiNS0_10empty_typeEbEEZZNS1_14partition_implILS5_0ELb0ES3_jN6thrust23THRUST_200600_302600_NS6detail15normal_iteratorINSA_10device_ptrIiEEEEPS6_SG_NS0_5tupleIJSF_SF_EEENSH_IJSG_SG_EEES6_PlJ7is_evenIiEEEE10hipError_tPvRmT3_T4_T5_T6_T7_T9_mT8_P12ihipStream_tbDpT10_ENKUlT_T0_E_clISt17integral_constantIbLb0EES15_IbLb1EEEEDaS11_S12_EUlS11_E_NS1_11comp_targetILNS1_3genE0ELNS1_11target_archE4294967295ELNS1_3gpuE0ELNS1_3repE0EEENS1_30default_config_static_selectorELNS0_4arch9wavefront6targetE1EEEvT1_: ; @_ZN7rocprim17ROCPRIM_400000_NS6detail17trampoline_kernelINS0_14default_configENS1_25partition_config_selectorILNS1_17partition_subalgoE0EiNS0_10empty_typeEbEEZZNS1_14partition_implILS5_0ELb0ES3_jN6thrust23THRUST_200600_302600_NS6detail15normal_iteratorINSA_10device_ptrIiEEEEPS6_SG_NS0_5tupleIJSF_SF_EEENSH_IJSG_SG_EEES6_PlJ7is_evenIiEEEE10hipError_tPvRmT3_T4_T5_T6_T7_T9_mT8_P12ihipStream_tbDpT10_ENKUlT_T0_E_clISt17integral_constantIbLb0EES15_IbLb1EEEEDaS11_S12_EUlS11_E_NS1_11comp_targetILNS1_3genE0ELNS1_11target_archE4294967295ELNS1_3gpuE0ELNS1_3repE0EEENS1_30default_config_static_selectorELNS0_4arch9wavefront6targetE1EEEvT1_
; %bb.0:
	.section	.rodata,"a",@progbits
	.p2align	6, 0x0
	.amdhsa_kernel _ZN7rocprim17ROCPRIM_400000_NS6detail17trampoline_kernelINS0_14default_configENS1_25partition_config_selectorILNS1_17partition_subalgoE0EiNS0_10empty_typeEbEEZZNS1_14partition_implILS5_0ELb0ES3_jN6thrust23THRUST_200600_302600_NS6detail15normal_iteratorINSA_10device_ptrIiEEEEPS6_SG_NS0_5tupleIJSF_SF_EEENSH_IJSG_SG_EEES6_PlJ7is_evenIiEEEE10hipError_tPvRmT3_T4_T5_T6_T7_T9_mT8_P12ihipStream_tbDpT10_ENKUlT_T0_E_clISt17integral_constantIbLb0EES15_IbLb1EEEEDaS11_S12_EUlS11_E_NS1_11comp_targetILNS1_3genE0ELNS1_11target_archE4294967295ELNS1_3gpuE0ELNS1_3repE0EEENS1_30default_config_static_selectorELNS0_4arch9wavefront6targetE1EEEvT1_
		.amdhsa_group_segment_fixed_size 0
		.amdhsa_private_segment_fixed_size 0
		.amdhsa_kernarg_size 136
		.amdhsa_user_sgpr_count 6
		.amdhsa_user_sgpr_private_segment_buffer 1
		.amdhsa_user_sgpr_dispatch_ptr 0
		.amdhsa_user_sgpr_queue_ptr 0
		.amdhsa_user_sgpr_kernarg_segment_ptr 1
		.amdhsa_user_sgpr_dispatch_id 0
		.amdhsa_user_sgpr_flat_scratch_init 0
		.amdhsa_user_sgpr_kernarg_preload_length 0
		.amdhsa_user_sgpr_kernarg_preload_offset 0
		.amdhsa_user_sgpr_private_segment_size 0
		.amdhsa_uses_dynamic_stack 0
		.amdhsa_system_sgpr_private_segment_wavefront_offset 0
		.amdhsa_system_sgpr_workgroup_id_x 1
		.amdhsa_system_sgpr_workgroup_id_y 0
		.amdhsa_system_sgpr_workgroup_id_z 0
		.amdhsa_system_sgpr_workgroup_info 0
		.amdhsa_system_vgpr_workitem_id 0
		.amdhsa_next_free_vgpr 1
		.amdhsa_next_free_sgpr 0
		.amdhsa_accum_offset 4
		.amdhsa_reserve_vcc 0
		.amdhsa_reserve_flat_scratch 0
		.amdhsa_float_round_mode_32 0
		.amdhsa_float_round_mode_16_64 0
		.amdhsa_float_denorm_mode_32 3
		.amdhsa_float_denorm_mode_16_64 3
		.amdhsa_dx10_clamp 1
		.amdhsa_ieee_mode 1
		.amdhsa_fp16_overflow 0
		.amdhsa_tg_split 0
		.amdhsa_exception_fp_ieee_invalid_op 0
		.amdhsa_exception_fp_denorm_src 0
		.amdhsa_exception_fp_ieee_div_zero 0
		.amdhsa_exception_fp_ieee_overflow 0
		.amdhsa_exception_fp_ieee_underflow 0
		.amdhsa_exception_fp_ieee_inexact 0
		.amdhsa_exception_int_div_zero 0
	.end_amdhsa_kernel
	.section	.text._ZN7rocprim17ROCPRIM_400000_NS6detail17trampoline_kernelINS0_14default_configENS1_25partition_config_selectorILNS1_17partition_subalgoE0EiNS0_10empty_typeEbEEZZNS1_14partition_implILS5_0ELb0ES3_jN6thrust23THRUST_200600_302600_NS6detail15normal_iteratorINSA_10device_ptrIiEEEEPS6_SG_NS0_5tupleIJSF_SF_EEENSH_IJSG_SG_EEES6_PlJ7is_evenIiEEEE10hipError_tPvRmT3_T4_T5_T6_T7_T9_mT8_P12ihipStream_tbDpT10_ENKUlT_T0_E_clISt17integral_constantIbLb0EES15_IbLb1EEEEDaS11_S12_EUlS11_E_NS1_11comp_targetILNS1_3genE0ELNS1_11target_archE4294967295ELNS1_3gpuE0ELNS1_3repE0EEENS1_30default_config_static_selectorELNS0_4arch9wavefront6targetE1EEEvT1_,"axG",@progbits,_ZN7rocprim17ROCPRIM_400000_NS6detail17trampoline_kernelINS0_14default_configENS1_25partition_config_selectorILNS1_17partition_subalgoE0EiNS0_10empty_typeEbEEZZNS1_14partition_implILS5_0ELb0ES3_jN6thrust23THRUST_200600_302600_NS6detail15normal_iteratorINSA_10device_ptrIiEEEEPS6_SG_NS0_5tupleIJSF_SF_EEENSH_IJSG_SG_EEES6_PlJ7is_evenIiEEEE10hipError_tPvRmT3_T4_T5_T6_T7_T9_mT8_P12ihipStream_tbDpT10_ENKUlT_T0_E_clISt17integral_constantIbLb0EES15_IbLb1EEEEDaS11_S12_EUlS11_E_NS1_11comp_targetILNS1_3genE0ELNS1_11target_archE4294967295ELNS1_3gpuE0ELNS1_3repE0EEENS1_30default_config_static_selectorELNS0_4arch9wavefront6targetE1EEEvT1_,comdat
.Lfunc_end345:
	.size	_ZN7rocprim17ROCPRIM_400000_NS6detail17trampoline_kernelINS0_14default_configENS1_25partition_config_selectorILNS1_17partition_subalgoE0EiNS0_10empty_typeEbEEZZNS1_14partition_implILS5_0ELb0ES3_jN6thrust23THRUST_200600_302600_NS6detail15normal_iteratorINSA_10device_ptrIiEEEEPS6_SG_NS0_5tupleIJSF_SF_EEENSH_IJSG_SG_EEES6_PlJ7is_evenIiEEEE10hipError_tPvRmT3_T4_T5_T6_T7_T9_mT8_P12ihipStream_tbDpT10_ENKUlT_T0_E_clISt17integral_constantIbLb0EES15_IbLb1EEEEDaS11_S12_EUlS11_E_NS1_11comp_targetILNS1_3genE0ELNS1_11target_archE4294967295ELNS1_3gpuE0ELNS1_3repE0EEENS1_30default_config_static_selectorELNS0_4arch9wavefront6targetE1EEEvT1_, .Lfunc_end345-_ZN7rocprim17ROCPRIM_400000_NS6detail17trampoline_kernelINS0_14default_configENS1_25partition_config_selectorILNS1_17partition_subalgoE0EiNS0_10empty_typeEbEEZZNS1_14partition_implILS5_0ELb0ES3_jN6thrust23THRUST_200600_302600_NS6detail15normal_iteratorINSA_10device_ptrIiEEEEPS6_SG_NS0_5tupleIJSF_SF_EEENSH_IJSG_SG_EEES6_PlJ7is_evenIiEEEE10hipError_tPvRmT3_T4_T5_T6_T7_T9_mT8_P12ihipStream_tbDpT10_ENKUlT_T0_E_clISt17integral_constantIbLb0EES15_IbLb1EEEEDaS11_S12_EUlS11_E_NS1_11comp_targetILNS1_3genE0ELNS1_11target_archE4294967295ELNS1_3gpuE0ELNS1_3repE0EEENS1_30default_config_static_selectorELNS0_4arch9wavefront6targetE1EEEvT1_
                                        ; -- End function
	.section	.AMDGPU.csdata,"",@progbits
; Kernel info:
; codeLenInByte = 0
; NumSgprs: 4
; NumVgprs: 0
; NumAgprs: 0
; TotalNumVgprs: 0
; ScratchSize: 0
; MemoryBound: 0
; FloatMode: 240
; IeeeMode: 1
; LDSByteSize: 0 bytes/workgroup (compile time only)
; SGPRBlocks: 0
; VGPRBlocks: 0
; NumSGPRsForWavesPerEU: 4
; NumVGPRsForWavesPerEU: 1
; AccumOffset: 4
; Occupancy: 8
; WaveLimiterHint : 0
; COMPUTE_PGM_RSRC2:SCRATCH_EN: 0
; COMPUTE_PGM_RSRC2:USER_SGPR: 6
; COMPUTE_PGM_RSRC2:TRAP_HANDLER: 0
; COMPUTE_PGM_RSRC2:TGID_X_EN: 1
; COMPUTE_PGM_RSRC2:TGID_Y_EN: 0
; COMPUTE_PGM_RSRC2:TGID_Z_EN: 0
; COMPUTE_PGM_RSRC2:TIDIG_COMP_CNT: 0
; COMPUTE_PGM_RSRC3_GFX90A:ACCUM_OFFSET: 0
; COMPUTE_PGM_RSRC3_GFX90A:TG_SPLIT: 0
	.section	.text._ZN7rocprim17ROCPRIM_400000_NS6detail17trampoline_kernelINS0_14default_configENS1_25partition_config_selectorILNS1_17partition_subalgoE0EiNS0_10empty_typeEbEEZZNS1_14partition_implILS5_0ELb0ES3_jN6thrust23THRUST_200600_302600_NS6detail15normal_iteratorINSA_10device_ptrIiEEEEPS6_SG_NS0_5tupleIJSF_SF_EEENSH_IJSG_SG_EEES6_PlJ7is_evenIiEEEE10hipError_tPvRmT3_T4_T5_T6_T7_T9_mT8_P12ihipStream_tbDpT10_ENKUlT_T0_E_clISt17integral_constantIbLb0EES15_IbLb1EEEEDaS11_S12_EUlS11_E_NS1_11comp_targetILNS1_3genE5ELNS1_11target_archE942ELNS1_3gpuE9ELNS1_3repE0EEENS1_30default_config_static_selectorELNS0_4arch9wavefront6targetE1EEEvT1_,"axG",@progbits,_ZN7rocprim17ROCPRIM_400000_NS6detail17trampoline_kernelINS0_14default_configENS1_25partition_config_selectorILNS1_17partition_subalgoE0EiNS0_10empty_typeEbEEZZNS1_14partition_implILS5_0ELb0ES3_jN6thrust23THRUST_200600_302600_NS6detail15normal_iteratorINSA_10device_ptrIiEEEEPS6_SG_NS0_5tupleIJSF_SF_EEENSH_IJSG_SG_EEES6_PlJ7is_evenIiEEEE10hipError_tPvRmT3_T4_T5_T6_T7_T9_mT8_P12ihipStream_tbDpT10_ENKUlT_T0_E_clISt17integral_constantIbLb0EES15_IbLb1EEEEDaS11_S12_EUlS11_E_NS1_11comp_targetILNS1_3genE5ELNS1_11target_archE942ELNS1_3gpuE9ELNS1_3repE0EEENS1_30default_config_static_selectorELNS0_4arch9wavefront6targetE1EEEvT1_,comdat
	.protected	_ZN7rocprim17ROCPRIM_400000_NS6detail17trampoline_kernelINS0_14default_configENS1_25partition_config_selectorILNS1_17partition_subalgoE0EiNS0_10empty_typeEbEEZZNS1_14partition_implILS5_0ELb0ES3_jN6thrust23THRUST_200600_302600_NS6detail15normal_iteratorINSA_10device_ptrIiEEEEPS6_SG_NS0_5tupleIJSF_SF_EEENSH_IJSG_SG_EEES6_PlJ7is_evenIiEEEE10hipError_tPvRmT3_T4_T5_T6_T7_T9_mT8_P12ihipStream_tbDpT10_ENKUlT_T0_E_clISt17integral_constantIbLb0EES15_IbLb1EEEEDaS11_S12_EUlS11_E_NS1_11comp_targetILNS1_3genE5ELNS1_11target_archE942ELNS1_3gpuE9ELNS1_3repE0EEENS1_30default_config_static_selectorELNS0_4arch9wavefront6targetE1EEEvT1_ ; -- Begin function _ZN7rocprim17ROCPRIM_400000_NS6detail17trampoline_kernelINS0_14default_configENS1_25partition_config_selectorILNS1_17partition_subalgoE0EiNS0_10empty_typeEbEEZZNS1_14partition_implILS5_0ELb0ES3_jN6thrust23THRUST_200600_302600_NS6detail15normal_iteratorINSA_10device_ptrIiEEEEPS6_SG_NS0_5tupleIJSF_SF_EEENSH_IJSG_SG_EEES6_PlJ7is_evenIiEEEE10hipError_tPvRmT3_T4_T5_T6_T7_T9_mT8_P12ihipStream_tbDpT10_ENKUlT_T0_E_clISt17integral_constantIbLb0EES15_IbLb1EEEEDaS11_S12_EUlS11_E_NS1_11comp_targetILNS1_3genE5ELNS1_11target_archE942ELNS1_3gpuE9ELNS1_3repE0EEENS1_30default_config_static_selectorELNS0_4arch9wavefront6targetE1EEEvT1_
	.globl	_ZN7rocprim17ROCPRIM_400000_NS6detail17trampoline_kernelINS0_14default_configENS1_25partition_config_selectorILNS1_17partition_subalgoE0EiNS0_10empty_typeEbEEZZNS1_14partition_implILS5_0ELb0ES3_jN6thrust23THRUST_200600_302600_NS6detail15normal_iteratorINSA_10device_ptrIiEEEEPS6_SG_NS0_5tupleIJSF_SF_EEENSH_IJSG_SG_EEES6_PlJ7is_evenIiEEEE10hipError_tPvRmT3_T4_T5_T6_T7_T9_mT8_P12ihipStream_tbDpT10_ENKUlT_T0_E_clISt17integral_constantIbLb0EES15_IbLb1EEEEDaS11_S12_EUlS11_E_NS1_11comp_targetILNS1_3genE5ELNS1_11target_archE942ELNS1_3gpuE9ELNS1_3repE0EEENS1_30default_config_static_selectorELNS0_4arch9wavefront6targetE1EEEvT1_
	.p2align	8
	.type	_ZN7rocprim17ROCPRIM_400000_NS6detail17trampoline_kernelINS0_14default_configENS1_25partition_config_selectorILNS1_17partition_subalgoE0EiNS0_10empty_typeEbEEZZNS1_14partition_implILS5_0ELb0ES3_jN6thrust23THRUST_200600_302600_NS6detail15normal_iteratorINSA_10device_ptrIiEEEEPS6_SG_NS0_5tupleIJSF_SF_EEENSH_IJSG_SG_EEES6_PlJ7is_evenIiEEEE10hipError_tPvRmT3_T4_T5_T6_T7_T9_mT8_P12ihipStream_tbDpT10_ENKUlT_T0_E_clISt17integral_constantIbLb0EES15_IbLb1EEEEDaS11_S12_EUlS11_E_NS1_11comp_targetILNS1_3genE5ELNS1_11target_archE942ELNS1_3gpuE9ELNS1_3repE0EEENS1_30default_config_static_selectorELNS0_4arch9wavefront6targetE1EEEvT1_,@function
_ZN7rocprim17ROCPRIM_400000_NS6detail17trampoline_kernelINS0_14default_configENS1_25partition_config_selectorILNS1_17partition_subalgoE0EiNS0_10empty_typeEbEEZZNS1_14partition_implILS5_0ELb0ES3_jN6thrust23THRUST_200600_302600_NS6detail15normal_iteratorINSA_10device_ptrIiEEEEPS6_SG_NS0_5tupleIJSF_SF_EEENSH_IJSG_SG_EEES6_PlJ7is_evenIiEEEE10hipError_tPvRmT3_T4_T5_T6_T7_T9_mT8_P12ihipStream_tbDpT10_ENKUlT_T0_E_clISt17integral_constantIbLb0EES15_IbLb1EEEEDaS11_S12_EUlS11_E_NS1_11comp_targetILNS1_3genE5ELNS1_11target_archE942ELNS1_3gpuE9ELNS1_3repE0EEENS1_30default_config_static_selectorELNS0_4arch9wavefront6targetE1EEEvT1_: ; @_ZN7rocprim17ROCPRIM_400000_NS6detail17trampoline_kernelINS0_14default_configENS1_25partition_config_selectorILNS1_17partition_subalgoE0EiNS0_10empty_typeEbEEZZNS1_14partition_implILS5_0ELb0ES3_jN6thrust23THRUST_200600_302600_NS6detail15normal_iteratorINSA_10device_ptrIiEEEEPS6_SG_NS0_5tupleIJSF_SF_EEENSH_IJSG_SG_EEES6_PlJ7is_evenIiEEEE10hipError_tPvRmT3_T4_T5_T6_T7_T9_mT8_P12ihipStream_tbDpT10_ENKUlT_T0_E_clISt17integral_constantIbLb0EES15_IbLb1EEEEDaS11_S12_EUlS11_E_NS1_11comp_targetILNS1_3genE5ELNS1_11target_archE942ELNS1_3gpuE9ELNS1_3repE0EEENS1_30default_config_static_selectorELNS0_4arch9wavefront6targetE1EEEvT1_
; %bb.0:
	.section	.rodata,"a",@progbits
	.p2align	6, 0x0
	.amdhsa_kernel _ZN7rocprim17ROCPRIM_400000_NS6detail17trampoline_kernelINS0_14default_configENS1_25partition_config_selectorILNS1_17partition_subalgoE0EiNS0_10empty_typeEbEEZZNS1_14partition_implILS5_0ELb0ES3_jN6thrust23THRUST_200600_302600_NS6detail15normal_iteratorINSA_10device_ptrIiEEEEPS6_SG_NS0_5tupleIJSF_SF_EEENSH_IJSG_SG_EEES6_PlJ7is_evenIiEEEE10hipError_tPvRmT3_T4_T5_T6_T7_T9_mT8_P12ihipStream_tbDpT10_ENKUlT_T0_E_clISt17integral_constantIbLb0EES15_IbLb1EEEEDaS11_S12_EUlS11_E_NS1_11comp_targetILNS1_3genE5ELNS1_11target_archE942ELNS1_3gpuE9ELNS1_3repE0EEENS1_30default_config_static_selectorELNS0_4arch9wavefront6targetE1EEEvT1_
		.amdhsa_group_segment_fixed_size 0
		.amdhsa_private_segment_fixed_size 0
		.amdhsa_kernarg_size 136
		.amdhsa_user_sgpr_count 6
		.amdhsa_user_sgpr_private_segment_buffer 1
		.amdhsa_user_sgpr_dispatch_ptr 0
		.amdhsa_user_sgpr_queue_ptr 0
		.amdhsa_user_sgpr_kernarg_segment_ptr 1
		.amdhsa_user_sgpr_dispatch_id 0
		.amdhsa_user_sgpr_flat_scratch_init 0
		.amdhsa_user_sgpr_kernarg_preload_length 0
		.amdhsa_user_sgpr_kernarg_preload_offset 0
		.amdhsa_user_sgpr_private_segment_size 0
		.amdhsa_uses_dynamic_stack 0
		.amdhsa_system_sgpr_private_segment_wavefront_offset 0
		.amdhsa_system_sgpr_workgroup_id_x 1
		.amdhsa_system_sgpr_workgroup_id_y 0
		.amdhsa_system_sgpr_workgroup_id_z 0
		.amdhsa_system_sgpr_workgroup_info 0
		.amdhsa_system_vgpr_workitem_id 0
		.amdhsa_next_free_vgpr 1
		.amdhsa_next_free_sgpr 0
		.amdhsa_accum_offset 4
		.amdhsa_reserve_vcc 0
		.amdhsa_reserve_flat_scratch 0
		.amdhsa_float_round_mode_32 0
		.amdhsa_float_round_mode_16_64 0
		.amdhsa_float_denorm_mode_32 3
		.amdhsa_float_denorm_mode_16_64 3
		.amdhsa_dx10_clamp 1
		.amdhsa_ieee_mode 1
		.amdhsa_fp16_overflow 0
		.amdhsa_tg_split 0
		.amdhsa_exception_fp_ieee_invalid_op 0
		.amdhsa_exception_fp_denorm_src 0
		.amdhsa_exception_fp_ieee_div_zero 0
		.amdhsa_exception_fp_ieee_overflow 0
		.amdhsa_exception_fp_ieee_underflow 0
		.amdhsa_exception_fp_ieee_inexact 0
		.amdhsa_exception_int_div_zero 0
	.end_amdhsa_kernel
	.section	.text._ZN7rocprim17ROCPRIM_400000_NS6detail17trampoline_kernelINS0_14default_configENS1_25partition_config_selectorILNS1_17partition_subalgoE0EiNS0_10empty_typeEbEEZZNS1_14partition_implILS5_0ELb0ES3_jN6thrust23THRUST_200600_302600_NS6detail15normal_iteratorINSA_10device_ptrIiEEEEPS6_SG_NS0_5tupleIJSF_SF_EEENSH_IJSG_SG_EEES6_PlJ7is_evenIiEEEE10hipError_tPvRmT3_T4_T5_T6_T7_T9_mT8_P12ihipStream_tbDpT10_ENKUlT_T0_E_clISt17integral_constantIbLb0EES15_IbLb1EEEEDaS11_S12_EUlS11_E_NS1_11comp_targetILNS1_3genE5ELNS1_11target_archE942ELNS1_3gpuE9ELNS1_3repE0EEENS1_30default_config_static_selectorELNS0_4arch9wavefront6targetE1EEEvT1_,"axG",@progbits,_ZN7rocprim17ROCPRIM_400000_NS6detail17trampoline_kernelINS0_14default_configENS1_25partition_config_selectorILNS1_17partition_subalgoE0EiNS0_10empty_typeEbEEZZNS1_14partition_implILS5_0ELb0ES3_jN6thrust23THRUST_200600_302600_NS6detail15normal_iteratorINSA_10device_ptrIiEEEEPS6_SG_NS0_5tupleIJSF_SF_EEENSH_IJSG_SG_EEES6_PlJ7is_evenIiEEEE10hipError_tPvRmT3_T4_T5_T6_T7_T9_mT8_P12ihipStream_tbDpT10_ENKUlT_T0_E_clISt17integral_constantIbLb0EES15_IbLb1EEEEDaS11_S12_EUlS11_E_NS1_11comp_targetILNS1_3genE5ELNS1_11target_archE942ELNS1_3gpuE9ELNS1_3repE0EEENS1_30default_config_static_selectorELNS0_4arch9wavefront6targetE1EEEvT1_,comdat
.Lfunc_end346:
	.size	_ZN7rocprim17ROCPRIM_400000_NS6detail17trampoline_kernelINS0_14default_configENS1_25partition_config_selectorILNS1_17partition_subalgoE0EiNS0_10empty_typeEbEEZZNS1_14partition_implILS5_0ELb0ES3_jN6thrust23THRUST_200600_302600_NS6detail15normal_iteratorINSA_10device_ptrIiEEEEPS6_SG_NS0_5tupleIJSF_SF_EEENSH_IJSG_SG_EEES6_PlJ7is_evenIiEEEE10hipError_tPvRmT3_T4_T5_T6_T7_T9_mT8_P12ihipStream_tbDpT10_ENKUlT_T0_E_clISt17integral_constantIbLb0EES15_IbLb1EEEEDaS11_S12_EUlS11_E_NS1_11comp_targetILNS1_3genE5ELNS1_11target_archE942ELNS1_3gpuE9ELNS1_3repE0EEENS1_30default_config_static_selectorELNS0_4arch9wavefront6targetE1EEEvT1_, .Lfunc_end346-_ZN7rocprim17ROCPRIM_400000_NS6detail17trampoline_kernelINS0_14default_configENS1_25partition_config_selectorILNS1_17partition_subalgoE0EiNS0_10empty_typeEbEEZZNS1_14partition_implILS5_0ELb0ES3_jN6thrust23THRUST_200600_302600_NS6detail15normal_iteratorINSA_10device_ptrIiEEEEPS6_SG_NS0_5tupleIJSF_SF_EEENSH_IJSG_SG_EEES6_PlJ7is_evenIiEEEE10hipError_tPvRmT3_T4_T5_T6_T7_T9_mT8_P12ihipStream_tbDpT10_ENKUlT_T0_E_clISt17integral_constantIbLb0EES15_IbLb1EEEEDaS11_S12_EUlS11_E_NS1_11comp_targetILNS1_3genE5ELNS1_11target_archE942ELNS1_3gpuE9ELNS1_3repE0EEENS1_30default_config_static_selectorELNS0_4arch9wavefront6targetE1EEEvT1_
                                        ; -- End function
	.section	.AMDGPU.csdata,"",@progbits
; Kernel info:
; codeLenInByte = 0
; NumSgprs: 4
; NumVgprs: 0
; NumAgprs: 0
; TotalNumVgprs: 0
; ScratchSize: 0
; MemoryBound: 0
; FloatMode: 240
; IeeeMode: 1
; LDSByteSize: 0 bytes/workgroup (compile time only)
; SGPRBlocks: 0
; VGPRBlocks: 0
; NumSGPRsForWavesPerEU: 4
; NumVGPRsForWavesPerEU: 1
; AccumOffset: 4
; Occupancy: 8
; WaveLimiterHint : 0
; COMPUTE_PGM_RSRC2:SCRATCH_EN: 0
; COMPUTE_PGM_RSRC2:USER_SGPR: 6
; COMPUTE_PGM_RSRC2:TRAP_HANDLER: 0
; COMPUTE_PGM_RSRC2:TGID_X_EN: 1
; COMPUTE_PGM_RSRC2:TGID_Y_EN: 0
; COMPUTE_PGM_RSRC2:TGID_Z_EN: 0
; COMPUTE_PGM_RSRC2:TIDIG_COMP_CNT: 0
; COMPUTE_PGM_RSRC3_GFX90A:ACCUM_OFFSET: 0
; COMPUTE_PGM_RSRC3_GFX90A:TG_SPLIT: 0
	.section	.text._ZN7rocprim17ROCPRIM_400000_NS6detail17trampoline_kernelINS0_14default_configENS1_25partition_config_selectorILNS1_17partition_subalgoE0EiNS0_10empty_typeEbEEZZNS1_14partition_implILS5_0ELb0ES3_jN6thrust23THRUST_200600_302600_NS6detail15normal_iteratorINSA_10device_ptrIiEEEEPS6_SG_NS0_5tupleIJSF_SF_EEENSH_IJSG_SG_EEES6_PlJ7is_evenIiEEEE10hipError_tPvRmT3_T4_T5_T6_T7_T9_mT8_P12ihipStream_tbDpT10_ENKUlT_T0_E_clISt17integral_constantIbLb0EES15_IbLb1EEEEDaS11_S12_EUlS11_E_NS1_11comp_targetILNS1_3genE4ELNS1_11target_archE910ELNS1_3gpuE8ELNS1_3repE0EEENS1_30default_config_static_selectorELNS0_4arch9wavefront6targetE1EEEvT1_,"axG",@progbits,_ZN7rocprim17ROCPRIM_400000_NS6detail17trampoline_kernelINS0_14default_configENS1_25partition_config_selectorILNS1_17partition_subalgoE0EiNS0_10empty_typeEbEEZZNS1_14partition_implILS5_0ELb0ES3_jN6thrust23THRUST_200600_302600_NS6detail15normal_iteratorINSA_10device_ptrIiEEEEPS6_SG_NS0_5tupleIJSF_SF_EEENSH_IJSG_SG_EEES6_PlJ7is_evenIiEEEE10hipError_tPvRmT3_T4_T5_T6_T7_T9_mT8_P12ihipStream_tbDpT10_ENKUlT_T0_E_clISt17integral_constantIbLb0EES15_IbLb1EEEEDaS11_S12_EUlS11_E_NS1_11comp_targetILNS1_3genE4ELNS1_11target_archE910ELNS1_3gpuE8ELNS1_3repE0EEENS1_30default_config_static_selectorELNS0_4arch9wavefront6targetE1EEEvT1_,comdat
	.protected	_ZN7rocprim17ROCPRIM_400000_NS6detail17trampoline_kernelINS0_14default_configENS1_25partition_config_selectorILNS1_17partition_subalgoE0EiNS0_10empty_typeEbEEZZNS1_14partition_implILS5_0ELb0ES3_jN6thrust23THRUST_200600_302600_NS6detail15normal_iteratorINSA_10device_ptrIiEEEEPS6_SG_NS0_5tupleIJSF_SF_EEENSH_IJSG_SG_EEES6_PlJ7is_evenIiEEEE10hipError_tPvRmT3_T4_T5_T6_T7_T9_mT8_P12ihipStream_tbDpT10_ENKUlT_T0_E_clISt17integral_constantIbLb0EES15_IbLb1EEEEDaS11_S12_EUlS11_E_NS1_11comp_targetILNS1_3genE4ELNS1_11target_archE910ELNS1_3gpuE8ELNS1_3repE0EEENS1_30default_config_static_selectorELNS0_4arch9wavefront6targetE1EEEvT1_ ; -- Begin function _ZN7rocprim17ROCPRIM_400000_NS6detail17trampoline_kernelINS0_14default_configENS1_25partition_config_selectorILNS1_17partition_subalgoE0EiNS0_10empty_typeEbEEZZNS1_14partition_implILS5_0ELb0ES3_jN6thrust23THRUST_200600_302600_NS6detail15normal_iteratorINSA_10device_ptrIiEEEEPS6_SG_NS0_5tupleIJSF_SF_EEENSH_IJSG_SG_EEES6_PlJ7is_evenIiEEEE10hipError_tPvRmT3_T4_T5_T6_T7_T9_mT8_P12ihipStream_tbDpT10_ENKUlT_T0_E_clISt17integral_constantIbLb0EES15_IbLb1EEEEDaS11_S12_EUlS11_E_NS1_11comp_targetILNS1_3genE4ELNS1_11target_archE910ELNS1_3gpuE8ELNS1_3repE0EEENS1_30default_config_static_selectorELNS0_4arch9wavefront6targetE1EEEvT1_
	.globl	_ZN7rocprim17ROCPRIM_400000_NS6detail17trampoline_kernelINS0_14default_configENS1_25partition_config_selectorILNS1_17partition_subalgoE0EiNS0_10empty_typeEbEEZZNS1_14partition_implILS5_0ELb0ES3_jN6thrust23THRUST_200600_302600_NS6detail15normal_iteratorINSA_10device_ptrIiEEEEPS6_SG_NS0_5tupleIJSF_SF_EEENSH_IJSG_SG_EEES6_PlJ7is_evenIiEEEE10hipError_tPvRmT3_T4_T5_T6_T7_T9_mT8_P12ihipStream_tbDpT10_ENKUlT_T0_E_clISt17integral_constantIbLb0EES15_IbLb1EEEEDaS11_S12_EUlS11_E_NS1_11comp_targetILNS1_3genE4ELNS1_11target_archE910ELNS1_3gpuE8ELNS1_3repE0EEENS1_30default_config_static_selectorELNS0_4arch9wavefront6targetE1EEEvT1_
	.p2align	8
	.type	_ZN7rocprim17ROCPRIM_400000_NS6detail17trampoline_kernelINS0_14default_configENS1_25partition_config_selectorILNS1_17partition_subalgoE0EiNS0_10empty_typeEbEEZZNS1_14partition_implILS5_0ELb0ES3_jN6thrust23THRUST_200600_302600_NS6detail15normal_iteratorINSA_10device_ptrIiEEEEPS6_SG_NS0_5tupleIJSF_SF_EEENSH_IJSG_SG_EEES6_PlJ7is_evenIiEEEE10hipError_tPvRmT3_T4_T5_T6_T7_T9_mT8_P12ihipStream_tbDpT10_ENKUlT_T0_E_clISt17integral_constantIbLb0EES15_IbLb1EEEEDaS11_S12_EUlS11_E_NS1_11comp_targetILNS1_3genE4ELNS1_11target_archE910ELNS1_3gpuE8ELNS1_3repE0EEENS1_30default_config_static_selectorELNS0_4arch9wavefront6targetE1EEEvT1_,@function
_ZN7rocprim17ROCPRIM_400000_NS6detail17trampoline_kernelINS0_14default_configENS1_25partition_config_selectorILNS1_17partition_subalgoE0EiNS0_10empty_typeEbEEZZNS1_14partition_implILS5_0ELb0ES3_jN6thrust23THRUST_200600_302600_NS6detail15normal_iteratorINSA_10device_ptrIiEEEEPS6_SG_NS0_5tupleIJSF_SF_EEENSH_IJSG_SG_EEES6_PlJ7is_evenIiEEEE10hipError_tPvRmT3_T4_T5_T6_T7_T9_mT8_P12ihipStream_tbDpT10_ENKUlT_T0_E_clISt17integral_constantIbLb0EES15_IbLb1EEEEDaS11_S12_EUlS11_E_NS1_11comp_targetILNS1_3genE4ELNS1_11target_archE910ELNS1_3gpuE8ELNS1_3repE0EEENS1_30default_config_static_selectorELNS0_4arch9wavefront6targetE1EEEvT1_: ; @_ZN7rocprim17ROCPRIM_400000_NS6detail17trampoline_kernelINS0_14default_configENS1_25partition_config_selectorILNS1_17partition_subalgoE0EiNS0_10empty_typeEbEEZZNS1_14partition_implILS5_0ELb0ES3_jN6thrust23THRUST_200600_302600_NS6detail15normal_iteratorINSA_10device_ptrIiEEEEPS6_SG_NS0_5tupleIJSF_SF_EEENSH_IJSG_SG_EEES6_PlJ7is_evenIiEEEE10hipError_tPvRmT3_T4_T5_T6_T7_T9_mT8_P12ihipStream_tbDpT10_ENKUlT_T0_E_clISt17integral_constantIbLb0EES15_IbLb1EEEEDaS11_S12_EUlS11_E_NS1_11comp_targetILNS1_3genE4ELNS1_11target_archE910ELNS1_3gpuE8ELNS1_3repE0EEENS1_30default_config_static_selectorELNS0_4arch9wavefront6targetE1EEEvT1_
; %bb.0:
	s_load_dwordx2 s[2:3], s[4:5], 0x58
	s_load_dwordx4 s[20:23], s[4:5], 0x48
	s_load_dwordx2 s[34:35], s[4:5], 0x68
	v_cmp_eq_u32_e64 s[0:1], 0, v0
	s_and_saveexec_b64 s[6:7], s[0:1]
	s_cbranch_execz .LBB347_4
; %bb.1:
	s_mov_b64 s[10:11], exec
	v_mbcnt_lo_u32_b32 v1, s10, 0
	v_mbcnt_hi_u32_b32 v1, s11, v1
	v_cmp_eq_u32_e32 vcc, 0, v1
                                        ; implicit-def: $vgpr2
	s_and_saveexec_b64 s[8:9], vcc
	s_cbranch_execz .LBB347_3
; %bb.2:
	s_load_dwordx2 s[12:13], s[4:5], 0x78
	s_bcnt1_i32_b64 s10, s[10:11]
	v_mov_b32_e32 v2, 0
	v_mov_b32_e32 v3, s10
	s_waitcnt lgkmcnt(0)
	global_atomic_add v2, v2, v3, s[12:13] glc
.LBB347_3:
	s_or_b64 exec, exec, s[8:9]
	s_waitcnt vmcnt(0)
	v_readfirstlane_b32 s8, v2
	v_add_u32_e32 v1, s8, v1
	v_mov_b32_e32 v2, 0
	ds_write_b32 v2, v1
.LBB347_4:
	s_or_b64 exec, exec, s[6:7]
	v_mov_b32_e32 v3, 0
	s_load_dwordx4 s[28:31], s[4:5], 0x8
	s_load_dwordx4 s[24:27], s[4:5], 0x28
	s_load_dword s6, s[4:5], 0x70
	s_waitcnt lgkmcnt(0)
	s_barrier
	ds_read_b32 v1, v3
	s_waitcnt lgkmcnt(0)
	s_barrier
	global_load_dwordx2 v[12:13], v3, s[22:23]
	v_mov_b32_e32 v5, s3
	s_lshl_b64 s[4:5], s[30:31], 2
	s_movk_i32 s3, 0xa00
	s_add_u32 s7, s28, s4
	v_mul_lo_u32 v2, v1, s3
	s_mul_i32 s3, s6, 0xa00
	s_addc_u32 s8, s29, s5
	s_add_i32 s5, s3, s30
	s_sub_i32 s33, s2, s5
	s_add_i32 s4, s6, -1
	s_addk_i32 s33, 0xa00
	v_mov_b32_e32 v4, s2
	s_add_u32 s2, s30, s3
	v_readfirstlane_b32 s40, v1
	s_addc_u32 s3, s31, 0
	s_cmp_eq_u32 s40, s4
	s_cselect_b64 s[22:23], -1, 0
	s_cmp_lg_u32 s40, s4
	v_cmp_lt_u64_e32 vcc, s[2:3], v[4:5]
	s_cselect_b64 s[2:3], -1, 0
	v_lshlrev_b64 v[14:15], 2, v[2:3]
	s_or_b64 s[4:5], vcc, s[2:3]
	v_mov_b32_e32 v1, s8
	v_add_co_u32_e32 v16, vcc, s7, v14
	v_addc_co_u32_e32 v17, vcc, v1, v15, vcc
	s_mov_b64 s[2:3], -1
	s_and_b64 vcc, exec, s[4:5]
	v_lshlrev_b32_e32 v1, 2, v0
	s_cbranch_vccz .LBB347_6
; %bb.5:
	v_add_co_u32_e32 v2, vcc, v16, v1
	v_addc_co_u32_e32 v3, vcc, 0, v17, vcc
	v_add_co_u32_e32 v4, vcc, 0x1000, v2
	v_addc_co_u32_e32 v5, vcc, 0, v3, vcc
	flat_load_dword v6, v[2:3]
	flat_load_dword v7, v[2:3] offset:1024
	flat_load_dword v8, v[2:3] offset:2048
	;; [unrolled: 1-line block ×3, first 2 shown]
	flat_load_dword v10, v[4:5]
	flat_load_dword v11, v[4:5] offset:1024
	flat_load_dword v18, v[4:5] offset:2048
	;; [unrolled: 1-line block ×3, first 2 shown]
	v_add_co_u32_e32 v2, vcc, 0x2000, v2
	v_addc_co_u32_e32 v3, vcc, 0, v3, vcc
	flat_load_dword v4, v[2:3]
	flat_load_dword v5, v[2:3] offset:1024
	s_mov_b64 s[2:3], 0
	s_waitcnt vmcnt(0) lgkmcnt(0)
	ds_write2st64_b32 v1, v6, v7 offset1:4
	ds_write2st64_b32 v1, v8, v9 offset0:8 offset1:12
	ds_write2st64_b32 v1, v10, v11 offset0:16 offset1:20
	;; [unrolled: 1-line block ×4, first 2 shown]
	s_waitcnt lgkmcnt(0)
	s_barrier
.LBB347_6:
	s_andn2_b64 vcc, exec, s[2:3]
	v_cmp_gt_u32_e64 s[2:3], s33, v0
	s_cbranch_vccnz .LBB347_28
; %bb.7:
                                        ; implicit-def: $vgpr2_vgpr3_vgpr4_vgpr5_vgpr6_vgpr7_vgpr8_vgpr9_vgpr10_vgpr11
	s_and_saveexec_b64 s[6:7], s[2:3]
	s_cbranch_execz .LBB347_9
; %bb.8:
	v_add_co_u32_e32 v2, vcc, v16, v1
	v_addc_co_u32_e32 v3, vcc, 0, v17, vcc
	flat_load_dword v2, v[2:3]
.LBB347_9:
	s_or_b64 exec, exec, s[6:7]
	v_or_b32_e32 v18, 0x100, v0
	v_cmp_gt_u32_e32 vcc, s33, v18
	s_and_saveexec_b64 s[2:3], vcc
	s_cbranch_execz .LBB347_11
; %bb.10:
	v_add_co_u32_e32 v18, vcc, v16, v1
	v_addc_co_u32_e32 v19, vcc, 0, v17, vcc
	flat_load_dword v3, v[18:19] offset:1024
.LBB347_11:
	s_or_b64 exec, exec, s[2:3]
	v_or_b32_e32 v18, 0x200, v0
	v_cmp_gt_u32_e32 vcc, s33, v18
	s_and_saveexec_b64 s[2:3], vcc
	s_cbranch_execz .LBB347_13
; %bb.12:
	v_add_co_u32_e32 v18, vcc, v16, v1
	v_addc_co_u32_e32 v19, vcc, 0, v17, vcc
	flat_load_dword v4, v[18:19] offset:2048
.LBB347_13:
	;; [unrolled: 10-line block ×3, first 2 shown]
	s_or_b64 exec, exec, s[2:3]
	v_or_b32_e32 v18, 0x400, v0
	v_cmp_gt_u32_e32 vcc, s33, v18
	s_and_saveexec_b64 s[2:3], vcc
	s_cbranch_execz .LBB347_17
; %bb.16:
	v_lshlrev_b32_e32 v6, 2, v18
	v_add_co_u32_e32 v18, vcc, v16, v6
	v_addc_co_u32_e32 v19, vcc, 0, v17, vcc
	flat_load_dword v6, v[18:19]
.LBB347_17:
	s_or_b64 exec, exec, s[2:3]
	v_or_b32_e32 v18, 0x500, v0
	v_cmp_gt_u32_e32 vcc, s33, v18
	s_and_saveexec_b64 s[2:3], vcc
	s_cbranch_execz .LBB347_19
; %bb.18:
	v_lshlrev_b32_e32 v7, 2, v18
	v_add_co_u32_e32 v18, vcc, v16, v7
	v_addc_co_u32_e32 v19, vcc, 0, v17, vcc
	flat_load_dword v7, v[18:19]
.LBB347_19:
	;; [unrolled: 11-line block ×6, first 2 shown]
	s_or_b64 exec, exec, s[2:3]
	s_waitcnt vmcnt(0) lgkmcnt(0)
	ds_write2st64_b32 v1, v2, v3 offset1:4
	ds_write2st64_b32 v1, v4, v5 offset0:8 offset1:12
	ds_write2st64_b32 v1, v6, v7 offset0:16 offset1:20
	;; [unrolled: 1-line block ×4, first 2 shown]
	s_waitcnt lgkmcnt(0)
	s_barrier
.LBB347_28:
	v_mul_u32_u24_e32 v27, 10, v0
	v_lshlrev_b32_e32 v33, 2, v27
	ds_read2_b64 v[6:9], v33 offset1:1
	ds_read2_b64 v[2:5], v33 offset0:2 offset1:3
	ds_read_b64 v[10:11], v33 offset:32
	v_cndmask_b32_e64 v16, 0, 1, s[4:5]
	v_cmp_ne_u32_e64 s[2:3], 1, v16
	s_andn2_b64 vcc, exec, s[4:5]
	s_waitcnt lgkmcnt(2)
	v_xor_b32_e32 v25, -1, v6
	v_xor_b32_e32 v24, -1, v7
	;; [unrolled: 1-line block ×4, first 2 shown]
	s_waitcnt lgkmcnt(1)
	v_xor_b32_e32 v21, -1, v2
	v_xor_b32_e32 v20, -1, v3
	;; [unrolled: 1-line block ×4, first 2 shown]
	s_waitcnt lgkmcnt(0)
	v_xor_b32_e32 v17, -1, v10
	v_xor_b32_e32 v16, -1, v11
	s_barrier
	s_cbranch_vccnz .LBB347_30
; %bb.29:
	v_mov_b32_e32 v26, 1
	v_and_b32_e32 v29, 1, v25
	v_and_b32_sdwa v30, v24, v26 dst_sel:BYTE_1 dst_unused:UNUSED_PAD src0_sel:DWORD src1_sel:DWORD
	v_and_b32_e32 v31, 1, v23
	v_and_b32_sdwa v32, v22, v26 dst_sel:BYTE_1 dst_unused:UNUSED_PAD src0_sel:DWORD src1_sel:DWORD
	;; [unrolled: 2-line block ×4, first 2 shown]
	v_or_b32_e32 v29, v29, v30
	v_or_b32_sdwa v30, v31, v32 dst_sel:WORD_1 dst_unused:UNUSED_PAD src0_sel:DWORD src1_sel:DWORD
	v_or_b32_sdwa v30, v29, v30 dst_sel:DWORD dst_unused:UNUSED_PAD src0_sel:WORD_0 src1_sel:DWORD
	v_or_b32_e32 v29, v34, v35
	v_or_b32_sdwa v31, v36, v37 dst_sel:WORD_1 dst_unused:UNUSED_PAD src0_sel:DWORD src1_sel:DWORD
	v_and_b32_e32 v28, 1, v17
	v_and_b32_e32 v26, 1, v16
	v_or_b32_sdwa v29, v29, v31 dst_sel:DWORD dst_unused:UNUSED_PAD src0_sel:WORD_0 src1_sel:DWORD
	s_cbranch_execz .LBB347_31
	s_branch .LBB347_32
.LBB347_30:
                                        ; implicit-def: $vgpr26
                                        ; implicit-def: $vgpr28
                                        ; implicit-def: $vgpr29
                                        ; implicit-def: $vgpr30
.LBB347_31:
	v_or_b32_e32 v36, 1, v27
	v_cmp_gt_u32_e32 vcc, s33, v27
	v_add_u32_e32 v26, 2, v27
	v_cndmask_b32_e64 v37, 0, 1, vcc
	v_cmp_gt_u32_e32 vcc, s33, v36
	v_add_u32_e32 v35, 3, v27
	v_cndmask_b32_e64 v36, 0, 1, vcc
	;; [unrolled: 3-line block ×3, first 2 shown]
	v_cmp_gt_u32_e32 vcc, s33, v35
	v_add_u32_e32 v34, 5, v27
	v_and_b32_e32 v23, v26, v23
	v_cndmask_b32_e64 v26, 0, 1, vcc
	v_cmp_gt_u32_e32 vcc, s33, v28
	v_add_u32_e32 v29, 6, v27
	v_and_b32_sdwa v22, v26, v22 dst_sel:BYTE_1 dst_unused:UNUSED_PAD src0_sel:DWORD src1_sel:DWORD
	v_cndmask_b32_e64 v26, 0, 1, vcc
	v_cmp_gt_u32_e32 vcc, s33, v34
	v_add_u32_e32 v32, 7, v27
	v_and_b32_e32 v21, v26, v21
	v_cndmask_b32_e64 v26, 0, 1, vcc
	v_cmp_gt_u32_e32 vcc, s33, v29
	v_add_u32_e32 v30, 8, v27
	v_and_b32_sdwa v20, v26, v20 dst_sel:BYTE_1 dst_unused:UNUSED_PAD src0_sel:DWORD src1_sel:DWORD
	v_cndmask_b32_e64 v26, 0, 1, vcc
	v_cmp_gt_u32_e32 vcc, s33, v32
	v_add_u32_e32 v31, 9, v27
	v_and_b32_e32 v19, v26, v19
	v_cndmask_b32_e64 v26, 0, 1, vcc
	v_cmp_gt_u32_e32 vcc, s33, v30
	v_and_b32_sdwa v18, v26, v18 dst_sel:BYTE_1 dst_unused:UNUSED_PAD src0_sel:DWORD src1_sel:DWORD
	v_cndmask_b32_e64 v26, 0, 1, vcc
	v_cmp_gt_u32_e32 vcc, s33, v31
	v_and_b32_e32 v25, v37, v25
	v_and_b32_sdwa v24, v36, v24 dst_sel:BYTE_1 dst_unused:UNUSED_PAD src0_sel:DWORD src1_sel:DWORD
	v_and_b32_e32 v28, v26, v17
	v_cndmask_b32_e64 v17, 0, 1, vcc
	v_and_b32_e32 v26, v17, v16
	v_or_b32_e32 v16, v25, v24
	v_or_b32_sdwa v17, v23, v22 dst_sel:WORD_1 dst_unused:UNUSED_PAD src0_sel:DWORD src1_sel:DWORD
	v_or_b32_sdwa v30, v16, v17 dst_sel:DWORD dst_unused:UNUSED_PAD src0_sel:WORD_0 src1_sel:DWORD
	v_or_b32_e32 v16, v21, v20
	v_or_b32_sdwa v17, v19, v18 dst_sel:WORD_1 dst_unused:UNUSED_PAD src0_sel:DWORD src1_sel:DWORD
	v_or_b32_sdwa v29, v16, v17 dst_sel:DWORD dst_unused:UNUSED_PAD src0_sel:WORD_0 src1_sel:DWORD
.LBB347_32:
	v_bfe_u32 v34, v30, 16, 8
	v_lshrrev_b32_e32 v32, 24, v30
	v_add_u32_sdwa v17, v30, v30 dst_sel:DWORD dst_unused:UNUSED_PAD src0_sel:BYTE_1 src1_sel:BYTE_0
	v_and_b32_e32 v35, 0xff, v29
	v_bfe_u32 v36, v29, 8, 8
	v_add3_u32 v17, v17, v34, v32
	v_bfe_u32 v37, v29, 16, 8
	v_lshrrev_b32_e32 v31, 24, v29
	v_add3_u32 v17, v17, v35, v36
	v_and_b32_e32 v38, 0xff, v28
	v_and_b32_e32 v16, 0xff, v26
	v_add3_u32 v17, v17, v37, v31
	v_add3_u32 v41, v17, v38, v16
	v_mbcnt_lo_u32_b32 v16, -1, 0
	v_mbcnt_hi_u32_b32 v39, -1, v16
	v_and_b32_e32 v16, 15, v39
	v_cmp_eq_u32_e64 s[16:17], 0, v16
	v_cmp_lt_u32_e64 s[14:15], 1, v16
	v_cmp_lt_u32_e64 s[12:13], 3, v16
	v_cmp_lt_u32_e64 s[10:11], 7, v16
	v_and_b32_e32 v16, 16, v39
	v_cmp_eq_u32_e64 s[8:9], 0, v16
	v_or_b32_e32 v16, 63, v0
	s_cmp_lg_u32 s40, 0
	v_cmp_lt_u32_e64 s[4:5], 31, v39
	v_lshrrev_b32_e32 v40, 6, v0
	v_cmp_eq_u32_e64 s[6:7], v16, v0
	s_cbranch_scc0 .LBB347_59
; %bb.33:
	v_mov_b32_dpp v16, v41 row_shr:1 row_mask:0xf bank_mask:0xf
	v_cndmask_b32_e64 v16, v16, 0, s[16:17]
	v_add_u32_e32 v16, v16, v41
	s_nop 1
	v_mov_b32_dpp v17, v16 row_shr:2 row_mask:0xf bank_mask:0xf
	v_cndmask_b32_e64 v17, 0, v17, s[14:15]
	v_add_u32_e32 v16, v16, v17
	s_nop 1
	;; [unrolled: 4-line block ×4, first 2 shown]
	v_mov_b32_dpp v17, v16 row_bcast:15 row_mask:0xf bank_mask:0xf
	v_cndmask_b32_e64 v17, v17, 0, s[8:9]
	v_add_u32_e32 v16, v16, v17
	s_nop 1
	v_mov_b32_dpp v17, v16 row_bcast:31 row_mask:0xf bank_mask:0xf
	v_cndmask_b32_e64 v17, 0, v17, s[4:5]
	v_add_u32_e32 v16, v16, v17
	s_and_saveexec_b64 s[18:19], s[6:7]
	s_cbranch_execz .LBB347_35
; %bb.34:
	v_lshlrev_b32_e32 v17, 2, v40
	ds_write_b32 v17, v16
.LBB347_35:
	s_or_b64 exec, exec, s[18:19]
	v_cmp_gt_u32_e32 vcc, 4, v0
	s_waitcnt lgkmcnt(0)
	s_barrier
	s_and_saveexec_b64 s[18:19], vcc
	s_cbranch_execz .LBB347_37
; %bb.36:
	ds_read_b32 v17, v1
	v_and_b32_e32 v18, 3, v39
	v_cmp_ne_u32_e32 vcc, 0, v18
	s_waitcnt lgkmcnt(0)
	v_mov_b32_dpp v19, v17 row_shr:1 row_mask:0xf bank_mask:0xf
	v_cndmask_b32_e32 v19, 0, v19, vcc
	v_add_u32_e32 v17, v19, v17
	v_cmp_lt_u32_e32 vcc, 1, v18
	s_nop 0
	v_mov_b32_dpp v19, v17 row_shr:2 row_mask:0xf bank_mask:0xf
	v_cndmask_b32_e32 v18, 0, v19, vcc
	v_add_u32_e32 v17, v17, v18
	ds_write_b32 v1, v17
.LBB347_37:
	s_or_b64 exec, exec, s[18:19]
	v_cmp_gt_u32_e32 vcc, 64, v0
	v_cmp_lt_u32_e64 s[18:19], 63, v0
	s_waitcnt lgkmcnt(0)
	s_barrier
	s_waitcnt lgkmcnt(0)
                                        ; implicit-def: $vgpr42
	s_and_saveexec_b64 s[28:29], s[18:19]
	s_cbranch_execz .LBB347_39
; %bb.38:
	v_lshl_add_u32 v17, v40, 2, -4
	ds_read_b32 v42, v17
	s_waitcnt lgkmcnt(0)
	v_add_u32_e32 v16, v42, v16
.LBB347_39:
	s_or_b64 exec, exec, s[28:29]
	v_add_u32_e32 v17, -1, v39
	v_and_b32_e32 v18, 64, v39
	v_cmp_lt_i32_e64 s[18:19], v17, v18
	v_cndmask_b32_e64 v17, v17, v39, s[18:19]
	v_lshlrev_b32_e32 v17, 2, v17
	ds_bpermute_b32 v43, v17, v16
	v_cmp_eq_u32_e64 s[18:19], 0, v39
	s_and_saveexec_b64 s[28:29], vcc
	s_cbranch_execz .LBB347_58
; %bb.40:
	v_mov_b32_e32 v23, 0
	ds_read_b32 v16, v23 offset:12
	s_and_saveexec_b64 s[36:37], s[18:19]
	s_cbranch_execz .LBB347_42
; %bb.41:
	s_add_i32 s38, s40, 64
	s_mov_b32 s39, 0
	s_lshl_b64 s[38:39], s[38:39], 3
	s_add_u32 s38, s34, s38
	v_mov_b32_e32 v17, 1
	s_addc_u32 s39, s35, s39
	s_waitcnt lgkmcnt(0)
	global_store_dwordx2 v23, v[16:17], s[38:39]
.LBB347_42:
	s_or_b64 exec, exec, s[36:37]
	v_xad_u32 v18, v39, -1, s40
	v_add_u32_e32 v22, 64, v18
	v_lshlrev_b64 v[20:21], 3, v[22:23]
	v_mov_b32_e32 v17, s35
	v_add_co_u32_e32 v24, vcc, s34, v20
	v_addc_co_u32_e32 v25, vcc, v17, v21, vcc
	global_load_dwordx2 v[20:21], v[24:25], off glc
	s_waitcnt vmcnt(0)
	v_cmp_eq_u16_sdwa s[38:39], v21, v23 src0_sel:BYTE_0 src1_sel:DWORD
	s_and_saveexec_b64 s[36:37], s[38:39]
	s_cbranch_execz .LBB347_46
; %bb.43:
	s_mov_b64 s[38:39], 0
	v_mov_b32_e32 v17, 0
.LBB347_44:                             ; =>This Inner Loop Header: Depth=1
	global_load_dwordx2 v[20:21], v[24:25], off glc
	s_waitcnt vmcnt(0)
	v_cmp_ne_u16_sdwa s[42:43], v21, v17 src0_sel:BYTE_0 src1_sel:DWORD
	s_or_b64 s[38:39], s[42:43], s[38:39]
	s_andn2_b64 exec, exec, s[38:39]
	s_cbranch_execnz .LBB347_44
; %bb.45:
	s_or_b64 exec, exec, s[38:39]
.LBB347_46:
	s_or_b64 exec, exec, s[36:37]
	v_and_b32_e32 v45, 63, v39
	v_mov_b32_e32 v44, 2
	v_cmp_ne_u32_e32 vcc, 63, v45
	v_cmp_eq_u16_sdwa s[36:37], v21, v44 src0_sel:BYTE_0 src1_sel:DWORD
	v_lshlrev_b64 v[22:23], v39, -1
	v_addc_co_u32_e32 v24, vcc, 0, v39, vcc
	v_and_b32_e32 v17, s37, v23
	v_lshlrev_b32_e32 v46, 2, v24
	v_or_b32_e32 v17, 0x80000000, v17
	ds_bpermute_b32 v24, v46, v20
	v_and_b32_e32 v19, s36, v22
	v_ffbl_b32_e32 v17, v17
	v_add_u32_e32 v17, 32, v17
	v_ffbl_b32_e32 v19, v19
	v_min_u32_e32 v17, v19, v17
	v_cmp_lt_u32_e32 vcc, v45, v17
	s_waitcnt lgkmcnt(0)
	v_cndmask_b32_e32 v19, 0, v24, vcc
	v_cmp_gt_u32_e32 vcc, 62, v45
	v_add_u32_e32 v19, v19, v20
	v_cndmask_b32_e64 v20, 0, 1, vcc
	v_lshlrev_b32_e32 v20, 1, v20
	v_add_lshl_u32 v47, v20, v39, 2
	ds_bpermute_b32 v20, v47, v19
	v_add_u32_e32 v48, 2, v45
	v_cmp_le_u32_e32 vcc, v48, v17
	v_add_u32_e32 v50, 4, v45
	v_add_u32_e32 v52, 8, v45
	s_waitcnt lgkmcnt(0)
	v_cndmask_b32_e32 v20, 0, v20, vcc
	v_cmp_gt_u32_e32 vcc, 60, v45
	v_add_u32_e32 v19, v19, v20
	v_cndmask_b32_e64 v20, 0, 1, vcc
	v_lshlrev_b32_e32 v20, 2, v20
	v_add_lshl_u32 v49, v20, v39, 2
	ds_bpermute_b32 v20, v49, v19
	v_cmp_le_u32_e32 vcc, v50, v17
	v_add_u32_e32 v54, 16, v45
	v_add_u32_e32 v56, 32, v45
	s_waitcnt lgkmcnt(0)
	v_cndmask_b32_e32 v20, 0, v20, vcc
	v_cmp_gt_u32_e32 vcc, 56, v45
	v_add_u32_e32 v19, v19, v20
	v_cndmask_b32_e64 v20, 0, 1, vcc
	v_lshlrev_b32_e32 v20, 3, v20
	v_add_lshl_u32 v51, v20, v39, 2
	ds_bpermute_b32 v20, v51, v19
	v_cmp_le_u32_e32 vcc, v52, v17
	s_waitcnt lgkmcnt(0)
	v_cndmask_b32_e32 v20, 0, v20, vcc
	v_cmp_gt_u32_e32 vcc, 48, v45
	v_add_u32_e32 v19, v19, v20
	v_cndmask_b32_e64 v20, 0, 1, vcc
	v_lshlrev_b32_e32 v20, 4, v20
	v_add_lshl_u32 v53, v20, v39, 2
	ds_bpermute_b32 v20, v53, v19
	v_cmp_le_u32_e32 vcc, v54, v17
	;; [unrolled: 9-line block ×3, first 2 shown]
	s_waitcnt lgkmcnt(0)
	v_cndmask_b32_e32 v17, 0, v20, vcc
	v_add_u32_e32 v20, v19, v17
	v_mov_b32_e32 v19, 0
	s_branch .LBB347_48
.LBB347_47:                             ;   in Loop: Header=BB347_48 Depth=1
	s_or_b64 exec, exec, s[36:37]
	v_cmp_eq_u16_sdwa s[36:37], v21, v44 src0_sel:BYTE_0 src1_sel:DWORD
	v_and_b32_e32 v24, s37, v23
	v_or_b32_e32 v24, 0x80000000, v24
	ds_bpermute_b32 v57, v46, v20
	v_and_b32_e32 v25, s36, v22
	v_ffbl_b32_e32 v24, v24
	v_add_u32_e32 v24, 32, v24
	v_ffbl_b32_e32 v25, v25
	v_min_u32_e32 v24, v25, v24
	v_cmp_lt_u32_e32 vcc, v45, v24
	s_waitcnt lgkmcnt(0)
	v_cndmask_b32_e32 v25, 0, v57, vcc
	v_add_u32_e32 v20, v25, v20
	ds_bpermute_b32 v25, v47, v20
	v_cmp_le_u32_e32 vcc, v48, v24
	v_subrev_u32_e32 v18, 64, v18
	s_waitcnt lgkmcnt(0)
	v_cndmask_b32_e32 v25, 0, v25, vcc
	v_add_u32_e32 v20, v20, v25
	ds_bpermute_b32 v25, v49, v20
	v_cmp_le_u32_e32 vcc, v50, v24
	s_waitcnt lgkmcnt(0)
	v_cndmask_b32_e32 v25, 0, v25, vcc
	v_add_u32_e32 v20, v20, v25
	ds_bpermute_b32 v25, v51, v20
	v_cmp_le_u32_e32 vcc, v52, v24
	;; [unrolled: 5-line block ×4, first 2 shown]
	s_waitcnt lgkmcnt(0)
	v_cndmask_b32_e32 v24, 0, v25, vcc
	v_add3_u32 v20, v24, v17, v20
.LBB347_48:                             ; =>This Loop Header: Depth=1
                                        ;     Child Loop BB347_51 Depth 2
	v_cmp_ne_u16_sdwa s[36:37], v21, v44 src0_sel:BYTE_0 src1_sel:DWORD
	v_cndmask_b32_e64 v17, 0, 1, s[36:37]
	;;#ASMSTART
	;;#ASMEND
	v_cmp_ne_u32_e32 vcc, 0, v17
	s_cmp_lg_u64 vcc, exec
	v_mov_b32_e32 v17, v20
	s_cbranch_scc1 .LBB347_53
; %bb.49:                               ;   in Loop: Header=BB347_48 Depth=1
	v_lshlrev_b64 v[20:21], 3, v[18:19]
	v_mov_b32_e32 v25, s35
	v_add_co_u32_e32 v24, vcc, s34, v20
	v_addc_co_u32_e32 v25, vcc, v25, v21, vcc
	global_load_dwordx2 v[20:21], v[24:25], off glc
	s_waitcnt vmcnt(0)
	v_cmp_eq_u16_sdwa s[38:39], v21, v19 src0_sel:BYTE_0 src1_sel:DWORD
	s_and_saveexec_b64 s[36:37], s[38:39]
	s_cbranch_execz .LBB347_47
; %bb.50:                               ;   in Loop: Header=BB347_48 Depth=1
	s_mov_b64 s[38:39], 0
.LBB347_51:                             ;   Parent Loop BB347_48 Depth=1
                                        ; =>  This Inner Loop Header: Depth=2
	global_load_dwordx2 v[20:21], v[24:25], off glc
	s_waitcnt vmcnt(0)
	v_cmp_ne_u16_sdwa s[42:43], v21, v19 src0_sel:BYTE_0 src1_sel:DWORD
	s_or_b64 s[38:39], s[42:43], s[38:39]
	s_andn2_b64 exec, exec, s[38:39]
	s_cbranch_execnz .LBB347_51
; %bb.52:                               ;   in Loop: Header=BB347_48 Depth=1
	s_or_b64 exec, exec, s[38:39]
	s_branch .LBB347_47
.LBB347_53:                             ;   in Loop: Header=BB347_48 Depth=1
                                        ; implicit-def: $vgpr20
                                        ; implicit-def: $vgpr21
	s_cbranch_execz .LBB347_48
; %bb.54:
	s_and_saveexec_b64 s[36:37], s[18:19]
	s_cbranch_execz .LBB347_56
; %bb.55:
	s_add_i32 s38, s40, 64
	s_mov_b32 s39, 0
	s_lshl_b64 s[38:39], s[38:39], 3
	s_add_u32 s38, s34, s38
	v_add_u32_e32 v18, v17, v16
	v_mov_b32_e32 v19, 2
	s_addc_u32 s39, s35, s39
	v_mov_b32_e32 v20, 0
	global_store_dwordx2 v20, v[18:19], s[38:39]
	ds_write_b64 v20, v[16:17] offset:10240
.LBB347_56:
	s_or_b64 exec, exec, s[36:37]
	s_and_b64 exec, exec, s[0:1]
	s_cbranch_execz .LBB347_58
; %bb.57:
	v_mov_b32_e32 v16, 0
	ds_write_b32 v16, v17 offset:12
.LBB347_58:
	s_or_b64 exec, exec, s[28:29]
	v_mov_b32_e32 v16, 0
	s_waitcnt lgkmcnt(0)
	s_barrier
	ds_read_b32 v17, v16 offset:12
	v_cndmask_b32_e64 v18, v43, v42, s[18:19]
	v_cndmask_b32_e64 v18, v18, 0, s[0:1]
	s_waitcnt lgkmcnt(0)
	s_barrier
	v_add_u32_e32 v43, v17, v18
	v_add_u32_sdwa v42, v43, v30 dst_sel:DWORD dst_unused:UNUSED_PAD src0_sel:DWORD src1_sel:BYTE_0
	v_add_u32_sdwa v25, v42, v30 dst_sel:DWORD dst_unused:UNUSED_PAD src0_sel:DWORD src1_sel:BYTE_1
	v_add_u32_e32 v24, v25, v34
	v_add_u32_e32 v23, v24, v32
	;; [unrolled: 1-line block ×3, first 2 shown]
	ds_read_b64 v[16:17], v16 offset:10240
	v_add_u32_e32 v21, v22, v36
	v_add_u32_e32 v20, v21, v37
	;; [unrolled: 1-line block ×4, first 2 shown]
	s_branch .LBB347_69
.LBB347_59:
                                        ; implicit-def: $vgpr17
                                        ; implicit-def: $vgpr18
                                        ; implicit-def: $vgpr19
                                        ; implicit-def: $vgpr20
                                        ; implicit-def: $vgpr21
                                        ; implicit-def: $vgpr22
                                        ; implicit-def: $vgpr23
                                        ; implicit-def: $vgpr24
                                        ; implicit-def: $vgpr25
                                        ; implicit-def: $vgpr42
                                        ; implicit-def: $vgpr43
	s_cbranch_execz .LBB347_69
; %bb.60:
	s_waitcnt lgkmcnt(0)
	v_mov_b32_dpp v16, v41 row_shr:1 row_mask:0xf bank_mask:0xf
	v_cndmask_b32_e64 v16, v16, 0, s[16:17]
	v_add_u32_e32 v16, v16, v41
	s_nop 1
	v_mov_b32_dpp v17, v16 row_shr:2 row_mask:0xf bank_mask:0xf
	v_cndmask_b32_e64 v17, 0, v17, s[14:15]
	v_add_u32_e32 v16, v16, v17
	s_nop 1
	;; [unrolled: 4-line block ×4, first 2 shown]
	v_mov_b32_dpp v17, v16 row_bcast:15 row_mask:0xf bank_mask:0xf
	v_cndmask_b32_e64 v17, v17, 0, s[8:9]
	v_add_u32_e32 v16, v16, v17
	s_nop 1
	v_mov_b32_dpp v17, v16 row_bcast:31 row_mask:0xf bank_mask:0xf
	v_cndmask_b32_e64 v17, 0, v17, s[4:5]
	v_add_u32_e32 v16, v16, v17
	s_and_saveexec_b64 s[4:5], s[6:7]
	s_cbranch_execz .LBB347_62
; %bb.61:
	v_lshlrev_b32_e32 v17, 2, v40
	ds_write_b32 v17, v16
.LBB347_62:
	s_or_b64 exec, exec, s[4:5]
	v_cmp_gt_u32_e32 vcc, 4, v0
	s_waitcnt lgkmcnt(0)
	s_barrier
	s_and_saveexec_b64 s[4:5], vcc
	s_cbranch_execz .LBB347_64
; %bb.63:
	s_movk_i32 s6, 0xffdc
	v_mad_i32_i24 v17, v0, s6, v33
	ds_read_b32 v18, v17
	v_and_b32_e32 v19, 3, v39
	v_cmp_ne_u32_e32 vcc, 0, v19
	s_waitcnt lgkmcnt(0)
	v_mov_b32_dpp v20, v18 row_shr:1 row_mask:0xf bank_mask:0xf
	v_cndmask_b32_e32 v20, 0, v20, vcc
	v_add_u32_e32 v18, v20, v18
	v_cmp_lt_u32_e32 vcc, 1, v19
	s_nop 0
	v_mov_b32_dpp v20, v18 row_shr:2 row_mask:0xf bank_mask:0xf
	v_cndmask_b32_e32 v19, 0, v20, vcc
	v_add_u32_e32 v18, v18, v19
	ds_write_b32 v17, v18
.LBB347_64:
	s_or_b64 exec, exec, s[4:5]
	v_cmp_lt_u32_e32 vcc, 63, v0
	v_mov_b32_e32 v17, 0
	v_mov_b32_e32 v18, 0
	s_waitcnt lgkmcnt(0)
	s_barrier
	s_and_saveexec_b64 s[4:5], vcc
	s_cbranch_execz .LBB347_66
; %bb.65:
	v_lshl_add_u32 v18, v40, 2, -4
	ds_read_b32 v18, v18
.LBB347_66:
	s_or_b64 exec, exec, s[4:5]
	v_add_u32_e32 v19, -1, v39
	v_and_b32_e32 v20, 64, v39
	v_cmp_lt_i32_e32 vcc, v19, v20
	v_cndmask_b32_e32 v19, v19, v39, vcc
	s_waitcnt lgkmcnt(0)
	v_add_u32_e32 v16, v18, v16
	v_lshlrev_b32_e32 v19, 2, v19
	ds_bpermute_b32 v19, v19, v16
	ds_read_b32 v16, v17 offset:12
	s_and_saveexec_b64 s[4:5], s[0:1]
	s_cbranch_execz .LBB347_68
; %bb.67:
	v_mov_b32_e32 v20, 0
	v_mov_b32_e32 v17, 2
	s_waitcnt lgkmcnt(0)
	global_store_dwordx2 v20, v[16:17], s[34:35] offset:512
.LBB347_68:
	s_or_b64 exec, exec, s[4:5]
	v_cmp_eq_u32_e32 vcc, 0, v39
	s_waitcnt lgkmcnt(1)
	v_cndmask_b32_e32 v18, v19, v18, vcc
	v_cndmask_b32_e64 v43, v18, 0, s[0:1]
	v_add_u32_sdwa v42, v43, v30 dst_sel:DWORD dst_unused:UNUSED_PAD src0_sel:DWORD src1_sel:BYTE_0
	v_add_u32_sdwa v25, v42, v30 dst_sel:DWORD dst_unused:UNUSED_PAD src0_sel:DWORD src1_sel:BYTE_1
	v_add_u32_e32 v24, v25, v34
	v_add_u32_e32 v23, v24, v32
	;; [unrolled: 1-line block ×6, first 2 shown]
	v_mov_b32_e32 v17, 0
	v_add_u32_e32 v18, v19, v38
	s_waitcnt lgkmcnt(0)
	s_barrier
.LBB347_69:
	s_waitcnt lgkmcnt(0)
	v_add_u32_e32 v27, v16, v27
	v_sub_u32_e32 v35, v43, v17
	v_and_b32_e32 v37, 1, v30
	v_sub_u32_e32 v36, v27, v35
	v_cmp_eq_u32_e32 vcc, 1, v37
	v_cndmask_b32_e32 v35, v36, v35, vcc
	v_lshlrev_b32_e32 v35, 2, v35
	v_lshrrev_b32_e32 v34, 8, v30
	ds_write_b32 v35, v6
	v_sub_u32_e32 v6, v42, v17
	v_sub_u32_e32 v35, v27, v6
	v_and_b32_e32 v34, 1, v34
	v_add_u32_e32 v35, 1, v35
	v_cmp_eq_u32_e32 vcc, 1, v34
	v_cndmask_b32_e32 v6, v35, v6, vcc
	v_lshlrev_b32_e32 v6, 2, v6
	ds_write_b32 v6, v7
	v_sub_u32_e32 v6, v25, v17
	v_mov_b32_e32 v25, 1
	v_sub_u32_e32 v7, v27, v6
	v_and_b32_sdwa v30, v25, v30 dst_sel:DWORD dst_unused:UNUSED_PAD src0_sel:DWORD src1_sel:WORD_1
	v_add_u32_e32 v7, 2, v7
	v_cmp_eq_u32_e32 vcc, 1, v30
	v_cndmask_b32_e32 v6, v7, v6, vcc
	v_lshlrev_b32_e32 v6, 2, v6
	ds_write_b32 v6, v8
	v_sub_u32_e32 v6, v24, v17
	v_sub_u32_e32 v7, v27, v6
	v_and_b32_e32 v8, 1, v32
	v_add_u32_e32 v7, 3, v7
	v_cmp_eq_u32_e32 vcc, 1, v8
	v_cndmask_b32_e32 v6, v7, v6, vcc
	v_lshlrev_b32_e32 v6, 2, v6
	ds_write_b32 v6, v9
	v_sub_u32_e32 v6, v23, v17
	v_sub_u32_e32 v7, v27, v6
	v_and_b32_e32 v8, 1, v29
	v_add_u32_e32 v7, 4, v7
	v_cmp_eq_u32_e32 vcc, 1, v8
	v_cndmask_b32_e32 v6, v7, v6, vcc
	v_lshlrev_b32_e32 v6, 2, v6
	v_lshrrev_b32_e32 v33, 8, v29
	ds_write_b32 v6, v2
	v_sub_u32_e32 v2, v22, v17
	v_sub_u32_e32 v6, v27, v2
	v_and_b32_e32 v7, 1, v33
	v_add_u32_e32 v6, 5, v6
	v_cmp_eq_u32_e32 vcc, 1, v7
	v_cndmask_b32_e32 v2, v6, v2, vcc
	v_lshlrev_b32_e32 v2, 2, v2
	ds_write_b32 v2, v3
	v_sub_u32_e32 v2, v21, v17
	v_sub_u32_e32 v3, v27, v2
	v_and_b32_sdwa v6, v25, v29 dst_sel:DWORD dst_unused:UNUSED_PAD src0_sel:DWORD src1_sel:WORD_1
	v_add_u32_e32 v3, 6, v3
	v_cmp_eq_u32_e32 vcc, 1, v6
	v_cndmask_b32_e32 v2, v3, v2, vcc
	v_lshlrev_b32_e32 v2, 2, v2
	ds_write_b32 v2, v4
	v_sub_u32_e32 v2, v20, v17
	v_sub_u32_e32 v3, v27, v2
	v_and_b32_e32 v4, 1, v31
	v_add_u32_e32 v3, 7, v3
	v_cmp_eq_u32_e32 vcc, 1, v4
	v_cndmask_b32_e32 v2, v3, v2, vcc
	v_lshlrev_b32_e32 v2, 2, v2
	ds_write_b32 v2, v5
	v_sub_u32_e32 v2, v19, v17
	v_sub_u32_e32 v3, v27, v2
	v_and_b32_e32 v4, 1, v28
	v_add_u32_e32 v3, 8, v3
	v_cmp_eq_u32_e32 vcc, 1, v4
	v_cndmask_b32_e32 v2, v3, v2, vcc
	v_lshlrev_b32_e32 v2, 2, v2
	ds_write_b32 v2, v10
	v_sub_u32_e32 v2, v18, v17
	v_sub_u32_e32 v3, v27, v2
	v_and_b32_e32 v4, 1, v26
	v_add_u32_e32 v3, 9, v3
	v_cmp_eq_u32_e32 vcc, 1, v4
	v_cndmask_b32_e32 v2, v3, v2, vcc
	s_waitcnt vmcnt(0)
	v_add_co_u32_e32 v30, vcc, v12, v17
	v_lshlrev_b32_e32 v2, 2, v2
	v_addc_co_u32_e32 v31, vcc, 0, v13, vcc
	ds_write_b32 v2, v11
	v_add_co_u32_e32 v2, vcc, v30, v16
	v_addc_co_u32_e32 v3, vcc, 0, v31, vcc
	v_mov_b32_e32 v13, s31
	v_sub_co_u32_e32 v12, vcc, s30, v2
	v_subb_co_u32_e32 v13, vcc, v13, v3, vcc
	v_lshlrev_b64 v[12:13], 2, v[12:13]
	v_mov_b32_e32 v17, s27
	v_add_co_u32_e32 v12, vcc, s26, v12
	s_waitcnt lgkmcnt(0)
	s_barrier
	ds_read2st64_b32 v[18:19], v1 offset1:4
	ds_read2st64_b32 v[10:11], v1 offset0:8 offset1:12
	ds_read2st64_b32 v[8:9], v1 offset0:16 offset1:20
	;; [unrolled: 1-line block ×4, first 2 shown]
	v_addc_co_u32_e32 v13, vcc, v17, v13, vcc
	v_add_co_u32_e32 v12, vcc, v12, v14
	v_addc_co_u32_e32 v13, vcc, v13, v15, vcc
	v_lshlrev_b64 v[14:15], 2, v[30:31]
	v_mov_b32_e32 v17, s25
	s_and_b64 vcc, exec, s[2:3]
	v_add_co_u32_e64 v14, s[2:3], s24, v14
	v_or_b32_e32 v28, 0x100, v0
	v_or_b32_e32 v27, 0x200, v0
	;; [unrolled: 1-line block ×9, first 2 shown]
	v_addc_co_u32_e64 v15, s[2:3], v17, v15, s[2:3]
	s_cbranch_vccnz .LBB347_71
; %bb.70:
	v_cmp_gt_u32_e32 vcc, v16, v0
	v_cndmask_b32_e32 v29, v12, v14, vcc
	v_cndmask_b32_e32 v17, v13, v15, vcc
	v_add_co_u32_e32 v30, vcc, v29, v1
	v_addc_co_u32_e32 v31, vcc, 0, v17, vcc
	v_cmp_lt_u32_e32 vcc, v28, v16
	v_cndmask_b32_e32 v29, v12, v14, vcc
	s_waitcnt lgkmcnt(4)
	global_store_dword v[30:31], v18, off
	v_cndmask_b32_e32 v17, v13, v15, vcc
	v_add_co_u32_e32 v30, vcc, v29, v1
	v_addc_co_u32_e32 v31, vcc, 0, v17, vcc
	v_cmp_lt_u32_e32 vcc, v27, v16
	v_cndmask_b32_e32 v29, v12, v14, vcc
	global_store_dword v[30:31], v19, off offset:1024
	v_cndmask_b32_e32 v17, v13, v15, vcc
	v_add_co_u32_e32 v30, vcc, v29, v1
	v_addc_co_u32_e32 v31, vcc, 0, v17, vcc
	v_cmp_lt_u32_e32 vcc, v26, v16
	v_cndmask_b32_e32 v29, v12, v14, vcc
	s_waitcnt lgkmcnt(3)
	global_store_dword v[30:31], v10, off offset:2048
	v_cndmask_b32_e32 v17, v13, v15, vcc
	v_add_co_u32_e32 v30, vcc, v29, v1
	v_addc_co_u32_e32 v31, vcc, 0, v17, vcc
	v_cmp_lt_u32_e32 vcc, v25, v16
	global_store_dword v[30:31], v11, off offset:3072
	v_cndmask_b32_e32 v29, v12, v14, vcc
	v_lshlrev_b32_e32 v30, 2, v25
	v_cndmask_b32_e32 v17, v13, v15, vcc
	v_add_co_u32_e32 v30, vcc, v29, v30
	v_addc_co_u32_e32 v31, vcc, 0, v17, vcc
	v_cmp_lt_u32_e32 vcc, v24, v16
	s_waitcnt lgkmcnt(2)
	global_store_dword v[30:31], v8, off
	v_cndmask_b32_e32 v29, v12, v14, vcc
	v_lshlrev_b32_e32 v30, 2, v24
	v_cndmask_b32_e32 v17, v13, v15, vcc
	v_add_co_u32_e32 v30, vcc, v29, v30
	v_addc_co_u32_e32 v31, vcc, 0, v17, vcc
	v_cmp_lt_u32_e32 vcc, v23, v16
	global_store_dword v[30:31], v9, off
	v_cndmask_b32_e32 v29, v12, v14, vcc
	v_lshlrev_b32_e32 v30, 2, v23
	v_cndmask_b32_e32 v17, v13, v15, vcc
	v_add_co_u32_e32 v30, vcc, v29, v30
	v_addc_co_u32_e32 v31, vcc, 0, v17, vcc
	v_cmp_lt_u32_e32 vcc, v22, v16
	s_waitcnt lgkmcnt(1)
	global_store_dword v[30:31], v6, off
	v_cndmask_b32_e32 v29, v12, v14, vcc
	v_lshlrev_b32_e32 v30, 2, v22
	v_cndmask_b32_e32 v17, v13, v15, vcc
	v_add_co_u32_e32 v30, vcc, v29, v30
	v_addc_co_u32_e32 v31, vcc, 0, v17, vcc
	v_cmp_lt_u32_e32 vcc, v21, v16
	global_store_dword v[30:31], v7, off
	v_cndmask_b32_e32 v29, v12, v14, vcc
	v_lshlrev_b32_e32 v30, 2, v21
	v_cndmask_b32_e32 v17, v13, v15, vcc
	v_add_co_u32_e32 v30, vcc, v29, v30
	v_addc_co_u32_e32 v31, vcc, 0, v17, vcc
	s_mov_b64 s[2:3], -1
	s_waitcnt lgkmcnt(0)
	global_store_dword v[30:31], v4, off
	s_cbranch_execz .LBB347_72
	s_branch .LBB347_83
.LBB347_71:
	s_mov_b64 s[2:3], 0
.LBB347_72:
	v_cmp_gt_u32_e32 vcc, s33, v0
	s_and_saveexec_b64 s[2:3], vcc
	s_cbranch_execnz .LBB347_88
; %bb.73:
	s_or_b64 exec, exec, s[2:3]
	v_cmp_gt_u32_e32 vcc, s33, v28
	s_and_saveexec_b64 s[2:3], vcc
	s_cbranch_execnz .LBB347_89
.LBB347_74:
	s_or_b64 exec, exec, s[2:3]
	v_cmp_gt_u32_e32 vcc, s33, v27
	s_and_saveexec_b64 s[2:3], vcc
	s_cbranch_execnz .LBB347_90
.LBB347_75:
	s_or_b64 exec, exec, s[2:3]
	v_cmp_gt_u32_e32 vcc, s33, v26
	s_and_saveexec_b64 s[2:3], vcc
	s_cbranch_execnz .LBB347_91
.LBB347_76:
	s_or_b64 exec, exec, s[2:3]
	v_cmp_gt_u32_e32 vcc, s33, v25
	s_and_saveexec_b64 s[2:3], vcc
	s_cbranch_execnz .LBB347_92
.LBB347_77:
	s_or_b64 exec, exec, s[2:3]
	v_cmp_gt_u32_e32 vcc, s33, v24
	s_and_saveexec_b64 s[2:3], vcc
	s_cbranch_execnz .LBB347_93
.LBB347_78:
	s_or_b64 exec, exec, s[2:3]
	v_cmp_gt_u32_e32 vcc, s33, v23
	s_and_saveexec_b64 s[2:3], vcc
	s_cbranch_execnz .LBB347_94
.LBB347_79:
	s_or_b64 exec, exec, s[2:3]
	v_cmp_gt_u32_e32 vcc, s33, v22
	s_and_saveexec_b64 s[2:3], vcc
	s_cbranch_execnz .LBB347_95
.LBB347_80:
	s_or_b64 exec, exec, s[2:3]
	v_cmp_gt_u32_e32 vcc, s33, v21
	s_and_saveexec_b64 s[2:3], vcc
	s_cbranch_execz .LBB347_82
.LBB347_81:
	v_cmp_lt_u32_e32 vcc, v21, v16
	v_cndmask_b32_e32 v0, v12, v14, vcc
	s_waitcnt lgkmcnt(1)
	v_lshlrev_b32_e32 v6, 2, v21
	v_cndmask_b32_e32 v1, v13, v15, vcc
	v_add_co_u32_e32 v0, vcc, v0, v6
	v_addc_co_u32_e32 v1, vcc, 0, v1, vcc
	s_waitcnt lgkmcnt(0)
	global_store_dword v[0:1], v4, off
.LBB347_82:
	s_or_b64 exec, exec, s[2:3]
	v_cmp_gt_u32_e64 s[2:3], s33, v20
.LBB347_83:
	s_and_saveexec_b64 s[4:5], s[2:3]
	s_cbranch_execnz .LBB347_86
; %bb.84:
	s_or_b64 exec, exec, s[4:5]
	s_and_b64 s[0:1], s[0:1], s[22:23]
	s_and_saveexec_b64 s[2:3], s[0:1]
	s_cbranch_execnz .LBB347_87
.LBB347_85:
	s_endpgm
.LBB347_86:
	v_cmp_lt_u32_e32 vcc, v20, v16
	v_cndmask_b32_e32 v0, v12, v14, vcc
	s_waitcnt lgkmcnt(0)
	v_lshlrev_b32_e32 v4, 2, v20
	v_cndmask_b32_e32 v1, v13, v15, vcc
	v_add_co_u32_e32 v0, vcc, v0, v4
	v_addc_co_u32_e32 v1, vcc, 0, v1, vcc
	global_store_dword v[0:1], v5, off
	s_or_b64 exec, exec, s[4:5]
	s_and_b64 s[0:1], s[0:1], s[22:23]
	s_and_saveexec_b64 s[2:3], s[0:1]
	s_cbranch_execz .LBB347_85
.LBB347_87:
	v_mov_b32_e32 v0, 0
	global_store_dwordx2 v0, v[2:3], s[20:21]
	s_endpgm
.LBB347_88:
	v_cmp_gt_u32_e32 vcc, v16, v0
	v_cndmask_b32_e32 v17, v12, v14, vcc
	v_cndmask_b32_e32 v0, v13, v15, vcc
	v_add_co_u32_e32 v30, vcc, v17, v1
	v_addc_co_u32_e32 v31, vcc, 0, v0, vcc
	s_waitcnt lgkmcnt(4)
	global_store_dword v[30:31], v18, off
	s_or_b64 exec, exec, s[2:3]
	v_cmp_gt_u32_e32 vcc, s33, v28
	s_and_saveexec_b64 s[2:3], vcc
	s_cbranch_execz .LBB347_74
.LBB347_89:
	v_cmp_lt_u32_e32 vcc, v28, v16
	v_cndmask_b32_e32 v17, v12, v14, vcc
	v_cndmask_b32_e32 v0, v13, v15, vcc
	v_add_co_u32_e32 v28, vcc, v17, v1
	v_addc_co_u32_e32 v29, vcc, 0, v0, vcc
	s_waitcnt lgkmcnt(4)
	global_store_dword v[28:29], v19, off offset:1024
	s_or_b64 exec, exec, s[2:3]
	v_cmp_gt_u32_e32 vcc, s33, v27
	s_and_saveexec_b64 s[2:3], vcc
	s_cbranch_execz .LBB347_75
.LBB347_90:
	v_cmp_lt_u32_e32 vcc, v27, v16
	v_cndmask_b32_e32 v17, v12, v14, vcc
	v_cndmask_b32_e32 v0, v13, v15, vcc
	s_waitcnt lgkmcnt(4)
	v_add_co_u32_e32 v18, vcc, v17, v1
	v_addc_co_u32_e32 v19, vcc, 0, v0, vcc
	s_waitcnt lgkmcnt(3)
	global_store_dword v[18:19], v10, off offset:2048
	s_or_b64 exec, exec, s[2:3]
	v_cmp_gt_u32_e32 vcc, s33, v26
	s_and_saveexec_b64 s[2:3], vcc
	s_cbranch_execz .LBB347_76
.LBB347_91:
	v_cmp_lt_u32_e32 vcc, v26, v16
	v_cndmask_b32_e32 v0, v12, v14, vcc
	s_waitcnt lgkmcnt(3)
	v_cndmask_b32_e32 v10, v13, v15, vcc
	v_add_co_u32_e32 v0, vcc, v0, v1
	v_addc_co_u32_e32 v1, vcc, 0, v10, vcc
	global_store_dword v[0:1], v11, off offset:3072
	s_or_b64 exec, exec, s[2:3]
	v_cmp_gt_u32_e32 vcc, s33, v25
	s_and_saveexec_b64 s[2:3], vcc
	s_cbranch_execz .LBB347_77
.LBB347_92:
	v_cmp_lt_u32_e32 vcc, v25, v16
	v_cndmask_b32_e32 v0, v12, v14, vcc
	s_waitcnt lgkmcnt(3)
	v_lshlrev_b32_e32 v10, 2, v25
	v_cndmask_b32_e32 v1, v13, v15, vcc
	v_add_co_u32_e32 v0, vcc, v0, v10
	v_addc_co_u32_e32 v1, vcc, 0, v1, vcc
	s_waitcnt lgkmcnt(2)
	global_store_dword v[0:1], v8, off
	s_or_b64 exec, exec, s[2:3]
	v_cmp_gt_u32_e32 vcc, s33, v24
	s_and_saveexec_b64 s[2:3], vcc
	s_cbranch_execz .LBB347_78
.LBB347_93:
	v_cmp_lt_u32_e32 vcc, v24, v16
	v_cndmask_b32_e32 v0, v12, v14, vcc
	s_waitcnt lgkmcnt(2)
	v_lshlrev_b32_e32 v8, 2, v24
	v_cndmask_b32_e32 v1, v13, v15, vcc
	v_add_co_u32_e32 v0, vcc, v0, v8
	v_addc_co_u32_e32 v1, vcc, 0, v1, vcc
	global_store_dword v[0:1], v9, off
	s_or_b64 exec, exec, s[2:3]
	v_cmp_gt_u32_e32 vcc, s33, v23
	s_and_saveexec_b64 s[2:3], vcc
	s_cbranch_execz .LBB347_79
.LBB347_94:
	v_cmp_lt_u32_e32 vcc, v23, v16
	v_cndmask_b32_e32 v0, v12, v14, vcc
	s_waitcnt lgkmcnt(2)
	v_lshlrev_b32_e32 v8, 2, v23
	v_cndmask_b32_e32 v1, v13, v15, vcc
	v_add_co_u32_e32 v0, vcc, v0, v8
	v_addc_co_u32_e32 v1, vcc, 0, v1, vcc
	s_waitcnt lgkmcnt(1)
	global_store_dword v[0:1], v6, off
	s_or_b64 exec, exec, s[2:3]
	v_cmp_gt_u32_e32 vcc, s33, v22
	s_and_saveexec_b64 s[2:3], vcc
	s_cbranch_execz .LBB347_80
.LBB347_95:
	v_cmp_lt_u32_e32 vcc, v22, v16
	v_cndmask_b32_e32 v0, v12, v14, vcc
	s_waitcnt lgkmcnt(1)
	v_lshlrev_b32_e32 v6, 2, v22
	v_cndmask_b32_e32 v1, v13, v15, vcc
	v_add_co_u32_e32 v0, vcc, v0, v6
	v_addc_co_u32_e32 v1, vcc, 0, v1, vcc
	global_store_dword v[0:1], v7, off
	s_or_b64 exec, exec, s[2:3]
	v_cmp_gt_u32_e32 vcc, s33, v21
	s_and_saveexec_b64 s[2:3], vcc
	s_cbranch_execnz .LBB347_81
	s_branch .LBB347_82
	.section	.rodata,"a",@progbits
	.p2align	6, 0x0
	.amdhsa_kernel _ZN7rocprim17ROCPRIM_400000_NS6detail17trampoline_kernelINS0_14default_configENS1_25partition_config_selectorILNS1_17partition_subalgoE0EiNS0_10empty_typeEbEEZZNS1_14partition_implILS5_0ELb0ES3_jN6thrust23THRUST_200600_302600_NS6detail15normal_iteratorINSA_10device_ptrIiEEEEPS6_SG_NS0_5tupleIJSF_SF_EEENSH_IJSG_SG_EEES6_PlJ7is_evenIiEEEE10hipError_tPvRmT3_T4_T5_T6_T7_T9_mT8_P12ihipStream_tbDpT10_ENKUlT_T0_E_clISt17integral_constantIbLb0EES15_IbLb1EEEEDaS11_S12_EUlS11_E_NS1_11comp_targetILNS1_3genE4ELNS1_11target_archE910ELNS1_3gpuE8ELNS1_3repE0EEENS1_30default_config_static_selectorELNS0_4arch9wavefront6targetE1EEEvT1_
		.amdhsa_group_segment_fixed_size 10248
		.amdhsa_private_segment_fixed_size 0
		.amdhsa_kernarg_size 136
		.amdhsa_user_sgpr_count 6
		.amdhsa_user_sgpr_private_segment_buffer 1
		.amdhsa_user_sgpr_dispatch_ptr 0
		.amdhsa_user_sgpr_queue_ptr 0
		.amdhsa_user_sgpr_kernarg_segment_ptr 1
		.amdhsa_user_sgpr_dispatch_id 0
		.amdhsa_user_sgpr_flat_scratch_init 0
		.amdhsa_user_sgpr_kernarg_preload_length 0
		.amdhsa_user_sgpr_kernarg_preload_offset 0
		.amdhsa_user_sgpr_private_segment_size 0
		.amdhsa_uses_dynamic_stack 0
		.amdhsa_system_sgpr_private_segment_wavefront_offset 0
		.amdhsa_system_sgpr_workgroup_id_x 1
		.amdhsa_system_sgpr_workgroup_id_y 0
		.amdhsa_system_sgpr_workgroup_id_z 0
		.amdhsa_system_sgpr_workgroup_info 0
		.amdhsa_system_vgpr_workitem_id 0
		.amdhsa_next_free_vgpr 58
		.amdhsa_next_free_sgpr 44
		.amdhsa_accum_offset 60
		.amdhsa_reserve_vcc 1
		.amdhsa_reserve_flat_scratch 0
		.amdhsa_float_round_mode_32 0
		.amdhsa_float_round_mode_16_64 0
		.amdhsa_float_denorm_mode_32 3
		.amdhsa_float_denorm_mode_16_64 3
		.amdhsa_dx10_clamp 1
		.amdhsa_ieee_mode 1
		.amdhsa_fp16_overflow 0
		.amdhsa_tg_split 0
		.amdhsa_exception_fp_ieee_invalid_op 0
		.amdhsa_exception_fp_denorm_src 0
		.amdhsa_exception_fp_ieee_div_zero 0
		.amdhsa_exception_fp_ieee_overflow 0
		.amdhsa_exception_fp_ieee_underflow 0
		.amdhsa_exception_fp_ieee_inexact 0
		.amdhsa_exception_int_div_zero 0
	.end_amdhsa_kernel
	.section	.text._ZN7rocprim17ROCPRIM_400000_NS6detail17trampoline_kernelINS0_14default_configENS1_25partition_config_selectorILNS1_17partition_subalgoE0EiNS0_10empty_typeEbEEZZNS1_14partition_implILS5_0ELb0ES3_jN6thrust23THRUST_200600_302600_NS6detail15normal_iteratorINSA_10device_ptrIiEEEEPS6_SG_NS0_5tupleIJSF_SF_EEENSH_IJSG_SG_EEES6_PlJ7is_evenIiEEEE10hipError_tPvRmT3_T4_T5_T6_T7_T9_mT8_P12ihipStream_tbDpT10_ENKUlT_T0_E_clISt17integral_constantIbLb0EES15_IbLb1EEEEDaS11_S12_EUlS11_E_NS1_11comp_targetILNS1_3genE4ELNS1_11target_archE910ELNS1_3gpuE8ELNS1_3repE0EEENS1_30default_config_static_selectorELNS0_4arch9wavefront6targetE1EEEvT1_,"axG",@progbits,_ZN7rocprim17ROCPRIM_400000_NS6detail17trampoline_kernelINS0_14default_configENS1_25partition_config_selectorILNS1_17partition_subalgoE0EiNS0_10empty_typeEbEEZZNS1_14partition_implILS5_0ELb0ES3_jN6thrust23THRUST_200600_302600_NS6detail15normal_iteratorINSA_10device_ptrIiEEEEPS6_SG_NS0_5tupleIJSF_SF_EEENSH_IJSG_SG_EEES6_PlJ7is_evenIiEEEE10hipError_tPvRmT3_T4_T5_T6_T7_T9_mT8_P12ihipStream_tbDpT10_ENKUlT_T0_E_clISt17integral_constantIbLb0EES15_IbLb1EEEEDaS11_S12_EUlS11_E_NS1_11comp_targetILNS1_3genE4ELNS1_11target_archE910ELNS1_3gpuE8ELNS1_3repE0EEENS1_30default_config_static_selectorELNS0_4arch9wavefront6targetE1EEEvT1_,comdat
.Lfunc_end347:
	.size	_ZN7rocprim17ROCPRIM_400000_NS6detail17trampoline_kernelINS0_14default_configENS1_25partition_config_selectorILNS1_17partition_subalgoE0EiNS0_10empty_typeEbEEZZNS1_14partition_implILS5_0ELb0ES3_jN6thrust23THRUST_200600_302600_NS6detail15normal_iteratorINSA_10device_ptrIiEEEEPS6_SG_NS0_5tupleIJSF_SF_EEENSH_IJSG_SG_EEES6_PlJ7is_evenIiEEEE10hipError_tPvRmT3_T4_T5_T6_T7_T9_mT8_P12ihipStream_tbDpT10_ENKUlT_T0_E_clISt17integral_constantIbLb0EES15_IbLb1EEEEDaS11_S12_EUlS11_E_NS1_11comp_targetILNS1_3genE4ELNS1_11target_archE910ELNS1_3gpuE8ELNS1_3repE0EEENS1_30default_config_static_selectorELNS0_4arch9wavefront6targetE1EEEvT1_, .Lfunc_end347-_ZN7rocprim17ROCPRIM_400000_NS6detail17trampoline_kernelINS0_14default_configENS1_25partition_config_selectorILNS1_17partition_subalgoE0EiNS0_10empty_typeEbEEZZNS1_14partition_implILS5_0ELb0ES3_jN6thrust23THRUST_200600_302600_NS6detail15normal_iteratorINSA_10device_ptrIiEEEEPS6_SG_NS0_5tupleIJSF_SF_EEENSH_IJSG_SG_EEES6_PlJ7is_evenIiEEEE10hipError_tPvRmT3_T4_T5_T6_T7_T9_mT8_P12ihipStream_tbDpT10_ENKUlT_T0_E_clISt17integral_constantIbLb0EES15_IbLb1EEEEDaS11_S12_EUlS11_E_NS1_11comp_targetILNS1_3genE4ELNS1_11target_archE910ELNS1_3gpuE8ELNS1_3repE0EEENS1_30default_config_static_selectorELNS0_4arch9wavefront6targetE1EEEvT1_
                                        ; -- End function
	.section	.AMDGPU.csdata,"",@progbits
; Kernel info:
; codeLenInByte = 5132
; NumSgprs: 48
; NumVgprs: 58
; NumAgprs: 0
; TotalNumVgprs: 58
; ScratchSize: 0
; MemoryBound: 0
; FloatMode: 240
; IeeeMode: 1
; LDSByteSize: 10248 bytes/workgroup (compile time only)
; SGPRBlocks: 5
; VGPRBlocks: 7
; NumSGPRsForWavesPerEU: 48
; NumVGPRsForWavesPerEU: 58
; AccumOffset: 60
; Occupancy: 6
; WaveLimiterHint : 1
; COMPUTE_PGM_RSRC2:SCRATCH_EN: 0
; COMPUTE_PGM_RSRC2:USER_SGPR: 6
; COMPUTE_PGM_RSRC2:TRAP_HANDLER: 0
; COMPUTE_PGM_RSRC2:TGID_X_EN: 1
; COMPUTE_PGM_RSRC2:TGID_Y_EN: 0
; COMPUTE_PGM_RSRC2:TGID_Z_EN: 0
; COMPUTE_PGM_RSRC2:TIDIG_COMP_CNT: 0
; COMPUTE_PGM_RSRC3_GFX90A:ACCUM_OFFSET: 14
; COMPUTE_PGM_RSRC3_GFX90A:TG_SPLIT: 0
	.section	.text._ZN7rocprim17ROCPRIM_400000_NS6detail17trampoline_kernelINS0_14default_configENS1_25partition_config_selectorILNS1_17partition_subalgoE0EiNS0_10empty_typeEbEEZZNS1_14partition_implILS5_0ELb0ES3_jN6thrust23THRUST_200600_302600_NS6detail15normal_iteratorINSA_10device_ptrIiEEEEPS6_SG_NS0_5tupleIJSF_SF_EEENSH_IJSG_SG_EEES6_PlJ7is_evenIiEEEE10hipError_tPvRmT3_T4_T5_T6_T7_T9_mT8_P12ihipStream_tbDpT10_ENKUlT_T0_E_clISt17integral_constantIbLb0EES15_IbLb1EEEEDaS11_S12_EUlS11_E_NS1_11comp_targetILNS1_3genE3ELNS1_11target_archE908ELNS1_3gpuE7ELNS1_3repE0EEENS1_30default_config_static_selectorELNS0_4arch9wavefront6targetE1EEEvT1_,"axG",@progbits,_ZN7rocprim17ROCPRIM_400000_NS6detail17trampoline_kernelINS0_14default_configENS1_25partition_config_selectorILNS1_17partition_subalgoE0EiNS0_10empty_typeEbEEZZNS1_14partition_implILS5_0ELb0ES3_jN6thrust23THRUST_200600_302600_NS6detail15normal_iteratorINSA_10device_ptrIiEEEEPS6_SG_NS0_5tupleIJSF_SF_EEENSH_IJSG_SG_EEES6_PlJ7is_evenIiEEEE10hipError_tPvRmT3_T4_T5_T6_T7_T9_mT8_P12ihipStream_tbDpT10_ENKUlT_T0_E_clISt17integral_constantIbLb0EES15_IbLb1EEEEDaS11_S12_EUlS11_E_NS1_11comp_targetILNS1_3genE3ELNS1_11target_archE908ELNS1_3gpuE7ELNS1_3repE0EEENS1_30default_config_static_selectorELNS0_4arch9wavefront6targetE1EEEvT1_,comdat
	.protected	_ZN7rocprim17ROCPRIM_400000_NS6detail17trampoline_kernelINS0_14default_configENS1_25partition_config_selectorILNS1_17partition_subalgoE0EiNS0_10empty_typeEbEEZZNS1_14partition_implILS5_0ELb0ES3_jN6thrust23THRUST_200600_302600_NS6detail15normal_iteratorINSA_10device_ptrIiEEEEPS6_SG_NS0_5tupleIJSF_SF_EEENSH_IJSG_SG_EEES6_PlJ7is_evenIiEEEE10hipError_tPvRmT3_T4_T5_T6_T7_T9_mT8_P12ihipStream_tbDpT10_ENKUlT_T0_E_clISt17integral_constantIbLb0EES15_IbLb1EEEEDaS11_S12_EUlS11_E_NS1_11comp_targetILNS1_3genE3ELNS1_11target_archE908ELNS1_3gpuE7ELNS1_3repE0EEENS1_30default_config_static_selectorELNS0_4arch9wavefront6targetE1EEEvT1_ ; -- Begin function _ZN7rocprim17ROCPRIM_400000_NS6detail17trampoline_kernelINS0_14default_configENS1_25partition_config_selectorILNS1_17partition_subalgoE0EiNS0_10empty_typeEbEEZZNS1_14partition_implILS5_0ELb0ES3_jN6thrust23THRUST_200600_302600_NS6detail15normal_iteratorINSA_10device_ptrIiEEEEPS6_SG_NS0_5tupleIJSF_SF_EEENSH_IJSG_SG_EEES6_PlJ7is_evenIiEEEE10hipError_tPvRmT3_T4_T5_T6_T7_T9_mT8_P12ihipStream_tbDpT10_ENKUlT_T0_E_clISt17integral_constantIbLb0EES15_IbLb1EEEEDaS11_S12_EUlS11_E_NS1_11comp_targetILNS1_3genE3ELNS1_11target_archE908ELNS1_3gpuE7ELNS1_3repE0EEENS1_30default_config_static_selectorELNS0_4arch9wavefront6targetE1EEEvT1_
	.globl	_ZN7rocprim17ROCPRIM_400000_NS6detail17trampoline_kernelINS0_14default_configENS1_25partition_config_selectorILNS1_17partition_subalgoE0EiNS0_10empty_typeEbEEZZNS1_14partition_implILS5_0ELb0ES3_jN6thrust23THRUST_200600_302600_NS6detail15normal_iteratorINSA_10device_ptrIiEEEEPS6_SG_NS0_5tupleIJSF_SF_EEENSH_IJSG_SG_EEES6_PlJ7is_evenIiEEEE10hipError_tPvRmT3_T4_T5_T6_T7_T9_mT8_P12ihipStream_tbDpT10_ENKUlT_T0_E_clISt17integral_constantIbLb0EES15_IbLb1EEEEDaS11_S12_EUlS11_E_NS1_11comp_targetILNS1_3genE3ELNS1_11target_archE908ELNS1_3gpuE7ELNS1_3repE0EEENS1_30default_config_static_selectorELNS0_4arch9wavefront6targetE1EEEvT1_
	.p2align	8
	.type	_ZN7rocprim17ROCPRIM_400000_NS6detail17trampoline_kernelINS0_14default_configENS1_25partition_config_selectorILNS1_17partition_subalgoE0EiNS0_10empty_typeEbEEZZNS1_14partition_implILS5_0ELb0ES3_jN6thrust23THRUST_200600_302600_NS6detail15normal_iteratorINSA_10device_ptrIiEEEEPS6_SG_NS0_5tupleIJSF_SF_EEENSH_IJSG_SG_EEES6_PlJ7is_evenIiEEEE10hipError_tPvRmT3_T4_T5_T6_T7_T9_mT8_P12ihipStream_tbDpT10_ENKUlT_T0_E_clISt17integral_constantIbLb0EES15_IbLb1EEEEDaS11_S12_EUlS11_E_NS1_11comp_targetILNS1_3genE3ELNS1_11target_archE908ELNS1_3gpuE7ELNS1_3repE0EEENS1_30default_config_static_selectorELNS0_4arch9wavefront6targetE1EEEvT1_,@function
_ZN7rocprim17ROCPRIM_400000_NS6detail17trampoline_kernelINS0_14default_configENS1_25partition_config_selectorILNS1_17partition_subalgoE0EiNS0_10empty_typeEbEEZZNS1_14partition_implILS5_0ELb0ES3_jN6thrust23THRUST_200600_302600_NS6detail15normal_iteratorINSA_10device_ptrIiEEEEPS6_SG_NS0_5tupleIJSF_SF_EEENSH_IJSG_SG_EEES6_PlJ7is_evenIiEEEE10hipError_tPvRmT3_T4_T5_T6_T7_T9_mT8_P12ihipStream_tbDpT10_ENKUlT_T0_E_clISt17integral_constantIbLb0EES15_IbLb1EEEEDaS11_S12_EUlS11_E_NS1_11comp_targetILNS1_3genE3ELNS1_11target_archE908ELNS1_3gpuE7ELNS1_3repE0EEENS1_30default_config_static_selectorELNS0_4arch9wavefront6targetE1EEEvT1_: ; @_ZN7rocprim17ROCPRIM_400000_NS6detail17trampoline_kernelINS0_14default_configENS1_25partition_config_selectorILNS1_17partition_subalgoE0EiNS0_10empty_typeEbEEZZNS1_14partition_implILS5_0ELb0ES3_jN6thrust23THRUST_200600_302600_NS6detail15normal_iteratorINSA_10device_ptrIiEEEEPS6_SG_NS0_5tupleIJSF_SF_EEENSH_IJSG_SG_EEES6_PlJ7is_evenIiEEEE10hipError_tPvRmT3_T4_T5_T6_T7_T9_mT8_P12ihipStream_tbDpT10_ENKUlT_T0_E_clISt17integral_constantIbLb0EES15_IbLb1EEEEDaS11_S12_EUlS11_E_NS1_11comp_targetILNS1_3genE3ELNS1_11target_archE908ELNS1_3gpuE7ELNS1_3repE0EEENS1_30default_config_static_selectorELNS0_4arch9wavefront6targetE1EEEvT1_
; %bb.0:
	.section	.rodata,"a",@progbits
	.p2align	6, 0x0
	.amdhsa_kernel _ZN7rocprim17ROCPRIM_400000_NS6detail17trampoline_kernelINS0_14default_configENS1_25partition_config_selectorILNS1_17partition_subalgoE0EiNS0_10empty_typeEbEEZZNS1_14partition_implILS5_0ELb0ES3_jN6thrust23THRUST_200600_302600_NS6detail15normal_iteratorINSA_10device_ptrIiEEEEPS6_SG_NS0_5tupleIJSF_SF_EEENSH_IJSG_SG_EEES6_PlJ7is_evenIiEEEE10hipError_tPvRmT3_T4_T5_T6_T7_T9_mT8_P12ihipStream_tbDpT10_ENKUlT_T0_E_clISt17integral_constantIbLb0EES15_IbLb1EEEEDaS11_S12_EUlS11_E_NS1_11comp_targetILNS1_3genE3ELNS1_11target_archE908ELNS1_3gpuE7ELNS1_3repE0EEENS1_30default_config_static_selectorELNS0_4arch9wavefront6targetE1EEEvT1_
		.amdhsa_group_segment_fixed_size 0
		.amdhsa_private_segment_fixed_size 0
		.amdhsa_kernarg_size 136
		.amdhsa_user_sgpr_count 6
		.amdhsa_user_sgpr_private_segment_buffer 1
		.amdhsa_user_sgpr_dispatch_ptr 0
		.amdhsa_user_sgpr_queue_ptr 0
		.amdhsa_user_sgpr_kernarg_segment_ptr 1
		.amdhsa_user_sgpr_dispatch_id 0
		.amdhsa_user_sgpr_flat_scratch_init 0
		.amdhsa_user_sgpr_kernarg_preload_length 0
		.amdhsa_user_sgpr_kernarg_preload_offset 0
		.amdhsa_user_sgpr_private_segment_size 0
		.amdhsa_uses_dynamic_stack 0
		.amdhsa_system_sgpr_private_segment_wavefront_offset 0
		.amdhsa_system_sgpr_workgroup_id_x 1
		.amdhsa_system_sgpr_workgroup_id_y 0
		.amdhsa_system_sgpr_workgroup_id_z 0
		.amdhsa_system_sgpr_workgroup_info 0
		.amdhsa_system_vgpr_workitem_id 0
		.amdhsa_next_free_vgpr 1
		.amdhsa_next_free_sgpr 0
		.amdhsa_accum_offset 4
		.amdhsa_reserve_vcc 0
		.amdhsa_reserve_flat_scratch 0
		.amdhsa_float_round_mode_32 0
		.amdhsa_float_round_mode_16_64 0
		.amdhsa_float_denorm_mode_32 3
		.amdhsa_float_denorm_mode_16_64 3
		.amdhsa_dx10_clamp 1
		.amdhsa_ieee_mode 1
		.amdhsa_fp16_overflow 0
		.amdhsa_tg_split 0
		.amdhsa_exception_fp_ieee_invalid_op 0
		.amdhsa_exception_fp_denorm_src 0
		.amdhsa_exception_fp_ieee_div_zero 0
		.amdhsa_exception_fp_ieee_overflow 0
		.amdhsa_exception_fp_ieee_underflow 0
		.amdhsa_exception_fp_ieee_inexact 0
		.amdhsa_exception_int_div_zero 0
	.end_amdhsa_kernel
	.section	.text._ZN7rocprim17ROCPRIM_400000_NS6detail17trampoline_kernelINS0_14default_configENS1_25partition_config_selectorILNS1_17partition_subalgoE0EiNS0_10empty_typeEbEEZZNS1_14partition_implILS5_0ELb0ES3_jN6thrust23THRUST_200600_302600_NS6detail15normal_iteratorINSA_10device_ptrIiEEEEPS6_SG_NS0_5tupleIJSF_SF_EEENSH_IJSG_SG_EEES6_PlJ7is_evenIiEEEE10hipError_tPvRmT3_T4_T5_T6_T7_T9_mT8_P12ihipStream_tbDpT10_ENKUlT_T0_E_clISt17integral_constantIbLb0EES15_IbLb1EEEEDaS11_S12_EUlS11_E_NS1_11comp_targetILNS1_3genE3ELNS1_11target_archE908ELNS1_3gpuE7ELNS1_3repE0EEENS1_30default_config_static_selectorELNS0_4arch9wavefront6targetE1EEEvT1_,"axG",@progbits,_ZN7rocprim17ROCPRIM_400000_NS6detail17trampoline_kernelINS0_14default_configENS1_25partition_config_selectorILNS1_17partition_subalgoE0EiNS0_10empty_typeEbEEZZNS1_14partition_implILS5_0ELb0ES3_jN6thrust23THRUST_200600_302600_NS6detail15normal_iteratorINSA_10device_ptrIiEEEEPS6_SG_NS0_5tupleIJSF_SF_EEENSH_IJSG_SG_EEES6_PlJ7is_evenIiEEEE10hipError_tPvRmT3_T4_T5_T6_T7_T9_mT8_P12ihipStream_tbDpT10_ENKUlT_T0_E_clISt17integral_constantIbLb0EES15_IbLb1EEEEDaS11_S12_EUlS11_E_NS1_11comp_targetILNS1_3genE3ELNS1_11target_archE908ELNS1_3gpuE7ELNS1_3repE0EEENS1_30default_config_static_selectorELNS0_4arch9wavefront6targetE1EEEvT1_,comdat
.Lfunc_end348:
	.size	_ZN7rocprim17ROCPRIM_400000_NS6detail17trampoline_kernelINS0_14default_configENS1_25partition_config_selectorILNS1_17partition_subalgoE0EiNS0_10empty_typeEbEEZZNS1_14partition_implILS5_0ELb0ES3_jN6thrust23THRUST_200600_302600_NS6detail15normal_iteratorINSA_10device_ptrIiEEEEPS6_SG_NS0_5tupleIJSF_SF_EEENSH_IJSG_SG_EEES6_PlJ7is_evenIiEEEE10hipError_tPvRmT3_T4_T5_T6_T7_T9_mT8_P12ihipStream_tbDpT10_ENKUlT_T0_E_clISt17integral_constantIbLb0EES15_IbLb1EEEEDaS11_S12_EUlS11_E_NS1_11comp_targetILNS1_3genE3ELNS1_11target_archE908ELNS1_3gpuE7ELNS1_3repE0EEENS1_30default_config_static_selectorELNS0_4arch9wavefront6targetE1EEEvT1_, .Lfunc_end348-_ZN7rocprim17ROCPRIM_400000_NS6detail17trampoline_kernelINS0_14default_configENS1_25partition_config_selectorILNS1_17partition_subalgoE0EiNS0_10empty_typeEbEEZZNS1_14partition_implILS5_0ELb0ES3_jN6thrust23THRUST_200600_302600_NS6detail15normal_iteratorINSA_10device_ptrIiEEEEPS6_SG_NS0_5tupleIJSF_SF_EEENSH_IJSG_SG_EEES6_PlJ7is_evenIiEEEE10hipError_tPvRmT3_T4_T5_T6_T7_T9_mT8_P12ihipStream_tbDpT10_ENKUlT_T0_E_clISt17integral_constantIbLb0EES15_IbLb1EEEEDaS11_S12_EUlS11_E_NS1_11comp_targetILNS1_3genE3ELNS1_11target_archE908ELNS1_3gpuE7ELNS1_3repE0EEENS1_30default_config_static_selectorELNS0_4arch9wavefront6targetE1EEEvT1_
                                        ; -- End function
	.section	.AMDGPU.csdata,"",@progbits
; Kernel info:
; codeLenInByte = 0
; NumSgprs: 4
; NumVgprs: 0
; NumAgprs: 0
; TotalNumVgprs: 0
; ScratchSize: 0
; MemoryBound: 0
; FloatMode: 240
; IeeeMode: 1
; LDSByteSize: 0 bytes/workgroup (compile time only)
; SGPRBlocks: 0
; VGPRBlocks: 0
; NumSGPRsForWavesPerEU: 4
; NumVGPRsForWavesPerEU: 1
; AccumOffset: 4
; Occupancy: 8
; WaveLimiterHint : 0
; COMPUTE_PGM_RSRC2:SCRATCH_EN: 0
; COMPUTE_PGM_RSRC2:USER_SGPR: 6
; COMPUTE_PGM_RSRC2:TRAP_HANDLER: 0
; COMPUTE_PGM_RSRC2:TGID_X_EN: 1
; COMPUTE_PGM_RSRC2:TGID_Y_EN: 0
; COMPUTE_PGM_RSRC2:TGID_Z_EN: 0
; COMPUTE_PGM_RSRC2:TIDIG_COMP_CNT: 0
; COMPUTE_PGM_RSRC3_GFX90A:ACCUM_OFFSET: 0
; COMPUTE_PGM_RSRC3_GFX90A:TG_SPLIT: 0
	.section	.text._ZN7rocprim17ROCPRIM_400000_NS6detail17trampoline_kernelINS0_14default_configENS1_25partition_config_selectorILNS1_17partition_subalgoE0EiNS0_10empty_typeEbEEZZNS1_14partition_implILS5_0ELb0ES3_jN6thrust23THRUST_200600_302600_NS6detail15normal_iteratorINSA_10device_ptrIiEEEEPS6_SG_NS0_5tupleIJSF_SF_EEENSH_IJSG_SG_EEES6_PlJ7is_evenIiEEEE10hipError_tPvRmT3_T4_T5_T6_T7_T9_mT8_P12ihipStream_tbDpT10_ENKUlT_T0_E_clISt17integral_constantIbLb0EES15_IbLb1EEEEDaS11_S12_EUlS11_E_NS1_11comp_targetILNS1_3genE2ELNS1_11target_archE906ELNS1_3gpuE6ELNS1_3repE0EEENS1_30default_config_static_selectorELNS0_4arch9wavefront6targetE1EEEvT1_,"axG",@progbits,_ZN7rocprim17ROCPRIM_400000_NS6detail17trampoline_kernelINS0_14default_configENS1_25partition_config_selectorILNS1_17partition_subalgoE0EiNS0_10empty_typeEbEEZZNS1_14partition_implILS5_0ELb0ES3_jN6thrust23THRUST_200600_302600_NS6detail15normal_iteratorINSA_10device_ptrIiEEEEPS6_SG_NS0_5tupleIJSF_SF_EEENSH_IJSG_SG_EEES6_PlJ7is_evenIiEEEE10hipError_tPvRmT3_T4_T5_T6_T7_T9_mT8_P12ihipStream_tbDpT10_ENKUlT_T0_E_clISt17integral_constantIbLb0EES15_IbLb1EEEEDaS11_S12_EUlS11_E_NS1_11comp_targetILNS1_3genE2ELNS1_11target_archE906ELNS1_3gpuE6ELNS1_3repE0EEENS1_30default_config_static_selectorELNS0_4arch9wavefront6targetE1EEEvT1_,comdat
	.protected	_ZN7rocprim17ROCPRIM_400000_NS6detail17trampoline_kernelINS0_14default_configENS1_25partition_config_selectorILNS1_17partition_subalgoE0EiNS0_10empty_typeEbEEZZNS1_14partition_implILS5_0ELb0ES3_jN6thrust23THRUST_200600_302600_NS6detail15normal_iteratorINSA_10device_ptrIiEEEEPS6_SG_NS0_5tupleIJSF_SF_EEENSH_IJSG_SG_EEES6_PlJ7is_evenIiEEEE10hipError_tPvRmT3_T4_T5_T6_T7_T9_mT8_P12ihipStream_tbDpT10_ENKUlT_T0_E_clISt17integral_constantIbLb0EES15_IbLb1EEEEDaS11_S12_EUlS11_E_NS1_11comp_targetILNS1_3genE2ELNS1_11target_archE906ELNS1_3gpuE6ELNS1_3repE0EEENS1_30default_config_static_selectorELNS0_4arch9wavefront6targetE1EEEvT1_ ; -- Begin function _ZN7rocprim17ROCPRIM_400000_NS6detail17trampoline_kernelINS0_14default_configENS1_25partition_config_selectorILNS1_17partition_subalgoE0EiNS0_10empty_typeEbEEZZNS1_14partition_implILS5_0ELb0ES3_jN6thrust23THRUST_200600_302600_NS6detail15normal_iteratorINSA_10device_ptrIiEEEEPS6_SG_NS0_5tupleIJSF_SF_EEENSH_IJSG_SG_EEES6_PlJ7is_evenIiEEEE10hipError_tPvRmT3_T4_T5_T6_T7_T9_mT8_P12ihipStream_tbDpT10_ENKUlT_T0_E_clISt17integral_constantIbLb0EES15_IbLb1EEEEDaS11_S12_EUlS11_E_NS1_11comp_targetILNS1_3genE2ELNS1_11target_archE906ELNS1_3gpuE6ELNS1_3repE0EEENS1_30default_config_static_selectorELNS0_4arch9wavefront6targetE1EEEvT1_
	.globl	_ZN7rocprim17ROCPRIM_400000_NS6detail17trampoline_kernelINS0_14default_configENS1_25partition_config_selectorILNS1_17partition_subalgoE0EiNS0_10empty_typeEbEEZZNS1_14partition_implILS5_0ELb0ES3_jN6thrust23THRUST_200600_302600_NS6detail15normal_iteratorINSA_10device_ptrIiEEEEPS6_SG_NS0_5tupleIJSF_SF_EEENSH_IJSG_SG_EEES6_PlJ7is_evenIiEEEE10hipError_tPvRmT3_T4_T5_T6_T7_T9_mT8_P12ihipStream_tbDpT10_ENKUlT_T0_E_clISt17integral_constantIbLb0EES15_IbLb1EEEEDaS11_S12_EUlS11_E_NS1_11comp_targetILNS1_3genE2ELNS1_11target_archE906ELNS1_3gpuE6ELNS1_3repE0EEENS1_30default_config_static_selectorELNS0_4arch9wavefront6targetE1EEEvT1_
	.p2align	8
	.type	_ZN7rocprim17ROCPRIM_400000_NS6detail17trampoline_kernelINS0_14default_configENS1_25partition_config_selectorILNS1_17partition_subalgoE0EiNS0_10empty_typeEbEEZZNS1_14partition_implILS5_0ELb0ES3_jN6thrust23THRUST_200600_302600_NS6detail15normal_iteratorINSA_10device_ptrIiEEEEPS6_SG_NS0_5tupleIJSF_SF_EEENSH_IJSG_SG_EEES6_PlJ7is_evenIiEEEE10hipError_tPvRmT3_T4_T5_T6_T7_T9_mT8_P12ihipStream_tbDpT10_ENKUlT_T0_E_clISt17integral_constantIbLb0EES15_IbLb1EEEEDaS11_S12_EUlS11_E_NS1_11comp_targetILNS1_3genE2ELNS1_11target_archE906ELNS1_3gpuE6ELNS1_3repE0EEENS1_30default_config_static_selectorELNS0_4arch9wavefront6targetE1EEEvT1_,@function
_ZN7rocprim17ROCPRIM_400000_NS6detail17trampoline_kernelINS0_14default_configENS1_25partition_config_selectorILNS1_17partition_subalgoE0EiNS0_10empty_typeEbEEZZNS1_14partition_implILS5_0ELb0ES3_jN6thrust23THRUST_200600_302600_NS6detail15normal_iteratorINSA_10device_ptrIiEEEEPS6_SG_NS0_5tupleIJSF_SF_EEENSH_IJSG_SG_EEES6_PlJ7is_evenIiEEEE10hipError_tPvRmT3_T4_T5_T6_T7_T9_mT8_P12ihipStream_tbDpT10_ENKUlT_T0_E_clISt17integral_constantIbLb0EES15_IbLb1EEEEDaS11_S12_EUlS11_E_NS1_11comp_targetILNS1_3genE2ELNS1_11target_archE906ELNS1_3gpuE6ELNS1_3repE0EEENS1_30default_config_static_selectorELNS0_4arch9wavefront6targetE1EEEvT1_: ; @_ZN7rocprim17ROCPRIM_400000_NS6detail17trampoline_kernelINS0_14default_configENS1_25partition_config_selectorILNS1_17partition_subalgoE0EiNS0_10empty_typeEbEEZZNS1_14partition_implILS5_0ELb0ES3_jN6thrust23THRUST_200600_302600_NS6detail15normal_iteratorINSA_10device_ptrIiEEEEPS6_SG_NS0_5tupleIJSF_SF_EEENSH_IJSG_SG_EEES6_PlJ7is_evenIiEEEE10hipError_tPvRmT3_T4_T5_T6_T7_T9_mT8_P12ihipStream_tbDpT10_ENKUlT_T0_E_clISt17integral_constantIbLb0EES15_IbLb1EEEEDaS11_S12_EUlS11_E_NS1_11comp_targetILNS1_3genE2ELNS1_11target_archE906ELNS1_3gpuE6ELNS1_3repE0EEENS1_30default_config_static_selectorELNS0_4arch9wavefront6targetE1EEEvT1_
; %bb.0:
	.section	.rodata,"a",@progbits
	.p2align	6, 0x0
	.amdhsa_kernel _ZN7rocprim17ROCPRIM_400000_NS6detail17trampoline_kernelINS0_14default_configENS1_25partition_config_selectorILNS1_17partition_subalgoE0EiNS0_10empty_typeEbEEZZNS1_14partition_implILS5_0ELb0ES3_jN6thrust23THRUST_200600_302600_NS6detail15normal_iteratorINSA_10device_ptrIiEEEEPS6_SG_NS0_5tupleIJSF_SF_EEENSH_IJSG_SG_EEES6_PlJ7is_evenIiEEEE10hipError_tPvRmT3_T4_T5_T6_T7_T9_mT8_P12ihipStream_tbDpT10_ENKUlT_T0_E_clISt17integral_constantIbLb0EES15_IbLb1EEEEDaS11_S12_EUlS11_E_NS1_11comp_targetILNS1_3genE2ELNS1_11target_archE906ELNS1_3gpuE6ELNS1_3repE0EEENS1_30default_config_static_selectorELNS0_4arch9wavefront6targetE1EEEvT1_
		.amdhsa_group_segment_fixed_size 0
		.amdhsa_private_segment_fixed_size 0
		.amdhsa_kernarg_size 136
		.amdhsa_user_sgpr_count 6
		.amdhsa_user_sgpr_private_segment_buffer 1
		.amdhsa_user_sgpr_dispatch_ptr 0
		.amdhsa_user_sgpr_queue_ptr 0
		.amdhsa_user_sgpr_kernarg_segment_ptr 1
		.amdhsa_user_sgpr_dispatch_id 0
		.amdhsa_user_sgpr_flat_scratch_init 0
		.amdhsa_user_sgpr_kernarg_preload_length 0
		.amdhsa_user_sgpr_kernarg_preload_offset 0
		.amdhsa_user_sgpr_private_segment_size 0
		.amdhsa_uses_dynamic_stack 0
		.amdhsa_system_sgpr_private_segment_wavefront_offset 0
		.amdhsa_system_sgpr_workgroup_id_x 1
		.amdhsa_system_sgpr_workgroup_id_y 0
		.amdhsa_system_sgpr_workgroup_id_z 0
		.amdhsa_system_sgpr_workgroup_info 0
		.amdhsa_system_vgpr_workitem_id 0
		.amdhsa_next_free_vgpr 1
		.amdhsa_next_free_sgpr 0
		.amdhsa_accum_offset 4
		.amdhsa_reserve_vcc 0
		.amdhsa_reserve_flat_scratch 0
		.amdhsa_float_round_mode_32 0
		.amdhsa_float_round_mode_16_64 0
		.amdhsa_float_denorm_mode_32 3
		.amdhsa_float_denorm_mode_16_64 3
		.amdhsa_dx10_clamp 1
		.amdhsa_ieee_mode 1
		.amdhsa_fp16_overflow 0
		.amdhsa_tg_split 0
		.amdhsa_exception_fp_ieee_invalid_op 0
		.amdhsa_exception_fp_denorm_src 0
		.amdhsa_exception_fp_ieee_div_zero 0
		.amdhsa_exception_fp_ieee_overflow 0
		.amdhsa_exception_fp_ieee_underflow 0
		.amdhsa_exception_fp_ieee_inexact 0
		.amdhsa_exception_int_div_zero 0
	.end_amdhsa_kernel
	.section	.text._ZN7rocprim17ROCPRIM_400000_NS6detail17trampoline_kernelINS0_14default_configENS1_25partition_config_selectorILNS1_17partition_subalgoE0EiNS0_10empty_typeEbEEZZNS1_14partition_implILS5_0ELb0ES3_jN6thrust23THRUST_200600_302600_NS6detail15normal_iteratorINSA_10device_ptrIiEEEEPS6_SG_NS0_5tupleIJSF_SF_EEENSH_IJSG_SG_EEES6_PlJ7is_evenIiEEEE10hipError_tPvRmT3_T4_T5_T6_T7_T9_mT8_P12ihipStream_tbDpT10_ENKUlT_T0_E_clISt17integral_constantIbLb0EES15_IbLb1EEEEDaS11_S12_EUlS11_E_NS1_11comp_targetILNS1_3genE2ELNS1_11target_archE906ELNS1_3gpuE6ELNS1_3repE0EEENS1_30default_config_static_selectorELNS0_4arch9wavefront6targetE1EEEvT1_,"axG",@progbits,_ZN7rocprim17ROCPRIM_400000_NS6detail17trampoline_kernelINS0_14default_configENS1_25partition_config_selectorILNS1_17partition_subalgoE0EiNS0_10empty_typeEbEEZZNS1_14partition_implILS5_0ELb0ES3_jN6thrust23THRUST_200600_302600_NS6detail15normal_iteratorINSA_10device_ptrIiEEEEPS6_SG_NS0_5tupleIJSF_SF_EEENSH_IJSG_SG_EEES6_PlJ7is_evenIiEEEE10hipError_tPvRmT3_T4_T5_T6_T7_T9_mT8_P12ihipStream_tbDpT10_ENKUlT_T0_E_clISt17integral_constantIbLb0EES15_IbLb1EEEEDaS11_S12_EUlS11_E_NS1_11comp_targetILNS1_3genE2ELNS1_11target_archE906ELNS1_3gpuE6ELNS1_3repE0EEENS1_30default_config_static_selectorELNS0_4arch9wavefront6targetE1EEEvT1_,comdat
.Lfunc_end349:
	.size	_ZN7rocprim17ROCPRIM_400000_NS6detail17trampoline_kernelINS0_14default_configENS1_25partition_config_selectorILNS1_17partition_subalgoE0EiNS0_10empty_typeEbEEZZNS1_14partition_implILS5_0ELb0ES3_jN6thrust23THRUST_200600_302600_NS6detail15normal_iteratorINSA_10device_ptrIiEEEEPS6_SG_NS0_5tupleIJSF_SF_EEENSH_IJSG_SG_EEES6_PlJ7is_evenIiEEEE10hipError_tPvRmT3_T4_T5_T6_T7_T9_mT8_P12ihipStream_tbDpT10_ENKUlT_T0_E_clISt17integral_constantIbLb0EES15_IbLb1EEEEDaS11_S12_EUlS11_E_NS1_11comp_targetILNS1_3genE2ELNS1_11target_archE906ELNS1_3gpuE6ELNS1_3repE0EEENS1_30default_config_static_selectorELNS0_4arch9wavefront6targetE1EEEvT1_, .Lfunc_end349-_ZN7rocprim17ROCPRIM_400000_NS6detail17trampoline_kernelINS0_14default_configENS1_25partition_config_selectorILNS1_17partition_subalgoE0EiNS0_10empty_typeEbEEZZNS1_14partition_implILS5_0ELb0ES3_jN6thrust23THRUST_200600_302600_NS6detail15normal_iteratorINSA_10device_ptrIiEEEEPS6_SG_NS0_5tupleIJSF_SF_EEENSH_IJSG_SG_EEES6_PlJ7is_evenIiEEEE10hipError_tPvRmT3_T4_T5_T6_T7_T9_mT8_P12ihipStream_tbDpT10_ENKUlT_T0_E_clISt17integral_constantIbLb0EES15_IbLb1EEEEDaS11_S12_EUlS11_E_NS1_11comp_targetILNS1_3genE2ELNS1_11target_archE906ELNS1_3gpuE6ELNS1_3repE0EEENS1_30default_config_static_selectorELNS0_4arch9wavefront6targetE1EEEvT1_
                                        ; -- End function
	.section	.AMDGPU.csdata,"",@progbits
; Kernel info:
; codeLenInByte = 0
; NumSgprs: 4
; NumVgprs: 0
; NumAgprs: 0
; TotalNumVgprs: 0
; ScratchSize: 0
; MemoryBound: 0
; FloatMode: 240
; IeeeMode: 1
; LDSByteSize: 0 bytes/workgroup (compile time only)
; SGPRBlocks: 0
; VGPRBlocks: 0
; NumSGPRsForWavesPerEU: 4
; NumVGPRsForWavesPerEU: 1
; AccumOffset: 4
; Occupancy: 8
; WaveLimiterHint : 0
; COMPUTE_PGM_RSRC2:SCRATCH_EN: 0
; COMPUTE_PGM_RSRC2:USER_SGPR: 6
; COMPUTE_PGM_RSRC2:TRAP_HANDLER: 0
; COMPUTE_PGM_RSRC2:TGID_X_EN: 1
; COMPUTE_PGM_RSRC2:TGID_Y_EN: 0
; COMPUTE_PGM_RSRC2:TGID_Z_EN: 0
; COMPUTE_PGM_RSRC2:TIDIG_COMP_CNT: 0
; COMPUTE_PGM_RSRC3_GFX90A:ACCUM_OFFSET: 0
; COMPUTE_PGM_RSRC3_GFX90A:TG_SPLIT: 0
	.section	.text._ZN7rocprim17ROCPRIM_400000_NS6detail17trampoline_kernelINS0_14default_configENS1_25partition_config_selectorILNS1_17partition_subalgoE0EiNS0_10empty_typeEbEEZZNS1_14partition_implILS5_0ELb0ES3_jN6thrust23THRUST_200600_302600_NS6detail15normal_iteratorINSA_10device_ptrIiEEEEPS6_SG_NS0_5tupleIJSF_SF_EEENSH_IJSG_SG_EEES6_PlJ7is_evenIiEEEE10hipError_tPvRmT3_T4_T5_T6_T7_T9_mT8_P12ihipStream_tbDpT10_ENKUlT_T0_E_clISt17integral_constantIbLb0EES15_IbLb1EEEEDaS11_S12_EUlS11_E_NS1_11comp_targetILNS1_3genE10ELNS1_11target_archE1200ELNS1_3gpuE4ELNS1_3repE0EEENS1_30default_config_static_selectorELNS0_4arch9wavefront6targetE1EEEvT1_,"axG",@progbits,_ZN7rocprim17ROCPRIM_400000_NS6detail17trampoline_kernelINS0_14default_configENS1_25partition_config_selectorILNS1_17partition_subalgoE0EiNS0_10empty_typeEbEEZZNS1_14partition_implILS5_0ELb0ES3_jN6thrust23THRUST_200600_302600_NS6detail15normal_iteratorINSA_10device_ptrIiEEEEPS6_SG_NS0_5tupleIJSF_SF_EEENSH_IJSG_SG_EEES6_PlJ7is_evenIiEEEE10hipError_tPvRmT3_T4_T5_T6_T7_T9_mT8_P12ihipStream_tbDpT10_ENKUlT_T0_E_clISt17integral_constantIbLb0EES15_IbLb1EEEEDaS11_S12_EUlS11_E_NS1_11comp_targetILNS1_3genE10ELNS1_11target_archE1200ELNS1_3gpuE4ELNS1_3repE0EEENS1_30default_config_static_selectorELNS0_4arch9wavefront6targetE1EEEvT1_,comdat
	.protected	_ZN7rocprim17ROCPRIM_400000_NS6detail17trampoline_kernelINS0_14default_configENS1_25partition_config_selectorILNS1_17partition_subalgoE0EiNS0_10empty_typeEbEEZZNS1_14partition_implILS5_0ELb0ES3_jN6thrust23THRUST_200600_302600_NS6detail15normal_iteratorINSA_10device_ptrIiEEEEPS6_SG_NS0_5tupleIJSF_SF_EEENSH_IJSG_SG_EEES6_PlJ7is_evenIiEEEE10hipError_tPvRmT3_T4_T5_T6_T7_T9_mT8_P12ihipStream_tbDpT10_ENKUlT_T0_E_clISt17integral_constantIbLb0EES15_IbLb1EEEEDaS11_S12_EUlS11_E_NS1_11comp_targetILNS1_3genE10ELNS1_11target_archE1200ELNS1_3gpuE4ELNS1_3repE0EEENS1_30default_config_static_selectorELNS0_4arch9wavefront6targetE1EEEvT1_ ; -- Begin function _ZN7rocprim17ROCPRIM_400000_NS6detail17trampoline_kernelINS0_14default_configENS1_25partition_config_selectorILNS1_17partition_subalgoE0EiNS0_10empty_typeEbEEZZNS1_14partition_implILS5_0ELb0ES3_jN6thrust23THRUST_200600_302600_NS6detail15normal_iteratorINSA_10device_ptrIiEEEEPS6_SG_NS0_5tupleIJSF_SF_EEENSH_IJSG_SG_EEES6_PlJ7is_evenIiEEEE10hipError_tPvRmT3_T4_T5_T6_T7_T9_mT8_P12ihipStream_tbDpT10_ENKUlT_T0_E_clISt17integral_constantIbLb0EES15_IbLb1EEEEDaS11_S12_EUlS11_E_NS1_11comp_targetILNS1_3genE10ELNS1_11target_archE1200ELNS1_3gpuE4ELNS1_3repE0EEENS1_30default_config_static_selectorELNS0_4arch9wavefront6targetE1EEEvT1_
	.globl	_ZN7rocprim17ROCPRIM_400000_NS6detail17trampoline_kernelINS0_14default_configENS1_25partition_config_selectorILNS1_17partition_subalgoE0EiNS0_10empty_typeEbEEZZNS1_14partition_implILS5_0ELb0ES3_jN6thrust23THRUST_200600_302600_NS6detail15normal_iteratorINSA_10device_ptrIiEEEEPS6_SG_NS0_5tupleIJSF_SF_EEENSH_IJSG_SG_EEES6_PlJ7is_evenIiEEEE10hipError_tPvRmT3_T4_T5_T6_T7_T9_mT8_P12ihipStream_tbDpT10_ENKUlT_T0_E_clISt17integral_constantIbLb0EES15_IbLb1EEEEDaS11_S12_EUlS11_E_NS1_11comp_targetILNS1_3genE10ELNS1_11target_archE1200ELNS1_3gpuE4ELNS1_3repE0EEENS1_30default_config_static_selectorELNS0_4arch9wavefront6targetE1EEEvT1_
	.p2align	8
	.type	_ZN7rocprim17ROCPRIM_400000_NS6detail17trampoline_kernelINS0_14default_configENS1_25partition_config_selectorILNS1_17partition_subalgoE0EiNS0_10empty_typeEbEEZZNS1_14partition_implILS5_0ELb0ES3_jN6thrust23THRUST_200600_302600_NS6detail15normal_iteratorINSA_10device_ptrIiEEEEPS6_SG_NS0_5tupleIJSF_SF_EEENSH_IJSG_SG_EEES6_PlJ7is_evenIiEEEE10hipError_tPvRmT3_T4_T5_T6_T7_T9_mT8_P12ihipStream_tbDpT10_ENKUlT_T0_E_clISt17integral_constantIbLb0EES15_IbLb1EEEEDaS11_S12_EUlS11_E_NS1_11comp_targetILNS1_3genE10ELNS1_11target_archE1200ELNS1_3gpuE4ELNS1_3repE0EEENS1_30default_config_static_selectorELNS0_4arch9wavefront6targetE1EEEvT1_,@function
_ZN7rocprim17ROCPRIM_400000_NS6detail17trampoline_kernelINS0_14default_configENS1_25partition_config_selectorILNS1_17partition_subalgoE0EiNS0_10empty_typeEbEEZZNS1_14partition_implILS5_0ELb0ES3_jN6thrust23THRUST_200600_302600_NS6detail15normal_iteratorINSA_10device_ptrIiEEEEPS6_SG_NS0_5tupleIJSF_SF_EEENSH_IJSG_SG_EEES6_PlJ7is_evenIiEEEE10hipError_tPvRmT3_T4_T5_T6_T7_T9_mT8_P12ihipStream_tbDpT10_ENKUlT_T0_E_clISt17integral_constantIbLb0EES15_IbLb1EEEEDaS11_S12_EUlS11_E_NS1_11comp_targetILNS1_3genE10ELNS1_11target_archE1200ELNS1_3gpuE4ELNS1_3repE0EEENS1_30default_config_static_selectorELNS0_4arch9wavefront6targetE1EEEvT1_: ; @_ZN7rocprim17ROCPRIM_400000_NS6detail17trampoline_kernelINS0_14default_configENS1_25partition_config_selectorILNS1_17partition_subalgoE0EiNS0_10empty_typeEbEEZZNS1_14partition_implILS5_0ELb0ES3_jN6thrust23THRUST_200600_302600_NS6detail15normal_iteratorINSA_10device_ptrIiEEEEPS6_SG_NS0_5tupleIJSF_SF_EEENSH_IJSG_SG_EEES6_PlJ7is_evenIiEEEE10hipError_tPvRmT3_T4_T5_T6_T7_T9_mT8_P12ihipStream_tbDpT10_ENKUlT_T0_E_clISt17integral_constantIbLb0EES15_IbLb1EEEEDaS11_S12_EUlS11_E_NS1_11comp_targetILNS1_3genE10ELNS1_11target_archE1200ELNS1_3gpuE4ELNS1_3repE0EEENS1_30default_config_static_selectorELNS0_4arch9wavefront6targetE1EEEvT1_
; %bb.0:
	.section	.rodata,"a",@progbits
	.p2align	6, 0x0
	.amdhsa_kernel _ZN7rocprim17ROCPRIM_400000_NS6detail17trampoline_kernelINS0_14default_configENS1_25partition_config_selectorILNS1_17partition_subalgoE0EiNS0_10empty_typeEbEEZZNS1_14partition_implILS5_0ELb0ES3_jN6thrust23THRUST_200600_302600_NS6detail15normal_iteratorINSA_10device_ptrIiEEEEPS6_SG_NS0_5tupleIJSF_SF_EEENSH_IJSG_SG_EEES6_PlJ7is_evenIiEEEE10hipError_tPvRmT3_T4_T5_T6_T7_T9_mT8_P12ihipStream_tbDpT10_ENKUlT_T0_E_clISt17integral_constantIbLb0EES15_IbLb1EEEEDaS11_S12_EUlS11_E_NS1_11comp_targetILNS1_3genE10ELNS1_11target_archE1200ELNS1_3gpuE4ELNS1_3repE0EEENS1_30default_config_static_selectorELNS0_4arch9wavefront6targetE1EEEvT1_
		.amdhsa_group_segment_fixed_size 0
		.amdhsa_private_segment_fixed_size 0
		.amdhsa_kernarg_size 136
		.amdhsa_user_sgpr_count 6
		.amdhsa_user_sgpr_private_segment_buffer 1
		.amdhsa_user_sgpr_dispatch_ptr 0
		.amdhsa_user_sgpr_queue_ptr 0
		.amdhsa_user_sgpr_kernarg_segment_ptr 1
		.amdhsa_user_sgpr_dispatch_id 0
		.amdhsa_user_sgpr_flat_scratch_init 0
		.amdhsa_user_sgpr_kernarg_preload_length 0
		.amdhsa_user_sgpr_kernarg_preload_offset 0
		.amdhsa_user_sgpr_private_segment_size 0
		.amdhsa_uses_dynamic_stack 0
		.amdhsa_system_sgpr_private_segment_wavefront_offset 0
		.amdhsa_system_sgpr_workgroup_id_x 1
		.amdhsa_system_sgpr_workgroup_id_y 0
		.amdhsa_system_sgpr_workgroup_id_z 0
		.amdhsa_system_sgpr_workgroup_info 0
		.amdhsa_system_vgpr_workitem_id 0
		.amdhsa_next_free_vgpr 1
		.amdhsa_next_free_sgpr 0
		.amdhsa_accum_offset 4
		.amdhsa_reserve_vcc 0
		.amdhsa_reserve_flat_scratch 0
		.amdhsa_float_round_mode_32 0
		.amdhsa_float_round_mode_16_64 0
		.amdhsa_float_denorm_mode_32 3
		.amdhsa_float_denorm_mode_16_64 3
		.amdhsa_dx10_clamp 1
		.amdhsa_ieee_mode 1
		.amdhsa_fp16_overflow 0
		.amdhsa_tg_split 0
		.amdhsa_exception_fp_ieee_invalid_op 0
		.amdhsa_exception_fp_denorm_src 0
		.amdhsa_exception_fp_ieee_div_zero 0
		.amdhsa_exception_fp_ieee_overflow 0
		.amdhsa_exception_fp_ieee_underflow 0
		.amdhsa_exception_fp_ieee_inexact 0
		.amdhsa_exception_int_div_zero 0
	.end_amdhsa_kernel
	.section	.text._ZN7rocprim17ROCPRIM_400000_NS6detail17trampoline_kernelINS0_14default_configENS1_25partition_config_selectorILNS1_17partition_subalgoE0EiNS0_10empty_typeEbEEZZNS1_14partition_implILS5_0ELb0ES3_jN6thrust23THRUST_200600_302600_NS6detail15normal_iteratorINSA_10device_ptrIiEEEEPS6_SG_NS0_5tupleIJSF_SF_EEENSH_IJSG_SG_EEES6_PlJ7is_evenIiEEEE10hipError_tPvRmT3_T4_T5_T6_T7_T9_mT8_P12ihipStream_tbDpT10_ENKUlT_T0_E_clISt17integral_constantIbLb0EES15_IbLb1EEEEDaS11_S12_EUlS11_E_NS1_11comp_targetILNS1_3genE10ELNS1_11target_archE1200ELNS1_3gpuE4ELNS1_3repE0EEENS1_30default_config_static_selectorELNS0_4arch9wavefront6targetE1EEEvT1_,"axG",@progbits,_ZN7rocprim17ROCPRIM_400000_NS6detail17trampoline_kernelINS0_14default_configENS1_25partition_config_selectorILNS1_17partition_subalgoE0EiNS0_10empty_typeEbEEZZNS1_14partition_implILS5_0ELb0ES3_jN6thrust23THRUST_200600_302600_NS6detail15normal_iteratorINSA_10device_ptrIiEEEEPS6_SG_NS0_5tupleIJSF_SF_EEENSH_IJSG_SG_EEES6_PlJ7is_evenIiEEEE10hipError_tPvRmT3_T4_T5_T6_T7_T9_mT8_P12ihipStream_tbDpT10_ENKUlT_T0_E_clISt17integral_constantIbLb0EES15_IbLb1EEEEDaS11_S12_EUlS11_E_NS1_11comp_targetILNS1_3genE10ELNS1_11target_archE1200ELNS1_3gpuE4ELNS1_3repE0EEENS1_30default_config_static_selectorELNS0_4arch9wavefront6targetE1EEEvT1_,comdat
.Lfunc_end350:
	.size	_ZN7rocprim17ROCPRIM_400000_NS6detail17trampoline_kernelINS0_14default_configENS1_25partition_config_selectorILNS1_17partition_subalgoE0EiNS0_10empty_typeEbEEZZNS1_14partition_implILS5_0ELb0ES3_jN6thrust23THRUST_200600_302600_NS6detail15normal_iteratorINSA_10device_ptrIiEEEEPS6_SG_NS0_5tupleIJSF_SF_EEENSH_IJSG_SG_EEES6_PlJ7is_evenIiEEEE10hipError_tPvRmT3_T4_T5_T6_T7_T9_mT8_P12ihipStream_tbDpT10_ENKUlT_T0_E_clISt17integral_constantIbLb0EES15_IbLb1EEEEDaS11_S12_EUlS11_E_NS1_11comp_targetILNS1_3genE10ELNS1_11target_archE1200ELNS1_3gpuE4ELNS1_3repE0EEENS1_30default_config_static_selectorELNS0_4arch9wavefront6targetE1EEEvT1_, .Lfunc_end350-_ZN7rocprim17ROCPRIM_400000_NS6detail17trampoline_kernelINS0_14default_configENS1_25partition_config_selectorILNS1_17partition_subalgoE0EiNS0_10empty_typeEbEEZZNS1_14partition_implILS5_0ELb0ES3_jN6thrust23THRUST_200600_302600_NS6detail15normal_iteratorINSA_10device_ptrIiEEEEPS6_SG_NS0_5tupleIJSF_SF_EEENSH_IJSG_SG_EEES6_PlJ7is_evenIiEEEE10hipError_tPvRmT3_T4_T5_T6_T7_T9_mT8_P12ihipStream_tbDpT10_ENKUlT_T0_E_clISt17integral_constantIbLb0EES15_IbLb1EEEEDaS11_S12_EUlS11_E_NS1_11comp_targetILNS1_3genE10ELNS1_11target_archE1200ELNS1_3gpuE4ELNS1_3repE0EEENS1_30default_config_static_selectorELNS0_4arch9wavefront6targetE1EEEvT1_
                                        ; -- End function
	.section	.AMDGPU.csdata,"",@progbits
; Kernel info:
; codeLenInByte = 0
; NumSgprs: 4
; NumVgprs: 0
; NumAgprs: 0
; TotalNumVgprs: 0
; ScratchSize: 0
; MemoryBound: 0
; FloatMode: 240
; IeeeMode: 1
; LDSByteSize: 0 bytes/workgroup (compile time only)
; SGPRBlocks: 0
; VGPRBlocks: 0
; NumSGPRsForWavesPerEU: 4
; NumVGPRsForWavesPerEU: 1
; AccumOffset: 4
; Occupancy: 8
; WaveLimiterHint : 0
; COMPUTE_PGM_RSRC2:SCRATCH_EN: 0
; COMPUTE_PGM_RSRC2:USER_SGPR: 6
; COMPUTE_PGM_RSRC2:TRAP_HANDLER: 0
; COMPUTE_PGM_RSRC2:TGID_X_EN: 1
; COMPUTE_PGM_RSRC2:TGID_Y_EN: 0
; COMPUTE_PGM_RSRC2:TGID_Z_EN: 0
; COMPUTE_PGM_RSRC2:TIDIG_COMP_CNT: 0
; COMPUTE_PGM_RSRC3_GFX90A:ACCUM_OFFSET: 0
; COMPUTE_PGM_RSRC3_GFX90A:TG_SPLIT: 0
	.section	.text._ZN7rocprim17ROCPRIM_400000_NS6detail17trampoline_kernelINS0_14default_configENS1_25partition_config_selectorILNS1_17partition_subalgoE0EiNS0_10empty_typeEbEEZZNS1_14partition_implILS5_0ELb0ES3_jN6thrust23THRUST_200600_302600_NS6detail15normal_iteratorINSA_10device_ptrIiEEEEPS6_SG_NS0_5tupleIJSF_SF_EEENSH_IJSG_SG_EEES6_PlJ7is_evenIiEEEE10hipError_tPvRmT3_T4_T5_T6_T7_T9_mT8_P12ihipStream_tbDpT10_ENKUlT_T0_E_clISt17integral_constantIbLb0EES15_IbLb1EEEEDaS11_S12_EUlS11_E_NS1_11comp_targetILNS1_3genE9ELNS1_11target_archE1100ELNS1_3gpuE3ELNS1_3repE0EEENS1_30default_config_static_selectorELNS0_4arch9wavefront6targetE1EEEvT1_,"axG",@progbits,_ZN7rocprim17ROCPRIM_400000_NS6detail17trampoline_kernelINS0_14default_configENS1_25partition_config_selectorILNS1_17partition_subalgoE0EiNS0_10empty_typeEbEEZZNS1_14partition_implILS5_0ELb0ES3_jN6thrust23THRUST_200600_302600_NS6detail15normal_iteratorINSA_10device_ptrIiEEEEPS6_SG_NS0_5tupleIJSF_SF_EEENSH_IJSG_SG_EEES6_PlJ7is_evenIiEEEE10hipError_tPvRmT3_T4_T5_T6_T7_T9_mT8_P12ihipStream_tbDpT10_ENKUlT_T0_E_clISt17integral_constantIbLb0EES15_IbLb1EEEEDaS11_S12_EUlS11_E_NS1_11comp_targetILNS1_3genE9ELNS1_11target_archE1100ELNS1_3gpuE3ELNS1_3repE0EEENS1_30default_config_static_selectorELNS0_4arch9wavefront6targetE1EEEvT1_,comdat
	.protected	_ZN7rocprim17ROCPRIM_400000_NS6detail17trampoline_kernelINS0_14default_configENS1_25partition_config_selectorILNS1_17partition_subalgoE0EiNS0_10empty_typeEbEEZZNS1_14partition_implILS5_0ELb0ES3_jN6thrust23THRUST_200600_302600_NS6detail15normal_iteratorINSA_10device_ptrIiEEEEPS6_SG_NS0_5tupleIJSF_SF_EEENSH_IJSG_SG_EEES6_PlJ7is_evenIiEEEE10hipError_tPvRmT3_T4_T5_T6_T7_T9_mT8_P12ihipStream_tbDpT10_ENKUlT_T0_E_clISt17integral_constantIbLb0EES15_IbLb1EEEEDaS11_S12_EUlS11_E_NS1_11comp_targetILNS1_3genE9ELNS1_11target_archE1100ELNS1_3gpuE3ELNS1_3repE0EEENS1_30default_config_static_selectorELNS0_4arch9wavefront6targetE1EEEvT1_ ; -- Begin function _ZN7rocprim17ROCPRIM_400000_NS6detail17trampoline_kernelINS0_14default_configENS1_25partition_config_selectorILNS1_17partition_subalgoE0EiNS0_10empty_typeEbEEZZNS1_14partition_implILS5_0ELb0ES3_jN6thrust23THRUST_200600_302600_NS6detail15normal_iteratorINSA_10device_ptrIiEEEEPS6_SG_NS0_5tupleIJSF_SF_EEENSH_IJSG_SG_EEES6_PlJ7is_evenIiEEEE10hipError_tPvRmT3_T4_T5_T6_T7_T9_mT8_P12ihipStream_tbDpT10_ENKUlT_T0_E_clISt17integral_constantIbLb0EES15_IbLb1EEEEDaS11_S12_EUlS11_E_NS1_11comp_targetILNS1_3genE9ELNS1_11target_archE1100ELNS1_3gpuE3ELNS1_3repE0EEENS1_30default_config_static_selectorELNS0_4arch9wavefront6targetE1EEEvT1_
	.globl	_ZN7rocprim17ROCPRIM_400000_NS6detail17trampoline_kernelINS0_14default_configENS1_25partition_config_selectorILNS1_17partition_subalgoE0EiNS0_10empty_typeEbEEZZNS1_14partition_implILS5_0ELb0ES3_jN6thrust23THRUST_200600_302600_NS6detail15normal_iteratorINSA_10device_ptrIiEEEEPS6_SG_NS0_5tupleIJSF_SF_EEENSH_IJSG_SG_EEES6_PlJ7is_evenIiEEEE10hipError_tPvRmT3_T4_T5_T6_T7_T9_mT8_P12ihipStream_tbDpT10_ENKUlT_T0_E_clISt17integral_constantIbLb0EES15_IbLb1EEEEDaS11_S12_EUlS11_E_NS1_11comp_targetILNS1_3genE9ELNS1_11target_archE1100ELNS1_3gpuE3ELNS1_3repE0EEENS1_30default_config_static_selectorELNS0_4arch9wavefront6targetE1EEEvT1_
	.p2align	8
	.type	_ZN7rocprim17ROCPRIM_400000_NS6detail17trampoline_kernelINS0_14default_configENS1_25partition_config_selectorILNS1_17partition_subalgoE0EiNS0_10empty_typeEbEEZZNS1_14partition_implILS5_0ELb0ES3_jN6thrust23THRUST_200600_302600_NS6detail15normal_iteratorINSA_10device_ptrIiEEEEPS6_SG_NS0_5tupleIJSF_SF_EEENSH_IJSG_SG_EEES6_PlJ7is_evenIiEEEE10hipError_tPvRmT3_T4_T5_T6_T7_T9_mT8_P12ihipStream_tbDpT10_ENKUlT_T0_E_clISt17integral_constantIbLb0EES15_IbLb1EEEEDaS11_S12_EUlS11_E_NS1_11comp_targetILNS1_3genE9ELNS1_11target_archE1100ELNS1_3gpuE3ELNS1_3repE0EEENS1_30default_config_static_selectorELNS0_4arch9wavefront6targetE1EEEvT1_,@function
_ZN7rocprim17ROCPRIM_400000_NS6detail17trampoline_kernelINS0_14default_configENS1_25partition_config_selectorILNS1_17partition_subalgoE0EiNS0_10empty_typeEbEEZZNS1_14partition_implILS5_0ELb0ES3_jN6thrust23THRUST_200600_302600_NS6detail15normal_iteratorINSA_10device_ptrIiEEEEPS6_SG_NS0_5tupleIJSF_SF_EEENSH_IJSG_SG_EEES6_PlJ7is_evenIiEEEE10hipError_tPvRmT3_T4_T5_T6_T7_T9_mT8_P12ihipStream_tbDpT10_ENKUlT_T0_E_clISt17integral_constantIbLb0EES15_IbLb1EEEEDaS11_S12_EUlS11_E_NS1_11comp_targetILNS1_3genE9ELNS1_11target_archE1100ELNS1_3gpuE3ELNS1_3repE0EEENS1_30default_config_static_selectorELNS0_4arch9wavefront6targetE1EEEvT1_: ; @_ZN7rocprim17ROCPRIM_400000_NS6detail17trampoline_kernelINS0_14default_configENS1_25partition_config_selectorILNS1_17partition_subalgoE0EiNS0_10empty_typeEbEEZZNS1_14partition_implILS5_0ELb0ES3_jN6thrust23THRUST_200600_302600_NS6detail15normal_iteratorINSA_10device_ptrIiEEEEPS6_SG_NS0_5tupleIJSF_SF_EEENSH_IJSG_SG_EEES6_PlJ7is_evenIiEEEE10hipError_tPvRmT3_T4_T5_T6_T7_T9_mT8_P12ihipStream_tbDpT10_ENKUlT_T0_E_clISt17integral_constantIbLb0EES15_IbLb1EEEEDaS11_S12_EUlS11_E_NS1_11comp_targetILNS1_3genE9ELNS1_11target_archE1100ELNS1_3gpuE3ELNS1_3repE0EEENS1_30default_config_static_selectorELNS0_4arch9wavefront6targetE1EEEvT1_
; %bb.0:
	.section	.rodata,"a",@progbits
	.p2align	6, 0x0
	.amdhsa_kernel _ZN7rocprim17ROCPRIM_400000_NS6detail17trampoline_kernelINS0_14default_configENS1_25partition_config_selectorILNS1_17partition_subalgoE0EiNS0_10empty_typeEbEEZZNS1_14partition_implILS5_0ELb0ES3_jN6thrust23THRUST_200600_302600_NS6detail15normal_iteratorINSA_10device_ptrIiEEEEPS6_SG_NS0_5tupleIJSF_SF_EEENSH_IJSG_SG_EEES6_PlJ7is_evenIiEEEE10hipError_tPvRmT3_T4_T5_T6_T7_T9_mT8_P12ihipStream_tbDpT10_ENKUlT_T0_E_clISt17integral_constantIbLb0EES15_IbLb1EEEEDaS11_S12_EUlS11_E_NS1_11comp_targetILNS1_3genE9ELNS1_11target_archE1100ELNS1_3gpuE3ELNS1_3repE0EEENS1_30default_config_static_selectorELNS0_4arch9wavefront6targetE1EEEvT1_
		.amdhsa_group_segment_fixed_size 0
		.amdhsa_private_segment_fixed_size 0
		.amdhsa_kernarg_size 136
		.amdhsa_user_sgpr_count 6
		.amdhsa_user_sgpr_private_segment_buffer 1
		.amdhsa_user_sgpr_dispatch_ptr 0
		.amdhsa_user_sgpr_queue_ptr 0
		.amdhsa_user_sgpr_kernarg_segment_ptr 1
		.amdhsa_user_sgpr_dispatch_id 0
		.amdhsa_user_sgpr_flat_scratch_init 0
		.amdhsa_user_sgpr_kernarg_preload_length 0
		.amdhsa_user_sgpr_kernarg_preload_offset 0
		.amdhsa_user_sgpr_private_segment_size 0
		.amdhsa_uses_dynamic_stack 0
		.amdhsa_system_sgpr_private_segment_wavefront_offset 0
		.amdhsa_system_sgpr_workgroup_id_x 1
		.amdhsa_system_sgpr_workgroup_id_y 0
		.amdhsa_system_sgpr_workgroup_id_z 0
		.amdhsa_system_sgpr_workgroup_info 0
		.amdhsa_system_vgpr_workitem_id 0
		.amdhsa_next_free_vgpr 1
		.amdhsa_next_free_sgpr 0
		.amdhsa_accum_offset 4
		.amdhsa_reserve_vcc 0
		.amdhsa_reserve_flat_scratch 0
		.amdhsa_float_round_mode_32 0
		.amdhsa_float_round_mode_16_64 0
		.amdhsa_float_denorm_mode_32 3
		.amdhsa_float_denorm_mode_16_64 3
		.amdhsa_dx10_clamp 1
		.amdhsa_ieee_mode 1
		.amdhsa_fp16_overflow 0
		.amdhsa_tg_split 0
		.amdhsa_exception_fp_ieee_invalid_op 0
		.amdhsa_exception_fp_denorm_src 0
		.amdhsa_exception_fp_ieee_div_zero 0
		.amdhsa_exception_fp_ieee_overflow 0
		.amdhsa_exception_fp_ieee_underflow 0
		.amdhsa_exception_fp_ieee_inexact 0
		.amdhsa_exception_int_div_zero 0
	.end_amdhsa_kernel
	.section	.text._ZN7rocprim17ROCPRIM_400000_NS6detail17trampoline_kernelINS0_14default_configENS1_25partition_config_selectorILNS1_17partition_subalgoE0EiNS0_10empty_typeEbEEZZNS1_14partition_implILS5_0ELb0ES3_jN6thrust23THRUST_200600_302600_NS6detail15normal_iteratorINSA_10device_ptrIiEEEEPS6_SG_NS0_5tupleIJSF_SF_EEENSH_IJSG_SG_EEES6_PlJ7is_evenIiEEEE10hipError_tPvRmT3_T4_T5_T6_T7_T9_mT8_P12ihipStream_tbDpT10_ENKUlT_T0_E_clISt17integral_constantIbLb0EES15_IbLb1EEEEDaS11_S12_EUlS11_E_NS1_11comp_targetILNS1_3genE9ELNS1_11target_archE1100ELNS1_3gpuE3ELNS1_3repE0EEENS1_30default_config_static_selectorELNS0_4arch9wavefront6targetE1EEEvT1_,"axG",@progbits,_ZN7rocprim17ROCPRIM_400000_NS6detail17trampoline_kernelINS0_14default_configENS1_25partition_config_selectorILNS1_17partition_subalgoE0EiNS0_10empty_typeEbEEZZNS1_14partition_implILS5_0ELb0ES3_jN6thrust23THRUST_200600_302600_NS6detail15normal_iteratorINSA_10device_ptrIiEEEEPS6_SG_NS0_5tupleIJSF_SF_EEENSH_IJSG_SG_EEES6_PlJ7is_evenIiEEEE10hipError_tPvRmT3_T4_T5_T6_T7_T9_mT8_P12ihipStream_tbDpT10_ENKUlT_T0_E_clISt17integral_constantIbLb0EES15_IbLb1EEEEDaS11_S12_EUlS11_E_NS1_11comp_targetILNS1_3genE9ELNS1_11target_archE1100ELNS1_3gpuE3ELNS1_3repE0EEENS1_30default_config_static_selectorELNS0_4arch9wavefront6targetE1EEEvT1_,comdat
.Lfunc_end351:
	.size	_ZN7rocprim17ROCPRIM_400000_NS6detail17trampoline_kernelINS0_14default_configENS1_25partition_config_selectorILNS1_17partition_subalgoE0EiNS0_10empty_typeEbEEZZNS1_14partition_implILS5_0ELb0ES3_jN6thrust23THRUST_200600_302600_NS6detail15normal_iteratorINSA_10device_ptrIiEEEEPS6_SG_NS0_5tupleIJSF_SF_EEENSH_IJSG_SG_EEES6_PlJ7is_evenIiEEEE10hipError_tPvRmT3_T4_T5_T6_T7_T9_mT8_P12ihipStream_tbDpT10_ENKUlT_T0_E_clISt17integral_constantIbLb0EES15_IbLb1EEEEDaS11_S12_EUlS11_E_NS1_11comp_targetILNS1_3genE9ELNS1_11target_archE1100ELNS1_3gpuE3ELNS1_3repE0EEENS1_30default_config_static_selectorELNS0_4arch9wavefront6targetE1EEEvT1_, .Lfunc_end351-_ZN7rocprim17ROCPRIM_400000_NS6detail17trampoline_kernelINS0_14default_configENS1_25partition_config_selectorILNS1_17partition_subalgoE0EiNS0_10empty_typeEbEEZZNS1_14partition_implILS5_0ELb0ES3_jN6thrust23THRUST_200600_302600_NS6detail15normal_iteratorINSA_10device_ptrIiEEEEPS6_SG_NS0_5tupleIJSF_SF_EEENSH_IJSG_SG_EEES6_PlJ7is_evenIiEEEE10hipError_tPvRmT3_T4_T5_T6_T7_T9_mT8_P12ihipStream_tbDpT10_ENKUlT_T0_E_clISt17integral_constantIbLb0EES15_IbLb1EEEEDaS11_S12_EUlS11_E_NS1_11comp_targetILNS1_3genE9ELNS1_11target_archE1100ELNS1_3gpuE3ELNS1_3repE0EEENS1_30default_config_static_selectorELNS0_4arch9wavefront6targetE1EEEvT1_
                                        ; -- End function
	.section	.AMDGPU.csdata,"",@progbits
; Kernel info:
; codeLenInByte = 0
; NumSgprs: 4
; NumVgprs: 0
; NumAgprs: 0
; TotalNumVgprs: 0
; ScratchSize: 0
; MemoryBound: 0
; FloatMode: 240
; IeeeMode: 1
; LDSByteSize: 0 bytes/workgroup (compile time only)
; SGPRBlocks: 0
; VGPRBlocks: 0
; NumSGPRsForWavesPerEU: 4
; NumVGPRsForWavesPerEU: 1
; AccumOffset: 4
; Occupancy: 8
; WaveLimiterHint : 0
; COMPUTE_PGM_RSRC2:SCRATCH_EN: 0
; COMPUTE_PGM_RSRC2:USER_SGPR: 6
; COMPUTE_PGM_RSRC2:TRAP_HANDLER: 0
; COMPUTE_PGM_RSRC2:TGID_X_EN: 1
; COMPUTE_PGM_RSRC2:TGID_Y_EN: 0
; COMPUTE_PGM_RSRC2:TGID_Z_EN: 0
; COMPUTE_PGM_RSRC2:TIDIG_COMP_CNT: 0
; COMPUTE_PGM_RSRC3_GFX90A:ACCUM_OFFSET: 0
; COMPUTE_PGM_RSRC3_GFX90A:TG_SPLIT: 0
	.section	.text._ZN7rocprim17ROCPRIM_400000_NS6detail17trampoline_kernelINS0_14default_configENS1_25partition_config_selectorILNS1_17partition_subalgoE0EiNS0_10empty_typeEbEEZZNS1_14partition_implILS5_0ELb0ES3_jN6thrust23THRUST_200600_302600_NS6detail15normal_iteratorINSA_10device_ptrIiEEEEPS6_SG_NS0_5tupleIJSF_SF_EEENSH_IJSG_SG_EEES6_PlJ7is_evenIiEEEE10hipError_tPvRmT3_T4_T5_T6_T7_T9_mT8_P12ihipStream_tbDpT10_ENKUlT_T0_E_clISt17integral_constantIbLb0EES15_IbLb1EEEEDaS11_S12_EUlS11_E_NS1_11comp_targetILNS1_3genE8ELNS1_11target_archE1030ELNS1_3gpuE2ELNS1_3repE0EEENS1_30default_config_static_selectorELNS0_4arch9wavefront6targetE1EEEvT1_,"axG",@progbits,_ZN7rocprim17ROCPRIM_400000_NS6detail17trampoline_kernelINS0_14default_configENS1_25partition_config_selectorILNS1_17partition_subalgoE0EiNS0_10empty_typeEbEEZZNS1_14partition_implILS5_0ELb0ES3_jN6thrust23THRUST_200600_302600_NS6detail15normal_iteratorINSA_10device_ptrIiEEEEPS6_SG_NS0_5tupleIJSF_SF_EEENSH_IJSG_SG_EEES6_PlJ7is_evenIiEEEE10hipError_tPvRmT3_T4_T5_T6_T7_T9_mT8_P12ihipStream_tbDpT10_ENKUlT_T0_E_clISt17integral_constantIbLb0EES15_IbLb1EEEEDaS11_S12_EUlS11_E_NS1_11comp_targetILNS1_3genE8ELNS1_11target_archE1030ELNS1_3gpuE2ELNS1_3repE0EEENS1_30default_config_static_selectorELNS0_4arch9wavefront6targetE1EEEvT1_,comdat
	.protected	_ZN7rocprim17ROCPRIM_400000_NS6detail17trampoline_kernelINS0_14default_configENS1_25partition_config_selectorILNS1_17partition_subalgoE0EiNS0_10empty_typeEbEEZZNS1_14partition_implILS5_0ELb0ES3_jN6thrust23THRUST_200600_302600_NS6detail15normal_iteratorINSA_10device_ptrIiEEEEPS6_SG_NS0_5tupleIJSF_SF_EEENSH_IJSG_SG_EEES6_PlJ7is_evenIiEEEE10hipError_tPvRmT3_T4_T5_T6_T7_T9_mT8_P12ihipStream_tbDpT10_ENKUlT_T0_E_clISt17integral_constantIbLb0EES15_IbLb1EEEEDaS11_S12_EUlS11_E_NS1_11comp_targetILNS1_3genE8ELNS1_11target_archE1030ELNS1_3gpuE2ELNS1_3repE0EEENS1_30default_config_static_selectorELNS0_4arch9wavefront6targetE1EEEvT1_ ; -- Begin function _ZN7rocprim17ROCPRIM_400000_NS6detail17trampoline_kernelINS0_14default_configENS1_25partition_config_selectorILNS1_17partition_subalgoE0EiNS0_10empty_typeEbEEZZNS1_14partition_implILS5_0ELb0ES3_jN6thrust23THRUST_200600_302600_NS6detail15normal_iteratorINSA_10device_ptrIiEEEEPS6_SG_NS0_5tupleIJSF_SF_EEENSH_IJSG_SG_EEES6_PlJ7is_evenIiEEEE10hipError_tPvRmT3_T4_T5_T6_T7_T9_mT8_P12ihipStream_tbDpT10_ENKUlT_T0_E_clISt17integral_constantIbLb0EES15_IbLb1EEEEDaS11_S12_EUlS11_E_NS1_11comp_targetILNS1_3genE8ELNS1_11target_archE1030ELNS1_3gpuE2ELNS1_3repE0EEENS1_30default_config_static_selectorELNS0_4arch9wavefront6targetE1EEEvT1_
	.globl	_ZN7rocprim17ROCPRIM_400000_NS6detail17trampoline_kernelINS0_14default_configENS1_25partition_config_selectorILNS1_17partition_subalgoE0EiNS0_10empty_typeEbEEZZNS1_14partition_implILS5_0ELb0ES3_jN6thrust23THRUST_200600_302600_NS6detail15normal_iteratorINSA_10device_ptrIiEEEEPS6_SG_NS0_5tupleIJSF_SF_EEENSH_IJSG_SG_EEES6_PlJ7is_evenIiEEEE10hipError_tPvRmT3_T4_T5_T6_T7_T9_mT8_P12ihipStream_tbDpT10_ENKUlT_T0_E_clISt17integral_constantIbLb0EES15_IbLb1EEEEDaS11_S12_EUlS11_E_NS1_11comp_targetILNS1_3genE8ELNS1_11target_archE1030ELNS1_3gpuE2ELNS1_3repE0EEENS1_30default_config_static_selectorELNS0_4arch9wavefront6targetE1EEEvT1_
	.p2align	8
	.type	_ZN7rocprim17ROCPRIM_400000_NS6detail17trampoline_kernelINS0_14default_configENS1_25partition_config_selectorILNS1_17partition_subalgoE0EiNS0_10empty_typeEbEEZZNS1_14partition_implILS5_0ELb0ES3_jN6thrust23THRUST_200600_302600_NS6detail15normal_iteratorINSA_10device_ptrIiEEEEPS6_SG_NS0_5tupleIJSF_SF_EEENSH_IJSG_SG_EEES6_PlJ7is_evenIiEEEE10hipError_tPvRmT3_T4_T5_T6_T7_T9_mT8_P12ihipStream_tbDpT10_ENKUlT_T0_E_clISt17integral_constantIbLb0EES15_IbLb1EEEEDaS11_S12_EUlS11_E_NS1_11comp_targetILNS1_3genE8ELNS1_11target_archE1030ELNS1_3gpuE2ELNS1_3repE0EEENS1_30default_config_static_selectorELNS0_4arch9wavefront6targetE1EEEvT1_,@function
_ZN7rocprim17ROCPRIM_400000_NS6detail17trampoline_kernelINS0_14default_configENS1_25partition_config_selectorILNS1_17partition_subalgoE0EiNS0_10empty_typeEbEEZZNS1_14partition_implILS5_0ELb0ES3_jN6thrust23THRUST_200600_302600_NS6detail15normal_iteratorINSA_10device_ptrIiEEEEPS6_SG_NS0_5tupleIJSF_SF_EEENSH_IJSG_SG_EEES6_PlJ7is_evenIiEEEE10hipError_tPvRmT3_T4_T5_T6_T7_T9_mT8_P12ihipStream_tbDpT10_ENKUlT_T0_E_clISt17integral_constantIbLb0EES15_IbLb1EEEEDaS11_S12_EUlS11_E_NS1_11comp_targetILNS1_3genE8ELNS1_11target_archE1030ELNS1_3gpuE2ELNS1_3repE0EEENS1_30default_config_static_selectorELNS0_4arch9wavefront6targetE1EEEvT1_: ; @_ZN7rocprim17ROCPRIM_400000_NS6detail17trampoline_kernelINS0_14default_configENS1_25partition_config_selectorILNS1_17partition_subalgoE0EiNS0_10empty_typeEbEEZZNS1_14partition_implILS5_0ELb0ES3_jN6thrust23THRUST_200600_302600_NS6detail15normal_iteratorINSA_10device_ptrIiEEEEPS6_SG_NS0_5tupleIJSF_SF_EEENSH_IJSG_SG_EEES6_PlJ7is_evenIiEEEE10hipError_tPvRmT3_T4_T5_T6_T7_T9_mT8_P12ihipStream_tbDpT10_ENKUlT_T0_E_clISt17integral_constantIbLb0EES15_IbLb1EEEEDaS11_S12_EUlS11_E_NS1_11comp_targetILNS1_3genE8ELNS1_11target_archE1030ELNS1_3gpuE2ELNS1_3repE0EEENS1_30default_config_static_selectorELNS0_4arch9wavefront6targetE1EEEvT1_
; %bb.0:
	.section	.rodata,"a",@progbits
	.p2align	6, 0x0
	.amdhsa_kernel _ZN7rocprim17ROCPRIM_400000_NS6detail17trampoline_kernelINS0_14default_configENS1_25partition_config_selectorILNS1_17partition_subalgoE0EiNS0_10empty_typeEbEEZZNS1_14partition_implILS5_0ELb0ES3_jN6thrust23THRUST_200600_302600_NS6detail15normal_iteratorINSA_10device_ptrIiEEEEPS6_SG_NS0_5tupleIJSF_SF_EEENSH_IJSG_SG_EEES6_PlJ7is_evenIiEEEE10hipError_tPvRmT3_T4_T5_T6_T7_T9_mT8_P12ihipStream_tbDpT10_ENKUlT_T0_E_clISt17integral_constantIbLb0EES15_IbLb1EEEEDaS11_S12_EUlS11_E_NS1_11comp_targetILNS1_3genE8ELNS1_11target_archE1030ELNS1_3gpuE2ELNS1_3repE0EEENS1_30default_config_static_selectorELNS0_4arch9wavefront6targetE1EEEvT1_
		.amdhsa_group_segment_fixed_size 0
		.amdhsa_private_segment_fixed_size 0
		.amdhsa_kernarg_size 136
		.amdhsa_user_sgpr_count 6
		.amdhsa_user_sgpr_private_segment_buffer 1
		.amdhsa_user_sgpr_dispatch_ptr 0
		.amdhsa_user_sgpr_queue_ptr 0
		.amdhsa_user_sgpr_kernarg_segment_ptr 1
		.amdhsa_user_sgpr_dispatch_id 0
		.amdhsa_user_sgpr_flat_scratch_init 0
		.amdhsa_user_sgpr_kernarg_preload_length 0
		.amdhsa_user_sgpr_kernarg_preload_offset 0
		.amdhsa_user_sgpr_private_segment_size 0
		.amdhsa_uses_dynamic_stack 0
		.amdhsa_system_sgpr_private_segment_wavefront_offset 0
		.amdhsa_system_sgpr_workgroup_id_x 1
		.amdhsa_system_sgpr_workgroup_id_y 0
		.amdhsa_system_sgpr_workgroup_id_z 0
		.amdhsa_system_sgpr_workgroup_info 0
		.amdhsa_system_vgpr_workitem_id 0
		.amdhsa_next_free_vgpr 1
		.amdhsa_next_free_sgpr 0
		.amdhsa_accum_offset 4
		.amdhsa_reserve_vcc 0
		.amdhsa_reserve_flat_scratch 0
		.amdhsa_float_round_mode_32 0
		.amdhsa_float_round_mode_16_64 0
		.amdhsa_float_denorm_mode_32 3
		.amdhsa_float_denorm_mode_16_64 3
		.amdhsa_dx10_clamp 1
		.amdhsa_ieee_mode 1
		.amdhsa_fp16_overflow 0
		.amdhsa_tg_split 0
		.amdhsa_exception_fp_ieee_invalid_op 0
		.amdhsa_exception_fp_denorm_src 0
		.amdhsa_exception_fp_ieee_div_zero 0
		.amdhsa_exception_fp_ieee_overflow 0
		.amdhsa_exception_fp_ieee_underflow 0
		.amdhsa_exception_fp_ieee_inexact 0
		.amdhsa_exception_int_div_zero 0
	.end_amdhsa_kernel
	.section	.text._ZN7rocprim17ROCPRIM_400000_NS6detail17trampoline_kernelINS0_14default_configENS1_25partition_config_selectorILNS1_17partition_subalgoE0EiNS0_10empty_typeEbEEZZNS1_14partition_implILS5_0ELb0ES3_jN6thrust23THRUST_200600_302600_NS6detail15normal_iteratorINSA_10device_ptrIiEEEEPS6_SG_NS0_5tupleIJSF_SF_EEENSH_IJSG_SG_EEES6_PlJ7is_evenIiEEEE10hipError_tPvRmT3_T4_T5_T6_T7_T9_mT8_P12ihipStream_tbDpT10_ENKUlT_T0_E_clISt17integral_constantIbLb0EES15_IbLb1EEEEDaS11_S12_EUlS11_E_NS1_11comp_targetILNS1_3genE8ELNS1_11target_archE1030ELNS1_3gpuE2ELNS1_3repE0EEENS1_30default_config_static_selectorELNS0_4arch9wavefront6targetE1EEEvT1_,"axG",@progbits,_ZN7rocprim17ROCPRIM_400000_NS6detail17trampoline_kernelINS0_14default_configENS1_25partition_config_selectorILNS1_17partition_subalgoE0EiNS0_10empty_typeEbEEZZNS1_14partition_implILS5_0ELb0ES3_jN6thrust23THRUST_200600_302600_NS6detail15normal_iteratorINSA_10device_ptrIiEEEEPS6_SG_NS0_5tupleIJSF_SF_EEENSH_IJSG_SG_EEES6_PlJ7is_evenIiEEEE10hipError_tPvRmT3_T4_T5_T6_T7_T9_mT8_P12ihipStream_tbDpT10_ENKUlT_T0_E_clISt17integral_constantIbLb0EES15_IbLb1EEEEDaS11_S12_EUlS11_E_NS1_11comp_targetILNS1_3genE8ELNS1_11target_archE1030ELNS1_3gpuE2ELNS1_3repE0EEENS1_30default_config_static_selectorELNS0_4arch9wavefront6targetE1EEEvT1_,comdat
.Lfunc_end352:
	.size	_ZN7rocprim17ROCPRIM_400000_NS6detail17trampoline_kernelINS0_14default_configENS1_25partition_config_selectorILNS1_17partition_subalgoE0EiNS0_10empty_typeEbEEZZNS1_14partition_implILS5_0ELb0ES3_jN6thrust23THRUST_200600_302600_NS6detail15normal_iteratorINSA_10device_ptrIiEEEEPS6_SG_NS0_5tupleIJSF_SF_EEENSH_IJSG_SG_EEES6_PlJ7is_evenIiEEEE10hipError_tPvRmT3_T4_T5_T6_T7_T9_mT8_P12ihipStream_tbDpT10_ENKUlT_T0_E_clISt17integral_constantIbLb0EES15_IbLb1EEEEDaS11_S12_EUlS11_E_NS1_11comp_targetILNS1_3genE8ELNS1_11target_archE1030ELNS1_3gpuE2ELNS1_3repE0EEENS1_30default_config_static_selectorELNS0_4arch9wavefront6targetE1EEEvT1_, .Lfunc_end352-_ZN7rocprim17ROCPRIM_400000_NS6detail17trampoline_kernelINS0_14default_configENS1_25partition_config_selectorILNS1_17partition_subalgoE0EiNS0_10empty_typeEbEEZZNS1_14partition_implILS5_0ELb0ES3_jN6thrust23THRUST_200600_302600_NS6detail15normal_iteratorINSA_10device_ptrIiEEEEPS6_SG_NS0_5tupleIJSF_SF_EEENSH_IJSG_SG_EEES6_PlJ7is_evenIiEEEE10hipError_tPvRmT3_T4_T5_T6_T7_T9_mT8_P12ihipStream_tbDpT10_ENKUlT_T0_E_clISt17integral_constantIbLb0EES15_IbLb1EEEEDaS11_S12_EUlS11_E_NS1_11comp_targetILNS1_3genE8ELNS1_11target_archE1030ELNS1_3gpuE2ELNS1_3repE0EEENS1_30default_config_static_selectorELNS0_4arch9wavefront6targetE1EEEvT1_
                                        ; -- End function
	.section	.AMDGPU.csdata,"",@progbits
; Kernel info:
; codeLenInByte = 0
; NumSgprs: 4
; NumVgprs: 0
; NumAgprs: 0
; TotalNumVgprs: 0
; ScratchSize: 0
; MemoryBound: 0
; FloatMode: 240
; IeeeMode: 1
; LDSByteSize: 0 bytes/workgroup (compile time only)
; SGPRBlocks: 0
; VGPRBlocks: 0
; NumSGPRsForWavesPerEU: 4
; NumVGPRsForWavesPerEU: 1
; AccumOffset: 4
; Occupancy: 8
; WaveLimiterHint : 0
; COMPUTE_PGM_RSRC2:SCRATCH_EN: 0
; COMPUTE_PGM_RSRC2:USER_SGPR: 6
; COMPUTE_PGM_RSRC2:TRAP_HANDLER: 0
; COMPUTE_PGM_RSRC2:TGID_X_EN: 1
; COMPUTE_PGM_RSRC2:TGID_Y_EN: 0
; COMPUTE_PGM_RSRC2:TGID_Z_EN: 0
; COMPUTE_PGM_RSRC2:TIDIG_COMP_CNT: 0
; COMPUTE_PGM_RSRC3_GFX90A:ACCUM_OFFSET: 0
; COMPUTE_PGM_RSRC3_GFX90A:TG_SPLIT: 0
	.section	.text._ZN7rocprim17ROCPRIM_400000_NS6detail17trampoline_kernelINS0_14default_configENS1_25partition_config_selectorILNS1_17partition_subalgoE0EsNS0_10empty_typeEbEEZZNS1_14partition_implILS5_0ELb0ES3_jN6thrust23THRUST_200600_302600_NS6detail15normal_iteratorINSA_10device_ptrIsEEEEPS6_SG_NS0_5tupleIJSF_SF_EEENSH_IJSG_SG_EEES6_PlJ7is_evenIsEEEE10hipError_tPvRmT3_T4_T5_T6_T7_T9_mT8_P12ihipStream_tbDpT10_ENKUlT_T0_E_clISt17integral_constantIbLb0EES16_EEDaS11_S12_EUlS11_E_NS1_11comp_targetILNS1_3genE0ELNS1_11target_archE4294967295ELNS1_3gpuE0ELNS1_3repE0EEENS1_30default_config_static_selectorELNS0_4arch9wavefront6targetE1EEEvT1_,"axG",@progbits,_ZN7rocprim17ROCPRIM_400000_NS6detail17trampoline_kernelINS0_14default_configENS1_25partition_config_selectorILNS1_17partition_subalgoE0EsNS0_10empty_typeEbEEZZNS1_14partition_implILS5_0ELb0ES3_jN6thrust23THRUST_200600_302600_NS6detail15normal_iteratorINSA_10device_ptrIsEEEEPS6_SG_NS0_5tupleIJSF_SF_EEENSH_IJSG_SG_EEES6_PlJ7is_evenIsEEEE10hipError_tPvRmT3_T4_T5_T6_T7_T9_mT8_P12ihipStream_tbDpT10_ENKUlT_T0_E_clISt17integral_constantIbLb0EES16_EEDaS11_S12_EUlS11_E_NS1_11comp_targetILNS1_3genE0ELNS1_11target_archE4294967295ELNS1_3gpuE0ELNS1_3repE0EEENS1_30default_config_static_selectorELNS0_4arch9wavefront6targetE1EEEvT1_,comdat
	.protected	_ZN7rocprim17ROCPRIM_400000_NS6detail17trampoline_kernelINS0_14default_configENS1_25partition_config_selectorILNS1_17partition_subalgoE0EsNS0_10empty_typeEbEEZZNS1_14partition_implILS5_0ELb0ES3_jN6thrust23THRUST_200600_302600_NS6detail15normal_iteratorINSA_10device_ptrIsEEEEPS6_SG_NS0_5tupleIJSF_SF_EEENSH_IJSG_SG_EEES6_PlJ7is_evenIsEEEE10hipError_tPvRmT3_T4_T5_T6_T7_T9_mT8_P12ihipStream_tbDpT10_ENKUlT_T0_E_clISt17integral_constantIbLb0EES16_EEDaS11_S12_EUlS11_E_NS1_11comp_targetILNS1_3genE0ELNS1_11target_archE4294967295ELNS1_3gpuE0ELNS1_3repE0EEENS1_30default_config_static_selectorELNS0_4arch9wavefront6targetE1EEEvT1_ ; -- Begin function _ZN7rocprim17ROCPRIM_400000_NS6detail17trampoline_kernelINS0_14default_configENS1_25partition_config_selectorILNS1_17partition_subalgoE0EsNS0_10empty_typeEbEEZZNS1_14partition_implILS5_0ELb0ES3_jN6thrust23THRUST_200600_302600_NS6detail15normal_iteratorINSA_10device_ptrIsEEEEPS6_SG_NS0_5tupleIJSF_SF_EEENSH_IJSG_SG_EEES6_PlJ7is_evenIsEEEE10hipError_tPvRmT3_T4_T5_T6_T7_T9_mT8_P12ihipStream_tbDpT10_ENKUlT_T0_E_clISt17integral_constantIbLb0EES16_EEDaS11_S12_EUlS11_E_NS1_11comp_targetILNS1_3genE0ELNS1_11target_archE4294967295ELNS1_3gpuE0ELNS1_3repE0EEENS1_30default_config_static_selectorELNS0_4arch9wavefront6targetE1EEEvT1_
	.globl	_ZN7rocprim17ROCPRIM_400000_NS6detail17trampoline_kernelINS0_14default_configENS1_25partition_config_selectorILNS1_17partition_subalgoE0EsNS0_10empty_typeEbEEZZNS1_14partition_implILS5_0ELb0ES3_jN6thrust23THRUST_200600_302600_NS6detail15normal_iteratorINSA_10device_ptrIsEEEEPS6_SG_NS0_5tupleIJSF_SF_EEENSH_IJSG_SG_EEES6_PlJ7is_evenIsEEEE10hipError_tPvRmT3_T4_T5_T6_T7_T9_mT8_P12ihipStream_tbDpT10_ENKUlT_T0_E_clISt17integral_constantIbLb0EES16_EEDaS11_S12_EUlS11_E_NS1_11comp_targetILNS1_3genE0ELNS1_11target_archE4294967295ELNS1_3gpuE0ELNS1_3repE0EEENS1_30default_config_static_selectorELNS0_4arch9wavefront6targetE1EEEvT1_
	.p2align	8
	.type	_ZN7rocprim17ROCPRIM_400000_NS6detail17trampoline_kernelINS0_14default_configENS1_25partition_config_selectorILNS1_17partition_subalgoE0EsNS0_10empty_typeEbEEZZNS1_14partition_implILS5_0ELb0ES3_jN6thrust23THRUST_200600_302600_NS6detail15normal_iteratorINSA_10device_ptrIsEEEEPS6_SG_NS0_5tupleIJSF_SF_EEENSH_IJSG_SG_EEES6_PlJ7is_evenIsEEEE10hipError_tPvRmT3_T4_T5_T6_T7_T9_mT8_P12ihipStream_tbDpT10_ENKUlT_T0_E_clISt17integral_constantIbLb0EES16_EEDaS11_S12_EUlS11_E_NS1_11comp_targetILNS1_3genE0ELNS1_11target_archE4294967295ELNS1_3gpuE0ELNS1_3repE0EEENS1_30default_config_static_selectorELNS0_4arch9wavefront6targetE1EEEvT1_,@function
_ZN7rocprim17ROCPRIM_400000_NS6detail17trampoline_kernelINS0_14default_configENS1_25partition_config_selectorILNS1_17partition_subalgoE0EsNS0_10empty_typeEbEEZZNS1_14partition_implILS5_0ELb0ES3_jN6thrust23THRUST_200600_302600_NS6detail15normal_iteratorINSA_10device_ptrIsEEEEPS6_SG_NS0_5tupleIJSF_SF_EEENSH_IJSG_SG_EEES6_PlJ7is_evenIsEEEE10hipError_tPvRmT3_T4_T5_T6_T7_T9_mT8_P12ihipStream_tbDpT10_ENKUlT_T0_E_clISt17integral_constantIbLb0EES16_EEDaS11_S12_EUlS11_E_NS1_11comp_targetILNS1_3genE0ELNS1_11target_archE4294967295ELNS1_3gpuE0ELNS1_3repE0EEENS1_30default_config_static_selectorELNS0_4arch9wavefront6targetE1EEEvT1_: ; @_ZN7rocprim17ROCPRIM_400000_NS6detail17trampoline_kernelINS0_14default_configENS1_25partition_config_selectorILNS1_17partition_subalgoE0EsNS0_10empty_typeEbEEZZNS1_14partition_implILS5_0ELb0ES3_jN6thrust23THRUST_200600_302600_NS6detail15normal_iteratorINSA_10device_ptrIsEEEEPS6_SG_NS0_5tupleIJSF_SF_EEENSH_IJSG_SG_EEES6_PlJ7is_evenIsEEEE10hipError_tPvRmT3_T4_T5_T6_T7_T9_mT8_P12ihipStream_tbDpT10_ENKUlT_T0_E_clISt17integral_constantIbLb0EES16_EEDaS11_S12_EUlS11_E_NS1_11comp_targetILNS1_3genE0ELNS1_11target_archE4294967295ELNS1_3gpuE0ELNS1_3repE0EEENS1_30default_config_static_selectorELNS0_4arch9wavefront6targetE1EEEvT1_
; %bb.0:
	.section	.rodata,"a",@progbits
	.p2align	6, 0x0
	.amdhsa_kernel _ZN7rocprim17ROCPRIM_400000_NS6detail17trampoline_kernelINS0_14default_configENS1_25partition_config_selectorILNS1_17partition_subalgoE0EsNS0_10empty_typeEbEEZZNS1_14partition_implILS5_0ELb0ES3_jN6thrust23THRUST_200600_302600_NS6detail15normal_iteratorINSA_10device_ptrIsEEEEPS6_SG_NS0_5tupleIJSF_SF_EEENSH_IJSG_SG_EEES6_PlJ7is_evenIsEEEE10hipError_tPvRmT3_T4_T5_T6_T7_T9_mT8_P12ihipStream_tbDpT10_ENKUlT_T0_E_clISt17integral_constantIbLb0EES16_EEDaS11_S12_EUlS11_E_NS1_11comp_targetILNS1_3genE0ELNS1_11target_archE4294967295ELNS1_3gpuE0ELNS1_3repE0EEENS1_30default_config_static_selectorELNS0_4arch9wavefront6targetE1EEEvT1_
		.amdhsa_group_segment_fixed_size 0
		.amdhsa_private_segment_fixed_size 0
		.amdhsa_kernarg_size 120
		.amdhsa_user_sgpr_count 6
		.amdhsa_user_sgpr_private_segment_buffer 1
		.amdhsa_user_sgpr_dispatch_ptr 0
		.amdhsa_user_sgpr_queue_ptr 0
		.amdhsa_user_sgpr_kernarg_segment_ptr 1
		.amdhsa_user_sgpr_dispatch_id 0
		.amdhsa_user_sgpr_flat_scratch_init 0
		.amdhsa_user_sgpr_kernarg_preload_length 0
		.amdhsa_user_sgpr_kernarg_preload_offset 0
		.amdhsa_user_sgpr_private_segment_size 0
		.amdhsa_uses_dynamic_stack 0
		.amdhsa_system_sgpr_private_segment_wavefront_offset 0
		.amdhsa_system_sgpr_workgroup_id_x 1
		.amdhsa_system_sgpr_workgroup_id_y 0
		.amdhsa_system_sgpr_workgroup_id_z 0
		.amdhsa_system_sgpr_workgroup_info 0
		.amdhsa_system_vgpr_workitem_id 0
		.amdhsa_next_free_vgpr 1
		.amdhsa_next_free_sgpr 0
		.amdhsa_accum_offset 4
		.amdhsa_reserve_vcc 0
		.amdhsa_reserve_flat_scratch 0
		.amdhsa_float_round_mode_32 0
		.amdhsa_float_round_mode_16_64 0
		.amdhsa_float_denorm_mode_32 3
		.amdhsa_float_denorm_mode_16_64 3
		.amdhsa_dx10_clamp 1
		.amdhsa_ieee_mode 1
		.amdhsa_fp16_overflow 0
		.amdhsa_tg_split 0
		.amdhsa_exception_fp_ieee_invalid_op 0
		.amdhsa_exception_fp_denorm_src 0
		.amdhsa_exception_fp_ieee_div_zero 0
		.amdhsa_exception_fp_ieee_overflow 0
		.amdhsa_exception_fp_ieee_underflow 0
		.amdhsa_exception_fp_ieee_inexact 0
		.amdhsa_exception_int_div_zero 0
	.end_amdhsa_kernel
	.section	.text._ZN7rocprim17ROCPRIM_400000_NS6detail17trampoline_kernelINS0_14default_configENS1_25partition_config_selectorILNS1_17partition_subalgoE0EsNS0_10empty_typeEbEEZZNS1_14partition_implILS5_0ELb0ES3_jN6thrust23THRUST_200600_302600_NS6detail15normal_iteratorINSA_10device_ptrIsEEEEPS6_SG_NS0_5tupleIJSF_SF_EEENSH_IJSG_SG_EEES6_PlJ7is_evenIsEEEE10hipError_tPvRmT3_T4_T5_T6_T7_T9_mT8_P12ihipStream_tbDpT10_ENKUlT_T0_E_clISt17integral_constantIbLb0EES16_EEDaS11_S12_EUlS11_E_NS1_11comp_targetILNS1_3genE0ELNS1_11target_archE4294967295ELNS1_3gpuE0ELNS1_3repE0EEENS1_30default_config_static_selectorELNS0_4arch9wavefront6targetE1EEEvT1_,"axG",@progbits,_ZN7rocprim17ROCPRIM_400000_NS6detail17trampoline_kernelINS0_14default_configENS1_25partition_config_selectorILNS1_17partition_subalgoE0EsNS0_10empty_typeEbEEZZNS1_14partition_implILS5_0ELb0ES3_jN6thrust23THRUST_200600_302600_NS6detail15normal_iteratorINSA_10device_ptrIsEEEEPS6_SG_NS0_5tupleIJSF_SF_EEENSH_IJSG_SG_EEES6_PlJ7is_evenIsEEEE10hipError_tPvRmT3_T4_T5_T6_T7_T9_mT8_P12ihipStream_tbDpT10_ENKUlT_T0_E_clISt17integral_constantIbLb0EES16_EEDaS11_S12_EUlS11_E_NS1_11comp_targetILNS1_3genE0ELNS1_11target_archE4294967295ELNS1_3gpuE0ELNS1_3repE0EEENS1_30default_config_static_selectorELNS0_4arch9wavefront6targetE1EEEvT1_,comdat
.Lfunc_end353:
	.size	_ZN7rocprim17ROCPRIM_400000_NS6detail17trampoline_kernelINS0_14default_configENS1_25partition_config_selectorILNS1_17partition_subalgoE0EsNS0_10empty_typeEbEEZZNS1_14partition_implILS5_0ELb0ES3_jN6thrust23THRUST_200600_302600_NS6detail15normal_iteratorINSA_10device_ptrIsEEEEPS6_SG_NS0_5tupleIJSF_SF_EEENSH_IJSG_SG_EEES6_PlJ7is_evenIsEEEE10hipError_tPvRmT3_T4_T5_T6_T7_T9_mT8_P12ihipStream_tbDpT10_ENKUlT_T0_E_clISt17integral_constantIbLb0EES16_EEDaS11_S12_EUlS11_E_NS1_11comp_targetILNS1_3genE0ELNS1_11target_archE4294967295ELNS1_3gpuE0ELNS1_3repE0EEENS1_30default_config_static_selectorELNS0_4arch9wavefront6targetE1EEEvT1_, .Lfunc_end353-_ZN7rocprim17ROCPRIM_400000_NS6detail17trampoline_kernelINS0_14default_configENS1_25partition_config_selectorILNS1_17partition_subalgoE0EsNS0_10empty_typeEbEEZZNS1_14partition_implILS5_0ELb0ES3_jN6thrust23THRUST_200600_302600_NS6detail15normal_iteratorINSA_10device_ptrIsEEEEPS6_SG_NS0_5tupleIJSF_SF_EEENSH_IJSG_SG_EEES6_PlJ7is_evenIsEEEE10hipError_tPvRmT3_T4_T5_T6_T7_T9_mT8_P12ihipStream_tbDpT10_ENKUlT_T0_E_clISt17integral_constantIbLb0EES16_EEDaS11_S12_EUlS11_E_NS1_11comp_targetILNS1_3genE0ELNS1_11target_archE4294967295ELNS1_3gpuE0ELNS1_3repE0EEENS1_30default_config_static_selectorELNS0_4arch9wavefront6targetE1EEEvT1_
                                        ; -- End function
	.section	.AMDGPU.csdata,"",@progbits
; Kernel info:
; codeLenInByte = 0
; NumSgprs: 4
; NumVgprs: 0
; NumAgprs: 0
; TotalNumVgprs: 0
; ScratchSize: 0
; MemoryBound: 0
; FloatMode: 240
; IeeeMode: 1
; LDSByteSize: 0 bytes/workgroup (compile time only)
; SGPRBlocks: 0
; VGPRBlocks: 0
; NumSGPRsForWavesPerEU: 4
; NumVGPRsForWavesPerEU: 1
; AccumOffset: 4
; Occupancy: 8
; WaveLimiterHint : 0
; COMPUTE_PGM_RSRC2:SCRATCH_EN: 0
; COMPUTE_PGM_RSRC2:USER_SGPR: 6
; COMPUTE_PGM_RSRC2:TRAP_HANDLER: 0
; COMPUTE_PGM_RSRC2:TGID_X_EN: 1
; COMPUTE_PGM_RSRC2:TGID_Y_EN: 0
; COMPUTE_PGM_RSRC2:TGID_Z_EN: 0
; COMPUTE_PGM_RSRC2:TIDIG_COMP_CNT: 0
; COMPUTE_PGM_RSRC3_GFX90A:ACCUM_OFFSET: 0
; COMPUTE_PGM_RSRC3_GFX90A:TG_SPLIT: 0
	.section	.text._ZN7rocprim17ROCPRIM_400000_NS6detail17trampoline_kernelINS0_14default_configENS1_25partition_config_selectorILNS1_17partition_subalgoE0EsNS0_10empty_typeEbEEZZNS1_14partition_implILS5_0ELb0ES3_jN6thrust23THRUST_200600_302600_NS6detail15normal_iteratorINSA_10device_ptrIsEEEEPS6_SG_NS0_5tupleIJSF_SF_EEENSH_IJSG_SG_EEES6_PlJ7is_evenIsEEEE10hipError_tPvRmT3_T4_T5_T6_T7_T9_mT8_P12ihipStream_tbDpT10_ENKUlT_T0_E_clISt17integral_constantIbLb0EES16_EEDaS11_S12_EUlS11_E_NS1_11comp_targetILNS1_3genE5ELNS1_11target_archE942ELNS1_3gpuE9ELNS1_3repE0EEENS1_30default_config_static_selectorELNS0_4arch9wavefront6targetE1EEEvT1_,"axG",@progbits,_ZN7rocprim17ROCPRIM_400000_NS6detail17trampoline_kernelINS0_14default_configENS1_25partition_config_selectorILNS1_17partition_subalgoE0EsNS0_10empty_typeEbEEZZNS1_14partition_implILS5_0ELb0ES3_jN6thrust23THRUST_200600_302600_NS6detail15normal_iteratorINSA_10device_ptrIsEEEEPS6_SG_NS0_5tupleIJSF_SF_EEENSH_IJSG_SG_EEES6_PlJ7is_evenIsEEEE10hipError_tPvRmT3_T4_T5_T6_T7_T9_mT8_P12ihipStream_tbDpT10_ENKUlT_T0_E_clISt17integral_constantIbLb0EES16_EEDaS11_S12_EUlS11_E_NS1_11comp_targetILNS1_3genE5ELNS1_11target_archE942ELNS1_3gpuE9ELNS1_3repE0EEENS1_30default_config_static_selectorELNS0_4arch9wavefront6targetE1EEEvT1_,comdat
	.protected	_ZN7rocprim17ROCPRIM_400000_NS6detail17trampoline_kernelINS0_14default_configENS1_25partition_config_selectorILNS1_17partition_subalgoE0EsNS0_10empty_typeEbEEZZNS1_14partition_implILS5_0ELb0ES3_jN6thrust23THRUST_200600_302600_NS6detail15normal_iteratorINSA_10device_ptrIsEEEEPS6_SG_NS0_5tupleIJSF_SF_EEENSH_IJSG_SG_EEES6_PlJ7is_evenIsEEEE10hipError_tPvRmT3_T4_T5_T6_T7_T9_mT8_P12ihipStream_tbDpT10_ENKUlT_T0_E_clISt17integral_constantIbLb0EES16_EEDaS11_S12_EUlS11_E_NS1_11comp_targetILNS1_3genE5ELNS1_11target_archE942ELNS1_3gpuE9ELNS1_3repE0EEENS1_30default_config_static_selectorELNS0_4arch9wavefront6targetE1EEEvT1_ ; -- Begin function _ZN7rocprim17ROCPRIM_400000_NS6detail17trampoline_kernelINS0_14default_configENS1_25partition_config_selectorILNS1_17partition_subalgoE0EsNS0_10empty_typeEbEEZZNS1_14partition_implILS5_0ELb0ES3_jN6thrust23THRUST_200600_302600_NS6detail15normal_iteratorINSA_10device_ptrIsEEEEPS6_SG_NS0_5tupleIJSF_SF_EEENSH_IJSG_SG_EEES6_PlJ7is_evenIsEEEE10hipError_tPvRmT3_T4_T5_T6_T7_T9_mT8_P12ihipStream_tbDpT10_ENKUlT_T0_E_clISt17integral_constantIbLb0EES16_EEDaS11_S12_EUlS11_E_NS1_11comp_targetILNS1_3genE5ELNS1_11target_archE942ELNS1_3gpuE9ELNS1_3repE0EEENS1_30default_config_static_selectorELNS0_4arch9wavefront6targetE1EEEvT1_
	.globl	_ZN7rocprim17ROCPRIM_400000_NS6detail17trampoline_kernelINS0_14default_configENS1_25partition_config_selectorILNS1_17partition_subalgoE0EsNS0_10empty_typeEbEEZZNS1_14partition_implILS5_0ELb0ES3_jN6thrust23THRUST_200600_302600_NS6detail15normal_iteratorINSA_10device_ptrIsEEEEPS6_SG_NS0_5tupleIJSF_SF_EEENSH_IJSG_SG_EEES6_PlJ7is_evenIsEEEE10hipError_tPvRmT3_T4_T5_T6_T7_T9_mT8_P12ihipStream_tbDpT10_ENKUlT_T0_E_clISt17integral_constantIbLb0EES16_EEDaS11_S12_EUlS11_E_NS1_11comp_targetILNS1_3genE5ELNS1_11target_archE942ELNS1_3gpuE9ELNS1_3repE0EEENS1_30default_config_static_selectorELNS0_4arch9wavefront6targetE1EEEvT1_
	.p2align	8
	.type	_ZN7rocprim17ROCPRIM_400000_NS6detail17trampoline_kernelINS0_14default_configENS1_25partition_config_selectorILNS1_17partition_subalgoE0EsNS0_10empty_typeEbEEZZNS1_14partition_implILS5_0ELb0ES3_jN6thrust23THRUST_200600_302600_NS6detail15normal_iteratorINSA_10device_ptrIsEEEEPS6_SG_NS0_5tupleIJSF_SF_EEENSH_IJSG_SG_EEES6_PlJ7is_evenIsEEEE10hipError_tPvRmT3_T4_T5_T6_T7_T9_mT8_P12ihipStream_tbDpT10_ENKUlT_T0_E_clISt17integral_constantIbLb0EES16_EEDaS11_S12_EUlS11_E_NS1_11comp_targetILNS1_3genE5ELNS1_11target_archE942ELNS1_3gpuE9ELNS1_3repE0EEENS1_30default_config_static_selectorELNS0_4arch9wavefront6targetE1EEEvT1_,@function
_ZN7rocprim17ROCPRIM_400000_NS6detail17trampoline_kernelINS0_14default_configENS1_25partition_config_selectorILNS1_17partition_subalgoE0EsNS0_10empty_typeEbEEZZNS1_14partition_implILS5_0ELb0ES3_jN6thrust23THRUST_200600_302600_NS6detail15normal_iteratorINSA_10device_ptrIsEEEEPS6_SG_NS0_5tupleIJSF_SF_EEENSH_IJSG_SG_EEES6_PlJ7is_evenIsEEEE10hipError_tPvRmT3_T4_T5_T6_T7_T9_mT8_P12ihipStream_tbDpT10_ENKUlT_T0_E_clISt17integral_constantIbLb0EES16_EEDaS11_S12_EUlS11_E_NS1_11comp_targetILNS1_3genE5ELNS1_11target_archE942ELNS1_3gpuE9ELNS1_3repE0EEENS1_30default_config_static_selectorELNS0_4arch9wavefront6targetE1EEEvT1_: ; @_ZN7rocprim17ROCPRIM_400000_NS6detail17trampoline_kernelINS0_14default_configENS1_25partition_config_selectorILNS1_17partition_subalgoE0EsNS0_10empty_typeEbEEZZNS1_14partition_implILS5_0ELb0ES3_jN6thrust23THRUST_200600_302600_NS6detail15normal_iteratorINSA_10device_ptrIsEEEEPS6_SG_NS0_5tupleIJSF_SF_EEENSH_IJSG_SG_EEES6_PlJ7is_evenIsEEEE10hipError_tPvRmT3_T4_T5_T6_T7_T9_mT8_P12ihipStream_tbDpT10_ENKUlT_T0_E_clISt17integral_constantIbLb0EES16_EEDaS11_S12_EUlS11_E_NS1_11comp_targetILNS1_3genE5ELNS1_11target_archE942ELNS1_3gpuE9ELNS1_3repE0EEENS1_30default_config_static_selectorELNS0_4arch9wavefront6targetE1EEEvT1_
; %bb.0:
	.section	.rodata,"a",@progbits
	.p2align	6, 0x0
	.amdhsa_kernel _ZN7rocprim17ROCPRIM_400000_NS6detail17trampoline_kernelINS0_14default_configENS1_25partition_config_selectorILNS1_17partition_subalgoE0EsNS0_10empty_typeEbEEZZNS1_14partition_implILS5_0ELb0ES3_jN6thrust23THRUST_200600_302600_NS6detail15normal_iteratorINSA_10device_ptrIsEEEEPS6_SG_NS0_5tupleIJSF_SF_EEENSH_IJSG_SG_EEES6_PlJ7is_evenIsEEEE10hipError_tPvRmT3_T4_T5_T6_T7_T9_mT8_P12ihipStream_tbDpT10_ENKUlT_T0_E_clISt17integral_constantIbLb0EES16_EEDaS11_S12_EUlS11_E_NS1_11comp_targetILNS1_3genE5ELNS1_11target_archE942ELNS1_3gpuE9ELNS1_3repE0EEENS1_30default_config_static_selectorELNS0_4arch9wavefront6targetE1EEEvT1_
		.amdhsa_group_segment_fixed_size 0
		.amdhsa_private_segment_fixed_size 0
		.amdhsa_kernarg_size 120
		.amdhsa_user_sgpr_count 6
		.amdhsa_user_sgpr_private_segment_buffer 1
		.amdhsa_user_sgpr_dispatch_ptr 0
		.amdhsa_user_sgpr_queue_ptr 0
		.amdhsa_user_sgpr_kernarg_segment_ptr 1
		.amdhsa_user_sgpr_dispatch_id 0
		.amdhsa_user_sgpr_flat_scratch_init 0
		.amdhsa_user_sgpr_kernarg_preload_length 0
		.amdhsa_user_sgpr_kernarg_preload_offset 0
		.amdhsa_user_sgpr_private_segment_size 0
		.amdhsa_uses_dynamic_stack 0
		.amdhsa_system_sgpr_private_segment_wavefront_offset 0
		.amdhsa_system_sgpr_workgroup_id_x 1
		.amdhsa_system_sgpr_workgroup_id_y 0
		.amdhsa_system_sgpr_workgroup_id_z 0
		.amdhsa_system_sgpr_workgroup_info 0
		.amdhsa_system_vgpr_workitem_id 0
		.amdhsa_next_free_vgpr 1
		.amdhsa_next_free_sgpr 0
		.amdhsa_accum_offset 4
		.amdhsa_reserve_vcc 0
		.amdhsa_reserve_flat_scratch 0
		.amdhsa_float_round_mode_32 0
		.amdhsa_float_round_mode_16_64 0
		.amdhsa_float_denorm_mode_32 3
		.amdhsa_float_denorm_mode_16_64 3
		.amdhsa_dx10_clamp 1
		.amdhsa_ieee_mode 1
		.amdhsa_fp16_overflow 0
		.amdhsa_tg_split 0
		.amdhsa_exception_fp_ieee_invalid_op 0
		.amdhsa_exception_fp_denorm_src 0
		.amdhsa_exception_fp_ieee_div_zero 0
		.amdhsa_exception_fp_ieee_overflow 0
		.amdhsa_exception_fp_ieee_underflow 0
		.amdhsa_exception_fp_ieee_inexact 0
		.amdhsa_exception_int_div_zero 0
	.end_amdhsa_kernel
	.section	.text._ZN7rocprim17ROCPRIM_400000_NS6detail17trampoline_kernelINS0_14default_configENS1_25partition_config_selectorILNS1_17partition_subalgoE0EsNS0_10empty_typeEbEEZZNS1_14partition_implILS5_0ELb0ES3_jN6thrust23THRUST_200600_302600_NS6detail15normal_iteratorINSA_10device_ptrIsEEEEPS6_SG_NS0_5tupleIJSF_SF_EEENSH_IJSG_SG_EEES6_PlJ7is_evenIsEEEE10hipError_tPvRmT3_T4_T5_T6_T7_T9_mT8_P12ihipStream_tbDpT10_ENKUlT_T0_E_clISt17integral_constantIbLb0EES16_EEDaS11_S12_EUlS11_E_NS1_11comp_targetILNS1_3genE5ELNS1_11target_archE942ELNS1_3gpuE9ELNS1_3repE0EEENS1_30default_config_static_selectorELNS0_4arch9wavefront6targetE1EEEvT1_,"axG",@progbits,_ZN7rocprim17ROCPRIM_400000_NS6detail17trampoline_kernelINS0_14default_configENS1_25partition_config_selectorILNS1_17partition_subalgoE0EsNS0_10empty_typeEbEEZZNS1_14partition_implILS5_0ELb0ES3_jN6thrust23THRUST_200600_302600_NS6detail15normal_iteratorINSA_10device_ptrIsEEEEPS6_SG_NS0_5tupleIJSF_SF_EEENSH_IJSG_SG_EEES6_PlJ7is_evenIsEEEE10hipError_tPvRmT3_T4_T5_T6_T7_T9_mT8_P12ihipStream_tbDpT10_ENKUlT_T0_E_clISt17integral_constantIbLb0EES16_EEDaS11_S12_EUlS11_E_NS1_11comp_targetILNS1_3genE5ELNS1_11target_archE942ELNS1_3gpuE9ELNS1_3repE0EEENS1_30default_config_static_selectorELNS0_4arch9wavefront6targetE1EEEvT1_,comdat
.Lfunc_end354:
	.size	_ZN7rocprim17ROCPRIM_400000_NS6detail17trampoline_kernelINS0_14default_configENS1_25partition_config_selectorILNS1_17partition_subalgoE0EsNS0_10empty_typeEbEEZZNS1_14partition_implILS5_0ELb0ES3_jN6thrust23THRUST_200600_302600_NS6detail15normal_iteratorINSA_10device_ptrIsEEEEPS6_SG_NS0_5tupleIJSF_SF_EEENSH_IJSG_SG_EEES6_PlJ7is_evenIsEEEE10hipError_tPvRmT3_T4_T5_T6_T7_T9_mT8_P12ihipStream_tbDpT10_ENKUlT_T0_E_clISt17integral_constantIbLb0EES16_EEDaS11_S12_EUlS11_E_NS1_11comp_targetILNS1_3genE5ELNS1_11target_archE942ELNS1_3gpuE9ELNS1_3repE0EEENS1_30default_config_static_selectorELNS0_4arch9wavefront6targetE1EEEvT1_, .Lfunc_end354-_ZN7rocprim17ROCPRIM_400000_NS6detail17trampoline_kernelINS0_14default_configENS1_25partition_config_selectorILNS1_17partition_subalgoE0EsNS0_10empty_typeEbEEZZNS1_14partition_implILS5_0ELb0ES3_jN6thrust23THRUST_200600_302600_NS6detail15normal_iteratorINSA_10device_ptrIsEEEEPS6_SG_NS0_5tupleIJSF_SF_EEENSH_IJSG_SG_EEES6_PlJ7is_evenIsEEEE10hipError_tPvRmT3_T4_T5_T6_T7_T9_mT8_P12ihipStream_tbDpT10_ENKUlT_T0_E_clISt17integral_constantIbLb0EES16_EEDaS11_S12_EUlS11_E_NS1_11comp_targetILNS1_3genE5ELNS1_11target_archE942ELNS1_3gpuE9ELNS1_3repE0EEENS1_30default_config_static_selectorELNS0_4arch9wavefront6targetE1EEEvT1_
                                        ; -- End function
	.section	.AMDGPU.csdata,"",@progbits
; Kernel info:
; codeLenInByte = 0
; NumSgprs: 4
; NumVgprs: 0
; NumAgprs: 0
; TotalNumVgprs: 0
; ScratchSize: 0
; MemoryBound: 0
; FloatMode: 240
; IeeeMode: 1
; LDSByteSize: 0 bytes/workgroup (compile time only)
; SGPRBlocks: 0
; VGPRBlocks: 0
; NumSGPRsForWavesPerEU: 4
; NumVGPRsForWavesPerEU: 1
; AccumOffset: 4
; Occupancy: 8
; WaveLimiterHint : 0
; COMPUTE_PGM_RSRC2:SCRATCH_EN: 0
; COMPUTE_PGM_RSRC2:USER_SGPR: 6
; COMPUTE_PGM_RSRC2:TRAP_HANDLER: 0
; COMPUTE_PGM_RSRC2:TGID_X_EN: 1
; COMPUTE_PGM_RSRC2:TGID_Y_EN: 0
; COMPUTE_PGM_RSRC2:TGID_Z_EN: 0
; COMPUTE_PGM_RSRC2:TIDIG_COMP_CNT: 0
; COMPUTE_PGM_RSRC3_GFX90A:ACCUM_OFFSET: 0
; COMPUTE_PGM_RSRC3_GFX90A:TG_SPLIT: 0
	.section	.text._ZN7rocprim17ROCPRIM_400000_NS6detail17trampoline_kernelINS0_14default_configENS1_25partition_config_selectorILNS1_17partition_subalgoE0EsNS0_10empty_typeEbEEZZNS1_14partition_implILS5_0ELb0ES3_jN6thrust23THRUST_200600_302600_NS6detail15normal_iteratorINSA_10device_ptrIsEEEEPS6_SG_NS0_5tupleIJSF_SF_EEENSH_IJSG_SG_EEES6_PlJ7is_evenIsEEEE10hipError_tPvRmT3_T4_T5_T6_T7_T9_mT8_P12ihipStream_tbDpT10_ENKUlT_T0_E_clISt17integral_constantIbLb0EES16_EEDaS11_S12_EUlS11_E_NS1_11comp_targetILNS1_3genE4ELNS1_11target_archE910ELNS1_3gpuE8ELNS1_3repE0EEENS1_30default_config_static_selectorELNS0_4arch9wavefront6targetE1EEEvT1_,"axG",@progbits,_ZN7rocprim17ROCPRIM_400000_NS6detail17trampoline_kernelINS0_14default_configENS1_25partition_config_selectorILNS1_17partition_subalgoE0EsNS0_10empty_typeEbEEZZNS1_14partition_implILS5_0ELb0ES3_jN6thrust23THRUST_200600_302600_NS6detail15normal_iteratorINSA_10device_ptrIsEEEEPS6_SG_NS0_5tupleIJSF_SF_EEENSH_IJSG_SG_EEES6_PlJ7is_evenIsEEEE10hipError_tPvRmT3_T4_T5_T6_T7_T9_mT8_P12ihipStream_tbDpT10_ENKUlT_T0_E_clISt17integral_constantIbLb0EES16_EEDaS11_S12_EUlS11_E_NS1_11comp_targetILNS1_3genE4ELNS1_11target_archE910ELNS1_3gpuE8ELNS1_3repE0EEENS1_30default_config_static_selectorELNS0_4arch9wavefront6targetE1EEEvT1_,comdat
	.protected	_ZN7rocprim17ROCPRIM_400000_NS6detail17trampoline_kernelINS0_14default_configENS1_25partition_config_selectorILNS1_17partition_subalgoE0EsNS0_10empty_typeEbEEZZNS1_14partition_implILS5_0ELb0ES3_jN6thrust23THRUST_200600_302600_NS6detail15normal_iteratorINSA_10device_ptrIsEEEEPS6_SG_NS0_5tupleIJSF_SF_EEENSH_IJSG_SG_EEES6_PlJ7is_evenIsEEEE10hipError_tPvRmT3_T4_T5_T6_T7_T9_mT8_P12ihipStream_tbDpT10_ENKUlT_T0_E_clISt17integral_constantIbLb0EES16_EEDaS11_S12_EUlS11_E_NS1_11comp_targetILNS1_3genE4ELNS1_11target_archE910ELNS1_3gpuE8ELNS1_3repE0EEENS1_30default_config_static_selectorELNS0_4arch9wavefront6targetE1EEEvT1_ ; -- Begin function _ZN7rocprim17ROCPRIM_400000_NS6detail17trampoline_kernelINS0_14default_configENS1_25partition_config_selectorILNS1_17partition_subalgoE0EsNS0_10empty_typeEbEEZZNS1_14partition_implILS5_0ELb0ES3_jN6thrust23THRUST_200600_302600_NS6detail15normal_iteratorINSA_10device_ptrIsEEEEPS6_SG_NS0_5tupleIJSF_SF_EEENSH_IJSG_SG_EEES6_PlJ7is_evenIsEEEE10hipError_tPvRmT3_T4_T5_T6_T7_T9_mT8_P12ihipStream_tbDpT10_ENKUlT_T0_E_clISt17integral_constantIbLb0EES16_EEDaS11_S12_EUlS11_E_NS1_11comp_targetILNS1_3genE4ELNS1_11target_archE910ELNS1_3gpuE8ELNS1_3repE0EEENS1_30default_config_static_selectorELNS0_4arch9wavefront6targetE1EEEvT1_
	.globl	_ZN7rocprim17ROCPRIM_400000_NS6detail17trampoline_kernelINS0_14default_configENS1_25partition_config_selectorILNS1_17partition_subalgoE0EsNS0_10empty_typeEbEEZZNS1_14partition_implILS5_0ELb0ES3_jN6thrust23THRUST_200600_302600_NS6detail15normal_iteratorINSA_10device_ptrIsEEEEPS6_SG_NS0_5tupleIJSF_SF_EEENSH_IJSG_SG_EEES6_PlJ7is_evenIsEEEE10hipError_tPvRmT3_T4_T5_T6_T7_T9_mT8_P12ihipStream_tbDpT10_ENKUlT_T0_E_clISt17integral_constantIbLb0EES16_EEDaS11_S12_EUlS11_E_NS1_11comp_targetILNS1_3genE4ELNS1_11target_archE910ELNS1_3gpuE8ELNS1_3repE0EEENS1_30default_config_static_selectorELNS0_4arch9wavefront6targetE1EEEvT1_
	.p2align	8
	.type	_ZN7rocprim17ROCPRIM_400000_NS6detail17trampoline_kernelINS0_14default_configENS1_25partition_config_selectorILNS1_17partition_subalgoE0EsNS0_10empty_typeEbEEZZNS1_14partition_implILS5_0ELb0ES3_jN6thrust23THRUST_200600_302600_NS6detail15normal_iteratorINSA_10device_ptrIsEEEEPS6_SG_NS0_5tupleIJSF_SF_EEENSH_IJSG_SG_EEES6_PlJ7is_evenIsEEEE10hipError_tPvRmT3_T4_T5_T6_T7_T9_mT8_P12ihipStream_tbDpT10_ENKUlT_T0_E_clISt17integral_constantIbLb0EES16_EEDaS11_S12_EUlS11_E_NS1_11comp_targetILNS1_3genE4ELNS1_11target_archE910ELNS1_3gpuE8ELNS1_3repE0EEENS1_30default_config_static_selectorELNS0_4arch9wavefront6targetE1EEEvT1_,@function
_ZN7rocprim17ROCPRIM_400000_NS6detail17trampoline_kernelINS0_14default_configENS1_25partition_config_selectorILNS1_17partition_subalgoE0EsNS0_10empty_typeEbEEZZNS1_14partition_implILS5_0ELb0ES3_jN6thrust23THRUST_200600_302600_NS6detail15normal_iteratorINSA_10device_ptrIsEEEEPS6_SG_NS0_5tupleIJSF_SF_EEENSH_IJSG_SG_EEES6_PlJ7is_evenIsEEEE10hipError_tPvRmT3_T4_T5_T6_T7_T9_mT8_P12ihipStream_tbDpT10_ENKUlT_T0_E_clISt17integral_constantIbLb0EES16_EEDaS11_S12_EUlS11_E_NS1_11comp_targetILNS1_3genE4ELNS1_11target_archE910ELNS1_3gpuE8ELNS1_3repE0EEENS1_30default_config_static_selectorELNS0_4arch9wavefront6targetE1EEEvT1_: ; @_ZN7rocprim17ROCPRIM_400000_NS6detail17trampoline_kernelINS0_14default_configENS1_25partition_config_selectorILNS1_17partition_subalgoE0EsNS0_10empty_typeEbEEZZNS1_14partition_implILS5_0ELb0ES3_jN6thrust23THRUST_200600_302600_NS6detail15normal_iteratorINSA_10device_ptrIsEEEEPS6_SG_NS0_5tupleIJSF_SF_EEENSH_IJSG_SG_EEES6_PlJ7is_evenIsEEEE10hipError_tPvRmT3_T4_T5_T6_T7_T9_mT8_P12ihipStream_tbDpT10_ENKUlT_T0_E_clISt17integral_constantIbLb0EES16_EEDaS11_S12_EUlS11_E_NS1_11comp_targetILNS1_3genE4ELNS1_11target_archE910ELNS1_3gpuE8ELNS1_3repE0EEENS1_30default_config_static_selectorELNS0_4arch9wavefront6targetE1EEEvT1_
; %bb.0:
	s_load_dwordx2 s[0:1], s[4:5], 0x58
	s_load_dwordx4 s[20:23], s[4:5], 0x8
	s_load_dwordx4 s[24:27], s[4:5], 0x48
	s_load_dword s7, s[4:5], 0x70
	s_mul_i32 s8, s6, 0x1c00
	s_waitcnt lgkmcnt(0)
	v_mov_b32_e32 v3, s1
	s_lshl_b64 s[2:3], s[22:23], 1
	s_add_u32 s10, s20, s2
	s_mul_i32 s1, s7, 0x1c00
	s_addc_u32 s11, s21, s3
	s_add_i32 s3, s1, s22
	s_sub_i32 s33, s0, s3
	s_add_i32 s2, s7, -1
	s_addk_i32 s33, 0x1c00
	v_mov_b32_e32 v2, s0
	s_add_u32 s0, s22, s1
	s_addc_u32 s1, s23, 0
	s_cmp_eq_u32 s6, s2
	s_load_dwordx2 s[30:31], s[26:27], 0x0
	s_cselect_b64 s[26:27], -1, 0
	s_cmp_lg_u32 s6, s2
	s_mov_b32 s9, 0
	v_cmp_lt_u64_e32 vcc, s[0:1], v[2:3]
	s_cselect_b64 s[0:1], -1, 0
	s_or_b64 s[2:3], s[0:1], vcc
	s_lshl_b64 s[28:29], s[8:9], 1
	s_add_u32 s7, s10, s28
	s_addc_u32 s10, s11, s29
	s_mov_b64 s[0:1], -1
	s_and_b64 vcc, exec, s[2:3]
	v_lshlrev_b32_e32 v1, 1, v0
	s_cbranch_vccz .LBB355_2
; %bb.1:
	v_mov_b32_e32 v3, s10
	v_add_co_u32_e32 v2, vcc, s7, v1
	v_addc_co_u32_e32 v3, vcc, 0, v3, vcc
	v_add_co_u32_e32 v4, vcc, 0x1000, v2
	v_addc_co_u32_e32 v5, vcc, 0, v3, vcc
	flat_load_ushort v6, v[2:3]
	flat_load_ushort v7, v[2:3] offset:512
	flat_load_ushort v8, v[2:3] offset:1024
	;; [unrolled: 1-line block ×7, first 2 shown]
	flat_load_ushort v14, v[4:5]
	flat_load_ushort v15, v[4:5] offset:512
	flat_load_ushort v16, v[4:5] offset:1024
	;; [unrolled: 1-line block ×7, first 2 shown]
	v_add_co_u32_e32 v4, vcc, 0x2000, v2
	v_addc_co_u32_e32 v5, vcc, 0, v3, vcc
	v_add_co_u32_e32 v2, vcc, 0x3000, v2
	v_addc_co_u32_e32 v3, vcc, 0, v3, vcc
	flat_load_ushort v22, v[4:5]
	flat_load_ushort v23, v[4:5] offset:512
	flat_load_ushort v24, v[4:5] offset:1024
	;; [unrolled: 1-line block ×7, first 2 shown]
	s_nop 0
	flat_load_ushort v4, v[2:3]
	flat_load_ushort v5, v[2:3] offset:512
	flat_load_ushort v30, v[2:3] offset:1024
	;; [unrolled: 1-line block ×3, first 2 shown]
	s_mov_b64 s[0:1], 0
	s_waitcnt vmcnt(0) lgkmcnt(0)
	ds_write_b16 v1, v6
	ds_write_b16 v1, v7 offset:512
	ds_write_b16 v1, v8 offset:1024
	ds_write_b16 v1, v9 offset:1536
	ds_write_b16 v1, v10 offset:2048
	ds_write_b16 v1, v11 offset:2560
	ds_write_b16 v1, v12 offset:3072
	ds_write_b16 v1, v13 offset:3584
	ds_write_b16 v1, v14 offset:4096
	ds_write_b16 v1, v15 offset:4608
	ds_write_b16 v1, v16 offset:5120
	ds_write_b16 v1, v17 offset:5632
	ds_write_b16 v1, v18 offset:6144
	ds_write_b16 v1, v19 offset:6656
	ds_write_b16 v1, v20 offset:7168
	ds_write_b16 v1, v21 offset:7680
	ds_write_b16 v1, v22 offset:8192
	ds_write_b16 v1, v23 offset:8704
	ds_write_b16 v1, v24 offset:9216
	ds_write_b16 v1, v25 offset:9728
	ds_write_b16 v1, v26 offset:10240
	ds_write_b16 v1, v27 offset:10752
	ds_write_b16 v1, v28 offset:11264
	ds_write_b16 v1, v29 offset:11776
	ds_write_b16 v1, v4 offset:12288
	ds_write_b16 v1, v5 offset:12800
	ds_write_b16 v1, v30 offset:13312
	ds_write_b16 v1, v31 offset:13824
	s_waitcnt lgkmcnt(0)
	s_barrier
.LBB355_2:
	s_andn2_b64 vcc, exec, s[0:1]
	v_cmp_gt_u32_e64 s[0:1], s33, v0
	s_cbranch_vccnz .LBB355_60
; %bb.3:
                                        ; implicit-def: $vgpr2
	s_and_saveexec_b64 s[8:9], s[0:1]
	s_cbranch_execz .LBB355_5
; %bb.4:
	v_mov_b32_e32 v3, s10
	v_add_co_u32_e32 v2, vcc, s7, v1
	v_addc_co_u32_e32 v3, vcc, 0, v3, vcc
	flat_load_ushort v2, v[2:3]
.LBB355_5:
	s_or_b64 exec, exec, s[8:9]
	v_or_b32_e32 v3, 0x100, v0
	v_cmp_gt_u32_e32 vcc, s33, v3
                                        ; implicit-def: $vgpr3
	s_and_saveexec_b64 s[0:1], vcc
	s_cbranch_execz .LBB355_7
; %bb.6:
	v_mov_b32_e32 v3, s10
	v_add_co_u32_e32 v4, vcc, s7, v1
	v_addc_co_u32_e32 v5, vcc, 0, v3, vcc
	flat_load_ushort v3, v[4:5] offset:512
.LBB355_7:
	s_or_b64 exec, exec, s[0:1]
	v_or_b32_e32 v4, 0x200, v0
	v_cmp_gt_u32_e32 vcc, s33, v4
                                        ; implicit-def: $vgpr4
	s_and_saveexec_b64 s[0:1], vcc
	s_cbranch_execz .LBB355_9
; %bb.8:
	v_mov_b32_e32 v5, s10
	v_add_co_u32_e32 v4, vcc, s7, v1
	v_addc_co_u32_e32 v5, vcc, 0, v5, vcc
	flat_load_ushort v4, v[4:5] offset:1024
.LBB355_9:
	s_or_b64 exec, exec, s[0:1]
	v_or_b32_e32 v5, 0x300, v0
	v_cmp_gt_u32_e32 vcc, s33, v5
                                        ; implicit-def: $vgpr5
	s_and_saveexec_b64 s[0:1], vcc
	s_cbranch_execz .LBB355_11
; %bb.10:
	v_mov_b32_e32 v5, s10
	v_add_co_u32_e32 v6, vcc, s7, v1
	v_addc_co_u32_e32 v7, vcc, 0, v5, vcc
	flat_load_ushort v5, v[6:7] offset:1536
.LBB355_11:
	s_or_b64 exec, exec, s[0:1]
	v_or_b32_e32 v6, 0x400, v0
	v_cmp_gt_u32_e32 vcc, s33, v6
                                        ; implicit-def: $vgpr6
	s_and_saveexec_b64 s[0:1], vcc
	s_cbranch_execz .LBB355_13
; %bb.12:
	v_mov_b32_e32 v7, s10
	v_add_co_u32_e32 v6, vcc, s7, v1
	v_addc_co_u32_e32 v7, vcc, 0, v7, vcc
	flat_load_ushort v6, v[6:7] offset:2048
.LBB355_13:
	s_or_b64 exec, exec, s[0:1]
	v_or_b32_e32 v7, 0x500, v0
	v_cmp_gt_u32_e32 vcc, s33, v7
                                        ; implicit-def: $vgpr7
	s_and_saveexec_b64 s[0:1], vcc
	s_cbranch_execz .LBB355_15
; %bb.14:
	v_mov_b32_e32 v7, s10
	v_add_co_u32_e32 v8, vcc, s7, v1
	v_addc_co_u32_e32 v9, vcc, 0, v7, vcc
	flat_load_ushort v7, v[8:9] offset:2560
.LBB355_15:
	s_or_b64 exec, exec, s[0:1]
	v_or_b32_e32 v8, 0x600, v0
	v_cmp_gt_u32_e32 vcc, s33, v8
                                        ; implicit-def: $vgpr8
	s_and_saveexec_b64 s[0:1], vcc
	s_cbranch_execz .LBB355_17
; %bb.16:
	v_mov_b32_e32 v9, s10
	v_add_co_u32_e32 v8, vcc, s7, v1
	v_addc_co_u32_e32 v9, vcc, 0, v9, vcc
	flat_load_ushort v8, v[8:9] offset:3072
.LBB355_17:
	s_or_b64 exec, exec, s[0:1]
	v_or_b32_e32 v9, 0x700, v0
	v_cmp_gt_u32_e32 vcc, s33, v9
                                        ; implicit-def: $vgpr9
	s_and_saveexec_b64 s[0:1], vcc
	s_cbranch_execz .LBB355_19
; %bb.18:
	v_mov_b32_e32 v9, s10
	v_add_co_u32_e32 v10, vcc, s7, v1
	v_addc_co_u32_e32 v11, vcc, 0, v9, vcc
	flat_load_ushort v9, v[10:11] offset:3584
.LBB355_19:
	s_or_b64 exec, exec, s[0:1]
	v_or_b32_e32 v11, 0x800, v0
	v_cmp_gt_u32_e32 vcc, s33, v11
                                        ; implicit-def: $vgpr10
	s_and_saveexec_b64 s[0:1], vcc
	s_cbranch_execz .LBB355_21
; %bb.20:
	v_lshlrev_b32_e32 v10, 1, v11
	v_mov_b32_e32 v11, s10
	v_add_co_u32_e32 v10, vcc, s7, v10
	v_addc_co_u32_e32 v11, vcc, 0, v11, vcc
	flat_load_ushort v10, v[10:11]
.LBB355_21:
	s_or_b64 exec, exec, s[0:1]
	v_or_b32_e32 v12, 0x900, v0
	v_cmp_gt_u32_e32 vcc, s33, v12
                                        ; implicit-def: $vgpr11
	s_and_saveexec_b64 s[0:1], vcc
	s_cbranch_execz .LBB355_23
; %bb.22:
	v_lshlrev_b32_e32 v11, 1, v12
	v_mov_b32_e32 v13, s10
	v_add_co_u32_e32 v12, vcc, s7, v11
	v_addc_co_u32_e32 v13, vcc, 0, v13, vcc
	flat_load_ushort v11, v[12:13]
.LBB355_23:
	s_or_b64 exec, exec, s[0:1]
	v_or_b32_e32 v13, 0xa00, v0
	v_cmp_gt_u32_e32 vcc, s33, v13
                                        ; implicit-def: $vgpr12
	s_and_saveexec_b64 s[0:1], vcc
	s_cbranch_execz .LBB355_25
; %bb.24:
	v_lshlrev_b32_e32 v12, 1, v13
	v_mov_b32_e32 v13, s10
	v_add_co_u32_e32 v12, vcc, s7, v12
	v_addc_co_u32_e32 v13, vcc, 0, v13, vcc
	flat_load_ushort v12, v[12:13]
.LBB355_25:
	s_or_b64 exec, exec, s[0:1]
	v_or_b32_e32 v14, 0xb00, v0
	v_cmp_gt_u32_e32 vcc, s33, v14
                                        ; implicit-def: $vgpr13
	s_and_saveexec_b64 s[0:1], vcc
	s_cbranch_execz .LBB355_27
; %bb.26:
	v_lshlrev_b32_e32 v13, 1, v14
	v_mov_b32_e32 v15, s10
	v_add_co_u32_e32 v14, vcc, s7, v13
	v_addc_co_u32_e32 v15, vcc, 0, v15, vcc
	flat_load_ushort v13, v[14:15]
.LBB355_27:
	s_or_b64 exec, exec, s[0:1]
	v_or_b32_e32 v15, 0xc00, v0
	v_cmp_gt_u32_e32 vcc, s33, v15
                                        ; implicit-def: $vgpr14
	s_and_saveexec_b64 s[0:1], vcc
	s_cbranch_execz .LBB355_29
; %bb.28:
	v_lshlrev_b32_e32 v14, 1, v15
	v_mov_b32_e32 v15, s10
	v_add_co_u32_e32 v14, vcc, s7, v14
	v_addc_co_u32_e32 v15, vcc, 0, v15, vcc
	flat_load_ushort v14, v[14:15]
.LBB355_29:
	s_or_b64 exec, exec, s[0:1]
	v_or_b32_e32 v16, 0xd00, v0
	v_cmp_gt_u32_e32 vcc, s33, v16
                                        ; implicit-def: $vgpr15
	s_and_saveexec_b64 s[0:1], vcc
	s_cbranch_execz .LBB355_31
; %bb.30:
	v_lshlrev_b32_e32 v15, 1, v16
	v_mov_b32_e32 v17, s10
	v_add_co_u32_e32 v16, vcc, s7, v15
	v_addc_co_u32_e32 v17, vcc, 0, v17, vcc
	flat_load_ushort v15, v[16:17]
.LBB355_31:
	s_or_b64 exec, exec, s[0:1]
	v_or_b32_e32 v17, 0xe00, v0
	v_cmp_gt_u32_e32 vcc, s33, v17
                                        ; implicit-def: $vgpr16
	s_and_saveexec_b64 s[0:1], vcc
	s_cbranch_execz .LBB355_33
; %bb.32:
	v_lshlrev_b32_e32 v16, 1, v17
	v_mov_b32_e32 v17, s10
	v_add_co_u32_e32 v16, vcc, s7, v16
	v_addc_co_u32_e32 v17, vcc, 0, v17, vcc
	flat_load_ushort v16, v[16:17]
.LBB355_33:
	s_or_b64 exec, exec, s[0:1]
	v_or_b32_e32 v18, 0xf00, v0
	v_cmp_gt_u32_e32 vcc, s33, v18
                                        ; implicit-def: $vgpr17
	s_and_saveexec_b64 s[0:1], vcc
	s_cbranch_execz .LBB355_35
; %bb.34:
	v_lshlrev_b32_e32 v17, 1, v18
	v_mov_b32_e32 v19, s10
	v_add_co_u32_e32 v18, vcc, s7, v17
	v_addc_co_u32_e32 v19, vcc, 0, v19, vcc
	flat_load_ushort v17, v[18:19]
.LBB355_35:
	s_or_b64 exec, exec, s[0:1]
	v_or_b32_e32 v19, 0x1000, v0
	v_cmp_gt_u32_e32 vcc, s33, v19
                                        ; implicit-def: $vgpr18
	s_and_saveexec_b64 s[0:1], vcc
	s_cbranch_execz .LBB355_37
; %bb.36:
	v_lshlrev_b32_e32 v18, 1, v19
	v_mov_b32_e32 v19, s10
	v_add_co_u32_e32 v18, vcc, s7, v18
	v_addc_co_u32_e32 v19, vcc, 0, v19, vcc
	flat_load_ushort v18, v[18:19]
.LBB355_37:
	s_or_b64 exec, exec, s[0:1]
	v_or_b32_e32 v20, 0x1100, v0
	v_cmp_gt_u32_e32 vcc, s33, v20
                                        ; implicit-def: $vgpr19
	s_and_saveexec_b64 s[0:1], vcc
	s_cbranch_execz .LBB355_39
; %bb.38:
	v_lshlrev_b32_e32 v19, 1, v20
	v_mov_b32_e32 v21, s10
	v_add_co_u32_e32 v20, vcc, s7, v19
	v_addc_co_u32_e32 v21, vcc, 0, v21, vcc
	flat_load_ushort v19, v[20:21]
.LBB355_39:
	s_or_b64 exec, exec, s[0:1]
	v_or_b32_e32 v21, 0x1200, v0
	v_cmp_gt_u32_e32 vcc, s33, v21
                                        ; implicit-def: $vgpr20
	s_and_saveexec_b64 s[0:1], vcc
	s_cbranch_execz .LBB355_41
; %bb.40:
	v_lshlrev_b32_e32 v20, 1, v21
	v_mov_b32_e32 v21, s10
	v_add_co_u32_e32 v20, vcc, s7, v20
	v_addc_co_u32_e32 v21, vcc, 0, v21, vcc
	flat_load_ushort v20, v[20:21]
.LBB355_41:
	s_or_b64 exec, exec, s[0:1]
	v_or_b32_e32 v22, 0x1300, v0
	v_cmp_gt_u32_e32 vcc, s33, v22
                                        ; implicit-def: $vgpr21
	s_and_saveexec_b64 s[0:1], vcc
	s_cbranch_execz .LBB355_43
; %bb.42:
	v_lshlrev_b32_e32 v21, 1, v22
	v_mov_b32_e32 v23, s10
	v_add_co_u32_e32 v22, vcc, s7, v21
	v_addc_co_u32_e32 v23, vcc, 0, v23, vcc
	flat_load_ushort v21, v[22:23]
.LBB355_43:
	s_or_b64 exec, exec, s[0:1]
	v_or_b32_e32 v23, 0x1400, v0
	v_cmp_gt_u32_e32 vcc, s33, v23
                                        ; implicit-def: $vgpr22
	s_and_saveexec_b64 s[0:1], vcc
	s_cbranch_execz .LBB355_45
; %bb.44:
	v_lshlrev_b32_e32 v22, 1, v23
	v_mov_b32_e32 v23, s10
	v_add_co_u32_e32 v22, vcc, s7, v22
	v_addc_co_u32_e32 v23, vcc, 0, v23, vcc
	flat_load_ushort v22, v[22:23]
.LBB355_45:
	s_or_b64 exec, exec, s[0:1]
	v_or_b32_e32 v24, 0x1500, v0
	v_cmp_gt_u32_e32 vcc, s33, v24
                                        ; implicit-def: $vgpr23
	s_and_saveexec_b64 s[0:1], vcc
	s_cbranch_execz .LBB355_47
; %bb.46:
	v_lshlrev_b32_e32 v23, 1, v24
	v_mov_b32_e32 v25, s10
	v_add_co_u32_e32 v24, vcc, s7, v23
	v_addc_co_u32_e32 v25, vcc, 0, v25, vcc
	flat_load_ushort v23, v[24:25]
.LBB355_47:
	s_or_b64 exec, exec, s[0:1]
	v_or_b32_e32 v25, 0x1600, v0
	v_cmp_gt_u32_e32 vcc, s33, v25
                                        ; implicit-def: $vgpr24
	s_and_saveexec_b64 s[0:1], vcc
	s_cbranch_execz .LBB355_49
; %bb.48:
	v_lshlrev_b32_e32 v24, 1, v25
	v_mov_b32_e32 v25, s10
	v_add_co_u32_e32 v24, vcc, s7, v24
	v_addc_co_u32_e32 v25, vcc, 0, v25, vcc
	flat_load_ushort v24, v[24:25]
.LBB355_49:
	s_or_b64 exec, exec, s[0:1]
	v_or_b32_e32 v26, 0x1700, v0
	v_cmp_gt_u32_e32 vcc, s33, v26
                                        ; implicit-def: $vgpr25
	s_and_saveexec_b64 s[0:1], vcc
	s_cbranch_execz .LBB355_51
; %bb.50:
	v_lshlrev_b32_e32 v25, 1, v26
	v_mov_b32_e32 v27, s10
	v_add_co_u32_e32 v26, vcc, s7, v25
	v_addc_co_u32_e32 v27, vcc, 0, v27, vcc
	flat_load_ushort v25, v[26:27]
.LBB355_51:
	s_or_b64 exec, exec, s[0:1]
	v_or_b32_e32 v27, 0x1800, v0
	v_cmp_gt_u32_e32 vcc, s33, v27
                                        ; implicit-def: $vgpr26
	s_and_saveexec_b64 s[0:1], vcc
	s_cbranch_execz .LBB355_53
; %bb.52:
	v_lshlrev_b32_e32 v26, 1, v27
	v_mov_b32_e32 v27, s10
	v_add_co_u32_e32 v26, vcc, s7, v26
	v_addc_co_u32_e32 v27, vcc, 0, v27, vcc
	flat_load_ushort v26, v[26:27]
.LBB355_53:
	s_or_b64 exec, exec, s[0:1]
	v_or_b32_e32 v28, 0x1900, v0
	v_cmp_gt_u32_e32 vcc, s33, v28
                                        ; implicit-def: $vgpr27
	s_and_saveexec_b64 s[0:1], vcc
	s_cbranch_execz .LBB355_55
; %bb.54:
	v_lshlrev_b32_e32 v27, 1, v28
	v_mov_b32_e32 v29, s10
	v_add_co_u32_e32 v28, vcc, s7, v27
	v_addc_co_u32_e32 v29, vcc, 0, v29, vcc
	flat_load_ushort v27, v[28:29]
.LBB355_55:
	s_or_b64 exec, exec, s[0:1]
	v_or_b32_e32 v29, 0x1a00, v0
	v_cmp_gt_u32_e32 vcc, s33, v29
                                        ; implicit-def: $vgpr28
	s_and_saveexec_b64 s[0:1], vcc
	s_cbranch_execz .LBB355_57
; %bb.56:
	v_lshlrev_b32_e32 v28, 1, v29
	v_mov_b32_e32 v29, s10
	v_add_co_u32_e32 v28, vcc, s7, v28
	v_addc_co_u32_e32 v29, vcc, 0, v29, vcc
	flat_load_ushort v28, v[28:29]
.LBB355_57:
	s_or_b64 exec, exec, s[0:1]
	v_or_b32_e32 v30, 0x1b00, v0
	v_cmp_gt_u32_e32 vcc, s33, v30
                                        ; implicit-def: $vgpr29
	s_and_saveexec_b64 s[0:1], vcc
	s_cbranch_execz .LBB355_59
; %bb.58:
	v_lshlrev_b32_e32 v29, 1, v30
	v_mov_b32_e32 v31, s10
	v_add_co_u32_e32 v30, vcc, s7, v29
	v_addc_co_u32_e32 v31, vcc, 0, v31, vcc
	flat_load_ushort v29, v[30:31]
.LBB355_59:
	s_or_b64 exec, exec, s[0:1]
	s_waitcnt vmcnt(0) lgkmcnt(0)
	ds_write_b16 v1, v2
	ds_write_b16 v1, v3 offset:512
	ds_write_b16 v1, v4 offset:1024
	;; [unrolled: 1-line block ×27, first 2 shown]
	s_waitcnt lgkmcnt(0)
	s_barrier
.LBB355_60:
	v_mul_u32_u24_e32 v39, 28, v0
	v_lshlrev_b32_e32 v6, 1, v39
	s_waitcnt lgkmcnt(0)
	ds_read_b64 v[14:15], v6 offset:48
	ds_read2_b64 v[2:5], v6 offset0:4 offset1:5
	ds_read2_b64 v[10:13], v6 offset1:1
	ds_read2_b64 v[6:9], v6 offset0:2 offset1:3
	v_cndmask_b32_e64 v16, 0, 1, s[2:3]
	s_waitcnt lgkmcnt(3)
	v_lshrrev_b32_e32 v27, 16, v14
	v_lshrrev_b32_e32 v26, 16, v15
	s_waitcnt lgkmcnt(2)
	v_lshrrev_b32_e32 v31, 16, v2
	v_lshrrev_b32_e32 v30, 16, v3
	v_lshrrev_b32_e32 v29, 16, v4
	v_lshrrev_b32_e32 v28, 16, v5
	s_waitcnt lgkmcnt(1)
	v_lshrrev_b32_e32 v40, 16, v10
	v_lshrrev_b32_e32 v38, 16, v11
	;; [unrolled: 5-line block ×3, first 2 shown]
	v_lshrrev_b32_e32 v33, 16, v8
	v_lshrrev_b32_e32 v32, 16, v9
	v_cmp_ne_u32_e64 s[0:1], 1, v16
	s_andn2_b64 vcc, exec, s[2:3]
	v_xor_b32_e32 v86, -1, v10
	v_xor_b32_e32 v85, -1, v40
	;; [unrolled: 1-line block ×28, first 2 shown]
	s_barrier
	s_cbranch_vccnz .LBB355_62
; %bb.61:
	v_and_b32_e32 v68, 1, v86
	v_and_b32_e32 v67, 1, v85
	;; [unrolled: 1-line block ×28, first 2 shown]
	s_load_dwordx2 s[34:35], s[4:5], 0x68
	s_cbranch_execz .LBB355_63
	s_branch .LBB355_64
.LBB355_62:
                                        ; implicit-def: $vgpr68
                                        ; implicit-def: $vgpr67
                                        ; implicit-def: $vgpr66
                                        ; implicit-def: $vgpr65
                                        ; implicit-def: $vgpr64
                                        ; implicit-def: $vgpr63
                                        ; implicit-def: $vgpr62
                                        ; implicit-def: $vgpr61
                                        ; implicit-def: $vgpr60
                                        ; implicit-def: $vgpr59
                                        ; implicit-def: $vgpr58
                                        ; implicit-def: $vgpr57
                                        ; implicit-def: $vgpr56
                                        ; implicit-def: $vgpr55
                                        ; implicit-def: $vgpr54
                                        ; implicit-def: $vgpr53
                                        ; implicit-def: $vgpr52
                                        ; implicit-def: $vgpr51
                                        ; implicit-def: $vgpr50
                                        ; implicit-def: $vgpr49
                                        ; implicit-def: $vgpr48
                                        ; implicit-def: $vgpr47
                                        ; implicit-def: $vgpr46
                                        ; implicit-def: $vgpr45
                                        ; implicit-def: $vgpr44
                                        ; implicit-def: $vgpr43
                                        ; implicit-def: $vgpr41
                                        ; implicit-def: $vgpr42
	s_load_dwordx2 s[34:35], s[4:5], 0x68
.LBB355_63:
	v_or_b32_e32 v50, 1, v39
	v_cmp_gt_u32_e32 vcc, s33, v39
	v_or_b32_e32 v51, 2, v39
	v_cndmask_b32_e64 v59, 0, 1, vcc
	v_cmp_gt_u32_e32 vcc, s33, v50
	v_or_b32_e32 v52, 3, v39
	v_cndmask_b32_e64 v50, 0, 1, vcc
	v_cmp_gt_u32_e32 vcc, s33, v51
	v_add_u32_e32 v53, 4, v39
	v_and_b32_e32 v67, v50, v85
	v_cndmask_b32_e64 v50, 0, 1, vcc
	v_cmp_gt_u32_e32 vcc, s33, v52
	v_add_u32_e32 v54, 5, v39
	v_and_b32_e32 v66, v50, v84
	v_cndmask_b32_e64 v50, 0, 1, vcc
	v_cmp_gt_u32_e32 vcc, s33, v53
	v_add_u32_e32 v55, 6, v39
	v_and_b32_e32 v65, v50, v83
	v_cndmask_b32_e64 v50, 0, 1, vcc
	v_cmp_gt_u32_e32 vcc, s33, v54
	v_add_u32_e32 v56, 7, v39
	v_and_b32_e32 v64, v50, v82
	v_cndmask_b32_e64 v50, 0, 1, vcc
	v_cmp_gt_u32_e32 vcc, s33, v55
	v_add_u32_e32 v57, 8, v39
	v_and_b32_e32 v63, v50, v81
	v_cndmask_b32_e64 v50, 0, 1, vcc
	v_cmp_gt_u32_e32 vcc, s33, v56
	v_add_u32_e32 v58, 9, v39
	v_and_b32_e32 v62, v50, v80
	v_cndmask_b32_e64 v50, 0, 1, vcc
	v_cmp_gt_u32_e32 vcc, s33, v57
	v_add_u32_e32 v87, 10, v39
	v_and_b32_e32 v61, v50, v79
	v_cndmask_b32_e64 v50, 0, 1, vcc
	v_cmp_gt_u32_e32 vcc, s33, v58
	v_add_u32_e32 v88, 11, v39
	v_and_b32_e32 v60, v50, v78
	v_cndmask_b32_e64 v50, 0, 1, vcc
	v_cmp_gt_u32_e32 vcc, s33, v87
	v_add_u32_e32 v89, 12, v39
	v_and_b32_e32 v68, v59, v86
	v_and_b32_e32 v59, v50, v77
	v_cndmask_b32_e64 v50, 0, 1, vcc
	v_cmp_gt_u32_e32 vcc, s33, v88
	v_add_u32_e32 v90, 13, v39
	v_and_b32_e32 v58, v50, v76
	v_cndmask_b32_e64 v50, 0, 1, vcc
	v_cmp_gt_u32_e32 vcc, s33, v89
	v_add_u32_e32 v91, 14, v39
	;; [unrolled: 4-line block ×15, first 2 shown]
	v_and_b32_e32 v44, v20, v19
	v_cndmask_b32_e64 v19, 0, 1, vcc
	v_cmp_gt_u32_e32 vcc, s33, v41
	v_and_b32_e32 v43, v19, v18
	v_cndmask_b32_e64 v18, 0, 1, vcc
	v_cmp_gt_u32_e32 vcc, s33, v42
	v_and_b32_e32 v41, v18, v17
	v_cndmask_b32_e64 v17, 0, 1, vcc
	v_and_b32_e32 v42, v17, v16
.LBB355_64:
	v_and_b32_e32 v93, 0xff, v44
	v_and_b32_e32 v94, 0xff, v43
	v_add_u32_sdwa v16, v41, v42 dst_sel:DWORD dst_unused:UNUSED_PAD src0_sel:BYTE_0 src1_sel:BYTE_0
	v_and_b32_e32 v91, 0xff, v46
	v_and_b32_e32 v92, 0xff, v45
	v_add3_u32 v16, v16, v94, v93
	v_and_b32_e32 v89, 0xff, v48
	v_and_b32_e32 v90, 0xff, v47
	v_add3_u32 v16, v16, v92, v91
	;; [unrolled: 3-line block ×12, first 2 shown]
	v_add3_u32 v97, v16, v70, v69
	v_mbcnt_lo_u32_b32 v16, -1, 0
	v_mbcnt_hi_u32_b32 v95, -1, v16
	v_and_b32_e32 v16, 15, v95
	v_cmp_eq_u32_e64 s[16:17], 0, v16
	v_cmp_lt_u32_e64 s[14:15], 1, v16
	v_cmp_lt_u32_e64 s[12:13], 3, v16
	;; [unrolled: 1-line block ×3, first 2 shown]
	v_and_b32_e32 v16, 16, v95
	v_cmp_eq_u32_e64 s[8:9], 0, v16
	v_or_b32_e32 v16, 63, v0
	s_cmp_lg_u32 s6, 0
	v_cmp_lt_u32_e64 s[2:3], 31, v95
	v_lshrrev_b32_e32 v96, 6, v0
	v_cmp_eq_u32_e64 s[20:21], v16, v0
	s_cbranch_scc0 .LBB355_91
; %bb.65:
	v_mov_b32_dpp v16, v97 row_shr:1 row_mask:0xf bank_mask:0xf
	v_cndmask_b32_e64 v16, v16, 0, s[16:17]
	v_add_u32_e32 v16, v16, v97
	s_nop 1
	v_mov_b32_dpp v17, v16 row_shr:2 row_mask:0xf bank_mask:0xf
	v_cndmask_b32_e64 v17, 0, v17, s[14:15]
	v_add_u32_e32 v16, v16, v17
	s_nop 1
	;; [unrolled: 4-line block ×4, first 2 shown]
	v_mov_b32_dpp v17, v16 row_bcast:15 row_mask:0xf bank_mask:0xf
	v_cndmask_b32_e64 v17, v17, 0, s[8:9]
	v_add_u32_e32 v16, v16, v17
	s_nop 1
	v_mov_b32_dpp v17, v16 row_bcast:31 row_mask:0xf bank_mask:0xf
	v_cndmask_b32_e64 v17, 0, v17, s[2:3]
	v_add_u32_e32 v16, v16, v17
	s_and_saveexec_b64 s[18:19], s[20:21]
	s_cbranch_execz .LBB355_67
; %bb.66:
	v_lshlrev_b32_e32 v17, 2, v96
	ds_write_b32 v17, v16
.LBB355_67:
	s_or_b64 exec, exec, s[18:19]
	v_cmp_gt_u32_e32 vcc, 4, v0
	s_waitcnt lgkmcnt(0)
	s_barrier
	s_and_saveexec_b64 s[18:19], vcc
	s_cbranch_execz .LBB355_69
; %bb.68:
	v_lshlrev_b32_e32 v17, 2, v0
	ds_read_b32 v18, v17
	v_and_b32_e32 v19, 3, v95
	v_cmp_ne_u32_e32 vcc, 0, v19
	s_waitcnt lgkmcnt(0)
	v_mov_b32_dpp v20, v18 row_shr:1 row_mask:0xf bank_mask:0xf
	v_cndmask_b32_e32 v20, 0, v20, vcc
	v_add_u32_e32 v18, v20, v18
	v_cmp_lt_u32_e32 vcc, 1, v19
	s_nop 0
	v_mov_b32_dpp v20, v18 row_shr:2 row_mask:0xf bank_mask:0xf
	v_cndmask_b32_e32 v19, 0, v20, vcc
	v_add_u32_e32 v18, v18, v19
	ds_write_b32 v17, v18
.LBB355_69:
	s_or_b64 exec, exec, s[18:19]
	v_cmp_gt_u32_e32 vcc, 64, v0
	v_cmp_lt_u32_e64 s[18:19], 63, v0
	s_waitcnt lgkmcnt(0)
	s_barrier
	s_waitcnt lgkmcnt(0)
                                        ; implicit-def: $vgpr98
	s_and_saveexec_b64 s[36:37], s[18:19]
	s_cbranch_execz .LBB355_71
; %bb.70:
	v_lshl_add_u32 v17, v96, 2, -4
	ds_read_b32 v98, v17
	s_waitcnt lgkmcnt(0)
	v_add_u32_e32 v16, v98, v16
.LBB355_71:
	s_or_b64 exec, exec, s[36:37]
	v_add_u32_e32 v17, -1, v95
	v_and_b32_e32 v18, 64, v95
	v_cmp_lt_i32_e64 s[18:19], v17, v18
	v_cndmask_b32_e64 v17, v17, v95, s[18:19]
	v_lshlrev_b32_e32 v17, 2, v17
	ds_bpermute_b32 v99, v17, v16
	v_cmp_eq_u32_e64 s[18:19], 0, v95
	s_and_saveexec_b64 s[36:37], vcc
	s_cbranch_execz .LBB355_90
; %bb.72:
	v_mov_b32_e32 v23, 0
	ds_read_b32 v16, v23 offset:12
	s_and_saveexec_b64 s[38:39], s[18:19]
	s_cbranch_execz .LBB355_74
; %bb.73:
	s_add_i32 s40, s6, 64
	s_mov_b32 s41, 0
	s_lshl_b64 s[40:41], s[40:41], 3
	s_add_u32 s40, s34, s40
	v_mov_b32_e32 v17, 1
	s_addc_u32 s41, s35, s41
	s_waitcnt lgkmcnt(0)
	global_store_dwordx2 v23, v[16:17], s[40:41]
.LBB355_74:
	s_or_b64 exec, exec, s[38:39]
	v_xad_u32 v18, v95, -1, s6
	v_add_u32_e32 v22, 64, v18
	v_lshlrev_b64 v[20:21], 3, v[22:23]
	v_mov_b32_e32 v17, s35
	v_add_co_u32_e32 v24, vcc, s34, v20
	v_addc_co_u32_e32 v25, vcc, v17, v21, vcc
	global_load_dwordx2 v[20:21], v[24:25], off glc
	s_waitcnt vmcnt(0)
	v_cmp_eq_u16_sdwa s[40:41], v21, v23 src0_sel:BYTE_0 src1_sel:DWORD
	s_and_saveexec_b64 s[38:39], s[40:41]
	s_cbranch_execz .LBB355_78
; %bb.75:
	s_mov_b64 s[40:41], 0
	v_mov_b32_e32 v17, 0
.LBB355_76:                             ; =>This Inner Loop Header: Depth=1
	global_load_dwordx2 v[20:21], v[24:25], off glc
	s_waitcnt vmcnt(0)
	v_cmp_ne_u16_sdwa s[42:43], v21, v17 src0_sel:BYTE_0 src1_sel:DWORD
	s_or_b64 s[40:41], s[42:43], s[40:41]
	s_andn2_b64 exec, exec, s[40:41]
	s_cbranch_execnz .LBB355_76
; %bb.77:
	s_or_b64 exec, exec, s[40:41]
.LBB355_78:
	s_or_b64 exec, exec, s[38:39]
	v_and_b32_e32 v101, 63, v95
	v_mov_b32_e32 v100, 2
	v_cmp_ne_u32_e32 vcc, 63, v101
	v_cmp_eq_u16_sdwa s[38:39], v21, v100 src0_sel:BYTE_0 src1_sel:DWORD
	v_lshlrev_b64 v[22:23], v95, -1
	v_addc_co_u32_e32 v24, vcc, 0, v95, vcc
	v_and_b32_e32 v17, s39, v23
	v_lshlrev_b32_e32 v102, 2, v24
	v_or_b32_e32 v17, 0x80000000, v17
	ds_bpermute_b32 v24, v102, v20
	v_and_b32_e32 v19, s38, v22
	v_ffbl_b32_e32 v17, v17
	v_add_u32_e32 v17, 32, v17
	v_ffbl_b32_e32 v19, v19
	v_min_u32_e32 v17, v19, v17
	v_cmp_lt_u32_e32 vcc, v101, v17
	s_waitcnt lgkmcnt(0)
	v_cndmask_b32_e32 v19, 0, v24, vcc
	v_cmp_gt_u32_e32 vcc, 62, v101
	v_add_u32_e32 v19, v19, v20
	v_cndmask_b32_e64 v20, 0, 1, vcc
	v_lshlrev_b32_e32 v20, 1, v20
	v_add_lshl_u32 v103, v20, v95, 2
	ds_bpermute_b32 v20, v103, v19
	v_add_u32_e32 v104, 2, v101
	v_cmp_le_u32_e32 vcc, v104, v17
	v_add_u32_e32 v106, 4, v101
	v_add_u32_e32 v108, 8, v101
	s_waitcnt lgkmcnt(0)
	v_cndmask_b32_e32 v20, 0, v20, vcc
	v_cmp_gt_u32_e32 vcc, 60, v101
	v_add_u32_e32 v19, v19, v20
	v_cndmask_b32_e64 v20, 0, 1, vcc
	v_lshlrev_b32_e32 v20, 2, v20
	v_add_lshl_u32 v105, v20, v95, 2
	ds_bpermute_b32 v20, v105, v19
	v_cmp_le_u32_e32 vcc, v106, v17
	v_add_u32_e32 v110, 16, v101
	v_add_u32_e32 v112, 32, v101
	s_waitcnt lgkmcnt(0)
	v_cndmask_b32_e32 v20, 0, v20, vcc
	v_cmp_gt_u32_e32 vcc, 56, v101
	v_add_u32_e32 v19, v19, v20
	v_cndmask_b32_e64 v20, 0, 1, vcc
	v_lshlrev_b32_e32 v20, 3, v20
	v_add_lshl_u32 v107, v20, v95, 2
	ds_bpermute_b32 v20, v107, v19
	v_cmp_le_u32_e32 vcc, v108, v17
	s_waitcnt lgkmcnt(0)
	v_cndmask_b32_e32 v20, 0, v20, vcc
	v_cmp_gt_u32_e32 vcc, 48, v101
	v_add_u32_e32 v19, v19, v20
	v_cndmask_b32_e64 v20, 0, 1, vcc
	v_lshlrev_b32_e32 v20, 4, v20
	v_add_lshl_u32 v109, v20, v95, 2
	ds_bpermute_b32 v20, v109, v19
	v_cmp_le_u32_e32 vcc, v110, v17
	s_waitcnt lgkmcnt(0)
	v_cndmask_b32_e32 v20, 0, v20, vcc
	v_cmp_gt_u32_e32 vcc, 32, v101
	v_add_u32_e32 v19, v19, v20
	v_cndmask_b32_e64 v20, 0, 1, vcc
	v_lshlrev_b32_e32 v20, 5, v20
	v_add_lshl_u32 v111, v20, v95, 2
	ds_bpermute_b32 v20, v111, v19
	v_cmp_le_u32_e32 vcc, v112, v17
	s_waitcnt lgkmcnt(0)
	v_cndmask_b32_e32 v17, 0, v20, vcc
	v_add_u32_e32 v20, v19, v17
	v_mov_b32_e32 v19, 0
	s_branch .LBB355_80
.LBB355_79:                             ;   in Loop: Header=BB355_80 Depth=1
	s_or_b64 exec, exec, s[38:39]
	v_cmp_eq_u16_sdwa s[38:39], v21, v100 src0_sel:BYTE_0 src1_sel:DWORD
	v_and_b32_e32 v24, s39, v23
	v_or_b32_e32 v24, 0x80000000, v24
	ds_bpermute_b32 v113, v102, v20
	v_and_b32_e32 v25, s38, v22
	v_ffbl_b32_e32 v24, v24
	v_add_u32_e32 v24, 32, v24
	v_ffbl_b32_e32 v25, v25
	v_min_u32_e32 v24, v25, v24
	v_cmp_lt_u32_e32 vcc, v101, v24
	s_waitcnt lgkmcnt(0)
	v_cndmask_b32_e32 v25, 0, v113, vcc
	v_add_u32_e32 v20, v25, v20
	ds_bpermute_b32 v25, v103, v20
	v_cmp_le_u32_e32 vcc, v104, v24
	v_subrev_u32_e32 v18, 64, v18
	s_waitcnt lgkmcnt(0)
	v_cndmask_b32_e32 v25, 0, v25, vcc
	v_add_u32_e32 v20, v20, v25
	ds_bpermute_b32 v25, v105, v20
	v_cmp_le_u32_e32 vcc, v106, v24
	s_waitcnt lgkmcnt(0)
	v_cndmask_b32_e32 v25, 0, v25, vcc
	v_add_u32_e32 v20, v20, v25
	ds_bpermute_b32 v25, v107, v20
	v_cmp_le_u32_e32 vcc, v108, v24
	;; [unrolled: 5-line block ×4, first 2 shown]
	s_waitcnt lgkmcnt(0)
	v_cndmask_b32_e32 v24, 0, v25, vcc
	v_add3_u32 v20, v24, v17, v20
.LBB355_80:                             ; =>This Loop Header: Depth=1
                                        ;     Child Loop BB355_83 Depth 2
	v_cmp_ne_u16_sdwa s[38:39], v21, v100 src0_sel:BYTE_0 src1_sel:DWORD
	v_cndmask_b32_e64 v17, 0, 1, s[38:39]
	;;#ASMSTART
	;;#ASMEND
	v_cmp_ne_u32_e32 vcc, 0, v17
	s_cmp_lg_u64 vcc, exec
	v_mov_b32_e32 v17, v20
	s_cbranch_scc1 .LBB355_85
; %bb.81:                               ;   in Loop: Header=BB355_80 Depth=1
	v_lshlrev_b64 v[20:21], 3, v[18:19]
	v_mov_b32_e32 v25, s35
	v_add_co_u32_e32 v24, vcc, s34, v20
	v_addc_co_u32_e32 v25, vcc, v25, v21, vcc
	global_load_dwordx2 v[20:21], v[24:25], off glc
	s_waitcnt vmcnt(0)
	v_cmp_eq_u16_sdwa s[40:41], v21, v19 src0_sel:BYTE_0 src1_sel:DWORD
	s_and_saveexec_b64 s[38:39], s[40:41]
	s_cbranch_execz .LBB355_79
; %bb.82:                               ;   in Loop: Header=BB355_80 Depth=1
	s_mov_b64 s[40:41], 0
.LBB355_83:                             ;   Parent Loop BB355_80 Depth=1
                                        ; =>  This Inner Loop Header: Depth=2
	global_load_dwordx2 v[20:21], v[24:25], off glc
	s_waitcnt vmcnt(0)
	v_cmp_ne_u16_sdwa s[42:43], v21, v19 src0_sel:BYTE_0 src1_sel:DWORD
	s_or_b64 s[40:41], s[42:43], s[40:41]
	s_andn2_b64 exec, exec, s[40:41]
	s_cbranch_execnz .LBB355_83
; %bb.84:                               ;   in Loop: Header=BB355_80 Depth=1
	s_or_b64 exec, exec, s[40:41]
	s_branch .LBB355_79
.LBB355_85:                             ;   in Loop: Header=BB355_80 Depth=1
                                        ; implicit-def: $vgpr20
                                        ; implicit-def: $vgpr21
	s_cbranch_execz .LBB355_80
; %bb.86:
	s_and_saveexec_b64 s[38:39], s[18:19]
	s_cbranch_execz .LBB355_88
; %bb.87:
	s_add_i32 s6, s6, 64
	s_mov_b32 s7, 0
	s_lshl_b64 s[6:7], s[6:7], 3
	s_add_u32 s6, s34, s6
	v_add_u32_e32 v18, v17, v16
	v_mov_b32_e32 v19, 2
	s_addc_u32 s7, s35, s7
	v_mov_b32_e32 v20, 0
	global_store_dwordx2 v20, v[18:19], s[6:7]
	ds_write_b64 v20, v[16:17] offset:14336
.LBB355_88:
	s_or_b64 exec, exec, s[38:39]
	v_cmp_eq_u32_e32 vcc, 0, v0
	s_and_b64 exec, exec, vcc
	s_cbranch_execz .LBB355_90
; %bb.89:
	v_mov_b32_e32 v16, 0
	ds_write_b32 v16, v17 offset:12
.LBB355_90:
	s_or_b64 exec, exec, s[36:37]
	v_mov_b32_e32 v16, 0
	s_waitcnt lgkmcnt(0)
	s_barrier
	ds_read_b32 v19, v16 offset:12
	s_waitcnt lgkmcnt(0)
	s_barrier
	ds_read_b64 v[16:17], v16 offset:14336
	v_cndmask_b32_e64 v18, v99, v98, s[18:19]
	v_cmp_ne_u32_e32 vcc, 0, v0
	v_cndmask_b32_e32 v18, 0, v18, vcc
	v_add_u32_e32 v18, v19, v18
	s_branch .LBB355_101
.LBB355_91:
                                        ; implicit-def: $vgpr17
                                        ; implicit-def: $vgpr18
	s_cbranch_execz .LBB355_101
; %bb.92:
	s_waitcnt lgkmcnt(0)
	v_mov_b32_dpp v16, v97 row_shr:1 row_mask:0xf bank_mask:0xf
	v_cndmask_b32_e64 v16, v16, 0, s[16:17]
	v_add_u32_e32 v16, v16, v97
	s_nop 1
	v_mov_b32_dpp v17, v16 row_shr:2 row_mask:0xf bank_mask:0xf
	v_cndmask_b32_e64 v17, 0, v17, s[14:15]
	v_add_u32_e32 v16, v16, v17
	s_nop 1
	;; [unrolled: 4-line block ×4, first 2 shown]
	v_mov_b32_dpp v17, v16 row_bcast:15 row_mask:0xf bank_mask:0xf
	v_cndmask_b32_e64 v17, v17, 0, s[8:9]
	v_add_u32_e32 v16, v16, v17
	s_nop 1
	v_mov_b32_dpp v17, v16 row_bcast:31 row_mask:0xf bank_mask:0xf
	v_cndmask_b32_e64 v17, 0, v17, s[2:3]
	v_add_u32_e32 v16, v16, v17
	s_and_saveexec_b64 s[2:3], s[20:21]
	s_cbranch_execz .LBB355_94
; %bb.93:
	v_lshlrev_b32_e32 v17, 2, v96
	ds_write_b32 v17, v16
.LBB355_94:
	s_or_b64 exec, exec, s[2:3]
	v_cmp_gt_u32_e32 vcc, 4, v0
	s_waitcnt lgkmcnt(0)
	s_barrier
	s_and_saveexec_b64 s[2:3], vcc
	s_cbranch_execz .LBB355_96
; %bb.95:
	v_lshlrev_b32_e32 v17, 2, v0
	ds_read_b32 v18, v17
	v_and_b32_e32 v19, 3, v95
	v_cmp_ne_u32_e32 vcc, 0, v19
	s_waitcnt lgkmcnt(0)
	v_mov_b32_dpp v20, v18 row_shr:1 row_mask:0xf bank_mask:0xf
	v_cndmask_b32_e32 v20, 0, v20, vcc
	v_add_u32_e32 v18, v20, v18
	v_cmp_lt_u32_e32 vcc, 1, v19
	s_nop 0
	v_mov_b32_dpp v20, v18 row_shr:2 row_mask:0xf bank_mask:0xf
	v_cndmask_b32_e32 v19, 0, v20, vcc
	v_add_u32_e32 v18, v18, v19
	ds_write_b32 v17, v18
.LBB355_96:
	s_or_b64 exec, exec, s[2:3]
	v_cmp_lt_u32_e32 vcc, 63, v0
	v_mov_b32_e32 v17, 0
	v_mov_b32_e32 v18, 0
	s_waitcnt lgkmcnt(0)
	s_barrier
	s_and_saveexec_b64 s[2:3], vcc
	s_cbranch_execz .LBB355_98
; %bb.97:
	v_lshl_add_u32 v18, v96, 2, -4
	ds_read_b32 v18, v18
.LBB355_98:
	s_or_b64 exec, exec, s[2:3]
	v_add_u32_e32 v19, -1, v95
	v_and_b32_e32 v20, 64, v95
	v_cmp_lt_i32_e32 vcc, v19, v20
	v_cndmask_b32_e32 v19, v19, v95, vcc
	s_waitcnt lgkmcnt(0)
	v_add_u32_e32 v16, v18, v16
	v_lshlrev_b32_e32 v19, 2, v19
	ds_bpermute_b32 v19, v19, v16
	ds_read_b32 v16, v17 offset:12
	v_cmp_eq_u32_e32 vcc, 0, v0
	s_and_saveexec_b64 s[2:3], vcc
	s_cbranch_execz .LBB355_100
; %bb.99:
	v_mov_b32_e32 v20, 0
	v_mov_b32_e32 v17, 2
	s_waitcnt lgkmcnt(0)
	global_store_dwordx2 v20, v[16:17], s[34:35] offset:512
.LBB355_100:
	s_or_b64 exec, exec, s[2:3]
	v_cmp_eq_u32_e64 s[2:3], 0, v95
	s_waitcnt lgkmcnt(1)
	v_cndmask_b32_e64 v18, v19, v18, s[2:3]
	v_mov_b32_e32 v17, 0
	v_cndmask_b32_e64 v18, v18, 0, vcc
	s_waitcnt lgkmcnt(0)
	s_barrier
.LBB355_101:
	v_add_u32_e32 v19, v18, v69
	v_add_u32_e32 v20, v19, v70
	;; [unrolled: 1-line block ×19, first 2 shown]
	s_waitcnt lgkmcnt(0)
	v_add_u32_e32 v39, v16, v39
	v_sub_u32_e32 v18, v18, v17
	v_and_b32_e32 v68, 1, v68
	v_add_u32_e32 v81, v80, v88
	v_sub_u32_e32 v88, v39, v18
	v_cmp_eq_u32_e32 vcc, 1, v68
	v_cndmask_b32_e32 v18, v88, v18, vcc
	v_lshlrev_b32_e32 v18, 1, v18
	ds_write_b16 v18, v10
	v_sub_u32_e32 v10, v19, v17
	v_sub_u32_e32 v18, v39, v10
	v_and_b32_e32 v19, 1, v67
	v_add_u32_e32 v18, 1, v18
	v_cmp_eq_u32_e32 vcc, 1, v19
	v_cndmask_b32_e32 v10, v18, v10, vcc
	v_lshlrev_b32_e32 v10, 1, v10
	ds_write_b16 v10, v40
	v_sub_u32_e32 v10, v20, v17
	v_sub_u32_e32 v18, v39, v10
	v_and_b32_e32 v19, 1, v66
	v_add_u32_e32 v18, 2, v18
	;; [unrolled: 8-line block ×20, first 2 shown]
	v_cmp_eq_u32_e32 vcc, 1, v6
	v_cndmask_b32_e32 v2, v3, v2, vcc
	v_add_u32_e32 v82, v81, v89
	v_lshlrev_b32_e32 v2, 1, v2
	ds_write_b16 v2, v4
	v_sub_u32_e32 v2, v82, v17
	v_sub_u32_e32 v3, v39, v2
	v_and_b32_e32 v4, 1, v47
	v_add_u32_e32 v3, 21, v3
	v_cmp_eq_u32_e32 vcc, 1, v4
	v_cndmask_b32_e32 v2, v3, v2, vcc
	v_add_u32_e32 v83, v82, v90
	v_lshlrev_b32_e32 v2, 1, v2
	ds_write_b16 v2, v29
	v_sub_u32_e32 v2, v83, v17
	v_sub_u32_e32 v3, v39, v2
	v_and_b32_e32 v4, 1, v46
	v_add_u32_e32 v3, 22, v3
	;; [unrolled: 9-line block ×6, first 2 shown]
	v_cmp_eq_u32_e32 vcc, 1, v4
	v_cndmask_b32_e32 v2, v3, v2, vcc
	v_lshlrev_b32_e32 v2, 1, v2
	ds_write_b16 v2, v15
	v_sub_u32_sdwa v2, v41, v17 dst_sel:DWORD dst_unused:UNUSED_PAD src0_sel:BYTE_0 src1_sel:DWORD
	v_add_u32_e32 v2, v87, v2
	v_sub_u32_e32 v3, v39, v2
	v_and_b32_e32 v4, 1, v42
	v_add_u32_e32 v3, 27, v3
	v_cmp_eq_u32_e32 vcc, 1, v4
	v_cndmask_b32_e32 v2, v3, v2, vcc
	v_lshlrev_b32_e32 v2, 1, v2
	ds_write_b16 v2, v26
	v_mov_b32_e32 v2, s31
	v_add_co_u32_e32 v66, vcc, s30, v17
	v_addc_co_u32_e32 v67, vcc, 0, v2, vcc
	s_load_dwordx4 s[4:7], s[4:5], 0x28
	s_waitcnt lgkmcnt(0)
	s_barrier
	ds_read_u16 v64, v1
	ds_read_u16 v63, v1 offset:512
	ds_read_u16 v61, v1 offset:1024
	;; [unrolled: 1-line block ×23, first 2 shown]
	v_add_co_u32_e32 v2, vcc, v66, v16
	v_addc_co_u32_e32 v3, vcc, 0, v67, vcc
	v_mov_b32_e32 v9, s23
	v_sub_co_u32_e32 v8, vcc, s22, v2
	v_subb_co_u32_e32 v9, vcc, v9, v3, vcc
	ds_read_u16 v15, v1 offset:12288
	ds_read_u16 v12, v1 offset:12800
	;; [unrolled: 1-line block ×4, first 2 shown]
	v_lshlrev_b64 v[8:9], 1, v[8:9]
	v_mov_b32_e32 v11, s7
	v_add_co_u32_e32 v8, vcc, s6, v8
	v_addc_co_u32_e32 v9, vcc, v11, v9, vcc
	v_mov_b32_e32 v11, s29
	v_add_co_u32_e32 v8, vcc, s28, v8
	v_addc_co_u32_e32 v9, vcc, v9, v11, vcc
	v_lshlrev_b64 v[66:67], 1, v[66:67]
	v_mov_b32_e32 v13, s5
	s_and_b64 vcc, exec, s[0:1]
	v_add_co_u32_e64 v11, s[0:1], s4, v66
	v_or_b32_e32 v62, 0x100, v0
	v_or_b32_e32 v60, 0x200, v0
	;; [unrolled: 1-line block ×27, first 2 shown]
	v_addc_co_u32_e64 v13, s[0:1], v13, v67, s[0:1]
	s_cbranch_vccnz .LBB355_103
; %bb.102:
	v_cmp_lt_u32_e32 vcc, v0, v16
	v_cndmask_b32_e32 v65, v8, v11, vcc
	v_cndmask_b32_e32 v17, v9, v13, vcc
	v_add_co_u32_e32 v66, vcc, v65, v1
	v_addc_co_u32_e32 v67, vcc, 0, v17, vcc
	v_cmp_lt_u32_e32 vcc, v62, v16
	v_cndmask_b32_e32 v65, v8, v11, vcc
	s_waitcnt lgkmcnt(14)
	global_store_short v[66:67], v64, off
	v_cndmask_b32_e32 v17, v9, v13, vcc
	v_add_co_u32_e32 v66, vcc, v65, v1
	v_addc_co_u32_e32 v67, vcc, 0, v17, vcc
	v_cmp_lt_u32_e32 vcc, v60, v16
	v_cndmask_b32_e32 v65, v8, v11, vcc
	global_store_short v[66:67], v63, off offset:512
	v_cndmask_b32_e32 v17, v9, v13, vcc
	v_add_co_u32_e32 v66, vcc, v65, v1
	v_addc_co_u32_e32 v67, vcc, 0, v17, vcc
	v_cmp_lt_u32_e32 vcc, v58, v16
	v_cndmask_b32_e32 v65, v8, v11, vcc
	global_store_short v[66:67], v61, off offset:1024
	;; [unrolled: 6-line block ×6, first 2 shown]
	v_cndmask_b32_e32 v17, v9, v13, vcc
	v_add_co_u32_e32 v66, vcc, v65, v1
	v_addc_co_u32_e32 v67, vcc, 0, v17, vcc
	v_cmp_lt_u32_e32 vcc, v48, v16
	global_store_short v[66:67], v51, off offset:3584
	v_cndmask_b32_e32 v65, v8, v11, vcc
	v_lshlrev_b32_e32 v66, 1, v48
	v_cndmask_b32_e32 v17, v9, v13, vcc
	v_add_co_u32_e32 v66, vcc, v65, v66
	v_addc_co_u32_e32 v67, vcc, 0, v17, vcc
	v_cmp_lt_u32_e32 vcc, v46, v16
	global_store_short v[66:67], v49, off
	v_cndmask_b32_e32 v65, v8, v11, vcc
	v_lshlrev_b32_e32 v66, 1, v46
	v_cndmask_b32_e32 v17, v9, v13, vcc
	v_add_co_u32_e32 v66, vcc, v65, v66
	v_addc_co_u32_e32 v67, vcc, 0, v17, vcc
	v_cmp_lt_u32_e32 vcc, v44, v16
	global_store_short v[66:67], v47, off
	;; [unrolled: 7-line block ×6, first 2 shown]
	v_cndmask_b32_e32 v65, v8, v11, vcc
	v_lshlrev_b32_e32 v66, 1, v36
	v_cndmask_b32_e32 v17, v9, v13, vcc
	v_add_co_u32_e32 v66, vcc, v65, v66
	v_addc_co_u32_e32 v67, vcc, 0, v17, vcc
	v_cmp_lt_u32_e32 vcc, v33, v16
	s_waitcnt lgkmcnt(13)
	global_store_short v[66:67], v37, off
	v_cndmask_b32_e32 v65, v8, v11, vcc
	v_lshlrev_b32_e32 v66, 1, v33
	v_cndmask_b32_e32 v17, v9, v13, vcc
	v_add_co_u32_e32 v66, vcc, v65, v66
	v_addc_co_u32_e32 v67, vcc, 0, v17, vcc
	v_cmp_lt_u32_e32 vcc, v32, v16
	s_waitcnt lgkmcnt(12)
	global_store_short v[66:67], v35, off
	;; [unrolled: 8-line block ×12, first 2 shown]
	v_cndmask_b32_e32 v65, v8, v11, vcc
	v_lshlrev_b32_e32 v66, 1, v7
	v_cndmask_b32_e32 v17, v9, v13, vcc
	v_add_co_u32_e32 v66, vcc, v65, v66
	v_addc_co_u32_e32 v67, vcc, 0, v17, vcc
	s_mov_b64 s[0:1], -1
	s_waitcnt lgkmcnt(1)
	global_store_short v[66:67], v6, off
	s_cbranch_execz .LBB355_104
	s_branch .LBB355_133
.LBB355_103:
	s_mov_b64 s[0:1], 0
.LBB355_104:
	v_cmp_gt_u32_e32 vcc, s33, v0
	s_and_saveexec_b64 s[0:1], vcc
	s_cbranch_execnz .LBB355_138
; %bb.105:
	s_or_b64 exec, exec, s[0:1]
	v_cmp_gt_u32_e32 vcc, s33, v62
	s_and_saveexec_b64 s[0:1], vcc
	s_cbranch_execnz .LBB355_139
.LBB355_106:
	s_or_b64 exec, exec, s[0:1]
	v_cmp_gt_u32_e32 vcc, s33, v60
	s_and_saveexec_b64 s[0:1], vcc
	s_cbranch_execnz .LBB355_140
.LBB355_107:
	s_or_b64 exec, exec, s[0:1]
	v_cmp_gt_u32_e32 vcc, s33, v58
	s_and_saveexec_b64 s[0:1], vcc
	s_cbranch_execnz .LBB355_141
.LBB355_108:
	s_or_b64 exec, exec, s[0:1]
	v_cmp_gt_u32_e32 vcc, s33, v56
	s_and_saveexec_b64 s[0:1], vcc
	s_cbranch_execnz .LBB355_142
.LBB355_109:
	s_or_b64 exec, exec, s[0:1]
	v_cmp_gt_u32_e32 vcc, s33, v54
	s_and_saveexec_b64 s[0:1], vcc
	s_cbranch_execnz .LBB355_143
.LBB355_110:
	s_or_b64 exec, exec, s[0:1]
	v_cmp_gt_u32_e32 vcc, s33, v52
	s_and_saveexec_b64 s[0:1], vcc
	s_cbranch_execnz .LBB355_144
.LBB355_111:
	s_or_b64 exec, exec, s[0:1]
	v_cmp_gt_u32_e32 vcc, s33, v50
	s_and_saveexec_b64 s[0:1], vcc
	s_cbranch_execnz .LBB355_145
.LBB355_112:
	s_or_b64 exec, exec, s[0:1]
	v_cmp_gt_u32_e32 vcc, s33, v48
	s_and_saveexec_b64 s[0:1], vcc
	s_cbranch_execnz .LBB355_146
.LBB355_113:
	s_or_b64 exec, exec, s[0:1]
	v_cmp_gt_u32_e32 vcc, s33, v46
	s_and_saveexec_b64 s[0:1], vcc
	s_cbranch_execnz .LBB355_147
.LBB355_114:
	s_or_b64 exec, exec, s[0:1]
	v_cmp_gt_u32_e32 vcc, s33, v44
	s_and_saveexec_b64 s[0:1], vcc
	s_cbranch_execnz .LBB355_148
.LBB355_115:
	s_or_b64 exec, exec, s[0:1]
	v_cmp_gt_u32_e32 vcc, s33, v42
	s_and_saveexec_b64 s[0:1], vcc
	s_cbranch_execnz .LBB355_149
.LBB355_116:
	s_or_b64 exec, exec, s[0:1]
	v_cmp_gt_u32_e32 vcc, s33, v40
	s_and_saveexec_b64 s[0:1], vcc
	s_cbranch_execnz .LBB355_150
.LBB355_117:
	s_or_b64 exec, exec, s[0:1]
	v_cmp_gt_u32_e32 vcc, s33, v38
	s_and_saveexec_b64 s[0:1], vcc
	s_cbranch_execnz .LBB355_151
.LBB355_118:
	s_or_b64 exec, exec, s[0:1]
	v_cmp_gt_u32_e32 vcc, s33, v36
	s_and_saveexec_b64 s[0:1], vcc
	s_cbranch_execnz .LBB355_152
.LBB355_119:
	s_or_b64 exec, exec, s[0:1]
	v_cmp_gt_u32_e32 vcc, s33, v33
	s_and_saveexec_b64 s[0:1], vcc
	s_cbranch_execnz .LBB355_153
.LBB355_120:
	s_or_b64 exec, exec, s[0:1]
	v_cmp_gt_u32_e32 vcc, s33, v32
	s_and_saveexec_b64 s[0:1], vcc
	s_cbranch_execnz .LBB355_154
.LBB355_121:
	s_or_b64 exec, exec, s[0:1]
	v_cmp_gt_u32_e32 vcc, s33, v30
	s_and_saveexec_b64 s[0:1], vcc
	s_cbranch_execnz .LBB355_155
.LBB355_122:
	s_or_b64 exec, exec, s[0:1]
	v_cmp_gt_u32_e32 vcc, s33, v28
	s_and_saveexec_b64 s[0:1], vcc
	s_cbranch_execnz .LBB355_156
.LBB355_123:
	s_or_b64 exec, exec, s[0:1]
	v_cmp_gt_u32_e32 vcc, s33, v26
	s_and_saveexec_b64 s[0:1], vcc
	s_cbranch_execnz .LBB355_157
.LBB355_124:
	s_or_b64 exec, exec, s[0:1]
	v_cmp_gt_u32_e32 vcc, s33, v24
	s_and_saveexec_b64 s[0:1], vcc
	s_cbranch_execnz .LBB355_158
.LBB355_125:
	s_or_b64 exec, exec, s[0:1]
	v_cmp_gt_u32_e32 vcc, s33, v22
	s_and_saveexec_b64 s[0:1], vcc
	s_cbranch_execnz .LBB355_159
.LBB355_126:
	s_or_b64 exec, exec, s[0:1]
	v_cmp_gt_u32_e32 vcc, s33, v20
	s_and_saveexec_b64 s[0:1], vcc
	s_cbranch_execnz .LBB355_160
.LBB355_127:
	s_or_b64 exec, exec, s[0:1]
	v_cmp_gt_u32_e32 vcc, s33, v18
	s_and_saveexec_b64 s[0:1], vcc
	s_cbranch_execnz .LBB355_161
.LBB355_128:
	s_or_b64 exec, exec, s[0:1]
	v_cmp_gt_u32_e32 vcc, s33, v14
	s_and_saveexec_b64 s[0:1], vcc
	s_cbranch_execnz .LBB355_162
.LBB355_129:
	s_or_b64 exec, exec, s[0:1]
	v_cmp_gt_u32_e32 vcc, s33, v10
	s_and_saveexec_b64 s[0:1], vcc
	s_cbranch_execnz .LBB355_163
.LBB355_130:
	s_or_b64 exec, exec, s[0:1]
	v_cmp_gt_u32_e32 vcc, s33, v7
	s_and_saveexec_b64 s[0:1], vcc
	s_cbranch_execz .LBB355_132
.LBB355_131:
	v_cmp_lt_u32_e32 vcc, v7, v16
	v_cndmask_b32_e32 v10, v8, v11, vcc
	v_lshlrev_b32_e32 v7, 1, v7
	v_cndmask_b32_e32 v1, v9, v13, vcc
	v_add_co_u32_e32 v14, vcc, v10, v7
	s_waitcnt lgkmcnt(3)
	v_addc_co_u32_e32 v15, vcc, 0, v1, vcc
	s_waitcnt lgkmcnt(1)
	global_store_short v[14:15], v6, off
.LBB355_132:
	s_or_b64 exec, exec, s[0:1]
	v_cmp_gt_u32_e64 s[0:1], s33, v5
.LBB355_133:
	s_and_saveexec_b64 s[2:3], s[0:1]
	s_cbranch_execz .LBB355_135
; %bb.134:
	v_cmp_lt_u32_e32 vcc, v5, v16
	s_waitcnt lgkmcnt(1)
	v_cndmask_b32_e32 v6, v8, v11, vcc
	v_lshlrev_b32_e32 v5, 1, v5
	v_cndmask_b32_e32 v1, v9, v13, vcc
	v_add_co_u32_e32 v6, vcc, v6, v5
	v_addc_co_u32_e32 v7, vcc, 0, v1, vcc
	s_waitcnt lgkmcnt(0)
	global_store_short v[6:7], v4, off
.LBB355_135:
	s_or_b64 exec, exec, s[2:3]
	v_cmp_eq_u32_e32 vcc, 0, v0
	s_and_b64 s[0:1], vcc, s[26:27]
	s_and_saveexec_b64 s[2:3], s[0:1]
	s_cbranch_execz .LBB355_137
; %bb.136:
	v_mov_b32_e32 v0, 0
	global_store_dwordx2 v0, v[2:3], s[24:25]
.LBB355_137:
	s_endpgm
.LBB355_138:
	v_cmp_lt_u32_e32 vcc, v0, v16
	v_cndmask_b32_e32 v65, v8, v11, vcc
	v_cndmask_b32_e32 v17, v9, v13, vcc
	v_add_co_u32_e32 v66, vcc, v65, v1
	v_addc_co_u32_e32 v67, vcc, 0, v17, vcc
	s_waitcnt lgkmcnt(14)
	global_store_short v[66:67], v64, off
	s_or_b64 exec, exec, s[0:1]
	v_cmp_gt_u32_e32 vcc, s33, v62
	s_and_saveexec_b64 s[0:1], vcc
	s_cbranch_execz .LBB355_106
.LBB355_139:
	v_cmp_lt_u32_e32 vcc, v62, v16
	v_cndmask_b32_e32 v62, v8, v11, vcc
	v_cndmask_b32_e32 v17, v9, v13, vcc
	s_waitcnt lgkmcnt(14)
	v_add_co_u32_e32 v64, vcc, v62, v1
	v_addc_co_u32_e32 v65, vcc, 0, v17, vcc
	global_store_short v[64:65], v63, off offset:512
	s_or_b64 exec, exec, s[0:1]
	v_cmp_gt_u32_e32 vcc, s33, v60
	s_and_saveexec_b64 s[0:1], vcc
	s_cbranch_execz .LBB355_107
.LBB355_140:
	v_cmp_lt_u32_e32 vcc, v60, v16
	v_cndmask_b32_e32 v60, v8, v11, vcc
	v_cndmask_b32_e32 v17, v9, v13, vcc
	v_add_co_u32_e32 v62, vcc, v60, v1
	s_waitcnt lgkmcnt(14)
	v_addc_co_u32_e32 v63, vcc, 0, v17, vcc
	global_store_short v[62:63], v61, off offset:1024
	s_or_b64 exec, exec, s[0:1]
	v_cmp_gt_u32_e32 vcc, s33, v58
	s_and_saveexec_b64 s[0:1], vcc
	s_cbranch_execz .LBB355_108
.LBB355_141:
	v_cmp_lt_u32_e32 vcc, v58, v16
	v_cndmask_b32_e32 v58, v8, v11, vcc
	v_cndmask_b32_e32 v17, v9, v13, vcc
	v_add_co_u32_e32 v60, vcc, v58, v1
	s_waitcnt lgkmcnt(14)
	v_addc_co_u32_e32 v61, vcc, 0, v17, vcc
	global_store_short v[60:61], v59, off offset:1536
	s_or_b64 exec, exec, s[0:1]
	v_cmp_gt_u32_e32 vcc, s33, v56
	s_and_saveexec_b64 s[0:1], vcc
	s_cbranch_execz .LBB355_109
.LBB355_142:
	v_cmp_lt_u32_e32 vcc, v56, v16
	v_cndmask_b32_e32 v56, v8, v11, vcc
	v_cndmask_b32_e32 v17, v9, v13, vcc
	v_add_co_u32_e32 v58, vcc, v56, v1
	s_waitcnt lgkmcnt(14)
	v_addc_co_u32_e32 v59, vcc, 0, v17, vcc
	global_store_short v[58:59], v57, off offset:2048
	s_or_b64 exec, exec, s[0:1]
	v_cmp_gt_u32_e32 vcc, s33, v54
	s_and_saveexec_b64 s[0:1], vcc
	s_cbranch_execz .LBB355_110
.LBB355_143:
	v_cmp_lt_u32_e32 vcc, v54, v16
	v_cndmask_b32_e32 v54, v8, v11, vcc
	v_cndmask_b32_e32 v17, v9, v13, vcc
	v_add_co_u32_e32 v56, vcc, v54, v1
	s_waitcnt lgkmcnt(14)
	v_addc_co_u32_e32 v57, vcc, 0, v17, vcc
	global_store_short v[56:57], v55, off offset:2560
	s_or_b64 exec, exec, s[0:1]
	v_cmp_gt_u32_e32 vcc, s33, v52
	s_and_saveexec_b64 s[0:1], vcc
	s_cbranch_execz .LBB355_111
.LBB355_144:
	v_cmp_lt_u32_e32 vcc, v52, v16
	v_cndmask_b32_e32 v52, v8, v11, vcc
	v_cndmask_b32_e32 v17, v9, v13, vcc
	v_add_co_u32_e32 v54, vcc, v52, v1
	s_waitcnt lgkmcnt(14)
	v_addc_co_u32_e32 v55, vcc, 0, v17, vcc
	global_store_short v[54:55], v53, off offset:3072
	s_or_b64 exec, exec, s[0:1]
	v_cmp_gt_u32_e32 vcc, s33, v50
	s_and_saveexec_b64 s[0:1], vcc
	s_cbranch_execz .LBB355_112
.LBB355_145:
	v_cmp_lt_u32_e32 vcc, v50, v16
	v_cndmask_b32_e32 v50, v8, v11, vcc
	v_cndmask_b32_e32 v17, v9, v13, vcc
	v_add_co_u32_e32 v52, vcc, v50, v1
	s_waitcnt lgkmcnt(14)
	v_addc_co_u32_e32 v53, vcc, 0, v17, vcc
	global_store_short v[52:53], v51, off offset:3584
	s_or_b64 exec, exec, s[0:1]
	v_cmp_gt_u32_e32 vcc, s33, v48
	s_and_saveexec_b64 s[0:1], vcc
	s_cbranch_execz .LBB355_113
.LBB355_146:
	v_cmp_lt_u32_e32 vcc, v48, v16
	v_cndmask_b32_e32 v17, v8, v11, vcc
	v_lshlrev_b32_e32 v48, 1, v48
	v_cndmask_b32_e32 v1, v9, v13, vcc
	v_add_co_u32_e32 v50, vcc, v17, v48
	s_waitcnt lgkmcnt(14)
	v_addc_co_u32_e32 v51, vcc, 0, v1, vcc
	global_store_short v[50:51], v49, off
	s_or_b64 exec, exec, s[0:1]
	v_cmp_gt_u32_e32 vcc, s33, v46
	s_and_saveexec_b64 s[0:1], vcc
	s_cbranch_execz .LBB355_114
.LBB355_147:
	v_cmp_lt_u32_e32 vcc, v46, v16
	v_cndmask_b32_e32 v17, v8, v11, vcc
	v_lshlrev_b32_e32 v46, 1, v46
	v_cndmask_b32_e32 v1, v9, v13, vcc
	v_add_co_u32_e32 v48, vcc, v17, v46
	s_waitcnt lgkmcnt(14)
	v_addc_co_u32_e32 v49, vcc, 0, v1, vcc
	global_store_short v[48:49], v47, off
	s_or_b64 exec, exec, s[0:1]
	v_cmp_gt_u32_e32 vcc, s33, v44
	s_and_saveexec_b64 s[0:1], vcc
	s_cbranch_execz .LBB355_115
.LBB355_148:
	v_cmp_lt_u32_e32 vcc, v44, v16
	v_cndmask_b32_e32 v17, v8, v11, vcc
	v_lshlrev_b32_e32 v44, 1, v44
	v_cndmask_b32_e32 v1, v9, v13, vcc
	v_add_co_u32_e32 v46, vcc, v17, v44
	s_waitcnt lgkmcnt(14)
	v_addc_co_u32_e32 v47, vcc, 0, v1, vcc
	global_store_short v[46:47], v45, off
	s_or_b64 exec, exec, s[0:1]
	v_cmp_gt_u32_e32 vcc, s33, v42
	s_and_saveexec_b64 s[0:1], vcc
	s_cbranch_execz .LBB355_116
.LBB355_149:
	v_cmp_lt_u32_e32 vcc, v42, v16
	v_cndmask_b32_e32 v17, v8, v11, vcc
	v_lshlrev_b32_e32 v42, 1, v42
	v_cndmask_b32_e32 v1, v9, v13, vcc
	v_add_co_u32_e32 v44, vcc, v17, v42
	s_waitcnt lgkmcnt(14)
	v_addc_co_u32_e32 v45, vcc, 0, v1, vcc
	global_store_short v[44:45], v43, off
	s_or_b64 exec, exec, s[0:1]
	v_cmp_gt_u32_e32 vcc, s33, v40
	s_and_saveexec_b64 s[0:1], vcc
	s_cbranch_execz .LBB355_117
.LBB355_150:
	v_cmp_lt_u32_e32 vcc, v40, v16
	v_cndmask_b32_e32 v17, v8, v11, vcc
	v_lshlrev_b32_e32 v40, 1, v40
	v_cndmask_b32_e32 v1, v9, v13, vcc
	v_add_co_u32_e32 v42, vcc, v17, v40
	s_waitcnt lgkmcnt(14)
	v_addc_co_u32_e32 v43, vcc, 0, v1, vcc
	global_store_short v[42:43], v41, off
	s_or_b64 exec, exec, s[0:1]
	v_cmp_gt_u32_e32 vcc, s33, v38
	s_and_saveexec_b64 s[0:1], vcc
	s_cbranch_execz .LBB355_118
.LBB355_151:
	v_cmp_lt_u32_e32 vcc, v38, v16
	v_cndmask_b32_e32 v17, v8, v11, vcc
	v_lshlrev_b32_e32 v38, 1, v38
	v_cndmask_b32_e32 v1, v9, v13, vcc
	v_add_co_u32_e32 v40, vcc, v17, v38
	s_waitcnt lgkmcnt(14)
	v_addc_co_u32_e32 v41, vcc, 0, v1, vcc
	global_store_short v[40:41], v39, off
	s_or_b64 exec, exec, s[0:1]
	v_cmp_gt_u32_e32 vcc, s33, v36
	s_and_saveexec_b64 s[0:1], vcc
	s_cbranch_execz .LBB355_119
.LBB355_152:
	v_cmp_lt_u32_e32 vcc, v36, v16
	v_cndmask_b32_e32 v17, v8, v11, vcc
	v_lshlrev_b32_e32 v36, 1, v36
	v_cndmask_b32_e32 v1, v9, v13, vcc
	v_add_co_u32_e32 v38, vcc, v17, v36
	s_waitcnt lgkmcnt(14)
	v_addc_co_u32_e32 v39, vcc, 0, v1, vcc
	s_waitcnt lgkmcnt(13)
	global_store_short v[38:39], v37, off
	s_or_b64 exec, exec, s[0:1]
	v_cmp_gt_u32_e32 vcc, s33, v33
	s_and_saveexec_b64 s[0:1], vcc
	s_cbranch_execz .LBB355_120
.LBB355_153:
	v_cmp_lt_u32_e32 vcc, v33, v16
	v_cndmask_b32_e32 v17, v8, v11, vcc
	v_lshlrev_b32_e32 v33, 1, v33
	v_cndmask_b32_e32 v1, v9, v13, vcc
	v_add_co_u32_e32 v36, vcc, v17, v33
	s_waitcnt lgkmcnt(13)
	v_addc_co_u32_e32 v37, vcc, 0, v1, vcc
	s_waitcnt lgkmcnt(12)
	global_store_short v[36:37], v35, off
	s_or_b64 exec, exec, s[0:1]
	v_cmp_gt_u32_e32 vcc, s33, v32
	s_and_saveexec_b64 s[0:1], vcc
	s_cbranch_execz .LBB355_121
.LBB355_154:
	v_cmp_lt_u32_e32 vcc, v32, v16
	v_cndmask_b32_e32 v17, v8, v11, vcc
	v_lshlrev_b32_e32 v32, 1, v32
	v_cndmask_b32_e32 v1, v9, v13, vcc
	v_add_co_u32_e32 v32, vcc, v17, v32
	v_addc_co_u32_e32 v33, vcc, 0, v1, vcc
	s_waitcnt lgkmcnt(11)
	global_store_short v[32:33], v34, off
	s_or_b64 exec, exec, s[0:1]
	v_cmp_gt_u32_e32 vcc, s33, v30
	s_and_saveexec_b64 s[0:1], vcc
	s_cbranch_execz .LBB355_122
.LBB355_155:
	v_cmp_lt_u32_e32 vcc, v30, v16
	v_cndmask_b32_e32 v17, v8, v11, vcc
	v_lshlrev_b32_e32 v30, 1, v30
	v_cndmask_b32_e32 v1, v9, v13, vcc
	v_add_co_u32_e32 v32, vcc, v17, v30
	v_addc_co_u32_e32 v33, vcc, 0, v1, vcc
	s_waitcnt lgkmcnt(10)
	global_store_short v[32:33], v31, off
	s_or_b64 exec, exec, s[0:1]
	v_cmp_gt_u32_e32 vcc, s33, v28
	s_and_saveexec_b64 s[0:1], vcc
	s_cbranch_execz .LBB355_123
.LBB355_156:
	v_cmp_lt_u32_e32 vcc, v28, v16
	v_cndmask_b32_e32 v17, v8, v11, vcc
	v_lshlrev_b32_e32 v28, 1, v28
	v_cndmask_b32_e32 v1, v9, v13, vcc
	v_add_co_u32_e32 v30, vcc, v17, v28
	s_waitcnt lgkmcnt(10)
	v_addc_co_u32_e32 v31, vcc, 0, v1, vcc
	s_waitcnt lgkmcnt(9)
	global_store_short v[30:31], v29, off
	s_or_b64 exec, exec, s[0:1]
	v_cmp_gt_u32_e32 vcc, s33, v26
	s_and_saveexec_b64 s[0:1], vcc
	s_cbranch_execz .LBB355_124
.LBB355_157:
	v_cmp_lt_u32_e32 vcc, v26, v16
	v_cndmask_b32_e32 v17, v8, v11, vcc
	v_lshlrev_b32_e32 v26, 1, v26
	v_cndmask_b32_e32 v1, v9, v13, vcc
	v_add_co_u32_e32 v28, vcc, v17, v26
	s_waitcnt lgkmcnt(9)
	v_addc_co_u32_e32 v29, vcc, 0, v1, vcc
	s_waitcnt lgkmcnt(8)
	global_store_short v[28:29], v27, off
	s_or_b64 exec, exec, s[0:1]
	v_cmp_gt_u32_e32 vcc, s33, v24
	s_and_saveexec_b64 s[0:1], vcc
	s_cbranch_execz .LBB355_125
.LBB355_158:
	v_cmp_lt_u32_e32 vcc, v24, v16
	v_cndmask_b32_e32 v17, v8, v11, vcc
	v_lshlrev_b32_e32 v24, 1, v24
	v_cndmask_b32_e32 v1, v9, v13, vcc
	v_add_co_u32_e32 v26, vcc, v17, v24
	s_waitcnt lgkmcnt(8)
	v_addc_co_u32_e32 v27, vcc, 0, v1, vcc
	s_waitcnt lgkmcnt(7)
	global_store_short v[26:27], v25, off
	s_or_b64 exec, exec, s[0:1]
	v_cmp_gt_u32_e32 vcc, s33, v22
	s_and_saveexec_b64 s[0:1], vcc
	s_cbranch_execz .LBB355_126
.LBB355_159:
	v_cmp_lt_u32_e32 vcc, v22, v16
	v_cndmask_b32_e32 v17, v8, v11, vcc
	v_lshlrev_b32_e32 v22, 1, v22
	v_cndmask_b32_e32 v1, v9, v13, vcc
	v_add_co_u32_e32 v24, vcc, v17, v22
	s_waitcnt lgkmcnt(7)
	v_addc_co_u32_e32 v25, vcc, 0, v1, vcc
	s_waitcnt lgkmcnt(6)
	global_store_short v[24:25], v23, off
	s_or_b64 exec, exec, s[0:1]
	v_cmp_gt_u32_e32 vcc, s33, v20
	s_and_saveexec_b64 s[0:1], vcc
	s_cbranch_execz .LBB355_127
.LBB355_160:
	v_cmp_lt_u32_e32 vcc, v20, v16
	v_cndmask_b32_e32 v17, v8, v11, vcc
	v_lshlrev_b32_e32 v20, 1, v20
	v_cndmask_b32_e32 v1, v9, v13, vcc
	v_add_co_u32_e32 v22, vcc, v17, v20
	s_waitcnt lgkmcnt(6)
	v_addc_co_u32_e32 v23, vcc, 0, v1, vcc
	s_waitcnt lgkmcnt(5)
	global_store_short v[22:23], v21, off
	s_or_b64 exec, exec, s[0:1]
	v_cmp_gt_u32_e32 vcc, s33, v18
	s_and_saveexec_b64 s[0:1], vcc
	s_cbranch_execz .LBB355_128
.LBB355_161:
	v_cmp_lt_u32_e32 vcc, v18, v16
	v_cndmask_b32_e32 v17, v8, v11, vcc
	v_lshlrev_b32_e32 v18, 1, v18
	v_cndmask_b32_e32 v1, v9, v13, vcc
	v_add_co_u32_e32 v20, vcc, v17, v18
	s_waitcnt lgkmcnt(5)
	v_addc_co_u32_e32 v21, vcc, 0, v1, vcc
	s_waitcnt lgkmcnt(4)
	global_store_short v[20:21], v19, off
	s_or_b64 exec, exec, s[0:1]
	v_cmp_gt_u32_e32 vcc, s33, v14
	s_and_saveexec_b64 s[0:1], vcc
	s_cbranch_execz .LBB355_129
.LBB355_162:
	v_cmp_lt_u32_e32 vcc, v14, v16
	v_cndmask_b32_e32 v17, v8, v11, vcc
	v_lshlrev_b32_e32 v14, 1, v14
	v_cndmask_b32_e32 v1, v9, v13, vcc
	v_add_co_u32_e32 v18, vcc, v17, v14
	s_waitcnt lgkmcnt(4)
	v_addc_co_u32_e32 v19, vcc, 0, v1, vcc
	s_waitcnt lgkmcnt(3)
	global_store_short v[18:19], v15, off
	s_or_b64 exec, exec, s[0:1]
	v_cmp_gt_u32_e32 vcc, s33, v10
	s_and_saveexec_b64 s[0:1], vcc
	s_cbranch_execz .LBB355_130
.LBB355_163:
	v_cmp_lt_u32_e32 vcc, v10, v16
	v_cndmask_b32_e32 v14, v8, v11, vcc
	v_lshlrev_b32_e32 v10, 1, v10
	v_cndmask_b32_e32 v1, v9, v13, vcc
	v_add_co_u32_e32 v14, vcc, v14, v10
	s_waitcnt lgkmcnt(3)
	v_addc_co_u32_e32 v15, vcc, 0, v1, vcc
	s_waitcnt lgkmcnt(2)
	global_store_short v[14:15], v12, off
	s_or_b64 exec, exec, s[0:1]
	v_cmp_gt_u32_e32 vcc, s33, v7
	s_and_saveexec_b64 s[0:1], vcc
	s_cbranch_execnz .LBB355_131
	s_branch .LBB355_132
	.section	.rodata,"a",@progbits
	.p2align	6, 0x0
	.amdhsa_kernel _ZN7rocprim17ROCPRIM_400000_NS6detail17trampoline_kernelINS0_14default_configENS1_25partition_config_selectorILNS1_17partition_subalgoE0EsNS0_10empty_typeEbEEZZNS1_14partition_implILS5_0ELb0ES3_jN6thrust23THRUST_200600_302600_NS6detail15normal_iteratorINSA_10device_ptrIsEEEEPS6_SG_NS0_5tupleIJSF_SF_EEENSH_IJSG_SG_EEES6_PlJ7is_evenIsEEEE10hipError_tPvRmT3_T4_T5_T6_T7_T9_mT8_P12ihipStream_tbDpT10_ENKUlT_T0_E_clISt17integral_constantIbLb0EES16_EEDaS11_S12_EUlS11_E_NS1_11comp_targetILNS1_3genE4ELNS1_11target_archE910ELNS1_3gpuE8ELNS1_3repE0EEENS1_30default_config_static_selectorELNS0_4arch9wavefront6targetE1EEEvT1_
		.amdhsa_group_segment_fixed_size 14344
		.amdhsa_private_segment_fixed_size 0
		.amdhsa_kernarg_size 120
		.amdhsa_user_sgpr_count 6
		.amdhsa_user_sgpr_private_segment_buffer 1
		.amdhsa_user_sgpr_dispatch_ptr 0
		.amdhsa_user_sgpr_queue_ptr 0
		.amdhsa_user_sgpr_kernarg_segment_ptr 1
		.amdhsa_user_sgpr_dispatch_id 0
		.amdhsa_user_sgpr_flat_scratch_init 0
		.amdhsa_user_sgpr_kernarg_preload_length 0
		.amdhsa_user_sgpr_kernarg_preload_offset 0
		.amdhsa_user_sgpr_private_segment_size 0
		.amdhsa_uses_dynamic_stack 0
		.amdhsa_system_sgpr_private_segment_wavefront_offset 0
		.amdhsa_system_sgpr_workgroup_id_x 1
		.amdhsa_system_sgpr_workgroup_id_y 0
		.amdhsa_system_sgpr_workgroup_id_z 0
		.amdhsa_system_sgpr_workgroup_info 0
		.amdhsa_system_vgpr_workitem_id 0
		.amdhsa_next_free_vgpr 114
		.amdhsa_next_free_sgpr 44
		.amdhsa_accum_offset 116
		.amdhsa_reserve_vcc 1
		.amdhsa_reserve_flat_scratch 0
		.amdhsa_float_round_mode_32 0
		.amdhsa_float_round_mode_16_64 0
		.amdhsa_float_denorm_mode_32 3
		.amdhsa_float_denorm_mode_16_64 3
		.amdhsa_dx10_clamp 1
		.amdhsa_ieee_mode 1
		.amdhsa_fp16_overflow 0
		.amdhsa_tg_split 0
		.amdhsa_exception_fp_ieee_invalid_op 0
		.amdhsa_exception_fp_denorm_src 0
		.amdhsa_exception_fp_ieee_div_zero 0
		.amdhsa_exception_fp_ieee_overflow 0
		.amdhsa_exception_fp_ieee_underflow 0
		.amdhsa_exception_fp_ieee_inexact 0
		.amdhsa_exception_int_div_zero 0
	.end_amdhsa_kernel
	.section	.text._ZN7rocprim17ROCPRIM_400000_NS6detail17trampoline_kernelINS0_14default_configENS1_25partition_config_selectorILNS1_17partition_subalgoE0EsNS0_10empty_typeEbEEZZNS1_14partition_implILS5_0ELb0ES3_jN6thrust23THRUST_200600_302600_NS6detail15normal_iteratorINSA_10device_ptrIsEEEEPS6_SG_NS0_5tupleIJSF_SF_EEENSH_IJSG_SG_EEES6_PlJ7is_evenIsEEEE10hipError_tPvRmT3_T4_T5_T6_T7_T9_mT8_P12ihipStream_tbDpT10_ENKUlT_T0_E_clISt17integral_constantIbLb0EES16_EEDaS11_S12_EUlS11_E_NS1_11comp_targetILNS1_3genE4ELNS1_11target_archE910ELNS1_3gpuE8ELNS1_3repE0EEENS1_30default_config_static_selectorELNS0_4arch9wavefront6targetE1EEEvT1_,"axG",@progbits,_ZN7rocprim17ROCPRIM_400000_NS6detail17trampoline_kernelINS0_14default_configENS1_25partition_config_selectorILNS1_17partition_subalgoE0EsNS0_10empty_typeEbEEZZNS1_14partition_implILS5_0ELb0ES3_jN6thrust23THRUST_200600_302600_NS6detail15normal_iteratorINSA_10device_ptrIsEEEEPS6_SG_NS0_5tupleIJSF_SF_EEENSH_IJSG_SG_EEES6_PlJ7is_evenIsEEEE10hipError_tPvRmT3_T4_T5_T6_T7_T9_mT8_P12ihipStream_tbDpT10_ENKUlT_T0_E_clISt17integral_constantIbLb0EES16_EEDaS11_S12_EUlS11_E_NS1_11comp_targetILNS1_3genE4ELNS1_11target_archE910ELNS1_3gpuE8ELNS1_3repE0EEENS1_30default_config_static_selectorELNS0_4arch9wavefront6targetE1EEEvT1_,comdat
.Lfunc_end355:
	.size	_ZN7rocprim17ROCPRIM_400000_NS6detail17trampoline_kernelINS0_14default_configENS1_25partition_config_selectorILNS1_17partition_subalgoE0EsNS0_10empty_typeEbEEZZNS1_14partition_implILS5_0ELb0ES3_jN6thrust23THRUST_200600_302600_NS6detail15normal_iteratorINSA_10device_ptrIsEEEEPS6_SG_NS0_5tupleIJSF_SF_EEENSH_IJSG_SG_EEES6_PlJ7is_evenIsEEEE10hipError_tPvRmT3_T4_T5_T6_T7_T9_mT8_P12ihipStream_tbDpT10_ENKUlT_T0_E_clISt17integral_constantIbLb0EES16_EEDaS11_S12_EUlS11_E_NS1_11comp_targetILNS1_3genE4ELNS1_11target_archE910ELNS1_3gpuE8ELNS1_3repE0EEENS1_30default_config_static_selectorELNS0_4arch9wavefront6targetE1EEEvT1_, .Lfunc_end355-_ZN7rocprim17ROCPRIM_400000_NS6detail17trampoline_kernelINS0_14default_configENS1_25partition_config_selectorILNS1_17partition_subalgoE0EsNS0_10empty_typeEbEEZZNS1_14partition_implILS5_0ELb0ES3_jN6thrust23THRUST_200600_302600_NS6detail15normal_iteratorINSA_10device_ptrIsEEEEPS6_SG_NS0_5tupleIJSF_SF_EEENSH_IJSG_SG_EEES6_PlJ7is_evenIsEEEE10hipError_tPvRmT3_T4_T5_T6_T7_T9_mT8_P12ihipStream_tbDpT10_ENKUlT_T0_E_clISt17integral_constantIbLb0EES16_EEDaS11_S12_EUlS11_E_NS1_11comp_targetILNS1_3genE4ELNS1_11target_archE910ELNS1_3gpuE8ELNS1_3repE0EEENS1_30default_config_static_selectorELNS0_4arch9wavefront6targetE1EEEvT1_
                                        ; -- End function
	.section	.AMDGPU.csdata,"",@progbits
; Kernel info:
; codeLenInByte = 9912
; NumSgprs: 48
; NumVgprs: 114
; NumAgprs: 0
; TotalNumVgprs: 114
; ScratchSize: 0
; MemoryBound: 0
; FloatMode: 240
; IeeeMode: 1
; LDSByteSize: 14344 bytes/workgroup (compile time only)
; SGPRBlocks: 5
; VGPRBlocks: 14
; NumSGPRsForWavesPerEU: 48
; NumVGPRsForWavesPerEU: 114
; AccumOffset: 116
; Occupancy: 4
; WaveLimiterHint : 1
; COMPUTE_PGM_RSRC2:SCRATCH_EN: 0
; COMPUTE_PGM_RSRC2:USER_SGPR: 6
; COMPUTE_PGM_RSRC2:TRAP_HANDLER: 0
; COMPUTE_PGM_RSRC2:TGID_X_EN: 1
; COMPUTE_PGM_RSRC2:TGID_Y_EN: 0
; COMPUTE_PGM_RSRC2:TGID_Z_EN: 0
; COMPUTE_PGM_RSRC2:TIDIG_COMP_CNT: 0
; COMPUTE_PGM_RSRC3_GFX90A:ACCUM_OFFSET: 28
; COMPUTE_PGM_RSRC3_GFX90A:TG_SPLIT: 0
	.section	.text._ZN7rocprim17ROCPRIM_400000_NS6detail17trampoline_kernelINS0_14default_configENS1_25partition_config_selectorILNS1_17partition_subalgoE0EsNS0_10empty_typeEbEEZZNS1_14partition_implILS5_0ELb0ES3_jN6thrust23THRUST_200600_302600_NS6detail15normal_iteratorINSA_10device_ptrIsEEEEPS6_SG_NS0_5tupleIJSF_SF_EEENSH_IJSG_SG_EEES6_PlJ7is_evenIsEEEE10hipError_tPvRmT3_T4_T5_T6_T7_T9_mT8_P12ihipStream_tbDpT10_ENKUlT_T0_E_clISt17integral_constantIbLb0EES16_EEDaS11_S12_EUlS11_E_NS1_11comp_targetILNS1_3genE3ELNS1_11target_archE908ELNS1_3gpuE7ELNS1_3repE0EEENS1_30default_config_static_selectorELNS0_4arch9wavefront6targetE1EEEvT1_,"axG",@progbits,_ZN7rocprim17ROCPRIM_400000_NS6detail17trampoline_kernelINS0_14default_configENS1_25partition_config_selectorILNS1_17partition_subalgoE0EsNS0_10empty_typeEbEEZZNS1_14partition_implILS5_0ELb0ES3_jN6thrust23THRUST_200600_302600_NS6detail15normal_iteratorINSA_10device_ptrIsEEEEPS6_SG_NS0_5tupleIJSF_SF_EEENSH_IJSG_SG_EEES6_PlJ7is_evenIsEEEE10hipError_tPvRmT3_T4_T5_T6_T7_T9_mT8_P12ihipStream_tbDpT10_ENKUlT_T0_E_clISt17integral_constantIbLb0EES16_EEDaS11_S12_EUlS11_E_NS1_11comp_targetILNS1_3genE3ELNS1_11target_archE908ELNS1_3gpuE7ELNS1_3repE0EEENS1_30default_config_static_selectorELNS0_4arch9wavefront6targetE1EEEvT1_,comdat
	.protected	_ZN7rocprim17ROCPRIM_400000_NS6detail17trampoline_kernelINS0_14default_configENS1_25partition_config_selectorILNS1_17partition_subalgoE0EsNS0_10empty_typeEbEEZZNS1_14partition_implILS5_0ELb0ES3_jN6thrust23THRUST_200600_302600_NS6detail15normal_iteratorINSA_10device_ptrIsEEEEPS6_SG_NS0_5tupleIJSF_SF_EEENSH_IJSG_SG_EEES6_PlJ7is_evenIsEEEE10hipError_tPvRmT3_T4_T5_T6_T7_T9_mT8_P12ihipStream_tbDpT10_ENKUlT_T0_E_clISt17integral_constantIbLb0EES16_EEDaS11_S12_EUlS11_E_NS1_11comp_targetILNS1_3genE3ELNS1_11target_archE908ELNS1_3gpuE7ELNS1_3repE0EEENS1_30default_config_static_selectorELNS0_4arch9wavefront6targetE1EEEvT1_ ; -- Begin function _ZN7rocprim17ROCPRIM_400000_NS6detail17trampoline_kernelINS0_14default_configENS1_25partition_config_selectorILNS1_17partition_subalgoE0EsNS0_10empty_typeEbEEZZNS1_14partition_implILS5_0ELb0ES3_jN6thrust23THRUST_200600_302600_NS6detail15normal_iteratorINSA_10device_ptrIsEEEEPS6_SG_NS0_5tupleIJSF_SF_EEENSH_IJSG_SG_EEES6_PlJ7is_evenIsEEEE10hipError_tPvRmT3_T4_T5_T6_T7_T9_mT8_P12ihipStream_tbDpT10_ENKUlT_T0_E_clISt17integral_constantIbLb0EES16_EEDaS11_S12_EUlS11_E_NS1_11comp_targetILNS1_3genE3ELNS1_11target_archE908ELNS1_3gpuE7ELNS1_3repE0EEENS1_30default_config_static_selectorELNS0_4arch9wavefront6targetE1EEEvT1_
	.globl	_ZN7rocprim17ROCPRIM_400000_NS6detail17trampoline_kernelINS0_14default_configENS1_25partition_config_selectorILNS1_17partition_subalgoE0EsNS0_10empty_typeEbEEZZNS1_14partition_implILS5_0ELb0ES3_jN6thrust23THRUST_200600_302600_NS6detail15normal_iteratorINSA_10device_ptrIsEEEEPS6_SG_NS0_5tupleIJSF_SF_EEENSH_IJSG_SG_EEES6_PlJ7is_evenIsEEEE10hipError_tPvRmT3_T4_T5_T6_T7_T9_mT8_P12ihipStream_tbDpT10_ENKUlT_T0_E_clISt17integral_constantIbLb0EES16_EEDaS11_S12_EUlS11_E_NS1_11comp_targetILNS1_3genE3ELNS1_11target_archE908ELNS1_3gpuE7ELNS1_3repE0EEENS1_30default_config_static_selectorELNS0_4arch9wavefront6targetE1EEEvT1_
	.p2align	8
	.type	_ZN7rocprim17ROCPRIM_400000_NS6detail17trampoline_kernelINS0_14default_configENS1_25partition_config_selectorILNS1_17partition_subalgoE0EsNS0_10empty_typeEbEEZZNS1_14partition_implILS5_0ELb0ES3_jN6thrust23THRUST_200600_302600_NS6detail15normal_iteratorINSA_10device_ptrIsEEEEPS6_SG_NS0_5tupleIJSF_SF_EEENSH_IJSG_SG_EEES6_PlJ7is_evenIsEEEE10hipError_tPvRmT3_T4_T5_T6_T7_T9_mT8_P12ihipStream_tbDpT10_ENKUlT_T0_E_clISt17integral_constantIbLb0EES16_EEDaS11_S12_EUlS11_E_NS1_11comp_targetILNS1_3genE3ELNS1_11target_archE908ELNS1_3gpuE7ELNS1_3repE0EEENS1_30default_config_static_selectorELNS0_4arch9wavefront6targetE1EEEvT1_,@function
_ZN7rocprim17ROCPRIM_400000_NS6detail17trampoline_kernelINS0_14default_configENS1_25partition_config_selectorILNS1_17partition_subalgoE0EsNS0_10empty_typeEbEEZZNS1_14partition_implILS5_0ELb0ES3_jN6thrust23THRUST_200600_302600_NS6detail15normal_iteratorINSA_10device_ptrIsEEEEPS6_SG_NS0_5tupleIJSF_SF_EEENSH_IJSG_SG_EEES6_PlJ7is_evenIsEEEE10hipError_tPvRmT3_T4_T5_T6_T7_T9_mT8_P12ihipStream_tbDpT10_ENKUlT_T0_E_clISt17integral_constantIbLb0EES16_EEDaS11_S12_EUlS11_E_NS1_11comp_targetILNS1_3genE3ELNS1_11target_archE908ELNS1_3gpuE7ELNS1_3repE0EEENS1_30default_config_static_selectorELNS0_4arch9wavefront6targetE1EEEvT1_: ; @_ZN7rocprim17ROCPRIM_400000_NS6detail17trampoline_kernelINS0_14default_configENS1_25partition_config_selectorILNS1_17partition_subalgoE0EsNS0_10empty_typeEbEEZZNS1_14partition_implILS5_0ELb0ES3_jN6thrust23THRUST_200600_302600_NS6detail15normal_iteratorINSA_10device_ptrIsEEEEPS6_SG_NS0_5tupleIJSF_SF_EEENSH_IJSG_SG_EEES6_PlJ7is_evenIsEEEE10hipError_tPvRmT3_T4_T5_T6_T7_T9_mT8_P12ihipStream_tbDpT10_ENKUlT_T0_E_clISt17integral_constantIbLb0EES16_EEDaS11_S12_EUlS11_E_NS1_11comp_targetILNS1_3genE3ELNS1_11target_archE908ELNS1_3gpuE7ELNS1_3repE0EEENS1_30default_config_static_selectorELNS0_4arch9wavefront6targetE1EEEvT1_
; %bb.0:
	.section	.rodata,"a",@progbits
	.p2align	6, 0x0
	.amdhsa_kernel _ZN7rocprim17ROCPRIM_400000_NS6detail17trampoline_kernelINS0_14default_configENS1_25partition_config_selectorILNS1_17partition_subalgoE0EsNS0_10empty_typeEbEEZZNS1_14partition_implILS5_0ELb0ES3_jN6thrust23THRUST_200600_302600_NS6detail15normal_iteratorINSA_10device_ptrIsEEEEPS6_SG_NS0_5tupleIJSF_SF_EEENSH_IJSG_SG_EEES6_PlJ7is_evenIsEEEE10hipError_tPvRmT3_T4_T5_T6_T7_T9_mT8_P12ihipStream_tbDpT10_ENKUlT_T0_E_clISt17integral_constantIbLb0EES16_EEDaS11_S12_EUlS11_E_NS1_11comp_targetILNS1_3genE3ELNS1_11target_archE908ELNS1_3gpuE7ELNS1_3repE0EEENS1_30default_config_static_selectorELNS0_4arch9wavefront6targetE1EEEvT1_
		.amdhsa_group_segment_fixed_size 0
		.amdhsa_private_segment_fixed_size 0
		.amdhsa_kernarg_size 120
		.amdhsa_user_sgpr_count 6
		.amdhsa_user_sgpr_private_segment_buffer 1
		.amdhsa_user_sgpr_dispatch_ptr 0
		.amdhsa_user_sgpr_queue_ptr 0
		.amdhsa_user_sgpr_kernarg_segment_ptr 1
		.amdhsa_user_sgpr_dispatch_id 0
		.amdhsa_user_sgpr_flat_scratch_init 0
		.amdhsa_user_sgpr_kernarg_preload_length 0
		.amdhsa_user_sgpr_kernarg_preload_offset 0
		.amdhsa_user_sgpr_private_segment_size 0
		.amdhsa_uses_dynamic_stack 0
		.amdhsa_system_sgpr_private_segment_wavefront_offset 0
		.amdhsa_system_sgpr_workgroup_id_x 1
		.amdhsa_system_sgpr_workgroup_id_y 0
		.amdhsa_system_sgpr_workgroup_id_z 0
		.amdhsa_system_sgpr_workgroup_info 0
		.amdhsa_system_vgpr_workitem_id 0
		.amdhsa_next_free_vgpr 1
		.amdhsa_next_free_sgpr 0
		.amdhsa_accum_offset 4
		.amdhsa_reserve_vcc 0
		.amdhsa_reserve_flat_scratch 0
		.amdhsa_float_round_mode_32 0
		.amdhsa_float_round_mode_16_64 0
		.amdhsa_float_denorm_mode_32 3
		.amdhsa_float_denorm_mode_16_64 3
		.amdhsa_dx10_clamp 1
		.amdhsa_ieee_mode 1
		.amdhsa_fp16_overflow 0
		.amdhsa_tg_split 0
		.amdhsa_exception_fp_ieee_invalid_op 0
		.amdhsa_exception_fp_denorm_src 0
		.amdhsa_exception_fp_ieee_div_zero 0
		.amdhsa_exception_fp_ieee_overflow 0
		.amdhsa_exception_fp_ieee_underflow 0
		.amdhsa_exception_fp_ieee_inexact 0
		.amdhsa_exception_int_div_zero 0
	.end_amdhsa_kernel
	.section	.text._ZN7rocprim17ROCPRIM_400000_NS6detail17trampoline_kernelINS0_14default_configENS1_25partition_config_selectorILNS1_17partition_subalgoE0EsNS0_10empty_typeEbEEZZNS1_14partition_implILS5_0ELb0ES3_jN6thrust23THRUST_200600_302600_NS6detail15normal_iteratorINSA_10device_ptrIsEEEEPS6_SG_NS0_5tupleIJSF_SF_EEENSH_IJSG_SG_EEES6_PlJ7is_evenIsEEEE10hipError_tPvRmT3_T4_T5_T6_T7_T9_mT8_P12ihipStream_tbDpT10_ENKUlT_T0_E_clISt17integral_constantIbLb0EES16_EEDaS11_S12_EUlS11_E_NS1_11comp_targetILNS1_3genE3ELNS1_11target_archE908ELNS1_3gpuE7ELNS1_3repE0EEENS1_30default_config_static_selectorELNS0_4arch9wavefront6targetE1EEEvT1_,"axG",@progbits,_ZN7rocprim17ROCPRIM_400000_NS6detail17trampoline_kernelINS0_14default_configENS1_25partition_config_selectorILNS1_17partition_subalgoE0EsNS0_10empty_typeEbEEZZNS1_14partition_implILS5_0ELb0ES3_jN6thrust23THRUST_200600_302600_NS6detail15normal_iteratorINSA_10device_ptrIsEEEEPS6_SG_NS0_5tupleIJSF_SF_EEENSH_IJSG_SG_EEES6_PlJ7is_evenIsEEEE10hipError_tPvRmT3_T4_T5_T6_T7_T9_mT8_P12ihipStream_tbDpT10_ENKUlT_T0_E_clISt17integral_constantIbLb0EES16_EEDaS11_S12_EUlS11_E_NS1_11comp_targetILNS1_3genE3ELNS1_11target_archE908ELNS1_3gpuE7ELNS1_3repE0EEENS1_30default_config_static_selectorELNS0_4arch9wavefront6targetE1EEEvT1_,comdat
.Lfunc_end356:
	.size	_ZN7rocprim17ROCPRIM_400000_NS6detail17trampoline_kernelINS0_14default_configENS1_25partition_config_selectorILNS1_17partition_subalgoE0EsNS0_10empty_typeEbEEZZNS1_14partition_implILS5_0ELb0ES3_jN6thrust23THRUST_200600_302600_NS6detail15normal_iteratorINSA_10device_ptrIsEEEEPS6_SG_NS0_5tupleIJSF_SF_EEENSH_IJSG_SG_EEES6_PlJ7is_evenIsEEEE10hipError_tPvRmT3_T4_T5_T6_T7_T9_mT8_P12ihipStream_tbDpT10_ENKUlT_T0_E_clISt17integral_constantIbLb0EES16_EEDaS11_S12_EUlS11_E_NS1_11comp_targetILNS1_3genE3ELNS1_11target_archE908ELNS1_3gpuE7ELNS1_3repE0EEENS1_30default_config_static_selectorELNS0_4arch9wavefront6targetE1EEEvT1_, .Lfunc_end356-_ZN7rocprim17ROCPRIM_400000_NS6detail17trampoline_kernelINS0_14default_configENS1_25partition_config_selectorILNS1_17partition_subalgoE0EsNS0_10empty_typeEbEEZZNS1_14partition_implILS5_0ELb0ES3_jN6thrust23THRUST_200600_302600_NS6detail15normal_iteratorINSA_10device_ptrIsEEEEPS6_SG_NS0_5tupleIJSF_SF_EEENSH_IJSG_SG_EEES6_PlJ7is_evenIsEEEE10hipError_tPvRmT3_T4_T5_T6_T7_T9_mT8_P12ihipStream_tbDpT10_ENKUlT_T0_E_clISt17integral_constantIbLb0EES16_EEDaS11_S12_EUlS11_E_NS1_11comp_targetILNS1_3genE3ELNS1_11target_archE908ELNS1_3gpuE7ELNS1_3repE0EEENS1_30default_config_static_selectorELNS0_4arch9wavefront6targetE1EEEvT1_
                                        ; -- End function
	.section	.AMDGPU.csdata,"",@progbits
; Kernel info:
; codeLenInByte = 0
; NumSgprs: 4
; NumVgprs: 0
; NumAgprs: 0
; TotalNumVgprs: 0
; ScratchSize: 0
; MemoryBound: 0
; FloatMode: 240
; IeeeMode: 1
; LDSByteSize: 0 bytes/workgroup (compile time only)
; SGPRBlocks: 0
; VGPRBlocks: 0
; NumSGPRsForWavesPerEU: 4
; NumVGPRsForWavesPerEU: 1
; AccumOffset: 4
; Occupancy: 8
; WaveLimiterHint : 0
; COMPUTE_PGM_RSRC2:SCRATCH_EN: 0
; COMPUTE_PGM_RSRC2:USER_SGPR: 6
; COMPUTE_PGM_RSRC2:TRAP_HANDLER: 0
; COMPUTE_PGM_RSRC2:TGID_X_EN: 1
; COMPUTE_PGM_RSRC2:TGID_Y_EN: 0
; COMPUTE_PGM_RSRC2:TGID_Z_EN: 0
; COMPUTE_PGM_RSRC2:TIDIG_COMP_CNT: 0
; COMPUTE_PGM_RSRC3_GFX90A:ACCUM_OFFSET: 0
; COMPUTE_PGM_RSRC3_GFX90A:TG_SPLIT: 0
	.section	.text._ZN7rocprim17ROCPRIM_400000_NS6detail17trampoline_kernelINS0_14default_configENS1_25partition_config_selectorILNS1_17partition_subalgoE0EsNS0_10empty_typeEbEEZZNS1_14partition_implILS5_0ELb0ES3_jN6thrust23THRUST_200600_302600_NS6detail15normal_iteratorINSA_10device_ptrIsEEEEPS6_SG_NS0_5tupleIJSF_SF_EEENSH_IJSG_SG_EEES6_PlJ7is_evenIsEEEE10hipError_tPvRmT3_T4_T5_T6_T7_T9_mT8_P12ihipStream_tbDpT10_ENKUlT_T0_E_clISt17integral_constantIbLb0EES16_EEDaS11_S12_EUlS11_E_NS1_11comp_targetILNS1_3genE2ELNS1_11target_archE906ELNS1_3gpuE6ELNS1_3repE0EEENS1_30default_config_static_selectorELNS0_4arch9wavefront6targetE1EEEvT1_,"axG",@progbits,_ZN7rocprim17ROCPRIM_400000_NS6detail17trampoline_kernelINS0_14default_configENS1_25partition_config_selectorILNS1_17partition_subalgoE0EsNS0_10empty_typeEbEEZZNS1_14partition_implILS5_0ELb0ES3_jN6thrust23THRUST_200600_302600_NS6detail15normal_iteratorINSA_10device_ptrIsEEEEPS6_SG_NS0_5tupleIJSF_SF_EEENSH_IJSG_SG_EEES6_PlJ7is_evenIsEEEE10hipError_tPvRmT3_T4_T5_T6_T7_T9_mT8_P12ihipStream_tbDpT10_ENKUlT_T0_E_clISt17integral_constantIbLb0EES16_EEDaS11_S12_EUlS11_E_NS1_11comp_targetILNS1_3genE2ELNS1_11target_archE906ELNS1_3gpuE6ELNS1_3repE0EEENS1_30default_config_static_selectorELNS0_4arch9wavefront6targetE1EEEvT1_,comdat
	.protected	_ZN7rocprim17ROCPRIM_400000_NS6detail17trampoline_kernelINS0_14default_configENS1_25partition_config_selectorILNS1_17partition_subalgoE0EsNS0_10empty_typeEbEEZZNS1_14partition_implILS5_0ELb0ES3_jN6thrust23THRUST_200600_302600_NS6detail15normal_iteratorINSA_10device_ptrIsEEEEPS6_SG_NS0_5tupleIJSF_SF_EEENSH_IJSG_SG_EEES6_PlJ7is_evenIsEEEE10hipError_tPvRmT3_T4_T5_T6_T7_T9_mT8_P12ihipStream_tbDpT10_ENKUlT_T0_E_clISt17integral_constantIbLb0EES16_EEDaS11_S12_EUlS11_E_NS1_11comp_targetILNS1_3genE2ELNS1_11target_archE906ELNS1_3gpuE6ELNS1_3repE0EEENS1_30default_config_static_selectorELNS0_4arch9wavefront6targetE1EEEvT1_ ; -- Begin function _ZN7rocprim17ROCPRIM_400000_NS6detail17trampoline_kernelINS0_14default_configENS1_25partition_config_selectorILNS1_17partition_subalgoE0EsNS0_10empty_typeEbEEZZNS1_14partition_implILS5_0ELb0ES3_jN6thrust23THRUST_200600_302600_NS6detail15normal_iteratorINSA_10device_ptrIsEEEEPS6_SG_NS0_5tupleIJSF_SF_EEENSH_IJSG_SG_EEES6_PlJ7is_evenIsEEEE10hipError_tPvRmT3_T4_T5_T6_T7_T9_mT8_P12ihipStream_tbDpT10_ENKUlT_T0_E_clISt17integral_constantIbLb0EES16_EEDaS11_S12_EUlS11_E_NS1_11comp_targetILNS1_3genE2ELNS1_11target_archE906ELNS1_3gpuE6ELNS1_3repE0EEENS1_30default_config_static_selectorELNS0_4arch9wavefront6targetE1EEEvT1_
	.globl	_ZN7rocprim17ROCPRIM_400000_NS6detail17trampoline_kernelINS0_14default_configENS1_25partition_config_selectorILNS1_17partition_subalgoE0EsNS0_10empty_typeEbEEZZNS1_14partition_implILS5_0ELb0ES3_jN6thrust23THRUST_200600_302600_NS6detail15normal_iteratorINSA_10device_ptrIsEEEEPS6_SG_NS0_5tupleIJSF_SF_EEENSH_IJSG_SG_EEES6_PlJ7is_evenIsEEEE10hipError_tPvRmT3_T4_T5_T6_T7_T9_mT8_P12ihipStream_tbDpT10_ENKUlT_T0_E_clISt17integral_constantIbLb0EES16_EEDaS11_S12_EUlS11_E_NS1_11comp_targetILNS1_3genE2ELNS1_11target_archE906ELNS1_3gpuE6ELNS1_3repE0EEENS1_30default_config_static_selectorELNS0_4arch9wavefront6targetE1EEEvT1_
	.p2align	8
	.type	_ZN7rocprim17ROCPRIM_400000_NS6detail17trampoline_kernelINS0_14default_configENS1_25partition_config_selectorILNS1_17partition_subalgoE0EsNS0_10empty_typeEbEEZZNS1_14partition_implILS5_0ELb0ES3_jN6thrust23THRUST_200600_302600_NS6detail15normal_iteratorINSA_10device_ptrIsEEEEPS6_SG_NS0_5tupleIJSF_SF_EEENSH_IJSG_SG_EEES6_PlJ7is_evenIsEEEE10hipError_tPvRmT3_T4_T5_T6_T7_T9_mT8_P12ihipStream_tbDpT10_ENKUlT_T0_E_clISt17integral_constantIbLb0EES16_EEDaS11_S12_EUlS11_E_NS1_11comp_targetILNS1_3genE2ELNS1_11target_archE906ELNS1_3gpuE6ELNS1_3repE0EEENS1_30default_config_static_selectorELNS0_4arch9wavefront6targetE1EEEvT1_,@function
_ZN7rocprim17ROCPRIM_400000_NS6detail17trampoline_kernelINS0_14default_configENS1_25partition_config_selectorILNS1_17partition_subalgoE0EsNS0_10empty_typeEbEEZZNS1_14partition_implILS5_0ELb0ES3_jN6thrust23THRUST_200600_302600_NS6detail15normal_iteratorINSA_10device_ptrIsEEEEPS6_SG_NS0_5tupleIJSF_SF_EEENSH_IJSG_SG_EEES6_PlJ7is_evenIsEEEE10hipError_tPvRmT3_T4_T5_T6_T7_T9_mT8_P12ihipStream_tbDpT10_ENKUlT_T0_E_clISt17integral_constantIbLb0EES16_EEDaS11_S12_EUlS11_E_NS1_11comp_targetILNS1_3genE2ELNS1_11target_archE906ELNS1_3gpuE6ELNS1_3repE0EEENS1_30default_config_static_selectorELNS0_4arch9wavefront6targetE1EEEvT1_: ; @_ZN7rocprim17ROCPRIM_400000_NS6detail17trampoline_kernelINS0_14default_configENS1_25partition_config_selectorILNS1_17partition_subalgoE0EsNS0_10empty_typeEbEEZZNS1_14partition_implILS5_0ELb0ES3_jN6thrust23THRUST_200600_302600_NS6detail15normal_iteratorINSA_10device_ptrIsEEEEPS6_SG_NS0_5tupleIJSF_SF_EEENSH_IJSG_SG_EEES6_PlJ7is_evenIsEEEE10hipError_tPvRmT3_T4_T5_T6_T7_T9_mT8_P12ihipStream_tbDpT10_ENKUlT_T0_E_clISt17integral_constantIbLb0EES16_EEDaS11_S12_EUlS11_E_NS1_11comp_targetILNS1_3genE2ELNS1_11target_archE906ELNS1_3gpuE6ELNS1_3repE0EEENS1_30default_config_static_selectorELNS0_4arch9wavefront6targetE1EEEvT1_
; %bb.0:
	.section	.rodata,"a",@progbits
	.p2align	6, 0x0
	.amdhsa_kernel _ZN7rocprim17ROCPRIM_400000_NS6detail17trampoline_kernelINS0_14default_configENS1_25partition_config_selectorILNS1_17partition_subalgoE0EsNS0_10empty_typeEbEEZZNS1_14partition_implILS5_0ELb0ES3_jN6thrust23THRUST_200600_302600_NS6detail15normal_iteratorINSA_10device_ptrIsEEEEPS6_SG_NS0_5tupleIJSF_SF_EEENSH_IJSG_SG_EEES6_PlJ7is_evenIsEEEE10hipError_tPvRmT3_T4_T5_T6_T7_T9_mT8_P12ihipStream_tbDpT10_ENKUlT_T0_E_clISt17integral_constantIbLb0EES16_EEDaS11_S12_EUlS11_E_NS1_11comp_targetILNS1_3genE2ELNS1_11target_archE906ELNS1_3gpuE6ELNS1_3repE0EEENS1_30default_config_static_selectorELNS0_4arch9wavefront6targetE1EEEvT1_
		.amdhsa_group_segment_fixed_size 0
		.amdhsa_private_segment_fixed_size 0
		.amdhsa_kernarg_size 120
		.amdhsa_user_sgpr_count 6
		.amdhsa_user_sgpr_private_segment_buffer 1
		.amdhsa_user_sgpr_dispatch_ptr 0
		.amdhsa_user_sgpr_queue_ptr 0
		.amdhsa_user_sgpr_kernarg_segment_ptr 1
		.amdhsa_user_sgpr_dispatch_id 0
		.amdhsa_user_sgpr_flat_scratch_init 0
		.amdhsa_user_sgpr_kernarg_preload_length 0
		.amdhsa_user_sgpr_kernarg_preload_offset 0
		.amdhsa_user_sgpr_private_segment_size 0
		.amdhsa_uses_dynamic_stack 0
		.amdhsa_system_sgpr_private_segment_wavefront_offset 0
		.amdhsa_system_sgpr_workgroup_id_x 1
		.amdhsa_system_sgpr_workgroup_id_y 0
		.amdhsa_system_sgpr_workgroup_id_z 0
		.amdhsa_system_sgpr_workgroup_info 0
		.amdhsa_system_vgpr_workitem_id 0
		.amdhsa_next_free_vgpr 1
		.amdhsa_next_free_sgpr 0
		.amdhsa_accum_offset 4
		.amdhsa_reserve_vcc 0
		.amdhsa_reserve_flat_scratch 0
		.amdhsa_float_round_mode_32 0
		.amdhsa_float_round_mode_16_64 0
		.amdhsa_float_denorm_mode_32 3
		.amdhsa_float_denorm_mode_16_64 3
		.amdhsa_dx10_clamp 1
		.amdhsa_ieee_mode 1
		.amdhsa_fp16_overflow 0
		.amdhsa_tg_split 0
		.amdhsa_exception_fp_ieee_invalid_op 0
		.amdhsa_exception_fp_denorm_src 0
		.amdhsa_exception_fp_ieee_div_zero 0
		.amdhsa_exception_fp_ieee_overflow 0
		.amdhsa_exception_fp_ieee_underflow 0
		.amdhsa_exception_fp_ieee_inexact 0
		.amdhsa_exception_int_div_zero 0
	.end_amdhsa_kernel
	.section	.text._ZN7rocprim17ROCPRIM_400000_NS6detail17trampoline_kernelINS0_14default_configENS1_25partition_config_selectorILNS1_17partition_subalgoE0EsNS0_10empty_typeEbEEZZNS1_14partition_implILS5_0ELb0ES3_jN6thrust23THRUST_200600_302600_NS6detail15normal_iteratorINSA_10device_ptrIsEEEEPS6_SG_NS0_5tupleIJSF_SF_EEENSH_IJSG_SG_EEES6_PlJ7is_evenIsEEEE10hipError_tPvRmT3_T4_T5_T6_T7_T9_mT8_P12ihipStream_tbDpT10_ENKUlT_T0_E_clISt17integral_constantIbLb0EES16_EEDaS11_S12_EUlS11_E_NS1_11comp_targetILNS1_3genE2ELNS1_11target_archE906ELNS1_3gpuE6ELNS1_3repE0EEENS1_30default_config_static_selectorELNS0_4arch9wavefront6targetE1EEEvT1_,"axG",@progbits,_ZN7rocprim17ROCPRIM_400000_NS6detail17trampoline_kernelINS0_14default_configENS1_25partition_config_selectorILNS1_17partition_subalgoE0EsNS0_10empty_typeEbEEZZNS1_14partition_implILS5_0ELb0ES3_jN6thrust23THRUST_200600_302600_NS6detail15normal_iteratorINSA_10device_ptrIsEEEEPS6_SG_NS0_5tupleIJSF_SF_EEENSH_IJSG_SG_EEES6_PlJ7is_evenIsEEEE10hipError_tPvRmT3_T4_T5_T6_T7_T9_mT8_P12ihipStream_tbDpT10_ENKUlT_T0_E_clISt17integral_constantIbLb0EES16_EEDaS11_S12_EUlS11_E_NS1_11comp_targetILNS1_3genE2ELNS1_11target_archE906ELNS1_3gpuE6ELNS1_3repE0EEENS1_30default_config_static_selectorELNS0_4arch9wavefront6targetE1EEEvT1_,comdat
.Lfunc_end357:
	.size	_ZN7rocprim17ROCPRIM_400000_NS6detail17trampoline_kernelINS0_14default_configENS1_25partition_config_selectorILNS1_17partition_subalgoE0EsNS0_10empty_typeEbEEZZNS1_14partition_implILS5_0ELb0ES3_jN6thrust23THRUST_200600_302600_NS6detail15normal_iteratorINSA_10device_ptrIsEEEEPS6_SG_NS0_5tupleIJSF_SF_EEENSH_IJSG_SG_EEES6_PlJ7is_evenIsEEEE10hipError_tPvRmT3_T4_T5_T6_T7_T9_mT8_P12ihipStream_tbDpT10_ENKUlT_T0_E_clISt17integral_constantIbLb0EES16_EEDaS11_S12_EUlS11_E_NS1_11comp_targetILNS1_3genE2ELNS1_11target_archE906ELNS1_3gpuE6ELNS1_3repE0EEENS1_30default_config_static_selectorELNS0_4arch9wavefront6targetE1EEEvT1_, .Lfunc_end357-_ZN7rocprim17ROCPRIM_400000_NS6detail17trampoline_kernelINS0_14default_configENS1_25partition_config_selectorILNS1_17partition_subalgoE0EsNS0_10empty_typeEbEEZZNS1_14partition_implILS5_0ELb0ES3_jN6thrust23THRUST_200600_302600_NS6detail15normal_iteratorINSA_10device_ptrIsEEEEPS6_SG_NS0_5tupleIJSF_SF_EEENSH_IJSG_SG_EEES6_PlJ7is_evenIsEEEE10hipError_tPvRmT3_T4_T5_T6_T7_T9_mT8_P12ihipStream_tbDpT10_ENKUlT_T0_E_clISt17integral_constantIbLb0EES16_EEDaS11_S12_EUlS11_E_NS1_11comp_targetILNS1_3genE2ELNS1_11target_archE906ELNS1_3gpuE6ELNS1_3repE0EEENS1_30default_config_static_selectorELNS0_4arch9wavefront6targetE1EEEvT1_
                                        ; -- End function
	.section	.AMDGPU.csdata,"",@progbits
; Kernel info:
; codeLenInByte = 0
; NumSgprs: 4
; NumVgprs: 0
; NumAgprs: 0
; TotalNumVgprs: 0
; ScratchSize: 0
; MemoryBound: 0
; FloatMode: 240
; IeeeMode: 1
; LDSByteSize: 0 bytes/workgroup (compile time only)
; SGPRBlocks: 0
; VGPRBlocks: 0
; NumSGPRsForWavesPerEU: 4
; NumVGPRsForWavesPerEU: 1
; AccumOffset: 4
; Occupancy: 8
; WaveLimiterHint : 0
; COMPUTE_PGM_RSRC2:SCRATCH_EN: 0
; COMPUTE_PGM_RSRC2:USER_SGPR: 6
; COMPUTE_PGM_RSRC2:TRAP_HANDLER: 0
; COMPUTE_PGM_RSRC2:TGID_X_EN: 1
; COMPUTE_PGM_RSRC2:TGID_Y_EN: 0
; COMPUTE_PGM_RSRC2:TGID_Z_EN: 0
; COMPUTE_PGM_RSRC2:TIDIG_COMP_CNT: 0
; COMPUTE_PGM_RSRC3_GFX90A:ACCUM_OFFSET: 0
; COMPUTE_PGM_RSRC3_GFX90A:TG_SPLIT: 0
	.section	.text._ZN7rocprim17ROCPRIM_400000_NS6detail17trampoline_kernelINS0_14default_configENS1_25partition_config_selectorILNS1_17partition_subalgoE0EsNS0_10empty_typeEbEEZZNS1_14partition_implILS5_0ELb0ES3_jN6thrust23THRUST_200600_302600_NS6detail15normal_iteratorINSA_10device_ptrIsEEEEPS6_SG_NS0_5tupleIJSF_SF_EEENSH_IJSG_SG_EEES6_PlJ7is_evenIsEEEE10hipError_tPvRmT3_T4_T5_T6_T7_T9_mT8_P12ihipStream_tbDpT10_ENKUlT_T0_E_clISt17integral_constantIbLb0EES16_EEDaS11_S12_EUlS11_E_NS1_11comp_targetILNS1_3genE10ELNS1_11target_archE1200ELNS1_3gpuE4ELNS1_3repE0EEENS1_30default_config_static_selectorELNS0_4arch9wavefront6targetE1EEEvT1_,"axG",@progbits,_ZN7rocprim17ROCPRIM_400000_NS6detail17trampoline_kernelINS0_14default_configENS1_25partition_config_selectorILNS1_17partition_subalgoE0EsNS0_10empty_typeEbEEZZNS1_14partition_implILS5_0ELb0ES3_jN6thrust23THRUST_200600_302600_NS6detail15normal_iteratorINSA_10device_ptrIsEEEEPS6_SG_NS0_5tupleIJSF_SF_EEENSH_IJSG_SG_EEES6_PlJ7is_evenIsEEEE10hipError_tPvRmT3_T4_T5_T6_T7_T9_mT8_P12ihipStream_tbDpT10_ENKUlT_T0_E_clISt17integral_constantIbLb0EES16_EEDaS11_S12_EUlS11_E_NS1_11comp_targetILNS1_3genE10ELNS1_11target_archE1200ELNS1_3gpuE4ELNS1_3repE0EEENS1_30default_config_static_selectorELNS0_4arch9wavefront6targetE1EEEvT1_,comdat
	.protected	_ZN7rocprim17ROCPRIM_400000_NS6detail17trampoline_kernelINS0_14default_configENS1_25partition_config_selectorILNS1_17partition_subalgoE0EsNS0_10empty_typeEbEEZZNS1_14partition_implILS5_0ELb0ES3_jN6thrust23THRUST_200600_302600_NS6detail15normal_iteratorINSA_10device_ptrIsEEEEPS6_SG_NS0_5tupleIJSF_SF_EEENSH_IJSG_SG_EEES6_PlJ7is_evenIsEEEE10hipError_tPvRmT3_T4_T5_T6_T7_T9_mT8_P12ihipStream_tbDpT10_ENKUlT_T0_E_clISt17integral_constantIbLb0EES16_EEDaS11_S12_EUlS11_E_NS1_11comp_targetILNS1_3genE10ELNS1_11target_archE1200ELNS1_3gpuE4ELNS1_3repE0EEENS1_30default_config_static_selectorELNS0_4arch9wavefront6targetE1EEEvT1_ ; -- Begin function _ZN7rocprim17ROCPRIM_400000_NS6detail17trampoline_kernelINS0_14default_configENS1_25partition_config_selectorILNS1_17partition_subalgoE0EsNS0_10empty_typeEbEEZZNS1_14partition_implILS5_0ELb0ES3_jN6thrust23THRUST_200600_302600_NS6detail15normal_iteratorINSA_10device_ptrIsEEEEPS6_SG_NS0_5tupleIJSF_SF_EEENSH_IJSG_SG_EEES6_PlJ7is_evenIsEEEE10hipError_tPvRmT3_T4_T5_T6_T7_T9_mT8_P12ihipStream_tbDpT10_ENKUlT_T0_E_clISt17integral_constantIbLb0EES16_EEDaS11_S12_EUlS11_E_NS1_11comp_targetILNS1_3genE10ELNS1_11target_archE1200ELNS1_3gpuE4ELNS1_3repE0EEENS1_30default_config_static_selectorELNS0_4arch9wavefront6targetE1EEEvT1_
	.globl	_ZN7rocprim17ROCPRIM_400000_NS6detail17trampoline_kernelINS0_14default_configENS1_25partition_config_selectorILNS1_17partition_subalgoE0EsNS0_10empty_typeEbEEZZNS1_14partition_implILS5_0ELb0ES3_jN6thrust23THRUST_200600_302600_NS6detail15normal_iteratorINSA_10device_ptrIsEEEEPS6_SG_NS0_5tupleIJSF_SF_EEENSH_IJSG_SG_EEES6_PlJ7is_evenIsEEEE10hipError_tPvRmT3_T4_T5_T6_T7_T9_mT8_P12ihipStream_tbDpT10_ENKUlT_T0_E_clISt17integral_constantIbLb0EES16_EEDaS11_S12_EUlS11_E_NS1_11comp_targetILNS1_3genE10ELNS1_11target_archE1200ELNS1_3gpuE4ELNS1_3repE0EEENS1_30default_config_static_selectorELNS0_4arch9wavefront6targetE1EEEvT1_
	.p2align	8
	.type	_ZN7rocprim17ROCPRIM_400000_NS6detail17trampoline_kernelINS0_14default_configENS1_25partition_config_selectorILNS1_17partition_subalgoE0EsNS0_10empty_typeEbEEZZNS1_14partition_implILS5_0ELb0ES3_jN6thrust23THRUST_200600_302600_NS6detail15normal_iteratorINSA_10device_ptrIsEEEEPS6_SG_NS0_5tupleIJSF_SF_EEENSH_IJSG_SG_EEES6_PlJ7is_evenIsEEEE10hipError_tPvRmT3_T4_T5_T6_T7_T9_mT8_P12ihipStream_tbDpT10_ENKUlT_T0_E_clISt17integral_constantIbLb0EES16_EEDaS11_S12_EUlS11_E_NS1_11comp_targetILNS1_3genE10ELNS1_11target_archE1200ELNS1_3gpuE4ELNS1_3repE0EEENS1_30default_config_static_selectorELNS0_4arch9wavefront6targetE1EEEvT1_,@function
_ZN7rocprim17ROCPRIM_400000_NS6detail17trampoline_kernelINS0_14default_configENS1_25partition_config_selectorILNS1_17partition_subalgoE0EsNS0_10empty_typeEbEEZZNS1_14partition_implILS5_0ELb0ES3_jN6thrust23THRUST_200600_302600_NS6detail15normal_iteratorINSA_10device_ptrIsEEEEPS6_SG_NS0_5tupleIJSF_SF_EEENSH_IJSG_SG_EEES6_PlJ7is_evenIsEEEE10hipError_tPvRmT3_T4_T5_T6_T7_T9_mT8_P12ihipStream_tbDpT10_ENKUlT_T0_E_clISt17integral_constantIbLb0EES16_EEDaS11_S12_EUlS11_E_NS1_11comp_targetILNS1_3genE10ELNS1_11target_archE1200ELNS1_3gpuE4ELNS1_3repE0EEENS1_30default_config_static_selectorELNS0_4arch9wavefront6targetE1EEEvT1_: ; @_ZN7rocprim17ROCPRIM_400000_NS6detail17trampoline_kernelINS0_14default_configENS1_25partition_config_selectorILNS1_17partition_subalgoE0EsNS0_10empty_typeEbEEZZNS1_14partition_implILS5_0ELb0ES3_jN6thrust23THRUST_200600_302600_NS6detail15normal_iteratorINSA_10device_ptrIsEEEEPS6_SG_NS0_5tupleIJSF_SF_EEENSH_IJSG_SG_EEES6_PlJ7is_evenIsEEEE10hipError_tPvRmT3_T4_T5_T6_T7_T9_mT8_P12ihipStream_tbDpT10_ENKUlT_T0_E_clISt17integral_constantIbLb0EES16_EEDaS11_S12_EUlS11_E_NS1_11comp_targetILNS1_3genE10ELNS1_11target_archE1200ELNS1_3gpuE4ELNS1_3repE0EEENS1_30default_config_static_selectorELNS0_4arch9wavefront6targetE1EEEvT1_
; %bb.0:
	.section	.rodata,"a",@progbits
	.p2align	6, 0x0
	.amdhsa_kernel _ZN7rocprim17ROCPRIM_400000_NS6detail17trampoline_kernelINS0_14default_configENS1_25partition_config_selectorILNS1_17partition_subalgoE0EsNS0_10empty_typeEbEEZZNS1_14partition_implILS5_0ELb0ES3_jN6thrust23THRUST_200600_302600_NS6detail15normal_iteratorINSA_10device_ptrIsEEEEPS6_SG_NS0_5tupleIJSF_SF_EEENSH_IJSG_SG_EEES6_PlJ7is_evenIsEEEE10hipError_tPvRmT3_T4_T5_T6_T7_T9_mT8_P12ihipStream_tbDpT10_ENKUlT_T0_E_clISt17integral_constantIbLb0EES16_EEDaS11_S12_EUlS11_E_NS1_11comp_targetILNS1_3genE10ELNS1_11target_archE1200ELNS1_3gpuE4ELNS1_3repE0EEENS1_30default_config_static_selectorELNS0_4arch9wavefront6targetE1EEEvT1_
		.amdhsa_group_segment_fixed_size 0
		.amdhsa_private_segment_fixed_size 0
		.amdhsa_kernarg_size 120
		.amdhsa_user_sgpr_count 6
		.amdhsa_user_sgpr_private_segment_buffer 1
		.amdhsa_user_sgpr_dispatch_ptr 0
		.amdhsa_user_sgpr_queue_ptr 0
		.amdhsa_user_sgpr_kernarg_segment_ptr 1
		.amdhsa_user_sgpr_dispatch_id 0
		.amdhsa_user_sgpr_flat_scratch_init 0
		.amdhsa_user_sgpr_kernarg_preload_length 0
		.amdhsa_user_sgpr_kernarg_preload_offset 0
		.amdhsa_user_sgpr_private_segment_size 0
		.amdhsa_uses_dynamic_stack 0
		.amdhsa_system_sgpr_private_segment_wavefront_offset 0
		.amdhsa_system_sgpr_workgroup_id_x 1
		.amdhsa_system_sgpr_workgroup_id_y 0
		.amdhsa_system_sgpr_workgroup_id_z 0
		.amdhsa_system_sgpr_workgroup_info 0
		.amdhsa_system_vgpr_workitem_id 0
		.amdhsa_next_free_vgpr 1
		.amdhsa_next_free_sgpr 0
		.amdhsa_accum_offset 4
		.amdhsa_reserve_vcc 0
		.amdhsa_reserve_flat_scratch 0
		.amdhsa_float_round_mode_32 0
		.amdhsa_float_round_mode_16_64 0
		.amdhsa_float_denorm_mode_32 3
		.amdhsa_float_denorm_mode_16_64 3
		.amdhsa_dx10_clamp 1
		.amdhsa_ieee_mode 1
		.amdhsa_fp16_overflow 0
		.amdhsa_tg_split 0
		.amdhsa_exception_fp_ieee_invalid_op 0
		.amdhsa_exception_fp_denorm_src 0
		.amdhsa_exception_fp_ieee_div_zero 0
		.amdhsa_exception_fp_ieee_overflow 0
		.amdhsa_exception_fp_ieee_underflow 0
		.amdhsa_exception_fp_ieee_inexact 0
		.amdhsa_exception_int_div_zero 0
	.end_amdhsa_kernel
	.section	.text._ZN7rocprim17ROCPRIM_400000_NS6detail17trampoline_kernelINS0_14default_configENS1_25partition_config_selectorILNS1_17partition_subalgoE0EsNS0_10empty_typeEbEEZZNS1_14partition_implILS5_0ELb0ES3_jN6thrust23THRUST_200600_302600_NS6detail15normal_iteratorINSA_10device_ptrIsEEEEPS6_SG_NS0_5tupleIJSF_SF_EEENSH_IJSG_SG_EEES6_PlJ7is_evenIsEEEE10hipError_tPvRmT3_T4_T5_T6_T7_T9_mT8_P12ihipStream_tbDpT10_ENKUlT_T0_E_clISt17integral_constantIbLb0EES16_EEDaS11_S12_EUlS11_E_NS1_11comp_targetILNS1_3genE10ELNS1_11target_archE1200ELNS1_3gpuE4ELNS1_3repE0EEENS1_30default_config_static_selectorELNS0_4arch9wavefront6targetE1EEEvT1_,"axG",@progbits,_ZN7rocprim17ROCPRIM_400000_NS6detail17trampoline_kernelINS0_14default_configENS1_25partition_config_selectorILNS1_17partition_subalgoE0EsNS0_10empty_typeEbEEZZNS1_14partition_implILS5_0ELb0ES3_jN6thrust23THRUST_200600_302600_NS6detail15normal_iteratorINSA_10device_ptrIsEEEEPS6_SG_NS0_5tupleIJSF_SF_EEENSH_IJSG_SG_EEES6_PlJ7is_evenIsEEEE10hipError_tPvRmT3_T4_T5_T6_T7_T9_mT8_P12ihipStream_tbDpT10_ENKUlT_T0_E_clISt17integral_constantIbLb0EES16_EEDaS11_S12_EUlS11_E_NS1_11comp_targetILNS1_3genE10ELNS1_11target_archE1200ELNS1_3gpuE4ELNS1_3repE0EEENS1_30default_config_static_selectorELNS0_4arch9wavefront6targetE1EEEvT1_,comdat
.Lfunc_end358:
	.size	_ZN7rocprim17ROCPRIM_400000_NS6detail17trampoline_kernelINS0_14default_configENS1_25partition_config_selectorILNS1_17partition_subalgoE0EsNS0_10empty_typeEbEEZZNS1_14partition_implILS5_0ELb0ES3_jN6thrust23THRUST_200600_302600_NS6detail15normal_iteratorINSA_10device_ptrIsEEEEPS6_SG_NS0_5tupleIJSF_SF_EEENSH_IJSG_SG_EEES6_PlJ7is_evenIsEEEE10hipError_tPvRmT3_T4_T5_T6_T7_T9_mT8_P12ihipStream_tbDpT10_ENKUlT_T0_E_clISt17integral_constantIbLb0EES16_EEDaS11_S12_EUlS11_E_NS1_11comp_targetILNS1_3genE10ELNS1_11target_archE1200ELNS1_3gpuE4ELNS1_3repE0EEENS1_30default_config_static_selectorELNS0_4arch9wavefront6targetE1EEEvT1_, .Lfunc_end358-_ZN7rocprim17ROCPRIM_400000_NS6detail17trampoline_kernelINS0_14default_configENS1_25partition_config_selectorILNS1_17partition_subalgoE0EsNS0_10empty_typeEbEEZZNS1_14partition_implILS5_0ELb0ES3_jN6thrust23THRUST_200600_302600_NS6detail15normal_iteratorINSA_10device_ptrIsEEEEPS6_SG_NS0_5tupleIJSF_SF_EEENSH_IJSG_SG_EEES6_PlJ7is_evenIsEEEE10hipError_tPvRmT3_T4_T5_T6_T7_T9_mT8_P12ihipStream_tbDpT10_ENKUlT_T0_E_clISt17integral_constantIbLb0EES16_EEDaS11_S12_EUlS11_E_NS1_11comp_targetILNS1_3genE10ELNS1_11target_archE1200ELNS1_3gpuE4ELNS1_3repE0EEENS1_30default_config_static_selectorELNS0_4arch9wavefront6targetE1EEEvT1_
                                        ; -- End function
	.section	.AMDGPU.csdata,"",@progbits
; Kernel info:
; codeLenInByte = 0
; NumSgprs: 4
; NumVgprs: 0
; NumAgprs: 0
; TotalNumVgprs: 0
; ScratchSize: 0
; MemoryBound: 0
; FloatMode: 240
; IeeeMode: 1
; LDSByteSize: 0 bytes/workgroup (compile time only)
; SGPRBlocks: 0
; VGPRBlocks: 0
; NumSGPRsForWavesPerEU: 4
; NumVGPRsForWavesPerEU: 1
; AccumOffset: 4
; Occupancy: 8
; WaveLimiterHint : 0
; COMPUTE_PGM_RSRC2:SCRATCH_EN: 0
; COMPUTE_PGM_RSRC2:USER_SGPR: 6
; COMPUTE_PGM_RSRC2:TRAP_HANDLER: 0
; COMPUTE_PGM_RSRC2:TGID_X_EN: 1
; COMPUTE_PGM_RSRC2:TGID_Y_EN: 0
; COMPUTE_PGM_RSRC2:TGID_Z_EN: 0
; COMPUTE_PGM_RSRC2:TIDIG_COMP_CNT: 0
; COMPUTE_PGM_RSRC3_GFX90A:ACCUM_OFFSET: 0
; COMPUTE_PGM_RSRC3_GFX90A:TG_SPLIT: 0
	.section	.text._ZN7rocprim17ROCPRIM_400000_NS6detail17trampoline_kernelINS0_14default_configENS1_25partition_config_selectorILNS1_17partition_subalgoE0EsNS0_10empty_typeEbEEZZNS1_14partition_implILS5_0ELb0ES3_jN6thrust23THRUST_200600_302600_NS6detail15normal_iteratorINSA_10device_ptrIsEEEEPS6_SG_NS0_5tupleIJSF_SF_EEENSH_IJSG_SG_EEES6_PlJ7is_evenIsEEEE10hipError_tPvRmT3_T4_T5_T6_T7_T9_mT8_P12ihipStream_tbDpT10_ENKUlT_T0_E_clISt17integral_constantIbLb0EES16_EEDaS11_S12_EUlS11_E_NS1_11comp_targetILNS1_3genE9ELNS1_11target_archE1100ELNS1_3gpuE3ELNS1_3repE0EEENS1_30default_config_static_selectorELNS0_4arch9wavefront6targetE1EEEvT1_,"axG",@progbits,_ZN7rocprim17ROCPRIM_400000_NS6detail17trampoline_kernelINS0_14default_configENS1_25partition_config_selectorILNS1_17partition_subalgoE0EsNS0_10empty_typeEbEEZZNS1_14partition_implILS5_0ELb0ES3_jN6thrust23THRUST_200600_302600_NS6detail15normal_iteratorINSA_10device_ptrIsEEEEPS6_SG_NS0_5tupleIJSF_SF_EEENSH_IJSG_SG_EEES6_PlJ7is_evenIsEEEE10hipError_tPvRmT3_T4_T5_T6_T7_T9_mT8_P12ihipStream_tbDpT10_ENKUlT_T0_E_clISt17integral_constantIbLb0EES16_EEDaS11_S12_EUlS11_E_NS1_11comp_targetILNS1_3genE9ELNS1_11target_archE1100ELNS1_3gpuE3ELNS1_3repE0EEENS1_30default_config_static_selectorELNS0_4arch9wavefront6targetE1EEEvT1_,comdat
	.protected	_ZN7rocprim17ROCPRIM_400000_NS6detail17trampoline_kernelINS0_14default_configENS1_25partition_config_selectorILNS1_17partition_subalgoE0EsNS0_10empty_typeEbEEZZNS1_14partition_implILS5_0ELb0ES3_jN6thrust23THRUST_200600_302600_NS6detail15normal_iteratorINSA_10device_ptrIsEEEEPS6_SG_NS0_5tupleIJSF_SF_EEENSH_IJSG_SG_EEES6_PlJ7is_evenIsEEEE10hipError_tPvRmT3_T4_T5_T6_T7_T9_mT8_P12ihipStream_tbDpT10_ENKUlT_T0_E_clISt17integral_constantIbLb0EES16_EEDaS11_S12_EUlS11_E_NS1_11comp_targetILNS1_3genE9ELNS1_11target_archE1100ELNS1_3gpuE3ELNS1_3repE0EEENS1_30default_config_static_selectorELNS0_4arch9wavefront6targetE1EEEvT1_ ; -- Begin function _ZN7rocprim17ROCPRIM_400000_NS6detail17trampoline_kernelINS0_14default_configENS1_25partition_config_selectorILNS1_17partition_subalgoE0EsNS0_10empty_typeEbEEZZNS1_14partition_implILS5_0ELb0ES3_jN6thrust23THRUST_200600_302600_NS6detail15normal_iteratorINSA_10device_ptrIsEEEEPS6_SG_NS0_5tupleIJSF_SF_EEENSH_IJSG_SG_EEES6_PlJ7is_evenIsEEEE10hipError_tPvRmT3_T4_T5_T6_T7_T9_mT8_P12ihipStream_tbDpT10_ENKUlT_T0_E_clISt17integral_constantIbLb0EES16_EEDaS11_S12_EUlS11_E_NS1_11comp_targetILNS1_3genE9ELNS1_11target_archE1100ELNS1_3gpuE3ELNS1_3repE0EEENS1_30default_config_static_selectorELNS0_4arch9wavefront6targetE1EEEvT1_
	.globl	_ZN7rocprim17ROCPRIM_400000_NS6detail17trampoline_kernelINS0_14default_configENS1_25partition_config_selectorILNS1_17partition_subalgoE0EsNS0_10empty_typeEbEEZZNS1_14partition_implILS5_0ELb0ES3_jN6thrust23THRUST_200600_302600_NS6detail15normal_iteratorINSA_10device_ptrIsEEEEPS6_SG_NS0_5tupleIJSF_SF_EEENSH_IJSG_SG_EEES6_PlJ7is_evenIsEEEE10hipError_tPvRmT3_T4_T5_T6_T7_T9_mT8_P12ihipStream_tbDpT10_ENKUlT_T0_E_clISt17integral_constantIbLb0EES16_EEDaS11_S12_EUlS11_E_NS1_11comp_targetILNS1_3genE9ELNS1_11target_archE1100ELNS1_3gpuE3ELNS1_3repE0EEENS1_30default_config_static_selectorELNS0_4arch9wavefront6targetE1EEEvT1_
	.p2align	8
	.type	_ZN7rocprim17ROCPRIM_400000_NS6detail17trampoline_kernelINS0_14default_configENS1_25partition_config_selectorILNS1_17partition_subalgoE0EsNS0_10empty_typeEbEEZZNS1_14partition_implILS5_0ELb0ES3_jN6thrust23THRUST_200600_302600_NS6detail15normal_iteratorINSA_10device_ptrIsEEEEPS6_SG_NS0_5tupleIJSF_SF_EEENSH_IJSG_SG_EEES6_PlJ7is_evenIsEEEE10hipError_tPvRmT3_T4_T5_T6_T7_T9_mT8_P12ihipStream_tbDpT10_ENKUlT_T0_E_clISt17integral_constantIbLb0EES16_EEDaS11_S12_EUlS11_E_NS1_11comp_targetILNS1_3genE9ELNS1_11target_archE1100ELNS1_3gpuE3ELNS1_3repE0EEENS1_30default_config_static_selectorELNS0_4arch9wavefront6targetE1EEEvT1_,@function
_ZN7rocprim17ROCPRIM_400000_NS6detail17trampoline_kernelINS0_14default_configENS1_25partition_config_selectorILNS1_17partition_subalgoE0EsNS0_10empty_typeEbEEZZNS1_14partition_implILS5_0ELb0ES3_jN6thrust23THRUST_200600_302600_NS6detail15normal_iteratorINSA_10device_ptrIsEEEEPS6_SG_NS0_5tupleIJSF_SF_EEENSH_IJSG_SG_EEES6_PlJ7is_evenIsEEEE10hipError_tPvRmT3_T4_T5_T6_T7_T9_mT8_P12ihipStream_tbDpT10_ENKUlT_T0_E_clISt17integral_constantIbLb0EES16_EEDaS11_S12_EUlS11_E_NS1_11comp_targetILNS1_3genE9ELNS1_11target_archE1100ELNS1_3gpuE3ELNS1_3repE0EEENS1_30default_config_static_selectorELNS0_4arch9wavefront6targetE1EEEvT1_: ; @_ZN7rocprim17ROCPRIM_400000_NS6detail17trampoline_kernelINS0_14default_configENS1_25partition_config_selectorILNS1_17partition_subalgoE0EsNS0_10empty_typeEbEEZZNS1_14partition_implILS5_0ELb0ES3_jN6thrust23THRUST_200600_302600_NS6detail15normal_iteratorINSA_10device_ptrIsEEEEPS6_SG_NS0_5tupleIJSF_SF_EEENSH_IJSG_SG_EEES6_PlJ7is_evenIsEEEE10hipError_tPvRmT3_T4_T5_T6_T7_T9_mT8_P12ihipStream_tbDpT10_ENKUlT_T0_E_clISt17integral_constantIbLb0EES16_EEDaS11_S12_EUlS11_E_NS1_11comp_targetILNS1_3genE9ELNS1_11target_archE1100ELNS1_3gpuE3ELNS1_3repE0EEENS1_30default_config_static_selectorELNS0_4arch9wavefront6targetE1EEEvT1_
; %bb.0:
	.section	.rodata,"a",@progbits
	.p2align	6, 0x0
	.amdhsa_kernel _ZN7rocprim17ROCPRIM_400000_NS6detail17trampoline_kernelINS0_14default_configENS1_25partition_config_selectorILNS1_17partition_subalgoE0EsNS0_10empty_typeEbEEZZNS1_14partition_implILS5_0ELb0ES3_jN6thrust23THRUST_200600_302600_NS6detail15normal_iteratorINSA_10device_ptrIsEEEEPS6_SG_NS0_5tupleIJSF_SF_EEENSH_IJSG_SG_EEES6_PlJ7is_evenIsEEEE10hipError_tPvRmT3_T4_T5_T6_T7_T9_mT8_P12ihipStream_tbDpT10_ENKUlT_T0_E_clISt17integral_constantIbLb0EES16_EEDaS11_S12_EUlS11_E_NS1_11comp_targetILNS1_3genE9ELNS1_11target_archE1100ELNS1_3gpuE3ELNS1_3repE0EEENS1_30default_config_static_selectorELNS0_4arch9wavefront6targetE1EEEvT1_
		.amdhsa_group_segment_fixed_size 0
		.amdhsa_private_segment_fixed_size 0
		.amdhsa_kernarg_size 120
		.amdhsa_user_sgpr_count 6
		.amdhsa_user_sgpr_private_segment_buffer 1
		.amdhsa_user_sgpr_dispatch_ptr 0
		.amdhsa_user_sgpr_queue_ptr 0
		.amdhsa_user_sgpr_kernarg_segment_ptr 1
		.amdhsa_user_sgpr_dispatch_id 0
		.amdhsa_user_sgpr_flat_scratch_init 0
		.amdhsa_user_sgpr_kernarg_preload_length 0
		.amdhsa_user_sgpr_kernarg_preload_offset 0
		.amdhsa_user_sgpr_private_segment_size 0
		.amdhsa_uses_dynamic_stack 0
		.amdhsa_system_sgpr_private_segment_wavefront_offset 0
		.amdhsa_system_sgpr_workgroup_id_x 1
		.amdhsa_system_sgpr_workgroup_id_y 0
		.amdhsa_system_sgpr_workgroup_id_z 0
		.amdhsa_system_sgpr_workgroup_info 0
		.amdhsa_system_vgpr_workitem_id 0
		.amdhsa_next_free_vgpr 1
		.amdhsa_next_free_sgpr 0
		.amdhsa_accum_offset 4
		.amdhsa_reserve_vcc 0
		.amdhsa_reserve_flat_scratch 0
		.amdhsa_float_round_mode_32 0
		.amdhsa_float_round_mode_16_64 0
		.amdhsa_float_denorm_mode_32 3
		.amdhsa_float_denorm_mode_16_64 3
		.amdhsa_dx10_clamp 1
		.amdhsa_ieee_mode 1
		.amdhsa_fp16_overflow 0
		.amdhsa_tg_split 0
		.amdhsa_exception_fp_ieee_invalid_op 0
		.amdhsa_exception_fp_denorm_src 0
		.amdhsa_exception_fp_ieee_div_zero 0
		.amdhsa_exception_fp_ieee_overflow 0
		.amdhsa_exception_fp_ieee_underflow 0
		.amdhsa_exception_fp_ieee_inexact 0
		.amdhsa_exception_int_div_zero 0
	.end_amdhsa_kernel
	.section	.text._ZN7rocprim17ROCPRIM_400000_NS6detail17trampoline_kernelINS0_14default_configENS1_25partition_config_selectorILNS1_17partition_subalgoE0EsNS0_10empty_typeEbEEZZNS1_14partition_implILS5_0ELb0ES3_jN6thrust23THRUST_200600_302600_NS6detail15normal_iteratorINSA_10device_ptrIsEEEEPS6_SG_NS0_5tupleIJSF_SF_EEENSH_IJSG_SG_EEES6_PlJ7is_evenIsEEEE10hipError_tPvRmT3_T4_T5_T6_T7_T9_mT8_P12ihipStream_tbDpT10_ENKUlT_T0_E_clISt17integral_constantIbLb0EES16_EEDaS11_S12_EUlS11_E_NS1_11comp_targetILNS1_3genE9ELNS1_11target_archE1100ELNS1_3gpuE3ELNS1_3repE0EEENS1_30default_config_static_selectorELNS0_4arch9wavefront6targetE1EEEvT1_,"axG",@progbits,_ZN7rocprim17ROCPRIM_400000_NS6detail17trampoline_kernelINS0_14default_configENS1_25partition_config_selectorILNS1_17partition_subalgoE0EsNS0_10empty_typeEbEEZZNS1_14partition_implILS5_0ELb0ES3_jN6thrust23THRUST_200600_302600_NS6detail15normal_iteratorINSA_10device_ptrIsEEEEPS6_SG_NS0_5tupleIJSF_SF_EEENSH_IJSG_SG_EEES6_PlJ7is_evenIsEEEE10hipError_tPvRmT3_T4_T5_T6_T7_T9_mT8_P12ihipStream_tbDpT10_ENKUlT_T0_E_clISt17integral_constantIbLb0EES16_EEDaS11_S12_EUlS11_E_NS1_11comp_targetILNS1_3genE9ELNS1_11target_archE1100ELNS1_3gpuE3ELNS1_3repE0EEENS1_30default_config_static_selectorELNS0_4arch9wavefront6targetE1EEEvT1_,comdat
.Lfunc_end359:
	.size	_ZN7rocprim17ROCPRIM_400000_NS6detail17trampoline_kernelINS0_14default_configENS1_25partition_config_selectorILNS1_17partition_subalgoE0EsNS0_10empty_typeEbEEZZNS1_14partition_implILS5_0ELb0ES3_jN6thrust23THRUST_200600_302600_NS6detail15normal_iteratorINSA_10device_ptrIsEEEEPS6_SG_NS0_5tupleIJSF_SF_EEENSH_IJSG_SG_EEES6_PlJ7is_evenIsEEEE10hipError_tPvRmT3_T4_T5_T6_T7_T9_mT8_P12ihipStream_tbDpT10_ENKUlT_T0_E_clISt17integral_constantIbLb0EES16_EEDaS11_S12_EUlS11_E_NS1_11comp_targetILNS1_3genE9ELNS1_11target_archE1100ELNS1_3gpuE3ELNS1_3repE0EEENS1_30default_config_static_selectorELNS0_4arch9wavefront6targetE1EEEvT1_, .Lfunc_end359-_ZN7rocprim17ROCPRIM_400000_NS6detail17trampoline_kernelINS0_14default_configENS1_25partition_config_selectorILNS1_17partition_subalgoE0EsNS0_10empty_typeEbEEZZNS1_14partition_implILS5_0ELb0ES3_jN6thrust23THRUST_200600_302600_NS6detail15normal_iteratorINSA_10device_ptrIsEEEEPS6_SG_NS0_5tupleIJSF_SF_EEENSH_IJSG_SG_EEES6_PlJ7is_evenIsEEEE10hipError_tPvRmT3_T4_T5_T6_T7_T9_mT8_P12ihipStream_tbDpT10_ENKUlT_T0_E_clISt17integral_constantIbLb0EES16_EEDaS11_S12_EUlS11_E_NS1_11comp_targetILNS1_3genE9ELNS1_11target_archE1100ELNS1_3gpuE3ELNS1_3repE0EEENS1_30default_config_static_selectorELNS0_4arch9wavefront6targetE1EEEvT1_
                                        ; -- End function
	.section	.AMDGPU.csdata,"",@progbits
; Kernel info:
; codeLenInByte = 0
; NumSgprs: 4
; NumVgprs: 0
; NumAgprs: 0
; TotalNumVgprs: 0
; ScratchSize: 0
; MemoryBound: 0
; FloatMode: 240
; IeeeMode: 1
; LDSByteSize: 0 bytes/workgroup (compile time only)
; SGPRBlocks: 0
; VGPRBlocks: 0
; NumSGPRsForWavesPerEU: 4
; NumVGPRsForWavesPerEU: 1
; AccumOffset: 4
; Occupancy: 8
; WaveLimiterHint : 0
; COMPUTE_PGM_RSRC2:SCRATCH_EN: 0
; COMPUTE_PGM_RSRC2:USER_SGPR: 6
; COMPUTE_PGM_RSRC2:TRAP_HANDLER: 0
; COMPUTE_PGM_RSRC2:TGID_X_EN: 1
; COMPUTE_PGM_RSRC2:TGID_Y_EN: 0
; COMPUTE_PGM_RSRC2:TGID_Z_EN: 0
; COMPUTE_PGM_RSRC2:TIDIG_COMP_CNT: 0
; COMPUTE_PGM_RSRC3_GFX90A:ACCUM_OFFSET: 0
; COMPUTE_PGM_RSRC3_GFX90A:TG_SPLIT: 0
	.section	.text._ZN7rocprim17ROCPRIM_400000_NS6detail17trampoline_kernelINS0_14default_configENS1_25partition_config_selectorILNS1_17partition_subalgoE0EsNS0_10empty_typeEbEEZZNS1_14partition_implILS5_0ELb0ES3_jN6thrust23THRUST_200600_302600_NS6detail15normal_iteratorINSA_10device_ptrIsEEEEPS6_SG_NS0_5tupleIJSF_SF_EEENSH_IJSG_SG_EEES6_PlJ7is_evenIsEEEE10hipError_tPvRmT3_T4_T5_T6_T7_T9_mT8_P12ihipStream_tbDpT10_ENKUlT_T0_E_clISt17integral_constantIbLb0EES16_EEDaS11_S12_EUlS11_E_NS1_11comp_targetILNS1_3genE8ELNS1_11target_archE1030ELNS1_3gpuE2ELNS1_3repE0EEENS1_30default_config_static_selectorELNS0_4arch9wavefront6targetE1EEEvT1_,"axG",@progbits,_ZN7rocprim17ROCPRIM_400000_NS6detail17trampoline_kernelINS0_14default_configENS1_25partition_config_selectorILNS1_17partition_subalgoE0EsNS0_10empty_typeEbEEZZNS1_14partition_implILS5_0ELb0ES3_jN6thrust23THRUST_200600_302600_NS6detail15normal_iteratorINSA_10device_ptrIsEEEEPS6_SG_NS0_5tupleIJSF_SF_EEENSH_IJSG_SG_EEES6_PlJ7is_evenIsEEEE10hipError_tPvRmT3_T4_T5_T6_T7_T9_mT8_P12ihipStream_tbDpT10_ENKUlT_T0_E_clISt17integral_constantIbLb0EES16_EEDaS11_S12_EUlS11_E_NS1_11comp_targetILNS1_3genE8ELNS1_11target_archE1030ELNS1_3gpuE2ELNS1_3repE0EEENS1_30default_config_static_selectorELNS0_4arch9wavefront6targetE1EEEvT1_,comdat
	.protected	_ZN7rocprim17ROCPRIM_400000_NS6detail17trampoline_kernelINS0_14default_configENS1_25partition_config_selectorILNS1_17partition_subalgoE0EsNS0_10empty_typeEbEEZZNS1_14partition_implILS5_0ELb0ES3_jN6thrust23THRUST_200600_302600_NS6detail15normal_iteratorINSA_10device_ptrIsEEEEPS6_SG_NS0_5tupleIJSF_SF_EEENSH_IJSG_SG_EEES6_PlJ7is_evenIsEEEE10hipError_tPvRmT3_T4_T5_T6_T7_T9_mT8_P12ihipStream_tbDpT10_ENKUlT_T0_E_clISt17integral_constantIbLb0EES16_EEDaS11_S12_EUlS11_E_NS1_11comp_targetILNS1_3genE8ELNS1_11target_archE1030ELNS1_3gpuE2ELNS1_3repE0EEENS1_30default_config_static_selectorELNS0_4arch9wavefront6targetE1EEEvT1_ ; -- Begin function _ZN7rocprim17ROCPRIM_400000_NS6detail17trampoline_kernelINS0_14default_configENS1_25partition_config_selectorILNS1_17partition_subalgoE0EsNS0_10empty_typeEbEEZZNS1_14partition_implILS5_0ELb0ES3_jN6thrust23THRUST_200600_302600_NS6detail15normal_iteratorINSA_10device_ptrIsEEEEPS6_SG_NS0_5tupleIJSF_SF_EEENSH_IJSG_SG_EEES6_PlJ7is_evenIsEEEE10hipError_tPvRmT3_T4_T5_T6_T7_T9_mT8_P12ihipStream_tbDpT10_ENKUlT_T0_E_clISt17integral_constantIbLb0EES16_EEDaS11_S12_EUlS11_E_NS1_11comp_targetILNS1_3genE8ELNS1_11target_archE1030ELNS1_3gpuE2ELNS1_3repE0EEENS1_30default_config_static_selectorELNS0_4arch9wavefront6targetE1EEEvT1_
	.globl	_ZN7rocprim17ROCPRIM_400000_NS6detail17trampoline_kernelINS0_14default_configENS1_25partition_config_selectorILNS1_17partition_subalgoE0EsNS0_10empty_typeEbEEZZNS1_14partition_implILS5_0ELb0ES3_jN6thrust23THRUST_200600_302600_NS6detail15normal_iteratorINSA_10device_ptrIsEEEEPS6_SG_NS0_5tupleIJSF_SF_EEENSH_IJSG_SG_EEES6_PlJ7is_evenIsEEEE10hipError_tPvRmT3_T4_T5_T6_T7_T9_mT8_P12ihipStream_tbDpT10_ENKUlT_T0_E_clISt17integral_constantIbLb0EES16_EEDaS11_S12_EUlS11_E_NS1_11comp_targetILNS1_3genE8ELNS1_11target_archE1030ELNS1_3gpuE2ELNS1_3repE0EEENS1_30default_config_static_selectorELNS0_4arch9wavefront6targetE1EEEvT1_
	.p2align	8
	.type	_ZN7rocprim17ROCPRIM_400000_NS6detail17trampoline_kernelINS0_14default_configENS1_25partition_config_selectorILNS1_17partition_subalgoE0EsNS0_10empty_typeEbEEZZNS1_14partition_implILS5_0ELb0ES3_jN6thrust23THRUST_200600_302600_NS6detail15normal_iteratorINSA_10device_ptrIsEEEEPS6_SG_NS0_5tupleIJSF_SF_EEENSH_IJSG_SG_EEES6_PlJ7is_evenIsEEEE10hipError_tPvRmT3_T4_T5_T6_T7_T9_mT8_P12ihipStream_tbDpT10_ENKUlT_T0_E_clISt17integral_constantIbLb0EES16_EEDaS11_S12_EUlS11_E_NS1_11comp_targetILNS1_3genE8ELNS1_11target_archE1030ELNS1_3gpuE2ELNS1_3repE0EEENS1_30default_config_static_selectorELNS0_4arch9wavefront6targetE1EEEvT1_,@function
_ZN7rocprim17ROCPRIM_400000_NS6detail17trampoline_kernelINS0_14default_configENS1_25partition_config_selectorILNS1_17partition_subalgoE0EsNS0_10empty_typeEbEEZZNS1_14partition_implILS5_0ELb0ES3_jN6thrust23THRUST_200600_302600_NS6detail15normal_iteratorINSA_10device_ptrIsEEEEPS6_SG_NS0_5tupleIJSF_SF_EEENSH_IJSG_SG_EEES6_PlJ7is_evenIsEEEE10hipError_tPvRmT3_T4_T5_T6_T7_T9_mT8_P12ihipStream_tbDpT10_ENKUlT_T0_E_clISt17integral_constantIbLb0EES16_EEDaS11_S12_EUlS11_E_NS1_11comp_targetILNS1_3genE8ELNS1_11target_archE1030ELNS1_3gpuE2ELNS1_3repE0EEENS1_30default_config_static_selectorELNS0_4arch9wavefront6targetE1EEEvT1_: ; @_ZN7rocprim17ROCPRIM_400000_NS6detail17trampoline_kernelINS0_14default_configENS1_25partition_config_selectorILNS1_17partition_subalgoE0EsNS0_10empty_typeEbEEZZNS1_14partition_implILS5_0ELb0ES3_jN6thrust23THRUST_200600_302600_NS6detail15normal_iteratorINSA_10device_ptrIsEEEEPS6_SG_NS0_5tupleIJSF_SF_EEENSH_IJSG_SG_EEES6_PlJ7is_evenIsEEEE10hipError_tPvRmT3_T4_T5_T6_T7_T9_mT8_P12ihipStream_tbDpT10_ENKUlT_T0_E_clISt17integral_constantIbLb0EES16_EEDaS11_S12_EUlS11_E_NS1_11comp_targetILNS1_3genE8ELNS1_11target_archE1030ELNS1_3gpuE2ELNS1_3repE0EEENS1_30default_config_static_selectorELNS0_4arch9wavefront6targetE1EEEvT1_
; %bb.0:
	.section	.rodata,"a",@progbits
	.p2align	6, 0x0
	.amdhsa_kernel _ZN7rocprim17ROCPRIM_400000_NS6detail17trampoline_kernelINS0_14default_configENS1_25partition_config_selectorILNS1_17partition_subalgoE0EsNS0_10empty_typeEbEEZZNS1_14partition_implILS5_0ELb0ES3_jN6thrust23THRUST_200600_302600_NS6detail15normal_iteratorINSA_10device_ptrIsEEEEPS6_SG_NS0_5tupleIJSF_SF_EEENSH_IJSG_SG_EEES6_PlJ7is_evenIsEEEE10hipError_tPvRmT3_T4_T5_T6_T7_T9_mT8_P12ihipStream_tbDpT10_ENKUlT_T0_E_clISt17integral_constantIbLb0EES16_EEDaS11_S12_EUlS11_E_NS1_11comp_targetILNS1_3genE8ELNS1_11target_archE1030ELNS1_3gpuE2ELNS1_3repE0EEENS1_30default_config_static_selectorELNS0_4arch9wavefront6targetE1EEEvT1_
		.amdhsa_group_segment_fixed_size 0
		.amdhsa_private_segment_fixed_size 0
		.amdhsa_kernarg_size 120
		.amdhsa_user_sgpr_count 6
		.amdhsa_user_sgpr_private_segment_buffer 1
		.amdhsa_user_sgpr_dispatch_ptr 0
		.amdhsa_user_sgpr_queue_ptr 0
		.amdhsa_user_sgpr_kernarg_segment_ptr 1
		.amdhsa_user_sgpr_dispatch_id 0
		.amdhsa_user_sgpr_flat_scratch_init 0
		.amdhsa_user_sgpr_kernarg_preload_length 0
		.amdhsa_user_sgpr_kernarg_preload_offset 0
		.amdhsa_user_sgpr_private_segment_size 0
		.amdhsa_uses_dynamic_stack 0
		.amdhsa_system_sgpr_private_segment_wavefront_offset 0
		.amdhsa_system_sgpr_workgroup_id_x 1
		.amdhsa_system_sgpr_workgroup_id_y 0
		.amdhsa_system_sgpr_workgroup_id_z 0
		.amdhsa_system_sgpr_workgroup_info 0
		.amdhsa_system_vgpr_workitem_id 0
		.amdhsa_next_free_vgpr 1
		.amdhsa_next_free_sgpr 0
		.amdhsa_accum_offset 4
		.amdhsa_reserve_vcc 0
		.amdhsa_reserve_flat_scratch 0
		.amdhsa_float_round_mode_32 0
		.amdhsa_float_round_mode_16_64 0
		.amdhsa_float_denorm_mode_32 3
		.amdhsa_float_denorm_mode_16_64 3
		.amdhsa_dx10_clamp 1
		.amdhsa_ieee_mode 1
		.amdhsa_fp16_overflow 0
		.amdhsa_tg_split 0
		.amdhsa_exception_fp_ieee_invalid_op 0
		.amdhsa_exception_fp_denorm_src 0
		.amdhsa_exception_fp_ieee_div_zero 0
		.amdhsa_exception_fp_ieee_overflow 0
		.amdhsa_exception_fp_ieee_underflow 0
		.amdhsa_exception_fp_ieee_inexact 0
		.amdhsa_exception_int_div_zero 0
	.end_amdhsa_kernel
	.section	.text._ZN7rocprim17ROCPRIM_400000_NS6detail17trampoline_kernelINS0_14default_configENS1_25partition_config_selectorILNS1_17partition_subalgoE0EsNS0_10empty_typeEbEEZZNS1_14partition_implILS5_0ELb0ES3_jN6thrust23THRUST_200600_302600_NS6detail15normal_iteratorINSA_10device_ptrIsEEEEPS6_SG_NS0_5tupleIJSF_SF_EEENSH_IJSG_SG_EEES6_PlJ7is_evenIsEEEE10hipError_tPvRmT3_T4_T5_T6_T7_T9_mT8_P12ihipStream_tbDpT10_ENKUlT_T0_E_clISt17integral_constantIbLb0EES16_EEDaS11_S12_EUlS11_E_NS1_11comp_targetILNS1_3genE8ELNS1_11target_archE1030ELNS1_3gpuE2ELNS1_3repE0EEENS1_30default_config_static_selectorELNS0_4arch9wavefront6targetE1EEEvT1_,"axG",@progbits,_ZN7rocprim17ROCPRIM_400000_NS6detail17trampoline_kernelINS0_14default_configENS1_25partition_config_selectorILNS1_17partition_subalgoE0EsNS0_10empty_typeEbEEZZNS1_14partition_implILS5_0ELb0ES3_jN6thrust23THRUST_200600_302600_NS6detail15normal_iteratorINSA_10device_ptrIsEEEEPS6_SG_NS0_5tupleIJSF_SF_EEENSH_IJSG_SG_EEES6_PlJ7is_evenIsEEEE10hipError_tPvRmT3_T4_T5_T6_T7_T9_mT8_P12ihipStream_tbDpT10_ENKUlT_T0_E_clISt17integral_constantIbLb0EES16_EEDaS11_S12_EUlS11_E_NS1_11comp_targetILNS1_3genE8ELNS1_11target_archE1030ELNS1_3gpuE2ELNS1_3repE0EEENS1_30default_config_static_selectorELNS0_4arch9wavefront6targetE1EEEvT1_,comdat
.Lfunc_end360:
	.size	_ZN7rocprim17ROCPRIM_400000_NS6detail17trampoline_kernelINS0_14default_configENS1_25partition_config_selectorILNS1_17partition_subalgoE0EsNS0_10empty_typeEbEEZZNS1_14partition_implILS5_0ELb0ES3_jN6thrust23THRUST_200600_302600_NS6detail15normal_iteratorINSA_10device_ptrIsEEEEPS6_SG_NS0_5tupleIJSF_SF_EEENSH_IJSG_SG_EEES6_PlJ7is_evenIsEEEE10hipError_tPvRmT3_T4_T5_T6_T7_T9_mT8_P12ihipStream_tbDpT10_ENKUlT_T0_E_clISt17integral_constantIbLb0EES16_EEDaS11_S12_EUlS11_E_NS1_11comp_targetILNS1_3genE8ELNS1_11target_archE1030ELNS1_3gpuE2ELNS1_3repE0EEENS1_30default_config_static_selectorELNS0_4arch9wavefront6targetE1EEEvT1_, .Lfunc_end360-_ZN7rocprim17ROCPRIM_400000_NS6detail17trampoline_kernelINS0_14default_configENS1_25partition_config_selectorILNS1_17partition_subalgoE0EsNS0_10empty_typeEbEEZZNS1_14partition_implILS5_0ELb0ES3_jN6thrust23THRUST_200600_302600_NS6detail15normal_iteratorINSA_10device_ptrIsEEEEPS6_SG_NS0_5tupleIJSF_SF_EEENSH_IJSG_SG_EEES6_PlJ7is_evenIsEEEE10hipError_tPvRmT3_T4_T5_T6_T7_T9_mT8_P12ihipStream_tbDpT10_ENKUlT_T0_E_clISt17integral_constantIbLb0EES16_EEDaS11_S12_EUlS11_E_NS1_11comp_targetILNS1_3genE8ELNS1_11target_archE1030ELNS1_3gpuE2ELNS1_3repE0EEENS1_30default_config_static_selectorELNS0_4arch9wavefront6targetE1EEEvT1_
                                        ; -- End function
	.section	.AMDGPU.csdata,"",@progbits
; Kernel info:
; codeLenInByte = 0
; NumSgprs: 4
; NumVgprs: 0
; NumAgprs: 0
; TotalNumVgprs: 0
; ScratchSize: 0
; MemoryBound: 0
; FloatMode: 240
; IeeeMode: 1
; LDSByteSize: 0 bytes/workgroup (compile time only)
; SGPRBlocks: 0
; VGPRBlocks: 0
; NumSGPRsForWavesPerEU: 4
; NumVGPRsForWavesPerEU: 1
; AccumOffset: 4
; Occupancy: 8
; WaveLimiterHint : 0
; COMPUTE_PGM_RSRC2:SCRATCH_EN: 0
; COMPUTE_PGM_RSRC2:USER_SGPR: 6
; COMPUTE_PGM_RSRC2:TRAP_HANDLER: 0
; COMPUTE_PGM_RSRC2:TGID_X_EN: 1
; COMPUTE_PGM_RSRC2:TGID_Y_EN: 0
; COMPUTE_PGM_RSRC2:TGID_Z_EN: 0
; COMPUTE_PGM_RSRC2:TIDIG_COMP_CNT: 0
; COMPUTE_PGM_RSRC3_GFX90A:ACCUM_OFFSET: 0
; COMPUTE_PGM_RSRC3_GFX90A:TG_SPLIT: 0
	.section	.text._ZN7rocprim17ROCPRIM_400000_NS6detail17trampoline_kernelINS0_14default_configENS1_25partition_config_selectorILNS1_17partition_subalgoE0EsNS0_10empty_typeEbEEZZNS1_14partition_implILS5_0ELb0ES3_jN6thrust23THRUST_200600_302600_NS6detail15normal_iteratorINSA_10device_ptrIsEEEEPS6_SG_NS0_5tupleIJSF_SF_EEENSH_IJSG_SG_EEES6_PlJ7is_evenIsEEEE10hipError_tPvRmT3_T4_T5_T6_T7_T9_mT8_P12ihipStream_tbDpT10_ENKUlT_T0_E_clISt17integral_constantIbLb1EES16_EEDaS11_S12_EUlS11_E_NS1_11comp_targetILNS1_3genE0ELNS1_11target_archE4294967295ELNS1_3gpuE0ELNS1_3repE0EEENS1_30default_config_static_selectorELNS0_4arch9wavefront6targetE1EEEvT1_,"axG",@progbits,_ZN7rocprim17ROCPRIM_400000_NS6detail17trampoline_kernelINS0_14default_configENS1_25partition_config_selectorILNS1_17partition_subalgoE0EsNS0_10empty_typeEbEEZZNS1_14partition_implILS5_0ELb0ES3_jN6thrust23THRUST_200600_302600_NS6detail15normal_iteratorINSA_10device_ptrIsEEEEPS6_SG_NS0_5tupleIJSF_SF_EEENSH_IJSG_SG_EEES6_PlJ7is_evenIsEEEE10hipError_tPvRmT3_T4_T5_T6_T7_T9_mT8_P12ihipStream_tbDpT10_ENKUlT_T0_E_clISt17integral_constantIbLb1EES16_EEDaS11_S12_EUlS11_E_NS1_11comp_targetILNS1_3genE0ELNS1_11target_archE4294967295ELNS1_3gpuE0ELNS1_3repE0EEENS1_30default_config_static_selectorELNS0_4arch9wavefront6targetE1EEEvT1_,comdat
	.protected	_ZN7rocprim17ROCPRIM_400000_NS6detail17trampoline_kernelINS0_14default_configENS1_25partition_config_selectorILNS1_17partition_subalgoE0EsNS0_10empty_typeEbEEZZNS1_14partition_implILS5_0ELb0ES3_jN6thrust23THRUST_200600_302600_NS6detail15normal_iteratorINSA_10device_ptrIsEEEEPS6_SG_NS0_5tupleIJSF_SF_EEENSH_IJSG_SG_EEES6_PlJ7is_evenIsEEEE10hipError_tPvRmT3_T4_T5_T6_T7_T9_mT8_P12ihipStream_tbDpT10_ENKUlT_T0_E_clISt17integral_constantIbLb1EES16_EEDaS11_S12_EUlS11_E_NS1_11comp_targetILNS1_3genE0ELNS1_11target_archE4294967295ELNS1_3gpuE0ELNS1_3repE0EEENS1_30default_config_static_selectorELNS0_4arch9wavefront6targetE1EEEvT1_ ; -- Begin function _ZN7rocprim17ROCPRIM_400000_NS6detail17trampoline_kernelINS0_14default_configENS1_25partition_config_selectorILNS1_17partition_subalgoE0EsNS0_10empty_typeEbEEZZNS1_14partition_implILS5_0ELb0ES3_jN6thrust23THRUST_200600_302600_NS6detail15normal_iteratorINSA_10device_ptrIsEEEEPS6_SG_NS0_5tupleIJSF_SF_EEENSH_IJSG_SG_EEES6_PlJ7is_evenIsEEEE10hipError_tPvRmT3_T4_T5_T6_T7_T9_mT8_P12ihipStream_tbDpT10_ENKUlT_T0_E_clISt17integral_constantIbLb1EES16_EEDaS11_S12_EUlS11_E_NS1_11comp_targetILNS1_3genE0ELNS1_11target_archE4294967295ELNS1_3gpuE0ELNS1_3repE0EEENS1_30default_config_static_selectorELNS0_4arch9wavefront6targetE1EEEvT1_
	.globl	_ZN7rocprim17ROCPRIM_400000_NS6detail17trampoline_kernelINS0_14default_configENS1_25partition_config_selectorILNS1_17partition_subalgoE0EsNS0_10empty_typeEbEEZZNS1_14partition_implILS5_0ELb0ES3_jN6thrust23THRUST_200600_302600_NS6detail15normal_iteratorINSA_10device_ptrIsEEEEPS6_SG_NS0_5tupleIJSF_SF_EEENSH_IJSG_SG_EEES6_PlJ7is_evenIsEEEE10hipError_tPvRmT3_T4_T5_T6_T7_T9_mT8_P12ihipStream_tbDpT10_ENKUlT_T0_E_clISt17integral_constantIbLb1EES16_EEDaS11_S12_EUlS11_E_NS1_11comp_targetILNS1_3genE0ELNS1_11target_archE4294967295ELNS1_3gpuE0ELNS1_3repE0EEENS1_30default_config_static_selectorELNS0_4arch9wavefront6targetE1EEEvT1_
	.p2align	8
	.type	_ZN7rocprim17ROCPRIM_400000_NS6detail17trampoline_kernelINS0_14default_configENS1_25partition_config_selectorILNS1_17partition_subalgoE0EsNS0_10empty_typeEbEEZZNS1_14partition_implILS5_0ELb0ES3_jN6thrust23THRUST_200600_302600_NS6detail15normal_iteratorINSA_10device_ptrIsEEEEPS6_SG_NS0_5tupleIJSF_SF_EEENSH_IJSG_SG_EEES6_PlJ7is_evenIsEEEE10hipError_tPvRmT3_T4_T5_T6_T7_T9_mT8_P12ihipStream_tbDpT10_ENKUlT_T0_E_clISt17integral_constantIbLb1EES16_EEDaS11_S12_EUlS11_E_NS1_11comp_targetILNS1_3genE0ELNS1_11target_archE4294967295ELNS1_3gpuE0ELNS1_3repE0EEENS1_30default_config_static_selectorELNS0_4arch9wavefront6targetE1EEEvT1_,@function
_ZN7rocprim17ROCPRIM_400000_NS6detail17trampoline_kernelINS0_14default_configENS1_25partition_config_selectorILNS1_17partition_subalgoE0EsNS0_10empty_typeEbEEZZNS1_14partition_implILS5_0ELb0ES3_jN6thrust23THRUST_200600_302600_NS6detail15normal_iteratorINSA_10device_ptrIsEEEEPS6_SG_NS0_5tupleIJSF_SF_EEENSH_IJSG_SG_EEES6_PlJ7is_evenIsEEEE10hipError_tPvRmT3_T4_T5_T6_T7_T9_mT8_P12ihipStream_tbDpT10_ENKUlT_T0_E_clISt17integral_constantIbLb1EES16_EEDaS11_S12_EUlS11_E_NS1_11comp_targetILNS1_3genE0ELNS1_11target_archE4294967295ELNS1_3gpuE0ELNS1_3repE0EEENS1_30default_config_static_selectorELNS0_4arch9wavefront6targetE1EEEvT1_: ; @_ZN7rocprim17ROCPRIM_400000_NS6detail17trampoline_kernelINS0_14default_configENS1_25partition_config_selectorILNS1_17partition_subalgoE0EsNS0_10empty_typeEbEEZZNS1_14partition_implILS5_0ELb0ES3_jN6thrust23THRUST_200600_302600_NS6detail15normal_iteratorINSA_10device_ptrIsEEEEPS6_SG_NS0_5tupleIJSF_SF_EEENSH_IJSG_SG_EEES6_PlJ7is_evenIsEEEE10hipError_tPvRmT3_T4_T5_T6_T7_T9_mT8_P12ihipStream_tbDpT10_ENKUlT_T0_E_clISt17integral_constantIbLb1EES16_EEDaS11_S12_EUlS11_E_NS1_11comp_targetILNS1_3genE0ELNS1_11target_archE4294967295ELNS1_3gpuE0ELNS1_3repE0EEENS1_30default_config_static_selectorELNS0_4arch9wavefront6targetE1EEEvT1_
; %bb.0:
	.section	.rodata,"a",@progbits
	.p2align	6, 0x0
	.amdhsa_kernel _ZN7rocprim17ROCPRIM_400000_NS6detail17trampoline_kernelINS0_14default_configENS1_25partition_config_selectorILNS1_17partition_subalgoE0EsNS0_10empty_typeEbEEZZNS1_14partition_implILS5_0ELb0ES3_jN6thrust23THRUST_200600_302600_NS6detail15normal_iteratorINSA_10device_ptrIsEEEEPS6_SG_NS0_5tupleIJSF_SF_EEENSH_IJSG_SG_EEES6_PlJ7is_evenIsEEEE10hipError_tPvRmT3_T4_T5_T6_T7_T9_mT8_P12ihipStream_tbDpT10_ENKUlT_T0_E_clISt17integral_constantIbLb1EES16_EEDaS11_S12_EUlS11_E_NS1_11comp_targetILNS1_3genE0ELNS1_11target_archE4294967295ELNS1_3gpuE0ELNS1_3repE0EEENS1_30default_config_static_selectorELNS0_4arch9wavefront6targetE1EEEvT1_
		.amdhsa_group_segment_fixed_size 0
		.amdhsa_private_segment_fixed_size 0
		.amdhsa_kernarg_size 136
		.amdhsa_user_sgpr_count 6
		.amdhsa_user_sgpr_private_segment_buffer 1
		.amdhsa_user_sgpr_dispatch_ptr 0
		.amdhsa_user_sgpr_queue_ptr 0
		.amdhsa_user_sgpr_kernarg_segment_ptr 1
		.amdhsa_user_sgpr_dispatch_id 0
		.amdhsa_user_sgpr_flat_scratch_init 0
		.amdhsa_user_sgpr_kernarg_preload_length 0
		.amdhsa_user_sgpr_kernarg_preload_offset 0
		.amdhsa_user_sgpr_private_segment_size 0
		.amdhsa_uses_dynamic_stack 0
		.amdhsa_system_sgpr_private_segment_wavefront_offset 0
		.amdhsa_system_sgpr_workgroup_id_x 1
		.amdhsa_system_sgpr_workgroup_id_y 0
		.amdhsa_system_sgpr_workgroup_id_z 0
		.amdhsa_system_sgpr_workgroup_info 0
		.amdhsa_system_vgpr_workitem_id 0
		.amdhsa_next_free_vgpr 1
		.amdhsa_next_free_sgpr 0
		.amdhsa_accum_offset 4
		.amdhsa_reserve_vcc 0
		.amdhsa_reserve_flat_scratch 0
		.amdhsa_float_round_mode_32 0
		.amdhsa_float_round_mode_16_64 0
		.amdhsa_float_denorm_mode_32 3
		.amdhsa_float_denorm_mode_16_64 3
		.amdhsa_dx10_clamp 1
		.amdhsa_ieee_mode 1
		.amdhsa_fp16_overflow 0
		.amdhsa_tg_split 0
		.amdhsa_exception_fp_ieee_invalid_op 0
		.amdhsa_exception_fp_denorm_src 0
		.amdhsa_exception_fp_ieee_div_zero 0
		.amdhsa_exception_fp_ieee_overflow 0
		.amdhsa_exception_fp_ieee_underflow 0
		.amdhsa_exception_fp_ieee_inexact 0
		.amdhsa_exception_int_div_zero 0
	.end_amdhsa_kernel
	.section	.text._ZN7rocprim17ROCPRIM_400000_NS6detail17trampoline_kernelINS0_14default_configENS1_25partition_config_selectorILNS1_17partition_subalgoE0EsNS0_10empty_typeEbEEZZNS1_14partition_implILS5_0ELb0ES3_jN6thrust23THRUST_200600_302600_NS6detail15normal_iteratorINSA_10device_ptrIsEEEEPS6_SG_NS0_5tupleIJSF_SF_EEENSH_IJSG_SG_EEES6_PlJ7is_evenIsEEEE10hipError_tPvRmT3_T4_T5_T6_T7_T9_mT8_P12ihipStream_tbDpT10_ENKUlT_T0_E_clISt17integral_constantIbLb1EES16_EEDaS11_S12_EUlS11_E_NS1_11comp_targetILNS1_3genE0ELNS1_11target_archE4294967295ELNS1_3gpuE0ELNS1_3repE0EEENS1_30default_config_static_selectorELNS0_4arch9wavefront6targetE1EEEvT1_,"axG",@progbits,_ZN7rocprim17ROCPRIM_400000_NS6detail17trampoline_kernelINS0_14default_configENS1_25partition_config_selectorILNS1_17partition_subalgoE0EsNS0_10empty_typeEbEEZZNS1_14partition_implILS5_0ELb0ES3_jN6thrust23THRUST_200600_302600_NS6detail15normal_iteratorINSA_10device_ptrIsEEEEPS6_SG_NS0_5tupleIJSF_SF_EEENSH_IJSG_SG_EEES6_PlJ7is_evenIsEEEE10hipError_tPvRmT3_T4_T5_T6_T7_T9_mT8_P12ihipStream_tbDpT10_ENKUlT_T0_E_clISt17integral_constantIbLb1EES16_EEDaS11_S12_EUlS11_E_NS1_11comp_targetILNS1_3genE0ELNS1_11target_archE4294967295ELNS1_3gpuE0ELNS1_3repE0EEENS1_30default_config_static_selectorELNS0_4arch9wavefront6targetE1EEEvT1_,comdat
.Lfunc_end361:
	.size	_ZN7rocprim17ROCPRIM_400000_NS6detail17trampoline_kernelINS0_14default_configENS1_25partition_config_selectorILNS1_17partition_subalgoE0EsNS0_10empty_typeEbEEZZNS1_14partition_implILS5_0ELb0ES3_jN6thrust23THRUST_200600_302600_NS6detail15normal_iteratorINSA_10device_ptrIsEEEEPS6_SG_NS0_5tupleIJSF_SF_EEENSH_IJSG_SG_EEES6_PlJ7is_evenIsEEEE10hipError_tPvRmT3_T4_T5_T6_T7_T9_mT8_P12ihipStream_tbDpT10_ENKUlT_T0_E_clISt17integral_constantIbLb1EES16_EEDaS11_S12_EUlS11_E_NS1_11comp_targetILNS1_3genE0ELNS1_11target_archE4294967295ELNS1_3gpuE0ELNS1_3repE0EEENS1_30default_config_static_selectorELNS0_4arch9wavefront6targetE1EEEvT1_, .Lfunc_end361-_ZN7rocprim17ROCPRIM_400000_NS6detail17trampoline_kernelINS0_14default_configENS1_25partition_config_selectorILNS1_17partition_subalgoE0EsNS0_10empty_typeEbEEZZNS1_14partition_implILS5_0ELb0ES3_jN6thrust23THRUST_200600_302600_NS6detail15normal_iteratorINSA_10device_ptrIsEEEEPS6_SG_NS0_5tupleIJSF_SF_EEENSH_IJSG_SG_EEES6_PlJ7is_evenIsEEEE10hipError_tPvRmT3_T4_T5_T6_T7_T9_mT8_P12ihipStream_tbDpT10_ENKUlT_T0_E_clISt17integral_constantIbLb1EES16_EEDaS11_S12_EUlS11_E_NS1_11comp_targetILNS1_3genE0ELNS1_11target_archE4294967295ELNS1_3gpuE0ELNS1_3repE0EEENS1_30default_config_static_selectorELNS0_4arch9wavefront6targetE1EEEvT1_
                                        ; -- End function
	.section	.AMDGPU.csdata,"",@progbits
; Kernel info:
; codeLenInByte = 0
; NumSgprs: 4
; NumVgprs: 0
; NumAgprs: 0
; TotalNumVgprs: 0
; ScratchSize: 0
; MemoryBound: 0
; FloatMode: 240
; IeeeMode: 1
; LDSByteSize: 0 bytes/workgroup (compile time only)
; SGPRBlocks: 0
; VGPRBlocks: 0
; NumSGPRsForWavesPerEU: 4
; NumVGPRsForWavesPerEU: 1
; AccumOffset: 4
; Occupancy: 8
; WaveLimiterHint : 0
; COMPUTE_PGM_RSRC2:SCRATCH_EN: 0
; COMPUTE_PGM_RSRC2:USER_SGPR: 6
; COMPUTE_PGM_RSRC2:TRAP_HANDLER: 0
; COMPUTE_PGM_RSRC2:TGID_X_EN: 1
; COMPUTE_PGM_RSRC2:TGID_Y_EN: 0
; COMPUTE_PGM_RSRC2:TGID_Z_EN: 0
; COMPUTE_PGM_RSRC2:TIDIG_COMP_CNT: 0
; COMPUTE_PGM_RSRC3_GFX90A:ACCUM_OFFSET: 0
; COMPUTE_PGM_RSRC3_GFX90A:TG_SPLIT: 0
	.section	.text._ZN7rocprim17ROCPRIM_400000_NS6detail17trampoline_kernelINS0_14default_configENS1_25partition_config_selectorILNS1_17partition_subalgoE0EsNS0_10empty_typeEbEEZZNS1_14partition_implILS5_0ELb0ES3_jN6thrust23THRUST_200600_302600_NS6detail15normal_iteratorINSA_10device_ptrIsEEEEPS6_SG_NS0_5tupleIJSF_SF_EEENSH_IJSG_SG_EEES6_PlJ7is_evenIsEEEE10hipError_tPvRmT3_T4_T5_T6_T7_T9_mT8_P12ihipStream_tbDpT10_ENKUlT_T0_E_clISt17integral_constantIbLb1EES16_EEDaS11_S12_EUlS11_E_NS1_11comp_targetILNS1_3genE5ELNS1_11target_archE942ELNS1_3gpuE9ELNS1_3repE0EEENS1_30default_config_static_selectorELNS0_4arch9wavefront6targetE1EEEvT1_,"axG",@progbits,_ZN7rocprim17ROCPRIM_400000_NS6detail17trampoline_kernelINS0_14default_configENS1_25partition_config_selectorILNS1_17partition_subalgoE0EsNS0_10empty_typeEbEEZZNS1_14partition_implILS5_0ELb0ES3_jN6thrust23THRUST_200600_302600_NS6detail15normal_iteratorINSA_10device_ptrIsEEEEPS6_SG_NS0_5tupleIJSF_SF_EEENSH_IJSG_SG_EEES6_PlJ7is_evenIsEEEE10hipError_tPvRmT3_T4_T5_T6_T7_T9_mT8_P12ihipStream_tbDpT10_ENKUlT_T0_E_clISt17integral_constantIbLb1EES16_EEDaS11_S12_EUlS11_E_NS1_11comp_targetILNS1_3genE5ELNS1_11target_archE942ELNS1_3gpuE9ELNS1_3repE0EEENS1_30default_config_static_selectorELNS0_4arch9wavefront6targetE1EEEvT1_,comdat
	.protected	_ZN7rocprim17ROCPRIM_400000_NS6detail17trampoline_kernelINS0_14default_configENS1_25partition_config_selectorILNS1_17partition_subalgoE0EsNS0_10empty_typeEbEEZZNS1_14partition_implILS5_0ELb0ES3_jN6thrust23THRUST_200600_302600_NS6detail15normal_iteratorINSA_10device_ptrIsEEEEPS6_SG_NS0_5tupleIJSF_SF_EEENSH_IJSG_SG_EEES6_PlJ7is_evenIsEEEE10hipError_tPvRmT3_T4_T5_T6_T7_T9_mT8_P12ihipStream_tbDpT10_ENKUlT_T0_E_clISt17integral_constantIbLb1EES16_EEDaS11_S12_EUlS11_E_NS1_11comp_targetILNS1_3genE5ELNS1_11target_archE942ELNS1_3gpuE9ELNS1_3repE0EEENS1_30default_config_static_selectorELNS0_4arch9wavefront6targetE1EEEvT1_ ; -- Begin function _ZN7rocprim17ROCPRIM_400000_NS6detail17trampoline_kernelINS0_14default_configENS1_25partition_config_selectorILNS1_17partition_subalgoE0EsNS0_10empty_typeEbEEZZNS1_14partition_implILS5_0ELb0ES3_jN6thrust23THRUST_200600_302600_NS6detail15normal_iteratorINSA_10device_ptrIsEEEEPS6_SG_NS0_5tupleIJSF_SF_EEENSH_IJSG_SG_EEES6_PlJ7is_evenIsEEEE10hipError_tPvRmT3_T4_T5_T6_T7_T9_mT8_P12ihipStream_tbDpT10_ENKUlT_T0_E_clISt17integral_constantIbLb1EES16_EEDaS11_S12_EUlS11_E_NS1_11comp_targetILNS1_3genE5ELNS1_11target_archE942ELNS1_3gpuE9ELNS1_3repE0EEENS1_30default_config_static_selectorELNS0_4arch9wavefront6targetE1EEEvT1_
	.globl	_ZN7rocprim17ROCPRIM_400000_NS6detail17trampoline_kernelINS0_14default_configENS1_25partition_config_selectorILNS1_17partition_subalgoE0EsNS0_10empty_typeEbEEZZNS1_14partition_implILS5_0ELb0ES3_jN6thrust23THRUST_200600_302600_NS6detail15normal_iteratorINSA_10device_ptrIsEEEEPS6_SG_NS0_5tupleIJSF_SF_EEENSH_IJSG_SG_EEES6_PlJ7is_evenIsEEEE10hipError_tPvRmT3_T4_T5_T6_T7_T9_mT8_P12ihipStream_tbDpT10_ENKUlT_T0_E_clISt17integral_constantIbLb1EES16_EEDaS11_S12_EUlS11_E_NS1_11comp_targetILNS1_3genE5ELNS1_11target_archE942ELNS1_3gpuE9ELNS1_3repE0EEENS1_30default_config_static_selectorELNS0_4arch9wavefront6targetE1EEEvT1_
	.p2align	8
	.type	_ZN7rocprim17ROCPRIM_400000_NS6detail17trampoline_kernelINS0_14default_configENS1_25partition_config_selectorILNS1_17partition_subalgoE0EsNS0_10empty_typeEbEEZZNS1_14partition_implILS5_0ELb0ES3_jN6thrust23THRUST_200600_302600_NS6detail15normal_iteratorINSA_10device_ptrIsEEEEPS6_SG_NS0_5tupleIJSF_SF_EEENSH_IJSG_SG_EEES6_PlJ7is_evenIsEEEE10hipError_tPvRmT3_T4_T5_T6_T7_T9_mT8_P12ihipStream_tbDpT10_ENKUlT_T0_E_clISt17integral_constantIbLb1EES16_EEDaS11_S12_EUlS11_E_NS1_11comp_targetILNS1_3genE5ELNS1_11target_archE942ELNS1_3gpuE9ELNS1_3repE0EEENS1_30default_config_static_selectorELNS0_4arch9wavefront6targetE1EEEvT1_,@function
_ZN7rocprim17ROCPRIM_400000_NS6detail17trampoline_kernelINS0_14default_configENS1_25partition_config_selectorILNS1_17partition_subalgoE0EsNS0_10empty_typeEbEEZZNS1_14partition_implILS5_0ELb0ES3_jN6thrust23THRUST_200600_302600_NS6detail15normal_iteratorINSA_10device_ptrIsEEEEPS6_SG_NS0_5tupleIJSF_SF_EEENSH_IJSG_SG_EEES6_PlJ7is_evenIsEEEE10hipError_tPvRmT3_T4_T5_T6_T7_T9_mT8_P12ihipStream_tbDpT10_ENKUlT_T0_E_clISt17integral_constantIbLb1EES16_EEDaS11_S12_EUlS11_E_NS1_11comp_targetILNS1_3genE5ELNS1_11target_archE942ELNS1_3gpuE9ELNS1_3repE0EEENS1_30default_config_static_selectorELNS0_4arch9wavefront6targetE1EEEvT1_: ; @_ZN7rocprim17ROCPRIM_400000_NS6detail17trampoline_kernelINS0_14default_configENS1_25partition_config_selectorILNS1_17partition_subalgoE0EsNS0_10empty_typeEbEEZZNS1_14partition_implILS5_0ELb0ES3_jN6thrust23THRUST_200600_302600_NS6detail15normal_iteratorINSA_10device_ptrIsEEEEPS6_SG_NS0_5tupleIJSF_SF_EEENSH_IJSG_SG_EEES6_PlJ7is_evenIsEEEE10hipError_tPvRmT3_T4_T5_T6_T7_T9_mT8_P12ihipStream_tbDpT10_ENKUlT_T0_E_clISt17integral_constantIbLb1EES16_EEDaS11_S12_EUlS11_E_NS1_11comp_targetILNS1_3genE5ELNS1_11target_archE942ELNS1_3gpuE9ELNS1_3repE0EEENS1_30default_config_static_selectorELNS0_4arch9wavefront6targetE1EEEvT1_
; %bb.0:
	.section	.rodata,"a",@progbits
	.p2align	6, 0x0
	.amdhsa_kernel _ZN7rocprim17ROCPRIM_400000_NS6detail17trampoline_kernelINS0_14default_configENS1_25partition_config_selectorILNS1_17partition_subalgoE0EsNS0_10empty_typeEbEEZZNS1_14partition_implILS5_0ELb0ES3_jN6thrust23THRUST_200600_302600_NS6detail15normal_iteratorINSA_10device_ptrIsEEEEPS6_SG_NS0_5tupleIJSF_SF_EEENSH_IJSG_SG_EEES6_PlJ7is_evenIsEEEE10hipError_tPvRmT3_T4_T5_T6_T7_T9_mT8_P12ihipStream_tbDpT10_ENKUlT_T0_E_clISt17integral_constantIbLb1EES16_EEDaS11_S12_EUlS11_E_NS1_11comp_targetILNS1_3genE5ELNS1_11target_archE942ELNS1_3gpuE9ELNS1_3repE0EEENS1_30default_config_static_selectorELNS0_4arch9wavefront6targetE1EEEvT1_
		.amdhsa_group_segment_fixed_size 0
		.amdhsa_private_segment_fixed_size 0
		.amdhsa_kernarg_size 136
		.amdhsa_user_sgpr_count 6
		.amdhsa_user_sgpr_private_segment_buffer 1
		.amdhsa_user_sgpr_dispatch_ptr 0
		.amdhsa_user_sgpr_queue_ptr 0
		.amdhsa_user_sgpr_kernarg_segment_ptr 1
		.amdhsa_user_sgpr_dispatch_id 0
		.amdhsa_user_sgpr_flat_scratch_init 0
		.amdhsa_user_sgpr_kernarg_preload_length 0
		.amdhsa_user_sgpr_kernarg_preload_offset 0
		.amdhsa_user_sgpr_private_segment_size 0
		.amdhsa_uses_dynamic_stack 0
		.amdhsa_system_sgpr_private_segment_wavefront_offset 0
		.amdhsa_system_sgpr_workgroup_id_x 1
		.amdhsa_system_sgpr_workgroup_id_y 0
		.amdhsa_system_sgpr_workgroup_id_z 0
		.amdhsa_system_sgpr_workgroup_info 0
		.amdhsa_system_vgpr_workitem_id 0
		.amdhsa_next_free_vgpr 1
		.amdhsa_next_free_sgpr 0
		.amdhsa_accum_offset 4
		.amdhsa_reserve_vcc 0
		.amdhsa_reserve_flat_scratch 0
		.amdhsa_float_round_mode_32 0
		.amdhsa_float_round_mode_16_64 0
		.amdhsa_float_denorm_mode_32 3
		.amdhsa_float_denorm_mode_16_64 3
		.amdhsa_dx10_clamp 1
		.amdhsa_ieee_mode 1
		.amdhsa_fp16_overflow 0
		.amdhsa_tg_split 0
		.amdhsa_exception_fp_ieee_invalid_op 0
		.amdhsa_exception_fp_denorm_src 0
		.amdhsa_exception_fp_ieee_div_zero 0
		.amdhsa_exception_fp_ieee_overflow 0
		.amdhsa_exception_fp_ieee_underflow 0
		.amdhsa_exception_fp_ieee_inexact 0
		.amdhsa_exception_int_div_zero 0
	.end_amdhsa_kernel
	.section	.text._ZN7rocprim17ROCPRIM_400000_NS6detail17trampoline_kernelINS0_14default_configENS1_25partition_config_selectorILNS1_17partition_subalgoE0EsNS0_10empty_typeEbEEZZNS1_14partition_implILS5_0ELb0ES3_jN6thrust23THRUST_200600_302600_NS6detail15normal_iteratorINSA_10device_ptrIsEEEEPS6_SG_NS0_5tupleIJSF_SF_EEENSH_IJSG_SG_EEES6_PlJ7is_evenIsEEEE10hipError_tPvRmT3_T4_T5_T6_T7_T9_mT8_P12ihipStream_tbDpT10_ENKUlT_T0_E_clISt17integral_constantIbLb1EES16_EEDaS11_S12_EUlS11_E_NS1_11comp_targetILNS1_3genE5ELNS1_11target_archE942ELNS1_3gpuE9ELNS1_3repE0EEENS1_30default_config_static_selectorELNS0_4arch9wavefront6targetE1EEEvT1_,"axG",@progbits,_ZN7rocprim17ROCPRIM_400000_NS6detail17trampoline_kernelINS0_14default_configENS1_25partition_config_selectorILNS1_17partition_subalgoE0EsNS0_10empty_typeEbEEZZNS1_14partition_implILS5_0ELb0ES3_jN6thrust23THRUST_200600_302600_NS6detail15normal_iteratorINSA_10device_ptrIsEEEEPS6_SG_NS0_5tupleIJSF_SF_EEENSH_IJSG_SG_EEES6_PlJ7is_evenIsEEEE10hipError_tPvRmT3_T4_T5_T6_T7_T9_mT8_P12ihipStream_tbDpT10_ENKUlT_T0_E_clISt17integral_constantIbLb1EES16_EEDaS11_S12_EUlS11_E_NS1_11comp_targetILNS1_3genE5ELNS1_11target_archE942ELNS1_3gpuE9ELNS1_3repE0EEENS1_30default_config_static_selectorELNS0_4arch9wavefront6targetE1EEEvT1_,comdat
.Lfunc_end362:
	.size	_ZN7rocprim17ROCPRIM_400000_NS6detail17trampoline_kernelINS0_14default_configENS1_25partition_config_selectorILNS1_17partition_subalgoE0EsNS0_10empty_typeEbEEZZNS1_14partition_implILS5_0ELb0ES3_jN6thrust23THRUST_200600_302600_NS6detail15normal_iteratorINSA_10device_ptrIsEEEEPS6_SG_NS0_5tupleIJSF_SF_EEENSH_IJSG_SG_EEES6_PlJ7is_evenIsEEEE10hipError_tPvRmT3_T4_T5_T6_T7_T9_mT8_P12ihipStream_tbDpT10_ENKUlT_T0_E_clISt17integral_constantIbLb1EES16_EEDaS11_S12_EUlS11_E_NS1_11comp_targetILNS1_3genE5ELNS1_11target_archE942ELNS1_3gpuE9ELNS1_3repE0EEENS1_30default_config_static_selectorELNS0_4arch9wavefront6targetE1EEEvT1_, .Lfunc_end362-_ZN7rocprim17ROCPRIM_400000_NS6detail17trampoline_kernelINS0_14default_configENS1_25partition_config_selectorILNS1_17partition_subalgoE0EsNS0_10empty_typeEbEEZZNS1_14partition_implILS5_0ELb0ES3_jN6thrust23THRUST_200600_302600_NS6detail15normal_iteratorINSA_10device_ptrIsEEEEPS6_SG_NS0_5tupleIJSF_SF_EEENSH_IJSG_SG_EEES6_PlJ7is_evenIsEEEE10hipError_tPvRmT3_T4_T5_T6_T7_T9_mT8_P12ihipStream_tbDpT10_ENKUlT_T0_E_clISt17integral_constantIbLb1EES16_EEDaS11_S12_EUlS11_E_NS1_11comp_targetILNS1_3genE5ELNS1_11target_archE942ELNS1_3gpuE9ELNS1_3repE0EEENS1_30default_config_static_selectorELNS0_4arch9wavefront6targetE1EEEvT1_
                                        ; -- End function
	.section	.AMDGPU.csdata,"",@progbits
; Kernel info:
; codeLenInByte = 0
; NumSgprs: 4
; NumVgprs: 0
; NumAgprs: 0
; TotalNumVgprs: 0
; ScratchSize: 0
; MemoryBound: 0
; FloatMode: 240
; IeeeMode: 1
; LDSByteSize: 0 bytes/workgroup (compile time only)
; SGPRBlocks: 0
; VGPRBlocks: 0
; NumSGPRsForWavesPerEU: 4
; NumVGPRsForWavesPerEU: 1
; AccumOffset: 4
; Occupancy: 8
; WaveLimiterHint : 0
; COMPUTE_PGM_RSRC2:SCRATCH_EN: 0
; COMPUTE_PGM_RSRC2:USER_SGPR: 6
; COMPUTE_PGM_RSRC2:TRAP_HANDLER: 0
; COMPUTE_PGM_RSRC2:TGID_X_EN: 1
; COMPUTE_PGM_RSRC2:TGID_Y_EN: 0
; COMPUTE_PGM_RSRC2:TGID_Z_EN: 0
; COMPUTE_PGM_RSRC2:TIDIG_COMP_CNT: 0
; COMPUTE_PGM_RSRC3_GFX90A:ACCUM_OFFSET: 0
; COMPUTE_PGM_RSRC3_GFX90A:TG_SPLIT: 0
	.section	.text._ZN7rocprim17ROCPRIM_400000_NS6detail17trampoline_kernelINS0_14default_configENS1_25partition_config_selectorILNS1_17partition_subalgoE0EsNS0_10empty_typeEbEEZZNS1_14partition_implILS5_0ELb0ES3_jN6thrust23THRUST_200600_302600_NS6detail15normal_iteratorINSA_10device_ptrIsEEEEPS6_SG_NS0_5tupleIJSF_SF_EEENSH_IJSG_SG_EEES6_PlJ7is_evenIsEEEE10hipError_tPvRmT3_T4_T5_T6_T7_T9_mT8_P12ihipStream_tbDpT10_ENKUlT_T0_E_clISt17integral_constantIbLb1EES16_EEDaS11_S12_EUlS11_E_NS1_11comp_targetILNS1_3genE4ELNS1_11target_archE910ELNS1_3gpuE8ELNS1_3repE0EEENS1_30default_config_static_selectorELNS0_4arch9wavefront6targetE1EEEvT1_,"axG",@progbits,_ZN7rocprim17ROCPRIM_400000_NS6detail17trampoline_kernelINS0_14default_configENS1_25partition_config_selectorILNS1_17partition_subalgoE0EsNS0_10empty_typeEbEEZZNS1_14partition_implILS5_0ELb0ES3_jN6thrust23THRUST_200600_302600_NS6detail15normal_iteratorINSA_10device_ptrIsEEEEPS6_SG_NS0_5tupleIJSF_SF_EEENSH_IJSG_SG_EEES6_PlJ7is_evenIsEEEE10hipError_tPvRmT3_T4_T5_T6_T7_T9_mT8_P12ihipStream_tbDpT10_ENKUlT_T0_E_clISt17integral_constantIbLb1EES16_EEDaS11_S12_EUlS11_E_NS1_11comp_targetILNS1_3genE4ELNS1_11target_archE910ELNS1_3gpuE8ELNS1_3repE0EEENS1_30default_config_static_selectorELNS0_4arch9wavefront6targetE1EEEvT1_,comdat
	.protected	_ZN7rocprim17ROCPRIM_400000_NS6detail17trampoline_kernelINS0_14default_configENS1_25partition_config_selectorILNS1_17partition_subalgoE0EsNS0_10empty_typeEbEEZZNS1_14partition_implILS5_0ELb0ES3_jN6thrust23THRUST_200600_302600_NS6detail15normal_iteratorINSA_10device_ptrIsEEEEPS6_SG_NS0_5tupleIJSF_SF_EEENSH_IJSG_SG_EEES6_PlJ7is_evenIsEEEE10hipError_tPvRmT3_T4_T5_T6_T7_T9_mT8_P12ihipStream_tbDpT10_ENKUlT_T0_E_clISt17integral_constantIbLb1EES16_EEDaS11_S12_EUlS11_E_NS1_11comp_targetILNS1_3genE4ELNS1_11target_archE910ELNS1_3gpuE8ELNS1_3repE0EEENS1_30default_config_static_selectorELNS0_4arch9wavefront6targetE1EEEvT1_ ; -- Begin function _ZN7rocprim17ROCPRIM_400000_NS6detail17trampoline_kernelINS0_14default_configENS1_25partition_config_selectorILNS1_17partition_subalgoE0EsNS0_10empty_typeEbEEZZNS1_14partition_implILS5_0ELb0ES3_jN6thrust23THRUST_200600_302600_NS6detail15normal_iteratorINSA_10device_ptrIsEEEEPS6_SG_NS0_5tupleIJSF_SF_EEENSH_IJSG_SG_EEES6_PlJ7is_evenIsEEEE10hipError_tPvRmT3_T4_T5_T6_T7_T9_mT8_P12ihipStream_tbDpT10_ENKUlT_T0_E_clISt17integral_constantIbLb1EES16_EEDaS11_S12_EUlS11_E_NS1_11comp_targetILNS1_3genE4ELNS1_11target_archE910ELNS1_3gpuE8ELNS1_3repE0EEENS1_30default_config_static_selectorELNS0_4arch9wavefront6targetE1EEEvT1_
	.globl	_ZN7rocprim17ROCPRIM_400000_NS6detail17trampoline_kernelINS0_14default_configENS1_25partition_config_selectorILNS1_17partition_subalgoE0EsNS0_10empty_typeEbEEZZNS1_14partition_implILS5_0ELb0ES3_jN6thrust23THRUST_200600_302600_NS6detail15normal_iteratorINSA_10device_ptrIsEEEEPS6_SG_NS0_5tupleIJSF_SF_EEENSH_IJSG_SG_EEES6_PlJ7is_evenIsEEEE10hipError_tPvRmT3_T4_T5_T6_T7_T9_mT8_P12ihipStream_tbDpT10_ENKUlT_T0_E_clISt17integral_constantIbLb1EES16_EEDaS11_S12_EUlS11_E_NS1_11comp_targetILNS1_3genE4ELNS1_11target_archE910ELNS1_3gpuE8ELNS1_3repE0EEENS1_30default_config_static_selectorELNS0_4arch9wavefront6targetE1EEEvT1_
	.p2align	8
	.type	_ZN7rocprim17ROCPRIM_400000_NS6detail17trampoline_kernelINS0_14default_configENS1_25partition_config_selectorILNS1_17partition_subalgoE0EsNS0_10empty_typeEbEEZZNS1_14partition_implILS5_0ELb0ES3_jN6thrust23THRUST_200600_302600_NS6detail15normal_iteratorINSA_10device_ptrIsEEEEPS6_SG_NS0_5tupleIJSF_SF_EEENSH_IJSG_SG_EEES6_PlJ7is_evenIsEEEE10hipError_tPvRmT3_T4_T5_T6_T7_T9_mT8_P12ihipStream_tbDpT10_ENKUlT_T0_E_clISt17integral_constantIbLb1EES16_EEDaS11_S12_EUlS11_E_NS1_11comp_targetILNS1_3genE4ELNS1_11target_archE910ELNS1_3gpuE8ELNS1_3repE0EEENS1_30default_config_static_selectorELNS0_4arch9wavefront6targetE1EEEvT1_,@function
_ZN7rocprim17ROCPRIM_400000_NS6detail17trampoline_kernelINS0_14default_configENS1_25partition_config_selectorILNS1_17partition_subalgoE0EsNS0_10empty_typeEbEEZZNS1_14partition_implILS5_0ELb0ES3_jN6thrust23THRUST_200600_302600_NS6detail15normal_iteratorINSA_10device_ptrIsEEEEPS6_SG_NS0_5tupleIJSF_SF_EEENSH_IJSG_SG_EEES6_PlJ7is_evenIsEEEE10hipError_tPvRmT3_T4_T5_T6_T7_T9_mT8_P12ihipStream_tbDpT10_ENKUlT_T0_E_clISt17integral_constantIbLb1EES16_EEDaS11_S12_EUlS11_E_NS1_11comp_targetILNS1_3genE4ELNS1_11target_archE910ELNS1_3gpuE8ELNS1_3repE0EEENS1_30default_config_static_selectorELNS0_4arch9wavefront6targetE1EEEvT1_: ; @_ZN7rocprim17ROCPRIM_400000_NS6detail17trampoline_kernelINS0_14default_configENS1_25partition_config_selectorILNS1_17partition_subalgoE0EsNS0_10empty_typeEbEEZZNS1_14partition_implILS5_0ELb0ES3_jN6thrust23THRUST_200600_302600_NS6detail15normal_iteratorINSA_10device_ptrIsEEEEPS6_SG_NS0_5tupleIJSF_SF_EEENSH_IJSG_SG_EEES6_PlJ7is_evenIsEEEE10hipError_tPvRmT3_T4_T5_T6_T7_T9_mT8_P12ihipStream_tbDpT10_ENKUlT_T0_E_clISt17integral_constantIbLb1EES16_EEDaS11_S12_EUlS11_E_NS1_11comp_targetILNS1_3genE4ELNS1_11target_archE910ELNS1_3gpuE8ELNS1_3repE0EEENS1_30default_config_static_selectorELNS0_4arch9wavefront6targetE1EEEvT1_
; %bb.0:
	s_load_dwordx2 s[2:3], s[4:5], 0x58
	s_load_dwordx4 s[20:23], s[4:5], 0x48
	s_load_dwordx2 s[34:35], s[4:5], 0x68
	v_cmp_eq_u32_e64 s[0:1], 0, v0
	s_and_saveexec_b64 s[6:7], s[0:1]
	s_cbranch_execz .LBB363_4
; %bb.1:
	s_mov_b64 s[10:11], exec
	v_mbcnt_lo_u32_b32 v1, s10, 0
	v_mbcnt_hi_u32_b32 v1, s11, v1
	v_cmp_eq_u32_e32 vcc, 0, v1
                                        ; implicit-def: $vgpr2
	s_and_saveexec_b64 s[8:9], vcc
	s_cbranch_execz .LBB363_3
; %bb.2:
	s_load_dwordx2 s[12:13], s[4:5], 0x78
	s_bcnt1_i32_b64 s10, s[10:11]
	v_mov_b32_e32 v2, 0
	v_mov_b32_e32 v3, s10
	s_waitcnt lgkmcnt(0)
	global_atomic_add v2, v2, v3, s[12:13] glc
.LBB363_3:
	s_or_b64 exec, exec, s[8:9]
	s_waitcnt vmcnt(0)
	v_readfirstlane_b32 s8, v2
	v_add_u32_e32 v1, s8, v1
	v_mov_b32_e32 v2, 0
	ds_write_b32 v2, v1
.LBB363_4:
	s_or_b64 exec, exec, s[6:7]
	v_mov_b32_e32 v3, 0
	s_load_dwordx4 s[28:31], s[4:5], 0x8
	s_load_dwordx4 s[24:27], s[4:5], 0x28
	s_load_dword s6, s[4:5], 0x70
	s_waitcnt lgkmcnt(0)
	s_barrier
	ds_read_b32 v1, v3
	s_waitcnt lgkmcnt(0)
	s_barrier
	global_load_dwordx2 v[14:15], v3, s[22:23]
	v_mov_b32_e32 v5, s3
	s_lshl_b64 s[4:5], s[30:31], 1
	s_movk_i32 s3, 0x1c00
	s_add_u32 s7, s28, s4
	v_mul_lo_u32 v2, v1, s3
	s_mul_i32 s3, s6, 0x1c00
	s_addc_u32 s8, s29, s5
	s_add_i32 s5, s3, s30
	s_sub_i32 s33, s2, s5
	s_add_i32 s4, s6, -1
	s_addk_i32 s33, 0x1c00
	v_mov_b32_e32 v4, s2
	s_add_u32 s2, s30, s3
	v_readfirstlane_b32 s40, v1
	s_addc_u32 s3, s31, 0
	s_cmp_eq_u32 s40, s4
	s_cselect_b64 s[22:23], -1, 0
	s_cmp_lg_u32 s40, s4
	v_cmp_lt_u64_e32 vcc, s[2:3], v[4:5]
	s_cselect_b64 s[2:3], -1, 0
	v_lshlrev_b64 v[16:17], 1, v[2:3]
	s_or_b64 s[4:5], vcc, s[2:3]
	v_mov_b32_e32 v1, s8
	v_add_co_u32_e32 v2, vcc, s7, v16
	v_addc_co_u32_e32 v3, vcc, v1, v17, vcc
	s_mov_b64 s[2:3], -1
	s_and_b64 vcc, exec, s[4:5]
	v_lshlrev_b32_e32 v1, 1, v0
	s_cbranch_vccz .LBB363_6
; %bb.5:
	v_add_co_u32_e32 v4, vcc, v2, v1
	v_addc_co_u32_e32 v5, vcc, 0, v3, vcc
	v_add_co_u32_e32 v6, vcc, 0x1000, v4
	v_addc_co_u32_e32 v7, vcc, 0, v5, vcc
	flat_load_ushort v8, v[4:5]
	flat_load_ushort v9, v[4:5] offset:512
	flat_load_ushort v10, v[4:5] offset:1024
	;; [unrolled: 1-line block ×7, first 2 shown]
	flat_load_ushort v20, v[6:7]
	flat_load_ushort v21, v[6:7] offset:512
	flat_load_ushort v22, v[6:7] offset:1024
	;; [unrolled: 1-line block ×7, first 2 shown]
	v_add_co_u32_e32 v6, vcc, 0x2000, v4
	v_addc_co_u32_e32 v7, vcc, 0, v5, vcc
	v_add_co_u32_e32 v4, vcc, 0x3000, v4
	v_addc_co_u32_e32 v5, vcc, 0, v5, vcc
	flat_load_ushort v28, v[6:7]
	flat_load_ushort v29, v[6:7] offset:512
	flat_load_ushort v30, v[6:7] offset:1024
	;; [unrolled: 1-line block ×7, first 2 shown]
	s_nop 0
	flat_load_ushort v6, v[4:5]
	flat_load_ushort v7, v[4:5] offset:512
	flat_load_ushort v36, v[4:5] offset:1024
	;; [unrolled: 1-line block ×3, first 2 shown]
	s_mov_b64 s[2:3], 0
	s_waitcnt vmcnt(0) lgkmcnt(0)
	ds_write_b16 v1, v8
	ds_write_b16 v1, v9 offset:512
	ds_write_b16 v1, v10 offset:1024
	;; [unrolled: 1-line block ×27, first 2 shown]
	s_waitcnt lgkmcnt(0)
	s_barrier
.LBB363_6:
	s_andn2_b64 vcc, exec, s[2:3]
	v_cmp_gt_u32_e64 s[2:3], s33, v0
	s_cbranch_vccnz .LBB363_64
; %bb.7:
                                        ; implicit-def: $vgpr4
	s_and_saveexec_b64 s[6:7], s[2:3]
	s_cbranch_execz .LBB363_9
; %bb.8:
	v_add_co_u32_e32 v4, vcc, v2, v1
	v_addc_co_u32_e32 v5, vcc, 0, v3, vcc
	flat_load_ushort v4, v[4:5]
.LBB363_9:
	s_or_b64 exec, exec, s[6:7]
	v_or_b32_e32 v5, 0x100, v0
	v_cmp_gt_u32_e32 vcc, s33, v5
                                        ; implicit-def: $vgpr5
	s_and_saveexec_b64 s[2:3], vcc
	s_cbranch_execz .LBB363_11
; %bb.10:
	v_add_co_u32_e32 v6, vcc, v2, v1
	v_addc_co_u32_e32 v7, vcc, 0, v3, vcc
	flat_load_ushort v5, v[6:7] offset:512
.LBB363_11:
	s_or_b64 exec, exec, s[2:3]
	v_or_b32_e32 v6, 0x200, v0
	v_cmp_gt_u32_e32 vcc, s33, v6
                                        ; implicit-def: $vgpr6
	s_and_saveexec_b64 s[2:3], vcc
	s_cbranch_execz .LBB363_13
; %bb.12:
	v_add_co_u32_e32 v6, vcc, v2, v1
	v_addc_co_u32_e32 v7, vcc, 0, v3, vcc
	flat_load_ushort v6, v[6:7] offset:1024
.LBB363_13:
	s_or_b64 exec, exec, s[2:3]
	v_or_b32_e32 v7, 0x300, v0
	v_cmp_gt_u32_e32 vcc, s33, v7
                                        ; implicit-def: $vgpr7
	s_and_saveexec_b64 s[2:3], vcc
	s_cbranch_execz .LBB363_15
; %bb.14:
	v_add_co_u32_e32 v8, vcc, v2, v1
	v_addc_co_u32_e32 v9, vcc, 0, v3, vcc
	flat_load_ushort v7, v[8:9] offset:1536
.LBB363_15:
	s_or_b64 exec, exec, s[2:3]
	v_or_b32_e32 v8, 0x400, v0
	v_cmp_gt_u32_e32 vcc, s33, v8
                                        ; implicit-def: $vgpr8
	s_and_saveexec_b64 s[2:3], vcc
	s_cbranch_execz .LBB363_17
; %bb.16:
	v_add_co_u32_e32 v8, vcc, v2, v1
	v_addc_co_u32_e32 v9, vcc, 0, v3, vcc
	flat_load_ushort v8, v[8:9] offset:2048
.LBB363_17:
	s_or_b64 exec, exec, s[2:3]
	v_or_b32_e32 v9, 0x500, v0
	v_cmp_gt_u32_e32 vcc, s33, v9
                                        ; implicit-def: $vgpr9
	s_and_saveexec_b64 s[2:3], vcc
	s_cbranch_execz .LBB363_19
; %bb.18:
	v_add_co_u32_e32 v10, vcc, v2, v1
	v_addc_co_u32_e32 v11, vcc, 0, v3, vcc
	flat_load_ushort v9, v[10:11] offset:2560
.LBB363_19:
	s_or_b64 exec, exec, s[2:3]
	v_or_b32_e32 v10, 0x600, v0
	v_cmp_gt_u32_e32 vcc, s33, v10
                                        ; implicit-def: $vgpr10
	s_and_saveexec_b64 s[2:3], vcc
	s_cbranch_execz .LBB363_21
; %bb.20:
	v_add_co_u32_e32 v10, vcc, v2, v1
	v_addc_co_u32_e32 v11, vcc, 0, v3, vcc
	flat_load_ushort v10, v[10:11] offset:3072
.LBB363_21:
	s_or_b64 exec, exec, s[2:3]
	v_or_b32_e32 v11, 0x700, v0
	v_cmp_gt_u32_e32 vcc, s33, v11
                                        ; implicit-def: $vgpr11
	s_and_saveexec_b64 s[2:3], vcc
	s_cbranch_execz .LBB363_23
; %bb.22:
	v_add_co_u32_e32 v12, vcc, v2, v1
	v_addc_co_u32_e32 v13, vcc, 0, v3, vcc
	flat_load_ushort v11, v[12:13] offset:3584
.LBB363_23:
	s_or_b64 exec, exec, s[2:3]
	v_or_b32_e32 v13, 0x800, v0
	v_cmp_gt_u32_e32 vcc, s33, v13
                                        ; implicit-def: $vgpr12
	s_and_saveexec_b64 s[2:3], vcc
	s_cbranch_execz .LBB363_25
; %bb.24:
	v_lshlrev_b32_e32 v12, 1, v13
	v_add_co_u32_e32 v12, vcc, v2, v12
	v_addc_co_u32_e32 v13, vcc, 0, v3, vcc
	flat_load_ushort v12, v[12:13]
.LBB363_25:
	s_or_b64 exec, exec, s[2:3]
	v_or_b32_e32 v18, 0x900, v0
	v_cmp_gt_u32_e32 vcc, s33, v18
                                        ; implicit-def: $vgpr13
	s_and_saveexec_b64 s[2:3], vcc
	s_cbranch_execz .LBB363_27
; %bb.26:
	v_lshlrev_b32_e32 v13, 1, v18
	v_add_co_u32_e32 v18, vcc, v2, v13
	v_addc_co_u32_e32 v19, vcc, 0, v3, vcc
	flat_load_ushort v13, v[18:19]
.LBB363_27:
	s_or_b64 exec, exec, s[2:3]
	v_or_b32_e32 v19, 0xa00, v0
	v_cmp_gt_u32_e32 vcc, s33, v19
                                        ; implicit-def: $vgpr18
	s_and_saveexec_b64 s[2:3], vcc
	s_cbranch_execz .LBB363_29
; %bb.28:
	v_lshlrev_b32_e32 v18, 1, v19
	v_add_co_u32_e32 v18, vcc, v2, v18
	v_addc_co_u32_e32 v19, vcc, 0, v3, vcc
	flat_load_ushort v18, v[18:19]
.LBB363_29:
	s_or_b64 exec, exec, s[2:3]
	v_or_b32_e32 v20, 0xb00, v0
	v_cmp_gt_u32_e32 vcc, s33, v20
                                        ; implicit-def: $vgpr19
	s_and_saveexec_b64 s[2:3], vcc
	s_cbranch_execz .LBB363_31
; %bb.30:
	v_lshlrev_b32_e32 v19, 1, v20
	v_add_co_u32_e32 v20, vcc, v2, v19
	v_addc_co_u32_e32 v21, vcc, 0, v3, vcc
	flat_load_ushort v19, v[20:21]
.LBB363_31:
	s_or_b64 exec, exec, s[2:3]
	v_or_b32_e32 v21, 0xc00, v0
	v_cmp_gt_u32_e32 vcc, s33, v21
                                        ; implicit-def: $vgpr20
	s_and_saveexec_b64 s[2:3], vcc
	s_cbranch_execz .LBB363_33
; %bb.32:
	v_lshlrev_b32_e32 v20, 1, v21
	v_add_co_u32_e32 v20, vcc, v2, v20
	v_addc_co_u32_e32 v21, vcc, 0, v3, vcc
	flat_load_ushort v20, v[20:21]
.LBB363_33:
	s_or_b64 exec, exec, s[2:3]
	v_or_b32_e32 v22, 0xd00, v0
	v_cmp_gt_u32_e32 vcc, s33, v22
                                        ; implicit-def: $vgpr21
	s_and_saveexec_b64 s[2:3], vcc
	s_cbranch_execz .LBB363_35
; %bb.34:
	v_lshlrev_b32_e32 v21, 1, v22
	v_add_co_u32_e32 v22, vcc, v2, v21
	v_addc_co_u32_e32 v23, vcc, 0, v3, vcc
	flat_load_ushort v21, v[22:23]
.LBB363_35:
	s_or_b64 exec, exec, s[2:3]
	v_or_b32_e32 v23, 0xe00, v0
	v_cmp_gt_u32_e32 vcc, s33, v23
                                        ; implicit-def: $vgpr22
	s_and_saveexec_b64 s[2:3], vcc
	s_cbranch_execz .LBB363_37
; %bb.36:
	v_lshlrev_b32_e32 v22, 1, v23
	v_add_co_u32_e32 v22, vcc, v2, v22
	v_addc_co_u32_e32 v23, vcc, 0, v3, vcc
	flat_load_ushort v22, v[22:23]
.LBB363_37:
	s_or_b64 exec, exec, s[2:3]
	v_or_b32_e32 v24, 0xf00, v0
	v_cmp_gt_u32_e32 vcc, s33, v24
                                        ; implicit-def: $vgpr23
	s_and_saveexec_b64 s[2:3], vcc
	s_cbranch_execz .LBB363_39
; %bb.38:
	v_lshlrev_b32_e32 v23, 1, v24
	v_add_co_u32_e32 v24, vcc, v2, v23
	v_addc_co_u32_e32 v25, vcc, 0, v3, vcc
	flat_load_ushort v23, v[24:25]
.LBB363_39:
	s_or_b64 exec, exec, s[2:3]
	v_or_b32_e32 v25, 0x1000, v0
	v_cmp_gt_u32_e32 vcc, s33, v25
                                        ; implicit-def: $vgpr24
	s_and_saveexec_b64 s[2:3], vcc
	s_cbranch_execz .LBB363_41
; %bb.40:
	v_lshlrev_b32_e32 v24, 1, v25
	v_add_co_u32_e32 v24, vcc, v2, v24
	v_addc_co_u32_e32 v25, vcc, 0, v3, vcc
	flat_load_ushort v24, v[24:25]
.LBB363_41:
	s_or_b64 exec, exec, s[2:3]
	v_or_b32_e32 v26, 0x1100, v0
	v_cmp_gt_u32_e32 vcc, s33, v26
                                        ; implicit-def: $vgpr25
	s_and_saveexec_b64 s[2:3], vcc
	s_cbranch_execz .LBB363_43
; %bb.42:
	v_lshlrev_b32_e32 v25, 1, v26
	v_add_co_u32_e32 v26, vcc, v2, v25
	v_addc_co_u32_e32 v27, vcc, 0, v3, vcc
	flat_load_ushort v25, v[26:27]
.LBB363_43:
	s_or_b64 exec, exec, s[2:3]
	v_or_b32_e32 v27, 0x1200, v0
	v_cmp_gt_u32_e32 vcc, s33, v27
                                        ; implicit-def: $vgpr26
	s_and_saveexec_b64 s[2:3], vcc
	s_cbranch_execz .LBB363_45
; %bb.44:
	v_lshlrev_b32_e32 v26, 1, v27
	v_add_co_u32_e32 v26, vcc, v2, v26
	v_addc_co_u32_e32 v27, vcc, 0, v3, vcc
	flat_load_ushort v26, v[26:27]
.LBB363_45:
	s_or_b64 exec, exec, s[2:3]
	v_or_b32_e32 v28, 0x1300, v0
	v_cmp_gt_u32_e32 vcc, s33, v28
                                        ; implicit-def: $vgpr27
	s_and_saveexec_b64 s[2:3], vcc
	s_cbranch_execz .LBB363_47
; %bb.46:
	v_lshlrev_b32_e32 v27, 1, v28
	v_add_co_u32_e32 v28, vcc, v2, v27
	v_addc_co_u32_e32 v29, vcc, 0, v3, vcc
	flat_load_ushort v27, v[28:29]
.LBB363_47:
	s_or_b64 exec, exec, s[2:3]
	v_or_b32_e32 v29, 0x1400, v0
	v_cmp_gt_u32_e32 vcc, s33, v29
                                        ; implicit-def: $vgpr28
	s_and_saveexec_b64 s[2:3], vcc
	s_cbranch_execz .LBB363_49
; %bb.48:
	v_lshlrev_b32_e32 v28, 1, v29
	v_add_co_u32_e32 v28, vcc, v2, v28
	v_addc_co_u32_e32 v29, vcc, 0, v3, vcc
	flat_load_ushort v28, v[28:29]
.LBB363_49:
	s_or_b64 exec, exec, s[2:3]
	v_or_b32_e32 v30, 0x1500, v0
	v_cmp_gt_u32_e32 vcc, s33, v30
                                        ; implicit-def: $vgpr29
	s_and_saveexec_b64 s[2:3], vcc
	s_cbranch_execz .LBB363_51
; %bb.50:
	v_lshlrev_b32_e32 v29, 1, v30
	v_add_co_u32_e32 v30, vcc, v2, v29
	v_addc_co_u32_e32 v31, vcc, 0, v3, vcc
	flat_load_ushort v29, v[30:31]
.LBB363_51:
	s_or_b64 exec, exec, s[2:3]
	v_or_b32_e32 v31, 0x1600, v0
	v_cmp_gt_u32_e32 vcc, s33, v31
                                        ; implicit-def: $vgpr30
	s_and_saveexec_b64 s[2:3], vcc
	s_cbranch_execz .LBB363_53
; %bb.52:
	v_lshlrev_b32_e32 v30, 1, v31
	v_add_co_u32_e32 v30, vcc, v2, v30
	v_addc_co_u32_e32 v31, vcc, 0, v3, vcc
	flat_load_ushort v30, v[30:31]
.LBB363_53:
	s_or_b64 exec, exec, s[2:3]
	v_or_b32_e32 v32, 0x1700, v0
	v_cmp_gt_u32_e32 vcc, s33, v32
                                        ; implicit-def: $vgpr31
	s_and_saveexec_b64 s[2:3], vcc
	s_cbranch_execz .LBB363_55
; %bb.54:
	v_lshlrev_b32_e32 v31, 1, v32
	v_add_co_u32_e32 v32, vcc, v2, v31
	v_addc_co_u32_e32 v33, vcc, 0, v3, vcc
	flat_load_ushort v31, v[32:33]
.LBB363_55:
	s_or_b64 exec, exec, s[2:3]
	v_or_b32_e32 v33, 0x1800, v0
	v_cmp_gt_u32_e32 vcc, s33, v33
                                        ; implicit-def: $vgpr32
	s_and_saveexec_b64 s[2:3], vcc
	s_cbranch_execz .LBB363_57
; %bb.56:
	v_lshlrev_b32_e32 v32, 1, v33
	v_add_co_u32_e32 v32, vcc, v2, v32
	v_addc_co_u32_e32 v33, vcc, 0, v3, vcc
	flat_load_ushort v32, v[32:33]
.LBB363_57:
	s_or_b64 exec, exec, s[2:3]
	v_or_b32_e32 v34, 0x1900, v0
	v_cmp_gt_u32_e32 vcc, s33, v34
                                        ; implicit-def: $vgpr33
	s_and_saveexec_b64 s[2:3], vcc
	s_cbranch_execz .LBB363_59
; %bb.58:
	v_lshlrev_b32_e32 v33, 1, v34
	v_add_co_u32_e32 v34, vcc, v2, v33
	v_addc_co_u32_e32 v35, vcc, 0, v3, vcc
	flat_load_ushort v33, v[34:35]
.LBB363_59:
	s_or_b64 exec, exec, s[2:3]
	v_or_b32_e32 v35, 0x1a00, v0
	v_cmp_gt_u32_e32 vcc, s33, v35
                                        ; implicit-def: $vgpr34
	s_and_saveexec_b64 s[2:3], vcc
	s_cbranch_execz .LBB363_61
; %bb.60:
	v_lshlrev_b32_e32 v34, 1, v35
	v_add_co_u32_e32 v34, vcc, v2, v34
	v_addc_co_u32_e32 v35, vcc, 0, v3, vcc
	flat_load_ushort v34, v[34:35]
.LBB363_61:
	s_or_b64 exec, exec, s[2:3]
	v_or_b32_e32 v36, 0x1b00, v0
	v_cmp_gt_u32_e32 vcc, s33, v36
                                        ; implicit-def: $vgpr35
	s_and_saveexec_b64 s[2:3], vcc
	s_cbranch_execz .LBB363_63
; %bb.62:
	v_lshlrev_b32_e32 v35, 1, v36
	v_add_co_u32_e32 v2, vcc, v2, v35
	v_addc_co_u32_e32 v3, vcc, 0, v3, vcc
	flat_load_ushort v35, v[2:3]
.LBB363_63:
	s_or_b64 exec, exec, s[2:3]
	s_waitcnt vmcnt(0) lgkmcnt(0)
	ds_write_b16 v1, v4
	ds_write_b16 v1, v5 offset:512
	ds_write_b16 v1, v6 offset:1024
	;; [unrolled: 1-line block ×27, first 2 shown]
	s_waitcnt lgkmcnt(0)
	s_barrier
.LBB363_64:
	v_mul_u32_u24_e32 v43, 28, v0
	v_lshlrev_b32_e32 v6, 1, v43
	ds_read_b64 v[18:19], v6 offset:48
	ds_read2_b64 v[2:5], v6 offset0:4 offset1:5
	ds_read2_b64 v[10:13], v6 offset1:1
	ds_read2_b64 v[6:9], v6 offset0:2 offset1:3
	v_cndmask_b32_e64 v20, 0, 1, s[4:5]
	s_waitcnt lgkmcnt(3)
	v_lshrrev_b32_e32 v31, 16, v18
	v_lshrrev_b32_e32 v30, 16, v19
	s_waitcnt lgkmcnt(2)
	v_lshrrev_b32_e32 v35, 16, v2
	v_lshrrev_b32_e32 v34, 16, v3
	v_lshrrev_b32_e32 v33, 16, v4
	v_lshrrev_b32_e32 v32, 16, v5
	s_waitcnt lgkmcnt(1)
	v_lshrrev_b32_e32 v44, 16, v10
	v_lshrrev_b32_e32 v42, 16, v11
	;; [unrolled: 5-line block ×3, first 2 shown]
	v_lshrrev_b32_e32 v37, 16, v8
	v_lshrrev_b32_e32 v36, 16, v9
	v_cmp_ne_u32_e64 s[2:3], 1, v20
	s_andn2_b64 vcc, exec, s[4:5]
	v_xor_b32_e32 v90, -1, v10
	v_xor_b32_e32 v89, -1, v44
	;; [unrolled: 1-line block ×28, first 2 shown]
	s_barrier
	s_cbranch_vccnz .LBB363_66
; %bb.65:
	v_and_b32_e32 v72, 1, v90
	v_and_b32_e32 v71, 1, v89
	;; [unrolled: 1-line block ×28, first 2 shown]
	s_cbranch_execz .LBB363_67
	s_branch .LBB363_68
.LBB363_66:
                                        ; implicit-def: $vgpr72
                                        ; implicit-def: $vgpr71
                                        ; implicit-def: $vgpr70
                                        ; implicit-def: $vgpr69
                                        ; implicit-def: $vgpr68
                                        ; implicit-def: $vgpr67
                                        ; implicit-def: $vgpr66
                                        ; implicit-def: $vgpr65
                                        ; implicit-def: $vgpr64
                                        ; implicit-def: $vgpr63
                                        ; implicit-def: $vgpr62
                                        ; implicit-def: $vgpr61
                                        ; implicit-def: $vgpr60
                                        ; implicit-def: $vgpr59
                                        ; implicit-def: $vgpr58
                                        ; implicit-def: $vgpr57
                                        ; implicit-def: $vgpr56
                                        ; implicit-def: $vgpr55
                                        ; implicit-def: $vgpr54
                                        ; implicit-def: $vgpr53
                                        ; implicit-def: $vgpr52
                                        ; implicit-def: $vgpr51
                                        ; implicit-def: $vgpr50
                                        ; implicit-def: $vgpr49
                                        ; implicit-def: $vgpr48
                                        ; implicit-def: $vgpr47
                                        ; implicit-def: $vgpr45
                                        ; implicit-def: $vgpr46
.LBB363_67:
	v_or_b32_e32 v54, 1, v43
	v_cmp_gt_u32_e32 vcc, s33, v43
	v_or_b32_e32 v55, 2, v43
	v_cndmask_b32_e64 v63, 0, 1, vcc
	v_cmp_gt_u32_e32 vcc, s33, v54
	v_or_b32_e32 v56, 3, v43
	v_cndmask_b32_e64 v54, 0, 1, vcc
	v_cmp_gt_u32_e32 vcc, s33, v55
	v_add_u32_e32 v57, 4, v43
	v_and_b32_e32 v71, v54, v89
	v_cndmask_b32_e64 v54, 0, 1, vcc
	v_cmp_gt_u32_e32 vcc, s33, v56
	v_add_u32_e32 v58, 5, v43
	v_and_b32_e32 v70, v54, v88
	;; [unrolled: 4-line block ×9, first 2 shown]
	v_and_b32_e32 v63, v54, v81
	v_cndmask_b32_e64 v54, 0, 1, vcc
	v_cmp_gt_u32_e32 vcc, s33, v92
	v_add_u32_e32 v94, 13, v43
	v_and_b32_e32 v62, v54, v80
	v_cndmask_b32_e64 v54, 0, 1, vcc
	v_cmp_gt_u32_e32 vcc, s33, v93
	v_add_u32_e32 v95, 14, v43
	;; [unrolled: 4-line block ×15, first 2 shown]
	v_and_b32_e32 v48, v24, v23
	v_cndmask_b32_e64 v23, 0, 1, vcc
	v_cmp_gt_u32_e32 vcc, s33, v45
	v_and_b32_e32 v47, v23, v22
	v_cndmask_b32_e64 v22, 0, 1, vcc
	v_cmp_gt_u32_e32 vcc, s33, v46
	v_and_b32_e32 v45, v22, v21
	v_cndmask_b32_e64 v21, 0, 1, vcc
	v_and_b32_e32 v46, v21, v20
.LBB363_68:
	v_and_b32_e32 v97, 0xff, v48
	v_and_b32_e32 v98, 0xff, v47
	v_add_u32_sdwa v20, v45, v46 dst_sel:DWORD dst_unused:UNUSED_PAD src0_sel:BYTE_0 src1_sel:BYTE_0
	v_and_b32_e32 v95, 0xff, v50
	v_and_b32_e32 v96, 0xff, v49
	v_add3_u32 v20, v20, v98, v97
	v_and_b32_e32 v93, 0xff, v52
	v_and_b32_e32 v94, 0xff, v51
	v_add3_u32 v20, v20, v96, v95
	v_and_b32_e32 v91, 0xff, v54
	v_and_b32_e32 v92, 0xff, v53
	v_add3_u32 v20, v20, v94, v93
	v_and_b32_e32 v89, 0xff, v56
	v_and_b32_e32 v90, 0xff, v55
	v_add3_u32 v20, v20, v92, v91
	v_and_b32_e32 v87, 0xff, v58
	v_and_b32_e32 v88, 0xff, v57
	v_add3_u32 v20, v20, v90, v89
	v_and_b32_e32 v85, 0xff, v60
	v_and_b32_e32 v86, 0xff, v59
	v_add3_u32 v20, v20, v88, v87
	v_and_b32_e32 v83, 0xff, v62
	v_and_b32_e32 v84, 0xff, v61
	v_add3_u32 v20, v20, v86, v85
	v_and_b32_e32 v81, 0xff, v64
	v_and_b32_e32 v82, 0xff, v63
	v_add3_u32 v20, v20, v84, v83
	v_and_b32_e32 v79, 0xff, v66
	v_and_b32_e32 v80, 0xff, v65
	v_add3_u32 v20, v20, v82, v81
	v_and_b32_e32 v77, 0xff, v68
	v_and_b32_e32 v78, 0xff, v67
	v_add3_u32 v20, v20, v80, v79
	v_and_b32_e32 v75, 0xff, v70
	v_and_b32_e32 v76, 0xff, v69
	v_add3_u32 v20, v20, v78, v77
	v_and_b32_e32 v73, 0xff, v72
	v_and_b32_e32 v74, 0xff, v71
	v_add3_u32 v20, v20, v76, v75
	v_add3_u32 v101, v20, v74, v73
	v_mbcnt_lo_u32_b32 v20, -1, 0
	v_mbcnt_hi_u32_b32 v99, -1, v20
	v_and_b32_e32 v20, 15, v99
	v_cmp_eq_u32_e64 s[16:17], 0, v20
	v_cmp_lt_u32_e64 s[14:15], 1, v20
	v_cmp_lt_u32_e64 s[12:13], 3, v20
	v_cmp_lt_u32_e64 s[10:11], 7, v20
	v_and_b32_e32 v20, 16, v99
	v_cmp_eq_u32_e64 s[8:9], 0, v20
	v_or_b32_e32 v20, 63, v0
	s_cmp_lg_u32 s40, 0
	v_cmp_lt_u32_e64 s[4:5], 31, v99
	v_lshrrev_b32_e32 v100, 6, v0
	v_cmp_eq_u32_e64 s[6:7], v20, v0
	s_cbranch_scc0 .LBB363_99
; %bb.69:
	v_mov_b32_dpp v20, v101 row_shr:1 row_mask:0xf bank_mask:0xf
	v_cndmask_b32_e64 v20, v20, 0, s[16:17]
	v_add_u32_e32 v20, v20, v101
	s_nop 1
	v_mov_b32_dpp v21, v20 row_shr:2 row_mask:0xf bank_mask:0xf
	v_cndmask_b32_e64 v21, 0, v21, s[14:15]
	v_add_u32_e32 v20, v20, v21
	s_nop 1
	;; [unrolled: 4-line block ×4, first 2 shown]
	v_mov_b32_dpp v21, v20 row_bcast:15 row_mask:0xf bank_mask:0xf
	v_cndmask_b32_e64 v21, v21, 0, s[8:9]
	v_add_u32_e32 v20, v20, v21
	s_nop 1
	v_mov_b32_dpp v21, v20 row_bcast:31 row_mask:0xf bank_mask:0xf
	v_cndmask_b32_e64 v21, 0, v21, s[4:5]
	v_add_u32_e32 v20, v20, v21
	s_and_saveexec_b64 s[18:19], s[6:7]
	s_cbranch_execz .LBB363_71
; %bb.70:
	v_lshlrev_b32_e32 v21, 2, v100
	ds_write_b32 v21, v20
.LBB363_71:
	s_or_b64 exec, exec, s[18:19]
	v_cmp_gt_u32_e32 vcc, 4, v0
	s_waitcnt lgkmcnt(0)
	s_barrier
	s_and_saveexec_b64 s[18:19], vcc
	s_cbranch_execz .LBB363_73
; %bb.72:
	v_lshlrev_b32_e32 v21, 2, v0
	ds_read_b32 v22, v21
	v_and_b32_e32 v23, 3, v99
	v_cmp_ne_u32_e32 vcc, 0, v23
	s_waitcnt lgkmcnt(0)
	v_mov_b32_dpp v24, v22 row_shr:1 row_mask:0xf bank_mask:0xf
	v_cndmask_b32_e32 v24, 0, v24, vcc
	v_add_u32_e32 v22, v24, v22
	v_cmp_lt_u32_e32 vcc, 1, v23
	s_nop 0
	v_mov_b32_dpp v24, v22 row_shr:2 row_mask:0xf bank_mask:0xf
	v_cndmask_b32_e32 v23, 0, v24, vcc
	v_add_u32_e32 v22, v22, v23
	ds_write_b32 v21, v22
.LBB363_73:
	s_or_b64 exec, exec, s[18:19]
	v_cmp_gt_u32_e32 vcc, 64, v0
	v_cmp_lt_u32_e64 s[18:19], 63, v0
	s_waitcnt lgkmcnt(0)
	s_barrier
	s_waitcnt lgkmcnt(0)
                                        ; implicit-def: $vgpr102
	s_and_saveexec_b64 s[28:29], s[18:19]
	s_cbranch_execz .LBB363_75
; %bb.74:
	v_lshl_add_u32 v21, v100, 2, -4
	ds_read_b32 v102, v21
	s_waitcnt lgkmcnt(0)
	v_add_u32_e32 v20, v102, v20
.LBB363_75:
	s_or_b64 exec, exec, s[28:29]
	v_add_u32_e32 v21, -1, v99
	v_and_b32_e32 v22, 64, v99
	v_cmp_lt_i32_e64 s[18:19], v21, v22
	v_cndmask_b32_e64 v21, v21, v99, s[18:19]
	v_lshlrev_b32_e32 v21, 2, v21
	ds_bpermute_b32 v103, v21, v20
	v_cmp_eq_u32_e64 s[18:19], 0, v99
	s_and_saveexec_b64 s[28:29], vcc
	s_cbranch_execz .LBB363_98
; %bb.76:
	v_mov_b32_e32 v29, 0
	ds_read_b32 v20, v29 offset:12
	s_and_saveexec_b64 s[36:37], s[18:19]
	s_cbranch_execz .LBB363_78
; %bb.77:
	s_add_i32 s38, s40, 64
	s_mov_b32 s39, 0
	s_lshl_b64 s[38:39], s[38:39], 3
	s_add_u32 s38, s34, s38
	v_mov_b32_e32 v21, 1
	s_addc_u32 s39, s35, s39
	s_waitcnt lgkmcnt(0)
	global_store_dwordx2 v29, v[20:21], s[38:39]
.LBB363_78:
	s_or_b64 exec, exec, s[36:37]
	v_xad_u32 v22, v99, -1, s40
	v_add_u32_e32 v28, 64, v22
	v_lshlrev_b64 v[24:25], 3, v[28:29]
	v_mov_b32_e32 v21, s35
	v_add_co_u32_e32 v24, vcc, s34, v24
	v_addc_co_u32_e32 v25, vcc, v21, v25, vcc
	global_load_dwordx2 v[26:27], v[24:25], off glc
	s_waitcnt vmcnt(0)
	v_cmp_eq_u16_sdwa s[38:39], v27, v29 src0_sel:BYTE_0 src1_sel:DWORD
	s_and_saveexec_b64 s[36:37], s[38:39]
	s_cbranch_execz .LBB363_84
; %bb.79:
	s_mov_b32 s41, 1
	s_mov_b64 s[38:39], 0
	v_mov_b32_e32 v21, 0
.LBB363_80:                             ; =>This Loop Header: Depth=1
                                        ;     Child Loop BB363_81 Depth 2
	s_max_u32 s42, s41, 1
.LBB363_81:                             ;   Parent Loop BB363_80 Depth=1
                                        ; =>  This Inner Loop Header: Depth=2
	s_add_i32 s42, s42, -1
	s_cmp_eq_u32 s42, 0
	s_sleep 1
	s_cbranch_scc0 .LBB363_81
; %bb.82:                               ;   in Loop: Header=BB363_80 Depth=1
	global_load_dwordx2 v[26:27], v[24:25], off glc
	s_cmp_lt_u32 s41, 32
	s_cselect_b64 s[42:43], -1, 0
	s_cmp_lg_u64 s[42:43], 0
	s_addc_u32 s41, s41, 0
	s_waitcnt vmcnt(0)
	v_cmp_ne_u16_sdwa s[42:43], v27, v21 src0_sel:BYTE_0 src1_sel:DWORD
	s_or_b64 s[38:39], s[42:43], s[38:39]
	s_andn2_b64 exec, exec, s[38:39]
	s_cbranch_execnz .LBB363_80
; %bb.83:
	s_or_b64 exec, exec, s[38:39]
.LBB363_84:
	s_or_b64 exec, exec, s[36:37]
	v_and_b32_e32 v105, 63, v99
	v_mov_b32_e32 v104, 2
	v_cmp_ne_u32_e32 vcc, 63, v105
	v_cmp_eq_u16_sdwa s[36:37], v27, v104 src0_sel:BYTE_0 src1_sel:DWORD
	v_lshlrev_b64 v[24:25], v99, -1
	v_addc_co_u32_e32 v28, vcc, 0, v99, vcc
	v_and_b32_e32 v21, s37, v25
	v_lshlrev_b32_e32 v106, 2, v28
	v_or_b32_e32 v21, 0x80000000, v21
	ds_bpermute_b32 v28, v106, v26
	v_and_b32_e32 v23, s36, v24
	v_ffbl_b32_e32 v21, v21
	v_add_u32_e32 v21, 32, v21
	v_ffbl_b32_e32 v23, v23
	v_min_u32_e32 v21, v23, v21
	v_cmp_lt_u32_e32 vcc, v105, v21
	s_waitcnt lgkmcnt(0)
	v_cndmask_b32_e32 v23, 0, v28, vcc
	v_cmp_gt_u32_e32 vcc, 62, v105
	v_add_u32_e32 v23, v23, v26
	v_cndmask_b32_e64 v26, 0, 1, vcc
	v_lshlrev_b32_e32 v26, 1, v26
	v_add_lshl_u32 v107, v26, v99, 2
	ds_bpermute_b32 v26, v107, v23
	v_add_u32_e32 v108, 2, v105
	v_cmp_le_u32_e32 vcc, v108, v21
	v_add_u32_e32 v110, 4, v105
	v_add_u32_e32 v112, 8, v105
	s_waitcnt lgkmcnt(0)
	v_cndmask_b32_e32 v26, 0, v26, vcc
	v_cmp_gt_u32_e32 vcc, 60, v105
	v_add_u32_e32 v23, v23, v26
	v_cndmask_b32_e64 v26, 0, 1, vcc
	v_lshlrev_b32_e32 v26, 2, v26
	v_add_lshl_u32 v109, v26, v99, 2
	ds_bpermute_b32 v26, v109, v23
	v_cmp_le_u32_e32 vcc, v110, v21
	v_add_u32_e32 v114, 16, v105
	v_add_u32_e32 v116, 32, v105
	s_waitcnt lgkmcnt(0)
	v_cndmask_b32_e32 v26, 0, v26, vcc
	v_cmp_gt_u32_e32 vcc, 56, v105
	v_add_u32_e32 v23, v23, v26
	v_cndmask_b32_e64 v26, 0, 1, vcc
	v_lshlrev_b32_e32 v26, 3, v26
	v_add_lshl_u32 v111, v26, v99, 2
	ds_bpermute_b32 v26, v111, v23
	v_cmp_le_u32_e32 vcc, v112, v21
	s_waitcnt lgkmcnt(0)
	v_cndmask_b32_e32 v26, 0, v26, vcc
	v_cmp_gt_u32_e32 vcc, 48, v105
	v_add_u32_e32 v23, v23, v26
	v_cndmask_b32_e64 v26, 0, 1, vcc
	v_lshlrev_b32_e32 v26, 4, v26
	v_add_lshl_u32 v113, v26, v99, 2
	ds_bpermute_b32 v26, v113, v23
	v_cmp_le_u32_e32 vcc, v114, v21
	;; [unrolled: 9-line block ×3, first 2 shown]
	s_waitcnt lgkmcnt(0)
	v_cndmask_b32_e32 v21, 0, v26, vcc
	v_add_u32_e32 v26, v23, v21
	v_mov_b32_e32 v23, 0
	s_branch .LBB363_86
.LBB363_85:                             ;   in Loop: Header=BB363_86 Depth=1
	s_or_b64 exec, exec, s[36:37]
	v_cmp_eq_u16_sdwa s[36:37], v27, v104 src0_sel:BYTE_0 src1_sel:DWORD
	v_and_b32_e32 v28, s37, v25
	v_or_b32_e32 v28, 0x80000000, v28
	ds_bpermute_b32 v117, v106, v26
	v_and_b32_e32 v29, s36, v24
	v_ffbl_b32_e32 v28, v28
	v_add_u32_e32 v28, 32, v28
	v_ffbl_b32_e32 v29, v29
	v_min_u32_e32 v28, v29, v28
	v_cmp_lt_u32_e32 vcc, v105, v28
	s_waitcnt lgkmcnt(0)
	v_cndmask_b32_e32 v29, 0, v117, vcc
	v_add_u32_e32 v26, v29, v26
	ds_bpermute_b32 v29, v107, v26
	v_cmp_le_u32_e32 vcc, v108, v28
	v_subrev_u32_e32 v22, 64, v22
	s_waitcnt lgkmcnt(0)
	v_cndmask_b32_e32 v29, 0, v29, vcc
	v_add_u32_e32 v26, v26, v29
	ds_bpermute_b32 v29, v109, v26
	v_cmp_le_u32_e32 vcc, v110, v28
	s_waitcnt lgkmcnt(0)
	v_cndmask_b32_e32 v29, 0, v29, vcc
	v_add_u32_e32 v26, v26, v29
	ds_bpermute_b32 v29, v111, v26
	v_cmp_le_u32_e32 vcc, v112, v28
	;; [unrolled: 5-line block ×4, first 2 shown]
	s_waitcnt lgkmcnt(0)
	v_cndmask_b32_e32 v28, 0, v29, vcc
	v_add3_u32 v26, v28, v21, v26
.LBB363_86:                             ; =>This Loop Header: Depth=1
                                        ;     Child Loop BB363_89 Depth 2
                                        ;       Child Loop BB363_90 Depth 3
	v_cmp_ne_u16_sdwa s[36:37], v27, v104 src0_sel:BYTE_0 src1_sel:DWORD
	v_cndmask_b32_e64 v21, 0, 1, s[36:37]
	;;#ASMSTART
	;;#ASMEND
	v_cmp_ne_u32_e32 vcc, 0, v21
	s_cmp_lg_u64 vcc, exec
	v_mov_b32_e32 v21, v26
	s_cbranch_scc1 .LBB363_93
; %bb.87:                               ;   in Loop: Header=BB363_86 Depth=1
	v_lshlrev_b64 v[26:27], 3, v[22:23]
	v_mov_b32_e32 v29, s35
	v_add_co_u32_e32 v28, vcc, s34, v26
	v_addc_co_u32_e32 v29, vcc, v29, v27, vcc
	global_load_dwordx2 v[26:27], v[28:29], off glc
	s_waitcnt vmcnt(0)
	v_cmp_eq_u16_sdwa s[38:39], v27, v23 src0_sel:BYTE_0 src1_sel:DWORD
	s_and_saveexec_b64 s[36:37], s[38:39]
	s_cbranch_execz .LBB363_85
; %bb.88:                               ;   in Loop: Header=BB363_86 Depth=1
	s_mov_b32 s41, 1
	s_mov_b64 s[38:39], 0
.LBB363_89:                             ;   Parent Loop BB363_86 Depth=1
                                        ; =>  This Loop Header: Depth=2
                                        ;       Child Loop BB363_90 Depth 3
	s_max_u32 s42, s41, 1
.LBB363_90:                             ;   Parent Loop BB363_86 Depth=1
                                        ;     Parent Loop BB363_89 Depth=2
                                        ; =>    This Inner Loop Header: Depth=3
	s_add_i32 s42, s42, -1
	s_cmp_eq_u32 s42, 0
	s_sleep 1
	s_cbranch_scc0 .LBB363_90
; %bb.91:                               ;   in Loop: Header=BB363_89 Depth=2
	global_load_dwordx2 v[26:27], v[28:29], off glc
	s_cmp_lt_u32 s41, 32
	s_cselect_b64 s[42:43], -1, 0
	s_cmp_lg_u64 s[42:43], 0
	s_addc_u32 s41, s41, 0
	s_waitcnt vmcnt(0)
	v_cmp_ne_u16_sdwa s[42:43], v27, v23 src0_sel:BYTE_0 src1_sel:DWORD
	s_or_b64 s[38:39], s[42:43], s[38:39]
	s_andn2_b64 exec, exec, s[38:39]
	s_cbranch_execnz .LBB363_89
; %bb.92:                               ;   in Loop: Header=BB363_86 Depth=1
	s_or_b64 exec, exec, s[38:39]
	s_branch .LBB363_85
.LBB363_93:                             ;   in Loop: Header=BB363_86 Depth=1
                                        ; implicit-def: $vgpr26
                                        ; implicit-def: $vgpr27
	s_cbranch_execz .LBB363_86
; %bb.94:
	s_and_saveexec_b64 s[36:37], s[18:19]
	s_cbranch_execz .LBB363_96
; %bb.95:
	s_add_i32 s38, s40, 64
	s_mov_b32 s39, 0
	s_lshl_b64 s[38:39], s[38:39], 3
	s_add_u32 s38, s34, s38
	v_add_u32_e32 v22, v21, v20
	v_mov_b32_e32 v23, 2
	s_addc_u32 s39, s35, s39
	v_mov_b32_e32 v24, 0
	global_store_dwordx2 v24, v[22:23], s[38:39]
	ds_write_b64 v24, v[20:21] offset:14336
.LBB363_96:
	s_or_b64 exec, exec, s[36:37]
	s_and_b64 exec, exec, s[0:1]
	s_cbranch_execz .LBB363_98
; %bb.97:
	v_mov_b32_e32 v20, 0
	ds_write_b32 v20, v21 offset:12
.LBB363_98:
	s_or_b64 exec, exec, s[28:29]
	v_mov_b32_e32 v20, 0
	s_waitcnt lgkmcnt(0)
	s_barrier
	ds_read_b32 v22, v20 offset:12
	s_waitcnt lgkmcnt(0)
	s_barrier
	ds_read_b64 v[20:21], v20 offset:14336
	v_cndmask_b32_e64 v23, v103, v102, s[18:19]
	v_cndmask_b32_e64 v23, v23, 0, s[0:1]
	v_add_u32_e32 v22, v22, v23
	s_branch .LBB363_109
.LBB363_99:
                                        ; implicit-def: $vgpr21
                                        ; implicit-def: $vgpr22
	s_cbranch_execz .LBB363_109
; %bb.100:
	s_waitcnt lgkmcnt(0)
	v_mov_b32_dpp v20, v101 row_shr:1 row_mask:0xf bank_mask:0xf
	v_cndmask_b32_e64 v20, v20, 0, s[16:17]
	v_add_u32_e32 v20, v20, v101
	s_nop 1
	v_mov_b32_dpp v21, v20 row_shr:2 row_mask:0xf bank_mask:0xf
	v_cndmask_b32_e64 v21, 0, v21, s[14:15]
	v_add_u32_e32 v20, v20, v21
	s_nop 1
	;; [unrolled: 4-line block ×4, first 2 shown]
	v_mov_b32_dpp v21, v20 row_bcast:15 row_mask:0xf bank_mask:0xf
	v_cndmask_b32_e64 v21, v21, 0, s[8:9]
	v_add_u32_e32 v20, v20, v21
	s_nop 1
	v_mov_b32_dpp v21, v20 row_bcast:31 row_mask:0xf bank_mask:0xf
	v_cndmask_b32_e64 v21, 0, v21, s[4:5]
	v_add_u32_e32 v20, v20, v21
	s_and_saveexec_b64 s[4:5], s[6:7]
	s_cbranch_execz .LBB363_102
; %bb.101:
	v_lshlrev_b32_e32 v21, 2, v100
	ds_write_b32 v21, v20
.LBB363_102:
	s_or_b64 exec, exec, s[4:5]
	v_cmp_gt_u32_e32 vcc, 4, v0
	s_waitcnt lgkmcnt(0)
	s_barrier
	s_and_saveexec_b64 s[4:5], vcc
	s_cbranch_execz .LBB363_104
; %bb.103:
	v_lshlrev_b32_e32 v21, 2, v0
	ds_read_b32 v22, v21
	v_and_b32_e32 v23, 3, v99
	v_cmp_ne_u32_e32 vcc, 0, v23
	s_waitcnt lgkmcnt(0)
	v_mov_b32_dpp v24, v22 row_shr:1 row_mask:0xf bank_mask:0xf
	v_cndmask_b32_e32 v24, 0, v24, vcc
	v_add_u32_e32 v22, v24, v22
	v_cmp_lt_u32_e32 vcc, 1, v23
	s_nop 0
	v_mov_b32_dpp v24, v22 row_shr:2 row_mask:0xf bank_mask:0xf
	v_cndmask_b32_e32 v23, 0, v24, vcc
	v_add_u32_e32 v22, v22, v23
	ds_write_b32 v21, v22
.LBB363_104:
	s_or_b64 exec, exec, s[4:5]
	v_cmp_lt_u32_e32 vcc, 63, v0
	v_mov_b32_e32 v21, 0
	v_mov_b32_e32 v22, 0
	s_waitcnt lgkmcnt(0)
	s_barrier
	s_and_saveexec_b64 s[4:5], vcc
	s_cbranch_execz .LBB363_106
; %bb.105:
	v_lshl_add_u32 v22, v100, 2, -4
	ds_read_b32 v22, v22
.LBB363_106:
	s_or_b64 exec, exec, s[4:5]
	v_add_u32_e32 v23, -1, v99
	v_and_b32_e32 v24, 64, v99
	v_cmp_lt_i32_e32 vcc, v23, v24
	v_cndmask_b32_e32 v23, v23, v99, vcc
	s_waitcnt lgkmcnt(0)
	v_add_u32_e32 v20, v22, v20
	v_lshlrev_b32_e32 v23, 2, v23
	ds_bpermute_b32 v23, v23, v20
	ds_read_b32 v20, v21 offset:12
	s_and_saveexec_b64 s[4:5], s[0:1]
	s_cbranch_execz .LBB363_108
; %bb.107:
	v_mov_b32_e32 v24, 0
	v_mov_b32_e32 v21, 2
	s_waitcnt lgkmcnt(0)
	global_store_dwordx2 v24, v[20:21], s[34:35] offset:512
.LBB363_108:
	s_or_b64 exec, exec, s[4:5]
	v_cmp_eq_u32_e32 vcc, 0, v99
	s_waitcnt lgkmcnt(1)
	v_cndmask_b32_e32 v22, v23, v22, vcc
	v_mov_b32_e32 v21, 0
	v_cndmask_b32_e64 v22, v22, 0, s[0:1]
	s_waitcnt lgkmcnt(0)
	s_barrier
.LBB363_109:
	v_add_u32_e32 v23, v22, v73
	v_add_u32_e32 v24, v23, v74
	;; [unrolled: 1-line block ×19, first 2 shown]
	s_waitcnt lgkmcnt(0)
	v_add_u32_e32 v43, v20, v43
	v_sub_u32_e32 v22, v22, v21
	v_and_b32_e32 v72, 1, v72
	v_add_u32_e32 v85, v84, v92
	v_sub_u32_e32 v92, v43, v22
	v_cmp_eq_u32_e32 vcc, 1, v72
	v_cndmask_b32_e32 v22, v92, v22, vcc
	v_lshlrev_b32_e32 v22, 1, v22
	ds_write_b16 v22, v10
	v_sub_u32_e32 v10, v23, v21
	v_sub_u32_e32 v22, v43, v10
	v_and_b32_e32 v23, 1, v71
	v_add_u32_e32 v22, 1, v22
	v_cmp_eq_u32_e32 vcc, 1, v23
	v_cndmask_b32_e32 v10, v22, v10, vcc
	v_lshlrev_b32_e32 v10, 1, v10
	ds_write_b16 v10, v44
	v_sub_u32_e32 v10, v24, v21
	v_sub_u32_e32 v22, v43, v10
	v_and_b32_e32 v23, 1, v70
	v_add_u32_e32 v22, 2, v22
	;; [unrolled: 8-line block ×20, first 2 shown]
	v_cmp_eq_u32_e32 vcc, 1, v6
	v_cndmask_b32_e32 v2, v3, v2, vcc
	v_add_u32_e32 v86, v85, v93
	v_lshlrev_b32_e32 v2, 1, v2
	ds_write_b16 v2, v4
	v_sub_u32_e32 v2, v86, v21
	v_sub_u32_e32 v3, v43, v2
	v_and_b32_e32 v4, 1, v51
	v_add_u32_e32 v3, 21, v3
	v_cmp_eq_u32_e32 vcc, 1, v4
	v_cndmask_b32_e32 v2, v3, v2, vcc
	v_add_u32_e32 v87, v86, v94
	v_lshlrev_b32_e32 v2, 1, v2
	ds_write_b16 v2, v33
	v_sub_u32_e32 v2, v87, v21
	v_sub_u32_e32 v3, v43, v2
	v_and_b32_e32 v4, 1, v50
	v_add_u32_e32 v3, 22, v3
	;; [unrolled: 9-line block ×6, first 2 shown]
	v_cmp_eq_u32_e32 vcc, 1, v4
	v_cndmask_b32_e32 v2, v3, v2, vcc
	v_lshlrev_b32_e32 v2, 1, v2
	ds_write_b16 v2, v19
	v_sub_u32_sdwa v2, v45, v21 dst_sel:DWORD dst_unused:UNUSED_PAD src0_sel:BYTE_0 src1_sel:DWORD
	v_add_u32_e32 v2, v91, v2
	v_sub_u32_e32 v3, v43, v2
	v_and_b32_e32 v4, 1, v46
	v_add_u32_e32 v3, 27, v3
	v_cmp_eq_u32_e32 vcc, 1, v4
	v_cndmask_b32_e32 v2, v3, v2, vcc
	s_waitcnt vmcnt(0)
	v_add_co_u32_e32 v10, vcc, v14, v21
	v_lshlrev_b32_e32 v2, 1, v2
	v_addc_co_u32_e32 v11, vcc, 0, v15, vcc
	ds_write_b16 v2, v30
	s_waitcnt lgkmcnt(0)
	s_barrier
	ds_read_u16 v68, v1
	ds_read_u16 v67, v1 offset:512
	ds_read_u16 v65, v1 offset:1024
	;; [unrolled: 1-line block ×23, first 2 shown]
	v_add_co_u32_e32 v2, vcc, v10, v20
	v_addc_co_u32_e32 v3, vcc, 0, v11, vcc
	v_mov_b32_e32 v9, s31
	v_sub_co_u32_e32 v8, vcc, s30, v2
	v_subb_co_u32_e32 v9, vcc, v9, v3, vcc
	ds_read_u16 v19, v1 offset:12288
	ds_read_u16 v13, v1 offset:12800
	;; [unrolled: 1-line block ×4, first 2 shown]
	v_lshlrev_b64 v[8:9], 1, v[8:9]
	v_mov_b32_e32 v14, s27
	v_add_co_u32_e32 v8, vcc, s26, v8
	v_addc_co_u32_e32 v9, vcc, v14, v9, vcc
	v_add_co_u32_e32 v8, vcc, v8, v16
	v_addc_co_u32_e32 v9, vcc, v9, v17, vcc
	v_lshlrev_b64 v[10:11], 1, v[10:11]
	v_mov_b32_e32 v14, s25
	s_and_b64 vcc, exec, s[2:3]
	v_add_co_u32_e64 v10, s[2:3], s24, v10
	v_or_b32_e32 v66, 0x100, v0
	v_or_b32_e32 v64, 0x200, v0
	v_or_b32_e32 v62, 0x300, v0
	v_or_b32_e32 v60, 0x400, v0
	v_or_b32_e32 v58, 0x500, v0
	v_or_b32_e32 v56, 0x600, v0
	v_or_b32_e32 v54, 0x700, v0
	v_or_b32_e32 v52, 0x800, v0
	v_or_b32_e32 v50, 0x900, v0
	v_or_b32_e32 v48, 0xa00, v0
	v_or_b32_e32 v46, 0xb00, v0
	v_or_b32_e32 v44, 0xc00, v0
	v_or_b32_e32 v42, 0xd00, v0
	v_or_b32_e32 v40, 0xe00, v0
	v_or_b32_e32 v37, 0xf00, v0
	v_or_b32_e32 v36, 0x1000, v0
	v_or_b32_e32 v34, 0x1100, v0
	v_or_b32_e32 v32, 0x1200, v0
	v_or_b32_e32 v30, 0x1300, v0
	v_or_b32_e32 v28, 0x1400, v0
	v_or_b32_e32 v26, 0x1500, v0
	v_or_b32_e32 v24, 0x1600, v0
	v_or_b32_e32 v22, 0x1700, v0
	v_or_b32_e32 v18, 0x1800, v0
	v_or_b32_e32 v12, 0x1900, v0
	v_or_b32_e32 v7, 0x1a00, v0
	v_or_b32_e32 v5, 0x1b00, v0
	v_addc_co_u32_e64 v11, s[2:3], v14, v11, s[2:3]
	s_cbranch_vccnz .LBB363_111
; %bb.110:
	v_cmp_lt_u32_e32 vcc, v0, v20
	v_cndmask_b32_e32 v14, v8, v10, vcc
	v_cndmask_b32_e32 v15, v9, v11, vcc
	v_add_co_u32_e32 v14, vcc, v14, v1
	v_addc_co_u32_e32 v15, vcc, 0, v15, vcc
	v_cmp_lt_u32_e32 vcc, v66, v20
	s_waitcnt lgkmcnt(14)
	global_store_short v[14:15], v68, off
	v_cndmask_b32_e32 v14, v8, v10, vcc
	v_cndmask_b32_e32 v15, v9, v11, vcc
	v_add_co_u32_e32 v14, vcc, v14, v1
	v_addc_co_u32_e32 v15, vcc, 0, v15, vcc
	v_cmp_lt_u32_e32 vcc, v64, v20
	global_store_short v[14:15], v67, off offset:512
	v_cndmask_b32_e32 v14, v8, v10, vcc
	v_cndmask_b32_e32 v15, v9, v11, vcc
	v_add_co_u32_e32 v14, vcc, v14, v1
	v_addc_co_u32_e32 v15, vcc, 0, v15, vcc
	v_cmp_lt_u32_e32 vcc, v62, v20
	global_store_short v[14:15], v65, off offset:1024
	;; [unrolled: 6-line block ×7, first 2 shown]
	v_cndmask_b32_e32 v14, v8, v10, vcc
	v_lshlrev_b32_e32 v16, 1, v52
	v_cndmask_b32_e32 v15, v9, v11, vcc
	v_add_co_u32_e32 v14, vcc, v14, v16
	v_addc_co_u32_e32 v15, vcc, 0, v15, vcc
	v_cmp_lt_u32_e32 vcc, v50, v20
	global_store_short v[14:15], v53, off
	v_cndmask_b32_e32 v14, v8, v10, vcc
	v_lshlrev_b32_e32 v16, 1, v50
	v_cndmask_b32_e32 v15, v9, v11, vcc
	v_add_co_u32_e32 v14, vcc, v14, v16
	v_addc_co_u32_e32 v15, vcc, 0, v15, vcc
	v_cmp_lt_u32_e32 vcc, v48, v20
	global_store_short v[14:15], v51, off
	;; [unrolled: 7-line block ×6, first 2 shown]
	v_cndmask_b32_e32 v14, v8, v10, vcc
	v_lshlrev_b32_e32 v16, 1, v40
	v_cndmask_b32_e32 v15, v9, v11, vcc
	v_add_co_u32_e32 v14, vcc, v14, v16
	v_addc_co_u32_e32 v15, vcc, 0, v15, vcc
	v_cmp_lt_u32_e32 vcc, v37, v20
	s_waitcnt lgkmcnt(13)
	global_store_short v[14:15], v41, off
	v_cndmask_b32_e32 v14, v8, v10, vcc
	v_lshlrev_b32_e32 v16, 1, v37
	v_cndmask_b32_e32 v15, v9, v11, vcc
	v_add_co_u32_e32 v14, vcc, v14, v16
	v_addc_co_u32_e32 v15, vcc, 0, v15, vcc
	v_cmp_lt_u32_e32 vcc, v36, v20
	s_waitcnt lgkmcnt(12)
	global_store_short v[14:15], v39, off
	;; [unrolled: 8-line block ×12, first 2 shown]
	v_cndmask_b32_e32 v14, v8, v10, vcc
	v_lshlrev_b32_e32 v16, 1, v7
	v_cndmask_b32_e32 v15, v9, v11, vcc
	v_add_co_u32_e32 v14, vcc, v14, v16
	v_addc_co_u32_e32 v15, vcc, 0, v15, vcc
	s_mov_b64 s[2:3], -1
	s_waitcnt lgkmcnt(1)
	global_store_short v[14:15], v6, off
	s_cbranch_execz .LBB363_112
	s_branch .LBB363_141
.LBB363_111:
	s_mov_b64 s[2:3], 0
.LBB363_112:
	v_cmp_gt_u32_e32 vcc, s33, v0
	s_and_saveexec_b64 s[2:3], vcc
	s_cbranch_execnz .LBB363_146
; %bb.113:
	s_or_b64 exec, exec, s[2:3]
	v_cmp_gt_u32_e32 vcc, s33, v66
	s_and_saveexec_b64 s[2:3], vcc
	s_cbranch_execnz .LBB363_147
.LBB363_114:
	s_or_b64 exec, exec, s[2:3]
	v_cmp_gt_u32_e32 vcc, s33, v64
	s_and_saveexec_b64 s[2:3], vcc
	s_cbranch_execnz .LBB363_148
.LBB363_115:
	s_or_b64 exec, exec, s[2:3]
	v_cmp_gt_u32_e32 vcc, s33, v62
	s_and_saveexec_b64 s[2:3], vcc
	s_cbranch_execnz .LBB363_149
.LBB363_116:
	s_or_b64 exec, exec, s[2:3]
	v_cmp_gt_u32_e32 vcc, s33, v60
	s_and_saveexec_b64 s[2:3], vcc
	s_cbranch_execnz .LBB363_150
.LBB363_117:
	s_or_b64 exec, exec, s[2:3]
	v_cmp_gt_u32_e32 vcc, s33, v58
	s_and_saveexec_b64 s[2:3], vcc
	s_cbranch_execnz .LBB363_151
.LBB363_118:
	s_or_b64 exec, exec, s[2:3]
	v_cmp_gt_u32_e32 vcc, s33, v56
	s_and_saveexec_b64 s[2:3], vcc
	s_cbranch_execnz .LBB363_152
.LBB363_119:
	s_or_b64 exec, exec, s[2:3]
	v_cmp_gt_u32_e32 vcc, s33, v54
	s_and_saveexec_b64 s[2:3], vcc
	s_cbranch_execnz .LBB363_153
.LBB363_120:
	s_or_b64 exec, exec, s[2:3]
	v_cmp_gt_u32_e32 vcc, s33, v52
	s_and_saveexec_b64 s[2:3], vcc
	s_cbranch_execnz .LBB363_154
.LBB363_121:
	s_or_b64 exec, exec, s[2:3]
	v_cmp_gt_u32_e32 vcc, s33, v50
	s_and_saveexec_b64 s[2:3], vcc
	s_cbranch_execnz .LBB363_155
.LBB363_122:
	s_or_b64 exec, exec, s[2:3]
	v_cmp_gt_u32_e32 vcc, s33, v48
	s_and_saveexec_b64 s[2:3], vcc
	s_cbranch_execnz .LBB363_156
.LBB363_123:
	s_or_b64 exec, exec, s[2:3]
	v_cmp_gt_u32_e32 vcc, s33, v46
	s_and_saveexec_b64 s[2:3], vcc
	s_cbranch_execnz .LBB363_157
.LBB363_124:
	s_or_b64 exec, exec, s[2:3]
	v_cmp_gt_u32_e32 vcc, s33, v44
	s_and_saveexec_b64 s[2:3], vcc
	s_cbranch_execnz .LBB363_158
.LBB363_125:
	s_or_b64 exec, exec, s[2:3]
	v_cmp_gt_u32_e32 vcc, s33, v42
	s_and_saveexec_b64 s[2:3], vcc
	s_cbranch_execnz .LBB363_159
.LBB363_126:
	s_or_b64 exec, exec, s[2:3]
	v_cmp_gt_u32_e32 vcc, s33, v40
	s_and_saveexec_b64 s[2:3], vcc
	s_cbranch_execnz .LBB363_160
.LBB363_127:
	s_or_b64 exec, exec, s[2:3]
	v_cmp_gt_u32_e32 vcc, s33, v37
	s_and_saveexec_b64 s[2:3], vcc
	s_cbranch_execnz .LBB363_161
.LBB363_128:
	s_or_b64 exec, exec, s[2:3]
	v_cmp_gt_u32_e32 vcc, s33, v36
	s_and_saveexec_b64 s[2:3], vcc
	s_cbranch_execnz .LBB363_162
.LBB363_129:
	s_or_b64 exec, exec, s[2:3]
	v_cmp_gt_u32_e32 vcc, s33, v34
	s_and_saveexec_b64 s[2:3], vcc
	s_cbranch_execnz .LBB363_163
.LBB363_130:
	s_or_b64 exec, exec, s[2:3]
	v_cmp_gt_u32_e32 vcc, s33, v32
	s_and_saveexec_b64 s[2:3], vcc
	s_cbranch_execnz .LBB363_164
.LBB363_131:
	s_or_b64 exec, exec, s[2:3]
	v_cmp_gt_u32_e32 vcc, s33, v30
	s_and_saveexec_b64 s[2:3], vcc
	s_cbranch_execnz .LBB363_165
.LBB363_132:
	s_or_b64 exec, exec, s[2:3]
	v_cmp_gt_u32_e32 vcc, s33, v28
	s_and_saveexec_b64 s[2:3], vcc
	s_cbranch_execnz .LBB363_166
.LBB363_133:
	s_or_b64 exec, exec, s[2:3]
	v_cmp_gt_u32_e32 vcc, s33, v26
	s_and_saveexec_b64 s[2:3], vcc
	s_cbranch_execnz .LBB363_167
.LBB363_134:
	s_or_b64 exec, exec, s[2:3]
	v_cmp_gt_u32_e32 vcc, s33, v24
	s_and_saveexec_b64 s[2:3], vcc
	s_cbranch_execnz .LBB363_168
.LBB363_135:
	s_or_b64 exec, exec, s[2:3]
	v_cmp_gt_u32_e32 vcc, s33, v22
	s_and_saveexec_b64 s[2:3], vcc
	s_cbranch_execnz .LBB363_169
.LBB363_136:
	s_or_b64 exec, exec, s[2:3]
	v_cmp_gt_u32_e32 vcc, s33, v18
	s_and_saveexec_b64 s[2:3], vcc
	s_cbranch_execnz .LBB363_170
.LBB363_137:
	s_or_b64 exec, exec, s[2:3]
	v_cmp_gt_u32_e32 vcc, s33, v12
	s_and_saveexec_b64 s[2:3], vcc
	s_cbranch_execnz .LBB363_171
.LBB363_138:
	s_or_b64 exec, exec, s[2:3]
	v_cmp_gt_u32_e32 vcc, s33, v7
	s_and_saveexec_b64 s[2:3], vcc
	s_cbranch_execz .LBB363_140
.LBB363_139:
	v_cmp_lt_u32_e32 vcc, v7, v20
	v_cndmask_b32_e32 v0, v8, v10, vcc
	v_lshlrev_b32_e32 v7, 1, v7
	v_cndmask_b32_e32 v1, v9, v11, vcc
	v_add_co_u32_e32 v0, vcc, v0, v7
	v_addc_co_u32_e32 v1, vcc, 0, v1, vcc
	s_waitcnt lgkmcnt(1)
	global_store_short v[0:1], v6, off
.LBB363_140:
	s_or_b64 exec, exec, s[2:3]
	v_cmp_gt_u32_e64 s[2:3], s33, v5
.LBB363_141:
	s_and_saveexec_b64 s[4:5], s[2:3]
	s_cbranch_execnz .LBB363_144
; %bb.142:
	s_or_b64 exec, exec, s[4:5]
	s_and_b64 s[0:1], s[0:1], s[22:23]
	s_and_saveexec_b64 s[2:3], s[0:1]
	s_cbranch_execnz .LBB363_145
.LBB363_143:
	s_endpgm
.LBB363_144:
	v_cmp_lt_u32_e32 vcc, v5, v20
	v_cndmask_b32_e32 v0, v8, v10, vcc
	v_lshlrev_b32_e32 v5, 1, v5
	v_cndmask_b32_e32 v1, v9, v11, vcc
	v_add_co_u32_e32 v0, vcc, v0, v5
	v_addc_co_u32_e32 v1, vcc, 0, v1, vcc
	s_waitcnt lgkmcnt(0)
	global_store_short v[0:1], v4, off
	s_or_b64 exec, exec, s[4:5]
	s_and_b64 s[0:1], s[0:1], s[22:23]
	s_and_saveexec_b64 s[2:3], s[0:1]
	s_cbranch_execz .LBB363_143
.LBB363_145:
	v_mov_b32_e32 v0, 0
	global_store_dwordx2 v0, v[2:3], s[20:21]
	s_endpgm
.LBB363_146:
	v_cmp_lt_u32_e32 vcc, v0, v20
	v_cndmask_b32_e32 v14, v8, v10, vcc
	v_cndmask_b32_e32 v0, v9, v11, vcc
	v_add_co_u32_e32 v14, vcc, v14, v1
	v_addc_co_u32_e32 v15, vcc, 0, v0, vcc
	s_waitcnt lgkmcnt(14)
	global_store_short v[14:15], v68, off
	s_or_b64 exec, exec, s[2:3]
	v_cmp_gt_u32_e32 vcc, s33, v66
	s_and_saveexec_b64 s[2:3], vcc
	s_cbranch_execz .LBB363_114
.LBB363_147:
	v_cmp_lt_u32_e32 vcc, v66, v20
	v_cndmask_b32_e32 v14, v8, v10, vcc
	v_cndmask_b32_e32 v0, v9, v11, vcc
	v_add_co_u32_e32 v14, vcc, v14, v1
	v_addc_co_u32_e32 v15, vcc, 0, v0, vcc
	s_waitcnt lgkmcnt(14)
	global_store_short v[14:15], v67, off offset:512
	s_or_b64 exec, exec, s[2:3]
	v_cmp_gt_u32_e32 vcc, s33, v64
	s_and_saveexec_b64 s[2:3], vcc
	s_cbranch_execz .LBB363_115
.LBB363_148:
	v_cmp_lt_u32_e32 vcc, v64, v20
	v_cndmask_b32_e32 v14, v8, v10, vcc
	v_cndmask_b32_e32 v0, v9, v11, vcc
	v_add_co_u32_e32 v14, vcc, v14, v1
	v_addc_co_u32_e32 v15, vcc, 0, v0, vcc
	s_waitcnt lgkmcnt(14)
	global_store_short v[14:15], v65, off offset:1024
	s_or_b64 exec, exec, s[2:3]
	v_cmp_gt_u32_e32 vcc, s33, v62
	s_and_saveexec_b64 s[2:3], vcc
	s_cbranch_execz .LBB363_116
.LBB363_149:
	v_cmp_lt_u32_e32 vcc, v62, v20
	v_cndmask_b32_e32 v14, v8, v10, vcc
	v_cndmask_b32_e32 v0, v9, v11, vcc
	v_add_co_u32_e32 v14, vcc, v14, v1
	v_addc_co_u32_e32 v15, vcc, 0, v0, vcc
	s_waitcnt lgkmcnt(14)
	global_store_short v[14:15], v63, off offset:1536
	s_or_b64 exec, exec, s[2:3]
	v_cmp_gt_u32_e32 vcc, s33, v60
	s_and_saveexec_b64 s[2:3], vcc
	s_cbranch_execz .LBB363_117
.LBB363_150:
	v_cmp_lt_u32_e32 vcc, v60, v20
	v_cndmask_b32_e32 v14, v8, v10, vcc
	v_cndmask_b32_e32 v0, v9, v11, vcc
	v_add_co_u32_e32 v14, vcc, v14, v1
	v_addc_co_u32_e32 v15, vcc, 0, v0, vcc
	s_waitcnt lgkmcnt(14)
	global_store_short v[14:15], v61, off offset:2048
	s_or_b64 exec, exec, s[2:3]
	v_cmp_gt_u32_e32 vcc, s33, v58
	s_and_saveexec_b64 s[2:3], vcc
	s_cbranch_execz .LBB363_118
.LBB363_151:
	v_cmp_lt_u32_e32 vcc, v58, v20
	v_cndmask_b32_e32 v14, v8, v10, vcc
	v_cndmask_b32_e32 v0, v9, v11, vcc
	v_add_co_u32_e32 v14, vcc, v14, v1
	v_addc_co_u32_e32 v15, vcc, 0, v0, vcc
	s_waitcnt lgkmcnt(14)
	global_store_short v[14:15], v59, off offset:2560
	s_or_b64 exec, exec, s[2:3]
	v_cmp_gt_u32_e32 vcc, s33, v56
	s_and_saveexec_b64 s[2:3], vcc
	s_cbranch_execz .LBB363_119
.LBB363_152:
	v_cmp_lt_u32_e32 vcc, v56, v20
	v_cndmask_b32_e32 v14, v8, v10, vcc
	v_cndmask_b32_e32 v0, v9, v11, vcc
	v_add_co_u32_e32 v14, vcc, v14, v1
	v_addc_co_u32_e32 v15, vcc, 0, v0, vcc
	s_waitcnt lgkmcnt(14)
	global_store_short v[14:15], v57, off offset:3072
	s_or_b64 exec, exec, s[2:3]
	v_cmp_gt_u32_e32 vcc, s33, v54
	s_and_saveexec_b64 s[2:3], vcc
	s_cbranch_execz .LBB363_120
.LBB363_153:
	v_cmp_lt_u32_e32 vcc, v54, v20
	v_cndmask_b32_e32 v0, v8, v10, vcc
	v_cndmask_b32_e32 v14, v9, v11, vcc
	v_add_co_u32_e32 v0, vcc, v0, v1
	v_addc_co_u32_e32 v1, vcc, 0, v14, vcc
	s_waitcnt lgkmcnt(14)
	global_store_short v[0:1], v55, off offset:3584
	s_or_b64 exec, exec, s[2:3]
	v_cmp_gt_u32_e32 vcc, s33, v52
	s_and_saveexec_b64 s[2:3], vcc
	s_cbranch_execz .LBB363_121
.LBB363_154:
	v_cmp_lt_u32_e32 vcc, v52, v20
	v_cndmask_b32_e32 v0, v8, v10, vcc
	v_lshlrev_b32_e32 v14, 1, v52
	v_cndmask_b32_e32 v1, v9, v11, vcc
	v_add_co_u32_e32 v0, vcc, v0, v14
	v_addc_co_u32_e32 v1, vcc, 0, v1, vcc
	s_waitcnt lgkmcnt(14)
	global_store_short v[0:1], v53, off
	s_or_b64 exec, exec, s[2:3]
	v_cmp_gt_u32_e32 vcc, s33, v50
	s_and_saveexec_b64 s[2:3], vcc
	s_cbranch_execz .LBB363_122
.LBB363_155:
	v_cmp_lt_u32_e32 vcc, v50, v20
	v_cndmask_b32_e32 v0, v8, v10, vcc
	v_lshlrev_b32_e32 v14, 1, v50
	v_cndmask_b32_e32 v1, v9, v11, vcc
	v_add_co_u32_e32 v0, vcc, v0, v14
	v_addc_co_u32_e32 v1, vcc, 0, v1, vcc
	s_waitcnt lgkmcnt(14)
	global_store_short v[0:1], v51, off
	s_or_b64 exec, exec, s[2:3]
	v_cmp_gt_u32_e32 vcc, s33, v48
	s_and_saveexec_b64 s[2:3], vcc
	s_cbranch_execz .LBB363_123
.LBB363_156:
	v_cmp_lt_u32_e32 vcc, v48, v20
	v_cndmask_b32_e32 v0, v8, v10, vcc
	v_lshlrev_b32_e32 v14, 1, v48
	v_cndmask_b32_e32 v1, v9, v11, vcc
	v_add_co_u32_e32 v0, vcc, v0, v14
	v_addc_co_u32_e32 v1, vcc, 0, v1, vcc
	s_waitcnt lgkmcnt(14)
	global_store_short v[0:1], v49, off
	s_or_b64 exec, exec, s[2:3]
	v_cmp_gt_u32_e32 vcc, s33, v46
	s_and_saveexec_b64 s[2:3], vcc
	s_cbranch_execz .LBB363_124
.LBB363_157:
	v_cmp_lt_u32_e32 vcc, v46, v20
	v_cndmask_b32_e32 v0, v8, v10, vcc
	v_lshlrev_b32_e32 v14, 1, v46
	v_cndmask_b32_e32 v1, v9, v11, vcc
	v_add_co_u32_e32 v0, vcc, v0, v14
	v_addc_co_u32_e32 v1, vcc, 0, v1, vcc
	s_waitcnt lgkmcnt(14)
	global_store_short v[0:1], v47, off
	s_or_b64 exec, exec, s[2:3]
	v_cmp_gt_u32_e32 vcc, s33, v44
	s_and_saveexec_b64 s[2:3], vcc
	s_cbranch_execz .LBB363_125
.LBB363_158:
	v_cmp_lt_u32_e32 vcc, v44, v20
	v_cndmask_b32_e32 v0, v8, v10, vcc
	v_lshlrev_b32_e32 v14, 1, v44
	v_cndmask_b32_e32 v1, v9, v11, vcc
	v_add_co_u32_e32 v0, vcc, v0, v14
	v_addc_co_u32_e32 v1, vcc, 0, v1, vcc
	s_waitcnt lgkmcnt(14)
	global_store_short v[0:1], v45, off
	s_or_b64 exec, exec, s[2:3]
	v_cmp_gt_u32_e32 vcc, s33, v42
	s_and_saveexec_b64 s[2:3], vcc
	s_cbranch_execz .LBB363_126
.LBB363_159:
	v_cmp_lt_u32_e32 vcc, v42, v20
	v_cndmask_b32_e32 v0, v8, v10, vcc
	v_lshlrev_b32_e32 v14, 1, v42
	v_cndmask_b32_e32 v1, v9, v11, vcc
	v_add_co_u32_e32 v0, vcc, v0, v14
	v_addc_co_u32_e32 v1, vcc, 0, v1, vcc
	s_waitcnt lgkmcnt(14)
	global_store_short v[0:1], v43, off
	s_or_b64 exec, exec, s[2:3]
	v_cmp_gt_u32_e32 vcc, s33, v40
	s_and_saveexec_b64 s[2:3], vcc
	s_cbranch_execz .LBB363_127
.LBB363_160:
	v_cmp_lt_u32_e32 vcc, v40, v20
	v_cndmask_b32_e32 v0, v8, v10, vcc
	v_lshlrev_b32_e32 v14, 1, v40
	v_cndmask_b32_e32 v1, v9, v11, vcc
	v_add_co_u32_e32 v0, vcc, v0, v14
	v_addc_co_u32_e32 v1, vcc, 0, v1, vcc
	s_waitcnt lgkmcnt(13)
	global_store_short v[0:1], v41, off
	s_or_b64 exec, exec, s[2:3]
	v_cmp_gt_u32_e32 vcc, s33, v37
	s_and_saveexec_b64 s[2:3], vcc
	s_cbranch_execz .LBB363_128
.LBB363_161:
	v_cmp_lt_u32_e32 vcc, v37, v20
	v_cndmask_b32_e32 v0, v8, v10, vcc
	v_lshlrev_b32_e32 v14, 1, v37
	v_cndmask_b32_e32 v1, v9, v11, vcc
	v_add_co_u32_e32 v0, vcc, v0, v14
	v_addc_co_u32_e32 v1, vcc, 0, v1, vcc
	s_waitcnt lgkmcnt(12)
	global_store_short v[0:1], v39, off
	s_or_b64 exec, exec, s[2:3]
	v_cmp_gt_u32_e32 vcc, s33, v36
	s_and_saveexec_b64 s[2:3], vcc
	s_cbranch_execz .LBB363_129
.LBB363_162:
	v_cmp_lt_u32_e32 vcc, v36, v20
	v_cndmask_b32_e32 v0, v8, v10, vcc
	v_lshlrev_b32_e32 v14, 1, v36
	v_cndmask_b32_e32 v1, v9, v11, vcc
	v_add_co_u32_e32 v0, vcc, v0, v14
	v_addc_co_u32_e32 v1, vcc, 0, v1, vcc
	s_waitcnt lgkmcnt(11)
	global_store_short v[0:1], v38, off
	s_or_b64 exec, exec, s[2:3]
	v_cmp_gt_u32_e32 vcc, s33, v34
	s_and_saveexec_b64 s[2:3], vcc
	s_cbranch_execz .LBB363_130
.LBB363_163:
	v_cmp_lt_u32_e32 vcc, v34, v20
	v_cndmask_b32_e32 v0, v8, v10, vcc
	v_lshlrev_b32_e32 v14, 1, v34
	v_cndmask_b32_e32 v1, v9, v11, vcc
	v_add_co_u32_e32 v0, vcc, v0, v14
	v_addc_co_u32_e32 v1, vcc, 0, v1, vcc
	s_waitcnt lgkmcnt(10)
	global_store_short v[0:1], v35, off
	s_or_b64 exec, exec, s[2:3]
	v_cmp_gt_u32_e32 vcc, s33, v32
	s_and_saveexec_b64 s[2:3], vcc
	s_cbranch_execz .LBB363_131
.LBB363_164:
	v_cmp_lt_u32_e32 vcc, v32, v20
	v_cndmask_b32_e32 v0, v8, v10, vcc
	v_lshlrev_b32_e32 v14, 1, v32
	v_cndmask_b32_e32 v1, v9, v11, vcc
	v_add_co_u32_e32 v0, vcc, v0, v14
	v_addc_co_u32_e32 v1, vcc, 0, v1, vcc
	s_waitcnt lgkmcnt(9)
	global_store_short v[0:1], v33, off
	s_or_b64 exec, exec, s[2:3]
	v_cmp_gt_u32_e32 vcc, s33, v30
	s_and_saveexec_b64 s[2:3], vcc
	s_cbranch_execz .LBB363_132
.LBB363_165:
	v_cmp_lt_u32_e32 vcc, v30, v20
	v_cndmask_b32_e32 v0, v8, v10, vcc
	v_lshlrev_b32_e32 v14, 1, v30
	v_cndmask_b32_e32 v1, v9, v11, vcc
	v_add_co_u32_e32 v0, vcc, v0, v14
	v_addc_co_u32_e32 v1, vcc, 0, v1, vcc
	s_waitcnt lgkmcnt(8)
	global_store_short v[0:1], v31, off
	s_or_b64 exec, exec, s[2:3]
	v_cmp_gt_u32_e32 vcc, s33, v28
	s_and_saveexec_b64 s[2:3], vcc
	s_cbranch_execz .LBB363_133
.LBB363_166:
	v_cmp_lt_u32_e32 vcc, v28, v20
	v_cndmask_b32_e32 v0, v8, v10, vcc
	v_lshlrev_b32_e32 v14, 1, v28
	v_cndmask_b32_e32 v1, v9, v11, vcc
	v_add_co_u32_e32 v0, vcc, v0, v14
	v_addc_co_u32_e32 v1, vcc, 0, v1, vcc
	s_waitcnt lgkmcnt(7)
	global_store_short v[0:1], v29, off
	s_or_b64 exec, exec, s[2:3]
	v_cmp_gt_u32_e32 vcc, s33, v26
	s_and_saveexec_b64 s[2:3], vcc
	s_cbranch_execz .LBB363_134
.LBB363_167:
	v_cmp_lt_u32_e32 vcc, v26, v20
	v_cndmask_b32_e32 v0, v8, v10, vcc
	v_lshlrev_b32_e32 v14, 1, v26
	v_cndmask_b32_e32 v1, v9, v11, vcc
	v_add_co_u32_e32 v0, vcc, v0, v14
	v_addc_co_u32_e32 v1, vcc, 0, v1, vcc
	s_waitcnt lgkmcnt(6)
	global_store_short v[0:1], v27, off
	s_or_b64 exec, exec, s[2:3]
	v_cmp_gt_u32_e32 vcc, s33, v24
	s_and_saveexec_b64 s[2:3], vcc
	s_cbranch_execz .LBB363_135
.LBB363_168:
	v_cmp_lt_u32_e32 vcc, v24, v20
	v_cndmask_b32_e32 v0, v8, v10, vcc
	v_lshlrev_b32_e32 v14, 1, v24
	v_cndmask_b32_e32 v1, v9, v11, vcc
	v_add_co_u32_e32 v0, vcc, v0, v14
	v_addc_co_u32_e32 v1, vcc, 0, v1, vcc
	s_waitcnt lgkmcnt(5)
	global_store_short v[0:1], v25, off
	s_or_b64 exec, exec, s[2:3]
	v_cmp_gt_u32_e32 vcc, s33, v22
	s_and_saveexec_b64 s[2:3], vcc
	s_cbranch_execz .LBB363_136
.LBB363_169:
	v_cmp_lt_u32_e32 vcc, v22, v20
	v_cndmask_b32_e32 v0, v8, v10, vcc
	v_lshlrev_b32_e32 v14, 1, v22
	v_cndmask_b32_e32 v1, v9, v11, vcc
	v_add_co_u32_e32 v0, vcc, v0, v14
	v_addc_co_u32_e32 v1, vcc, 0, v1, vcc
	s_waitcnt lgkmcnt(4)
	global_store_short v[0:1], v23, off
	s_or_b64 exec, exec, s[2:3]
	v_cmp_gt_u32_e32 vcc, s33, v18
	s_and_saveexec_b64 s[2:3], vcc
	s_cbranch_execz .LBB363_137
.LBB363_170:
	v_cmp_lt_u32_e32 vcc, v18, v20
	v_cndmask_b32_e32 v0, v8, v10, vcc
	v_lshlrev_b32_e32 v14, 1, v18
	v_cndmask_b32_e32 v1, v9, v11, vcc
	v_add_co_u32_e32 v0, vcc, v0, v14
	v_addc_co_u32_e32 v1, vcc, 0, v1, vcc
	s_waitcnt lgkmcnt(3)
	global_store_short v[0:1], v19, off
	s_or_b64 exec, exec, s[2:3]
	v_cmp_gt_u32_e32 vcc, s33, v12
	s_and_saveexec_b64 s[2:3], vcc
	s_cbranch_execz .LBB363_138
.LBB363_171:
	v_cmp_lt_u32_e32 vcc, v12, v20
	v_cndmask_b32_e32 v0, v8, v10, vcc
	v_lshlrev_b32_e32 v12, 1, v12
	v_cndmask_b32_e32 v1, v9, v11, vcc
	v_add_co_u32_e32 v0, vcc, v0, v12
	v_addc_co_u32_e32 v1, vcc, 0, v1, vcc
	s_waitcnt lgkmcnt(2)
	global_store_short v[0:1], v13, off
	s_or_b64 exec, exec, s[2:3]
	v_cmp_gt_u32_e32 vcc, s33, v7
	s_and_saveexec_b64 s[2:3], vcc
	s_cbranch_execnz .LBB363_139
	s_branch .LBB363_140
	.section	.rodata,"a",@progbits
	.p2align	6, 0x0
	.amdhsa_kernel _ZN7rocprim17ROCPRIM_400000_NS6detail17trampoline_kernelINS0_14default_configENS1_25partition_config_selectorILNS1_17partition_subalgoE0EsNS0_10empty_typeEbEEZZNS1_14partition_implILS5_0ELb0ES3_jN6thrust23THRUST_200600_302600_NS6detail15normal_iteratorINSA_10device_ptrIsEEEEPS6_SG_NS0_5tupleIJSF_SF_EEENSH_IJSG_SG_EEES6_PlJ7is_evenIsEEEE10hipError_tPvRmT3_T4_T5_T6_T7_T9_mT8_P12ihipStream_tbDpT10_ENKUlT_T0_E_clISt17integral_constantIbLb1EES16_EEDaS11_S12_EUlS11_E_NS1_11comp_targetILNS1_3genE4ELNS1_11target_archE910ELNS1_3gpuE8ELNS1_3repE0EEENS1_30default_config_static_selectorELNS0_4arch9wavefront6targetE1EEEvT1_
		.amdhsa_group_segment_fixed_size 14344
		.amdhsa_private_segment_fixed_size 0
		.amdhsa_kernarg_size 136
		.amdhsa_user_sgpr_count 6
		.amdhsa_user_sgpr_private_segment_buffer 1
		.amdhsa_user_sgpr_dispatch_ptr 0
		.amdhsa_user_sgpr_queue_ptr 0
		.amdhsa_user_sgpr_kernarg_segment_ptr 1
		.amdhsa_user_sgpr_dispatch_id 0
		.amdhsa_user_sgpr_flat_scratch_init 0
		.amdhsa_user_sgpr_kernarg_preload_length 0
		.amdhsa_user_sgpr_kernarg_preload_offset 0
		.amdhsa_user_sgpr_private_segment_size 0
		.amdhsa_uses_dynamic_stack 0
		.amdhsa_system_sgpr_private_segment_wavefront_offset 0
		.amdhsa_system_sgpr_workgroup_id_x 1
		.amdhsa_system_sgpr_workgroup_id_y 0
		.amdhsa_system_sgpr_workgroup_id_z 0
		.amdhsa_system_sgpr_workgroup_info 0
		.amdhsa_system_vgpr_workitem_id 0
		.amdhsa_next_free_vgpr 118
		.amdhsa_next_free_sgpr 44
		.amdhsa_accum_offset 120
		.amdhsa_reserve_vcc 1
		.amdhsa_reserve_flat_scratch 0
		.amdhsa_float_round_mode_32 0
		.amdhsa_float_round_mode_16_64 0
		.amdhsa_float_denorm_mode_32 3
		.amdhsa_float_denorm_mode_16_64 3
		.amdhsa_dx10_clamp 1
		.amdhsa_ieee_mode 1
		.amdhsa_fp16_overflow 0
		.amdhsa_tg_split 0
		.amdhsa_exception_fp_ieee_invalid_op 0
		.amdhsa_exception_fp_denorm_src 0
		.amdhsa_exception_fp_ieee_div_zero 0
		.amdhsa_exception_fp_ieee_overflow 0
		.amdhsa_exception_fp_ieee_underflow 0
		.amdhsa_exception_fp_ieee_inexact 0
		.amdhsa_exception_int_div_zero 0
	.end_amdhsa_kernel
	.section	.text._ZN7rocprim17ROCPRIM_400000_NS6detail17trampoline_kernelINS0_14default_configENS1_25partition_config_selectorILNS1_17partition_subalgoE0EsNS0_10empty_typeEbEEZZNS1_14partition_implILS5_0ELb0ES3_jN6thrust23THRUST_200600_302600_NS6detail15normal_iteratorINSA_10device_ptrIsEEEEPS6_SG_NS0_5tupleIJSF_SF_EEENSH_IJSG_SG_EEES6_PlJ7is_evenIsEEEE10hipError_tPvRmT3_T4_T5_T6_T7_T9_mT8_P12ihipStream_tbDpT10_ENKUlT_T0_E_clISt17integral_constantIbLb1EES16_EEDaS11_S12_EUlS11_E_NS1_11comp_targetILNS1_3genE4ELNS1_11target_archE910ELNS1_3gpuE8ELNS1_3repE0EEENS1_30default_config_static_selectorELNS0_4arch9wavefront6targetE1EEEvT1_,"axG",@progbits,_ZN7rocprim17ROCPRIM_400000_NS6detail17trampoline_kernelINS0_14default_configENS1_25partition_config_selectorILNS1_17partition_subalgoE0EsNS0_10empty_typeEbEEZZNS1_14partition_implILS5_0ELb0ES3_jN6thrust23THRUST_200600_302600_NS6detail15normal_iteratorINSA_10device_ptrIsEEEEPS6_SG_NS0_5tupleIJSF_SF_EEENSH_IJSG_SG_EEES6_PlJ7is_evenIsEEEE10hipError_tPvRmT3_T4_T5_T6_T7_T9_mT8_P12ihipStream_tbDpT10_ENKUlT_T0_E_clISt17integral_constantIbLb1EES16_EEDaS11_S12_EUlS11_E_NS1_11comp_targetILNS1_3genE4ELNS1_11target_archE910ELNS1_3gpuE8ELNS1_3repE0EEENS1_30default_config_static_selectorELNS0_4arch9wavefront6targetE1EEEvT1_,comdat
.Lfunc_end363:
	.size	_ZN7rocprim17ROCPRIM_400000_NS6detail17trampoline_kernelINS0_14default_configENS1_25partition_config_selectorILNS1_17partition_subalgoE0EsNS0_10empty_typeEbEEZZNS1_14partition_implILS5_0ELb0ES3_jN6thrust23THRUST_200600_302600_NS6detail15normal_iteratorINSA_10device_ptrIsEEEEPS6_SG_NS0_5tupleIJSF_SF_EEENSH_IJSG_SG_EEES6_PlJ7is_evenIsEEEE10hipError_tPvRmT3_T4_T5_T6_T7_T9_mT8_P12ihipStream_tbDpT10_ENKUlT_T0_E_clISt17integral_constantIbLb1EES16_EEDaS11_S12_EUlS11_E_NS1_11comp_targetILNS1_3genE4ELNS1_11target_archE910ELNS1_3gpuE8ELNS1_3repE0EEENS1_30default_config_static_selectorELNS0_4arch9wavefront6targetE1EEEvT1_, .Lfunc_end363-_ZN7rocprim17ROCPRIM_400000_NS6detail17trampoline_kernelINS0_14default_configENS1_25partition_config_selectorILNS1_17partition_subalgoE0EsNS0_10empty_typeEbEEZZNS1_14partition_implILS5_0ELb0ES3_jN6thrust23THRUST_200600_302600_NS6detail15normal_iteratorINSA_10device_ptrIsEEEEPS6_SG_NS0_5tupleIJSF_SF_EEENSH_IJSG_SG_EEES6_PlJ7is_evenIsEEEE10hipError_tPvRmT3_T4_T5_T6_T7_T9_mT8_P12ihipStream_tbDpT10_ENKUlT_T0_E_clISt17integral_constantIbLb1EES16_EEDaS11_S12_EUlS11_E_NS1_11comp_targetILNS1_3genE4ELNS1_11target_archE910ELNS1_3gpuE8ELNS1_3repE0EEENS1_30default_config_static_selectorELNS0_4arch9wavefront6targetE1EEEvT1_
                                        ; -- End function
	.section	.AMDGPU.csdata,"",@progbits
; Kernel info:
; codeLenInByte = 9960
; NumSgprs: 48
; NumVgprs: 118
; NumAgprs: 0
; TotalNumVgprs: 118
; ScratchSize: 0
; MemoryBound: 0
; FloatMode: 240
; IeeeMode: 1
; LDSByteSize: 14344 bytes/workgroup (compile time only)
; SGPRBlocks: 5
; VGPRBlocks: 14
; NumSGPRsForWavesPerEU: 48
; NumVGPRsForWavesPerEU: 118
; AccumOffset: 120
; Occupancy: 4
; WaveLimiterHint : 1
; COMPUTE_PGM_RSRC2:SCRATCH_EN: 0
; COMPUTE_PGM_RSRC2:USER_SGPR: 6
; COMPUTE_PGM_RSRC2:TRAP_HANDLER: 0
; COMPUTE_PGM_RSRC2:TGID_X_EN: 1
; COMPUTE_PGM_RSRC2:TGID_Y_EN: 0
; COMPUTE_PGM_RSRC2:TGID_Z_EN: 0
; COMPUTE_PGM_RSRC2:TIDIG_COMP_CNT: 0
; COMPUTE_PGM_RSRC3_GFX90A:ACCUM_OFFSET: 29
; COMPUTE_PGM_RSRC3_GFX90A:TG_SPLIT: 0
	.section	.text._ZN7rocprim17ROCPRIM_400000_NS6detail17trampoline_kernelINS0_14default_configENS1_25partition_config_selectorILNS1_17partition_subalgoE0EsNS0_10empty_typeEbEEZZNS1_14partition_implILS5_0ELb0ES3_jN6thrust23THRUST_200600_302600_NS6detail15normal_iteratorINSA_10device_ptrIsEEEEPS6_SG_NS0_5tupleIJSF_SF_EEENSH_IJSG_SG_EEES6_PlJ7is_evenIsEEEE10hipError_tPvRmT3_T4_T5_T6_T7_T9_mT8_P12ihipStream_tbDpT10_ENKUlT_T0_E_clISt17integral_constantIbLb1EES16_EEDaS11_S12_EUlS11_E_NS1_11comp_targetILNS1_3genE3ELNS1_11target_archE908ELNS1_3gpuE7ELNS1_3repE0EEENS1_30default_config_static_selectorELNS0_4arch9wavefront6targetE1EEEvT1_,"axG",@progbits,_ZN7rocprim17ROCPRIM_400000_NS6detail17trampoline_kernelINS0_14default_configENS1_25partition_config_selectorILNS1_17partition_subalgoE0EsNS0_10empty_typeEbEEZZNS1_14partition_implILS5_0ELb0ES3_jN6thrust23THRUST_200600_302600_NS6detail15normal_iteratorINSA_10device_ptrIsEEEEPS6_SG_NS0_5tupleIJSF_SF_EEENSH_IJSG_SG_EEES6_PlJ7is_evenIsEEEE10hipError_tPvRmT3_T4_T5_T6_T7_T9_mT8_P12ihipStream_tbDpT10_ENKUlT_T0_E_clISt17integral_constantIbLb1EES16_EEDaS11_S12_EUlS11_E_NS1_11comp_targetILNS1_3genE3ELNS1_11target_archE908ELNS1_3gpuE7ELNS1_3repE0EEENS1_30default_config_static_selectorELNS0_4arch9wavefront6targetE1EEEvT1_,comdat
	.protected	_ZN7rocprim17ROCPRIM_400000_NS6detail17trampoline_kernelINS0_14default_configENS1_25partition_config_selectorILNS1_17partition_subalgoE0EsNS0_10empty_typeEbEEZZNS1_14partition_implILS5_0ELb0ES3_jN6thrust23THRUST_200600_302600_NS6detail15normal_iteratorINSA_10device_ptrIsEEEEPS6_SG_NS0_5tupleIJSF_SF_EEENSH_IJSG_SG_EEES6_PlJ7is_evenIsEEEE10hipError_tPvRmT3_T4_T5_T6_T7_T9_mT8_P12ihipStream_tbDpT10_ENKUlT_T0_E_clISt17integral_constantIbLb1EES16_EEDaS11_S12_EUlS11_E_NS1_11comp_targetILNS1_3genE3ELNS1_11target_archE908ELNS1_3gpuE7ELNS1_3repE0EEENS1_30default_config_static_selectorELNS0_4arch9wavefront6targetE1EEEvT1_ ; -- Begin function _ZN7rocprim17ROCPRIM_400000_NS6detail17trampoline_kernelINS0_14default_configENS1_25partition_config_selectorILNS1_17partition_subalgoE0EsNS0_10empty_typeEbEEZZNS1_14partition_implILS5_0ELb0ES3_jN6thrust23THRUST_200600_302600_NS6detail15normal_iteratorINSA_10device_ptrIsEEEEPS6_SG_NS0_5tupleIJSF_SF_EEENSH_IJSG_SG_EEES6_PlJ7is_evenIsEEEE10hipError_tPvRmT3_T4_T5_T6_T7_T9_mT8_P12ihipStream_tbDpT10_ENKUlT_T0_E_clISt17integral_constantIbLb1EES16_EEDaS11_S12_EUlS11_E_NS1_11comp_targetILNS1_3genE3ELNS1_11target_archE908ELNS1_3gpuE7ELNS1_3repE0EEENS1_30default_config_static_selectorELNS0_4arch9wavefront6targetE1EEEvT1_
	.globl	_ZN7rocprim17ROCPRIM_400000_NS6detail17trampoline_kernelINS0_14default_configENS1_25partition_config_selectorILNS1_17partition_subalgoE0EsNS0_10empty_typeEbEEZZNS1_14partition_implILS5_0ELb0ES3_jN6thrust23THRUST_200600_302600_NS6detail15normal_iteratorINSA_10device_ptrIsEEEEPS6_SG_NS0_5tupleIJSF_SF_EEENSH_IJSG_SG_EEES6_PlJ7is_evenIsEEEE10hipError_tPvRmT3_T4_T5_T6_T7_T9_mT8_P12ihipStream_tbDpT10_ENKUlT_T0_E_clISt17integral_constantIbLb1EES16_EEDaS11_S12_EUlS11_E_NS1_11comp_targetILNS1_3genE3ELNS1_11target_archE908ELNS1_3gpuE7ELNS1_3repE0EEENS1_30default_config_static_selectorELNS0_4arch9wavefront6targetE1EEEvT1_
	.p2align	8
	.type	_ZN7rocprim17ROCPRIM_400000_NS6detail17trampoline_kernelINS0_14default_configENS1_25partition_config_selectorILNS1_17partition_subalgoE0EsNS0_10empty_typeEbEEZZNS1_14partition_implILS5_0ELb0ES3_jN6thrust23THRUST_200600_302600_NS6detail15normal_iteratorINSA_10device_ptrIsEEEEPS6_SG_NS0_5tupleIJSF_SF_EEENSH_IJSG_SG_EEES6_PlJ7is_evenIsEEEE10hipError_tPvRmT3_T4_T5_T6_T7_T9_mT8_P12ihipStream_tbDpT10_ENKUlT_T0_E_clISt17integral_constantIbLb1EES16_EEDaS11_S12_EUlS11_E_NS1_11comp_targetILNS1_3genE3ELNS1_11target_archE908ELNS1_3gpuE7ELNS1_3repE0EEENS1_30default_config_static_selectorELNS0_4arch9wavefront6targetE1EEEvT1_,@function
_ZN7rocprim17ROCPRIM_400000_NS6detail17trampoline_kernelINS0_14default_configENS1_25partition_config_selectorILNS1_17partition_subalgoE0EsNS0_10empty_typeEbEEZZNS1_14partition_implILS5_0ELb0ES3_jN6thrust23THRUST_200600_302600_NS6detail15normal_iteratorINSA_10device_ptrIsEEEEPS6_SG_NS0_5tupleIJSF_SF_EEENSH_IJSG_SG_EEES6_PlJ7is_evenIsEEEE10hipError_tPvRmT3_T4_T5_T6_T7_T9_mT8_P12ihipStream_tbDpT10_ENKUlT_T0_E_clISt17integral_constantIbLb1EES16_EEDaS11_S12_EUlS11_E_NS1_11comp_targetILNS1_3genE3ELNS1_11target_archE908ELNS1_3gpuE7ELNS1_3repE0EEENS1_30default_config_static_selectorELNS0_4arch9wavefront6targetE1EEEvT1_: ; @_ZN7rocprim17ROCPRIM_400000_NS6detail17trampoline_kernelINS0_14default_configENS1_25partition_config_selectorILNS1_17partition_subalgoE0EsNS0_10empty_typeEbEEZZNS1_14partition_implILS5_0ELb0ES3_jN6thrust23THRUST_200600_302600_NS6detail15normal_iteratorINSA_10device_ptrIsEEEEPS6_SG_NS0_5tupleIJSF_SF_EEENSH_IJSG_SG_EEES6_PlJ7is_evenIsEEEE10hipError_tPvRmT3_T4_T5_T6_T7_T9_mT8_P12ihipStream_tbDpT10_ENKUlT_T0_E_clISt17integral_constantIbLb1EES16_EEDaS11_S12_EUlS11_E_NS1_11comp_targetILNS1_3genE3ELNS1_11target_archE908ELNS1_3gpuE7ELNS1_3repE0EEENS1_30default_config_static_selectorELNS0_4arch9wavefront6targetE1EEEvT1_
; %bb.0:
	.section	.rodata,"a",@progbits
	.p2align	6, 0x0
	.amdhsa_kernel _ZN7rocprim17ROCPRIM_400000_NS6detail17trampoline_kernelINS0_14default_configENS1_25partition_config_selectorILNS1_17partition_subalgoE0EsNS0_10empty_typeEbEEZZNS1_14partition_implILS5_0ELb0ES3_jN6thrust23THRUST_200600_302600_NS6detail15normal_iteratorINSA_10device_ptrIsEEEEPS6_SG_NS0_5tupleIJSF_SF_EEENSH_IJSG_SG_EEES6_PlJ7is_evenIsEEEE10hipError_tPvRmT3_T4_T5_T6_T7_T9_mT8_P12ihipStream_tbDpT10_ENKUlT_T0_E_clISt17integral_constantIbLb1EES16_EEDaS11_S12_EUlS11_E_NS1_11comp_targetILNS1_3genE3ELNS1_11target_archE908ELNS1_3gpuE7ELNS1_3repE0EEENS1_30default_config_static_selectorELNS0_4arch9wavefront6targetE1EEEvT1_
		.amdhsa_group_segment_fixed_size 0
		.amdhsa_private_segment_fixed_size 0
		.amdhsa_kernarg_size 136
		.amdhsa_user_sgpr_count 6
		.amdhsa_user_sgpr_private_segment_buffer 1
		.amdhsa_user_sgpr_dispatch_ptr 0
		.amdhsa_user_sgpr_queue_ptr 0
		.amdhsa_user_sgpr_kernarg_segment_ptr 1
		.amdhsa_user_sgpr_dispatch_id 0
		.amdhsa_user_sgpr_flat_scratch_init 0
		.amdhsa_user_sgpr_kernarg_preload_length 0
		.amdhsa_user_sgpr_kernarg_preload_offset 0
		.amdhsa_user_sgpr_private_segment_size 0
		.amdhsa_uses_dynamic_stack 0
		.amdhsa_system_sgpr_private_segment_wavefront_offset 0
		.amdhsa_system_sgpr_workgroup_id_x 1
		.amdhsa_system_sgpr_workgroup_id_y 0
		.amdhsa_system_sgpr_workgroup_id_z 0
		.amdhsa_system_sgpr_workgroup_info 0
		.amdhsa_system_vgpr_workitem_id 0
		.amdhsa_next_free_vgpr 1
		.amdhsa_next_free_sgpr 0
		.amdhsa_accum_offset 4
		.amdhsa_reserve_vcc 0
		.amdhsa_reserve_flat_scratch 0
		.amdhsa_float_round_mode_32 0
		.amdhsa_float_round_mode_16_64 0
		.amdhsa_float_denorm_mode_32 3
		.amdhsa_float_denorm_mode_16_64 3
		.amdhsa_dx10_clamp 1
		.amdhsa_ieee_mode 1
		.amdhsa_fp16_overflow 0
		.amdhsa_tg_split 0
		.amdhsa_exception_fp_ieee_invalid_op 0
		.amdhsa_exception_fp_denorm_src 0
		.amdhsa_exception_fp_ieee_div_zero 0
		.amdhsa_exception_fp_ieee_overflow 0
		.amdhsa_exception_fp_ieee_underflow 0
		.amdhsa_exception_fp_ieee_inexact 0
		.amdhsa_exception_int_div_zero 0
	.end_amdhsa_kernel
	.section	.text._ZN7rocprim17ROCPRIM_400000_NS6detail17trampoline_kernelINS0_14default_configENS1_25partition_config_selectorILNS1_17partition_subalgoE0EsNS0_10empty_typeEbEEZZNS1_14partition_implILS5_0ELb0ES3_jN6thrust23THRUST_200600_302600_NS6detail15normal_iteratorINSA_10device_ptrIsEEEEPS6_SG_NS0_5tupleIJSF_SF_EEENSH_IJSG_SG_EEES6_PlJ7is_evenIsEEEE10hipError_tPvRmT3_T4_T5_T6_T7_T9_mT8_P12ihipStream_tbDpT10_ENKUlT_T0_E_clISt17integral_constantIbLb1EES16_EEDaS11_S12_EUlS11_E_NS1_11comp_targetILNS1_3genE3ELNS1_11target_archE908ELNS1_3gpuE7ELNS1_3repE0EEENS1_30default_config_static_selectorELNS0_4arch9wavefront6targetE1EEEvT1_,"axG",@progbits,_ZN7rocprim17ROCPRIM_400000_NS6detail17trampoline_kernelINS0_14default_configENS1_25partition_config_selectorILNS1_17partition_subalgoE0EsNS0_10empty_typeEbEEZZNS1_14partition_implILS5_0ELb0ES3_jN6thrust23THRUST_200600_302600_NS6detail15normal_iteratorINSA_10device_ptrIsEEEEPS6_SG_NS0_5tupleIJSF_SF_EEENSH_IJSG_SG_EEES6_PlJ7is_evenIsEEEE10hipError_tPvRmT3_T4_T5_T6_T7_T9_mT8_P12ihipStream_tbDpT10_ENKUlT_T0_E_clISt17integral_constantIbLb1EES16_EEDaS11_S12_EUlS11_E_NS1_11comp_targetILNS1_3genE3ELNS1_11target_archE908ELNS1_3gpuE7ELNS1_3repE0EEENS1_30default_config_static_selectorELNS0_4arch9wavefront6targetE1EEEvT1_,comdat
.Lfunc_end364:
	.size	_ZN7rocprim17ROCPRIM_400000_NS6detail17trampoline_kernelINS0_14default_configENS1_25partition_config_selectorILNS1_17partition_subalgoE0EsNS0_10empty_typeEbEEZZNS1_14partition_implILS5_0ELb0ES3_jN6thrust23THRUST_200600_302600_NS6detail15normal_iteratorINSA_10device_ptrIsEEEEPS6_SG_NS0_5tupleIJSF_SF_EEENSH_IJSG_SG_EEES6_PlJ7is_evenIsEEEE10hipError_tPvRmT3_T4_T5_T6_T7_T9_mT8_P12ihipStream_tbDpT10_ENKUlT_T0_E_clISt17integral_constantIbLb1EES16_EEDaS11_S12_EUlS11_E_NS1_11comp_targetILNS1_3genE3ELNS1_11target_archE908ELNS1_3gpuE7ELNS1_3repE0EEENS1_30default_config_static_selectorELNS0_4arch9wavefront6targetE1EEEvT1_, .Lfunc_end364-_ZN7rocprim17ROCPRIM_400000_NS6detail17trampoline_kernelINS0_14default_configENS1_25partition_config_selectorILNS1_17partition_subalgoE0EsNS0_10empty_typeEbEEZZNS1_14partition_implILS5_0ELb0ES3_jN6thrust23THRUST_200600_302600_NS6detail15normal_iteratorINSA_10device_ptrIsEEEEPS6_SG_NS0_5tupleIJSF_SF_EEENSH_IJSG_SG_EEES6_PlJ7is_evenIsEEEE10hipError_tPvRmT3_T4_T5_T6_T7_T9_mT8_P12ihipStream_tbDpT10_ENKUlT_T0_E_clISt17integral_constantIbLb1EES16_EEDaS11_S12_EUlS11_E_NS1_11comp_targetILNS1_3genE3ELNS1_11target_archE908ELNS1_3gpuE7ELNS1_3repE0EEENS1_30default_config_static_selectorELNS0_4arch9wavefront6targetE1EEEvT1_
                                        ; -- End function
	.section	.AMDGPU.csdata,"",@progbits
; Kernel info:
; codeLenInByte = 0
; NumSgprs: 4
; NumVgprs: 0
; NumAgprs: 0
; TotalNumVgprs: 0
; ScratchSize: 0
; MemoryBound: 0
; FloatMode: 240
; IeeeMode: 1
; LDSByteSize: 0 bytes/workgroup (compile time only)
; SGPRBlocks: 0
; VGPRBlocks: 0
; NumSGPRsForWavesPerEU: 4
; NumVGPRsForWavesPerEU: 1
; AccumOffset: 4
; Occupancy: 8
; WaveLimiterHint : 0
; COMPUTE_PGM_RSRC2:SCRATCH_EN: 0
; COMPUTE_PGM_RSRC2:USER_SGPR: 6
; COMPUTE_PGM_RSRC2:TRAP_HANDLER: 0
; COMPUTE_PGM_RSRC2:TGID_X_EN: 1
; COMPUTE_PGM_RSRC2:TGID_Y_EN: 0
; COMPUTE_PGM_RSRC2:TGID_Z_EN: 0
; COMPUTE_PGM_RSRC2:TIDIG_COMP_CNT: 0
; COMPUTE_PGM_RSRC3_GFX90A:ACCUM_OFFSET: 0
; COMPUTE_PGM_RSRC3_GFX90A:TG_SPLIT: 0
	.section	.text._ZN7rocprim17ROCPRIM_400000_NS6detail17trampoline_kernelINS0_14default_configENS1_25partition_config_selectorILNS1_17partition_subalgoE0EsNS0_10empty_typeEbEEZZNS1_14partition_implILS5_0ELb0ES3_jN6thrust23THRUST_200600_302600_NS6detail15normal_iteratorINSA_10device_ptrIsEEEEPS6_SG_NS0_5tupleIJSF_SF_EEENSH_IJSG_SG_EEES6_PlJ7is_evenIsEEEE10hipError_tPvRmT3_T4_T5_T6_T7_T9_mT8_P12ihipStream_tbDpT10_ENKUlT_T0_E_clISt17integral_constantIbLb1EES16_EEDaS11_S12_EUlS11_E_NS1_11comp_targetILNS1_3genE2ELNS1_11target_archE906ELNS1_3gpuE6ELNS1_3repE0EEENS1_30default_config_static_selectorELNS0_4arch9wavefront6targetE1EEEvT1_,"axG",@progbits,_ZN7rocprim17ROCPRIM_400000_NS6detail17trampoline_kernelINS0_14default_configENS1_25partition_config_selectorILNS1_17partition_subalgoE0EsNS0_10empty_typeEbEEZZNS1_14partition_implILS5_0ELb0ES3_jN6thrust23THRUST_200600_302600_NS6detail15normal_iteratorINSA_10device_ptrIsEEEEPS6_SG_NS0_5tupleIJSF_SF_EEENSH_IJSG_SG_EEES6_PlJ7is_evenIsEEEE10hipError_tPvRmT3_T4_T5_T6_T7_T9_mT8_P12ihipStream_tbDpT10_ENKUlT_T0_E_clISt17integral_constantIbLb1EES16_EEDaS11_S12_EUlS11_E_NS1_11comp_targetILNS1_3genE2ELNS1_11target_archE906ELNS1_3gpuE6ELNS1_3repE0EEENS1_30default_config_static_selectorELNS0_4arch9wavefront6targetE1EEEvT1_,comdat
	.protected	_ZN7rocprim17ROCPRIM_400000_NS6detail17trampoline_kernelINS0_14default_configENS1_25partition_config_selectorILNS1_17partition_subalgoE0EsNS0_10empty_typeEbEEZZNS1_14partition_implILS5_0ELb0ES3_jN6thrust23THRUST_200600_302600_NS6detail15normal_iteratorINSA_10device_ptrIsEEEEPS6_SG_NS0_5tupleIJSF_SF_EEENSH_IJSG_SG_EEES6_PlJ7is_evenIsEEEE10hipError_tPvRmT3_T4_T5_T6_T7_T9_mT8_P12ihipStream_tbDpT10_ENKUlT_T0_E_clISt17integral_constantIbLb1EES16_EEDaS11_S12_EUlS11_E_NS1_11comp_targetILNS1_3genE2ELNS1_11target_archE906ELNS1_3gpuE6ELNS1_3repE0EEENS1_30default_config_static_selectorELNS0_4arch9wavefront6targetE1EEEvT1_ ; -- Begin function _ZN7rocprim17ROCPRIM_400000_NS6detail17trampoline_kernelINS0_14default_configENS1_25partition_config_selectorILNS1_17partition_subalgoE0EsNS0_10empty_typeEbEEZZNS1_14partition_implILS5_0ELb0ES3_jN6thrust23THRUST_200600_302600_NS6detail15normal_iteratorINSA_10device_ptrIsEEEEPS6_SG_NS0_5tupleIJSF_SF_EEENSH_IJSG_SG_EEES6_PlJ7is_evenIsEEEE10hipError_tPvRmT3_T4_T5_T6_T7_T9_mT8_P12ihipStream_tbDpT10_ENKUlT_T0_E_clISt17integral_constantIbLb1EES16_EEDaS11_S12_EUlS11_E_NS1_11comp_targetILNS1_3genE2ELNS1_11target_archE906ELNS1_3gpuE6ELNS1_3repE0EEENS1_30default_config_static_selectorELNS0_4arch9wavefront6targetE1EEEvT1_
	.globl	_ZN7rocprim17ROCPRIM_400000_NS6detail17trampoline_kernelINS0_14default_configENS1_25partition_config_selectorILNS1_17partition_subalgoE0EsNS0_10empty_typeEbEEZZNS1_14partition_implILS5_0ELb0ES3_jN6thrust23THRUST_200600_302600_NS6detail15normal_iteratorINSA_10device_ptrIsEEEEPS6_SG_NS0_5tupleIJSF_SF_EEENSH_IJSG_SG_EEES6_PlJ7is_evenIsEEEE10hipError_tPvRmT3_T4_T5_T6_T7_T9_mT8_P12ihipStream_tbDpT10_ENKUlT_T0_E_clISt17integral_constantIbLb1EES16_EEDaS11_S12_EUlS11_E_NS1_11comp_targetILNS1_3genE2ELNS1_11target_archE906ELNS1_3gpuE6ELNS1_3repE0EEENS1_30default_config_static_selectorELNS0_4arch9wavefront6targetE1EEEvT1_
	.p2align	8
	.type	_ZN7rocprim17ROCPRIM_400000_NS6detail17trampoline_kernelINS0_14default_configENS1_25partition_config_selectorILNS1_17partition_subalgoE0EsNS0_10empty_typeEbEEZZNS1_14partition_implILS5_0ELb0ES3_jN6thrust23THRUST_200600_302600_NS6detail15normal_iteratorINSA_10device_ptrIsEEEEPS6_SG_NS0_5tupleIJSF_SF_EEENSH_IJSG_SG_EEES6_PlJ7is_evenIsEEEE10hipError_tPvRmT3_T4_T5_T6_T7_T9_mT8_P12ihipStream_tbDpT10_ENKUlT_T0_E_clISt17integral_constantIbLb1EES16_EEDaS11_S12_EUlS11_E_NS1_11comp_targetILNS1_3genE2ELNS1_11target_archE906ELNS1_3gpuE6ELNS1_3repE0EEENS1_30default_config_static_selectorELNS0_4arch9wavefront6targetE1EEEvT1_,@function
_ZN7rocprim17ROCPRIM_400000_NS6detail17trampoline_kernelINS0_14default_configENS1_25partition_config_selectorILNS1_17partition_subalgoE0EsNS0_10empty_typeEbEEZZNS1_14partition_implILS5_0ELb0ES3_jN6thrust23THRUST_200600_302600_NS6detail15normal_iteratorINSA_10device_ptrIsEEEEPS6_SG_NS0_5tupleIJSF_SF_EEENSH_IJSG_SG_EEES6_PlJ7is_evenIsEEEE10hipError_tPvRmT3_T4_T5_T6_T7_T9_mT8_P12ihipStream_tbDpT10_ENKUlT_T0_E_clISt17integral_constantIbLb1EES16_EEDaS11_S12_EUlS11_E_NS1_11comp_targetILNS1_3genE2ELNS1_11target_archE906ELNS1_3gpuE6ELNS1_3repE0EEENS1_30default_config_static_selectorELNS0_4arch9wavefront6targetE1EEEvT1_: ; @_ZN7rocprim17ROCPRIM_400000_NS6detail17trampoline_kernelINS0_14default_configENS1_25partition_config_selectorILNS1_17partition_subalgoE0EsNS0_10empty_typeEbEEZZNS1_14partition_implILS5_0ELb0ES3_jN6thrust23THRUST_200600_302600_NS6detail15normal_iteratorINSA_10device_ptrIsEEEEPS6_SG_NS0_5tupleIJSF_SF_EEENSH_IJSG_SG_EEES6_PlJ7is_evenIsEEEE10hipError_tPvRmT3_T4_T5_T6_T7_T9_mT8_P12ihipStream_tbDpT10_ENKUlT_T0_E_clISt17integral_constantIbLb1EES16_EEDaS11_S12_EUlS11_E_NS1_11comp_targetILNS1_3genE2ELNS1_11target_archE906ELNS1_3gpuE6ELNS1_3repE0EEENS1_30default_config_static_selectorELNS0_4arch9wavefront6targetE1EEEvT1_
; %bb.0:
	.section	.rodata,"a",@progbits
	.p2align	6, 0x0
	.amdhsa_kernel _ZN7rocprim17ROCPRIM_400000_NS6detail17trampoline_kernelINS0_14default_configENS1_25partition_config_selectorILNS1_17partition_subalgoE0EsNS0_10empty_typeEbEEZZNS1_14partition_implILS5_0ELb0ES3_jN6thrust23THRUST_200600_302600_NS6detail15normal_iteratorINSA_10device_ptrIsEEEEPS6_SG_NS0_5tupleIJSF_SF_EEENSH_IJSG_SG_EEES6_PlJ7is_evenIsEEEE10hipError_tPvRmT3_T4_T5_T6_T7_T9_mT8_P12ihipStream_tbDpT10_ENKUlT_T0_E_clISt17integral_constantIbLb1EES16_EEDaS11_S12_EUlS11_E_NS1_11comp_targetILNS1_3genE2ELNS1_11target_archE906ELNS1_3gpuE6ELNS1_3repE0EEENS1_30default_config_static_selectorELNS0_4arch9wavefront6targetE1EEEvT1_
		.amdhsa_group_segment_fixed_size 0
		.amdhsa_private_segment_fixed_size 0
		.amdhsa_kernarg_size 136
		.amdhsa_user_sgpr_count 6
		.amdhsa_user_sgpr_private_segment_buffer 1
		.amdhsa_user_sgpr_dispatch_ptr 0
		.amdhsa_user_sgpr_queue_ptr 0
		.amdhsa_user_sgpr_kernarg_segment_ptr 1
		.amdhsa_user_sgpr_dispatch_id 0
		.amdhsa_user_sgpr_flat_scratch_init 0
		.amdhsa_user_sgpr_kernarg_preload_length 0
		.amdhsa_user_sgpr_kernarg_preload_offset 0
		.amdhsa_user_sgpr_private_segment_size 0
		.amdhsa_uses_dynamic_stack 0
		.amdhsa_system_sgpr_private_segment_wavefront_offset 0
		.amdhsa_system_sgpr_workgroup_id_x 1
		.amdhsa_system_sgpr_workgroup_id_y 0
		.amdhsa_system_sgpr_workgroup_id_z 0
		.amdhsa_system_sgpr_workgroup_info 0
		.amdhsa_system_vgpr_workitem_id 0
		.amdhsa_next_free_vgpr 1
		.amdhsa_next_free_sgpr 0
		.amdhsa_accum_offset 4
		.amdhsa_reserve_vcc 0
		.amdhsa_reserve_flat_scratch 0
		.amdhsa_float_round_mode_32 0
		.amdhsa_float_round_mode_16_64 0
		.amdhsa_float_denorm_mode_32 3
		.amdhsa_float_denorm_mode_16_64 3
		.amdhsa_dx10_clamp 1
		.amdhsa_ieee_mode 1
		.amdhsa_fp16_overflow 0
		.amdhsa_tg_split 0
		.amdhsa_exception_fp_ieee_invalid_op 0
		.amdhsa_exception_fp_denorm_src 0
		.amdhsa_exception_fp_ieee_div_zero 0
		.amdhsa_exception_fp_ieee_overflow 0
		.amdhsa_exception_fp_ieee_underflow 0
		.amdhsa_exception_fp_ieee_inexact 0
		.amdhsa_exception_int_div_zero 0
	.end_amdhsa_kernel
	.section	.text._ZN7rocprim17ROCPRIM_400000_NS6detail17trampoline_kernelINS0_14default_configENS1_25partition_config_selectorILNS1_17partition_subalgoE0EsNS0_10empty_typeEbEEZZNS1_14partition_implILS5_0ELb0ES3_jN6thrust23THRUST_200600_302600_NS6detail15normal_iteratorINSA_10device_ptrIsEEEEPS6_SG_NS0_5tupleIJSF_SF_EEENSH_IJSG_SG_EEES6_PlJ7is_evenIsEEEE10hipError_tPvRmT3_T4_T5_T6_T7_T9_mT8_P12ihipStream_tbDpT10_ENKUlT_T0_E_clISt17integral_constantIbLb1EES16_EEDaS11_S12_EUlS11_E_NS1_11comp_targetILNS1_3genE2ELNS1_11target_archE906ELNS1_3gpuE6ELNS1_3repE0EEENS1_30default_config_static_selectorELNS0_4arch9wavefront6targetE1EEEvT1_,"axG",@progbits,_ZN7rocprim17ROCPRIM_400000_NS6detail17trampoline_kernelINS0_14default_configENS1_25partition_config_selectorILNS1_17partition_subalgoE0EsNS0_10empty_typeEbEEZZNS1_14partition_implILS5_0ELb0ES3_jN6thrust23THRUST_200600_302600_NS6detail15normal_iteratorINSA_10device_ptrIsEEEEPS6_SG_NS0_5tupleIJSF_SF_EEENSH_IJSG_SG_EEES6_PlJ7is_evenIsEEEE10hipError_tPvRmT3_T4_T5_T6_T7_T9_mT8_P12ihipStream_tbDpT10_ENKUlT_T0_E_clISt17integral_constantIbLb1EES16_EEDaS11_S12_EUlS11_E_NS1_11comp_targetILNS1_3genE2ELNS1_11target_archE906ELNS1_3gpuE6ELNS1_3repE0EEENS1_30default_config_static_selectorELNS0_4arch9wavefront6targetE1EEEvT1_,comdat
.Lfunc_end365:
	.size	_ZN7rocprim17ROCPRIM_400000_NS6detail17trampoline_kernelINS0_14default_configENS1_25partition_config_selectorILNS1_17partition_subalgoE0EsNS0_10empty_typeEbEEZZNS1_14partition_implILS5_0ELb0ES3_jN6thrust23THRUST_200600_302600_NS6detail15normal_iteratorINSA_10device_ptrIsEEEEPS6_SG_NS0_5tupleIJSF_SF_EEENSH_IJSG_SG_EEES6_PlJ7is_evenIsEEEE10hipError_tPvRmT3_T4_T5_T6_T7_T9_mT8_P12ihipStream_tbDpT10_ENKUlT_T0_E_clISt17integral_constantIbLb1EES16_EEDaS11_S12_EUlS11_E_NS1_11comp_targetILNS1_3genE2ELNS1_11target_archE906ELNS1_3gpuE6ELNS1_3repE0EEENS1_30default_config_static_selectorELNS0_4arch9wavefront6targetE1EEEvT1_, .Lfunc_end365-_ZN7rocprim17ROCPRIM_400000_NS6detail17trampoline_kernelINS0_14default_configENS1_25partition_config_selectorILNS1_17partition_subalgoE0EsNS0_10empty_typeEbEEZZNS1_14partition_implILS5_0ELb0ES3_jN6thrust23THRUST_200600_302600_NS6detail15normal_iteratorINSA_10device_ptrIsEEEEPS6_SG_NS0_5tupleIJSF_SF_EEENSH_IJSG_SG_EEES6_PlJ7is_evenIsEEEE10hipError_tPvRmT3_T4_T5_T6_T7_T9_mT8_P12ihipStream_tbDpT10_ENKUlT_T0_E_clISt17integral_constantIbLb1EES16_EEDaS11_S12_EUlS11_E_NS1_11comp_targetILNS1_3genE2ELNS1_11target_archE906ELNS1_3gpuE6ELNS1_3repE0EEENS1_30default_config_static_selectorELNS0_4arch9wavefront6targetE1EEEvT1_
                                        ; -- End function
	.section	.AMDGPU.csdata,"",@progbits
; Kernel info:
; codeLenInByte = 0
; NumSgprs: 4
; NumVgprs: 0
; NumAgprs: 0
; TotalNumVgprs: 0
; ScratchSize: 0
; MemoryBound: 0
; FloatMode: 240
; IeeeMode: 1
; LDSByteSize: 0 bytes/workgroup (compile time only)
; SGPRBlocks: 0
; VGPRBlocks: 0
; NumSGPRsForWavesPerEU: 4
; NumVGPRsForWavesPerEU: 1
; AccumOffset: 4
; Occupancy: 8
; WaveLimiterHint : 0
; COMPUTE_PGM_RSRC2:SCRATCH_EN: 0
; COMPUTE_PGM_RSRC2:USER_SGPR: 6
; COMPUTE_PGM_RSRC2:TRAP_HANDLER: 0
; COMPUTE_PGM_RSRC2:TGID_X_EN: 1
; COMPUTE_PGM_RSRC2:TGID_Y_EN: 0
; COMPUTE_PGM_RSRC2:TGID_Z_EN: 0
; COMPUTE_PGM_RSRC2:TIDIG_COMP_CNT: 0
; COMPUTE_PGM_RSRC3_GFX90A:ACCUM_OFFSET: 0
; COMPUTE_PGM_RSRC3_GFX90A:TG_SPLIT: 0
	.section	.text._ZN7rocprim17ROCPRIM_400000_NS6detail17trampoline_kernelINS0_14default_configENS1_25partition_config_selectorILNS1_17partition_subalgoE0EsNS0_10empty_typeEbEEZZNS1_14partition_implILS5_0ELb0ES3_jN6thrust23THRUST_200600_302600_NS6detail15normal_iteratorINSA_10device_ptrIsEEEEPS6_SG_NS0_5tupleIJSF_SF_EEENSH_IJSG_SG_EEES6_PlJ7is_evenIsEEEE10hipError_tPvRmT3_T4_T5_T6_T7_T9_mT8_P12ihipStream_tbDpT10_ENKUlT_T0_E_clISt17integral_constantIbLb1EES16_EEDaS11_S12_EUlS11_E_NS1_11comp_targetILNS1_3genE10ELNS1_11target_archE1200ELNS1_3gpuE4ELNS1_3repE0EEENS1_30default_config_static_selectorELNS0_4arch9wavefront6targetE1EEEvT1_,"axG",@progbits,_ZN7rocprim17ROCPRIM_400000_NS6detail17trampoline_kernelINS0_14default_configENS1_25partition_config_selectorILNS1_17partition_subalgoE0EsNS0_10empty_typeEbEEZZNS1_14partition_implILS5_0ELb0ES3_jN6thrust23THRUST_200600_302600_NS6detail15normal_iteratorINSA_10device_ptrIsEEEEPS6_SG_NS0_5tupleIJSF_SF_EEENSH_IJSG_SG_EEES6_PlJ7is_evenIsEEEE10hipError_tPvRmT3_T4_T5_T6_T7_T9_mT8_P12ihipStream_tbDpT10_ENKUlT_T0_E_clISt17integral_constantIbLb1EES16_EEDaS11_S12_EUlS11_E_NS1_11comp_targetILNS1_3genE10ELNS1_11target_archE1200ELNS1_3gpuE4ELNS1_3repE0EEENS1_30default_config_static_selectorELNS0_4arch9wavefront6targetE1EEEvT1_,comdat
	.protected	_ZN7rocprim17ROCPRIM_400000_NS6detail17trampoline_kernelINS0_14default_configENS1_25partition_config_selectorILNS1_17partition_subalgoE0EsNS0_10empty_typeEbEEZZNS1_14partition_implILS5_0ELb0ES3_jN6thrust23THRUST_200600_302600_NS6detail15normal_iteratorINSA_10device_ptrIsEEEEPS6_SG_NS0_5tupleIJSF_SF_EEENSH_IJSG_SG_EEES6_PlJ7is_evenIsEEEE10hipError_tPvRmT3_T4_T5_T6_T7_T9_mT8_P12ihipStream_tbDpT10_ENKUlT_T0_E_clISt17integral_constantIbLb1EES16_EEDaS11_S12_EUlS11_E_NS1_11comp_targetILNS1_3genE10ELNS1_11target_archE1200ELNS1_3gpuE4ELNS1_3repE0EEENS1_30default_config_static_selectorELNS0_4arch9wavefront6targetE1EEEvT1_ ; -- Begin function _ZN7rocprim17ROCPRIM_400000_NS6detail17trampoline_kernelINS0_14default_configENS1_25partition_config_selectorILNS1_17partition_subalgoE0EsNS0_10empty_typeEbEEZZNS1_14partition_implILS5_0ELb0ES3_jN6thrust23THRUST_200600_302600_NS6detail15normal_iteratorINSA_10device_ptrIsEEEEPS6_SG_NS0_5tupleIJSF_SF_EEENSH_IJSG_SG_EEES6_PlJ7is_evenIsEEEE10hipError_tPvRmT3_T4_T5_T6_T7_T9_mT8_P12ihipStream_tbDpT10_ENKUlT_T0_E_clISt17integral_constantIbLb1EES16_EEDaS11_S12_EUlS11_E_NS1_11comp_targetILNS1_3genE10ELNS1_11target_archE1200ELNS1_3gpuE4ELNS1_3repE0EEENS1_30default_config_static_selectorELNS0_4arch9wavefront6targetE1EEEvT1_
	.globl	_ZN7rocprim17ROCPRIM_400000_NS6detail17trampoline_kernelINS0_14default_configENS1_25partition_config_selectorILNS1_17partition_subalgoE0EsNS0_10empty_typeEbEEZZNS1_14partition_implILS5_0ELb0ES3_jN6thrust23THRUST_200600_302600_NS6detail15normal_iteratorINSA_10device_ptrIsEEEEPS6_SG_NS0_5tupleIJSF_SF_EEENSH_IJSG_SG_EEES6_PlJ7is_evenIsEEEE10hipError_tPvRmT3_T4_T5_T6_T7_T9_mT8_P12ihipStream_tbDpT10_ENKUlT_T0_E_clISt17integral_constantIbLb1EES16_EEDaS11_S12_EUlS11_E_NS1_11comp_targetILNS1_3genE10ELNS1_11target_archE1200ELNS1_3gpuE4ELNS1_3repE0EEENS1_30default_config_static_selectorELNS0_4arch9wavefront6targetE1EEEvT1_
	.p2align	8
	.type	_ZN7rocprim17ROCPRIM_400000_NS6detail17trampoline_kernelINS0_14default_configENS1_25partition_config_selectorILNS1_17partition_subalgoE0EsNS0_10empty_typeEbEEZZNS1_14partition_implILS5_0ELb0ES3_jN6thrust23THRUST_200600_302600_NS6detail15normal_iteratorINSA_10device_ptrIsEEEEPS6_SG_NS0_5tupleIJSF_SF_EEENSH_IJSG_SG_EEES6_PlJ7is_evenIsEEEE10hipError_tPvRmT3_T4_T5_T6_T7_T9_mT8_P12ihipStream_tbDpT10_ENKUlT_T0_E_clISt17integral_constantIbLb1EES16_EEDaS11_S12_EUlS11_E_NS1_11comp_targetILNS1_3genE10ELNS1_11target_archE1200ELNS1_3gpuE4ELNS1_3repE0EEENS1_30default_config_static_selectorELNS0_4arch9wavefront6targetE1EEEvT1_,@function
_ZN7rocprim17ROCPRIM_400000_NS6detail17trampoline_kernelINS0_14default_configENS1_25partition_config_selectorILNS1_17partition_subalgoE0EsNS0_10empty_typeEbEEZZNS1_14partition_implILS5_0ELb0ES3_jN6thrust23THRUST_200600_302600_NS6detail15normal_iteratorINSA_10device_ptrIsEEEEPS6_SG_NS0_5tupleIJSF_SF_EEENSH_IJSG_SG_EEES6_PlJ7is_evenIsEEEE10hipError_tPvRmT3_T4_T5_T6_T7_T9_mT8_P12ihipStream_tbDpT10_ENKUlT_T0_E_clISt17integral_constantIbLb1EES16_EEDaS11_S12_EUlS11_E_NS1_11comp_targetILNS1_3genE10ELNS1_11target_archE1200ELNS1_3gpuE4ELNS1_3repE0EEENS1_30default_config_static_selectorELNS0_4arch9wavefront6targetE1EEEvT1_: ; @_ZN7rocprim17ROCPRIM_400000_NS6detail17trampoline_kernelINS0_14default_configENS1_25partition_config_selectorILNS1_17partition_subalgoE0EsNS0_10empty_typeEbEEZZNS1_14partition_implILS5_0ELb0ES3_jN6thrust23THRUST_200600_302600_NS6detail15normal_iteratorINSA_10device_ptrIsEEEEPS6_SG_NS0_5tupleIJSF_SF_EEENSH_IJSG_SG_EEES6_PlJ7is_evenIsEEEE10hipError_tPvRmT3_T4_T5_T6_T7_T9_mT8_P12ihipStream_tbDpT10_ENKUlT_T0_E_clISt17integral_constantIbLb1EES16_EEDaS11_S12_EUlS11_E_NS1_11comp_targetILNS1_3genE10ELNS1_11target_archE1200ELNS1_3gpuE4ELNS1_3repE0EEENS1_30default_config_static_selectorELNS0_4arch9wavefront6targetE1EEEvT1_
; %bb.0:
	.section	.rodata,"a",@progbits
	.p2align	6, 0x0
	.amdhsa_kernel _ZN7rocprim17ROCPRIM_400000_NS6detail17trampoline_kernelINS0_14default_configENS1_25partition_config_selectorILNS1_17partition_subalgoE0EsNS0_10empty_typeEbEEZZNS1_14partition_implILS5_0ELb0ES3_jN6thrust23THRUST_200600_302600_NS6detail15normal_iteratorINSA_10device_ptrIsEEEEPS6_SG_NS0_5tupleIJSF_SF_EEENSH_IJSG_SG_EEES6_PlJ7is_evenIsEEEE10hipError_tPvRmT3_T4_T5_T6_T7_T9_mT8_P12ihipStream_tbDpT10_ENKUlT_T0_E_clISt17integral_constantIbLb1EES16_EEDaS11_S12_EUlS11_E_NS1_11comp_targetILNS1_3genE10ELNS1_11target_archE1200ELNS1_3gpuE4ELNS1_3repE0EEENS1_30default_config_static_selectorELNS0_4arch9wavefront6targetE1EEEvT1_
		.amdhsa_group_segment_fixed_size 0
		.amdhsa_private_segment_fixed_size 0
		.amdhsa_kernarg_size 136
		.amdhsa_user_sgpr_count 6
		.amdhsa_user_sgpr_private_segment_buffer 1
		.amdhsa_user_sgpr_dispatch_ptr 0
		.amdhsa_user_sgpr_queue_ptr 0
		.amdhsa_user_sgpr_kernarg_segment_ptr 1
		.amdhsa_user_sgpr_dispatch_id 0
		.amdhsa_user_sgpr_flat_scratch_init 0
		.amdhsa_user_sgpr_kernarg_preload_length 0
		.amdhsa_user_sgpr_kernarg_preload_offset 0
		.amdhsa_user_sgpr_private_segment_size 0
		.amdhsa_uses_dynamic_stack 0
		.amdhsa_system_sgpr_private_segment_wavefront_offset 0
		.amdhsa_system_sgpr_workgroup_id_x 1
		.amdhsa_system_sgpr_workgroup_id_y 0
		.amdhsa_system_sgpr_workgroup_id_z 0
		.amdhsa_system_sgpr_workgroup_info 0
		.amdhsa_system_vgpr_workitem_id 0
		.amdhsa_next_free_vgpr 1
		.amdhsa_next_free_sgpr 0
		.amdhsa_accum_offset 4
		.amdhsa_reserve_vcc 0
		.amdhsa_reserve_flat_scratch 0
		.amdhsa_float_round_mode_32 0
		.amdhsa_float_round_mode_16_64 0
		.amdhsa_float_denorm_mode_32 3
		.amdhsa_float_denorm_mode_16_64 3
		.amdhsa_dx10_clamp 1
		.amdhsa_ieee_mode 1
		.amdhsa_fp16_overflow 0
		.amdhsa_tg_split 0
		.amdhsa_exception_fp_ieee_invalid_op 0
		.amdhsa_exception_fp_denorm_src 0
		.amdhsa_exception_fp_ieee_div_zero 0
		.amdhsa_exception_fp_ieee_overflow 0
		.amdhsa_exception_fp_ieee_underflow 0
		.amdhsa_exception_fp_ieee_inexact 0
		.amdhsa_exception_int_div_zero 0
	.end_amdhsa_kernel
	.section	.text._ZN7rocprim17ROCPRIM_400000_NS6detail17trampoline_kernelINS0_14default_configENS1_25partition_config_selectorILNS1_17partition_subalgoE0EsNS0_10empty_typeEbEEZZNS1_14partition_implILS5_0ELb0ES3_jN6thrust23THRUST_200600_302600_NS6detail15normal_iteratorINSA_10device_ptrIsEEEEPS6_SG_NS0_5tupleIJSF_SF_EEENSH_IJSG_SG_EEES6_PlJ7is_evenIsEEEE10hipError_tPvRmT3_T4_T5_T6_T7_T9_mT8_P12ihipStream_tbDpT10_ENKUlT_T0_E_clISt17integral_constantIbLb1EES16_EEDaS11_S12_EUlS11_E_NS1_11comp_targetILNS1_3genE10ELNS1_11target_archE1200ELNS1_3gpuE4ELNS1_3repE0EEENS1_30default_config_static_selectorELNS0_4arch9wavefront6targetE1EEEvT1_,"axG",@progbits,_ZN7rocprim17ROCPRIM_400000_NS6detail17trampoline_kernelINS0_14default_configENS1_25partition_config_selectorILNS1_17partition_subalgoE0EsNS0_10empty_typeEbEEZZNS1_14partition_implILS5_0ELb0ES3_jN6thrust23THRUST_200600_302600_NS6detail15normal_iteratorINSA_10device_ptrIsEEEEPS6_SG_NS0_5tupleIJSF_SF_EEENSH_IJSG_SG_EEES6_PlJ7is_evenIsEEEE10hipError_tPvRmT3_T4_T5_T6_T7_T9_mT8_P12ihipStream_tbDpT10_ENKUlT_T0_E_clISt17integral_constantIbLb1EES16_EEDaS11_S12_EUlS11_E_NS1_11comp_targetILNS1_3genE10ELNS1_11target_archE1200ELNS1_3gpuE4ELNS1_3repE0EEENS1_30default_config_static_selectorELNS0_4arch9wavefront6targetE1EEEvT1_,comdat
.Lfunc_end366:
	.size	_ZN7rocprim17ROCPRIM_400000_NS6detail17trampoline_kernelINS0_14default_configENS1_25partition_config_selectorILNS1_17partition_subalgoE0EsNS0_10empty_typeEbEEZZNS1_14partition_implILS5_0ELb0ES3_jN6thrust23THRUST_200600_302600_NS6detail15normal_iteratorINSA_10device_ptrIsEEEEPS6_SG_NS0_5tupleIJSF_SF_EEENSH_IJSG_SG_EEES6_PlJ7is_evenIsEEEE10hipError_tPvRmT3_T4_T5_T6_T7_T9_mT8_P12ihipStream_tbDpT10_ENKUlT_T0_E_clISt17integral_constantIbLb1EES16_EEDaS11_S12_EUlS11_E_NS1_11comp_targetILNS1_3genE10ELNS1_11target_archE1200ELNS1_3gpuE4ELNS1_3repE0EEENS1_30default_config_static_selectorELNS0_4arch9wavefront6targetE1EEEvT1_, .Lfunc_end366-_ZN7rocprim17ROCPRIM_400000_NS6detail17trampoline_kernelINS0_14default_configENS1_25partition_config_selectorILNS1_17partition_subalgoE0EsNS0_10empty_typeEbEEZZNS1_14partition_implILS5_0ELb0ES3_jN6thrust23THRUST_200600_302600_NS6detail15normal_iteratorINSA_10device_ptrIsEEEEPS6_SG_NS0_5tupleIJSF_SF_EEENSH_IJSG_SG_EEES6_PlJ7is_evenIsEEEE10hipError_tPvRmT3_T4_T5_T6_T7_T9_mT8_P12ihipStream_tbDpT10_ENKUlT_T0_E_clISt17integral_constantIbLb1EES16_EEDaS11_S12_EUlS11_E_NS1_11comp_targetILNS1_3genE10ELNS1_11target_archE1200ELNS1_3gpuE4ELNS1_3repE0EEENS1_30default_config_static_selectorELNS0_4arch9wavefront6targetE1EEEvT1_
                                        ; -- End function
	.section	.AMDGPU.csdata,"",@progbits
; Kernel info:
; codeLenInByte = 0
; NumSgprs: 4
; NumVgprs: 0
; NumAgprs: 0
; TotalNumVgprs: 0
; ScratchSize: 0
; MemoryBound: 0
; FloatMode: 240
; IeeeMode: 1
; LDSByteSize: 0 bytes/workgroup (compile time only)
; SGPRBlocks: 0
; VGPRBlocks: 0
; NumSGPRsForWavesPerEU: 4
; NumVGPRsForWavesPerEU: 1
; AccumOffset: 4
; Occupancy: 8
; WaveLimiterHint : 0
; COMPUTE_PGM_RSRC2:SCRATCH_EN: 0
; COMPUTE_PGM_RSRC2:USER_SGPR: 6
; COMPUTE_PGM_RSRC2:TRAP_HANDLER: 0
; COMPUTE_PGM_RSRC2:TGID_X_EN: 1
; COMPUTE_PGM_RSRC2:TGID_Y_EN: 0
; COMPUTE_PGM_RSRC2:TGID_Z_EN: 0
; COMPUTE_PGM_RSRC2:TIDIG_COMP_CNT: 0
; COMPUTE_PGM_RSRC3_GFX90A:ACCUM_OFFSET: 0
; COMPUTE_PGM_RSRC3_GFX90A:TG_SPLIT: 0
	.section	.text._ZN7rocprim17ROCPRIM_400000_NS6detail17trampoline_kernelINS0_14default_configENS1_25partition_config_selectorILNS1_17partition_subalgoE0EsNS0_10empty_typeEbEEZZNS1_14partition_implILS5_0ELb0ES3_jN6thrust23THRUST_200600_302600_NS6detail15normal_iteratorINSA_10device_ptrIsEEEEPS6_SG_NS0_5tupleIJSF_SF_EEENSH_IJSG_SG_EEES6_PlJ7is_evenIsEEEE10hipError_tPvRmT3_T4_T5_T6_T7_T9_mT8_P12ihipStream_tbDpT10_ENKUlT_T0_E_clISt17integral_constantIbLb1EES16_EEDaS11_S12_EUlS11_E_NS1_11comp_targetILNS1_3genE9ELNS1_11target_archE1100ELNS1_3gpuE3ELNS1_3repE0EEENS1_30default_config_static_selectorELNS0_4arch9wavefront6targetE1EEEvT1_,"axG",@progbits,_ZN7rocprim17ROCPRIM_400000_NS6detail17trampoline_kernelINS0_14default_configENS1_25partition_config_selectorILNS1_17partition_subalgoE0EsNS0_10empty_typeEbEEZZNS1_14partition_implILS5_0ELb0ES3_jN6thrust23THRUST_200600_302600_NS6detail15normal_iteratorINSA_10device_ptrIsEEEEPS6_SG_NS0_5tupleIJSF_SF_EEENSH_IJSG_SG_EEES6_PlJ7is_evenIsEEEE10hipError_tPvRmT3_T4_T5_T6_T7_T9_mT8_P12ihipStream_tbDpT10_ENKUlT_T0_E_clISt17integral_constantIbLb1EES16_EEDaS11_S12_EUlS11_E_NS1_11comp_targetILNS1_3genE9ELNS1_11target_archE1100ELNS1_3gpuE3ELNS1_3repE0EEENS1_30default_config_static_selectorELNS0_4arch9wavefront6targetE1EEEvT1_,comdat
	.protected	_ZN7rocprim17ROCPRIM_400000_NS6detail17trampoline_kernelINS0_14default_configENS1_25partition_config_selectorILNS1_17partition_subalgoE0EsNS0_10empty_typeEbEEZZNS1_14partition_implILS5_0ELb0ES3_jN6thrust23THRUST_200600_302600_NS6detail15normal_iteratorINSA_10device_ptrIsEEEEPS6_SG_NS0_5tupleIJSF_SF_EEENSH_IJSG_SG_EEES6_PlJ7is_evenIsEEEE10hipError_tPvRmT3_T4_T5_T6_T7_T9_mT8_P12ihipStream_tbDpT10_ENKUlT_T0_E_clISt17integral_constantIbLb1EES16_EEDaS11_S12_EUlS11_E_NS1_11comp_targetILNS1_3genE9ELNS1_11target_archE1100ELNS1_3gpuE3ELNS1_3repE0EEENS1_30default_config_static_selectorELNS0_4arch9wavefront6targetE1EEEvT1_ ; -- Begin function _ZN7rocprim17ROCPRIM_400000_NS6detail17trampoline_kernelINS0_14default_configENS1_25partition_config_selectorILNS1_17partition_subalgoE0EsNS0_10empty_typeEbEEZZNS1_14partition_implILS5_0ELb0ES3_jN6thrust23THRUST_200600_302600_NS6detail15normal_iteratorINSA_10device_ptrIsEEEEPS6_SG_NS0_5tupleIJSF_SF_EEENSH_IJSG_SG_EEES6_PlJ7is_evenIsEEEE10hipError_tPvRmT3_T4_T5_T6_T7_T9_mT8_P12ihipStream_tbDpT10_ENKUlT_T0_E_clISt17integral_constantIbLb1EES16_EEDaS11_S12_EUlS11_E_NS1_11comp_targetILNS1_3genE9ELNS1_11target_archE1100ELNS1_3gpuE3ELNS1_3repE0EEENS1_30default_config_static_selectorELNS0_4arch9wavefront6targetE1EEEvT1_
	.globl	_ZN7rocprim17ROCPRIM_400000_NS6detail17trampoline_kernelINS0_14default_configENS1_25partition_config_selectorILNS1_17partition_subalgoE0EsNS0_10empty_typeEbEEZZNS1_14partition_implILS5_0ELb0ES3_jN6thrust23THRUST_200600_302600_NS6detail15normal_iteratorINSA_10device_ptrIsEEEEPS6_SG_NS0_5tupleIJSF_SF_EEENSH_IJSG_SG_EEES6_PlJ7is_evenIsEEEE10hipError_tPvRmT3_T4_T5_T6_T7_T9_mT8_P12ihipStream_tbDpT10_ENKUlT_T0_E_clISt17integral_constantIbLb1EES16_EEDaS11_S12_EUlS11_E_NS1_11comp_targetILNS1_3genE9ELNS1_11target_archE1100ELNS1_3gpuE3ELNS1_3repE0EEENS1_30default_config_static_selectorELNS0_4arch9wavefront6targetE1EEEvT1_
	.p2align	8
	.type	_ZN7rocprim17ROCPRIM_400000_NS6detail17trampoline_kernelINS0_14default_configENS1_25partition_config_selectorILNS1_17partition_subalgoE0EsNS0_10empty_typeEbEEZZNS1_14partition_implILS5_0ELb0ES3_jN6thrust23THRUST_200600_302600_NS6detail15normal_iteratorINSA_10device_ptrIsEEEEPS6_SG_NS0_5tupleIJSF_SF_EEENSH_IJSG_SG_EEES6_PlJ7is_evenIsEEEE10hipError_tPvRmT3_T4_T5_T6_T7_T9_mT8_P12ihipStream_tbDpT10_ENKUlT_T0_E_clISt17integral_constantIbLb1EES16_EEDaS11_S12_EUlS11_E_NS1_11comp_targetILNS1_3genE9ELNS1_11target_archE1100ELNS1_3gpuE3ELNS1_3repE0EEENS1_30default_config_static_selectorELNS0_4arch9wavefront6targetE1EEEvT1_,@function
_ZN7rocprim17ROCPRIM_400000_NS6detail17trampoline_kernelINS0_14default_configENS1_25partition_config_selectorILNS1_17partition_subalgoE0EsNS0_10empty_typeEbEEZZNS1_14partition_implILS5_0ELb0ES3_jN6thrust23THRUST_200600_302600_NS6detail15normal_iteratorINSA_10device_ptrIsEEEEPS6_SG_NS0_5tupleIJSF_SF_EEENSH_IJSG_SG_EEES6_PlJ7is_evenIsEEEE10hipError_tPvRmT3_T4_T5_T6_T7_T9_mT8_P12ihipStream_tbDpT10_ENKUlT_T0_E_clISt17integral_constantIbLb1EES16_EEDaS11_S12_EUlS11_E_NS1_11comp_targetILNS1_3genE9ELNS1_11target_archE1100ELNS1_3gpuE3ELNS1_3repE0EEENS1_30default_config_static_selectorELNS0_4arch9wavefront6targetE1EEEvT1_: ; @_ZN7rocprim17ROCPRIM_400000_NS6detail17trampoline_kernelINS0_14default_configENS1_25partition_config_selectorILNS1_17partition_subalgoE0EsNS0_10empty_typeEbEEZZNS1_14partition_implILS5_0ELb0ES3_jN6thrust23THRUST_200600_302600_NS6detail15normal_iteratorINSA_10device_ptrIsEEEEPS6_SG_NS0_5tupleIJSF_SF_EEENSH_IJSG_SG_EEES6_PlJ7is_evenIsEEEE10hipError_tPvRmT3_T4_T5_T6_T7_T9_mT8_P12ihipStream_tbDpT10_ENKUlT_T0_E_clISt17integral_constantIbLb1EES16_EEDaS11_S12_EUlS11_E_NS1_11comp_targetILNS1_3genE9ELNS1_11target_archE1100ELNS1_3gpuE3ELNS1_3repE0EEENS1_30default_config_static_selectorELNS0_4arch9wavefront6targetE1EEEvT1_
; %bb.0:
	.section	.rodata,"a",@progbits
	.p2align	6, 0x0
	.amdhsa_kernel _ZN7rocprim17ROCPRIM_400000_NS6detail17trampoline_kernelINS0_14default_configENS1_25partition_config_selectorILNS1_17partition_subalgoE0EsNS0_10empty_typeEbEEZZNS1_14partition_implILS5_0ELb0ES3_jN6thrust23THRUST_200600_302600_NS6detail15normal_iteratorINSA_10device_ptrIsEEEEPS6_SG_NS0_5tupleIJSF_SF_EEENSH_IJSG_SG_EEES6_PlJ7is_evenIsEEEE10hipError_tPvRmT3_T4_T5_T6_T7_T9_mT8_P12ihipStream_tbDpT10_ENKUlT_T0_E_clISt17integral_constantIbLb1EES16_EEDaS11_S12_EUlS11_E_NS1_11comp_targetILNS1_3genE9ELNS1_11target_archE1100ELNS1_3gpuE3ELNS1_3repE0EEENS1_30default_config_static_selectorELNS0_4arch9wavefront6targetE1EEEvT1_
		.amdhsa_group_segment_fixed_size 0
		.amdhsa_private_segment_fixed_size 0
		.amdhsa_kernarg_size 136
		.amdhsa_user_sgpr_count 6
		.amdhsa_user_sgpr_private_segment_buffer 1
		.amdhsa_user_sgpr_dispatch_ptr 0
		.amdhsa_user_sgpr_queue_ptr 0
		.amdhsa_user_sgpr_kernarg_segment_ptr 1
		.amdhsa_user_sgpr_dispatch_id 0
		.amdhsa_user_sgpr_flat_scratch_init 0
		.amdhsa_user_sgpr_kernarg_preload_length 0
		.amdhsa_user_sgpr_kernarg_preload_offset 0
		.amdhsa_user_sgpr_private_segment_size 0
		.amdhsa_uses_dynamic_stack 0
		.amdhsa_system_sgpr_private_segment_wavefront_offset 0
		.amdhsa_system_sgpr_workgroup_id_x 1
		.amdhsa_system_sgpr_workgroup_id_y 0
		.amdhsa_system_sgpr_workgroup_id_z 0
		.amdhsa_system_sgpr_workgroup_info 0
		.amdhsa_system_vgpr_workitem_id 0
		.amdhsa_next_free_vgpr 1
		.amdhsa_next_free_sgpr 0
		.amdhsa_accum_offset 4
		.amdhsa_reserve_vcc 0
		.amdhsa_reserve_flat_scratch 0
		.amdhsa_float_round_mode_32 0
		.amdhsa_float_round_mode_16_64 0
		.amdhsa_float_denorm_mode_32 3
		.amdhsa_float_denorm_mode_16_64 3
		.amdhsa_dx10_clamp 1
		.amdhsa_ieee_mode 1
		.amdhsa_fp16_overflow 0
		.amdhsa_tg_split 0
		.amdhsa_exception_fp_ieee_invalid_op 0
		.amdhsa_exception_fp_denorm_src 0
		.amdhsa_exception_fp_ieee_div_zero 0
		.amdhsa_exception_fp_ieee_overflow 0
		.amdhsa_exception_fp_ieee_underflow 0
		.amdhsa_exception_fp_ieee_inexact 0
		.amdhsa_exception_int_div_zero 0
	.end_amdhsa_kernel
	.section	.text._ZN7rocprim17ROCPRIM_400000_NS6detail17trampoline_kernelINS0_14default_configENS1_25partition_config_selectorILNS1_17partition_subalgoE0EsNS0_10empty_typeEbEEZZNS1_14partition_implILS5_0ELb0ES3_jN6thrust23THRUST_200600_302600_NS6detail15normal_iteratorINSA_10device_ptrIsEEEEPS6_SG_NS0_5tupleIJSF_SF_EEENSH_IJSG_SG_EEES6_PlJ7is_evenIsEEEE10hipError_tPvRmT3_T4_T5_T6_T7_T9_mT8_P12ihipStream_tbDpT10_ENKUlT_T0_E_clISt17integral_constantIbLb1EES16_EEDaS11_S12_EUlS11_E_NS1_11comp_targetILNS1_3genE9ELNS1_11target_archE1100ELNS1_3gpuE3ELNS1_3repE0EEENS1_30default_config_static_selectorELNS0_4arch9wavefront6targetE1EEEvT1_,"axG",@progbits,_ZN7rocprim17ROCPRIM_400000_NS6detail17trampoline_kernelINS0_14default_configENS1_25partition_config_selectorILNS1_17partition_subalgoE0EsNS0_10empty_typeEbEEZZNS1_14partition_implILS5_0ELb0ES3_jN6thrust23THRUST_200600_302600_NS6detail15normal_iteratorINSA_10device_ptrIsEEEEPS6_SG_NS0_5tupleIJSF_SF_EEENSH_IJSG_SG_EEES6_PlJ7is_evenIsEEEE10hipError_tPvRmT3_T4_T5_T6_T7_T9_mT8_P12ihipStream_tbDpT10_ENKUlT_T0_E_clISt17integral_constantIbLb1EES16_EEDaS11_S12_EUlS11_E_NS1_11comp_targetILNS1_3genE9ELNS1_11target_archE1100ELNS1_3gpuE3ELNS1_3repE0EEENS1_30default_config_static_selectorELNS0_4arch9wavefront6targetE1EEEvT1_,comdat
.Lfunc_end367:
	.size	_ZN7rocprim17ROCPRIM_400000_NS6detail17trampoline_kernelINS0_14default_configENS1_25partition_config_selectorILNS1_17partition_subalgoE0EsNS0_10empty_typeEbEEZZNS1_14partition_implILS5_0ELb0ES3_jN6thrust23THRUST_200600_302600_NS6detail15normal_iteratorINSA_10device_ptrIsEEEEPS6_SG_NS0_5tupleIJSF_SF_EEENSH_IJSG_SG_EEES6_PlJ7is_evenIsEEEE10hipError_tPvRmT3_T4_T5_T6_T7_T9_mT8_P12ihipStream_tbDpT10_ENKUlT_T0_E_clISt17integral_constantIbLb1EES16_EEDaS11_S12_EUlS11_E_NS1_11comp_targetILNS1_3genE9ELNS1_11target_archE1100ELNS1_3gpuE3ELNS1_3repE0EEENS1_30default_config_static_selectorELNS0_4arch9wavefront6targetE1EEEvT1_, .Lfunc_end367-_ZN7rocprim17ROCPRIM_400000_NS6detail17trampoline_kernelINS0_14default_configENS1_25partition_config_selectorILNS1_17partition_subalgoE0EsNS0_10empty_typeEbEEZZNS1_14partition_implILS5_0ELb0ES3_jN6thrust23THRUST_200600_302600_NS6detail15normal_iteratorINSA_10device_ptrIsEEEEPS6_SG_NS0_5tupleIJSF_SF_EEENSH_IJSG_SG_EEES6_PlJ7is_evenIsEEEE10hipError_tPvRmT3_T4_T5_T6_T7_T9_mT8_P12ihipStream_tbDpT10_ENKUlT_T0_E_clISt17integral_constantIbLb1EES16_EEDaS11_S12_EUlS11_E_NS1_11comp_targetILNS1_3genE9ELNS1_11target_archE1100ELNS1_3gpuE3ELNS1_3repE0EEENS1_30default_config_static_selectorELNS0_4arch9wavefront6targetE1EEEvT1_
                                        ; -- End function
	.section	.AMDGPU.csdata,"",@progbits
; Kernel info:
; codeLenInByte = 0
; NumSgprs: 4
; NumVgprs: 0
; NumAgprs: 0
; TotalNumVgprs: 0
; ScratchSize: 0
; MemoryBound: 0
; FloatMode: 240
; IeeeMode: 1
; LDSByteSize: 0 bytes/workgroup (compile time only)
; SGPRBlocks: 0
; VGPRBlocks: 0
; NumSGPRsForWavesPerEU: 4
; NumVGPRsForWavesPerEU: 1
; AccumOffset: 4
; Occupancy: 8
; WaveLimiterHint : 0
; COMPUTE_PGM_RSRC2:SCRATCH_EN: 0
; COMPUTE_PGM_RSRC2:USER_SGPR: 6
; COMPUTE_PGM_RSRC2:TRAP_HANDLER: 0
; COMPUTE_PGM_RSRC2:TGID_X_EN: 1
; COMPUTE_PGM_RSRC2:TGID_Y_EN: 0
; COMPUTE_PGM_RSRC2:TGID_Z_EN: 0
; COMPUTE_PGM_RSRC2:TIDIG_COMP_CNT: 0
; COMPUTE_PGM_RSRC3_GFX90A:ACCUM_OFFSET: 0
; COMPUTE_PGM_RSRC3_GFX90A:TG_SPLIT: 0
	.section	.text._ZN7rocprim17ROCPRIM_400000_NS6detail17trampoline_kernelINS0_14default_configENS1_25partition_config_selectorILNS1_17partition_subalgoE0EsNS0_10empty_typeEbEEZZNS1_14partition_implILS5_0ELb0ES3_jN6thrust23THRUST_200600_302600_NS6detail15normal_iteratorINSA_10device_ptrIsEEEEPS6_SG_NS0_5tupleIJSF_SF_EEENSH_IJSG_SG_EEES6_PlJ7is_evenIsEEEE10hipError_tPvRmT3_T4_T5_T6_T7_T9_mT8_P12ihipStream_tbDpT10_ENKUlT_T0_E_clISt17integral_constantIbLb1EES16_EEDaS11_S12_EUlS11_E_NS1_11comp_targetILNS1_3genE8ELNS1_11target_archE1030ELNS1_3gpuE2ELNS1_3repE0EEENS1_30default_config_static_selectorELNS0_4arch9wavefront6targetE1EEEvT1_,"axG",@progbits,_ZN7rocprim17ROCPRIM_400000_NS6detail17trampoline_kernelINS0_14default_configENS1_25partition_config_selectorILNS1_17partition_subalgoE0EsNS0_10empty_typeEbEEZZNS1_14partition_implILS5_0ELb0ES3_jN6thrust23THRUST_200600_302600_NS6detail15normal_iteratorINSA_10device_ptrIsEEEEPS6_SG_NS0_5tupleIJSF_SF_EEENSH_IJSG_SG_EEES6_PlJ7is_evenIsEEEE10hipError_tPvRmT3_T4_T5_T6_T7_T9_mT8_P12ihipStream_tbDpT10_ENKUlT_T0_E_clISt17integral_constantIbLb1EES16_EEDaS11_S12_EUlS11_E_NS1_11comp_targetILNS1_3genE8ELNS1_11target_archE1030ELNS1_3gpuE2ELNS1_3repE0EEENS1_30default_config_static_selectorELNS0_4arch9wavefront6targetE1EEEvT1_,comdat
	.protected	_ZN7rocprim17ROCPRIM_400000_NS6detail17trampoline_kernelINS0_14default_configENS1_25partition_config_selectorILNS1_17partition_subalgoE0EsNS0_10empty_typeEbEEZZNS1_14partition_implILS5_0ELb0ES3_jN6thrust23THRUST_200600_302600_NS6detail15normal_iteratorINSA_10device_ptrIsEEEEPS6_SG_NS0_5tupleIJSF_SF_EEENSH_IJSG_SG_EEES6_PlJ7is_evenIsEEEE10hipError_tPvRmT3_T4_T5_T6_T7_T9_mT8_P12ihipStream_tbDpT10_ENKUlT_T0_E_clISt17integral_constantIbLb1EES16_EEDaS11_S12_EUlS11_E_NS1_11comp_targetILNS1_3genE8ELNS1_11target_archE1030ELNS1_3gpuE2ELNS1_3repE0EEENS1_30default_config_static_selectorELNS0_4arch9wavefront6targetE1EEEvT1_ ; -- Begin function _ZN7rocprim17ROCPRIM_400000_NS6detail17trampoline_kernelINS0_14default_configENS1_25partition_config_selectorILNS1_17partition_subalgoE0EsNS0_10empty_typeEbEEZZNS1_14partition_implILS5_0ELb0ES3_jN6thrust23THRUST_200600_302600_NS6detail15normal_iteratorINSA_10device_ptrIsEEEEPS6_SG_NS0_5tupleIJSF_SF_EEENSH_IJSG_SG_EEES6_PlJ7is_evenIsEEEE10hipError_tPvRmT3_T4_T5_T6_T7_T9_mT8_P12ihipStream_tbDpT10_ENKUlT_T0_E_clISt17integral_constantIbLb1EES16_EEDaS11_S12_EUlS11_E_NS1_11comp_targetILNS1_3genE8ELNS1_11target_archE1030ELNS1_3gpuE2ELNS1_3repE0EEENS1_30default_config_static_selectorELNS0_4arch9wavefront6targetE1EEEvT1_
	.globl	_ZN7rocprim17ROCPRIM_400000_NS6detail17trampoline_kernelINS0_14default_configENS1_25partition_config_selectorILNS1_17partition_subalgoE0EsNS0_10empty_typeEbEEZZNS1_14partition_implILS5_0ELb0ES3_jN6thrust23THRUST_200600_302600_NS6detail15normal_iteratorINSA_10device_ptrIsEEEEPS6_SG_NS0_5tupleIJSF_SF_EEENSH_IJSG_SG_EEES6_PlJ7is_evenIsEEEE10hipError_tPvRmT3_T4_T5_T6_T7_T9_mT8_P12ihipStream_tbDpT10_ENKUlT_T0_E_clISt17integral_constantIbLb1EES16_EEDaS11_S12_EUlS11_E_NS1_11comp_targetILNS1_3genE8ELNS1_11target_archE1030ELNS1_3gpuE2ELNS1_3repE0EEENS1_30default_config_static_selectorELNS0_4arch9wavefront6targetE1EEEvT1_
	.p2align	8
	.type	_ZN7rocprim17ROCPRIM_400000_NS6detail17trampoline_kernelINS0_14default_configENS1_25partition_config_selectorILNS1_17partition_subalgoE0EsNS0_10empty_typeEbEEZZNS1_14partition_implILS5_0ELb0ES3_jN6thrust23THRUST_200600_302600_NS6detail15normal_iteratorINSA_10device_ptrIsEEEEPS6_SG_NS0_5tupleIJSF_SF_EEENSH_IJSG_SG_EEES6_PlJ7is_evenIsEEEE10hipError_tPvRmT3_T4_T5_T6_T7_T9_mT8_P12ihipStream_tbDpT10_ENKUlT_T0_E_clISt17integral_constantIbLb1EES16_EEDaS11_S12_EUlS11_E_NS1_11comp_targetILNS1_3genE8ELNS1_11target_archE1030ELNS1_3gpuE2ELNS1_3repE0EEENS1_30default_config_static_selectorELNS0_4arch9wavefront6targetE1EEEvT1_,@function
_ZN7rocprim17ROCPRIM_400000_NS6detail17trampoline_kernelINS0_14default_configENS1_25partition_config_selectorILNS1_17partition_subalgoE0EsNS0_10empty_typeEbEEZZNS1_14partition_implILS5_0ELb0ES3_jN6thrust23THRUST_200600_302600_NS6detail15normal_iteratorINSA_10device_ptrIsEEEEPS6_SG_NS0_5tupleIJSF_SF_EEENSH_IJSG_SG_EEES6_PlJ7is_evenIsEEEE10hipError_tPvRmT3_T4_T5_T6_T7_T9_mT8_P12ihipStream_tbDpT10_ENKUlT_T0_E_clISt17integral_constantIbLb1EES16_EEDaS11_S12_EUlS11_E_NS1_11comp_targetILNS1_3genE8ELNS1_11target_archE1030ELNS1_3gpuE2ELNS1_3repE0EEENS1_30default_config_static_selectorELNS0_4arch9wavefront6targetE1EEEvT1_: ; @_ZN7rocprim17ROCPRIM_400000_NS6detail17trampoline_kernelINS0_14default_configENS1_25partition_config_selectorILNS1_17partition_subalgoE0EsNS0_10empty_typeEbEEZZNS1_14partition_implILS5_0ELb0ES3_jN6thrust23THRUST_200600_302600_NS6detail15normal_iteratorINSA_10device_ptrIsEEEEPS6_SG_NS0_5tupleIJSF_SF_EEENSH_IJSG_SG_EEES6_PlJ7is_evenIsEEEE10hipError_tPvRmT3_T4_T5_T6_T7_T9_mT8_P12ihipStream_tbDpT10_ENKUlT_T0_E_clISt17integral_constantIbLb1EES16_EEDaS11_S12_EUlS11_E_NS1_11comp_targetILNS1_3genE8ELNS1_11target_archE1030ELNS1_3gpuE2ELNS1_3repE0EEENS1_30default_config_static_selectorELNS0_4arch9wavefront6targetE1EEEvT1_
; %bb.0:
	.section	.rodata,"a",@progbits
	.p2align	6, 0x0
	.amdhsa_kernel _ZN7rocprim17ROCPRIM_400000_NS6detail17trampoline_kernelINS0_14default_configENS1_25partition_config_selectorILNS1_17partition_subalgoE0EsNS0_10empty_typeEbEEZZNS1_14partition_implILS5_0ELb0ES3_jN6thrust23THRUST_200600_302600_NS6detail15normal_iteratorINSA_10device_ptrIsEEEEPS6_SG_NS0_5tupleIJSF_SF_EEENSH_IJSG_SG_EEES6_PlJ7is_evenIsEEEE10hipError_tPvRmT3_T4_T5_T6_T7_T9_mT8_P12ihipStream_tbDpT10_ENKUlT_T0_E_clISt17integral_constantIbLb1EES16_EEDaS11_S12_EUlS11_E_NS1_11comp_targetILNS1_3genE8ELNS1_11target_archE1030ELNS1_3gpuE2ELNS1_3repE0EEENS1_30default_config_static_selectorELNS0_4arch9wavefront6targetE1EEEvT1_
		.amdhsa_group_segment_fixed_size 0
		.amdhsa_private_segment_fixed_size 0
		.amdhsa_kernarg_size 136
		.amdhsa_user_sgpr_count 6
		.amdhsa_user_sgpr_private_segment_buffer 1
		.amdhsa_user_sgpr_dispatch_ptr 0
		.amdhsa_user_sgpr_queue_ptr 0
		.amdhsa_user_sgpr_kernarg_segment_ptr 1
		.amdhsa_user_sgpr_dispatch_id 0
		.amdhsa_user_sgpr_flat_scratch_init 0
		.amdhsa_user_sgpr_kernarg_preload_length 0
		.amdhsa_user_sgpr_kernarg_preload_offset 0
		.amdhsa_user_sgpr_private_segment_size 0
		.amdhsa_uses_dynamic_stack 0
		.amdhsa_system_sgpr_private_segment_wavefront_offset 0
		.amdhsa_system_sgpr_workgroup_id_x 1
		.amdhsa_system_sgpr_workgroup_id_y 0
		.amdhsa_system_sgpr_workgroup_id_z 0
		.amdhsa_system_sgpr_workgroup_info 0
		.amdhsa_system_vgpr_workitem_id 0
		.amdhsa_next_free_vgpr 1
		.amdhsa_next_free_sgpr 0
		.amdhsa_accum_offset 4
		.amdhsa_reserve_vcc 0
		.amdhsa_reserve_flat_scratch 0
		.amdhsa_float_round_mode_32 0
		.amdhsa_float_round_mode_16_64 0
		.amdhsa_float_denorm_mode_32 3
		.amdhsa_float_denorm_mode_16_64 3
		.amdhsa_dx10_clamp 1
		.amdhsa_ieee_mode 1
		.amdhsa_fp16_overflow 0
		.amdhsa_tg_split 0
		.amdhsa_exception_fp_ieee_invalid_op 0
		.amdhsa_exception_fp_denorm_src 0
		.amdhsa_exception_fp_ieee_div_zero 0
		.amdhsa_exception_fp_ieee_overflow 0
		.amdhsa_exception_fp_ieee_underflow 0
		.amdhsa_exception_fp_ieee_inexact 0
		.amdhsa_exception_int_div_zero 0
	.end_amdhsa_kernel
	.section	.text._ZN7rocprim17ROCPRIM_400000_NS6detail17trampoline_kernelINS0_14default_configENS1_25partition_config_selectorILNS1_17partition_subalgoE0EsNS0_10empty_typeEbEEZZNS1_14partition_implILS5_0ELb0ES3_jN6thrust23THRUST_200600_302600_NS6detail15normal_iteratorINSA_10device_ptrIsEEEEPS6_SG_NS0_5tupleIJSF_SF_EEENSH_IJSG_SG_EEES6_PlJ7is_evenIsEEEE10hipError_tPvRmT3_T4_T5_T6_T7_T9_mT8_P12ihipStream_tbDpT10_ENKUlT_T0_E_clISt17integral_constantIbLb1EES16_EEDaS11_S12_EUlS11_E_NS1_11comp_targetILNS1_3genE8ELNS1_11target_archE1030ELNS1_3gpuE2ELNS1_3repE0EEENS1_30default_config_static_selectorELNS0_4arch9wavefront6targetE1EEEvT1_,"axG",@progbits,_ZN7rocprim17ROCPRIM_400000_NS6detail17trampoline_kernelINS0_14default_configENS1_25partition_config_selectorILNS1_17partition_subalgoE0EsNS0_10empty_typeEbEEZZNS1_14partition_implILS5_0ELb0ES3_jN6thrust23THRUST_200600_302600_NS6detail15normal_iteratorINSA_10device_ptrIsEEEEPS6_SG_NS0_5tupleIJSF_SF_EEENSH_IJSG_SG_EEES6_PlJ7is_evenIsEEEE10hipError_tPvRmT3_T4_T5_T6_T7_T9_mT8_P12ihipStream_tbDpT10_ENKUlT_T0_E_clISt17integral_constantIbLb1EES16_EEDaS11_S12_EUlS11_E_NS1_11comp_targetILNS1_3genE8ELNS1_11target_archE1030ELNS1_3gpuE2ELNS1_3repE0EEENS1_30default_config_static_selectorELNS0_4arch9wavefront6targetE1EEEvT1_,comdat
.Lfunc_end368:
	.size	_ZN7rocprim17ROCPRIM_400000_NS6detail17trampoline_kernelINS0_14default_configENS1_25partition_config_selectorILNS1_17partition_subalgoE0EsNS0_10empty_typeEbEEZZNS1_14partition_implILS5_0ELb0ES3_jN6thrust23THRUST_200600_302600_NS6detail15normal_iteratorINSA_10device_ptrIsEEEEPS6_SG_NS0_5tupleIJSF_SF_EEENSH_IJSG_SG_EEES6_PlJ7is_evenIsEEEE10hipError_tPvRmT3_T4_T5_T6_T7_T9_mT8_P12ihipStream_tbDpT10_ENKUlT_T0_E_clISt17integral_constantIbLb1EES16_EEDaS11_S12_EUlS11_E_NS1_11comp_targetILNS1_3genE8ELNS1_11target_archE1030ELNS1_3gpuE2ELNS1_3repE0EEENS1_30default_config_static_selectorELNS0_4arch9wavefront6targetE1EEEvT1_, .Lfunc_end368-_ZN7rocprim17ROCPRIM_400000_NS6detail17trampoline_kernelINS0_14default_configENS1_25partition_config_selectorILNS1_17partition_subalgoE0EsNS0_10empty_typeEbEEZZNS1_14partition_implILS5_0ELb0ES3_jN6thrust23THRUST_200600_302600_NS6detail15normal_iteratorINSA_10device_ptrIsEEEEPS6_SG_NS0_5tupleIJSF_SF_EEENSH_IJSG_SG_EEES6_PlJ7is_evenIsEEEE10hipError_tPvRmT3_T4_T5_T6_T7_T9_mT8_P12ihipStream_tbDpT10_ENKUlT_T0_E_clISt17integral_constantIbLb1EES16_EEDaS11_S12_EUlS11_E_NS1_11comp_targetILNS1_3genE8ELNS1_11target_archE1030ELNS1_3gpuE2ELNS1_3repE0EEENS1_30default_config_static_selectorELNS0_4arch9wavefront6targetE1EEEvT1_
                                        ; -- End function
	.section	.AMDGPU.csdata,"",@progbits
; Kernel info:
; codeLenInByte = 0
; NumSgprs: 4
; NumVgprs: 0
; NumAgprs: 0
; TotalNumVgprs: 0
; ScratchSize: 0
; MemoryBound: 0
; FloatMode: 240
; IeeeMode: 1
; LDSByteSize: 0 bytes/workgroup (compile time only)
; SGPRBlocks: 0
; VGPRBlocks: 0
; NumSGPRsForWavesPerEU: 4
; NumVGPRsForWavesPerEU: 1
; AccumOffset: 4
; Occupancy: 8
; WaveLimiterHint : 0
; COMPUTE_PGM_RSRC2:SCRATCH_EN: 0
; COMPUTE_PGM_RSRC2:USER_SGPR: 6
; COMPUTE_PGM_RSRC2:TRAP_HANDLER: 0
; COMPUTE_PGM_RSRC2:TGID_X_EN: 1
; COMPUTE_PGM_RSRC2:TGID_Y_EN: 0
; COMPUTE_PGM_RSRC2:TGID_Z_EN: 0
; COMPUTE_PGM_RSRC2:TIDIG_COMP_CNT: 0
; COMPUTE_PGM_RSRC3_GFX90A:ACCUM_OFFSET: 0
; COMPUTE_PGM_RSRC3_GFX90A:TG_SPLIT: 0
	.section	.text._ZN7rocprim17ROCPRIM_400000_NS6detail17trampoline_kernelINS0_14default_configENS1_25partition_config_selectorILNS1_17partition_subalgoE0EsNS0_10empty_typeEbEEZZNS1_14partition_implILS5_0ELb0ES3_jN6thrust23THRUST_200600_302600_NS6detail15normal_iteratorINSA_10device_ptrIsEEEEPS6_SG_NS0_5tupleIJSF_SF_EEENSH_IJSG_SG_EEES6_PlJ7is_evenIsEEEE10hipError_tPvRmT3_T4_T5_T6_T7_T9_mT8_P12ihipStream_tbDpT10_ENKUlT_T0_E_clISt17integral_constantIbLb1EES15_IbLb0EEEEDaS11_S12_EUlS11_E_NS1_11comp_targetILNS1_3genE0ELNS1_11target_archE4294967295ELNS1_3gpuE0ELNS1_3repE0EEENS1_30default_config_static_selectorELNS0_4arch9wavefront6targetE1EEEvT1_,"axG",@progbits,_ZN7rocprim17ROCPRIM_400000_NS6detail17trampoline_kernelINS0_14default_configENS1_25partition_config_selectorILNS1_17partition_subalgoE0EsNS0_10empty_typeEbEEZZNS1_14partition_implILS5_0ELb0ES3_jN6thrust23THRUST_200600_302600_NS6detail15normal_iteratorINSA_10device_ptrIsEEEEPS6_SG_NS0_5tupleIJSF_SF_EEENSH_IJSG_SG_EEES6_PlJ7is_evenIsEEEE10hipError_tPvRmT3_T4_T5_T6_T7_T9_mT8_P12ihipStream_tbDpT10_ENKUlT_T0_E_clISt17integral_constantIbLb1EES15_IbLb0EEEEDaS11_S12_EUlS11_E_NS1_11comp_targetILNS1_3genE0ELNS1_11target_archE4294967295ELNS1_3gpuE0ELNS1_3repE0EEENS1_30default_config_static_selectorELNS0_4arch9wavefront6targetE1EEEvT1_,comdat
	.protected	_ZN7rocprim17ROCPRIM_400000_NS6detail17trampoline_kernelINS0_14default_configENS1_25partition_config_selectorILNS1_17partition_subalgoE0EsNS0_10empty_typeEbEEZZNS1_14partition_implILS5_0ELb0ES3_jN6thrust23THRUST_200600_302600_NS6detail15normal_iteratorINSA_10device_ptrIsEEEEPS6_SG_NS0_5tupleIJSF_SF_EEENSH_IJSG_SG_EEES6_PlJ7is_evenIsEEEE10hipError_tPvRmT3_T4_T5_T6_T7_T9_mT8_P12ihipStream_tbDpT10_ENKUlT_T0_E_clISt17integral_constantIbLb1EES15_IbLb0EEEEDaS11_S12_EUlS11_E_NS1_11comp_targetILNS1_3genE0ELNS1_11target_archE4294967295ELNS1_3gpuE0ELNS1_3repE0EEENS1_30default_config_static_selectorELNS0_4arch9wavefront6targetE1EEEvT1_ ; -- Begin function _ZN7rocprim17ROCPRIM_400000_NS6detail17trampoline_kernelINS0_14default_configENS1_25partition_config_selectorILNS1_17partition_subalgoE0EsNS0_10empty_typeEbEEZZNS1_14partition_implILS5_0ELb0ES3_jN6thrust23THRUST_200600_302600_NS6detail15normal_iteratorINSA_10device_ptrIsEEEEPS6_SG_NS0_5tupleIJSF_SF_EEENSH_IJSG_SG_EEES6_PlJ7is_evenIsEEEE10hipError_tPvRmT3_T4_T5_T6_T7_T9_mT8_P12ihipStream_tbDpT10_ENKUlT_T0_E_clISt17integral_constantIbLb1EES15_IbLb0EEEEDaS11_S12_EUlS11_E_NS1_11comp_targetILNS1_3genE0ELNS1_11target_archE4294967295ELNS1_3gpuE0ELNS1_3repE0EEENS1_30default_config_static_selectorELNS0_4arch9wavefront6targetE1EEEvT1_
	.globl	_ZN7rocprim17ROCPRIM_400000_NS6detail17trampoline_kernelINS0_14default_configENS1_25partition_config_selectorILNS1_17partition_subalgoE0EsNS0_10empty_typeEbEEZZNS1_14partition_implILS5_0ELb0ES3_jN6thrust23THRUST_200600_302600_NS6detail15normal_iteratorINSA_10device_ptrIsEEEEPS6_SG_NS0_5tupleIJSF_SF_EEENSH_IJSG_SG_EEES6_PlJ7is_evenIsEEEE10hipError_tPvRmT3_T4_T5_T6_T7_T9_mT8_P12ihipStream_tbDpT10_ENKUlT_T0_E_clISt17integral_constantIbLb1EES15_IbLb0EEEEDaS11_S12_EUlS11_E_NS1_11comp_targetILNS1_3genE0ELNS1_11target_archE4294967295ELNS1_3gpuE0ELNS1_3repE0EEENS1_30default_config_static_selectorELNS0_4arch9wavefront6targetE1EEEvT1_
	.p2align	8
	.type	_ZN7rocprim17ROCPRIM_400000_NS6detail17trampoline_kernelINS0_14default_configENS1_25partition_config_selectorILNS1_17partition_subalgoE0EsNS0_10empty_typeEbEEZZNS1_14partition_implILS5_0ELb0ES3_jN6thrust23THRUST_200600_302600_NS6detail15normal_iteratorINSA_10device_ptrIsEEEEPS6_SG_NS0_5tupleIJSF_SF_EEENSH_IJSG_SG_EEES6_PlJ7is_evenIsEEEE10hipError_tPvRmT3_T4_T5_T6_T7_T9_mT8_P12ihipStream_tbDpT10_ENKUlT_T0_E_clISt17integral_constantIbLb1EES15_IbLb0EEEEDaS11_S12_EUlS11_E_NS1_11comp_targetILNS1_3genE0ELNS1_11target_archE4294967295ELNS1_3gpuE0ELNS1_3repE0EEENS1_30default_config_static_selectorELNS0_4arch9wavefront6targetE1EEEvT1_,@function
_ZN7rocprim17ROCPRIM_400000_NS6detail17trampoline_kernelINS0_14default_configENS1_25partition_config_selectorILNS1_17partition_subalgoE0EsNS0_10empty_typeEbEEZZNS1_14partition_implILS5_0ELb0ES3_jN6thrust23THRUST_200600_302600_NS6detail15normal_iteratorINSA_10device_ptrIsEEEEPS6_SG_NS0_5tupleIJSF_SF_EEENSH_IJSG_SG_EEES6_PlJ7is_evenIsEEEE10hipError_tPvRmT3_T4_T5_T6_T7_T9_mT8_P12ihipStream_tbDpT10_ENKUlT_T0_E_clISt17integral_constantIbLb1EES15_IbLb0EEEEDaS11_S12_EUlS11_E_NS1_11comp_targetILNS1_3genE0ELNS1_11target_archE4294967295ELNS1_3gpuE0ELNS1_3repE0EEENS1_30default_config_static_selectorELNS0_4arch9wavefront6targetE1EEEvT1_: ; @_ZN7rocprim17ROCPRIM_400000_NS6detail17trampoline_kernelINS0_14default_configENS1_25partition_config_selectorILNS1_17partition_subalgoE0EsNS0_10empty_typeEbEEZZNS1_14partition_implILS5_0ELb0ES3_jN6thrust23THRUST_200600_302600_NS6detail15normal_iteratorINSA_10device_ptrIsEEEEPS6_SG_NS0_5tupleIJSF_SF_EEENSH_IJSG_SG_EEES6_PlJ7is_evenIsEEEE10hipError_tPvRmT3_T4_T5_T6_T7_T9_mT8_P12ihipStream_tbDpT10_ENKUlT_T0_E_clISt17integral_constantIbLb1EES15_IbLb0EEEEDaS11_S12_EUlS11_E_NS1_11comp_targetILNS1_3genE0ELNS1_11target_archE4294967295ELNS1_3gpuE0ELNS1_3repE0EEENS1_30default_config_static_selectorELNS0_4arch9wavefront6targetE1EEEvT1_
; %bb.0:
	.section	.rodata,"a",@progbits
	.p2align	6, 0x0
	.amdhsa_kernel _ZN7rocprim17ROCPRIM_400000_NS6detail17trampoline_kernelINS0_14default_configENS1_25partition_config_selectorILNS1_17partition_subalgoE0EsNS0_10empty_typeEbEEZZNS1_14partition_implILS5_0ELb0ES3_jN6thrust23THRUST_200600_302600_NS6detail15normal_iteratorINSA_10device_ptrIsEEEEPS6_SG_NS0_5tupleIJSF_SF_EEENSH_IJSG_SG_EEES6_PlJ7is_evenIsEEEE10hipError_tPvRmT3_T4_T5_T6_T7_T9_mT8_P12ihipStream_tbDpT10_ENKUlT_T0_E_clISt17integral_constantIbLb1EES15_IbLb0EEEEDaS11_S12_EUlS11_E_NS1_11comp_targetILNS1_3genE0ELNS1_11target_archE4294967295ELNS1_3gpuE0ELNS1_3repE0EEENS1_30default_config_static_selectorELNS0_4arch9wavefront6targetE1EEEvT1_
		.amdhsa_group_segment_fixed_size 0
		.amdhsa_private_segment_fixed_size 0
		.amdhsa_kernarg_size 120
		.amdhsa_user_sgpr_count 6
		.amdhsa_user_sgpr_private_segment_buffer 1
		.amdhsa_user_sgpr_dispatch_ptr 0
		.amdhsa_user_sgpr_queue_ptr 0
		.amdhsa_user_sgpr_kernarg_segment_ptr 1
		.amdhsa_user_sgpr_dispatch_id 0
		.amdhsa_user_sgpr_flat_scratch_init 0
		.amdhsa_user_sgpr_kernarg_preload_length 0
		.amdhsa_user_sgpr_kernarg_preload_offset 0
		.amdhsa_user_sgpr_private_segment_size 0
		.amdhsa_uses_dynamic_stack 0
		.amdhsa_system_sgpr_private_segment_wavefront_offset 0
		.amdhsa_system_sgpr_workgroup_id_x 1
		.amdhsa_system_sgpr_workgroup_id_y 0
		.amdhsa_system_sgpr_workgroup_id_z 0
		.amdhsa_system_sgpr_workgroup_info 0
		.amdhsa_system_vgpr_workitem_id 0
		.amdhsa_next_free_vgpr 1
		.amdhsa_next_free_sgpr 0
		.amdhsa_accum_offset 4
		.amdhsa_reserve_vcc 0
		.amdhsa_reserve_flat_scratch 0
		.amdhsa_float_round_mode_32 0
		.amdhsa_float_round_mode_16_64 0
		.amdhsa_float_denorm_mode_32 3
		.amdhsa_float_denorm_mode_16_64 3
		.amdhsa_dx10_clamp 1
		.amdhsa_ieee_mode 1
		.amdhsa_fp16_overflow 0
		.amdhsa_tg_split 0
		.amdhsa_exception_fp_ieee_invalid_op 0
		.amdhsa_exception_fp_denorm_src 0
		.amdhsa_exception_fp_ieee_div_zero 0
		.amdhsa_exception_fp_ieee_overflow 0
		.amdhsa_exception_fp_ieee_underflow 0
		.amdhsa_exception_fp_ieee_inexact 0
		.amdhsa_exception_int_div_zero 0
	.end_amdhsa_kernel
	.section	.text._ZN7rocprim17ROCPRIM_400000_NS6detail17trampoline_kernelINS0_14default_configENS1_25partition_config_selectorILNS1_17partition_subalgoE0EsNS0_10empty_typeEbEEZZNS1_14partition_implILS5_0ELb0ES3_jN6thrust23THRUST_200600_302600_NS6detail15normal_iteratorINSA_10device_ptrIsEEEEPS6_SG_NS0_5tupleIJSF_SF_EEENSH_IJSG_SG_EEES6_PlJ7is_evenIsEEEE10hipError_tPvRmT3_T4_T5_T6_T7_T9_mT8_P12ihipStream_tbDpT10_ENKUlT_T0_E_clISt17integral_constantIbLb1EES15_IbLb0EEEEDaS11_S12_EUlS11_E_NS1_11comp_targetILNS1_3genE0ELNS1_11target_archE4294967295ELNS1_3gpuE0ELNS1_3repE0EEENS1_30default_config_static_selectorELNS0_4arch9wavefront6targetE1EEEvT1_,"axG",@progbits,_ZN7rocprim17ROCPRIM_400000_NS6detail17trampoline_kernelINS0_14default_configENS1_25partition_config_selectorILNS1_17partition_subalgoE0EsNS0_10empty_typeEbEEZZNS1_14partition_implILS5_0ELb0ES3_jN6thrust23THRUST_200600_302600_NS6detail15normal_iteratorINSA_10device_ptrIsEEEEPS6_SG_NS0_5tupleIJSF_SF_EEENSH_IJSG_SG_EEES6_PlJ7is_evenIsEEEE10hipError_tPvRmT3_T4_T5_T6_T7_T9_mT8_P12ihipStream_tbDpT10_ENKUlT_T0_E_clISt17integral_constantIbLb1EES15_IbLb0EEEEDaS11_S12_EUlS11_E_NS1_11comp_targetILNS1_3genE0ELNS1_11target_archE4294967295ELNS1_3gpuE0ELNS1_3repE0EEENS1_30default_config_static_selectorELNS0_4arch9wavefront6targetE1EEEvT1_,comdat
.Lfunc_end369:
	.size	_ZN7rocprim17ROCPRIM_400000_NS6detail17trampoline_kernelINS0_14default_configENS1_25partition_config_selectorILNS1_17partition_subalgoE0EsNS0_10empty_typeEbEEZZNS1_14partition_implILS5_0ELb0ES3_jN6thrust23THRUST_200600_302600_NS6detail15normal_iteratorINSA_10device_ptrIsEEEEPS6_SG_NS0_5tupleIJSF_SF_EEENSH_IJSG_SG_EEES6_PlJ7is_evenIsEEEE10hipError_tPvRmT3_T4_T5_T6_T7_T9_mT8_P12ihipStream_tbDpT10_ENKUlT_T0_E_clISt17integral_constantIbLb1EES15_IbLb0EEEEDaS11_S12_EUlS11_E_NS1_11comp_targetILNS1_3genE0ELNS1_11target_archE4294967295ELNS1_3gpuE0ELNS1_3repE0EEENS1_30default_config_static_selectorELNS0_4arch9wavefront6targetE1EEEvT1_, .Lfunc_end369-_ZN7rocprim17ROCPRIM_400000_NS6detail17trampoline_kernelINS0_14default_configENS1_25partition_config_selectorILNS1_17partition_subalgoE0EsNS0_10empty_typeEbEEZZNS1_14partition_implILS5_0ELb0ES3_jN6thrust23THRUST_200600_302600_NS6detail15normal_iteratorINSA_10device_ptrIsEEEEPS6_SG_NS0_5tupleIJSF_SF_EEENSH_IJSG_SG_EEES6_PlJ7is_evenIsEEEE10hipError_tPvRmT3_T4_T5_T6_T7_T9_mT8_P12ihipStream_tbDpT10_ENKUlT_T0_E_clISt17integral_constantIbLb1EES15_IbLb0EEEEDaS11_S12_EUlS11_E_NS1_11comp_targetILNS1_3genE0ELNS1_11target_archE4294967295ELNS1_3gpuE0ELNS1_3repE0EEENS1_30default_config_static_selectorELNS0_4arch9wavefront6targetE1EEEvT1_
                                        ; -- End function
	.section	.AMDGPU.csdata,"",@progbits
; Kernel info:
; codeLenInByte = 0
; NumSgprs: 4
; NumVgprs: 0
; NumAgprs: 0
; TotalNumVgprs: 0
; ScratchSize: 0
; MemoryBound: 0
; FloatMode: 240
; IeeeMode: 1
; LDSByteSize: 0 bytes/workgroup (compile time only)
; SGPRBlocks: 0
; VGPRBlocks: 0
; NumSGPRsForWavesPerEU: 4
; NumVGPRsForWavesPerEU: 1
; AccumOffset: 4
; Occupancy: 8
; WaveLimiterHint : 0
; COMPUTE_PGM_RSRC2:SCRATCH_EN: 0
; COMPUTE_PGM_RSRC2:USER_SGPR: 6
; COMPUTE_PGM_RSRC2:TRAP_HANDLER: 0
; COMPUTE_PGM_RSRC2:TGID_X_EN: 1
; COMPUTE_PGM_RSRC2:TGID_Y_EN: 0
; COMPUTE_PGM_RSRC2:TGID_Z_EN: 0
; COMPUTE_PGM_RSRC2:TIDIG_COMP_CNT: 0
; COMPUTE_PGM_RSRC3_GFX90A:ACCUM_OFFSET: 0
; COMPUTE_PGM_RSRC3_GFX90A:TG_SPLIT: 0
	.section	.text._ZN7rocprim17ROCPRIM_400000_NS6detail17trampoline_kernelINS0_14default_configENS1_25partition_config_selectorILNS1_17partition_subalgoE0EsNS0_10empty_typeEbEEZZNS1_14partition_implILS5_0ELb0ES3_jN6thrust23THRUST_200600_302600_NS6detail15normal_iteratorINSA_10device_ptrIsEEEEPS6_SG_NS0_5tupleIJSF_SF_EEENSH_IJSG_SG_EEES6_PlJ7is_evenIsEEEE10hipError_tPvRmT3_T4_T5_T6_T7_T9_mT8_P12ihipStream_tbDpT10_ENKUlT_T0_E_clISt17integral_constantIbLb1EES15_IbLb0EEEEDaS11_S12_EUlS11_E_NS1_11comp_targetILNS1_3genE5ELNS1_11target_archE942ELNS1_3gpuE9ELNS1_3repE0EEENS1_30default_config_static_selectorELNS0_4arch9wavefront6targetE1EEEvT1_,"axG",@progbits,_ZN7rocprim17ROCPRIM_400000_NS6detail17trampoline_kernelINS0_14default_configENS1_25partition_config_selectorILNS1_17partition_subalgoE0EsNS0_10empty_typeEbEEZZNS1_14partition_implILS5_0ELb0ES3_jN6thrust23THRUST_200600_302600_NS6detail15normal_iteratorINSA_10device_ptrIsEEEEPS6_SG_NS0_5tupleIJSF_SF_EEENSH_IJSG_SG_EEES6_PlJ7is_evenIsEEEE10hipError_tPvRmT3_T4_T5_T6_T7_T9_mT8_P12ihipStream_tbDpT10_ENKUlT_T0_E_clISt17integral_constantIbLb1EES15_IbLb0EEEEDaS11_S12_EUlS11_E_NS1_11comp_targetILNS1_3genE5ELNS1_11target_archE942ELNS1_3gpuE9ELNS1_3repE0EEENS1_30default_config_static_selectorELNS0_4arch9wavefront6targetE1EEEvT1_,comdat
	.protected	_ZN7rocprim17ROCPRIM_400000_NS6detail17trampoline_kernelINS0_14default_configENS1_25partition_config_selectorILNS1_17partition_subalgoE0EsNS0_10empty_typeEbEEZZNS1_14partition_implILS5_0ELb0ES3_jN6thrust23THRUST_200600_302600_NS6detail15normal_iteratorINSA_10device_ptrIsEEEEPS6_SG_NS0_5tupleIJSF_SF_EEENSH_IJSG_SG_EEES6_PlJ7is_evenIsEEEE10hipError_tPvRmT3_T4_T5_T6_T7_T9_mT8_P12ihipStream_tbDpT10_ENKUlT_T0_E_clISt17integral_constantIbLb1EES15_IbLb0EEEEDaS11_S12_EUlS11_E_NS1_11comp_targetILNS1_3genE5ELNS1_11target_archE942ELNS1_3gpuE9ELNS1_3repE0EEENS1_30default_config_static_selectorELNS0_4arch9wavefront6targetE1EEEvT1_ ; -- Begin function _ZN7rocprim17ROCPRIM_400000_NS6detail17trampoline_kernelINS0_14default_configENS1_25partition_config_selectorILNS1_17partition_subalgoE0EsNS0_10empty_typeEbEEZZNS1_14partition_implILS5_0ELb0ES3_jN6thrust23THRUST_200600_302600_NS6detail15normal_iteratorINSA_10device_ptrIsEEEEPS6_SG_NS0_5tupleIJSF_SF_EEENSH_IJSG_SG_EEES6_PlJ7is_evenIsEEEE10hipError_tPvRmT3_T4_T5_T6_T7_T9_mT8_P12ihipStream_tbDpT10_ENKUlT_T0_E_clISt17integral_constantIbLb1EES15_IbLb0EEEEDaS11_S12_EUlS11_E_NS1_11comp_targetILNS1_3genE5ELNS1_11target_archE942ELNS1_3gpuE9ELNS1_3repE0EEENS1_30default_config_static_selectorELNS0_4arch9wavefront6targetE1EEEvT1_
	.globl	_ZN7rocprim17ROCPRIM_400000_NS6detail17trampoline_kernelINS0_14default_configENS1_25partition_config_selectorILNS1_17partition_subalgoE0EsNS0_10empty_typeEbEEZZNS1_14partition_implILS5_0ELb0ES3_jN6thrust23THRUST_200600_302600_NS6detail15normal_iteratorINSA_10device_ptrIsEEEEPS6_SG_NS0_5tupleIJSF_SF_EEENSH_IJSG_SG_EEES6_PlJ7is_evenIsEEEE10hipError_tPvRmT3_T4_T5_T6_T7_T9_mT8_P12ihipStream_tbDpT10_ENKUlT_T0_E_clISt17integral_constantIbLb1EES15_IbLb0EEEEDaS11_S12_EUlS11_E_NS1_11comp_targetILNS1_3genE5ELNS1_11target_archE942ELNS1_3gpuE9ELNS1_3repE0EEENS1_30default_config_static_selectorELNS0_4arch9wavefront6targetE1EEEvT1_
	.p2align	8
	.type	_ZN7rocprim17ROCPRIM_400000_NS6detail17trampoline_kernelINS0_14default_configENS1_25partition_config_selectorILNS1_17partition_subalgoE0EsNS0_10empty_typeEbEEZZNS1_14partition_implILS5_0ELb0ES3_jN6thrust23THRUST_200600_302600_NS6detail15normal_iteratorINSA_10device_ptrIsEEEEPS6_SG_NS0_5tupleIJSF_SF_EEENSH_IJSG_SG_EEES6_PlJ7is_evenIsEEEE10hipError_tPvRmT3_T4_T5_T6_T7_T9_mT8_P12ihipStream_tbDpT10_ENKUlT_T0_E_clISt17integral_constantIbLb1EES15_IbLb0EEEEDaS11_S12_EUlS11_E_NS1_11comp_targetILNS1_3genE5ELNS1_11target_archE942ELNS1_3gpuE9ELNS1_3repE0EEENS1_30default_config_static_selectorELNS0_4arch9wavefront6targetE1EEEvT1_,@function
_ZN7rocprim17ROCPRIM_400000_NS6detail17trampoline_kernelINS0_14default_configENS1_25partition_config_selectorILNS1_17partition_subalgoE0EsNS0_10empty_typeEbEEZZNS1_14partition_implILS5_0ELb0ES3_jN6thrust23THRUST_200600_302600_NS6detail15normal_iteratorINSA_10device_ptrIsEEEEPS6_SG_NS0_5tupleIJSF_SF_EEENSH_IJSG_SG_EEES6_PlJ7is_evenIsEEEE10hipError_tPvRmT3_T4_T5_T6_T7_T9_mT8_P12ihipStream_tbDpT10_ENKUlT_T0_E_clISt17integral_constantIbLb1EES15_IbLb0EEEEDaS11_S12_EUlS11_E_NS1_11comp_targetILNS1_3genE5ELNS1_11target_archE942ELNS1_3gpuE9ELNS1_3repE0EEENS1_30default_config_static_selectorELNS0_4arch9wavefront6targetE1EEEvT1_: ; @_ZN7rocprim17ROCPRIM_400000_NS6detail17trampoline_kernelINS0_14default_configENS1_25partition_config_selectorILNS1_17partition_subalgoE0EsNS0_10empty_typeEbEEZZNS1_14partition_implILS5_0ELb0ES3_jN6thrust23THRUST_200600_302600_NS6detail15normal_iteratorINSA_10device_ptrIsEEEEPS6_SG_NS0_5tupleIJSF_SF_EEENSH_IJSG_SG_EEES6_PlJ7is_evenIsEEEE10hipError_tPvRmT3_T4_T5_T6_T7_T9_mT8_P12ihipStream_tbDpT10_ENKUlT_T0_E_clISt17integral_constantIbLb1EES15_IbLb0EEEEDaS11_S12_EUlS11_E_NS1_11comp_targetILNS1_3genE5ELNS1_11target_archE942ELNS1_3gpuE9ELNS1_3repE0EEENS1_30default_config_static_selectorELNS0_4arch9wavefront6targetE1EEEvT1_
; %bb.0:
	.section	.rodata,"a",@progbits
	.p2align	6, 0x0
	.amdhsa_kernel _ZN7rocprim17ROCPRIM_400000_NS6detail17trampoline_kernelINS0_14default_configENS1_25partition_config_selectorILNS1_17partition_subalgoE0EsNS0_10empty_typeEbEEZZNS1_14partition_implILS5_0ELb0ES3_jN6thrust23THRUST_200600_302600_NS6detail15normal_iteratorINSA_10device_ptrIsEEEEPS6_SG_NS0_5tupleIJSF_SF_EEENSH_IJSG_SG_EEES6_PlJ7is_evenIsEEEE10hipError_tPvRmT3_T4_T5_T6_T7_T9_mT8_P12ihipStream_tbDpT10_ENKUlT_T0_E_clISt17integral_constantIbLb1EES15_IbLb0EEEEDaS11_S12_EUlS11_E_NS1_11comp_targetILNS1_3genE5ELNS1_11target_archE942ELNS1_3gpuE9ELNS1_3repE0EEENS1_30default_config_static_selectorELNS0_4arch9wavefront6targetE1EEEvT1_
		.amdhsa_group_segment_fixed_size 0
		.amdhsa_private_segment_fixed_size 0
		.amdhsa_kernarg_size 120
		.amdhsa_user_sgpr_count 6
		.amdhsa_user_sgpr_private_segment_buffer 1
		.amdhsa_user_sgpr_dispatch_ptr 0
		.amdhsa_user_sgpr_queue_ptr 0
		.amdhsa_user_sgpr_kernarg_segment_ptr 1
		.amdhsa_user_sgpr_dispatch_id 0
		.amdhsa_user_sgpr_flat_scratch_init 0
		.amdhsa_user_sgpr_kernarg_preload_length 0
		.amdhsa_user_sgpr_kernarg_preload_offset 0
		.amdhsa_user_sgpr_private_segment_size 0
		.amdhsa_uses_dynamic_stack 0
		.amdhsa_system_sgpr_private_segment_wavefront_offset 0
		.amdhsa_system_sgpr_workgroup_id_x 1
		.amdhsa_system_sgpr_workgroup_id_y 0
		.amdhsa_system_sgpr_workgroup_id_z 0
		.amdhsa_system_sgpr_workgroup_info 0
		.amdhsa_system_vgpr_workitem_id 0
		.amdhsa_next_free_vgpr 1
		.amdhsa_next_free_sgpr 0
		.amdhsa_accum_offset 4
		.amdhsa_reserve_vcc 0
		.amdhsa_reserve_flat_scratch 0
		.amdhsa_float_round_mode_32 0
		.amdhsa_float_round_mode_16_64 0
		.amdhsa_float_denorm_mode_32 3
		.amdhsa_float_denorm_mode_16_64 3
		.amdhsa_dx10_clamp 1
		.amdhsa_ieee_mode 1
		.amdhsa_fp16_overflow 0
		.amdhsa_tg_split 0
		.amdhsa_exception_fp_ieee_invalid_op 0
		.amdhsa_exception_fp_denorm_src 0
		.amdhsa_exception_fp_ieee_div_zero 0
		.amdhsa_exception_fp_ieee_overflow 0
		.amdhsa_exception_fp_ieee_underflow 0
		.amdhsa_exception_fp_ieee_inexact 0
		.amdhsa_exception_int_div_zero 0
	.end_amdhsa_kernel
	.section	.text._ZN7rocprim17ROCPRIM_400000_NS6detail17trampoline_kernelINS0_14default_configENS1_25partition_config_selectorILNS1_17partition_subalgoE0EsNS0_10empty_typeEbEEZZNS1_14partition_implILS5_0ELb0ES3_jN6thrust23THRUST_200600_302600_NS6detail15normal_iteratorINSA_10device_ptrIsEEEEPS6_SG_NS0_5tupleIJSF_SF_EEENSH_IJSG_SG_EEES6_PlJ7is_evenIsEEEE10hipError_tPvRmT3_T4_T5_T6_T7_T9_mT8_P12ihipStream_tbDpT10_ENKUlT_T0_E_clISt17integral_constantIbLb1EES15_IbLb0EEEEDaS11_S12_EUlS11_E_NS1_11comp_targetILNS1_3genE5ELNS1_11target_archE942ELNS1_3gpuE9ELNS1_3repE0EEENS1_30default_config_static_selectorELNS0_4arch9wavefront6targetE1EEEvT1_,"axG",@progbits,_ZN7rocprim17ROCPRIM_400000_NS6detail17trampoline_kernelINS0_14default_configENS1_25partition_config_selectorILNS1_17partition_subalgoE0EsNS0_10empty_typeEbEEZZNS1_14partition_implILS5_0ELb0ES3_jN6thrust23THRUST_200600_302600_NS6detail15normal_iteratorINSA_10device_ptrIsEEEEPS6_SG_NS0_5tupleIJSF_SF_EEENSH_IJSG_SG_EEES6_PlJ7is_evenIsEEEE10hipError_tPvRmT3_T4_T5_T6_T7_T9_mT8_P12ihipStream_tbDpT10_ENKUlT_T0_E_clISt17integral_constantIbLb1EES15_IbLb0EEEEDaS11_S12_EUlS11_E_NS1_11comp_targetILNS1_3genE5ELNS1_11target_archE942ELNS1_3gpuE9ELNS1_3repE0EEENS1_30default_config_static_selectorELNS0_4arch9wavefront6targetE1EEEvT1_,comdat
.Lfunc_end370:
	.size	_ZN7rocprim17ROCPRIM_400000_NS6detail17trampoline_kernelINS0_14default_configENS1_25partition_config_selectorILNS1_17partition_subalgoE0EsNS0_10empty_typeEbEEZZNS1_14partition_implILS5_0ELb0ES3_jN6thrust23THRUST_200600_302600_NS6detail15normal_iteratorINSA_10device_ptrIsEEEEPS6_SG_NS0_5tupleIJSF_SF_EEENSH_IJSG_SG_EEES6_PlJ7is_evenIsEEEE10hipError_tPvRmT3_T4_T5_T6_T7_T9_mT8_P12ihipStream_tbDpT10_ENKUlT_T0_E_clISt17integral_constantIbLb1EES15_IbLb0EEEEDaS11_S12_EUlS11_E_NS1_11comp_targetILNS1_3genE5ELNS1_11target_archE942ELNS1_3gpuE9ELNS1_3repE0EEENS1_30default_config_static_selectorELNS0_4arch9wavefront6targetE1EEEvT1_, .Lfunc_end370-_ZN7rocprim17ROCPRIM_400000_NS6detail17trampoline_kernelINS0_14default_configENS1_25partition_config_selectorILNS1_17partition_subalgoE0EsNS0_10empty_typeEbEEZZNS1_14partition_implILS5_0ELb0ES3_jN6thrust23THRUST_200600_302600_NS6detail15normal_iteratorINSA_10device_ptrIsEEEEPS6_SG_NS0_5tupleIJSF_SF_EEENSH_IJSG_SG_EEES6_PlJ7is_evenIsEEEE10hipError_tPvRmT3_T4_T5_T6_T7_T9_mT8_P12ihipStream_tbDpT10_ENKUlT_T0_E_clISt17integral_constantIbLb1EES15_IbLb0EEEEDaS11_S12_EUlS11_E_NS1_11comp_targetILNS1_3genE5ELNS1_11target_archE942ELNS1_3gpuE9ELNS1_3repE0EEENS1_30default_config_static_selectorELNS0_4arch9wavefront6targetE1EEEvT1_
                                        ; -- End function
	.section	.AMDGPU.csdata,"",@progbits
; Kernel info:
; codeLenInByte = 0
; NumSgprs: 4
; NumVgprs: 0
; NumAgprs: 0
; TotalNumVgprs: 0
; ScratchSize: 0
; MemoryBound: 0
; FloatMode: 240
; IeeeMode: 1
; LDSByteSize: 0 bytes/workgroup (compile time only)
; SGPRBlocks: 0
; VGPRBlocks: 0
; NumSGPRsForWavesPerEU: 4
; NumVGPRsForWavesPerEU: 1
; AccumOffset: 4
; Occupancy: 8
; WaveLimiterHint : 0
; COMPUTE_PGM_RSRC2:SCRATCH_EN: 0
; COMPUTE_PGM_RSRC2:USER_SGPR: 6
; COMPUTE_PGM_RSRC2:TRAP_HANDLER: 0
; COMPUTE_PGM_RSRC2:TGID_X_EN: 1
; COMPUTE_PGM_RSRC2:TGID_Y_EN: 0
; COMPUTE_PGM_RSRC2:TGID_Z_EN: 0
; COMPUTE_PGM_RSRC2:TIDIG_COMP_CNT: 0
; COMPUTE_PGM_RSRC3_GFX90A:ACCUM_OFFSET: 0
; COMPUTE_PGM_RSRC3_GFX90A:TG_SPLIT: 0
	.section	.text._ZN7rocprim17ROCPRIM_400000_NS6detail17trampoline_kernelINS0_14default_configENS1_25partition_config_selectorILNS1_17partition_subalgoE0EsNS0_10empty_typeEbEEZZNS1_14partition_implILS5_0ELb0ES3_jN6thrust23THRUST_200600_302600_NS6detail15normal_iteratorINSA_10device_ptrIsEEEEPS6_SG_NS0_5tupleIJSF_SF_EEENSH_IJSG_SG_EEES6_PlJ7is_evenIsEEEE10hipError_tPvRmT3_T4_T5_T6_T7_T9_mT8_P12ihipStream_tbDpT10_ENKUlT_T0_E_clISt17integral_constantIbLb1EES15_IbLb0EEEEDaS11_S12_EUlS11_E_NS1_11comp_targetILNS1_3genE4ELNS1_11target_archE910ELNS1_3gpuE8ELNS1_3repE0EEENS1_30default_config_static_selectorELNS0_4arch9wavefront6targetE1EEEvT1_,"axG",@progbits,_ZN7rocprim17ROCPRIM_400000_NS6detail17trampoline_kernelINS0_14default_configENS1_25partition_config_selectorILNS1_17partition_subalgoE0EsNS0_10empty_typeEbEEZZNS1_14partition_implILS5_0ELb0ES3_jN6thrust23THRUST_200600_302600_NS6detail15normal_iteratorINSA_10device_ptrIsEEEEPS6_SG_NS0_5tupleIJSF_SF_EEENSH_IJSG_SG_EEES6_PlJ7is_evenIsEEEE10hipError_tPvRmT3_T4_T5_T6_T7_T9_mT8_P12ihipStream_tbDpT10_ENKUlT_T0_E_clISt17integral_constantIbLb1EES15_IbLb0EEEEDaS11_S12_EUlS11_E_NS1_11comp_targetILNS1_3genE4ELNS1_11target_archE910ELNS1_3gpuE8ELNS1_3repE0EEENS1_30default_config_static_selectorELNS0_4arch9wavefront6targetE1EEEvT1_,comdat
	.protected	_ZN7rocprim17ROCPRIM_400000_NS6detail17trampoline_kernelINS0_14default_configENS1_25partition_config_selectorILNS1_17partition_subalgoE0EsNS0_10empty_typeEbEEZZNS1_14partition_implILS5_0ELb0ES3_jN6thrust23THRUST_200600_302600_NS6detail15normal_iteratorINSA_10device_ptrIsEEEEPS6_SG_NS0_5tupleIJSF_SF_EEENSH_IJSG_SG_EEES6_PlJ7is_evenIsEEEE10hipError_tPvRmT3_T4_T5_T6_T7_T9_mT8_P12ihipStream_tbDpT10_ENKUlT_T0_E_clISt17integral_constantIbLb1EES15_IbLb0EEEEDaS11_S12_EUlS11_E_NS1_11comp_targetILNS1_3genE4ELNS1_11target_archE910ELNS1_3gpuE8ELNS1_3repE0EEENS1_30default_config_static_selectorELNS0_4arch9wavefront6targetE1EEEvT1_ ; -- Begin function _ZN7rocprim17ROCPRIM_400000_NS6detail17trampoline_kernelINS0_14default_configENS1_25partition_config_selectorILNS1_17partition_subalgoE0EsNS0_10empty_typeEbEEZZNS1_14partition_implILS5_0ELb0ES3_jN6thrust23THRUST_200600_302600_NS6detail15normal_iteratorINSA_10device_ptrIsEEEEPS6_SG_NS0_5tupleIJSF_SF_EEENSH_IJSG_SG_EEES6_PlJ7is_evenIsEEEE10hipError_tPvRmT3_T4_T5_T6_T7_T9_mT8_P12ihipStream_tbDpT10_ENKUlT_T0_E_clISt17integral_constantIbLb1EES15_IbLb0EEEEDaS11_S12_EUlS11_E_NS1_11comp_targetILNS1_3genE4ELNS1_11target_archE910ELNS1_3gpuE8ELNS1_3repE0EEENS1_30default_config_static_selectorELNS0_4arch9wavefront6targetE1EEEvT1_
	.globl	_ZN7rocprim17ROCPRIM_400000_NS6detail17trampoline_kernelINS0_14default_configENS1_25partition_config_selectorILNS1_17partition_subalgoE0EsNS0_10empty_typeEbEEZZNS1_14partition_implILS5_0ELb0ES3_jN6thrust23THRUST_200600_302600_NS6detail15normal_iteratorINSA_10device_ptrIsEEEEPS6_SG_NS0_5tupleIJSF_SF_EEENSH_IJSG_SG_EEES6_PlJ7is_evenIsEEEE10hipError_tPvRmT3_T4_T5_T6_T7_T9_mT8_P12ihipStream_tbDpT10_ENKUlT_T0_E_clISt17integral_constantIbLb1EES15_IbLb0EEEEDaS11_S12_EUlS11_E_NS1_11comp_targetILNS1_3genE4ELNS1_11target_archE910ELNS1_3gpuE8ELNS1_3repE0EEENS1_30default_config_static_selectorELNS0_4arch9wavefront6targetE1EEEvT1_
	.p2align	8
	.type	_ZN7rocprim17ROCPRIM_400000_NS6detail17trampoline_kernelINS0_14default_configENS1_25partition_config_selectorILNS1_17partition_subalgoE0EsNS0_10empty_typeEbEEZZNS1_14partition_implILS5_0ELb0ES3_jN6thrust23THRUST_200600_302600_NS6detail15normal_iteratorINSA_10device_ptrIsEEEEPS6_SG_NS0_5tupleIJSF_SF_EEENSH_IJSG_SG_EEES6_PlJ7is_evenIsEEEE10hipError_tPvRmT3_T4_T5_T6_T7_T9_mT8_P12ihipStream_tbDpT10_ENKUlT_T0_E_clISt17integral_constantIbLb1EES15_IbLb0EEEEDaS11_S12_EUlS11_E_NS1_11comp_targetILNS1_3genE4ELNS1_11target_archE910ELNS1_3gpuE8ELNS1_3repE0EEENS1_30default_config_static_selectorELNS0_4arch9wavefront6targetE1EEEvT1_,@function
_ZN7rocprim17ROCPRIM_400000_NS6detail17trampoline_kernelINS0_14default_configENS1_25partition_config_selectorILNS1_17partition_subalgoE0EsNS0_10empty_typeEbEEZZNS1_14partition_implILS5_0ELb0ES3_jN6thrust23THRUST_200600_302600_NS6detail15normal_iteratorINSA_10device_ptrIsEEEEPS6_SG_NS0_5tupleIJSF_SF_EEENSH_IJSG_SG_EEES6_PlJ7is_evenIsEEEE10hipError_tPvRmT3_T4_T5_T6_T7_T9_mT8_P12ihipStream_tbDpT10_ENKUlT_T0_E_clISt17integral_constantIbLb1EES15_IbLb0EEEEDaS11_S12_EUlS11_E_NS1_11comp_targetILNS1_3genE4ELNS1_11target_archE910ELNS1_3gpuE8ELNS1_3repE0EEENS1_30default_config_static_selectorELNS0_4arch9wavefront6targetE1EEEvT1_: ; @_ZN7rocprim17ROCPRIM_400000_NS6detail17trampoline_kernelINS0_14default_configENS1_25partition_config_selectorILNS1_17partition_subalgoE0EsNS0_10empty_typeEbEEZZNS1_14partition_implILS5_0ELb0ES3_jN6thrust23THRUST_200600_302600_NS6detail15normal_iteratorINSA_10device_ptrIsEEEEPS6_SG_NS0_5tupleIJSF_SF_EEENSH_IJSG_SG_EEES6_PlJ7is_evenIsEEEE10hipError_tPvRmT3_T4_T5_T6_T7_T9_mT8_P12ihipStream_tbDpT10_ENKUlT_T0_E_clISt17integral_constantIbLb1EES15_IbLb0EEEEDaS11_S12_EUlS11_E_NS1_11comp_targetILNS1_3genE4ELNS1_11target_archE910ELNS1_3gpuE8ELNS1_3repE0EEENS1_30default_config_static_selectorELNS0_4arch9wavefront6targetE1EEEvT1_
; %bb.0:
	s_load_dwordx2 s[0:1], s[4:5], 0x58
	s_load_dwordx4 s[20:23], s[4:5], 0x8
	s_load_dwordx4 s[24:27], s[4:5], 0x48
	s_load_dword s7, s[4:5], 0x70
	s_mul_i32 s8, s6, 0x1c00
	s_waitcnt lgkmcnt(0)
	v_mov_b32_e32 v3, s1
	s_lshl_b64 s[2:3], s[22:23], 1
	s_add_u32 s10, s20, s2
	s_mul_i32 s1, s7, 0x1c00
	s_addc_u32 s11, s21, s3
	s_add_i32 s3, s1, s22
	s_sub_i32 s33, s0, s3
	s_add_i32 s2, s7, -1
	s_addk_i32 s33, 0x1c00
	v_mov_b32_e32 v2, s0
	s_add_u32 s0, s22, s1
	s_addc_u32 s1, s23, 0
	s_cmp_eq_u32 s6, s2
	s_load_dwordx2 s[30:31], s[26:27], 0x0
	s_cselect_b64 s[26:27], -1, 0
	s_cmp_lg_u32 s6, s2
	s_mov_b32 s9, 0
	v_cmp_lt_u64_e32 vcc, s[0:1], v[2:3]
	s_cselect_b64 s[0:1], -1, 0
	s_or_b64 s[2:3], s[0:1], vcc
	s_lshl_b64 s[28:29], s[8:9], 1
	s_add_u32 s7, s10, s28
	s_addc_u32 s10, s11, s29
	s_mov_b64 s[0:1], -1
	s_and_b64 vcc, exec, s[2:3]
	v_lshlrev_b32_e32 v1, 1, v0
	s_cbranch_vccz .LBB371_2
; %bb.1:
	v_mov_b32_e32 v3, s10
	v_add_co_u32_e32 v2, vcc, s7, v1
	v_addc_co_u32_e32 v3, vcc, 0, v3, vcc
	v_add_co_u32_e32 v4, vcc, 0x1000, v2
	v_addc_co_u32_e32 v5, vcc, 0, v3, vcc
	flat_load_ushort v6, v[2:3]
	flat_load_ushort v7, v[2:3] offset:512
	flat_load_ushort v8, v[2:3] offset:1024
	;; [unrolled: 1-line block ×7, first 2 shown]
	flat_load_ushort v14, v[4:5]
	flat_load_ushort v15, v[4:5] offset:512
	flat_load_ushort v16, v[4:5] offset:1024
	;; [unrolled: 1-line block ×7, first 2 shown]
	v_add_co_u32_e32 v4, vcc, 0x2000, v2
	v_addc_co_u32_e32 v5, vcc, 0, v3, vcc
	v_add_co_u32_e32 v2, vcc, 0x3000, v2
	v_addc_co_u32_e32 v3, vcc, 0, v3, vcc
	flat_load_ushort v22, v[4:5]
	flat_load_ushort v23, v[4:5] offset:512
	flat_load_ushort v24, v[4:5] offset:1024
	;; [unrolled: 1-line block ×7, first 2 shown]
	s_nop 0
	flat_load_ushort v4, v[2:3]
	flat_load_ushort v5, v[2:3] offset:512
	flat_load_ushort v30, v[2:3] offset:1024
	;; [unrolled: 1-line block ×3, first 2 shown]
	s_mov_b64 s[0:1], 0
	s_waitcnt vmcnt(0) lgkmcnt(0)
	ds_write_b16 v1, v6
	ds_write_b16 v1, v7 offset:512
	ds_write_b16 v1, v8 offset:1024
	;; [unrolled: 1-line block ×27, first 2 shown]
	s_waitcnt lgkmcnt(0)
	s_barrier
.LBB371_2:
	s_andn2_b64 vcc, exec, s[0:1]
	v_cmp_gt_u32_e64 s[0:1], s33, v0
	s_cbranch_vccnz .LBB371_60
; %bb.3:
                                        ; implicit-def: $vgpr2
	s_and_saveexec_b64 s[8:9], s[0:1]
	s_cbranch_execz .LBB371_5
; %bb.4:
	v_mov_b32_e32 v3, s10
	v_add_co_u32_e32 v2, vcc, s7, v1
	v_addc_co_u32_e32 v3, vcc, 0, v3, vcc
	flat_load_ushort v2, v[2:3]
.LBB371_5:
	s_or_b64 exec, exec, s[8:9]
	v_or_b32_e32 v3, 0x100, v0
	v_cmp_gt_u32_e32 vcc, s33, v3
                                        ; implicit-def: $vgpr3
	s_and_saveexec_b64 s[0:1], vcc
	s_cbranch_execz .LBB371_7
; %bb.6:
	v_mov_b32_e32 v3, s10
	v_add_co_u32_e32 v4, vcc, s7, v1
	v_addc_co_u32_e32 v5, vcc, 0, v3, vcc
	flat_load_ushort v3, v[4:5] offset:512
.LBB371_7:
	s_or_b64 exec, exec, s[0:1]
	v_or_b32_e32 v4, 0x200, v0
	v_cmp_gt_u32_e32 vcc, s33, v4
                                        ; implicit-def: $vgpr4
	s_and_saveexec_b64 s[0:1], vcc
	s_cbranch_execz .LBB371_9
; %bb.8:
	v_mov_b32_e32 v5, s10
	v_add_co_u32_e32 v4, vcc, s7, v1
	v_addc_co_u32_e32 v5, vcc, 0, v5, vcc
	flat_load_ushort v4, v[4:5] offset:1024
.LBB371_9:
	s_or_b64 exec, exec, s[0:1]
	v_or_b32_e32 v5, 0x300, v0
	v_cmp_gt_u32_e32 vcc, s33, v5
                                        ; implicit-def: $vgpr5
	s_and_saveexec_b64 s[0:1], vcc
	s_cbranch_execz .LBB371_11
; %bb.10:
	v_mov_b32_e32 v5, s10
	v_add_co_u32_e32 v6, vcc, s7, v1
	v_addc_co_u32_e32 v7, vcc, 0, v5, vcc
	flat_load_ushort v5, v[6:7] offset:1536
.LBB371_11:
	s_or_b64 exec, exec, s[0:1]
	v_or_b32_e32 v6, 0x400, v0
	v_cmp_gt_u32_e32 vcc, s33, v6
                                        ; implicit-def: $vgpr6
	s_and_saveexec_b64 s[0:1], vcc
	s_cbranch_execz .LBB371_13
; %bb.12:
	v_mov_b32_e32 v7, s10
	v_add_co_u32_e32 v6, vcc, s7, v1
	v_addc_co_u32_e32 v7, vcc, 0, v7, vcc
	flat_load_ushort v6, v[6:7] offset:2048
.LBB371_13:
	s_or_b64 exec, exec, s[0:1]
	v_or_b32_e32 v7, 0x500, v0
	v_cmp_gt_u32_e32 vcc, s33, v7
                                        ; implicit-def: $vgpr7
	s_and_saveexec_b64 s[0:1], vcc
	s_cbranch_execz .LBB371_15
; %bb.14:
	v_mov_b32_e32 v7, s10
	v_add_co_u32_e32 v8, vcc, s7, v1
	v_addc_co_u32_e32 v9, vcc, 0, v7, vcc
	flat_load_ushort v7, v[8:9] offset:2560
.LBB371_15:
	s_or_b64 exec, exec, s[0:1]
	v_or_b32_e32 v8, 0x600, v0
	v_cmp_gt_u32_e32 vcc, s33, v8
                                        ; implicit-def: $vgpr8
	s_and_saveexec_b64 s[0:1], vcc
	s_cbranch_execz .LBB371_17
; %bb.16:
	v_mov_b32_e32 v9, s10
	v_add_co_u32_e32 v8, vcc, s7, v1
	v_addc_co_u32_e32 v9, vcc, 0, v9, vcc
	flat_load_ushort v8, v[8:9] offset:3072
.LBB371_17:
	s_or_b64 exec, exec, s[0:1]
	v_or_b32_e32 v9, 0x700, v0
	v_cmp_gt_u32_e32 vcc, s33, v9
                                        ; implicit-def: $vgpr9
	s_and_saveexec_b64 s[0:1], vcc
	s_cbranch_execz .LBB371_19
; %bb.18:
	v_mov_b32_e32 v9, s10
	v_add_co_u32_e32 v10, vcc, s7, v1
	v_addc_co_u32_e32 v11, vcc, 0, v9, vcc
	flat_load_ushort v9, v[10:11] offset:3584
.LBB371_19:
	s_or_b64 exec, exec, s[0:1]
	v_or_b32_e32 v11, 0x800, v0
	v_cmp_gt_u32_e32 vcc, s33, v11
                                        ; implicit-def: $vgpr10
	s_and_saveexec_b64 s[0:1], vcc
	s_cbranch_execz .LBB371_21
; %bb.20:
	v_lshlrev_b32_e32 v10, 1, v11
	v_mov_b32_e32 v11, s10
	v_add_co_u32_e32 v10, vcc, s7, v10
	v_addc_co_u32_e32 v11, vcc, 0, v11, vcc
	flat_load_ushort v10, v[10:11]
.LBB371_21:
	s_or_b64 exec, exec, s[0:1]
	v_or_b32_e32 v12, 0x900, v0
	v_cmp_gt_u32_e32 vcc, s33, v12
                                        ; implicit-def: $vgpr11
	s_and_saveexec_b64 s[0:1], vcc
	s_cbranch_execz .LBB371_23
; %bb.22:
	v_lshlrev_b32_e32 v11, 1, v12
	v_mov_b32_e32 v13, s10
	v_add_co_u32_e32 v12, vcc, s7, v11
	v_addc_co_u32_e32 v13, vcc, 0, v13, vcc
	flat_load_ushort v11, v[12:13]
.LBB371_23:
	s_or_b64 exec, exec, s[0:1]
	v_or_b32_e32 v13, 0xa00, v0
	v_cmp_gt_u32_e32 vcc, s33, v13
                                        ; implicit-def: $vgpr12
	s_and_saveexec_b64 s[0:1], vcc
	s_cbranch_execz .LBB371_25
; %bb.24:
	v_lshlrev_b32_e32 v12, 1, v13
	v_mov_b32_e32 v13, s10
	v_add_co_u32_e32 v12, vcc, s7, v12
	v_addc_co_u32_e32 v13, vcc, 0, v13, vcc
	flat_load_ushort v12, v[12:13]
.LBB371_25:
	s_or_b64 exec, exec, s[0:1]
	v_or_b32_e32 v14, 0xb00, v0
	v_cmp_gt_u32_e32 vcc, s33, v14
                                        ; implicit-def: $vgpr13
	s_and_saveexec_b64 s[0:1], vcc
	s_cbranch_execz .LBB371_27
; %bb.26:
	v_lshlrev_b32_e32 v13, 1, v14
	v_mov_b32_e32 v15, s10
	v_add_co_u32_e32 v14, vcc, s7, v13
	v_addc_co_u32_e32 v15, vcc, 0, v15, vcc
	flat_load_ushort v13, v[14:15]
.LBB371_27:
	s_or_b64 exec, exec, s[0:1]
	v_or_b32_e32 v15, 0xc00, v0
	v_cmp_gt_u32_e32 vcc, s33, v15
                                        ; implicit-def: $vgpr14
	s_and_saveexec_b64 s[0:1], vcc
	s_cbranch_execz .LBB371_29
; %bb.28:
	v_lshlrev_b32_e32 v14, 1, v15
	v_mov_b32_e32 v15, s10
	v_add_co_u32_e32 v14, vcc, s7, v14
	v_addc_co_u32_e32 v15, vcc, 0, v15, vcc
	flat_load_ushort v14, v[14:15]
.LBB371_29:
	s_or_b64 exec, exec, s[0:1]
	v_or_b32_e32 v16, 0xd00, v0
	v_cmp_gt_u32_e32 vcc, s33, v16
                                        ; implicit-def: $vgpr15
	s_and_saveexec_b64 s[0:1], vcc
	s_cbranch_execz .LBB371_31
; %bb.30:
	v_lshlrev_b32_e32 v15, 1, v16
	v_mov_b32_e32 v17, s10
	v_add_co_u32_e32 v16, vcc, s7, v15
	v_addc_co_u32_e32 v17, vcc, 0, v17, vcc
	flat_load_ushort v15, v[16:17]
.LBB371_31:
	s_or_b64 exec, exec, s[0:1]
	v_or_b32_e32 v17, 0xe00, v0
	v_cmp_gt_u32_e32 vcc, s33, v17
                                        ; implicit-def: $vgpr16
	s_and_saveexec_b64 s[0:1], vcc
	s_cbranch_execz .LBB371_33
; %bb.32:
	v_lshlrev_b32_e32 v16, 1, v17
	v_mov_b32_e32 v17, s10
	v_add_co_u32_e32 v16, vcc, s7, v16
	v_addc_co_u32_e32 v17, vcc, 0, v17, vcc
	flat_load_ushort v16, v[16:17]
.LBB371_33:
	s_or_b64 exec, exec, s[0:1]
	v_or_b32_e32 v18, 0xf00, v0
	v_cmp_gt_u32_e32 vcc, s33, v18
                                        ; implicit-def: $vgpr17
	s_and_saveexec_b64 s[0:1], vcc
	s_cbranch_execz .LBB371_35
; %bb.34:
	v_lshlrev_b32_e32 v17, 1, v18
	v_mov_b32_e32 v19, s10
	v_add_co_u32_e32 v18, vcc, s7, v17
	v_addc_co_u32_e32 v19, vcc, 0, v19, vcc
	flat_load_ushort v17, v[18:19]
.LBB371_35:
	s_or_b64 exec, exec, s[0:1]
	v_or_b32_e32 v19, 0x1000, v0
	v_cmp_gt_u32_e32 vcc, s33, v19
                                        ; implicit-def: $vgpr18
	s_and_saveexec_b64 s[0:1], vcc
	s_cbranch_execz .LBB371_37
; %bb.36:
	v_lshlrev_b32_e32 v18, 1, v19
	v_mov_b32_e32 v19, s10
	v_add_co_u32_e32 v18, vcc, s7, v18
	v_addc_co_u32_e32 v19, vcc, 0, v19, vcc
	flat_load_ushort v18, v[18:19]
.LBB371_37:
	s_or_b64 exec, exec, s[0:1]
	v_or_b32_e32 v20, 0x1100, v0
	v_cmp_gt_u32_e32 vcc, s33, v20
                                        ; implicit-def: $vgpr19
	s_and_saveexec_b64 s[0:1], vcc
	s_cbranch_execz .LBB371_39
; %bb.38:
	v_lshlrev_b32_e32 v19, 1, v20
	v_mov_b32_e32 v21, s10
	v_add_co_u32_e32 v20, vcc, s7, v19
	v_addc_co_u32_e32 v21, vcc, 0, v21, vcc
	flat_load_ushort v19, v[20:21]
.LBB371_39:
	s_or_b64 exec, exec, s[0:1]
	v_or_b32_e32 v21, 0x1200, v0
	v_cmp_gt_u32_e32 vcc, s33, v21
                                        ; implicit-def: $vgpr20
	s_and_saveexec_b64 s[0:1], vcc
	s_cbranch_execz .LBB371_41
; %bb.40:
	v_lshlrev_b32_e32 v20, 1, v21
	v_mov_b32_e32 v21, s10
	v_add_co_u32_e32 v20, vcc, s7, v20
	v_addc_co_u32_e32 v21, vcc, 0, v21, vcc
	flat_load_ushort v20, v[20:21]
.LBB371_41:
	s_or_b64 exec, exec, s[0:1]
	v_or_b32_e32 v22, 0x1300, v0
	v_cmp_gt_u32_e32 vcc, s33, v22
                                        ; implicit-def: $vgpr21
	s_and_saveexec_b64 s[0:1], vcc
	s_cbranch_execz .LBB371_43
; %bb.42:
	v_lshlrev_b32_e32 v21, 1, v22
	v_mov_b32_e32 v23, s10
	v_add_co_u32_e32 v22, vcc, s7, v21
	v_addc_co_u32_e32 v23, vcc, 0, v23, vcc
	flat_load_ushort v21, v[22:23]
.LBB371_43:
	s_or_b64 exec, exec, s[0:1]
	v_or_b32_e32 v23, 0x1400, v0
	v_cmp_gt_u32_e32 vcc, s33, v23
                                        ; implicit-def: $vgpr22
	s_and_saveexec_b64 s[0:1], vcc
	s_cbranch_execz .LBB371_45
; %bb.44:
	v_lshlrev_b32_e32 v22, 1, v23
	v_mov_b32_e32 v23, s10
	v_add_co_u32_e32 v22, vcc, s7, v22
	v_addc_co_u32_e32 v23, vcc, 0, v23, vcc
	flat_load_ushort v22, v[22:23]
.LBB371_45:
	s_or_b64 exec, exec, s[0:1]
	v_or_b32_e32 v24, 0x1500, v0
	v_cmp_gt_u32_e32 vcc, s33, v24
                                        ; implicit-def: $vgpr23
	s_and_saveexec_b64 s[0:1], vcc
	s_cbranch_execz .LBB371_47
; %bb.46:
	v_lshlrev_b32_e32 v23, 1, v24
	v_mov_b32_e32 v25, s10
	v_add_co_u32_e32 v24, vcc, s7, v23
	v_addc_co_u32_e32 v25, vcc, 0, v25, vcc
	flat_load_ushort v23, v[24:25]
.LBB371_47:
	s_or_b64 exec, exec, s[0:1]
	v_or_b32_e32 v25, 0x1600, v0
	v_cmp_gt_u32_e32 vcc, s33, v25
                                        ; implicit-def: $vgpr24
	s_and_saveexec_b64 s[0:1], vcc
	s_cbranch_execz .LBB371_49
; %bb.48:
	v_lshlrev_b32_e32 v24, 1, v25
	v_mov_b32_e32 v25, s10
	v_add_co_u32_e32 v24, vcc, s7, v24
	v_addc_co_u32_e32 v25, vcc, 0, v25, vcc
	flat_load_ushort v24, v[24:25]
.LBB371_49:
	s_or_b64 exec, exec, s[0:1]
	v_or_b32_e32 v26, 0x1700, v0
	v_cmp_gt_u32_e32 vcc, s33, v26
                                        ; implicit-def: $vgpr25
	s_and_saveexec_b64 s[0:1], vcc
	s_cbranch_execz .LBB371_51
; %bb.50:
	v_lshlrev_b32_e32 v25, 1, v26
	v_mov_b32_e32 v27, s10
	v_add_co_u32_e32 v26, vcc, s7, v25
	v_addc_co_u32_e32 v27, vcc, 0, v27, vcc
	flat_load_ushort v25, v[26:27]
.LBB371_51:
	s_or_b64 exec, exec, s[0:1]
	v_or_b32_e32 v27, 0x1800, v0
	v_cmp_gt_u32_e32 vcc, s33, v27
                                        ; implicit-def: $vgpr26
	s_and_saveexec_b64 s[0:1], vcc
	s_cbranch_execz .LBB371_53
; %bb.52:
	v_lshlrev_b32_e32 v26, 1, v27
	v_mov_b32_e32 v27, s10
	v_add_co_u32_e32 v26, vcc, s7, v26
	v_addc_co_u32_e32 v27, vcc, 0, v27, vcc
	flat_load_ushort v26, v[26:27]
.LBB371_53:
	s_or_b64 exec, exec, s[0:1]
	v_or_b32_e32 v28, 0x1900, v0
	v_cmp_gt_u32_e32 vcc, s33, v28
                                        ; implicit-def: $vgpr27
	s_and_saveexec_b64 s[0:1], vcc
	s_cbranch_execz .LBB371_55
; %bb.54:
	v_lshlrev_b32_e32 v27, 1, v28
	v_mov_b32_e32 v29, s10
	v_add_co_u32_e32 v28, vcc, s7, v27
	v_addc_co_u32_e32 v29, vcc, 0, v29, vcc
	flat_load_ushort v27, v[28:29]
.LBB371_55:
	s_or_b64 exec, exec, s[0:1]
	v_or_b32_e32 v29, 0x1a00, v0
	v_cmp_gt_u32_e32 vcc, s33, v29
                                        ; implicit-def: $vgpr28
	s_and_saveexec_b64 s[0:1], vcc
	s_cbranch_execz .LBB371_57
; %bb.56:
	v_lshlrev_b32_e32 v28, 1, v29
	v_mov_b32_e32 v29, s10
	v_add_co_u32_e32 v28, vcc, s7, v28
	v_addc_co_u32_e32 v29, vcc, 0, v29, vcc
	flat_load_ushort v28, v[28:29]
.LBB371_57:
	s_or_b64 exec, exec, s[0:1]
	v_or_b32_e32 v30, 0x1b00, v0
	v_cmp_gt_u32_e32 vcc, s33, v30
                                        ; implicit-def: $vgpr29
	s_and_saveexec_b64 s[0:1], vcc
	s_cbranch_execz .LBB371_59
; %bb.58:
	v_lshlrev_b32_e32 v29, 1, v30
	v_mov_b32_e32 v31, s10
	v_add_co_u32_e32 v30, vcc, s7, v29
	v_addc_co_u32_e32 v31, vcc, 0, v31, vcc
	flat_load_ushort v29, v[30:31]
.LBB371_59:
	s_or_b64 exec, exec, s[0:1]
	s_waitcnt vmcnt(0) lgkmcnt(0)
	ds_write_b16 v1, v2
	ds_write_b16 v1, v3 offset:512
	ds_write_b16 v1, v4 offset:1024
	;; [unrolled: 1-line block ×27, first 2 shown]
	s_waitcnt lgkmcnt(0)
	s_barrier
.LBB371_60:
	v_mul_u32_u24_e32 v39, 28, v0
	v_lshlrev_b32_e32 v6, 1, v39
	s_waitcnt lgkmcnt(0)
	ds_read_b64 v[14:15], v6 offset:48
	ds_read2_b64 v[2:5], v6 offset0:4 offset1:5
	ds_read2_b64 v[10:13], v6 offset1:1
	ds_read2_b64 v[6:9], v6 offset0:2 offset1:3
	v_cndmask_b32_e64 v16, 0, 1, s[2:3]
	s_waitcnt lgkmcnt(3)
	v_lshrrev_b32_e32 v27, 16, v14
	v_lshrrev_b32_e32 v26, 16, v15
	s_waitcnt lgkmcnt(2)
	v_lshrrev_b32_e32 v31, 16, v2
	v_lshrrev_b32_e32 v30, 16, v3
	v_lshrrev_b32_e32 v29, 16, v4
	v_lshrrev_b32_e32 v28, 16, v5
	s_waitcnt lgkmcnt(1)
	v_lshrrev_b32_e32 v40, 16, v10
	v_lshrrev_b32_e32 v38, 16, v11
	v_lshrrev_b32_e32 v37, 16, v12
	v_lshrrev_b32_e32 v36, 16, v13
	s_waitcnt lgkmcnt(0)
	v_lshrrev_b32_e32 v35, 16, v6
	v_lshrrev_b32_e32 v34, 16, v7
	v_lshrrev_b32_e32 v33, 16, v8
	v_lshrrev_b32_e32 v32, 16, v9
	v_cmp_ne_u32_e64 s[0:1], 1, v16
	s_andn2_b64 vcc, exec, s[2:3]
	v_xor_b32_e32 v86, -1, v10
	v_xor_b32_e32 v85, -1, v40
	;; [unrolled: 1-line block ×28, first 2 shown]
	s_barrier
	s_cbranch_vccnz .LBB371_62
; %bb.61:
	v_and_b32_e32 v68, 1, v86
	v_and_b32_e32 v67, 1, v85
	;; [unrolled: 1-line block ×28, first 2 shown]
	s_load_dwordx2 s[34:35], s[4:5], 0x68
	s_cbranch_execz .LBB371_63
	s_branch .LBB371_64
.LBB371_62:
                                        ; implicit-def: $vgpr68
                                        ; implicit-def: $vgpr67
                                        ; implicit-def: $vgpr66
                                        ; implicit-def: $vgpr65
                                        ; implicit-def: $vgpr64
                                        ; implicit-def: $vgpr63
                                        ; implicit-def: $vgpr62
                                        ; implicit-def: $vgpr61
                                        ; implicit-def: $vgpr60
                                        ; implicit-def: $vgpr59
                                        ; implicit-def: $vgpr58
                                        ; implicit-def: $vgpr57
                                        ; implicit-def: $vgpr56
                                        ; implicit-def: $vgpr55
                                        ; implicit-def: $vgpr54
                                        ; implicit-def: $vgpr53
                                        ; implicit-def: $vgpr52
                                        ; implicit-def: $vgpr51
                                        ; implicit-def: $vgpr50
                                        ; implicit-def: $vgpr49
                                        ; implicit-def: $vgpr48
                                        ; implicit-def: $vgpr47
                                        ; implicit-def: $vgpr46
                                        ; implicit-def: $vgpr45
                                        ; implicit-def: $vgpr44
                                        ; implicit-def: $vgpr43
                                        ; implicit-def: $vgpr41
                                        ; implicit-def: $vgpr42
	s_load_dwordx2 s[34:35], s[4:5], 0x68
.LBB371_63:
	v_or_b32_e32 v50, 1, v39
	v_cmp_gt_u32_e32 vcc, s33, v39
	v_or_b32_e32 v51, 2, v39
	v_cndmask_b32_e64 v59, 0, 1, vcc
	v_cmp_gt_u32_e32 vcc, s33, v50
	v_or_b32_e32 v52, 3, v39
	v_cndmask_b32_e64 v50, 0, 1, vcc
	v_cmp_gt_u32_e32 vcc, s33, v51
	v_add_u32_e32 v53, 4, v39
	v_and_b32_e32 v67, v50, v85
	v_cndmask_b32_e64 v50, 0, 1, vcc
	v_cmp_gt_u32_e32 vcc, s33, v52
	v_add_u32_e32 v54, 5, v39
	v_and_b32_e32 v66, v50, v84
	;; [unrolled: 4-line block ×9, first 2 shown]
	v_and_b32_e32 v59, v50, v77
	v_cndmask_b32_e64 v50, 0, 1, vcc
	v_cmp_gt_u32_e32 vcc, s33, v88
	v_add_u32_e32 v90, 13, v39
	v_and_b32_e32 v58, v50, v76
	v_cndmask_b32_e64 v50, 0, 1, vcc
	v_cmp_gt_u32_e32 vcc, s33, v89
	v_add_u32_e32 v91, 14, v39
	;; [unrolled: 4-line block ×15, first 2 shown]
	v_and_b32_e32 v44, v20, v19
	v_cndmask_b32_e64 v19, 0, 1, vcc
	v_cmp_gt_u32_e32 vcc, s33, v41
	v_and_b32_e32 v43, v19, v18
	v_cndmask_b32_e64 v18, 0, 1, vcc
	v_cmp_gt_u32_e32 vcc, s33, v42
	v_and_b32_e32 v41, v18, v17
	v_cndmask_b32_e64 v17, 0, 1, vcc
	v_and_b32_e32 v42, v17, v16
.LBB371_64:
	v_and_b32_e32 v93, 0xff, v44
	v_and_b32_e32 v94, 0xff, v43
	v_add_u32_sdwa v16, v41, v42 dst_sel:DWORD dst_unused:UNUSED_PAD src0_sel:BYTE_0 src1_sel:BYTE_0
	v_and_b32_e32 v91, 0xff, v46
	v_and_b32_e32 v92, 0xff, v45
	v_add3_u32 v16, v16, v94, v93
	v_and_b32_e32 v89, 0xff, v48
	v_and_b32_e32 v90, 0xff, v47
	v_add3_u32 v16, v16, v92, v91
	;; [unrolled: 3-line block ×12, first 2 shown]
	v_add3_u32 v97, v16, v70, v69
	v_mbcnt_lo_u32_b32 v16, -1, 0
	v_mbcnt_hi_u32_b32 v95, -1, v16
	v_and_b32_e32 v16, 15, v95
	v_cmp_eq_u32_e64 s[16:17], 0, v16
	v_cmp_lt_u32_e64 s[14:15], 1, v16
	v_cmp_lt_u32_e64 s[12:13], 3, v16
	;; [unrolled: 1-line block ×3, first 2 shown]
	v_and_b32_e32 v16, 16, v95
	v_cmp_eq_u32_e64 s[8:9], 0, v16
	v_or_b32_e32 v16, 63, v0
	s_cmp_lg_u32 s6, 0
	v_cmp_lt_u32_e64 s[2:3], 31, v95
	v_lshrrev_b32_e32 v96, 6, v0
	v_cmp_eq_u32_e64 s[20:21], v16, v0
	s_cbranch_scc0 .LBB371_95
; %bb.65:
	v_mov_b32_dpp v16, v97 row_shr:1 row_mask:0xf bank_mask:0xf
	v_cndmask_b32_e64 v16, v16, 0, s[16:17]
	v_add_u32_e32 v16, v16, v97
	s_nop 1
	v_mov_b32_dpp v17, v16 row_shr:2 row_mask:0xf bank_mask:0xf
	v_cndmask_b32_e64 v17, 0, v17, s[14:15]
	v_add_u32_e32 v16, v16, v17
	s_nop 1
	;; [unrolled: 4-line block ×4, first 2 shown]
	v_mov_b32_dpp v17, v16 row_bcast:15 row_mask:0xf bank_mask:0xf
	v_cndmask_b32_e64 v17, v17, 0, s[8:9]
	v_add_u32_e32 v16, v16, v17
	s_nop 1
	v_mov_b32_dpp v17, v16 row_bcast:31 row_mask:0xf bank_mask:0xf
	v_cndmask_b32_e64 v17, 0, v17, s[2:3]
	v_add_u32_e32 v16, v16, v17
	s_and_saveexec_b64 s[18:19], s[20:21]
	s_cbranch_execz .LBB371_67
; %bb.66:
	v_lshlrev_b32_e32 v17, 2, v96
	ds_write_b32 v17, v16
.LBB371_67:
	s_or_b64 exec, exec, s[18:19]
	v_cmp_gt_u32_e32 vcc, 4, v0
	s_waitcnt lgkmcnt(0)
	s_barrier
	s_and_saveexec_b64 s[18:19], vcc
	s_cbranch_execz .LBB371_69
; %bb.68:
	v_lshlrev_b32_e32 v17, 2, v0
	ds_read_b32 v18, v17
	v_and_b32_e32 v19, 3, v95
	v_cmp_ne_u32_e32 vcc, 0, v19
	s_waitcnt lgkmcnt(0)
	v_mov_b32_dpp v20, v18 row_shr:1 row_mask:0xf bank_mask:0xf
	v_cndmask_b32_e32 v20, 0, v20, vcc
	v_add_u32_e32 v18, v20, v18
	v_cmp_lt_u32_e32 vcc, 1, v19
	s_nop 0
	v_mov_b32_dpp v20, v18 row_shr:2 row_mask:0xf bank_mask:0xf
	v_cndmask_b32_e32 v19, 0, v20, vcc
	v_add_u32_e32 v18, v18, v19
	ds_write_b32 v17, v18
.LBB371_69:
	s_or_b64 exec, exec, s[18:19]
	v_cmp_gt_u32_e32 vcc, 64, v0
	v_cmp_lt_u32_e64 s[18:19], 63, v0
	s_waitcnt lgkmcnt(0)
	s_barrier
	s_waitcnt lgkmcnt(0)
                                        ; implicit-def: $vgpr98
	s_and_saveexec_b64 s[36:37], s[18:19]
	s_cbranch_execz .LBB371_71
; %bb.70:
	v_lshl_add_u32 v17, v96, 2, -4
	ds_read_b32 v98, v17
	s_waitcnt lgkmcnt(0)
	v_add_u32_e32 v16, v98, v16
.LBB371_71:
	s_or_b64 exec, exec, s[36:37]
	v_add_u32_e32 v17, -1, v95
	v_and_b32_e32 v18, 64, v95
	v_cmp_lt_i32_e64 s[18:19], v17, v18
	v_cndmask_b32_e64 v17, v17, v95, s[18:19]
	v_lshlrev_b32_e32 v17, 2, v17
	ds_bpermute_b32 v99, v17, v16
	v_cmp_eq_u32_e64 s[18:19], 0, v95
	s_and_saveexec_b64 s[36:37], vcc
	s_cbranch_execz .LBB371_94
; %bb.72:
	v_mov_b32_e32 v25, 0
	ds_read_b32 v16, v25 offset:12
	s_and_saveexec_b64 s[38:39], s[18:19]
	s_cbranch_execz .LBB371_74
; %bb.73:
	s_add_i32 s40, s6, 64
	s_mov_b32 s41, 0
	s_lshl_b64 s[40:41], s[40:41], 3
	s_add_u32 s40, s34, s40
	v_mov_b32_e32 v17, 1
	s_addc_u32 s41, s35, s41
	s_waitcnt lgkmcnt(0)
	global_store_dwordx2 v25, v[16:17], s[40:41]
.LBB371_74:
	s_or_b64 exec, exec, s[38:39]
	v_xad_u32 v18, v95, -1, s6
	v_add_u32_e32 v24, 64, v18
	v_lshlrev_b64 v[20:21], 3, v[24:25]
	v_mov_b32_e32 v17, s35
	v_add_co_u32_e32 v20, vcc, s34, v20
	v_addc_co_u32_e32 v21, vcc, v17, v21, vcc
	global_load_dwordx2 v[22:23], v[20:21], off glc
	s_waitcnt vmcnt(0)
	v_cmp_eq_u16_sdwa s[40:41], v23, v25 src0_sel:BYTE_0 src1_sel:DWORD
	s_and_saveexec_b64 s[38:39], s[40:41]
	s_cbranch_execz .LBB371_80
; %bb.75:
	s_mov_b32 s7, 1
	s_mov_b64 s[40:41], 0
	v_mov_b32_e32 v17, 0
.LBB371_76:                             ; =>This Loop Header: Depth=1
                                        ;     Child Loop BB371_77 Depth 2
	s_max_u32 s42, s7, 1
.LBB371_77:                             ;   Parent Loop BB371_76 Depth=1
                                        ; =>  This Inner Loop Header: Depth=2
	s_add_i32 s42, s42, -1
	s_cmp_eq_u32 s42, 0
	s_sleep 1
	s_cbranch_scc0 .LBB371_77
; %bb.78:                               ;   in Loop: Header=BB371_76 Depth=1
	global_load_dwordx2 v[22:23], v[20:21], off glc
	s_cmp_lt_u32 s7, 32
	s_cselect_b64 s[42:43], -1, 0
	s_cmp_lg_u64 s[42:43], 0
	s_addc_u32 s7, s7, 0
	s_waitcnt vmcnt(0)
	v_cmp_ne_u16_sdwa s[42:43], v23, v17 src0_sel:BYTE_0 src1_sel:DWORD
	s_or_b64 s[40:41], s[42:43], s[40:41]
	s_andn2_b64 exec, exec, s[40:41]
	s_cbranch_execnz .LBB371_76
; %bb.79:
	s_or_b64 exec, exec, s[40:41]
.LBB371_80:
	s_or_b64 exec, exec, s[38:39]
	v_and_b32_e32 v101, 63, v95
	v_mov_b32_e32 v100, 2
	v_cmp_ne_u32_e32 vcc, 63, v101
	v_cmp_eq_u16_sdwa s[38:39], v23, v100 src0_sel:BYTE_0 src1_sel:DWORD
	v_lshlrev_b64 v[20:21], v95, -1
	v_addc_co_u32_e32 v24, vcc, 0, v95, vcc
	v_and_b32_e32 v17, s39, v21
	v_lshlrev_b32_e32 v102, 2, v24
	v_or_b32_e32 v17, 0x80000000, v17
	ds_bpermute_b32 v24, v102, v22
	v_and_b32_e32 v19, s38, v20
	v_ffbl_b32_e32 v17, v17
	v_add_u32_e32 v17, 32, v17
	v_ffbl_b32_e32 v19, v19
	v_min_u32_e32 v17, v19, v17
	v_cmp_lt_u32_e32 vcc, v101, v17
	s_waitcnt lgkmcnt(0)
	v_cndmask_b32_e32 v19, 0, v24, vcc
	v_cmp_gt_u32_e32 vcc, 62, v101
	v_add_u32_e32 v19, v19, v22
	v_cndmask_b32_e64 v22, 0, 1, vcc
	v_lshlrev_b32_e32 v22, 1, v22
	v_add_lshl_u32 v103, v22, v95, 2
	ds_bpermute_b32 v22, v103, v19
	v_add_u32_e32 v104, 2, v101
	v_cmp_le_u32_e32 vcc, v104, v17
	v_add_u32_e32 v106, 4, v101
	v_add_u32_e32 v108, 8, v101
	s_waitcnt lgkmcnt(0)
	v_cndmask_b32_e32 v22, 0, v22, vcc
	v_cmp_gt_u32_e32 vcc, 60, v101
	v_add_u32_e32 v19, v19, v22
	v_cndmask_b32_e64 v22, 0, 1, vcc
	v_lshlrev_b32_e32 v22, 2, v22
	v_add_lshl_u32 v105, v22, v95, 2
	ds_bpermute_b32 v22, v105, v19
	v_cmp_le_u32_e32 vcc, v106, v17
	v_add_u32_e32 v110, 16, v101
	v_add_u32_e32 v112, 32, v101
	s_waitcnt lgkmcnt(0)
	v_cndmask_b32_e32 v22, 0, v22, vcc
	v_cmp_gt_u32_e32 vcc, 56, v101
	v_add_u32_e32 v19, v19, v22
	v_cndmask_b32_e64 v22, 0, 1, vcc
	v_lshlrev_b32_e32 v22, 3, v22
	v_add_lshl_u32 v107, v22, v95, 2
	ds_bpermute_b32 v22, v107, v19
	v_cmp_le_u32_e32 vcc, v108, v17
	s_waitcnt lgkmcnt(0)
	v_cndmask_b32_e32 v22, 0, v22, vcc
	v_cmp_gt_u32_e32 vcc, 48, v101
	v_add_u32_e32 v19, v19, v22
	v_cndmask_b32_e64 v22, 0, 1, vcc
	v_lshlrev_b32_e32 v22, 4, v22
	v_add_lshl_u32 v109, v22, v95, 2
	ds_bpermute_b32 v22, v109, v19
	v_cmp_le_u32_e32 vcc, v110, v17
	;; [unrolled: 9-line block ×3, first 2 shown]
	s_waitcnt lgkmcnt(0)
	v_cndmask_b32_e32 v17, 0, v22, vcc
	v_add_u32_e32 v22, v19, v17
	v_mov_b32_e32 v19, 0
	s_branch .LBB371_82
.LBB371_81:                             ;   in Loop: Header=BB371_82 Depth=1
	s_or_b64 exec, exec, s[38:39]
	v_cmp_eq_u16_sdwa s[38:39], v23, v100 src0_sel:BYTE_0 src1_sel:DWORD
	v_and_b32_e32 v24, s39, v21
	v_or_b32_e32 v24, 0x80000000, v24
	ds_bpermute_b32 v113, v102, v22
	v_and_b32_e32 v25, s38, v20
	v_ffbl_b32_e32 v24, v24
	v_add_u32_e32 v24, 32, v24
	v_ffbl_b32_e32 v25, v25
	v_min_u32_e32 v24, v25, v24
	v_cmp_lt_u32_e32 vcc, v101, v24
	s_waitcnt lgkmcnt(0)
	v_cndmask_b32_e32 v25, 0, v113, vcc
	v_add_u32_e32 v22, v25, v22
	ds_bpermute_b32 v25, v103, v22
	v_cmp_le_u32_e32 vcc, v104, v24
	v_subrev_u32_e32 v18, 64, v18
	s_waitcnt lgkmcnt(0)
	v_cndmask_b32_e32 v25, 0, v25, vcc
	v_add_u32_e32 v22, v22, v25
	ds_bpermute_b32 v25, v105, v22
	v_cmp_le_u32_e32 vcc, v106, v24
	s_waitcnt lgkmcnt(0)
	v_cndmask_b32_e32 v25, 0, v25, vcc
	v_add_u32_e32 v22, v22, v25
	ds_bpermute_b32 v25, v107, v22
	v_cmp_le_u32_e32 vcc, v108, v24
	s_waitcnt lgkmcnt(0)
	v_cndmask_b32_e32 v25, 0, v25, vcc
	v_add_u32_e32 v22, v22, v25
	ds_bpermute_b32 v25, v109, v22
	v_cmp_le_u32_e32 vcc, v110, v24
	s_waitcnt lgkmcnt(0)
	v_cndmask_b32_e32 v25, 0, v25, vcc
	v_add_u32_e32 v22, v22, v25
	ds_bpermute_b32 v25, v111, v22
	v_cmp_le_u32_e32 vcc, v112, v24
	s_waitcnt lgkmcnt(0)
	v_cndmask_b32_e32 v24, 0, v25, vcc
	v_add3_u32 v22, v24, v17, v22
.LBB371_82:                             ; =>This Loop Header: Depth=1
                                        ;     Child Loop BB371_85 Depth 2
                                        ;       Child Loop BB371_86 Depth 3
	v_cmp_ne_u16_sdwa s[38:39], v23, v100 src0_sel:BYTE_0 src1_sel:DWORD
	v_cndmask_b32_e64 v17, 0, 1, s[38:39]
	;;#ASMSTART
	;;#ASMEND
	v_cmp_ne_u32_e32 vcc, 0, v17
	s_cmp_lg_u64 vcc, exec
	v_mov_b32_e32 v17, v22
	s_cbranch_scc1 .LBB371_89
; %bb.83:                               ;   in Loop: Header=BB371_82 Depth=1
	v_lshlrev_b64 v[22:23], 3, v[18:19]
	v_mov_b32_e32 v25, s35
	v_add_co_u32_e32 v24, vcc, s34, v22
	v_addc_co_u32_e32 v25, vcc, v25, v23, vcc
	global_load_dwordx2 v[22:23], v[24:25], off glc
	s_waitcnt vmcnt(0)
	v_cmp_eq_u16_sdwa s[40:41], v23, v19 src0_sel:BYTE_0 src1_sel:DWORD
	s_and_saveexec_b64 s[38:39], s[40:41]
	s_cbranch_execz .LBB371_81
; %bb.84:                               ;   in Loop: Header=BB371_82 Depth=1
	s_mov_b32 s7, 1
	s_mov_b64 s[40:41], 0
.LBB371_85:                             ;   Parent Loop BB371_82 Depth=1
                                        ; =>  This Loop Header: Depth=2
                                        ;       Child Loop BB371_86 Depth 3
	s_max_u32 s42, s7, 1
.LBB371_86:                             ;   Parent Loop BB371_82 Depth=1
                                        ;     Parent Loop BB371_85 Depth=2
                                        ; =>    This Inner Loop Header: Depth=3
	s_add_i32 s42, s42, -1
	s_cmp_eq_u32 s42, 0
	s_sleep 1
	s_cbranch_scc0 .LBB371_86
; %bb.87:                               ;   in Loop: Header=BB371_85 Depth=2
	global_load_dwordx2 v[22:23], v[24:25], off glc
	s_cmp_lt_u32 s7, 32
	s_cselect_b64 s[42:43], -1, 0
	s_cmp_lg_u64 s[42:43], 0
	s_addc_u32 s7, s7, 0
	s_waitcnt vmcnt(0)
	v_cmp_ne_u16_sdwa s[42:43], v23, v19 src0_sel:BYTE_0 src1_sel:DWORD
	s_or_b64 s[40:41], s[42:43], s[40:41]
	s_andn2_b64 exec, exec, s[40:41]
	s_cbranch_execnz .LBB371_85
; %bb.88:                               ;   in Loop: Header=BB371_82 Depth=1
	s_or_b64 exec, exec, s[40:41]
	s_branch .LBB371_81
.LBB371_89:                             ;   in Loop: Header=BB371_82 Depth=1
                                        ; implicit-def: $vgpr22
                                        ; implicit-def: $vgpr23
	s_cbranch_execz .LBB371_82
; %bb.90:
	s_and_saveexec_b64 s[38:39], s[18:19]
	s_cbranch_execz .LBB371_92
; %bb.91:
	s_add_i32 s6, s6, 64
	s_mov_b32 s7, 0
	s_lshl_b64 s[6:7], s[6:7], 3
	s_add_u32 s6, s34, s6
	v_add_u32_e32 v18, v17, v16
	v_mov_b32_e32 v19, 2
	s_addc_u32 s7, s35, s7
	v_mov_b32_e32 v20, 0
	global_store_dwordx2 v20, v[18:19], s[6:7]
	ds_write_b64 v20, v[16:17] offset:14336
.LBB371_92:
	s_or_b64 exec, exec, s[38:39]
	v_cmp_eq_u32_e32 vcc, 0, v0
	s_and_b64 exec, exec, vcc
	s_cbranch_execz .LBB371_94
; %bb.93:
	v_mov_b32_e32 v16, 0
	ds_write_b32 v16, v17 offset:12
.LBB371_94:
	s_or_b64 exec, exec, s[36:37]
	v_mov_b32_e32 v16, 0
	s_waitcnt lgkmcnt(0)
	s_barrier
	ds_read_b32 v19, v16 offset:12
	s_waitcnt lgkmcnt(0)
	s_barrier
	ds_read_b64 v[16:17], v16 offset:14336
	v_cndmask_b32_e64 v18, v99, v98, s[18:19]
	v_cmp_ne_u32_e32 vcc, 0, v0
	v_cndmask_b32_e32 v18, 0, v18, vcc
	v_add_u32_e32 v18, v19, v18
	s_branch .LBB371_105
.LBB371_95:
                                        ; implicit-def: $vgpr17
                                        ; implicit-def: $vgpr18
	s_cbranch_execz .LBB371_105
; %bb.96:
	s_waitcnt lgkmcnt(0)
	v_mov_b32_dpp v16, v97 row_shr:1 row_mask:0xf bank_mask:0xf
	v_cndmask_b32_e64 v16, v16, 0, s[16:17]
	v_add_u32_e32 v16, v16, v97
	s_nop 1
	v_mov_b32_dpp v17, v16 row_shr:2 row_mask:0xf bank_mask:0xf
	v_cndmask_b32_e64 v17, 0, v17, s[14:15]
	v_add_u32_e32 v16, v16, v17
	s_nop 1
	;; [unrolled: 4-line block ×4, first 2 shown]
	v_mov_b32_dpp v17, v16 row_bcast:15 row_mask:0xf bank_mask:0xf
	v_cndmask_b32_e64 v17, v17, 0, s[8:9]
	v_add_u32_e32 v16, v16, v17
	s_nop 1
	v_mov_b32_dpp v17, v16 row_bcast:31 row_mask:0xf bank_mask:0xf
	v_cndmask_b32_e64 v17, 0, v17, s[2:3]
	v_add_u32_e32 v16, v16, v17
	s_and_saveexec_b64 s[2:3], s[20:21]
	s_cbranch_execz .LBB371_98
; %bb.97:
	v_lshlrev_b32_e32 v17, 2, v96
	ds_write_b32 v17, v16
.LBB371_98:
	s_or_b64 exec, exec, s[2:3]
	v_cmp_gt_u32_e32 vcc, 4, v0
	s_waitcnt lgkmcnt(0)
	s_barrier
	s_and_saveexec_b64 s[2:3], vcc
	s_cbranch_execz .LBB371_100
; %bb.99:
	v_lshlrev_b32_e32 v17, 2, v0
	ds_read_b32 v18, v17
	v_and_b32_e32 v19, 3, v95
	v_cmp_ne_u32_e32 vcc, 0, v19
	s_waitcnt lgkmcnt(0)
	v_mov_b32_dpp v20, v18 row_shr:1 row_mask:0xf bank_mask:0xf
	v_cndmask_b32_e32 v20, 0, v20, vcc
	v_add_u32_e32 v18, v20, v18
	v_cmp_lt_u32_e32 vcc, 1, v19
	s_nop 0
	v_mov_b32_dpp v20, v18 row_shr:2 row_mask:0xf bank_mask:0xf
	v_cndmask_b32_e32 v19, 0, v20, vcc
	v_add_u32_e32 v18, v18, v19
	ds_write_b32 v17, v18
.LBB371_100:
	s_or_b64 exec, exec, s[2:3]
	v_cmp_lt_u32_e32 vcc, 63, v0
	v_mov_b32_e32 v17, 0
	v_mov_b32_e32 v18, 0
	s_waitcnt lgkmcnt(0)
	s_barrier
	s_and_saveexec_b64 s[2:3], vcc
	s_cbranch_execz .LBB371_102
; %bb.101:
	v_lshl_add_u32 v18, v96, 2, -4
	ds_read_b32 v18, v18
.LBB371_102:
	s_or_b64 exec, exec, s[2:3]
	v_add_u32_e32 v19, -1, v95
	v_and_b32_e32 v20, 64, v95
	v_cmp_lt_i32_e32 vcc, v19, v20
	v_cndmask_b32_e32 v19, v19, v95, vcc
	s_waitcnt lgkmcnt(0)
	v_add_u32_e32 v16, v18, v16
	v_lshlrev_b32_e32 v19, 2, v19
	ds_bpermute_b32 v19, v19, v16
	ds_read_b32 v16, v17 offset:12
	v_cmp_eq_u32_e32 vcc, 0, v0
	s_and_saveexec_b64 s[2:3], vcc
	s_cbranch_execz .LBB371_104
; %bb.103:
	v_mov_b32_e32 v20, 0
	v_mov_b32_e32 v17, 2
	s_waitcnt lgkmcnt(0)
	global_store_dwordx2 v20, v[16:17], s[34:35] offset:512
.LBB371_104:
	s_or_b64 exec, exec, s[2:3]
	v_cmp_eq_u32_e64 s[2:3], 0, v95
	s_waitcnt lgkmcnt(1)
	v_cndmask_b32_e64 v18, v19, v18, s[2:3]
	v_mov_b32_e32 v17, 0
	v_cndmask_b32_e64 v18, v18, 0, vcc
	s_waitcnt lgkmcnt(0)
	s_barrier
.LBB371_105:
	v_add_u32_e32 v19, v18, v69
	v_add_u32_e32 v20, v19, v70
	;; [unrolled: 1-line block ×19, first 2 shown]
	s_waitcnt lgkmcnt(0)
	v_add_u32_e32 v39, v16, v39
	v_sub_u32_e32 v18, v18, v17
	v_and_b32_e32 v68, 1, v68
	v_add_u32_e32 v81, v80, v88
	v_sub_u32_e32 v88, v39, v18
	v_cmp_eq_u32_e32 vcc, 1, v68
	v_cndmask_b32_e32 v18, v88, v18, vcc
	v_lshlrev_b32_e32 v18, 1, v18
	ds_write_b16 v18, v10
	v_sub_u32_e32 v10, v19, v17
	v_sub_u32_e32 v18, v39, v10
	v_and_b32_e32 v19, 1, v67
	v_add_u32_e32 v18, 1, v18
	v_cmp_eq_u32_e32 vcc, 1, v19
	v_cndmask_b32_e32 v10, v18, v10, vcc
	v_lshlrev_b32_e32 v10, 1, v10
	ds_write_b16 v10, v40
	v_sub_u32_e32 v10, v20, v17
	v_sub_u32_e32 v18, v39, v10
	v_and_b32_e32 v19, 1, v66
	v_add_u32_e32 v18, 2, v18
	;; [unrolled: 8-line block ×20, first 2 shown]
	v_cmp_eq_u32_e32 vcc, 1, v6
	v_cndmask_b32_e32 v2, v3, v2, vcc
	v_add_u32_e32 v82, v81, v89
	v_lshlrev_b32_e32 v2, 1, v2
	ds_write_b16 v2, v4
	v_sub_u32_e32 v2, v82, v17
	v_sub_u32_e32 v3, v39, v2
	v_and_b32_e32 v4, 1, v47
	v_add_u32_e32 v3, 21, v3
	v_cmp_eq_u32_e32 vcc, 1, v4
	v_cndmask_b32_e32 v2, v3, v2, vcc
	v_add_u32_e32 v83, v82, v90
	v_lshlrev_b32_e32 v2, 1, v2
	ds_write_b16 v2, v29
	v_sub_u32_e32 v2, v83, v17
	v_sub_u32_e32 v3, v39, v2
	v_and_b32_e32 v4, 1, v46
	v_add_u32_e32 v3, 22, v3
	;; [unrolled: 9-line block ×6, first 2 shown]
	v_cmp_eq_u32_e32 vcc, 1, v4
	v_cndmask_b32_e32 v2, v3, v2, vcc
	v_lshlrev_b32_e32 v2, 1, v2
	ds_write_b16 v2, v15
	v_sub_u32_sdwa v2, v41, v17 dst_sel:DWORD dst_unused:UNUSED_PAD src0_sel:BYTE_0 src1_sel:DWORD
	v_add_u32_e32 v2, v87, v2
	v_sub_u32_e32 v3, v39, v2
	v_and_b32_e32 v4, 1, v42
	v_add_u32_e32 v3, 27, v3
	v_cmp_eq_u32_e32 vcc, 1, v4
	v_cndmask_b32_e32 v2, v3, v2, vcc
	v_lshlrev_b32_e32 v2, 1, v2
	ds_write_b16 v2, v26
	v_mov_b32_e32 v2, s31
	v_add_co_u32_e32 v66, vcc, s30, v17
	v_addc_co_u32_e32 v67, vcc, 0, v2, vcc
	s_load_dwordx4 s[4:7], s[4:5], 0x28
	s_waitcnt lgkmcnt(0)
	s_barrier
	ds_read_u16 v64, v1
	ds_read_u16 v63, v1 offset:512
	ds_read_u16 v61, v1 offset:1024
	;; [unrolled: 1-line block ×23, first 2 shown]
	v_add_co_u32_e32 v2, vcc, v66, v16
	v_addc_co_u32_e32 v3, vcc, 0, v67, vcc
	v_mov_b32_e32 v9, s23
	v_sub_co_u32_e32 v8, vcc, s22, v2
	v_subb_co_u32_e32 v9, vcc, v9, v3, vcc
	ds_read_u16 v15, v1 offset:12288
	ds_read_u16 v12, v1 offset:12800
	;; [unrolled: 1-line block ×4, first 2 shown]
	v_lshlrev_b64 v[8:9], 1, v[8:9]
	v_mov_b32_e32 v11, s7
	v_add_co_u32_e32 v8, vcc, s6, v8
	v_addc_co_u32_e32 v9, vcc, v11, v9, vcc
	v_mov_b32_e32 v11, s29
	v_add_co_u32_e32 v8, vcc, s28, v8
	v_addc_co_u32_e32 v9, vcc, v9, v11, vcc
	v_lshlrev_b64 v[66:67], 1, v[66:67]
	v_mov_b32_e32 v13, s5
	s_and_b64 vcc, exec, s[0:1]
	v_add_co_u32_e64 v11, s[0:1], s4, v66
	v_or_b32_e32 v62, 0x100, v0
	v_or_b32_e32 v60, 0x200, v0
	;; [unrolled: 1-line block ×27, first 2 shown]
	v_addc_co_u32_e64 v13, s[0:1], v13, v67, s[0:1]
	s_cbranch_vccnz .LBB371_107
; %bb.106:
	v_cmp_lt_u32_e32 vcc, v0, v16
	v_cndmask_b32_e32 v65, v8, v11, vcc
	v_cndmask_b32_e32 v17, v9, v13, vcc
	v_add_co_u32_e32 v66, vcc, v65, v1
	v_addc_co_u32_e32 v67, vcc, 0, v17, vcc
	v_cmp_lt_u32_e32 vcc, v62, v16
	v_cndmask_b32_e32 v65, v8, v11, vcc
	s_waitcnt lgkmcnt(14)
	global_store_short v[66:67], v64, off
	v_cndmask_b32_e32 v17, v9, v13, vcc
	v_add_co_u32_e32 v66, vcc, v65, v1
	v_addc_co_u32_e32 v67, vcc, 0, v17, vcc
	v_cmp_lt_u32_e32 vcc, v60, v16
	v_cndmask_b32_e32 v65, v8, v11, vcc
	global_store_short v[66:67], v63, off offset:512
	v_cndmask_b32_e32 v17, v9, v13, vcc
	v_add_co_u32_e32 v66, vcc, v65, v1
	v_addc_co_u32_e32 v67, vcc, 0, v17, vcc
	v_cmp_lt_u32_e32 vcc, v58, v16
	v_cndmask_b32_e32 v65, v8, v11, vcc
	global_store_short v[66:67], v61, off offset:1024
	;; [unrolled: 6-line block ×6, first 2 shown]
	v_cndmask_b32_e32 v17, v9, v13, vcc
	v_add_co_u32_e32 v66, vcc, v65, v1
	v_addc_co_u32_e32 v67, vcc, 0, v17, vcc
	v_cmp_lt_u32_e32 vcc, v48, v16
	global_store_short v[66:67], v51, off offset:3584
	v_cndmask_b32_e32 v65, v8, v11, vcc
	v_lshlrev_b32_e32 v66, 1, v48
	v_cndmask_b32_e32 v17, v9, v13, vcc
	v_add_co_u32_e32 v66, vcc, v65, v66
	v_addc_co_u32_e32 v67, vcc, 0, v17, vcc
	v_cmp_lt_u32_e32 vcc, v46, v16
	global_store_short v[66:67], v49, off
	v_cndmask_b32_e32 v65, v8, v11, vcc
	v_lshlrev_b32_e32 v66, 1, v46
	v_cndmask_b32_e32 v17, v9, v13, vcc
	v_add_co_u32_e32 v66, vcc, v65, v66
	v_addc_co_u32_e32 v67, vcc, 0, v17, vcc
	v_cmp_lt_u32_e32 vcc, v44, v16
	global_store_short v[66:67], v47, off
	v_cndmask_b32_e32 v65, v8, v11, vcc
	v_lshlrev_b32_e32 v66, 1, v44
	v_cndmask_b32_e32 v17, v9, v13, vcc
	v_add_co_u32_e32 v66, vcc, v65, v66
	v_addc_co_u32_e32 v67, vcc, 0, v17, vcc
	v_cmp_lt_u32_e32 vcc, v42, v16
	global_store_short v[66:67], v45, off
	v_cndmask_b32_e32 v65, v8, v11, vcc
	v_lshlrev_b32_e32 v66, 1, v42
	v_cndmask_b32_e32 v17, v9, v13, vcc
	v_add_co_u32_e32 v66, vcc, v65, v66
	v_addc_co_u32_e32 v67, vcc, 0, v17, vcc
	v_cmp_lt_u32_e32 vcc, v40, v16
	global_store_short v[66:67], v43, off
	v_cndmask_b32_e32 v65, v8, v11, vcc
	v_lshlrev_b32_e32 v66, 1, v40
	v_cndmask_b32_e32 v17, v9, v13, vcc
	v_add_co_u32_e32 v66, vcc, v65, v66
	v_addc_co_u32_e32 v67, vcc, 0, v17, vcc
	v_cmp_lt_u32_e32 vcc, v38, v16
	global_store_short v[66:67], v41, off
	v_cndmask_b32_e32 v65, v8, v11, vcc
	v_lshlrev_b32_e32 v66, 1, v38
	v_cndmask_b32_e32 v17, v9, v13, vcc
	v_add_co_u32_e32 v66, vcc, v65, v66
	v_addc_co_u32_e32 v67, vcc, 0, v17, vcc
	v_cmp_lt_u32_e32 vcc, v36, v16
	global_store_short v[66:67], v39, off
	v_cndmask_b32_e32 v65, v8, v11, vcc
	v_lshlrev_b32_e32 v66, 1, v36
	v_cndmask_b32_e32 v17, v9, v13, vcc
	v_add_co_u32_e32 v66, vcc, v65, v66
	v_addc_co_u32_e32 v67, vcc, 0, v17, vcc
	v_cmp_lt_u32_e32 vcc, v33, v16
	s_waitcnt lgkmcnt(13)
	global_store_short v[66:67], v37, off
	v_cndmask_b32_e32 v65, v8, v11, vcc
	v_lshlrev_b32_e32 v66, 1, v33
	v_cndmask_b32_e32 v17, v9, v13, vcc
	v_add_co_u32_e32 v66, vcc, v65, v66
	v_addc_co_u32_e32 v67, vcc, 0, v17, vcc
	v_cmp_lt_u32_e32 vcc, v32, v16
	s_waitcnt lgkmcnt(12)
	global_store_short v[66:67], v35, off
	;; [unrolled: 8-line block ×12, first 2 shown]
	v_cndmask_b32_e32 v65, v8, v11, vcc
	v_lshlrev_b32_e32 v66, 1, v7
	v_cndmask_b32_e32 v17, v9, v13, vcc
	v_add_co_u32_e32 v66, vcc, v65, v66
	v_addc_co_u32_e32 v67, vcc, 0, v17, vcc
	s_mov_b64 s[0:1], -1
	s_waitcnt lgkmcnt(1)
	global_store_short v[66:67], v6, off
	s_cbranch_execz .LBB371_108
	s_branch .LBB371_137
.LBB371_107:
	s_mov_b64 s[0:1], 0
.LBB371_108:
	v_cmp_gt_u32_e32 vcc, s33, v0
	s_and_saveexec_b64 s[0:1], vcc
	s_cbranch_execnz .LBB371_142
; %bb.109:
	s_or_b64 exec, exec, s[0:1]
	v_cmp_gt_u32_e32 vcc, s33, v62
	s_and_saveexec_b64 s[0:1], vcc
	s_cbranch_execnz .LBB371_143
.LBB371_110:
	s_or_b64 exec, exec, s[0:1]
	v_cmp_gt_u32_e32 vcc, s33, v60
	s_and_saveexec_b64 s[0:1], vcc
	s_cbranch_execnz .LBB371_144
.LBB371_111:
	s_or_b64 exec, exec, s[0:1]
	v_cmp_gt_u32_e32 vcc, s33, v58
	s_and_saveexec_b64 s[0:1], vcc
	s_cbranch_execnz .LBB371_145
.LBB371_112:
	s_or_b64 exec, exec, s[0:1]
	v_cmp_gt_u32_e32 vcc, s33, v56
	s_and_saveexec_b64 s[0:1], vcc
	s_cbranch_execnz .LBB371_146
.LBB371_113:
	s_or_b64 exec, exec, s[0:1]
	v_cmp_gt_u32_e32 vcc, s33, v54
	s_and_saveexec_b64 s[0:1], vcc
	s_cbranch_execnz .LBB371_147
.LBB371_114:
	s_or_b64 exec, exec, s[0:1]
	v_cmp_gt_u32_e32 vcc, s33, v52
	s_and_saveexec_b64 s[0:1], vcc
	s_cbranch_execnz .LBB371_148
.LBB371_115:
	s_or_b64 exec, exec, s[0:1]
	v_cmp_gt_u32_e32 vcc, s33, v50
	s_and_saveexec_b64 s[0:1], vcc
	s_cbranch_execnz .LBB371_149
.LBB371_116:
	s_or_b64 exec, exec, s[0:1]
	v_cmp_gt_u32_e32 vcc, s33, v48
	s_and_saveexec_b64 s[0:1], vcc
	s_cbranch_execnz .LBB371_150
.LBB371_117:
	s_or_b64 exec, exec, s[0:1]
	v_cmp_gt_u32_e32 vcc, s33, v46
	s_and_saveexec_b64 s[0:1], vcc
	s_cbranch_execnz .LBB371_151
.LBB371_118:
	s_or_b64 exec, exec, s[0:1]
	v_cmp_gt_u32_e32 vcc, s33, v44
	s_and_saveexec_b64 s[0:1], vcc
	s_cbranch_execnz .LBB371_152
.LBB371_119:
	s_or_b64 exec, exec, s[0:1]
	v_cmp_gt_u32_e32 vcc, s33, v42
	s_and_saveexec_b64 s[0:1], vcc
	s_cbranch_execnz .LBB371_153
.LBB371_120:
	s_or_b64 exec, exec, s[0:1]
	v_cmp_gt_u32_e32 vcc, s33, v40
	s_and_saveexec_b64 s[0:1], vcc
	s_cbranch_execnz .LBB371_154
.LBB371_121:
	s_or_b64 exec, exec, s[0:1]
	v_cmp_gt_u32_e32 vcc, s33, v38
	s_and_saveexec_b64 s[0:1], vcc
	s_cbranch_execnz .LBB371_155
.LBB371_122:
	s_or_b64 exec, exec, s[0:1]
	v_cmp_gt_u32_e32 vcc, s33, v36
	s_and_saveexec_b64 s[0:1], vcc
	s_cbranch_execnz .LBB371_156
.LBB371_123:
	s_or_b64 exec, exec, s[0:1]
	v_cmp_gt_u32_e32 vcc, s33, v33
	s_and_saveexec_b64 s[0:1], vcc
	s_cbranch_execnz .LBB371_157
.LBB371_124:
	s_or_b64 exec, exec, s[0:1]
	v_cmp_gt_u32_e32 vcc, s33, v32
	s_and_saveexec_b64 s[0:1], vcc
	s_cbranch_execnz .LBB371_158
.LBB371_125:
	s_or_b64 exec, exec, s[0:1]
	v_cmp_gt_u32_e32 vcc, s33, v30
	s_and_saveexec_b64 s[0:1], vcc
	s_cbranch_execnz .LBB371_159
.LBB371_126:
	s_or_b64 exec, exec, s[0:1]
	v_cmp_gt_u32_e32 vcc, s33, v28
	s_and_saveexec_b64 s[0:1], vcc
	s_cbranch_execnz .LBB371_160
.LBB371_127:
	s_or_b64 exec, exec, s[0:1]
	v_cmp_gt_u32_e32 vcc, s33, v26
	s_and_saveexec_b64 s[0:1], vcc
	s_cbranch_execnz .LBB371_161
.LBB371_128:
	s_or_b64 exec, exec, s[0:1]
	v_cmp_gt_u32_e32 vcc, s33, v24
	s_and_saveexec_b64 s[0:1], vcc
	s_cbranch_execnz .LBB371_162
.LBB371_129:
	s_or_b64 exec, exec, s[0:1]
	v_cmp_gt_u32_e32 vcc, s33, v22
	s_and_saveexec_b64 s[0:1], vcc
	s_cbranch_execnz .LBB371_163
.LBB371_130:
	s_or_b64 exec, exec, s[0:1]
	v_cmp_gt_u32_e32 vcc, s33, v20
	s_and_saveexec_b64 s[0:1], vcc
	s_cbranch_execnz .LBB371_164
.LBB371_131:
	s_or_b64 exec, exec, s[0:1]
	v_cmp_gt_u32_e32 vcc, s33, v18
	s_and_saveexec_b64 s[0:1], vcc
	s_cbranch_execnz .LBB371_165
.LBB371_132:
	s_or_b64 exec, exec, s[0:1]
	v_cmp_gt_u32_e32 vcc, s33, v14
	s_and_saveexec_b64 s[0:1], vcc
	s_cbranch_execnz .LBB371_166
.LBB371_133:
	s_or_b64 exec, exec, s[0:1]
	v_cmp_gt_u32_e32 vcc, s33, v10
	s_and_saveexec_b64 s[0:1], vcc
	s_cbranch_execnz .LBB371_167
.LBB371_134:
	s_or_b64 exec, exec, s[0:1]
	v_cmp_gt_u32_e32 vcc, s33, v7
	s_and_saveexec_b64 s[0:1], vcc
	s_cbranch_execz .LBB371_136
.LBB371_135:
	v_cmp_lt_u32_e32 vcc, v7, v16
	v_cndmask_b32_e32 v10, v8, v11, vcc
	v_lshlrev_b32_e32 v7, 1, v7
	v_cndmask_b32_e32 v1, v9, v13, vcc
	v_add_co_u32_e32 v14, vcc, v10, v7
	s_waitcnt lgkmcnt(3)
	v_addc_co_u32_e32 v15, vcc, 0, v1, vcc
	s_waitcnt lgkmcnt(1)
	global_store_short v[14:15], v6, off
.LBB371_136:
	s_or_b64 exec, exec, s[0:1]
	v_cmp_gt_u32_e64 s[0:1], s33, v5
.LBB371_137:
	s_and_saveexec_b64 s[2:3], s[0:1]
	s_cbranch_execz .LBB371_139
; %bb.138:
	v_cmp_lt_u32_e32 vcc, v5, v16
	s_waitcnt lgkmcnt(1)
	v_cndmask_b32_e32 v6, v8, v11, vcc
	v_lshlrev_b32_e32 v5, 1, v5
	v_cndmask_b32_e32 v1, v9, v13, vcc
	v_add_co_u32_e32 v6, vcc, v6, v5
	v_addc_co_u32_e32 v7, vcc, 0, v1, vcc
	s_waitcnt lgkmcnt(0)
	global_store_short v[6:7], v4, off
.LBB371_139:
	s_or_b64 exec, exec, s[2:3]
	v_cmp_eq_u32_e32 vcc, 0, v0
	s_and_b64 s[0:1], vcc, s[26:27]
	s_and_saveexec_b64 s[2:3], s[0:1]
	s_cbranch_execz .LBB371_141
; %bb.140:
	v_mov_b32_e32 v0, 0
	global_store_dwordx2 v0, v[2:3], s[24:25]
.LBB371_141:
	s_endpgm
.LBB371_142:
	v_cmp_lt_u32_e32 vcc, v0, v16
	v_cndmask_b32_e32 v65, v8, v11, vcc
	v_cndmask_b32_e32 v17, v9, v13, vcc
	v_add_co_u32_e32 v66, vcc, v65, v1
	v_addc_co_u32_e32 v67, vcc, 0, v17, vcc
	s_waitcnt lgkmcnt(14)
	global_store_short v[66:67], v64, off
	s_or_b64 exec, exec, s[0:1]
	v_cmp_gt_u32_e32 vcc, s33, v62
	s_and_saveexec_b64 s[0:1], vcc
	s_cbranch_execz .LBB371_110
.LBB371_143:
	v_cmp_lt_u32_e32 vcc, v62, v16
	v_cndmask_b32_e32 v62, v8, v11, vcc
	v_cndmask_b32_e32 v17, v9, v13, vcc
	s_waitcnt lgkmcnt(14)
	v_add_co_u32_e32 v64, vcc, v62, v1
	v_addc_co_u32_e32 v65, vcc, 0, v17, vcc
	global_store_short v[64:65], v63, off offset:512
	s_or_b64 exec, exec, s[0:1]
	v_cmp_gt_u32_e32 vcc, s33, v60
	s_and_saveexec_b64 s[0:1], vcc
	s_cbranch_execz .LBB371_111
.LBB371_144:
	v_cmp_lt_u32_e32 vcc, v60, v16
	v_cndmask_b32_e32 v60, v8, v11, vcc
	v_cndmask_b32_e32 v17, v9, v13, vcc
	v_add_co_u32_e32 v62, vcc, v60, v1
	s_waitcnt lgkmcnt(14)
	v_addc_co_u32_e32 v63, vcc, 0, v17, vcc
	global_store_short v[62:63], v61, off offset:1024
	s_or_b64 exec, exec, s[0:1]
	v_cmp_gt_u32_e32 vcc, s33, v58
	s_and_saveexec_b64 s[0:1], vcc
	s_cbranch_execz .LBB371_112
.LBB371_145:
	v_cmp_lt_u32_e32 vcc, v58, v16
	v_cndmask_b32_e32 v58, v8, v11, vcc
	v_cndmask_b32_e32 v17, v9, v13, vcc
	v_add_co_u32_e32 v60, vcc, v58, v1
	s_waitcnt lgkmcnt(14)
	v_addc_co_u32_e32 v61, vcc, 0, v17, vcc
	global_store_short v[60:61], v59, off offset:1536
	s_or_b64 exec, exec, s[0:1]
	v_cmp_gt_u32_e32 vcc, s33, v56
	s_and_saveexec_b64 s[0:1], vcc
	s_cbranch_execz .LBB371_113
.LBB371_146:
	v_cmp_lt_u32_e32 vcc, v56, v16
	v_cndmask_b32_e32 v56, v8, v11, vcc
	v_cndmask_b32_e32 v17, v9, v13, vcc
	v_add_co_u32_e32 v58, vcc, v56, v1
	s_waitcnt lgkmcnt(14)
	v_addc_co_u32_e32 v59, vcc, 0, v17, vcc
	global_store_short v[58:59], v57, off offset:2048
	s_or_b64 exec, exec, s[0:1]
	v_cmp_gt_u32_e32 vcc, s33, v54
	s_and_saveexec_b64 s[0:1], vcc
	s_cbranch_execz .LBB371_114
.LBB371_147:
	v_cmp_lt_u32_e32 vcc, v54, v16
	v_cndmask_b32_e32 v54, v8, v11, vcc
	v_cndmask_b32_e32 v17, v9, v13, vcc
	v_add_co_u32_e32 v56, vcc, v54, v1
	s_waitcnt lgkmcnt(14)
	v_addc_co_u32_e32 v57, vcc, 0, v17, vcc
	global_store_short v[56:57], v55, off offset:2560
	s_or_b64 exec, exec, s[0:1]
	v_cmp_gt_u32_e32 vcc, s33, v52
	s_and_saveexec_b64 s[0:1], vcc
	s_cbranch_execz .LBB371_115
.LBB371_148:
	v_cmp_lt_u32_e32 vcc, v52, v16
	v_cndmask_b32_e32 v52, v8, v11, vcc
	v_cndmask_b32_e32 v17, v9, v13, vcc
	v_add_co_u32_e32 v54, vcc, v52, v1
	s_waitcnt lgkmcnt(14)
	v_addc_co_u32_e32 v55, vcc, 0, v17, vcc
	global_store_short v[54:55], v53, off offset:3072
	s_or_b64 exec, exec, s[0:1]
	v_cmp_gt_u32_e32 vcc, s33, v50
	s_and_saveexec_b64 s[0:1], vcc
	s_cbranch_execz .LBB371_116
.LBB371_149:
	v_cmp_lt_u32_e32 vcc, v50, v16
	v_cndmask_b32_e32 v50, v8, v11, vcc
	v_cndmask_b32_e32 v17, v9, v13, vcc
	v_add_co_u32_e32 v52, vcc, v50, v1
	s_waitcnt lgkmcnt(14)
	v_addc_co_u32_e32 v53, vcc, 0, v17, vcc
	global_store_short v[52:53], v51, off offset:3584
	s_or_b64 exec, exec, s[0:1]
	v_cmp_gt_u32_e32 vcc, s33, v48
	s_and_saveexec_b64 s[0:1], vcc
	s_cbranch_execz .LBB371_117
.LBB371_150:
	v_cmp_lt_u32_e32 vcc, v48, v16
	v_cndmask_b32_e32 v17, v8, v11, vcc
	v_lshlrev_b32_e32 v48, 1, v48
	v_cndmask_b32_e32 v1, v9, v13, vcc
	v_add_co_u32_e32 v50, vcc, v17, v48
	s_waitcnt lgkmcnt(14)
	v_addc_co_u32_e32 v51, vcc, 0, v1, vcc
	global_store_short v[50:51], v49, off
	s_or_b64 exec, exec, s[0:1]
	v_cmp_gt_u32_e32 vcc, s33, v46
	s_and_saveexec_b64 s[0:1], vcc
	s_cbranch_execz .LBB371_118
.LBB371_151:
	v_cmp_lt_u32_e32 vcc, v46, v16
	v_cndmask_b32_e32 v17, v8, v11, vcc
	v_lshlrev_b32_e32 v46, 1, v46
	v_cndmask_b32_e32 v1, v9, v13, vcc
	v_add_co_u32_e32 v48, vcc, v17, v46
	s_waitcnt lgkmcnt(14)
	v_addc_co_u32_e32 v49, vcc, 0, v1, vcc
	global_store_short v[48:49], v47, off
	s_or_b64 exec, exec, s[0:1]
	v_cmp_gt_u32_e32 vcc, s33, v44
	s_and_saveexec_b64 s[0:1], vcc
	s_cbranch_execz .LBB371_119
.LBB371_152:
	v_cmp_lt_u32_e32 vcc, v44, v16
	v_cndmask_b32_e32 v17, v8, v11, vcc
	v_lshlrev_b32_e32 v44, 1, v44
	v_cndmask_b32_e32 v1, v9, v13, vcc
	v_add_co_u32_e32 v46, vcc, v17, v44
	s_waitcnt lgkmcnt(14)
	v_addc_co_u32_e32 v47, vcc, 0, v1, vcc
	global_store_short v[46:47], v45, off
	s_or_b64 exec, exec, s[0:1]
	v_cmp_gt_u32_e32 vcc, s33, v42
	s_and_saveexec_b64 s[0:1], vcc
	s_cbranch_execz .LBB371_120
.LBB371_153:
	v_cmp_lt_u32_e32 vcc, v42, v16
	v_cndmask_b32_e32 v17, v8, v11, vcc
	v_lshlrev_b32_e32 v42, 1, v42
	v_cndmask_b32_e32 v1, v9, v13, vcc
	v_add_co_u32_e32 v44, vcc, v17, v42
	s_waitcnt lgkmcnt(14)
	v_addc_co_u32_e32 v45, vcc, 0, v1, vcc
	global_store_short v[44:45], v43, off
	s_or_b64 exec, exec, s[0:1]
	v_cmp_gt_u32_e32 vcc, s33, v40
	s_and_saveexec_b64 s[0:1], vcc
	s_cbranch_execz .LBB371_121
.LBB371_154:
	v_cmp_lt_u32_e32 vcc, v40, v16
	v_cndmask_b32_e32 v17, v8, v11, vcc
	v_lshlrev_b32_e32 v40, 1, v40
	v_cndmask_b32_e32 v1, v9, v13, vcc
	v_add_co_u32_e32 v42, vcc, v17, v40
	s_waitcnt lgkmcnt(14)
	v_addc_co_u32_e32 v43, vcc, 0, v1, vcc
	global_store_short v[42:43], v41, off
	s_or_b64 exec, exec, s[0:1]
	v_cmp_gt_u32_e32 vcc, s33, v38
	s_and_saveexec_b64 s[0:1], vcc
	s_cbranch_execz .LBB371_122
.LBB371_155:
	v_cmp_lt_u32_e32 vcc, v38, v16
	v_cndmask_b32_e32 v17, v8, v11, vcc
	v_lshlrev_b32_e32 v38, 1, v38
	v_cndmask_b32_e32 v1, v9, v13, vcc
	v_add_co_u32_e32 v40, vcc, v17, v38
	s_waitcnt lgkmcnt(14)
	v_addc_co_u32_e32 v41, vcc, 0, v1, vcc
	global_store_short v[40:41], v39, off
	s_or_b64 exec, exec, s[0:1]
	v_cmp_gt_u32_e32 vcc, s33, v36
	s_and_saveexec_b64 s[0:1], vcc
	s_cbranch_execz .LBB371_123
.LBB371_156:
	v_cmp_lt_u32_e32 vcc, v36, v16
	v_cndmask_b32_e32 v17, v8, v11, vcc
	v_lshlrev_b32_e32 v36, 1, v36
	v_cndmask_b32_e32 v1, v9, v13, vcc
	v_add_co_u32_e32 v38, vcc, v17, v36
	s_waitcnt lgkmcnt(14)
	v_addc_co_u32_e32 v39, vcc, 0, v1, vcc
	s_waitcnt lgkmcnt(13)
	global_store_short v[38:39], v37, off
	s_or_b64 exec, exec, s[0:1]
	v_cmp_gt_u32_e32 vcc, s33, v33
	s_and_saveexec_b64 s[0:1], vcc
	s_cbranch_execz .LBB371_124
.LBB371_157:
	v_cmp_lt_u32_e32 vcc, v33, v16
	v_cndmask_b32_e32 v17, v8, v11, vcc
	v_lshlrev_b32_e32 v33, 1, v33
	v_cndmask_b32_e32 v1, v9, v13, vcc
	v_add_co_u32_e32 v36, vcc, v17, v33
	s_waitcnt lgkmcnt(13)
	v_addc_co_u32_e32 v37, vcc, 0, v1, vcc
	s_waitcnt lgkmcnt(12)
	global_store_short v[36:37], v35, off
	s_or_b64 exec, exec, s[0:1]
	v_cmp_gt_u32_e32 vcc, s33, v32
	s_and_saveexec_b64 s[0:1], vcc
	s_cbranch_execz .LBB371_125
.LBB371_158:
	v_cmp_lt_u32_e32 vcc, v32, v16
	v_cndmask_b32_e32 v17, v8, v11, vcc
	v_lshlrev_b32_e32 v32, 1, v32
	v_cndmask_b32_e32 v1, v9, v13, vcc
	v_add_co_u32_e32 v32, vcc, v17, v32
	v_addc_co_u32_e32 v33, vcc, 0, v1, vcc
	s_waitcnt lgkmcnt(11)
	global_store_short v[32:33], v34, off
	s_or_b64 exec, exec, s[0:1]
	v_cmp_gt_u32_e32 vcc, s33, v30
	s_and_saveexec_b64 s[0:1], vcc
	s_cbranch_execz .LBB371_126
.LBB371_159:
	v_cmp_lt_u32_e32 vcc, v30, v16
	v_cndmask_b32_e32 v17, v8, v11, vcc
	v_lshlrev_b32_e32 v30, 1, v30
	v_cndmask_b32_e32 v1, v9, v13, vcc
	v_add_co_u32_e32 v32, vcc, v17, v30
	v_addc_co_u32_e32 v33, vcc, 0, v1, vcc
	s_waitcnt lgkmcnt(10)
	global_store_short v[32:33], v31, off
	s_or_b64 exec, exec, s[0:1]
	v_cmp_gt_u32_e32 vcc, s33, v28
	s_and_saveexec_b64 s[0:1], vcc
	s_cbranch_execz .LBB371_127
.LBB371_160:
	v_cmp_lt_u32_e32 vcc, v28, v16
	v_cndmask_b32_e32 v17, v8, v11, vcc
	v_lshlrev_b32_e32 v28, 1, v28
	v_cndmask_b32_e32 v1, v9, v13, vcc
	v_add_co_u32_e32 v30, vcc, v17, v28
	s_waitcnt lgkmcnt(10)
	v_addc_co_u32_e32 v31, vcc, 0, v1, vcc
	s_waitcnt lgkmcnt(9)
	global_store_short v[30:31], v29, off
	s_or_b64 exec, exec, s[0:1]
	v_cmp_gt_u32_e32 vcc, s33, v26
	s_and_saveexec_b64 s[0:1], vcc
	s_cbranch_execz .LBB371_128
.LBB371_161:
	v_cmp_lt_u32_e32 vcc, v26, v16
	v_cndmask_b32_e32 v17, v8, v11, vcc
	v_lshlrev_b32_e32 v26, 1, v26
	v_cndmask_b32_e32 v1, v9, v13, vcc
	v_add_co_u32_e32 v28, vcc, v17, v26
	s_waitcnt lgkmcnt(9)
	v_addc_co_u32_e32 v29, vcc, 0, v1, vcc
	s_waitcnt lgkmcnt(8)
	global_store_short v[28:29], v27, off
	s_or_b64 exec, exec, s[0:1]
	v_cmp_gt_u32_e32 vcc, s33, v24
	s_and_saveexec_b64 s[0:1], vcc
	s_cbranch_execz .LBB371_129
.LBB371_162:
	v_cmp_lt_u32_e32 vcc, v24, v16
	v_cndmask_b32_e32 v17, v8, v11, vcc
	v_lshlrev_b32_e32 v24, 1, v24
	v_cndmask_b32_e32 v1, v9, v13, vcc
	v_add_co_u32_e32 v26, vcc, v17, v24
	s_waitcnt lgkmcnt(8)
	v_addc_co_u32_e32 v27, vcc, 0, v1, vcc
	s_waitcnt lgkmcnt(7)
	global_store_short v[26:27], v25, off
	s_or_b64 exec, exec, s[0:1]
	v_cmp_gt_u32_e32 vcc, s33, v22
	s_and_saveexec_b64 s[0:1], vcc
	s_cbranch_execz .LBB371_130
.LBB371_163:
	v_cmp_lt_u32_e32 vcc, v22, v16
	v_cndmask_b32_e32 v17, v8, v11, vcc
	v_lshlrev_b32_e32 v22, 1, v22
	v_cndmask_b32_e32 v1, v9, v13, vcc
	v_add_co_u32_e32 v24, vcc, v17, v22
	s_waitcnt lgkmcnt(7)
	v_addc_co_u32_e32 v25, vcc, 0, v1, vcc
	s_waitcnt lgkmcnt(6)
	global_store_short v[24:25], v23, off
	s_or_b64 exec, exec, s[0:1]
	v_cmp_gt_u32_e32 vcc, s33, v20
	s_and_saveexec_b64 s[0:1], vcc
	s_cbranch_execz .LBB371_131
.LBB371_164:
	v_cmp_lt_u32_e32 vcc, v20, v16
	v_cndmask_b32_e32 v17, v8, v11, vcc
	v_lshlrev_b32_e32 v20, 1, v20
	v_cndmask_b32_e32 v1, v9, v13, vcc
	v_add_co_u32_e32 v22, vcc, v17, v20
	s_waitcnt lgkmcnt(6)
	v_addc_co_u32_e32 v23, vcc, 0, v1, vcc
	s_waitcnt lgkmcnt(5)
	global_store_short v[22:23], v21, off
	s_or_b64 exec, exec, s[0:1]
	v_cmp_gt_u32_e32 vcc, s33, v18
	s_and_saveexec_b64 s[0:1], vcc
	s_cbranch_execz .LBB371_132
.LBB371_165:
	v_cmp_lt_u32_e32 vcc, v18, v16
	v_cndmask_b32_e32 v17, v8, v11, vcc
	v_lshlrev_b32_e32 v18, 1, v18
	v_cndmask_b32_e32 v1, v9, v13, vcc
	v_add_co_u32_e32 v20, vcc, v17, v18
	s_waitcnt lgkmcnt(5)
	v_addc_co_u32_e32 v21, vcc, 0, v1, vcc
	s_waitcnt lgkmcnt(4)
	global_store_short v[20:21], v19, off
	s_or_b64 exec, exec, s[0:1]
	v_cmp_gt_u32_e32 vcc, s33, v14
	s_and_saveexec_b64 s[0:1], vcc
	s_cbranch_execz .LBB371_133
.LBB371_166:
	v_cmp_lt_u32_e32 vcc, v14, v16
	v_cndmask_b32_e32 v17, v8, v11, vcc
	v_lshlrev_b32_e32 v14, 1, v14
	v_cndmask_b32_e32 v1, v9, v13, vcc
	v_add_co_u32_e32 v18, vcc, v17, v14
	s_waitcnt lgkmcnt(4)
	v_addc_co_u32_e32 v19, vcc, 0, v1, vcc
	s_waitcnt lgkmcnt(3)
	global_store_short v[18:19], v15, off
	s_or_b64 exec, exec, s[0:1]
	v_cmp_gt_u32_e32 vcc, s33, v10
	s_and_saveexec_b64 s[0:1], vcc
	s_cbranch_execz .LBB371_134
.LBB371_167:
	v_cmp_lt_u32_e32 vcc, v10, v16
	v_cndmask_b32_e32 v14, v8, v11, vcc
	v_lshlrev_b32_e32 v10, 1, v10
	v_cndmask_b32_e32 v1, v9, v13, vcc
	v_add_co_u32_e32 v14, vcc, v14, v10
	s_waitcnt lgkmcnt(3)
	v_addc_co_u32_e32 v15, vcc, 0, v1, vcc
	s_waitcnt lgkmcnt(2)
	global_store_short v[14:15], v12, off
	s_or_b64 exec, exec, s[0:1]
	v_cmp_gt_u32_e32 vcc, s33, v7
	s_and_saveexec_b64 s[0:1], vcc
	s_cbranch_execnz .LBB371_135
	s_branch .LBB371_136
	.section	.rodata,"a",@progbits
	.p2align	6, 0x0
	.amdhsa_kernel _ZN7rocprim17ROCPRIM_400000_NS6detail17trampoline_kernelINS0_14default_configENS1_25partition_config_selectorILNS1_17partition_subalgoE0EsNS0_10empty_typeEbEEZZNS1_14partition_implILS5_0ELb0ES3_jN6thrust23THRUST_200600_302600_NS6detail15normal_iteratorINSA_10device_ptrIsEEEEPS6_SG_NS0_5tupleIJSF_SF_EEENSH_IJSG_SG_EEES6_PlJ7is_evenIsEEEE10hipError_tPvRmT3_T4_T5_T6_T7_T9_mT8_P12ihipStream_tbDpT10_ENKUlT_T0_E_clISt17integral_constantIbLb1EES15_IbLb0EEEEDaS11_S12_EUlS11_E_NS1_11comp_targetILNS1_3genE4ELNS1_11target_archE910ELNS1_3gpuE8ELNS1_3repE0EEENS1_30default_config_static_selectorELNS0_4arch9wavefront6targetE1EEEvT1_
		.amdhsa_group_segment_fixed_size 14344
		.amdhsa_private_segment_fixed_size 0
		.amdhsa_kernarg_size 120
		.amdhsa_user_sgpr_count 6
		.amdhsa_user_sgpr_private_segment_buffer 1
		.amdhsa_user_sgpr_dispatch_ptr 0
		.amdhsa_user_sgpr_queue_ptr 0
		.amdhsa_user_sgpr_kernarg_segment_ptr 1
		.amdhsa_user_sgpr_dispatch_id 0
		.amdhsa_user_sgpr_flat_scratch_init 0
		.amdhsa_user_sgpr_kernarg_preload_length 0
		.amdhsa_user_sgpr_kernarg_preload_offset 0
		.amdhsa_user_sgpr_private_segment_size 0
		.amdhsa_uses_dynamic_stack 0
		.amdhsa_system_sgpr_private_segment_wavefront_offset 0
		.amdhsa_system_sgpr_workgroup_id_x 1
		.amdhsa_system_sgpr_workgroup_id_y 0
		.amdhsa_system_sgpr_workgroup_id_z 0
		.amdhsa_system_sgpr_workgroup_info 0
		.amdhsa_system_vgpr_workitem_id 0
		.amdhsa_next_free_vgpr 114
		.amdhsa_next_free_sgpr 44
		.amdhsa_accum_offset 116
		.amdhsa_reserve_vcc 1
		.amdhsa_reserve_flat_scratch 0
		.amdhsa_float_round_mode_32 0
		.amdhsa_float_round_mode_16_64 0
		.amdhsa_float_denorm_mode_32 3
		.amdhsa_float_denorm_mode_16_64 3
		.amdhsa_dx10_clamp 1
		.amdhsa_ieee_mode 1
		.amdhsa_fp16_overflow 0
		.amdhsa_tg_split 0
		.amdhsa_exception_fp_ieee_invalid_op 0
		.amdhsa_exception_fp_denorm_src 0
		.amdhsa_exception_fp_ieee_div_zero 0
		.amdhsa_exception_fp_ieee_overflow 0
		.amdhsa_exception_fp_ieee_underflow 0
		.amdhsa_exception_fp_ieee_inexact 0
		.amdhsa_exception_int_div_zero 0
	.end_amdhsa_kernel
	.section	.text._ZN7rocprim17ROCPRIM_400000_NS6detail17trampoline_kernelINS0_14default_configENS1_25partition_config_selectorILNS1_17partition_subalgoE0EsNS0_10empty_typeEbEEZZNS1_14partition_implILS5_0ELb0ES3_jN6thrust23THRUST_200600_302600_NS6detail15normal_iteratorINSA_10device_ptrIsEEEEPS6_SG_NS0_5tupleIJSF_SF_EEENSH_IJSG_SG_EEES6_PlJ7is_evenIsEEEE10hipError_tPvRmT3_T4_T5_T6_T7_T9_mT8_P12ihipStream_tbDpT10_ENKUlT_T0_E_clISt17integral_constantIbLb1EES15_IbLb0EEEEDaS11_S12_EUlS11_E_NS1_11comp_targetILNS1_3genE4ELNS1_11target_archE910ELNS1_3gpuE8ELNS1_3repE0EEENS1_30default_config_static_selectorELNS0_4arch9wavefront6targetE1EEEvT1_,"axG",@progbits,_ZN7rocprim17ROCPRIM_400000_NS6detail17trampoline_kernelINS0_14default_configENS1_25partition_config_selectorILNS1_17partition_subalgoE0EsNS0_10empty_typeEbEEZZNS1_14partition_implILS5_0ELb0ES3_jN6thrust23THRUST_200600_302600_NS6detail15normal_iteratorINSA_10device_ptrIsEEEEPS6_SG_NS0_5tupleIJSF_SF_EEENSH_IJSG_SG_EEES6_PlJ7is_evenIsEEEE10hipError_tPvRmT3_T4_T5_T6_T7_T9_mT8_P12ihipStream_tbDpT10_ENKUlT_T0_E_clISt17integral_constantIbLb1EES15_IbLb0EEEEDaS11_S12_EUlS11_E_NS1_11comp_targetILNS1_3genE4ELNS1_11target_archE910ELNS1_3gpuE8ELNS1_3repE0EEENS1_30default_config_static_selectorELNS0_4arch9wavefront6targetE1EEEvT1_,comdat
.Lfunc_end371:
	.size	_ZN7rocprim17ROCPRIM_400000_NS6detail17trampoline_kernelINS0_14default_configENS1_25partition_config_selectorILNS1_17partition_subalgoE0EsNS0_10empty_typeEbEEZZNS1_14partition_implILS5_0ELb0ES3_jN6thrust23THRUST_200600_302600_NS6detail15normal_iteratorINSA_10device_ptrIsEEEEPS6_SG_NS0_5tupleIJSF_SF_EEENSH_IJSG_SG_EEES6_PlJ7is_evenIsEEEE10hipError_tPvRmT3_T4_T5_T6_T7_T9_mT8_P12ihipStream_tbDpT10_ENKUlT_T0_E_clISt17integral_constantIbLb1EES15_IbLb0EEEEDaS11_S12_EUlS11_E_NS1_11comp_targetILNS1_3genE4ELNS1_11target_archE910ELNS1_3gpuE8ELNS1_3repE0EEENS1_30default_config_static_selectorELNS0_4arch9wavefront6targetE1EEEvT1_, .Lfunc_end371-_ZN7rocprim17ROCPRIM_400000_NS6detail17trampoline_kernelINS0_14default_configENS1_25partition_config_selectorILNS1_17partition_subalgoE0EsNS0_10empty_typeEbEEZZNS1_14partition_implILS5_0ELb0ES3_jN6thrust23THRUST_200600_302600_NS6detail15normal_iteratorINSA_10device_ptrIsEEEEPS6_SG_NS0_5tupleIJSF_SF_EEENSH_IJSG_SG_EEES6_PlJ7is_evenIsEEEE10hipError_tPvRmT3_T4_T5_T6_T7_T9_mT8_P12ihipStream_tbDpT10_ENKUlT_T0_E_clISt17integral_constantIbLb1EES15_IbLb0EEEEDaS11_S12_EUlS11_E_NS1_11comp_targetILNS1_3genE4ELNS1_11target_archE910ELNS1_3gpuE8ELNS1_3repE0EEENS1_30default_config_static_selectorELNS0_4arch9wavefront6targetE1EEEvT1_
                                        ; -- End function
	.section	.AMDGPU.csdata,"",@progbits
; Kernel info:
; codeLenInByte = 9992
; NumSgprs: 48
; NumVgprs: 114
; NumAgprs: 0
; TotalNumVgprs: 114
; ScratchSize: 0
; MemoryBound: 0
; FloatMode: 240
; IeeeMode: 1
; LDSByteSize: 14344 bytes/workgroup (compile time only)
; SGPRBlocks: 5
; VGPRBlocks: 14
; NumSGPRsForWavesPerEU: 48
; NumVGPRsForWavesPerEU: 114
; AccumOffset: 116
; Occupancy: 4
; WaveLimiterHint : 1
; COMPUTE_PGM_RSRC2:SCRATCH_EN: 0
; COMPUTE_PGM_RSRC2:USER_SGPR: 6
; COMPUTE_PGM_RSRC2:TRAP_HANDLER: 0
; COMPUTE_PGM_RSRC2:TGID_X_EN: 1
; COMPUTE_PGM_RSRC2:TGID_Y_EN: 0
; COMPUTE_PGM_RSRC2:TGID_Z_EN: 0
; COMPUTE_PGM_RSRC2:TIDIG_COMP_CNT: 0
; COMPUTE_PGM_RSRC3_GFX90A:ACCUM_OFFSET: 28
; COMPUTE_PGM_RSRC3_GFX90A:TG_SPLIT: 0
	.section	.text._ZN7rocprim17ROCPRIM_400000_NS6detail17trampoline_kernelINS0_14default_configENS1_25partition_config_selectorILNS1_17partition_subalgoE0EsNS0_10empty_typeEbEEZZNS1_14partition_implILS5_0ELb0ES3_jN6thrust23THRUST_200600_302600_NS6detail15normal_iteratorINSA_10device_ptrIsEEEEPS6_SG_NS0_5tupleIJSF_SF_EEENSH_IJSG_SG_EEES6_PlJ7is_evenIsEEEE10hipError_tPvRmT3_T4_T5_T6_T7_T9_mT8_P12ihipStream_tbDpT10_ENKUlT_T0_E_clISt17integral_constantIbLb1EES15_IbLb0EEEEDaS11_S12_EUlS11_E_NS1_11comp_targetILNS1_3genE3ELNS1_11target_archE908ELNS1_3gpuE7ELNS1_3repE0EEENS1_30default_config_static_selectorELNS0_4arch9wavefront6targetE1EEEvT1_,"axG",@progbits,_ZN7rocprim17ROCPRIM_400000_NS6detail17trampoline_kernelINS0_14default_configENS1_25partition_config_selectorILNS1_17partition_subalgoE0EsNS0_10empty_typeEbEEZZNS1_14partition_implILS5_0ELb0ES3_jN6thrust23THRUST_200600_302600_NS6detail15normal_iteratorINSA_10device_ptrIsEEEEPS6_SG_NS0_5tupleIJSF_SF_EEENSH_IJSG_SG_EEES6_PlJ7is_evenIsEEEE10hipError_tPvRmT3_T4_T5_T6_T7_T9_mT8_P12ihipStream_tbDpT10_ENKUlT_T0_E_clISt17integral_constantIbLb1EES15_IbLb0EEEEDaS11_S12_EUlS11_E_NS1_11comp_targetILNS1_3genE3ELNS1_11target_archE908ELNS1_3gpuE7ELNS1_3repE0EEENS1_30default_config_static_selectorELNS0_4arch9wavefront6targetE1EEEvT1_,comdat
	.protected	_ZN7rocprim17ROCPRIM_400000_NS6detail17trampoline_kernelINS0_14default_configENS1_25partition_config_selectorILNS1_17partition_subalgoE0EsNS0_10empty_typeEbEEZZNS1_14partition_implILS5_0ELb0ES3_jN6thrust23THRUST_200600_302600_NS6detail15normal_iteratorINSA_10device_ptrIsEEEEPS6_SG_NS0_5tupleIJSF_SF_EEENSH_IJSG_SG_EEES6_PlJ7is_evenIsEEEE10hipError_tPvRmT3_T4_T5_T6_T7_T9_mT8_P12ihipStream_tbDpT10_ENKUlT_T0_E_clISt17integral_constantIbLb1EES15_IbLb0EEEEDaS11_S12_EUlS11_E_NS1_11comp_targetILNS1_3genE3ELNS1_11target_archE908ELNS1_3gpuE7ELNS1_3repE0EEENS1_30default_config_static_selectorELNS0_4arch9wavefront6targetE1EEEvT1_ ; -- Begin function _ZN7rocprim17ROCPRIM_400000_NS6detail17trampoline_kernelINS0_14default_configENS1_25partition_config_selectorILNS1_17partition_subalgoE0EsNS0_10empty_typeEbEEZZNS1_14partition_implILS5_0ELb0ES3_jN6thrust23THRUST_200600_302600_NS6detail15normal_iteratorINSA_10device_ptrIsEEEEPS6_SG_NS0_5tupleIJSF_SF_EEENSH_IJSG_SG_EEES6_PlJ7is_evenIsEEEE10hipError_tPvRmT3_T4_T5_T6_T7_T9_mT8_P12ihipStream_tbDpT10_ENKUlT_T0_E_clISt17integral_constantIbLb1EES15_IbLb0EEEEDaS11_S12_EUlS11_E_NS1_11comp_targetILNS1_3genE3ELNS1_11target_archE908ELNS1_3gpuE7ELNS1_3repE0EEENS1_30default_config_static_selectorELNS0_4arch9wavefront6targetE1EEEvT1_
	.globl	_ZN7rocprim17ROCPRIM_400000_NS6detail17trampoline_kernelINS0_14default_configENS1_25partition_config_selectorILNS1_17partition_subalgoE0EsNS0_10empty_typeEbEEZZNS1_14partition_implILS5_0ELb0ES3_jN6thrust23THRUST_200600_302600_NS6detail15normal_iteratorINSA_10device_ptrIsEEEEPS6_SG_NS0_5tupleIJSF_SF_EEENSH_IJSG_SG_EEES6_PlJ7is_evenIsEEEE10hipError_tPvRmT3_T4_T5_T6_T7_T9_mT8_P12ihipStream_tbDpT10_ENKUlT_T0_E_clISt17integral_constantIbLb1EES15_IbLb0EEEEDaS11_S12_EUlS11_E_NS1_11comp_targetILNS1_3genE3ELNS1_11target_archE908ELNS1_3gpuE7ELNS1_3repE0EEENS1_30default_config_static_selectorELNS0_4arch9wavefront6targetE1EEEvT1_
	.p2align	8
	.type	_ZN7rocprim17ROCPRIM_400000_NS6detail17trampoline_kernelINS0_14default_configENS1_25partition_config_selectorILNS1_17partition_subalgoE0EsNS0_10empty_typeEbEEZZNS1_14partition_implILS5_0ELb0ES3_jN6thrust23THRUST_200600_302600_NS6detail15normal_iteratorINSA_10device_ptrIsEEEEPS6_SG_NS0_5tupleIJSF_SF_EEENSH_IJSG_SG_EEES6_PlJ7is_evenIsEEEE10hipError_tPvRmT3_T4_T5_T6_T7_T9_mT8_P12ihipStream_tbDpT10_ENKUlT_T0_E_clISt17integral_constantIbLb1EES15_IbLb0EEEEDaS11_S12_EUlS11_E_NS1_11comp_targetILNS1_3genE3ELNS1_11target_archE908ELNS1_3gpuE7ELNS1_3repE0EEENS1_30default_config_static_selectorELNS0_4arch9wavefront6targetE1EEEvT1_,@function
_ZN7rocprim17ROCPRIM_400000_NS6detail17trampoline_kernelINS0_14default_configENS1_25partition_config_selectorILNS1_17partition_subalgoE0EsNS0_10empty_typeEbEEZZNS1_14partition_implILS5_0ELb0ES3_jN6thrust23THRUST_200600_302600_NS6detail15normal_iteratorINSA_10device_ptrIsEEEEPS6_SG_NS0_5tupleIJSF_SF_EEENSH_IJSG_SG_EEES6_PlJ7is_evenIsEEEE10hipError_tPvRmT3_T4_T5_T6_T7_T9_mT8_P12ihipStream_tbDpT10_ENKUlT_T0_E_clISt17integral_constantIbLb1EES15_IbLb0EEEEDaS11_S12_EUlS11_E_NS1_11comp_targetILNS1_3genE3ELNS1_11target_archE908ELNS1_3gpuE7ELNS1_3repE0EEENS1_30default_config_static_selectorELNS0_4arch9wavefront6targetE1EEEvT1_: ; @_ZN7rocprim17ROCPRIM_400000_NS6detail17trampoline_kernelINS0_14default_configENS1_25partition_config_selectorILNS1_17partition_subalgoE0EsNS0_10empty_typeEbEEZZNS1_14partition_implILS5_0ELb0ES3_jN6thrust23THRUST_200600_302600_NS6detail15normal_iteratorINSA_10device_ptrIsEEEEPS6_SG_NS0_5tupleIJSF_SF_EEENSH_IJSG_SG_EEES6_PlJ7is_evenIsEEEE10hipError_tPvRmT3_T4_T5_T6_T7_T9_mT8_P12ihipStream_tbDpT10_ENKUlT_T0_E_clISt17integral_constantIbLb1EES15_IbLb0EEEEDaS11_S12_EUlS11_E_NS1_11comp_targetILNS1_3genE3ELNS1_11target_archE908ELNS1_3gpuE7ELNS1_3repE0EEENS1_30default_config_static_selectorELNS0_4arch9wavefront6targetE1EEEvT1_
; %bb.0:
	.section	.rodata,"a",@progbits
	.p2align	6, 0x0
	.amdhsa_kernel _ZN7rocprim17ROCPRIM_400000_NS6detail17trampoline_kernelINS0_14default_configENS1_25partition_config_selectorILNS1_17partition_subalgoE0EsNS0_10empty_typeEbEEZZNS1_14partition_implILS5_0ELb0ES3_jN6thrust23THRUST_200600_302600_NS6detail15normal_iteratorINSA_10device_ptrIsEEEEPS6_SG_NS0_5tupleIJSF_SF_EEENSH_IJSG_SG_EEES6_PlJ7is_evenIsEEEE10hipError_tPvRmT3_T4_T5_T6_T7_T9_mT8_P12ihipStream_tbDpT10_ENKUlT_T0_E_clISt17integral_constantIbLb1EES15_IbLb0EEEEDaS11_S12_EUlS11_E_NS1_11comp_targetILNS1_3genE3ELNS1_11target_archE908ELNS1_3gpuE7ELNS1_3repE0EEENS1_30default_config_static_selectorELNS0_4arch9wavefront6targetE1EEEvT1_
		.amdhsa_group_segment_fixed_size 0
		.amdhsa_private_segment_fixed_size 0
		.amdhsa_kernarg_size 120
		.amdhsa_user_sgpr_count 6
		.amdhsa_user_sgpr_private_segment_buffer 1
		.amdhsa_user_sgpr_dispatch_ptr 0
		.amdhsa_user_sgpr_queue_ptr 0
		.amdhsa_user_sgpr_kernarg_segment_ptr 1
		.amdhsa_user_sgpr_dispatch_id 0
		.amdhsa_user_sgpr_flat_scratch_init 0
		.amdhsa_user_sgpr_kernarg_preload_length 0
		.amdhsa_user_sgpr_kernarg_preload_offset 0
		.amdhsa_user_sgpr_private_segment_size 0
		.amdhsa_uses_dynamic_stack 0
		.amdhsa_system_sgpr_private_segment_wavefront_offset 0
		.amdhsa_system_sgpr_workgroup_id_x 1
		.amdhsa_system_sgpr_workgroup_id_y 0
		.amdhsa_system_sgpr_workgroup_id_z 0
		.amdhsa_system_sgpr_workgroup_info 0
		.amdhsa_system_vgpr_workitem_id 0
		.amdhsa_next_free_vgpr 1
		.amdhsa_next_free_sgpr 0
		.amdhsa_accum_offset 4
		.amdhsa_reserve_vcc 0
		.amdhsa_reserve_flat_scratch 0
		.amdhsa_float_round_mode_32 0
		.amdhsa_float_round_mode_16_64 0
		.amdhsa_float_denorm_mode_32 3
		.amdhsa_float_denorm_mode_16_64 3
		.amdhsa_dx10_clamp 1
		.amdhsa_ieee_mode 1
		.amdhsa_fp16_overflow 0
		.amdhsa_tg_split 0
		.amdhsa_exception_fp_ieee_invalid_op 0
		.amdhsa_exception_fp_denorm_src 0
		.amdhsa_exception_fp_ieee_div_zero 0
		.amdhsa_exception_fp_ieee_overflow 0
		.amdhsa_exception_fp_ieee_underflow 0
		.amdhsa_exception_fp_ieee_inexact 0
		.amdhsa_exception_int_div_zero 0
	.end_amdhsa_kernel
	.section	.text._ZN7rocprim17ROCPRIM_400000_NS6detail17trampoline_kernelINS0_14default_configENS1_25partition_config_selectorILNS1_17partition_subalgoE0EsNS0_10empty_typeEbEEZZNS1_14partition_implILS5_0ELb0ES3_jN6thrust23THRUST_200600_302600_NS6detail15normal_iteratorINSA_10device_ptrIsEEEEPS6_SG_NS0_5tupleIJSF_SF_EEENSH_IJSG_SG_EEES6_PlJ7is_evenIsEEEE10hipError_tPvRmT3_T4_T5_T6_T7_T9_mT8_P12ihipStream_tbDpT10_ENKUlT_T0_E_clISt17integral_constantIbLb1EES15_IbLb0EEEEDaS11_S12_EUlS11_E_NS1_11comp_targetILNS1_3genE3ELNS1_11target_archE908ELNS1_3gpuE7ELNS1_3repE0EEENS1_30default_config_static_selectorELNS0_4arch9wavefront6targetE1EEEvT1_,"axG",@progbits,_ZN7rocprim17ROCPRIM_400000_NS6detail17trampoline_kernelINS0_14default_configENS1_25partition_config_selectorILNS1_17partition_subalgoE0EsNS0_10empty_typeEbEEZZNS1_14partition_implILS5_0ELb0ES3_jN6thrust23THRUST_200600_302600_NS6detail15normal_iteratorINSA_10device_ptrIsEEEEPS6_SG_NS0_5tupleIJSF_SF_EEENSH_IJSG_SG_EEES6_PlJ7is_evenIsEEEE10hipError_tPvRmT3_T4_T5_T6_T7_T9_mT8_P12ihipStream_tbDpT10_ENKUlT_T0_E_clISt17integral_constantIbLb1EES15_IbLb0EEEEDaS11_S12_EUlS11_E_NS1_11comp_targetILNS1_3genE3ELNS1_11target_archE908ELNS1_3gpuE7ELNS1_3repE0EEENS1_30default_config_static_selectorELNS0_4arch9wavefront6targetE1EEEvT1_,comdat
.Lfunc_end372:
	.size	_ZN7rocprim17ROCPRIM_400000_NS6detail17trampoline_kernelINS0_14default_configENS1_25partition_config_selectorILNS1_17partition_subalgoE0EsNS0_10empty_typeEbEEZZNS1_14partition_implILS5_0ELb0ES3_jN6thrust23THRUST_200600_302600_NS6detail15normal_iteratorINSA_10device_ptrIsEEEEPS6_SG_NS0_5tupleIJSF_SF_EEENSH_IJSG_SG_EEES6_PlJ7is_evenIsEEEE10hipError_tPvRmT3_T4_T5_T6_T7_T9_mT8_P12ihipStream_tbDpT10_ENKUlT_T0_E_clISt17integral_constantIbLb1EES15_IbLb0EEEEDaS11_S12_EUlS11_E_NS1_11comp_targetILNS1_3genE3ELNS1_11target_archE908ELNS1_3gpuE7ELNS1_3repE0EEENS1_30default_config_static_selectorELNS0_4arch9wavefront6targetE1EEEvT1_, .Lfunc_end372-_ZN7rocprim17ROCPRIM_400000_NS6detail17trampoline_kernelINS0_14default_configENS1_25partition_config_selectorILNS1_17partition_subalgoE0EsNS0_10empty_typeEbEEZZNS1_14partition_implILS5_0ELb0ES3_jN6thrust23THRUST_200600_302600_NS6detail15normal_iteratorINSA_10device_ptrIsEEEEPS6_SG_NS0_5tupleIJSF_SF_EEENSH_IJSG_SG_EEES6_PlJ7is_evenIsEEEE10hipError_tPvRmT3_T4_T5_T6_T7_T9_mT8_P12ihipStream_tbDpT10_ENKUlT_T0_E_clISt17integral_constantIbLb1EES15_IbLb0EEEEDaS11_S12_EUlS11_E_NS1_11comp_targetILNS1_3genE3ELNS1_11target_archE908ELNS1_3gpuE7ELNS1_3repE0EEENS1_30default_config_static_selectorELNS0_4arch9wavefront6targetE1EEEvT1_
                                        ; -- End function
	.section	.AMDGPU.csdata,"",@progbits
; Kernel info:
; codeLenInByte = 0
; NumSgprs: 4
; NumVgprs: 0
; NumAgprs: 0
; TotalNumVgprs: 0
; ScratchSize: 0
; MemoryBound: 0
; FloatMode: 240
; IeeeMode: 1
; LDSByteSize: 0 bytes/workgroup (compile time only)
; SGPRBlocks: 0
; VGPRBlocks: 0
; NumSGPRsForWavesPerEU: 4
; NumVGPRsForWavesPerEU: 1
; AccumOffset: 4
; Occupancy: 8
; WaveLimiterHint : 0
; COMPUTE_PGM_RSRC2:SCRATCH_EN: 0
; COMPUTE_PGM_RSRC2:USER_SGPR: 6
; COMPUTE_PGM_RSRC2:TRAP_HANDLER: 0
; COMPUTE_PGM_RSRC2:TGID_X_EN: 1
; COMPUTE_PGM_RSRC2:TGID_Y_EN: 0
; COMPUTE_PGM_RSRC2:TGID_Z_EN: 0
; COMPUTE_PGM_RSRC2:TIDIG_COMP_CNT: 0
; COMPUTE_PGM_RSRC3_GFX90A:ACCUM_OFFSET: 0
; COMPUTE_PGM_RSRC3_GFX90A:TG_SPLIT: 0
	.section	.text._ZN7rocprim17ROCPRIM_400000_NS6detail17trampoline_kernelINS0_14default_configENS1_25partition_config_selectorILNS1_17partition_subalgoE0EsNS0_10empty_typeEbEEZZNS1_14partition_implILS5_0ELb0ES3_jN6thrust23THRUST_200600_302600_NS6detail15normal_iteratorINSA_10device_ptrIsEEEEPS6_SG_NS0_5tupleIJSF_SF_EEENSH_IJSG_SG_EEES6_PlJ7is_evenIsEEEE10hipError_tPvRmT3_T4_T5_T6_T7_T9_mT8_P12ihipStream_tbDpT10_ENKUlT_T0_E_clISt17integral_constantIbLb1EES15_IbLb0EEEEDaS11_S12_EUlS11_E_NS1_11comp_targetILNS1_3genE2ELNS1_11target_archE906ELNS1_3gpuE6ELNS1_3repE0EEENS1_30default_config_static_selectorELNS0_4arch9wavefront6targetE1EEEvT1_,"axG",@progbits,_ZN7rocprim17ROCPRIM_400000_NS6detail17trampoline_kernelINS0_14default_configENS1_25partition_config_selectorILNS1_17partition_subalgoE0EsNS0_10empty_typeEbEEZZNS1_14partition_implILS5_0ELb0ES3_jN6thrust23THRUST_200600_302600_NS6detail15normal_iteratorINSA_10device_ptrIsEEEEPS6_SG_NS0_5tupleIJSF_SF_EEENSH_IJSG_SG_EEES6_PlJ7is_evenIsEEEE10hipError_tPvRmT3_T4_T5_T6_T7_T9_mT8_P12ihipStream_tbDpT10_ENKUlT_T0_E_clISt17integral_constantIbLb1EES15_IbLb0EEEEDaS11_S12_EUlS11_E_NS1_11comp_targetILNS1_3genE2ELNS1_11target_archE906ELNS1_3gpuE6ELNS1_3repE0EEENS1_30default_config_static_selectorELNS0_4arch9wavefront6targetE1EEEvT1_,comdat
	.protected	_ZN7rocprim17ROCPRIM_400000_NS6detail17trampoline_kernelINS0_14default_configENS1_25partition_config_selectorILNS1_17partition_subalgoE0EsNS0_10empty_typeEbEEZZNS1_14partition_implILS5_0ELb0ES3_jN6thrust23THRUST_200600_302600_NS6detail15normal_iteratorINSA_10device_ptrIsEEEEPS6_SG_NS0_5tupleIJSF_SF_EEENSH_IJSG_SG_EEES6_PlJ7is_evenIsEEEE10hipError_tPvRmT3_T4_T5_T6_T7_T9_mT8_P12ihipStream_tbDpT10_ENKUlT_T0_E_clISt17integral_constantIbLb1EES15_IbLb0EEEEDaS11_S12_EUlS11_E_NS1_11comp_targetILNS1_3genE2ELNS1_11target_archE906ELNS1_3gpuE6ELNS1_3repE0EEENS1_30default_config_static_selectorELNS0_4arch9wavefront6targetE1EEEvT1_ ; -- Begin function _ZN7rocprim17ROCPRIM_400000_NS6detail17trampoline_kernelINS0_14default_configENS1_25partition_config_selectorILNS1_17partition_subalgoE0EsNS0_10empty_typeEbEEZZNS1_14partition_implILS5_0ELb0ES3_jN6thrust23THRUST_200600_302600_NS6detail15normal_iteratorINSA_10device_ptrIsEEEEPS6_SG_NS0_5tupleIJSF_SF_EEENSH_IJSG_SG_EEES6_PlJ7is_evenIsEEEE10hipError_tPvRmT3_T4_T5_T6_T7_T9_mT8_P12ihipStream_tbDpT10_ENKUlT_T0_E_clISt17integral_constantIbLb1EES15_IbLb0EEEEDaS11_S12_EUlS11_E_NS1_11comp_targetILNS1_3genE2ELNS1_11target_archE906ELNS1_3gpuE6ELNS1_3repE0EEENS1_30default_config_static_selectorELNS0_4arch9wavefront6targetE1EEEvT1_
	.globl	_ZN7rocprim17ROCPRIM_400000_NS6detail17trampoline_kernelINS0_14default_configENS1_25partition_config_selectorILNS1_17partition_subalgoE0EsNS0_10empty_typeEbEEZZNS1_14partition_implILS5_0ELb0ES3_jN6thrust23THRUST_200600_302600_NS6detail15normal_iteratorINSA_10device_ptrIsEEEEPS6_SG_NS0_5tupleIJSF_SF_EEENSH_IJSG_SG_EEES6_PlJ7is_evenIsEEEE10hipError_tPvRmT3_T4_T5_T6_T7_T9_mT8_P12ihipStream_tbDpT10_ENKUlT_T0_E_clISt17integral_constantIbLb1EES15_IbLb0EEEEDaS11_S12_EUlS11_E_NS1_11comp_targetILNS1_3genE2ELNS1_11target_archE906ELNS1_3gpuE6ELNS1_3repE0EEENS1_30default_config_static_selectorELNS0_4arch9wavefront6targetE1EEEvT1_
	.p2align	8
	.type	_ZN7rocprim17ROCPRIM_400000_NS6detail17trampoline_kernelINS0_14default_configENS1_25partition_config_selectorILNS1_17partition_subalgoE0EsNS0_10empty_typeEbEEZZNS1_14partition_implILS5_0ELb0ES3_jN6thrust23THRUST_200600_302600_NS6detail15normal_iteratorINSA_10device_ptrIsEEEEPS6_SG_NS0_5tupleIJSF_SF_EEENSH_IJSG_SG_EEES6_PlJ7is_evenIsEEEE10hipError_tPvRmT3_T4_T5_T6_T7_T9_mT8_P12ihipStream_tbDpT10_ENKUlT_T0_E_clISt17integral_constantIbLb1EES15_IbLb0EEEEDaS11_S12_EUlS11_E_NS1_11comp_targetILNS1_3genE2ELNS1_11target_archE906ELNS1_3gpuE6ELNS1_3repE0EEENS1_30default_config_static_selectorELNS0_4arch9wavefront6targetE1EEEvT1_,@function
_ZN7rocprim17ROCPRIM_400000_NS6detail17trampoline_kernelINS0_14default_configENS1_25partition_config_selectorILNS1_17partition_subalgoE0EsNS0_10empty_typeEbEEZZNS1_14partition_implILS5_0ELb0ES3_jN6thrust23THRUST_200600_302600_NS6detail15normal_iteratorINSA_10device_ptrIsEEEEPS6_SG_NS0_5tupleIJSF_SF_EEENSH_IJSG_SG_EEES6_PlJ7is_evenIsEEEE10hipError_tPvRmT3_T4_T5_T6_T7_T9_mT8_P12ihipStream_tbDpT10_ENKUlT_T0_E_clISt17integral_constantIbLb1EES15_IbLb0EEEEDaS11_S12_EUlS11_E_NS1_11comp_targetILNS1_3genE2ELNS1_11target_archE906ELNS1_3gpuE6ELNS1_3repE0EEENS1_30default_config_static_selectorELNS0_4arch9wavefront6targetE1EEEvT1_: ; @_ZN7rocprim17ROCPRIM_400000_NS6detail17trampoline_kernelINS0_14default_configENS1_25partition_config_selectorILNS1_17partition_subalgoE0EsNS0_10empty_typeEbEEZZNS1_14partition_implILS5_0ELb0ES3_jN6thrust23THRUST_200600_302600_NS6detail15normal_iteratorINSA_10device_ptrIsEEEEPS6_SG_NS0_5tupleIJSF_SF_EEENSH_IJSG_SG_EEES6_PlJ7is_evenIsEEEE10hipError_tPvRmT3_T4_T5_T6_T7_T9_mT8_P12ihipStream_tbDpT10_ENKUlT_T0_E_clISt17integral_constantIbLb1EES15_IbLb0EEEEDaS11_S12_EUlS11_E_NS1_11comp_targetILNS1_3genE2ELNS1_11target_archE906ELNS1_3gpuE6ELNS1_3repE0EEENS1_30default_config_static_selectorELNS0_4arch9wavefront6targetE1EEEvT1_
; %bb.0:
	.section	.rodata,"a",@progbits
	.p2align	6, 0x0
	.amdhsa_kernel _ZN7rocprim17ROCPRIM_400000_NS6detail17trampoline_kernelINS0_14default_configENS1_25partition_config_selectorILNS1_17partition_subalgoE0EsNS0_10empty_typeEbEEZZNS1_14partition_implILS5_0ELb0ES3_jN6thrust23THRUST_200600_302600_NS6detail15normal_iteratorINSA_10device_ptrIsEEEEPS6_SG_NS0_5tupleIJSF_SF_EEENSH_IJSG_SG_EEES6_PlJ7is_evenIsEEEE10hipError_tPvRmT3_T4_T5_T6_T7_T9_mT8_P12ihipStream_tbDpT10_ENKUlT_T0_E_clISt17integral_constantIbLb1EES15_IbLb0EEEEDaS11_S12_EUlS11_E_NS1_11comp_targetILNS1_3genE2ELNS1_11target_archE906ELNS1_3gpuE6ELNS1_3repE0EEENS1_30default_config_static_selectorELNS0_4arch9wavefront6targetE1EEEvT1_
		.amdhsa_group_segment_fixed_size 0
		.amdhsa_private_segment_fixed_size 0
		.amdhsa_kernarg_size 120
		.amdhsa_user_sgpr_count 6
		.amdhsa_user_sgpr_private_segment_buffer 1
		.amdhsa_user_sgpr_dispatch_ptr 0
		.amdhsa_user_sgpr_queue_ptr 0
		.amdhsa_user_sgpr_kernarg_segment_ptr 1
		.amdhsa_user_sgpr_dispatch_id 0
		.amdhsa_user_sgpr_flat_scratch_init 0
		.amdhsa_user_sgpr_kernarg_preload_length 0
		.amdhsa_user_sgpr_kernarg_preload_offset 0
		.amdhsa_user_sgpr_private_segment_size 0
		.amdhsa_uses_dynamic_stack 0
		.amdhsa_system_sgpr_private_segment_wavefront_offset 0
		.amdhsa_system_sgpr_workgroup_id_x 1
		.amdhsa_system_sgpr_workgroup_id_y 0
		.amdhsa_system_sgpr_workgroup_id_z 0
		.amdhsa_system_sgpr_workgroup_info 0
		.amdhsa_system_vgpr_workitem_id 0
		.amdhsa_next_free_vgpr 1
		.amdhsa_next_free_sgpr 0
		.amdhsa_accum_offset 4
		.amdhsa_reserve_vcc 0
		.amdhsa_reserve_flat_scratch 0
		.amdhsa_float_round_mode_32 0
		.amdhsa_float_round_mode_16_64 0
		.amdhsa_float_denorm_mode_32 3
		.amdhsa_float_denorm_mode_16_64 3
		.amdhsa_dx10_clamp 1
		.amdhsa_ieee_mode 1
		.amdhsa_fp16_overflow 0
		.amdhsa_tg_split 0
		.amdhsa_exception_fp_ieee_invalid_op 0
		.amdhsa_exception_fp_denorm_src 0
		.amdhsa_exception_fp_ieee_div_zero 0
		.amdhsa_exception_fp_ieee_overflow 0
		.amdhsa_exception_fp_ieee_underflow 0
		.amdhsa_exception_fp_ieee_inexact 0
		.amdhsa_exception_int_div_zero 0
	.end_amdhsa_kernel
	.section	.text._ZN7rocprim17ROCPRIM_400000_NS6detail17trampoline_kernelINS0_14default_configENS1_25partition_config_selectorILNS1_17partition_subalgoE0EsNS0_10empty_typeEbEEZZNS1_14partition_implILS5_0ELb0ES3_jN6thrust23THRUST_200600_302600_NS6detail15normal_iteratorINSA_10device_ptrIsEEEEPS6_SG_NS0_5tupleIJSF_SF_EEENSH_IJSG_SG_EEES6_PlJ7is_evenIsEEEE10hipError_tPvRmT3_T4_T5_T6_T7_T9_mT8_P12ihipStream_tbDpT10_ENKUlT_T0_E_clISt17integral_constantIbLb1EES15_IbLb0EEEEDaS11_S12_EUlS11_E_NS1_11comp_targetILNS1_3genE2ELNS1_11target_archE906ELNS1_3gpuE6ELNS1_3repE0EEENS1_30default_config_static_selectorELNS0_4arch9wavefront6targetE1EEEvT1_,"axG",@progbits,_ZN7rocprim17ROCPRIM_400000_NS6detail17trampoline_kernelINS0_14default_configENS1_25partition_config_selectorILNS1_17partition_subalgoE0EsNS0_10empty_typeEbEEZZNS1_14partition_implILS5_0ELb0ES3_jN6thrust23THRUST_200600_302600_NS6detail15normal_iteratorINSA_10device_ptrIsEEEEPS6_SG_NS0_5tupleIJSF_SF_EEENSH_IJSG_SG_EEES6_PlJ7is_evenIsEEEE10hipError_tPvRmT3_T4_T5_T6_T7_T9_mT8_P12ihipStream_tbDpT10_ENKUlT_T0_E_clISt17integral_constantIbLb1EES15_IbLb0EEEEDaS11_S12_EUlS11_E_NS1_11comp_targetILNS1_3genE2ELNS1_11target_archE906ELNS1_3gpuE6ELNS1_3repE0EEENS1_30default_config_static_selectorELNS0_4arch9wavefront6targetE1EEEvT1_,comdat
.Lfunc_end373:
	.size	_ZN7rocprim17ROCPRIM_400000_NS6detail17trampoline_kernelINS0_14default_configENS1_25partition_config_selectorILNS1_17partition_subalgoE0EsNS0_10empty_typeEbEEZZNS1_14partition_implILS5_0ELb0ES3_jN6thrust23THRUST_200600_302600_NS6detail15normal_iteratorINSA_10device_ptrIsEEEEPS6_SG_NS0_5tupleIJSF_SF_EEENSH_IJSG_SG_EEES6_PlJ7is_evenIsEEEE10hipError_tPvRmT3_T4_T5_T6_T7_T9_mT8_P12ihipStream_tbDpT10_ENKUlT_T0_E_clISt17integral_constantIbLb1EES15_IbLb0EEEEDaS11_S12_EUlS11_E_NS1_11comp_targetILNS1_3genE2ELNS1_11target_archE906ELNS1_3gpuE6ELNS1_3repE0EEENS1_30default_config_static_selectorELNS0_4arch9wavefront6targetE1EEEvT1_, .Lfunc_end373-_ZN7rocprim17ROCPRIM_400000_NS6detail17trampoline_kernelINS0_14default_configENS1_25partition_config_selectorILNS1_17partition_subalgoE0EsNS0_10empty_typeEbEEZZNS1_14partition_implILS5_0ELb0ES3_jN6thrust23THRUST_200600_302600_NS6detail15normal_iteratorINSA_10device_ptrIsEEEEPS6_SG_NS0_5tupleIJSF_SF_EEENSH_IJSG_SG_EEES6_PlJ7is_evenIsEEEE10hipError_tPvRmT3_T4_T5_T6_T7_T9_mT8_P12ihipStream_tbDpT10_ENKUlT_T0_E_clISt17integral_constantIbLb1EES15_IbLb0EEEEDaS11_S12_EUlS11_E_NS1_11comp_targetILNS1_3genE2ELNS1_11target_archE906ELNS1_3gpuE6ELNS1_3repE0EEENS1_30default_config_static_selectorELNS0_4arch9wavefront6targetE1EEEvT1_
                                        ; -- End function
	.section	.AMDGPU.csdata,"",@progbits
; Kernel info:
; codeLenInByte = 0
; NumSgprs: 4
; NumVgprs: 0
; NumAgprs: 0
; TotalNumVgprs: 0
; ScratchSize: 0
; MemoryBound: 0
; FloatMode: 240
; IeeeMode: 1
; LDSByteSize: 0 bytes/workgroup (compile time only)
; SGPRBlocks: 0
; VGPRBlocks: 0
; NumSGPRsForWavesPerEU: 4
; NumVGPRsForWavesPerEU: 1
; AccumOffset: 4
; Occupancy: 8
; WaveLimiterHint : 0
; COMPUTE_PGM_RSRC2:SCRATCH_EN: 0
; COMPUTE_PGM_RSRC2:USER_SGPR: 6
; COMPUTE_PGM_RSRC2:TRAP_HANDLER: 0
; COMPUTE_PGM_RSRC2:TGID_X_EN: 1
; COMPUTE_PGM_RSRC2:TGID_Y_EN: 0
; COMPUTE_PGM_RSRC2:TGID_Z_EN: 0
; COMPUTE_PGM_RSRC2:TIDIG_COMP_CNT: 0
; COMPUTE_PGM_RSRC3_GFX90A:ACCUM_OFFSET: 0
; COMPUTE_PGM_RSRC3_GFX90A:TG_SPLIT: 0
	.section	.text._ZN7rocprim17ROCPRIM_400000_NS6detail17trampoline_kernelINS0_14default_configENS1_25partition_config_selectorILNS1_17partition_subalgoE0EsNS0_10empty_typeEbEEZZNS1_14partition_implILS5_0ELb0ES3_jN6thrust23THRUST_200600_302600_NS6detail15normal_iteratorINSA_10device_ptrIsEEEEPS6_SG_NS0_5tupleIJSF_SF_EEENSH_IJSG_SG_EEES6_PlJ7is_evenIsEEEE10hipError_tPvRmT3_T4_T5_T6_T7_T9_mT8_P12ihipStream_tbDpT10_ENKUlT_T0_E_clISt17integral_constantIbLb1EES15_IbLb0EEEEDaS11_S12_EUlS11_E_NS1_11comp_targetILNS1_3genE10ELNS1_11target_archE1200ELNS1_3gpuE4ELNS1_3repE0EEENS1_30default_config_static_selectorELNS0_4arch9wavefront6targetE1EEEvT1_,"axG",@progbits,_ZN7rocprim17ROCPRIM_400000_NS6detail17trampoline_kernelINS0_14default_configENS1_25partition_config_selectorILNS1_17partition_subalgoE0EsNS0_10empty_typeEbEEZZNS1_14partition_implILS5_0ELb0ES3_jN6thrust23THRUST_200600_302600_NS6detail15normal_iteratorINSA_10device_ptrIsEEEEPS6_SG_NS0_5tupleIJSF_SF_EEENSH_IJSG_SG_EEES6_PlJ7is_evenIsEEEE10hipError_tPvRmT3_T4_T5_T6_T7_T9_mT8_P12ihipStream_tbDpT10_ENKUlT_T0_E_clISt17integral_constantIbLb1EES15_IbLb0EEEEDaS11_S12_EUlS11_E_NS1_11comp_targetILNS1_3genE10ELNS1_11target_archE1200ELNS1_3gpuE4ELNS1_3repE0EEENS1_30default_config_static_selectorELNS0_4arch9wavefront6targetE1EEEvT1_,comdat
	.protected	_ZN7rocprim17ROCPRIM_400000_NS6detail17trampoline_kernelINS0_14default_configENS1_25partition_config_selectorILNS1_17partition_subalgoE0EsNS0_10empty_typeEbEEZZNS1_14partition_implILS5_0ELb0ES3_jN6thrust23THRUST_200600_302600_NS6detail15normal_iteratorINSA_10device_ptrIsEEEEPS6_SG_NS0_5tupleIJSF_SF_EEENSH_IJSG_SG_EEES6_PlJ7is_evenIsEEEE10hipError_tPvRmT3_T4_T5_T6_T7_T9_mT8_P12ihipStream_tbDpT10_ENKUlT_T0_E_clISt17integral_constantIbLb1EES15_IbLb0EEEEDaS11_S12_EUlS11_E_NS1_11comp_targetILNS1_3genE10ELNS1_11target_archE1200ELNS1_3gpuE4ELNS1_3repE0EEENS1_30default_config_static_selectorELNS0_4arch9wavefront6targetE1EEEvT1_ ; -- Begin function _ZN7rocprim17ROCPRIM_400000_NS6detail17trampoline_kernelINS0_14default_configENS1_25partition_config_selectorILNS1_17partition_subalgoE0EsNS0_10empty_typeEbEEZZNS1_14partition_implILS5_0ELb0ES3_jN6thrust23THRUST_200600_302600_NS6detail15normal_iteratorINSA_10device_ptrIsEEEEPS6_SG_NS0_5tupleIJSF_SF_EEENSH_IJSG_SG_EEES6_PlJ7is_evenIsEEEE10hipError_tPvRmT3_T4_T5_T6_T7_T9_mT8_P12ihipStream_tbDpT10_ENKUlT_T0_E_clISt17integral_constantIbLb1EES15_IbLb0EEEEDaS11_S12_EUlS11_E_NS1_11comp_targetILNS1_3genE10ELNS1_11target_archE1200ELNS1_3gpuE4ELNS1_3repE0EEENS1_30default_config_static_selectorELNS0_4arch9wavefront6targetE1EEEvT1_
	.globl	_ZN7rocprim17ROCPRIM_400000_NS6detail17trampoline_kernelINS0_14default_configENS1_25partition_config_selectorILNS1_17partition_subalgoE0EsNS0_10empty_typeEbEEZZNS1_14partition_implILS5_0ELb0ES3_jN6thrust23THRUST_200600_302600_NS6detail15normal_iteratorINSA_10device_ptrIsEEEEPS6_SG_NS0_5tupleIJSF_SF_EEENSH_IJSG_SG_EEES6_PlJ7is_evenIsEEEE10hipError_tPvRmT3_T4_T5_T6_T7_T9_mT8_P12ihipStream_tbDpT10_ENKUlT_T0_E_clISt17integral_constantIbLb1EES15_IbLb0EEEEDaS11_S12_EUlS11_E_NS1_11comp_targetILNS1_3genE10ELNS1_11target_archE1200ELNS1_3gpuE4ELNS1_3repE0EEENS1_30default_config_static_selectorELNS0_4arch9wavefront6targetE1EEEvT1_
	.p2align	8
	.type	_ZN7rocprim17ROCPRIM_400000_NS6detail17trampoline_kernelINS0_14default_configENS1_25partition_config_selectorILNS1_17partition_subalgoE0EsNS0_10empty_typeEbEEZZNS1_14partition_implILS5_0ELb0ES3_jN6thrust23THRUST_200600_302600_NS6detail15normal_iteratorINSA_10device_ptrIsEEEEPS6_SG_NS0_5tupleIJSF_SF_EEENSH_IJSG_SG_EEES6_PlJ7is_evenIsEEEE10hipError_tPvRmT3_T4_T5_T6_T7_T9_mT8_P12ihipStream_tbDpT10_ENKUlT_T0_E_clISt17integral_constantIbLb1EES15_IbLb0EEEEDaS11_S12_EUlS11_E_NS1_11comp_targetILNS1_3genE10ELNS1_11target_archE1200ELNS1_3gpuE4ELNS1_3repE0EEENS1_30default_config_static_selectorELNS0_4arch9wavefront6targetE1EEEvT1_,@function
_ZN7rocprim17ROCPRIM_400000_NS6detail17trampoline_kernelINS0_14default_configENS1_25partition_config_selectorILNS1_17partition_subalgoE0EsNS0_10empty_typeEbEEZZNS1_14partition_implILS5_0ELb0ES3_jN6thrust23THRUST_200600_302600_NS6detail15normal_iteratorINSA_10device_ptrIsEEEEPS6_SG_NS0_5tupleIJSF_SF_EEENSH_IJSG_SG_EEES6_PlJ7is_evenIsEEEE10hipError_tPvRmT3_T4_T5_T6_T7_T9_mT8_P12ihipStream_tbDpT10_ENKUlT_T0_E_clISt17integral_constantIbLb1EES15_IbLb0EEEEDaS11_S12_EUlS11_E_NS1_11comp_targetILNS1_3genE10ELNS1_11target_archE1200ELNS1_3gpuE4ELNS1_3repE0EEENS1_30default_config_static_selectorELNS0_4arch9wavefront6targetE1EEEvT1_: ; @_ZN7rocprim17ROCPRIM_400000_NS6detail17trampoline_kernelINS0_14default_configENS1_25partition_config_selectorILNS1_17partition_subalgoE0EsNS0_10empty_typeEbEEZZNS1_14partition_implILS5_0ELb0ES3_jN6thrust23THRUST_200600_302600_NS6detail15normal_iteratorINSA_10device_ptrIsEEEEPS6_SG_NS0_5tupleIJSF_SF_EEENSH_IJSG_SG_EEES6_PlJ7is_evenIsEEEE10hipError_tPvRmT3_T4_T5_T6_T7_T9_mT8_P12ihipStream_tbDpT10_ENKUlT_T0_E_clISt17integral_constantIbLb1EES15_IbLb0EEEEDaS11_S12_EUlS11_E_NS1_11comp_targetILNS1_3genE10ELNS1_11target_archE1200ELNS1_3gpuE4ELNS1_3repE0EEENS1_30default_config_static_selectorELNS0_4arch9wavefront6targetE1EEEvT1_
; %bb.0:
	.section	.rodata,"a",@progbits
	.p2align	6, 0x0
	.amdhsa_kernel _ZN7rocprim17ROCPRIM_400000_NS6detail17trampoline_kernelINS0_14default_configENS1_25partition_config_selectorILNS1_17partition_subalgoE0EsNS0_10empty_typeEbEEZZNS1_14partition_implILS5_0ELb0ES3_jN6thrust23THRUST_200600_302600_NS6detail15normal_iteratorINSA_10device_ptrIsEEEEPS6_SG_NS0_5tupleIJSF_SF_EEENSH_IJSG_SG_EEES6_PlJ7is_evenIsEEEE10hipError_tPvRmT3_T4_T5_T6_T7_T9_mT8_P12ihipStream_tbDpT10_ENKUlT_T0_E_clISt17integral_constantIbLb1EES15_IbLb0EEEEDaS11_S12_EUlS11_E_NS1_11comp_targetILNS1_3genE10ELNS1_11target_archE1200ELNS1_3gpuE4ELNS1_3repE0EEENS1_30default_config_static_selectorELNS0_4arch9wavefront6targetE1EEEvT1_
		.amdhsa_group_segment_fixed_size 0
		.amdhsa_private_segment_fixed_size 0
		.amdhsa_kernarg_size 120
		.amdhsa_user_sgpr_count 6
		.amdhsa_user_sgpr_private_segment_buffer 1
		.amdhsa_user_sgpr_dispatch_ptr 0
		.amdhsa_user_sgpr_queue_ptr 0
		.amdhsa_user_sgpr_kernarg_segment_ptr 1
		.amdhsa_user_sgpr_dispatch_id 0
		.amdhsa_user_sgpr_flat_scratch_init 0
		.amdhsa_user_sgpr_kernarg_preload_length 0
		.amdhsa_user_sgpr_kernarg_preload_offset 0
		.amdhsa_user_sgpr_private_segment_size 0
		.amdhsa_uses_dynamic_stack 0
		.amdhsa_system_sgpr_private_segment_wavefront_offset 0
		.amdhsa_system_sgpr_workgroup_id_x 1
		.amdhsa_system_sgpr_workgroup_id_y 0
		.amdhsa_system_sgpr_workgroup_id_z 0
		.amdhsa_system_sgpr_workgroup_info 0
		.amdhsa_system_vgpr_workitem_id 0
		.amdhsa_next_free_vgpr 1
		.amdhsa_next_free_sgpr 0
		.amdhsa_accum_offset 4
		.amdhsa_reserve_vcc 0
		.amdhsa_reserve_flat_scratch 0
		.amdhsa_float_round_mode_32 0
		.amdhsa_float_round_mode_16_64 0
		.amdhsa_float_denorm_mode_32 3
		.amdhsa_float_denorm_mode_16_64 3
		.amdhsa_dx10_clamp 1
		.amdhsa_ieee_mode 1
		.amdhsa_fp16_overflow 0
		.amdhsa_tg_split 0
		.amdhsa_exception_fp_ieee_invalid_op 0
		.amdhsa_exception_fp_denorm_src 0
		.amdhsa_exception_fp_ieee_div_zero 0
		.amdhsa_exception_fp_ieee_overflow 0
		.amdhsa_exception_fp_ieee_underflow 0
		.amdhsa_exception_fp_ieee_inexact 0
		.amdhsa_exception_int_div_zero 0
	.end_amdhsa_kernel
	.section	.text._ZN7rocprim17ROCPRIM_400000_NS6detail17trampoline_kernelINS0_14default_configENS1_25partition_config_selectorILNS1_17partition_subalgoE0EsNS0_10empty_typeEbEEZZNS1_14partition_implILS5_0ELb0ES3_jN6thrust23THRUST_200600_302600_NS6detail15normal_iteratorINSA_10device_ptrIsEEEEPS6_SG_NS0_5tupleIJSF_SF_EEENSH_IJSG_SG_EEES6_PlJ7is_evenIsEEEE10hipError_tPvRmT3_T4_T5_T6_T7_T9_mT8_P12ihipStream_tbDpT10_ENKUlT_T0_E_clISt17integral_constantIbLb1EES15_IbLb0EEEEDaS11_S12_EUlS11_E_NS1_11comp_targetILNS1_3genE10ELNS1_11target_archE1200ELNS1_3gpuE4ELNS1_3repE0EEENS1_30default_config_static_selectorELNS0_4arch9wavefront6targetE1EEEvT1_,"axG",@progbits,_ZN7rocprim17ROCPRIM_400000_NS6detail17trampoline_kernelINS0_14default_configENS1_25partition_config_selectorILNS1_17partition_subalgoE0EsNS0_10empty_typeEbEEZZNS1_14partition_implILS5_0ELb0ES3_jN6thrust23THRUST_200600_302600_NS6detail15normal_iteratorINSA_10device_ptrIsEEEEPS6_SG_NS0_5tupleIJSF_SF_EEENSH_IJSG_SG_EEES6_PlJ7is_evenIsEEEE10hipError_tPvRmT3_T4_T5_T6_T7_T9_mT8_P12ihipStream_tbDpT10_ENKUlT_T0_E_clISt17integral_constantIbLb1EES15_IbLb0EEEEDaS11_S12_EUlS11_E_NS1_11comp_targetILNS1_3genE10ELNS1_11target_archE1200ELNS1_3gpuE4ELNS1_3repE0EEENS1_30default_config_static_selectorELNS0_4arch9wavefront6targetE1EEEvT1_,comdat
.Lfunc_end374:
	.size	_ZN7rocprim17ROCPRIM_400000_NS6detail17trampoline_kernelINS0_14default_configENS1_25partition_config_selectorILNS1_17partition_subalgoE0EsNS0_10empty_typeEbEEZZNS1_14partition_implILS5_0ELb0ES3_jN6thrust23THRUST_200600_302600_NS6detail15normal_iteratorINSA_10device_ptrIsEEEEPS6_SG_NS0_5tupleIJSF_SF_EEENSH_IJSG_SG_EEES6_PlJ7is_evenIsEEEE10hipError_tPvRmT3_T4_T5_T6_T7_T9_mT8_P12ihipStream_tbDpT10_ENKUlT_T0_E_clISt17integral_constantIbLb1EES15_IbLb0EEEEDaS11_S12_EUlS11_E_NS1_11comp_targetILNS1_3genE10ELNS1_11target_archE1200ELNS1_3gpuE4ELNS1_3repE0EEENS1_30default_config_static_selectorELNS0_4arch9wavefront6targetE1EEEvT1_, .Lfunc_end374-_ZN7rocprim17ROCPRIM_400000_NS6detail17trampoline_kernelINS0_14default_configENS1_25partition_config_selectorILNS1_17partition_subalgoE0EsNS0_10empty_typeEbEEZZNS1_14partition_implILS5_0ELb0ES3_jN6thrust23THRUST_200600_302600_NS6detail15normal_iteratorINSA_10device_ptrIsEEEEPS6_SG_NS0_5tupleIJSF_SF_EEENSH_IJSG_SG_EEES6_PlJ7is_evenIsEEEE10hipError_tPvRmT3_T4_T5_T6_T7_T9_mT8_P12ihipStream_tbDpT10_ENKUlT_T0_E_clISt17integral_constantIbLb1EES15_IbLb0EEEEDaS11_S12_EUlS11_E_NS1_11comp_targetILNS1_3genE10ELNS1_11target_archE1200ELNS1_3gpuE4ELNS1_3repE0EEENS1_30default_config_static_selectorELNS0_4arch9wavefront6targetE1EEEvT1_
                                        ; -- End function
	.section	.AMDGPU.csdata,"",@progbits
; Kernel info:
; codeLenInByte = 0
; NumSgprs: 4
; NumVgprs: 0
; NumAgprs: 0
; TotalNumVgprs: 0
; ScratchSize: 0
; MemoryBound: 0
; FloatMode: 240
; IeeeMode: 1
; LDSByteSize: 0 bytes/workgroup (compile time only)
; SGPRBlocks: 0
; VGPRBlocks: 0
; NumSGPRsForWavesPerEU: 4
; NumVGPRsForWavesPerEU: 1
; AccumOffset: 4
; Occupancy: 8
; WaveLimiterHint : 0
; COMPUTE_PGM_RSRC2:SCRATCH_EN: 0
; COMPUTE_PGM_RSRC2:USER_SGPR: 6
; COMPUTE_PGM_RSRC2:TRAP_HANDLER: 0
; COMPUTE_PGM_RSRC2:TGID_X_EN: 1
; COMPUTE_PGM_RSRC2:TGID_Y_EN: 0
; COMPUTE_PGM_RSRC2:TGID_Z_EN: 0
; COMPUTE_PGM_RSRC2:TIDIG_COMP_CNT: 0
; COMPUTE_PGM_RSRC3_GFX90A:ACCUM_OFFSET: 0
; COMPUTE_PGM_RSRC3_GFX90A:TG_SPLIT: 0
	.section	.text._ZN7rocprim17ROCPRIM_400000_NS6detail17trampoline_kernelINS0_14default_configENS1_25partition_config_selectorILNS1_17partition_subalgoE0EsNS0_10empty_typeEbEEZZNS1_14partition_implILS5_0ELb0ES3_jN6thrust23THRUST_200600_302600_NS6detail15normal_iteratorINSA_10device_ptrIsEEEEPS6_SG_NS0_5tupleIJSF_SF_EEENSH_IJSG_SG_EEES6_PlJ7is_evenIsEEEE10hipError_tPvRmT3_T4_T5_T6_T7_T9_mT8_P12ihipStream_tbDpT10_ENKUlT_T0_E_clISt17integral_constantIbLb1EES15_IbLb0EEEEDaS11_S12_EUlS11_E_NS1_11comp_targetILNS1_3genE9ELNS1_11target_archE1100ELNS1_3gpuE3ELNS1_3repE0EEENS1_30default_config_static_selectorELNS0_4arch9wavefront6targetE1EEEvT1_,"axG",@progbits,_ZN7rocprim17ROCPRIM_400000_NS6detail17trampoline_kernelINS0_14default_configENS1_25partition_config_selectorILNS1_17partition_subalgoE0EsNS0_10empty_typeEbEEZZNS1_14partition_implILS5_0ELb0ES3_jN6thrust23THRUST_200600_302600_NS6detail15normal_iteratorINSA_10device_ptrIsEEEEPS6_SG_NS0_5tupleIJSF_SF_EEENSH_IJSG_SG_EEES6_PlJ7is_evenIsEEEE10hipError_tPvRmT3_T4_T5_T6_T7_T9_mT8_P12ihipStream_tbDpT10_ENKUlT_T0_E_clISt17integral_constantIbLb1EES15_IbLb0EEEEDaS11_S12_EUlS11_E_NS1_11comp_targetILNS1_3genE9ELNS1_11target_archE1100ELNS1_3gpuE3ELNS1_3repE0EEENS1_30default_config_static_selectorELNS0_4arch9wavefront6targetE1EEEvT1_,comdat
	.protected	_ZN7rocprim17ROCPRIM_400000_NS6detail17trampoline_kernelINS0_14default_configENS1_25partition_config_selectorILNS1_17partition_subalgoE0EsNS0_10empty_typeEbEEZZNS1_14partition_implILS5_0ELb0ES3_jN6thrust23THRUST_200600_302600_NS6detail15normal_iteratorINSA_10device_ptrIsEEEEPS6_SG_NS0_5tupleIJSF_SF_EEENSH_IJSG_SG_EEES6_PlJ7is_evenIsEEEE10hipError_tPvRmT3_T4_T5_T6_T7_T9_mT8_P12ihipStream_tbDpT10_ENKUlT_T0_E_clISt17integral_constantIbLb1EES15_IbLb0EEEEDaS11_S12_EUlS11_E_NS1_11comp_targetILNS1_3genE9ELNS1_11target_archE1100ELNS1_3gpuE3ELNS1_3repE0EEENS1_30default_config_static_selectorELNS0_4arch9wavefront6targetE1EEEvT1_ ; -- Begin function _ZN7rocprim17ROCPRIM_400000_NS6detail17trampoline_kernelINS0_14default_configENS1_25partition_config_selectorILNS1_17partition_subalgoE0EsNS0_10empty_typeEbEEZZNS1_14partition_implILS5_0ELb0ES3_jN6thrust23THRUST_200600_302600_NS6detail15normal_iteratorINSA_10device_ptrIsEEEEPS6_SG_NS0_5tupleIJSF_SF_EEENSH_IJSG_SG_EEES6_PlJ7is_evenIsEEEE10hipError_tPvRmT3_T4_T5_T6_T7_T9_mT8_P12ihipStream_tbDpT10_ENKUlT_T0_E_clISt17integral_constantIbLb1EES15_IbLb0EEEEDaS11_S12_EUlS11_E_NS1_11comp_targetILNS1_3genE9ELNS1_11target_archE1100ELNS1_3gpuE3ELNS1_3repE0EEENS1_30default_config_static_selectorELNS0_4arch9wavefront6targetE1EEEvT1_
	.globl	_ZN7rocprim17ROCPRIM_400000_NS6detail17trampoline_kernelINS0_14default_configENS1_25partition_config_selectorILNS1_17partition_subalgoE0EsNS0_10empty_typeEbEEZZNS1_14partition_implILS5_0ELb0ES3_jN6thrust23THRUST_200600_302600_NS6detail15normal_iteratorINSA_10device_ptrIsEEEEPS6_SG_NS0_5tupleIJSF_SF_EEENSH_IJSG_SG_EEES6_PlJ7is_evenIsEEEE10hipError_tPvRmT3_T4_T5_T6_T7_T9_mT8_P12ihipStream_tbDpT10_ENKUlT_T0_E_clISt17integral_constantIbLb1EES15_IbLb0EEEEDaS11_S12_EUlS11_E_NS1_11comp_targetILNS1_3genE9ELNS1_11target_archE1100ELNS1_3gpuE3ELNS1_3repE0EEENS1_30default_config_static_selectorELNS0_4arch9wavefront6targetE1EEEvT1_
	.p2align	8
	.type	_ZN7rocprim17ROCPRIM_400000_NS6detail17trampoline_kernelINS0_14default_configENS1_25partition_config_selectorILNS1_17partition_subalgoE0EsNS0_10empty_typeEbEEZZNS1_14partition_implILS5_0ELb0ES3_jN6thrust23THRUST_200600_302600_NS6detail15normal_iteratorINSA_10device_ptrIsEEEEPS6_SG_NS0_5tupleIJSF_SF_EEENSH_IJSG_SG_EEES6_PlJ7is_evenIsEEEE10hipError_tPvRmT3_T4_T5_T6_T7_T9_mT8_P12ihipStream_tbDpT10_ENKUlT_T0_E_clISt17integral_constantIbLb1EES15_IbLb0EEEEDaS11_S12_EUlS11_E_NS1_11comp_targetILNS1_3genE9ELNS1_11target_archE1100ELNS1_3gpuE3ELNS1_3repE0EEENS1_30default_config_static_selectorELNS0_4arch9wavefront6targetE1EEEvT1_,@function
_ZN7rocprim17ROCPRIM_400000_NS6detail17trampoline_kernelINS0_14default_configENS1_25partition_config_selectorILNS1_17partition_subalgoE0EsNS0_10empty_typeEbEEZZNS1_14partition_implILS5_0ELb0ES3_jN6thrust23THRUST_200600_302600_NS6detail15normal_iteratorINSA_10device_ptrIsEEEEPS6_SG_NS0_5tupleIJSF_SF_EEENSH_IJSG_SG_EEES6_PlJ7is_evenIsEEEE10hipError_tPvRmT3_T4_T5_T6_T7_T9_mT8_P12ihipStream_tbDpT10_ENKUlT_T0_E_clISt17integral_constantIbLb1EES15_IbLb0EEEEDaS11_S12_EUlS11_E_NS1_11comp_targetILNS1_3genE9ELNS1_11target_archE1100ELNS1_3gpuE3ELNS1_3repE0EEENS1_30default_config_static_selectorELNS0_4arch9wavefront6targetE1EEEvT1_: ; @_ZN7rocprim17ROCPRIM_400000_NS6detail17trampoline_kernelINS0_14default_configENS1_25partition_config_selectorILNS1_17partition_subalgoE0EsNS0_10empty_typeEbEEZZNS1_14partition_implILS5_0ELb0ES3_jN6thrust23THRUST_200600_302600_NS6detail15normal_iteratorINSA_10device_ptrIsEEEEPS6_SG_NS0_5tupleIJSF_SF_EEENSH_IJSG_SG_EEES6_PlJ7is_evenIsEEEE10hipError_tPvRmT3_T4_T5_T6_T7_T9_mT8_P12ihipStream_tbDpT10_ENKUlT_T0_E_clISt17integral_constantIbLb1EES15_IbLb0EEEEDaS11_S12_EUlS11_E_NS1_11comp_targetILNS1_3genE9ELNS1_11target_archE1100ELNS1_3gpuE3ELNS1_3repE0EEENS1_30default_config_static_selectorELNS0_4arch9wavefront6targetE1EEEvT1_
; %bb.0:
	.section	.rodata,"a",@progbits
	.p2align	6, 0x0
	.amdhsa_kernel _ZN7rocprim17ROCPRIM_400000_NS6detail17trampoline_kernelINS0_14default_configENS1_25partition_config_selectorILNS1_17partition_subalgoE0EsNS0_10empty_typeEbEEZZNS1_14partition_implILS5_0ELb0ES3_jN6thrust23THRUST_200600_302600_NS6detail15normal_iteratorINSA_10device_ptrIsEEEEPS6_SG_NS0_5tupleIJSF_SF_EEENSH_IJSG_SG_EEES6_PlJ7is_evenIsEEEE10hipError_tPvRmT3_T4_T5_T6_T7_T9_mT8_P12ihipStream_tbDpT10_ENKUlT_T0_E_clISt17integral_constantIbLb1EES15_IbLb0EEEEDaS11_S12_EUlS11_E_NS1_11comp_targetILNS1_3genE9ELNS1_11target_archE1100ELNS1_3gpuE3ELNS1_3repE0EEENS1_30default_config_static_selectorELNS0_4arch9wavefront6targetE1EEEvT1_
		.amdhsa_group_segment_fixed_size 0
		.amdhsa_private_segment_fixed_size 0
		.amdhsa_kernarg_size 120
		.amdhsa_user_sgpr_count 6
		.amdhsa_user_sgpr_private_segment_buffer 1
		.amdhsa_user_sgpr_dispatch_ptr 0
		.amdhsa_user_sgpr_queue_ptr 0
		.amdhsa_user_sgpr_kernarg_segment_ptr 1
		.amdhsa_user_sgpr_dispatch_id 0
		.amdhsa_user_sgpr_flat_scratch_init 0
		.amdhsa_user_sgpr_kernarg_preload_length 0
		.amdhsa_user_sgpr_kernarg_preload_offset 0
		.amdhsa_user_sgpr_private_segment_size 0
		.amdhsa_uses_dynamic_stack 0
		.amdhsa_system_sgpr_private_segment_wavefront_offset 0
		.amdhsa_system_sgpr_workgroup_id_x 1
		.amdhsa_system_sgpr_workgroup_id_y 0
		.amdhsa_system_sgpr_workgroup_id_z 0
		.amdhsa_system_sgpr_workgroup_info 0
		.amdhsa_system_vgpr_workitem_id 0
		.amdhsa_next_free_vgpr 1
		.amdhsa_next_free_sgpr 0
		.amdhsa_accum_offset 4
		.amdhsa_reserve_vcc 0
		.amdhsa_reserve_flat_scratch 0
		.amdhsa_float_round_mode_32 0
		.amdhsa_float_round_mode_16_64 0
		.amdhsa_float_denorm_mode_32 3
		.amdhsa_float_denorm_mode_16_64 3
		.amdhsa_dx10_clamp 1
		.amdhsa_ieee_mode 1
		.amdhsa_fp16_overflow 0
		.amdhsa_tg_split 0
		.amdhsa_exception_fp_ieee_invalid_op 0
		.amdhsa_exception_fp_denorm_src 0
		.amdhsa_exception_fp_ieee_div_zero 0
		.amdhsa_exception_fp_ieee_overflow 0
		.amdhsa_exception_fp_ieee_underflow 0
		.amdhsa_exception_fp_ieee_inexact 0
		.amdhsa_exception_int_div_zero 0
	.end_amdhsa_kernel
	.section	.text._ZN7rocprim17ROCPRIM_400000_NS6detail17trampoline_kernelINS0_14default_configENS1_25partition_config_selectorILNS1_17partition_subalgoE0EsNS0_10empty_typeEbEEZZNS1_14partition_implILS5_0ELb0ES3_jN6thrust23THRUST_200600_302600_NS6detail15normal_iteratorINSA_10device_ptrIsEEEEPS6_SG_NS0_5tupleIJSF_SF_EEENSH_IJSG_SG_EEES6_PlJ7is_evenIsEEEE10hipError_tPvRmT3_T4_T5_T6_T7_T9_mT8_P12ihipStream_tbDpT10_ENKUlT_T0_E_clISt17integral_constantIbLb1EES15_IbLb0EEEEDaS11_S12_EUlS11_E_NS1_11comp_targetILNS1_3genE9ELNS1_11target_archE1100ELNS1_3gpuE3ELNS1_3repE0EEENS1_30default_config_static_selectorELNS0_4arch9wavefront6targetE1EEEvT1_,"axG",@progbits,_ZN7rocprim17ROCPRIM_400000_NS6detail17trampoline_kernelINS0_14default_configENS1_25partition_config_selectorILNS1_17partition_subalgoE0EsNS0_10empty_typeEbEEZZNS1_14partition_implILS5_0ELb0ES3_jN6thrust23THRUST_200600_302600_NS6detail15normal_iteratorINSA_10device_ptrIsEEEEPS6_SG_NS0_5tupleIJSF_SF_EEENSH_IJSG_SG_EEES6_PlJ7is_evenIsEEEE10hipError_tPvRmT3_T4_T5_T6_T7_T9_mT8_P12ihipStream_tbDpT10_ENKUlT_T0_E_clISt17integral_constantIbLb1EES15_IbLb0EEEEDaS11_S12_EUlS11_E_NS1_11comp_targetILNS1_3genE9ELNS1_11target_archE1100ELNS1_3gpuE3ELNS1_3repE0EEENS1_30default_config_static_selectorELNS0_4arch9wavefront6targetE1EEEvT1_,comdat
.Lfunc_end375:
	.size	_ZN7rocprim17ROCPRIM_400000_NS6detail17trampoline_kernelINS0_14default_configENS1_25partition_config_selectorILNS1_17partition_subalgoE0EsNS0_10empty_typeEbEEZZNS1_14partition_implILS5_0ELb0ES3_jN6thrust23THRUST_200600_302600_NS6detail15normal_iteratorINSA_10device_ptrIsEEEEPS6_SG_NS0_5tupleIJSF_SF_EEENSH_IJSG_SG_EEES6_PlJ7is_evenIsEEEE10hipError_tPvRmT3_T4_T5_T6_T7_T9_mT8_P12ihipStream_tbDpT10_ENKUlT_T0_E_clISt17integral_constantIbLb1EES15_IbLb0EEEEDaS11_S12_EUlS11_E_NS1_11comp_targetILNS1_3genE9ELNS1_11target_archE1100ELNS1_3gpuE3ELNS1_3repE0EEENS1_30default_config_static_selectorELNS0_4arch9wavefront6targetE1EEEvT1_, .Lfunc_end375-_ZN7rocprim17ROCPRIM_400000_NS6detail17trampoline_kernelINS0_14default_configENS1_25partition_config_selectorILNS1_17partition_subalgoE0EsNS0_10empty_typeEbEEZZNS1_14partition_implILS5_0ELb0ES3_jN6thrust23THRUST_200600_302600_NS6detail15normal_iteratorINSA_10device_ptrIsEEEEPS6_SG_NS0_5tupleIJSF_SF_EEENSH_IJSG_SG_EEES6_PlJ7is_evenIsEEEE10hipError_tPvRmT3_T4_T5_T6_T7_T9_mT8_P12ihipStream_tbDpT10_ENKUlT_T0_E_clISt17integral_constantIbLb1EES15_IbLb0EEEEDaS11_S12_EUlS11_E_NS1_11comp_targetILNS1_3genE9ELNS1_11target_archE1100ELNS1_3gpuE3ELNS1_3repE0EEENS1_30default_config_static_selectorELNS0_4arch9wavefront6targetE1EEEvT1_
                                        ; -- End function
	.section	.AMDGPU.csdata,"",@progbits
; Kernel info:
; codeLenInByte = 0
; NumSgprs: 4
; NumVgprs: 0
; NumAgprs: 0
; TotalNumVgprs: 0
; ScratchSize: 0
; MemoryBound: 0
; FloatMode: 240
; IeeeMode: 1
; LDSByteSize: 0 bytes/workgroup (compile time only)
; SGPRBlocks: 0
; VGPRBlocks: 0
; NumSGPRsForWavesPerEU: 4
; NumVGPRsForWavesPerEU: 1
; AccumOffset: 4
; Occupancy: 8
; WaveLimiterHint : 0
; COMPUTE_PGM_RSRC2:SCRATCH_EN: 0
; COMPUTE_PGM_RSRC2:USER_SGPR: 6
; COMPUTE_PGM_RSRC2:TRAP_HANDLER: 0
; COMPUTE_PGM_RSRC2:TGID_X_EN: 1
; COMPUTE_PGM_RSRC2:TGID_Y_EN: 0
; COMPUTE_PGM_RSRC2:TGID_Z_EN: 0
; COMPUTE_PGM_RSRC2:TIDIG_COMP_CNT: 0
; COMPUTE_PGM_RSRC3_GFX90A:ACCUM_OFFSET: 0
; COMPUTE_PGM_RSRC3_GFX90A:TG_SPLIT: 0
	.section	.text._ZN7rocprim17ROCPRIM_400000_NS6detail17trampoline_kernelINS0_14default_configENS1_25partition_config_selectorILNS1_17partition_subalgoE0EsNS0_10empty_typeEbEEZZNS1_14partition_implILS5_0ELb0ES3_jN6thrust23THRUST_200600_302600_NS6detail15normal_iteratorINSA_10device_ptrIsEEEEPS6_SG_NS0_5tupleIJSF_SF_EEENSH_IJSG_SG_EEES6_PlJ7is_evenIsEEEE10hipError_tPvRmT3_T4_T5_T6_T7_T9_mT8_P12ihipStream_tbDpT10_ENKUlT_T0_E_clISt17integral_constantIbLb1EES15_IbLb0EEEEDaS11_S12_EUlS11_E_NS1_11comp_targetILNS1_3genE8ELNS1_11target_archE1030ELNS1_3gpuE2ELNS1_3repE0EEENS1_30default_config_static_selectorELNS0_4arch9wavefront6targetE1EEEvT1_,"axG",@progbits,_ZN7rocprim17ROCPRIM_400000_NS6detail17trampoline_kernelINS0_14default_configENS1_25partition_config_selectorILNS1_17partition_subalgoE0EsNS0_10empty_typeEbEEZZNS1_14partition_implILS5_0ELb0ES3_jN6thrust23THRUST_200600_302600_NS6detail15normal_iteratorINSA_10device_ptrIsEEEEPS6_SG_NS0_5tupleIJSF_SF_EEENSH_IJSG_SG_EEES6_PlJ7is_evenIsEEEE10hipError_tPvRmT3_T4_T5_T6_T7_T9_mT8_P12ihipStream_tbDpT10_ENKUlT_T0_E_clISt17integral_constantIbLb1EES15_IbLb0EEEEDaS11_S12_EUlS11_E_NS1_11comp_targetILNS1_3genE8ELNS1_11target_archE1030ELNS1_3gpuE2ELNS1_3repE0EEENS1_30default_config_static_selectorELNS0_4arch9wavefront6targetE1EEEvT1_,comdat
	.protected	_ZN7rocprim17ROCPRIM_400000_NS6detail17trampoline_kernelINS0_14default_configENS1_25partition_config_selectorILNS1_17partition_subalgoE0EsNS0_10empty_typeEbEEZZNS1_14partition_implILS5_0ELb0ES3_jN6thrust23THRUST_200600_302600_NS6detail15normal_iteratorINSA_10device_ptrIsEEEEPS6_SG_NS0_5tupleIJSF_SF_EEENSH_IJSG_SG_EEES6_PlJ7is_evenIsEEEE10hipError_tPvRmT3_T4_T5_T6_T7_T9_mT8_P12ihipStream_tbDpT10_ENKUlT_T0_E_clISt17integral_constantIbLb1EES15_IbLb0EEEEDaS11_S12_EUlS11_E_NS1_11comp_targetILNS1_3genE8ELNS1_11target_archE1030ELNS1_3gpuE2ELNS1_3repE0EEENS1_30default_config_static_selectorELNS0_4arch9wavefront6targetE1EEEvT1_ ; -- Begin function _ZN7rocprim17ROCPRIM_400000_NS6detail17trampoline_kernelINS0_14default_configENS1_25partition_config_selectorILNS1_17partition_subalgoE0EsNS0_10empty_typeEbEEZZNS1_14partition_implILS5_0ELb0ES3_jN6thrust23THRUST_200600_302600_NS6detail15normal_iteratorINSA_10device_ptrIsEEEEPS6_SG_NS0_5tupleIJSF_SF_EEENSH_IJSG_SG_EEES6_PlJ7is_evenIsEEEE10hipError_tPvRmT3_T4_T5_T6_T7_T9_mT8_P12ihipStream_tbDpT10_ENKUlT_T0_E_clISt17integral_constantIbLb1EES15_IbLb0EEEEDaS11_S12_EUlS11_E_NS1_11comp_targetILNS1_3genE8ELNS1_11target_archE1030ELNS1_3gpuE2ELNS1_3repE0EEENS1_30default_config_static_selectorELNS0_4arch9wavefront6targetE1EEEvT1_
	.globl	_ZN7rocprim17ROCPRIM_400000_NS6detail17trampoline_kernelINS0_14default_configENS1_25partition_config_selectorILNS1_17partition_subalgoE0EsNS0_10empty_typeEbEEZZNS1_14partition_implILS5_0ELb0ES3_jN6thrust23THRUST_200600_302600_NS6detail15normal_iteratorINSA_10device_ptrIsEEEEPS6_SG_NS0_5tupleIJSF_SF_EEENSH_IJSG_SG_EEES6_PlJ7is_evenIsEEEE10hipError_tPvRmT3_T4_T5_T6_T7_T9_mT8_P12ihipStream_tbDpT10_ENKUlT_T0_E_clISt17integral_constantIbLb1EES15_IbLb0EEEEDaS11_S12_EUlS11_E_NS1_11comp_targetILNS1_3genE8ELNS1_11target_archE1030ELNS1_3gpuE2ELNS1_3repE0EEENS1_30default_config_static_selectorELNS0_4arch9wavefront6targetE1EEEvT1_
	.p2align	8
	.type	_ZN7rocprim17ROCPRIM_400000_NS6detail17trampoline_kernelINS0_14default_configENS1_25partition_config_selectorILNS1_17partition_subalgoE0EsNS0_10empty_typeEbEEZZNS1_14partition_implILS5_0ELb0ES3_jN6thrust23THRUST_200600_302600_NS6detail15normal_iteratorINSA_10device_ptrIsEEEEPS6_SG_NS0_5tupleIJSF_SF_EEENSH_IJSG_SG_EEES6_PlJ7is_evenIsEEEE10hipError_tPvRmT3_T4_T5_T6_T7_T9_mT8_P12ihipStream_tbDpT10_ENKUlT_T0_E_clISt17integral_constantIbLb1EES15_IbLb0EEEEDaS11_S12_EUlS11_E_NS1_11comp_targetILNS1_3genE8ELNS1_11target_archE1030ELNS1_3gpuE2ELNS1_3repE0EEENS1_30default_config_static_selectorELNS0_4arch9wavefront6targetE1EEEvT1_,@function
_ZN7rocprim17ROCPRIM_400000_NS6detail17trampoline_kernelINS0_14default_configENS1_25partition_config_selectorILNS1_17partition_subalgoE0EsNS0_10empty_typeEbEEZZNS1_14partition_implILS5_0ELb0ES3_jN6thrust23THRUST_200600_302600_NS6detail15normal_iteratorINSA_10device_ptrIsEEEEPS6_SG_NS0_5tupleIJSF_SF_EEENSH_IJSG_SG_EEES6_PlJ7is_evenIsEEEE10hipError_tPvRmT3_T4_T5_T6_T7_T9_mT8_P12ihipStream_tbDpT10_ENKUlT_T0_E_clISt17integral_constantIbLb1EES15_IbLb0EEEEDaS11_S12_EUlS11_E_NS1_11comp_targetILNS1_3genE8ELNS1_11target_archE1030ELNS1_3gpuE2ELNS1_3repE0EEENS1_30default_config_static_selectorELNS0_4arch9wavefront6targetE1EEEvT1_: ; @_ZN7rocprim17ROCPRIM_400000_NS6detail17trampoline_kernelINS0_14default_configENS1_25partition_config_selectorILNS1_17partition_subalgoE0EsNS0_10empty_typeEbEEZZNS1_14partition_implILS5_0ELb0ES3_jN6thrust23THRUST_200600_302600_NS6detail15normal_iteratorINSA_10device_ptrIsEEEEPS6_SG_NS0_5tupleIJSF_SF_EEENSH_IJSG_SG_EEES6_PlJ7is_evenIsEEEE10hipError_tPvRmT3_T4_T5_T6_T7_T9_mT8_P12ihipStream_tbDpT10_ENKUlT_T0_E_clISt17integral_constantIbLb1EES15_IbLb0EEEEDaS11_S12_EUlS11_E_NS1_11comp_targetILNS1_3genE8ELNS1_11target_archE1030ELNS1_3gpuE2ELNS1_3repE0EEENS1_30default_config_static_selectorELNS0_4arch9wavefront6targetE1EEEvT1_
; %bb.0:
	.section	.rodata,"a",@progbits
	.p2align	6, 0x0
	.amdhsa_kernel _ZN7rocprim17ROCPRIM_400000_NS6detail17trampoline_kernelINS0_14default_configENS1_25partition_config_selectorILNS1_17partition_subalgoE0EsNS0_10empty_typeEbEEZZNS1_14partition_implILS5_0ELb0ES3_jN6thrust23THRUST_200600_302600_NS6detail15normal_iteratorINSA_10device_ptrIsEEEEPS6_SG_NS0_5tupleIJSF_SF_EEENSH_IJSG_SG_EEES6_PlJ7is_evenIsEEEE10hipError_tPvRmT3_T4_T5_T6_T7_T9_mT8_P12ihipStream_tbDpT10_ENKUlT_T0_E_clISt17integral_constantIbLb1EES15_IbLb0EEEEDaS11_S12_EUlS11_E_NS1_11comp_targetILNS1_3genE8ELNS1_11target_archE1030ELNS1_3gpuE2ELNS1_3repE0EEENS1_30default_config_static_selectorELNS0_4arch9wavefront6targetE1EEEvT1_
		.amdhsa_group_segment_fixed_size 0
		.amdhsa_private_segment_fixed_size 0
		.amdhsa_kernarg_size 120
		.amdhsa_user_sgpr_count 6
		.amdhsa_user_sgpr_private_segment_buffer 1
		.amdhsa_user_sgpr_dispatch_ptr 0
		.amdhsa_user_sgpr_queue_ptr 0
		.amdhsa_user_sgpr_kernarg_segment_ptr 1
		.amdhsa_user_sgpr_dispatch_id 0
		.amdhsa_user_sgpr_flat_scratch_init 0
		.amdhsa_user_sgpr_kernarg_preload_length 0
		.amdhsa_user_sgpr_kernarg_preload_offset 0
		.amdhsa_user_sgpr_private_segment_size 0
		.amdhsa_uses_dynamic_stack 0
		.amdhsa_system_sgpr_private_segment_wavefront_offset 0
		.amdhsa_system_sgpr_workgroup_id_x 1
		.amdhsa_system_sgpr_workgroup_id_y 0
		.amdhsa_system_sgpr_workgroup_id_z 0
		.amdhsa_system_sgpr_workgroup_info 0
		.amdhsa_system_vgpr_workitem_id 0
		.amdhsa_next_free_vgpr 1
		.amdhsa_next_free_sgpr 0
		.amdhsa_accum_offset 4
		.amdhsa_reserve_vcc 0
		.amdhsa_reserve_flat_scratch 0
		.amdhsa_float_round_mode_32 0
		.amdhsa_float_round_mode_16_64 0
		.amdhsa_float_denorm_mode_32 3
		.amdhsa_float_denorm_mode_16_64 3
		.amdhsa_dx10_clamp 1
		.amdhsa_ieee_mode 1
		.amdhsa_fp16_overflow 0
		.amdhsa_tg_split 0
		.amdhsa_exception_fp_ieee_invalid_op 0
		.amdhsa_exception_fp_denorm_src 0
		.amdhsa_exception_fp_ieee_div_zero 0
		.amdhsa_exception_fp_ieee_overflow 0
		.amdhsa_exception_fp_ieee_underflow 0
		.amdhsa_exception_fp_ieee_inexact 0
		.amdhsa_exception_int_div_zero 0
	.end_amdhsa_kernel
	.section	.text._ZN7rocprim17ROCPRIM_400000_NS6detail17trampoline_kernelINS0_14default_configENS1_25partition_config_selectorILNS1_17partition_subalgoE0EsNS0_10empty_typeEbEEZZNS1_14partition_implILS5_0ELb0ES3_jN6thrust23THRUST_200600_302600_NS6detail15normal_iteratorINSA_10device_ptrIsEEEEPS6_SG_NS0_5tupleIJSF_SF_EEENSH_IJSG_SG_EEES6_PlJ7is_evenIsEEEE10hipError_tPvRmT3_T4_T5_T6_T7_T9_mT8_P12ihipStream_tbDpT10_ENKUlT_T0_E_clISt17integral_constantIbLb1EES15_IbLb0EEEEDaS11_S12_EUlS11_E_NS1_11comp_targetILNS1_3genE8ELNS1_11target_archE1030ELNS1_3gpuE2ELNS1_3repE0EEENS1_30default_config_static_selectorELNS0_4arch9wavefront6targetE1EEEvT1_,"axG",@progbits,_ZN7rocprim17ROCPRIM_400000_NS6detail17trampoline_kernelINS0_14default_configENS1_25partition_config_selectorILNS1_17partition_subalgoE0EsNS0_10empty_typeEbEEZZNS1_14partition_implILS5_0ELb0ES3_jN6thrust23THRUST_200600_302600_NS6detail15normal_iteratorINSA_10device_ptrIsEEEEPS6_SG_NS0_5tupleIJSF_SF_EEENSH_IJSG_SG_EEES6_PlJ7is_evenIsEEEE10hipError_tPvRmT3_T4_T5_T6_T7_T9_mT8_P12ihipStream_tbDpT10_ENKUlT_T0_E_clISt17integral_constantIbLb1EES15_IbLb0EEEEDaS11_S12_EUlS11_E_NS1_11comp_targetILNS1_3genE8ELNS1_11target_archE1030ELNS1_3gpuE2ELNS1_3repE0EEENS1_30default_config_static_selectorELNS0_4arch9wavefront6targetE1EEEvT1_,comdat
.Lfunc_end376:
	.size	_ZN7rocprim17ROCPRIM_400000_NS6detail17trampoline_kernelINS0_14default_configENS1_25partition_config_selectorILNS1_17partition_subalgoE0EsNS0_10empty_typeEbEEZZNS1_14partition_implILS5_0ELb0ES3_jN6thrust23THRUST_200600_302600_NS6detail15normal_iteratorINSA_10device_ptrIsEEEEPS6_SG_NS0_5tupleIJSF_SF_EEENSH_IJSG_SG_EEES6_PlJ7is_evenIsEEEE10hipError_tPvRmT3_T4_T5_T6_T7_T9_mT8_P12ihipStream_tbDpT10_ENKUlT_T0_E_clISt17integral_constantIbLb1EES15_IbLb0EEEEDaS11_S12_EUlS11_E_NS1_11comp_targetILNS1_3genE8ELNS1_11target_archE1030ELNS1_3gpuE2ELNS1_3repE0EEENS1_30default_config_static_selectorELNS0_4arch9wavefront6targetE1EEEvT1_, .Lfunc_end376-_ZN7rocprim17ROCPRIM_400000_NS6detail17trampoline_kernelINS0_14default_configENS1_25partition_config_selectorILNS1_17partition_subalgoE0EsNS0_10empty_typeEbEEZZNS1_14partition_implILS5_0ELb0ES3_jN6thrust23THRUST_200600_302600_NS6detail15normal_iteratorINSA_10device_ptrIsEEEEPS6_SG_NS0_5tupleIJSF_SF_EEENSH_IJSG_SG_EEES6_PlJ7is_evenIsEEEE10hipError_tPvRmT3_T4_T5_T6_T7_T9_mT8_P12ihipStream_tbDpT10_ENKUlT_T0_E_clISt17integral_constantIbLb1EES15_IbLb0EEEEDaS11_S12_EUlS11_E_NS1_11comp_targetILNS1_3genE8ELNS1_11target_archE1030ELNS1_3gpuE2ELNS1_3repE0EEENS1_30default_config_static_selectorELNS0_4arch9wavefront6targetE1EEEvT1_
                                        ; -- End function
	.section	.AMDGPU.csdata,"",@progbits
; Kernel info:
; codeLenInByte = 0
; NumSgprs: 4
; NumVgprs: 0
; NumAgprs: 0
; TotalNumVgprs: 0
; ScratchSize: 0
; MemoryBound: 0
; FloatMode: 240
; IeeeMode: 1
; LDSByteSize: 0 bytes/workgroup (compile time only)
; SGPRBlocks: 0
; VGPRBlocks: 0
; NumSGPRsForWavesPerEU: 4
; NumVGPRsForWavesPerEU: 1
; AccumOffset: 4
; Occupancy: 8
; WaveLimiterHint : 0
; COMPUTE_PGM_RSRC2:SCRATCH_EN: 0
; COMPUTE_PGM_RSRC2:USER_SGPR: 6
; COMPUTE_PGM_RSRC2:TRAP_HANDLER: 0
; COMPUTE_PGM_RSRC2:TGID_X_EN: 1
; COMPUTE_PGM_RSRC2:TGID_Y_EN: 0
; COMPUTE_PGM_RSRC2:TGID_Z_EN: 0
; COMPUTE_PGM_RSRC2:TIDIG_COMP_CNT: 0
; COMPUTE_PGM_RSRC3_GFX90A:ACCUM_OFFSET: 0
; COMPUTE_PGM_RSRC3_GFX90A:TG_SPLIT: 0
	.section	.text._ZN7rocprim17ROCPRIM_400000_NS6detail17trampoline_kernelINS0_14default_configENS1_25partition_config_selectorILNS1_17partition_subalgoE0EsNS0_10empty_typeEbEEZZNS1_14partition_implILS5_0ELb0ES3_jN6thrust23THRUST_200600_302600_NS6detail15normal_iteratorINSA_10device_ptrIsEEEEPS6_SG_NS0_5tupleIJSF_SF_EEENSH_IJSG_SG_EEES6_PlJ7is_evenIsEEEE10hipError_tPvRmT3_T4_T5_T6_T7_T9_mT8_P12ihipStream_tbDpT10_ENKUlT_T0_E_clISt17integral_constantIbLb0EES15_IbLb1EEEEDaS11_S12_EUlS11_E_NS1_11comp_targetILNS1_3genE0ELNS1_11target_archE4294967295ELNS1_3gpuE0ELNS1_3repE0EEENS1_30default_config_static_selectorELNS0_4arch9wavefront6targetE1EEEvT1_,"axG",@progbits,_ZN7rocprim17ROCPRIM_400000_NS6detail17trampoline_kernelINS0_14default_configENS1_25partition_config_selectorILNS1_17partition_subalgoE0EsNS0_10empty_typeEbEEZZNS1_14partition_implILS5_0ELb0ES3_jN6thrust23THRUST_200600_302600_NS6detail15normal_iteratorINSA_10device_ptrIsEEEEPS6_SG_NS0_5tupleIJSF_SF_EEENSH_IJSG_SG_EEES6_PlJ7is_evenIsEEEE10hipError_tPvRmT3_T4_T5_T6_T7_T9_mT8_P12ihipStream_tbDpT10_ENKUlT_T0_E_clISt17integral_constantIbLb0EES15_IbLb1EEEEDaS11_S12_EUlS11_E_NS1_11comp_targetILNS1_3genE0ELNS1_11target_archE4294967295ELNS1_3gpuE0ELNS1_3repE0EEENS1_30default_config_static_selectorELNS0_4arch9wavefront6targetE1EEEvT1_,comdat
	.protected	_ZN7rocprim17ROCPRIM_400000_NS6detail17trampoline_kernelINS0_14default_configENS1_25partition_config_selectorILNS1_17partition_subalgoE0EsNS0_10empty_typeEbEEZZNS1_14partition_implILS5_0ELb0ES3_jN6thrust23THRUST_200600_302600_NS6detail15normal_iteratorINSA_10device_ptrIsEEEEPS6_SG_NS0_5tupleIJSF_SF_EEENSH_IJSG_SG_EEES6_PlJ7is_evenIsEEEE10hipError_tPvRmT3_T4_T5_T6_T7_T9_mT8_P12ihipStream_tbDpT10_ENKUlT_T0_E_clISt17integral_constantIbLb0EES15_IbLb1EEEEDaS11_S12_EUlS11_E_NS1_11comp_targetILNS1_3genE0ELNS1_11target_archE4294967295ELNS1_3gpuE0ELNS1_3repE0EEENS1_30default_config_static_selectorELNS0_4arch9wavefront6targetE1EEEvT1_ ; -- Begin function _ZN7rocprim17ROCPRIM_400000_NS6detail17trampoline_kernelINS0_14default_configENS1_25partition_config_selectorILNS1_17partition_subalgoE0EsNS0_10empty_typeEbEEZZNS1_14partition_implILS5_0ELb0ES3_jN6thrust23THRUST_200600_302600_NS6detail15normal_iteratorINSA_10device_ptrIsEEEEPS6_SG_NS0_5tupleIJSF_SF_EEENSH_IJSG_SG_EEES6_PlJ7is_evenIsEEEE10hipError_tPvRmT3_T4_T5_T6_T7_T9_mT8_P12ihipStream_tbDpT10_ENKUlT_T0_E_clISt17integral_constantIbLb0EES15_IbLb1EEEEDaS11_S12_EUlS11_E_NS1_11comp_targetILNS1_3genE0ELNS1_11target_archE4294967295ELNS1_3gpuE0ELNS1_3repE0EEENS1_30default_config_static_selectorELNS0_4arch9wavefront6targetE1EEEvT1_
	.globl	_ZN7rocprim17ROCPRIM_400000_NS6detail17trampoline_kernelINS0_14default_configENS1_25partition_config_selectorILNS1_17partition_subalgoE0EsNS0_10empty_typeEbEEZZNS1_14partition_implILS5_0ELb0ES3_jN6thrust23THRUST_200600_302600_NS6detail15normal_iteratorINSA_10device_ptrIsEEEEPS6_SG_NS0_5tupleIJSF_SF_EEENSH_IJSG_SG_EEES6_PlJ7is_evenIsEEEE10hipError_tPvRmT3_T4_T5_T6_T7_T9_mT8_P12ihipStream_tbDpT10_ENKUlT_T0_E_clISt17integral_constantIbLb0EES15_IbLb1EEEEDaS11_S12_EUlS11_E_NS1_11comp_targetILNS1_3genE0ELNS1_11target_archE4294967295ELNS1_3gpuE0ELNS1_3repE0EEENS1_30default_config_static_selectorELNS0_4arch9wavefront6targetE1EEEvT1_
	.p2align	8
	.type	_ZN7rocprim17ROCPRIM_400000_NS6detail17trampoline_kernelINS0_14default_configENS1_25partition_config_selectorILNS1_17partition_subalgoE0EsNS0_10empty_typeEbEEZZNS1_14partition_implILS5_0ELb0ES3_jN6thrust23THRUST_200600_302600_NS6detail15normal_iteratorINSA_10device_ptrIsEEEEPS6_SG_NS0_5tupleIJSF_SF_EEENSH_IJSG_SG_EEES6_PlJ7is_evenIsEEEE10hipError_tPvRmT3_T4_T5_T6_T7_T9_mT8_P12ihipStream_tbDpT10_ENKUlT_T0_E_clISt17integral_constantIbLb0EES15_IbLb1EEEEDaS11_S12_EUlS11_E_NS1_11comp_targetILNS1_3genE0ELNS1_11target_archE4294967295ELNS1_3gpuE0ELNS1_3repE0EEENS1_30default_config_static_selectorELNS0_4arch9wavefront6targetE1EEEvT1_,@function
_ZN7rocprim17ROCPRIM_400000_NS6detail17trampoline_kernelINS0_14default_configENS1_25partition_config_selectorILNS1_17partition_subalgoE0EsNS0_10empty_typeEbEEZZNS1_14partition_implILS5_0ELb0ES3_jN6thrust23THRUST_200600_302600_NS6detail15normal_iteratorINSA_10device_ptrIsEEEEPS6_SG_NS0_5tupleIJSF_SF_EEENSH_IJSG_SG_EEES6_PlJ7is_evenIsEEEE10hipError_tPvRmT3_T4_T5_T6_T7_T9_mT8_P12ihipStream_tbDpT10_ENKUlT_T0_E_clISt17integral_constantIbLb0EES15_IbLb1EEEEDaS11_S12_EUlS11_E_NS1_11comp_targetILNS1_3genE0ELNS1_11target_archE4294967295ELNS1_3gpuE0ELNS1_3repE0EEENS1_30default_config_static_selectorELNS0_4arch9wavefront6targetE1EEEvT1_: ; @_ZN7rocprim17ROCPRIM_400000_NS6detail17trampoline_kernelINS0_14default_configENS1_25partition_config_selectorILNS1_17partition_subalgoE0EsNS0_10empty_typeEbEEZZNS1_14partition_implILS5_0ELb0ES3_jN6thrust23THRUST_200600_302600_NS6detail15normal_iteratorINSA_10device_ptrIsEEEEPS6_SG_NS0_5tupleIJSF_SF_EEENSH_IJSG_SG_EEES6_PlJ7is_evenIsEEEE10hipError_tPvRmT3_T4_T5_T6_T7_T9_mT8_P12ihipStream_tbDpT10_ENKUlT_T0_E_clISt17integral_constantIbLb0EES15_IbLb1EEEEDaS11_S12_EUlS11_E_NS1_11comp_targetILNS1_3genE0ELNS1_11target_archE4294967295ELNS1_3gpuE0ELNS1_3repE0EEENS1_30default_config_static_selectorELNS0_4arch9wavefront6targetE1EEEvT1_
; %bb.0:
	.section	.rodata,"a",@progbits
	.p2align	6, 0x0
	.amdhsa_kernel _ZN7rocprim17ROCPRIM_400000_NS6detail17trampoline_kernelINS0_14default_configENS1_25partition_config_selectorILNS1_17partition_subalgoE0EsNS0_10empty_typeEbEEZZNS1_14partition_implILS5_0ELb0ES3_jN6thrust23THRUST_200600_302600_NS6detail15normal_iteratorINSA_10device_ptrIsEEEEPS6_SG_NS0_5tupleIJSF_SF_EEENSH_IJSG_SG_EEES6_PlJ7is_evenIsEEEE10hipError_tPvRmT3_T4_T5_T6_T7_T9_mT8_P12ihipStream_tbDpT10_ENKUlT_T0_E_clISt17integral_constantIbLb0EES15_IbLb1EEEEDaS11_S12_EUlS11_E_NS1_11comp_targetILNS1_3genE0ELNS1_11target_archE4294967295ELNS1_3gpuE0ELNS1_3repE0EEENS1_30default_config_static_selectorELNS0_4arch9wavefront6targetE1EEEvT1_
		.amdhsa_group_segment_fixed_size 0
		.amdhsa_private_segment_fixed_size 0
		.amdhsa_kernarg_size 136
		.amdhsa_user_sgpr_count 6
		.amdhsa_user_sgpr_private_segment_buffer 1
		.amdhsa_user_sgpr_dispatch_ptr 0
		.amdhsa_user_sgpr_queue_ptr 0
		.amdhsa_user_sgpr_kernarg_segment_ptr 1
		.amdhsa_user_sgpr_dispatch_id 0
		.amdhsa_user_sgpr_flat_scratch_init 0
		.amdhsa_user_sgpr_kernarg_preload_length 0
		.amdhsa_user_sgpr_kernarg_preload_offset 0
		.amdhsa_user_sgpr_private_segment_size 0
		.amdhsa_uses_dynamic_stack 0
		.amdhsa_system_sgpr_private_segment_wavefront_offset 0
		.amdhsa_system_sgpr_workgroup_id_x 1
		.amdhsa_system_sgpr_workgroup_id_y 0
		.amdhsa_system_sgpr_workgroup_id_z 0
		.amdhsa_system_sgpr_workgroup_info 0
		.amdhsa_system_vgpr_workitem_id 0
		.amdhsa_next_free_vgpr 1
		.amdhsa_next_free_sgpr 0
		.amdhsa_accum_offset 4
		.amdhsa_reserve_vcc 0
		.amdhsa_reserve_flat_scratch 0
		.amdhsa_float_round_mode_32 0
		.amdhsa_float_round_mode_16_64 0
		.amdhsa_float_denorm_mode_32 3
		.amdhsa_float_denorm_mode_16_64 3
		.amdhsa_dx10_clamp 1
		.amdhsa_ieee_mode 1
		.amdhsa_fp16_overflow 0
		.amdhsa_tg_split 0
		.amdhsa_exception_fp_ieee_invalid_op 0
		.amdhsa_exception_fp_denorm_src 0
		.amdhsa_exception_fp_ieee_div_zero 0
		.amdhsa_exception_fp_ieee_overflow 0
		.amdhsa_exception_fp_ieee_underflow 0
		.amdhsa_exception_fp_ieee_inexact 0
		.amdhsa_exception_int_div_zero 0
	.end_amdhsa_kernel
	.section	.text._ZN7rocprim17ROCPRIM_400000_NS6detail17trampoline_kernelINS0_14default_configENS1_25partition_config_selectorILNS1_17partition_subalgoE0EsNS0_10empty_typeEbEEZZNS1_14partition_implILS5_0ELb0ES3_jN6thrust23THRUST_200600_302600_NS6detail15normal_iteratorINSA_10device_ptrIsEEEEPS6_SG_NS0_5tupleIJSF_SF_EEENSH_IJSG_SG_EEES6_PlJ7is_evenIsEEEE10hipError_tPvRmT3_T4_T5_T6_T7_T9_mT8_P12ihipStream_tbDpT10_ENKUlT_T0_E_clISt17integral_constantIbLb0EES15_IbLb1EEEEDaS11_S12_EUlS11_E_NS1_11comp_targetILNS1_3genE0ELNS1_11target_archE4294967295ELNS1_3gpuE0ELNS1_3repE0EEENS1_30default_config_static_selectorELNS0_4arch9wavefront6targetE1EEEvT1_,"axG",@progbits,_ZN7rocprim17ROCPRIM_400000_NS6detail17trampoline_kernelINS0_14default_configENS1_25partition_config_selectorILNS1_17partition_subalgoE0EsNS0_10empty_typeEbEEZZNS1_14partition_implILS5_0ELb0ES3_jN6thrust23THRUST_200600_302600_NS6detail15normal_iteratorINSA_10device_ptrIsEEEEPS6_SG_NS0_5tupleIJSF_SF_EEENSH_IJSG_SG_EEES6_PlJ7is_evenIsEEEE10hipError_tPvRmT3_T4_T5_T6_T7_T9_mT8_P12ihipStream_tbDpT10_ENKUlT_T0_E_clISt17integral_constantIbLb0EES15_IbLb1EEEEDaS11_S12_EUlS11_E_NS1_11comp_targetILNS1_3genE0ELNS1_11target_archE4294967295ELNS1_3gpuE0ELNS1_3repE0EEENS1_30default_config_static_selectorELNS0_4arch9wavefront6targetE1EEEvT1_,comdat
.Lfunc_end377:
	.size	_ZN7rocprim17ROCPRIM_400000_NS6detail17trampoline_kernelINS0_14default_configENS1_25partition_config_selectorILNS1_17partition_subalgoE0EsNS0_10empty_typeEbEEZZNS1_14partition_implILS5_0ELb0ES3_jN6thrust23THRUST_200600_302600_NS6detail15normal_iteratorINSA_10device_ptrIsEEEEPS6_SG_NS0_5tupleIJSF_SF_EEENSH_IJSG_SG_EEES6_PlJ7is_evenIsEEEE10hipError_tPvRmT3_T4_T5_T6_T7_T9_mT8_P12ihipStream_tbDpT10_ENKUlT_T0_E_clISt17integral_constantIbLb0EES15_IbLb1EEEEDaS11_S12_EUlS11_E_NS1_11comp_targetILNS1_3genE0ELNS1_11target_archE4294967295ELNS1_3gpuE0ELNS1_3repE0EEENS1_30default_config_static_selectorELNS0_4arch9wavefront6targetE1EEEvT1_, .Lfunc_end377-_ZN7rocprim17ROCPRIM_400000_NS6detail17trampoline_kernelINS0_14default_configENS1_25partition_config_selectorILNS1_17partition_subalgoE0EsNS0_10empty_typeEbEEZZNS1_14partition_implILS5_0ELb0ES3_jN6thrust23THRUST_200600_302600_NS6detail15normal_iteratorINSA_10device_ptrIsEEEEPS6_SG_NS0_5tupleIJSF_SF_EEENSH_IJSG_SG_EEES6_PlJ7is_evenIsEEEE10hipError_tPvRmT3_T4_T5_T6_T7_T9_mT8_P12ihipStream_tbDpT10_ENKUlT_T0_E_clISt17integral_constantIbLb0EES15_IbLb1EEEEDaS11_S12_EUlS11_E_NS1_11comp_targetILNS1_3genE0ELNS1_11target_archE4294967295ELNS1_3gpuE0ELNS1_3repE0EEENS1_30default_config_static_selectorELNS0_4arch9wavefront6targetE1EEEvT1_
                                        ; -- End function
	.section	.AMDGPU.csdata,"",@progbits
; Kernel info:
; codeLenInByte = 0
; NumSgprs: 4
; NumVgprs: 0
; NumAgprs: 0
; TotalNumVgprs: 0
; ScratchSize: 0
; MemoryBound: 0
; FloatMode: 240
; IeeeMode: 1
; LDSByteSize: 0 bytes/workgroup (compile time only)
; SGPRBlocks: 0
; VGPRBlocks: 0
; NumSGPRsForWavesPerEU: 4
; NumVGPRsForWavesPerEU: 1
; AccumOffset: 4
; Occupancy: 8
; WaveLimiterHint : 0
; COMPUTE_PGM_RSRC2:SCRATCH_EN: 0
; COMPUTE_PGM_RSRC2:USER_SGPR: 6
; COMPUTE_PGM_RSRC2:TRAP_HANDLER: 0
; COMPUTE_PGM_RSRC2:TGID_X_EN: 1
; COMPUTE_PGM_RSRC2:TGID_Y_EN: 0
; COMPUTE_PGM_RSRC2:TGID_Z_EN: 0
; COMPUTE_PGM_RSRC2:TIDIG_COMP_CNT: 0
; COMPUTE_PGM_RSRC3_GFX90A:ACCUM_OFFSET: 0
; COMPUTE_PGM_RSRC3_GFX90A:TG_SPLIT: 0
	.section	.text._ZN7rocprim17ROCPRIM_400000_NS6detail17trampoline_kernelINS0_14default_configENS1_25partition_config_selectorILNS1_17partition_subalgoE0EsNS0_10empty_typeEbEEZZNS1_14partition_implILS5_0ELb0ES3_jN6thrust23THRUST_200600_302600_NS6detail15normal_iteratorINSA_10device_ptrIsEEEEPS6_SG_NS0_5tupleIJSF_SF_EEENSH_IJSG_SG_EEES6_PlJ7is_evenIsEEEE10hipError_tPvRmT3_T4_T5_T6_T7_T9_mT8_P12ihipStream_tbDpT10_ENKUlT_T0_E_clISt17integral_constantIbLb0EES15_IbLb1EEEEDaS11_S12_EUlS11_E_NS1_11comp_targetILNS1_3genE5ELNS1_11target_archE942ELNS1_3gpuE9ELNS1_3repE0EEENS1_30default_config_static_selectorELNS0_4arch9wavefront6targetE1EEEvT1_,"axG",@progbits,_ZN7rocprim17ROCPRIM_400000_NS6detail17trampoline_kernelINS0_14default_configENS1_25partition_config_selectorILNS1_17partition_subalgoE0EsNS0_10empty_typeEbEEZZNS1_14partition_implILS5_0ELb0ES3_jN6thrust23THRUST_200600_302600_NS6detail15normal_iteratorINSA_10device_ptrIsEEEEPS6_SG_NS0_5tupleIJSF_SF_EEENSH_IJSG_SG_EEES6_PlJ7is_evenIsEEEE10hipError_tPvRmT3_T4_T5_T6_T7_T9_mT8_P12ihipStream_tbDpT10_ENKUlT_T0_E_clISt17integral_constantIbLb0EES15_IbLb1EEEEDaS11_S12_EUlS11_E_NS1_11comp_targetILNS1_3genE5ELNS1_11target_archE942ELNS1_3gpuE9ELNS1_3repE0EEENS1_30default_config_static_selectorELNS0_4arch9wavefront6targetE1EEEvT1_,comdat
	.protected	_ZN7rocprim17ROCPRIM_400000_NS6detail17trampoline_kernelINS0_14default_configENS1_25partition_config_selectorILNS1_17partition_subalgoE0EsNS0_10empty_typeEbEEZZNS1_14partition_implILS5_0ELb0ES3_jN6thrust23THRUST_200600_302600_NS6detail15normal_iteratorINSA_10device_ptrIsEEEEPS6_SG_NS0_5tupleIJSF_SF_EEENSH_IJSG_SG_EEES6_PlJ7is_evenIsEEEE10hipError_tPvRmT3_T4_T5_T6_T7_T9_mT8_P12ihipStream_tbDpT10_ENKUlT_T0_E_clISt17integral_constantIbLb0EES15_IbLb1EEEEDaS11_S12_EUlS11_E_NS1_11comp_targetILNS1_3genE5ELNS1_11target_archE942ELNS1_3gpuE9ELNS1_3repE0EEENS1_30default_config_static_selectorELNS0_4arch9wavefront6targetE1EEEvT1_ ; -- Begin function _ZN7rocprim17ROCPRIM_400000_NS6detail17trampoline_kernelINS0_14default_configENS1_25partition_config_selectorILNS1_17partition_subalgoE0EsNS0_10empty_typeEbEEZZNS1_14partition_implILS5_0ELb0ES3_jN6thrust23THRUST_200600_302600_NS6detail15normal_iteratorINSA_10device_ptrIsEEEEPS6_SG_NS0_5tupleIJSF_SF_EEENSH_IJSG_SG_EEES6_PlJ7is_evenIsEEEE10hipError_tPvRmT3_T4_T5_T6_T7_T9_mT8_P12ihipStream_tbDpT10_ENKUlT_T0_E_clISt17integral_constantIbLb0EES15_IbLb1EEEEDaS11_S12_EUlS11_E_NS1_11comp_targetILNS1_3genE5ELNS1_11target_archE942ELNS1_3gpuE9ELNS1_3repE0EEENS1_30default_config_static_selectorELNS0_4arch9wavefront6targetE1EEEvT1_
	.globl	_ZN7rocprim17ROCPRIM_400000_NS6detail17trampoline_kernelINS0_14default_configENS1_25partition_config_selectorILNS1_17partition_subalgoE0EsNS0_10empty_typeEbEEZZNS1_14partition_implILS5_0ELb0ES3_jN6thrust23THRUST_200600_302600_NS6detail15normal_iteratorINSA_10device_ptrIsEEEEPS6_SG_NS0_5tupleIJSF_SF_EEENSH_IJSG_SG_EEES6_PlJ7is_evenIsEEEE10hipError_tPvRmT3_T4_T5_T6_T7_T9_mT8_P12ihipStream_tbDpT10_ENKUlT_T0_E_clISt17integral_constantIbLb0EES15_IbLb1EEEEDaS11_S12_EUlS11_E_NS1_11comp_targetILNS1_3genE5ELNS1_11target_archE942ELNS1_3gpuE9ELNS1_3repE0EEENS1_30default_config_static_selectorELNS0_4arch9wavefront6targetE1EEEvT1_
	.p2align	8
	.type	_ZN7rocprim17ROCPRIM_400000_NS6detail17trampoline_kernelINS0_14default_configENS1_25partition_config_selectorILNS1_17partition_subalgoE0EsNS0_10empty_typeEbEEZZNS1_14partition_implILS5_0ELb0ES3_jN6thrust23THRUST_200600_302600_NS6detail15normal_iteratorINSA_10device_ptrIsEEEEPS6_SG_NS0_5tupleIJSF_SF_EEENSH_IJSG_SG_EEES6_PlJ7is_evenIsEEEE10hipError_tPvRmT3_T4_T5_T6_T7_T9_mT8_P12ihipStream_tbDpT10_ENKUlT_T0_E_clISt17integral_constantIbLb0EES15_IbLb1EEEEDaS11_S12_EUlS11_E_NS1_11comp_targetILNS1_3genE5ELNS1_11target_archE942ELNS1_3gpuE9ELNS1_3repE0EEENS1_30default_config_static_selectorELNS0_4arch9wavefront6targetE1EEEvT1_,@function
_ZN7rocprim17ROCPRIM_400000_NS6detail17trampoline_kernelINS0_14default_configENS1_25partition_config_selectorILNS1_17partition_subalgoE0EsNS0_10empty_typeEbEEZZNS1_14partition_implILS5_0ELb0ES3_jN6thrust23THRUST_200600_302600_NS6detail15normal_iteratorINSA_10device_ptrIsEEEEPS6_SG_NS0_5tupleIJSF_SF_EEENSH_IJSG_SG_EEES6_PlJ7is_evenIsEEEE10hipError_tPvRmT3_T4_T5_T6_T7_T9_mT8_P12ihipStream_tbDpT10_ENKUlT_T0_E_clISt17integral_constantIbLb0EES15_IbLb1EEEEDaS11_S12_EUlS11_E_NS1_11comp_targetILNS1_3genE5ELNS1_11target_archE942ELNS1_3gpuE9ELNS1_3repE0EEENS1_30default_config_static_selectorELNS0_4arch9wavefront6targetE1EEEvT1_: ; @_ZN7rocprim17ROCPRIM_400000_NS6detail17trampoline_kernelINS0_14default_configENS1_25partition_config_selectorILNS1_17partition_subalgoE0EsNS0_10empty_typeEbEEZZNS1_14partition_implILS5_0ELb0ES3_jN6thrust23THRUST_200600_302600_NS6detail15normal_iteratorINSA_10device_ptrIsEEEEPS6_SG_NS0_5tupleIJSF_SF_EEENSH_IJSG_SG_EEES6_PlJ7is_evenIsEEEE10hipError_tPvRmT3_T4_T5_T6_T7_T9_mT8_P12ihipStream_tbDpT10_ENKUlT_T0_E_clISt17integral_constantIbLb0EES15_IbLb1EEEEDaS11_S12_EUlS11_E_NS1_11comp_targetILNS1_3genE5ELNS1_11target_archE942ELNS1_3gpuE9ELNS1_3repE0EEENS1_30default_config_static_selectorELNS0_4arch9wavefront6targetE1EEEvT1_
; %bb.0:
	.section	.rodata,"a",@progbits
	.p2align	6, 0x0
	.amdhsa_kernel _ZN7rocprim17ROCPRIM_400000_NS6detail17trampoline_kernelINS0_14default_configENS1_25partition_config_selectorILNS1_17partition_subalgoE0EsNS0_10empty_typeEbEEZZNS1_14partition_implILS5_0ELb0ES3_jN6thrust23THRUST_200600_302600_NS6detail15normal_iteratorINSA_10device_ptrIsEEEEPS6_SG_NS0_5tupleIJSF_SF_EEENSH_IJSG_SG_EEES6_PlJ7is_evenIsEEEE10hipError_tPvRmT3_T4_T5_T6_T7_T9_mT8_P12ihipStream_tbDpT10_ENKUlT_T0_E_clISt17integral_constantIbLb0EES15_IbLb1EEEEDaS11_S12_EUlS11_E_NS1_11comp_targetILNS1_3genE5ELNS1_11target_archE942ELNS1_3gpuE9ELNS1_3repE0EEENS1_30default_config_static_selectorELNS0_4arch9wavefront6targetE1EEEvT1_
		.amdhsa_group_segment_fixed_size 0
		.amdhsa_private_segment_fixed_size 0
		.amdhsa_kernarg_size 136
		.amdhsa_user_sgpr_count 6
		.amdhsa_user_sgpr_private_segment_buffer 1
		.amdhsa_user_sgpr_dispatch_ptr 0
		.amdhsa_user_sgpr_queue_ptr 0
		.amdhsa_user_sgpr_kernarg_segment_ptr 1
		.amdhsa_user_sgpr_dispatch_id 0
		.amdhsa_user_sgpr_flat_scratch_init 0
		.amdhsa_user_sgpr_kernarg_preload_length 0
		.amdhsa_user_sgpr_kernarg_preload_offset 0
		.amdhsa_user_sgpr_private_segment_size 0
		.amdhsa_uses_dynamic_stack 0
		.amdhsa_system_sgpr_private_segment_wavefront_offset 0
		.amdhsa_system_sgpr_workgroup_id_x 1
		.amdhsa_system_sgpr_workgroup_id_y 0
		.amdhsa_system_sgpr_workgroup_id_z 0
		.amdhsa_system_sgpr_workgroup_info 0
		.amdhsa_system_vgpr_workitem_id 0
		.amdhsa_next_free_vgpr 1
		.amdhsa_next_free_sgpr 0
		.amdhsa_accum_offset 4
		.amdhsa_reserve_vcc 0
		.amdhsa_reserve_flat_scratch 0
		.amdhsa_float_round_mode_32 0
		.amdhsa_float_round_mode_16_64 0
		.amdhsa_float_denorm_mode_32 3
		.amdhsa_float_denorm_mode_16_64 3
		.amdhsa_dx10_clamp 1
		.amdhsa_ieee_mode 1
		.amdhsa_fp16_overflow 0
		.amdhsa_tg_split 0
		.amdhsa_exception_fp_ieee_invalid_op 0
		.amdhsa_exception_fp_denorm_src 0
		.amdhsa_exception_fp_ieee_div_zero 0
		.amdhsa_exception_fp_ieee_overflow 0
		.amdhsa_exception_fp_ieee_underflow 0
		.amdhsa_exception_fp_ieee_inexact 0
		.amdhsa_exception_int_div_zero 0
	.end_amdhsa_kernel
	.section	.text._ZN7rocprim17ROCPRIM_400000_NS6detail17trampoline_kernelINS0_14default_configENS1_25partition_config_selectorILNS1_17partition_subalgoE0EsNS0_10empty_typeEbEEZZNS1_14partition_implILS5_0ELb0ES3_jN6thrust23THRUST_200600_302600_NS6detail15normal_iteratorINSA_10device_ptrIsEEEEPS6_SG_NS0_5tupleIJSF_SF_EEENSH_IJSG_SG_EEES6_PlJ7is_evenIsEEEE10hipError_tPvRmT3_T4_T5_T6_T7_T9_mT8_P12ihipStream_tbDpT10_ENKUlT_T0_E_clISt17integral_constantIbLb0EES15_IbLb1EEEEDaS11_S12_EUlS11_E_NS1_11comp_targetILNS1_3genE5ELNS1_11target_archE942ELNS1_3gpuE9ELNS1_3repE0EEENS1_30default_config_static_selectorELNS0_4arch9wavefront6targetE1EEEvT1_,"axG",@progbits,_ZN7rocprim17ROCPRIM_400000_NS6detail17trampoline_kernelINS0_14default_configENS1_25partition_config_selectorILNS1_17partition_subalgoE0EsNS0_10empty_typeEbEEZZNS1_14partition_implILS5_0ELb0ES3_jN6thrust23THRUST_200600_302600_NS6detail15normal_iteratorINSA_10device_ptrIsEEEEPS6_SG_NS0_5tupleIJSF_SF_EEENSH_IJSG_SG_EEES6_PlJ7is_evenIsEEEE10hipError_tPvRmT3_T4_T5_T6_T7_T9_mT8_P12ihipStream_tbDpT10_ENKUlT_T0_E_clISt17integral_constantIbLb0EES15_IbLb1EEEEDaS11_S12_EUlS11_E_NS1_11comp_targetILNS1_3genE5ELNS1_11target_archE942ELNS1_3gpuE9ELNS1_3repE0EEENS1_30default_config_static_selectorELNS0_4arch9wavefront6targetE1EEEvT1_,comdat
.Lfunc_end378:
	.size	_ZN7rocprim17ROCPRIM_400000_NS6detail17trampoline_kernelINS0_14default_configENS1_25partition_config_selectorILNS1_17partition_subalgoE0EsNS0_10empty_typeEbEEZZNS1_14partition_implILS5_0ELb0ES3_jN6thrust23THRUST_200600_302600_NS6detail15normal_iteratorINSA_10device_ptrIsEEEEPS6_SG_NS0_5tupleIJSF_SF_EEENSH_IJSG_SG_EEES6_PlJ7is_evenIsEEEE10hipError_tPvRmT3_T4_T5_T6_T7_T9_mT8_P12ihipStream_tbDpT10_ENKUlT_T0_E_clISt17integral_constantIbLb0EES15_IbLb1EEEEDaS11_S12_EUlS11_E_NS1_11comp_targetILNS1_3genE5ELNS1_11target_archE942ELNS1_3gpuE9ELNS1_3repE0EEENS1_30default_config_static_selectorELNS0_4arch9wavefront6targetE1EEEvT1_, .Lfunc_end378-_ZN7rocprim17ROCPRIM_400000_NS6detail17trampoline_kernelINS0_14default_configENS1_25partition_config_selectorILNS1_17partition_subalgoE0EsNS0_10empty_typeEbEEZZNS1_14partition_implILS5_0ELb0ES3_jN6thrust23THRUST_200600_302600_NS6detail15normal_iteratorINSA_10device_ptrIsEEEEPS6_SG_NS0_5tupleIJSF_SF_EEENSH_IJSG_SG_EEES6_PlJ7is_evenIsEEEE10hipError_tPvRmT3_T4_T5_T6_T7_T9_mT8_P12ihipStream_tbDpT10_ENKUlT_T0_E_clISt17integral_constantIbLb0EES15_IbLb1EEEEDaS11_S12_EUlS11_E_NS1_11comp_targetILNS1_3genE5ELNS1_11target_archE942ELNS1_3gpuE9ELNS1_3repE0EEENS1_30default_config_static_selectorELNS0_4arch9wavefront6targetE1EEEvT1_
                                        ; -- End function
	.section	.AMDGPU.csdata,"",@progbits
; Kernel info:
; codeLenInByte = 0
; NumSgprs: 4
; NumVgprs: 0
; NumAgprs: 0
; TotalNumVgprs: 0
; ScratchSize: 0
; MemoryBound: 0
; FloatMode: 240
; IeeeMode: 1
; LDSByteSize: 0 bytes/workgroup (compile time only)
; SGPRBlocks: 0
; VGPRBlocks: 0
; NumSGPRsForWavesPerEU: 4
; NumVGPRsForWavesPerEU: 1
; AccumOffset: 4
; Occupancy: 8
; WaveLimiterHint : 0
; COMPUTE_PGM_RSRC2:SCRATCH_EN: 0
; COMPUTE_PGM_RSRC2:USER_SGPR: 6
; COMPUTE_PGM_RSRC2:TRAP_HANDLER: 0
; COMPUTE_PGM_RSRC2:TGID_X_EN: 1
; COMPUTE_PGM_RSRC2:TGID_Y_EN: 0
; COMPUTE_PGM_RSRC2:TGID_Z_EN: 0
; COMPUTE_PGM_RSRC2:TIDIG_COMP_CNT: 0
; COMPUTE_PGM_RSRC3_GFX90A:ACCUM_OFFSET: 0
; COMPUTE_PGM_RSRC3_GFX90A:TG_SPLIT: 0
	.section	.text._ZN7rocprim17ROCPRIM_400000_NS6detail17trampoline_kernelINS0_14default_configENS1_25partition_config_selectorILNS1_17partition_subalgoE0EsNS0_10empty_typeEbEEZZNS1_14partition_implILS5_0ELb0ES3_jN6thrust23THRUST_200600_302600_NS6detail15normal_iteratorINSA_10device_ptrIsEEEEPS6_SG_NS0_5tupleIJSF_SF_EEENSH_IJSG_SG_EEES6_PlJ7is_evenIsEEEE10hipError_tPvRmT3_T4_T5_T6_T7_T9_mT8_P12ihipStream_tbDpT10_ENKUlT_T0_E_clISt17integral_constantIbLb0EES15_IbLb1EEEEDaS11_S12_EUlS11_E_NS1_11comp_targetILNS1_3genE4ELNS1_11target_archE910ELNS1_3gpuE8ELNS1_3repE0EEENS1_30default_config_static_selectorELNS0_4arch9wavefront6targetE1EEEvT1_,"axG",@progbits,_ZN7rocprim17ROCPRIM_400000_NS6detail17trampoline_kernelINS0_14default_configENS1_25partition_config_selectorILNS1_17partition_subalgoE0EsNS0_10empty_typeEbEEZZNS1_14partition_implILS5_0ELb0ES3_jN6thrust23THRUST_200600_302600_NS6detail15normal_iteratorINSA_10device_ptrIsEEEEPS6_SG_NS0_5tupleIJSF_SF_EEENSH_IJSG_SG_EEES6_PlJ7is_evenIsEEEE10hipError_tPvRmT3_T4_T5_T6_T7_T9_mT8_P12ihipStream_tbDpT10_ENKUlT_T0_E_clISt17integral_constantIbLb0EES15_IbLb1EEEEDaS11_S12_EUlS11_E_NS1_11comp_targetILNS1_3genE4ELNS1_11target_archE910ELNS1_3gpuE8ELNS1_3repE0EEENS1_30default_config_static_selectorELNS0_4arch9wavefront6targetE1EEEvT1_,comdat
	.protected	_ZN7rocprim17ROCPRIM_400000_NS6detail17trampoline_kernelINS0_14default_configENS1_25partition_config_selectorILNS1_17partition_subalgoE0EsNS0_10empty_typeEbEEZZNS1_14partition_implILS5_0ELb0ES3_jN6thrust23THRUST_200600_302600_NS6detail15normal_iteratorINSA_10device_ptrIsEEEEPS6_SG_NS0_5tupleIJSF_SF_EEENSH_IJSG_SG_EEES6_PlJ7is_evenIsEEEE10hipError_tPvRmT3_T4_T5_T6_T7_T9_mT8_P12ihipStream_tbDpT10_ENKUlT_T0_E_clISt17integral_constantIbLb0EES15_IbLb1EEEEDaS11_S12_EUlS11_E_NS1_11comp_targetILNS1_3genE4ELNS1_11target_archE910ELNS1_3gpuE8ELNS1_3repE0EEENS1_30default_config_static_selectorELNS0_4arch9wavefront6targetE1EEEvT1_ ; -- Begin function _ZN7rocprim17ROCPRIM_400000_NS6detail17trampoline_kernelINS0_14default_configENS1_25partition_config_selectorILNS1_17partition_subalgoE0EsNS0_10empty_typeEbEEZZNS1_14partition_implILS5_0ELb0ES3_jN6thrust23THRUST_200600_302600_NS6detail15normal_iteratorINSA_10device_ptrIsEEEEPS6_SG_NS0_5tupleIJSF_SF_EEENSH_IJSG_SG_EEES6_PlJ7is_evenIsEEEE10hipError_tPvRmT3_T4_T5_T6_T7_T9_mT8_P12ihipStream_tbDpT10_ENKUlT_T0_E_clISt17integral_constantIbLb0EES15_IbLb1EEEEDaS11_S12_EUlS11_E_NS1_11comp_targetILNS1_3genE4ELNS1_11target_archE910ELNS1_3gpuE8ELNS1_3repE0EEENS1_30default_config_static_selectorELNS0_4arch9wavefront6targetE1EEEvT1_
	.globl	_ZN7rocprim17ROCPRIM_400000_NS6detail17trampoline_kernelINS0_14default_configENS1_25partition_config_selectorILNS1_17partition_subalgoE0EsNS0_10empty_typeEbEEZZNS1_14partition_implILS5_0ELb0ES3_jN6thrust23THRUST_200600_302600_NS6detail15normal_iteratorINSA_10device_ptrIsEEEEPS6_SG_NS0_5tupleIJSF_SF_EEENSH_IJSG_SG_EEES6_PlJ7is_evenIsEEEE10hipError_tPvRmT3_T4_T5_T6_T7_T9_mT8_P12ihipStream_tbDpT10_ENKUlT_T0_E_clISt17integral_constantIbLb0EES15_IbLb1EEEEDaS11_S12_EUlS11_E_NS1_11comp_targetILNS1_3genE4ELNS1_11target_archE910ELNS1_3gpuE8ELNS1_3repE0EEENS1_30default_config_static_selectorELNS0_4arch9wavefront6targetE1EEEvT1_
	.p2align	8
	.type	_ZN7rocprim17ROCPRIM_400000_NS6detail17trampoline_kernelINS0_14default_configENS1_25partition_config_selectorILNS1_17partition_subalgoE0EsNS0_10empty_typeEbEEZZNS1_14partition_implILS5_0ELb0ES3_jN6thrust23THRUST_200600_302600_NS6detail15normal_iteratorINSA_10device_ptrIsEEEEPS6_SG_NS0_5tupleIJSF_SF_EEENSH_IJSG_SG_EEES6_PlJ7is_evenIsEEEE10hipError_tPvRmT3_T4_T5_T6_T7_T9_mT8_P12ihipStream_tbDpT10_ENKUlT_T0_E_clISt17integral_constantIbLb0EES15_IbLb1EEEEDaS11_S12_EUlS11_E_NS1_11comp_targetILNS1_3genE4ELNS1_11target_archE910ELNS1_3gpuE8ELNS1_3repE0EEENS1_30default_config_static_selectorELNS0_4arch9wavefront6targetE1EEEvT1_,@function
_ZN7rocprim17ROCPRIM_400000_NS6detail17trampoline_kernelINS0_14default_configENS1_25partition_config_selectorILNS1_17partition_subalgoE0EsNS0_10empty_typeEbEEZZNS1_14partition_implILS5_0ELb0ES3_jN6thrust23THRUST_200600_302600_NS6detail15normal_iteratorINSA_10device_ptrIsEEEEPS6_SG_NS0_5tupleIJSF_SF_EEENSH_IJSG_SG_EEES6_PlJ7is_evenIsEEEE10hipError_tPvRmT3_T4_T5_T6_T7_T9_mT8_P12ihipStream_tbDpT10_ENKUlT_T0_E_clISt17integral_constantIbLb0EES15_IbLb1EEEEDaS11_S12_EUlS11_E_NS1_11comp_targetILNS1_3genE4ELNS1_11target_archE910ELNS1_3gpuE8ELNS1_3repE0EEENS1_30default_config_static_selectorELNS0_4arch9wavefront6targetE1EEEvT1_: ; @_ZN7rocprim17ROCPRIM_400000_NS6detail17trampoline_kernelINS0_14default_configENS1_25partition_config_selectorILNS1_17partition_subalgoE0EsNS0_10empty_typeEbEEZZNS1_14partition_implILS5_0ELb0ES3_jN6thrust23THRUST_200600_302600_NS6detail15normal_iteratorINSA_10device_ptrIsEEEEPS6_SG_NS0_5tupleIJSF_SF_EEENSH_IJSG_SG_EEES6_PlJ7is_evenIsEEEE10hipError_tPvRmT3_T4_T5_T6_T7_T9_mT8_P12ihipStream_tbDpT10_ENKUlT_T0_E_clISt17integral_constantIbLb0EES15_IbLb1EEEEDaS11_S12_EUlS11_E_NS1_11comp_targetILNS1_3genE4ELNS1_11target_archE910ELNS1_3gpuE8ELNS1_3repE0EEENS1_30default_config_static_selectorELNS0_4arch9wavefront6targetE1EEEvT1_
; %bb.0:
	s_load_dwordx2 s[2:3], s[4:5], 0x58
	s_load_dwordx4 s[20:23], s[4:5], 0x48
	s_load_dwordx2 s[34:35], s[4:5], 0x68
	v_cmp_eq_u32_e64 s[0:1], 0, v0
	s_and_saveexec_b64 s[6:7], s[0:1]
	s_cbranch_execz .LBB379_4
; %bb.1:
	s_mov_b64 s[10:11], exec
	v_mbcnt_lo_u32_b32 v1, s10, 0
	v_mbcnt_hi_u32_b32 v1, s11, v1
	v_cmp_eq_u32_e32 vcc, 0, v1
                                        ; implicit-def: $vgpr2
	s_and_saveexec_b64 s[8:9], vcc
	s_cbranch_execz .LBB379_3
; %bb.2:
	s_load_dwordx2 s[12:13], s[4:5], 0x78
	s_bcnt1_i32_b64 s10, s[10:11]
	v_mov_b32_e32 v2, 0
	v_mov_b32_e32 v3, s10
	s_waitcnt lgkmcnt(0)
	global_atomic_add v2, v2, v3, s[12:13] glc
.LBB379_3:
	s_or_b64 exec, exec, s[8:9]
	s_waitcnt vmcnt(0)
	v_readfirstlane_b32 s8, v2
	v_add_u32_e32 v1, s8, v1
	v_mov_b32_e32 v2, 0
	ds_write_b32 v2, v1
.LBB379_4:
	s_or_b64 exec, exec, s[6:7]
	v_mov_b32_e32 v3, 0
	s_load_dwordx4 s[28:31], s[4:5], 0x8
	s_load_dwordx4 s[24:27], s[4:5], 0x28
	s_load_dword s6, s[4:5], 0x70
	s_waitcnt lgkmcnt(0)
	s_barrier
	ds_read_b32 v1, v3
	s_waitcnt lgkmcnt(0)
	s_barrier
	global_load_dwordx2 v[14:15], v3, s[22:23]
	v_mov_b32_e32 v5, s3
	s_lshl_b64 s[4:5], s[30:31], 1
	s_movk_i32 s3, 0x1c00
	s_add_u32 s7, s28, s4
	v_mul_lo_u32 v2, v1, s3
	s_mul_i32 s3, s6, 0x1c00
	s_addc_u32 s8, s29, s5
	s_add_i32 s5, s3, s30
	s_sub_i32 s33, s2, s5
	s_add_i32 s4, s6, -1
	s_addk_i32 s33, 0x1c00
	v_mov_b32_e32 v4, s2
	s_add_u32 s2, s30, s3
	v_readfirstlane_b32 s40, v1
	s_addc_u32 s3, s31, 0
	s_cmp_eq_u32 s40, s4
	s_cselect_b64 s[22:23], -1, 0
	s_cmp_lg_u32 s40, s4
	v_cmp_lt_u64_e32 vcc, s[2:3], v[4:5]
	s_cselect_b64 s[2:3], -1, 0
	v_lshlrev_b64 v[16:17], 1, v[2:3]
	s_or_b64 s[4:5], vcc, s[2:3]
	v_mov_b32_e32 v1, s8
	v_add_co_u32_e32 v2, vcc, s7, v16
	v_addc_co_u32_e32 v3, vcc, v1, v17, vcc
	s_mov_b64 s[2:3], -1
	s_and_b64 vcc, exec, s[4:5]
	v_lshlrev_b32_e32 v1, 1, v0
	s_cbranch_vccz .LBB379_6
; %bb.5:
	v_add_co_u32_e32 v4, vcc, v2, v1
	v_addc_co_u32_e32 v5, vcc, 0, v3, vcc
	v_add_co_u32_e32 v6, vcc, 0x1000, v4
	v_addc_co_u32_e32 v7, vcc, 0, v5, vcc
	flat_load_ushort v8, v[4:5]
	flat_load_ushort v9, v[4:5] offset:512
	flat_load_ushort v10, v[4:5] offset:1024
	;; [unrolled: 1-line block ×7, first 2 shown]
	flat_load_ushort v20, v[6:7]
	flat_load_ushort v21, v[6:7] offset:512
	flat_load_ushort v22, v[6:7] offset:1024
	;; [unrolled: 1-line block ×7, first 2 shown]
	v_add_co_u32_e32 v6, vcc, 0x2000, v4
	v_addc_co_u32_e32 v7, vcc, 0, v5, vcc
	v_add_co_u32_e32 v4, vcc, 0x3000, v4
	v_addc_co_u32_e32 v5, vcc, 0, v5, vcc
	flat_load_ushort v28, v[6:7]
	flat_load_ushort v29, v[6:7] offset:512
	flat_load_ushort v30, v[6:7] offset:1024
	;; [unrolled: 1-line block ×7, first 2 shown]
	s_nop 0
	flat_load_ushort v6, v[4:5]
	flat_load_ushort v7, v[4:5] offset:512
	flat_load_ushort v36, v[4:5] offset:1024
	;; [unrolled: 1-line block ×3, first 2 shown]
	s_mov_b64 s[2:3], 0
	s_waitcnt vmcnt(0) lgkmcnt(0)
	ds_write_b16 v1, v8
	ds_write_b16 v1, v9 offset:512
	ds_write_b16 v1, v10 offset:1024
	;; [unrolled: 1-line block ×27, first 2 shown]
	s_waitcnt lgkmcnt(0)
	s_barrier
.LBB379_6:
	s_andn2_b64 vcc, exec, s[2:3]
	v_cmp_gt_u32_e64 s[2:3], s33, v0
	s_cbranch_vccnz .LBB379_64
; %bb.7:
                                        ; implicit-def: $vgpr4
	s_and_saveexec_b64 s[6:7], s[2:3]
	s_cbranch_execz .LBB379_9
; %bb.8:
	v_add_co_u32_e32 v4, vcc, v2, v1
	v_addc_co_u32_e32 v5, vcc, 0, v3, vcc
	flat_load_ushort v4, v[4:5]
.LBB379_9:
	s_or_b64 exec, exec, s[6:7]
	v_or_b32_e32 v5, 0x100, v0
	v_cmp_gt_u32_e32 vcc, s33, v5
                                        ; implicit-def: $vgpr5
	s_and_saveexec_b64 s[2:3], vcc
	s_cbranch_execz .LBB379_11
; %bb.10:
	v_add_co_u32_e32 v6, vcc, v2, v1
	v_addc_co_u32_e32 v7, vcc, 0, v3, vcc
	flat_load_ushort v5, v[6:7] offset:512
.LBB379_11:
	s_or_b64 exec, exec, s[2:3]
	v_or_b32_e32 v6, 0x200, v0
	v_cmp_gt_u32_e32 vcc, s33, v6
                                        ; implicit-def: $vgpr6
	s_and_saveexec_b64 s[2:3], vcc
	s_cbranch_execz .LBB379_13
; %bb.12:
	v_add_co_u32_e32 v6, vcc, v2, v1
	v_addc_co_u32_e32 v7, vcc, 0, v3, vcc
	flat_load_ushort v6, v[6:7] offset:1024
.LBB379_13:
	s_or_b64 exec, exec, s[2:3]
	v_or_b32_e32 v7, 0x300, v0
	v_cmp_gt_u32_e32 vcc, s33, v7
                                        ; implicit-def: $vgpr7
	s_and_saveexec_b64 s[2:3], vcc
	s_cbranch_execz .LBB379_15
; %bb.14:
	v_add_co_u32_e32 v8, vcc, v2, v1
	v_addc_co_u32_e32 v9, vcc, 0, v3, vcc
	flat_load_ushort v7, v[8:9] offset:1536
.LBB379_15:
	s_or_b64 exec, exec, s[2:3]
	v_or_b32_e32 v8, 0x400, v0
	v_cmp_gt_u32_e32 vcc, s33, v8
                                        ; implicit-def: $vgpr8
	s_and_saveexec_b64 s[2:3], vcc
	s_cbranch_execz .LBB379_17
; %bb.16:
	v_add_co_u32_e32 v8, vcc, v2, v1
	v_addc_co_u32_e32 v9, vcc, 0, v3, vcc
	flat_load_ushort v8, v[8:9] offset:2048
.LBB379_17:
	s_or_b64 exec, exec, s[2:3]
	v_or_b32_e32 v9, 0x500, v0
	v_cmp_gt_u32_e32 vcc, s33, v9
                                        ; implicit-def: $vgpr9
	s_and_saveexec_b64 s[2:3], vcc
	s_cbranch_execz .LBB379_19
; %bb.18:
	v_add_co_u32_e32 v10, vcc, v2, v1
	v_addc_co_u32_e32 v11, vcc, 0, v3, vcc
	flat_load_ushort v9, v[10:11] offset:2560
.LBB379_19:
	s_or_b64 exec, exec, s[2:3]
	v_or_b32_e32 v10, 0x600, v0
	v_cmp_gt_u32_e32 vcc, s33, v10
                                        ; implicit-def: $vgpr10
	s_and_saveexec_b64 s[2:3], vcc
	s_cbranch_execz .LBB379_21
; %bb.20:
	v_add_co_u32_e32 v10, vcc, v2, v1
	v_addc_co_u32_e32 v11, vcc, 0, v3, vcc
	flat_load_ushort v10, v[10:11] offset:3072
.LBB379_21:
	s_or_b64 exec, exec, s[2:3]
	v_or_b32_e32 v11, 0x700, v0
	v_cmp_gt_u32_e32 vcc, s33, v11
                                        ; implicit-def: $vgpr11
	s_and_saveexec_b64 s[2:3], vcc
	s_cbranch_execz .LBB379_23
; %bb.22:
	v_add_co_u32_e32 v12, vcc, v2, v1
	v_addc_co_u32_e32 v13, vcc, 0, v3, vcc
	flat_load_ushort v11, v[12:13] offset:3584
.LBB379_23:
	s_or_b64 exec, exec, s[2:3]
	v_or_b32_e32 v13, 0x800, v0
	v_cmp_gt_u32_e32 vcc, s33, v13
                                        ; implicit-def: $vgpr12
	s_and_saveexec_b64 s[2:3], vcc
	s_cbranch_execz .LBB379_25
; %bb.24:
	v_lshlrev_b32_e32 v12, 1, v13
	v_add_co_u32_e32 v12, vcc, v2, v12
	v_addc_co_u32_e32 v13, vcc, 0, v3, vcc
	flat_load_ushort v12, v[12:13]
.LBB379_25:
	s_or_b64 exec, exec, s[2:3]
	v_or_b32_e32 v18, 0x900, v0
	v_cmp_gt_u32_e32 vcc, s33, v18
                                        ; implicit-def: $vgpr13
	s_and_saveexec_b64 s[2:3], vcc
	s_cbranch_execz .LBB379_27
; %bb.26:
	v_lshlrev_b32_e32 v13, 1, v18
	v_add_co_u32_e32 v18, vcc, v2, v13
	v_addc_co_u32_e32 v19, vcc, 0, v3, vcc
	flat_load_ushort v13, v[18:19]
.LBB379_27:
	s_or_b64 exec, exec, s[2:3]
	v_or_b32_e32 v19, 0xa00, v0
	v_cmp_gt_u32_e32 vcc, s33, v19
                                        ; implicit-def: $vgpr18
	s_and_saveexec_b64 s[2:3], vcc
	s_cbranch_execz .LBB379_29
; %bb.28:
	v_lshlrev_b32_e32 v18, 1, v19
	v_add_co_u32_e32 v18, vcc, v2, v18
	v_addc_co_u32_e32 v19, vcc, 0, v3, vcc
	flat_load_ushort v18, v[18:19]
.LBB379_29:
	s_or_b64 exec, exec, s[2:3]
	v_or_b32_e32 v20, 0xb00, v0
	v_cmp_gt_u32_e32 vcc, s33, v20
                                        ; implicit-def: $vgpr19
	s_and_saveexec_b64 s[2:3], vcc
	s_cbranch_execz .LBB379_31
; %bb.30:
	v_lshlrev_b32_e32 v19, 1, v20
	v_add_co_u32_e32 v20, vcc, v2, v19
	v_addc_co_u32_e32 v21, vcc, 0, v3, vcc
	flat_load_ushort v19, v[20:21]
.LBB379_31:
	s_or_b64 exec, exec, s[2:3]
	v_or_b32_e32 v21, 0xc00, v0
	v_cmp_gt_u32_e32 vcc, s33, v21
                                        ; implicit-def: $vgpr20
	s_and_saveexec_b64 s[2:3], vcc
	s_cbranch_execz .LBB379_33
; %bb.32:
	v_lshlrev_b32_e32 v20, 1, v21
	v_add_co_u32_e32 v20, vcc, v2, v20
	v_addc_co_u32_e32 v21, vcc, 0, v3, vcc
	flat_load_ushort v20, v[20:21]
.LBB379_33:
	s_or_b64 exec, exec, s[2:3]
	v_or_b32_e32 v22, 0xd00, v0
	v_cmp_gt_u32_e32 vcc, s33, v22
                                        ; implicit-def: $vgpr21
	s_and_saveexec_b64 s[2:3], vcc
	s_cbranch_execz .LBB379_35
; %bb.34:
	v_lshlrev_b32_e32 v21, 1, v22
	v_add_co_u32_e32 v22, vcc, v2, v21
	v_addc_co_u32_e32 v23, vcc, 0, v3, vcc
	flat_load_ushort v21, v[22:23]
.LBB379_35:
	s_or_b64 exec, exec, s[2:3]
	v_or_b32_e32 v23, 0xe00, v0
	v_cmp_gt_u32_e32 vcc, s33, v23
                                        ; implicit-def: $vgpr22
	s_and_saveexec_b64 s[2:3], vcc
	s_cbranch_execz .LBB379_37
; %bb.36:
	v_lshlrev_b32_e32 v22, 1, v23
	v_add_co_u32_e32 v22, vcc, v2, v22
	v_addc_co_u32_e32 v23, vcc, 0, v3, vcc
	flat_load_ushort v22, v[22:23]
.LBB379_37:
	s_or_b64 exec, exec, s[2:3]
	v_or_b32_e32 v24, 0xf00, v0
	v_cmp_gt_u32_e32 vcc, s33, v24
                                        ; implicit-def: $vgpr23
	s_and_saveexec_b64 s[2:3], vcc
	s_cbranch_execz .LBB379_39
; %bb.38:
	v_lshlrev_b32_e32 v23, 1, v24
	v_add_co_u32_e32 v24, vcc, v2, v23
	v_addc_co_u32_e32 v25, vcc, 0, v3, vcc
	flat_load_ushort v23, v[24:25]
.LBB379_39:
	s_or_b64 exec, exec, s[2:3]
	v_or_b32_e32 v25, 0x1000, v0
	v_cmp_gt_u32_e32 vcc, s33, v25
                                        ; implicit-def: $vgpr24
	s_and_saveexec_b64 s[2:3], vcc
	s_cbranch_execz .LBB379_41
; %bb.40:
	v_lshlrev_b32_e32 v24, 1, v25
	v_add_co_u32_e32 v24, vcc, v2, v24
	v_addc_co_u32_e32 v25, vcc, 0, v3, vcc
	flat_load_ushort v24, v[24:25]
.LBB379_41:
	s_or_b64 exec, exec, s[2:3]
	v_or_b32_e32 v26, 0x1100, v0
	v_cmp_gt_u32_e32 vcc, s33, v26
                                        ; implicit-def: $vgpr25
	s_and_saveexec_b64 s[2:3], vcc
	s_cbranch_execz .LBB379_43
; %bb.42:
	v_lshlrev_b32_e32 v25, 1, v26
	v_add_co_u32_e32 v26, vcc, v2, v25
	v_addc_co_u32_e32 v27, vcc, 0, v3, vcc
	flat_load_ushort v25, v[26:27]
.LBB379_43:
	s_or_b64 exec, exec, s[2:3]
	v_or_b32_e32 v27, 0x1200, v0
	v_cmp_gt_u32_e32 vcc, s33, v27
                                        ; implicit-def: $vgpr26
	s_and_saveexec_b64 s[2:3], vcc
	s_cbranch_execz .LBB379_45
; %bb.44:
	v_lshlrev_b32_e32 v26, 1, v27
	v_add_co_u32_e32 v26, vcc, v2, v26
	v_addc_co_u32_e32 v27, vcc, 0, v3, vcc
	flat_load_ushort v26, v[26:27]
.LBB379_45:
	s_or_b64 exec, exec, s[2:3]
	v_or_b32_e32 v28, 0x1300, v0
	v_cmp_gt_u32_e32 vcc, s33, v28
                                        ; implicit-def: $vgpr27
	s_and_saveexec_b64 s[2:3], vcc
	s_cbranch_execz .LBB379_47
; %bb.46:
	v_lshlrev_b32_e32 v27, 1, v28
	v_add_co_u32_e32 v28, vcc, v2, v27
	v_addc_co_u32_e32 v29, vcc, 0, v3, vcc
	flat_load_ushort v27, v[28:29]
.LBB379_47:
	s_or_b64 exec, exec, s[2:3]
	v_or_b32_e32 v29, 0x1400, v0
	v_cmp_gt_u32_e32 vcc, s33, v29
                                        ; implicit-def: $vgpr28
	s_and_saveexec_b64 s[2:3], vcc
	s_cbranch_execz .LBB379_49
; %bb.48:
	v_lshlrev_b32_e32 v28, 1, v29
	v_add_co_u32_e32 v28, vcc, v2, v28
	v_addc_co_u32_e32 v29, vcc, 0, v3, vcc
	flat_load_ushort v28, v[28:29]
.LBB379_49:
	s_or_b64 exec, exec, s[2:3]
	v_or_b32_e32 v30, 0x1500, v0
	v_cmp_gt_u32_e32 vcc, s33, v30
                                        ; implicit-def: $vgpr29
	s_and_saveexec_b64 s[2:3], vcc
	s_cbranch_execz .LBB379_51
; %bb.50:
	v_lshlrev_b32_e32 v29, 1, v30
	v_add_co_u32_e32 v30, vcc, v2, v29
	v_addc_co_u32_e32 v31, vcc, 0, v3, vcc
	flat_load_ushort v29, v[30:31]
.LBB379_51:
	s_or_b64 exec, exec, s[2:3]
	v_or_b32_e32 v31, 0x1600, v0
	v_cmp_gt_u32_e32 vcc, s33, v31
                                        ; implicit-def: $vgpr30
	s_and_saveexec_b64 s[2:3], vcc
	s_cbranch_execz .LBB379_53
; %bb.52:
	v_lshlrev_b32_e32 v30, 1, v31
	v_add_co_u32_e32 v30, vcc, v2, v30
	v_addc_co_u32_e32 v31, vcc, 0, v3, vcc
	flat_load_ushort v30, v[30:31]
.LBB379_53:
	s_or_b64 exec, exec, s[2:3]
	v_or_b32_e32 v32, 0x1700, v0
	v_cmp_gt_u32_e32 vcc, s33, v32
                                        ; implicit-def: $vgpr31
	s_and_saveexec_b64 s[2:3], vcc
	s_cbranch_execz .LBB379_55
; %bb.54:
	v_lshlrev_b32_e32 v31, 1, v32
	v_add_co_u32_e32 v32, vcc, v2, v31
	v_addc_co_u32_e32 v33, vcc, 0, v3, vcc
	flat_load_ushort v31, v[32:33]
.LBB379_55:
	s_or_b64 exec, exec, s[2:3]
	v_or_b32_e32 v33, 0x1800, v0
	v_cmp_gt_u32_e32 vcc, s33, v33
                                        ; implicit-def: $vgpr32
	s_and_saveexec_b64 s[2:3], vcc
	s_cbranch_execz .LBB379_57
; %bb.56:
	v_lshlrev_b32_e32 v32, 1, v33
	v_add_co_u32_e32 v32, vcc, v2, v32
	v_addc_co_u32_e32 v33, vcc, 0, v3, vcc
	flat_load_ushort v32, v[32:33]
.LBB379_57:
	s_or_b64 exec, exec, s[2:3]
	v_or_b32_e32 v34, 0x1900, v0
	v_cmp_gt_u32_e32 vcc, s33, v34
                                        ; implicit-def: $vgpr33
	s_and_saveexec_b64 s[2:3], vcc
	s_cbranch_execz .LBB379_59
; %bb.58:
	v_lshlrev_b32_e32 v33, 1, v34
	v_add_co_u32_e32 v34, vcc, v2, v33
	v_addc_co_u32_e32 v35, vcc, 0, v3, vcc
	flat_load_ushort v33, v[34:35]
.LBB379_59:
	s_or_b64 exec, exec, s[2:3]
	v_or_b32_e32 v35, 0x1a00, v0
	v_cmp_gt_u32_e32 vcc, s33, v35
                                        ; implicit-def: $vgpr34
	s_and_saveexec_b64 s[2:3], vcc
	s_cbranch_execz .LBB379_61
; %bb.60:
	v_lshlrev_b32_e32 v34, 1, v35
	v_add_co_u32_e32 v34, vcc, v2, v34
	v_addc_co_u32_e32 v35, vcc, 0, v3, vcc
	flat_load_ushort v34, v[34:35]
.LBB379_61:
	s_or_b64 exec, exec, s[2:3]
	v_or_b32_e32 v36, 0x1b00, v0
	v_cmp_gt_u32_e32 vcc, s33, v36
                                        ; implicit-def: $vgpr35
	s_and_saveexec_b64 s[2:3], vcc
	s_cbranch_execz .LBB379_63
; %bb.62:
	v_lshlrev_b32_e32 v35, 1, v36
	v_add_co_u32_e32 v2, vcc, v2, v35
	v_addc_co_u32_e32 v3, vcc, 0, v3, vcc
	flat_load_ushort v35, v[2:3]
.LBB379_63:
	s_or_b64 exec, exec, s[2:3]
	s_waitcnt vmcnt(0) lgkmcnt(0)
	ds_write_b16 v1, v4
	ds_write_b16 v1, v5 offset:512
	ds_write_b16 v1, v6 offset:1024
	;; [unrolled: 1-line block ×27, first 2 shown]
	s_waitcnt lgkmcnt(0)
	s_barrier
.LBB379_64:
	v_mul_u32_u24_e32 v43, 28, v0
	v_lshlrev_b32_e32 v6, 1, v43
	ds_read_b64 v[18:19], v6 offset:48
	ds_read2_b64 v[2:5], v6 offset0:4 offset1:5
	ds_read2_b64 v[10:13], v6 offset1:1
	ds_read2_b64 v[6:9], v6 offset0:2 offset1:3
	v_cndmask_b32_e64 v20, 0, 1, s[4:5]
	s_waitcnt lgkmcnt(3)
	v_lshrrev_b32_e32 v31, 16, v18
	v_lshrrev_b32_e32 v30, 16, v19
	s_waitcnt lgkmcnt(2)
	v_lshrrev_b32_e32 v35, 16, v2
	v_lshrrev_b32_e32 v34, 16, v3
	v_lshrrev_b32_e32 v33, 16, v4
	v_lshrrev_b32_e32 v32, 16, v5
	s_waitcnt lgkmcnt(1)
	v_lshrrev_b32_e32 v44, 16, v10
	v_lshrrev_b32_e32 v42, 16, v11
	;; [unrolled: 5-line block ×3, first 2 shown]
	v_lshrrev_b32_e32 v37, 16, v8
	v_lshrrev_b32_e32 v36, 16, v9
	v_cmp_ne_u32_e64 s[2:3], 1, v20
	s_andn2_b64 vcc, exec, s[4:5]
	v_xor_b32_e32 v90, -1, v10
	v_xor_b32_e32 v89, -1, v44
	;; [unrolled: 1-line block ×28, first 2 shown]
	s_barrier
	s_cbranch_vccnz .LBB379_66
; %bb.65:
	v_and_b32_e32 v72, 1, v90
	v_and_b32_e32 v71, 1, v89
	;; [unrolled: 1-line block ×28, first 2 shown]
	s_cbranch_execz .LBB379_67
	s_branch .LBB379_68
.LBB379_66:
                                        ; implicit-def: $vgpr72
                                        ; implicit-def: $vgpr71
                                        ; implicit-def: $vgpr70
                                        ; implicit-def: $vgpr69
                                        ; implicit-def: $vgpr68
                                        ; implicit-def: $vgpr67
                                        ; implicit-def: $vgpr66
                                        ; implicit-def: $vgpr65
                                        ; implicit-def: $vgpr64
                                        ; implicit-def: $vgpr63
                                        ; implicit-def: $vgpr62
                                        ; implicit-def: $vgpr61
                                        ; implicit-def: $vgpr60
                                        ; implicit-def: $vgpr59
                                        ; implicit-def: $vgpr58
                                        ; implicit-def: $vgpr57
                                        ; implicit-def: $vgpr56
                                        ; implicit-def: $vgpr55
                                        ; implicit-def: $vgpr54
                                        ; implicit-def: $vgpr53
                                        ; implicit-def: $vgpr52
                                        ; implicit-def: $vgpr51
                                        ; implicit-def: $vgpr50
                                        ; implicit-def: $vgpr49
                                        ; implicit-def: $vgpr48
                                        ; implicit-def: $vgpr47
                                        ; implicit-def: $vgpr45
                                        ; implicit-def: $vgpr46
.LBB379_67:
	v_or_b32_e32 v54, 1, v43
	v_cmp_gt_u32_e32 vcc, s33, v43
	v_or_b32_e32 v55, 2, v43
	v_cndmask_b32_e64 v63, 0, 1, vcc
	v_cmp_gt_u32_e32 vcc, s33, v54
	v_or_b32_e32 v56, 3, v43
	v_cndmask_b32_e64 v54, 0, 1, vcc
	v_cmp_gt_u32_e32 vcc, s33, v55
	v_add_u32_e32 v57, 4, v43
	v_and_b32_e32 v71, v54, v89
	v_cndmask_b32_e64 v54, 0, 1, vcc
	v_cmp_gt_u32_e32 vcc, s33, v56
	v_add_u32_e32 v58, 5, v43
	v_and_b32_e32 v70, v54, v88
	;; [unrolled: 4-line block ×9, first 2 shown]
	v_and_b32_e32 v63, v54, v81
	v_cndmask_b32_e64 v54, 0, 1, vcc
	v_cmp_gt_u32_e32 vcc, s33, v92
	v_add_u32_e32 v94, 13, v43
	v_and_b32_e32 v62, v54, v80
	v_cndmask_b32_e64 v54, 0, 1, vcc
	v_cmp_gt_u32_e32 vcc, s33, v93
	v_add_u32_e32 v95, 14, v43
	v_and_b32_e32 v61, v54, v79
	v_cndmask_b32_e64 v54, 0, 1, vcc
	v_cmp_gt_u32_e32 vcc, s33, v94
	v_add_u32_e32 v96, 15, v43
	v_and_b32_e32 v60, v54, v78
	v_cndmask_b32_e64 v54, 0, 1, vcc
	v_cmp_gt_u32_e32 vcc, s33, v95
	v_add_u32_e32 v97, 16, v43
	v_and_b32_e32 v59, v54, v77
	v_cndmask_b32_e64 v54, 0, 1, vcc
	v_cmp_gt_u32_e32 vcc, s33, v96
	v_add_u32_e32 v98, 17, v43
	v_and_b32_e32 v58, v54, v76
	v_cndmask_b32_e64 v54, 0, 1, vcc
	v_cmp_gt_u32_e32 vcc, s33, v97
	v_add_u32_e32 v99, 18, v43
	v_and_b32_e32 v57, v54, v75
	v_cndmask_b32_e64 v54, 0, 1, vcc
	v_cmp_gt_u32_e32 vcc, s33, v98
	v_add_u32_e32 v53, 19, v43
	v_and_b32_e32 v56, v54, v74
	v_cndmask_b32_e64 v54, 0, 1, vcc
	v_cmp_gt_u32_e32 vcc, s33, v99
	v_add_u32_e32 v52, 20, v43
	v_and_b32_e32 v55, v54, v73
	v_cndmask_b32_e64 v54, 0, 1, vcc
	v_cmp_gt_u32_e32 vcc, s33, v53
	v_add_u32_e32 v51, 21, v43
	v_and_b32_e32 v54, v54, v29
	v_cndmask_b32_e64 v29, 0, 1, vcc
	v_cmp_gt_u32_e32 vcc, s33, v52
	v_add_u32_e32 v50, 22, v43
	v_and_b32_e32 v53, v29, v28
	v_cndmask_b32_e64 v28, 0, 1, vcc
	v_cmp_gt_u32_e32 vcc, s33, v51
	v_add_u32_e32 v49, 23, v43
	v_and_b32_e32 v52, v28, v27
	v_cndmask_b32_e64 v27, 0, 1, vcc
	v_cmp_gt_u32_e32 vcc, s33, v50
	v_add_u32_e32 v48, 24, v43
	v_and_b32_e32 v51, v27, v26
	v_cndmask_b32_e64 v26, 0, 1, vcc
	v_cmp_gt_u32_e32 vcc, s33, v49
	v_add_u32_e32 v47, 25, v43
	v_and_b32_e32 v50, v26, v25
	v_cndmask_b32_e64 v25, 0, 1, vcc
	v_cmp_gt_u32_e32 vcc, s33, v48
	v_add_u32_e32 v45, 26, v43
	v_and_b32_e32 v49, v25, v24
	v_cndmask_b32_e64 v24, 0, 1, vcc
	v_cmp_gt_u32_e32 vcc, s33, v47
	v_add_u32_e32 v46, 27, v43
	v_and_b32_e32 v48, v24, v23
	v_cndmask_b32_e64 v23, 0, 1, vcc
	v_cmp_gt_u32_e32 vcc, s33, v45
	v_and_b32_e32 v47, v23, v22
	v_cndmask_b32_e64 v22, 0, 1, vcc
	v_cmp_gt_u32_e32 vcc, s33, v46
	v_and_b32_e32 v45, v22, v21
	v_cndmask_b32_e64 v21, 0, 1, vcc
	v_and_b32_e32 v46, v21, v20
.LBB379_68:
	v_and_b32_e32 v97, 0xff, v48
	v_and_b32_e32 v98, 0xff, v47
	v_add_u32_sdwa v20, v45, v46 dst_sel:DWORD dst_unused:UNUSED_PAD src0_sel:BYTE_0 src1_sel:BYTE_0
	v_and_b32_e32 v95, 0xff, v50
	v_and_b32_e32 v96, 0xff, v49
	v_add3_u32 v20, v20, v98, v97
	v_and_b32_e32 v93, 0xff, v52
	v_and_b32_e32 v94, 0xff, v51
	v_add3_u32 v20, v20, v96, v95
	;; [unrolled: 3-line block ×12, first 2 shown]
	v_add3_u32 v101, v20, v74, v73
	v_mbcnt_lo_u32_b32 v20, -1, 0
	v_mbcnt_hi_u32_b32 v99, -1, v20
	v_and_b32_e32 v20, 15, v99
	v_cmp_eq_u32_e64 s[16:17], 0, v20
	v_cmp_lt_u32_e64 s[14:15], 1, v20
	v_cmp_lt_u32_e64 s[12:13], 3, v20
	;; [unrolled: 1-line block ×3, first 2 shown]
	v_and_b32_e32 v20, 16, v99
	v_cmp_eq_u32_e64 s[8:9], 0, v20
	v_or_b32_e32 v20, 63, v0
	s_cmp_lg_u32 s40, 0
	v_cmp_lt_u32_e64 s[4:5], 31, v99
	v_lshrrev_b32_e32 v100, 6, v0
	v_cmp_eq_u32_e64 s[6:7], v20, v0
	s_cbranch_scc0 .LBB379_95
; %bb.69:
	v_mov_b32_dpp v20, v101 row_shr:1 row_mask:0xf bank_mask:0xf
	v_cndmask_b32_e64 v20, v20, 0, s[16:17]
	v_add_u32_e32 v20, v20, v101
	s_nop 1
	v_mov_b32_dpp v21, v20 row_shr:2 row_mask:0xf bank_mask:0xf
	v_cndmask_b32_e64 v21, 0, v21, s[14:15]
	v_add_u32_e32 v20, v20, v21
	s_nop 1
	;; [unrolled: 4-line block ×4, first 2 shown]
	v_mov_b32_dpp v21, v20 row_bcast:15 row_mask:0xf bank_mask:0xf
	v_cndmask_b32_e64 v21, v21, 0, s[8:9]
	v_add_u32_e32 v20, v20, v21
	s_nop 1
	v_mov_b32_dpp v21, v20 row_bcast:31 row_mask:0xf bank_mask:0xf
	v_cndmask_b32_e64 v21, 0, v21, s[4:5]
	v_add_u32_e32 v20, v20, v21
	s_and_saveexec_b64 s[18:19], s[6:7]
	s_cbranch_execz .LBB379_71
; %bb.70:
	v_lshlrev_b32_e32 v21, 2, v100
	ds_write_b32 v21, v20
.LBB379_71:
	s_or_b64 exec, exec, s[18:19]
	v_cmp_gt_u32_e32 vcc, 4, v0
	s_waitcnt lgkmcnt(0)
	s_barrier
	s_and_saveexec_b64 s[18:19], vcc
	s_cbranch_execz .LBB379_73
; %bb.72:
	v_lshlrev_b32_e32 v21, 2, v0
	ds_read_b32 v22, v21
	v_and_b32_e32 v23, 3, v99
	v_cmp_ne_u32_e32 vcc, 0, v23
	s_waitcnt lgkmcnt(0)
	v_mov_b32_dpp v24, v22 row_shr:1 row_mask:0xf bank_mask:0xf
	v_cndmask_b32_e32 v24, 0, v24, vcc
	v_add_u32_e32 v22, v24, v22
	v_cmp_lt_u32_e32 vcc, 1, v23
	s_nop 0
	v_mov_b32_dpp v24, v22 row_shr:2 row_mask:0xf bank_mask:0xf
	v_cndmask_b32_e32 v23, 0, v24, vcc
	v_add_u32_e32 v22, v22, v23
	ds_write_b32 v21, v22
.LBB379_73:
	s_or_b64 exec, exec, s[18:19]
	v_cmp_gt_u32_e32 vcc, 64, v0
	v_cmp_lt_u32_e64 s[18:19], 63, v0
	s_waitcnt lgkmcnt(0)
	s_barrier
	s_waitcnt lgkmcnt(0)
                                        ; implicit-def: $vgpr102
	s_and_saveexec_b64 s[28:29], s[18:19]
	s_cbranch_execz .LBB379_75
; %bb.74:
	v_lshl_add_u32 v21, v100, 2, -4
	ds_read_b32 v102, v21
	s_waitcnt lgkmcnt(0)
	v_add_u32_e32 v20, v102, v20
.LBB379_75:
	s_or_b64 exec, exec, s[28:29]
	v_add_u32_e32 v21, -1, v99
	v_and_b32_e32 v22, 64, v99
	v_cmp_lt_i32_e64 s[18:19], v21, v22
	v_cndmask_b32_e64 v21, v21, v99, s[18:19]
	v_lshlrev_b32_e32 v21, 2, v21
	ds_bpermute_b32 v103, v21, v20
	v_cmp_eq_u32_e64 s[18:19], 0, v99
	s_and_saveexec_b64 s[28:29], vcc
	s_cbranch_execz .LBB379_94
; %bb.76:
	v_mov_b32_e32 v27, 0
	ds_read_b32 v20, v27 offset:12
	s_and_saveexec_b64 s[36:37], s[18:19]
	s_cbranch_execz .LBB379_78
; %bb.77:
	s_add_i32 s38, s40, 64
	s_mov_b32 s39, 0
	s_lshl_b64 s[38:39], s[38:39], 3
	s_add_u32 s38, s34, s38
	v_mov_b32_e32 v21, 1
	s_addc_u32 s39, s35, s39
	s_waitcnt lgkmcnt(0)
	global_store_dwordx2 v27, v[20:21], s[38:39]
.LBB379_78:
	s_or_b64 exec, exec, s[36:37]
	v_xad_u32 v22, v99, -1, s40
	v_add_u32_e32 v26, 64, v22
	v_lshlrev_b64 v[24:25], 3, v[26:27]
	v_mov_b32_e32 v21, s35
	v_add_co_u32_e32 v28, vcc, s34, v24
	v_addc_co_u32_e32 v29, vcc, v21, v25, vcc
	global_load_dwordx2 v[24:25], v[28:29], off glc
	s_waitcnt vmcnt(0)
	v_cmp_eq_u16_sdwa s[38:39], v25, v27 src0_sel:BYTE_0 src1_sel:DWORD
	s_and_saveexec_b64 s[36:37], s[38:39]
	s_cbranch_execz .LBB379_82
; %bb.79:
	s_mov_b64 s[38:39], 0
	v_mov_b32_e32 v21, 0
.LBB379_80:                             ; =>This Inner Loop Header: Depth=1
	global_load_dwordx2 v[24:25], v[28:29], off glc
	s_waitcnt vmcnt(0)
	v_cmp_ne_u16_sdwa s[42:43], v25, v21 src0_sel:BYTE_0 src1_sel:DWORD
	s_or_b64 s[38:39], s[42:43], s[38:39]
	s_andn2_b64 exec, exec, s[38:39]
	s_cbranch_execnz .LBB379_80
; %bb.81:
	s_or_b64 exec, exec, s[38:39]
.LBB379_82:
	s_or_b64 exec, exec, s[36:37]
	v_and_b32_e32 v105, 63, v99
	v_mov_b32_e32 v104, 2
	v_cmp_ne_u32_e32 vcc, 63, v105
	v_cmp_eq_u16_sdwa s[36:37], v25, v104 src0_sel:BYTE_0 src1_sel:DWORD
	v_lshlrev_b64 v[26:27], v99, -1
	v_addc_co_u32_e32 v28, vcc, 0, v99, vcc
	v_and_b32_e32 v21, s37, v27
	v_lshlrev_b32_e32 v106, 2, v28
	v_or_b32_e32 v21, 0x80000000, v21
	ds_bpermute_b32 v28, v106, v24
	v_and_b32_e32 v23, s36, v26
	v_ffbl_b32_e32 v21, v21
	v_add_u32_e32 v21, 32, v21
	v_ffbl_b32_e32 v23, v23
	v_min_u32_e32 v21, v23, v21
	v_cmp_lt_u32_e32 vcc, v105, v21
	s_waitcnt lgkmcnt(0)
	v_cndmask_b32_e32 v23, 0, v28, vcc
	v_cmp_gt_u32_e32 vcc, 62, v105
	v_add_u32_e32 v23, v23, v24
	v_cndmask_b32_e64 v24, 0, 1, vcc
	v_lshlrev_b32_e32 v24, 1, v24
	v_add_lshl_u32 v107, v24, v99, 2
	ds_bpermute_b32 v24, v107, v23
	v_add_u32_e32 v108, 2, v105
	v_cmp_le_u32_e32 vcc, v108, v21
	v_add_u32_e32 v110, 4, v105
	v_add_u32_e32 v112, 8, v105
	s_waitcnt lgkmcnt(0)
	v_cndmask_b32_e32 v24, 0, v24, vcc
	v_cmp_gt_u32_e32 vcc, 60, v105
	v_add_u32_e32 v23, v23, v24
	v_cndmask_b32_e64 v24, 0, 1, vcc
	v_lshlrev_b32_e32 v24, 2, v24
	v_add_lshl_u32 v109, v24, v99, 2
	ds_bpermute_b32 v24, v109, v23
	v_cmp_le_u32_e32 vcc, v110, v21
	v_add_u32_e32 v114, 16, v105
	v_add_u32_e32 v116, 32, v105
	s_waitcnt lgkmcnt(0)
	v_cndmask_b32_e32 v24, 0, v24, vcc
	v_cmp_gt_u32_e32 vcc, 56, v105
	v_add_u32_e32 v23, v23, v24
	v_cndmask_b32_e64 v24, 0, 1, vcc
	v_lshlrev_b32_e32 v24, 3, v24
	v_add_lshl_u32 v111, v24, v99, 2
	ds_bpermute_b32 v24, v111, v23
	v_cmp_le_u32_e32 vcc, v112, v21
	s_waitcnt lgkmcnt(0)
	v_cndmask_b32_e32 v24, 0, v24, vcc
	v_cmp_gt_u32_e32 vcc, 48, v105
	v_add_u32_e32 v23, v23, v24
	v_cndmask_b32_e64 v24, 0, 1, vcc
	v_lshlrev_b32_e32 v24, 4, v24
	v_add_lshl_u32 v113, v24, v99, 2
	ds_bpermute_b32 v24, v113, v23
	v_cmp_le_u32_e32 vcc, v114, v21
	;; [unrolled: 9-line block ×3, first 2 shown]
	s_waitcnt lgkmcnt(0)
	v_cndmask_b32_e32 v21, 0, v24, vcc
	v_add_u32_e32 v24, v23, v21
	v_mov_b32_e32 v23, 0
	s_branch .LBB379_84
.LBB379_83:                             ;   in Loop: Header=BB379_84 Depth=1
	s_or_b64 exec, exec, s[36:37]
	v_cmp_eq_u16_sdwa s[36:37], v25, v104 src0_sel:BYTE_0 src1_sel:DWORD
	v_and_b32_e32 v28, s37, v27
	v_or_b32_e32 v28, 0x80000000, v28
	ds_bpermute_b32 v117, v106, v24
	v_and_b32_e32 v29, s36, v26
	v_ffbl_b32_e32 v28, v28
	v_add_u32_e32 v28, 32, v28
	v_ffbl_b32_e32 v29, v29
	v_min_u32_e32 v28, v29, v28
	v_cmp_lt_u32_e32 vcc, v105, v28
	s_waitcnt lgkmcnt(0)
	v_cndmask_b32_e32 v29, 0, v117, vcc
	v_add_u32_e32 v24, v29, v24
	ds_bpermute_b32 v29, v107, v24
	v_cmp_le_u32_e32 vcc, v108, v28
	v_subrev_u32_e32 v22, 64, v22
	s_waitcnt lgkmcnt(0)
	v_cndmask_b32_e32 v29, 0, v29, vcc
	v_add_u32_e32 v24, v24, v29
	ds_bpermute_b32 v29, v109, v24
	v_cmp_le_u32_e32 vcc, v110, v28
	s_waitcnt lgkmcnt(0)
	v_cndmask_b32_e32 v29, 0, v29, vcc
	v_add_u32_e32 v24, v24, v29
	ds_bpermute_b32 v29, v111, v24
	v_cmp_le_u32_e32 vcc, v112, v28
	;; [unrolled: 5-line block ×4, first 2 shown]
	s_waitcnt lgkmcnt(0)
	v_cndmask_b32_e32 v28, 0, v29, vcc
	v_add3_u32 v24, v28, v21, v24
.LBB379_84:                             ; =>This Loop Header: Depth=1
                                        ;     Child Loop BB379_87 Depth 2
	v_cmp_ne_u16_sdwa s[36:37], v25, v104 src0_sel:BYTE_0 src1_sel:DWORD
	v_cndmask_b32_e64 v21, 0, 1, s[36:37]
	;;#ASMSTART
	;;#ASMEND
	v_cmp_ne_u32_e32 vcc, 0, v21
	s_cmp_lg_u64 vcc, exec
	v_mov_b32_e32 v21, v24
	s_cbranch_scc1 .LBB379_89
; %bb.85:                               ;   in Loop: Header=BB379_84 Depth=1
	v_lshlrev_b64 v[24:25], 3, v[22:23]
	v_mov_b32_e32 v29, s35
	v_add_co_u32_e32 v28, vcc, s34, v24
	v_addc_co_u32_e32 v29, vcc, v29, v25, vcc
	global_load_dwordx2 v[24:25], v[28:29], off glc
	s_waitcnt vmcnt(0)
	v_cmp_eq_u16_sdwa s[38:39], v25, v23 src0_sel:BYTE_0 src1_sel:DWORD
	s_and_saveexec_b64 s[36:37], s[38:39]
	s_cbranch_execz .LBB379_83
; %bb.86:                               ;   in Loop: Header=BB379_84 Depth=1
	s_mov_b64 s[38:39], 0
.LBB379_87:                             ;   Parent Loop BB379_84 Depth=1
                                        ; =>  This Inner Loop Header: Depth=2
	global_load_dwordx2 v[24:25], v[28:29], off glc
	s_waitcnt vmcnt(0)
	v_cmp_ne_u16_sdwa s[42:43], v25, v23 src0_sel:BYTE_0 src1_sel:DWORD
	s_or_b64 s[38:39], s[42:43], s[38:39]
	s_andn2_b64 exec, exec, s[38:39]
	s_cbranch_execnz .LBB379_87
; %bb.88:                               ;   in Loop: Header=BB379_84 Depth=1
	s_or_b64 exec, exec, s[38:39]
	s_branch .LBB379_83
.LBB379_89:                             ;   in Loop: Header=BB379_84 Depth=1
                                        ; implicit-def: $vgpr24
                                        ; implicit-def: $vgpr25
	s_cbranch_execz .LBB379_84
; %bb.90:
	s_and_saveexec_b64 s[36:37], s[18:19]
	s_cbranch_execz .LBB379_92
; %bb.91:
	s_add_i32 s38, s40, 64
	s_mov_b32 s39, 0
	s_lshl_b64 s[38:39], s[38:39], 3
	s_add_u32 s38, s34, s38
	v_add_u32_e32 v22, v21, v20
	v_mov_b32_e32 v23, 2
	s_addc_u32 s39, s35, s39
	v_mov_b32_e32 v24, 0
	global_store_dwordx2 v24, v[22:23], s[38:39]
	ds_write_b64 v24, v[20:21] offset:14336
.LBB379_92:
	s_or_b64 exec, exec, s[36:37]
	s_and_b64 exec, exec, s[0:1]
	s_cbranch_execz .LBB379_94
; %bb.93:
	v_mov_b32_e32 v20, 0
	ds_write_b32 v20, v21 offset:12
.LBB379_94:
	s_or_b64 exec, exec, s[28:29]
	v_mov_b32_e32 v20, 0
	s_waitcnt lgkmcnt(0)
	s_barrier
	ds_read_b32 v22, v20 offset:12
	s_waitcnt lgkmcnt(0)
	s_barrier
	ds_read_b64 v[20:21], v20 offset:14336
	v_cndmask_b32_e64 v23, v103, v102, s[18:19]
	v_cndmask_b32_e64 v23, v23, 0, s[0:1]
	v_add_u32_e32 v22, v22, v23
	s_branch .LBB379_105
.LBB379_95:
                                        ; implicit-def: $vgpr21
                                        ; implicit-def: $vgpr22
	s_cbranch_execz .LBB379_105
; %bb.96:
	s_waitcnt lgkmcnt(0)
	v_mov_b32_dpp v20, v101 row_shr:1 row_mask:0xf bank_mask:0xf
	v_cndmask_b32_e64 v20, v20, 0, s[16:17]
	v_add_u32_e32 v20, v20, v101
	s_nop 1
	v_mov_b32_dpp v21, v20 row_shr:2 row_mask:0xf bank_mask:0xf
	v_cndmask_b32_e64 v21, 0, v21, s[14:15]
	v_add_u32_e32 v20, v20, v21
	s_nop 1
	;; [unrolled: 4-line block ×4, first 2 shown]
	v_mov_b32_dpp v21, v20 row_bcast:15 row_mask:0xf bank_mask:0xf
	v_cndmask_b32_e64 v21, v21, 0, s[8:9]
	v_add_u32_e32 v20, v20, v21
	s_nop 1
	v_mov_b32_dpp v21, v20 row_bcast:31 row_mask:0xf bank_mask:0xf
	v_cndmask_b32_e64 v21, 0, v21, s[4:5]
	v_add_u32_e32 v20, v20, v21
	s_and_saveexec_b64 s[4:5], s[6:7]
	s_cbranch_execz .LBB379_98
; %bb.97:
	v_lshlrev_b32_e32 v21, 2, v100
	ds_write_b32 v21, v20
.LBB379_98:
	s_or_b64 exec, exec, s[4:5]
	v_cmp_gt_u32_e32 vcc, 4, v0
	s_waitcnt lgkmcnt(0)
	s_barrier
	s_and_saveexec_b64 s[4:5], vcc
	s_cbranch_execz .LBB379_100
; %bb.99:
	v_lshlrev_b32_e32 v21, 2, v0
	ds_read_b32 v22, v21
	v_and_b32_e32 v23, 3, v99
	v_cmp_ne_u32_e32 vcc, 0, v23
	s_waitcnt lgkmcnt(0)
	v_mov_b32_dpp v24, v22 row_shr:1 row_mask:0xf bank_mask:0xf
	v_cndmask_b32_e32 v24, 0, v24, vcc
	v_add_u32_e32 v22, v24, v22
	v_cmp_lt_u32_e32 vcc, 1, v23
	s_nop 0
	v_mov_b32_dpp v24, v22 row_shr:2 row_mask:0xf bank_mask:0xf
	v_cndmask_b32_e32 v23, 0, v24, vcc
	v_add_u32_e32 v22, v22, v23
	ds_write_b32 v21, v22
.LBB379_100:
	s_or_b64 exec, exec, s[4:5]
	v_cmp_lt_u32_e32 vcc, 63, v0
	v_mov_b32_e32 v21, 0
	v_mov_b32_e32 v22, 0
	s_waitcnt lgkmcnt(0)
	s_barrier
	s_and_saveexec_b64 s[4:5], vcc
	s_cbranch_execz .LBB379_102
; %bb.101:
	v_lshl_add_u32 v22, v100, 2, -4
	ds_read_b32 v22, v22
.LBB379_102:
	s_or_b64 exec, exec, s[4:5]
	v_add_u32_e32 v23, -1, v99
	v_and_b32_e32 v24, 64, v99
	v_cmp_lt_i32_e32 vcc, v23, v24
	v_cndmask_b32_e32 v23, v23, v99, vcc
	s_waitcnt lgkmcnt(0)
	v_add_u32_e32 v20, v22, v20
	v_lshlrev_b32_e32 v23, 2, v23
	ds_bpermute_b32 v23, v23, v20
	ds_read_b32 v20, v21 offset:12
	s_and_saveexec_b64 s[4:5], s[0:1]
	s_cbranch_execz .LBB379_104
; %bb.103:
	v_mov_b32_e32 v24, 0
	v_mov_b32_e32 v21, 2
	s_waitcnt lgkmcnt(0)
	global_store_dwordx2 v24, v[20:21], s[34:35] offset:512
.LBB379_104:
	s_or_b64 exec, exec, s[4:5]
	v_cmp_eq_u32_e32 vcc, 0, v99
	s_waitcnt lgkmcnt(1)
	v_cndmask_b32_e32 v22, v23, v22, vcc
	v_mov_b32_e32 v21, 0
	v_cndmask_b32_e64 v22, v22, 0, s[0:1]
	s_waitcnt lgkmcnt(0)
	s_barrier
.LBB379_105:
	v_add_u32_e32 v23, v22, v73
	v_add_u32_e32 v24, v23, v74
	;; [unrolled: 1-line block ×19, first 2 shown]
	s_waitcnt lgkmcnt(0)
	v_add_u32_e32 v43, v20, v43
	v_sub_u32_e32 v22, v22, v21
	v_and_b32_e32 v72, 1, v72
	v_add_u32_e32 v85, v84, v92
	v_sub_u32_e32 v92, v43, v22
	v_cmp_eq_u32_e32 vcc, 1, v72
	v_cndmask_b32_e32 v22, v92, v22, vcc
	v_lshlrev_b32_e32 v22, 1, v22
	ds_write_b16 v22, v10
	v_sub_u32_e32 v10, v23, v21
	v_sub_u32_e32 v22, v43, v10
	v_and_b32_e32 v23, 1, v71
	v_add_u32_e32 v22, 1, v22
	v_cmp_eq_u32_e32 vcc, 1, v23
	v_cndmask_b32_e32 v10, v22, v10, vcc
	v_lshlrev_b32_e32 v10, 1, v10
	ds_write_b16 v10, v44
	v_sub_u32_e32 v10, v24, v21
	v_sub_u32_e32 v22, v43, v10
	v_and_b32_e32 v23, 1, v70
	v_add_u32_e32 v22, 2, v22
	;; [unrolled: 8-line block ×20, first 2 shown]
	v_cmp_eq_u32_e32 vcc, 1, v6
	v_cndmask_b32_e32 v2, v3, v2, vcc
	v_add_u32_e32 v86, v85, v93
	v_lshlrev_b32_e32 v2, 1, v2
	ds_write_b16 v2, v4
	v_sub_u32_e32 v2, v86, v21
	v_sub_u32_e32 v3, v43, v2
	v_and_b32_e32 v4, 1, v51
	v_add_u32_e32 v3, 21, v3
	v_cmp_eq_u32_e32 vcc, 1, v4
	v_cndmask_b32_e32 v2, v3, v2, vcc
	v_add_u32_e32 v87, v86, v94
	v_lshlrev_b32_e32 v2, 1, v2
	ds_write_b16 v2, v33
	v_sub_u32_e32 v2, v87, v21
	v_sub_u32_e32 v3, v43, v2
	v_and_b32_e32 v4, 1, v50
	v_add_u32_e32 v3, 22, v3
	;; [unrolled: 9-line block ×6, first 2 shown]
	v_cmp_eq_u32_e32 vcc, 1, v4
	v_cndmask_b32_e32 v2, v3, v2, vcc
	v_lshlrev_b32_e32 v2, 1, v2
	ds_write_b16 v2, v19
	v_sub_u32_sdwa v2, v45, v21 dst_sel:DWORD dst_unused:UNUSED_PAD src0_sel:BYTE_0 src1_sel:DWORD
	v_add_u32_e32 v2, v91, v2
	v_sub_u32_e32 v3, v43, v2
	v_and_b32_e32 v4, 1, v46
	v_add_u32_e32 v3, 27, v3
	v_cmp_eq_u32_e32 vcc, 1, v4
	v_cndmask_b32_e32 v2, v3, v2, vcc
	s_waitcnt vmcnt(0)
	v_add_co_u32_e32 v10, vcc, v14, v21
	v_lshlrev_b32_e32 v2, 1, v2
	v_addc_co_u32_e32 v11, vcc, 0, v15, vcc
	ds_write_b16 v2, v30
	s_waitcnt lgkmcnt(0)
	s_barrier
	ds_read_u16 v68, v1
	ds_read_u16 v67, v1 offset:512
	ds_read_u16 v65, v1 offset:1024
	;; [unrolled: 1-line block ×23, first 2 shown]
	v_add_co_u32_e32 v2, vcc, v10, v20
	v_addc_co_u32_e32 v3, vcc, 0, v11, vcc
	v_mov_b32_e32 v9, s31
	v_sub_co_u32_e32 v8, vcc, s30, v2
	v_subb_co_u32_e32 v9, vcc, v9, v3, vcc
	ds_read_u16 v19, v1 offset:12288
	ds_read_u16 v13, v1 offset:12800
	;; [unrolled: 1-line block ×4, first 2 shown]
	v_lshlrev_b64 v[8:9], 1, v[8:9]
	v_mov_b32_e32 v14, s27
	v_add_co_u32_e32 v8, vcc, s26, v8
	v_addc_co_u32_e32 v9, vcc, v14, v9, vcc
	v_add_co_u32_e32 v8, vcc, v8, v16
	v_addc_co_u32_e32 v9, vcc, v9, v17, vcc
	v_lshlrev_b64 v[10:11], 1, v[10:11]
	v_mov_b32_e32 v14, s25
	s_and_b64 vcc, exec, s[2:3]
	v_add_co_u32_e64 v10, s[2:3], s24, v10
	v_or_b32_e32 v66, 0x100, v0
	v_or_b32_e32 v64, 0x200, v0
	;; [unrolled: 1-line block ×27, first 2 shown]
	v_addc_co_u32_e64 v11, s[2:3], v14, v11, s[2:3]
	s_cbranch_vccnz .LBB379_107
; %bb.106:
	v_cmp_lt_u32_e32 vcc, v0, v20
	v_cndmask_b32_e32 v14, v8, v10, vcc
	v_cndmask_b32_e32 v15, v9, v11, vcc
	v_add_co_u32_e32 v14, vcc, v14, v1
	v_addc_co_u32_e32 v15, vcc, 0, v15, vcc
	v_cmp_lt_u32_e32 vcc, v66, v20
	s_waitcnt lgkmcnt(14)
	global_store_short v[14:15], v68, off
	v_cndmask_b32_e32 v14, v8, v10, vcc
	v_cndmask_b32_e32 v15, v9, v11, vcc
	v_add_co_u32_e32 v14, vcc, v14, v1
	v_addc_co_u32_e32 v15, vcc, 0, v15, vcc
	v_cmp_lt_u32_e32 vcc, v64, v20
	global_store_short v[14:15], v67, off offset:512
	v_cndmask_b32_e32 v14, v8, v10, vcc
	v_cndmask_b32_e32 v15, v9, v11, vcc
	v_add_co_u32_e32 v14, vcc, v14, v1
	v_addc_co_u32_e32 v15, vcc, 0, v15, vcc
	v_cmp_lt_u32_e32 vcc, v62, v20
	global_store_short v[14:15], v65, off offset:1024
	;; [unrolled: 6-line block ×7, first 2 shown]
	v_cndmask_b32_e32 v14, v8, v10, vcc
	v_lshlrev_b32_e32 v16, 1, v52
	v_cndmask_b32_e32 v15, v9, v11, vcc
	v_add_co_u32_e32 v14, vcc, v14, v16
	v_addc_co_u32_e32 v15, vcc, 0, v15, vcc
	v_cmp_lt_u32_e32 vcc, v50, v20
	global_store_short v[14:15], v53, off
	v_cndmask_b32_e32 v14, v8, v10, vcc
	v_lshlrev_b32_e32 v16, 1, v50
	v_cndmask_b32_e32 v15, v9, v11, vcc
	v_add_co_u32_e32 v14, vcc, v14, v16
	v_addc_co_u32_e32 v15, vcc, 0, v15, vcc
	v_cmp_lt_u32_e32 vcc, v48, v20
	global_store_short v[14:15], v51, off
	;; [unrolled: 7-line block ×6, first 2 shown]
	v_cndmask_b32_e32 v14, v8, v10, vcc
	v_lshlrev_b32_e32 v16, 1, v40
	v_cndmask_b32_e32 v15, v9, v11, vcc
	v_add_co_u32_e32 v14, vcc, v14, v16
	v_addc_co_u32_e32 v15, vcc, 0, v15, vcc
	v_cmp_lt_u32_e32 vcc, v37, v20
	s_waitcnt lgkmcnt(13)
	global_store_short v[14:15], v41, off
	v_cndmask_b32_e32 v14, v8, v10, vcc
	v_lshlrev_b32_e32 v16, 1, v37
	v_cndmask_b32_e32 v15, v9, v11, vcc
	v_add_co_u32_e32 v14, vcc, v14, v16
	v_addc_co_u32_e32 v15, vcc, 0, v15, vcc
	v_cmp_lt_u32_e32 vcc, v36, v20
	s_waitcnt lgkmcnt(12)
	global_store_short v[14:15], v39, off
	;; [unrolled: 8-line block ×12, first 2 shown]
	v_cndmask_b32_e32 v14, v8, v10, vcc
	v_lshlrev_b32_e32 v16, 1, v7
	v_cndmask_b32_e32 v15, v9, v11, vcc
	v_add_co_u32_e32 v14, vcc, v14, v16
	v_addc_co_u32_e32 v15, vcc, 0, v15, vcc
	s_mov_b64 s[2:3], -1
	s_waitcnt lgkmcnt(1)
	global_store_short v[14:15], v6, off
	s_cbranch_execz .LBB379_108
	s_branch .LBB379_137
.LBB379_107:
	s_mov_b64 s[2:3], 0
.LBB379_108:
	v_cmp_gt_u32_e32 vcc, s33, v0
	s_and_saveexec_b64 s[2:3], vcc
	s_cbranch_execnz .LBB379_142
; %bb.109:
	s_or_b64 exec, exec, s[2:3]
	v_cmp_gt_u32_e32 vcc, s33, v66
	s_and_saveexec_b64 s[2:3], vcc
	s_cbranch_execnz .LBB379_143
.LBB379_110:
	s_or_b64 exec, exec, s[2:3]
	v_cmp_gt_u32_e32 vcc, s33, v64
	s_and_saveexec_b64 s[2:3], vcc
	s_cbranch_execnz .LBB379_144
.LBB379_111:
	s_or_b64 exec, exec, s[2:3]
	v_cmp_gt_u32_e32 vcc, s33, v62
	s_and_saveexec_b64 s[2:3], vcc
	s_cbranch_execnz .LBB379_145
.LBB379_112:
	s_or_b64 exec, exec, s[2:3]
	v_cmp_gt_u32_e32 vcc, s33, v60
	s_and_saveexec_b64 s[2:3], vcc
	s_cbranch_execnz .LBB379_146
.LBB379_113:
	s_or_b64 exec, exec, s[2:3]
	v_cmp_gt_u32_e32 vcc, s33, v58
	s_and_saveexec_b64 s[2:3], vcc
	s_cbranch_execnz .LBB379_147
.LBB379_114:
	s_or_b64 exec, exec, s[2:3]
	v_cmp_gt_u32_e32 vcc, s33, v56
	s_and_saveexec_b64 s[2:3], vcc
	s_cbranch_execnz .LBB379_148
.LBB379_115:
	s_or_b64 exec, exec, s[2:3]
	v_cmp_gt_u32_e32 vcc, s33, v54
	s_and_saveexec_b64 s[2:3], vcc
	s_cbranch_execnz .LBB379_149
.LBB379_116:
	s_or_b64 exec, exec, s[2:3]
	v_cmp_gt_u32_e32 vcc, s33, v52
	s_and_saveexec_b64 s[2:3], vcc
	s_cbranch_execnz .LBB379_150
.LBB379_117:
	s_or_b64 exec, exec, s[2:3]
	v_cmp_gt_u32_e32 vcc, s33, v50
	s_and_saveexec_b64 s[2:3], vcc
	s_cbranch_execnz .LBB379_151
.LBB379_118:
	s_or_b64 exec, exec, s[2:3]
	v_cmp_gt_u32_e32 vcc, s33, v48
	s_and_saveexec_b64 s[2:3], vcc
	s_cbranch_execnz .LBB379_152
.LBB379_119:
	s_or_b64 exec, exec, s[2:3]
	v_cmp_gt_u32_e32 vcc, s33, v46
	s_and_saveexec_b64 s[2:3], vcc
	s_cbranch_execnz .LBB379_153
.LBB379_120:
	s_or_b64 exec, exec, s[2:3]
	v_cmp_gt_u32_e32 vcc, s33, v44
	s_and_saveexec_b64 s[2:3], vcc
	s_cbranch_execnz .LBB379_154
.LBB379_121:
	s_or_b64 exec, exec, s[2:3]
	v_cmp_gt_u32_e32 vcc, s33, v42
	s_and_saveexec_b64 s[2:3], vcc
	s_cbranch_execnz .LBB379_155
.LBB379_122:
	s_or_b64 exec, exec, s[2:3]
	v_cmp_gt_u32_e32 vcc, s33, v40
	s_and_saveexec_b64 s[2:3], vcc
	s_cbranch_execnz .LBB379_156
.LBB379_123:
	s_or_b64 exec, exec, s[2:3]
	v_cmp_gt_u32_e32 vcc, s33, v37
	s_and_saveexec_b64 s[2:3], vcc
	s_cbranch_execnz .LBB379_157
.LBB379_124:
	s_or_b64 exec, exec, s[2:3]
	v_cmp_gt_u32_e32 vcc, s33, v36
	s_and_saveexec_b64 s[2:3], vcc
	s_cbranch_execnz .LBB379_158
.LBB379_125:
	s_or_b64 exec, exec, s[2:3]
	v_cmp_gt_u32_e32 vcc, s33, v34
	s_and_saveexec_b64 s[2:3], vcc
	s_cbranch_execnz .LBB379_159
.LBB379_126:
	s_or_b64 exec, exec, s[2:3]
	v_cmp_gt_u32_e32 vcc, s33, v32
	s_and_saveexec_b64 s[2:3], vcc
	s_cbranch_execnz .LBB379_160
.LBB379_127:
	s_or_b64 exec, exec, s[2:3]
	v_cmp_gt_u32_e32 vcc, s33, v30
	s_and_saveexec_b64 s[2:3], vcc
	s_cbranch_execnz .LBB379_161
.LBB379_128:
	s_or_b64 exec, exec, s[2:3]
	v_cmp_gt_u32_e32 vcc, s33, v28
	s_and_saveexec_b64 s[2:3], vcc
	s_cbranch_execnz .LBB379_162
.LBB379_129:
	s_or_b64 exec, exec, s[2:3]
	v_cmp_gt_u32_e32 vcc, s33, v26
	s_and_saveexec_b64 s[2:3], vcc
	s_cbranch_execnz .LBB379_163
.LBB379_130:
	s_or_b64 exec, exec, s[2:3]
	v_cmp_gt_u32_e32 vcc, s33, v24
	s_and_saveexec_b64 s[2:3], vcc
	s_cbranch_execnz .LBB379_164
.LBB379_131:
	s_or_b64 exec, exec, s[2:3]
	v_cmp_gt_u32_e32 vcc, s33, v22
	s_and_saveexec_b64 s[2:3], vcc
	s_cbranch_execnz .LBB379_165
.LBB379_132:
	s_or_b64 exec, exec, s[2:3]
	v_cmp_gt_u32_e32 vcc, s33, v18
	s_and_saveexec_b64 s[2:3], vcc
	s_cbranch_execnz .LBB379_166
.LBB379_133:
	s_or_b64 exec, exec, s[2:3]
	v_cmp_gt_u32_e32 vcc, s33, v12
	s_and_saveexec_b64 s[2:3], vcc
	s_cbranch_execnz .LBB379_167
.LBB379_134:
	s_or_b64 exec, exec, s[2:3]
	v_cmp_gt_u32_e32 vcc, s33, v7
	s_and_saveexec_b64 s[2:3], vcc
	s_cbranch_execz .LBB379_136
.LBB379_135:
	v_cmp_lt_u32_e32 vcc, v7, v20
	v_cndmask_b32_e32 v0, v8, v10, vcc
	v_lshlrev_b32_e32 v7, 1, v7
	v_cndmask_b32_e32 v1, v9, v11, vcc
	v_add_co_u32_e32 v0, vcc, v0, v7
	v_addc_co_u32_e32 v1, vcc, 0, v1, vcc
	s_waitcnt lgkmcnt(1)
	global_store_short v[0:1], v6, off
.LBB379_136:
	s_or_b64 exec, exec, s[2:3]
	v_cmp_gt_u32_e64 s[2:3], s33, v5
.LBB379_137:
	s_and_saveexec_b64 s[4:5], s[2:3]
	s_cbranch_execnz .LBB379_140
; %bb.138:
	s_or_b64 exec, exec, s[4:5]
	s_and_b64 s[0:1], s[0:1], s[22:23]
	s_and_saveexec_b64 s[2:3], s[0:1]
	s_cbranch_execnz .LBB379_141
.LBB379_139:
	s_endpgm
.LBB379_140:
	v_cmp_lt_u32_e32 vcc, v5, v20
	v_cndmask_b32_e32 v0, v8, v10, vcc
	v_lshlrev_b32_e32 v5, 1, v5
	v_cndmask_b32_e32 v1, v9, v11, vcc
	v_add_co_u32_e32 v0, vcc, v0, v5
	v_addc_co_u32_e32 v1, vcc, 0, v1, vcc
	s_waitcnt lgkmcnt(0)
	global_store_short v[0:1], v4, off
	s_or_b64 exec, exec, s[4:5]
	s_and_b64 s[0:1], s[0:1], s[22:23]
	s_and_saveexec_b64 s[2:3], s[0:1]
	s_cbranch_execz .LBB379_139
.LBB379_141:
	v_mov_b32_e32 v0, 0
	global_store_dwordx2 v0, v[2:3], s[20:21]
	s_endpgm
.LBB379_142:
	v_cmp_lt_u32_e32 vcc, v0, v20
	v_cndmask_b32_e32 v14, v8, v10, vcc
	v_cndmask_b32_e32 v0, v9, v11, vcc
	v_add_co_u32_e32 v14, vcc, v14, v1
	v_addc_co_u32_e32 v15, vcc, 0, v0, vcc
	s_waitcnt lgkmcnt(14)
	global_store_short v[14:15], v68, off
	s_or_b64 exec, exec, s[2:3]
	v_cmp_gt_u32_e32 vcc, s33, v66
	s_and_saveexec_b64 s[2:3], vcc
	s_cbranch_execz .LBB379_110
.LBB379_143:
	v_cmp_lt_u32_e32 vcc, v66, v20
	v_cndmask_b32_e32 v14, v8, v10, vcc
	v_cndmask_b32_e32 v0, v9, v11, vcc
	v_add_co_u32_e32 v14, vcc, v14, v1
	v_addc_co_u32_e32 v15, vcc, 0, v0, vcc
	s_waitcnt lgkmcnt(14)
	global_store_short v[14:15], v67, off offset:512
	s_or_b64 exec, exec, s[2:3]
	v_cmp_gt_u32_e32 vcc, s33, v64
	s_and_saveexec_b64 s[2:3], vcc
	s_cbranch_execz .LBB379_111
.LBB379_144:
	v_cmp_lt_u32_e32 vcc, v64, v20
	v_cndmask_b32_e32 v14, v8, v10, vcc
	v_cndmask_b32_e32 v0, v9, v11, vcc
	v_add_co_u32_e32 v14, vcc, v14, v1
	v_addc_co_u32_e32 v15, vcc, 0, v0, vcc
	s_waitcnt lgkmcnt(14)
	global_store_short v[14:15], v65, off offset:1024
	s_or_b64 exec, exec, s[2:3]
	v_cmp_gt_u32_e32 vcc, s33, v62
	s_and_saveexec_b64 s[2:3], vcc
	s_cbranch_execz .LBB379_112
.LBB379_145:
	v_cmp_lt_u32_e32 vcc, v62, v20
	v_cndmask_b32_e32 v14, v8, v10, vcc
	v_cndmask_b32_e32 v0, v9, v11, vcc
	v_add_co_u32_e32 v14, vcc, v14, v1
	v_addc_co_u32_e32 v15, vcc, 0, v0, vcc
	s_waitcnt lgkmcnt(14)
	global_store_short v[14:15], v63, off offset:1536
	s_or_b64 exec, exec, s[2:3]
	v_cmp_gt_u32_e32 vcc, s33, v60
	s_and_saveexec_b64 s[2:3], vcc
	s_cbranch_execz .LBB379_113
.LBB379_146:
	v_cmp_lt_u32_e32 vcc, v60, v20
	v_cndmask_b32_e32 v14, v8, v10, vcc
	v_cndmask_b32_e32 v0, v9, v11, vcc
	v_add_co_u32_e32 v14, vcc, v14, v1
	v_addc_co_u32_e32 v15, vcc, 0, v0, vcc
	s_waitcnt lgkmcnt(14)
	global_store_short v[14:15], v61, off offset:2048
	s_or_b64 exec, exec, s[2:3]
	v_cmp_gt_u32_e32 vcc, s33, v58
	s_and_saveexec_b64 s[2:3], vcc
	s_cbranch_execz .LBB379_114
.LBB379_147:
	v_cmp_lt_u32_e32 vcc, v58, v20
	v_cndmask_b32_e32 v14, v8, v10, vcc
	v_cndmask_b32_e32 v0, v9, v11, vcc
	v_add_co_u32_e32 v14, vcc, v14, v1
	v_addc_co_u32_e32 v15, vcc, 0, v0, vcc
	s_waitcnt lgkmcnt(14)
	global_store_short v[14:15], v59, off offset:2560
	s_or_b64 exec, exec, s[2:3]
	v_cmp_gt_u32_e32 vcc, s33, v56
	s_and_saveexec_b64 s[2:3], vcc
	s_cbranch_execz .LBB379_115
.LBB379_148:
	v_cmp_lt_u32_e32 vcc, v56, v20
	v_cndmask_b32_e32 v14, v8, v10, vcc
	v_cndmask_b32_e32 v0, v9, v11, vcc
	v_add_co_u32_e32 v14, vcc, v14, v1
	v_addc_co_u32_e32 v15, vcc, 0, v0, vcc
	s_waitcnt lgkmcnt(14)
	global_store_short v[14:15], v57, off offset:3072
	s_or_b64 exec, exec, s[2:3]
	v_cmp_gt_u32_e32 vcc, s33, v54
	s_and_saveexec_b64 s[2:3], vcc
	s_cbranch_execz .LBB379_116
.LBB379_149:
	v_cmp_lt_u32_e32 vcc, v54, v20
	v_cndmask_b32_e32 v0, v8, v10, vcc
	v_cndmask_b32_e32 v14, v9, v11, vcc
	v_add_co_u32_e32 v0, vcc, v0, v1
	v_addc_co_u32_e32 v1, vcc, 0, v14, vcc
	s_waitcnt lgkmcnt(14)
	global_store_short v[0:1], v55, off offset:3584
	s_or_b64 exec, exec, s[2:3]
	v_cmp_gt_u32_e32 vcc, s33, v52
	s_and_saveexec_b64 s[2:3], vcc
	s_cbranch_execz .LBB379_117
.LBB379_150:
	v_cmp_lt_u32_e32 vcc, v52, v20
	v_cndmask_b32_e32 v0, v8, v10, vcc
	v_lshlrev_b32_e32 v14, 1, v52
	v_cndmask_b32_e32 v1, v9, v11, vcc
	v_add_co_u32_e32 v0, vcc, v0, v14
	v_addc_co_u32_e32 v1, vcc, 0, v1, vcc
	s_waitcnt lgkmcnt(14)
	global_store_short v[0:1], v53, off
	s_or_b64 exec, exec, s[2:3]
	v_cmp_gt_u32_e32 vcc, s33, v50
	s_and_saveexec_b64 s[2:3], vcc
	s_cbranch_execz .LBB379_118
.LBB379_151:
	v_cmp_lt_u32_e32 vcc, v50, v20
	v_cndmask_b32_e32 v0, v8, v10, vcc
	v_lshlrev_b32_e32 v14, 1, v50
	v_cndmask_b32_e32 v1, v9, v11, vcc
	v_add_co_u32_e32 v0, vcc, v0, v14
	v_addc_co_u32_e32 v1, vcc, 0, v1, vcc
	s_waitcnt lgkmcnt(14)
	global_store_short v[0:1], v51, off
	s_or_b64 exec, exec, s[2:3]
	v_cmp_gt_u32_e32 vcc, s33, v48
	s_and_saveexec_b64 s[2:3], vcc
	s_cbranch_execz .LBB379_119
.LBB379_152:
	v_cmp_lt_u32_e32 vcc, v48, v20
	v_cndmask_b32_e32 v0, v8, v10, vcc
	v_lshlrev_b32_e32 v14, 1, v48
	v_cndmask_b32_e32 v1, v9, v11, vcc
	v_add_co_u32_e32 v0, vcc, v0, v14
	v_addc_co_u32_e32 v1, vcc, 0, v1, vcc
	s_waitcnt lgkmcnt(14)
	global_store_short v[0:1], v49, off
	s_or_b64 exec, exec, s[2:3]
	v_cmp_gt_u32_e32 vcc, s33, v46
	s_and_saveexec_b64 s[2:3], vcc
	s_cbranch_execz .LBB379_120
.LBB379_153:
	v_cmp_lt_u32_e32 vcc, v46, v20
	v_cndmask_b32_e32 v0, v8, v10, vcc
	v_lshlrev_b32_e32 v14, 1, v46
	v_cndmask_b32_e32 v1, v9, v11, vcc
	v_add_co_u32_e32 v0, vcc, v0, v14
	v_addc_co_u32_e32 v1, vcc, 0, v1, vcc
	s_waitcnt lgkmcnt(14)
	global_store_short v[0:1], v47, off
	s_or_b64 exec, exec, s[2:3]
	v_cmp_gt_u32_e32 vcc, s33, v44
	s_and_saveexec_b64 s[2:3], vcc
	s_cbranch_execz .LBB379_121
.LBB379_154:
	v_cmp_lt_u32_e32 vcc, v44, v20
	v_cndmask_b32_e32 v0, v8, v10, vcc
	v_lshlrev_b32_e32 v14, 1, v44
	v_cndmask_b32_e32 v1, v9, v11, vcc
	v_add_co_u32_e32 v0, vcc, v0, v14
	v_addc_co_u32_e32 v1, vcc, 0, v1, vcc
	s_waitcnt lgkmcnt(14)
	global_store_short v[0:1], v45, off
	s_or_b64 exec, exec, s[2:3]
	v_cmp_gt_u32_e32 vcc, s33, v42
	s_and_saveexec_b64 s[2:3], vcc
	s_cbranch_execz .LBB379_122
.LBB379_155:
	v_cmp_lt_u32_e32 vcc, v42, v20
	v_cndmask_b32_e32 v0, v8, v10, vcc
	v_lshlrev_b32_e32 v14, 1, v42
	v_cndmask_b32_e32 v1, v9, v11, vcc
	v_add_co_u32_e32 v0, vcc, v0, v14
	v_addc_co_u32_e32 v1, vcc, 0, v1, vcc
	s_waitcnt lgkmcnt(14)
	global_store_short v[0:1], v43, off
	s_or_b64 exec, exec, s[2:3]
	v_cmp_gt_u32_e32 vcc, s33, v40
	s_and_saveexec_b64 s[2:3], vcc
	s_cbranch_execz .LBB379_123
.LBB379_156:
	v_cmp_lt_u32_e32 vcc, v40, v20
	v_cndmask_b32_e32 v0, v8, v10, vcc
	v_lshlrev_b32_e32 v14, 1, v40
	v_cndmask_b32_e32 v1, v9, v11, vcc
	v_add_co_u32_e32 v0, vcc, v0, v14
	v_addc_co_u32_e32 v1, vcc, 0, v1, vcc
	s_waitcnt lgkmcnt(13)
	global_store_short v[0:1], v41, off
	s_or_b64 exec, exec, s[2:3]
	v_cmp_gt_u32_e32 vcc, s33, v37
	s_and_saveexec_b64 s[2:3], vcc
	s_cbranch_execz .LBB379_124
.LBB379_157:
	v_cmp_lt_u32_e32 vcc, v37, v20
	v_cndmask_b32_e32 v0, v8, v10, vcc
	v_lshlrev_b32_e32 v14, 1, v37
	v_cndmask_b32_e32 v1, v9, v11, vcc
	v_add_co_u32_e32 v0, vcc, v0, v14
	v_addc_co_u32_e32 v1, vcc, 0, v1, vcc
	s_waitcnt lgkmcnt(12)
	global_store_short v[0:1], v39, off
	s_or_b64 exec, exec, s[2:3]
	v_cmp_gt_u32_e32 vcc, s33, v36
	s_and_saveexec_b64 s[2:3], vcc
	s_cbranch_execz .LBB379_125
.LBB379_158:
	v_cmp_lt_u32_e32 vcc, v36, v20
	v_cndmask_b32_e32 v0, v8, v10, vcc
	v_lshlrev_b32_e32 v14, 1, v36
	v_cndmask_b32_e32 v1, v9, v11, vcc
	v_add_co_u32_e32 v0, vcc, v0, v14
	v_addc_co_u32_e32 v1, vcc, 0, v1, vcc
	s_waitcnt lgkmcnt(11)
	global_store_short v[0:1], v38, off
	s_or_b64 exec, exec, s[2:3]
	v_cmp_gt_u32_e32 vcc, s33, v34
	s_and_saveexec_b64 s[2:3], vcc
	s_cbranch_execz .LBB379_126
.LBB379_159:
	v_cmp_lt_u32_e32 vcc, v34, v20
	v_cndmask_b32_e32 v0, v8, v10, vcc
	v_lshlrev_b32_e32 v14, 1, v34
	v_cndmask_b32_e32 v1, v9, v11, vcc
	v_add_co_u32_e32 v0, vcc, v0, v14
	v_addc_co_u32_e32 v1, vcc, 0, v1, vcc
	s_waitcnt lgkmcnt(10)
	global_store_short v[0:1], v35, off
	s_or_b64 exec, exec, s[2:3]
	v_cmp_gt_u32_e32 vcc, s33, v32
	s_and_saveexec_b64 s[2:3], vcc
	s_cbranch_execz .LBB379_127
.LBB379_160:
	v_cmp_lt_u32_e32 vcc, v32, v20
	v_cndmask_b32_e32 v0, v8, v10, vcc
	v_lshlrev_b32_e32 v14, 1, v32
	v_cndmask_b32_e32 v1, v9, v11, vcc
	v_add_co_u32_e32 v0, vcc, v0, v14
	v_addc_co_u32_e32 v1, vcc, 0, v1, vcc
	s_waitcnt lgkmcnt(9)
	global_store_short v[0:1], v33, off
	s_or_b64 exec, exec, s[2:3]
	v_cmp_gt_u32_e32 vcc, s33, v30
	s_and_saveexec_b64 s[2:3], vcc
	s_cbranch_execz .LBB379_128
.LBB379_161:
	v_cmp_lt_u32_e32 vcc, v30, v20
	v_cndmask_b32_e32 v0, v8, v10, vcc
	v_lshlrev_b32_e32 v14, 1, v30
	v_cndmask_b32_e32 v1, v9, v11, vcc
	v_add_co_u32_e32 v0, vcc, v0, v14
	v_addc_co_u32_e32 v1, vcc, 0, v1, vcc
	s_waitcnt lgkmcnt(8)
	global_store_short v[0:1], v31, off
	s_or_b64 exec, exec, s[2:3]
	v_cmp_gt_u32_e32 vcc, s33, v28
	s_and_saveexec_b64 s[2:3], vcc
	s_cbranch_execz .LBB379_129
.LBB379_162:
	v_cmp_lt_u32_e32 vcc, v28, v20
	v_cndmask_b32_e32 v0, v8, v10, vcc
	v_lshlrev_b32_e32 v14, 1, v28
	v_cndmask_b32_e32 v1, v9, v11, vcc
	v_add_co_u32_e32 v0, vcc, v0, v14
	v_addc_co_u32_e32 v1, vcc, 0, v1, vcc
	s_waitcnt lgkmcnt(7)
	global_store_short v[0:1], v29, off
	s_or_b64 exec, exec, s[2:3]
	v_cmp_gt_u32_e32 vcc, s33, v26
	s_and_saveexec_b64 s[2:3], vcc
	s_cbranch_execz .LBB379_130
.LBB379_163:
	v_cmp_lt_u32_e32 vcc, v26, v20
	v_cndmask_b32_e32 v0, v8, v10, vcc
	v_lshlrev_b32_e32 v14, 1, v26
	v_cndmask_b32_e32 v1, v9, v11, vcc
	v_add_co_u32_e32 v0, vcc, v0, v14
	v_addc_co_u32_e32 v1, vcc, 0, v1, vcc
	s_waitcnt lgkmcnt(6)
	global_store_short v[0:1], v27, off
	s_or_b64 exec, exec, s[2:3]
	v_cmp_gt_u32_e32 vcc, s33, v24
	s_and_saveexec_b64 s[2:3], vcc
	s_cbranch_execz .LBB379_131
.LBB379_164:
	v_cmp_lt_u32_e32 vcc, v24, v20
	v_cndmask_b32_e32 v0, v8, v10, vcc
	v_lshlrev_b32_e32 v14, 1, v24
	v_cndmask_b32_e32 v1, v9, v11, vcc
	v_add_co_u32_e32 v0, vcc, v0, v14
	v_addc_co_u32_e32 v1, vcc, 0, v1, vcc
	s_waitcnt lgkmcnt(5)
	global_store_short v[0:1], v25, off
	s_or_b64 exec, exec, s[2:3]
	v_cmp_gt_u32_e32 vcc, s33, v22
	s_and_saveexec_b64 s[2:3], vcc
	s_cbranch_execz .LBB379_132
.LBB379_165:
	v_cmp_lt_u32_e32 vcc, v22, v20
	v_cndmask_b32_e32 v0, v8, v10, vcc
	v_lshlrev_b32_e32 v14, 1, v22
	v_cndmask_b32_e32 v1, v9, v11, vcc
	v_add_co_u32_e32 v0, vcc, v0, v14
	v_addc_co_u32_e32 v1, vcc, 0, v1, vcc
	s_waitcnt lgkmcnt(4)
	global_store_short v[0:1], v23, off
	s_or_b64 exec, exec, s[2:3]
	v_cmp_gt_u32_e32 vcc, s33, v18
	s_and_saveexec_b64 s[2:3], vcc
	s_cbranch_execz .LBB379_133
.LBB379_166:
	v_cmp_lt_u32_e32 vcc, v18, v20
	v_cndmask_b32_e32 v0, v8, v10, vcc
	v_lshlrev_b32_e32 v14, 1, v18
	v_cndmask_b32_e32 v1, v9, v11, vcc
	v_add_co_u32_e32 v0, vcc, v0, v14
	v_addc_co_u32_e32 v1, vcc, 0, v1, vcc
	s_waitcnt lgkmcnt(3)
	global_store_short v[0:1], v19, off
	s_or_b64 exec, exec, s[2:3]
	v_cmp_gt_u32_e32 vcc, s33, v12
	s_and_saveexec_b64 s[2:3], vcc
	s_cbranch_execz .LBB379_134
.LBB379_167:
	v_cmp_lt_u32_e32 vcc, v12, v20
	v_cndmask_b32_e32 v0, v8, v10, vcc
	v_lshlrev_b32_e32 v12, 1, v12
	v_cndmask_b32_e32 v1, v9, v11, vcc
	v_add_co_u32_e32 v0, vcc, v0, v12
	v_addc_co_u32_e32 v1, vcc, 0, v1, vcc
	s_waitcnt lgkmcnt(2)
	global_store_short v[0:1], v13, off
	s_or_b64 exec, exec, s[2:3]
	v_cmp_gt_u32_e32 vcc, s33, v7
	s_and_saveexec_b64 s[2:3], vcc
	s_cbranch_execnz .LBB379_135
	s_branch .LBB379_136
	.section	.rodata,"a",@progbits
	.p2align	6, 0x0
	.amdhsa_kernel _ZN7rocprim17ROCPRIM_400000_NS6detail17trampoline_kernelINS0_14default_configENS1_25partition_config_selectorILNS1_17partition_subalgoE0EsNS0_10empty_typeEbEEZZNS1_14partition_implILS5_0ELb0ES3_jN6thrust23THRUST_200600_302600_NS6detail15normal_iteratorINSA_10device_ptrIsEEEEPS6_SG_NS0_5tupleIJSF_SF_EEENSH_IJSG_SG_EEES6_PlJ7is_evenIsEEEE10hipError_tPvRmT3_T4_T5_T6_T7_T9_mT8_P12ihipStream_tbDpT10_ENKUlT_T0_E_clISt17integral_constantIbLb0EES15_IbLb1EEEEDaS11_S12_EUlS11_E_NS1_11comp_targetILNS1_3genE4ELNS1_11target_archE910ELNS1_3gpuE8ELNS1_3repE0EEENS1_30default_config_static_selectorELNS0_4arch9wavefront6targetE1EEEvT1_
		.amdhsa_group_segment_fixed_size 14344
		.amdhsa_private_segment_fixed_size 0
		.amdhsa_kernarg_size 136
		.amdhsa_user_sgpr_count 6
		.amdhsa_user_sgpr_private_segment_buffer 1
		.amdhsa_user_sgpr_dispatch_ptr 0
		.amdhsa_user_sgpr_queue_ptr 0
		.amdhsa_user_sgpr_kernarg_segment_ptr 1
		.amdhsa_user_sgpr_dispatch_id 0
		.amdhsa_user_sgpr_flat_scratch_init 0
		.amdhsa_user_sgpr_kernarg_preload_length 0
		.amdhsa_user_sgpr_kernarg_preload_offset 0
		.amdhsa_user_sgpr_private_segment_size 0
		.amdhsa_uses_dynamic_stack 0
		.amdhsa_system_sgpr_private_segment_wavefront_offset 0
		.amdhsa_system_sgpr_workgroup_id_x 1
		.amdhsa_system_sgpr_workgroup_id_y 0
		.amdhsa_system_sgpr_workgroup_id_z 0
		.amdhsa_system_sgpr_workgroup_info 0
		.amdhsa_system_vgpr_workitem_id 0
		.amdhsa_next_free_vgpr 118
		.amdhsa_next_free_sgpr 44
		.amdhsa_accum_offset 120
		.amdhsa_reserve_vcc 1
		.amdhsa_reserve_flat_scratch 0
		.amdhsa_float_round_mode_32 0
		.amdhsa_float_round_mode_16_64 0
		.amdhsa_float_denorm_mode_32 3
		.amdhsa_float_denorm_mode_16_64 3
		.amdhsa_dx10_clamp 1
		.amdhsa_ieee_mode 1
		.amdhsa_fp16_overflow 0
		.amdhsa_tg_split 0
		.amdhsa_exception_fp_ieee_invalid_op 0
		.amdhsa_exception_fp_denorm_src 0
		.amdhsa_exception_fp_ieee_div_zero 0
		.amdhsa_exception_fp_ieee_overflow 0
		.amdhsa_exception_fp_ieee_underflow 0
		.amdhsa_exception_fp_ieee_inexact 0
		.amdhsa_exception_int_div_zero 0
	.end_amdhsa_kernel
	.section	.text._ZN7rocprim17ROCPRIM_400000_NS6detail17trampoline_kernelINS0_14default_configENS1_25partition_config_selectorILNS1_17partition_subalgoE0EsNS0_10empty_typeEbEEZZNS1_14partition_implILS5_0ELb0ES3_jN6thrust23THRUST_200600_302600_NS6detail15normal_iteratorINSA_10device_ptrIsEEEEPS6_SG_NS0_5tupleIJSF_SF_EEENSH_IJSG_SG_EEES6_PlJ7is_evenIsEEEE10hipError_tPvRmT3_T4_T5_T6_T7_T9_mT8_P12ihipStream_tbDpT10_ENKUlT_T0_E_clISt17integral_constantIbLb0EES15_IbLb1EEEEDaS11_S12_EUlS11_E_NS1_11comp_targetILNS1_3genE4ELNS1_11target_archE910ELNS1_3gpuE8ELNS1_3repE0EEENS1_30default_config_static_selectorELNS0_4arch9wavefront6targetE1EEEvT1_,"axG",@progbits,_ZN7rocprim17ROCPRIM_400000_NS6detail17trampoline_kernelINS0_14default_configENS1_25partition_config_selectorILNS1_17partition_subalgoE0EsNS0_10empty_typeEbEEZZNS1_14partition_implILS5_0ELb0ES3_jN6thrust23THRUST_200600_302600_NS6detail15normal_iteratorINSA_10device_ptrIsEEEEPS6_SG_NS0_5tupleIJSF_SF_EEENSH_IJSG_SG_EEES6_PlJ7is_evenIsEEEE10hipError_tPvRmT3_T4_T5_T6_T7_T9_mT8_P12ihipStream_tbDpT10_ENKUlT_T0_E_clISt17integral_constantIbLb0EES15_IbLb1EEEEDaS11_S12_EUlS11_E_NS1_11comp_targetILNS1_3genE4ELNS1_11target_archE910ELNS1_3gpuE8ELNS1_3repE0EEENS1_30default_config_static_selectorELNS0_4arch9wavefront6targetE1EEEvT1_,comdat
.Lfunc_end379:
	.size	_ZN7rocprim17ROCPRIM_400000_NS6detail17trampoline_kernelINS0_14default_configENS1_25partition_config_selectorILNS1_17partition_subalgoE0EsNS0_10empty_typeEbEEZZNS1_14partition_implILS5_0ELb0ES3_jN6thrust23THRUST_200600_302600_NS6detail15normal_iteratorINSA_10device_ptrIsEEEEPS6_SG_NS0_5tupleIJSF_SF_EEENSH_IJSG_SG_EEES6_PlJ7is_evenIsEEEE10hipError_tPvRmT3_T4_T5_T6_T7_T9_mT8_P12ihipStream_tbDpT10_ENKUlT_T0_E_clISt17integral_constantIbLb0EES15_IbLb1EEEEDaS11_S12_EUlS11_E_NS1_11comp_targetILNS1_3genE4ELNS1_11target_archE910ELNS1_3gpuE8ELNS1_3repE0EEENS1_30default_config_static_selectorELNS0_4arch9wavefront6targetE1EEEvT1_, .Lfunc_end379-_ZN7rocprim17ROCPRIM_400000_NS6detail17trampoline_kernelINS0_14default_configENS1_25partition_config_selectorILNS1_17partition_subalgoE0EsNS0_10empty_typeEbEEZZNS1_14partition_implILS5_0ELb0ES3_jN6thrust23THRUST_200600_302600_NS6detail15normal_iteratorINSA_10device_ptrIsEEEEPS6_SG_NS0_5tupleIJSF_SF_EEENSH_IJSG_SG_EEES6_PlJ7is_evenIsEEEE10hipError_tPvRmT3_T4_T5_T6_T7_T9_mT8_P12ihipStream_tbDpT10_ENKUlT_T0_E_clISt17integral_constantIbLb0EES15_IbLb1EEEEDaS11_S12_EUlS11_E_NS1_11comp_targetILNS1_3genE4ELNS1_11target_archE910ELNS1_3gpuE8ELNS1_3repE0EEENS1_30default_config_static_selectorELNS0_4arch9wavefront6targetE1EEEvT1_
                                        ; -- End function
	.section	.AMDGPU.csdata,"",@progbits
; Kernel info:
; codeLenInByte = 9880
; NumSgprs: 48
; NumVgprs: 118
; NumAgprs: 0
; TotalNumVgprs: 118
; ScratchSize: 0
; MemoryBound: 0
; FloatMode: 240
; IeeeMode: 1
; LDSByteSize: 14344 bytes/workgroup (compile time only)
; SGPRBlocks: 5
; VGPRBlocks: 14
; NumSGPRsForWavesPerEU: 48
; NumVGPRsForWavesPerEU: 118
; AccumOffset: 120
; Occupancy: 4
; WaveLimiterHint : 1
; COMPUTE_PGM_RSRC2:SCRATCH_EN: 0
; COMPUTE_PGM_RSRC2:USER_SGPR: 6
; COMPUTE_PGM_RSRC2:TRAP_HANDLER: 0
; COMPUTE_PGM_RSRC2:TGID_X_EN: 1
; COMPUTE_PGM_RSRC2:TGID_Y_EN: 0
; COMPUTE_PGM_RSRC2:TGID_Z_EN: 0
; COMPUTE_PGM_RSRC2:TIDIG_COMP_CNT: 0
; COMPUTE_PGM_RSRC3_GFX90A:ACCUM_OFFSET: 29
; COMPUTE_PGM_RSRC3_GFX90A:TG_SPLIT: 0
	.section	.text._ZN7rocprim17ROCPRIM_400000_NS6detail17trampoline_kernelINS0_14default_configENS1_25partition_config_selectorILNS1_17partition_subalgoE0EsNS0_10empty_typeEbEEZZNS1_14partition_implILS5_0ELb0ES3_jN6thrust23THRUST_200600_302600_NS6detail15normal_iteratorINSA_10device_ptrIsEEEEPS6_SG_NS0_5tupleIJSF_SF_EEENSH_IJSG_SG_EEES6_PlJ7is_evenIsEEEE10hipError_tPvRmT3_T4_T5_T6_T7_T9_mT8_P12ihipStream_tbDpT10_ENKUlT_T0_E_clISt17integral_constantIbLb0EES15_IbLb1EEEEDaS11_S12_EUlS11_E_NS1_11comp_targetILNS1_3genE3ELNS1_11target_archE908ELNS1_3gpuE7ELNS1_3repE0EEENS1_30default_config_static_selectorELNS0_4arch9wavefront6targetE1EEEvT1_,"axG",@progbits,_ZN7rocprim17ROCPRIM_400000_NS6detail17trampoline_kernelINS0_14default_configENS1_25partition_config_selectorILNS1_17partition_subalgoE0EsNS0_10empty_typeEbEEZZNS1_14partition_implILS5_0ELb0ES3_jN6thrust23THRUST_200600_302600_NS6detail15normal_iteratorINSA_10device_ptrIsEEEEPS6_SG_NS0_5tupleIJSF_SF_EEENSH_IJSG_SG_EEES6_PlJ7is_evenIsEEEE10hipError_tPvRmT3_T4_T5_T6_T7_T9_mT8_P12ihipStream_tbDpT10_ENKUlT_T0_E_clISt17integral_constantIbLb0EES15_IbLb1EEEEDaS11_S12_EUlS11_E_NS1_11comp_targetILNS1_3genE3ELNS1_11target_archE908ELNS1_3gpuE7ELNS1_3repE0EEENS1_30default_config_static_selectorELNS0_4arch9wavefront6targetE1EEEvT1_,comdat
	.protected	_ZN7rocprim17ROCPRIM_400000_NS6detail17trampoline_kernelINS0_14default_configENS1_25partition_config_selectorILNS1_17partition_subalgoE0EsNS0_10empty_typeEbEEZZNS1_14partition_implILS5_0ELb0ES3_jN6thrust23THRUST_200600_302600_NS6detail15normal_iteratorINSA_10device_ptrIsEEEEPS6_SG_NS0_5tupleIJSF_SF_EEENSH_IJSG_SG_EEES6_PlJ7is_evenIsEEEE10hipError_tPvRmT3_T4_T5_T6_T7_T9_mT8_P12ihipStream_tbDpT10_ENKUlT_T0_E_clISt17integral_constantIbLb0EES15_IbLb1EEEEDaS11_S12_EUlS11_E_NS1_11comp_targetILNS1_3genE3ELNS1_11target_archE908ELNS1_3gpuE7ELNS1_3repE0EEENS1_30default_config_static_selectorELNS0_4arch9wavefront6targetE1EEEvT1_ ; -- Begin function _ZN7rocprim17ROCPRIM_400000_NS6detail17trampoline_kernelINS0_14default_configENS1_25partition_config_selectorILNS1_17partition_subalgoE0EsNS0_10empty_typeEbEEZZNS1_14partition_implILS5_0ELb0ES3_jN6thrust23THRUST_200600_302600_NS6detail15normal_iteratorINSA_10device_ptrIsEEEEPS6_SG_NS0_5tupleIJSF_SF_EEENSH_IJSG_SG_EEES6_PlJ7is_evenIsEEEE10hipError_tPvRmT3_T4_T5_T6_T7_T9_mT8_P12ihipStream_tbDpT10_ENKUlT_T0_E_clISt17integral_constantIbLb0EES15_IbLb1EEEEDaS11_S12_EUlS11_E_NS1_11comp_targetILNS1_3genE3ELNS1_11target_archE908ELNS1_3gpuE7ELNS1_3repE0EEENS1_30default_config_static_selectorELNS0_4arch9wavefront6targetE1EEEvT1_
	.globl	_ZN7rocprim17ROCPRIM_400000_NS6detail17trampoline_kernelINS0_14default_configENS1_25partition_config_selectorILNS1_17partition_subalgoE0EsNS0_10empty_typeEbEEZZNS1_14partition_implILS5_0ELb0ES3_jN6thrust23THRUST_200600_302600_NS6detail15normal_iteratorINSA_10device_ptrIsEEEEPS6_SG_NS0_5tupleIJSF_SF_EEENSH_IJSG_SG_EEES6_PlJ7is_evenIsEEEE10hipError_tPvRmT3_T4_T5_T6_T7_T9_mT8_P12ihipStream_tbDpT10_ENKUlT_T0_E_clISt17integral_constantIbLb0EES15_IbLb1EEEEDaS11_S12_EUlS11_E_NS1_11comp_targetILNS1_3genE3ELNS1_11target_archE908ELNS1_3gpuE7ELNS1_3repE0EEENS1_30default_config_static_selectorELNS0_4arch9wavefront6targetE1EEEvT1_
	.p2align	8
	.type	_ZN7rocprim17ROCPRIM_400000_NS6detail17trampoline_kernelINS0_14default_configENS1_25partition_config_selectorILNS1_17partition_subalgoE0EsNS0_10empty_typeEbEEZZNS1_14partition_implILS5_0ELb0ES3_jN6thrust23THRUST_200600_302600_NS6detail15normal_iteratorINSA_10device_ptrIsEEEEPS6_SG_NS0_5tupleIJSF_SF_EEENSH_IJSG_SG_EEES6_PlJ7is_evenIsEEEE10hipError_tPvRmT3_T4_T5_T6_T7_T9_mT8_P12ihipStream_tbDpT10_ENKUlT_T0_E_clISt17integral_constantIbLb0EES15_IbLb1EEEEDaS11_S12_EUlS11_E_NS1_11comp_targetILNS1_3genE3ELNS1_11target_archE908ELNS1_3gpuE7ELNS1_3repE0EEENS1_30default_config_static_selectorELNS0_4arch9wavefront6targetE1EEEvT1_,@function
_ZN7rocprim17ROCPRIM_400000_NS6detail17trampoline_kernelINS0_14default_configENS1_25partition_config_selectorILNS1_17partition_subalgoE0EsNS0_10empty_typeEbEEZZNS1_14partition_implILS5_0ELb0ES3_jN6thrust23THRUST_200600_302600_NS6detail15normal_iteratorINSA_10device_ptrIsEEEEPS6_SG_NS0_5tupleIJSF_SF_EEENSH_IJSG_SG_EEES6_PlJ7is_evenIsEEEE10hipError_tPvRmT3_T4_T5_T6_T7_T9_mT8_P12ihipStream_tbDpT10_ENKUlT_T0_E_clISt17integral_constantIbLb0EES15_IbLb1EEEEDaS11_S12_EUlS11_E_NS1_11comp_targetILNS1_3genE3ELNS1_11target_archE908ELNS1_3gpuE7ELNS1_3repE0EEENS1_30default_config_static_selectorELNS0_4arch9wavefront6targetE1EEEvT1_: ; @_ZN7rocprim17ROCPRIM_400000_NS6detail17trampoline_kernelINS0_14default_configENS1_25partition_config_selectorILNS1_17partition_subalgoE0EsNS0_10empty_typeEbEEZZNS1_14partition_implILS5_0ELb0ES3_jN6thrust23THRUST_200600_302600_NS6detail15normal_iteratorINSA_10device_ptrIsEEEEPS6_SG_NS0_5tupleIJSF_SF_EEENSH_IJSG_SG_EEES6_PlJ7is_evenIsEEEE10hipError_tPvRmT3_T4_T5_T6_T7_T9_mT8_P12ihipStream_tbDpT10_ENKUlT_T0_E_clISt17integral_constantIbLb0EES15_IbLb1EEEEDaS11_S12_EUlS11_E_NS1_11comp_targetILNS1_3genE3ELNS1_11target_archE908ELNS1_3gpuE7ELNS1_3repE0EEENS1_30default_config_static_selectorELNS0_4arch9wavefront6targetE1EEEvT1_
; %bb.0:
	.section	.rodata,"a",@progbits
	.p2align	6, 0x0
	.amdhsa_kernel _ZN7rocprim17ROCPRIM_400000_NS6detail17trampoline_kernelINS0_14default_configENS1_25partition_config_selectorILNS1_17partition_subalgoE0EsNS0_10empty_typeEbEEZZNS1_14partition_implILS5_0ELb0ES3_jN6thrust23THRUST_200600_302600_NS6detail15normal_iteratorINSA_10device_ptrIsEEEEPS6_SG_NS0_5tupleIJSF_SF_EEENSH_IJSG_SG_EEES6_PlJ7is_evenIsEEEE10hipError_tPvRmT3_T4_T5_T6_T7_T9_mT8_P12ihipStream_tbDpT10_ENKUlT_T0_E_clISt17integral_constantIbLb0EES15_IbLb1EEEEDaS11_S12_EUlS11_E_NS1_11comp_targetILNS1_3genE3ELNS1_11target_archE908ELNS1_3gpuE7ELNS1_3repE0EEENS1_30default_config_static_selectorELNS0_4arch9wavefront6targetE1EEEvT1_
		.amdhsa_group_segment_fixed_size 0
		.amdhsa_private_segment_fixed_size 0
		.amdhsa_kernarg_size 136
		.amdhsa_user_sgpr_count 6
		.amdhsa_user_sgpr_private_segment_buffer 1
		.amdhsa_user_sgpr_dispatch_ptr 0
		.amdhsa_user_sgpr_queue_ptr 0
		.amdhsa_user_sgpr_kernarg_segment_ptr 1
		.amdhsa_user_sgpr_dispatch_id 0
		.amdhsa_user_sgpr_flat_scratch_init 0
		.amdhsa_user_sgpr_kernarg_preload_length 0
		.amdhsa_user_sgpr_kernarg_preload_offset 0
		.amdhsa_user_sgpr_private_segment_size 0
		.amdhsa_uses_dynamic_stack 0
		.amdhsa_system_sgpr_private_segment_wavefront_offset 0
		.amdhsa_system_sgpr_workgroup_id_x 1
		.amdhsa_system_sgpr_workgroup_id_y 0
		.amdhsa_system_sgpr_workgroup_id_z 0
		.amdhsa_system_sgpr_workgroup_info 0
		.amdhsa_system_vgpr_workitem_id 0
		.amdhsa_next_free_vgpr 1
		.amdhsa_next_free_sgpr 0
		.amdhsa_accum_offset 4
		.amdhsa_reserve_vcc 0
		.amdhsa_reserve_flat_scratch 0
		.amdhsa_float_round_mode_32 0
		.amdhsa_float_round_mode_16_64 0
		.amdhsa_float_denorm_mode_32 3
		.amdhsa_float_denorm_mode_16_64 3
		.amdhsa_dx10_clamp 1
		.amdhsa_ieee_mode 1
		.amdhsa_fp16_overflow 0
		.amdhsa_tg_split 0
		.amdhsa_exception_fp_ieee_invalid_op 0
		.amdhsa_exception_fp_denorm_src 0
		.amdhsa_exception_fp_ieee_div_zero 0
		.amdhsa_exception_fp_ieee_overflow 0
		.amdhsa_exception_fp_ieee_underflow 0
		.amdhsa_exception_fp_ieee_inexact 0
		.amdhsa_exception_int_div_zero 0
	.end_amdhsa_kernel
	.section	.text._ZN7rocprim17ROCPRIM_400000_NS6detail17trampoline_kernelINS0_14default_configENS1_25partition_config_selectorILNS1_17partition_subalgoE0EsNS0_10empty_typeEbEEZZNS1_14partition_implILS5_0ELb0ES3_jN6thrust23THRUST_200600_302600_NS6detail15normal_iteratorINSA_10device_ptrIsEEEEPS6_SG_NS0_5tupleIJSF_SF_EEENSH_IJSG_SG_EEES6_PlJ7is_evenIsEEEE10hipError_tPvRmT3_T4_T5_T6_T7_T9_mT8_P12ihipStream_tbDpT10_ENKUlT_T0_E_clISt17integral_constantIbLb0EES15_IbLb1EEEEDaS11_S12_EUlS11_E_NS1_11comp_targetILNS1_3genE3ELNS1_11target_archE908ELNS1_3gpuE7ELNS1_3repE0EEENS1_30default_config_static_selectorELNS0_4arch9wavefront6targetE1EEEvT1_,"axG",@progbits,_ZN7rocprim17ROCPRIM_400000_NS6detail17trampoline_kernelINS0_14default_configENS1_25partition_config_selectorILNS1_17partition_subalgoE0EsNS0_10empty_typeEbEEZZNS1_14partition_implILS5_0ELb0ES3_jN6thrust23THRUST_200600_302600_NS6detail15normal_iteratorINSA_10device_ptrIsEEEEPS6_SG_NS0_5tupleIJSF_SF_EEENSH_IJSG_SG_EEES6_PlJ7is_evenIsEEEE10hipError_tPvRmT3_T4_T5_T6_T7_T9_mT8_P12ihipStream_tbDpT10_ENKUlT_T0_E_clISt17integral_constantIbLb0EES15_IbLb1EEEEDaS11_S12_EUlS11_E_NS1_11comp_targetILNS1_3genE3ELNS1_11target_archE908ELNS1_3gpuE7ELNS1_3repE0EEENS1_30default_config_static_selectorELNS0_4arch9wavefront6targetE1EEEvT1_,comdat
.Lfunc_end380:
	.size	_ZN7rocprim17ROCPRIM_400000_NS6detail17trampoline_kernelINS0_14default_configENS1_25partition_config_selectorILNS1_17partition_subalgoE0EsNS0_10empty_typeEbEEZZNS1_14partition_implILS5_0ELb0ES3_jN6thrust23THRUST_200600_302600_NS6detail15normal_iteratorINSA_10device_ptrIsEEEEPS6_SG_NS0_5tupleIJSF_SF_EEENSH_IJSG_SG_EEES6_PlJ7is_evenIsEEEE10hipError_tPvRmT3_T4_T5_T6_T7_T9_mT8_P12ihipStream_tbDpT10_ENKUlT_T0_E_clISt17integral_constantIbLb0EES15_IbLb1EEEEDaS11_S12_EUlS11_E_NS1_11comp_targetILNS1_3genE3ELNS1_11target_archE908ELNS1_3gpuE7ELNS1_3repE0EEENS1_30default_config_static_selectorELNS0_4arch9wavefront6targetE1EEEvT1_, .Lfunc_end380-_ZN7rocprim17ROCPRIM_400000_NS6detail17trampoline_kernelINS0_14default_configENS1_25partition_config_selectorILNS1_17partition_subalgoE0EsNS0_10empty_typeEbEEZZNS1_14partition_implILS5_0ELb0ES3_jN6thrust23THRUST_200600_302600_NS6detail15normal_iteratorINSA_10device_ptrIsEEEEPS6_SG_NS0_5tupleIJSF_SF_EEENSH_IJSG_SG_EEES6_PlJ7is_evenIsEEEE10hipError_tPvRmT3_T4_T5_T6_T7_T9_mT8_P12ihipStream_tbDpT10_ENKUlT_T0_E_clISt17integral_constantIbLb0EES15_IbLb1EEEEDaS11_S12_EUlS11_E_NS1_11comp_targetILNS1_3genE3ELNS1_11target_archE908ELNS1_3gpuE7ELNS1_3repE0EEENS1_30default_config_static_selectorELNS0_4arch9wavefront6targetE1EEEvT1_
                                        ; -- End function
	.section	.AMDGPU.csdata,"",@progbits
; Kernel info:
; codeLenInByte = 0
; NumSgprs: 4
; NumVgprs: 0
; NumAgprs: 0
; TotalNumVgprs: 0
; ScratchSize: 0
; MemoryBound: 0
; FloatMode: 240
; IeeeMode: 1
; LDSByteSize: 0 bytes/workgroup (compile time only)
; SGPRBlocks: 0
; VGPRBlocks: 0
; NumSGPRsForWavesPerEU: 4
; NumVGPRsForWavesPerEU: 1
; AccumOffset: 4
; Occupancy: 8
; WaveLimiterHint : 0
; COMPUTE_PGM_RSRC2:SCRATCH_EN: 0
; COMPUTE_PGM_RSRC2:USER_SGPR: 6
; COMPUTE_PGM_RSRC2:TRAP_HANDLER: 0
; COMPUTE_PGM_RSRC2:TGID_X_EN: 1
; COMPUTE_PGM_RSRC2:TGID_Y_EN: 0
; COMPUTE_PGM_RSRC2:TGID_Z_EN: 0
; COMPUTE_PGM_RSRC2:TIDIG_COMP_CNT: 0
; COMPUTE_PGM_RSRC3_GFX90A:ACCUM_OFFSET: 0
; COMPUTE_PGM_RSRC3_GFX90A:TG_SPLIT: 0
	.section	.text._ZN7rocprim17ROCPRIM_400000_NS6detail17trampoline_kernelINS0_14default_configENS1_25partition_config_selectorILNS1_17partition_subalgoE0EsNS0_10empty_typeEbEEZZNS1_14partition_implILS5_0ELb0ES3_jN6thrust23THRUST_200600_302600_NS6detail15normal_iteratorINSA_10device_ptrIsEEEEPS6_SG_NS0_5tupleIJSF_SF_EEENSH_IJSG_SG_EEES6_PlJ7is_evenIsEEEE10hipError_tPvRmT3_T4_T5_T6_T7_T9_mT8_P12ihipStream_tbDpT10_ENKUlT_T0_E_clISt17integral_constantIbLb0EES15_IbLb1EEEEDaS11_S12_EUlS11_E_NS1_11comp_targetILNS1_3genE2ELNS1_11target_archE906ELNS1_3gpuE6ELNS1_3repE0EEENS1_30default_config_static_selectorELNS0_4arch9wavefront6targetE1EEEvT1_,"axG",@progbits,_ZN7rocprim17ROCPRIM_400000_NS6detail17trampoline_kernelINS0_14default_configENS1_25partition_config_selectorILNS1_17partition_subalgoE0EsNS0_10empty_typeEbEEZZNS1_14partition_implILS5_0ELb0ES3_jN6thrust23THRUST_200600_302600_NS6detail15normal_iteratorINSA_10device_ptrIsEEEEPS6_SG_NS0_5tupleIJSF_SF_EEENSH_IJSG_SG_EEES6_PlJ7is_evenIsEEEE10hipError_tPvRmT3_T4_T5_T6_T7_T9_mT8_P12ihipStream_tbDpT10_ENKUlT_T0_E_clISt17integral_constantIbLb0EES15_IbLb1EEEEDaS11_S12_EUlS11_E_NS1_11comp_targetILNS1_3genE2ELNS1_11target_archE906ELNS1_3gpuE6ELNS1_3repE0EEENS1_30default_config_static_selectorELNS0_4arch9wavefront6targetE1EEEvT1_,comdat
	.protected	_ZN7rocprim17ROCPRIM_400000_NS6detail17trampoline_kernelINS0_14default_configENS1_25partition_config_selectorILNS1_17partition_subalgoE0EsNS0_10empty_typeEbEEZZNS1_14partition_implILS5_0ELb0ES3_jN6thrust23THRUST_200600_302600_NS6detail15normal_iteratorINSA_10device_ptrIsEEEEPS6_SG_NS0_5tupleIJSF_SF_EEENSH_IJSG_SG_EEES6_PlJ7is_evenIsEEEE10hipError_tPvRmT3_T4_T5_T6_T7_T9_mT8_P12ihipStream_tbDpT10_ENKUlT_T0_E_clISt17integral_constantIbLb0EES15_IbLb1EEEEDaS11_S12_EUlS11_E_NS1_11comp_targetILNS1_3genE2ELNS1_11target_archE906ELNS1_3gpuE6ELNS1_3repE0EEENS1_30default_config_static_selectorELNS0_4arch9wavefront6targetE1EEEvT1_ ; -- Begin function _ZN7rocprim17ROCPRIM_400000_NS6detail17trampoline_kernelINS0_14default_configENS1_25partition_config_selectorILNS1_17partition_subalgoE0EsNS0_10empty_typeEbEEZZNS1_14partition_implILS5_0ELb0ES3_jN6thrust23THRUST_200600_302600_NS6detail15normal_iteratorINSA_10device_ptrIsEEEEPS6_SG_NS0_5tupleIJSF_SF_EEENSH_IJSG_SG_EEES6_PlJ7is_evenIsEEEE10hipError_tPvRmT3_T4_T5_T6_T7_T9_mT8_P12ihipStream_tbDpT10_ENKUlT_T0_E_clISt17integral_constantIbLb0EES15_IbLb1EEEEDaS11_S12_EUlS11_E_NS1_11comp_targetILNS1_3genE2ELNS1_11target_archE906ELNS1_3gpuE6ELNS1_3repE0EEENS1_30default_config_static_selectorELNS0_4arch9wavefront6targetE1EEEvT1_
	.globl	_ZN7rocprim17ROCPRIM_400000_NS6detail17trampoline_kernelINS0_14default_configENS1_25partition_config_selectorILNS1_17partition_subalgoE0EsNS0_10empty_typeEbEEZZNS1_14partition_implILS5_0ELb0ES3_jN6thrust23THRUST_200600_302600_NS6detail15normal_iteratorINSA_10device_ptrIsEEEEPS6_SG_NS0_5tupleIJSF_SF_EEENSH_IJSG_SG_EEES6_PlJ7is_evenIsEEEE10hipError_tPvRmT3_T4_T5_T6_T7_T9_mT8_P12ihipStream_tbDpT10_ENKUlT_T0_E_clISt17integral_constantIbLb0EES15_IbLb1EEEEDaS11_S12_EUlS11_E_NS1_11comp_targetILNS1_3genE2ELNS1_11target_archE906ELNS1_3gpuE6ELNS1_3repE0EEENS1_30default_config_static_selectorELNS0_4arch9wavefront6targetE1EEEvT1_
	.p2align	8
	.type	_ZN7rocprim17ROCPRIM_400000_NS6detail17trampoline_kernelINS0_14default_configENS1_25partition_config_selectorILNS1_17partition_subalgoE0EsNS0_10empty_typeEbEEZZNS1_14partition_implILS5_0ELb0ES3_jN6thrust23THRUST_200600_302600_NS6detail15normal_iteratorINSA_10device_ptrIsEEEEPS6_SG_NS0_5tupleIJSF_SF_EEENSH_IJSG_SG_EEES6_PlJ7is_evenIsEEEE10hipError_tPvRmT3_T4_T5_T6_T7_T9_mT8_P12ihipStream_tbDpT10_ENKUlT_T0_E_clISt17integral_constantIbLb0EES15_IbLb1EEEEDaS11_S12_EUlS11_E_NS1_11comp_targetILNS1_3genE2ELNS1_11target_archE906ELNS1_3gpuE6ELNS1_3repE0EEENS1_30default_config_static_selectorELNS0_4arch9wavefront6targetE1EEEvT1_,@function
_ZN7rocprim17ROCPRIM_400000_NS6detail17trampoline_kernelINS0_14default_configENS1_25partition_config_selectorILNS1_17partition_subalgoE0EsNS0_10empty_typeEbEEZZNS1_14partition_implILS5_0ELb0ES3_jN6thrust23THRUST_200600_302600_NS6detail15normal_iteratorINSA_10device_ptrIsEEEEPS6_SG_NS0_5tupleIJSF_SF_EEENSH_IJSG_SG_EEES6_PlJ7is_evenIsEEEE10hipError_tPvRmT3_T4_T5_T6_T7_T9_mT8_P12ihipStream_tbDpT10_ENKUlT_T0_E_clISt17integral_constantIbLb0EES15_IbLb1EEEEDaS11_S12_EUlS11_E_NS1_11comp_targetILNS1_3genE2ELNS1_11target_archE906ELNS1_3gpuE6ELNS1_3repE0EEENS1_30default_config_static_selectorELNS0_4arch9wavefront6targetE1EEEvT1_: ; @_ZN7rocprim17ROCPRIM_400000_NS6detail17trampoline_kernelINS0_14default_configENS1_25partition_config_selectorILNS1_17partition_subalgoE0EsNS0_10empty_typeEbEEZZNS1_14partition_implILS5_0ELb0ES3_jN6thrust23THRUST_200600_302600_NS6detail15normal_iteratorINSA_10device_ptrIsEEEEPS6_SG_NS0_5tupleIJSF_SF_EEENSH_IJSG_SG_EEES6_PlJ7is_evenIsEEEE10hipError_tPvRmT3_T4_T5_T6_T7_T9_mT8_P12ihipStream_tbDpT10_ENKUlT_T0_E_clISt17integral_constantIbLb0EES15_IbLb1EEEEDaS11_S12_EUlS11_E_NS1_11comp_targetILNS1_3genE2ELNS1_11target_archE906ELNS1_3gpuE6ELNS1_3repE0EEENS1_30default_config_static_selectorELNS0_4arch9wavefront6targetE1EEEvT1_
; %bb.0:
	.section	.rodata,"a",@progbits
	.p2align	6, 0x0
	.amdhsa_kernel _ZN7rocprim17ROCPRIM_400000_NS6detail17trampoline_kernelINS0_14default_configENS1_25partition_config_selectorILNS1_17partition_subalgoE0EsNS0_10empty_typeEbEEZZNS1_14partition_implILS5_0ELb0ES3_jN6thrust23THRUST_200600_302600_NS6detail15normal_iteratorINSA_10device_ptrIsEEEEPS6_SG_NS0_5tupleIJSF_SF_EEENSH_IJSG_SG_EEES6_PlJ7is_evenIsEEEE10hipError_tPvRmT3_T4_T5_T6_T7_T9_mT8_P12ihipStream_tbDpT10_ENKUlT_T0_E_clISt17integral_constantIbLb0EES15_IbLb1EEEEDaS11_S12_EUlS11_E_NS1_11comp_targetILNS1_3genE2ELNS1_11target_archE906ELNS1_3gpuE6ELNS1_3repE0EEENS1_30default_config_static_selectorELNS0_4arch9wavefront6targetE1EEEvT1_
		.amdhsa_group_segment_fixed_size 0
		.amdhsa_private_segment_fixed_size 0
		.amdhsa_kernarg_size 136
		.amdhsa_user_sgpr_count 6
		.amdhsa_user_sgpr_private_segment_buffer 1
		.amdhsa_user_sgpr_dispatch_ptr 0
		.amdhsa_user_sgpr_queue_ptr 0
		.amdhsa_user_sgpr_kernarg_segment_ptr 1
		.amdhsa_user_sgpr_dispatch_id 0
		.amdhsa_user_sgpr_flat_scratch_init 0
		.amdhsa_user_sgpr_kernarg_preload_length 0
		.amdhsa_user_sgpr_kernarg_preload_offset 0
		.amdhsa_user_sgpr_private_segment_size 0
		.amdhsa_uses_dynamic_stack 0
		.amdhsa_system_sgpr_private_segment_wavefront_offset 0
		.amdhsa_system_sgpr_workgroup_id_x 1
		.amdhsa_system_sgpr_workgroup_id_y 0
		.amdhsa_system_sgpr_workgroup_id_z 0
		.amdhsa_system_sgpr_workgroup_info 0
		.amdhsa_system_vgpr_workitem_id 0
		.amdhsa_next_free_vgpr 1
		.amdhsa_next_free_sgpr 0
		.amdhsa_accum_offset 4
		.amdhsa_reserve_vcc 0
		.amdhsa_reserve_flat_scratch 0
		.amdhsa_float_round_mode_32 0
		.amdhsa_float_round_mode_16_64 0
		.amdhsa_float_denorm_mode_32 3
		.amdhsa_float_denorm_mode_16_64 3
		.amdhsa_dx10_clamp 1
		.amdhsa_ieee_mode 1
		.amdhsa_fp16_overflow 0
		.amdhsa_tg_split 0
		.amdhsa_exception_fp_ieee_invalid_op 0
		.amdhsa_exception_fp_denorm_src 0
		.amdhsa_exception_fp_ieee_div_zero 0
		.amdhsa_exception_fp_ieee_overflow 0
		.amdhsa_exception_fp_ieee_underflow 0
		.amdhsa_exception_fp_ieee_inexact 0
		.amdhsa_exception_int_div_zero 0
	.end_amdhsa_kernel
	.section	.text._ZN7rocprim17ROCPRIM_400000_NS6detail17trampoline_kernelINS0_14default_configENS1_25partition_config_selectorILNS1_17partition_subalgoE0EsNS0_10empty_typeEbEEZZNS1_14partition_implILS5_0ELb0ES3_jN6thrust23THRUST_200600_302600_NS6detail15normal_iteratorINSA_10device_ptrIsEEEEPS6_SG_NS0_5tupleIJSF_SF_EEENSH_IJSG_SG_EEES6_PlJ7is_evenIsEEEE10hipError_tPvRmT3_T4_T5_T6_T7_T9_mT8_P12ihipStream_tbDpT10_ENKUlT_T0_E_clISt17integral_constantIbLb0EES15_IbLb1EEEEDaS11_S12_EUlS11_E_NS1_11comp_targetILNS1_3genE2ELNS1_11target_archE906ELNS1_3gpuE6ELNS1_3repE0EEENS1_30default_config_static_selectorELNS0_4arch9wavefront6targetE1EEEvT1_,"axG",@progbits,_ZN7rocprim17ROCPRIM_400000_NS6detail17trampoline_kernelINS0_14default_configENS1_25partition_config_selectorILNS1_17partition_subalgoE0EsNS0_10empty_typeEbEEZZNS1_14partition_implILS5_0ELb0ES3_jN6thrust23THRUST_200600_302600_NS6detail15normal_iteratorINSA_10device_ptrIsEEEEPS6_SG_NS0_5tupleIJSF_SF_EEENSH_IJSG_SG_EEES6_PlJ7is_evenIsEEEE10hipError_tPvRmT3_T4_T5_T6_T7_T9_mT8_P12ihipStream_tbDpT10_ENKUlT_T0_E_clISt17integral_constantIbLb0EES15_IbLb1EEEEDaS11_S12_EUlS11_E_NS1_11comp_targetILNS1_3genE2ELNS1_11target_archE906ELNS1_3gpuE6ELNS1_3repE0EEENS1_30default_config_static_selectorELNS0_4arch9wavefront6targetE1EEEvT1_,comdat
.Lfunc_end381:
	.size	_ZN7rocprim17ROCPRIM_400000_NS6detail17trampoline_kernelINS0_14default_configENS1_25partition_config_selectorILNS1_17partition_subalgoE0EsNS0_10empty_typeEbEEZZNS1_14partition_implILS5_0ELb0ES3_jN6thrust23THRUST_200600_302600_NS6detail15normal_iteratorINSA_10device_ptrIsEEEEPS6_SG_NS0_5tupleIJSF_SF_EEENSH_IJSG_SG_EEES6_PlJ7is_evenIsEEEE10hipError_tPvRmT3_T4_T5_T6_T7_T9_mT8_P12ihipStream_tbDpT10_ENKUlT_T0_E_clISt17integral_constantIbLb0EES15_IbLb1EEEEDaS11_S12_EUlS11_E_NS1_11comp_targetILNS1_3genE2ELNS1_11target_archE906ELNS1_3gpuE6ELNS1_3repE0EEENS1_30default_config_static_selectorELNS0_4arch9wavefront6targetE1EEEvT1_, .Lfunc_end381-_ZN7rocprim17ROCPRIM_400000_NS6detail17trampoline_kernelINS0_14default_configENS1_25partition_config_selectorILNS1_17partition_subalgoE0EsNS0_10empty_typeEbEEZZNS1_14partition_implILS5_0ELb0ES3_jN6thrust23THRUST_200600_302600_NS6detail15normal_iteratorINSA_10device_ptrIsEEEEPS6_SG_NS0_5tupleIJSF_SF_EEENSH_IJSG_SG_EEES6_PlJ7is_evenIsEEEE10hipError_tPvRmT3_T4_T5_T6_T7_T9_mT8_P12ihipStream_tbDpT10_ENKUlT_T0_E_clISt17integral_constantIbLb0EES15_IbLb1EEEEDaS11_S12_EUlS11_E_NS1_11comp_targetILNS1_3genE2ELNS1_11target_archE906ELNS1_3gpuE6ELNS1_3repE0EEENS1_30default_config_static_selectorELNS0_4arch9wavefront6targetE1EEEvT1_
                                        ; -- End function
	.section	.AMDGPU.csdata,"",@progbits
; Kernel info:
; codeLenInByte = 0
; NumSgprs: 4
; NumVgprs: 0
; NumAgprs: 0
; TotalNumVgprs: 0
; ScratchSize: 0
; MemoryBound: 0
; FloatMode: 240
; IeeeMode: 1
; LDSByteSize: 0 bytes/workgroup (compile time only)
; SGPRBlocks: 0
; VGPRBlocks: 0
; NumSGPRsForWavesPerEU: 4
; NumVGPRsForWavesPerEU: 1
; AccumOffset: 4
; Occupancy: 8
; WaveLimiterHint : 0
; COMPUTE_PGM_RSRC2:SCRATCH_EN: 0
; COMPUTE_PGM_RSRC2:USER_SGPR: 6
; COMPUTE_PGM_RSRC2:TRAP_HANDLER: 0
; COMPUTE_PGM_RSRC2:TGID_X_EN: 1
; COMPUTE_PGM_RSRC2:TGID_Y_EN: 0
; COMPUTE_PGM_RSRC2:TGID_Z_EN: 0
; COMPUTE_PGM_RSRC2:TIDIG_COMP_CNT: 0
; COMPUTE_PGM_RSRC3_GFX90A:ACCUM_OFFSET: 0
; COMPUTE_PGM_RSRC3_GFX90A:TG_SPLIT: 0
	.section	.text._ZN7rocprim17ROCPRIM_400000_NS6detail17trampoline_kernelINS0_14default_configENS1_25partition_config_selectorILNS1_17partition_subalgoE0EsNS0_10empty_typeEbEEZZNS1_14partition_implILS5_0ELb0ES3_jN6thrust23THRUST_200600_302600_NS6detail15normal_iteratorINSA_10device_ptrIsEEEEPS6_SG_NS0_5tupleIJSF_SF_EEENSH_IJSG_SG_EEES6_PlJ7is_evenIsEEEE10hipError_tPvRmT3_T4_T5_T6_T7_T9_mT8_P12ihipStream_tbDpT10_ENKUlT_T0_E_clISt17integral_constantIbLb0EES15_IbLb1EEEEDaS11_S12_EUlS11_E_NS1_11comp_targetILNS1_3genE10ELNS1_11target_archE1200ELNS1_3gpuE4ELNS1_3repE0EEENS1_30default_config_static_selectorELNS0_4arch9wavefront6targetE1EEEvT1_,"axG",@progbits,_ZN7rocprim17ROCPRIM_400000_NS6detail17trampoline_kernelINS0_14default_configENS1_25partition_config_selectorILNS1_17partition_subalgoE0EsNS0_10empty_typeEbEEZZNS1_14partition_implILS5_0ELb0ES3_jN6thrust23THRUST_200600_302600_NS6detail15normal_iteratorINSA_10device_ptrIsEEEEPS6_SG_NS0_5tupleIJSF_SF_EEENSH_IJSG_SG_EEES6_PlJ7is_evenIsEEEE10hipError_tPvRmT3_T4_T5_T6_T7_T9_mT8_P12ihipStream_tbDpT10_ENKUlT_T0_E_clISt17integral_constantIbLb0EES15_IbLb1EEEEDaS11_S12_EUlS11_E_NS1_11comp_targetILNS1_3genE10ELNS1_11target_archE1200ELNS1_3gpuE4ELNS1_3repE0EEENS1_30default_config_static_selectorELNS0_4arch9wavefront6targetE1EEEvT1_,comdat
	.protected	_ZN7rocprim17ROCPRIM_400000_NS6detail17trampoline_kernelINS0_14default_configENS1_25partition_config_selectorILNS1_17partition_subalgoE0EsNS0_10empty_typeEbEEZZNS1_14partition_implILS5_0ELb0ES3_jN6thrust23THRUST_200600_302600_NS6detail15normal_iteratorINSA_10device_ptrIsEEEEPS6_SG_NS0_5tupleIJSF_SF_EEENSH_IJSG_SG_EEES6_PlJ7is_evenIsEEEE10hipError_tPvRmT3_T4_T5_T6_T7_T9_mT8_P12ihipStream_tbDpT10_ENKUlT_T0_E_clISt17integral_constantIbLb0EES15_IbLb1EEEEDaS11_S12_EUlS11_E_NS1_11comp_targetILNS1_3genE10ELNS1_11target_archE1200ELNS1_3gpuE4ELNS1_3repE0EEENS1_30default_config_static_selectorELNS0_4arch9wavefront6targetE1EEEvT1_ ; -- Begin function _ZN7rocprim17ROCPRIM_400000_NS6detail17trampoline_kernelINS0_14default_configENS1_25partition_config_selectorILNS1_17partition_subalgoE0EsNS0_10empty_typeEbEEZZNS1_14partition_implILS5_0ELb0ES3_jN6thrust23THRUST_200600_302600_NS6detail15normal_iteratorINSA_10device_ptrIsEEEEPS6_SG_NS0_5tupleIJSF_SF_EEENSH_IJSG_SG_EEES6_PlJ7is_evenIsEEEE10hipError_tPvRmT3_T4_T5_T6_T7_T9_mT8_P12ihipStream_tbDpT10_ENKUlT_T0_E_clISt17integral_constantIbLb0EES15_IbLb1EEEEDaS11_S12_EUlS11_E_NS1_11comp_targetILNS1_3genE10ELNS1_11target_archE1200ELNS1_3gpuE4ELNS1_3repE0EEENS1_30default_config_static_selectorELNS0_4arch9wavefront6targetE1EEEvT1_
	.globl	_ZN7rocprim17ROCPRIM_400000_NS6detail17trampoline_kernelINS0_14default_configENS1_25partition_config_selectorILNS1_17partition_subalgoE0EsNS0_10empty_typeEbEEZZNS1_14partition_implILS5_0ELb0ES3_jN6thrust23THRUST_200600_302600_NS6detail15normal_iteratorINSA_10device_ptrIsEEEEPS6_SG_NS0_5tupleIJSF_SF_EEENSH_IJSG_SG_EEES6_PlJ7is_evenIsEEEE10hipError_tPvRmT3_T4_T5_T6_T7_T9_mT8_P12ihipStream_tbDpT10_ENKUlT_T0_E_clISt17integral_constantIbLb0EES15_IbLb1EEEEDaS11_S12_EUlS11_E_NS1_11comp_targetILNS1_3genE10ELNS1_11target_archE1200ELNS1_3gpuE4ELNS1_3repE0EEENS1_30default_config_static_selectorELNS0_4arch9wavefront6targetE1EEEvT1_
	.p2align	8
	.type	_ZN7rocprim17ROCPRIM_400000_NS6detail17trampoline_kernelINS0_14default_configENS1_25partition_config_selectorILNS1_17partition_subalgoE0EsNS0_10empty_typeEbEEZZNS1_14partition_implILS5_0ELb0ES3_jN6thrust23THRUST_200600_302600_NS6detail15normal_iteratorINSA_10device_ptrIsEEEEPS6_SG_NS0_5tupleIJSF_SF_EEENSH_IJSG_SG_EEES6_PlJ7is_evenIsEEEE10hipError_tPvRmT3_T4_T5_T6_T7_T9_mT8_P12ihipStream_tbDpT10_ENKUlT_T0_E_clISt17integral_constantIbLb0EES15_IbLb1EEEEDaS11_S12_EUlS11_E_NS1_11comp_targetILNS1_3genE10ELNS1_11target_archE1200ELNS1_3gpuE4ELNS1_3repE0EEENS1_30default_config_static_selectorELNS0_4arch9wavefront6targetE1EEEvT1_,@function
_ZN7rocprim17ROCPRIM_400000_NS6detail17trampoline_kernelINS0_14default_configENS1_25partition_config_selectorILNS1_17partition_subalgoE0EsNS0_10empty_typeEbEEZZNS1_14partition_implILS5_0ELb0ES3_jN6thrust23THRUST_200600_302600_NS6detail15normal_iteratorINSA_10device_ptrIsEEEEPS6_SG_NS0_5tupleIJSF_SF_EEENSH_IJSG_SG_EEES6_PlJ7is_evenIsEEEE10hipError_tPvRmT3_T4_T5_T6_T7_T9_mT8_P12ihipStream_tbDpT10_ENKUlT_T0_E_clISt17integral_constantIbLb0EES15_IbLb1EEEEDaS11_S12_EUlS11_E_NS1_11comp_targetILNS1_3genE10ELNS1_11target_archE1200ELNS1_3gpuE4ELNS1_3repE0EEENS1_30default_config_static_selectorELNS0_4arch9wavefront6targetE1EEEvT1_: ; @_ZN7rocprim17ROCPRIM_400000_NS6detail17trampoline_kernelINS0_14default_configENS1_25partition_config_selectorILNS1_17partition_subalgoE0EsNS0_10empty_typeEbEEZZNS1_14partition_implILS5_0ELb0ES3_jN6thrust23THRUST_200600_302600_NS6detail15normal_iteratorINSA_10device_ptrIsEEEEPS6_SG_NS0_5tupleIJSF_SF_EEENSH_IJSG_SG_EEES6_PlJ7is_evenIsEEEE10hipError_tPvRmT3_T4_T5_T6_T7_T9_mT8_P12ihipStream_tbDpT10_ENKUlT_T0_E_clISt17integral_constantIbLb0EES15_IbLb1EEEEDaS11_S12_EUlS11_E_NS1_11comp_targetILNS1_3genE10ELNS1_11target_archE1200ELNS1_3gpuE4ELNS1_3repE0EEENS1_30default_config_static_selectorELNS0_4arch9wavefront6targetE1EEEvT1_
; %bb.0:
	.section	.rodata,"a",@progbits
	.p2align	6, 0x0
	.amdhsa_kernel _ZN7rocprim17ROCPRIM_400000_NS6detail17trampoline_kernelINS0_14default_configENS1_25partition_config_selectorILNS1_17partition_subalgoE0EsNS0_10empty_typeEbEEZZNS1_14partition_implILS5_0ELb0ES3_jN6thrust23THRUST_200600_302600_NS6detail15normal_iteratorINSA_10device_ptrIsEEEEPS6_SG_NS0_5tupleIJSF_SF_EEENSH_IJSG_SG_EEES6_PlJ7is_evenIsEEEE10hipError_tPvRmT3_T4_T5_T6_T7_T9_mT8_P12ihipStream_tbDpT10_ENKUlT_T0_E_clISt17integral_constantIbLb0EES15_IbLb1EEEEDaS11_S12_EUlS11_E_NS1_11comp_targetILNS1_3genE10ELNS1_11target_archE1200ELNS1_3gpuE4ELNS1_3repE0EEENS1_30default_config_static_selectorELNS0_4arch9wavefront6targetE1EEEvT1_
		.amdhsa_group_segment_fixed_size 0
		.amdhsa_private_segment_fixed_size 0
		.amdhsa_kernarg_size 136
		.amdhsa_user_sgpr_count 6
		.amdhsa_user_sgpr_private_segment_buffer 1
		.amdhsa_user_sgpr_dispatch_ptr 0
		.amdhsa_user_sgpr_queue_ptr 0
		.amdhsa_user_sgpr_kernarg_segment_ptr 1
		.amdhsa_user_sgpr_dispatch_id 0
		.amdhsa_user_sgpr_flat_scratch_init 0
		.amdhsa_user_sgpr_kernarg_preload_length 0
		.amdhsa_user_sgpr_kernarg_preload_offset 0
		.amdhsa_user_sgpr_private_segment_size 0
		.amdhsa_uses_dynamic_stack 0
		.amdhsa_system_sgpr_private_segment_wavefront_offset 0
		.amdhsa_system_sgpr_workgroup_id_x 1
		.amdhsa_system_sgpr_workgroup_id_y 0
		.amdhsa_system_sgpr_workgroup_id_z 0
		.amdhsa_system_sgpr_workgroup_info 0
		.amdhsa_system_vgpr_workitem_id 0
		.amdhsa_next_free_vgpr 1
		.amdhsa_next_free_sgpr 0
		.amdhsa_accum_offset 4
		.amdhsa_reserve_vcc 0
		.amdhsa_reserve_flat_scratch 0
		.amdhsa_float_round_mode_32 0
		.amdhsa_float_round_mode_16_64 0
		.amdhsa_float_denorm_mode_32 3
		.amdhsa_float_denorm_mode_16_64 3
		.amdhsa_dx10_clamp 1
		.amdhsa_ieee_mode 1
		.amdhsa_fp16_overflow 0
		.amdhsa_tg_split 0
		.amdhsa_exception_fp_ieee_invalid_op 0
		.amdhsa_exception_fp_denorm_src 0
		.amdhsa_exception_fp_ieee_div_zero 0
		.amdhsa_exception_fp_ieee_overflow 0
		.amdhsa_exception_fp_ieee_underflow 0
		.amdhsa_exception_fp_ieee_inexact 0
		.amdhsa_exception_int_div_zero 0
	.end_amdhsa_kernel
	.section	.text._ZN7rocprim17ROCPRIM_400000_NS6detail17trampoline_kernelINS0_14default_configENS1_25partition_config_selectorILNS1_17partition_subalgoE0EsNS0_10empty_typeEbEEZZNS1_14partition_implILS5_0ELb0ES3_jN6thrust23THRUST_200600_302600_NS6detail15normal_iteratorINSA_10device_ptrIsEEEEPS6_SG_NS0_5tupleIJSF_SF_EEENSH_IJSG_SG_EEES6_PlJ7is_evenIsEEEE10hipError_tPvRmT3_T4_T5_T6_T7_T9_mT8_P12ihipStream_tbDpT10_ENKUlT_T0_E_clISt17integral_constantIbLb0EES15_IbLb1EEEEDaS11_S12_EUlS11_E_NS1_11comp_targetILNS1_3genE10ELNS1_11target_archE1200ELNS1_3gpuE4ELNS1_3repE0EEENS1_30default_config_static_selectorELNS0_4arch9wavefront6targetE1EEEvT1_,"axG",@progbits,_ZN7rocprim17ROCPRIM_400000_NS6detail17trampoline_kernelINS0_14default_configENS1_25partition_config_selectorILNS1_17partition_subalgoE0EsNS0_10empty_typeEbEEZZNS1_14partition_implILS5_0ELb0ES3_jN6thrust23THRUST_200600_302600_NS6detail15normal_iteratorINSA_10device_ptrIsEEEEPS6_SG_NS0_5tupleIJSF_SF_EEENSH_IJSG_SG_EEES6_PlJ7is_evenIsEEEE10hipError_tPvRmT3_T4_T5_T6_T7_T9_mT8_P12ihipStream_tbDpT10_ENKUlT_T0_E_clISt17integral_constantIbLb0EES15_IbLb1EEEEDaS11_S12_EUlS11_E_NS1_11comp_targetILNS1_3genE10ELNS1_11target_archE1200ELNS1_3gpuE4ELNS1_3repE0EEENS1_30default_config_static_selectorELNS0_4arch9wavefront6targetE1EEEvT1_,comdat
.Lfunc_end382:
	.size	_ZN7rocprim17ROCPRIM_400000_NS6detail17trampoline_kernelINS0_14default_configENS1_25partition_config_selectorILNS1_17partition_subalgoE0EsNS0_10empty_typeEbEEZZNS1_14partition_implILS5_0ELb0ES3_jN6thrust23THRUST_200600_302600_NS6detail15normal_iteratorINSA_10device_ptrIsEEEEPS6_SG_NS0_5tupleIJSF_SF_EEENSH_IJSG_SG_EEES6_PlJ7is_evenIsEEEE10hipError_tPvRmT3_T4_T5_T6_T7_T9_mT8_P12ihipStream_tbDpT10_ENKUlT_T0_E_clISt17integral_constantIbLb0EES15_IbLb1EEEEDaS11_S12_EUlS11_E_NS1_11comp_targetILNS1_3genE10ELNS1_11target_archE1200ELNS1_3gpuE4ELNS1_3repE0EEENS1_30default_config_static_selectorELNS0_4arch9wavefront6targetE1EEEvT1_, .Lfunc_end382-_ZN7rocprim17ROCPRIM_400000_NS6detail17trampoline_kernelINS0_14default_configENS1_25partition_config_selectorILNS1_17partition_subalgoE0EsNS0_10empty_typeEbEEZZNS1_14partition_implILS5_0ELb0ES3_jN6thrust23THRUST_200600_302600_NS6detail15normal_iteratorINSA_10device_ptrIsEEEEPS6_SG_NS0_5tupleIJSF_SF_EEENSH_IJSG_SG_EEES6_PlJ7is_evenIsEEEE10hipError_tPvRmT3_T4_T5_T6_T7_T9_mT8_P12ihipStream_tbDpT10_ENKUlT_T0_E_clISt17integral_constantIbLb0EES15_IbLb1EEEEDaS11_S12_EUlS11_E_NS1_11comp_targetILNS1_3genE10ELNS1_11target_archE1200ELNS1_3gpuE4ELNS1_3repE0EEENS1_30default_config_static_selectorELNS0_4arch9wavefront6targetE1EEEvT1_
                                        ; -- End function
	.section	.AMDGPU.csdata,"",@progbits
; Kernel info:
; codeLenInByte = 0
; NumSgprs: 4
; NumVgprs: 0
; NumAgprs: 0
; TotalNumVgprs: 0
; ScratchSize: 0
; MemoryBound: 0
; FloatMode: 240
; IeeeMode: 1
; LDSByteSize: 0 bytes/workgroup (compile time only)
; SGPRBlocks: 0
; VGPRBlocks: 0
; NumSGPRsForWavesPerEU: 4
; NumVGPRsForWavesPerEU: 1
; AccumOffset: 4
; Occupancy: 8
; WaveLimiterHint : 0
; COMPUTE_PGM_RSRC2:SCRATCH_EN: 0
; COMPUTE_PGM_RSRC2:USER_SGPR: 6
; COMPUTE_PGM_RSRC2:TRAP_HANDLER: 0
; COMPUTE_PGM_RSRC2:TGID_X_EN: 1
; COMPUTE_PGM_RSRC2:TGID_Y_EN: 0
; COMPUTE_PGM_RSRC2:TGID_Z_EN: 0
; COMPUTE_PGM_RSRC2:TIDIG_COMP_CNT: 0
; COMPUTE_PGM_RSRC3_GFX90A:ACCUM_OFFSET: 0
; COMPUTE_PGM_RSRC3_GFX90A:TG_SPLIT: 0
	.section	.text._ZN7rocprim17ROCPRIM_400000_NS6detail17trampoline_kernelINS0_14default_configENS1_25partition_config_selectorILNS1_17partition_subalgoE0EsNS0_10empty_typeEbEEZZNS1_14partition_implILS5_0ELb0ES3_jN6thrust23THRUST_200600_302600_NS6detail15normal_iteratorINSA_10device_ptrIsEEEEPS6_SG_NS0_5tupleIJSF_SF_EEENSH_IJSG_SG_EEES6_PlJ7is_evenIsEEEE10hipError_tPvRmT3_T4_T5_T6_T7_T9_mT8_P12ihipStream_tbDpT10_ENKUlT_T0_E_clISt17integral_constantIbLb0EES15_IbLb1EEEEDaS11_S12_EUlS11_E_NS1_11comp_targetILNS1_3genE9ELNS1_11target_archE1100ELNS1_3gpuE3ELNS1_3repE0EEENS1_30default_config_static_selectorELNS0_4arch9wavefront6targetE1EEEvT1_,"axG",@progbits,_ZN7rocprim17ROCPRIM_400000_NS6detail17trampoline_kernelINS0_14default_configENS1_25partition_config_selectorILNS1_17partition_subalgoE0EsNS0_10empty_typeEbEEZZNS1_14partition_implILS5_0ELb0ES3_jN6thrust23THRUST_200600_302600_NS6detail15normal_iteratorINSA_10device_ptrIsEEEEPS6_SG_NS0_5tupleIJSF_SF_EEENSH_IJSG_SG_EEES6_PlJ7is_evenIsEEEE10hipError_tPvRmT3_T4_T5_T6_T7_T9_mT8_P12ihipStream_tbDpT10_ENKUlT_T0_E_clISt17integral_constantIbLb0EES15_IbLb1EEEEDaS11_S12_EUlS11_E_NS1_11comp_targetILNS1_3genE9ELNS1_11target_archE1100ELNS1_3gpuE3ELNS1_3repE0EEENS1_30default_config_static_selectorELNS0_4arch9wavefront6targetE1EEEvT1_,comdat
	.protected	_ZN7rocprim17ROCPRIM_400000_NS6detail17trampoline_kernelINS0_14default_configENS1_25partition_config_selectorILNS1_17partition_subalgoE0EsNS0_10empty_typeEbEEZZNS1_14partition_implILS5_0ELb0ES3_jN6thrust23THRUST_200600_302600_NS6detail15normal_iteratorINSA_10device_ptrIsEEEEPS6_SG_NS0_5tupleIJSF_SF_EEENSH_IJSG_SG_EEES6_PlJ7is_evenIsEEEE10hipError_tPvRmT3_T4_T5_T6_T7_T9_mT8_P12ihipStream_tbDpT10_ENKUlT_T0_E_clISt17integral_constantIbLb0EES15_IbLb1EEEEDaS11_S12_EUlS11_E_NS1_11comp_targetILNS1_3genE9ELNS1_11target_archE1100ELNS1_3gpuE3ELNS1_3repE0EEENS1_30default_config_static_selectorELNS0_4arch9wavefront6targetE1EEEvT1_ ; -- Begin function _ZN7rocprim17ROCPRIM_400000_NS6detail17trampoline_kernelINS0_14default_configENS1_25partition_config_selectorILNS1_17partition_subalgoE0EsNS0_10empty_typeEbEEZZNS1_14partition_implILS5_0ELb0ES3_jN6thrust23THRUST_200600_302600_NS6detail15normal_iteratorINSA_10device_ptrIsEEEEPS6_SG_NS0_5tupleIJSF_SF_EEENSH_IJSG_SG_EEES6_PlJ7is_evenIsEEEE10hipError_tPvRmT3_T4_T5_T6_T7_T9_mT8_P12ihipStream_tbDpT10_ENKUlT_T0_E_clISt17integral_constantIbLb0EES15_IbLb1EEEEDaS11_S12_EUlS11_E_NS1_11comp_targetILNS1_3genE9ELNS1_11target_archE1100ELNS1_3gpuE3ELNS1_3repE0EEENS1_30default_config_static_selectorELNS0_4arch9wavefront6targetE1EEEvT1_
	.globl	_ZN7rocprim17ROCPRIM_400000_NS6detail17trampoline_kernelINS0_14default_configENS1_25partition_config_selectorILNS1_17partition_subalgoE0EsNS0_10empty_typeEbEEZZNS1_14partition_implILS5_0ELb0ES3_jN6thrust23THRUST_200600_302600_NS6detail15normal_iteratorINSA_10device_ptrIsEEEEPS6_SG_NS0_5tupleIJSF_SF_EEENSH_IJSG_SG_EEES6_PlJ7is_evenIsEEEE10hipError_tPvRmT3_T4_T5_T6_T7_T9_mT8_P12ihipStream_tbDpT10_ENKUlT_T0_E_clISt17integral_constantIbLb0EES15_IbLb1EEEEDaS11_S12_EUlS11_E_NS1_11comp_targetILNS1_3genE9ELNS1_11target_archE1100ELNS1_3gpuE3ELNS1_3repE0EEENS1_30default_config_static_selectorELNS0_4arch9wavefront6targetE1EEEvT1_
	.p2align	8
	.type	_ZN7rocprim17ROCPRIM_400000_NS6detail17trampoline_kernelINS0_14default_configENS1_25partition_config_selectorILNS1_17partition_subalgoE0EsNS0_10empty_typeEbEEZZNS1_14partition_implILS5_0ELb0ES3_jN6thrust23THRUST_200600_302600_NS6detail15normal_iteratorINSA_10device_ptrIsEEEEPS6_SG_NS0_5tupleIJSF_SF_EEENSH_IJSG_SG_EEES6_PlJ7is_evenIsEEEE10hipError_tPvRmT3_T4_T5_T6_T7_T9_mT8_P12ihipStream_tbDpT10_ENKUlT_T0_E_clISt17integral_constantIbLb0EES15_IbLb1EEEEDaS11_S12_EUlS11_E_NS1_11comp_targetILNS1_3genE9ELNS1_11target_archE1100ELNS1_3gpuE3ELNS1_3repE0EEENS1_30default_config_static_selectorELNS0_4arch9wavefront6targetE1EEEvT1_,@function
_ZN7rocprim17ROCPRIM_400000_NS6detail17trampoline_kernelINS0_14default_configENS1_25partition_config_selectorILNS1_17partition_subalgoE0EsNS0_10empty_typeEbEEZZNS1_14partition_implILS5_0ELb0ES3_jN6thrust23THRUST_200600_302600_NS6detail15normal_iteratorINSA_10device_ptrIsEEEEPS6_SG_NS0_5tupleIJSF_SF_EEENSH_IJSG_SG_EEES6_PlJ7is_evenIsEEEE10hipError_tPvRmT3_T4_T5_T6_T7_T9_mT8_P12ihipStream_tbDpT10_ENKUlT_T0_E_clISt17integral_constantIbLb0EES15_IbLb1EEEEDaS11_S12_EUlS11_E_NS1_11comp_targetILNS1_3genE9ELNS1_11target_archE1100ELNS1_3gpuE3ELNS1_3repE0EEENS1_30default_config_static_selectorELNS0_4arch9wavefront6targetE1EEEvT1_: ; @_ZN7rocprim17ROCPRIM_400000_NS6detail17trampoline_kernelINS0_14default_configENS1_25partition_config_selectorILNS1_17partition_subalgoE0EsNS0_10empty_typeEbEEZZNS1_14partition_implILS5_0ELb0ES3_jN6thrust23THRUST_200600_302600_NS6detail15normal_iteratorINSA_10device_ptrIsEEEEPS6_SG_NS0_5tupleIJSF_SF_EEENSH_IJSG_SG_EEES6_PlJ7is_evenIsEEEE10hipError_tPvRmT3_T4_T5_T6_T7_T9_mT8_P12ihipStream_tbDpT10_ENKUlT_T0_E_clISt17integral_constantIbLb0EES15_IbLb1EEEEDaS11_S12_EUlS11_E_NS1_11comp_targetILNS1_3genE9ELNS1_11target_archE1100ELNS1_3gpuE3ELNS1_3repE0EEENS1_30default_config_static_selectorELNS0_4arch9wavefront6targetE1EEEvT1_
; %bb.0:
	.section	.rodata,"a",@progbits
	.p2align	6, 0x0
	.amdhsa_kernel _ZN7rocprim17ROCPRIM_400000_NS6detail17trampoline_kernelINS0_14default_configENS1_25partition_config_selectorILNS1_17partition_subalgoE0EsNS0_10empty_typeEbEEZZNS1_14partition_implILS5_0ELb0ES3_jN6thrust23THRUST_200600_302600_NS6detail15normal_iteratorINSA_10device_ptrIsEEEEPS6_SG_NS0_5tupleIJSF_SF_EEENSH_IJSG_SG_EEES6_PlJ7is_evenIsEEEE10hipError_tPvRmT3_T4_T5_T6_T7_T9_mT8_P12ihipStream_tbDpT10_ENKUlT_T0_E_clISt17integral_constantIbLb0EES15_IbLb1EEEEDaS11_S12_EUlS11_E_NS1_11comp_targetILNS1_3genE9ELNS1_11target_archE1100ELNS1_3gpuE3ELNS1_3repE0EEENS1_30default_config_static_selectorELNS0_4arch9wavefront6targetE1EEEvT1_
		.amdhsa_group_segment_fixed_size 0
		.amdhsa_private_segment_fixed_size 0
		.amdhsa_kernarg_size 136
		.amdhsa_user_sgpr_count 6
		.amdhsa_user_sgpr_private_segment_buffer 1
		.amdhsa_user_sgpr_dispatch_ptr 0
		.amdhsa_user_sgpr_queue_ptr 0
		.amdhsa_user_sgpr_kernarg_segment_ptr 1
		.amdhsa_user_sgpr_dispatch_id 0
		.amdhsa_user_sgpr_flat_scratch_init 0
		.amdhsa_user_sgpr_kernarg_preload_length 0
		.amdhsa_user_sgpr_kernarg_preload_offset 0
		.amdhsa_user_sgpr_private_segment_size 0
		.amdhsa_uses_dynamic_stack 0
		.amdhsa_system_sgpr_private_segment_wavefront_offset 0
		.amdhsa_system_sgpr_workgroup_id_x 1
		.amdhsa_system_sgpr_workgroup_id_y 0
		.amdhsa_system_sgpr_workgroup_id_z 0
		.amdhsa_system_sgpr_workgroup_info 0
		.amdhsa_system_vgpr_workitem_id 0
		.amdhsa_next_free_vgpr 1
		.amdhsa_next_free_sgpr 0
		.amdhsa_accum_offset 4
		.amdhsa_reserve_vcc 0
		.amdhsa_reserve_flat_scratch 0
		.amdhsa_float_round_mode_32 0
		.amdhsa_float_round_mode_16_64 0
		.amdhsa_float_denorm_mode_32 3
		.amdhsa_float_denorm_mode_16_64 3
		.amdhsa_dx10_clamp 1
		.amdhsa_ieee_mode 1
		.amdhsa_fp16_overflow 0
		.amdhsa_tg_split 0
		.amdhsa_exception_fp_ieee_invalid_op 0
		.amdhsa_exception_fp_denorm_src 0
		.amdhsa_exception_fp_ieee_div_zero 0
		.amdhsa_exception_fp_ieee_overflow 0
		.amdhsa_exception_fp_ieee_underflow 0
		.amdhsa_exception_fp_ieee_inexact 0
		.amdhsa_exception_int_div_zero 0
	.end_amdhsa_kernel
	.section	.text._ZN7rocprim17ROCPRIM_400000_NS6detail17trampoline_kernelINS0_14default_configENS1_25partition_config_selectorILNS1_17partition_subalgoE0EsNS0_10empty_typeEbEEZZNS1_14partition_implILS5_0ELb0ES3_jN6thrust23THRUST_200600_302600_NS6detail15normal_iteratorINSA_10device_ptrIsEEEEPS6_SG_NS0_5tupleIJSF_SF_EEENSH_IJSG_SG_EEES6_PlJ7is_evenIsEEEE10hipError_tPvRmT3_T4_T5_T6_T7_T9_mT8_P12ihipStream_tbDpT10_ENKUlT_T0_E_clISt17integral_constantIbLb0EES15_IbLb1EEEEDaS11_S12_EUlS11_E_NS1_11comp_targetILNS1_3genE9ELNS1_11target_archE1100ELNS1_3gpuE3ELNS1_3repE0EEENS1_30default_config_static_selectorELNS0_4arch9wavefront6targetE1EEEvT1_,"axG",@progbits,_ZN7rocprim17ROCPRIM_400000_NS6detail17trampoline_kernelINS0_14default_configENS1_25partition_config_selectorILNS1_17partition_subalgoE0EsNS0_10empty_typeEbEEZZNS1_14partition_implILS5_0ELb0ES3_jN6thrust23THRUST_200600_302600_NS6detail15normal_iteratorINSA_10device_ptrIsEEEEPS6_SG_NS0_5tupleIJSF_SF_EEENSH_IJSG_SG_EEES6_PlJ7is_evenIsEEEE10hipError_tPvRmT3_T4_T5_T6_T7_T9_mT8_P12ihipStream_tbDpT10_ENKUlT_T0_E_clISt17integral_constantIbLb0EES15_IbLb1EEEEDaS11_S12_EUlS11_E_NS1_11comp_targetILNS1_3genE9ELNS1_11target_archE1100ELNS1_3gpuE3ELNS1_3repE0EEENS1_30default_config_static_selectorELNS0_4arch9wavefront6targetE1EEEvT1_,comdat
.Lfunc_end383:
	.size	_ZN7rocprim17ROCPRIM_400000_NS6detail17trampoline_kernelINS0_14default_configENS1_25partition_config_selectorILNS1_17partition_subalgoE0EsNS0_10empty_typeEbEEZZNS1_14partition_implILS5_0ELb0ES3_jN6thrust23THRUST_200600_302600_NS6detail15normal_iteratorINSA_10device_ptrIsEEEEPS6_SG_NS0_5tupleIJSF_SF_EEENSH_IJSG_SG_EEES6_PlJ7is_evenIsEEEE10hipError_tPvRmT3_T4_T5_T6_T7_T9_mT8_P12ihipStream_tbDpT10_ENKUlT_T0_E_clISt17integral_constantIbLb0EES15_IbLb1EEEEDaS11_S12_EUlS11_E_NS1_11comp_targetILNS1_3genE9ELNS1_11target_archE1100ELNS1_3gpuE3ELNS1_3repE0EEENS1_30default_config_static_selectorELNS0_4arch9wavefront6targetE1EEEvT1_, .Lfunc_end383-_ZN7rocprim17ROCPRIM_400000_NS6detail17trampoline_kernelINS0_14default_configENS1_25partition_config_selectorILNS1_17partition_subalgoE0EsNS0_10empty_typeEbEEZZNS1_14partition_implILS5_0ELb0ES3_jN6thrust23THRUST_200600_302600_NS6detail15normal_iteratorINSA_10device_ptrIsEEEEPS6_SG_NS0_5tupleIJSF_SF_EEENSH_IJSG_SG_EEES6_PlJ7is_evenIsEEEE10hipError_tPvRmT3_T4_T5_T6_T7_T9_mT8_P12ihipStream_tbDpT10_ENKUlT_T0_E_clISt17integral_constantIbLb0EES15_IbLb1EEEEDaS11_S12_EUlS11_E_NS1_11comp_targetILNS1_3genE9ELNS1_11target_archE1100ELNS1_3gpuE3ELNS1_3repE0EEENS1_30default_config_static_selectorELNS0_4arch9wavefront6targetE1EEEvT1_
                                        ; -- End function
	.section	.AMDGPU.csdata,"",@progbits
; Kernel info:
; codeLenInByte = 0
; NumSgprs: 4
; NumVgprs: 0
; NumAgprs: 0
; TotalNumVgprs: 0
; ScratchSize: 0
; MemoryBound: 0
; FloatMode: 240
; IeeeMode: 1
; LDSByteSize: 0 bytes/workgroup (compile time only)
; SGPRBlocks: 0
; VGPRBlocks: 0
; NumSGPRsForWavesPerEU: 4
; NumVGPRsForWavesPerEU: 1
; AccumOffset: 4
; Occupancy: 8
; WaveLimiterHint : 0
; COMPUTE_PGM_RSRC2:SCRATCH_EN: 0
; COMPUTE_PGM_RSRC2:USER_SGPR: 6
; COMPUTE_PGM_RSRC2:TRAP_HANDLER: 0
; COMPUTE_PGM_RSRC2:TGID_X_EN: 1
; COMPUTE_PGM_RSRC2:TGID_Y_EN: 0
; COMPUTE_PGM_RSRC2:TGID_Z_EN: 0
; COMPUTE_PGM_RSRC2:TIDIG_COMP_CNT: 0
; COMPUTE_PGM_RSRC3_GFX90A:ACCUM_OFFSET: 0
; COMPUTE_PGM_RSRC3_GFX90A:TG_SPLIT: 0
	.section	.text._ZN7rocprim17ROCPRIM_400000_NS6detail17trampoline_kernelINS0_14default_configENS1_25partition_config_selectorILNS1_17partition_subalgoE0EsNS0_10empty_typeEbEEZZNS1_14partition_implILS5_0ELb0ES3_jN6thrust23THRUST_200600_302600_NS6detail15normal_iteratorINSA_10device_ptrIsEEEEPS6_SG_NS0_5tupleIJSF_SF_EEENSH_IJSG_SG_EEES6_PlJ7is_evenIsEEEE10hipError_tPvRmT3_T4_T5_T6_T7_T9_mT8_P12ihipStream_tbDpT10_ENKUlT_T0_E_clISt17integral_constantIbLb0EES15_IbLb1EEEEDaS11_S12_EUlS11_E_NS1_11comp_targetILNS1_3genE8ELNS1_11target_archE1030ELNS1_3gpuE2ELNS1_3repE0EEENS1_30default_config_static_selectorELNS0_4arch9wavefront6targetE1EEEvT1_,"axG",@progbits,_ZN7rocprim17ROCPRIM_400000_NS6detail17trampoline_kernelINS0_14default_configENS1_25partition_config_selectorILNS1_17partition_subalgoE0EsNS0_10empty_typeEbEEZZNS1_14partition_implILS5_0ELb0ES3_jN6thrust23THRUST_200600_302600_NS6detail15normal_iteratorINSA_10device_ptrIsEEEEPS6_SG_NS0_5tupleIJSF_SF_EEENSH_IJSG_SG_EEES6_PlJ7is_evenIsEEEE10hipError_tPvRmT3_T4_T5_T6_T7_T9_mT8_P12ihipStream_tbDpT10_ENKUlT_T0_E_clISt17integral_constantIbLb0EES15_IbLb1EEEEDaS11_S12_EUlS11_E_NS1_11comp_targetILNS1_3genE8ELNS1_11target_archE1030ELNS1_3gpuE2ELNS1_3repE0EEENS1_30default_config_static_selectorELNS0_4arch9wavefront6targetE1EEEvT1_,comdat
	.protected	_ZN7rocprim17ROCPRIM_400000_NS6detail17trampoline_kernelINS0_14default_configENS1_25partition_config_selectorILNS1_17partition_subalgoE0EsNS0_10empty_typeEbEEZZNS1_14partition_implILS5_0ELb0ES3_jN6thrust23THRUST_200600_302600_NS6detail15normal_iteratorINSA_10device_ptrIsEEEEPS6_SG_NS0_5tupleIJSF_SF_EEENSH_IJSG_SG_EEES6_PlJ7is_evenIsEEEE10hipError_tPvRmT3_T4_T5_T6_T7_T9_mT8_P12ihipStream_tbDpT10_ENKUlT_T0_E_clISt17integral_constantIbLb0EES15_IbLb1EEEEDaS11_S12_EUlS11_E_NS1_11comp_targetILNS1_3genE8ELNS1_11target_archE1030ELNS1_3gpuE2ELNS1_3repE0EEENS1_30default_config_static_selectorELNS0_4arch9wavefront6targetE1EEEvT1_ ; -- Begin function _ZN7rocprim17ROCPRIM_400000_NS6detail17trampoline_kernelINS0_14default_configENS1_25partition_config_selectorILNS1_17partition_subalgoE0EsNS0_10empty_typeEbEEZZNS1_14partition_implILS5_0ELb0ES3_jN6thrust23THRUST_200600_302600_NS6detail15normal_iteratorINSA_10device_ptrIsEEEEPS6_SG_NS0_5tupleIJSF_SF_EEENSH_IJSG_SG_EEES6_PlJ7is_evenIsEEEE10hipError_tPvRmT3_T4_T5_T6_T7_T9_mT8_P12ihipStream_tbDpT10_ENKUlT_T0_E_clISt17integral_constantIbLb0EES15_IbLb1EEEEDaS11_S12_EUlS11_E_NS1_11comp_targetILNS1_3genE8ELNS1_11target_archE1030ELNS1_3gpuE2ELNS1_3repE0EEENS1_30default_config_static_selectorELNS0_4arch9wavefront6targetE1EEEvT1_
	.globl	_ZN7rocprim17ROCPRIM_400000_NS6detail17trampoline_kernelINS0_14default_configENS1_25partition_config_selectorILNS1_17partition_subalgoE0EsNS0_10empty_typeEbEEZZNS1_14partition_implILS5_0ELb0ES3_jN6thrust23THRUST_200600_302600_NS6detail15normal_iteratorINSA_10device_ptrIsEEEEPS6_SG_NS0_5tupleIJSF_SF_EEENSH_IJSG_SG_EEES6_PlJ7is_evenIsEEEE10hipError_tPvRmT3_T4_T5_T6_T7_T9_mT8_P12ihipStream_tbDpT10_ENKUlT_T0_E_clISt17integral_constantIbLb0EES15_IbLb1EEEEDaS11_S12_EUlS11_E_NS1_11comp_targetILNS1_3genE8ELNS1_11target_archE1030ELNS1_3gpuE2ELNS1_3repE0EEENS1_30default_config_static_selectorELNS0_4arch9wavefront6targetE1EEEvT1_
	.p2align	8
	.type	_ZN7rocprim17ROCPRIM_400000_NS6detail17trampoline_kernelINS0_14default_configENS1_25partition_config_selectorILNS1_17partition_subalgoE0EsNS0_10empty_typeEbEEZZNS1_14partition_implILS5_0ELb0ES3_jN6thrust23THRUST_200600_302600_NS6detail15normal_iteratorINSA_10device_ptrIsEEEEPS6_SG_NS0_5tupleIJSF_SF_EEENSH_IJSG_SG_EEES6_PlJ7is_evenIsEEEE10hipError_tPvRmT3_T4_T5_T6_T7_T9_mT8_P12ihipStream_tbDpT10_ENKUlT_T0_E_clISt17integral_constantIbLb0EES15_IbLb1EEEEDaS11_S12_EUlS11_E_NS1_11comp_targetILNS1_3genE8ELNS1_11target_archE1030ELNS1_3gpuE2ELNS1_3repE0EEENS1_30default_config_static_selectorELNS0_4arch9wavefront6targetE1EEEvT1_,@function
_ZN7rocprim17ROCPRIM_400000_NS6detail17trampoline_kernelINS0_14default_configENS1_25partition_config_selectorILNS1_17partition_subalgoE0EsNS0_10empty_typeEbEEZZNS1_14partition_implILS5_0ELb0ES3_jN6thrust23THRUST_200600_302600_NS6detail15normal_iteratorINSA_10device_ptrIsEEEEPS6_SG_NS0_5tupleIJSF_SF_EEENSH_IJSG_SG_EEES6_PlJ7is_evenIsEEEE10hipError_tPvRmT3_T4_T5_T6_T7_T9_mT8_P12ihipStream_tbDpT10_ENKUlT_T0_E_clISt17integral_constantIbLb0EES15_IbLb1EEEEDaS11_S12_EUlS11_E_NS1_11comp_targetILNS1_3genE8ELNS1_11target_archE1030ELNS1_3gpuE2ELNS1_3repE0EEENS1_30default_config_static_selectorELNS0_4arch9wavefront6targetE1EEEvT1_: ; @_ZN7rocprim17ROCPRIM_400000_NS6detail17trampoline_kernelINS0_14default_configENS1_25partition_config_selectorILNS1_17partition_subalgoE0EsNS0_10empty_typeEbEEZZNS1_14partition_implILS5_0ELb0ES3_jN6thrust23THRUST_200600_302600_NS6detail15normal_iteratorINSA_10device_ptrIsEEEEPS6_SG_NS0_5tupleIJSF_SF_EEENSH_IJSG_SG_EEES6_PlJ7is_evenIsEEEE10hipError_tPvRmT3_T4_T5_T6_T7_T9_mT8_P12ihipStream_tbDpT10_ENKUlT_T0_E_clISt17integral_constantIbLb0EES15_IbLb1EEEEDaS11_S12_EUlS11_E_NS1_11comp_targetILNS1_3genE8ELNS1_11target_archE1030ELNS1_3gpuE2ELNS1_3repE0EEENS1_30default_config_static_selectorELNS0_4arch9wavefront6targetE1EEEvT1_
; %bb.0:
	.section	.rodata,"a",@progbits
	.p2align	6, 0x0
	.amdhsa_kernel _ZN7rocprim17ROCPRIM_400000_NS6detail17trampoline_kernelINS0_14default_configENS1_25partition_config_selectorILNS1_17partition_subalgoE0EsNS0_10empty_typeEbEEZZNS1_14partition_implILS5_0ELb0ES3_jN6thrust23THRUST_200600_302600_NS6detail15normal_iteratorINSA_10device_ptrIsEEEEPS6_SG_NS0_5tupleIJSF_SF_EEENSH_IJSG_SG_EEES6_PlJ7is_evenIsEEEE10hipError_tPvRmT3_T4_T5_T6_T7_T9_mT8_P12ihipStream_tbDpT10_ENKUlT_T0_E_clISt17integral_constantIbLb0EES15_IbLb1EEEEDaS11_S12_EUlS11_E_NS1_11comp_targetILNS1_3genE8ELNS1_11target_archE1030ELNS1_3gpuE2ELNS1_3repE0EEENS1_30default_config_static_selectorELNS0_4arch9wavefront6targetE1EEEvT1_
		.amdhsa_group_segment_fixed_size 0
		.amdhsa_private_segment_fixed_size 0
		.amdhsa_kernarg_size 136
		.amdhsa_user_sgpr_count 6
		.amdhsa_user_sgpr_private_segment_buffer 1
		.amdhsa_user_sgpr_dispatch_ptr 0
		.amdhsa_user_sgpr_queue_ptr 0
		.amdhsa_user_sgpr_kernarg_segment_ptr 1
		.amdhsa_user_sgpr_dispatch_id 0
		.amdhsa_user_sgpr_flat_scratch_init 0
		.amdhsa_user_sgpr_kernarg_preload_length 0
		.amdhsa_user_sgpr_kernarg_preload_offset 0
		.amdhsa_user_sgpr_private_segment_size 0
		.amdhsa_uses_dynamic_stack 0
		.amdhsa_system_sgpr_private_segment_wavefront_offset 0
		.amdhsa_system_sgpr_workgroup_id_x 1
		.amdhsa_system_sgpr_workgroup_id_y 0
		.amdhsa_system_sgpr_workgroup_id_z 0
		.amdhsa_system_sgpr_workgroup_info 0
		.amdhsa_system_vgpr_workitem_id 0
		.amdhsa_next_free_vgpr 1
		.amdhsa_next_free_sgpr 0
		.amdhsa_accum_offset 4
		.amdhsa_reserve_vcc 0
		.amdhsa_reserve_flat_scratch 0
		.amdhsa_float_round_mode_32 0
		.amdhsa_float_round_mode_16_64 0
		.amdhsa_float_denorm_mode_32 3
		.amdhsa_float_denorm_mode_16_64 3
		.amdhsa_dx10_clamp 1
		.amdhsa_ieee_mode 1
		.amdhsa_fp16_overflow 0
		.amdhsa_tg_split 0
		.amdhsa_exception_fp_ieee_invalid_op 0
		.amdhsa_exception_fp_denorm_src 0
		.amdhsa_exception_fp_ieee_div_zero 0
		.amdhsa_exception_fp_ieee_overflow 0
		.amdhsa_exception_fp_ieee_underflow 0
		.amdhsa_exception_fp_ieee_inexact 0
		.amdhsa_exception_int_div_zero 0
	.end_amdhsa_kernel
	.section	.text._ZN7rocprim17ROCPRIM_400000_NS6detail17trampoline_kernelINS0_14default_configENS1_25partition_config_selectorILNS1_17partition_subalgoE0EsNS0_10empty_typeEbEEZZNS1_14partition_implILS5_0ELb0ES3_jN6thrust23THRUST_200600_302600_NS6detail15normal_iteratorINSA_10device_ptrIsEEEEPS6_SG_NS0_5tupleIJSF_SF_EEENSH_IJSG_SG_EEES6_PlJ7is_evenIsEEEE10hipError_tPvRmT3_T4_T5_T6_T7_T9_mT8_P12ihipStream_tbDpT10_ENKUlT_T0_E_clISt17integral_constantIbLb0EES15_IbLb1EEEEDaS11_S12_EUlS11_E_NS1_11comp_targetILNS1_3genE8ELNS1_11target_archE1030ELNS1_3gpuE2ELNS1_3repE0EEENS1_30default_config_static_selectorELNS0_4arch9wavefront6targetE1EEEvT1_,"axG",@progbits,_ZN7rocprim17ROCPRIM_400000_NS6detail17trampoline_kernelINS0_14default_configENS1_25partition_config_selectorILNS1_17partition_subalgoE0EsNS0_10empty_typeEbEEZZNS1_14partition_implILS5_0ELb0ES3_jN6thrust23THRUST_200600_302600_NS6detail15normal_iteratorINSA_10device_ptrIsEEEEPS6_SG_NS0_5tupleIJSF_SF_EEENSH_IJSG_SG_EEES6_PlJ7is_evenIsEEEE10hipError_tPvRmT3_T4_T5_T6_T7_T9_mT8_P12ihipStream_tbDpT10_ENKUlT_T0_E_clISt17integral_constantIbLb0EES15_IbLb1EEEEDaS11_S12_EUlS11_E_NS1_11comp_targetILNS1_3genE8ELNS1_11target_archE1030ELNS1_3gpuE2ELNS1_3repE0EEENS1_30default_config_static_selectorELNS0_4arch9wavefront6targetE1EEEvT1_,comdat
.Lfunc_end384:
	.size	_ZN7rocprim17ROCPRIM_400000_NS6detail17trampoline_kernelINS0_14default_configENS1_25partition_config_selectorILNS1_17partition_subalgoE0EsNS0_10empty_typeEbEEZZNS1_14partition_implILS5_0ELb0ES3_jN6thrust23THRUST_200600_302600_NS6detail15normal_iteratorINSA_10device_ptrIsEEEEPS6_SG_NS0_5tupleIJSF_SF_EEENSH_IJSG_SG_EEES6_PlJ7is_evenIsEEEE10hipError_tPvRmT3_T4_T5_T6_T7_T9_mT8_P12ihipStream_tbDpT10_ENKUlT_T0_E_clISt17integral_constantIbLb0EES15_IbLb1EEEEDaS11_S12_EUlS11_E_NS1_11comp_targetILNS1_3genE8ELNS1_11target_archE1030ELNS1_3gpuE2ELNS1_3repE0EEENS1_30default_config_static_selectorELNS0_4arch9wavefront6targetE1EEEvT1_, .Lfunc_end384-_ZN7rocprim17ROCPRIM_400000_NS6detail17trampoline_kernelINS0_14default_configENS1_25partition_config_selectorILNS1_17partition_subalgoE0EsNS0_10empty_typeEbEEZZNS1_14partition_implILS5_0ELb0ES3_jN6thrust23THRUST_200600_302600_NS6detail15normal_iteratorINSA_10device_ptrIsEEEEPS6_SG_NS0_5tupleIJSF_SF_EEENSH_IJSG_SG_EEES6_PlJ7is_evenIsEEEE10hipError_tPvRmT3_T4_T5_T6_T7_T9_mT8_P12ihipStream_tbDpT10_ENKUlT_T0_E_clISt17integral_constantIbLb0EES15_IbLb1EEEEDaS11_S12_EUlS11_E_NS1_11comp_targetILNS1_3genE8ELNS1_11target_archE1030ELNS1_3gpuE2ELNS1_3repE0EEENS1_30default_config_static_selectorELNS0_4arch9wavefront6targetE1EEEvT1_
                                        ; -- End function
	.section	.AMDGPU.csdata,"",@progbits
; Kernel info:
; codeLenInByte = 0
; NumSgprs: 4
; NumVgprs: 0
; NumAgprs: 0
; TotalNumVgprs: 0
; ScratchSize: 0
; MemoryBound: 0
; FloatMode: 240
; IeeeMode: 1
; LDSByteSize: 0 bytes/workgroup (compile time only)
; SGPRBlocks: 0
; VGPRBlocks: 0
; NumSGPRsForWavesPerEU: 4
; NumVGPRsForWavesPerEU: 1
; AccumOffset: 4
; Occupancy: 8
; WaveLimiterHint : 0
; COMPUTE_PGM_RSRC2:SCRATCH_EN: 0
; COMPUTE_PGM_RSRC2:USER_SGPR: 6
; COMPUTE_PGM_RSRC2:TRAP_HANDLER: 0
; COMPUTE_PGM_RSRC2:TGID_X_EN: 1
; COMPUTE_PGM_RSRC2:TGID_Y_EN: 0
; COMPUTE_PGM_RSRC2:TGID_Z_EN: 0
; COMPUTE_PGM_RSRC2:TIDIG_COMP_CNT: 0
; COMPUTE_PGM_RSRC3_GFX90A:ACCUM_OFFSET: 0
; COMPUTE_PGM_RSRC3_GFX90A:TG_SPLIT: 0
	.section	.text._ZN7rocprim17ROCPRIM_400000_NS6detail17trampoline_kernelINS0_14default_configENS1_25partition_config_selectorILNS1_17partition_subalgoE1ExNS0_10empty_typeEbEEZZNS1_14partition_implILS5_1ELb0ES3_jN6thrust23THRUST_200600_302600_NS6detail15normal_iteratorINSA_10device_ptrIxEEEEPS6_NSA_18transform_iteratorI7is_evenIxESF_NSA_11use_defaultESK_EENS0_5tupleIJSF_SF_EEENSM_IJSG_SG_EEES6_PlJS6_EEE10hipError_tPvRmT3_T4_T5_T6_T7_T9_mT8_P12ihipStream_tbDpT10_ENKUlT_T0_E_clISt17integral_constantIbLb0EES19_EEDaS14_S15_EUlS14_E_NS1_11comp_targetILNS1_3genE0ELNS1_11target_archE4294967295ELNS1_3gpuE0ELNS1_3repE0EEENS1_30default_config_static_selectorELNS0_4arch9wavefront6targetE1EEEvT1_,"axG",@progbits,_ZN7rocprim17ROCPRIM_400000_NS6detail17trampoline_kernelINS0_14default_configENS1_25partition_config_selectorILNS1_17partition_subalgoE1ExNS0_10empty_typeEbEEZZNS1_14partition_implILS5_1ELb0ES3_jN6thrust23THRUST_200600_302600_NS6detail15normal_iteratorINSA_10device_ptrIxEEEEPS6_NSA_18transform_iteratorI7is_evenIxESF_NSA_11use_defaultESK_EENS0_5tupleIJSF_SF_EEENSM_IJSG_SG_EEES6_PlJS6_EEE10hipError_tPvRmT3_T4_T5_T6_T7_T9_mT8_P12ihipStream_tbDpT10_ENKUlT_T0_E_clISt17integral_constantIbLb0EES19_EEDaS14_S15_EUlS14_E_NS1_11comp_targetILNS1_3genE0ELNS1_11target_archE4294967295ELNS1_3gpuE0ELNS1_3repE0EEENS1_30default_config_static_selectorELNS0_4arch9wavefront6targetE1EEEvT1_,comdat
	.protected	_ZN7rocprim17ROCPRIM_400000_NS6detail17trampoline_kernelINS0_14default_configENS1_25partition_config_selectorILNS1_17partition_subalgoE1ExNS0_10empty_typeEbEEZZNS1_14partition_implILS5_1ELb0ES3_jN6thrust23THRUST_200600_302600_NS6detail15normal_iteratorINSA_10device_ptrIxEEEEPS6_NSA_18transform_iteratorI7is_evenIxESF_NSA_11use_defaultESK_EENS0_5tupleIJSF_SF_EEENSM_IJSG_SG_EEES6_PlJS6_EEE10hipError_tPvRmT3_T4_T5_T6_T7_T9_mT8_P12ihipStream_tbDpT10_ENKUlT_T0_E_clISt17integral_constantIbLb0EES19_EEDaS14_S15_EUlS14_E_NS1_11comp_targetILNS1_3genE0ELNS1_11target_archE4294967295ELNS1_3gpuE0ELNS1_3repE0EEENS1_30default_config_static_selectorELNS0_4arch9wavefront6targetE1EEEvT1_ ; -- Begin function _ZN7rocprim17ROCPRIM_400000_NS6detail17trampoline_kernelINS0_14default_configENS1_25partition_config_selectorILNS1_17partition_subalgoE1ExNS0_10empty_typeEbEEZZNS1_14partition_implILS5_1ELb0ES3_jN6thrust23THRUST_200600_302600_NS6detail15normal_iteratorINSA_10device_ptrIxEEEEPS6_NSA_18transform_iteratorI7is_evenIxESF_NSA_11use_defaultESK_EENS0_5tupleIJSF_SF_EEENSM_IJSG_SG_EEES6_PlJS6_EEE10hipError_tPvRmT3_T4_T5_T6_T7_T9_mT8_P12ihipStream_tbDpT10_ENKUlT_T0_E_clISt17integral_constantIbLb0EES19_EEDaS14_S15_EUlS14_E_NS1_11comp_targetILNS1_3genE0ELNS1_11target_archE4294967295ELNS1_3gpuE0ELNS1_3repE0EEENS1_30default_config_static_selectorELNS0_4arch9wavefront6targetE1EEEvT1_
	.globl	_ZN7rocprim17ROCPRIM_400000_NS6detail17trampoline_kernelINS0_14default_configENS1_25partition_config_selectorILNS1_17partition_subalgoE1ExNS0_10empty_typeEbEEZZNS1_14partition_implILS5_1ELb0ES3_jN6thrust23THRUST_200600_302600_NS6detail15normal_iteratorINSA_10device_ptrIxEEEEPS6_NSA_18transform_iteratorI7is_evenIxESF_NSA_11use_defaultESK_EENS0_5tupleIJSF_SF_EEENSM_IJSG_SG_EEES6_PlJS6_EEE10hipError_tPvRmT3_T4_T5_T6_T7_T9_mT8_P12ihipStream_tbDpT10_ENKUlT_T0_E_clISt17integral_constantIbLb0EES19_EEDaS14_S15_EUlS14_E_NS1_11comp_targetILNS1_3genE0ELNS1_11target_archE4294967295ELNS1_3gpuE0ELNS1_3repE0EEENS1_30default_config_static_selectorELNS0_4arch9wavefront6targetE1EEEvT1_
	.p2align	8
	.type	_ZN7rocprim17ROCPRIM_400000_NS6detail17trampoline_kernelINS0_14default_configENS1_25partition_config_selectorILNS1_17partition_subalgoE1ExNS0_10empty_typeEbEEZZNS1_14partition_implILS5_1ELb0ES3_jN6thrust23THRUST_200600_302600_NS6detail15normal_iteratorINSA_10device_ptrIxEEEEPS6_NSA_18transform_iteratorI7is_evenIxESF_NSA_11use_defaultESK_EENS0_5tupleIJSF_SF_EEENSM_IJSG_SG_EEES6_PlJS6_EEE10hipError_tPvRmT3_T4_T5_T6_T7_T9_mT8_P12ihipStream_tbDpT10_ENKUlT_T0_E_clISt17integral_constantIbLb0EES19_EEDaS14_S15_EUlS14_E_NS1_11comp_targetILNS1_3genE0ELNS1_11target_archE4294967295ELNS1_3gpuE0ELNS1_3repE0EEENS1_30default_config_static_selectorELNS0_4arch9wavefront6targetE1EEEvT1_,@function
_ZN7rocprim17ROCPRIM_400000_NS6detail17trampoline_kernelINS0_14default_configENS1_25partition_config_selectorILNS1_17partition_subalgoE1ExNS0_10empty_typeEbEEZZNS1_14partition_implILS5_1ELb0ES3_jN6thrust23THRUST_200600_302600_NS6detail15normal_iteratorINSA_10device_ptrIxEEEEPS6_NSA_18transform_iteratorI7is_evenIxESF_NSA_11use_defaultESK_EENS0_5tupleIJSF_SF_EEENSM_IJSG_SG_EEES6_PlJS6_EEE10hipError_tPvRmT3_T4_T5_T6_T7_T9_mT8_P12ihipStream_tbDpT10_ENKUlT_T0_E_clISt17integral_constantIbLb0EES19_EEDaS14_S15_EUlS14_E_NS1_11comp_targetILNS1_3genE0ELNS1_11target_archE4294967295ELNS1_3gpuE0ELNS1_3repE0EEENS1_30default_config_static_selectorELNS0_4arch9wavefront6targetE1EEEvT1_: ; @_ZN7rocprim17ROCPRIM_400000_NS6detail17trampoline_kernelINS0_14default_configENS1_25partition_config_selectorILNS1_17partition_subalgoE1ExNS0_10empty_typeEbEEZZNS1_14partition_implILS5_1ELb0ES3_jN6thrust23THRUST_200600_302600_NS6detail15normal_iteratorINSA_10device_ptrIxEEEEPS6_NSA_18transform_iteratorI7is_evenIxESF_NSA_11use_defaultESK_EENS0_5tupleIJSF_SF_EEENSM_IJSG_SG_EEES6_PlJS6_EEE10hipError_tPvRmT3_T4_T5_T6_T7_T9_mT8_P12ihipStream_tbDpT10_ENKUlT_T0_E_clISt17integral_constantIbLb0EES19_EEDaS14_S15_EUlS14_E_NS1_11comp_targetILNS1_3genE0ELNS1_11target_archE4294967295ELNS1_3gpuE0ELNS1_3repE0EEENS1_30default_config_static_selectorELNS0_4arch9wavefront6targetE1EEEvT1_
; %bb.0:
	.section	.rodata,"a",@progbits
	.p2align	6, 0x0
	.amdhsa_kernel _ZN7rocprim17ROCPRIM_400000_NS6detail17trampoline_kernelINS0_14default_configENS1_25partition_config_selectorILNS1_17partition_subalgoE1ExNS0_10empty_typeEbEEZZNS1_14partition_implILS5_1ELb0ES3_jN6thrust23THRUST_200600_302600_NS6detail15normal_iteratorINSA_10device_ptrIxEEEEPS6_NSA_18transform_iteratorI7is_evenIxESF_NSA_11use_defaultESK_EENS0_5tupleIJSF_SF_EEENSM_IJSG_SG_EEES6_PlJS6_EEE10hipError_tPvRmT3_T4_T5_T6_T7_T9_mT8_P12ihipStream_tbDpT10_ENKUlT_T0_E_clISt17integral_constantIbLb0EES19_EEDaS14_S15_EUlS14_E_NS1_11comp_targetILNS1_3genE0ELNS1_11target_archE4294967295ELNS1_3gpuE0ELNS1_3repE0EEENS1_30default_config_static_selectorELNS0_4arch9wavefront6targetE1EEEvT1_
		.amdhsa_group_segment_fixed_size 0
		.amdhsa_private_segment_fixed_size 0
		.amdhsa_kernarg_size 128
		.amdhsa_user_sgpr_count 6
		.amdhsa_user_sgpr_private_segment_buffer 1
		.amdhsa_user_sgpr_dispatch_ptr 0
		.amdhsa_user_sgpr_queue_ptr 0
		.amdhsa_user_sgpr_kernarg_segment_ptr 1
		.amdhsa_user_sgpr_dispatch_id 0
		.amdhsa_user_sgpr_flat_scratch_init 0
		.amdhsa_user_sgpr_kernarg_preload_length 0
		.amdhsa_user_sgpr_kernarg_preload_offset 0
		.amdhsa_user_sgpr_private_segment_size 0
		.amdhsa_uses_dynamic_stack 0
		.amdhsa_system_sgpr_private_segment_wavefront_offset 0
		.amdhsa_system_sgpr_workgroup_id_x 1
		.amdhsa_system_sgpr_workgroup_id_y 0
		.amdhsa_system_sgpr_workgroup_id_z 0
		.amdhsa_system_sgpr_workgroup_info 0
		.amdhsa_system_vgpr_workitem_id 0
		.amdhsa_next_free_vgpr 1
		.amdhsa_next_free_sgpr 0
		.amdhsa_accum_offset 4
		.amdhsa_reserve_vcc 0
		.amdhsa_reserve_flat_scratch 0
		.amdhsa_float_round_mode_32 0
		.amdhsa_float_round_mode_16_64 0
		.amdhsa_float_denorm_mode_32 3
		.amdhsa_float_denorm_mode_16_64 3
		.amdhsa_dx10_clamp 1
		.amdhsa_ieee_mode 1
		.amdhsa_fp16_overflow 0
		.amdhsa_tg_split 0
		.amdhsa_exception_fp_ieee_invalid_op 0
		.amdhsa_exception_fp_denorm_src 0
		.amdhsa_exception_fp_ieee_div_zero 0
		.amdhsa_exception_fp_ieee_overflow 0
		.amdhsa_exception_fp_ieee_underflow 0
		.amdhsa_exception_fp_ieee_inexact 0
		.amdhsa_exception_int_div_zero 0
	.end_amdhsa_kernel
	.section	.text._ZN7rocprim17ROCPRIM_400000_NS6detail17trampoline_kernelINS0_14default_configENS1_25partition_config_selectorILNS1_17partition_subalgoE1ExNS0_10empty_typeEbEEZZNS1_14partition_implILS5_1ELb0ES3_jN6thrust23THRUST_200600_302600_NS6detail15normal_iteratorINSA_10device_ptrIxEEEEPS6_NSA_18transform_iteratorI7is_evenIxESF_NSA_11use_defaultESK_EENS0_5tupleIJSF_SF_EEENSM_IJSG_SG_EEES6_PlJS6_EEE10hipError_tPvRmT3_T4_T5_T6_T7_T9_mT8_P12ihipStream_tbDpT10_ENKUlT_T0_E_clISt17integral_constantIbLb0EES19_EEDaS14_S15_EUlS14_E_NS1_11comp_targetILNS1_3genE0ELNS1_11target_archE4294967295ELNS1_3gpuE0ELNS1_3repE0EEENS1_30default_config_static_selectorELNS0_4arch9wavefront6targetE1EEEvT1_,"axG",@progbits,_ZN7rocprim17ROCPRIM_400000_NS6detail17trampoline_kernelINS0_14default_configENS1_25partition_config_selectorILNS1_17partition_subalgoE1ExNS0_10empty_typeEbEEZZNS1_14partition_implILS5_1ELb0ES3_jN6thrust23THRUST_200600_302600_NS6detail15normal_iteratorINSA_10device_ptrIxEEEEPS6_NSA_18transform_iteratorI7is_evenIxESF_NSA_11use_defaultESK_EENS0_5tupleIJSF_SF_EEENSM_IJSG_SG_EEES6_PlJS6_EEE10hipError_tPvRmT3_T4_T5_T6_T7_T9_mT8_P12ihipStream_tbDpT10_ENKUlT_T0_E_clISt17integral_constantIbLb0EES19_EEDaS14_S15_EUlS14_E_NS1_11comp_targetILNS1_3genE0ELNS1_11target_archE4294967295ELNS1_3gpuE0ELNS1_3repE0EEENS1_30default_config_static_selectorELNS0_4arch9wavefront6targetE1EEEvT1_,comdat
.Lfunc_end385:
	.size	_ZN7rocprim17ROCPRIM_400000_NS6detail17trampoline_kernelINS0_14default_configENS1_25partition_config_selectorILNS1_17partition_subalgoE1ExNS0_10empty_typeEbEEZZNS1_14partition_implILS5_1ELb0ES3_jN6thrust23THRUST_200600_302600_NS6detail15normal_iteratorINSA_10device_ptrIxEEEEPS6_NSA_18transform_iteratorI7is_evenIxESF_NSA_11use_defaultESK_EENS0_5tupleIJSF_SF_EEENSM_IJSG_SG_EEES6_PlJS6_EEE10hipError_tPvRmT3_T4_T5_T6_T7_T9_mT8_P12ihipStream_tbDpT10_ENKUlT_T0_E_clISt17integral_constantIbLb0EES19_EEDaS14_S15_EUlS14_E_NS1_11comp_targetILNS1_3genE0ELNS1_11target_archE4294967295ELNS1_3gpuE0ELNS1_3repE0EEENS1_30default_config_static_selectorELNS0_4arch9wavefront6targetE1EEEvT1_, .Lfunc_end385-_ZN7rocprim17ROCPRIM_400000_NS6detail17trampoline_kernelINS0_14default_configENS1_25partition_config_selectorILNS1_17partition_subalgoE1ExNS0_10empty_typeEbEEZZNS1_14partition_implILS5_1ELb0ES3_jN6thrust23THRUST_200600_302600_NS6detail15normal_iteratorINSA_10device_ptrIxEEEEPS6_NSA_18transform_iteratorI7is_evenIxESF_NSA_11use_defaultESK_EENS0_5tupleIJSF_SF_EEENSM_IJSG_SG_EEES6_PlJS6_EEE10hipError_tPvRmT3_T4_T5_T6_T7_T9_mT8_P12ihipStream_tbDpT10_ENKUlT_T0_E_clISt17integral_constantIbLb0EES19_EEDaS14_S15_EUlS14_E_NS1_11comp_targetILNS1_3genE0ELNS1_11target_archE4294967295ELNS1_3gpuE0ELNS1_3repE0EEENS1_30default_config_static_selectorELNS0_4arch9wavefront6targetE1EEEvT1_
                                        ; -- End function
	.section	.AMDGPU.csdata,"",@progbits
; Kernel info:
; codeLenInByte = 0
; NumSgprs: 4
; NumVgprs: 0
; NumAgprs: 0
; TotalNumVgprs: 0
; ScratchSize: 0
; MemoryBound: 0
; FloatMode: 240
; IeeeMode: 1
; LDSByteSize: 0 bytes/workgroup (compile time only)
; SGPRBlocks: 0
; VGPRBlocks: 0
; NumSGPRsForWavesPerEU: 4
; NumVGPRsForWavesPerEU: 1
; AccumOffset: 4
; Occupancy: 8
; WaveLimiterHint : 0
; COMPUTE_PGM_RSRC2:SCRATCH_EN: 0
; COMPUTE_PGM_RSRC2:USER_SGPR: 6
; COMPUTE_PGM_RSRC2:TRAP_HANDLER: 0
; COMPUTE_PGM_RSRC2:TGID_X_EN: 1
; COMPUTE_PGM_RSRC2:TGID_Y_EN: 0
; COMPUTE_PGM_RSRC2:TGID_Z_EN: 0
; COMPUTE_PGM_RSRC2:TIDIG_COMP_CNT: 0
; COMPUTE_PGM_RSRC3_GFX90A:ACCUM_OFFSET: 0
; COMPUTE_PGM_RSRC3_GFX90A:TG_SPLIT: 0
	.section	.text._ZN7rocprim17ROCPRIM_400000_NS6detail17trampoline_kernelINS0_14default_configENS1_25partition_config_selectorILNS1_17partition_subalgoE1ExNS0_10empty_typeEbEEZZNS1_14partition_implILS5_1ELb0ES3_jN6thrust23THRUST_200600_302600_NS6detail15normal_iteratorINSA_10device_ptrIxEEEEPS6_NSA_18transform_iteratorI7is_evenIxESF_NSA_11use_defaultESK_EENS0_5tupleIJSF_SF_EEENSM_IJSG_SG_EEES6_PlJS6_EEE10hipError_tPvRmT3_T4_T5_T6_T7_T9_mT8_P12ihipStream_tbDpT10_ENKUlT_T0_E_clISt17integral_constantIbLb0EES19_EEDaS14_S15_EUlS14_E_NS1_11comp_targetILNS1_3genE5ELNS1_11target_archE942ELNS1_3gpuE9ELNS1_3repE0EEENS1_30default_config_static_selectorELNS0_4arch9wavefront6targetE1EEEvT1_,"axG",@progbits,_ZN7rocprim17ROCPRIM_400000_NS6detail17trampoline_kernelINS0_14default_configENS1_25partition_config_selectorILNS1_17partition_subalgoE1ExNS0_10empty_typeEbEEZZNS1_14partition_implILS5_1ELb0ES3_jN6thrust23THRUST_200600_302600_NS6detail15normal_iteratorINSA_10device_ptrIxEEEEPS6_NSA_18transform_iteratorI7is_evenIxESF_NSA_11use_defaultESK_EENS0_5tupleIJSF_SF_EEENSM_IJSG_SG_EEES6_PlJS6_EEE10hipError_tPvRmT3_T4_T5_T6_T7_T9_mT8_P12ihipStream_tbDpT10_ENKUlT_T0_E_clISt17integral_constantIbLb0EES19_EEDaS14_S15_EUlS14_E_NS1_11comp_targetILNS1_3genE5ELNS1_11target_archE942ELNS1_3gpuE9ELNS1_3repE0EEENS1_30default_config_static_selectorELNS0_4arch9wavefront6targetE1EEEvT1_,comdat
	.protected	_ZN7rocprim17ROCPRIM_400000_NS6detail17trampoline_kernelINS0_14default_configENS1_25partition_config_selectorILNS1_17partition_subalgoE1ExNS0_10empty_typeEbEEZZNS1_14partition_implILS5_1ELb0ES3_jN6thrust23THRUST_200600_302600_NS6detail15normal_iteratorINSA_10device_ptrIxEEEEPS6_NSA_18transform_iteratorI7is_evenIxESF_NSA_11use_defaultESK_EENS0_5tupleIJSF_SF_EEENSM_IJSG_SG_EEES6_PlJS6_EEE10hipError_tPvRmT3_T4_T5_T6_T7_T9_mT8_P12ihipStream_tbDpT10_ENKUlT_T0_E_clISt17integral_constantIbLb0EES19_EEDaS14_S15_EUlS14_E_NS1_11comp_targetILNS1_3genE5ELNS1_11target_archE942ELNS1_3gpuE9ELNS1_3repE0EEENS1_30default_config_static_selectorELNS0_4arch9wavefront6targetE1EEEvT1_ ; -- Begin function _ZN7rocprim17ROCPRIM_400000_NS6detail17trampoline_kernelINS0_14default_configENS1_25partition_config_selectorILNS1_17partition_subalgoE1ExNS0_10empty_typeEbEEZZNS1_14partition_implILS5_1ELb0ES3_jN6thrust23THRUST_200600_302600_NS6detail15normal_iteratorINSA_10device_ptrIxEEEEPS6_NSA_18transform_iteratorI7is_evenIxESF_NSA_11use_defaultESK_EENS0_5tupleIJSF_SF_EEENSM_IJSG_SG_EEES6_PlJS6_EEE10hipError_tPvRmT3_T4_T5_T6_T7_T9_mT8_P12ihipStream_tbDpT10_ENKUlT_T0_E_clISt17integral_constantIbLb0EES19_EEDaS14_S15_EUlS14_E_NS1_11comp_targetILNS1_3genE5ELNS1_11target_archE942ELNS1_3gpuE9ELNS1_3repE0EEENS1_30default_config_static_selectorELNS0_4arch9wavefront6targetE1EEEvT1_
	.globl	_ZN7rocprim17ROCPRIM_400000_NS6detail17trampoline_kernelINS0_14default_configENS1_25partition_config_selectorILNS1_17partition_subalgoE1ExNS0_10empty_typeEbEEZZNS1_14partition_implILS5_1ELb0ES3_jN6thrust23THRUST_200600_302600_NS6detail15normal_iteratorINSA_10device_ptrIxEEEEPS6_NSA_18transform_iteratorI7is_evenIxESF_NSA_11use_defaultESK_EENS0_5tupleIJSF_SF_EEENSM_IJSG_SG_EEES6_PlJS6_EEE10hipError_tPvRmT3_T4_T5_T6_T7_T9_mT8_P12ihipStream_tbDpT10_ENKUlT_T0_E_clISt17integral_constantIbLb0EES19_EEDaS14_S15_EUlS14_E_NS1_11comp_targetILNS1_3genE5ELNS1_11target_archE942ELNS1_3gpuE9ELNS1_3repE0EEENS1_30default_config_static_selectorELNS0_4arch9wavefront6targetE1EEEvT1_
	.p2align	8
	.type	_ZN7rocprim17ROCPRIM_400000_NS6detail17trampoline_kernelINS0_14default_configENS1_25partition_config_selectorILNS1_17partition_subalgoE1ExNS0_10empty_typeEbEEZZNS1_14partition_implILS5_1ELb0ES3_jN6thrust23THRUST_200600_302600_NS6detail15normal_iteratorINSA_10device_ptrIxEEEEPS6_NSA_18transform_iteratorI7is_evenIxESF_NSA_11use_defaultESK_EENS0_5tupleIJSF_SF_EEENSM_IJSG_SG_EEES6_PlJS6_EEE10hipError_tPvRmT3_T4_T5_T6_T7_T9_mT8_P12ihipStream_tbDpT10_ENKUlT_T0_E_clISt17integral_constantIbLb0EES19_EEDaS14_S15_EUlS14_E_NS1_11comp_targetILNS1_3genE5ELNS1_11target_archE942ELNS1_3gpuE9ELNS1_3repE0EEENS1_30default_config_static_selectorELNS0_4arch9wavefront6targetE1EEEvT1_,@function
_ZN7rocprim17ROCPRIM_400000_NS6detail17trampoline_kernelINS0_14default_configENS1_25partition_config_selectorILNS1_17partition_subalgoE1ExNS0_10empty_typeEbEEZZNS1_14partition_implILS5_1ELb0ES3_jN6thrust23THRUST_200600_302600_NS6detail15normal_iteratorINSA_10device_ptrIxEEEEPS6_NSA_18transform_iteratorI7is_evenIxESF_NSA_11use_defaultESK_EENS0_5tupleIJSF_SF_EEENSM_IJSG_SG_EEES6_PlJS6_EEE10hipError_tPvRmT3_T4_T5_T6_T7_T9_mT8_P12ihipStream_tbDpT10_ENKUlT_T0_E_clISt17integral_constantIbLb0EES19_EEDaS14_S15_EUlS14_E_NS1_11comp_targetILNS1_3genE5ELNS1_11target_archE942ELNS1_3gpuE9ELNS1_3repE0EEENS1_30default_config_static_selectorELNS0_4arch9wavefront6targetE1EEEvT1_: ; @_ZN7rocprim17ROCPRIM_400000_NS6detail17trampoline_kernelINS0_14default_configENS1_25partition_config_selectorILNS1_17partition_subalgoE1ExNS0_10empty_typeEbEEZZNS1_14partition_implILS5_1ELb0ES3_jN6thrust23THRUST_200600_302600_NS6detail15normal_iteratorINSA_10device_ptrIxEEEEPS6_NSA_18transform_iteratorI7is_evenIxESF_NSA_11use_defaultESK_EENS0_5tupleIJSF_SF_EEENSM_IJSG_SG_EEES6_PlJS6_EEE10hipError_tPvRmT3_T4_T5_T6_T7_T9_mT8_P12ihipStream_tbDpT10_ENKUlT_T0_E_clISt17integral_constantIbLb0EES19_EEDaS14_S15_EUlS14_E_NS1_11comp_targetILNS1_3genE5ELNS1_11target_archE942ELNS1_3gpuE9ELNS1_3repE0EEENS1_30default_config_static_selectorELNS0_4arch9wavefront6targetE1EEEvT1_
; %bb.0:
	.section	.rodata,"a",@progbits
	.p2align	6, 0x0
	.amdhsa_kernel _ZN7rocprim17ROCPRIM_400000_NS6detail17trampoline_kernelINS0_14default_configENS1_25partition_config_selectorILNS1_17partition_subalgoE1ExNS0_10empty_typeEbEEZZNS1_14partition_implILS5_1ELb0ES3_jN6thrust23THRUST_200600_302600_NS6detail15normal_iteratorINSA_10device_ptrIxEEEEPS6_NSA_18transform_iteratorI7is_evenIxESF_NSA_11use_defaultESK_EENS0_5tupleIJSF_SF_EEENSM_IJSG_SG_EEES6_PlJS6_EEE10hipError_tPvRmT3_T4_T5_T6_T7_T9_mT8_P12ihipStream_tbDpT10_ENKUlT_T0_E_clISt17integral_constantIbLb0EES19_EEDaS14_S15_EUlS14_E_NS1_11comp_targetILNS1_3genE5ELNS1_11target_archE942ELNS1_3gpuE9ELNS1_3repE0EEENS1_30default_config_static_selectorELNS0_4arch9wavefront6targetE1EEEvT1_
		.amdhsa_group_segment_fixed_size 0
		.amdhsa_private_segment_fixed_size 0
		.amdhsa_kernarg_size 128
		.amdhsa_user_sgpr_count 6
		.amdhsa_user_sgpr_private_segment_buffer 1
		.amdhsa_user_sgpr_dispatch_ptr 0
		.amdhsa_user_sgpr_queue_ptr 0
		.amdhsa_user_sgpr_kernarg_segment_ptr 1
		.amdhsa_user_sgpr_dispatch_id 0
		.amdhsa_user_sgpr_flat_scratch_init 0
		.amdhsa_user_sgpr_kernarg_preload_length 0
		.amdhsa_user_sgpr_kernarg_preload_offset 0
		.amdhsa_user_sgpr_private_segment_size 0
		.amdhsa_uses_dynamic_stack 0
		.amdhsa_system_sgpr_private_segment_wavefront_offset 0
		.amdhsa_system_sgpr_workgroup_id_x 1
		.amdhsa_system_sgpr_workgroup_id_y 0
		.amdhsa_system_sgpr_workgroup_id_z 0
		.amdhsa_system_sgpr_workgroup_info 0
		.amdhsa_system_vgpr_workitem_id 0
		.amdhsa_next_free_vgpr 1
		.amdhsa_next_free_sgpr 0
		.amdhsa_accum_offset 4
		.amdhsa_reserve_vcc 0
		.amdhsa_reserve_flat_scratch 0
		.amdhsa_float_round_mode_32 0
		.amdhsa_float_round_mode_16_64 0
		.amdhsa_float_denorm_mode_32 3
		.amdhsa_float_denorm_mode_16_64 3
		.amdhsa_dx10_clamp 1
		.amdhsa_ieee_mode 1
		.amdhsa_fp16_overflow 0
		.amdhsa_tg_split 0
		.amdhsa_exception_fp_ieee_invalid_op 0
		.amdhsa_exception_fp_denorm_src 0
		.amdhsa_exception_fp_ieee_div_zero 0
		.amdhsa_exception_fp_ieee_overflow 0
		.amdhsa_exception_fp_ieee_underflow 0
		.amdhsa_exception_fp_ieee_inexact 0
		.amdhsa_exception_int_div_zero 0
	.end_amdhsa_kernel
	.section	.text._ZN7rocprim17ROCPRIM_400000_NS6detail17trampoline_kernelINS0_14default_configENS1_25partition_config_selectorILNS1_17partition_subalgoE1ExNS0_10empty_typeEbEEZZNS1_14partition_implILS5_1ELb0ES3_jN6thrust23THRUST_200600_302600_NS6detail15normal_iteratorINSA_10device_ptrIxEEEEPS6_NSA_18transform_iteratorI7is_evenIxESF_NSA_11use_defaultESK_EENS0_5tupleIJSF_SF_EEENSM_IJSG_SG_EEES6_PlJS6_EEE10hipError_tPvRmT3_T4_T5_T6_T7_T9_mT8_P12ihipStream_tbDpT10_ENKUlT_T0_E_clISt17integral_constantIbLb0EES19_EEDaS14_S15_EUlS14_E_NS1_11comp_targetILNS1_3genE5ELNS1_11target_archE942ELNS1_3gpuE9ELNS1_3repE0EEENS1_30default_config_static_selectorELNS0_4arch9wavefront6targetE1EEEvT1_,"axG",@progbits,_ZN7rocprim17ROCPRIM_400000_NS6detail17trampoline_kernelINS0_14default_configENS1_25partition_config_selectorILNS1_17partition_subalgoE1ExNS0_10empty_typeEbEEZZNS1_14partition_implILS5_1ELb0ES3_jN6thrust23THRUST_200600_302600_NS6detail15normal_iteratorINSA_10device_ptrIxEEEEPS6_NSA_18transform_iteratorI7is_evenIxESF_NSA_11use_defaultESK_EENS0_5tupleIJSF_SF_EEENSM_IJSG_SG_EEES6_PlJS6_EEE10hipError_tPvRmT3_T4_T5_T6_T7_T9_mT8_P12ihipStream_tbDpT10_ENKUlT_T0_E_clISt17integral_constantIbLb0EES19_EEDaS14_S15_EUlS14_E_NS1_11comp_targetILNS1_3genE5ELNS1_11target_archE942ELNS1_3gpuE9ELNS1_3repE0EEENS1_30default_config_static_selectorELNS0_4arch9wavefront6targetE1EEEvT1_,comdat
.Lfunc_end386:
	.size	_ZN7rocprim17ROCPRIM_400000_NS6detail17trampoline_kernelINS0_14default_configENS1_25partition_config_selectorILNS1_17partition_subalgoE1ExNS0_10empty_typeEbEEZZNS1_14partition_implILS5_1ELb0ES3_jN6thrust23THRUST_200600_302600_NS6detail15normal_iteratorINSA_10device_ptrIxEEEEPS6_NSA_18transform_iteratorI7is_evenIxESF_NSA_11use_defaultESK_EENS0_5tupleIJSF_SF_EEENSM_IJSG_SG_EEES6_PlJS6_EEE10hipError_tPvRmT3_T4_T5_T6_T7_T9_mT8_P12ihipStream_tbDpT10_ENKUlT_T0_E_clISt17integral_constantIbLb0EES19_EEDaS14_S15_EUlS14_E_NS1_11comp_targetILNS1_3genE5ELNS1_11target_archE942ELNS1_3gpuE9ELNS1_3repE0EEENS1_30default_config_static_selectorELNS0_4arch9wavefront6targetE1EEEvT1_, .Lfunc_end386-_ZN7rocprim17ROCPRIM_400000_NS6detail17trampoline_kernelINS0_14default_configENS1_25partition_config_selectorILNS1_17partition_subalgoE1ExNS0_10empty_typeEbEEZZNS1_14partition_implILS5_1ELb0ES3_jN6thrust23THRUST_200600_302600_NS6detail15normal_iteratorINSA_10device_ptrIxEEEEPS6_NSA_18transform_iteratorI7is_evenIxESF_NSA_11use_defaultESK_EENS0_5tupleIJSF_SF_EEENSM_IJSG_SG_EEES6_PlJS6_EEE10hipError_tPvRmT3_T4_T5_T6_T7_T9_mT8_P12ihipStream_tbDpT10_ENKUlT_T0_E_clISt17integral_constantIbLb0EES19_EEDaS14_S15_EUlS14_E_NS1_11comp_targetILNS1_3genE5ELNS1_11target_archE942ELNS1_3gpuE9ELNS1_3repE0EEENS1_30default_config_static_selectorELNS0_4arch9wavefront6targetE1EEEvT1_
                                        ; -- End function
	.section	.AMDGPU.csdata,"",@progbits
; Kernel info:
; codeLenInByte = 0
; NumSgprs: 4
; NumVgprs: 0
; NumAgprs: 0
; TotalNumVgprs: 0
; ScratchSize: 0
; MemoryBound: 0
; FloatMode: 240
; IeeeMode: 1
; LDSByteSize: 0 bytes/workgroup (compile time only)
; SGPRBlocks: 0
; VGPRBlocks: 0
; NumSGPRsForWavesPerEU: 4
; NumVGPRsForWavesPerEU: 1
; AccumOffset: 4
; Occupancy: 8
; WaveLimiterHint : 0
; COMPUTE_PGM_RSRC2:SCRATCH_EN: 0
; COMPUTE_PGM_RSRC2:USER_SGPR: 6
; COMPUTE_PGM_RSRC2:TRAP_HANDLER: 0
; COMPUTE_PGM_RSRC2:TGID_X_EN: 1
; COMPUTE_PGM_RSRC2:TGID_Y_EN: 0
; COMPUTE_PGM_RSRC2:TGID_Z_EN: 0
; COMPUTE_PGM_RSRC2:TIDIG_COMP_CNT: 0
; COMPUTE_PGM_RSRC3_GFX90A:ACCUM_OFFSET: 0
; COMPUTE_PGM_RSRC3_GFX90A:TG_SPLIT: 0
	.section	.text._ZN7rocprim17ROCPRIM_400000_NS6detail17trampoline_kernelINS0_14default_configENS1_25partition_config_selectorILNS1_17partition_subalgoE1ExNS0_10empty_typeEbEEZZNS1_14partition_implILS5_1ELb0ES3_jN6thrust23THRUST_200600_302600_NS6detail15normal_iteratorINSA_10device_ptrIxEEEEPS6_NSA_18transform_iteratorI7is_evenIxESF_NSA_11use_defaultESK_EENS0_5tupleIJSF_SF_EEENSM_IJSG_SG_EEES6_PlJS6_EEE10hipError_tPvRmT3_T4_T5_T6_T7_T9_mT8_P12ihipStream_tbDpT10_ENKUlT_T0_E_clISt17integral_constantIbLb0EES19_EEDaS14_S15_EUlS14_E_NS1_11comp_targetILNS1_3genE4ELNS1_11target_archE910ELNS1_3gpuE8ELNS1_3repE0EEENS1_30default_config_static_selectorELNS0_4arch9wavefront6targetE1EEEvT1_,"axG",@progbits,_ZN7rocprim17ROCPRIM_400000_NS6detail17trampoline_kernelINS0_14default_configENS1_25partition_config_selectorILNS1_17partition_subalgoE1ExNS0_10empty_typeEbEEZZNS1_14partition_implILS5_1ELb0ES3_jN6thrust23THRUST_200600_302600_NS6detail15normal_iteratorINSA_10device_ptrIxEEEEPS6_NSA_18transform_iteratorI7is_evenIxESF_NSA_11use_defaultESK_EENS0_5tupleIJSF_SF_EEENSM_IJSG_SG_EEES6_PlJS6_EEE10hipError_tPvRmT3_T4_T5_T6_T7_T9_mT8_P12ihipStream_tbDpT10_ENKUlT_T0_E_clISt17integral_constantIbLb0EES19_EEDaS14_S15_EUlS14_E_NS1_11comp_targetILNS1_3genE4ELNS1_11target_archE910ELNS1_3gpuE8ELNS1_3repE0EEENS1_30default_config_static_selectorELNS0_4arch9wavefront6targetE1EEEvT1_,comdat
	.protected	_ZN7rocprim17ROCPRIM_400000_NS6detail17trampoline_kernelINS0_14default_configENS1_25partition_config_selectorILNS1_17partition_subalgoE1ExNS0_10empty_typeEbEEZZNS1_14partition_implILS5_1ELb0ES3_jN6thrust23THRUST_200600_302600_NS6detail15normal_iteratorINSA_10device_ptrIxEEEEPS6_NSA_18transform_iteratorI7is_evenIxESF_NSA_11use_defaultESK_EENS0_5tupleIJSF_SF_EEENSM_IJSG_SG_EEES6_PlJS6_EEE10hipError_tPvRmT3_T4_T5_T6_T7_T9_mT8_P12ihipStream_tbDpT10_ENKUlT_T0_E_clISt17integral_constantIbLb0EES19_EEDaS14_S15_EUlS14_E_NS1_11comp_targetILNS1_3genE4ELNS1_11target_archE910ELNS1_3gpuE8ELNS1_3repE0EEENS1_30default_config_static_selectorELNS0_4arch9wavefront6targetE1EEEvT1_ ; -- Begin function _ZN7rocprim17ROCPRIM_400000_NS6detail17trampoline_kernelINS0_14default_configENS1_25partition_config_selectorILNS1_17partition_subalgoE1ExNS0_10empty_typeEbEEZZNS1_14partition_implILS5_1ELb0ES3_jN6thrust23THRUST_200600_302600_NS6detail15normal_iteratorINSA_10device_ptrIxEEEEPS6_NSA_18transform_iteratorI7is_evenIxESF_NSA_11use_defaultESK_EENS0_5tupleIJSF_SF_EEENSM_IJSG_SG_EEES6_PlJS6_EEE10hipError_tPvRmT3_T4_T5_T6_T7_T9_mT8_P12ihipStream_tbDpT10_ENKUlT_T0_E_clISt17integral_constantIbLb0EES19_EEDaS14_S15_EUlS14_E_NS1_11comp_targetILNS1_3genE4ELNS1_11target_archE910ELNS1_3gpuE8ELNS1_3repE0EEENS1_30default_config_static_selectorELNS0_4arch9wavefront6targetE1EEEvT1_
	.globl	_ZN7rocprim17ROCPRIM_400000_NS6detail17trampoline_kernelINS0_14default_configENS1_25partition_config_selectorILNS1_17partition_subalgoE1ExNS0_10empty_typeEbEEZZNS1_14partition_implILS5_1ELb0ES3_jN6thrust23THRUST_200600_302600_NS6detail15normal_iteratorINSA_10device_ptrIxEEEEPS6_NSA_18transform_iteratorI7is_evenIxESF_NSA_11use_defaultESK_EENS0_5tupleIJSF_SF_EEENSM_IJSG_SG_EEES6_PlJS6_EEE10hipError_tPvRmT3_T4_T5_T6_T7_T9_mT8_P12ihipStream_tbDpT10_ENKUlT_T0_E_clISt17integral_constantIbLb0EES19_EEDaS14_S15_EUlS14_E_NS1_11comp_targetILNS1_3genE4ELNS1_11target_archE910ELNS1_3gpuE8ELNS1_3repE0EEENS1_30default_config_static_selectorELNS0_4arch9wavefront6targetE1EEEvT1_
	.p2align	8
	.type	_ZN7rocprim17ROCPRIM_400000_NS6detail17trampoline_kernelINS0_14default_configENS1_25partition_config_selectorILNS1_17partition_subalgoE1ExNS0_10empty_typeEbEEZZNS1_14partition_implILS5_1ELb0ES3_jN6thrust23THRUST_200600_302600_NS6detail15normal_iteratorINSA_10device_ptrIxEEEEPS6_NSA_18transform_iteratorI7is_evenIxESF_NSA_11use_defaultESK_EENS0_5tupleIJSF_SF_EEENSM_IJSG_SG_EEES6_PlJS6_EEE10hipError_tPvRmT3_T4_T5_T6_T7_T9_mT8_P12ihipStream_tbDpT10_ENKUlT_T0_E_clISt17integral_constantIbLb0EES19_EEDaS14_S15_EUlS14_E_NS1_11comp_targetILNS1_3genE4ELNS1_11target_archE910ELNS1_3gpuE8ELNS1_3repE0EEENS1_30default_config_static_selectorELNS0_4arch9wavefront6targetE1EEEvT1_,@function
_ZN7rocprim17ROCPRIM_400000_NS6detail17trampoline_kernelINS0_14default_configENS1_25partition_config_selectorILNS1_17partition_subalgoE1ExNS0_10empty_typeEbEEZZNS1_14partition_implILS5_1ELb0ES3_jN6thrust23THRUST_200600_302600_NS6detail15normal_iteratorINSA_10device_ptrIxEEEEPS6_NSA_18transform_iteratorI7is_evenIxESF_NSA_11use_defaultESK_EENS0_5tupleIJSF_SF_EEENSM_IJSG_SG_EEES6_PlJS6_EEE10hipError_tPvRmT3_T4_T5_T6_T7_T9_mT8_P12ihipStream_tbDpT10_ENKUlT_T0_E_clISt17integral_constantIbLb0EES19_EEDaS14_S15_EUlS14_E_NS1_11comp_targetILNS1_3genE4ELNS1_11target_archE910ELNS1_3gpuE8ELNS1_3repE0EEENS1_30default_config_static_selectorELNS0_4arch9wavefront6targetE1EEEvT1_: ; @_ZN7rocprim17ROCPRIM_400000_NS6detail17trampoline_kernelINS0_14default_configENS1_25partition_config_selectorILNS1_17partition_subalgoE1ExNS0_10empty_typeEbEEZZNS1_14partition_implILS5_1ELb0ES3_jN6thrust23THRUST_200600_302600_NS6detail15normal_iteratorINSA_10device_ptrIxEEEEPS6_NSA_18transform_iteratorI7is_evenIxESF_NSA_11use_defaultESK_EENS0_5tupleIJSF_SF_EEENSM_IJSG_SG_EEES6_PlJS6_EEE10hipError_tPvRmT3_T4_T5_T6_T7_T9_mT8_P12ihipStream_tbDpT10_ENKUlT_T0_E_clISt17integral_constantIbLb0EES19_EEDaS14_S15_EUlS14_E_NS1_11comp_targetILNS1_3genE4ELNS1_11target_archE910ELNS1_3gpuE8ELNS1_3repE0EEENS1_30default_config_static_selectorELNS0_4arch9wavefront6targetE1EEEvT1_
; %bb.0:
	s_load_dwordx2 s[0:1], s[4:5], 0x60
	s_load_dwordx4 s[24:27], s[4:5], 0x8
	s_load_dwordx2 s[2:3], s[4:5], 0x20
	s_load_dwordx4 s[20:23], s[4:5], 0x50
	s_mul_i32 s10, s6, 0x300
	s_waitcnt lgkmcnt(0)
	v_mov_b32_e32 v3, s1
	s_load_dword s1, s[4:5], 0x78
	s_lshl_b64 s[8:9], s[26:27], 3
	s_add_u32 s7, s24, s8
	s_addc_u32 s12, s25, s9
	v_mov_b32_e32 v2, s0
	s_waitcnt lgkmcnt(0)
	s_add_i32 s13, s1, -1
	s_mulk_i32 s1, 0x300
	s_add_i32 s11, s1, s26
	s_sub_i32 s33, s0, s11
	s_addk_i32 s33, 0x300
	s_add_u32 s0, s26, s1
	s_addc_u32 s1, s27, 0
	s_cmp_eq_u32 s6, s13
	s_load_dwordx2 s[30:31], s[22:23], 0x0
	s_cselect_b64 s[22:23], -1, 0
	s_cmp_lg_u32 s6, s13
	s_mov_b32 s11, 0
	v_cmp_lt_u64_e32 vcc, s[0:1], v[2:3]
	s_cselect_b64 s[0:1], -1, 0
	s_or_b64 s[24:25], s[0:1], vcc
	s_lshl_b64 s[28:29], s[10:11], 3
	s_add_u32 s7, s7, s28
	s_addc_u32 s12, s12, s29
	s_mov_b64 s[0:1], -1
	s_and_b64 vcc, exec, s[24:25]
	v_lshlrev_b32_e32 v1, 3, v0
	v_lshrrev_b32_e32 v10, 2, v0
	s_cbranch_vccz .LBB387_2
; %bb.1:
	v_mov_b32_e32 v3, s12
	v_add_co_u32_e32 v2, vcc, s7, v1
	v_addc_co_u32_e32 v3, vcc, 0, v3, vcc
	v_add_co_u32_e32 v4, vcc, 0x1000, v2
	v_addc_co_u32_e32 v5, vcc, 0, v3, vcc
	flat_load_dwordx2 v[6:7], v[2:3]
	flat_load_dwordx2 v[8:9], v[2:3] offset:1536
	flat_load_dwordx2 v[12:13], v[2:3] offset:3072
	;; [unrolled: 1-line block ×3, first 2 shown]
	v_add_u32_e32 v3, 0xc0, v0
	v_add_u32_e32 v4, 0x180, v0
	;; [unrolled: 1-line block ×3, first 2 shown]
	v_and_b32_e32 v2, 56, v10
	v_lshrrev_b32_e32 v3, 2, v3
	v_lshrrev_b32_e32 v4, 2, v4
	;; [unrolled: 1-line block ×3, first 2 shown]
	v_add_u32_e32 v2, v2, v1
	v_and_b32_e32 v3, 0x78, v3
	v_and_b32_e32 v4, 0xf8, v4
	;; [unrolled: 1-line block ×3, first 2 shown]
	v_add_u32_e32 v3, v3, v1
	v_add_u32_e32 v4, v4, v1
	;; [unrolled: 1-line block ×3, first 2 shown]
	s_mov_b64 s[0:1], 0
	s_waitcnt vmcnt(0) lgkmcnt(0)
	ds_write_b64 v2, v[6:7]
	ds_write_b64 v3, v[8:9] offset:1536
	ds_write_b64 v4, v[12:13] offset:3072
	;; [unrolled: 1-line block ×3, first 2 shown]
	s_waitcnt lgkmcnt(0)
	s_barrier
.LBB387_2:
	s_andn2_b64 vcc, exec, s[0:1]
	v_cmp_gt_u32_e64 s[0:1], s33, v0
	s_cbranch_vccnz .LBB387_12
; %bb.3:
                                        ; implicit-def: $vgpr2_vgpr3_vgpr4_vgpr5_vgpr6_vgpr7_vgpr8_vgpr9
	s_and_saveexec_b64 s[10:11], s[0:1]
	s_cbranch_execz .LBB387_5
; %bb.4:
	v_mov_b32_e32 v3, s12
	v_add_co_u32_e32 v2, vcc, s7, v1
	v_addc_co_u32_e32 v3, vcc, 0, v3, vcc
	flat_load_dwordx2 v[2:3], v[2:3]
.LBB387_5:
	s_or_b64 exec, exec, s[10:11]
	v_add_u32_e32 v11, 0xc0, v0
	v_cmp_gt_u32_e32 vcc, s33, v11
	s_and_saveexec_b64 s[0:1], vcc
	s_cbranch_execz .LBB387_7
; %bb.6:
	v_mov_b32_e32 v5, s12
	v_add_co_u32_e32 v4, vcc, s7, v1
	v_addc_co_u32_e32 v5, vcc, 0, v5, vcc
	flat_load_dwordx2 v[4:5], v[4:5] offset:1536
.LBB387_7:
	s_or_b64 exec, exec, s[0:1]
	v_add_u32_e32 v12, 0x180, v0
	v_cmp_gt_u32_e32 vcc, s33, v12
	s_and_saveexec_b64 s[0:1], vcc
	s_cbranch_execz .LBB387_9
; %bb.8:
	v_mov_b32_e32 v7, s12
	v_add_co_u32_e32 v6, vcc, s7, v1
	v_addc_co_u32_e32 v7, vcc, 0, v7, vcc
	flat_load_dwordx2 v[6:7], v[6:7] offset:3072
.LBB387_9:
	s_or_b64 exec, exec, s[0:1]
	v_add_u32_e32 v13, 0x240, v0
	v_cmp_gt_u32_e32 vcc, s33, v13
	s_and_saveexec_b64 s[0:1], vcc
	s_cbranch_execz .LBB387_11
; %bb.10:
	v_lshlrev_b32_e32 v8, 3, v13
	v_mov_b32_e32 v9, s12
	v_add_co_u32_e32 v8, vcc, s7, v8
	v_addc_co_u32_e32 v9, vcc, 0, v9, vcc
	flat_load_dwordx2 v[8:9], v[8:9]
.LBB387_11:
	s_or_b64 exec, exec, s[0:1]
	v_and_b32_e32 v10, 56, v10
	v_add_u32_e32 v10, v10, v1
	s_waitcnt vmcnt(0) lgkmcnt(0)
	ds_write_b64 v10, v[2:3]
	v_lshrrev_b32_e32 v2, 2, v11
	v_and_b32_e32 v2, 0x78, v2
	v_add_u32_e32 v2, v2, v1
	ds_write_b64 v2, v[4:5] offset:1536
	v_lshrrev_b32_e32 v2, 2, v12
	v_and_b32_e32 v2, 0xf8, v2
	v_add_u32_e32 v2, v2, v1
	ds_write_b64 v2, v[6:7] offset:3072
	;; [unrolled: 4-line block ×3, first 2 shown]
	s_waitcnt lgkmcnt(0)
	s_barrier
.LBB387_12:
	v_lshlrev_b32_e32 v20, 2, v0
	v_lshrrev_b32_e32 v10, 3, v0
	v_add_lshl_u32 v2, v10, v20, 3
	s_waitcnt lgkmcnt(0)
	ds_read2_b64 v[6:9], v2 offset1:1
	ds_read2_b64 v[2:5], v2 offset0:2 offset1:3
	s_add_u32 s0, s2, s8
	s_addc_u32 s1, s3, s9
	s_add_u32 s0, s0, s28
	s_addc_u32 s1, s1, s29
	s_mov_b64 s[2:3], -1
	s_and_b64 vcc, exec, s[24:25]
	v_lshrrev_b32_e32 v11, 5, v0
	s_waitcnt lgkmcnt(0)
	s_barrier
	s_cbranch_vccz .LBB387_14
; %bb.13:
	global_load_dwordx2 v[12:13], v1, s[0:1]
	global_load_dwordx2 v[14:15], v1, s[0:1] offset:1536
	global_load_dwordx2 v[16:17], v1, s[0:1] offset:3072
	v_mov_b32_e32 v18, s1
	s_waitcnt vmcnt(2)
	v_add_co_u32_e32 v13, vcc, s0, v1
	s_waitcnt vmcnt(1)
	v_addc_co_u32_e32 v15, vcc, 0, v18, vcc
	v_add_co_u32_e32 v18, vcc, 0x1000, v13
	v_addc_co_u32_e32 v19, vcc, 0, v15, vcc
	global_load_dwordx2 v[18:19], v[18:19], off offset:512
	v_add_u32_e32 v15, 0xc0, v0
	s_waitcnt vmcnt(1)
	v_add_u32_e32 v17, 0x180, v0
	v_and_b32_e32 v13, 4, v11
	s_waitcnt vmcnt(0)
	v_add_u32_e32 v19, 0x240, v0
	v_lshrrev_b32_e32 v15, 5, v15
	v_lshrrev_b32_e32 v17, 5, v17
	v_add_u32_e32 v13, v13, v0
	v_lshrrev_b32_e32 v19, 5, v19
	v_and_b32_e32 v15, 12, v15
	v_and_b32_e32 v17, 28, v17
	;; [unrolled: 1-line block ×3, first 2 shown]
	v_add_u32_e32 v15, v15, v0
	v_add_u32_e32 v17, v17, v0
	;; [unrolled: 1-line block ×3, first 2 shown]
	s_mov_b64 s[2:3], 0
	v_xor_b32_e32 v12, -1, v12
	v_xor_b32_e32 v14, -1, v14
	;; [unrolled: 1-line block ×3, first 2 shown]
	v_and_b32_e32 v12, 1, v12
	v_and_b32_e32 v14, 1, v14
	;; [unrolled: 1-line block ×3, first 2 shown]
	ds_write_b8 v13, v12
	ds_write_b8 v15, v14 offset:192
	ds_write_b8 v17, v16 offset:384
	v_xor_b32_e32 v12, -1, v18
	v_and_b32_e32 v12, 1, v12
	ds_write_b8 v19, v12 offset:576
	s_waitcnt lgkmcnt(0)
	s_barrier
.LBB387_14:
	s_load_dwordx2 s[34:35], s[4:5], 0x70
	s_andn2_b64 vcc, exec, s[2:3]
	s_cbranch_vccnz .LBB387_24
; %bb.15:
	v_cmp_gt_u32_e32 vcc, s33, v0
	v_mov_b32_e32 v12, 0
	v_mov_b32_e32 v13, 0
	s_and_saveexec_b64 s[2:3], vcc
	s_cbranch_execz .LBB387_17
; %bb.16:
	global_load_dwordx2 v[14:15], v1, s[0:1]
	s_waitcnt vmcnt(0)
	v_xor_b32_e32 v13, -1, v14
	v_and_b32_e32 v13, 1, v13
.LBB387_17:
	s_or_b64 exec, exec, s[2:3]
	v_add_u32_e32 v14, 0xc0, v0
	v_cmp_gt_u32_e32 vcc, s33, v14
	s_and_saveexec_b64 s[2:3], vcc
	s_cbranch_execz .LBB387_19
; %bb.18:
	global_load_dwordx2 v[16:17], v1, s[0:1] offset:1536
	s_waitcnt vmcnt(0)
	v_xor_b32_e32 v12, -1, v16
	v_and_b32_e32 v12, 1, v12
.LBB387_19:
	s_or_b64 exec, exec, s[2:3]
	v_add_u32_e32 v16, 0x180, v0
	v_cmp_gt_u32_e32 vcc, s33, v16
	v_mov_b32_e32 v15, 0
	v_mov_b32_e32 v17, 0
	s_and_saveexec_b64 s[2:3], vcc
	s_cbranch_execz .LBB387_21
; %bb.20:
	global_load_dwordx2 v[18:19], v1, s[0:1] offset:3072
	s_waitcnt vmcnt(0)
	v_xor_b32_e32 v17, -1, v18
	v_and_b32_e32 v17, 1, v17
.LBB387_21:
	s_or_b64 exec, exec, s[2:3]
	v_add_u32_e32 v18, 0x240, v0
	v_cmp_gt_u32_e32 vcc, s33, v18
	s_and_saveexec_b64 s[2:3], vcc
	s_cbranch_execz .LBB387_23
; %bb.22:
	v_lshlrev_b32_e32 v15, 3, v18
	global_load_dwordx2 v[22:23], v15, s[0:1]
	s_waitcnt vmcnt(0)
	v_xor_b32_e32 v15, -1, v22
	v_and_b32_e32 v15, 1, v15
.LBB387_23:
	s_or_b64 exec, exec, s[2:3]
	v_and_b32_e32 v11, 4, v11
	v_add_u32_e32 v11, v11, v0
	ds_write_b8 v11, v13
	v_lshrrev_b32_e32 v11, 5, v14
	v_and_b32_e32 v11, 12, v11
	v_add_u32_e32 v11, v11, v0
	ds_write_b8 v11, v12 offset:192
	v_lshrrev_b32_e32 v11, 5, v16
	v_and_b32_e32 v11, 28, v11
	v_add_u32_e32 v11, v11, v0
	ds_write_b8 v11, v17 offset:384
	;; [unrolled: 4-line block ×3, first 2 shown]
	s_waitcnt lgkmcnt(0)
	s_barrier
.LBB387_24:
	v_and_b32_e32 v10, 28, v10
	v_add_u32_e32 v10, v10, v20
	s_waitcnt lgkmcnt(0)
	ds_read_b32 v22, v10
	s_cmp_lg_u32 s6, 0
	v_lshrrev_b32_e32 v25, 6, v0
	s_waitcnt lgkmcnt(0)
	s_barrier
	v_lshrrev_b32_e32 v21, 24, v22
	v_bfe_u32 v23, v22, 16, 8
	v_add_u32_sdwa v10, v22, v22 dst_sel:DWORD dst_unused:UNUSED_PAD src0_sel:BYTE_1 src1_sel:BYTE_0
	v_add3_u32 v26, v10, v23, v21
	v_mbcnt_lo_u32_b32 v10, -1, 0
	v_mbcnt_hi_u32_b32 v24, -1, v10
	v_and_b32_e32 v10, 15, v24
	v_cmp_eq_u32_e64 s[14:15], 0, v10
	v_cmp_lt_u32_e64 s[12:13], 1, v10
	v_cmp_lt_u32_e64 s[10:11], 3, v10
	;; [unrolled: 1-line block ×3, first 2 shown]
	v_and_b32_e32 v10, 16, v24
	v_cmp_eq_u32_e64 s[2:3], 0, v10
	v_and_b32_e32 v10, 0xc0, v0
	v_min_u32_e32 v10, 0x80, v10
	v_or_b32_e32 v10, 63, v10
	v_cmp_lt_u32_e64 s[0:1], 31, v24
	v_cmp_eq_u32_e64 s[18:19], v10, v0
	s_cbranch_scc0 .LBB387_51
; %bb.25:
	v_mov_b32_dpp v10, v26 row_shr:1 row_mask:0xf bank_mask:0xf
	v_cndmask_b32_e64 v10, v10, 0, s[14:15]
	v_add_u32_e32 v10, v10, v26
	s_nop 1
	v_mov_b32_dpp v11, v10 row_shr:2 row_mask:0xf bank_mask:0xf
	v_cndmask_b32_e64 v11, 0, v11, s[12:13]
	v_add_u32_e32 v10, v10, v11
	s_nop 1
	;; [unrolled: 4-line block ×4, first 2 shown]
	v_mov_b32_dpp v11, v10 row_bcast:15 row_mask:0xf bank_mask:0xf
	v_cndmask_b32_e64 v11, v11, 0, s[2:3]
	v_add_u32_e32 v10, v10, v11
	s_nop 1
	v_mov_b32_dpp v11, v10 row_bcast:31 row_mask:0xf bank_mask:0xf
	v_cndmask_b32_e64 v11, 0, v11, s[0:1]
	v_add_u32_e32 v10, v10, v11
	s_and_saveexec_b64 s[16:17], s[18:19]
	s_cbranch_execz .LBB387_27
; %bb.26:
	v_lshlrev_b32_e32 v11, 2, v25
	ds_write_b32 v11, v10
.LBB387_27:
	s_or_b64 exec, exec, s[16:17]
	v_cmp_gt_u32_e32 vcc, 3, v0
	s_waitcnt lgkmcnt(0)
	s_barrier
	s_and_saveexec_b64 s[16:17], vcc
	s_cbranch_execz .LBB387_29
; %bb.28:
	ds_read_b32 v11, v20
	v_and_b32_e32 v12, 3, v24
	v_cmp_ne_u32_e32 vcc, 0, v12
	s_waitcnt lgkmcnt(0)
	v_mov_b32_dpp v13, v11 row_shr:1 row_mask:0xf bank_mask:0xf
	v_cndmask_b32_e32 v13, 0, v13, vcc
	v_add_u32_e32 v11, v13, v11
	v_cmp_lt_u32_e32 vcc, 1, v12
	s_nop 0
	v_mov_b32_dpp v13, v11 row_shr:2 row_mask:0xf bank_mask:0xf
	v_cndmask_b32_e32 v12, 0, v13, vcc
	v_add_u32_e32 v11, v11, v12
	ds_write_b32 v20, v11
.LBB387_29:
	s_or_b64 exec, exec, s[16:17]
	v_cmp_gt_u32_e32 vcc, 64, v0
	v_cmp_lt_u32_e64 s[16:17], 63, v0
	s_waitcnt lgkmcnt(0)
	s_barrier
	s_waitcnt lgkmcnt(0)
                                        ; implicit-def: $vgpr27
	s_and_saveexec_b64 s[36:37], s[16:17]
	s_cbranch_execz .LBB387_31
; %bb.30:
	v_lshl_add_u32 v11, v25, 2, -4
	ds_read_b32 v27, v11
	s_waitcnt lgkmcnt(0)
	v_add_u32_e32 v10, v27, v10
.LBB387_31:
	s_or_b64 exec, exec, s[36:37]
	v_add_u32_e32 v11, -1, v24
	v_and_b32_e32 v12, 64, v24
	v_cmp_lt_i32_e64 s[16:17], v11, v12
	v_cndmask_b32_e64 v11, v11, v24, s[16:17]
	v_lshlrev_b32_e32 v11, 2, v11
	ds_bpermute_b32 v28, v11, v10
	v_cmp_eq_u32_e64 s[16:17], 0, v24
	s_and_saveexec_b64 s[36:37], vcc
	s_cbranch_execz .LBB387_50
; %bb.32:
	v_mov_b32_e32 v17, 0
	ds_read_b32 v10, v17 offset:8
	s_and_saveexec_b64 s[38:39], s[16:17]
	s_cbranch_execz .LBB387_34
; %bb.33:
	s_add_i32 s40, s6, 64
	s_mov_b32 s41, 0
	s_lshl_b64 s[40:41], s[40:41], 3
	s_add_u32 s40, s34, s40
	v_mov_b32_e32 v11, 1
	s_addc_u32 s41, s35, s41
	s_waitcnt lgkmcnt(0)
	global_store_dwordx2 v17, v[10:11], s[40:41]
.LBB387_34:
	s_or_b64 exec, exec, s[38:39]
	v_xad_u32 v12, v24, -1, s6
	v_add_u32_e32 v16, 64, v12
	v_lshlrev_b64 v[14:15], 3, v[16:17]
	v_mov_b32_e32 v11, s35
	v_add_co_u32_e32 v18, vcc, s34, v14
	v_addc_co_u32_e32 v19, vcc, v11, v15, vcc
	global_load_dwordx2 v[14:15], v[18:19], off glc
	s_waitcnt vmcnt(0)
	v_cmp_eq_u16_sdwa s[40:41], v15, v17 src0_sel:BYTE_0 src1_sel:DWORD
	s_and_saveexec_b64 s[38:39], s[40:41]
	s_cbranch_execz .LBB387_38
; %bb.35:
	s_mov_b64 s[40:41], 0
	v_mov_b32_e32 v11, 0
.LBB387_36:                             ; =>This Inner Loop Header: Depth=1
	global_load_dwordx2 v[14:15], v[18:19], off glc
	s_waitcnt vmcnt(0)
	v_cmp_ne_u16_sdwa s[42:43], v15, v11 src0_sel:BYTE_0 src1_sel:DWORD
	s_or_b64 s[40:41], s[42:43], s[40:41]
	s_andn2_b64 exec, exec, s[40:41]
	s_cbranch_execnz .LBB387_36
; %bb.37:
	s_or_b64 exec, exec, s[40:41]
.LBB387_38:
	s_or_b64 exec, exec, s[38:39]
	v_and_b32_e32 v30, 63, v24
	v_mov_b32_e32 v29, 2
	v_cmp_ne_u32_e32 vcc, 63, v30
	v_cmp_eq_u16_sdwa s[38:39], v15, v29 src0_sel:BYTE_0 src1_sel:DWORD
	v_lshlrev_b64 v[16:17], v24, -1
	v_addc_co_u32_e32 v18, vcc, 0, v24, vcc
	v_and_b32_e32 v11, s39, v17
	v_lshlrev_b32_e32 v31, 2, v18
	v_or_b32_e32 v11, 0x80000000, v11
	ds_bpermute_b32 v18, v31, v14
	v_and_b32_e32 v13, s38, v16
	v_ffbl_b32_e32 v11, v11
	v_add_u32_e32 v11, 32, v11
	v_ffbl_b32_e32 v13, v13
	v_min_u32_e32 v11, v13, v11
	v_cmp_lt_u32_e32 vcc, v30, v11
	s_waitcnt lgkmcnt(0)
	v_cndmask_b32_e32 v13, 0, v18, vcc
	v_cmp_gt_u32_e32 vcc, 62, v30
	v_add_u32_e32 v13, v13, v14
	v_cndmask_b32_e64 v14, 0, 1, vcc
	v_lshlrev_b32_e32 v14, 1, v14
	v_add_lshl_u32 v32, v14, v24, 2
	ds_bpermute_b32 v14, v32, v13
	v_add_u32_e32 v33, 2, v30
	v_cmp_le_u32_e32 vcc, v33, v11
	v_add_u32_e32 v35, 4, v30
	v_add_u32_e32 v37, 8, v30
	s_waitcnt lgkmcnt(0)
	v_cndmask_b32_e32 v14, 0, v14, vcc
	v_cmp_gt_u32_e32 vcc, 60, v30
	v_add_u32_e32 v13, v13, v14
	v_cndmask_b32_e64 v14, 0, 1, vcc
	v_lshlrev_b32_e32 v14, 2, v14
	v_add_lshl_u32 v34, v14, v24, 2
	ds_bpermute_b32 v14, v34, v13
	v_cmp_le_u32_e32 vcc, v35, v11
	v_add_u32_e32 v39, 16, v30
	v_add_u32_e32 v41, 32, v30
	s_waitcnt lgkmcnt(0)
	v_cndmask_b32_e32 v14, 0, v14, vcc
	v_cmp_gt_u32_e32 vcc, 56, v30
	v_add_u32_e32 v13, v13, v14
	v_cndmask_b32_e64 v14, 0, 1, vcc
	v_lshlrev_b32_e32 v14, 3, v14
	v_add_lshl_u32 v36, v14, v24, 2
	ds_bpermute_b32 v14, v36, v13
	v_cmp_le_u32_e32 vcc, v37, v11
	s_waitcnt lgkmcnt(0)
	v_cndmask_b32_e32 v14, 0, v14, vcc
	v_cmp_gt_u32_e32 vcc, 48, v30
	v_add_u32_e32 v13, v13, v14
	v_cndmask_b32_e64 v14, 0, 1, vcc
	v_lshlrev_b32_e32 v14, 4, v14
	v_add_lshl_u32 v38, v14, v24, 2
	ds_bpermute_b32 v14, v38, v13
	v_cmp_le_u32_e32 vcc, v39, v11
	;; [unrolled: 9-line block ×3, first 2 shown]
	s_waitcnt lgkmcnt(0)
	v_cndmask_b32_e32 v11, 0, v14, vcc
	v_add_u32_e32 v14, v13, v11
	v_mov_b32_e32 v13, 0
	s_branch .LBB387_40
.LBB387_39:                             ;   in Loop: Header=BB387_40 Depth=1
	s_or_b64 exec, exec, s[38:39]
	v_cmp_eq_u16_sdwa s[38:39], v15, v29 src0_sel:BYTE_0 src1_sel:DWORD
	v_and_b32_e32 v18, s39, v17
	v_or_b32_e32 v18, 0x80000000, v18
	ds_bpermute_b32 v42, v31, v14
	v_and_b32_e32 v19, s38, v16
	v_ffbl_b32_e32 v18, v18
	v_add_u32_e32 v18, 32, v18
	v_ffbl_b32_e32 v19, v19
	v_min_u32_e32 v18, v19, v18
	v_cmp_lt_u32_e32 vcc, v30, v18
	s_waitcnt lgkmcnt(0)
	v_cndmask_b32_e32 v19, 0, v42, vcc
	v_add_u32_e32 v14, v19, v14
	ds_bpermute_b32 v19, v32, v14
	v_cmp_le_u32_e32 vcc, v33, v18
	v_subrev_u32_e32 v12, 64, v12
	s_waitcnt lgkmcnt(0)
	v_cndmask_b32_e32 v19, 0, v19, vcc
	v_add_u32_e32 v14, v14, v19
	ds_bpermute_b32 v19, v34, v14
	v_cmp_le_u32_e32 vcc, v35, v18
	s_waitcnt lgkmcnt(0)
	v_cndmask_b32_e32 v19, 0, v19, vcc
	v_add_u32_e32 v14, v14, v19
	ds_bpermute_b32 v19, v36, v14
	v_cmp_le_u32_e32 vcc, v37, v18
	;; [unrolled: 5-line block ×4, first 2 shown]
	s_waitcnt lgkmcnt(0)
	v_cndmask_b32_e32 v18, 0, v19, vcc
	v_add3_u32 v14, v18, v11, v14
.LBB387_40:                             ; =>This Loop Header: Depth=1
                                        ;     Child Loop BB387_43 Depth 2
	v_cmp_ne_u16_sdwa s[38:39], v15, v29 src0_sel:BYTE_0 src1_sel:DWORD
	v_cndmask_b32_e64 v11, 0, 1, s[38:39]
	;;#ASMSTART
	;;#ASMEND
	v_cmp_ne_u32_e32 vcc, 0, v11
	s_cmp_lg_u64 vcc, exec
	v_mov_b32_e32 v11, v14
	s_cbranch_scc1 .LBB387_45
; %bb.41:                               ;   in Loop: Header=BB387_40 Depth=1
	v_lshlrev_b64 v[14:15], 3, v[12:13]
	v_mov_b32_e32 v19, s35
	v_add_co_u32_e32 v18, vcc, s34, v14
	v_addc_co_u32_e32 v19, vcc, v19, v15, vcc
	global_load_dwordx2 v[14:15], v[18:19], off glc
	s_waitcnt vmcnt(0)
	v_cmp_eq_u16_sdwa s[40:41], v15, v13 src0_sel:BYTE_0 src1_sel:DWORD
	s_and_saveexec_b64 s[38:39], s[40:41]
	s_cbranch_execz .LBB387_39
; %bb.42:                               ;   in Loop: Header=BB387_40 Depth=1
	s_mov_b64 s[40:41], 0
.LBB387_43:                             ;   Parent Loop BB387_40 Depth=1
                                        ; =>  This Inner Loop Header: Depth=2
	global_load_dwordx2 v[14:15], v[18:19], off glc
	s_waitcnt vmcnt(0)
	v_cmp_ne_u16_sdwa s[42:43], v15, v13 src0_sel:BYTE_0 src1_sel:DWORD
	s_or_b64 s[40:41], s[42:43], s[40:41]
	s_andn2_b64 exec, exec, s[40:41]
	s_cbranch_execnz .LBB387_43
; %bb.44:                               ;   in Loop: Header=BB387_40 Depth=1
	s_or_b64 exec, exec, s[40:41]
	s_branch .LBB387_39
.LBB387_45:                             ;   in Loop: Header=BB387_40 Depth=1
                                        ; implicit-def: $vgpr14
                                        ; implicit-def: $vgpr15
	s_cbranch_execz .LBB387_40
; %bb.46:
	s_and_saveexec_b64 s[38:39], s[16:17]
	s_cbranch_execz .LBB387_48
; %bb.47:
	s_add_i32 s6, s6, 64
	s_mov_b32 s7, 0
	s_lshl_b64 s[6:7], s[6:7], 3
	s_add_u32 s6, s34, s6
	v_add_u32_e32 v12, v11, v10
	v_mov_b32_e32 v13, 2
	s_addc_u32 s7, s35, s7
	v_mov_b32_e32 v14, 0
	global_store_dwordx2 v14, v[12:13], s[6:7]
	ds_write_b64 v14, v[10:11] offset:6336
.LBB387_48:
	s_or_b64 exec, exec, s[38:39]
	v_cmp_eq_u32_e32 vcc, 0, v0
	s_and_b64 exec, exec, vcc
	s_cbranch_execz .LBB387_50
; %bb.49:
	v_mov_b32_e32 v10, 0
	ds_write_b32 v10, v11 offset:8
.LBB387_50:
	s_or_b64 exec, exec, s[36:37]
	v_mov_b32_e32 v10, 0
	s_waitcnt lgkmcnt(0)
	s_barrier
	ds_read_b32 v11, v10 offset:8
	v_cndmask_b32_e64 v12, v28, v27, s[16:17]
	v_cmp_ne_u32_e32 vcc, 0, v0
	v_cndmask_b32_e32 v12, 0, v12, vcc
	s_waitcnt lgkmcnt(0)
	v_add_u32_e32 v14, v11, v12
	s_barrier
	ds_read_b64 v[10:11], v10 offset:6336
	v_add_u32_sdwa v15, v14, v22 dst_sel:DWORD dst_unused:UNUSED_PAD src0_sel:DWORD src1_sel:BYTE_0
	v_add_u32_sdwa v13, v15, v22 dst_sel:DWORD dst_unused:UNUSED_PAD src0_sel:DWORD src1_sel:BYTE_1
	v_add_u32_e32 v12, v13, v23
	s_branch .LBB387_61
.LBB387_51:
                                        ; implicit-def: $vgpr11
                                        ; implicit-def: $vgpr12
                                        ; implicit-def: $vgpr13
                                        ; implicit-def: $vgpr15
                                        ; implicit-def: $vgpr14
	s_cbranch_execz .LBB387_61
; %bb.52:
	s_waitcnt lgkmcnt(0)
	v_mov_b32_dpp v10, v26 row_shr:1 row_mask:0xf bank_mask:0xf
	v_cndmask_b32_e64 v10, v10, 0, s[14:15]
	v_add_u32_e32 v10, v10, v26
	s_nop 1
	v_mov_b32_dpp v11, v10 row_shr:2 row_mask:0xf bank_mask:0xf
	v_cndmask_b32_e64 v11, 0, v11, s[12:13]
	v_add_u32_e32 v10, v10, v11
	s_nop 1
	;; [unrolled: 4-line block ×4, first 2 shown]
	v_mov_b32_dpp v11, v10 row_bcast:15 row_mask:0xf bank_mask:0xf
	v_cndmask_b32_e64 v11, v11, 0, s[2:3]
	v_add_u32_e32 v10, v10, v11
	s_nop 1
	v_mov_b32_dpp v11, v10 row_bcast:31 row_mask:0xf bank_mask:0xf
	v_cndmask_b32_e64 v11, 0, v11, s[0:1]
	v_add_u32_e32 v10, v10, v11
	s_and_saveexec_b64 s[0:1], s[18:19]
	s_cbranch_execz .LBB387_54
; %bb.53:
	v_lshlrev_b32_e32 v11, 2, v25
	ds_write_b32 v11, v10
.LBB387_54:
	s_or_b64 exec, exec, s[0:1]
	v_cmp_gt_u32_e32 vcc, 3, v0
	s_waitcnt lgkmcnt(0)
	s_barrier
	s_and_saveexec_b64 s[0:1], vcc
	s_cbranch_execz .LBB387_56
; %bb.55:
	ds_read_b32 v11, v20
	v_and_b32_e32 v12, 3, v24
	v_cmp_ne_u32_e32 vcc, 0, v12
	s_waitcnt lgkmcnt(0)
	v_mov_b32_dpp v13, v11 row_shr:1 row_mask:0xf bank_mask:0xf
	v_cndmask_b32_e32 v13, 0, v13, vcc
	v_add_u32_e32 v11, v13, v11
	v_cmp_lt_u32_e32 vcc, 1, v12
	s_nop 0
	v_mov_b32_dpp v13, v11 row_shr:2 row_mask:0xf bank_mask:0xf
	v_cndmask_b32_e32 v12, 0, v13, vcc
	v_add_u32_e32 v11, v11, v12
	ds_write_b32 v20, v11
.LBB387_56:
	s_or_b64 exec, exec, s[0:1]
	v_cmp_lt_u32_e32 vcc, 63, v0
	v_mov_b32_e32 v11, 0
	v_mov_b32_e32 v12, 0
	s_waitcnt lgkmcnt(0)
	s_barrier
	s_and_saveexec_b64 s[0:1], vcc
	s_cbranch_execz .LBB387_58
; %bb.57:
	v_lshl_add_u32 v12, v25, 2, -4
	ds_read_b32 v12, v12
.LBB387_58:
	s_or_b64 exec, exec, s[0:1]
	v_add_u32_e32 v13, -1, v24
	v_and_b32_e32 v14, 64, v24
	v_cmp_lt_i32_e32 vcc, v13, v14
	v_cndmask_b32_e32 v13, v13, v24, vcc
	s_waitcnt lgkmcnt(0)
	v_add_u32_e32 v10, v12, v10
	v_lshlrev_b32_e32 v13, 2, v13
	ds_bpermute_b32 v13, v13, v10
	ds_read_b32 v10, v11 offset:8
	v_cmp_eq_u32_e32 vcc, 0, v0
	s_and_saveexec_b64 s[0:1], vcc
	s_cbranch_execz .LBB387_60
; %bb.59:
	v_mov_b32_e32 v14, 0
	v_mov_b32_e32 v11, 2
	s_waitcnt lgkmcnt(0)
	global_store_dwordx2 v14, v[10:11], s[34:35] offset:512
.LBB387_60:
	s_or_b64 exec, exec, s[0:1]
	v_cmp_eq_u32_e64 s[0:1], 0, v24
	s_waitcnt lgkmcnt(1)
	v_cndmask_b32_e64 v12, v13, v12, s[0:1]
	v_cndmask_b32_e64 v14, v12, 0, vcc
	v_add_u32_sdwa v15, v14, v22 dst_sel:DWORD dst_unused:UNUSED_PAD src0_sel:DWORD src1_sel:BYTE_0
	v_add_u32_sdwa v13, v15, v22 dst_sel:DWORD dst_unused:UNUSED_PAD src0_sel:DWORD src1_sel:BYTE_1
	v_mov_b32_e32 v11, 0
	v_add_u32_e32 v12, v13, v23
	s_waitcnt lgkmcnt(0)
	s_barrier
.LBB387_61:
	s_waitcnt lgkmcnt(0)
	v_add_u32_e32 v17, v10, v20
	v_sub_u32_e32 v14, v14, v11
	v_and_b32_e32 v19, 1, v22
	v_sub_u32_e32 v18, v17, v14
	v_cmp_eq_u32_e32 vcc, 1, v19
	v_cndmask_b32_e32 v14, v18, v14, vcc
	v_lshlrev_b32_e32 v14, 3, v14
	v_lshrrev_b32_e32 v16, 8, v22
	ds_write_b64 v14, v[6:7]
	v_sub_u32_e32 v6, v15, v11
	v_sub_u32_e32 v7, v17, v6
	v_and_b32_e32 v14, 1, v16
	v_add_u32_e32 v7, 1, v7
	v_cmp_eq_u32_e32 vcc, 1, v14
	v_cndmask_b32_e32 v6, v7, v6, vcc
	v_lshlrev_b32_e32 v6, 3, v6
	ds_write_b64 v6, v[8:9]
	v_sub_u32_e32 v6, v13, v11
	v_mov_b32_e32 v8, 1
	v_sub_u32_e32 v7, v17, v6
	v_and_b32_sdwa v8, v8, v22 dst_sel:DWORD dst_unused:UNUSED_PAD src0_sel:DWORD src1_sel:WORD_1
	v_add_u32_e32 v7, 2, v7
	v_cmp_eq_u32_e32 vcc, 1, v8
	v_cndmask_b32_e32 v6, v7, v6, vcc
	v_lshlrev_b32_e32 v6, 3, v6
	ds_write_b64 v6, v[2:3]
	v_sub_u32_e32 v2, v12, v11
	v_sub_u32_e32 v3, v17, v2
	v_and_b32_e32 v6, 1, v21
	v_add_u32_e32 v3, 3, v3
	v_cmp_eq_u32_e32 vcc, 1, v6
	v_cndmask_b32_e32 v2, v3, v2, vcc
	v_mov_b32_e32 v12, s31
	v_add_co_u32_e32 v20, vcc, s30, v11
	v_addc_co_u32_e32 v21, vcc, 0, v12, vcc
	s_load_dwordx4 s[0:3], s[4:5], 0x30
	v_add_co_u32_e32 v12, vcc, v20, v10
	v_addc_co_u32_e32 v13, vcc, 0, v21, vcc
	v_mov_b32_e32 v11, s27
	v_sub_co_u32_e32 v16, vcc, s26, v12
	v_subb_co_u32_e32 v17, vcc, v11, v13, vcc
	v_lshlrev_b32_e32 v2, 3, v2
	v_lshlrev_b64 v[16:17], 3, v[16:17]
	ds_write_b64 v2, v[4:5]
	s_waitcnt lgkmcnt(0)
	s_barrier
	ds_read2st64_b64 v[6:9], v1 offset1:3
	ds_read2st64_b64 v[2:5], v1 offset0:6 offset1:9
	v_mov_b32_e32 v11, s3
	v_add_co_u32_e32 v16, vcc, s2, v16
	v_addc_co_u32_e32 v17, vcc, v11, v17, vcc
	v_mov_b32_e32 v18, s29
	v_add_co_u32_e32 v11, vcc, s28, v16
	v_lshlrev_b64 v[20:21], 3, v[20:21]
	v_addc_co_u32_e32 v16, vcc, v17, v18, vcc
	v_mov_b32_e32 v18, s1
	v_add_co_u32_e64 v17, s[0:1], s0, v20
	v_add_u32_e32 v19, 0xc0, v0
	v_add_u32_e32 v15, 0x180, v0
	;; [unrolled: 1-line block ×3, first 2 shown]
	s_andn2_b64 vcc, exec, s[24:25]
	v_addc_co_u32_e64 v18, s[0:1], v18, v21, s[0:1]
	s_cbranch_vccnz .LBB387_63
; %bb.62:
	v_cmp_lt_u32_e32 vcc, v0, v10
	v_cndmask_b32_e32 v20, v11, v17, vcc
	v_cndmask_b32_e32 v21, v16, v18, vcc
	v_add_co_u32_e32 v20, vcc, v20, v1
	v_addc_co_u32_e32 v21, vcc, 0, v21, vcc
	v_cmp_lt_u32_e32 vcc, v19, v10
	s_waitcnt lgkmcnt(1)
	global_store_dwordx2 v[20:21], v[6:7], off
	v_cndmask_b32_e32 v20, v11, v17, vcc
	v_cndmask_b32_e32 v21, v16, v18, vcc
	v_add_co_u32_e32 v20, vcc, v20, v1
	v_addc_co_u32_e32 v21, vcc, 0, v21, vcc
	v_cmp_lt_u32_e32 vcc, v15, v10
	global_store_dwordx2 v[20:21], v[8:9], off offset:1536
	v_cndmask_b32_e32 v20, v11, v17, vcc
	v_cndmask_b32_e32 v21, v16, v18, vcc
	v_add_co_u32_e32 v20, vcc, v20, v1
	v_addc_co_u32_e32 v21, vcc, 0, v21, vcc
	s_mov_b64 s[0:1], -1
	s_waitcnt lgkmcnt(0)
	global_store_dwordx2 v[20:21], v[2:3], off offset:3072
	s_cbranch_execz .LBB387_64
	s_branch .LBB387_69
.LBB387_63:
	s_mov_b64 s[0:1], 0
.LBB387_64:
	v_cmp_gt_u32_e32 vcc, s33, v0
	s_and_saveexec_b64 s[0:1], vcc
	s_cbranch_execnz .LBB387_74
; %bb.65:
	s_or_b64 exec, exec, s[0:1]
	v_cmp_gt_u32_e32 vcc, s33, v19
	s_and_saveexec_b64 s[0:1], vcc
	s_cbranch_execnz .LBB387_75
.LBB387_66:
	s_or_b64 exec, exec, s[0:1]
	v_cmp_gt_u32_e32 vcc, s33, v15
	s_and_saveexec_b64 s[0:1], vcc
	s_cbranch_execz .LBB387_68
.LBB387_67:
	v_cmp_lt_u32_e32 vcc, v15, v10
	s_waitcnt lgkmcnt(1)
	v_cndmask_b32_e32 v6, v11, v17, vcc
	v_cndmask_b32_e32 v7, v16, v18, vcc
	v_add_co_u32_e32 v6, vcc, v6, v1
	v_addc_co_u32_e32 v7, vcc, 0, v7, vcc
	s_waitcnt lgkmcnt(0)
	global_store_dwordx2 v[6:7], v[2:3], off offset:3072
.LBB387_68:
	s_or_b64 exec, exec, s[0:1]
	v_cmp_gt_u32_e64 s[0:1], s33, v14
.LBB387_69:
	s_and_saveexec_b64 s[2:3], s[0:1]
	s_cbranch_execz .LBB387_71
; %bb.70:
	v_cmp_lt_u32_e32 vcc, v14, v10
	s_waitcnt lgkmcnt(0)
	v_cndmask_b32_e32 v2, v11, v17, vcc
	v_lshlrev_b32_e32 v3, 3, v14
	v_cndmask_b32_e32 v1, v16, v18, vcc
	v_add_co_u32_e32 v2, vcc, v2, v3
	v_addc_co_u32_e32 v3, vcc, 0, v1, vcc
	global_store_dwordx2 v[2:3], v[4:5], off
.LBB387_71:
	s_or_b64 exec, exec, s[2:3]
	v_cmp_eq_u32_e32 vcc, 0, v0
	s_and_b64 s[0:1], vcc, s[22:23]
	s_and_saveexec_b64 s[2:3], s[0:1]
	s_cbranch_execz .LBB387_73
; %bb.72:
	v_mov_b32_e32 v0, 0
	global_store_dwordx2 v0, v[12:13], s[20:21]
.LBB387_73:
	s_endpgm
.LBB387_74:
	v_cmp_lt_u32_e32 vcc, v0, v10
	v_cndmask_b32_e32 v20, v11, v17, vcc
	v_cndmask_b32_e32 v21, v16, v18, vcc
	v_add_co_u32_e32 v20, vcc, v20, v1
	v_addc_co_u32_e32 v21, vcc, 0, v21, vcc
	s_waitcnt lgkmcnt(1)
	global_store_dwordx2 v[20:21], v[6:7], off
	s_or_b64 exec, exec, s[0:1]
	v_cmp_gt_u32_e32 vcc, s33, v19
	s_and_saveexec_b64 s[0:1], vcc
	s_cbranch_execz .LBB387_66
.LBB387_75:
	v_cmp_lt_u32_e32 vcc, v19, v10
	s_waitcnt lgkmcnt(1)
	v_cndmask_b32_e32 v6, v11, v17, vcc
	v_cndmask_b32_e32 v7, v16, v18, vcc
	v_add_co_u32_e32 v6, vcc, v6, v1
	v_addc_co_u32_e32 v7, vcc, 0, v7, vcc
	global_store_dwordx2 v[6:7], v[8:9], off offset:1536
	s_or_b64 exec, exec, s[0:1]
	v_cmp_gt_u32_e32 vcc, s33, v15
	s_and_saveexec_b64 s[0:1], vcc
	s_cbranch_execnz .LBB387_67
	s_branch .LBB387_68
	.section	.rodata,"a",@progbits
	.p2align	6, 0x0
	.amdhsa_kernel _ZN7rocprim17ROCPRIM_400000_NS6detail17trampoline_kernelINS0_14default_configENS1_25partition_config_selectorILNS1_17partition_subalgoE1ExNS0_10empty_typeEbEEZZNS1_14partition_implILS5_1ELb0ES3_jN6thrust23THRUST_200600_302600_NS6detail15normal_iteratorINSA_10device_ptrIxEEEEPS6_NSA_18transform_iteratorI7is_evenIxESF_NSA_11use_defaultESK_EENS0_5tupleIJSF_SF_EEENSM_IJSG_SG_EEES6_PlJS6_EEE10hipError_tPvRmT3_T4_T5_T6_T7_T9_mT8_P12ihipStream_tbDpT10_ENKUlT_T0_E_clISt17integral_constantIbLb0EES19_EEDaS14_S15_EUlS14_E_NS1_11comp_targetILNS1_3genE4ELNS1_11target_archE910ELNS1_3gpuE8ELNS1_3repE0EEENS1_30default_config_static_selectorELNS0_4arch9wavefront6targetE1EEEvT1_
		.amdhsa_group_segment_fixed_size 6344
		.amdhsa_private_segment_fixed_size 0
		.amdhsa_kernarg_size 128
		.amdhsa_user_sgpr_count 6
		.amdhsa_user_sgpr_private_segment_buffer 1
		.amdhsa_user_sgpr_dispatch_ptr 0
		.amdhsa_user_sgpr_queue_ptr 0
		.amdhsa_user_sgpr_kernarg_segment_ptr 1
		.amdhsa_user_sgpr_dispatch_id 0
		.amdhsa_user_sgpr_flat_scratch_init 0
		.amdhsa_user_sgpr_kernarg_preload_length 0
		.amdhsa_user_sgpr_kernarg_preload_offset 0
		.amdhsa_user_sgpr_private_segment_size 0
		.amdhsa_uses_dynamic_stack 0
		.amdhsa_system_sgpr_private_segment_wavefront_offset 0
		.amdhsa_system_sgpr_workgroup_id_x 1
		.amdhsa_system_sgpr_workgroup_id_y 0
		.amdhsa_system_sgpr_workgroup_id_z 0
		.amdhsa_system_sgpr_workgroup_info 0
		.amdhsa_system_vgpr_workitem_id 0
		.amdhsa_next_free_vgpr 43
		.amdhsa_next_free_sgpr 44
		.amdhsa_accum_offset 44
		.amdhsa_reserve_vcc 1
		.amdhsa_reserve_flat_scratch 0
		.amdhsa_float_round_mode_32 0
		.amdhsa_float_round_mode_16_64 0
		.amdhsa_float_denorm_mode_32 3
		.amdhsa_float_denorm_mode_16_64 3
		.amdhsa_dx10_clamp 1
		.amdhsa_ieee_mode 1
		.amdhsa_fp16_overflow 0
		.amdhsa_tg_split 0
		.amdhsa_exception_fp_ieee_invalid_op 0
		.amdhsa_exception_fp_denorm_src 0
		.amdhsa_exception_fp_ieee_div_zero 0
		.amdhsa_exception_fp_ieee_overflow 0
		.amdhsa_exception_fp_ieee_underflow 0
		.amdhsa_exception_fp_ieee_inexact 0
		.amdhsa_exception_int_div_zero 0
	.end_amdhsa_kernel
	.section	.text._ZN7rocprim17ROCPRIM_400000_NS6detail17trampoline_kernelINS0_14default_configENS1_25partition_config_selectorILNS1_17partition_subalgoE1ExNS0_10empty_typeEbEEZZNS1_14partition_implILS5_1ELb0ES3_jN6thrust23THRUST_200600_302600_NS6detail15normal_iteratorINSA_10device_ptrIxEEEEPS6_NSA_18transform_iteratorI7is_evenIxESF_NSA_11use_defaultESK_EENS0_5tupleIJSF_SF_EEENSM_IJSG_SG_EEES6_PlJS6_EEE10hipError_tPvRmT3_T4_T5_T6_T7_T9_mT8_P12ihipStream_tbDpT10_ENKUlT_T0_E_clISt17integral_constantIbLb0EES19_EEDaS14_S15_EUlS14_E_NS1_11comp_targetILNS1_3genE4ELNS1_11target_archE910ELNS1_3gpuE8ELNS1_3repE0EEENS1_30default_config_static_selectorELNS0_4arch9wavefront6targetE1EEEvT1_,"axG",@progbits,_ZN7rocprim17ROCPRIM_400000_NS6detail17trampoline_kernelINS0_14default_configENS1_25partition_config_selectorILNS1_17partition_subalgoE1ExNS0_10empty_typeEbEEZZNS1_14partition_implILS5_1ELb0ES3_jN6thrust23THRUST_200600_302600_NS6detail15normal_iteratorINSA_10device_ptrIxEEEEPS6_NSA_18transform_iteratorI7is_evenIxESF_NSA_11use_defaultESK_EENS0_5tupleIJSF_SF_EEENSM_IJSG_SG_EEES6_PlJS6_EEE10hipError_tPvRmT3_T4_T5_T6_T7_T9_mT8_P12ihipStream_tbDpT10_ENKUlT_T0_E_clISt17integral_constantIbLb0EES19_EEDaS14_S15_EUlS14_E_NS1_11comp_targetILNS1_3genE4ELNS1_11target_archE910ELNS1_3gpuE8ELNS1_3repE0EEENS1_30default_config_static_selectorELNS0_4arch9wavefront6targetE1EEEvT1_,comdat
.Lfunc_end387:
	.size	_ZN7rocprim17ROCPRIM_400000_NS6detail17trampoline_kernelINS0_14default_configENS1_25partition_config_selectorILNS1_17partition_subalgoE1ExNS0_10empty_typeEbEEZZNS1_14partition_implILS5_1ELb0ES3_jN6thrust23THRUST_200600_302600_NS6detail15normal_iteratorINSA_10device_ptrIxEEEEPS6_NSA_18transform_iteratorI7is_evenIxESF_NSA_11use_defaultESK_EENS0_5tupleIJSF_SF_EEENSM_IJSG_SG_EEES6_PlJS6_EEE10hipError_tPvRmT3_T4_T5_T6_T7_T9_mT8_P12ihipStream_tbDpT10_ENKUlT_T0_E_clISt17integral_constantIbLb0EES19_EEDaS14_S15_EUlS14_E_NS1_11comp_targetILNS1_3genE4ELNS1_11target_archE910ELNS1_3gpuE8ELNS1_3repE0EEENS1_30default_config_static_selectorELNS0_4arch9wavefront6targetE1EEEvT1_, .Lfunc_end387-_ZN7rocprim17ROCPRIM_400000_NS6detail17trampoline_kernelINS0_14default_configENS1_25partition_config_selectorILNS1_17partition_subalgoE1ExNS0_10empty_typeEbEEZZNS1_14partition_implILS5_1ELb0ES3_jN6thrust23THRUST_200600_302600_NS6detail15normal_iteratorINSA_10device_ptrIxEEEEPS6_NSA_18transform_iteratorI7is_evenIxESF_NSA_11use_defaultESK_EENS0_5tupleIJSF_SF_EEENSM_IJSG_SG_EEES6_PlJS6_EEE10hipError_tPvRmT3_T4_T5_T6_T7_T9_mT8_P12ihipStream_tbDpT10_ENKUlT_T0_E_clISt17integral_constantIbLb0EES19_EEDaS14_S15_EUlS14_E_NS1_11comp_targetILNS1_3genE4ELNS1_11target_archE910ELNS1_3gpuE8ELNS1_3repE0EEENS1_30default_config_static_selectorELNS0_4arch9wavefront6targetE1EEEvT1_
                                        ; -- End function
	.section	.AMDGPU.csdata,"",@progbits
; Kernel info:
; codeLenInByte = 3924
; NumSgprs: 48
; NumVgprs: 43
; NumAgprs: 0
; TotalNumVgprs: 43
; ScratchSize: 0
; MemoryBound: 0
; FloatMode: 240
; IeeeMode: 1
; LDSByteSize: 6344 bytes/workgroup (compile time only)
; SGPRBlocks: 5
; VGPRBlocks: 5
; NumSGPRsForWavesPerEU: 48
; NumVGPRsForWavesPerEU: 43
; AccumOffset: 44
; Occupancy: 8
; WaveLimiterHint : 1
; COMPUTE_PGM_RSRC2:SCRATCH_EN: 0
; COMPUTE_PGM_RSRC2:USER_SGPR: 6
; COMPUTE_PGM_RSRC2:TRAP_HANDLER: 0
; COMPUTE_PGM_RSRC2:TGID_X_EN: 1
; COMPUTE_PGM_RSRC2:TGID_Y_EN: 0
; COMPUTE_PGM_RSRC2:TGID_Z_EN: 0
; COMPUTE_PGM_RSRC2:TIDIG_COMP_CNT: 0
; COMPUTE_PGM_RSRC3_GFX90A:ACCUM_OFFSET: 10
; COMPUTE_PGM_RSRC3_GFX90A:TG_SPLIT: 0
	.section	.text._ZN7rocprim17ROCPRIM_400000_NS6detail17trampoline_kernelINS0_14default_configENS1_25partition_config_selectorILNS1_17partition_subalgoE1ExNS0_10empty_typeEbEEZZNS1_14partition_implILS5_1ELb0ES3_jN6thrust23THRUST_200600_302600_NS6detail15normal_iteratorINSA_10device_ptrIxEEEEPS6_NSA_18transform_iteratorI7is_evenIxESF_NSA_11use_defaultESK_EENS0_5tupleIJSF_SF_EEENSM_IJSG_SG_EEES6_PlJS6_EEE10hipError_tPvRmT3_T4_T5_T6_T7_T9_mT8_P12ihipStream_tbDpT10_ENKUlT_T0_E_clISt17integral_constantIbLb0EES19_EEDaS14_S15_EUlS14_E_NS1_11comp_targetILNS1_3genE3ELNS1_11target_archE908ELNS1_3gpuE7ELNS1_3repE0EEENS1_30default_config_static_selectorELNS0_4arch9wavefront6targetE1EEEvT1_,"axG",@progbits,_ZN7rocprim17ROCPRIM_400000_NS6detail17trampoline_kernelINS0_14default_configENS1_25partition_config_selectorILNS1_17partition_subalgoE1ExNS0_10empty_typeEbEEZZNS1_14partition_implILS5_1ELb0ES3_jN6thrust23THRUST_200600_302600_NS6detail15normal_iteratorINSA_10device_ptrIxEEEEPS6_NSA_18transform_iteratorI7is_evenIxESF_NSA_11use_defaultESK_EENS0_5tupleIJSF_SF_EEENSM_IJSG_SG_EEES6_PlJS6_EEE10hipError_tPvRmT3_T4_T5_T6_T7_T9_mT8_P12ihipStream_tbDpT10_ENKUlT_T0_E_clISt17integral_constantIbLb0EES19_EEDaS14_S15_EUlS14_E_NS1_11comp_targetILNS1_3genE3ELNS1_11target_archE908ELNS1_3gpuE7ELNS1_3repE0EEENS1_30default_config_static_selectorELNS0_4arch9wavefront6targetE1EEEvT1_,comdat
	.protected	_ZN7rocprim17ROCPRIM_400000_NS6detail17trampoline_kernelINS0_14default_configENS1_25partition_config_selectorILNS1_17partition_subalgoE1ExNS0_10empty_typeEbEEZZNS1_14partition_implILS5_1ELb0ES3_jN6thrust23THRUST_200600_302600_NS6detail15normal_iteratorINSA_10device_ptrIxEEEEPS6_NSA_18transform_iteratorI7is_evenIxESF_NSA_11use_defaultESK_EENS0_5tupleIJSF_SF_EEENSM_IJSG_SG_EEES6_PlJS6_EEE10hipError_tPvRmT3_T4_T5_T6_T7_T9_mT8_P12ihipStream_tbDpT10_ENKUlT_T0_E_clISt17integral_constantIbLb0EES19_EEDaS14_S15_EUlS14_E_NS1_11comp_targetILNS1_3genE3ELNS1_11target_archE908ELNS1_3gpuE7ELNS1_3repE0EEENS1_30default_config_static_selectorELNS0_4arch9wavefront6targetE1EEEvT1_ ; -- Begin function _ZN7rocprim17ROCPRIM_400000_NS6detail17trampoline_kernelINS0_14default_configENS1_25partition_config_selectorILNS1_17partition_subalgoE1ExNS0_10empty_typeEbEEZZNS1_14partition_implILS5_1ELb0ES3_jN6thrust23THRUST_200600_302600_NS6detail15normal_iteratorINSA_10device_ptrIxEEEEPS6_NSA_18transform_iteratorI7is_evenIxESF_NSA_11use_defaultESK_EENS0_5tupleIJSF_SF_EEENSM_IJSG_SG_EEES6_PlJS6_EEE10hipError_tPvRmT3_T4_T5_T6_T7_T9_mT8_P12ihipStream_tbDpT10_ENKUlT_T0_E_clISt17integral_constantIbLb0EES19_EEDaS14_S15_EUlS14_E_NS1_11comp_targetILNS1_3genE3ELNS1_11target_archE908ELNS1_3gpuE7ELNS1_3repE0EEENS1_30default_config_static_selectorELNS0_4arch9wavefront6targetE1EEEvT1_
	.globl	_ZN7rocprim17ROCPRIM_400000_NS6detail17trampoline_kernelINS0_14default_configENS1_25partition_config_selectorILNS1_17partition_subalgoE1ExNS0_10empty_typeEbEEZZNS1_14partition_implILS5_1ELb0ES3_jN6thrust23THRUST_200600_302600_NS6detail15normal_iteratorINSA_10device_ptrIxEEEEPS6_NSA_18transform_iteratorI7is_evenIxESF_NSA_11use_defaultESK_EENS0_5tupleIJSF_SF_EEENSM_IJSG_SG_EEES6_PlJS6_EEE10hipError_tPvRmT3_T4_T5_T6_T7_T9_mT8_P12ihipStream_tbDpT10_ENKUlT_T0_E_clISt17integral_constantIbLb0EES19_EEDaS14_S15_EUlS14_E_NS1_11comp_targetILNS1_3genE3ELNS1_11target_archE908ELNS1_3gpuE7ELNS1_3repE0EEENS1_30default_config_static_selectorELNS0_4arch9wavefront6targetE1EEEvT1_
	.p2align	8
	.type	_ZN7rocprim17ROCPRIM_400000_NS6detail17trampoline_kernelINS0_14default_configENS1_25partition_config_selectorILNS1_17partition_subalgoE1ExNS0_10empty_typeEbEEZZNS1_14partition_implILS5_1ELb0ES3_jN6thrust23THRUST_200600_302600_NS6detail15normal_iteratorINSA_10device_ptrIxEEEEPS6_NSA_18transform_iteratorI7is_evenIxESF_NSA_11use_defaultESK_EENS0_5tupleIJSF_SF_EEENSM_IJSG_SG_EEES6_PlJS6_EEE10hipError_tPvRmT3_T4_T5_T6_T7_T9_mT8_P12ihipStream_tbDpT10_ENKUlT_T0_E_clISt17integral_constantIbLb0EES19_EEDaS14_S15_EUlS14_E_NS1_11comp_targetILNS1_3genE3ELNS1_11target_archE908ELNS1_3gpuE7ELNS1_3repE0EEENS1_30default_config_static_selectorELNS0_4arch9wavefront6targetE1EEEvT1_,@function
_ZN7rocprim17ROCPRIM_400000_NS6detail17trampoline_kernelINS0_14default_configENS1_25partition_config_selectorILNS1_17partition_subalgoE1ExNS0_10empty_typeEbEEZZNS1_14partition_implILS5_1ELb0ES3_jN6thrust23THRUST_200600_302600_NS6detail15normal_iteratorINSA_10device_ptrIxEEEEPS6_NSA_18transform_iteratorI7is_evenIxESF_NSA_11use_defaultESK_EENS0_5tupleIJSF_SF_EEENSM_IJSG_SG_EEES6_PlJS6_EEE10hipError_tPvRmT3_T4_T5_T6_T7_T9_mT8_P12ihipStream_tbDpT10_ENKUlT_T0_E_clISt17integral_constantIbLb0EES19_EEDaS14_S15_EUlS14_E_NS1_11comp_targetILNS1_3genE3ELNS1_11target_archE908ELNS1_3gpuE7ELNS1_3repE0EEENS1_30default_config_static_selectorELNS0_4arch9wavefront6targetE1EEEvT1_: ; @_ZN7rocprim17ROCPRIM_400000_NS6detail17trampoline_kernelINS0_14default_configENS1_25partition_config_selectorILNS1_17partition_subalgoE1ExNS0_10empty_typeEbEEZZNS1_14partition_implILS5_1ELb0ES3_jN6thrust23THRUST_200600_302600_NS6detail15normal_iteratorINSA_10device_ptrIxEEEEPS6_NSA_18transform_iteratorI7is_evenIxESF_NSA_11use_defaultESK_EENS0_5tupleIJSF_SF_EEENSM_IJSG_SG_EEES6_PlJS6_EEE10hipError_tPvRmT3_T4_T5_T6_T7_T9_mT8_P12ihipStream_tbDpT10_ENKUlT_T0_E_clISt17integral_constantIbLb0EES19_EEDaS14_S15_EUlS14_E_NS1_11comp_targetILNS1_3genE3ELNS1_11target_archE908ELNS1_3gpuE7ELNS1_3repE0EEENS1_30default_config_static_selectorELNS0_4arch9wavefront6targetE1EEEvT1_
; %bb.0:
	.section	.rodata,"a",@progbits
	.p2align	6, 0x0
	.amdhsa_kernel _ZN7rocprim17ROCPRIM_400000_NS6detail17trampoline_kernelINS0_14default_configENS1_25partition_config_selectorILNS1_17partition_subalgoE1ExNS0_10empty_typeEbEEZZNS1_14partition_implILS5_1ELb0ES3_jN6thrust23THRUST_200600_302600_NS6detail15normal_iteratorINSA_10device_ptrIxEEEEPS6_NSA_18transform_iteratorI7is_evenIxESF_NSA_11use_defaultESK_EENS0_5tupleIJSF_SF_EEENSM_IJSG_SG_EEES6_PlJS6_EEE10hipError_tPvRmT3_T4_T5_T6_T7_T9_mT8_P12ihipStream_tbDpT10_ENKUlT_T0_E_clISt17integral_constantIbLb0EES19_EEDaS14_S15_EUlS14_E_NS1_11comp_targetILNS1_3genE3ELNS1_11target_archE908ELNS1_3gpuE7ELNS1_3repE0EEENS1_30default_config_static_selectorELNS0_4arch9wavefront6targetE1EEEvT1_
		.amdhsa_group_segment_fixed_size 0
		.amdhsa_private_segment_fixed_size 0
		.amdhsa_kernarg_size 128
		.amdhsa_user_sgpr_count 6
		.amdhsa_user_sgpr_private_segment_buffer 1
		.amdhsa_user_sgpr_dispatch_ptr 0
		.amdhsa_user_sgpr_queue_ptr 0
		.amdhsa_user_sgpr_kernarg_segment_ptr 1
		.amdhsa_user_sgpr_dispatch_id 0
		.amdhsa_user_sgpr_flat_scratch_init 0
		.amdhsa_user_sgpr_kernarg_preload_length 0
		.amdhsa_user_sgpr_kernarg_preload_offset 0
		.amdhsa_user_sgpr_private_segment_size 0
		.amdhsa_uses_dynamic_stack 0
		.amdhsa_system_sgpr_private_segment_wavefront_offset 0
		.amdhsa_system_sgpr_workgroup_id_x 1
		.amdhsa_system_sgpr_workgroup_id_y 0
		.amdhsa_system_sgpr_workgroup_id_z 0
		.amdhsa_system_sgpr_workgroup_info 0
		.amdhsa_system_vgpr_workitem_id 0
		.amdhsa_next_free_vgpr 1
		.amdhsa_next_free_sgpr 0
		.amdhsa_accum_offset 4
		.amdhsa_reserve_vcc 0
		.amdhsa_reserve_flat_scratch 0
		.amdhsa_float_round_mode_32 0
		.amdhsa_float_round_mode_16_64 0
		.amdhsa_float_denorm_mode_32 3
		.amdhsa_float_denorm_mode_16_64 3
		.amdhsa_dx10_clamp 1
		.amdhsa_ieee_mode 1
		.amdhsa_fp16_overflow 0
		.amdhsa_tg_split 0
		.amdhsa_exception_fp_ieee_invalid_op 0
		.amdhsa_exception_fp_denorm_src 0
		.amdhsa_exception_fp_ieee_div_zero 0
		.amdhsa_exception_fp_ieee_overflow 0
		.amdhsa_exception_fp_ieee_underflow 0
		.amdhsa_exception_fp_ieee_inexact 0
		.amdhsa_exception_int_div_zero 0
	.end_amdhsa_kernel
	.section	.text._ZN7rocprim17ROCPRIM_400000_NS6detail17trampoline_kernelINS0_14default_configENS1_25partition_config_selectorILNS1_17partition_subalgoE1ExNS0_10empty_typeEbEEZZNS1_14partition_implILS5_1ELb0ES3_jN6thrust23THRUST_200600_302600_NS6detail15normal_iteratorINSA_10device_ptrIxEEEEPS6_NSA_18transform_iteratorI7is_evenIxESF_NSA_11use_defaultESK_EENS0_5tupleIJSF_SF_EEENSM_IJSG_SG_EEES6_PlJS6_EEE10hipError_tPvRmT3_T4_T5_T6_T7_T9_mT8_P12ihipStream_tbDpT10_ENKUlT_T0_E_clISt17integral_constantIbLb0EES19_EEDaS14_S15_EUlS14_E_NS1_11comp_targetILNS1_3genE3ELNS1_11target_archE908ELNS1_3gpuE7ELNS1_3repE0EEENS1_30default_config_static_selectorELNS0_4arch9wavefront6targetE1EEEvT1_,"axG",@progbits,_ZN7rocprim17ROCPRIM_400000_NS6detail17trampoline_kernelINS0_14default_configENS1_25partition_config_selectorILNS1_17partition_subalgoE1ExNS0_10empty_typeEbEEZZNS1_14partition_implILS5_1ELb0ES3_jN6thrust23THRUST_200600_302600_NS6detail15normal_iteratorINSA_10device_ptrIxEEEEPS6_NSA_18transform_iteratorI7is_evenIxESF_NSA_11use_defaultESK_EENS0_5tupleIJSF_SF_EEENSM_IJSG_SG_EEES6_PlJS6_EEE10hipError_tPvRmT3_T4_T5_T6_T7_T9_mT8_P12ihipStream_tbDpT10_ENKUlT_T0_E_clISt17integral_constantIbLb0EES19_EEDaS14_S15_EUlS14_E_NS1_11comp_targetILNS1_3genE3ELNS1_11target_archE908ELNS1_3gpuE7ELNS1_3repE0EEENS1_30default_config_static_selectorELNS0_4arch9wavefront6targetE1EEEvT1_,comdat
.Lfunc_end388:
	.size	_ZN7rocprim17ROCPRIM_400000_NS6detail17trampoline_kernelINS0_14default_configENS1_25partition_config_selectorILNS1_17partition_subalgoE1ExNS0_10empty_typeEbEEZZNS1_14partition_implILS5_1ELb0ES3_jN6thrust23THRUST_200600_302600_NS6detail15normal_iteratorINSA_10device_ptrIxEEEEPS6_NSA_18transform_iteratorI7is_evenIxESF_NSA_11use_defaultESK_EENS0_5tupleIJSF_SF_EEENSM_IJSG_SG_EEES6_PlJS6_EEE10hipError_tPvRmT3_T4_T5_T6_T7_T9_mT8_P12ihipStream_tbDpT10_ENKUlT_T0_E_clISt17integral_constantIbLb0EES19_EEDaS14_S15_EUlS14_E_NS1_11comp_targetILNS1_3genE3ELNS1_11target_archE908ELNS1_3gpuE7ELNS1_3repE0EEENS1_30default_config_static_selectorELNS0_4arch9wavefront6targetE1EEEvT1_, .Lfunc_end388-_ZN7rocprim17ROCPRIM_400000_NS6detail17trampoline_kernelINS0_14default_configENS1_25partition_config_selectorILNS1_17partition_subalgoE1ExNS0_10empty_typeEbEEZZNS1_14partition_implILS5_1ELb0ES3_jN6thrust23THRUST_200600_302600_NS6detail15normal_iteratorINSA_10device_ptrIxEEEEPS6_NSA_18transform_iteratorI7is_evenIxESF_NSA_11use_defaultESK_EENS0_5tupleIJSF_SF_EEENSM_IJSG_SG_EEES6_PlJS6_EEE10hipError_tPvRmT3_T4_T5_T6_T7_T9_mT8_P12ihipStream_tbDpT10_ENKUlT_T0_E_clISt17integral_constantIbLb0EES19_EEDaS14_S15_EUlS14_E_NS1_11comp_targetILNS1_3genE3ELNS1_11target_archE908ELNS1_3gpuE7ELNS1_3repE0EEENS1_30default_config_static_selectorELNS0_4arch9wavefront6targetE1EEEvT1_
                                        ; -- End function
	.section	.AMDGPU.csdata,"",@progbits
; Kernel info:
; codeLenInByte = 0
; NumSgprs: 4
; NumVgprs: 0
; NumAgprs: 0
; TotalNumVgprs: 0
; ScratchSize: 0
; MemoryBound: 0
; FloatMode: 240
; IeeeMode: 1
; LDSByteSize: 0 bytes/workgroup (compile time only)
; SGPRBlocks: 0
; VGPRBlocks: 0
; NumSGPRsForWavesPerEU: 4
; NumVGPRsForWavesPerEU: 1
; AccumOffset: 4
; Occupancy: 8
; WaveLimiterHint : 0
; COMPUTE_PGM_RSRC2:SCRATCH_EN: 0
; COMPUTE_PGM_RSRC2:USER_SGPR: 6
; COMPUTE_PGM_RSRC2:TRAP_HANDLER: 0
; COMPUTE_PGM_RSRC2:TGID_X_EN: 1
; COMPUTE_PGM_RSRC2:TGID_Y_EN: 0
; COMPUTE_PGM_RSRC2:TGID_Z_EN: 0
; COMPUTE_PGM_RSRC2:TIDIG_COMP_CNT: 0
; COMPUTE_PGM_RSRC3_GFX90A:ACCUM_OFFSET: 0
; COMPUTE_PGM_RSRC3_GFX90A:TG_SPLIT: 0
	.section	.text._ZN7rocprim17ROCPRIM_400000_NS6detail17trampoline_kernelINS0_14default_configENS1_25partition_config_selectorILNS1_17partition_subalgoE1ExNS0_10empty_typeEbEEZZNS1_14partition_implILS5_1ELb0ES3_jN6thrust23THRUST_200600_302600_NS6detail15normal_iteratorINSA_10device_ptrIxEEEEPS6_NSA_18transform_iteratorI7is_evenIxESF_NSA_11use_defaultESK_EENS0_5tupleIJSF_SF_EEENSM_IJSG_SG_EEES6_PlJS6_EEE10hipError_tPvRmT3_T4_T5_T6_T7_T9_mT8_P12ihipStream_tbDpT10_ENKUlT_T0_E_clISt17integral_constantIbLb0EES19_EEDaS14_S15_EUlS14_E_NS1_11comp_targetILNS1_3genE2ELNS1_11target_archE906ELNS1_3gpuE6ELNS1_3repE0EEENS1_30default_config_static_selectorELNS0_4arch9wavefront6targetE1EEEvT1_,"axG",@progbits,_ZN7rocprim17ROCPRIM_400000_NS6detail17trampoline_kernelINS0_14default_configENS1_25partition_config_selectorILNS1_17partition_subalgoE1ExNS0_10empty_typeEbEEZZNS1_14partition_implILS5_1ELb0ES3_jN6thrust23THRUST_200600_302600_NS6detail15normal_iteratorINSA_10device_ptrIxEEEEPS6_NSA_18transform_iteratorI7is_evenIxESF_NSA_11use_defaultESK_EENS0_5tupleIJSF_SF_EEENSM_IJSG_SG_EEES6_PlJS6_EEE10hipError_tPvRmT3_T4_T5_T6_T7_T9_mT8_P12ihipStream_tbDpT10_ENKUlT_T0_E_clISt17integral_constantIbLb0EES19_EEDaS14_S15_EUlS14_E_NS1_11comp_targetILNS1_3genE2ELNS1_11target_archE906ELNS1_3gpuE6ELNS1_3repE0EEENS1_30default_config_static_selectorELNS0_4arch9wavefront6targetE1EEEvT1_,comdat
	.protected	_ZN7rocprim17ROCPRIM_400000_NS6detail17trampoline_kernelINS0_14default_configENS1_25partition_config_selectorILNS1_17partition_subalgoE1ExNS0_10empty_typeEbEEZZNS1_14partition_implILS5_1ELb0ES3_jN6thrust23THRUST_200600_302600_NS6detail15normal_iteratorINSA_10device_ptrIxEEEEPS6_NSA_18transform_iteratorI7is_evenIxESF_NSA_11use_defaultESK_EENS0_5tupleIJSF_SF_EEENSM_IJSG_SG_EEES6_PlJS6_EEE10hipError_tPvRmT3_T4_T5_T6_T7_T9_mT8_P12ihipStream_tbDpT10_ENKUlT_T0_E_clISt17integral_constantIbLb0EES19_EEDaS14_S15_EUlS14_E_NS1_11comp_targetILNS1_3genE2ELNS1_11target_archE906ELNS1_3gpuE6ELNS1_3repE0EEENS1_30default_config_static_selectorELNS0_4arch9wavefront6targetE1EEEvT1_ ; -- Begin function _ZN7rocprim17ROCPRIM_400000_NS6detail17trampoline_kernelINS0_14default_configENS1_25partition_config_selectorILNS1_17partition_subalgoE1ExNS0_10empty_typeEbEEZZNS1_14partition_implILS5_1ELb0ES3_jN6thrust23THRUST_200600_302600_NS6detail15normal_iteratorINSA_10device_ptrIxEEEEPS6_NSA_18transform_iteratorI7is_evenIxESF_NSA_11use_defaultESK_EENS0_5tupleIJSF_SF_EEENSM_IJSG_SG_EEES6_PlJS6_EEE10hipError_tPvRmT3_T4_T5_T6_T7_T9_mT8_P12ihipStream_tbDpT10_ENKUlT_T0_E_clISt17integral_constantIbLb0EES19_EEDaS14_S15_EUlS14_E_NS1_11comp_targetILNS1_3genE2ELNS1_11target_archE906ELNS1_3gpuE6ELNS1_3repE0EEENS1_30default_config_static_selectorELNS0_4arch9wavefront6targetE1EEEvT1_
	.globl	_ZN7rocprim17ROCPRIM_400000_NS6detail17trampoline_kernelINS0_14default_configENS1_25partition_config_selectorILNS1_17partition_subalgoE1ExNS0_10empty_typeEbEEZZNS1_14partition_implILS5_1ELb0ES3_jN6thrust23THRUST_200600_302600_NS6detail15normal_iteratorINSA_10device_ptrIxEEEEPS6_NSA_18transform_iteratorI7is_evenIxESF_NSA_11use_defaultESK_EENS0_5tupleIJSF_SF_EEENSM_IJSG_SG_EEES6_PlJS6_EEE10hipError_tPvRmT3_T4_T5_T6_T7_T9_mT8_P12ihipStream_tbDpT10_ENKUlT_T0_E_clISt17integral_constantIbLb0EES19_EEDaS14_S15_EUlS14_E_NS1_11comp_targetILNS1_3genE2ELNS1_11target_archE906ELNS1_3gpuE6ELNS1_3repE0EEENS1_30default_config_static_selectorELNS0_4arch9wavefront6targetE1EEEvT1_
	.p2align	8
	.type	_ZN7rocprim17ROCPRIM_400000_NS6detail17trampoline_kernelINS0_14default_configENS1_25partition_config_selectorILNS1_17partition_subalgoE1ExNS0_10empty_typeEbEEZZNS1_14partition_implILS5_1ELb0ES3_jN6thrust23THRUST_200600_302600_NS6detail15normal_iteratorINSA_10device_ptrIxEEEEPS6_NSA_18transform_iteratorI7is_evenIxESF_NSA_11use_defaultESK_EENS0_5tupleIJSF_SF_EEENSM_IJSG_SG_EEES6_PlJS6_EEE10hipError_tPvRmT3_T4_T5_T6_T7_T9_mT8_P12ihipStream_tbDpT10_ENKUlT_T0_E_clISt17integral_constantIbLb0EES19_EEDaS14_S15_EUlS14_E_NS1_11comp_targetILNS1_3genE2ELNS1_11target_archE906ELNS1_3gpuE6ELNS1_3repE0EEENS1_30default_config_static_selectorELNS0_4arch9wavefront6targetE1EEEvT1_,@function
_ZN7rocprim17ROCPRIM_400000_NS6detail17trampoline_kernelINS0_14default_configENS1_25partition_config_selectorILNS1_17partition_subalgoE1ExNS0_10empty_typeEbEEZZNS1_14partition_implILS5_1ELb0ES3_jN6thrust23THRUST_200600_302600_NS6detail15normal_iteratorINSA_10device_ptrIxEEEEPS6_NSA_18transform_iteratorI7is_evenIxESF_NSA_11use_defaultESK_EENS0_5tupleIJSF_SF_EEENSM_IJSG_SG_EEES6_PlJS6_EEE10hipError_tPvRmT3_T4_T5_T6_T7_T9_mT8_P12ihipStream_tbDpT10_ENKUlT_T0_E_clISt17integral_constantIbLb0EES19_EEDaS14_S15_EUlS14_E_NS1_11comp_targetILNS1_3genE2ELNS1_11target_archE906ELNS1_3gpuE6ELNS1_3repE0EEENS1_30default_config_static_selectorELNS0_4arch9wavefront6targetE1EEEvT1_: ; @_ZN7rocprim17ROCPRIM_400000_NS6detail17trampoline_kernelINS0_14default_configENS1_25partition_config_selectorILNS1_17partition_subalgoE1ExNS0_10empty_typeEbEEZZNS1_14partition_implILS5_1ELb0ES3_jN6thrust23THRUST_200600_302600_NS6detail15normal_iteratorINSA_10device_ptrIxEEEEPS6_NSA_18transform_iteratorI7is_evenIxESF_NSA_11use_defaultESK_EENS0_5tupleIJSF_SF_EEENSM_IJSG_SG_EEES6_PlJS6_EEE10hipError_tPvRmT3_T4_T5_T6_T7_T9_mT8_P12ihipStream_tbDpT10_ENKUlT_T0_E_clISt17integral_constantIbLb0EES19_EEDaS14_S15_EUlS14_E_NS1_11comp_targetILNS1_3genE2ELNS1_11target_archE906ELNS1_3gpuE6ELNS1_3repE0EEENS1_30default_config_static_selectorELNS0_4arch9wavefront6targetE1EEEvT1_
; %bb.0:
	.section	.rodata,"a",@progbits
	.p2align	6, 0x0
	.amdhsa_kernel _ZN7rocprim17ROCPRIM_400000_NS6detail17trampoline_kernelINS0_14default_configENS1_25partition_config_selectorILNS1_17partition_subalgoE1ExNS0_10empty_typeEbEEZZNS1_14partition_implILS5_1ELb0ES3_jN6thrust23THRUST_200600_302600_NS6detail15normal_iteratorINSA_10device_ptrIxEEEEPS6_NSA_18transform_iteratorI7is_evenIxESF_NSA_11use_defaultESK_EENS0_5tupleIJSF_SF_EEENSM_IJSG_SG_EEES6_PlJS6_EEE10hipError_tPvRmT3_T4_T5_T6_T7_T9_mT8_P12ihipStream_tbDpT10_ENKUlT_T0_E_clISt17integral_constantIbLb0EES19_EEDaS14_S15_EUlS14_E_NS1_11comp_targetILNS1_3genE2ELNS1_11target_archE906ELNS1_3gpuE6ELNS1_3repE0EEENS1_30default_config_static_selectorELNS0_4arch9wavefront6targetE1EEEvT1_
		.amdhsa_group_segment_fixed_size 0
		.amdhsa_private_segment_fixed_size 0
		.amdhsa_kernarg_size 128
		.amdhsa_user_sgpr_count 6
		.amdhsa_user_sgpr_private_segment_buffer 1
		.amdhsa_user_sgpr_dispatch_ptr 0
		.amdhsa_user_sgpr_queue_ptr 0
		.amdhsa_user_sgpr_kernarg_segment_ptr 1
		.amdhsa_user_sgpr_dispatch_id 0
		.amdhsa_user_sgpr_flat_scratch_init 0
		.amdhsa_user_sgpr_kernarg_preload_length 0
		.amdhsa_user_sgpr_kernarg_preload_offset 0
		.amdhsa_user_sgpr_private_segment_size 0
		.amdhsa_uses_dynamic_stack 0
		.amdhsa_system_sgpr_private_segment_wavefront_offset 0
		.amdhsa_system_sgpr_workgroup_id_x 1
		.amdhsa_system_sgpr_workgroup_id_y 0
		.amdhsa_system_sgpr_workgroup_id_z 0
		.amdhsa_system_sgpr_workgroup_info 0
		.amdhsa_system_vgpr_workitem_id 0
		.amdhsa_next_free_vgpr 1
		.amdhsa_next_free_sgpr 0
		.amdhsa_accum_offset 4
		.amdhsa_reserve_vcc 0
		.amdhsa_reserve_flat_scratch 0
		.amdhsa_float_round_mode_32 0
		.amdhsa_float_round_mode_16_64 0
		.amdhsa_float_denorm_mode_32 3
		.amdhsa_float_denorm_mode_16_64 3
		.amdhsa_dx10_clamp 1
		.amdhsa_ieee_mode 1
		.amdhsa_fp16_overflow 0
		.amdhsa_tg_split 0
		.amdhsa_exception_fp_ieee_invalid_op 0
		.amdhsa_exception_fp_denorm_src 0
		.amdhsa_exception_fp_ieee_div_zero 0
		.amdhsa_exception_fp_ieee_overflow 0
		.amdhsa_exception_fp_ieee_underflow 0
		.amdhsa_exception_fp_ieee_inexact 0
		.amdhsa_exception_int_div_zero 0
	.end_amdhsa_kernel
	.section	.text._ZN7rocprim17ROCPRIM_400000_NS6detail17trampoline_kernelINS0_14default_configENS1_25partition_config_selectorILNS1_17partition_subalgoE1ExNS0_10empty_typeEbEEZZNS1_14partition_implILS5_1ELb0ES3_jN6thrust23THRUST_200600_302600_NS6detail15normal_iteratorINSA_10device_ptrIxEEEEPS6_NSA_18transform_iteratorI7is_evenIxESF_NSA_11use_defaultESK_EENS0_5tupleIJSF_SF_EEENSM_IJSG_SG_EEES6_PlJS6_EEE10hipError_tPvRmT3_T4_T5_T6_T7_T9_mT8_P12ihipStream_tbDpT10_ENKUlT_T0_E_clISt17integral_constantIbLb0EES19_EEDaS14_S15_EUlS14_E_NS1_11comp_targetILNS1_3genE2ELNS1_11target_archE906ELNS1_3gpuE6ELNS1_3repE0EEENS1_30default_config_static_selectorELNS0_4arch9wavefront6targetE1EEEvT1_,"axG",@progbits,_ZN7rocprim17ROCPRIM_400000_NS6detail17trampoline_kernelINS0_14default_configENS1_25partition_config_selectorILNS1_17partition_subalgoE1ExNS0_10empty_typeEbEEZZNS1_14partition_implILS5_1ELb0ES3_jN6thrust23THRUST_200600_302600_NS6detail15normal_iteratorINSA_10device_ptrIxEEEEPS6_NSA_18transform_iteratorI7is_evenIxESF_NSA_11use_defaultESK_EENS0_5tupleIJSF_SF_EEENSM_IJSG_SG_EEES6_PlJS6_EEE10hipError_tPvRmT3_T4_T5_T6_T7_T9_mT8_P12ihipStream_tbDpT10_ENKUlT_T0_E_clISt17integral_constantIbLb0EES19_EEDaS14_S15_EUlS14_E_NS1_11comp_targetILNS1_3genE2ELNS1_11target_archE906ELNS1_3gpuE6ELNS1_3repE0EEENS1_30default_config_static_selectorELNS0_4arch9wavefront6targetE1EEEvT1_,comdat
.Lfunc_end389:
	.size	_ZN7rocprim17ROCPRIM_400000_NS6detail17trampoline_kernelINS0_14default_configENS1_25partition_config_selectorILNS1_17partition_subalgoE1ExNS0_10empty_typeEbEEZZNS1_14partition_implILS5_1ELb0ES3_jN6thrust23THRUST_200600_302600_NS6detail15normal_iteratorINSA_10device_ptrIxEEEEPS6_NSA_18transform_iteratorI7is_evenIxESF_NSA_11use_defaultESK_EENS0_5tupleIJSF_SF_EEENSM_IJSG_SG_EEES6_PlJS6_EEE10hipError_tPvRmT3_T4_T5_T6_T7_T9_mT8_P12ihipStream_tbDpT10_ENKUlT_T0_E_clISt17integral_constantIbLb0EES19_EEDaS14_S15_EUlS14_E_NS1_11comp_targetILNS1_3genE2ELNS1_11target_archE906ELNS1_3gpuE6ELNS1_3repE0EEENS1_30default_config_static_selectorELNS0_4arch9wavefront6targetE1EEEvT1_, .Lfunc_end389-_ZN7rocprim17ROCPRIM_400000_NS6detail17trampoline_kernelINS0_14default_configENS1_25partition_config_selectorILNS1_17partition_subalgoE1ExNS0_10empty_typeEbEEZZNS1_14partition_implILS5_1ELb0ES3_jN6thrust23THRUST_200600_302600_NS6detail15normal_iteratorINSA_10device_ptrIxEEEEPS6_NSA_18transform_iteratorI7is_evenIxESF_NSA_11use_defaultESK_EENS0_5tupleIJSF_SF_EEENSM_IJSG_SG_EEES6_PlJS6_EEE10hipError_tPvRmT3_T4_T5_T6_T7_T9_mT8_P12ihipStream_tbDpT10_ENKUlT_T0_E_clISt17integral_constantIbLb0EES19_EEDaS14_S15_EUlS14_E_NS1_11comp_targetILNS1_3genE2ELNS1_11target_archE906ELNS1_3gpuE6ELNS1_3repE0EEENS1_30default_config_static_selectorELNS0_4arch9wavefront6targetE1EEEvT1_
                                        ; -- End function
	.section	.AMDGPU.csdata,"",@progbits
; Kernel info:
; codeLenInByte = 0
; NumSgprs: 4
; NumVgprs: 0
; NumAgprs: 0
; TotalNumVgprs: 0
; ScratchSize: 0
; MemoryBound: 0
; FloatMode: 240
; IeeeMode: 1
; LDSByteSize: 0 bytes/workgroup (compile time only)
; SGPRBlocks: 0
; VGPRBlocks: 0
; NumSGPRsForWavesPerEU: 4
; NumVGPRsForWavesPerEU: 1
; AccumOffset: 4
; Occupancy: 8
; WaveLimiterHint : 0
; COMPUTE_PGM_RSRC2:SCRATCH_EN: 0
; COMPUTE_PGM_RSRC2:USER_SGPR: 6
; COMPUTE_PGM_RSRC2:TRAP_HANDLER: 0
; COMPUTE_PGM_RSRC2:TGID_X_EN: 1
; COMPUTE_PGM_RSRC2:TGID_Y_EN: 0
; COMPUTE_PGM_RSRC2:TGID_Z_EN: 0
; COMPUTE_PGM_RSRC2:TIDIG_COMP_CNT: 0
; COMPUTE_PGM_RSRC3_GFX90A:ACCUM_OFFSET: 0
; COMPUTE_PGM_RSRC3_GFX90A:TG_SPLIT: 0
	.section	.text._ZN7rocprim17ROCPRIM_400000_NS6detail17trampoline_kernelINS0_14default_configENS1_25partition_config_selectorILNS1_17partition_subalgoE1ExNS0_10empty_typeEbEEZZNS1_14partition_implILS5_1ELb0ES3_jN6thrust23THRUST_200600_302600_NS6detail15normal_iteratorINSA_10device_ptrIxEEEEPS6_NSA_18transform_iteratorI7is_evenIxESF_NSA_11use_defaultESK_EENS0_5tupleIJSF_SF_EEENSM_IJSG_SG_EEES6_PlJS6_EEE10hipError_tPvRmT3_T4_T5_T6_T7_T9_mT8_P12ihipStream_tbDpT10_ENKUlT_T0_E_clISt17integral_constantIbLb0EES19_EEDaS14_S15_EUlS14_E_NS1_11comp_targetILNS1_3genE10ELNS1_11target_archE1200ELNS1_3gpuE4ELNS1_3repE0EEENS1_30default_config_static_selectorELNS0_4arch9wavefront6targetE1EEEvT1_,"axG",@progbits,_ZN7rocprim17ROCPRIM_400000_NS6detail17trampoline_kernelINS0_14default_configENS1_25partition_config_selectorILNS1_17partition_subalgoE1ExNS0_10empty_typeEbEEZZNS1_14partition_implILS5_1ELb0ES3_jN6thrust23THRUST_200600_302600_NS6detail15normal_iteratorINSA_10device_ptrIxEEEEPS6_NSA_18transform_iteratorI7is_evenIxESF_NSA_11use_defaultESK_EENS0_5tupleIJSF_SF_EEENSM_IJSG_SG_EEES6_PlJS6_EEE10hipError_tPvRmT3_T4_T5_T6_T7_T9_mT8_P12ihipStream_tbDpT10_ENKUlT_T0_E_clISt17integral_constantIbLb0EES19_EEDaS14_S15_EUlS14_E_NS1_11comp_targetILNS1_3genE10ELNS1_11target_archE1200ELNS1_3gpuE4ELNS1_3repE0EEENS1_30default_config_static_selectorELNS0_4arch9wavefront6targetE1EEEvT1_,comdat
	.protected	_ZN7rocprim17ROCPRIM_400000_NS6detail17trampoline_kernelINS0_14default_configENS1_25partition_config_selectorILNS1_17partition_subalgoE1ExNS0_10empty_typeEbEEZZNS1_14partition_implILS5_1ELb0ES3_jN6thrust23THRUST_200600_302600_NS6detail15normal_iteratorINSA_10device_ptrIxEEEEPS6_NSA_18transform_iteratorI7is_evenIxESF_NSA_11use_defaultESK_EENS0_5tupleIJSF_SF_EEENSM_IJSG_SG_EEES6_PlJS6_EEE10hipError_tPvRmT3_T4_T5_T6_T7_T9_mT8_P12ihipStream_tbDpT10_ENKUlT_T0_E_clISt17integral_constantIbLb0EES19_EEDaS14_S15_EUlS14_E_NS1_11comp_targetILNS1_3genE10ELNS1_11target_archE1200ELNS1_3gpuE4ELNS1_3repE0EEENS1_30default_config_static_selectorELNS0_4arch9wavefront6targetE1EEEvT1_ ; -- Begin function _ZN7rocprim17ROCPRIM_400000_NS6detail17trampoline_kernelINS0_14default_configENS1_25partition_config_selectorILNS1_17partition_subalgoE1ExNS0_10empty_typeEbEEZZNS1_14partition_implILS5_1ELb0ES3_jN6thrust23THRUST_200600_302600_NS6detail15normal_iteratorINSA_10device_ptrIxEEEEPS6_NSA_18transform_iteratorI7is_evenIxESF_NSA_11use_defaultESK_EENS0_5tupleIJSF_SF_EEENSM_IJSG_SG_EEES6_PlJS6_EEE10hipError_tPvRmT3_T4_T5_T6_T7_T9_mT8_P12ihipStream_tbDpT10_ENKUlT_T0_E_clISt17integral_constantIbLb0EES19_EEDaS14_S15_EUlS14_E_NS1_11comp_targetILNS1_3genE10ELNS1_11target_archE1200ELNS1_3gpuE4ELNS1_3repE0EEENS1_30default_config_static_selectorELNS0_4arch9wavefront6targetE1EEEvT1_
	.globl	_ZN7rocprim17ROCPRIM_400000_NS6detail17trampoline_kernelINS0_14default_configENS1_25partition_config_selectorILNS1_17partition_subalgoE1ExNS0_10empty_typeEbEEZZNS1_14partition_implILS5_1ELb0ES3_jN6thrust23THRUST_200600_302600_NS6detail15normal_iteratorINSA_10device_ptrIxEEEEPS6_NSA_18transform_iteratorI7is_evenIxESF_NSA_11use_defaultESK_EENS0_5tupleIJSF_SF_EEENSM_IJSG_SG_EEES6_PlJS6_EEE10hipError_tPvRmT3_T4_T5_T6_T7_T9_mT8_P12ihipStream_tbDpT10_ENKUlT_T0_E_clISt17integral_constantIbLb0EES19_EEDaS14_S15_EUlS14_E_NS1_11comp_targetILNS1_3genE10ELNS1_11target_archE1200ELNS1_3gpuE4ELNS1_3repE0EEENS1_30default_config_static_selectorELNS0_4arch9wavefront6targetE1EEEvT1_
	.p2align	8
	.type	_ZN7rocprim17ROCPRIM_400000_NS6detail17trampoline_kernelINS0_14default_configENS1_25partition_config_selectorILNS1_17partition_subalgoE1ExNS0_10empty_typeEbEEZZNS1_14partition_implILS5_1ELb0ES3_jN6thrust23THRUST_200600_302600_NS6detail15normal_iteratorINSA_10device_ptrIxEEEEPS6_NSA_18transform_iteratorI7is_evenIxESF_NSA_11use_defaultESK_EENS0_5tupleIJSF_SF_EEENSM_IJSG_SG_EEES6_PlJS6_EEE10hipError_tPvRmT3_T4_T5_T6_T7_T9_mT8_P12ihipStream_tbDpT10_ENKUlT_T0_E_clISt17integral_constantIbLb0EES19_EEDaS14_S15_EUlS14_E_NS1_11comp_targetILNS1_3genE10ELNS1_11target_archE1200ELNS1_3gpuE4ELNS1_3repE0EEENS1_30default_config_static_selectorELNS0_4arch9wavefront6targetE1EEEvT1_,@function
_ZN7rocprim17ROCPRIM_400000_NS6detail17trampoline_kernelINS0_14default_configENS1_25partition_config_selectorILNS1_17partition_subalgoE1ExNS0_10empty_typeEbEEZZNS1_14partition_implILS5_1ELb0ES3_jN6thrust23THRUST_200600_302600_NS6detail15normal_iteratorINSA_10device_ptrIxEEEEPS6_NSA_18transform_iteratorI7is_evenIxESF_NSA_11use_defaultESK_EENS0_5tupleIJSF_SF_EEENSM_IJSG_SG_EEES6_PlJS6_EEE10hipError_tPvRmT3_T4_T5_T6_T7_T9_mT8_P12ihipStream_tbDpT10_ENKUlT_T0_E_clISt17integral_constantIbLb0EES19_EEDaS14_S15_EUlS14_E_NS1_11comp_targetILNS1_3genE10ELNS1_11target_archE1200ELNS1_3gpuE4ELNS1_3repE0EEENS1_30default_config_static_selectorELNS0_4arch9wavefront6targetE1EEEvT1_: ; @_ZN7rocprim17ROCPRIM_400000_NS6detail17trampoline_kernelINS0_14default_configENS1_25partition_config_selectorILNS1_17partition_subalgoE1ExNS0_10empty_typeEbEEZZNS1_14partition_implILS5_1ELb0ES3_jN6thrust23THRUST_200600_302600_NS6detail15normal_iteratorINSA_10device_ptrIxEEEEPS6_NSA_18transform_iteratorI7is_evenIxESF_NSA_11use_defaultESK_EENS0_5tupleIJSF_SF_EEENSM_IJSG_SG_EEES6_PlJS6_EEE10hipError_tPvRmT3_T4_T5_T6_T7_T9_mT8_P12ihipStream_tbDpT10_ENKUlT_T0_E_clISt17integral_constantIbLb0EES19_EEDaS14_S15_EUlS14_E_NS1_11comp_targetILNS1_3genE10ELNS1_11target_archE1200ELNS1_3gpuE4ELNS1_3repE0EEENS1_30default_config_static_selectorELNS0_4arch9wavefront6targetE1EEEvT1_
; %bb.0:
	.section	.rodata,"a",@progbits
	.p2align	6, 0x0
	.amdhsa_kernel _ZN7rocprim17ROCPRIM_400000_NS6detail17trampoline_kernelINS0_14default_configENS1_25partition_config_selectorILNS1_17partition_subalgoE1ExNS0_10empty_typeEbEEZZNS1_14partition_implILS5_1ELb0ES3_jN6thrust23THRUST_200600_302600_NS6detail15normal_iteratorINSA_10device_ptrIxEEEEPS6_NSA_18transform_iteratorI7is_evenIxESF_NSA_11use_defaultESK_EENS0_5tupleIJSF_SF_EEENSM_IJSG_SG_EEES6_PlJS6_EEE10hipError_tPvRmT3_T4_T5_T6_T7_T9_mT8_P12ihipStream_tbDpT10_ENKUlT_T0_E_clISt17integral_constantIbLb0EES19_EEDaS14_S15_EUlS14_E_NS1_11comp_targetILNS1_3genE10ELNS1_11target_archE1200ELNS1_3gpuE4ELNS1_3repE0EEENS1_30default_config_static_selectorELNS0_4arch9wavefront6targetE1EEEvT1_
		.amdhsa_group_segment_fixed_size 0
		.amdhsa_private_segment_fixed_size 0
		.amdhsa_kernarg_size 128
		.amdhsa_user_sgpr_count 6
		.amdhsa_user_sgpr_private_segment_buffer 1
		.amdhsa_user_sgpr_dispatch_ptr 0
		.amdhsa_user_sgpr_queue_ptr 0
		.amdhsa_user_sgpr_kernarg_segment_ptr 1
		.amdhsa_user_sgpr_dispatch_id 0
		.amdhsa_user_sgpr_flat_scratch_init 0
		.amdhsa_user_sgpr_kernarg_preload_length 0
		.amdhsa_user_sgpr_kernarg_preload_offset 0
		.amdhsa_user_sgpr_private_segment_size 0
		.amdhsa_uses_dynamic_stack 0
		.amdhsa_system_sgpr_private_segment_wavefront_offset 0
		.amdhsa_system_sgpr_workgroup_id_x 1
		.amdhsa_system_sgpr_workgroup_id_y 0
		.amdhsa_system_sgpr_workgroup_id_z 0
		.amdhsa_system_sgpr_workgroup_info 0
		.amdhsa_system_vgpr_workitem_id 0
		.amdhsa_next_free_vgpr 1
		.amdhsa_next_free_sgpr 0
		.amdhsa_accum_offset 4
		.amdhsa_reserve_vcc 0
		.amdhsa_reserve_flat_scratch 0
		.amdhsa_float_round_mode_32 0
		.amdhsa_float_round_mode_16_64 0
		.amdhsa_float_denorm_mode_32 3
		.amdhsa_float_denorm_mode_16_64 3
		.amdhsa_dx10_clamp 1
		.amdhsa_ieee_mode 1
		.amdhsa_fp16_overflow 0
		.amdhsa_tg_split 0
		.amdhsa_exception_fp_ieee_invalid_op 0
		.amdhsa_exception_fp_denorm_src 0
		.amdhsa_exception_fp_ieee_div_zero 0
		.amdhsa_exception_fp_ieee_overflow 0
		.amdhsa_exception_fp_ieee_underflow 0
		.amdhsa_exception_fp_ieee_inexact 0
		.amdhsa_exception_int_div_zero 0
	.end_amdhsa_kernel
	.section	.text._ZN7rocprim17ROCPRIM_400000_NS6detail17trampoline_kernelINS0_14default_configENS1_25partition_config_selectorILNS1_17partition_subalgoE1ExNS0_10empty_typeEbEEZZNS1_14partition_implILS5_1ELb0ES3_jN6thrust23THRUST_200600_302600_NS6detail15normal_iteratorINSA_10device_ptrIxEEEEPS6_NSA_18transform_iteratorI7is_evenIxESF_NSA_11use_defaultESK_EENS0_5tupleIJSF_SF_EEENSM_IJSG_SG_EEES6_PlJS6_EEE10hipError_tPvRmT3_T4_T5_T6_T7_T9_mT8_P12ihipStream_tbDpT10_ENKUlT_T0_E_clISt17integral_constantIbLb0EES19_EEDaS14_S15_EUlS14_E_NS1_11comp_targetILNS1_3genE10ELNS1_11target_archE1200ELNS1_3gpuE4ELNS1_3repE0EEENS1_30default_config_static_selectorELNS0_4arch9wavefront6targetE1EEEvT1_,"axG",@progbits,_ZN7rocprim17ROCPRIM_400000_NS6detail17trampoline_kernelINS0_14default_configENS1_25partition_config_selectorILNS1_17partition_subalgoE1ExNS0_10empty_typeEbEEZZNS1_14partition_implILS5_1ELb0ES3_jN6thrust23THRUST_200600_302600_NS6detail15normal_iteratorINSA_10device_ptrIxEEEEPS6_NSA_18transform_iteratorI7is_evenIxESF_NSA_11use_defaultESK_EENS0_5tupleIJSF_SF_EEENSM_IJSG_SG_EEES6_PlJS6_EEE10hipError_tPvRmT3_T4_T5_T6_T7_T9_mT8_P12ihipStream_tbDpT10_ENKUlT_T0_E_clISt17integral_constantIbLb0EES19_EEDaS14_S15_EUlS14_E_NS1_11comp_targetILNS1_3genE10ELNS1_11target_archE1200ELNS1_3gpuE4ELNS1_3repE0EEENS1_30default_config_static_selectorELNS0_4arch9wavefront6targetE1EEEvT1_,comdat
.Lfunc_end390:
	.size	_ZN7rocprim17ROCPRIM_400000_NS6detail17trampoline_kernelINS0_14default_configENS1_25partition_config_selectorILNS1_17partition_subalgoE1ExNS0_10empty_typeEbEEZZNS1_14partition_implILS5_1ELb0ES3_jN6thrust23THRUST_200600_302600_NS6detail15normal_iteratorINSA_10device_ptrIxEEEEPS6_NSA_18transform_iteratorI7is_evenIxESF_NSA_11use_defaultESK_EENS0_5tupleIJSF_SF_EEENSM_IJSG_SG_EEES6_PlJS6_EEE10hipError_tPvRmT3_T4_T5_T6_T7_T9_mT8_P12ihipStream_tbDpT10_ENKUlT_T0_E_clISt17integral_constantIbLb0EES19_EEDaS14_S15_EUlS14_E_NS1_11comp_targetILNS1_3genE10ELNS1_11target_archE1200ELNS1_3gpuE4ELNS1_3repE0EEENS1_30default_config_static_selectorELNS0_4arch9wavefront6targetE1EEEvT1_, .Lfunc_end390-_ZN7rocprim17ROCPRIM_400000_NS6detail17trampoline_kernelINS0_14default_configENS1_25partition_config_selectorILNS1_17partition_subalgoE1ExNS0_10empty_typeEbEEZZNS1_14partition_implILS5_1ELb0ES3_jN6thrust23THRUST_200600_302600_NS6detail15normal_iteratorINSA_10device_ptrIxEEEEPS6_NSA_18transform_iteratorI7is_evenIxESF_NSA_11use_defaultESK_EENS0_5tupleIJSF_SF_EEENSM_IJSG_SG_EEES6_PlJS6_EEE10hipError_tPvRmT3_T4_T5_T6_T7_T9_mT8_P12ihipStream_tbDpT10_ENKUlT_T0_E_clISt17integral_constantIbLb0EES19_EEDaS14_S15_EUlS14_E_NS1_11comp_targetILNS1_3genE10ELNS1_11target_archE1200ELNS1_3gpuE4ELNS1_3repE0EEENS1_30default_config_static_selectorELNS0_4arch9wavefront6targetE1EEEvT1_
                                        ; -- End function
	.section	.AMDGPU.csdata,"",@progbits
; Kernel info:
; codeLenInByte = 0
; NumSgprs: 4
; NumVgprs: 0
; NumAgprs: 0
; TotalNumVgprs: 0
; ScratchSize: 0
; MemoryBound: 0
; FloatMode: 240
; IeeeMode: 1
; LDSByteSize: 0 bytes/workgroup (compile time only)
; SGPRBlocks: 0
; VGPRBlocks: 0
; NumSGPRsForWavesPerEU: 4
; NumVGPRsForWavesPerEU: 1
; AccumOffset: 4
; Occupancy: 8
; WaveLimiterHint : 0
; COMPUTE_PGM_RSRC2:SCRATCH_EN: 0
; COMPUTE_PGM_RSRC2:USER_SGPR: 6
; COMPUTE_PGM_RSRC2:TRAP_HANDLER: 0
; COMPUTE_PGM_RSRC2:TGID_X_EN: 1
; COMPUTE_PGM_RSRC2:TGID_Y_EN: 0
; COMPUTE_PGM_RSRC2:TGID_Z_EN: 0
; COMPUTE_PGM_RSRC2:TIDIG_COMP_CNT: 0
; COMPUTE_PGM_RSRC3_GFX90A:ACCUM_OFFSET: 0
; COMPUTE_PGM_RSRC3_GFX90A:TG_SPLIT: 0
	.section	.text._ZN7rocprim17ROCPRIM_400000_NS6detail17trampoline_kernelINS0_14default_configENS1_25partition_config_selectorILNS1_17partition_subalgoE1ExNS0_10empty_typeEbEEZZNS1_14partition_implILS5_1ELb0ES3_jN6thrust23THRUST_200600_302600_NS6detail15normal_iteratorINSA_10device_ptrIxEEEEPS6_NSA_18transform_iteratorI7is_evenIxESF_NSA_11use_defaultESK_EENS0_5tupleIJSF_SF_EEENSM_IJSG_SG_EEES6_PlJS6_EEE10hipError_tPvRmT3_T4_T5_T6_T7_T9_mT8_P12ihipStream_tbDpT10_ENKUlT_T0_E_clISt17integral_constantIbLb0EES19_EEDaS14_S15_EUlS14_E_NS1_11comp_targetILNS1_3genE9ELNS1_11target_archE1100ELNS1_3gpuE3ELNS1_3repE0EEENS1_30default_config_static_selectorELNS0_4arch9wavefront6targetE1EEEvT1_,"axG",@progbits,_ZN7rocprim17ROCPRIM_400000_NS6detail17trampoline_kernelINS0_14default_configENS1_25partition_config_selectorILNS1_17partition_subalgoE1ExNS0_10empty_typeEbEEZZNS1_14partition_implILS5_1ELb0ES3_jN6thrust23THRUST_200600_302600_NS6detail15normal_iteratorINSA_10device_ptrIxEEEEPS6_NSA_18transform_iteratorI7is_evenIxESF_NSA_11use_defaultESK_EENS0_5tupleIJSF_SF_EEENSM_IJSG_SG_EEES6_PlJS6_EEE10hipError_tPvRmT3_T4_T5_T6_T7_T9_mT8_P12ihipStream_tbDpT10_ENKUlT_T0_E_clISt17integral_constantIbLb0EES19_EEDaS14_S15_EUlS14_E_NS1_11comp_targetILNS1_3genE9ELNS1_11target_archE1100ELNS1_3gpuE3ELNS1_3repE0EEENS1_30default_config_static_selectorELNS0_4arch9wavefront6targetE1EEEvT1_,comdat
	.protected	_ZN7rocprim17ROCPRIM_400000_NS6detail17trampoline_kernelINS0_14default_configENS1_25partition_config_selectorILNS1_17partition_subalgoE1ExNS0_10empty_typeEbEEZZNS1_14partition_implILS5_1ELb0ES3_jN6thrust23THRUST_200600_302600_NS6detail15normal_iteratorINSA_10device_ptrIxEEEEPS6_NSA_18transform_iteratorI7is_evenIxESF_NSA_11use_defaultESK_EENS0_5tupleIJSF_SF_EEENSM_IJSG_SG_EEES6_PlJS6_EEE10hipError_tPvRmT3_T4_T5_T6_T7_T9_mT8_P12ihipStream_tbDpT10_ENKUlT_T0_E_clISt17integral_constantIbLb0EES19_EEDaS14_S15_EUlS14_E_NS1_11comp_targetILNS1_3genE9ELNS1_11target_archE1100ELNS1_3gpuE3ELNS1_3repE0EEENS1_30default_config_static_selectorELNS0_4arch9wavefront6targetE1EEEvT1_ ; -- Begin function _ZN7rocprim17ROCPRIM_400000_NS6detail17trampoline_kernelINS0_14default_configENS1_25partition_config_selectorILNS1_17partition_subalgoE1ExNS0_10empty_typeEbEEZZNS1_14partition_implILS5_1ELb0ES3_jN6thrust23THRUST_200600_302600_NS6detail15normal_iteratorINSA_10device_ptrIxEEEEPS6_NSA_18transform_iteratorI7is_evenIxESF_NSA_11use_defaultESK_EENS0_5tupleIJSF_SF_EEENSM_IJSG_SG_EEES6_PlJS6_EEE10hipError_tPvRmT3_T4_T5_T6_T7_T9_mT8_P12ihipStream_tbDpT10_ENKUlT_T0_E_clISt17integral_constantIbLb0EES19_EEDaS14_S15_EUlS14_E_NS1_11comp_targetILNS1_3genE9ELNS1_11target_archE1100ELNS1_3gpuE3ELNS1_3repE0EEENS1_30default_config_static_selectorELNS0_4arch9wavefront6targetE1EEEvT1_
	.globl	_ZN7rocprim17ROCPRIM_400000_NS6detail17trampoline_kernelINS0_14default_configENS1_25partition_config_selectorILNS1_17partition_subalgoE1ExNS0_10empty_typeEbEEZZNS1_14partition_implILS5_1ELb0ES3_jN6thrust23THRUST_200600_302600_NS6detail15normal_iteratorINSA_10device_ptrIxEEEEPS6_NSA_18transform_iteratorI7is_evenIxESF_NSA_11use_defaultESK_EENS0_5tupleIJSF_SF_EEENSM_IJSG_SG_EEES6_PlJS6_EEE10hipError_tPvRmT3_T4_T5_T6_T7_T9_mT8_P12ihipStream_tbDpT10_ENKUlT_T0_E_clISt17integral_constantIbLb0EES19_EEDaS14_S15_EUlS14_E_NS1_11comp_targetILNS1_3genE9ELNS1_11target_archE1100ELNS1_3gpuE3ELNS1_3repE0EEENS1_30default_config_static_selectorELNS0_4arch9wavefront6targetE1EEEvT1_
	.p2align	8
	.type	_ZN7rocprim17ROCPRIM_400000_NS6detail17trampoline_kernelINS0_14default_configENS1_25partition_config_selectorILNS1_17partition_subalgoE1ExNS0_10empty_typeEbEEZZNS1_14partition_implILS5_1ELb0ES3_jN6thrust23THRUST_200600_302600_NS6detail15normal_iteratorINSA_10device_ptrIxEEEEPS6_NSA_18transform_iteratorI7is_evenIxESF_NSA_11use_defaultESK_EENS0_5tupleIJSF_SF_EEENSM_IJSG_SG_EEES6_PlJS6_EEE10hipError_tPvRmT3_T4_T5_T6_T7_T9_mT8_P12ihipStream_tbDpT10_ENKUlT_T0_E_clISt17integral_constantIbLb0EES19_EEDaS14_S15_EUlS14_E_NS1_11comp_targetILNS1_3genE9ELNS1_11target_archE1100ELNS1_3gpuE3ELNS1_3repE0EEENS1_30default_config_static_selectorELNS0_4arch9wavefront6targetE1EEEvT1_,@function
_ZN7rocprim17ROCPRIM_400000_NS6detail17trampoline_kernelINS0_14default_configENS1_25partition_config_selectorILNS1_17partition_subalgoE1ExNS0_10empty_typeEbEEZZNS1_14partition_implILS5_1ELb0ES3_jN6thrust23THRUST_200600_302600_NS6detail15normal_iteratorINSA_10device_ptrIxEEEEPS6_NSA_18transform_iteratorI7is_evenIxESF_NSA_11use_defaultESK_EENS0_5tupleIJSF_SF_EEENSM_IJSG_SG_EEES6_PlJS6_EEE10hipError_tPvRmT3_T4_T5_T6_T7_T9_mT8_P12ihipStream_tbDpT10_ENKUlT_T0_E_clISt17integral_constantIbLb0EES19_EEDaS14_S15_EUlS14_E_NS1_11comp_targetILNS1_3genE9ELNS1_11target_archE1100ELNS1_3gpuE3ELNS1_3repE0EEENS1_30default_config_static_selectorELNS0_4arch9wavefront6targetE1EEEvT1_: ; @_ZN7rocprim17ROCPRIM_400000_NS6detail17trampoline_kernelINS0_14default_configENS1_25partition_config_selectorILNS1_17partition_subalgoE1ExNS0_10empty_typeEbEEZZNS1_14partition_implILS5_1ELb0ES3_jN6thrust23THRUST_200600_302600_NS6detail15normal_iteratorINSA_10device_ptrIxEEEEPS6_NSA_18transform_iteratorI7is_evenIxESF_NSA_11use_defaultESK_EENS0_5tupleIJSF_SF_EEENSM_IJSG_SG_EEES6_PlJS6_EEE10hipError_tPvRmT3_T4_T5_T6_T7_T9_mT8_P12ihipStream_tbDpT10_ENKUlT_T0_E_clISt17integral_constantIbLb0EES19_EEDaS14_S15_EUlS14_E_NS1_11comp_targetILNS1_3genE9ELNS1_11target_archE1100ELNS1_3gpuE3ELNS1_3repE0EEENS1_30default_config_static_selectorELNS0_4arch9wavefront6targetE1EEEvT1_
; %bb.0:
	.section	.rodata,"a",@progbits
	.p2align	6, 0x0
	.amdhsa_kernel _ZN7rocprim17ROCPRIM_400000_NS6detail17trampoline_kernelINS0_14default_configENS1_25partition_config_selectorILNS1_17partition_subalgoE1ExNS0_10empty_typeEbEEZZNS1_14partition_implILS5_1ELb0ES3_jN6thrust23THRUST_200600_302600_NS6detail15normal_iteratorINSA_10device_ptrIxEEEEPS6_NSA_18transform_iteratorI7is_evenIxESF_NSA_11use_defaultESK_EENS0_5tupleIJSF_SF_EEENSM_IJSG_SG_EEES6_PlJS6_EEE10hipError_tPvRmT3_T4_T5_T6_T7_T9_mT8_P12ihipStream_tbDpT10_ENKUlT_T0_E_clISt17integral_constantIbLb0EES19_EEDaS14_S15_EUlS14_E_NS1_11comp_targetILNS1_3genE9ELNS1_11target_archE1100ELNS1_3gpuE3ELNS1_3repE0EEENS1_30default_config_static_selectorELNS0_4arch9wavefront6targetE1EEEvT1_
		.amdhsa_group_segment_fixed_size 0
		.amdhsa_private_segment_fixed_size 0
		.amdhsa_kernarg_size 128
		.amdhsa_user_sgpr_count 6
		.amdhsa_user_sgpr_private_segment_buffer 1
		.amdhsa_user_sgpr_dispatch_ptr 0
		.amdhsa_user_sgpr_queue_ptr 0
		.amdhsa_user_sgpr_kernarg_segment_ptr 1
		.amdhsa_user_sgpr_dispatch_id 0
		.amdhsa_user_sgpr_flat_scratch_init 0
		.amdhsa_user_sgpr_kernarg_preload_length 0
		.amdhsa_user_sgpr_kernarg_preload_offset 0
		.amdhsa_user_sgpr_private_segment_size 0
		.amdhsa_uses_dynamic_stack 0
		.amdhsa_system_sgpr_private_segment_wavefront_offset 0
		.amdhsa_system_sgpr_workgroup_id_x 1
		.amdhsa_system_sgpr_workgroup_id_y 0
		.amdhsa_system_sgpr_workgroup_id_z 0
		.amdhsa_system_sgpr_workgroup_info 0
		.amdhsa_system_vgpr_workitem_id 0
		.amdhsa_next_free_vgpr 1
		.amdhsa_next_free_sgpr 0
		.amdhsa_accum_offset 4
		.amdhsa_reserve_vcc 0
		.amdhsa_reserve_flat_scratch 0
		.amdhsa_float_round_mode_32 0
		.amdhsa_float_round_mode_16_64 0
		.amdhsa_float_denorm_mode_32 3
		.amdhsa_float_denorm_mode_16_64 3
		.amdhsa_dx10_clamp 1
		.amdhsa_ieee_mode 1
		.amdhsa_fp16_overflow 0
		.amdhsa_tg_split 0
		.amdhsa_exception_fp_ieee_invalid_op 0
		.amdhsa_exception_fp_denorm_src 0
		.amdhsa_exception_fp_ieee_div_zero 0
		.amdhsa_exception_fp_ieee_overflow 0
		.amdhsa_exception_fp_ieee_underflow 0
		.amdhsa_exception_fp_ieee_inexact 0
		.amdhsa_exception_int_div_zero 0
	.end_amdhsa_kernel
	.section	.text._ZN7rocprim17ROCPRIM_400000_NS6detail17trampoline_kernelINS0_14default_configENS1_25partition_config_selectorILNS1_17partition_subalgoE1ExNS0_10empty_typeEbEEZZNS1_14partition_implILS5_1ELb0ES3_jN6thrust23THRUST_200600_302600_NS6detail15normal_iteratorINSA_10device_ptrIxEEEEPS6_NSA_18transform_iteratorI7is_evenIxESF_NSA_11use_defaultESK_EENS0_5tupleIJSF_SF_EEENSM_IJSG_SG_EEES6_PlJS6_EEE10hipError_tPvRmT3_T4_T5_T6_T7_T9_mT8_P12ihipStream_tbDpT10_ENKUlT_T0_E_clISt17integral_constantIbLb0EES19_EEDaS14_S15_EUlS14_E_NS1_11comp_targetILNS1_3genE9ELNS1_11target_archE1100ELNS1_3gpuE3ELNS1_3repE0EEENS1_30default_config_static_selectorELNS0_4arch9wavefront6targetE1EEEvT1_,"axG",@progbits,_ZN7rocprim17ROCPRIM_400000_NS6detail17trampoline_kernelINS0_14default_configENS1_25partition_config_selectorILNS1_17partition_subalgoE1ExNS0_10empty_typeEbEEZZNS1_14partition_implILS5_1ELb0ES3_jN6thrust23THRUST_200600_302600_NS6detail15normal_iteratorINSA_10device_ptrIxEEEEPS6_NSA_18transform_iteratorI7is_evenIxESF_NSA_11use_defaultESK_EENS0_5tupleIJSF_SF_EEENSM_IJSG_SG_EEES6_PlJS6_EEE10hipError_tPvRmT3_T4_T5_T6_T7_T9_mT8_P12ihipStream_tbDpT10_ENKUlT_T0_E_clISt17integral_constantIbLb0EES19_EEDaS14_S15_EUlS14_E_NS1_11comp_targetILNS1_3genE9ELNS1_11target_archE1100ELNS1_3gpuE3ELNS1_3repE0EEENS1_30default_config_static_selectorELNS0_4arch9wavefront6targetE1EEEvT1_,comdat
.Lfunc_end391:
	.size	_ZN7rocprim17ROCPRIM_400000_NS6detail17trampoline_kernelINS0_14default_configENS1_25partition_config_selectorILNS1_17partition_subalgoE1ExNS0_10empty_typeEbEEZZNS1_14partition_implILS5_1ELb0ES3_jN6thrust23THRUST_200600_302600_NS6detail15normal_iteratorINSA_10device_ptrIxEEEEPS6_NSA_18transform_iteratorI7is_evenIxESF_NSA_11use_defaultESK_EENS0_5tupleIJSF_SF_EEENSM_IJSG_SG_EEES6_PlJS6_EEE10hipError_tPvRmT3_T4_T5_T6_T7_T9_mT8_P12ihipStream_tbDpT10_ENKUlT_T0_E_clISt17integral_constantIbLb0EES19_EEDaS14_S15_EUlS14_E_NS1_11comp_targetILNS1_3genE9ELNS1_11target_archE1100ELNS1_3gpuE3ELNS1_3repE0EEENS1_30default_config_static_selectorELNS0_4arch9wavefront6targetE1EEEvT1_, .Lfunc_end391-_ZN7rocprim17ROCPRIM_400000_NS6detail17trampoline_kernelINS0_14default_configENS1_25partition_config_selectorILNS1_17partition_subalgoE1ExNS0_10empty_typeEbEEZZNS1_14partition_implILS5_1ELb0ES3_jN6thrust23THRUST_200600_302600_NS6detail15normal_iteratorINSA_10device_ptrIxEEEEPS6_NSA_18transform_iteratorI7is_evenIxESF_NSA_11use_defaultESK_EENS0_5tupleIJSF_SF_EEENSM_IJSG_SG_EEES6_PlJS6_EEE10hipError_tPvRmT3_T4_T5_T6_T7_T9_mT8_P12ihipStream_tbDpT10_ENKUlT_T0_E_clISt17integral_constantIbLb0EES19_EEDaS14_S15_EUlS14_E_NS1_11comp_targetILNS1_3genE9ELNS1_11target_archE1100ELNS1_3gpuE3ELNS1_3repE0EEENS1_30default_config_static_selectorELNS0_4arch9wavefront6targetE1EEEvT1_
                                        ; -- End function
	.section	.AMDGPU.csdata,"",@progbits
; Kernel info:
; codeLenInByte = 0
; NumSgprs: 4
; NumVgprs: 0
; NumAgprs: 0
; TotalNumVgprs: 0
; ScratchSize: 0
; MemoryBound: 0
; FloatMode: 240
; IeeeMode: 1
; LDSByteSize: 0 bytes/workgroup (compile time only)
; SGPRBlocks: 0
; VGPRBlocks: 0
; NumSGPRsForWavesPerEU: 4
; NumVGPRsForWavesPerEU: 1
; AccumOffset: 4
; Occupancy: 8
; WaveLimiterHint : 0
; COMPUTE_PGM_RSRC2:SCRATCH_EN: 0
; COMPUTE_PGM_RSRC2:USER_SGPR: 6
; COMPUTE_PGM_RSRC2:TRAP_HANDLER: 0
; COMPUTE_PGM_RSRC2:TGID_X_EN: 1
; COMPUTE_PGM_RSRC2:TGID_Y_EN: 0
; COMPUTE_PGM_RSRC2:TGID_Z_EN: 0
; COMPUTE_PGM_RSRC2:TIDIG_COMP_CNT: 0
; COMPUTE_PGM_RSRC3_GFX90A:ACCUM_OFFSET: 0
; COMPUTE_PGM_RSRC3_GFX90A:TG_SPLIT: 0
	.section	.text._ZN7rocprim17ROCPRIM_400000_NS6detail17trampoline_kernelINS0_14default_configENS1_25partition_config_selectorILNS1_17partition_subalgoE1ExNS0_10empty_typeEbEEZZNS1_14partition_implILS5_1ELb0ES3_jN6thrust23THRUST_200600_302600_NS6detail15normal_iteratorINSA_10device_ptrIxEEEEPS6_NSA_18transform_iteratorI7is_evenIxESF_NSA_11use_defaultESK_EENS0_5tupleIJSF_SF_EEENSM_IJSG_SG_EEES6_PlJS6_EEE10hipError_tPvRmT3_T4_T5_T6_T7_T9_mT8_P12ihipStream_tbDpT10_ENKUlT_T0_E_clISt17integral_constantIbLb0EES19_EEDaS14_S15_EUlS14_E_NS1_11comp_targetILNS1_3genE8ELNS1_11target_archE1030ELNS1_3gpuE2ELNS1_3repE0EEENS1_30default_config_static_selectorELNS0_4arch9wavefront6targetE1EEEvT1_,"axG",@progbits,_ZN7rocprim17ROCPRIM_400000_NS6detail17trampoline_kernelINS0_14default_configENS1_25partition_config_selectorILNS1_17partition_subalgoE1ExNS0_10empty_typeEbEEZZNS1_14partition_implILS5_1ELb0ES3_jN6thrust23THRUST_200600_302600_NS6detail15normal_iteratorINSA_10device_ptrIxEEEEPS6_NSA_18transform_iteratorI7is_evenIxESF_NSA_11use_defaultESK_EENS0_5tupleIJSF_SF_EEENSM_IJSG_SG_EEES6_PlJS6_EEE10hipError_tPvRmT3_T4_T5_T6_T7_T9_mT8_P12ihipStream_tbDpT10_ENKUlT_T0_E_clISt17integral_constantIbLb0EES19_EEDaS14_S15_EUlS14_E_NS1_11comp_targetILNS1_3genE8ELNS1_11target_archE1030ELNS1_3gpuE2ELNS1_3repE0EEENS1_30default_config_static_selectorELNS0_4arch9wavefront6targetE1EEEvT1_,comdat
	.protected	_ZN7rocprim17ROCPRIM_400000_NS6detail17trampoline_kernelINS0_14default_configENS1_25partition_config_selectorILNS1_17partition_subalgoE1ExNS0_10empty_typeEbEEZZNS1_14partition_implILS5_1ELb0ES3_jN6thrust23THRUST_200600_302600_NS6detail15normal_iteratorINSA_10device_ptrIxEEEEPS6_NSA_18transform_iteratorI7is_evenIxESF_NSA_11use_defaultESK_EENS0_5tupleIJSF_SF_EEENSM_IJSG_SG_EEES6_PlJS6_EEE10hipError_tPvRmT3_T4_T5_T6_T7_T9_mT8_P12ihipStream_tbDpT10_ENKUlT_T0_E_clISt17integral_constantIbLb0EES19_EEDaS14_S15_EUlS14_E_NS1_11comp_targetILNS1_3genE8ELNS1_11target_archE1030ELNS1_3gpuE2ELNS1_3repE0EEENS1_30default_config_static_selectorELNS0_4arch9wavefront6targetE1EEEvT1_ ; -- Begin function _ZN7rocprim17ROCPRIM_400000_NS6detail17trampoline_kernelINS0_14default_configENS1_25partition_config_selectorILNS1_17partition_subalgoE1ExNS0_10empty_typeEbEEZZNS1_14partition_implILS5_1ELb0ES3_jN6thrust23THRUST_200600_302600_NS6detail15normal_iteratorINSA_10device_ptrIxEEEEPS6_NSA_18transform_iteratorI7is_evenIxESF_NSA_11use_defaultESK_EENS0_5tupleIJSF_SF_EEENSM_IJSG_SG_EEES6_PlJS6_EEE10hipError_tPvRmT3_T4_T5_T6_T7_T9_mT8_P12ihipStream_tbDpT10_ENKUlT_T0_E_clISt17integral_constantIbLb0EES19_EEDaS14_S15_EUlS14_E_NS1_11comp_targetILNS1_3genE8ELNS1_11target_archE1030ELNS1_3gpuE2ELNS1_3repE0EEENS1_30default_config_static_selectorELNS0_4arch9wavefront6targetE1EEEvT1_
	.globl	_ZN7rocprim17ROCPRIM_400000_NS6detail17trampoline_kernelINS0_14default_configENS1_25partition_config_selectorILNS1_17partition_subalgoE1ExNS0_10empty_typeEbEEZZNS1_14partition_implILS5_1ELb0ES3_jN6thrust23THRUST_200600_302600_NS6detail15normal_iteratorINSA_10device_ptrIxEEEEPS6_NSA_18transform_iteratorI7is_evenIxESF_NSA_11use_defaultESK_EENS0_5tupleIJSF_SF_EEENSM_IJSG_SG_EEES6_PlJS6_EEE10hipError_tPvRmT3_T4_T5_T6_T7_T9_mT8_P12ihipStream_tbDpT10_ENKUlT_T0_E_clISt17integral_constantIbLb0EES19_EEDaS14_S15_EUlS14_E_NS1_11comp_targetILNS1_3genE8ELNS1_11target_archE1030ELNS1_3gpuE2ELNS1_3repE0EEENS1_30default_config_static_selectorELNS0_4arch9wavefront6targetE1EEEvT1_
	.p2align	8
	.type	_ZN7rocprim17ROCPRIM_400000_NS6detail17trampoline_kernelINS0_14default_configENS1_25partition_config_selectorILNS1_17partition_subalgoE1ExNS0_10empty_typeEbEEZZNS1_14partition_implILS5_1ELb0ES3_jN6thrust23THRUST_200600_302600_NS6detail15normal_iteratorINSA_10device_ptrIxEEEEPS6_NSA_18transform_iteratorI7is_evenIxESF_NSA_11use_defaultESK_EENS0_5tupleIJSF_SF_EEENSM_IJSG_SG_EEES6_PlJS6_EEE10hipError_tPvRmT3_T4_T5_T6_T7_T9_mT8_P12ihipStream_tbDpT10_ENKUlT_T0_E_clISt17integral_constantIbLb0EES19_EEDaS14_S15_EUlS14_E_NS1_11comp_targetILNS1_3genE8ELNS1_11target_archE1030ELNS1_3gpuE2ELNS1_3repE0EEENS1_30default_config_static_selectorELNS0_4arch9wavefront6targetE1EEEvT1_,@function
_ZN7rocprim17ROCPRIM_400000_NS6detail17trampoline_kernelINS0_14default_configENS1_25partition_config_selectorILNS1_17partition_subalgoE1ExNS0_10empty_typeEbEEZZNS1_14partition_implILS5_1ELb0ES3_jN6thrust23THRUST_200600_302600_NS6detail15normal_iteratorINSA_10device_ptrIxEEEEPS6_NSA_18transform_iteratorI7is_evenIxESF_NSA_11use_defaultESK_EENS0_5tupleIJSF_SF_EEENSM_IJSG_SG_EEES6_PlJS6_EEE10hipError_tPvRmT3_T4_T5_T6_T7_T9_mT8_P12ihipStream_tbDpT10_ENKUlT_T0_E_clISt17integral_constantIbLb0EES19_EEDaS14_S15_EUlS14_E_NS1_11comp_targetILNS1_3genE8ELNS1_11target_archE1030ELNS1_3gpuE2ELNS1_3repE0EEENS1_30default_config_static_selectorELNS0_4arch9wavefront6targetE1EEEvT1_: ; @_ZN7rocprim17ROCPRIM_400000_NS6detail17trampoline_kernelINS0_14default_configENS1_25partition_config_selectorILNS1_17partition_subalgoE1ExNS0_10empty_typeEbEEZZNS1_14partition_implILS5_1ELb0ES3_jN6thrust23THRUST_200600_302600_NS6detail15normal_iteratorINSA_10device_ptrIxEEEEPS6_NSA_18transform_iteratorI7is_evenIxESF_NSA_11use_defaultESK_EENS0_5tupleIJSF_SF_EEENSM_IJSG_SG_EEES6_PlJS6_EEE10hipError_tPvRmT3_T4_T5_T6_T7_T9_mT8_P12ihipStream_tbDpT10_ENKUlT_T0_E_clISt17integral_constantIbLb0EES19_EEDaS14_S15_EUlS14_E_NS1_11comp_targetILNS1_3genE8ELNS1_11target_archE1030ELNS1_3gpuE2ELNS1_3repE0EEENS1_30default_config_static_selectorELNS0_4arch9wavefront6targetE1EEEvT1_
; %bb.0:
	.section	.rodata,"a",@progbits
	.p2align	6, 0x0
	.amdhsa_kernel _ZN7rocprim17ROCPRIM_400000_NS6detail17trampoline_kernelINS0_14default_configENS1_25partition_config_selectorILNS1_17partition_subalgoE1ExNS0_10empty_typeEbEEZZNS1_14partition_implILS5_1ELb0ES3_jN6thrust23THRUST_200600_302600_NS6detail15normal_iteratorINSA_10device_ptrIxEEEEPS6_NSA_18transform_iteratorI7is_evenIxESF_NSA_11use_defaultESK_EENS0_5tupleIJSF_SF_EEENSM_IJSG_SG_EEES6_PlJS6_EEE10hipError_tPvRmT3_T4_T5_T6_T7_T9_mT8_P12ihipStream_tbDpT10_ENKUlT_T0_E_clISt17integral_constantIbLb0EES19_EEDaS14_S15_EUlS14_E_NS1_11comp_targetILNS1_3genE8ELNS1_11target_archE1030ELNS1_3gpuE2ELNS1_3repE0EEENS1_30default_config_static_selectorELNS0_4arch9wavefront6targetE1EEEvT1_
		.amdhsa_group_segment_fixed_size 0
		.amdhsa_private_segment_fixed_size 0
		.amdhsa_kernarg_size 128
		.amdhsa_user_sgpr_count 6
		.amdhsa_user_sgpr_private_segment_buffer 1
		.amdhsa_user_sgpr_dispatch_ptr 0
		.amdhsa_user_sgpr_queue_ptr 0
		.amdhsa_user_sgpr_kernarg_segment_ptr 1
		.amdhsa_user_sgpr_dispatch_id 0
		.amdhsa_user_sgpr_flat_scratch_init 0
		.amdhsa_user_sgpr_kernarg_preload_length 0
		.amdhsa_user_sgpr_kernarg_preload_offset 0
		.amdhsa_user_sgpr_private_segment_size 0
		.amdhsa_uses_dynamic_stack 0
		.amdhsa_system_sgpr_private_segment_wavefront_offset 0
		.amdhsa_system_sgpr_workgroup_id_x 1
		.amdhsa_system_sgpr_workgroup_id_y 0
		.amdhsa_system_sgpr_workgroup_id_z 0
		.amdhsa_system_sgpr_workgroup_info 0
		.amdhsa_system_vgpr_workitem_id 0
		.amdhsa_next_free_vgpr 1
		.amdhsa_next_free_sgpr 0
		.amdhsa_accum_offset 4
		.amdhsa_reserve_vcc 0
		.amdhsa_reserve_flat_scratch 0
		.amdhsa_float_round_mode_32 0
		.amdhsa_float_round_mode_16_64 0
		.amdhsa_float_denorm_mode_32 3
		.amdhsa_float_denorm_mode_16_64 3
		.amdhsa_dx10_clamp 1
		.amdhsa_ieee_mode 1
		.amdhsa_fp16_overflow 0
		.amdhsa_tg_split 0
		.amdhsa_exception_fp_ieee_invalid_op 0
		.amdhsa_exception_fp_denorm_src 0
		.amdhsa_exception_fp_ieee_div_zero 0
		.amdhsa_exception_fp_ieee_overflow 0
		.amdhsa_exception_fp_ieee_underflow 0
		.amdhsa_exception_fp_ieee_inexact 0
		.amdhsa_exception_int_div_zero 0
	.end_amdhsa_kernel
	.section	.text._ZN7rocprim17ROCPRIM_400000_NS6detail17trampoline_kernelINS0_14default_configENS1_25partition_config_selectorILNS1_17partition_subalgoE1ExNS0_10empty_typeEbEEZZNS1_14partition_implILS5_1ELb0ES3_jN6thrust23THRUST_200600_302600_NS6detail15normal_iteratorINSA_10device_ptrIxEEEEPS6_NSA_18transform_iteratorI7is_evenIxESF_NSA_11use_defaultESK_EENS0_5tupleIJSF_SF_EEENSM_IJSG_SG_EEES6_PlJS6_EEE10hipError_tPvRmT3_T4_T5_T6_T7_T9_mT8_P12ihipStream_tbDpT10_ENKUlT_T0_E_clISt17integral_constantIbLb0EES19_EEDaS14_S15_EUlS14_E_NS1_11comp_targetILNS1_3genE8ELNS1_11target_archE1030ELNS1_3gpuE2ELNS1_3repE0EEENS1_30default_config_static_selectorELNS0_4arch9wavefront6targetE1EEEvT1_,"axG",@progbits,_ZN7rocprim17ROCPRIM_400000_NS6detail17trampoline_kernelINS0_14default_configENS1_25partition_config_selectorILNS1_17partition_subalgoE1ExNS0_10empty_typeEbEEZZNS1_14partition_implILS5_1ELb0ES3_jN6thrust23THRUST_200600_302600_NS6detail15normal_iteratorINSA_10device_ptrIxEEEEPS6_NSA_18transform_iteratorI7is_evenIxESF_NSA_11use_defaultESK_EENS0_5tupleIJSF_SF_EEENSM_IJSG_SG_EEES6_PlJS6_EEE10hipError_tPvRmT3_T4_T5_T6_T7_T9_mT8_P12ihipStream_tbDpT10_ENKUlT_T0_E_clISt17integral_constantIbLb0EES19_EEDaS14_S15_EUlS14_E_NS1_11comp_targetILNS1_3genE8ELNS1_11target_archE1030ELNS1_3gpuE2ELNS1_3repE0EEENS1_30default_config_static_selectorELNS0_4arch9wavefront6targetE1EEEvT1_,comdat
.Lfunc_end392:
	.size	_ZN7rocprim17ROCPRIM_400000_NS6detail17trampoline_kernelINS0_14default_configENS1_25partition_config_selectorILNS1_17partition_subalgoE1ExNS0_10empty_typeEbEEZZNS1_14partition_implILS5_1ELb0ES3_jN6thrust23THRUST_200600_302600_NS6detail15normal_iteratorINSA_10device_ptrIxEEEEPS6_NSA_18transform_iteratorI7is_evenIxESF_NSA_11use_defaultESK_EENS0_5tupleIJSF_SF_EEENSM_IJSG_SG_EEES6_PlJS6_EEE10hipError_tPvRmT3_T4_T5_T6_T7_T9_mT8_P12ihipStream_tbDpT10_ENKUlT_T0_E_clISt17integral_constantIbLb0EES19_EEDaS14_S15_EUlS14_E_NS1_11comp_targetILNS1_3genE8ELNS1_11target_archE1030ELNS1_3gpuE2ELNS1_3repE0EEENS1_30default_config_static_selectorELNS0_4arch9wavefront6targetE1EEEvT1_, .Lfunc_end392-_ZN7rocprim17ROCPRIM_400000_NS6detail17trampoline_kernelINS0_14default_configENS1_25partition_config_selectorILNS1_17partition_subalgoE1ExNS0_10empty_typeEbEEZZNS1_14partition_implILS5_1ELb0ES3_jN6thrust23THRUST_200600_302600_NS6detail15normal_iteratorINSA_10device_ptrIxEEEEPS6_NSA_18transform_iteratorI7is_evenIxESF_NSA_11use_defaultESK_EENS0_5tupleIJSF_SF_EEENSM_IJSG_SG_EEES6_PlJS6_EEE10hipError_tPvRmT3_T4_T5_T6_T7_T9_mT8_P12ihipStream_tbDpT10_ENKUlT_T0_E_clISt17integral_constantIbLb0EES19_EEDaS14_S15_EUlS14_E_NS1_11comp_targetILNS1_3genE8ELNS1_11target_archE1030ELNS1_3gpuE2ELNS1_3repE0EEENS1_30default_config_static_selectorELNS0_4arch9wavefront6targetE1EEEvT1_
                                        ; -- End function
	.section	.AMDGPU.csdata,"",@progbits
; Kernel info:
; codeLenInByte = 0
; NumSgprs: 4
; NumVgprs: 0
; NumAgprs: 0
; TotalNumVgprs: 0
; ScratchSize: 0
; MemoryBound: 0
; FloatMode: 240
; IeeeMode: 1
; LDSByteSize: 0 bytes/workgroup (compile time only)
; SGPRBlocks: 0
; VGPRBlocks: 0
; NumSGPRsForWavesPerEU: 4
; NumVGPRsForWavesPerEU: 1
; AccumOffset: 4
; Occupancy: 8
; WaveLimiterHint : 0
; COMPUTE_PGM_RSRC2:SCRATCH_EN: 0
; COMPUTE_PGM_RSRC2:USER_SGPR: 6
; COMPUTE_PGM_RSRC2:TRAP_HANDLER: 0
; COMPUTE_PGM_RSRC2:TGID_X_EN: 1
; COMPUTE_PGM_RSRC2:TGID_Y_EN: 0
; COMPUTE_PGM_RSRC2:TGID_Z_EN: 0
; COMPUTE_PGM_RSRC2:TIDIG_COMP_CNT: 0
; COMPUTE_PGM_RSRC3_GFX90A:ACCUM_OFFSET: 0
; COMPUTE_PGM_RSRC3_GFX90A:TG_SPLIT: 0
	.section	.text._ZN7rocprim17ROCPRIM_400000_NS6detail17trampoline_kernelINS0_14default_configENS1_25partition_config_selectorILNS1_17partition_subalgoE1ExNS0_10empty_typeEbEEZZNS1_14partition_implILS5_1ELb0ES3_jN6thrust23THRUST_200600_302600_NS6detail15normal_iteratorINSA_10device_ptrIxEEEEPS6_NSA_18transform_iteratorI7is_evenIxESF_NSA_11use_defaultESK_EENS0_5tupleIJSF_SF_EEENSM_IJSG_SG_EEES6_PlJS6_EEE10hipError_tPvRmT3_T4_T5_T6_T7_T9_mT8_P12ihipStream_tbDpT10_ENKUlT_T0_E_clISt17integral_constantIbLb1EES19_EEDaS14_S15_EUlS14_E_NS1_11comp_targetILNS1_3genE0ELNS1_11target_archE4294967295ELNS1_3gpuE0ELNS1_3repE0EEENS1_30default_config_static_selectorELNS0_4arch9wavefront6targetE1EEEvT1_,"axG",@progbits,_ZN7rocprim17ROCPRIM_400000_NS6detail17trampoline_kernelINS0_14default_configENS1_25partition_config_selectorILNS1_17partition_subalgoE1ExNS0_10empty_typeEbEEZZNS1_14partition_implILS5_1ELb0ES3_jN6thrust23THRUST_200600_302600_NS6detail15normal_iteratorINSA_10device_ptrIxEEEEPS6_NSA_18transform_iteratorI7is_evenIxESF_NSA_11use_defaultESK_EENS0_5tupleIJSF_SF_EEENSM_IJSG_SG_EEES6_PlJS6_EEE10hipError_tPvRmT3_T4_T5_T6_T7_T9_mT8_P12ihipStream_tbDpT10_ENKUlT_T0_E_clISt17integral_constantIbLb1EES19_EEDaS14_S15_EUlS14_E_NS1_11comp_targetILNS1_3genE0ELNS1_11target_archE4294967295ELNS1_3gpuE0ELNS1_3repE0EEENS1_30default_config_static_selectorELNS0_4arch9wavefront6targetE1EEEvT1_,comdat
	.protected	_ZN7rocprim17ROCPRIM_400000_NS6detail17trampoline_kernelINS0_14default_configENS1_25partition_config_selectorILNS1_17partition_subalgoE1ExNS0_10empty_typeEbEEZZNS1_14partition_implILS5_1ELb0ES3_jN6thrust23THRUST_200600_302600_NS6detail15normal_iteratorINSA_10device_ptrIxEEEEPS6_NSA_18transform_iteratorI7is_evenIxESF_NSA_11use_defaultESK_EENS0_5tupleIJSF_SF_EEENSM_IJSG_SG_EEES6_PlJS6_EEE10hipError_tPvRmT3_T4_T5_T6_T7_T9_mT8_P12ihipStream_tbDpT10_ENKUlT_T0_E_clISt17integral_constantIbLb1EES19_EEDaS14_S15_EUlS14_E_NS1_11comp_targetILNS1_3genE0ELNS1_11target_archE4294967295ELNS1_3gpuE0ELNS1_3repE0EEENS1_30default_config_static_selectorELNS0_4arch9wavefront6targetE1EEEvT1_ ; -- Begin function _ZN7rocprim17ROCPRIM_400000_NS6detail17trampoline_kernelINS0_14default_configENS1_25partition_config_selectorILNS1_17partition_subalgoE1ExNS0_10empty_typeEbEEZZNS1_14partition_implILS5_1ELb0ES3_jN6thrust23THRUST_200600_302600_NS6detail15normal_iteratorINSA_10device_ptrIxEEEEPS6_NSA_18transform_iteratorI7is_evenIxESF_NSA_11use_defaultESK_EENS0_5tupleIJSF_SF_EEENSM_IJSG_SG_EEES6_PlJS6_EEE10hipError_tPvRmT3_T4_T5_T6_T7_T9_mT8_P12ihipStream_tbDpT10_ENKUlT_T0_E_clISt17integral_constantIbLb1EES19_EEDaS14_S15_EUlS14_E_NS1_11comp_targetILNS1_3genE0ELNS1_11target_archE4294967295ELNS1_3gpuE0ELNS1_3repE0EEENS1_30default_config_static_selectorELNS0_4arch9wavefront6targetE1EEEvT1_
	.globl	_ZN7rocprim17ROCPRIM_400000_NS6detail17trampoline_kernelINS0_14default_configENS1_25partition_config_selectorILNS1_17partition_subalgoE1ExNS0_10empty_typeEbEEZZNS1_14partition_implILS5_1ELb0ES3_jN6thrust23THRUST_200600_302600_NS6detail15normal_iteratorINSA_10device_ptrIxEEEEPS6_NSA_18transform_iteratorI7is_evenIxESF_NSA_11use_defaultESK_EENS0_5tupleIJSF_SF_EEENSM_IJSG_SG_EEES6_PlJS6_EEE10hipError_tPvRmT3_T4_T5_T6_T7_T9_mT8_P12ihipStream_tbDpT10_ENKUlT_T0_E_clISt17integral_constantIbLb1EES19_EEDaS14_S15_EUlS14_E_NS1_11comp_targetILNS1_3genE0ELNS1_11target_archE4294967295ELNS1_3gpuE0ELNS1_3repE0EEENS1_30default_config_static_selectorELNS0_4arch9wavefront6targetE1EEEvT1_
	.p2align	8
	.type	_ZN7rocprim17ROCPRIM_400000_NS6detail17trampoline_kernelINS0_14default_configENS1_25partition_config_selectorILNS1_17partition_subalgoE1ExNS0_10empty_typeEbEEZZNS1_14partition_implILS5_1ELb0ES3_jN6thrust23THRUST_200600_302600_NS6detail15normal_iteratorINSA_10device_ptrIxEEEEPS6_NSA_18transform_iteratorI7is_evenIxESF_NSA_11use_defaultESK_EENS0_5tupleIJSF_SF_EEENSM_IJSG_SG_EEES6_PlJS6_EEE10hipError_tPvRmT3_T4_T5_T6_T7_T9_mT8_P12ihipStream_tbDpT10_ENKUlT_T0_E_clISt17integral_constantIbLb1EES19_EEDaS14_S15_EUlS14_E_NS1_11comp_targetILNS1_3genE0ELNS1_11target_archE4294967295ELNS1_3gpuE0ELNS1_3repE0EEENS1_30default_config_static_selectorELNS0_4arch9wavefront6targetE1EEEvT1_,@function
_ZN7rocprim17ROCPRIM_400000_NS6detail17trampoline_kernelINS0_14default_configENS1_25partition_config_selectorILNS1_17partition_subalgoE1ExNS0_10empty_typeEbEEZZNS1_14partition_implILS5_1ELb0ES3_jN6thrust23THRUST_200600_302600_NS6detail15normal_iteratorINSA_10device_ptrIxEEEEPS6_NSA_18transform_iteratorI7is_evenIxESF_NSA_11use_defaultESK_EENS0_5tupleIJSF_SF_EEENSM_IJSG_SG_EEES6_PlJS6_EEE10hipError_tPvRmT3_T4_T5_T6_T7_T9_mT8_P12ihipStream_tbDpT10_ENKUlT_T0_E_clISt17integral_constantIbLb1EES19_EEDaS14_S15_EUlS14_E_NS1_11comp_targetILNS1_3genE0ELNS1_11target_archE4294967295ELNS1_3gpuE0ELNS1_3repE0EEENS1_30default_config_static_selectorELNS0_4arch9wavefront6targetE1EEEvT1_: ; @_ZN7rocprim17ROCPRIM_400000_NS6detail17trampoline_kernelINS0_14default_configENS1_25partition_config_selectorILNS1_17partition_subalgoE1ExNS0_10empty_typeEbEEZZNS1_14partition_implILS5_1ELb0ES3_jN6thrust23THRUST_200600_302600_NS6detail15normal_iteratorINSA_10device_ptrIxEEEEPS6_NSA_18transform_iteratorI7is_evenIxESF_NSA_11use_defaultESK_EENS0_5tupleIJSF_SF_EEENSM_IJSG_SG_EEES6_PlJS6_EEE10hipError_tPvRmT3_T4_T5_T6_T7_T9_mT8_P12ihipStream_tbDpT10_ENKUlT_T0_E_clISt17integral_constantIbLb1EES19_EEDaS14_S15_EUlS14_E_NS1_11comp_targetILNS1_3genE0ELNS1_11target_archE4294967295ELNS1_3gpuE0ELNS1_3repE0EEENS1_30default_config_static_selectorELNS0_4arch9wavefront6targetE1EEEvT1_
; %bb.0:
	.section	.rodata,"a",@progbits
	.p2align	6, 0x0
	.amdhsa_kernel _ZN7rocprim17ROCPRIM_400000_NS6detail17trampoline_kernelINS0_14default_configENS1_25partition_config_selectorILNS1_17partition_subalgoE1ExNS0_10empty_typeEbEEZZNS1_14partition_implILS5_1ELb0ES3_jN6thrust23THRUST_200600_302600_NS6detail15normal_iteratorINSA_10device_ptrIxEEEEPS6_NSA_18transform_iteratorI7is_evenIxESF_NSA_11use_defaultESK_EENS0_5tupleIJSF_SF_EEENSM_IJSG_SG_EEES6_PlJS6_EEE10hipError_tPvRmT3_T4_T5_T6_T7_T9_mT8_P12ihipStream_tbDpT10_ENKUlT_T0_E_clISt17integral_constantIbLb1EES19_EEDaS14_S15_EUlS14_E_NS1_11comp_targetILNS1_3genE0ELNS1_11target_archE4294967295ELNS1_3gpuE0ELNS1_3repE0EEENS1_30default_config_static_selectorELNS0_4arch9wavefront6targetE1EEEvT1_
		.amdhsa_group_segment_fixed_size 0
		.amdhsa_private_segment_fixed_size 0
		.amdhsa_kernarg_size 144
		.amdhsa_user_sgpr_count 6
		.amdhsa_user_sgpr_private_segment_buffer 1
		.amdhsa_user_sgpr_dispatch_ptr 0
		.amdhsa_user_sgpr_queue_ptr 0
		.amdhsa_user_sgpr_kernarg_segment_ptr 1
		.amdhsa_user_sgpr_dispatch_id 0
		.amdhsa_user_sgpr_flat_scratch_init 0
		.amdhsa_user_sgpr_kernarg_preload_length 0
		.amdhsa_user_sgpr_kernarg_preload_offset 0
		.amdhsa_user_sgpr_private_segment_size 0
		.amdhsa_uses_dynamic_stack 0
		.amdhsa_system_sgpr_private_segment_wavefront_offset 0
		.amdhsa_system_sgpr_workgroup_id_x 1
		.amdhsa_system_sgpr_workgroup_id_y 0
		.amdhsa_system_sgpr_workgroup_id_z 0
		.amdhsa_system_sgpr_workgroup_info 0
		.amdhsa_system_vgpr_workitem_id 0
		.amdhsa_next_free_vgpr 1
		.amdhsa_next_free_sgpr 0
		.amdhsa_accum_offset 4
		.amdhsa_reserve_vcc 0
		.amdhsa_reserve_flat_scratch 0
		.amdhsa_float_round_mode_32 0
		.amdhsa_float_round_mode_16_64 0
		.amdhsa_float_denorm_mode_32 3
		.amdhsa_float_denorm_mode_16_64 3
		.amdhsa_dx10_clamp 1
		.amdhsa_ieee_mode 1
		.amdhsa_fp16_overflow 0
		.amdhsa_tg_split 0
		.amdhsa_exception_fp_ieee_invalid_op 0
		.amdhsa_exception_fp_denorm_src 0
		.amdhsa_exception_fp_ieee_div_zero 0
		.amdhsa_exception_fp_ieee_overflow 0
		.amdhsa_exception_fp_ieee_underflow 0
		.amdhsa_exception_fp_ieee_inexact 0
		.amdhsa_exception_int_div_zero 0
	.end_amdhsa_kernel
	.section	.text._ZN7rocprim17ROCPRIM_400000_NS6detail17trampoline_kernelINS0_14default_configENS1_25partition_config_selectorILNS1_17partition_subalgoE1ExNS0_10empty_typeEbEEZZNS1_14partition_implILS5_1ELb0ES3_jN6thrust23THRUST_200600_302600_NS6detail15normal_iteratorINSA_10device_ptrIxEEEEPS6_NSA_18transform_iteratorI7is_evenIxESF_NSA_11use_defaultESK_EENS0_5tupleIJSF_SF_EEENSM_IJSG_SG_EEES6_PlJS6_EEE10hipError_tPvRmT3_T4_T5_T6_T7_T9_mT8_P12ihipStream_tbDpT10_ENKUlT_T0_E_clISt17integral_constantIbLb1EES19_EEDaS14_S15_EUlS14_E_NS1_11comp_targetILNS1_3genE0ELNS1_11target_archE4294967295ELNS1_3gpuE0ELNS1_3repE0EEENS1_30default_config_static_selectorELNS0_4arch9wavefront6targetE1EEEvT1_,"axG",@progbits,_ZN7rocprim17ROCPRIM_400000_NS6detail17trampoline_kernelINS0_14default_configENS1_25partition_config_selectorILNS1_17partition_subalgoE1ExNS0_10empty_typeEbEEZZNS1_14partition_implILS5_1ELb0ES3_jN6thrust23THRUST_200600_302600_NS6detail15normal_iteratorINSA_10device_ptrIxEEEEPS6_NSA_18transform_iteratorI7is_evenIxESF_NSA_11use_defaultESK_EENS0_5tupleIJSF_SF_EEENSM_IJSG_SG_EEES6_PlJS6_EEE10hipError_tPvRmT3_T4_T5_T6_T7_T9_mT8_P12ihipStream_tbDpT10_ENKUlT_T0_E_clISt17integral_constantIbLb1EES19_EEDaS14_S15_EUlS14_E_NS1_11comp_targetILNS1_3genE0ELNS1_11target_archE4294967295ELNS1_3gpuE0ELNS1_3repE0EEENS1_30default_config_static_selectorELNS0_4arch9wavefront6targetE1EEEvT1_,comdat
.Lfunc_end393:
	.size	_ZN7rocprim17ROCPRIM_400000_NS6detail17trampoline_kernelINS0_14default_configENS1_25partition_config_selectorILNS1_17partition_subalgoE1ExNS0_10empty_typeEbEEZZNS1_14partition_implILS5_1ELb0ES3_jN6thrust23THRUST_200600_302600_NS6detail15normal_iteratorINSA_10device_ptrIxEEEEPS6_NSA_18transform_iteratorI7is_evenIxESF_NSA_11use_defaultESK_EENS0_5tupleIJSF_SF_EEENSM_IJSG_SG_EEES6_PlJS6_EEE10hipError_tPvRmT3_T4_T5_T6_T7_T9_mT8_P12ihipStream_tbDpT10_ENKUlT_T0_E_clISt17integral_constantIbLb1EES19_EEDaS14_S15_EUlS14_E_NS1_11comp_targetILNS1_3genE0ELNS1_11target_archE4294967295ELNS1_3gpuE0ELNS1_3repE0EEENS1_30default_config_static_selectorELNS0_4arch9wavefront6targetE1EEEvT1_, .Lfunc_end393-_ZN7rocprim17ROCPRIM_400000_NS6detail17trampoline_kernelINS0_14default_configENS1_25partition_config_selectorILNS1_17partition_subalgoE1ExNS0_10empty_typeEbEEZZNS1_14partition_implILS5_1ELb0ES3_jN6thrust23THRUST_200600_302600_NS6detail15normal_iteratorINSA_10device_ptrIxEEEEPS6_NSA_18transform_iteratorI7is_evenIxESF_NSA_11use_defaultESK_EENS0_5tupleIJSF_SF_EEENSM_IJSG_SG_EEES6_PlJS6_EEE10hipError_tPvRmT3_T4_T5_T6_T7_T9_mT8_P12ihipStream_tbDpT10_ENKUlT_T0_E_clISt17integral_constantIbLb1EES19_EEDaS14_S15_EUlS14_E_NS1_11comp_targetILNS1_3genE0ELNS1_11target_archE4294967295ELNS1_3gpuE0ELNS1_3repE0EEENS1_30default_config_static_selectorELNS0_4arch9wavefront6targetE1EEEvT1_
                                        ; -- End function
	.section	.AMDGPU.csdata,"",@progbits
; Kernel info:
; codeLenInByte = 0
; NumSgprs: 4
; NumVgprs: 0
; NumAgprs: 0
; TotalNumVgprs: 0
; ScratchSize: 0
; MemoryBound: 0
; FloatMode: 240
; IeeeMode: 1
; LDSByteSize: 0 bytes/workgroup (compile time only)
; SGPRBlocks: 0
; VGPRBlocks: 0
; NumSGPRsForWavesPerEU: 4
; NumVGPRsForWavesPerEU: 1
; AccumOffset: 4
; Occupancy: 8
; WaveLimiterHint : 0
; COMPUTE_PGM_RSRC2:SCRATCH_EN: 0
; COMPUTE_PGM_RSRC2:USER_SGPR: 6
; COMPUTE_PGM_RSRC2:TRAP_HANDLER: 0
; COMPUTE_PGM_RSRC2:TGID_X_EN: 1
; COMPUTE_PGM_RSRC2:TGID_Y_EN: 0
; COMPUTE_PGM_RSRC2:TGID_Z_EN: 0
; COMPUTE_PGM_RSRC2:TIDIG_COMP_CNT: 0
; COMPUTE_PGM_RSRC3_GFX90A:ACCUM_OFFSET: 0
; COMPUTE_PGM_RSRC3_GFX90A:TG_SPLIT: 0
	.section	.text._ZN7rocprim17ROCPRIM_400000_NS6detail17trampoline_kernelINS0_14default_configENS1_25partition_config_selectorILNS1_17partition_subalgoE1ExNS0_10empty_typeEbEEZZNS1_14partition_implILS5_1ELb0ES3_jN6thrust23THRUST_200600_302600_NS6detail15normal_iteratorINSA_10device_ptrIxEEEEPS6_NSA_18transform_iteratorI7is_evenIxESF_NSA_11use_defaultESK_EENS0_5tupleIJSF_SF_EEENSM_IJSG_SG_EEES6_PlJS6_EEE10hipError_tPvRmT3_T4_T5_T6_T7_T9_mT8_P12ihipStream_tbDpT10_ENKUlT_T0_E_clISt17integral_constantIbLb1EES19_EEDaS14_S15_EUlS14_E_NS1_11comp_targetILNS1_3genE5ELNS1_11target_archE942ELNS1_3gpuE9ELNS1_3repE0EEENS1_30default_config_static_selectorELNS0_4arch9wavefront6targetE1EEEvT1_,"axG",@progbits,_ZN7rocprim17ROCPRIM_400000_NS6detail17trampoline_kernelINS0_14default_configENS1_25partition_config_selectorILNS1_17partition_subalgoE1ExNS0_10empty_typeEbEEZZNS1_14partition_implILS5_1ELb0ES3_jN6thrust23THRUST_200600_302600_NS6detail15normal_iteratorINSA_10device_ptrIxEEEEPS6_NSA_18transform_iteratorI7is_evenIxESF_NSA_11use_defaultESK_EENS0_5tupleIJSF_SF_EEENSM_IJSG_SG_EEES6_PlJS6_EEE10hipError_tPvRmT3_T4_T5_T6_T7_T9_mT8_P12ihipStream_tbDpT10_ENKUlT_T0_E_clISt17integral_constantIbLb1EES19_EEDaS14_S15_EUlS14_E_NS1_11comp_targetILNS1_3genE5ELNS1_11target_archE942ELNS1_3gpuE9ELNS1_3repE0EEENS1_30default_config_static_selectorELNS0_4arch9wavefront6targetE1EEEvT1_,comdat
	.protected	_ZN7rocprim17ROCPRIM_400000_NS6detail17trampoline_kernelINS0_14default_configENS1_25partition_config_selectorILNS1_17partition_subalgoE1ExNS0_10empty_typeEbEEZZNS1_14partition_implILS5_1ELb0ES3_jN6thrust23THRUST_200600_302600_NS6detail15normal_iteratorINSA_10device_ptrIxEEEEPS6_NSA_18transform_iteratorI7is_evenIxESF_NSA_11use_defaultESK_EENS0_5tupleIJSF_SF_EEENSM_IJSG_SG_EEES6_PlJS6_EEE10hipError_tPvRmT3_T4_T5_T6_T7_T9_mT8_P12ihipStream_tbDpT10_ENKUlT_T0_E_clISt17integral_constantIbLb1EES19_EEDaS14_S15_EUlS14_E_NS1_11comp_targetILNS1_3genE5ELNS1_11target_archE942ELNS1_3gpuE9ELNS1_3repE0EEENS1_30default_config_static_selectorELNS0_4arch9wavefront6targetE1EEEvT1_ ; -- Begin function _ZN7rocprim17ROCPRIM_400000_NS6detail17trampoline_kernelINS0_14default_configENS1_25partition_config_selectorILNS1_17partition_subalgoE1ExNS0_10empty_typeEbEEZZNS1_14partition_implILS5_1ELb0ES3_jN6thrust23THRUST_200600_302600_NS6detail15normal_iteratorINSA_10device_ptrIxEEEEPS6_NSA_18transform_iteratorI7is_evenIxESF_NSA_11use_defaultESK_EENS0_5tupleIJSF_SF_EEENSM_IJSG_SG_EEES6_PlJS6_EEE10hipError_tPvRmT3_T4_T5_T6_T7_T9_mT8_P12ihipStream_tbDpT10_ENKUlT_T0_E_clISt17integral_constantIbLb1EES19_EEDaS14_S15_EUlS14_E_NS1_11comp_targetILNS1_3genE5ELNS1_11target_archE942ELNS1_3gpuE9ELNS1_3repE0EEENS1_30default_config_static_selectorELNS0_4arch9wavefront6targetE1EEEvT1_
	.globl	_ZN7rocprim17ROCPRIM_400000_NS6detail17trampoline_kernelINS0_14default_configENS1_25partition_config_selectorILNS1_17partition_subalgoE1ExNS0_10empty_typeEbEEZZNS1_14partition_implILS5_1ELb0ES3_jN6thrust23THRUST_200600_302600_NS6detail15normal_iteratorINSA_10device_ptrIxEEEEPS6_NSA_18transform_iteratorI7is_evenIxESF_NSA_11use_defaultESK_EENS0_5tupleIJSF_SF_EEENSM_IJSG_SG_EEES6_PlJS6_EEE10hipError_tPvRmT3_T4_T5_T6_T7_T9_mT8_P12ihipStream_tbDpT10_ENKUlT_T0_E_clISt17integral_constantIbLb1EES19_EEDaS14_S15_EUlS14_E_NS1_11comp_targetILNS1_3genE5ELNS1_11target_archE942ELNS1_3gpuE9ELNS1_3repE0EEENS1_30default_config_static_selectorELNS0_4arch9wavefront6targetE1EEEvT1_
	.p2align	8
	.type	_ZN7rocprim17ROCPRIM_400000_NS6detail17trampoline_kernelINS0_14default_configENS1_25partition_config_selectorILNS1_17partition_subalgoE1ExNS0_10empty_typeEbEEZZNS1_14partition_implILS5_1ELb0ES3_jN6thrust23THRUST_200600_302600_NS6detail15normal_iteratorINSA_10device_ptrIxEEEEPS6_NSA_18transform_iteratorI7is_evenIxESF_NSA_11use_defaultESK_EENS0_5tupleIJSF_SF_EEENSM_IJSG_SG_EEES6_PlJS6_EEE10hipError_tPvRmT3_T4_T5_T6_T7_T9_mT8_P12ihipStream_tbDpT10_ENKUlT_T0_E_clISt17integral_constantIbLb1EES19_EEDaS14_S15_EUlS14_E_NS1_11comp_targetILNS1_3genE5ELNS1_11target_archE942ELNS1_3gpuE9ELNS1_3repE0EEENS1_30default_config_static_selectorELNS0_4arch9wavefront6targetE1EEEvT1_,@function
_ZN7rocprim17ROCPRIM_400000_NS6detail17trampoline_kernelINS0_14default_configENS1_25partition_config_selectorILNS1_17partition_subalgoE1ExNS0_10empty_typeEbEEZZNS1_14partition_implILS5_1ELb0ES3_jN6thrust23THRUST_200600_302600_NS6detail15normal_iteratorINSA_10device_ptrIxEEEEPS6_NSA_18transform_iteratorI7is_evenIxESF_NSA_11use_defaultESK_EENS0_5tupleIJSF_SF_EEENSM_IJSG_SG_EEES6_PlJS6_EEE10hipError_tPvRmT3_T4_T5_T6_T7_T9_mT8_P12ihipStream_tbDpT10_ENKUlT_T0_E_clISt17integral_constantIbLb1EES19_EEDaS14_S15_EUlS14_E_NS1_11comp_targetILNS1_3genE5ELNS1_11target_archE942ELNS1_3gpuE9ELNS1_3repE0EEENS1_30default_config_static_selectorELNS0_4arch9wavefront6targetE1EEEvT1_: ; @_ZN7rocprim17ROCPRIM_400000_NS6detail17trampoline_kernelINS0_14default_configENS1_25partition_config_selectorILNS1_17partition_subalgoE1ExNS0_10empty_typeEbEEZZNS1_14partition_implILS5_1ELb0ES3_jN6thrust23THRUST_200600_302600_NS6detail15normal_iteratorINSA_10device_ptrIxEEEEPS6_NSA_18transform_iteratorI7is_evenIxESF_NSA_11use_defaultESK_EENS0_5tupleIJSF_SF_EEENSM_IJSG_SG_EEES6_PlJS6_EEE10hipError_tPvRmT3_T4_T5_T6_T7_T9_mT8_P12ihipStream_tbDpT10_ENKUlT_T0_E_clISt17integral_constantIbLb1EES19_EEDaS14_S15_EUlS14_E_NS1_11comp_targetILNS1_3genE5ELNS1_11target_archE942ELNS1_3gpuE9ELNS1_3repE0EEENS1_30default_config_static_selectorELNS0_4arch9wavefront6targetE1EEEvT1_
; %bb.0:
	.section	.rodata,"a",@progbits
	.p2align	6, 0x0
	.amdhsa_kernel _ZN7rocprim17ROCPRIM_400000_NS6detail17trampoline_kernelINS0_14default_configENS1_25partition_config_selectorILNS1_17partition_subalgoE1ExNS0_10empty_typeEbEEZZNS1_14partition_implILS5_1ELb0ES3_jN6thrust23THRUST_200600_302600_NS6detail15normal_iteratorINSA_10device_ptrIxEEEEPS6_NSA_18transform_iteratorI7is_evenIxESF_NSA_11use_defaultESK_EENS0_5tupleIJSF_SF_EEENSM_IJSG_SG_EEES6_PlJS6_EEE10hipError_tPvRmT3_T4_T5_T6_T7_T9_mT8_P12ihipStream_tbDpT10_ENKUlT_T0_E_clISt17integral_constantIbLb1EES19_EEDaS14_S15_EUlS14_E_NS1_11comp_targetILNS1_3genE5ELNS1_11target_archE942ELNS1_3gpuE9ELNS1_3repE0EEENS1_30default_config_static_selectorELNS0_4arch9wavefront6targetE1EEEvT1_
		.amdhsa_group_segment_fixed_size 0
		.amdhsa_private_segment_fixed_size 0
		.amdhsa_kernarg_size 144
		.amdhsa_user_sgpr_count 6
		.amdhsa_user_sgpr_private_segment_buffer 1
		.amdhsa_user_sgpr_dispatch_ptr 0
		.amdhsa_user_sgpr_queue_ptr 0
		.amdhsa_user_sgpr_kernarg_segment_ptr 1
		.amdhsa_user_sgpr_dispatch_id 0
		.amdhsa_user_sgpr_flat_scratch_init 0
		.amdhsa_user_sgpr_kernarg_preload_length 0
		.amdhsa_user_sgpr_kernarg_preload_offset 0
		.amdhsa_user_sgpr_private_segment_size 0
		.amdhsa_uses_dynamic_stack 0
		.amdhsa_system_sgpr_private_segment_wavefront_offset 0
		.amdhsa_system_sgpr_workgroup_id_x 1
		.amdhsa_system_sgpr_workgroup_id_y 0
		.amdhsa_system_sgpr_workgroup_id_z 0
		.amdhsa_system_sgpr_workgroup_info 0
		.amdhsa_system_vgpr_workitem_id 0
		.amdhsa_next_free_vgpr 1
		.amdhsa_next_free_sgpr 0
		.amdhsa_accum_offset 4
		.amdhsa_reserve_vcc 0
		.amdhsa_reserve_flat_scratch 0
		.amdhsa_float_round_mode_32 0
		.amdhsa_float_round_mode_16_64 0
		.amdhsa_float_denorm_mode_32 3
		.amdhsa_float_denorm_mode_16_64 3
		.amdhsa_dx10_clamp 1
		.amdhsa_ieee_mode 1
		.amdhsa_fp16_overflow 0
		.amdhsa_tg_split 0
		.amdhsa_exception_fp_ieee_invalid_op 0
		.amdhsa_exception_fp_denorm_src 0
		.amdhsa_exception_fp_ieee_div_zero 0
		.amdhsa_exception_fp_ieee_overflow 0
		.amdhsa_exception_fp_ieee_underflow 0
		.amdhsa_exception_fp_ieee_inexact 0
		.amdhsa_exception_int_div_zero 0
	.end_amdhsa_kernel
	.section	.text._ZN7rocprim17ROCPRIM_400000_NS6detail17trampoline_kernelINS0_14default_configENS1_25partition_config_selectorILNS1_17partition_subalgoE1ExNS0_10empty_typeEbEEZZNS1_14partition_implILS5_1ELb0ES3_jN6thrust23THRUST_200600_302600_NS6detail15normal_iteratorINSA_10device_ptrIxEEEEPS6_NSA_18transform_iteratorI7is_evenIxESF_NSA_11use_defaultESK_EENS0_5tupleIJSF_SF_EEENSM_IJSG_SG_EEES6_PlJS6_EEE10hipError_tPvRmT3_T4_T5_T6_T7_T9_mT8_P12ihipStream_tbDpT10_ENKUlT_T0_E_clISt17integral_constantIbLb1EES19_EEDaS14_S15_EUlS14_E_NS1_11comp_targetILNS1_3genE5ELNS1_11target_archE942ELNS1_3gpuE9ELNS1_3repE0EEENS1_30default_config_static_selectorELNS0_4arch9wavefront6targetE1EEEvT1_,"axG",@progbits,_ZN7rocprim17ROCPRIM_400000_NS6detail17trampoline_kernelINS0_14default_configENS1_25partition_config_selectorILNS1_17partition_subalgoE1ExNS0_10empty_typeEbEEZZNS1_14partition_implILS5_1ELb0ES3_jN6thrust23THRUST_200600_302600_NS6detail15normal_iteratorINSA_10device_ptrIxEEEEPS6_NSA_18transform_iteratorI7is_evenIxESF_NSA_11use_defaultESK_EENS0_5tupleIJSF_SF_EEENSM_IJSG_SG_EEES6_PlJS6_EEE10hipError_tPvRmT3_T4_T5_T6_T7_T9_mT8_P12ihipStream_tbDpT10_ENKUlT_T0_E_clISt17integral_constantIbLb1EES19_EEDaS14_S15_EUlS14_E_NS1_11comp_targetILNS1_3genE5ELNS1_11target_archE942ELNS1_3gpuE9ELNS1_3repE0EEENS1_30default_config_static_selectorELNS0_4arch9wavefront6targetE1EEEvT1_,comdat
.Lfunc_end394:
	.size	_ZN7rocprim17ROCPRIM_400000_NS6detail17trampoline_kernelINS0_14default_configENS1_25partition_config_selectorILNS1_17partition_subalgoE1ExNS0_10empty_typeEbEEZZNS1_14partition_implILS5_1ELb0ES3_jN6thrust23THRUST_200600_302600_NS6detail15normal_iteratorINSA_10device_ptrIxEEEEPS6_NSA_18transform_iteratorI7is_evenIxESF_NSA_11use_defaultESK_EENS0_5tupleIJSF_SF_EEENSM_IJSG_SG_EEES6_PlJS6_EEE10hipError_tPvRmT3_T4_T5_T6_T7_T9_mT8_P12ihipStream_tbDpT10_ENKUlT_T0_E_clISt17integral_constantIbLb1EES19_EEDaS14_S15_EUlS14_E_NS1_11comp_targetILNS1_3genE5ELNS1_11target_archE942ELNS1_3gpuE9ELNS1_3repE0EEENS1_30default_config_static_selectorELNS0_4arch9wavefront6targetE1EEEvT1_, .Lfunc_end394-_ZN7rocprim17ROCPRIM_400000_NS6detail17trampoline_kernelINS0_14default_configENS1_25partition_config_selectorILNS1_17partition_subalgoE1ExNS0_10empty_typeEbEEZZNS1_14partition_implILS5_1ELb0ES3_jN6thrust23THRUST_200600_302600_NS6detail15normal_iteratorINSA_10device_ptrIxEEEEPS6_NSA_18transform_iteratorI7is_evenIxESF_NSA_11use_defaultESK_EENS0_5tupleIJSF_SF_EEENSM_IJSG_SG_EEES6_PlJS6_EEE10hipError_tPvRmT3_T4_T5_T6_T7_T9_mT8_P12ihipStream_tbDpT10_ENKUlT_T0_E_clISt17integral_constantIbLb1EES19_EEDaS14_S15_EUlS14_E_NS1_11comp_targetILNS1_3genE5ELNS1_11target_archE942ELNS1_3gpuE9ELNS1_3repE0EEENS1_30default_config_static_selectorELNS0_4arch9wavefront6targetE1EEEvT1_
                                        ; -- End function
	.section	.AMDGPU.csdata,"",@progbits
; Kernel info:
; codeLenInByte = 0
; NumSgprs: 4
; NumVgprs: 0
; NumAgprs: 0
; TotalNumVgprs: 0
; ScratchSize: 0
; MemoryBound: 0
; FloatMode: 240
; IeeeMode: 1
; LDSByteSize: 0 bytes/workgroup (compile time only)
; SGPRBlocks: 0
; VGPRBlocks: 0
; NumSGPRsForWavesPerEU: 4
; NumVGPRsForWavesPerEU: 1
; AccumOffset: 4
; Occupancy: 8
; WaveLimiterHint : 0
; COMPUTE_PGM_RSRC2:SCRATCH_EN: 0
; COMPUTE_PGM_RSRC2:USER_SGPR: 6
; COMPUTE_PGM_RSRC2:TRAP_HANDLER: 0
; COMPUTE_PGM_RSRC2:TGID_X_EN: 1
; COMPUTE_PGM_RSRC2:TGID_Y_EN: 0
; COMPUTE_PGM_RSRC2:TGID_Z_EN: 0
; COMPUTE_PGM_RSRC2:TIDIG_COMP_CNT: 0
; COMPUTE_PGM_RSRC3_GFX90A:ACCUM_OFFSET: 0
; COMPUTE_PGM_RSRC3_GFX90A:TG_SPLIT: 0
	.section	.text._ZN7rocprim17ROCPRIM_400000_NS6detail17trampoline_kernelINS0_14default_configENS1_25partition_config_selectorILNS1_17partition_subalgoE1ExNS0_10empty_typeEbEEZZNS1_14partition_implILS5_1ELb0ES3_jN6thrust23THRUST_200600_302600_NS6detail15normal_iteratorINSA_10device_ptrIxEEEEPS6_NSA_18transform_iteratorI7is_evenIxESF_NSA_11use_defaultESK_EENS0_5tupleIJSF_SF_EEENSM_IJSG_SG_EEES6_PlJS6_EEE10hipError_tPvRmT3_T4_T5_T6_T7_T9_mT8_P12ihipStream_tbDpT10_ENKUlT_T0_E_clISt17integral_constantIbLb1EES19_EEDaS14_S15_EUlS14_E_NS1_11comp_targetILNS1_3genE4ELNS1_11target_archE910ELNS1_3gpuE8ELNS1_3repE0EEENS1_30default_config_static_selectorELNS0_4arch9wavefront6targetE1EEEvT1_,"axG",@progbits,_ZN7rocprim17ROCPRIM_400000_NS6detail17trampoline_kernelINS0_14default_configENS1_25partition_config_selectorILNS1_17partition_subalgoE1ExNS0_10empty_typeEbEEZZNS1_14partition_implILS5_1ELb0ES3_jN6thrust23THRUST_200600_302600_NS6detail15normal_iteratorINSA_10device_ptrIxEEEEPS6_NSA_18transform_iteratorI7is_evenIxESF_NSA_11use_defaultESK_EENS0_5tupleIJSF_SF_EEENSM_IJSG_SG_EEES6_PlJS6_EEE10hipError_tPvRmT3_T4_T5_T6_T7_T9_mT8_P12ihipStream_tbDpT10_ENKUlT_T0_E_clISt17integral_constantIbLb1EES19_EEDaS14_S15_EUlS14_E_NS1_11comp_targetILNS1_3genE4ELNS1_11target_archE910ELNS1_3gpuE8ELNS1_3repE0EEENS1_30default_config_static_selectorELNS0_4arch9wavefront6targetE1EEEvT1_,comdat
	.protected	_ZN7rocprim17ROCPRIM_400000_NS6detail17trampoline_kernelINS0_14default_configENS1_25partition_config_selectorILNS1_17partition_subalgoE1ExNS0_10empty_typeEbEEZZNS1_14partition_implILS5_1ELb0ES3_jN6thrust23THRUST_200600_302600_NS6detail15normal_iteratorINSA_10device_ptrIxEEEEPS6_NSA_18transform_iteratorI7is_evenIxESF_NSA_11use_defaultESK_EENS0_5tupleIJSF_SF_EEENSM_IJSG_SG_EEES6_PlJS6_EEE10hipError_tPvRmT3_T4_T5_T6_T7_T9_mT8_P12ihipStream_tbDpT10_ENKUlT_T0_E_clISt17integral_constantIbLb1EES19_EEDaS14_S15_EUlS14_E_NS1_11comp_targetILNS1_3genE4ELNS1_11target_archE910ELNS1_3gpuE8ELNS1_3repE0EEENS1_30default_config_static_selectorELNS0_4arch9wavefront6targetE1EEEvT1_ ; -- Begin function _ZN7rocprim17ROCPRIM_400000_NS6detail17trampoline_kernelINS0_14default_configENS1_25partition_config_selectorILNS1_17partition_subalgoE1ExNS0_10empty_typeEbEEZZNS1_14partition_implILS5_1ELb0ES3_jN6thrust23THRUST_200600_302600_NS6detail15normal_iteratorINSA_10device_ptrIxEEEEPS6_NSA_18transform_iteratorI7is_evenIxESF_NSA_11use_defaultESK_EENS0_5tupleIJSF_SF_EEENSM_IJSG_SG_EEES6_PlJS6_EEE10hipError_tPvRmT3_T4_T5_T6_T7_T9_mT8_P12ihipStream_tbDpT10_ENKUlT_T0_E_clISt17integral_constantIbLb1EES19_EEDaS14_S15_EUlS14_E_NS1_11comp_targetILNS1_3genE4ELNS1_11target_archE910ELNS1_3gpuE8ELNS1_3repE0EEENS1_30default_config_static_selectorELNS0_4arch9wavefront6targetE1EEEvT1_
	.globl	_ZN7rocprim17ROCPRIM_400000_NS6detail17trampoline_kernelINS0_14default_configENS1_25partition_config_selectorILNS1_17partition_subalgoE1ExNS0_10empty_typeEbEEZZNS1_14partition_implILS5_1ELb0ES3_jN6thrust23THRUST_200600_302600_NS6detail15normal_iteratorINSA_10device_ptrIxEEEEPS6_NSA_18transform_iteratorI7is_evenIxESF_NSA_11use_defaultESK_EENS0_5tupleIJSF_SF_EEENSM_IJSG_SG_EEES6_PlJS6_EEE10hipError_tPvRmT3_T4_T5_T6_T7_T9_mT8_P12ihipStream_tbDpT10_ENKUlT_T0_E_clISt17integral_constantIbLb1EES19_EEDaS14_S15_EUlS14_E_NS1_11comp_targetILNS1_3genE4ELNS1_11target_archE910ELNS1_3gpuE8ELNS1_3repE0EEENS1_30default_config_static_selectorELNS0_4arch9wavefront6targetE1EEEvT1_
	.p2align	8
	.type	_ZN7rocprim17ROCPRIM_400000_NS6detail17trampoline_kernelINS0_14default_configENS1_25partition_config_selectorILNS1_17partition_subalgoE1ExNS0_10empty_typeEbEEZZNS1_14partition_implILS5_1ELb0ES3_jN6thrust23THRUST_200600_302600_NS6detail15normal_iteratorINSA_10device_ptrIxEEEEPS6_NSA_18transform_iteratorI7is_evenIxESF_NSA_11use_defaultESK_EENS0_5tupleIJSF_SF_EEENSM_IJSG_SG_EEES6_PlJS6_EEE10hipError_tPvRmT3_T4_T5_T6_T7_T9_mT8_P12ihipStream_tbDpT10_ENKUlT_T0_E_clISt17integral_constantIbLb1EES19_EEDaS14_S15_EUlS14_E_NS1_11comp_targetILNS1_3genE4ELNS1_11target_archE910ELNS1_3gpuE8ELNS1_3repE0EEENS1_30default_config_static_selectorELNS0_4arch9wavefront6targetE1EEEvT1_,@function
_ZN7rocprim17ROCPRIM_400000_NS6detail17trampoline_kernelINS0_14default_configENS1_25partition_config_selectorILNS1_17partition_subalgoE1ExNS0_10empty_typeEbEEZZNS1_14partition_implILS5_1ELb0ES3_jN6thrust23THRUST_200600_302600_NS6detail15normal_iteratorINSA_10device_ptrIxEEEEPS6_NSA_18transform_iteratorI7is_evenIxESF_NSA_11use_defaultESK_EENS0_5tupleIJSF_SF_EEENSM_IJSG_SG_EEES6_PlJS6_EEE10hipError_tPvRmT3_T4_T5_T6_T7_T9_mT8_P12ihipStream_tbDpT10_ENKUlT_T0_E_clISt17integral_constantIbLb1EES19_EEDaS14_S15_EUlS14_E_NS1_11comp_targetILNS1_3genE4ELNS1_11target_archE910ELNS1_3gpuE8ELNS1_3repE0EEENS1_30default_config_static_selectorELNS0_4arch9wavefront6targetE1EEEvT1_: ; @_ZN7rocprim17ROCPRIM_400000_NS6detail17trampoline_kernelINS0_14default_configENS1_25partition_config_selectorILNS1_17partition_subalgoE1ExNS0_10empty_typeEbEEZZNS1_14partition_implILS5_1ELb0ES3_jN6thrust23THRUST_200600_302600_NS6detail15normal_iteratorINSA_10device_ptrIxEEEEPS6_NSA_18transform_iteratorI7is_evenIxESF_NSA_11use_defaultESK_EENS0_5tupleIJSF_SF_EEENSM_IJSG_SG_EEES6_PlJS6_EEE10hipError_tPvRmT3_T4_T5_T6_T7_T9_mT8_P12ihipStream_tbDpT10_ENKUlT_T0_E_clISt17integral_constantIbLb1EES19_EEDaS14_S15_EUlS14_E_NS1_11comp_targetILNS1_3genE4ELNS1_11target_archE910ELNS1_3gpuE8ELNS1_3repE0EEENS1_30default_config_static_selectorELNS0_4arch9wavefront6targetE1EEEvT1_
; %bb.0:
	s_load_dwordx2 s[6:7], s[4:5], 0x20
	s_load_dwordx4 s[20:23], s[4:5], 0x50
	s_load_dwordx2 s[2:3], s[4:5], 0x60
	s_load_dwordx2 s[30:31], s[4:5], 0x70
	v_cmp_eq_u32_e64 s[0:1], 0, v0
	s_and_saveexec_b64 s[8:9], s[0:1]
	s_cbranch_execz .LBB395_4
; %bb.1:
	s_mov_b64 s[12:13], exec
	v_mbcnt_lo_u32_b32 v1, s12, 0
	v_mbcnt_hi_u32_b32 v1, s13, v1
	v_cmp_eq_u32_e32 vcc, 0, v1
                                        ; implicit-def: $vgpr2
	s_and_saveexec_b64 s[10:11], vcc
	s_cbranch_execz .LBB395_3
; %bb.2:
	s_load_dwordx2 s[14:15], s[4:5], 0x80
	s_bcnt1_i32_b64 s12, s[12:13]
	v_mov_b32_e32 v2, 0
	v_mov_b32_e32 v3, s12
	s_waitcnt lgkmcnt(0)
	global_atomic_add v2, v2, v3, s[14:15] glc
.LBB395_3:
	s_or_b64 exec, exec, s[10:11]
	s_waitcnt vmcnt(0)
	v_readfirstlane_b32 s10, v2
	v_add_u32_e32 v1, s10, v1
	v_mov_b32_e32 v2, 0
	ds_write_b32 v2, v1
.LBB395_4:
	s_or_b64 exec, exec, s[8:9]
	v_mov_b32_e32 v3, 0
	s_load_dwordx4 s[16:19], s[4:5], 0x8
	s_load_dwordx4 s[24:27], s[4:5], 0x30
	s_load_dword s8, s[4:5], 0x78
	s_waitcnt lgkmcnt(0)
	s_barrier
	ds_read_b32 v1, v3
	s_waitcnt lgkmcnt(0)
	s_barrier
	global_load_dwordx2 v[10:11], v3, s[22:23]
	v_mov_b32_e32 v5, s3
	s_lshl_b64 s[4:5], s[18:19], 3
	s_movk_i32 s3, 0x300
	s_add_u32 s9, s16, s4
	v_mul_lo_u32 v2, v1, s3
	s_mul_i32 s3, s8, 0x300
	s_addc_u32 s10, s17, s5
	s_add_i32 s11, s8, -1
	s_add_i32 s8, s3, s18
	s_sub_i32 s33, s2, s8
	s_addk_i32 s33, 0x300
	v_mov_b32_e32 v4, s2
	s_add_u32 s2, s18, s3
	v_readfirstlane_b32 s40, v1
	s_addc_u32 s3, s19, 0
	s_cmp_eq_u32 s40, s11
	s_cselect_b64 s[22:23], -1, 0
	s_cmp_lg_u32 s40, s11
	v_cmp_lt_u64_e32 vcc, s[2:3], v[4:5]
	s_cselect_b64 s[2:3], -1, 0
	v_lshlrev_b64 v[12:13], 3, v[2:3]
	s_or_b64 s[28:29], vcc, s[2:3]
	v_mov_b32_e32 v1, s10
	v_add_co_u32_e32 v14, vcc, s9, v12
	v_addc_co_u32_e32 v15, vcc, v1, v13, vcc
	s_mov_b64 s[2:3], -1
	s_and_b64 vcc, exec, s[28:29]
	v_lshlrev_b32_e32 v24, 3, v0
	v_lshrrev_b32_e32 v1, 2, v0
	s_cbranch_vccz .LBB395_6
; %bb.5:
	v_add_co_u32_e32 v2, vcc, v14, v24
	v_addc_co_u32_e32 v3, vcc, 0, v15, vcc
	v_add_co_u32_e32 v4, vcc, 0x1000, v2
	v_addc_co_u32_e32 v5, vcc, 0, v3, vcc
	flat_load_dwordx2 v[6:7], v[2:3]
	flat_load_dwordx2 v[8:9], v[2:3] offset:1536
	flat_load_dwordx2 v[16:17], v[2:3] offset:3072
	;; [unrolled: 1-line block ×3, first 2 shown]
	v_add_u32_e32 v3, 0xc0, v0
	v_add_u32_e32 v4, 0x180, v0
	;; [unrolled: 1-line block ×3, first 2 shown]
	v_and_b32_e32 v2, 56, v1
	v_lshrrev_b32_e32 v3, 2, v3
	v_lshrrev_b32_e32 v4, 2, v4
	;; [unrolled: 1-line block ×3, first 2 shown]
	v_add_u32_e32 v2, v2, v24
	v_and_b32_e32 v3, 0x78, v3
	v_and_b32_e32 v4, 0xf8, v4
	;; [unrolled: 1-line block ×3, first 2 shown]
	v_add_u32_e32 v3, v3, v24
	v_add_u32_e32 v4, v4, v24
	;; [unrolled: 1-line block ×3, first 2 shown]
	s_mov_b64 s[2:3], 0
	s_waitcnt vmcnt(0) lgkmcnt(0)
	ds_write_b64 v2, v[6:7]
	ds_write_b64 v3, v[8:9] offset:1536
	ds_write_b64 v4, v[16:17] offset:3072
	;; [unrolled: 1-line block ×3, first 2 shown]
	s_waitcnt lgkmcnt(0)
	s_barrier
.LBB395_6:
	s_andn2_b64 vcc, exec, s[2:3]
	v_cmp_gt_u32_e64 s[2:3], s33, v0
	s_cbranch_vccnz .LBB395_16
; %bb.7:
                                        ; implicit-def: $vgpr2_vgpr3_vgpr4_vgpr5_vgpr6_vgpr7_vgpr8_vgpr9
	s_and_saveexec_b64 s[8:9], s[2:3]
	s_cbranch_execz .LBB395_9
; %bb.8:
	v_add_co_u32_e32 v2, vcc, v14, v24
	v_addc_co_u32_e32 v3, vcc, 0, v15, vcc
	flat_load_dwordx2 v[2:3], v[2:3]
.LBB395_9:
	s_or_b64 exec, exec, s[8:9]
	v_add_u32_e32 v16, 0xc0, v0
	v_cmp_gt_u32_e32 vcc, s33, v16
	s_and_saveexec_b64 s[2:3], vcc
	s_cbranch_execz .LBB395_11
; %bb.10:
	v_add_co_u32_e32 v4, vcc, v14, v24
	v_addc_co_u32_e32 v5, vcc, 0, v15, vcc
	flat_load_dwordx2 v[4:5], v[4:5] offset:1536
.LBB395_11:
	s_or_b64 exec, exec, s[2:3]
	v_add_u32_e32 v17, 0x180, v0
	v_cmp_gt_u32_e32 vcc, s33, v17
	s_and_saveexec_b64 s[2:3], vcc
	s_cbranch_execz .LBB395_13
; %bb.12:
	v_add_co_u32_e32 v6, vcc, v14, v24
	v_addc_co_u32_e32 v7, vcc, 0, v15, vcc
	flat_load_dwordx2 v[6:7], v[6:7] offset:3072
.LBB395_13:
	s_or_b64 exec, exec, s[2:3]
	v_add_u32_e32 v18, 0x240, v0
	v_cmp_gt_u32_e32 vcc, s33, v18
	s_and_saveexec_b64 s[2:3], vcc
	s_cbranch_execz .LBB395_15
; %bb.14:
	v_lshlrev_b32_e32 v8, 3, v18
	v_add_co_u32_e32 v8, vcc, v14, v8
	v_addc_co_u32_e32 v9, vcc, 0, v15, vcc
	flat_load_dwordx2 v[8:9], v[8:9]
.LBB395_15:
	s_or_b64 exec, exec, s[2:3]
	v_and_b32_e32 v1, 56, v1
	v_add_u32_e32 v1, v1, v24
	s_waitcnt vmcnt(0) lgkmcnt(0)
	ds_write_b64 v1, v[2:3]
	v_lshrrev_b32_e32 v1, 2, v16
	v_and_b32_e32 v1, 0x78, v1
	v_add_u32_e32 v1, v1, v24
	ds_write_b64 v1, v[4:5] offset:1536
	v_lshrrev_b32_e32 v1, 2, v17
	v_and_b32_e32 v1, 0xf8, v1
	v_add_u32_e32 v1, v1, v24
	ds_write_b64 v1, v[6:7] offset:3072
	;; [unrolled: 4-line block ×3, first 2 shown]
	s_waitcnt lgkmcnt(0)
	s_barrier
.LBB395_16:
	v_lshlrev_b32_e32 v25, 2, v0
	v_lshrrev_b32_e32 v15, 3, v0
	v_add_lshl_u32 v1, v15, v25, 3
	s_add_u32 s2, s6, s4
	ds_read2_b64 v[6:9], v1 offset1:1
	ds_read2_b64 v[2:5], v1 offset0:2 offset1:3
	s_addc_u32 s3, s7, s5
	v_mov_b32_e32 v1, s3
	v_add_co_u32_e32 v14, vcc, s2, v12
	v_addc_co_u32_e32 v1, vcc, v1, v13, vcc
	s_mov_b64 s[2:3], -1
	s_and_b64 vcc, exec, s[28:29]
	v_lshrrev_b32_e32 v16, 5, v0
	s_waitcnt lgkmcnt(0)
	s_barrier
	s_cbranch_vccz .LBB395_18
; %bb.17:
	v_add_co_u32_e32 v17, vcc, v14, v24
	v_addc_co_u32_e32 v27, vcc, 0, v1, vcc
	v_add_co_u32_e32 v26, vcc, 0x1000, v17
	v_readfirstlane_b32 s2, v14
	v_readfirstlane_b32 s3, v1
	v_addc_co_u32_e32 v27, vcc, 0, v27, vcc
	s_nop 3
	global_load_dwordx2 v[18:19], v24, s[2:3]
	global_load_dwordx2 v[20:21], v24, s[2:3] offset:1536
	global_load_dwordx2 v[22:23], v24, s[2:3] offset:3072
	s_waitcnt vmcnt(2)
	v_add_u32_e32 v19, 0xc0, v0
	global_load_dwordx2 v[26:27], v[26:27], off offset:512
	s_waitcnt vmcnt(2)
	v_add_u32_e32 v21, 0x180, v0
	s_waitcnt vmcnt(1)
	v_add_u32_e32 v23, 0x240, v0
	v_and_b32_e32 v17, 4, v16
	v_lshrrev_b32_e32 v19, 5, v19
	v_lshrrev_b32_e32 v21, 5, v21
	;; [unrolled: 1-line block ×3, first 2 shown]
	v_add_u32_e32 v17, v17, v0
	v_and_b32_e32 v19, 12, v19
	v_and_b32_e32 v21, 28, v21
	;; [unrolled: 1-line block ×3, first 2 shown]
	v_add_u32_e32 v19, v19, v0
	v_add_u32_e32 v21, v21, v0
	;; [unrolled: 1-line block ×3, first 2 shown]
	s_mov_b64 s[2:3], 0
	v_xor_b32_e32 v18, -1, v18
	v_xor_b32_e32 v20, -1, v20
	;; [unrolled: 1-line block ×3, first 2 shown]
	v_and_b32_e32 v18, 1, v18
	s_waitcnt vmcnt(0)
	v_xor_b32_e32 v26, -1, v26
	v_and_b32_e32 v20, 1, v20
	v_and_b32_e32 v22, 1, v22
	ds_write_b8 v17, v18
	ds_write_b8 v19, v20 offset:192
	ds_write_b8 v21, v22 offset:384
	v_and_b32_e32 v17, 1, v26
	ds_write_b8 v23, v17 offset:576
	s_waitcnt lgkmcnt(0)
	s_barrier
.LBB395_18:
	s_andn2_b64 vcc, exec, s[2:3]
	s_cbranch_vccnz .LBB395_28
; %bb.19:
	v_cmp_gt_u32_e32 vcc, s33, v0
	v_mov_b32_e32 v17, 0
	v_mov_b32_e32 v18, 0
	s_and_saveexec_b64 s[2:3], vcc
	s_cbranch_execz .LBB395_21
; %bb.20:
	v_readfirstlane_b32 s4, v14
	v_readfirstlane_b32 s5, v1
	s_nop 4
	global_load_dwordx2 v[18:19], v24, s[4:5]
	s_waitcnt vmcnt(0)
	v_xor_b32_e32 v18, -1, v18
	v_and_b32_e32 v18, 1, v18
.LBB395_21:
	s_or_b64 exec, exec, s[2:3]
	v_add_u32_e32 v19, 0xc0, v0
	v_cmp_gt_u32_e32 vcc, s33, v19
	s_and_saveexec_b64 s[2:3], vcc
	s_cbranch_execz .LBB395_23
; %bb.22:
	v_readfirstlane_b32 s4, v14
	v_readfirstlane_b32 s5, v1
	s_nop 4
	global_load_dwordx2 v[20:21], v24, s[4:5] offset:1536
	s_waitcnt vmcnt(0)
	v_xor_b32_e32 v17, -1, v20
	v_and_b32_e32 v17, 1, v17
.LBB395_23:
	s_or_b64 exec, exec, s[2:3]
	v_add_u32_e32 v20, 0x180, v0
	v_cmp_gt_u32_e32 vcc, s33, v20
	v_mov_b32_e32 v21, 0
	v_mov_b32_e32 v22, 0
	s_and_saveexec_b64 s[2:3], vcc
	s_cbranch_execz .LBB395_25
; %bb.24:
	v_readfirstlane_b32 s4, v14
	v_readfirstlane_b32 s5, v1
	s_nop 4
	global_load_dwordx2 v[22:23], v24, s[4:5] offset:3072
	s_waitcnt vmcnt(0)
	v_xor_b32_e32 v22, -1, v22
	v_and_b32_e32 v22, 1, v22
.LBB395_25:
	s_or_b64 exec, exec, s[2:3]
	v_add_u32_e32 v23, 0x240, v0
	v_cmp_gt_u32_e32 vcc, s33, v23
	s_and_saveexec_b64 s[2:3], vcc
	s_cbranch_execz .LBB395_27
; %bb.26:
	v_lshlrev_b32_e32 v21, 3, v23
	v_readfirstlane_b32 s4, v14
	v_readfirstlane_b32 s5, v1
	s_nop 4
	global_load_dwordx2 v[26:27], v21, s[4:5]
	s_waitcnt vmcnt(0)
	v_xor_b32_e32 v1, -1, v26
	v_and_b32_e32 v21, 1, v1
.LBB395_27:
	s_or_b64 exec, exec, s[2:3]
	v_and_b32_e32 v1, 4, v16
	v_add_u32_e32 v1, v1, v0
	ds_write_b8 v1, v18
	v_lshrrev_b32_e32 v1, 5, v19
	v_and_b32_e32 v1, 12, v1
	v_add_u32_e32 v1, v1, v0
	ds_write_b8 v1, v17 offset:192
	v_lshrrev_b32_e32 v1, 5, v20
	v_and_b32_e32 v1, 28, v1
	v_add_u32_e32 v1, v1, v0
	ds_write_b8 v1, v22 offset:384
	;; [unrolled: 4-line block ×3, first 2 shown]
	s_waitcnt lgkmcnt(0)
	s_barrier
.LBB395_28:
	v_and_b32_e32 v1, 28, v15
	v_add_u32_e32 v1, v1, v25
	ds_read_b32 v26, v1
	s_cmp_lg_u32 s40, 0
	v_lshrrev_b32_e32 v29, 6, v0
	s_waitcnt lgkmcnt(0)
	s_barrier
	v_lshrrev_b32_e32 v1, 24, v26
	v_bfe_u32 v27, v26, 16, 8
	v_add_u32_sdwa v14, v26, v26 dst_sel:DWORD dst_unused:UNUSED_PAD src0_sel:BYTE_1 src1_sel:BYTE_0
	v_add3_u32 v30, v14, v27, v1
	v_mbcnt_lo_u32_b32 v14, -1, 0
	v_mbcnt_hi_u32_b32 v28, -1, v14
	v_and_b32_e32 v14, 15, v28
	v_cmp_eq_u32_e64 s[14:15], 0, v14
	v_cmp_lt_u32_e64 s[12:13], 1, v14
	v_cmp_lt_u32_e64 s[10:11], 3, v14
	;; [unrolled: 1-line block ×3, first 2 shown]
	v_and_b32_e32 v14, 16, v28
	v_cmp_eq_u32_e64 s[4:5], 0, v14
	v_and_b32_e32 v14, 0xc0, v0
	v_min_u32_e32 v14, 0x80, v14
	v_or_b32_e32 v14, 63, v14
	v_cmp_lt_u32_e64 s[2:3], 31, v28
	v_cmp_eq_u32_e64 s[6:7], v14, v0
	s_cbranch_scc0 .LBB395_59
; %bb.29:
	v_mov_b32_dpp v14, v30 row_shr:1 row_mask:0xf bank_mask:0xf
	v_cndmask_b32_e64 v14, v14, 0, s[14:15]
	v_add_u32_e32 v14, v14, v30
	s_nop 1
	v_mov_b32_dpp v15, v14 row_shr:2 row_mask:0xf bank_mask:0xf
	v_cndmask_b32_e64 v15, 0, v15, s[12:13]
	v_add_u32_e32 v14, v14, v15
	s_nop 1
	;; [unrolled: 4-line block ×4, first 2 shown]
	v_mov_b32_dpp v15, v14 row_bcast:15 row_mask:0xf bank_mask:0xf
	v_cndmask_b32_e64 v15, v15, 0, s[4:5]
	v_add_u32_e32 v14, v14, v15
	s_nop 1
	v_mov_b32_dpp v15, v14 row_bcast:31 row_mask:0xf bank_mask:0xf
	v_cndmask_b32_e64 v15, 0, v15, s[2:3]
	v_add_u32_e32 v14, v14, v15
	s_and_saveexec_b64 s[16:17], s[6:7]
	s_cbranch_execz .LBB395_31
; %bb.30:
	v_lshlrev_b32_e32 v15, 2, v29
	ds_write_b32 v15, v14
.LBB395_31:
	s_or_b64 exec, exec, s[16:17]
	v_cmp_gt_u32_e32 vcc, 3, v0
	s_waitcnt lgkmcnt(0)
	s_barrier
	s_and_saveexec_b64 s[16:17], vcc
	s_cbranch_execz .LBB395_33
; %bb.32:
	ds_read_b32 v15, v25
	v_and_b32_e32 v16, 3, v28
	v_cmp_ne_u32_e32 vcc, 0, v16
	s_waitcnt lgkmcnt(0)
	v_mov_b32_dpp v17, v15 row_shr:1 row_mask:0xf bank_mask:0xf
	v_cndmask_b32_e32 v17, 0, v17, vcc
	v_add_u32_e32 v15, v17, v15
	v_cmp_lt_u32_e32 vcc, 1, v16
	s_nop 0
	v_mov_b32_dpp v17, v15 row_shr:2 row_mask:0xf bank_mask:0xf
	v_cndmask_b32_e32 v16, 0, v17, vcc
	v_add_u32_e32 v15, v15, v16
	ds_write_b32 v25, v15
.LBB395_33:
	s_or_b64 exec, exec, s[16:17]
	v_cmp_gt_u32_e32 vcc, 64, v0
	v_cmp_lt_u32_e64 s[16:17], 63, v0
	s_waitcnt lgkmcnt(0)
	s_barrier
	s_waitcnt lgkmcnt(0)
                                        ; implicit-def: $vgpr31
	s_and_saveexec_b64 s[34:35], s[16:17]
	s_cbranch_execz .LBB395_35
; %bb.34:
	v_lshl_add_u32 v15, v29, 2, -4
	ds_read_b32 v31, v15
	s_waitcnt lgkmcnt(0)
	v_add_u32_e32 v14, v31, v14
.LBB395_35:
	s_or_b64 exec, exec, s[34:35]
	v_add_u32_e32 v15, -1, v28
	v_and_b32_e32 v16, 64, v28
	v_cmp_lt_i32_e64 s[16:17], v15, v16
	v_cndmask_b32_e64 v15, v15, v28, s[16:17]
	v_lshlrev_b32_e32 v15, 2, v15
	ds_bpermute_b32 v32, v15, v14
	v_cmp_eq_u32_e64 s[16:17], 0, v28
	s_and_saveexec_b64 s[34:35], vcc
	s_cbranch_execz .LBB395_58
; %bb.36:
	v_mov_b32_e32 v23, 0
	ds_read_b32 v14, v23 offset:8
	s_and_saveexec_b64 s[36:37], s[16:17]
	s_cbranch_execz .LBB395_38
; %bb.37:
	s_add_i32 s38, s40, 64
	s_mov_b32 s39, 0
	s_lshl_b64 s[38:39], s[38:39], 3
	s_add_u32 s38, s30, s38
	v_mov_b32_e32 v15, 1
	s_addc_u32 s39, s31, s39
	s_waitcnt lgkmcnt(0)
	global_store_dwordx2 v23, v[14:15], s[38:39]
.LBB395_38:
	s_or_b64 exec, exec, s[36:37]
	v_xad_u32 v16, v28, -1, s40
	v_add_u32_e32 v22, 64, v16
	v_lshlrev_b64 v[18:19], 3, v[22:23]
	v_mov_b32_e32 v15, s31
	v_add_co_u32_e32 v18, vcc, s30, v18
	v_addc_co_u32_e32 v19, vcc, v15, v19, vcc
	global_load_dwordx2 v[20:21], v[18:19], off glc
	s_waitcnt vmcnt(0)
	v_cmp_eq_u16_sdwa s[38:39], v21, v23 src0_sel:BYTE_0 src1_sel:DWORD
	s_and_saveexec_b64 s[36:37], s[38:39]
	s_cbranch_execz .LBB395_44
; %bb.39:
	s_mov_b32 s41, 1
	s_mov_b64 s[38:39], 0
	v_mov_b32_e32 v15, 0
.LBB395_40:                             ; =>This Loop Header: Depth=1
                                        ;     Child Loop BB395_41 Depth 2
	s_max_u32 s42, s41, 1
.LBB395_41:                             ;   Parent Loop BB395_40 Depth=1
                                        ; =>  This Inner Loop Header: Depth=2
	s_add_i32 s42, s42, -1
	s_cmp_eq_u32 s42, 0
	s_sleep 1
	s_cbranch_scc0 .LBB395_41
; %bb.42:                               ;   in Loop: Header=BB395_40 Depth=1
	global_load_dwordx2 v[20:21], v[18:19], off glc
	s_cmp_lt_u32 s41, 32
	s_cselect_b64 s[42:43], -1, 0
	s_cmp_lg_u64 s[42:43], 0
	s_addc_u32 s41, s41, 0
	s_waitcnt vmcnt(0)
	v_cmp_ne_u16_sdwa s[42:43], v21, v15 src0_sel:BYTE_0 src1_sel:DWORD
	s_or_b64 s[38:39], s[42:43], s[38:39]
	s_andn2_b64 exec, exec, s[38:39]
	s_cbranch_execnz .LBB395_40
; %bb.43:
	s_or_b64 exec, exec, s[38:39]
.LBB395_44:
	s_or_b64 exec, exec, s[36:37]
	v_and_b32_e32 v34, 63, v28
	v_mov_b32_e32 v33, 2
	v_cmp_ne_u32_e32 vcc, 63, v34
	v_cmp_eq_u16_sdwa s[36:37], v21, v33 src0_sel:BYTE_0 src1_sel:DWORD
	v_lshlrev_b64 v[18:19], v28, -1
	v_addc_co_u32_e32 v22, vcc, 0, v28, vcc
	v_and_b32_e32 v15, s37, v19
	v_lshlrev_b32_e32 v35, 2, v22
	v_or_b32_e32 v15, 0x80000000, v15
	ds_bpermute_b32 v22, v35, v20
	v_and_b32_e32 v17, s36, v18
	v_ffbl_b32_e32 v15, v15
	v_add_u32_e32 v15, 32, v15
	v_ffbl_b32_e32 v17, v17
	v_min_u32_e32 v15, v17, v15
	v_cmp_lt_u32_e32 vcc, v34, v15
	s_waitcnt lgkmcnt(0)
	v_cndmask_b32_e32 v17, 0, v22, vcc
	v_cmp_gt_u32_e32 vcc, 62, v34
	v_add_u32_e32 v17, v17, v20
	v_cndmask_b32_e64 v20, 0, 1, vcc
	v_lshlrev_b32_e32 v20, 1, v20
	v_add_lshl_u32 v36, v20, v28, 2
	ds_bpermute_b32 v20, v36, v17
	v_add_u32_e32 v37, 2, v34
	v_cmp_le_u32_e32 vcc, v37, v15
	v_add_u32_e32 v39, 4, v34
	v_add_u32_e32 v41, 8, v34
	s_waitcnt lgkmcnt(0)
	v_cndmask_b32_e32 v20, 0, v20, vcc
	v_cmp_gt_u32_e32 vcc, 60, v34
	v_add_u32_e32 v17, v17, v20
	v_cndmask_b32_e64 v20, 0, 1, vcc
	v_lshlrev_b32_e32 v20, 2, v20
	v_add_lshl_u32 v38, v20, v28, 2
	ds_bpermute_b32 v20, v38, v17
	v_cmp_le_u32_e32 vcc, v39, v15
	v_add_u32_e32 v43, 16, v34
	v_add_u32_e32 v45, 32, v34
	s_waitcnt lgkmcnt(0)
	v_cndmask_b32_e32 v20, 0, v20, vcc
	v_cmp_gt_u32_e32 vcc, 56, v34
	v_add_u32_e32 v17, v17, v20
	v_cndmask_b32_e64 v20, 0, 1, vcc
	v_lshlrev_b32_e32 v20, 3, v20
	v_add_lshl_u32 v40, v20, v28, 2
	ds_bpermute_b32 v20, v40, v17
	v_cmp_le_u32_e32 vcc, v41, v15
	s_waitcnt lgkmcnt(0)
	v_cndmask_b32_e32 v20, 0, v20, vcc
	v_cmp_gt_u32_e32 vcc, 48, v34
	v_add_u32_e32 v17, v17, v20
	v_cndmask_b32_e64 v20, 0, 1, vcc
	v_lshlrev_b32_e32 v20, 4, v20
	v_add_lshl_u32 v42, v20, v28, 2
	ds_bpermute_b32 v20, v42, v17
	v_cmp_le_u32_e32 vcc, v43, v15
	;; [unrolled: 9-line block ×3, first 2 shown]
	s_waitcnt lgkmcnt(0)
	v_cndmask_b32_e32 v15, 0, v20, vcc
	v_add_u32_e32 v20, v17, v15
	v_mov_b32_e32 v17, 0
	s_branch .LBB395_46
.LBB395_45:                             ;   in Loop: Header=BB395_46 Depth=1
	s_or_b64 exec, exec, s[36:37]
	v_cmp_eq_u16_sdwa s[36:37], v21, v33 src0_sel:BYTE_0 src1_sel:DWORD
	v_and_b32_e32 v22, s37, v19
	v_or_b32_e32 v22, 0x80000000, v22
	ds_bpermute_b32 v46, v35, v20
	v_and_b32_e32 v23, s36, v18
	v_ffbl_b32_e32 v22, v22
	v_add_u32_e32 v22, 32, v22
	v_ffbl_b32_e32 v23, v23
	v_min_u32_e32 v22, v23, v22
	v_cmp_lt_u32_e32 vcc, v34, v22
	s_waitcnt lgkmcnt(0)
	v_cndmask_b32_e32 v23, 0, v46, vcc
	v_add_u32_e32 v20, v23, v20
	ds_bpermute_b32 v23, v36, v20
	v_cmp_le_u32_e32 vcc, v37, v22
	v_subrev_u32_e32 v16, 64, v16
	s_waitcnt lgkmcnt(0)
	v_cndmask_b32_e32 v23, 0, v23, vcc
	v_add_u32_e32 v20, v20, v23
	ds_bpermute_b32 v23, v38, v20
	v_cmp_le_u32_e32 vcc, v39, v22
	s_waitcnt lgkmcnt(0)
	v_cndmask_b32_e32 v23, 0, v23, vcc
	v_add_u32_e32 v20, v20, v23
	ds_bpermute_b32 v23, v40, v20
	v_cmp_le_u32_e32 vcc, v41, v22
	;; [unrolled: 5-line block ×4, first 2 shown]
	s_waitcnt lgkmcnt(0)
	v_cndmask_b32_e32 v22, 0, v23, vcc
	v_add3_u32 v20, v22, v15, v20
.LBB395_46:                             ; =>This Loop Header: Depth=1
                                        ;     Child Loop BB395_49 Depth 2
                                        ;       Child Loop BB395_50 Depth 3
	v_cmp_ne_u16_sdwa s[36:37], v21, v33 src0_sel:BYTE_0 src1_sel:DWORD
	v_cndmask_b32_e64 v15, 0, 1, s[36:37]
	;;#ASMSTART
	;;#ASMEND
	v_cmp_ne_u32_e32 vcc, 0, v15
	s_cmp_lg_u64 vcc, exec
	v_mov_b32_e32 v15, v20
	s_cbranch_scc1 .LBB395_53
; %bb.47:                               ;   in Loop: Header=BB395_46 Depth=1
	v_lshlrev_b64 v[20:21], 3, v[16:17]
	v_mov_b32_e32 v23, s31
	v_add_co_u32_e32 v22, vcc, s30, v20
	v_addc_co_u32_e32 v23, vcc, v23, v21, vcc
	global_load_dwordx2 v[20:21], v[22:23], off glc
	s_waitcnt vmcnt(0)
	v_cmp_eq_u16_sdwa s[38:39], v21, v17 src0_sel:BYTE_0 src1_sel:DWORD
	s_and_saveexec_b64 s[36:37], s[38:39]
	s_cbranch_execz .LBB395_45
; %bb.48:                               ;   in Loop: Header=BB395_46 Depth=1
	s_mov_b32 s41, 1
	s_mov_b64 s[38:39], 0
.LBB395_49:                             ;   Parent Loop BB395_46 Depth=1
                                        ; =>  This Loop Header: Depth=2
                                        ;       Child Loop BB395_50 Depth 3
	s_max_u32 s42, s41, 1
.LBB395_50:                             ;   Parent Loop BB395_46 Depth=1
                                        ;     Parent Loop BB395_49 Depth=2
                                        ; =>    This Inner Loop Header: Depth=3
	s_add_i32 s42, s42, -1
	s_cmp_eq_u32 s42, 0
	s_sleep 1
	s_cbranch_scc0 .LBB395_50
; %bb.51:                               ;   in Loop: Header=BB395_49 Depth=2
	global_load_dwordx2 v[20:21], v[22:23], off glc
	s_cmp_lt_u32 s41, 32
	s_cselect_b64 s[42:43], -1, 0
	s_cmp_lg_u64 s[42:43], 0
	s_addc_u32 s41, s41, 0
	s_waitcnt vmcnt(0)
	v_cmp_ne_u16_sdwa s[42:43], v21, v17 src0_sel:BYTE_0 src1_sel:DWORD
	s_or_b64 s[38:39], s[42:43], s[38:39]
	s_andn2_b64 exec, exec, s[38:39]
	s_cbranch_execnz .LBB395_49
; %bb.52:                               ;   in Loop: Header=BB395_46 Depth=1
	s_or_b64 exec, exec, s[38:39]
	s_branch .LBB395_45
.LBB395_53:                             ;   in Loop: Header=BB395_46 Depth=1
                                        ; implicit-def: $vgpr20
                                        ; implicit-def: $vgpr21
	s_cbranch_execz .LBB395_46
; %bb.54:
	s_and_saveexec_b64 s[36:37], s[16:17]
	s_cbranch_execz .LBB395_56
; %bb.55:
	s_add_i32 s38, s40, 64
	s_mov_b32 s39, 0
	s_lshl_b64 s[38:39], s[38:39], 3
	s_add_u32 s38, s30, s38
	v_add_u32_e32 v16, v15, v14
	v_mov_b32_e32 v17, 2
	s_addc_u32 s39, s31, s39
	v_mov_b32_e32 v18, 0
	global_store_dwordx2 v18, v[16:17], s[38:39]
	ds_write_b64 v18, v[14:15] offset:6336
.LBB395_56:
	s_or_b64 exec, exec, s[36:37]
	s_and_b64 exec, exec, s[0:1]
	s_cbranch_execz .LBB395_58
; %bb.57:
	v_mov_b32_e32 v14, 0
	ds_write_b32 v14, v15 offset:8
.LBB395_58:
	s_or_b64 exec, exec, s[34:35]
	v_mov_b32_e32 v14, 0
	s_waitcnt lgkmcnt(0)
	s_barrier
	ds_read_b32 v15, v14 offset:8
	v_cndmask_b32_e64 v16, v32, v31, s[16:17]
	v_cndmask_b32_e64 v16, v16, 0, s[0:1]
	s_waitcnt lgkmcnt(0)
	s_barrier
	v_add_u32_e32 v18, v15, v16
	ds_read_b64 v[14:15], v14 offset:6336
	v_add_u32_sdwa v19, v18, v26 dst_sel:DWORD dst_unused:UNUSED_PAD src0_sel:DWORD src1_sel:BYTE_0
	v_add_u32_sdwa v17, v19, v26 dst_sel:DWORD dst_unused:UNUSED_PAD src0_sel:DWORD src1_sel:BYTE_1
	v_add_u32_e32 v16, v17, v27
	s_branch .LBB395_69
.LBB395_59:
                                        ; implicit-def: $vgpr15
                                        ; implicit-def: $vgpr16
                                        ; implicit-def: $vgpr17
                                        ; implicit-def: $vgpr19
                                        ; implicit-def: $vgpr18
	s_cbranch_execz .LBB395_69
; %bb.60:
	s_waitcnt lgkmcnt(0)
	v_mov_b32_dpp v14, v30 row_shr:1 row_mask:0xf bank_mask:0xf
	v_cndmask_b32_e64 v14, v14, 0, s[14:15]
	v_add_u32_e32 v14, v14, v30
	s_nop 1
	v_mov_b32_dpp v15, v14 row_shr:2 row_mask:0xf bank_mask:0xf
	v_cndmask_b32_e64 v15, 0, v15, s[12:13]
	v_add_u32_e32 v14, v14, v15
	s_nop 1
	;; [unrolled: 4-line block ×4, first 2 shown]
	v_mov_b32_dpp v15, v14 row_bcast:15 row_mask:0xf bank_mask:0xf
	v_cndmask_b32_e64 v15, v15, 0, s[4:5]
	v_add_u32_e32 v14, v14, v15
	s_nop 1
	v_mov_b32_dpp v15, v14 row_bcast:31 row_mask:0xf bank_mask:0xf
	v_cndmask_b32_e64 v15, 0, v15, s[2:3]
	v_add_u32_e32 v14, v14, v15
	s_and_saveexec_b64 s[2:3], s[6:7]
	s_cbranch_execz .LBB395_62
; %bb.61:
	v_lshlrev_b32_e32 v15, 2, v29
	ds_write_b32 v15, v14
.LBB395_62:
	s_or_b64 exec, exec, s[2:3]
	v_cmp_gt_u32_e32 vcc, 3, v0
	s_waitcnt lgkmcnt(0)
	s_barrier
	s_and_saveexec_b64 s[2:3], vcc
	s_cbranch_execz .LBB395_64
; %bb.63:
	ds_read_b32 v15, v25
	v_and_b32_e32 v16, 3, v28
	v_cmp_ne_u32_e32 vcc, 0, v16
	s_waitcnt lgkmcnt(0)
	v_mov_b32_dpp v17, v15 row_shr:1 row_mask:0xf bank_mask:0xf
	v_cndmask_b32_e32 v17, 0, v17, vcc
	v_add_u32_e32 v15, v17, v15
	v_cmp_lt_u32_e32 vcc, 1, v16
	s_nop 0
	v_mov_b32_dpp v17, v15 row_shr:2 row_mask:0xf bank_mask:0xf
	v_cndmask_b32_e32 v16, 0, v17, vcc
	v_add_u32_e32 v15, v15, v16
	ds_write_b32 v25, v15
.LBB395_64:
	s_or_b64 exec, exec, s[2:3]
	v_cmp_lt_u32_e32 vcc, 63, v0
	v_mov_b32_e32 v15, 0
	v_mov_b32_e32 v16, 0
	s_waitcnt lgkmcnt(0)
	s_barrier
	s_and_saveexec_b64 s[2:3], vcc
	s_cbranch_execz .LBB395_66
; %bb.65:
	v_lshl_add_u32 v16, v29, 2, -4
	ds_read_b32 v16, v16
.LBB395_66:
	s_or_b64 exec, exec, s[2:3]
	v_add_u32_e32 v17, -1, v28
	v_and_b32_e32 v18, 64, v28
	v_cmp_lt_i32_e32 vcc, v17, v18
	v_cndmask_b32_e32 v17, v17, v28, vcc
	s_waitcnt lgkmcnt(0)
	v_add_u32_e32 v14, v16, v14
	v_lshlrev_b32_e32 v17, 2, v17
	ds_bpermute_b32 v17, v17, v14
	ds_read_b32 v14, v15 offset:8
	s_and_saveexec_b64 s[2:3], s[0:1]
	s_cbranch_execz .LBB395_68
; %bb.67:
	v_mov_b32_e32 v18, 0
	v_mov_b32_e32 v15, 2
	s_waitcnt lgkmcnt(0)
	global_store_dwordx2 v18, v[14:15], s[30:31] offset:512
.LBB395_68:
	s_or_b64 exec, exec, s[2:3]
	v_cmp_eq_u32_e32 vcc, 0, v28
	s_waitcnt lgkmcnt(1)
	v_cndmask_b32_e32 v16, v17, v16, vcc
	v_cndmask_b32_e64 v18, v16, 0, s[0:1]
	v_add_u32_sdwa v19, v18, v26 dst_sel:DWORD dst_unused:UNUSED_PAD src0_sel:DWORD src1_sel:BYTE_0
	v_add_u32_sdwa v17, v19, v26 dst_sel:DWORD dst_unused:UNUSED_PAD src0_sel:DWORD src1_sel:BYTE_1
	v_mov_b32_e32 v15, 0
	v_add_u32_e32 v16, v17, v27
	s_waitcnt lgkmcnt(0)
	s_barrier
.LBB395_69:
	s_waitcnt lgkmcnt(0)
	v_add_u32_e32 v21, v14, v25
	v_sub_u32_e32 v18, v18, v15
	v_and_b32_e32 v23, 1, v26
	v_sub_u32_e32 v22, v21, v18
	v_cmp_eq_u32_e32 vcc, 1, v23
	v_cndmask_b32_e32 v18, v22, v18, vcc
	v_lshlrev_b32_e32 v18, 3, v18
	v_lshrrev_b32_e32 v20, 8, v26
	ds_write_b64 v18, v[6:7]
	v_sub_u32_e32 v6, v19, v15
	v_sub_u32_e32 v7, v21, v6
	v_and_b32_e32 v18, 1, v20
	v_add_u32_e32 v7, 1, v7
	v_cmp_eq_u32_e32 vcc, 1, v18
	v_cndmask_b32_e32 v6, v7, v6, vcc
	v_lshlrev_b32_e32 v6, 3, v6
	ds_write_b64 v6, v[8:9]
	v_sub_u32_e32 v6, v17, v15
	v_mov_b32_e32 v8, 1
	v_sub_u32_e32 v7, v21, v6
	v_and_b32_sdwa v8, v8, v26 dst_sel:DWORD dst_unused:UNUSED_PAD src0_sel:DWORD src1_sel:WORD_1
	v_add_u32_e32 v7, 2, v7
	v_cmp_eq_u32_e32 vcc, 1, v8
	v_cndmask_b32_e32 v6, v7, v6, vcc
	v_lshlrev_b32_e32 v6, 3, v6
	ds_write_b64 v6, v[2:3]
	v_sub_u32_e32 v2, v16, v15
	v_sub_u32_e32 v3, v21, v2
	v_and_b32_e32 v1, 1, v1
	v_add_u32_e32 v3, 3, v3
	v_cmp_eq_u32_e32 vcc, 1, v1
	v_cndmask_b32_e32 v1, v3, v2, vcc
	s_waitcnt vmcnt(0)
	v_add_co_u32_e32 v20, vcc, v10, v15
	v_addc_co_u32_e32 v21, vcc, 0, v11, vcc
	v_add_co_u32_e32 v10, vcc, v20, v14
	v_addc_co_u32_e32 v11, vcc, 0, v21, vcc
	v_mov_b32_e32 v15, s19
	v_sub_co_u32_e32 v22, vcc, s18, v10
	v_subb_co_u32_e32 v23, vcc, v15, v11, vcc
	v_lshlrev_b32_e32 v1, 3, v1
	v_lshlrev_b64 v[22:23], 3, v[22:23]
	ds_write_b64 v1, v[4:5]
	s_waitcnt lgkmcnt(0)
	s_barrier
	ds_read2st64_b64 v[6:9], v24 offset1:3
	ds_read2st64_b64 v[2:5], v24 offset0:6 offset1:9
	v_mov_b32_e32 v15, s27
	v_add_co_u32_e32 v17, vcc, s26, v22
	v_addc_co_u32_e32 v15, vcc, v15, v23, vcc
	v_add_co_u32_e32 v12, vcc, v17, v12
	v_lshlrev_b64 v[20:21], 3, v[20:21]
	v_addc_co_u32_e32 v13, vcc, v15, v13, vcc
	v_mov_b32_e32 v17, s25
	v_add_co_u32_e64 v15, s[2:3], s24, v20
	v_add_u32_e32 v18, 0xc0, v0
	v_add_u32_e32 v16, 0x180, v0
	;; [unrolled: 1-line block ×3, first 2 shown]
	s_andn2_b64 vcc, exec, s[28:29]
	v_addc_co_u32_e64 v17, s[2:3], v17, v21, s[2:3]
	s_cbranch_vccnz .LBB395_71
; %bb.70:
	v_cmp_lt_u32_e32 vcc, v0, v14
	v_cndmask_b32_e32 v20, v12, v15, vcc
	v_cndmask_b32_e32 v19, v13, v17, vcc
	v_add_co_u32_e32 v20, vcc, v20, v24
	v_addc_co_u32_e32 v21, vcc, 0, v19, vcc
	v_cmp_lt_u32_e32 vcc, v18, v14
	s_waitcnt lgkmcnt(1)
	global_store_dwordx2 v[20:21], v[6:7], off
	v_cndmask_b32_e32 v20, v12, v15, vcc
	v_cndmask_b32_e32 v19, v13, v17, vcc
	v_add_co_u32_e32 v20, vcc, v20, v24
	v_addc_co_u32_e32 v21, vcc, 0, v19, vcc
	v_cmp_lt_u32_e32 vcc, v16, v14
	global_store_dwordx2 v[20:21], v[8:9], off offset:1536
	v_cndmask_b32_e32 v20, v12, v15, vcc
	v_cndmask_b32_e32 v19, v13, v17, vcc
	v_add_co_u32_e32 v20, vcc, v20, v24
	v_addc_co_u32_e32 v21, vcc, 0, v19, vcc
	s_mov_b64 s[2:3], -1
	s_waitcnt lgkmcnt(0)
	global_store_dwordx2 v[20:21], v[2:3], off offset:3072
	s_cbranch_execz .LBB395_72
	s_branch .LBB395_77
.LBB395_71:
	s_mov_b64 s[2:3], 0
.LBB395_72:
	v_cmp_gt_u32_e32 vcc, s33, v0
	s_and_saveexec_b64 s[2:3], vcc
	s_cbranch_execnz .LBB395_82
; %bb.73:
	s_or_b64 exec, exec, s[2:3]
	v_cmp_gt_u32_e32 vcc, s33, v18
	s_and_saveexec_b64 s[2:3], vcc
	s_cbranch_execnz .LBB395_83
.LBB395_74:
	s_or_b64 exec, exec, s[2:3]
	v_cmp_gt_u32_e32 vcc, s33, v16
	s_and_saveexec_b64 s[2:3], vcc
	s_cbranch_execz .LBB395_76
.LBB395_75:
	v_cmp_lt_u32_e32 vcc, v16, v14
	s_waitcnt lgkmcnt(1)
	v_cndmask_b32_e32 v6, v12, v15, vcc
	v_cndmask_b32_e32 v0, v13, v17, vcc
	v_add_co_u32_e32 v6, vcc, v6, v24
	v_addc_co_u32_e32 v7, vcc, 0, v0, vcc
	s_waitcnt lgkmcnt(0)
	global_store_dwordx2 v[6:7], v[2:3], off offset:3072
.LBB395_76:
	s_or_b64 exec, exec, s[2:3]
	v_cmp_gt_u32_e64 s[2:3], s33, v1
.LBB395_77:
	s_and_saveexec_b64 s[4:5], s[2:3]
	s_cbranch_execnz .LBB395_80
; %bb.78:
	s_or_b64 exec, exec, s[4:5]
	s_and_b64 s[0:1], s[0:1], s[22:23]
	s_and_saveexec_b64 s[2:3], s[0:1]
	s_cbranch_execnz .LBB395_81
.LBB395_79:
	s_endpgm
.LBB395_80:
	v_cmp_lt_u32_e32 vcc, v1, v14
	v_cndmask_b32_e32 v0, v12, v15, vcc
	v_lshlrev_b32_e32 v1, 3, v1
	s_waitcnt lgkmcnt(0)
	v_cndmask_b32_e32 v2, v13, v17, vcc
	v_add_co_u32_e32 v0, vcc, v0, v1
	v_addc_co_u32_e32 v1, vcc, 0, v2, vcc
	global_store_dwordx2 v[0:1], v[4:5], off
	s_or_b64 exec, exec, s[4:5]
	s_and_b64 s[0:1], s[0:1], s[22:23]
	s_and_saveexec_b64 s[2:3], s[0:1]
	s_cbranch_execz .LBB395_79
.LBB395_81:
	v_mov_b32_e32 v0, 0
	global_store_dwordx2 v0, v[10:11], s[20:21]
	s_endpgm
.LBB395_82:
	v_cmp_lt_u32_e32 vcc, v0, v14
	v_cndmask_b32_e32 v19, v12, v15, vcc
	v_cndmask_b32_e32 v0, v13, v17, vcc
	v_add_co_u32_e32 v20, vcc, v19, v24
	v_addc_co_u32_e32 v21, vcc, 0, v0, vcc
	s_waitcnt lgkmcnt(1)
	global_store_dwordx2 v[20:21], v[6:7], off
	s_or_b64 exec, exec, s[2:3]
	v_cmp_gt_u32_e32 vcc, s33, v18
	s_and_saveexec_b64 s[2:3], vcc
	s_cbranch_execz .LBB395_74
.LBB395_83:
	v_cmp_lt_u32_e32 vcc, v18, v14
	s_waitcnt lgkmcnt(1)
	v_cndmask_b32_e32 v6, v12, v15, vcc
	v_cndmask_b32_e32 v0, v13, v17, vcc
	v_add_co_u32_e32 v6, vcc, v6, v24
	v_addc_co_u32_e32 v7, vcc, 0, v0, vcc
	global_store_dwordx2 v[6:7], v[8:9], off offset:1536
	s_or_b64 exec, exec, s[2:3]
	v_cmp_gt_u32_e32 vcc, s33, v16
	s_and_saveexec_b64 s[2:3], vcc
	s_cbranch_execnz .LBB395_75
	s_branch .LBB395_76
	.section	.rodata,"a",@progbits
	.p2align	6, 0x0
	.amdhsa_kernel _ZN7rocprim17ROCPRIM_400000_NS6detail17trampoline_kernelINS0_14default_configENS1_25partition_config_selectorILNS1_17partition_subalgoE1ExNS0_10empty_typeEbEEZZNS1_14partition_implILS5_1ELb0ES3_jN6thrust23THRUST_200600_302600_NS6detail15normal_iteratorINSA_10device_ptrIxEEEEPS6_NSA_18transform_iteratorI7is_evenIxESF_NSA_11use_defaultESK_EENS0_5tupleIJSF_SF_EEENSM_IJSG_SG_EEES6_PlJS6_EEE10hipError_tPvRmT3_T4_T5_T6_T7_T9_mT8_P12ihipStream_tbDpT10_ENKUlT_T0_E_clISt17integral_constantIbLb1EES19_EEDaS14_S15_EUlS14_E_NS1_11comp_targetILNS1_3genE4ELNS1_11target_archE910ELNS1_3gpuE8ELNS1_3repE0EEENS1_30default_config_static_selectorELNS0_4arch9wavefront6targetE1EEEvT1_
		.amdhsa_group_segment_fixed_size 6344
		.amdhsa_private_segment_fixed_size 0
		.amdhsa_kernarg_size 144
		.amdhsa_user_sgpr_count 6
		.amdhsa_user_sgpr_private_segment_buffer 1
		.amdhsa_user_sgpr_dispatch_ptr 0
		.amdhsa_user_sgpr_queue_ptr 0
		.amdhsa_user_sgpr_kernarg_segment_ptr 1
		.amdhsa_user_sgpr_dispatch_id 0
		.amdhsa_user_sgpr_flat_scratch_init 0
		.amdhsa_user_sgpr_kernarg_preload_length 0
		.amdhsa_user_sgpr_kernarg_preload_offset 0
		.amdhsa_user_sgpr_private_segment_size 0
		.amdhsa_uses_dynamic_stack 0
		.amdhsa_system_sgpr_private_segment_wavefront_offset 0
		.amdhsa_system_sgpr_workgroup_id_x 1
		.amdhsa_system_sgpr_workgroup_id_y 0
		.amdhsa_system_sgpr_workgroup_id_z 0
		.amdhsa_system_sgpr_workgroup_info 0
		.amdhsa_system_vgpr_workitem_id 0
		.amdhsa_next_free_vgpr 47
		.amdhsa_next_free_sgpr 44
		.amdhsa_accum_offset 48
		.amdhsa_reserve_vcc 1
		.amdhsa_reserve_flat_scratch 0
		.amdhsa_float_round_mode_32 0
		.amdhsa_float_round_mode_16_64 0
		.amdhsa_float_denorm_mode_32 3
		.amdhsa_float_denorm_mode_16_64 3
		.amdhsa_dx10_clamp 1
		.amdhsa_ieee_mode 1
		.amdhsa_fp16_overflow 0
		.amdhsa_tg_split 0
		.amdhsa_exception_fp_ieee_invalid_op 0
		.amdhsa_exception_fp_denorm_src 0
		.amdhsa_exception_fp_ieee_div_zero 0
		.amdhsa_exception_fp_ieee_overflow 0
		.amdhsa_exception_fp_ieee_underflow 0
		.amdhsa_exception_fp_ieee_inexact 0
		.amdhsa_exception_int_div_zero 0
	.end_amdhsa_kernel
	.section	.text._ZN7rocprim17ROCPRIM_400000_NS6detail17trampoline_kernelINS0_14default_configENS1_25partition_config_selectorILNS1_17partition_subalgoE1ExNS0_10empty_typeEbEEZZNS1_14partition_implILS5_1ELb0ES3_jN6thrust23THRUST_200600_302600_NS6detail15normal_iteratorINSA_10device_ptrIxEEEEPS6_NSA_18transform_iteratorI7is_evenIxESF_NSA_11use_defaultESK_EENS0_5tupleIJSF_SF_EEENSM_IJSG_SG_EEES6_PlJS6_EEE10hipError_tPvRmT3_T4_T5_T6_T7_T9_mT8_P12ihipStream_tbDpT10_ENKUlT_T0_E_clISt17integral_constantIbLb1EES19_EEDaS14_S15_EUlS14_E_NS1_11comp_targetILNS1_3genE4ELNS1_11target_archE910ELNS1_3gpuE8ELNS1_3repE0EEENS1_30default_config_static_selectorELNS0_4arch9wavefront6targetE1EEEvT1_,"axG",@progbits,_ZN7rocprim17ROCPRIM_400000_NS6detail17trampoline_kernelINS0_14default_configENS1_25partition_config_selectorILNS1_17partition_subalgoE1ExNS0_10empty_typeEbEEZZNS1_14partition_implILS5_1ELb0ES3_jN6thrust23THRUST_200600_302600_NS6detail15normal_iteratorINSA_10device_ptrIxEEEEPS6_NSA_18transform_iteratorI7is_evenIxESF_NSA_11use_defaultESK_EENS0_5tupleIJSF_SF_EEENSM_IJSG_SG_EEES6_PlJS6_EEE10hipError_tPvRmT3_T4_T5_T6_T7_T9_mT8_P12ihipStream_tbDpT10_ENKUlT_T0_E_clISt17integral_constantIbLb1EES19_EEDaS14_S15_EUlS14_E_NS1_11comp_targetILNS1_3genE4ELNS1_11target_archE910ELNS1_3gpuE8ELNS1_3repE0EEENS1_30default_config_static_selectorELNS0_4arch9wavefront6targetE1EEEvT1_,comdat
.Lfunc_end395:
	.size	_ZN7rocprim17ROCPRIM_400000_NS6detail17trampoline_kernelINS0_14default_configENS1_25partition_config_selectorILNS1_17partition_subalgoE1ExNS0_10empty_typeEbEEZZNS1_14partition_implILS5_1ELb0ES3_jN6thrust23THRUST_200600_302600_NS6detail15normal_iteratorINSA_10device_ptrIxEEEEPS6_NSA_18transform_iteratorI7is_evenIxESF_NSA_11use_defaultESK_EENS0_5tupleIJSF_SF_EEENSM_IJSG_SG_EEES6_PlJS6_EEE10hipError_tPvRmT3_T4_T5_T6_T7_T9_mT8_P12ihipStream_tbDpT10_ENKUlT_T0_E_clISt17integral_constantIbLb1EES19_EEDaS14_S15_EUlS14_E_NS1_11comp_targetILNS1_3genE4ELNS1_11target_archE910ELNS1_3gpuE8ELNS1_3repE0EEENS1_30default_config_static_selectorELNS0_4arch9wavefront6targetE1EEEvT1_, .Lfunc_end395-_ZN7rocprim17ROCPRIM_400000_NS6detail17trampoline_kernelINS0_14default_configENS1_25partition_config_selectorILNS1_17partition_subalgoE1ExNS0_10empty_typeEbEEZZNS1_14partition_implILS5_1ELb0ES3_jN6thrust23THRUST_200600_302600_NS6detail15normal_iteratorINSA_10device_ptrIxEEEEPS6_NSA_18transform_iteratorI7is_evenIxESF_NSA_11use_defaultESK_EENS0_5tupleIJSF_SF_EEENSM_IJSG_SG_EEES6_PlJS6_EEE10hipError_tPvRmT3_T4_T5_T6_T7_T9_mT8_P12ihipStream_tbDpT10_ENKUlT_T0_E_clISt17integral_constantIbLb1EES19_EEDaS14_S15_EUlS14_E_NS1_11comp_targetILNS1_3genE4ELNS1_11target_archE910ELNS1_3gpuE8ELNS1_3repE0EEENS1_30default_config_static_selectorELNS0_4arch9wavefront6targetE1EEEvT1_
                                        ; -- End function
	.section	.AMDGPU.csdata,"",@progbits
; Kernel info:
; codeLenInByte = 4180
; NumSgprs: 48
; NumVgprs: 47
; NumAgprs: 0
; TotalNumVgprs: 47
; ScratchSize: 0
; MemoryBound: 0
; FloatMode: 240
; IeeeMode: 1
; LDSByteSize: 6344 bytes/workgroup (compile time only)
; SGPRBlocks: 5
; VGPRBlocks: 5
; NumSGPRsForWavesPerEU: 48
; NumVGPRsForWavesPerEU: 47
; AccumOffset: 48
; Occupancy: 8
; WaveLimiterHint : 1
; COMPUTE_PGM_RSRC2:SCRATCH_EN: 0
; COMPUTE_PGM_RSRC2:USER_SGPR: 6
; COMPUTE_PGM_RSRC2:TRAP_HANDLER: 0
; COMPUTE_PGM_RSRC2:TGID_X_EN: 1
; COMPUTE_PGM_RSRC2:TGID_Y_EN: 0
; COMPUTE_PGM_RSRC2:TGID_Z_EN: 0
; COMPUTE_PGM_RSRC2:TIDIG_COMP_CNT: 0
; COMPUTE_PGM_RSRC3_GFX90A:ACCUM_OFFSET: 11
; COMPUTE_PGM_RSRC3_GFX90A:TG_SPLIT: 0
	.section	.text._ZN7rocprim17ROCPRIM_400000_NS6detail17trampoline_kernelINS0_14default_configENS1_25partition_config_selectorILNS1_17partition_subalgoE1ExNS0_10empty_typeEbEEZZNS1_14partition_implILS5_1ELb0ES3_jN6thrust23THRUST_200600_302600_NS6detail15normal_iteratorINSA_10device_ptrIxEEEEPS6_NSA_18transform_iteratorI7is_evenIxESF_NSA_11use_defaultESK_EENS0_5tupleIJSF_SF_EEENSM_IJSG_SG_EEES6_PlJS6_EEE10hipError_tPvRmT3_T4_T5_T6_T7_T9_mT8_P12ihipStream_tbDpT10_ENKUlT_T0_E_clISt17integral_constantIbLb1EES19_EEDaS14_S15_EUlS14_E_NS1_11comp_targetILNS1_3genE3ELNS1_11target_archE908ELNS1_3gpuE7ELNS1_3repE0EEENS1_30default_config_static_selectorELNS0_4arch9wavefront6targetE1EEEvT1_,"axG",@progbits,_ZN7rocprim17ROCPRIM_400000_NS6detail17trampoline_kernelINS0_14default_configENS1_25partition_config_selectorILNS1_17partition_subalgoE1ExNS0_10empty_typeEbEEZZNS1_14partition_implILS5_1ELb0ES3_jN6thrust23THRUST_200600_302600_NS6detail15normal_iteratorINSA_10device_ptrIxEEEEPS6_NSA_18transform_iteratorI7is_evenIxESF_NSA_11use_defaultESK_EENS0_5tupleIJSF_SF_EEENSM_IJSG_SG_EEES6_PlJS6_EEE10hipError_tPvRmT3_T4_T5_T6_T7_T9_mT8_P12ihipStream_tbDpT10_ENKUlT_T0_E_clISt17integral_constantIbLb1EES19_EEDaS14_S15_EUlS14_E_NS1_11comp_targetILNS1_3genE3ELNS1_11target_archE908ELNS1_3gpuE7ELNS1_3repE0EEENS1_30default_config_static_selectorELNS0_4arch9wavefront6targetE1EEEvT1_,comdat
	.protected	_ZN7rocprim17ROCPRIM_400000_NS6detail17trampoline_kernelINS0_14default_configENS1_25partition_config_selectorILNS1_17partition_subalgoE1ExNS0_10empty_typeEbEEZZNS1_14partition_implILS5_1ELb0ES3_jN6thrust23THRUST_200600_302600_NS6detail15normal_iteratorINSA_10device_ptrIxEEEEPS6_NSA_18transform_iteratorI7is_evenIxESF_NSA_11use_defaultESK_EENS0_5tupleIJSF_SF_EEENSM_IJSG_SG_EEES6_PlJS6_EEE10hipError_tPvRmT3_T4_T5_T6_T7_T9_mT8_P12ihipStream_tbDpT10_ENKUlT_T0_E_clISt17integral_constantIbLb1EES19_EEDaS14_S15_EUlS14_E_NS1_11comp_targetILNS1_3genE3ELNS1_11target_archE908ELNS1_3gpuE7ELNS1_3repE0EEENS1_30default_config_static_selectorELNS0_4arch9wavefront6targetE1EEEvT1_ ; -- Begin function _ZN7rocprim17ROCPRIM_400000_NS6detail17trampoline_kernelINS0_14default_configENS1_25partition_config_selectorILNS1_17partition_subalgoE1ExNS0_10empty_typeEbEEZZNS1_14partition_implILS5_1ELb0ES3_jN6thrust23THRUST_200600_302600_NS6detail15normal_iteratorINSA_10device_ptrIxEEEEPS6_NSA_18transform_iteratorI7is_evenIxESF_NSA_11use_defaultESK_EENS0_5tupleIJSF_SF_EEENSM_IJSG_SG_EEES6_PlJS6_EEE10hipError_tPvRmT3_T4_T5_T6_T7_T9_mT8_P12ihipStream_tbDpT10_ENKUlT_T0_E_clISt17integral_constantIbLb1EES19_EEDaS14_S15_EUlS14_E_NS1_11comp_targetILNS1_3genE3ELNS1_11target_archE908ELNS1_3gpuE7ELNS1_3repE0EEENS1_30default_config_static_selectorELNS0_4arch9wavefront6targetE1EEEvT1_
	.globl	_ZN7rocprim17ROCPRIM_400000_NS6detail17trampoline_kernelINS0_14default_configENS1_25partition_config_selectorILNS1_17partition_subalgoE1ExNS0_10empty_typeEbEEZZNS1_14partition_implILS5_1ELb0ES3_jN6thrust23THRUST_200600_302600_NS6detail15normal_iteratorINSA_10device_ptrIxEEEEPS6_NSA_18transform_iteratorI7is_evenIxESF_NSA_11use_defaultESK_EENS0_5tupleIJSF_SF_EEENSM_IJSG_SG_EEES6_PlJS6_EEE10hipError_tPvRmT3_T4_T5_T6_T7_T9_mT8_P12ihipStream_tbDpT10_ENKUlT_T0_E_clISt17integral_constantIbLb1EES19_EEDaS14_S15_EUlS14_E_NS1_11comp_targetILNS1_3genE3ELNS1_11target_archE908ELNS1_3gpuE7ELNS1_3repE0EEENS1_30default_config_static_selectorELNS0_4arch9wavefront6targetE1EEEvT1_
	.p2align	8
	.type	_ZN7rocprim17ROCPRIM_400000_NS6detail17trampoline_kernelINS0_14default_configENS1_25partition_config_selectorILNS1_17partition_subalgoE1ExNS0_10empty_typeEbEEZZNS1_14partition_implILS5_1ELb0ES3_jN6thrust23THRUST_200600_302600_NS6detail15normal_iteratorINSA_10device_ptrIxEEEEPS6_NSA_18transform_iteratorI7is_evenIxESF_NSA_11use_defaultESK_EENS0_5tupleIJSF_SF_EEENSM_IJSG_SG_EEES6_PlJS6_EEE10hipError_tPvRmT3_T4_T5_T6_T7_T9_mT8_P12ihipStream_tbDpT10_ENKUlT_T0_E_clISt17integral_constantIbLb1EES19_EEDaS14_S15_EUlS14_E_NS1_11comp_targetILNS1_3genE3ELNS1_11target_archE908ELNS1_3gpuE7ELNS1_3repE0EEENS1_30default_config_static_selectorELNS0_4arch9wavefront6targetE1EEEvT1_,@function
_ZN7rocprim17ROCPRIM_400000_NS6detail17trampoline_kernelINS0_14default_configENS1_25partition_config_selectorILNS1_17partition_subalgoE1ExNS0_10empty_typeEbEEZZNS1_14partition_implILS5_1ELb0ES3_jN6thrust23THRUST_200600_302600_NS6detail15normal_iteratorINSA_10device_ptrIxEEEEPS6_NSA_18transform_iteratorI7is_evenIxESF_NSA_11use_defaultESK_EENS0_5tupleIJSF_SF_EEENSM_IJSG_SG_EEES6_PlJS6_EEE10hipError_tPvRmT3_T4_T5_T6_T7_T9_mT8_P12ihipStream_tbDpT10_ENKUlT_T0_E_clISt17integral_constantIbLb1EES19_EEDaS14_S15_EUlS14_E_NS1_11comp_targetILNS1_3genE3ELNS1_11target_archE908ELNS1_3gpuE7ELNS1_3repE0EEENS1_30default_config_static_selectorELNS0_4arch9wavefront6targetE1EEEvT1_: ; @_ZN7rocprim17ROCPRIM_400000_NS6detail17trampoline_kernelINS0_14default_configENS1_25partition_config_selectorILNS1_17partition_subalgoE1ExNS0_10empty_typeEbEEZZNS1_14partition_implILS5_1ELb0ES3_jN6thrust23THRUST_200600_302600_NS6detail15normal_iteratorINSA_10device_ptrIxEEEEPS6_NSA_18transform_iteratorI7is_evenIxESF_NSA_11use_defaultESK_EENS0_5tupleIJSF_SF_EEENSM_IJSG_SG_EEES6_PlJS6_EEE10hipError_tPvRmT3_T4_T5_T6_T7_T9_mT8_P12ihipStream_tbDpT10_ENKUlT_T0_E_clISt17integral_constantIbLb1EES19_EEDaS14_S15_EUlS14_E_NS1_11comp_targetILNS1_3genE3ELNS1_11target_archE908ELNS1_3gpuE7ELNS1_3repE0EEENS1_30default_config_static_selectorELNS0_4arch9wavefront6targetE1EEEvT1_
; %bb.0:
	.section	.rodata,"a",@progbits
	.p2align	6, 0x0
	.amdhsa_kernel _ZN7rocprim17ROCPRIM_400000_NS6detail17trampoline_kernelINS0_14default_configENS1_25partition_config_selectorILNS1_17partition_subalgoE1ExNS0_10empty_typeEbEEZZNS1_14partition_implILS5_1ELb0ES3_jN6thrust23THRUST_200600_302600_NS6detail15normal_iteratorINSA_10device_ptrIxEEEEPS6_NSA_18transform_iteratorI7is_evenIxESF_NSA_11use_defaultESK_EENS0_5tupleIJSF_SF_EEENSM_IJSG_SG_EEES6_PlJS6_EEE10hipError_tPvRmT3_T4_T5_T6_T7_T9_mT8_P12ihipStream_tbDpT10_ENKUlT_T0_E_clISt17integral_constantIbLb1EES19_EEDaS14_S15_EUlS14_E_NS1_11comp_targetILNS1_3genE3ELNS1_11target_archE908ELNS1_3gpuE7ELNS1_3repE0EEENS1_30default_config_static_selectorELNS0_4arch9wavefront6targetE1EEEvT1_
		.amdhsa_group_segment_fixed_size 0
		.amdhsa_private_segment_fixed_size 0
		.amdhsa_kernarg_size 144
		.amdhsa_user_sgpr_count 6
		.amdhsa_user_sgpr_private_segment_buffer 1
		.amdhsa_user_sgpr_dispatch_ptr 0
		.amdhsa_user_sgpr_queue_ptr 0
		.amdhsa_user_sgpr_kernarg_segment_ptr 1
		.amdhsa_user_sgpr_dispatch_id 0
		.amdhsa_user_sgpr_flat_scratch_init 0
		.amdhsa_user_sgpr_kernarg_preload_length 0
		.amdhsa_user_sgpr_kernarg_preload_offset 0
		.amdhsa_user_sgpr_private_segment_size 0
		.amdhsa_uses_dynamic_stack 0
		.amdhsa_system_sgpr_private_segment_wavefront_offset 0
		.amdhsa_system_sgpr_workgroup_id_x 1
		.amdhsa_system_sgpr_workgroup_id_y 0
		.amdhsa_system_sgpr_workgroup_id_z 0
		.amdhsa_system_sgpr_workgroup_info 0
		.amdhsa_system_vgpr_workitem_id 0
		.amdhsa_next_free_vgpr 1
		.amdhsa_next_free_sgpr 0
		.amdhsa_accum_offset 4
		.amdhsa_reserve_vcc 0
		.amdhsa_reserve_flat_scratch 0
		.amdhsa_float_round_mode_32 0
		.amdhsa_float_round_mode_16_64 0
		.amdhsa_float_denorm_mode_32 3
		.amdhsa_float_denorm_mode_16_64 3
		.amdhsa_dx10_clamp 1
		.amdhsa_ieee_mode 1
		.amdhsa_fp16_overflow 0
		.amdhsa_tg_split 0
		.amdhsa_exception_fp_ieee_invalid_op 0
		.amdhsa_exception_fp_denorm_src 0
		.amdhsa_exception_fp_ieee_div_zero 0
		.amdhsa_exception_fp_ieee_overflow 0
		.amdhsa_exception_fp_ieee_underflow 0
		.amdhsa_exception_fp_ieee_inexact 0
		.amdhsa_exception_int_div_zero 0
	.end_amdhsa_kernel
	.section	.text._ZN7rocprim17ROCPRIM_400000_NS6detail17trampoline_kernelINS0_14default_configENS1_25partition_config_selectorILNS1_17partition_subalgoE1ExNS0_10empty_typeEbEEZZNS1_14partition_implILS5_1ELb0ES3_jN6thrust23THRUST_200600_302600_NS6detail15normal_iteratorINSA_10device_ptrIxEEEEPS6_NSA_18transform_iteratorI7is_evenIxESF_NSA_11use_defaultESK_EENS0_5tupleIJSF_SF_EEENSM_IJSG_SG_EEES6_PlJS6_EEE10hipError_tPvRmT3_T4_T5_T6_T7_T9_mT8_P12ihipStream_tbDpT10_ENKUlT_T0_E_clISt17integral_constantIbLb1EES19_EEDaS14_S15_EUlS14_E_NS1_11comp_targetILNS1_3genE3ELNS1_11target_archE908ELNS1_3gpuE7ELNS1_3repE0EEENS1_30default_config_static_selectorELNS0_4arch9wavefront6targetE1EEEvT1_,"axG",@progbits,_ZN7rocprim17ROCPRIM_400000_NS6detail17trampoline_kernelINS0_14default_configENS1_25partition_config_selectorILNS1_17partition_subalgoE1ExNS0_10empty_typeEbEEZZNS1_14partition_implILS5_1ELb0ES3_jN6thrust23THRUST_200600_302600_NS6detail15normal_iteratorINSA_10device_ptrIxEEEEPS6_NSA_18transform_iteratorI7is_evenIxESF_NSA_11use_defaultESK_EENS0_5tupleIJSF_SF_EEENSM_IJSG_SG_EEES6_PlJS6_EEE10hipError_tPvRmT3_T4_T5_T6_T7_T9_mT8_P12ihipStream_tbDpT10_ENKUlT_T0_E_clISt17integral_constantIbLb1EES19_EEDaS14_S15_EUlS14_E_NS1_11comp_targetILNS1_3genE3ELNS1_11target_archE908ELNS1_3gpuE7ELNS1_3repE0EEENS1_30default_config_static_selectorELNS0_4arch9wavefront6targetE1EEEvT1_,comdat
.Lfunc_end396:
	.size	_ZN7rocprim17ROCPRIM_400000_NS6detail17trampoline_kernelINS0_14default_configENS1_25partition_config_selectorILNS1_17partition_subalgoE1ExNS0_10empty_typeEbEEZZNS1_14partition_implILS5_1ELb0ES3_jN6thrust23THRUST_200600_302600_NS6detail15normal_iteratorINSA_10device_ptrIxEEEEPS6_NSA_18transform_iteratorI7is_evenIxESF_NSA_11use_defaultESK_EENS0_5tupleIJSF_SF_EEENSM_IJSG_SG_EEES6_PlJS6_EEE10hipError_tPvRmT3_T4_T5_T6_T7_T9_mT8_P12ihipStream_tbDpT10_ENKUlT_T0_E_clISt17integral_constantIbLb1EES19_EEDaS14_S15_EUlS14_E_NS1_11comp_targetILNS1_3genE3ELNS1_11target_archE908ELNS1_3gpuE7ELNS1_3repE0EEENS1_30default_config_static_selectorELNS0_4arch9wavefront6targetE1EEEvT1_, .Lfunc_end396-_ZN7rocprim17ROCPRIM_400000_NS6detail17trampoline_kernelINS0_14default_configENS1_25partition_config_selectorILNS1_17partition_subalgoE1ExNS0_10empty_typeEbEEZZNS1_14partition_implILS5_1ELb0ES3_jN6thrust23THRUST_200600_302600_NS6detail15normal_iteratorINSA_10device_ptrIxEEEEPS6_NSA_18transform_iteratorI7is_evenIxESF_NSA_11use_defaultESK_EENS0_5tupleIJSF_SF_EEENSM_IJSG_SG_EEES6_PlJS6_EEE10hipError_tPvRmT3_T4_T5_T6_T7_T9_mT8_P12ihipStream_tbDpT10_ENKUlT_T0_E_clISt17integral_constantIbLb1EES19_EEDaS14_S15_EUlS14_E_NS1_11comp_targetILNS1_3genE3ELNS1_11target_archE908ELNS1_3gpuE7ELNS1_3repE0EEENS1_30default_config_static_selectorELNS0_4arch9wavefront6targetE1EEEvT1_
                                        ; -- End function
	.section	.AMDGPU.csdata,"",@progbits
; Kernel info:
; codeLenInByte = 0
; NumSgprs: 4
; NumVgprs: 0
; NumAgprs: 0
; TotalNumVgprs: 0
; ScratchSize: 0
; MemoryBound: 0
; FloatMode: 240
; IeeeMode: 1
; LDSByteSize: 0 bytes/workgroup (compile time only)
; SGPRBlocks: 0
; VGPRBlocks: 0
; NumSGPRsForWavesPerEU: 4
; NumVGPRsForWavesPerEU: 1
; AccumOffset: 4
; Occupancy: 8
; WaveLimiterHint : 0
; COMPUTE_PGM_RSRC2:SCRATCH_EN: 0
; COMPUTE_PGM_RSRC2:USER_SGPR: 6
; COMPUTE_PGM_RSRC2:TRAP_HANDLER: 0
; COMPUTE_PGM_RSRC2:TGID_X_EN: 1
; COMPUTE_PGM_RSRC2:TGID_Y_EN: 0
; COMPUTE_PGM_RSRC2:TGID_Z_EN: 0
; COMPUTE_PGM_RSRC2:TIDIG_COMP_CNT: 0
; COMPUTE_PGM_RSRC3_GFX90A:ACCUM_OFFSET: 0
; COMPUTE_PGM_RSRC3_GFX90A:TG_SPLIT: 0
	.section	.text._ZN7rocprim17ROCPRIM_400000_NS6detail17trampoline_kernelINS0_14default_configENS1_25partition_config_selectorILNS1_17partition_subalgoE1ExNS0_10empty_typeEbEEZZNS1_14partition_implILS5_1ELb0ES3_jN6thrust23THRUST_200600_302600_NS6detail15normal_iteratorINSA_10device_ptrIxEEEEPS6_NSA_18transform_iteratorI7is_evenIxESF_NSA_11use_defaultESK_EENS0_5tupleIJSF_SF_EEENSM_IJSG_SG_EEES6_PlJS6_EEE10hipError_tPvRmT3_T4_T5_T6_T7_T9_mT8_P12ihipStream_tbDpT10_ENKUlT_T0_E_clISt17integral_constantIbLb1EES19_EEDaS14_S15_EUlS14_E_NS1_11comp_targetILNS1_3genE2ELNS1_11target_archE906ELNS1_3gpuE6ELNS1_3repE0EEENS1_30default_config_static_selectorELNS0_4arch9wavefront6targetE1EEEvT1_,"axG",@progbits,_ZN7rocprim17ROCPRIM_400000_NS6detail17trampoline_kernelINS0_14default_configENS1_25partition_config_selectorILNS1_17partition_subalgoE1ExNS0_10empty_typeEbEEZZNS1_14partition_implILS5_1ELb0ES3_jN6thrust23THRUST_200600_302600_NS6detail15normal_iteratorINSA_10device_ptrIxEEEEPS6_NSA_18transform_iteratorI7is_evenIxESF_NSA_11use_defaultESK_EENS0_5tupleIJSF_SF_EEENSM_IJSG_SG_EEES6_PlJS6_EEE10hipError_tPvRmT3_T4_T5_T6_T7_T9_mT8_P12ihipStream_tbDpT10_ENKUlT_T0_E_clISt17integral_constantIbLb1EES19_EEDaS14_S15_EUlS14_E_NS1_11comp_targetILNS1_3genE2ELNS1_11target_archE906ELNS1_3gpuE6ELNS1_3repE0EEENS1_30default_config_static_selectorELNS0_4arch9wavefront6targetE1EEEvT1_,comdat
	.protected	_ZN7rocprim17ROCPRIM_400000_NS6detail17trampoline_kernelINS0_14default_configENS1_25partition_config_selectorILNS1_17partition_subalgoE1ExNS0_10empty_typeEbEEZZNS1_14partition_implILS5_1ELb0ES3_jN6thrust23THRUST_200600_302600_NS6detail15normal_iteratorINSA_10device_ptrIxEEEEPS6_NSA_18transform_iteratorI7is_evenIxESF_NSA_11use_defaultESK_EENS0_5tupleIJSF_SF_EEENSM_IJSG_SG_EEES6_PlJS6_EEE10hipError_tPvRmT3_T4_T5_T6_T7_T9_mT8_P12ihipStream_tbDpT10_ENKUlT_T0_E_clISt17integral_constantIbLb1EES19_EEDaS14_S15_EUlS14_E_NS1_11comp_targetILNS1_3genE2ELNS1_11target_archE906ELNS1_3gpuE6ELNS1_3repE0EEENS1_30default_config_static_selectorELNS0_4arch9wavefront6targetE1EEEvT1_ ; -- Begin function _ZN7rocprim17ROCPRIM_400000_NS6detail17trampoline_kernelINS0_14default_configENS1_25partition_config_selectorILNS1_17partition_subalgoE1ExNS0_10empty_typeEbEEZZNS1_14partition_implILS5_1ELb0ES3_jN6thrust23THRUST_200600_302600_NS6detail15normal_iteratorINSA_10device_ptrIxEEEEPS6_NSA_18transform_iteratorI7is_evenIxESF_NSA_11use_defaultESK_EENS0_5tupleIJSF_SF_EEENSM_IJSG_SG_EEES6_PlJS6_EEE10hipError_tPvRmT3_T4_T5_T6_T7_T9_mT8_P12ihipStream_tbDpT10_ENKUlT_T0_E_clISt17integral_constantIbLb1EES19_EEDaS14_S15_EUlS14_E_NS1_11comp_targetILNS1_3genE2ELNS1_11target_archE906ELNS1_3gpuE6ELNS1_3repE0EEENS1_30default_config_static_selectorELNS0_4arch9wavefront6targetE1EEEvT1_
	.globl	_ZN7rocprim17ROCPRIM_400000_NS6detail17trampoline_kernelINS0_14default_configENS1_25partition_config_selectorILNS1_17partition_subalgoE1ExNS0_10empty_typeEbEEZZNS1_14partition_implILS5_1ELb0ES3_jN6thrust23THRUST_200600_302600_NS6detail15normal_iteratorINSA_10device_ptrIxEEEEPS6_NSA_18transform_iteratorI7is_evenIxESF_NSA_11use_defaultESK_EENS0_5tupleIJSF_SF_EEENSM_IJSG_SG_EEES6_PlJS6_EEE10hipError_tPvRmT3_T4_T5_T6_T7_T9_mT8_P12ihipStream_tbDpT10_ENKUlT_T0_E_clISt17integral_constantIbLb1EES19_EEDaS14_S15_EUlS14_E_NS1_11comp_targetILNS1_3genE2ELNS1_11target_archE906ELNS1_3gpuE6ELNS1_3repE0EEENS1_30default_config_static_selectorELNS0_4arch9wavefront6targetE1EEEvT1_
	.p2align	8
	.type	_ZN7rocprim17ROCPRIM_400000_NS6detail17trampoline_kernelINS0_14default_configENS1_25partition_config_selectorILNS1_17partition_subalgoE1ExNS0_10empty_typeEbEEZZNS1_14partition_implILS5_1ELb0ES3_jN6thrust23THRUST_200600_302600_NS6detail15normal_iteratorINSA_10device_ptrIxEEEEPS6_NSA_18transform_iteratorI7is_evenIxESF_NSA_11use_defaultESK_EENS0_5tupleIJSF_SF_EEENSM_IJSG_SG_EEES6_PlJS6_EEE10hipError_tPvRmT3_T4_T5_T6_T7_T9_mT8_P12ihipStream_tbDpT10_ENKUlT_T0_E_clISt17integral_constantIbLb1EES19_EEDaS14_S15_EUlS14_E_NS1_11comp_targetILNS1_3genE2ELNS1_11target_archE906ELNS1_3gpuE6ELNS1_3repE0EEENS1_30default_config_static_selectorELNS0_4arch9wavefront6targetE1EEEvT1_,@function
_ZN7rocprim17ROCPRIM_400000_NS6detail17trampoline_kernelINS0_14default_configENS1_25partition_config_selectorILNS1_17partition_subalgoE1ExNS0_10empty_typeEbEEZZNS1_14partition_implILS5_1ELb0ES3_jN6thrust23THRUST_200600_302600_NS6detail15normal_iteratorINSA_10device_ptrIxEEEEPS6_NSA_18transform_iteratorI7is_evenIxESF_NSA_11use_defaultESK_EENS0_5tupleIJSF_SF_EEENSM_IJSG_SG_EEES6_PlJS6_EEE10hipError_tPvRmT3_T4_T5_T6_T7_T9_mT8_P12ihipStream_tbDpT10_ENKUlT_T0_E_clISt17integral_constantIbLb1EES19_EEDaS14_S15_EUlS14_E_NS1_11comp_targetILNS1_3genE2ELNS1_11target_archE906ELNS1_3gpuE6ELNS1_3repE0EEENS1_30default_config_static_selectorELNS0_4arch9wavefront6targetE1EEEvT1_: ; @_ZN7rocprim17ROCPRIM_400000_NS6detail17trampoline_kernelINS0_14default_configENS1_25partition_config_selectorILNS1_17partition_subalgoE1ExNS0_10empty_typeEbEEZZNS1_14partition_implILS5_1ELb0ES3_jN6thrust23THRUST_200600_302600_NS6detail15normal_iteratorINSA_10device_ptrIxEEEEPS6_NSA_18transform_iteratorI7is_evenIxESF_NSA_11use_defaultESK_EENS0_5tupleIJSF_SF_EEENSM_IJSG_SG_EEES6_PlJS6_EEE10hipError_tPvRmT3_T4_T5_T6_T7_T9_mT8_P12ihipStream_tbDpT10_ENKUlT_T0_E_clISt17integral_constantIbLb1EES19_EEDaS14_S15_EUlS14_E_NS1_11comp_targetILNS1_3genE2ELNS1_11target_archE906ELNS1_3gpuE6ELNS1_3repE0EEENS1_30default_config_static_selectorELNS0_4arch9wavefront6targetE1EEEvT1_
; %bb.0:
	.section	.rodata,"a",@progbits
	.p2align	6, 0x0
	.amdhsa_kernel _ZN7rocprim17ROCPRIM_400000_NS6detail17trampoline_kernelINS0_14default_configENS1_25partition_config_selectorILNS1_17partition_subalgoE1ExNS0_10empty_typeEbEEZZNS1_14partition_implILS5_1ELb0ES3_jN6thrust23THRUST_200600_302600_NS6detail15normal_iteratorINSA_10device_ptrIxEEEEPS6_NSA_18transform_iteratorI7is_evenIxESF_NSA_11use_defaultESK_EENS0_5tupleIJSF_SF_EEENSM_IJSG_SG_EEES6_PlJS6_EEE10hipError_tPvRmT3_T4_T5_T6_T7_T9_mT8_P12ihipStream_tbDpT10_ENKUlT_T0_E_clISt17integral_constantIbLb1EES19_EEDaS14_S15_EUlS14_E_NS1_11comp_targetILNS1_3genE2ELNS1_11target_archE906ELNS1_3gpuE6ELNS1_3repE0EEENS1_30default_config_static_selectorELNS0_4arch9wavefront6targetE1EEEvT1_
		.amdhsa_group_segment_fixed_size 0
		.amdhsa_private_segment_fixed_size 0
		.amdhsa_kernarg_size 144
		.amdhsa_user_sgpr_count 6
		.amdhsa_user_sgpr_private_segment_buffer 1
		.amdhsa_user_sgpr_dispatch_ptr 0
		.amdhsa_user_sgpr_queue_ptr 0
		.amdhsa_user_sgpr_kernarg_segment_ptr 1
		.amdhsa_user_sgpr_dispatch_id 0
		.amdhsa_user_sgpr_flat_scratch_init 0
		.amdhsa_user_sgpr_kernarg_preload_length 0
		.amdhsa_user_sgpr_kernarg_preload_offset 0
		.amdhsa_user_sgpr_private_segment_size 0
		.amdhsa_uses_dynamic_stack 0
		.amdhsa_system_sgpr_private_segment_wavefront_offset 0
		.amdhsa_system_sgpr_workgroup_id_x 1
		.amdhsa_system_sgpr_workgroup_id_y 0
		.amdhsa_system_sgpr_workgroup_id_z 0
		.amdhsa_system_sgpr_workgroup_info 0
		.amdhsa_system_vgpr_workitem_id 0
		.amdhsa_next_free_vgpr 1
		.amdhsa_next_free_sgpr 0
		.amdhsa_accum_offset 4
		.amdhsa_reserve_vcc 0
		.amdhsa_reserve_flat_scratch 0
		.amdhsa_float_round_mode_32 0
		.amdhsa_float_round_mode_16_64 0
		.amdhsa_float_denorm_mode_32 3
		.amdhsa_float_denorm_mode_16_64 3
		.amdhsa_dx10_clamp 1
		.amdhsa_ieee_mode 1
		.amdhsa_fp16_overflow 0
		.amdhsa_tg_split 0
		.amdhsa_exception_fp_ieee_invalid_op 0
		.amdhsa_exception_fp_denorm_src 0
		.amdhsa_exception_fp_ieee_div_zero 0
		.amdhsa_exception_fp_ieee_overflow 0
		.amdhsa_exception_fp_ieee_underflow 0
		.amdhsa_exception_fp_ieee_inexact 0
		.amdhsa_exception_int_div_zero 0
	.end_amdhsa_kernel
	.section	.text._ZN7rocprim17ROCPRIM_400000_NS6detail17trampoline_kernelINS0_14default_configENS1_25partition_config_selectorILNS1_17partition_subalgoE1ExNS0_10empty_typeEbEEZZNS1_14partition_implILS5_1ELb0ES3_jN6thrust23THRUST_200600_302600_NS6detail15normal_iteratorINSA_10device_ptrIxEEEEPS6_NSA_18transform_iteratorI7is_evenIxESF_NSA_11use_defaultESK_EENS0_5tupleIJSF_SF_EEENSM_IJSG_SG_EEES6_PlJS6_EEE10hipError_tPvRmT3_T4_T5_T6_T7_T9_mT8_P12ihipStream_tbDpT10_ENKUlT_T0_E_clISt17integral_constantIbLb1EES19_EEDaS14_S15_EUlS14_E_NS1_11comp_targetILNS1_3genE2ELNS1_11target_archE906ELNS1_3gpuE6ELNS1_3repE0EEENS1_30default_config_static_selectorELNS0_4arch9wavefront6targetE1EEEvT1_,"axG",@progbits,_ZN7rocprim17ROCPRIM_400000_NS6detail17trampoline_kernelINS0_14default_configENS1_25partition_config_selectorILNS1_17partition_subalgoE1ExNS0_10empty_typeEbEEZZNS1_14partition_implILS5_1ELb0ES3_jN6thrust23THRUST_200600_302600_NS6detail15normal_iteratorINSA_10device_ptrIxEEEEPS6_NSA_18transform_iteratorI7is_evenIxESF_NSA_11use_defaultESK_EENS0_5tupleIJSF_SF_EEENSM_IJSG_SG_EEES6_PlJS6_EEE10hipError_tPvRmT3_T4_T5_T6_T7_T9_mT8_P12ihipStream_tbDpT10_ENKUlT_T0_E_clISt17integral_constantIbLb1EES19_EEDaS14_S15_EUlS14_E_NS1_11comp_targetILNS1_3genE2ELNS1_11target_archE906ELNS1_3gpuE6ELNS1_3repE0EEENS1_30default_config_static_selectorELNS0_4arch9wavefront6targetE1EEEvT1_,comdat
.Lfunc_end397:
	.size	_ZN7rocprim17ROCPRIM_400000_NS6detail17trampoline_kernelINS0_14default_configENS1_25partition_config_selectorILNS1_17partition_subalgoE1ExNS0_10empty_typeEbEEZZNS1_14partition_implILS5_1ELb0ES3_jN6thrust23THRUST_200600_302600_NS6detail15normal_iteratorINSA_10device_ptrIxEEEEPS6_NSA_18transform_iteratorI7is_evenIxESF_NSA_11use_defaultESK_EENS0_5tupleIJSF_SF_EEENSM_IJSG_SG_EEES6_PlJS6_EEE10hipError_tPvRmT3_T4_T5_T6_T7_T9_mT8_P12ihipStream_tbDpT10_ENKUlT_T0_E_clISt17integral_constantIbLb1EES19_EEDaS14_S15_EUlS14_E_NS1_11comp_targetILNS1_3genE2ELNS1_11target_archE906ELNS1_3gpuE6ELNS1_3repE0EEENS1_30default_config_static_selectorELNS0_4arch9wavefront6targetE1EEEvT1_, .Lfunc_end397-_ZN7rocprim17ROCPRIM_400000_NS6detail17trampoline_kernelINS0_14default_configENS1_25partition_config_selectorILNS1_17partition_subalgoE1ExNS0_10empty_typeEbEEZZNS1_14partition_implILS5_1ELb0ES3_jN6thrust23THRUST_200600_302600_NS6detail15normal_iteratorINSA_10device_ptrIxEEEEPS6_NSA_18transform_iteratorI7is_evenIxESF_NSA_11use_defaultESK_EENS0_5tupleIJSF_SF_EEENSM_IJSG_SG_EEES6_PlJS6_EEE10hipError_tPvRmT3_T4_T5_T6_T7_T9_mT8_P12ihipStream_tbDpT10_ENKUlT_T0_E_clISt17integral_constantIbLb1EES19_EEDaS14_S15_EUlS14_E_NS1_11comp_targetILNS1_3genE2ELNS1_11target_archE906ELNS1_3gpuE6ELNS1_3repE0EEENS1_30default_config_static_selectorELNS0_4arch9wavefront6targetE1EEEvT1_
                                        ; -- End function
	.section	.AMDGPU.csdata,"",@progbits
; Kernel info:
; codeLenInByte = 0
; NumSgprs: 4
; NumVgprs: 0
; NumAgprs: 0
; TotalNumVgprs: 0
; ScratchSize: 0
; MemoryBound: 0
; FloatMode: 240
; IeeeMode: 1
; LDSByteSize: 0 bytes/workgroup (compile time only)
; SGPRBlocks: 0
; VGPRBlocks: 0
; NumSGPRsForWavesPerEU: 4
; NumVGPRsForWavesPerEU: 1
; AccumOffset: 4
; Occupancy: 8
; WaveLimiterHint : 0
; COMPUTE_PGM_RSRC2:SCRATCH_EN: 0
; COMPUTE_PGM_RSRC2:USER_SGPR: 6
; COMPUTE_PGM_RSRC2:TRAP_HANDLER: 0
; COMPUTE_PGM_RSRC2:TGID_X_EN: 1
; COMPUTE_PGM_RSRC2:TGID_Y_EN: 0
; COMPUTE_PGM_RSRC2:TGID_Z_EN: 0
; COMPUTE_PGM_RSRC2:TIDIG_COMP_CNT: 0
; COMPUTE_PGM_RSRC3_GFX90A:ACCUM_OFFSET: 0
; COMPUTE_PGM_RSRC3_GFX90A:TG_SPLIT: 0
	.section	.text._ZN7rocprim17ROCPRIM_400000_NS6detail17trampoline_kernelINS0_14default_configENS1_25partition_config_selectorILNS1_17partition_subalgoE1ExNS0_10empty_typeEbEEZZNS1_14partition_implILS5_1ELb0ES3_jN6thrust23THRUST_200600_302600_NS6detail15normal_iteratorINSA_10device_ptrIxEEEEPS6_NSA_18transform_iteratorI7is_evenIxESF_NSA_11use_defaultESK_EENS0_5tupleIJSF_SF_EEENSM_IJSG_SG_EEES6_PlJS6_EEE10hipError_tPvRmT3_T4_T5_T6_T7_T9_mT8_P12ihipStream_tbDpT10_ENKUlT_T0_E_clISt17integral_constantIbLb1EES19_EEDaS14_S15_EUlS14_E_NS1_11comp_targetILNS1_3genE10ELNS1_11target_archE1200ELNS1_3gpuE4ELNS1_3repE0EEENS1_30default_config_static_selectorELNS0_4arch9wavefront6targetE1EEEvT1_,"axG",@progbits,_ZN7rocprim17ROCPRIM_400000_NS6detail17trampoline_kernelINS0_14default_configENS1_25partition_config_selectorILNS1_17partition_subalgoE1ExNS0_10empty_typeEbEEZZNS1_14partition_implILS5_1ELb0ES3_jN6thrust23THRUST_200600_302600_NS6detail15normal_iteratorINSA_10device_ptrIxEEEEPS6_NSA_18transform_iteratorI7is_evenIxESF_NSA_11use_defaultESK_EENS0_5tupleIJSF_SF_EEENSM_IJSG_SG_EEES6_PlJS6_EEE10hipError_tPvRmT3_T4_T5_T6_T7_T9_mT8_P12ihipStream_tbDpT10_ENKUlT_T0_E_clISt17integral_constantIbLb1EES19_EEDaS14_S15_EUlS14_E_NS1_11comp_targetILNS1_3genE10ELNS1_11target_archE1200ELNS1_3gpuE4ELNS1_3repE0EEENS1_30default_config_static_selectorELNS0_4arch9wavefront6targetE1EEEvT1_,comdat
	.protected	_ZN7rocprim17ROCPRIM_400000_NS6detail17trampoline_kernelINS0_14default_configENS1_25partition_config_selectorILNS1_17partition_subalgoE1ExNS0_10empty_typeEbEEZZNS1_14partition_implILS5_1ELb0ES3_jN6thrust23THRUST_200600_302600_NS6detail15normal_iteratorINSA_10device_ptrIxEEEEPS6_NSA_18transform_iteratorI7is_evenIxESF_NSA_11use_defaultESK_EENS0_5tupleIJSF_SF_EEENSM_IJSG_SG_EEES6_PlJS6_EEE10hipError_tPvRmT3_T4_T5_T6_T7_T9_mT8_P12ihipStream_tbDpT10_ENKUlT_T0_E_clISt17integral_constantIbLb1EES19_EEDaS14_S15_EUlS14_E_NS1_11comp_targetILNS1_3genE10ELNS1_11target_archE1200ELNS1_3gpuE4ELNS1_3repE0EEENS1_30default_config_static_selectorELNS0_4arch9wavefront6targetE1EEEvT1_ ; -- Begin function _ZN7rocprim17ROCPRIM_400000_NS6detail17trampoline_kernelINS0_14default_configENS1_25partition_config_selectorILNS1_17partition_subalgoE1ExNS0_10empty_typeEbEEZZNS1_14partition_implILS5_1ELb0ES3_jN6thrust23THRUST_200600_302600_NS6detail15normal_iteratorINSA_10device_ptrIxEEEEPS6_NSA_18transform_iteratorI7is_evenIxESF_NSA_11use_defaultESK_EENS0_5tupleIJSF_SF_EEENSM_IJSG_SG_EEES6_PlJS6_EEE10hipError_tPvRmT3_T4_T5_T6_T7_T9_mT8_P12ihipStream_tbDpT10_ENKUlT_T0_E_clISt17integral_constantIbLb1EES19_EEDaS14_S15_EUlS14_E_NS1_11comp_targetILNS1_3genE10ELNS1_11target_archE1200ELNS1_3gpuE4ELNS1_3repE0EEENS1_30default_config_static_selectorELNS0_4arch9wavefront6targetE1EEEvT1_
	.globl	_ZN7rocprim17ROCPRIM_400000_NS6detail17trampoline_kernelINS0_14default_configENS1_25partition_config_selectorILNS1_17partition_subalgoE1ExNS0_10empty_typeEbEEZZNS1_14partition_implILS5_1ELb0ES3_jN6thrust23THRUST_200600_302600_NS6detail15normal_iteratorINSA_10device_ptrIxEEEEPS6_NSA_18transform_iteratorI7is_evenIxESF_NSA_11use_defaultESK_EENS0_5tupleIJSF_SF_EEENSM_IJSG_SG_EEES6_PlJS6_EEE10hipError_tPvRmT3_T4_T5_T6_T7_T9_mT8_P12ihipStream_tbDpT10_ENKUlT_T0_E_clISt17integral_constantIbLb1EES19_EEDaS14_S15_EUlS14_E_NS1_11comp_targetILNS1_3genE10ELNS1_11target_archE1200ELNS1_3gpuE4ELNS1_3repE0EEENS1_30default_config_static_selectorELNS0_4arch9wavefront6targetE1EEEvT1_
	.p2align	8
	.type	_ZN7rocprim17ROCPRIM_400000_NS6detail17trampoline_kernelINS0_14default_configENS1_25partition_config_selectorILNS1_17partition_subalgoE1ExNS0_10empty_typeEbEEZZNS1_14partition_implILS5_1ELb0ES3_jN6thrust23THRUST_200600_302600_NS6detail15normal_iteratorINSA_10device_ptrIxEEEEPS6_NSA_18transform_iteratorI7is_evenIxESF_NSA_11use_defaultESK_EENS0_5tupleIJSF_SF_EEENSM_IJSG_SG_EEES6_PlJS6_EEE10hipError_tPvRmT3_T4_T5_T6_T7_T9_mT8_P12ihipStream_tbDpT10_ENKUlT_T0_E_clISt17integral_constantIbLb1EES19_EEDaS14_S15_EUlS14_E_NS1_11comp_targetILNS1_3genE10ELNS1_11target_archE1200ELNS1_3gpuE4ELNS1_3repE0EEENS1_30default_config_static_selectorELNS0_4arch9wavefront6targetE1EEEvT1_,@function
_ZN7rocprim17ROCPRIM_400000_NS6detail17trampoline_kernelINS0_14default_configENS1_25partition_config_selectorILNS1_17partition_subalgoE1ExNS0_10empty_typeEbEEZZNS1_14partition_implILS5_1ELb0ES3_jN6thrust23THRUST_200600_302600_NS6detail15normal_iteratorINSA_10device_ptrIxEEEEPS6_NSA_18transform_iteratorI7is_evenIxESF_NSA_11use_defaultESK_EENS0_5tupleIJSF_SF_EEENSM_IJSG_SG_EEES6_PlJS6_EEE10hipError_tPvRmT3_T4_T5_T6_T7_T9_mT8_P12ihipStream_tbDpT10_ENKUlT_T0_E_clISt17integral_constantIbLb1EES19_EEDaS14_S15_EUlS14_E_NS1_11comp_targetILNS1_3genE10ELNS1_11target_archE1200ELNS1_3gpuE4ELNS1_3repE0EEENS1_30default_config_static_selectorELNS0_4arch9wavefront6targetE1EEEvT1_: ; @_ZN7rocprim17ROCPRIM_400000_NS6detail17trampoline_kernelINS0_14default_configENS1_25partition_config_selectorILNS1_17partition_subalgoE1ExNS0_10empty_typeEbEEZZNS1_14partition_implILS5_1ELb0ES3_jN6thrust23THRUST_200600_302600_NS6detail15normal_iteratorINSA_10device_ptrIxEEEEPS6_NSA_18transform_iteratorI7is_evenIxESF_NSA_11use_defaultESK_EENS0_5tupleIJSF_SF_EEENSM_IJSG_SG_EEES6_PlJS6_EEE10hipError_tPvRmT3_T4_T5_T6_T7_T9_mT8_P12ihipStream_tbDpT10_ENKUlT_T0_E_clISt17integral_constantIbLb1EES19_EEDaS14_S15_EUlS14_E_NS1_11comp_targetILNS1_3genE10ELNS1_11target_archE1200ELNS1_3gpuE4ELNS1_3repE0EEENS1_30default_config_static_selectorELNS0_4arch9wavefront6targetE1EEEvT1_
; %bb.0:
	.section	.rodata,"a",@progbits
	.p2align	6, 0x0
	.amdhsa_kernel _ZN7rocprim17ROCPRIM_400000_NS6detail17trampoline_kernelINS0_14default_configENS1_25partition_config_selectorILNS1_17partition_subalgoE1ExNS0_10empty_typeEbEEZZNS1_14partition_implILS5_1ELb0ES3_jN6thrust23THRUST_200600_302600_NS6detail15normal_iteratorINSA_10device_ptrIxEEEEPS6_NSA_18transform_iteratorI7is_evenIxESF_NSA_11use_defaultESK_EENS0_5tupleIJSF_SF_EEENSM_IJSG_SG_EEES6_PlJS6_EEE10hipError_tPvRmT3_T4_T5_T6_T7_T9_mT8_P12ihipStream_tbDpT10_ENKUlT_T0_E_clISt17integral_constantIbLb1EES19_EEDaS14_S15_EUlS14_E_NS1_11comp_targetILNS1_3genE10ELNS1_11target_archE1200ELNS1_3gpuE4ELNS1_3repE0EEENS1_30default_config_static_selectorELNS0_4arch9wavefront6targetE1EEEvT1_
		.amdhsa_group_segment_fixed_size 0
		.amdhsa_private_segment_fixed_size 0
		.amdhsa_kernarg_size 144
		.amdhsa_user_sgpr_count 6
		.amdhsa_user_sgpr_private_segment_buffer 1
		.amdhsa_user_sgpr_dispatch_ptr 0
		.amdhsa_user_sgpr_queue_ptr 0
		.amdhsa_user_sgpr_kernarg_segment_ptr 1
		.amdhsa_user_sgpr_dispatch_id 0
		.amdhsa_user_sgpr_flat_scratch_init 0
		.amdhsa_user_sgpr_kernarg_preload_length 0
		.amdhsa_user_sgpr_kernarg_preload_offset 0
		.amdhsa_user_sgpr_private_segment_size 0
		.amdhsa_uses_dynamic_stack 0
		.amdhsa_system_sgpr_private_segment_wavefront_offset 0
		.amdhsa_system_sgpr_workgroup_id_x 1
		.amdhsa_system_sgpr_workgroup_id_y 0
		.amdhsa_system_sgpr_workgroup_id_z 0
		.amdhsa_system_sgpr_workgroup_info 0
		.amdhsa_system_vgpr_workitem_id 0
		.amdhsa_next_free_vgpr 1
		.amdhsa_next_free_sgpr 0
		.amdhsa_accum_offset 4
		.amdhsa_reserve_vcc 0
		.amdhsa_reserve_flat_scratch 0
		.amdhsa_float_round_mode_32 0
		.amdhsa_float_round_mode_16_64 0
		.amdhsa_float_denorm_mode_32 3
		.amdhsa_float_denorm_mode_16_64 3
		.amdhsa_dx10_clamp 1
		.amdhsa_ieee_mode 1
		.amdhsa_fp16_overflow 0
		.amdhsa_tg_split 0
		.amdhsa_exception_fp_ieee_invalid_op 0
		.amdhsa_exception_fp_denorm_src 0
		.amdhsa_exception_fp_ieee_div_zero 0
		.amdhsa_exception_fp_ieee_overflow 0
		.amdhsa_exception_fp_ieee_underflow 0
		.amdhsa_exception_fp_ieee_inexact 0
		.amdhsa_exception_int_div_zero 0
	.end_amdhsa_kernel
	.section	.text._ZN7rocprim17ROCPRIM_400000_NS6detail17trampoline_kernelINS0_14default_configENS1_25partition_config_selectorILNS1_17partition_subalgoE1ExNS0_10empty_typeEbEEZZNS1_14partition_implILS5_1ELb0ES3_jN6thrust23THRUST_200600_302600_NS6detail15normal_iteratorINSA_10device_ptrIxEEEEPS6_NSA_18transform_iteratorI7is_evenIxESF_NSA_11use_defaultESK_EENS0_5tupleIJSF_SF_EEENSM_IJSG_SG_EEES6_PlJS6_EEE10hipError_tPvRmT3_T4_T5_T6_T7_T9_mT8_P12ihipStream_tbDpT10_ENKUlT_T0_E_clISt17integral_constantIbLb1EES19_EEDaS14_S15_EUlS14_E_NS1_11comp_targetILNS1_3genE10ELNS1_11target_archE1200ELNS1_3gpuE4ELNS1_3repE0EEENS1_30default_config_static_selectorELNS0_4arch9wavefront6targetE1EEEvT1_,"axG",@progbits,_ZN7rocprim17ROCPRIM_400000_NS6detail17trampoline_kernelINS0_14default_configENS1_25partition_config_selectorILNS1_17partition_subalgoE1ExNS0_10empty_typeEbEEZZNS1_14partition_implILS5_1ELb0ES3_jN6thrust23THRUST_200600_302600_NS6detail15normal_iteratorINSA_10device_ptrIxEEEEPS6_NSA_18transform_iteratorI7is_evenIxESF_NSA_11use_defaultESK_EENS0_5tupleIJSF_SF_EEENSM_IJSG_SG_EEES6_PlJS6_EEE10hipError_tPvRmT3_T4_T5_T6_T7_T9_mT8_P12ihipStream_tbDpT10_ENKUlT_T0_E_clISt17integral_constantIbLb1EES19_EEDaS14_S15_EUlS14_E_NS1_11comp_targetILNS1_3genE10ELNS1_11target_archE1200ELNS1_3gpuE4ELNS1_3repE0EEENS1_30default_config_static_selectorELNS0_4arch9wavefront6targetE1EEEvT1_,comdat
.Lfunc_end398:
	.size	_ZN7rocprim17ROCPRIM_400000_NS6detail17trampoline_kernelINS0_14default_configENS1_25partition_config_selectorILNS1_17partition_subalgoE1ExNS0_10empty_typeEbEEZZNS1_14partition_implILS5_1ELb0ES3_jN6thrust23THRUST_200600_302600_NS6detail15normal_iteratorINSA_10device_ptrIxEEEEPS6_NSA_18transform_iteratorI7is_evenIxESF_NSA_11use_defaultESK_EENS0_5tupleIJSF_SF_EEENSM_IJSG_SG_EEES6_PlJS6_EEE10hipError_tPvRmT3_T4_T5_T6_T7_T9_mT8_P12ihipStream_tbDpT10_ENKUlT_T0_E_clISt17integral_constantIbLb1EES19_EEDaS14_S15_EUlS14_E_NS1_11comp_targetILNS1_3genE10ELNS1_11target_archE1200ELNS1_3gpuE4ELNS1_3repE0EEENS1_30default_config_static_selectorELNS0_4arch9wavefront6targetE1EEEvT1_, .Lfunc_end398-_ZN7rocprim17ROCPRIM_400000_NS6detail17trampoline_kernelINS0_14default_configENS1_25partition_config_selectorILNS1_17partition_subalgoE1ExNS0_10empty_typeEbEEZZNS1_14partition_implILS5_1ELb0ES3_jN6thrust23THRUST_200600_302600_NS6detail15normal_iteratorINSA_10device_ptrIxEEEEPS6_NSA_18transform_iteratorI7is_evenIxESF_NSA_11use_defaultESK_EENS0_5tupleIJSF_SF_EEENSM_IJSG_SG_EEES6_PlJS6_EEE10hipError_tPvRmT3_T4_T5_T6_T7_T9_mT8_P12ihipStream_tbDpT10_ENKUlT_T0_E_clISt17integral_constantIbLb1EES19_EEDaS14_S15_EUlS14_E_NS1_11comp_targetILNS1_3genE10ELNS1_11target_archE1200ELNS1_3gpuE4ELNS1_3repE0EEENS1_30default_config_static_selectorELNS0_4arch9wavefront6targetE1EEEvT1_
                                        ; -- End function
	.section	.AMDGPU.csdata,"",@progbits
; Kernel info:
; codeLenInByte = 0
; NumSgprs: 4
; NumVgprs: 0
; NumAgprs: 0
; TotalNumVgprs: 0
; ScratchSize: 0
; MemoryBound: 0
; FloatMode: 240
; IeeeMode: 1
; LDSByteSize: 0 bytes/workgroup (compile time only)
; SGPRBlocks: 0
; VGPRBlocks: 0
; NumSGPRsForWavesPerEU: 4
; NumVGPRsForWavesPerEU: 1
; AccumOffset: 4
; Occupancy: 8
; WaveLimiterHint : 0
; COMPUTE_PGM_RSRC2:SCRATCH_EN: 0
; COMPUTE_PGM_RSRC2:USER_SGPR: 6
; COMPUTE_PGM_RSRC2:TRAP_HANDLER: 0
; COMPUTE_PGM_RSRC2:TGID_X_EN: 1
; COMPUTE_PGM_RSRC2:TGID_Y_EN: 0
; COMPUTE_PGM_RSRC2:TGID_Z_EN: 0
; COMPUTE_PGM_RSRC2:TIDIG_COMP_CNT: 0
; COMPUTE_PGM_RSRC3_GFX90A:ACCUM_OFFSET: 0
; COMPUTE_PGM_RSRC3_GFX90A:TG_SPLIT: 0
	.section	.text._ZN7rocprim17ROCPRIM_400000_NS6detail17trampoline_kernelINS0_14default_configENS1_25partition_config_selectorILNS1_17partition_subalgoE1ExNS0_10empty_typeEbEEZZNS1_14partition_implILS5_1ELb0ES3_jN6thrust23THRUST_200600_302600_NS6detail15normal_iteratorINSA_10device_ptrIxEEEEPS6_NSA_18transform_iteratorI7is_evenIxESF_NSA_11use_defaultESK_EENS0_5tupleIJSF_SF_EEENSM_IJSG_SG_EEES6_PlJS6_EEE10hipError_tPvRmT3_T4_T5_T6_T7_T9_mT8_P12ihipStream_tbDpT10_ENKUlT_T0_E_clISt17integral_constantIbLb1EES19_EEDaS14_S15_EUlS14_E_NS1_11comp_targetILNS1_3genE9ELNS1_11target_archE1100ELNS1_3gpuE3ELNS1_3repE0EEENS1_30default_config_static_selectorELNS0_4arch9wavefront6targetE1EEEvT1_,"axG",@progbits,_ZN7rocprim17ROCPRIM_400000_NS6detail17trampoline_kernelINS0_14default_configENS1_25partition_config_selectorILNS1_17partition_subalgoE1ExNS0_10empty_typeEbEEZZNS1_14partition_implILS5_1ELb0ES3_jN6thrust23THRUST_200600_302600_NS6detail15normal_iteratorINSA_10device_ptrIxEEEEPS6_NSA_18transform_iteratorI7is_evenIxESF_NSA_11use_defaultESK_EENS0_5tupleIJSF_SF_EEENSM_IJSG_SG_EEES6_PlJS6_EEE10hipError_tPvRmT3_T4_T5_T6_T7_T9_mT8_P12ihipStream_tbDpT10_ENKUlT_T0_E_clISt17integral_constantIbLb1EES19_EEDaS14_S15_EUlS14_E_NS1_11comp_targetILNS1_3genE9ELNS1_11target_archE1100ELNS1_3gpuE3ELNS1_3repE0EEENS1_30default_config_static_selectorELNS0_4arch9wavefront6targetE1EEEvT1_,comdat
	.protected	_ZN7rocprim17ROCPRIM_400000_NS6detail17trampoline_kernelINS0_14default_configENS1_25partition_config_selectorILNS1_17partition_subalgoE1ExNS0_10empty_typeEbEEZZNS1_14partition_implILS5_1ELb0ES3_jN6thrust23THRUST_200600_302600_NS6detail15normal_iteratorINSA_10device_ptrIxEEEEPS6_NSA_18transform_iteratorI7is_evenIxESF_NSA_11use_defaultESK_EENS0_5tupleIJSF_SF_EEENSM_IJSG_SG_EEES6_PlJS6_EEE10hipError_tPvRmT3_T4_T5_T6_T7_T9_mT8_P12ihipStream_tbDpT10_ENKUlT_T0_E_clISt17integral_constantIbLb1EES19_EEDaS14_S15_EUlS14_E_NS1_11comp_targetILNS1_3genE9ELNS1_11target_archE1100ELNS1_3gpuE3ELNS1_3repE0EEENS1_30default_config_static_selectorELNS0_4arch9wavefront6targetE1EEEvT1_ ; -- Begin function _ZN7rocprim17ROCPRIM_400000_NS6detail17trampoline_kernelINS0_14default_configENS1_25partition_config_selectorILNS1_17partition_subalgoE1ExNS0_10empty_typeEbEEZZNS1_14partition_implILS5_1ELb0ES3_jN6thrust23THRUST_200600_302600_NS6detail15normal_iteratorINSA_10device_ptrIxEEEEPS6_NSA_18transform_iteratorI7is_evenIxESF_NSA_11use_defaultESK_EENS0_5tupleIJSF_SF_EEENSM_IJSG_SG_EEES6_PlJS6_EEE10hipError_tPvRmT3_T4_T5_T6_T7_T9_mT8_P12ihipStream_tbDpT10_ENKUlT_T0_E_clISt17integral_constantIbLb1EES19_EEDaS14_S15_EUlS14_E_NS1_11comp_targetILNS1_3genE9ELNS1_11target_archE1100ELNS1_3gpuE3ELNS1_3repE0EEENS1_30default_config_static_selectorELNS0_4arch9wavefront6targetE1EEEvT1_
	.globl	_ZN7rocprim17ROCPRIM_400000_NS6detail17trampoline_kernelINS0_14default_configENS1_25partition_config_selectorILNS1_17partition_subalgoE1ExNS0_10empty_typeEbEEZZNS1_14partition_implILS5_1ELb0ES3_jN6thrust23THRUST_200600_302600_NS6detail15normal_iteratorINSA_10device_ptrIxEEEEPS6_NSA_18transform_iteratorI7is_evenIxESF_NSA_11use_defaultESK_EENS0_5tupleIJSF_SF_EEENSM_IJSG_SG_EEES6_PlJS6_EEE10hipError_tPvRmT3_T4_T5_T6_T7_T9_mT8_P12ihipStream_tbDpT10_ENKUlT_T0_E_clISt17integral_constantIbLb1EES19_EEDaS14_S15_EUlS14_E_NS1_11comp_targetILNS1_3genE9ELNS1_11target_archE1100ELNS1_3gpuE3ELNS1_3repE0EEENS1_30default_config_static_selectorELNS0_4arch9wavefront6targetE1EEEvT1_
	.p2align	8
	.type	_ZN7rocprim17ROCPRIM_400000_NS6detail17trampoline_kernelINS0_14default_configENS1_25partition_config_selectorILNS1_17partition_subalgoE1ExNS0_10empty_typeEbEEZZNS1_14partition_implILS5_1ELb0ES3_jN6thrust23THRUST_200600_302600_NS6detail15normal_iteratorINSA_10device_ptrIxEEEEPS6_NSA_18transform_iteratorI7is_evenIxESF_NSA_11use_defaultESK_EENS0_5tupleIJSF_SF_EEENSM_IJSG_SG_EEES6_PlJS6_EEE10hipError_tPvRmT3_T4_T5_T6_T7_T9_mT8_P12ihipStream_tbDpT10_ENKUlT_T0_E_clISt17integral_constantIbLb1EES19_EEDaS14_S15_EUlS14_E_NS1_11comp_targetILNS1_3genE9ELNS1_11target_archE1100ELNS1_3gpuE3ELNS1_3repE0EEENS1_30default_config_static_selectorELNS0_4arch9wavefront6targetE1EEEvT1_,@function
_ZN7rocprim17ROCPRIM_400000_NS6detail17trampoline_kernelINS0_14default_configENS1_25partition_config_selectorILNS1_17partition_subalgoE1ExNS0_10empty_typeEbEEZZNS1_14partition_implILS5_1ELb0ES3_jN6thrust23THRUST_200600_302600_NS6detail15normal_iteratorINSA_10device_ptrIxEEEEPS6_NSA_18transform_iteratorI7is_evenIxESF_NSA_11use_defaultESK_EENS0_5tupleIJSF_SF_EEENSM_IJSG_SG_EEES6_PlJS6_EEE10hipError_tPvRmT3_T4_T5_T6_T7_T9_mT8_P12ihipStream_tbDpT10_ENKUlT_T0_E_clISt17integral_constantIbLb1EES19_EEDaS14_S15_EUlS14_E_NS1_11comp_targetILNS1_3genE9ELNS1_11target_archE1100ELNS1_3gpuE3ELNS1_3repE0EEENS1_30default_config_static_selectorELNS0_4arch9wavefront6targetE1EEEvT1_: ; @_ZN7rocprim17ROCPRIM_400000_NS6detail17trampoline_kernelINS0_14default_configENS1_25partition_config_selectorILNS1_17partition_subalgoE1ExNS0_10empty_typeEbEEZZNS1_14partition_implILS5_1ELb0ES3_jN6thrust23THRUST_200600_302600_NS6detail15normal_iteratorINSA_10device_ptrIxEEEEPS6_NSA_18transform_iteratorI7is_evenIxESF_NSA_11use_defaultESK_EENS0_5tupleIJSF_SF_EEENSM_IJSG_SG_EEES6_PlJS6_EEE10hipError_tPvRmT3_T4_T5_T6_T7_T9_mT8_P12ihipStream_tbDpT10_ENKUlT_T0_E_clISt17integral_constantIbLb1EES19_EEDaS14_S15_EUlS14_E_NS1_11comp_targetILNS1_3genE9ELNS1_11target_archE1100ELNS1_3gpuE3ELNS1_3repE0EEENS1_30default_config_static_selectorELNS0_4arch9wavefront6targetE1EEEvT1_
; %bb.0:
	.section	.rodata,"a",@progbits
	.p2align	6, 0x0
	.amdhsa_kernel _ZN7rocprim17ROCPRIM_400000_NS6detail17trampoline_kernelINS0_14default_configENS1_25partition_config_selectorILNS1_17partition_subalgoE1ExNS0_10empty_typeEbEEZZNS1_14partition_implILS5_1ELb0ES3_jN6thrust23THRUST_200600_302600_NS6detail15normal_iteratorINSA_10device_ptrIxEEEEPS6_NSA_18transform_iteratorI7is_evenIxESF_NSA_11use_defaultESK_EENS0_5tupleIJSF_SF_EEENSM_IJSG_SG_EEES6_PlJS6_EEE10hipError_tPvRmT3_T4_T5_T6_T7_T9_mT8_P12ihipStream_tbDpT10_ENKUlT_T0_E_clISt17integral_constantIbLb1EES19_EEDaS14_S15_EUlS14_E_NS1_11comp_targetILNS1_3genE9ELNS1_11target_archE1100ELNS1_3gpuE3ELNS1_3repE0EEENS1_30default_config_static_selectorELNS0_4arch9wavefront6targetE1EEEvT1_
		.amdhsa_group_segment_fixed_size 0
		.amdhsa_private_segment_fixed_size 0
		.amdhsa_kernarg_size 144
		.amdhsa_user_sgpr_count 6
		.amdhsa_user_sgpr_private_segment_buffer 1
		.amdhsa_user_sgpr_dispatch_ptr 0
		.amdhsa_user_sgpr_queue_ptr 0
		.amdhsa_user_sgpr_kernarg_segment_ptr 1
		.amdhsa_user_sgpr_dispatch_id 0
		.amdhsa_user_sgpr_flat_scratch_init 0
		.amdhsa_user_sgpr_kernarg_preload_length 0
		.amdhsa_user_sgpr_kernarg_preload_offset 0
		.amdhsa_user_sgpr_private_segment_size 0
		.amdhsa_uses_dynamic_stack 0
		.amdhsa_system_sgpr_private_segment_wavefront_offset 0
		.amdhsa_system_sgpr_workgroup_id_x 1
		.amdhsa_system_sgpr_workgroup_id_y 0
		.amdhsa_system_sgpr_workgroup_id_z 0
		.amdhsa_system_sgpr_workgroup_info 0
		.amdhsa_system_vgpr_workitem_id 0
		.amdhsa_next_free_vgpr 1
		.amdhsa_next_free_sgpr 0
		.amdhsa_accum_offset 4
		.amdhsa_reserve_vcc 0
		.amdhsa_reserve_flat_scratch 0
		.amdhsa_float_round_mode_32 0
		.amdhsa_float_round_mode_16_64 0
		.amdhsa_float_denorm_mode_32 3
		.amdhsa_float_denorm_mode_16_64 3
		.amdhsa_dx10_clamp 1
		.amdhsa_ieee_mode 1
		.amdhsa_fp16_overflow 0
		.amdhsa_tg_split 0
		.amdhsa_exception_fp_ieee_invalid_op 0
		.amdhsa_exception_fp_denorm_src 0
		.amdhsa_exception_fp_ieee_div_zero 0
		.amdhsa_exception_fp_ieee_overflow 0
		.amdhsa_exception_fp_ieee_underflow 0
		.amdhsa_exception_fp_ieee_inexact 0
		.amdhsa_exception_int_div_zero 0
	.end_amdhsa_kernel
	.section	.text._ZN7rocprim17ROCPRIM_400000_NS6detail17trampoline_kernelINS0_14default_configENS1_25partition_config_selectorILNS1_17partition_subalgoE1ExNS0_10empty_typeEbEEZZNS1_14partition_implILS5_1ELb0ES3_jN6thrust23THRUST_200600_302600_NS6detail15normal_iteratorINSA_10device_ptrIxEEEEPS6_NSA_18transform_iteratorI7is_evenIxESF_NSA_11use_defaultESK_EENS0_5tupleIJSF_SF_EEENSM_IJSG_SG_EEES6_PlJS6_EEE10hipError_tPvRmT3_T4_T5_T6_T7_T9_mT8_P12ihipStream_tbDpT10_ENKUlT_T0_E_clISt17integral_constantIbLb1EES19_EEDaS14_S15_EUlS14_E_NS1_11comp_targetILNS1_3genE9ELNS1_11target_archE1100ELNS1_3gpuE3ELNS1_3repE0EEENS1_30default_config_static_selectorELNS0_4arch9wavefront6targetE1EEEvT1_,"axG",@progbits,_ZN7rocprim17ROCPRIM_400000_NS6detail17trampoline_kernelINS0_14default_configENS1_25partition_config_selectorILNS1_17partition_subalgoE1ExNS0_10empty_typeEbEEZZNS1_14partition_implILS5_1ELb0ES3_jN6thrust23THRUST_200600_302600_NS6detail15normal_iteratorINSA_10device_ptrIxEEEEPS6_NSA_18transform_iteratorI7is_evenIxESF_NSA_11use_defaultESK_EENS0_5tupleIJSF_SF_EEENSM_IJSG_SG_EEES6_PlJS6_EEE10hipError_tPvRmT3_T4_T5_T6_T7_T9_mT8_P12ihipStream_tbDpT10_ENKUlT_T0_E_clISt17integral_constantIbLb1EES19_EEDaS14_S15_EUlS14_E_NS1_11comp_targetILNS1_3genE9ELNS1_11target_archE1100ELNS1_3gpuE3ELNS1_3repE0EEENS1_30default_config_static_selectorELNS0_4arch9wavefront6targetE1EEEvT1_,comdat
.Lfunc_end399:
	.size	_ZN7rocprim17ROCPRIM_400000_NS6detail17trampoline_kernelINS0_14default_configENS1_25partition_config_selectorILNS1_17partition_subalgoE1ExNS0_10empty_typeEbEEZZNS1_14partition_implILS5_1ELb0ES3_jN6thrust23THRUST_200600_302600_NS6detail15normal_iteratorINSA_10device_ptrIxEEEEPS6_NSA_18transform_iteratorI7is_evenIxESF_NSA_11use_defaultESK_EENS0_5tupleIJSF_SF_EEENSM_IJSG_SG_EEES6_PlJS6_EEE10hipError_tPvRmT3_T4_T5_T6_T7_T9_mT8_P12ihipStream_tbDpT10_ENKUlT_T0_E_clISt17integral_constantIbLb1EES19_EEDaS14_S15_EUlS14_E_NS1_11comp_targetILNS1_3genE9ELNS1_11target_archE1100ELNS1_3gpuE3ELNS1_3repE0EEENS1_30default_config_static_selectorELNS0_4arch9wavefront6targetE1EEEvT1_, .Lfunc_end399-_ZN7rocprim17ROCPRIM_400000_NS6detail17trampoline_kernelINS0_14default_configENS1_25partition_config_selectorILNS1_17partition_subalgoE1ExNS0_10empty_typeEbEEZZNS1_14partition_implILS5_1ELb0ES3_jN6thrust23THRUST_200600_302600_NS6detail15normal_iteratorINSA_10device_ptrIxEEEEPS6_NSA_18transform_iteratorI7is_evenIxESF_NSA_11use_defaultESK_EENS0_5tupleIJSF_SF_EEENSM_IJSG_SG_EEES6_PlJS6_EEE10hipError_tPvRmT3_T4_T5_T6_T7_T9_mT8_P12ihipStream_tbDpT10_ENKUlT_T0_E_clISt17integral_constantIbLb1EES19_EEDaS14_S15_EUlS14_E_NS1_11comp_targetILNS1_3genE9ELNS1_11target_archE1100ELNS1_3gpuE3ELNS1_3repE0EEENS1_30default_config_static_selectorELNS0_4arch9wavefront6targetE1EEEvT1_
                                        ; -- End function
	.section	.AMDGPU.csdata,"",@progbits
; Kernel info:
; codeLenInByte = 0
; NumSgprs: 4
; NumVgprs: 0
; NumAgprs: 0
; TotalNumVgprs: 0
; ScratchSize: 0
; MemoryBound: 0
; FloatMode: 240
; IeeeMode: 1
; LDSByteSize: 0 bytes/workgroup (compile time only)
; SGPRBlocks: 0
; VGPRBlocks: 0
; NumSGPRsForWavesPerEU: 4
; NumVGPRsForWavesPerEU: 1
; AccumOffset: 4
; Occupancy: 8
; WaveLimiterHint : 0
; COMPUTE_PGM_RSRC2:SCRATCH_EN: 0
; COMPUTE_PGM_RSRC2:USER_SGPR: 6
; COMPUTE_PGM_RSRC2:TRAP_HANDLER: 0
; COMPUTE_PGM_RSRC2:TGID_X_EN: 1
; COMPUTE_PGM_RSRC2:TGID_Y_EN: 0
; COMPUTE_PGM_RSRC2:TGID_Z_EN: 0
; COMPUTE_PGM_RSRC2:TIDIG_COMP_CNT: 0
; COMPUTE_PGM_RSRC3_GFX90A:ACCUM_OFFSET: 0
; COMPUTE_PGM_RSRC3_GFX90A:TG_SPLIT: 0
	.section	.text._ZN7rocprim17ROCPRIM_400000_NS6detail17trampoline_kernelINS0_14default_configENS1_25partition_config_selectorILNS1_17partition_subalgoE1ExNS0_10empty_typeEbEEZZNS1_14partition_implILS5_1ELb0ES3_jN6thrust23THRUST_200600_302600_NS6detail15normal_iteratorINSA_10device_ptrIxEEEEPS6_NSA_18transform_iteratorI7is_evenIxESF_NSA_11use_defaultESK_EENS0_5tupleIJSF_SF_EEENSM_IJSG_SG_EEES6_PlJS6_EEE10hipError_tPvRmT3_T4_T5_T6_T7_T9_mT8_P12ihipStream_tbDpT10_ENKUlT_T0_E_clISt17integral_constantIbLb1EES19_EEDaS14_S15_EUlS14_E_NS1_11comp_targetILNS1_3genE8ELNS1_11target_archE1030ELNS1_3gpuE2ELNS1_3repE0EEENS1_30default_config_static_selectorELNS0_4arch9wavefront6targetE1EEEvT1_,"axG",@progbits,_ZN7rocprim17ROCPRIM_400000_NS6detail17trampoline_kernelINS0_14default_configENS1_25partition_config_selectorILNS1_17partition_subalgoE1ExNS0_10empty_typeEbEEZZNS1_14partition_implILS5_1ELb0ES3_jN6thrust23THRUST_200600_302600_NS6detail15normal_iteratorINSA_10device_ptrIxEEEEPS6_NSA_18transform_iteratorI7is_evenIxESF_NSA_11use_defaultESK_EENS0_5tupleIJSF_SF_EEENSM_IJSG_SG_EEES6_PlJS6_EEE10hipError_tPvRmT3_T4_T5_T6_T7_T9_mT8_P12ihipStream_tbDpT10_ENKUlT_T0_E_clISt17integral_constantIbLb1EES19_EEDaS14_S15_EUlS14_E_NS1_11comp_targetILNS1_3genE8ELNS1_11target_archE1030ELNS1_3gpuE2ELNS1_3repE0EEENS1_30default_config_static_selectorELNS0_4arch9wavefront6targetE1EEEvT1_,comdat
	.protected	_ZN7rocprim17ROCPRIM_400000_NS6detail17trampoline_kernelINS0_14default_configENS1_25partition_config_selectorILNS1_17partition_subalgoE1ExNS0_10empty_typeEbEEZZNS1_14partition_implILS5_1ELb0ES3_jN6thrust23THRUST_200600_302600_NS6detail15normal_iteratorINSA_10device_ptrIxEEEEPS6_NSA_18transform_iteratorI7is_evenIxESF_NSA_11use_defaultESK_EENS0_5tupleIJSF_SF_EEENSM_IJSG_SG_EEES6_PlJS6_EEE10hipError_tPvRmT3_T4_T5_T6_T7_T9_mT8_P12ihipStream_tbDpT10_ENKUlT_T0_E_clISt17integral_constantIbLb1EES19_EEDaS14_S15_EUlS14_E_NS1_11comp_targetILNS1_3genE8ELNS1_11target_archE1030ELNS1_3gpuE2ELNS1_3repE0EEENS1_30default_config_static_selectorELNS0_4arch9wavefront6targetE1EEEvT1_ ; -- Begin function _ZN7rocprim17ROCPRIM_400000_NS6detail17trampoline_kernelINS0_14default_configENS1_25partition_config_selectorILNS1_17partition_subalgoE1ExNS0_10empty_typeEbEEZZNS1_14partition_implILS5_1ELb0ES3_jN6thrust23THRUST_200600_302600_NS6detail15normal_iteratorINSA_10device_ptrIxEEEEPS6_NSA_18transform_iteratorI7is_evenIxESF_NSA_11use_defaultESK_EENS0_5tupleIJSF_SF_EEENSM_IJSG_SG_EEES6_PlJS6_EEE10hipError_tPvRmT3_T4_T5_T6_T7_T9_mT8_P12ihipStream_tbDpT10_ENKUlT_T0_E_clISt17integral_constantIbLb1EES19_EEDaS14_S15_EUlS14_E_NS1_11comp_targetILNS1_3genE8ELNS1_11target_archE1030ELNS1_3gpuE2ELNS1_3repE0EEENS1_30default_config_static_selectorELNS0_4arch9wavefront6targetE1EEEvT1_
	.globl	_ZN7rocprim17ROCPRIM_400000_NS6detail17trampoline_kernelINS0_14default_configENS1_25partition_config_selectorILNS1_17partition_subalgoE1ExNS0_10empty_typeEbEEZZNS1_14partition_implILS5_1ELb0ES3_jN6thrust23THRUST_200600_302600_NS6detail15normal_iteratorINSA_10device_ptrIxEEEEPS6_NSA_18transform_iteratorI7is_evenIxESF_NSA_11use_defaultESK_EENS0_5tupleIJSF_SF_EEENSM_IJSG_SG_EEES6_PlJS6_EEE10hipError_tPvRmT3_T4_T5_T6_T7_T9_mT8_P12ihipStream_tbDpT10_ENKUlT_T0_E_clISt17integral_constantIbLb1EES19_EEDaS14_S15_EUlS14_E_NS1_11comp_targetILNS1_3genE8ELNS1_11target_archE1030ELNS1_3gpuE2ELNS1_3repE0EEENS1_30default_config_static_selectorELNS0_4arch9wavefront6targetE1EEEvT1_
	.p2align	8
	.type	_ZN7rocprim17ROCPRIM_400000_NS6detail17trampoline_kernelINS0_14default_configENS1_25partition_config_selectorILNS1_17partition_subalgoE1ExNS0_10empty_typeEbEEZZNS1_14partition_implILS5_1ELb0ES3_jN6thrust23THRUST_200600_302600_NS6detail15normal_iteratorINSA_10device_ptrIxEEEEPS6_NSA_18transform_iteratorI7is_evenIxESF_NSA_11use_defaultESK_EENS0_5tupleIJSF_SF_EEENSM_IJSG_SG_EEES6_PlJS6_EEE10hipError_tPvRmT3_T4_T5_T6_T7_T9_mT8_P12ihipStream_tbDpT10_ENKUlT_T0_E_clISt17integral_constantIbLb1EES19_EEDaS14_S15_EUlS14_E_NS1_11comp_targetILNS1_3genE8ELNS1_11target_archE1030ELNS1_3gpuE2ELNS1_3repE0EEENS1_30default_config_static_selectorELNS0_4arch9wavefront6targetE1EEEvT1_,@function
_ZN7rocprim17ROCPRIM_400000_NS6detail17trampoline_kernelINS0_14default_configENS1_25partition_config_selectorILNS1_17partition_subalgoE1ExNS0_10empty_typeEbEEZZNS1_14partition_implILS5_1ELb0ES3_jN6thrust23THRUST_200600_302600_NS6detail15normal_iteratorINSA_10device_ptrIxEEEEPS6_NSA_18transform_iteratorI7is_evenIxESF_NSA_11use_defaultESK_EENS0_5tupleIJSF_SF_EEENSM_IJSG_SG_EEES6_PlJS6_EEE10hipError_tPvRmT3_T4_T5_T6_T7_T9_mT8_P12ihipStream_tbDpT10_ENKUlT_T0_E_clISt17integral_constantIbLb1EES19_EEDaS14_S15_EUlS14_E_NS1_11comp_targetILNS1_3genE8ELNS1_11target_archE1030ELNS1_3gpuE2ELNS1_3repE0EEENS1_30default_config_static_selectorELNS0_4arch9wavefront6targetE1EEEvT1_: ; @_ZN7rocprim17ROCPRIM_400000_NS6detail17trampoline_kernelINS0_14default_configENS1_25partition_config_selectorILNS1_17partition_subalgoE1ExNS0_10empty_typeEbEEZZNS1_14partition_implILS5_1ELb0ES3_jN6thrust23THRUST_200600_302600_NS6detail15normal_iteratorINSA_10device_ptrIxEEEEPS6_NSA_18transform_iteratorI7is_evenIxESF_NSA_11use_defaultESK_EENS0_5tupleIJSF_SF_EEENSM_IJSG_SG_EEES6_PlJS6_EEE10hipError_tPvRmT3_T4_T5_T6_T7_T9_mT8_P12ihipStream_tbDpT10_ENKUlT_T0_E_clISt17integral_constantIbLb1EES19_EEDaS14_S15_EUlS14_E_NS1_11comp_targetILNS1_3genE8ELNS1_11target_archE1030ELNS1_3gpuE2ELNS1_3repE0EEENS1_30default_config_static_selectorELNS0_4arch9wavefront6targetE1EEEvT1_
; %bb.0:
	.section	.rodata,"a",@progbits
	.p2align	6, 0x0
	.amdhsa_kernel _ZN7rocprim17ROCPRIM_400000_NS6detail17trampoline_kernelINS0_14default_configENS1_25partition_config_selectorILNS1_17partition_subalgoE1ExNS0_10empty_typeEbEEZZNS1_14partition_implILS5_1ELb0ES3_jN6thrust23THRUST_200600_302600_NS6detail15normal_iteratorINSA_10device_ptrIxEEEEPS6_NSA_18transform_iteratorI7is_evenIxESF_NSA_11use_defaultESK_EENS0_5tupleIJSF_SF_EEENSM_IJSG_SG_EEES6_PlJS6_EEE10hipError_tPvRmT3_T4_T5_T6_T7_T9_mT8_P12ihipStream_tbDpT10_ENKUlT_T0_E_clISt17integral_constantIbLb1EES19_EEDaS14_S15_EUlS14_E_NS1_11comp_targetILNS1_3genE8ELNS1_11target_archE1030ELNS1_3gpuE2ELNS1_3repE0EEENS1_30default_config_static_selectorELNS0_4arch9wavefront6targetE1EEEvT1_
		.amdhsa_group_segment_fixed_size 0
		.amdhsa_private_segment_fixed_size 0
		.amdhsa_kernarg_size 144
		.amdhsa_user_sgpr_count 6
		.amdhsa_user_sgpr_private_segment_buffer 1
		.amdhsa_user_sgpr_dispatch_ptr 0
		.amdhsa_user_sgpr_queue_ptr 0
		.amdhsa_user_sgpr_kernarg_segment_ptr 1
		.amdhsa_user_sgpr_dispatch_id 0
		.amdhsa_user_sgpr_flat_scratch_init 0
		.amdhsa_user_sgpr_kernarg_preload_length 0
		.amdhsa_user_sgpr_kernarg_preload_offset 0
		.amdhsa_user_sgpr_private_segment_size 0
		.amdhsa_uses_dynamic_stack 0
		.amdhsa_system_sgpr_private_segment_wavefront_offset 0
		.amdhsa_system_sgpr_workgroup_id_x 1
		.amdhsa_system_sgpr_workgroup_id_y 0
		.amdhsa_system_sgpr_workgroup_id_z 0
		.amdhsa_system_sgpr_workgroup_info 0
		.amdhsa_system_vgpr_workitem_id 0
		.amdhsa_next_free_vgpr 1
		.amdhsa_next_free_sgpr 0
		.amdhsa_accum_offset 4
		.amdhsa_reserve_vcc 0
		.amdhsa_reserve_flat_scratch 0
		.amdhsa_float_round_mode_32 0
		.amdhsa_float_round_mode_16_64 0
		.amdhsa_float_denorm_mode_32 3
		.amdhsa_float_denorm_mode_16_64 3
		.amdhsa_dx10_clamp 1
		.amdhsa_ieee_mode 1
		.amdhsa_fp16_overflow 0
		.amdhsa_tg_split 0
		.amdhsa_exception_fp_ieee_invalid_op 0
		.amdhsa_exception_fp_denorm_src 0
		.amdhsa_exception_fp_ieee_div_zero 0
		.amdhsa_exception_fp_ieee_overflow 0
		.amdhsa_exception_fp_ieee_underflow 0
		.amdhsa_exception_fp_ieee_inexact 0
		.amdhsa_exception_int_div_zero 0
	.end_amdhsa_kernel
	.section	.text._ZN7rocprim17ROCPRIM_400000_NS6detail17trampoline_kernelINS0_14default_configENS1_25partition_config_selectorILNS1_17partition_subalgoE1ExNS0_10empty_typeEbEEZZNS1_14partition_implILS5_1ELb0ES3_jN6thrust23THRUST_200600_302600_NS6detail15normal_iteratorINSA_10device_ptrIxEEEEPS6_NSA_18transform_iteratorI7is_evenIxESF_NSA_11use_defaultESK_EENS0_5tupleIJSF_SF_EEENSM_IJSG_SG_EEES6_PlJS6_EEE10hipError_tPvRmT3_T4_T5_T6_T7_T9_mT8_P12ihipStream_tbDpT10_ENKUlT_T0_E_clISt17integral_constantIbLb1EES19_EEDaS14_S15_EUlS14_E_NS1_11comp_targetILNS1_3genE8ELNS1_11target_archE1030ELNS1_3gpuE2ELNS1_3repE0EEENS1_30default_config_static_selectorELNS0_4arch9wavefront6targetE1EEEvT1_,"axG",@progbits,_ZN7rocprim17ROCPRIM_400000_NS6detail17trampoline_kernelINS0_14default_configENS1_25partition_config_selectorILNS1_17partition_subalgoE1ExNS0_10empty_typeEbEEZZNS1_14partition_implILS5_1ELb0ES3_jN6thrust23THRUST_200600_302600_NS6detail15normal_iteratorINSA_10device_ptrIxEEEEPS6_NSA_18transform_iteratorI7is_evenIxESF_NSA_11use_defaultESK_EENS0_5tupleIJSF_SF_EEENSM_IJSG_SG_EEES6_PlJS6_EEE10hipError_tPvRmT3_T4_T5_T6_T7_T9_mT8_P12ihipStream_tbDpT10_ENKUlT_T0_E_clISt17integral_constantIbLb1EES19_EEDaS14_S15_EUlS14_E_NS1_11comp_targetILNS1_3genE8ELNS1_11target_archE1030ELNS1_3gpuE2ELNS1_3repE0EEENS1_30default_config_static_selectorELNS0_4arch9wavefront6targetE1EEEvT1_,comdat
.Lfunc_end400:
	.size	_ZN7rocprim17ROCPRIM_400000_NS6detail17trampoline_kernelINS0_14default_configENS1_25partition_config_selectorILNS1_17partition_subalgoE1ExNS0_10empty_typeEbEEZZNS1_14partition_implILS5_1ELb0ES3_jN6thrust23THRUST_200600_302600_NS6detail15normal_iteratorINSA_10device_ptrIxEEEEPS6_NSA_18transform_iteratorI7is_evenIxESF_NSA_11use_defaultESK_EENS0_5tupleIJSF_SF_EEENSM_IJSG_SG_EEES6_PlJS6_EEE10hipError_tPvRmT3_T4_T5_T6_T7_T9_mT8_P12ihipStream_tbDpT10_ENKUlT_T0_E_clISt17integral_constantIbLb1EES19_EEDaS14_S15_EUlS14_E_NS1_11comp_targetILNS1_3genE8ELNS1_11target_archE1030ELNS1_3gpuE2ELNS1_3repE0EEENS1_30default_config_static_selectorELNS0_4arch9wavefront6targetE1EEEvT1_, .Lfunc_end400-_ZN7rocprim17ROCPRIM_400000_NS6detail17trampoline_kernelINS0_14default_configENS1_25partition_config_selectorILNS1_17partition_subalgoE1ExNS0_10empty_typeEbEEZZNS1_14partition_implILS5_1ELb0ES3_jN6thrust23THRUST_200600_302600_NS6detail15normal_iteratorINSA_10device_ptrIxEEEEPS6_NSA_18transform_iteratorI7is_evenIxESF_NSA_11use_defaultESK_EENS0_5tupleIJSF_SF_EEENSM_IJSG_SG_EEES6_PlJS6_EEE10hipError_tPvRmT3_T4_T5_T6_T7_T9_mT8_P12ihipStream_tbDpT10_ENKUlT_T0_E_clISt17integral_constantIbLb1EES19_EEDaS14_S15_EUlS14_E_NS1_11comp_targetILNS1_3genE8ELNS1_11target_archE1030ELNS1_3gpuE2ELNS1_3repE0EEENS1_30default_config_static_selectorELNS0_4arch9wavefront6targetE1EEEvT1_
                                        ; -- End function
	.section	.AMDGPU.csdata,"",@progbits
; Kernel info:
; codeLenInByte = 0
; NumSgprs: 4
; NumVgprs: 0
; NumAgprs: 0
; TotalNumVgprs: 0
; ScratchSize: 0
; MemoryBound: 0
; FloatMode: 240
; IeeeMode: 1
; LDSByteSize: 0 bytes/workgroup (compile time only)
; SGPRBlocks: 0
; VGPRBlocks: 0
; NumSGPRsForWavesPerEU: 4
; NumVGPRsForWavesPerEU: 1
; AccumOffset: 4
; Occupancy: 8
; WaveLimiterHint : 0
; COMPUTE_PGM_RSRC2:SCRATCH_EN: 0
; COMPUTE_PGM_RSRC2:USER_SGPR: 6
; COMPUTE_PGM_RSRC2:TRAP_HANDLER: 0
; COMPUTE_PGM_RSRC2:TGID_X_EN: 1
; COMPUTE_PGM_RSRC2:TGID_Y_EN: 0
; COMPUTE_PGM_RSRC2:TGID_Z_EN: 0
; COMPUTE_PGM_RSRC2:TIDIG_COMP_CNT: 0
; COMPUTE_PGM_RSRC3_GFX90A:ACCUM_OFFSET: 0
; COMPUTE_PGM_RSRC3_GFX90A:TG_SPLIT: 0
	.section	.text._ZN7rocprim17ROCPRIM_400000_NS6detail17trampoline_kernelINS0_14default_configENS1_25partition_config_selectorILNS1_17partition_subalgoE1ExNS0_10empty_typeEbEEZZNS1_14partition_implILS5_1ELb0ES3_jN6thrust23THRUST_200600_302600_NS6detail15normal_iteratorINSA_10device_ptrIxEEEEPS6_NSA_18transform_iteratorI7is_evenIxESF_NSA_11use_defaultESK_EENS0_5tupleIJSF_SF_EEENSM_IJSG_SG_EEES6_PlJS6_EEE10hipError_tPvRmT3_T4_T5_T6_T7_T9_mT8_P12ihipStream_tbDpT10_ENKUlT_T0_E_clISt17integral_constantIbLb1EES18_IbLb0EEEEDaS14_S15_EUlS14_E_NS1_11comp_targetILNS1_3genE0ELNS1_11target_archE4294967295ELNS1_3gpuE0ELNS1_3repE0EEENS1_30default_config_static_selectorELNS0_4arch9wavefront6targetE1EEEvT1_,"axG",@progbits,_ZN7rocprim17ROCPRIM_400000_NS6detail17trampoline_kernelINS0_14default_configENS1_25partition_config_selectorILNS1_17partition_subalgoE1ExNS0_10empty_typeEbEEZZNS1_14partition_implILS5_1ELb0ES3_jN6thrust23THRUST_200600_302600_NS6detail15normal_iteratorINSA_10device_ptrIxEEEEPS6_NSA_18transform_iteratorI7is_evenIxESF_NSA_11use_defaultESK_EENS0_5tupleIJSF_SF_EEENSM_IJSG_SG_EEES6_PlJS6_EEE10hipError_tPvRmT3_T4_T5_T6_T7_T9_mT8_P12ihipStream_tbDpT10_ENKUlT_T0_E_clISt17integral_constantIbLb1EES18_IbLb0EEEEDaS14_S15_EUlS14_E_NS1_11comp_targetILNS1_3genE0ELNS1_11target_archE4294967295ELNS1_3gpuE0ELNS1_3repE0EEENS1_30default_config_static_selectorELNS0_4arch9wavefront6targetE1EEEvT1_,comdat
	.protected	_ZN7rocprim17ROCPRIM_400000_NS6detail17trampoline_kernelINS0_14default_configENS1_25partition_config_selectorILNS1_17partition_subalgoE1ExNS0_10empty_typeEbEEZZNS1_14partition_implILS5_1ELb0ES3_jN6thrust23THRUST_200600_302600_NS6detail15normal_iteratorINSA_10device_ptrIxEEEEPS6_NSA_18transform_iteratorI7is_evenIxESF_NSA_11use_defaultESK_EENS0_5tupleIJSF_SF_EEENSM_IJSG_SG_EEES6_PlJS6_EEE10hipError_tPvRmT3_T4_T5_T6_T7_T9_mT8_P12ihipStream_tbDpT10_ENKUlT_T0_E_clISt17integral_constantIbLb1EES18_IbLb0EEEEDaS14_S15_EUlS14_E_NS1_11comp_targetILNS1_3genE0ELNS1_11target_archE4294967295ELNS1_3gpuE0ELNS1_3repE0EEENS1_30default_config_static_selectorELNS0_4arch9wavefront6targetE1EEEvT1_ ; -- Begin function _ZN7rocprim17ROCPRIM_400000_NS6detail17trampoline_kernelINS0_14default_configENS1_25partition_config_selectorILNS1_17partition_subalgoE1ExNS0_10empty_typeEbEEZZNS1_14partition_implILS5_1ELb0ES3_jN6thrust23THRUST_200600_302600_NS6detail15normal_iteratorINSA_10device_ptrIxEEEEPS6_NSA_18transform_iteratorI7is_evenIxESF_NSA_11use_defaultESK_EENS0_5tupleIJSF_SF_EEENSM_IJSG_SG_EEES6_PlJS6_EEE10hipError_tPvRmT3_T4_T5_T6_T7_T9_mT8_P12ihipStream_tbDpT10_ENKUlT_T0_E_clISt17integral_constantIbLb1EES18_IbLb0EEEEDaS14_S15_EUlS14_E_NS1_11comp_targetILNS1_3genE0ELNS1_11target_archE4294967295ELNS1_3gpuE0ELNS1_3repE0EEENS1_30default_config_static_selectorELNS0_4arch9wavefront6targetE1EEEvT1_
	.globl	_ZN7rocprim17ROCPRIM_400000_NS6detail17trampoline_kernelINS0_14default_configENS1_25partition_config_selectorILNS1_17partition_subalgoE1ExNS0_10empty_typeEbEEZZNS1_14partition_implILS5_1ELb0ES3_jN6thrust23THRUST_200600_302600_NS6detail15normal_iteratorINSA_10device_ptrIxEEEEPS6_NSA_18transform_iteratorI7is_evenIxESF_NSA_11use_defaultESK_EENS0_5tupleIJSF_SF_EEENSM_IJSG_SG_EEES6_PlJS6_EEE10hipError_tPvRmT3_T4_T5_T6_T7_T9_mT8_P12ihipStream_tbDpT10_ENKUlT_T0_E_clISt17integral_constantIbLb1EES18_IbLb0EEEEDaS14_S15_EUlS14_E_NS1_11comp_targetILNS1_3genE0ELNS1_11target_archE4294967295ELNS1_3gpuE0ELNS1_3repE0EEENS1_30default_config_static_selectorELNS0_4arch9wavefront6targetE1EEEvT1_
	.p2align	8
	.type	_ZN7rocprim17ROCPRIM_400000_NS6detail17trampoline_kernelINS0_14default_configENS1_25partition_config_selectorILNS1_17partition_subalgoE1ExNS0_10empty_typeEbEEZZNS1_14partition_implILS5_1ELb0ES3_jN6thrust23THRUST_200600_302600_NS6detail15normal_iteratorINSA_10device_ptrIxEEEEPS6_NSA_18transform_iteratorI7is_evenIxESF_NSA_11use_defaultESK_EENS0_5tupleIJSF_SF_EEENSM_IJSG_SG_EEES6_PlJS6_EEE10hipError_tPvRmT3_T4_T5_T6_T7_T9_mT8_P12ihipStream_tbDpT10_ENKUlT_T0_E_clISt17integral_constantIbLb1EES18_IbLb0EEEEDaS14_S15_EUlS14_E_NS1_11comp_targetILNS1_3genE0ELNS1_11target_archE4294967295ELNS1_3gpuE0ELNS1_3repE0EEENS1_30default_config_static_selectorELNS0_4arch9wavefront6targetE1EEEvT1_,@function
_ZN7rocprim17ROCPRIM_400000_NS6detail17trampoline_kernelINS0_14default_configENS1_25partition_config_selectorILNS1_17partition_subalgoE1ExNS0_10empty_typeEbEEZZNS1_14partition_implILS5_1ELb0ES3_jN6thrust23THRUST_200600_302600_NS6detail15normal_iteratorINSA_10device_ptrIxEEEEPS6_NSA_18transform_iteratorI7is_evenIxESF_NSA_11use_defaultESK_EENS0_5tupleIJSF_SF_EEENSM_IJSG_SG_EEES6_PlJS6_EEE10hipError_tPvRmT3_T4_T5_T6_T7_T9_mT8_P12ihipStream_tbDpT10_ENKUlT_T0_E_clISt17integral_constantIbLb1EES18_IbLb0EEEEDaS14_S15_EUlS14_E_NS1_11comp_targetILNS1_3genE0ELNS1_11target_archE4294967295ELNS1_3gpuE0ELNS1_3repE0EEENS1_30default_config_static_selectorELNS0_4arch9wavefront6targetE1EEEvT1_: ; @_ZN7rocprim17ROCPRIM_400000_NS6detail17trampoline_kernelINS0_14default_configENS1_25partition_config_selectorILNS1_17partition_subalgoE1ExNS0_10empty_typeEbEEZZNS1_14partition_implILS5_1ELb0ES3_jN6thrust23THRUST_200600_302600_NS6detail15normal_iteratorINSA_10device_ptrIxEEEEPS6_NSA_18transform_iteratorI7is_evenIxESF_NSA_11use_defaultESK_EENS0_5tupleIJSF_SF_EEENSM_IJSG_SG_EEES6_PlJS6_EEE10hipError_tPvRmT3_T4_T5_T6_T7_T9_mT8_P12ihipStream_tbDpT10_ENKUlT_T0_E_clISt17integral_constantIbLb1EES18_IbLb0EEEEDaS14_S15_EUlS14_E_NS1_11comp_targetILNS1_3genE0ELNS1_11target_archE4294967295ELNS1_3gpuE0ELNS1_3repE0EEENS1_30default_config_static_selectorELNS0_4arch9wavefront6targetE1EEEvT1_
; %bb.0:
	.section	.rodata,"a",@progbits
	.p2align	6, 0x0
	.amdhsa_kernel _ZN7rocprim17ROCPRIM_400000_NS6detail17trampoline_kernelINS0_14default_configENS1_25partition_config_selectorILNS1_17partition_subalgoE1ExNS0_10empty_typeEbEEZZNS1_14partition_implILS5_1ELb0ES3_jN6thrust23THRUST_200600_302600_NS6detail15normal_iteratorINSA_10device_ptrIxEEEEPS6_NSA_18transform_iteratorI7is_evenIxESF_NSA_11use_defaultESK_EENS0_5tupleIJSF_SF_EEENSM_IJSG_SG_EEES6_PlJS6_EEE10hipError_tPvRmT3_T4_T5_T6_T7_T9_mT8_P12ihipStream_tbDpT10_ENKUlT_T0_E_clISt17integral_constantIbLb1EES18_IbLb0EEEEDaS14_S15_EUlS14_E_NS1_11comp_targetILNS1_3genE0ELNS1_11target_archE4294967295ELNS1_3gpuE0ELNS1_3repE0EEENS1_30default_config_static_selectorELNS0_4arch9wavefront6targetE1EEEvT1_
		.amdhsa_group_segment_fixed_size 0
		.amdhsa_private_segment_fixed_size 0
		.amdhsa_kernarg_size 128
		.amdhsa_user_sgpr_count 6
		.amdhsa_user_sgpr_private_segment_buffer 1
		.amdhsa_user_sgpr_dispatch_ptr 0
		.amdhsa_user_sgpr_queue_ptr 0
		.amdhsa_user_sgpr_kernarg_segment_ptr 1
		.amdhsa_user_sgpr_dispatch_id 0
		.amdhsa_user_sgpr_flat_scratch_init 0
		.amdhsa_user_sgpr_kernarg_preload_length 0
		.amdhsa_user_sgpr_kernarg_preload_offset 0
		.amdhsa_user_sgpr_private_segment_size 0
		.amdhsa_uses_dynamic_stack 0
		.amdhsa_system_sgpr_private_segment_wavefront_offset 0
		.amdhsa_system_sgpr_workgroup_id_x 1
		.amdhsa_system_sgpr_workgroup_id_y 0
		.amdhsa_system_sgpr_workgroup_id_z 0
		.amdhsa_system_sgpr_workgroup_info 0
		.amdhsa_system_vgpr_workitem_id 0
		.amdhsa_next_free_vgpr 1
		.amdhsa_next_free_sgpr 0
		.amdhsa_accum_offset 4
		.amdhsa_reserve_vcc 0
		.amdhsa_reserve_flat_scratch 0
		.amdhsa_float_round_mode_32 0
		.amdhsa_float_round_mode_16_64 0
		.amdhsa_float_denorm_mode_32 3
		.amdhsa_float_denorm_mode_16_64 3
		.amdhsa_dx10_clamp 1
		.amdhsa_ieee_mode 1
		.amdhsa_fp16_overflow 0
		.amdhsa_tg_split 0
		.amdhsa_exception_fp_ieee_invalid_op 0
		.amdhsa_exception_fp_denorm_src 0
		.amdhsa_exception_fp_ieee_div_zero 0
		.amdhsa_exception_fp_ieee_overflow 0
		.amdhsa_exception_fp_ieee_underflow 0
		.amdhsa_exception_fp_ieee_inexact 0
		.amdhsa_exception_int_div_zero 0
	.end_amdhsa_kernel
	.section	.text._ZN7rocprim17ROCPRIM_400000_NS6detail17trampoline_kernelINS0_14default_configENS1_25partition_config_selectorILNS1_17partition_subalgoE1ExNS0_10empty_typeEbEEZZNS1_14partition_implILS5_1ELb0ES3_jN6thrust23THRUST_200600_302600_NS6detail15normal_iteratorINSA_10device_ptrIxEEEEPS6_NSA_18transform_iteratorI7is_evenIxESF_NSA_11use_defaultESK_EENS0_5tupleIJSF_SF_EEENSM_IJSG_SG_EEES6_PlJS6_EEE10hipError_tPvRmT3_T4_T5_T6_T7_T9_mT8_P12ihipStream_tbDpT10_ENKUlT_T0_E_clISt17integral_constantIbLb1EES18_IbLb0EEEEDaS14_S15_EUlS14_E_NS1_11comp_targetILNS1_3genE0ELNS1_11target_archE4294967295ELNS1_3gpuE0ELNS1_3repE0EEENS1_30default_config_static_selectorELNS0_4arch9wavefront6targetE1EEEvT1_,"axG",@progbits,_ZN7rocprim17ROCPRIM_400000_NS6detail17trampoline_kernelINS0_14default_configENS1_25partition_config_selectorILNS1_17partition_subalgoE1ExNS0_10empty_typeEbEEZZNS1_14partition_implILS5_1ELb0ES3_jN6thrust23THRUST_200600_302600_NS6detail15normal_iteratorINSA_10device_ptrIxEEEEPS6_NSA_18transform_iteratorI7is_evenIxESF_NSA_11use_defaultESK_EENS0_5tupleIJSF_SF_EEENSM_IJSG_SG_EEES6_PlJS6_EEE10hipError_tPvRmT3_T4_T5_T6_T7_T9_mT8_P12ihipStream_tbDpT10_ENKUlT_T0_E_clISt17integral_constantIbLb1EES18_IbLb0EEEEDaS14_S15_EUlS14_E_NS1_11comp_targetILNS1_3genE0ELNS1_11target_archE4294967295ELNS1_3gpuE0ELNS1_3repE0EEENS1_30default_config_static_selectorELNS0_4arch9wavefront6targetE1EEEvT1_,comdat
.Lfunc_end401:
	.size	_ZN7rocprim17ROCPRIM_400000_NS6detail17trampoline_kernelINS0_14default_configENS1_25partition_config_selectorILNS1_17partition_subalgoE1ExNS0_10empty_typeEbEEZZNS1_14partition_implILS5_1ELb0ES3_jN6thrust23THRUST_200600_302600_NS6detail15normal_iteratorINSA_10device_ptrIxEEEEPS6_NSA_18transform_iteratorI7is_evenIxESF_NSA_11use_defaultESK_EENS0_5tupleIJSF_SF_EEENSM_IJSG_SG_EEES6_PlJS6_EEE10hipError_tPvRmT3_T4_T5_T6_T7_T9_mT8_P12ihipStream_tbDpT10_ENKUlT_T0_E_clISt17integral_constantIbLb1EES18_IbLb0EEEEDaS14_S15_EUlS14_E_NS1_11comp_targetILNS1_3genE0ELNS1_11target_archE4294967295ELNS1_3gpuE0ELNS1_3repE0EEENS1_30default_config_static_selectorELNS0_4arch9wavefront6targetE1EEEvT1_, .Lfunc_end401-_ZN7rocprim17ROCPRIM_400000_NS6detail17trampoline_kernelINS0_14default_configENS1_25partition_config_selectorILNS1_17partition_subalgoE1ExNS0_10empty_typeEbEEZZNS1_14partition_implILS5_1ELb0ES3_jN6thrust23THRUST_200600_302600_NS6detail15normal_iteratorINSA_10device_ptrIxEEEEPS6_NSA_18transform_iteratorI7is_evenIxESF_NSA_11use_defaultESK_EENS0_5tupleIJSF_SF_EEENSM_IJSG_SG_EEES6_PlJS6_EEE10hipError_tPvRmT3_T4_T5_T6_T7_T9_mT8_P12ihipStream_tbDpT10_ENKUlT_T0_E_clISt17integral_constantIbLb1EES18_IbLb0EEEEDaS14_S15_EUlS14_E_NS1_11comp_targetILNS1_3genE0ELNS1_11target_archE4294967295ELNS1_3gpuE0ELNS1_3repE0EEENS1_30default_config_static_selectorELNS0_4arch9wavefront6targetE1EEEvT1_
                                        ; -- End function
	.section	.AMDGPU.csdata,"",@progbits
; Kernel info:
; codeLenInByte = 0
; NumSgprs: 4
; NumVgprs: 0
; NumAgprs: 0
; TotalNumVgprs: 0
; ScratchSize: 0
; MemoryBound: 0
; FloatMode: 240
; IeeeMode: 1
; LDSByteSize: 0 bytes/workgroup (compile time only)
; SGPRBlocks: 0
; VGPRBlocks: 0
; NumSGPRsForWavesPerEU: 4
; NumVGPRsForWavesPerEU: 1
; AccumOffset: 4
; Occupancy: 8
; WaveLimiterHint : 0
; COMPUTE_PGM_RSRC2:SCRATCH_EN: 0
; COMPUTE_PGM_RSRC2:USER_SGPR: 6
; COMPUTE_PGM_RSRC2:TRAP_HANDLER: 0
; COMPUTE_PGM_RSRC2:TGID_X_EN: 1
; COMPUTE_PGM_RSRC2:TGID_Y_EN: 0
; COMPUTE_PGM_RSRC2:TGID_Z_EN: 0
; COMPUTE_PGM_RSRC2:TIDIG_COMP_CNT: 0
; COMPUTE_PGM_RSRC3_GFX90A:ACCUM_OFFSET: 0
; COMPUTE_PGM_RSRC3_GFX90A:TG_SPLIT: 0
	.section	.text._ZN7rocprim17ROCPRIM_400000_NS6detail17trampoline_kernelINS0_14default_configENS1_25partition_config_selectorILNS1_17partition_subalgoE1ExNS0_10empty_typeEbEEZZNS1_14partition_implILS5_1ELb0ES3_jN6thrust23THRUST_200600_302600_NS6detail15normal_iteratorINSA_10device_ptrIxEEEEPS6_NSA_18transform_iteratorI7is_evenIxESF_NSA_11use_defaultESK_EENS0_5tupleIJSF_SF_EEENSM_IJSG_SG_EEES6_PlJS6_EEE10hipError_tPvRmT3_T4_T5_T6_T7_T9_mT8_P12ihipStream_tbDpT10_ENKUlT_T0_E_clISt17integral_constantIbLb1EES18_IbLb0EEEEDaS14_S15_EUlS14_E_NS1_11comp_targetILNS1_3genE5ELNS1_11target_archE942ELNS1_3gpuE9ELNS1_3repE0EEENS1_30default_config_static_selectorELNS0_4arch9wavefront6targetE1EEEvT1_,"axG",@progbits,_ZN7rocprim17ROCPRIM_400000_NS6detail17trampoline_kernelINS0_14default_configENS1_25partition_config_selectorILNS1_17partition_subalgoE1ExNS0_10empty_typeEbEEZZNS1_14partition_implILS5_1ELb0ES3_jN6thrust23THRUST_200600_302600_NS6detail15normal_iteratorINSA_10device_ptrIxEEEEPS6_NSA_18transform_iteratorI7is_evenIxESF_NSA_11use_defaultESK_EENS0_5tupleIJSF_SF_EEENSM_IJSG_SG_EEES6_PlJS6_EEE10hipError_tPvRmT3_T4_T5_T6_T7_T9_mT8_P12ihipStream_tbDpT10_ENKUlT_T0_E_clISt17integral_constantIbLb1EES18_IbLb0EEEEDaS14_S15_EUlS14_E_NS1_11comp_targetILNS1_3genE5ELNS1_11target_archE942ELNS1_3gpuE9ELNS1_3repE0EEENS1_30default_config_static_selectorELNS0_4arch9wavefront6targetE1EEEvT1_,comdat
	.protected	_ZN7rocprim17ROCPRIM_400000_NS6detail17trampoline_kernelINS0_14default_configENS1_25partition_config_selectorILNS1_17partition_subalgoE1ExNS0_10empty_typeEbEEZZNS1_14partition_implILS5_1ELb0ES3_jN6thrust23THRUST_200600_302600_NS6detail15normal_iteratorINSA_10device_ptrIxEEEEPS6_NSA_18transform_iteratorI7is_evenIxESF_NSA_11use_defaultESK_EENS0_5tupleIJSF_SF_EEENSM_IJSG_SG_EEES6_PlJS6_EEE10hipError_tPvRmT3_T4_T5_T6_T7_T9_mT8_P12ihipStream_tbDpT10_ENKUlT_T0_E_clISt17integral_constantIbLb1EES18_IbLb0EEEEDaS14_S15_EUlS14_E_NS1_11comp_targetILNS1_3genE5ELNS1_11target_archE942ELNS1_3gpuE9ELNS1_3repE0EEENS1_30default_config_static_selectorELNS0_4arch9wavefront6targetE1EEEvT1_ ; -- Begin function _ZN7rocprim17ROCPRIM_400000_NS6detail17trampoline_kernelINS0_14default_configENS1_25partition_config_selectorILNS1_17partition_subalgoE1ExNS0_10empty_typeEbEEZZNS1_14partition_implILS5_1ELb0ES3_jN6thrust23THRUST_200600_302600_NS6detail15normal_iteratorINSA_10device_ptrIxEEEEPS6_NSA_18transform_iteratorI7is_evenIxESF_NSA_11use_defaultESK_EENS0_5tupleIJSF_SF_EEENSM_IJSG_SG_EEES6_PlJS6_EEE10hipError_tPvRmT3_T4_T5_T6_T7_T9_mT8_P12ihipStream_tbDpT10_ENKUlT_T0_E_clISt17integral_constantIbLb1EES18_IbLb0EEEEDaS14_S15_EUlS14_E_NS1_11comp_targetILNS1_3genE5ELNS1_11target_archE942ELNS1_3gpuE9ELNS1_3repE0EEENS1_30default_config_static_selectorELNS0_4arch9wavefront6targetE1EEEvT1_
	.globl	_ZN7rocprim17ROCPRIM_400000_NS6detail17trampoline_kernelINS0_14default_configENS1_25partition_config_selectorILNS1_17partition_subalgoE1ExNS0_10empty_typeEbEEZZNS1_14partition_implILS5_1ELb0ES3_jN6thrust23THRUST_200600_302600_NS6detail15normal_iteratorINSA_10device_ptrIxEEEEPS6_NSA_18transform_iteratorI7is_evenIxESF_NSA_11use_defaultESK_EENS0_5tupleIJSF_SF_EEENSM_IJSG_SG_EEES6_PlJS6_EEE10hipError_tPvRmT3_T4_T5_T6_T7_T9_mT8_P12ihipStream_tbDpT10_ENKUlT_T0_E_clISt17integral_constantIbLb1EES18_IbLb0EEEEDaS14_S15_EUlS14_E_NS1_11comp_targetILNS1_3genE5ELNS1_11target_archE942ELNS1_3gpuE9ELNS1_3repE0EEENS1_30default_config_static_selectorELNS0_4arch9wavefront6targetE1EEEvT1_
	.p2align	8
	.type	_ZN7rocprim17ROCPRIM_400000_NS6detail17trampoline_kernelINS0_14default_configENS1_25partition_config_selectorILNS1_17partition_subalgoE1ExNS0_10empty_typeEbEEZZNS1_14partition_implILS5_1ELb0ES3_jN6thrust23THRUST_200600_302600_NS6detail15normal_iteratorINSA_10device_ptrIxEEEEPS6_NSA_18transform_iteratorI7is_evenIxESF_NSA_11use_defaultESK_EENS0_5tupleIJSF_SF_EEENSM_IJSG_SG_EEES6_PlJS6_EEE10hipError_tPvRmT3_T4_T5_T6_T7_T9_mT8_P12ihipStream_tbDpT10_ENKUlT_T0_E_clISt17integral_constantIbLb1EES18_IbLb0EEEEDaS14_S15_EUlS14_E_NS1_11comp_targetILNS1_3genE5ELNS1_11target_archE942ELNS1_3gpuE9ELNS1_3repE0EEENS1_30default_config_static_selectorELNS0_4arch9wavefront6targetE1EEEvT1_,@function
_ZN7rocprim17ROCPRIM_400000_NS6detail17trampoline_kernelINS0_14default_configENS1_25partition_config_selectorILNS1_17partition_subalgoE1ExNS0_10empty_typeEbEEZZNS1_14partition_implILS5_1ELb0ES3_jN6thrust23THRUST_200600_302600_NS6detail15normal_iteratorINSA_10device_ptrIxEEEEPS6_NSA_18transform_iteratorI7is_evenIxESF_NSA_11use_defaultESK_EENS0_5tupleIJSF_SF_EEENSM_IJSG_SG_EEES6_PlJS6_EEE10hipError_tPvRmT3_T4_T5_T6_T7_T9_mT8_P12ihipStream_tbDpT10_ENKUlT_T0_E_clISt17integral_constantIbLb1EES18_IbLb0EEEEDaS14_S15_EUlS14_E_NS1_11comp_targetILNS1_3genE5ELNS1_11target_archE942ELNS1_3gpuE9ELNS1_3repE0EEENS1_30default_config_static_selectorELNS0_4arch9wavefront6targetE1EEEvT1_: ; @_ZN7rocprim17ROCPRIM_400000_NS6detail17trampoline_kernelINS0_14default_configENS1_25partition_config_selectorILNS1_17partition_subalgoE1ExNS0_10empty_typeEbEEZZNS1_14partition_implILS5_1ELb0ES3_jN6thrust23THRUST_200600_302600_NS6detail15normal_iteratorINSA_10device_ptrIxEEEEPS6_NSA_18transform_iteratorI7is_evenIxESF_NSA_11use_defaultESK_EENS0_5tupleIJSF_SF_EEENSM_IJSG_SG_EEES6_PlJS6_EEE10hipError_tPvRmT3_T4_T5_T6_T7_T9_mT8_P12ihipStream_tbDpT10_ENKUlT_T0_E_clISt17integral_constantIbLb1EES18_IbLb0EEEEDaS14_S15_EUlS14_E_NS1_11comp_targetILNS1_3genE5ELNS1_11target_archE942ELNS1_3gpuE9ELNS1_3repE0EEENS1_30default_config_static_selectorELNS0_4arch9wavefront6targetE1EEEvT1_
; %bb.0:
	.section	.rodata,"a",@progbits
	.p2align	6, 0x0
	.amdhsa_kernel _ZN7rocprim17ROCPRIM_400000_NS6detail17trampoline_kernelINS0_14default_configENS1_25partition_config_selectorILNS1_17partition_subalgoE1ExNS0_10empty_typeEbEEZZNS1_14partition_implILS5_1ELb0ES3_jN6thrust23THRUST_200600_302600_NS6detail15normal_iteratorINSA_10device_ptrIxEEEEPS6_NSA_18transform_iteratorI7is_evenIxESF_NSA_11use_defaultESK_EENS0_5tupleIJSF_SF_EEENSM_IJSG_SG_EEES6_PlJS6_EEE10hipError_tPvRmT3_T4_T5_T6_T7_T9_mT8_P12ihipStream_tbDpT10_ENKUlT_T0_E_clISt17integral_constantIbLb1EES18_IbLb0EEEEDaS14_S15_EUlS14_E_NS1_11comp_targetILNS1_3genE5ELNS1_11target_archE942ELNS1_3gpuE9ELNS1_3repE0EEENS1_30default_config_static_selectorELNS0_4arch9wavefront6targetE1EEEvT1_
		.amdhsa_group_segment_fixed_size 0
		.amdhsa_private_segment_fixed_size 0
		.amdhsa_kernarg_size 128
		.amdhsa_user_sgpr_count 6
		.amdhsa_user_sgpr_private_segment_buffer 1
		.amdhsa_user_sgpr_dispatch_ptr 0
		.amdhsa_user_sgpr_queue_ptr 0
		.amdhsa_user_sgpr_kernarg_segment_ptr 1
		.amdhsa_user_sgpr_dispatch_id 0
		.amdhsa_user_sgpr_flat_scratch_init 0
		.amdhsa_user_sgpr_kernarg_preload_length 0
		.amdhsa_user_sgpr_kernarg_preload_offset 0
		.amdhsa_user_sgpr_private_segment_size 0
		.amdhsa_uses_dynamic_stack 0
		.amdhsa_system_sgpr_private_segment_wavefront_offset 0
		.amdhsa_system_sgpr_workgroup_id_x 1
		.amdhsa_system_sgpr_workgroup_id_y 0
		.amdhsa_system_sgpr_workgroup_id_z 0
		.amdhsa_system_sgpr_workgroup_info 0
		.amdhsa_system_vgpr_workitem_id 0
		.amdhsa_next_free_vgpr 1
		.amdhsa_next_free_sgpr 0
		.amdhsa_accum_offset 4
		.amdhsa_reserve_vcc 0
		.amdhsa_reserve_flat_scratch 0
		.amdhsa_float_round_mode_32 0
		.amdhsa_float_round_mode_16_64 0
		.amdhsa_float_denorm_mode_32 3
		.amdhsa_float_denorm_mode_16_64 3
		.amdhsa_dx10_clamp 1
		.amdhsa_ieee_mode 1
		.amdhsa_fp16_overflow 0
		.amdhsa_tg_split 0
		.amdhsa_exception_fp_ieee_invalid_op 0
		.amdhsa_exception_fp_denorm_src 0
		.amdhsa_exception_fp_ieee_div_zero 0
		.amdhsa_exception_fp_ieee_overflow 0
		.amdhsa_exception_fp_ieee_underflow 0
		.amdhsa_exception_fp_ieee_inexact 0
		.amdhsa_exception_int_div_zero 0
	.end_amdhsa_kernel
	.section	.text._ZN7rocprim17ROCPRIM_400000_NS6detail17trampoline_kernelINS0_14default_configENS1_25partition_config_selectorILNS1_17partition_subalgoE1ExNS0_10empty_typeEbEEZZNS1_14partition_implILS5_1ELb0ES3_jN6thrust23THRUST_200600_302600_NS6detail15normal_iteratorINSA_10device_ptrIxEEEEPS6_NSA_18transform_iteratorI7is_evenIxESF_NSA_11use_defaultESK_EENS0_5tupleIJSF_SF_EEENSM_IJSG_SG_EEES6_PlJS6_EEE10hipError_tPvRmT3_T4_T5_T6_T7_T9_mT8_P12ihipStream_tbDpT10_ENKUlT_T0_E_clISt17integral_constantIbLb1EES18_IbLb0EEEEDaS14_S15_EUlS14_E_NS1_11comp_targetILNS1_3genE5ELNS1_11target_archE942ELNS1_3gpuE9ELNS1_3repE0EEENS1_30default_config_static_selectorELNS0_4arch9wavefront6targetE1EEEvT1_,"axG",@progbits,_ZN7rocprim17ROCPRIM_400000_NS6detail17trampoline_kernelINS0_14default_configENS1_25partition_config_selectorILNS1_17partition_subalgoE1ExNS0_10empty_typeEbEEZZNS1_14partition_implILS5_1ELb0ES3_jN6thrust23THRUST_200600_302600_NS6detail15normal_iteratorINSA_10device_ptrIxEEEEPS6_NSA_18transform_iteratorI7is_evenIxESF_NSA_11use_defaultESK_EENS0_5tupleIJSF_SF_EEENSM_IJSG_SG_EEES6_PlJS6_EEE10hipError_tPvRmT3_T4_T5_T6_T7_T9_mT8_P12ihipStream_tbDpT10_ENKUlT_T0_E_clISt17integral_constantIbLb1EES18_IbLb0EEEEDaS14_S15_EUlS14_E_NS1_11comp_targetILNS1_3genE5ELNS1_11target_archE942ELNS1_3gpuE9ELNS1_3repE0EEENS1_30default_config_static_selectorELNS0_4arch9wavefront6targetE1EEEvT1_,comdat
.Lfunc_end402:
	.size	_ZN7rocprim17ROCPRIM_400000_NS6detail17trampoline_kernelINS0_14default_configENS1_25partition_config_selectorILNS1_17partition_subalgoE1ExNS0_10empty_typeEbEEZZNS1_14partition_implILS5_1ELb0ES3_jN6thrust23THRUST_200600_302600_NS6detail15normal_iteratorINSA_10device_ptrIxEEEEPS6_NSA_18transform_iteratorI7is_evenIxESF_NSA_11use_defaultESK_EENS0_5tupleIJSF_SF_EEENSM_IJSG_SG_EEES6_PlJS6_EEE10hipError_tPvRmT3_T4_T5_T6_T7_T9_mT8_P12ihipStream_tbDpT10_ENKUlT_T0_E_clISt17integral_constantIbLb1EES18_IbLb0EEEEDaS14_S15_EUlS14_E_NS1_11comp_targetILNS1_3genE5ELNS1_11target_archE942ELNS1_3gpuE9ELNS1_3repE0EEENS1_30default_config_static_selectorELNS0_4arch9wavefront6targetE1EEEvT1_, .Lfunc_end402-_ZN7rocprim17ROCPRIM_400000_NS6detail17trampoline_kernelINS0_14default_configENS1_25partition_config_selectorILNS1_17partition_subalgoE1ExNS0_10empty_typeEbEEZZNS1_14partition_implILS5_1ELb0ES3_jN6thrust23THRUST_200600_302600_NS6detail15normal_iteratorINSA_10device_ptrIxEEEEPS6_NSA_18transform_iteratorI7is_evenIxESF_NSA_11use_defaultESK_EENS0_5tupleIJSF_SF_EEENSM_IJSG_SG_EEES6_PlJS6_EEE10hipError_tPvRmT3_T4_T5_T6_T7_T9_mT8_P12ihipStream_tbDpT10_ENKUlT_T0_E_clISt17integral_constantIbLb1EES18_IbLb0EEEEDaS14_S15_EUlS14_E_NS1_11comp_targetILNS1_3genE5ELNS1_11target_archE942ELNS1_3gpuE9ELNS1_3repE0EEENS1_30default_config_static_selectorELNS0_4arch9wavefront6targetE1EEEvT1_
                                        ; -- End function
	.section	.AMDGPU.csdata,"",@progbits
; Kernel info:
; codeLenInByte = 0
; NumSgprs: 4
; NumVgprs: 0
; NumAgprs: 0
; TotalNumVgprs: 0
; ScratchSize: 0
; MemoryBound: 0
; FloatMode: 240
; IeeeMode: 1
; LDSByteSize: 0 bytes/workgroup (compile time only)
; SGPRBlocks: 0
; VGPRBlocks: 0
; NumSGPRsForWavesPerEU: 4
; NumVGPRsForWavesPerEU: 1
; AccumOffset: 4
; Occupancy: 8
; WaveLimiterHint : 0
; COMPUTE_PGM_RSRC2:SCRATCH_EN: 0
; COMPUTE_PGM_RSRC2:USER_SGPR: 6
; COMPUTE_PGM_RSRC2:TRAP_HANDLER: 0
; COMPUTE_PGM_RSRC2:TGID_X_EN: 1
; COMPUTE_PGM_RSRC2:TGID_Y_EN: 0
; COMPUTE_PGM_RSRC2:TGID_Z_EN: 0
; COMPUTE_PGM_RSRC2:TIDIG_COMP_CNT: 0
; COMPUTE_PGM_RSRC3_GFX90A:ACCUM_OFFSET: 0
; COMPUTE_PGM_RSRC3_GFX90A:TG_SPLIT: 0
	.section	.text._ZN7rocprim17ROCPRIM_400000_NS6detail17trampoline_kernelINS0_14default_configENS1_25partition_config_selectorILNS1_17partition_subalgoE1ExNS0_10empty_typeEbEEZZNS1_14partition_implILS5_1ELb0ES3_jN6thrust23THRUST_200600_302600_NS6detail15normal_iteratorINSA_10device_ptrIxEEEEPS6_NSA_18transform_iteratorI7is_evenIxESF_NSA_11use_defaultESK_EENS0_5tupleIJSF_SF_EEENSM_IJSG_SG_EEES6_PlJS6_EEE10hipError_tPvRmT3_T4_T5_T6_T7_T9_mT8_P12ihipStream_tbDpT10_ENKUlT_T0_E_clISt17integral_constantIbLb1EES18_IbLb0EEEEDaS14_S15_EUlS14_E_NS1_11comp_targetILNS1_3genE4ELNS1_11target_archE910ELNS1_3gpuE8ELNS1_3repE0EEENS1_30default_config_static_selectorELNS0_4arch9wavefront6targetE1EEEvT1_,"axG",@progbits,_ZN7rocprim17ROCPRIM_400000_NS6detail17trampoline_kernelINS0_14default_configENS1_25partition_config_selectorILNS1_17partition_subalgoE1ExNS0_10empty_typeEbEEZZNS1_14partition_implILS5_1ELb0ES3_jN6thrust23THRUST_200600_302600_NS6detail15normal_iteratorINSA_10device_ptrIxEEEEPS6_NSA_18transform_iteratorI7is_evenIxESF_NSA_11use_defaultESK_EENS0_5tupleIJSF_SF_EEENSM_IJSG_SG_EEES6_PlJS6_EEE10hipError_tPvRmT3_T4_T5_T6_T7_T9_mT8_P12ihipStream_tbDpT10_ENKUlT_T0_E_clISt17integral_constantIbLb1EES18_IbLb0EEEEDaS14_S15_EUlS14_E_NS1_11comp_targetILNS1_3genE4ELNS1_11target_archE910ELNS1_3gpuE8ELNS1_3repE0EEENS1_30default_config_static_selectorELNS0_4arch9wavefront6targetE1EEEvT1_,comdat
	.protected	_ZN7rocprim17ROCPRIM_400000_NS6detail17trampoline_kernelINS0_14default_configENS1_25partition_config_selectorILNS1_17partition_subalgoE1ExNS0_10empty_typeEbEEZZNS1_14partition_implILS5_1ELb0ES3_jN6thrust23THRUST_200600_302600_NS6detail15normal_iteratorINSA_10device_ptrIxEEEEPS6_NSA_18transform_iteratorI7is_evenIxESF_NSA_11use_defaultESK_EENS0_5tupleIJSF_SF_EEENSM_IJSG_SG_EEES6_PlJS6_EEE10hipError_tPvRmT3_T4_T5_T6_T7_T9_mT8_P12ihipStream_tbDpT10_ENKUlT_T0_E_clISt17integral_constantIbLb1EES18_IbLb0EEEEDaS14_S15_EUlS14_E_NS1_11comp_targetILNS1_3genE4ELNS1_11target_archE910ELNS1_3gpuE8ELNS1_3repE0EEENS1_30default_config_static_selectorELNS0_4arch9wavefront6targetE1EEEvT1_ ; -- Begin function _ZN7rocprim17ROCPRIM_400000_NS6detail17trampoline_kernelINS0_14default_configENS1_25partition_config_selectorILNS1_17partition_subalgoE1ExNS0_10empty_typeEbEEZZNS1_14partition_implILS5_1ELb0ES3_jN6thrust23THRUST_200600_302600_NS6detail15normal_iteratorINSA_10device_ptrIxEEEEPS6_NSA_18transform_iteratorI7is_evenIxESF_NSA_11use_defaultESK_EENS0_5tupleIJSF_SF_EEENSM_IJSG_SG_EEES6_PlJS6_EEE10hipError_tPvRmT3_T4_T5_T6_T7_T9_mT8_P12ihipStream_tbDpT10_ENKUlT_T0_E_clISt17integral_constantIbLb1EES18_IbLb0EEEEDaS14_S15_EUlS14_E_NS1_11comp_targetILNS1_3genE4ELNS1_11target_archE910ELNS1_3gpuE8ELNS1_3repE0EEENS1_30default_config_static_selectorELNS0_4arch9wavefront6targetE1EEEvT1_
	.globl	_ZN7rocprim17ROCPRIM_400000_NS6detail17trampoline_kernelINS0_14default_configENS1_25partition_config_selectorILNS1_17partition_subalgoE1ExNS0_10empty_typeEbEEZZNS1_14partition_implILS5_1ELb0ES3_jN6thrust23THRUST_200600_302600_NS6detail15normal_iteratorINSA_10device_ptrIxEEEEPS6_NSA_18transform_iteratorI7is_evenIxESF_NSA_11use_defaultESK_EENS0_5tupleIJSF_SF_EEENSM_IJSG_SG_EEES6_PlJS6_EEE10hipError_tPvRmT3_T4_T5_T6_T7_T9_mT8_P12ihipStream_tbDpT10_ENKUlT_T0_E_clISt17integral_constantIbLb1EES18_IbLb0EEEEDaS14_S15_EUlS14_E_NS1_11comp_targetILNS1_3genE4ELNS1_11target_archE910ELNS1_3gpuE8ELNS1_3repE0EEENS1_30default_config_static_selectorELNS0_4arch9wavefront6targetE1EEEvT1_
	.p2align	8
	.type	_ZN7rocprim17ROCPRIM_400000_NS6detail17trampoline_kernelINS0_14default_configENS1_25partition_config_selectorILNS1_17partition_subalgoE1ExNS0_10empty_typeEbEEZZNS1_14partition_implILS5_1ELb0ES3_jN6thrust23THRUST_200600_302600_NS6detail15normal_iteratorINSA_10device_ptrIxEEEEPS6_NSA_18transform_iteratorI7is_evenIxESF_NSA_11use_defaultESK_EENS0_5tupleIJSF_SF_EEENSM_IJSG_SG_EEES6_PlJS6_EEE10hipError_tPvRmT3_T4_T5_T6_T7_T9_mT8_P12ihipStream_tbDpT10_ENKUlT_T0_E_clISt17integral_constantIbLb1EES18_IbLb0EEEEDaS14_S15_EUlS14_E_NS1_11comp_targetILNS1_3genE4ELNS1_11target_archE910ELNS1_3gpuE8ELNS1_3repE0EEENS1_30default_config_static_selectorELNS0_4arch9wavefront6targetE1EEEvT1_,@function
_ZN7rocprim17ROCPRIM_400000_NS6detail17trampoline_kernelINS0_14default_configENS1_25partition_config_selectorILNS1_17partition_subalgoE1ExNS0_10empty_typeEbEEZZNS1_14partition_implILS5_1ELb0ES3_jN6thrust23THRUST_200600_302600_NS6detail15normal_iteratorINSA_10device_ptrIxEEEEPS6_NSA_18transform_iteratorI7is_evenIxESF_NSA_11use_defaultESK_EENS0_5tupleIJSF_SF_EEENSM_IJSG_SG_EEES6_PlJS6_EEE10hipError_tPvRmT3_T4_T5_T6_T7_T9_mT8_P12ihipStream_tbDpT10_ENKUlT_T0_E_clISt17integral_constantIbLb1EES18_IbLb0EEEEDaS14_S15_EUlS14_E_NS1_11comp_targetILNS1_3genE4ELNS1_11target_archE910ELNS1_3gpuE8ELNS1_3repE0EEENS1_30default_config_static_selectorELNS0_4arch9wavefront6targetE1EEEvT1_: ; @_ZN7rocprim17ROCPRIM_400000_NS6detail17trampoline_kernelINS0_14default_configENS1_25partition_config_selectorILNS1_17partition_subalgoE1ExNS0_10empty_typeEbEEZZNS1_14partition_implILS5_1ELb0ES3_jN6thrust23THRUST_200600_302600_NS6detail15normal_iteratorINSA_10device_ptrIxEEEEPS6_NSA_18transform_iteratorI7is_evenIxESF_NSA_11use_defaultESK_EENS0_5tupleIJSF_SF_EEENSM_IJSG_SG_EEES6_PlJS6_EEE10hipError_tPvRmT3_T4_T5_T6_T7_T9_mT8_P12ihipStream_tbDpT10_ENKUlT_T0_E_clISt17integral_constantIbLb1EES18_IbLb0EEEEDaS14_S15_EUlS14_E_NS1_11comp_targetILNS1_3genE4ELNS1_11target_archE910ELNS1_3gpuE8ELNS1_3repE0EEENS1_30default_config_static_selectorELNS0_4arch9wavefront6targetE1EEEvT1_
; %bb.0:
	s_load_dwordx2 s[0:1], s[4:5], 0x60
	s_load_dwordx4 s[24:27], s[4:5], 0x8
	s_load_dwordx2 s[2:3], s[4:5], 0x20
	s_load_dwordx4 s[20:23], s[4:5], 0x50
	s_mul_i32 s10, s6, 0x300
	s_waitcnt lgkmcnt(0)
	v_mov_b32_e32 v3, s1
	s_load_dword s1, s[4:5], 0x78
	s_lshl_b64 s[8:9], s[26:27], 3
	s_add_u32 s7, s24, s8
	s_addc_u32 s12, s25, s9
	v_mov_b32_e32 v2, s0
	s_waitcnt lgkmcnt(0)
	s_add_i32 s13, s1, -1
	s_mulk_i32 s1, 0x300
	s_add_i32 s11, s1, s26
	s_sub_i32 s33, s0, s11
	s_addk_i32 s33, 0x300
	s_add_u32 s0, s26, s1
	s_addc_u32 s1, s27, 0
	s_cmp_eq_u32 s6, s13
	s_load_dwordx2 s[30:31], s[22:23], 0x0
	s_cselect_b64 s[22:23], -1, 0
	s_cmp_lg_u32 s6, s13
	s_mov_b32 s11, 0
	v_cmp_lt_u64_e32 vcc, s[0:1], v[2:3]
	s_cselect_b64 s[0:1], -1, 0
	s_or_b64 s[24:25], s[0:1], vcc
	s_lshl_b64 s[28:29], s[10:11], 3
	s_add_u32 s7, s7, s28
	s_addc_u32 s12, s12, s29
	s_mov_b64 s[0:1], -1
	s_and_b64 vcc, exec, s[24:25]
	v_lshlrev_b32_e32 v1, 3, v0
	v_lshrrev_b32_e32 v10, 2, v0
	s_cbranch_vccz .LBB403_2
; %bb.1:
	v_mov_b32_e32 v3, s12
	v_add_co_u32_e32 v2, vcc, s7, v1
	v_addc_co_u32_e32 v3, vcc, 0, v3, vcc
	v_add_co_u32_e32 v4, vcc, 0x1000, v2
	v_addc_co_u32_e32 v5, vcc, 0, v3, vcc
	flat_load_dwordx2 v[6:7], v[2:3]
	flat_load_dwordx2 v[8:9], v[2:3] offset:1536
	flat_load_dwordx2 v[12:13], v[2:3] offset:3072
	;; [unrolled: 1-line block ×3, first 2 shown]
	v_add_u32_e32 v3, 0xc0, v0
	v_add_u32_e32 v4, 0x180, v0
	;; [unrolled: 1-line block ×3, first 2 shown]
	v_and_b32_e32 v2, 56, v10
	v_lshrrev_b32_e32 v3, 2, v3
	v_lshrrev_b32_e32 v4, 2, v4
	;; [unrolled: 1-line block ×3, first 2 shown]
	v_add_u32_e32 v2, v2, v1
	v_and_b32_e32 v3, 0x78, v3
	v_and_b32_e32 v4, 0xf8, v4
	v_and_b32_e32 v5, 0xf8, v5
	v_add_u32_e32 v3, v3, v1
	v_add_u32_e32 v4, v4, v1
	v_add_u32_e32 v5, v5, v1
	s_mov_b64 s[0:1], 0
	s_waitcnt vmcnt(0) lgkmcnt(0)
	ds_write_b64 v2, v[6:7]
	ds_write_b64 v3, v[8:9] offset:1536
	ds_write_b64 v4, v[12:13] offset:3072
	;; [unrolled: 1-line block ×3, first 2 shown]
	s_waitcnt lgkmcnt(0)
	s_barrier
.LBB403_2:
	s_andn2_b64 vcc, exec, s[0:1]
	v_cmp_gt_u32_e64 s[0:1], s33, v0
	s_cbranch_vccnz .LBB403_12
; %bb.3:
                                        ; implicit-def: $vgpr2_vgpr3_vgpr4_vgpr5_vgpr6_vgpr7_vgpr8_vgpr9
	s_and_saveexec_b64 s[10:11], s[0:1]
	s_cbranch_execz .LBB403_5
; %bb.4:
	v_mov_b32_e32 v3, s12
	v_add_co_u32_e32 v2, vcc, s7, v1
	v_addc_co_u32_e32 v3, vcc, 0, v3, vcc
	flat_load_dwordx2 v[2:3], v[2:3]
.LBB403_5:
	s_or_b64 exec, exec, s[10:11]
	v_add_u32_e32 v11, 0xc0, v0
	v_cmp_gt_u32_e32 vcc, s33, v11
	s_and_saveexec_b64 s[0:1], vcc
	s_cbranch_execz .LBB403_7
; %bb.6:
	v_mov_b32_e32 v5, s12
	v_add_co_u32_e32 v4, vcc, s7, v1
	v_addc_co_u32_e32 v5, vcc, 0, v5, vcc
	flat_load_dwordx2 v[4:5], v[4:5] offset:1536
.LBB403_7:
	s_or_b64 exec, exec, s[0:1]
	v_add_u32_e32 v12, 0x180, v0
	v_cmp_gt_u32_e32 vcc, s33, v12
	s_and_saveexec_b64 s[0:1], vcc
	s_cbranch_execz .LBB403_9
; %bb.8:
	v_mov_b32_e32 v7, s12
	v_add_co_u32_e32 v6, vcc, s7, v1
	v_addc_co_u32_e32 v7, vcc, 0, v7, vcc
	flat_load_dwordx2 v[6:7], v[6:7] offset:3072
.LBB403_9:
	s_or_b64 exec, exec, s[0:1]
	v_add_u32_e32 v13, 0x240, v0
	v_cmp_gt_u32_e32 vcc, s33, v13
	s_and_saveexec_b64 s[0:1], vcc
	s_cbranch_execz .LBB403_11
; %bb.10:
	v_lshlrev_b32_e32 v8, 3, v13
	v_mov_b32_e32 v9, s12
	v_add_co_u32_e32 v8, vcc, s7, v8
	v_addc_co_u32_e32 v9, vcc, 0, v9, vcc
	flat_load_dwordx2 v[8:9], v[8:9]
.LBB403_11:
	s_or_b64 exec, exec, s[0:1]
	v_and_b32_e32 v10, 56, v10
	v_add_u32_e32 v10, v10, v1
	s_waitcnt vmcnt(0) lgkmcnt(0)
	ds_write_b64 v10, v[2:3]
	v_lshrrev_b32_e32 v2, 2, v11
	v_and_b32_e32 v2, 0x78, v2
	v_add_u32_e32 v2, v2, v1
	ds_write_b64 v2, v[4:5] offset:1536
	v_lshrrev_b32_e32 v2, 2, v12
	v_and_b32_e32 v2, 0xf8, v2
	v_add_u32_e32 v2, v2, v1
	ds_write_b64 v2, v[6:7] offset:3072
	;; [unrolled: 4-line block ×3, first 2 shown]
	s_waitcnt lgkmcnt(0)
	s_barrier
.LBB403_12:
	v_lshlrev_b32_e32 v20, 2, v0
	v_lshrrev_b32_e32 v10, 3, v0
	v_add_lshl_u32 v2, v10, v20, 3
	s_waitcnt lgkmcnt(0)
	ds_read2_b64 v[6:9], v2 offset1:1
	ds_read2_b64 v[2:5], v2 offset0:2 offset1:3
	s_add_u32 s0, s2, s8
	s_addc_u32 s1, s3, s9
	s_add_u32 s0, s0, s28
	s_addc_u32 s1, s1, s29
	s_mov_b64 s[2:3], -1
	s_and_b64 vcc, exec, s[24:25]
	v_lshrrev_b32_e32 v11, 5, v0
	s_waitcnt lgkmcnt(0)
	s_barrier
	s_cbranch_vccz .LBB403_14
; %bb.13:
	global_load_dwordx2 v[12:13], v1, s[0:1]
	global_load_dwordx2 v[14:15], v1, s[0:1] offset:1536
	global_load_dwordx2 v[16:17], v1, s[0:1] offset:3072
	v_mov_b32_e32 v18, s1
	s_waitcnt vmcnt(2)
	v_add_co_u32_e32 v13, vcc, s0, v1
	s_waitcnt vmcnt(1)
	v_addc_co_u32_e32 v15, vcc, 0, v18, vcc
	v_add_co_u32_e32 v18, vcc, 0x1000, v13
	v_addc_co_u32_e32 v19, vcc, 0, v15, vcc
	global_load_dwordx2 v[18:19], v[18:19], off offset:512
	v_add_u32_e32 v15, 0xc0, v0
	s_waitcnt vmcnt(1)
	v_add_u32_e32 v17, 0x180, v0
	v_and_b32_e32 v13, 4, v11
	s_waitcnt vmcnt(0)
	v_add_u32_e32 v19, 0x240, v0
	v_lshrrev_b32_e32 v15, 5, v15
	v_lshrrev_b32_e32 v17, 5, v17
	v_add_u32_e32 v13, v13, v0
	v_lshrrev_b32_e32 v19, 5, v19
	v_and_b32_e32 v15, 12, v15
	v_and_b32_e32 v17, 28, v17
	;; [unrolled: 1-line block ×3, first 2 shown]
	v_add_u32_e32 v15, v15, v0
	v_add_u32_e32 v17, v17, v0
	;; [unrolled: 1-line block ×3, first 2 shown]
	s_mov_b64 s[2:3], 0
	v_xor_b32_e32 v12, -1, v12
	v_xor_b32_e32 v14, -1, v14
	;; [unrolled: 1-line block ×3, first 2 shown]
	v_and_b32_e32 v12, 1, v12
	v_and_b32_e32 v14, 1, v14
	;; [unrolled: 1-line block ×3, first 2 shown]
	ds_write_b8 v13, v12
	ds_write_b8 v15, v14 offset:192
	ds_write_b8 v17, v16 offset:384
	v_xor_b32_e32 v12, -1, v18
	v_and_b32_e32 v12, 1, v12
	ds_write_b8 v19, v12 offset:576
	s_waitcnt lgkmcnt(0)
	s_barrier
.LBB403_14:
	s_load_dwordx2 s[34:35], s[4:5], 0x70
	s_andn2_b64 vcc, exec, s[2:3]
	s_cbranch_vccnz .LBB403_24
; %bb.15:
	v_cmp_gt_u32_e32 vcc, s33, v0
	v_mov_b32_e32 v12, 0
	v_mov_b32_e32 v13, 0
	s_and_saveexec_b64 s[2:3], vcc
	s_cbranch_execz .LBB403_17
; %bb.16:
	global_load_dwordx2 v[14:15], v1, s[0:1]
	s_waitcnt vmcnt(0)
	v_xor_b32_e32 v13, -1, v14
	v_and_b32_e32 v13, 1, v13
.LBB403_17:
	s_or_b64 exec, exec, s[2:3]
	v_add_u32_e32 v14, 0xc0, v0
	v_cmp_gt_u32_e32 vcc, s33, v14
	s_and_saveexec_b64 s[2:3], vcc
	s_cbranch_execz .LBB403_19
; %bb.18:
	global_load_dwordx2 v[16:17], v1, s[0:1] offset:1536
	s_waitcnt vmcnt(0)
	v_xor_b32_e32 v12, -1, v16
	v_and_b32_e32 v12, 1, v12
.LBB403_19:
	s_or_b64 exec, exec, s[2:3]
	v_add_u32_e32 v16, 0x180, v0
	v_cmp_gt_u32_e32 vcc, s33, v16
	v_mov_b32_e32 v15, 0
	v_mov_b32_e32 v17, 0
	s_and_saveexec_b64 s[2:3], vcc
	s_cbranch_execz .LBB403_21
; %bb.20:
	global_load_dwordx2 v[18:19], v1, s[0:1] offset:3072
	s_waitcnt vmcnt(0)
	v_xor_b32_e32 v17, -1, v18
	v_and_b32_e32 v17, 1, v17
.LBB403_21:
	s_or_b64 exec, exec, s[2:3]
	v_add_u32_e32 v18, 0x240, v0
	v_cmp_gt_u32_e32 vcc, s33, v18
	s_and_saveexec_b64 s[2:3], vcc
	s_cbranch_execz .LBB403_23
; %bb.22:
	v_lshlrev_b32_e32 v15, 3, v18
	global_load_dwordx2 v[22:23], v15, s[0:1]
	s_waitcnt vmcnt(0)
	v_xor_b32_e32 v15, -1, v22
	v_and_b32_e32 v15, 1, v15
.LBB403_23:
	s_or_b64 exec, exec, s[2:3]
	v_and_b32_e32 v11, 4, v11
	v_add_u32_e32 v11, v11, v0
	ds_write_b8 v11, v13
	v_lshrrev_b32_e32 v11, 5, v14
	v_and_b32_e32 v11, 12, v11
	v_add_u32_e32 v11, v11, v0
	ds_write_b8 v11, v12 offset:192
	v_lshrrev_b32_e32 v11, 5, v16
	v_and_b32_e32 v11, 28, v11
	v_add_u32_e32 v11, v11, v0
	ds_write_b8 v11, v17 offset:384
	v_lshrrev_b32_e32 v11, 5, v18
	v_and_b32_e32 v11, 28, v11
	v_add_u32_e32 v11, v11, v0
	ds_write_b8 v11, v15 offset:576
	s_waitcnt lgkmcnt(0)
	s_barrier
.LBB403_24:
	v_and_b32_e32 v10, 28, v10
	v_add_u32_e32 v10, v10, v20
	s_waitcnt lgkmcnt(0)
	ds_read_b32 v22, v10
	s_cmp_lg_u32 s6, 0
	v_lshrrev_b32_e32 v25, 6, v0
	s_waitcnt lgkmcnt(0)
	s_barrier
	v_lshrrev_b32_e32 v21, 24, v22
	v_bfe_u32 v23, v22, 16, 8
	v_add_u32_sdwa v10, v22, v22 dst_sel:DWORD dst_unused:UNUSED_PAD src0_sel:BYTE_1 src1_sel:BYTE_0
	v_add3_u32 v26, v10, v23, v21
	v_mbcnt_lo_u32_b32 v10, -1, 0
	v_mbcnt_hi_u32_b32 v24, -1, v10
	v_and_b32_e32 v10, 15, v24
	v_cmp_eq_u32_e64 s[14:15], 0, v10
	v_cmp_lt_u32_e64 s[12:13], 1, v10
	v_cmp_lt_u32_e64 s[10:11], 3, v10
	;; [unrolled: 1-line block ×3, first 2 shown]
	v_and_b32_e32 v10, 16, v24
	v_cmp_eq_u32_e64 s[2:3], 0, v10
	v_and_b32_e32 v10, 0xc0, v0
	v_min_u32_e32 v10, 0x80, v10
	v_or_b32_e32 v10, 63, v10
	v_cmp_lt_u32_e64 s[0:1], 31, v24
	v_cmp_eq_u32_e64 s[18:19], v10, v0
	s_cbranch_scc0 .LBB403_55
; %bb.25:
	v_mov_b32_dpp v10, v26 row_shr:1 row_mask:0xf bank_mask:0xf
	v_cndmask_b32_e64 v10, v10, 0, s[14:15]
	v_add_u32_e32 v10, v10, v26
	s_nop 1
	v_mov_b32_dpp v11, v10 row_shr:2 row_mask:0xf bank_mask:0xf
	v_cndmask_b32_e64 v11, 0, v11, s[12:13]
	v_add_u32_e32 v10, v10, v11
	s_nop 1
	;; [unrolled: 4-line block ×4, first 2 shown]
	v_mov_b32_dpp v11, v10 row_bcast:15 row_mask:0xf bank_mask:0xf
	v_cndmask_b32_e64 v11, v11, 0, s[2:3]
	v_add_u32_e32 v10, v10, v11
	s_nop 1
	v_mov_b32_dpp v11, v10 row_bcast:31 row_mask:0xf bank_mask:0xf
	v_cndmask_b32_e64 v11, 0, v11, s[0:1]
	v_add_u32_e32 v10, v10, v11
	s_and_saveexec_b64 s[16:17], s[18:19]
	s_cbranch_execz .LBB403_27
; %bb.26:
	v_lshlrev_b32_e32 v11, 2, v25
	ds_write_b32 v11, v10
.LBB403_27:
	s_or_b64 exec, exec, s[16:17]
	v_cmp_gt_u32_e32 vcc, 3, v0
	s_waitcnt lgkmcnt(0)
	s_barrier
	s_and_saveexec_b64 s[16:17], vcc
	s_cbranch_execz .LBB403_29
; %bb.28:
	ds_read_b32 v11, v20
	v_and_b32_e32 v12, 3, v24
	v_cmp_ne_u32_e32 vcc, 0, v12
	s_waitcnt lgkmcnt(0)
	v_mov_b32_dpp v13, v11 row_shr:1 row_mask:0xf bank_mask:0xf
	v_cndmask_b32_e32 v13, 0, v13, vcc
	v_add_u32_e32 v11, v13, v11
	v_cmp_lt_u32_e32 vcc, 1, v12
	s_nop 0
	v_mov_b32_dpp v13, v11 row_shr:2 row_mask:0xf bank_mask:0xf
	v_cndmask_b32_e32 v12, 0, v13, vcc
	v_add_u32_e32 v11, v11, v12
	ds_write_b32 v20, v11
.LBB403_29:
	s_or_b64 exec, exec, s[16:17]
	v_cmp_gt_u32_e32 vcc, 64, v0
	v_cmp_lt_u32_e64 s[16:17], 63, v0
	s_waitcnt lgkmcnt(0)
	s_barrier
	s_waitcnt lgkmcnt(0)
                                        ; implicit-def: $vgpr27
	s_and_saveexec_b64 s[36:37], s[16:17]
	s_cbranch_execz .LBB403_31
; %bb.30:
	v_lshl_add_u32 v11, v25, 2, -4
	ds_read_b32 v27, v11
	s_waitcnt lgkmcnt(0)
	v_add_u32_e32 v10, v27, v10
.LBB403_31:
	s_or_b64 exec, exec, s[36:37]
	v_add_u32_e32 v11, -1, v24
	v_and_b32_e32 v12, 64, v24
	v_cmp_lt_i32_e64 s[16:17], v11, v12
	v_cndmask_b32_e64 v11, v11, v24, s[16:17]
	v_lshlrev_b32_e32 v11, 2, v11
	ds_bpermute_b32 v28, v11, v10
	v_cmp_eq_u32_e64 s[16:17], 0, v24
	s_and_saveexec_b64 s[36:37], vcc
	s_cbranch_execz .LBB403_54
; %bb.32:
	v_mov_b32_e32 v19, 0
	ds_read_b32 v10, v19 offset:8
	s_and_saveexec_b64 s[38:39], s[16:17]
	s_cbranch_execz .LBB403_34
; %bb.33:
	s_add_i32 s40, s6, 64
	s_mov_b32 s41, 0
	s_lshl_b64 s[40:41], s[40:41], 3
	s_add_u32 s40, s34, s40
	v_mov_b32_e32 v11, 1
	s_addc_u32 s41, s35, s41
	s_waitcnt lgkmcnt(0)
	global_store_dwordx2 v19, v[10:11], s[40:41]
.LBB403_34:
	s_or_b64 exec, exec, s[38:39]
	v_xad_u32 v12, v24, -1, s6
	v_add_u32_e32 v18, 64, v12
	v_lshlrev_b64 v[14:15], 3, v[18:19]
	v_mov_b32_e32 v11, s35
	v_add_co_u32_e32 v14, vcc, s34, v14
	v_addc_co_u32_e32 v15, vcc, v11, v15, vcc
	global_load_dwordx2 v[16:17], v[14:15], off glc
	s_waitcnt vmcnt(0)
	v_cmp_eq_u16_sdwa s[40:41], v17, v19 src0_sel:BYTE_0 src1_sel:DWORD
	s_and_saveexec_b64 s[38:39], s[40:41]
	s_cbranch_execz .LBB403_40
; %bb.35:
	s_mov_b32 s7, 1
	s_mov_b64 s[40:41], 0
	v_mov_b32_e32 v11, 0
.LBB403_36:                             ; =>This Loop Header: Depth=1
                                        ;     Child Loop BB403_37 Depth 2
	s_max_u32 s42, s7, 1
.LBB403_37:                             ;   Parent Loop BB403_36 Depth=1
                                        ; =>  This Inner Loop Header: Depth=2
	s_add_i32 s42, s42, -1
	s_cmp_eq_u32 s42, 0
	s_sleep 1
	s_cbranch_scc0 .LBB403_37
; %bb.38:                               ;   in Loop: Header=BB403_36 Depth=1
	global_load_dwordx2 v[16:17], v[14:15], off glc
	s_cmp_lt_u32 s7, 32
	s_cselect_b64 s[42:43], -1, 0
	s_cmp_lg_u64 s[42:43], 0
	s_addc_u32 s7, s7, 0
	s_waitcnt vmcnt(0)
	v_cmp_ne_u16_sdwa s[42:43], v17, v11 src0_sel:BYTE_0 src1_sel:DWORD
	s_or_b64 s[40:41], s[42:43], s[40:41]
	s_andn2_b64 exec, exec, s[40:41]
	s_cbranch_execnz .LBB403_36
; %bb.39:
	s_or_b64 exec, exec, s[40:41]
.LBB403_40:
	s_or_b64 exec, exec, s[38:39]
	v_and_b32_e32 v30, 63, v24
	v_mov_b32_e32 v29, 2
	v_cmp_ne_u32_e32 vcc, 63, v30
	v_cmp_eq_u16_sdwa s[38:39], v17, v29 src0_sel:BYTE_0 src1_sel:DWORD
	v_lshlrev_b64 v[14:15], v24, -1
	v_addc_co_u32_e32 v18, vcc, 0, v24, vcc
	v_and_b32_e32 v11, s39, v15
	v_lshlrev_b32_e32 v31, 2, v18
	v_or_b32_e32 v11, 0x80000000, v11
	ds_bpermute_b32 v18, v31, v16
	v_and_b32_e32 v13, s38, v14
	v_ffbl_b32_e32 v11, v11
	v_add_u32_e32 v11, 32, v11
	v_ffbl_b32_e32 v13, v13
	v_min_u32_e32 v11, v13, v11
	v_cmp_lt_u32_e32 vcc, v30, v11
	s_waitcnt lgkmcnt(0)
	v_cndmask_b32_e32 v13, 0, v18, vcc
	v_cmp_gt_u32_e32 vcc, 62, v30
	v_add_u32_e32 v13, v13, v16
	v_cndmask_b32_e64 v16, 0, 1, vcc
	v_lshlrev_b32_e32 v16, 1, v16
	v_add_lshl_u32 v32, v16, v24, 2
	ds_bpermute_b32 v16, v32, v13
	v_add_u32_e32 v33, 2, v30
	v_cmp_le_u32_e32 vcc, v33, v11
	v_add_u32_e32 v35, 4, v30
	v_add_u32_e32 v37, 8, v30
	s_waitcnt lgkmcnt(0)
	v_cndmask_b32_e32 v16, 0, v16, vcc
	v_cmp_gt_u32_e32 vcc, 60, v30
	v_add_u32_e32 v13, v13, v16
	v_cndmask_b32_e64 v16, 0, 1, vcc
	v_lshlrev_b32_e32 v16, 2, v16
	v_add_lshl_u32 v34, v16, v24, 2
	ds_bpermute_b32 v16, v34, v13
	v_cmp_le_u32_e32 vcc, v35, v11
	v_add_u32_e32 v39, 16, v30
	v_add_u32_e32 v41, 32, v30
	s_waitcnt lgkmcnt(0)
	v_cndmask_b32_e32 v16, 0, v16, vcc
	v_cmp_gt_u32_e32 vcc, 56, v30
	v_add_u32_e32 v13, v13, v16
	v_cndmask_b32_e64 v16, 0, 1, vcc
	v_lshlrev_b32_e32 v16, 3, v16
	v_add_lshl_u32 v36, v16, v24, 2
	ds_bpermute_b32 v16, v36, v13
	v_cmp_le_u32_e32 vcc, v37, v11
	s_waitcnt lgkmcnt(0)
	v_cndmask_b32_e32 v16, 0, v16, vcc
	v_cmp_gt_u32_e32 vcc, 48, v30
	v_add_u32_e32 v13, v13, v16
	v_cndmask_b32_e64 v16, 0, 1, vcc
	v_lshlrev_b32_e32 v16, 4, v16
	v_add_lshl_u32 v38, v16, v24, 2
	ds_bpermute_b32 v16, v38, v13
	v_cmp_le_u32_e32 vcc, v39, v11
	;; [unrolled: 9-line block ×3, first 2 shown]
	s_waitcnt lgkmcnt(0)
	v_cndmask_b32_e32 v11, 0, v16, vcc
	v_add_u32_e32 v16, v13, v11
	v_mov_b32_e32 v13, 0
	s_branch .LBB403_42
.LBB403_41:                             ;   in Loop: Header=BB403_42 Depth=1
	s_or_b64 exec, exec, s[38:39]
	v_cmp_eq_u16_sdwa s[38:39], v17, v29 src0_sel:BYTE_0 src1_sel:DWORD
	v_and_b32_e32 v18, s39, v15
	v_or_b32_e32 v18, 0x80000000, v18
	ds_bpermute_b32 v42, v31, v16
	v_and_b32_e32 v19, s38, v14
	v_ffbl_b32_e32 v18, v18
	v_add_u32_e32 v18, 32, v18
	v_ffbl_b32_e32 v19, v19
	v_min_u32_e32 v18, v19, v18
	v_cmp_lt_u32_e32 vcc, v30, v18
	s_waitcnt lgkmcnt(0)
	v_cndmask_b32_e32 v19, 0, v42, vcc
	v_add_u32_e32 v16, v19, v16
	ds_bpermute_b32 v19, v32, v16
	v_cmp_le_u32_e32 vcc, v33, v18
	v_subrev_u32_e32 v12, 64, v12
	s_waitcnt lgkmcnt(0)
	v_cndmask_b32_e32 v19, 0, v19, vcc
	v_add_u32_e32 v16, v16, v19
	ds_bpermute_b32 v19, v34, v16
	v_cmp_le_u32_e32 vcc, v35, v18
	s_waitcnt lgkmcnt(0)
	v_cndmask_b32_e32 v19, 0, v19, vcc
	v_add_u32_e32 v16, v16, v19
	ds_bpermute_b32 v19, v36, v16
	v_cmp_le_u32_e32 vcc, v37, v18
	;; [unrolled: 5-line block ×4, first 2 shown]
	s_waitcnt lgkmcnt(0)
	v_cndmask_b32_e32 v18, 0, v19, vcc
	v_add3_u32 v16, v18, v11, v16
.LBB403_42:                             ; =>This Loop Header: Depth=1
                                        ;     Child Loop BB403_45 Depth 2
                                        ;       Child Loop BB403_46 Depth 3
	v_cmp_ne_u16_sdwa s[38:39], v17, v29 src0_sel:BYTE_0 src1_sel:DWORD
	v_cndmask_b32_e64 v11, 0, 1, s[38:39]
	;;#ASMSTART
	;;#ASMEND
	v_cmp_ne_u32_e32 vcc, 0, v11
	s_cmp_lg_u64 vcc, exec
	v_mov_b32_e32 v11, v16
	s_cbranch_scc1 .LBB403_49
; %bb.43:                               ;   in Loop: Header=BB403_42 Depth=1
	v_lshlrev_b64 v[16:17], 3, v[12:13]
	v_mov_b32_e32 v19, s35
	v_add_co_u32_e32 v18, vcc, s34, v16
	v_addc_co_u32_e32 v19, vcc, v19, v17, vcc
	global_load_dwordx2 v[16:17], v[18:19], off glc
	s_waitcnt vmcnt(0)
	v_cmp_eq_u16_sdwa s[40:41], v17, v13 src0_sel:BYTE_0 src1_sel:DWORD
	s_and_saveexec_b64 s[38:39], s[40:41]
	s_cbranch_execz .LBB403_41
; %bb.44:                               ;   in Loop: Header=BB403_42 Depth=1
	s_mov_b32 s7, 1
	s_mov_b64 s[40:41], 0
.LBB403_45:                             ;   Parent Loop BB403_42 Depth=1
                                        ; =>  This Loop Header: Depth=2
                                        ;       Child Loop BB403_46 Depth 3
	s_max_u32 s42, s7, 1
.LBB403_46:                             ;   Parent Loop BB403_42 Depth=1
                                        ;     Parent Loop BB403_45 Depth=2
                                        ; =>    This Inner Loop Header: Depth=3
	s_add_i32 s42, s42, -1
	s_cmp_eq_u32 s42, 0
	s_sleep 1
	s_cbranch_scc0 .LBB403_46
; %bb.47:                               ;   in Loop: Header=BB403_45 Depth=2
	global_load_dwordx2 v[16:17], v[18:19], off glc
	s_cmp_lt_u32 s7, 32
	s_cselect_b64 s[42:43], -1, 0
	s_cmp_lg_u64 s[42:43], 0
	s_addc_u32 s7, s7, 0
	s_waitcnt vmcnt(0)
	v_cmp_ne_u16_sdwa s[42:43], v17, v13 src0_sel:BYTE_0 src1_sel:DWORD
	s_or_b64 s[40:41], s[42:43], s[40:41]
	s_andn2_b64 exec, exec, s[40:41]
	s_cbranch_execnz .LBB403_45
; %bb.48:                               ;   in Loop: Header=BB403_42 Depth=1
	s_or_b64 exec, exec, s[40:41]
	s_branch .LBB403_41
.LBB403_49:                             ;   in Loop: Header=BB403_42 Depth=1
                                        ; implicit-def: $vgpr16
                                        ; implicit-def: $vgpr17
	s_cbranch_execz .LBB403_42
; %bb.50:
	s_and_saveexec_b64 s[38:39], s[16:17]
	s_cbranch_execz .LBB403_52
; %bb.51:
	s_add_i32 s6, s6, 64
	s_mov_b32 s7, 0
	s_lshl_b64 s[6:7], s[6:7], 3
	s_add_u32 s6, s34, s6
	v_add_u32_e32 v12, v11, v10
	v_mov_b32_e32 v13, 2
	s_addc_u32 s7, s35, s7
	v_mov_b32_e32 v14, 0
	global_store_dwordx2 v14, v[12:13], s[6:7]
	ds_write_b64 v14, v[10:11] offset:6336
.LBB403_52:
	s_or_b64 exec, exec, s[38:39]
	v_cmp_eq_u32_e32 vcc, 0, v0
	s_and_b64 exec, exec, vcc
	s_cbranch_execz .LBB403_54
; %bb.53:
	v_mov_b32_e32 v10, 0
	ds_write_b32 v10, v11 offset:8
.LBB403_54:
	s_or_b64 exec, exec, s[36:37]
	v_mov_b32_e32 v10, 0
	s_waitcnt lgkmcnt(0)
	s_barrier
	ds_read_b32 v11, v10 offset:8
	v_cndmask_b32_e64 v12, v28, v27, s[16:17]
	v_cmp_ne_u32_e32 vcc, 0, v0
	v_cndmask_b32_e32 v12, 0, v12, vcc
	s_waitcnt lgkmcnt(0)
	v_add_u32_e32 v14, v11, v12
	s_barrier
	ds_read_b64 v[10:11], v10 offset:6336
	v_add_u32_sdwa v15, v14, v22 dst_sel:DWORD dst_unused:UNUSED_PAD src0_sel:DWORD src1_sel:BYTE_0
	v_add_u32_sdwa v13, v15, v22 dst_sel:DWORD dst_unused:UNUSED_PAD src0_sel:DWORD src1_sel:BYTE_1
	v_add_u32_e32 v12, v13, v23
	s_branch .LBB403_65
.LBB403_55:
                                        ; implicit-def: $vgpr11
                                        ; implicit-def: $vgpr12
                                        ; implicit-def: $vgpr13
                                        ; implicit-def: $vgpr15
                                        ; implicit-def: $vgpr14
	s_cbranch_execz .LBB403_65
; %bb.56:
	s_waitcnt lgkmcnt(0)
	v_mov_b32_dpp v10, v26 row_shr:1 row_mask:0xf bank_mask:0xf
	v_cndmask_b32_e64 v10, v10, 0, s[14:15]
	v_add_u32_e32 v10, v10, v26
	s_nop 1
	v_mov_b32_dpp v11, v10 row_shr:2 row_mask:0xf bank_mask:0xf
	v_cndmask_b32_e64 v11, 0, v11, s[12:13]
	v_add_u32_e32 v10, v10, v11
	s_nop 1
	;; [unrolled: 4-line block ×4, first 2 shown]
	v_mov_b32_dpp v11, v10 row_bcast:15 row_mask:0xf bank_mask:0xf
	v_cndmask_b32_e64 v11, v11, 0, s[2:3]
	v_add_u32_e32 v10, v10, v11
	s_nop 1
	v_mov_b32_dpp v11, v10 row_bcast:31 row_mask:0xf bank_mask:0xf
	v_cndmask_b32_e64 v11, 0, v11, s[0:1]
	v_add_u32_e32 v10, v10, v11
	s_and_saveexec_b64 s[0:1], s[18:19]
	s_cbranch_execz .LBB403_58
; %bb.57:
	v_lshlrev_b32_e32 v11, 2, v25
	ds_write_b32 v11, v10
.LBB403_58:
	s_or_b64 exec, exec, s[0:1]
	v_cmp_gt_u32_e32 vcc, 3, v0
	s_waitcnt lgkmcnt(0)
	s_barrier
	s_and_saveexec_b64 s[0:1], vcc
	s_cbranch_execz .LBB403_60
; %bb.59:
	ds_read_b32 v11, v20
	v_and_b32_e32 v12, 3, v24
	v_cmp_ne_u32_e32 vcc, 0, v12
	s_waitcnt lgkmcnt(0)
	v_mov_b32_dpp v13, v11 row_shr:1 row_mask:0xf bank_mask:0xf
	v_cndmask_b32_e32 v13, 0, v13, vcc
	v_add_u32_e32 v11, v13, v11
	v_cmp_lt_u32_e32 vcc, 1, v12
	s_nop 0
	v_mov_b32_dpp v13, v11 row_shr:2 row_mask:0xf bank_mask:0xf
	v_cndmask_b32_e32 v12, 0, v13, vcc
	v_add_u32_e32 v11, v11, v12
	ds_write_b32 v20, v11
.LBB403_60:
	s_or_b64 exec, exec, s[0:1]
	v_cmp_lt_u32_e32 vcc, 63, v0
	v_mov_b32_e32 v11, 0
	v_mov_b32_e32 v12, 0
	s_waitcnt lgkmcnt(0)
	s_barrier
	s_and_saveexec_b64 s[0:1], vcc
	s_cbranch_execz .LBB403_62
; %bb.61:
	v_lshl_add_u32 v12, v25, 2, -4
	ds_read_b32 v12, v12
.LBB403_62:
	s_or_b64 exec, exec, s[0:1]
	v_add_u32_e32 v13, -1, v24
	v_and_b32_e32 v14, 64, v24
	v_cmp_lt_i32_e32 vcc, v13, v14
	v_cndmask_b32_e32 v13, v13, v24, vcc
	s_waitcnt lgkmcnt(0)
	v_add_u32_e32 v10, v12, v10
	v_lshlrev_b32_e32 v13, 2, v13
	ds_bpermute_b32 v13, v13, v10
	ds_read_b32 v10, v11 offset:8
	v_cmp_eq_u32_e32 vcc, 0, v0
	s_and_saveexec_b64 s[0:1], vcc
	s_cbranch_execz .LBB403_64
; %bb.63:
	v_mov_b32_e32 v14, 0
	v_mov_b32_e32 v11, 2
	s_waitcnt lgkmcnt(0)
	global_store_dwordx2 v14, v[10:11], s[34:35] offset:512
.LBB403_64:
	s_or_b64 exec, exec, s[0:1]
	v_cmp_eq_u32_e64 s[0:1], 0, v24
	s_waitcnt lgkmcnt(1)
	v_cndmask_b32_e64 v12, v13, v12, s[0:1]
	v_cndmask_b32_e64 v14, v12, 0, vcc
	v_add_u32_sdwa v15, v14, v22 dst_sel:DWORD dst_unused:UNUSED_PAD src0_sel:DWORD src1_sel:BYTE_0
	v_add_u32_sdwa v13, v15, v22 dst_sel:DWORD dst_unused:UNUSED_PAD src0_sel:DWORD src1_sel:BYTE_1
	v_mov_b32_e32 v11, 0
	v_add_u32_e32 v12, v13, v23
	s_waitcnt lgkmcnt(0)
	s_barrier
.LBB403_65:
	s_waitcnt lgkmcnt(0)
	v_add_u32_e32 v17, v10, v20
	v_sub_u32_e32 v14, v14, v11
	v_and_b32_e32 v19, 1, v22
	v_sub_u32_e32 v18, v17, v14
	v_cmp_eq_u32_e32 vcc, 1, v19
	v_cndmask_b32_e32 v14, v18, v14, vcc
	v_lshlrev_b32_e32 v14, 3, v14
	v_lshrrev_b32_e32 v16, 8, v22
	ds_write_b64 v14, v[6:7]
	v_sub_u32_e32 v6, v15, v11
	v_sub_u32_e32 v7, v17, v6
	v_and_b32_e32 v14, 1, v16
	v_add_u32_e32 v7, 1, v7
	v_cmp_eq_u32_e32 vcc, 1, v14
	v_cndmask_b32_e32 v6, v7, v6, vcc
	v_lshlrev_b32_e32 v6, 3, v6
	ds_write_b64 v6, v[8:9]
	v_sub_u32_e32 v6, v13, v11
	v_mov_b32_e32 v8, 1
	v_sub_u32_e32 v7, v17, v6
	v_and_b32_sdwa v8, v8, v22 dst_sel:DWORD dst_unused:UNUSED_PAD src0_sel:DWORD src1_sel:WORD_1
	v_add_u32_e32 v7, 2, v7
	v_cmp_eq_u32_e32 vcc, 1, v8
	v_cndmask_b32_e32 v6, v7, v6, vcc
	v_lshlrev_b32_e32 v6, 3, v6
	ds_write_b64 v6, v[2:3]
	v_sub_u32_e32 v2, v12, v11
	v_sub_u32_e32 v3, v17, v2
	v_and_b32_e32 v6, 1, v21
	v_add_u32_e32 v3, 3, v3
	v_cmp_eq_u32_e32 vcc, 1, v6
	v_cndmask_b32_e32 v2, v3, v2, vcc
	v_mov_b32_e32 v12, s31
	v_add_co_u32_e32 v20, vcc, s30, v11
	v_addc_co_u32_e32 v21, vcc, 0, v12, vcc
	s_load_dwordx4 s[0:3], s[4:5], 0x30
	v_add_co_u32_e32 v12, vcc, v20, v10
	v_addc_co_u32_e32 v13, vcc, 0, v21, vcc
	v_mov_b32_e32 v11, s27
	v_sub_co_u32_e32 v16, vcc, s26, v12
	v_subb_co_u32_e32 v17, vcc, v11, v13, vcc
	v_lshlrev_b32_e32 v2, 3, v2
	v_lshlrev_b64 v[16:17], 3, v[16:17]
	ds_write_b64 v2, v[4:5]
	s_waitcnt lgkmcnt(0)
	s_barrier
	ds_read2st64_b64 v[6:9], v1 offset1:3
	ds_read2st64_b64 v[2:5], v1 offset0:6 offset1:9
	v_mov_b32_e32 v11, s3
	v_add_co_u32_e32 v16, vcc, s2, v16
	v_addc_co_u32_e32 v17, vcc, v11, v17, vcc
	v_mov_b32_e32 v18, s29
	v_add_co_u32_e32 v11, vcc, s28, v16
	v_lshlrev_b64 v[20:21], 3, v[20:21]
	v_addc_co_u32_e32 v16, vcc, v17, v18, vcc
	v_mov_b32_e32 v18, s1
	v_add_co_u32_e64 v17, s[0:1], s0, v20
	v_add_u32_e32 v19, 0xc0, v0
	v_add_u32_e32 v15, 0x180, v0
	;; [unrolled: 1-line block ×3, first 2 shown]
	s_andn2_b64 vcc, exec, s[24:25]
	v_addc_co_u32_e64 v18, s[0:1], v18, v21, s[0:1]
	s_cbranch_vccnz .LBB403_67
; %bb.66:
	v_cmp_lt_u32_e32 vcc, v0, v10
	v_cndmask_b32_e32 v20, v11, v17, vcc
	v_cndmask_b32_e32 v21, v16, v18, vcc
	v_add_co_u32_e32 v20, vcc, v20, v1
	v_addc_co_u32_e32 v21, vcc, 0, v21, vcc
	v_cmp_lt_u32_e32 vcc, v19, v10
	s_waitcnt lgkmcnt(1)
	global_store_dwordx2 v[20:21], v[6:7], off
	v_cndmask_b32_e32 v20, v11, v17, vcc
	v_cndmask_b32_e32 v21, v16, v18, vcc
	v_add_co_u32_e32 v20, vcc, v20, v1
	v_addc_co_u32_e32 v21, vcc, 0, v21, vcc
	v_cmp_lt_u32_e32 vcc, v15, v10
	global_store_dwordx2 v[20:21], v[8:9], off offset:1536
	v_cndmask_b32_e32 v20, v11, v17, vcc
	v_cndmask_b32_e32 v21, v16, v18, vcc
	v_add_co_u32_e32 v20, vcc, v20, v1
	v_addc_co_u32_e32 v21, vcc, 0, v21, vcc
	s_mov_b64 s[0:1], -1
	s_waitcnt lgkmcnt(0)
	global_store_dwordx2 v[20:21], v[2:3], off offset:3072
	s_cbranch_execz .LBB403_68
	s_branch .LBB403_73
.LBB403_67:
	s_mov_b64 s[0:1], 0
.LBB403_68:
	v_cmp_gt_u32_e32 vcc, s33, v0
	s_and_saveexec_b64 s[0:1], vcc
	s_cbranch_execnz .LBB403_78
; %bb.69:
	s_or_b64 exec, exec, s[0:1]
	v_cmp_gt_u32_e32 vcc, s33, v19
	s_and_saveexec_b64 s[0:1], vcc
	s_cbranch_execnz .LBB403_79
.LBB403_70:
	s_or_b64 exec, exec, s[0:1]
	v_cmp_gt_u32_e32 vcc, s33, v15
	s_and_saveexec_b64 s[0:1], vcc
	s_cbranch_execz .LBB403_72
.LBB403_71:
	v_cmp_lt_u32_e32 vcc, v15, v10
	s_waitcnt lgkmcnt(1)
	v_cndmask_b32_e32 v6, v11, v17, vcc
	v_cndmask_b32_e32 v7, v16, v18, vcc
	v_add_co_u32_e32 v6, vcc, v6, v1
	v_addc_co_u32_e32 v7, vcc, 0, v7, vcc
	s_waitcnt lgkmcnt(0)
	global_store_dwordx2 v[6:7], v[2:3], off offset:3072
.LBB403_72:
	s_or_b64 exec, exec, s[0:1]
	v_cmp_gt_u32_e64 s[0:1], s33, v14
.LBB403_73:
	s_and_saveexec_b64 s[2:3], s[0:1]
	s_cbranch_execz .LBB403_75
; %bb.74:
	v_cmp_lt_u32_e32 vcc, v14, v10
	s_waitcnt lgkmcnt(0)
	v_cndmask_b32_e32 v2, v11, v17, vcc
	v_lshlrev_b32_e32 v3, 3, v14
	v_cndmask_b32_e32 v1, v16, v18, vcc
	v_add_co_u32_e32 v2, vcc, v2, v3
	v_addc_co_u32_e32 v3, vcc, 0, v1, vcc
	global_store_dwordx2 v[2:3], v[4:5], off
.LBB403_75:
	s_or_b64 exec, exec, s[2:3]
	v_cmp_eq_u32_e32 vcc, 0, v0
	s_and_b64 s[0:1], vcc, s[22:23]
	s_and_saveexec_b64 s[2:3], s[0:1]
	s_cbranch_execz .LBB403_77
; %bb.76:
	v_mov_b32_e32 v0, 0
	global_store_dwordx2 v0, v[12:13], s[20:21]
.LBB403_77:
	s_endpgm
.LBB403_78:
	v_cmp_lt_u32_e32 vcc, v0, v10
	v_cndmask_b32_e32 v20, v11, v17, vcc
	v_cndmask_b32_e32 v21, v16, v18, vcc
	v_add_co_u32_e32 v20, vcc, v20, v1
	v_addc_co_u32_e32 v21, vcc, 0, v21, vcc
	s_waitcnt lgkmcnt(1)
	global_store_dwordx2 v[20:21], v[6:7], off
	s_or_b64 exec, exec, s[0:1]
	v_cmp_gt_u32_e32 vcc, s33, v19
	s_and_saveexec_b64 s[0:1], vcc
	s_cbranch_execz .LBB403_70
.LBB403_79:
	v_cmp_lt_u32_e32 vcc, v19, v10
	s_waitcnt lgkmcnt(1)
	v_cndmask_b32_e32 v6, v11, v17, vcc
	v_cndmask_b32_e32 v7, v16, v18, vcc
	v_add_co_u32_e32 v6, vcc, v6, v1
	v_addc_co_u32_e32 v7, vcc, 0, v7, vcc
	global_store_dwordx2 v[6:7], v[8:9], off offset:1536
	s_or_b64 exec, exec, s[0:1]
	v_cmp_gt_u32_e32 vcc, s33, v15
	s_and_saveexec_b64 s[0:1], vcc
	s_cbranch_execnz .LBB403_71
	s_branch .LBB403_72
	.section	.rodata,"a",@progbits
	.p2align	6, 0x0
	.amdhsa_kernel _ZN7rocprim17ROCPRIM_400000_NS6detail17trampoline_kernelINS0_14default_configENS1_25partition_config_selectorILNS1_17partition_subalgoE1ExNS0_10empty_typeEbEEZZNS1_14partition_implILS5_1ELb0ES3_jN6thrust23THRUST_200600_302600_NS6detail15normal_iteratorINSA_10device_ptrIxEEEEPS6_NSA_18transform_iteratorI7is_evenIxESF_NSA_11use_defaultESK_EENS0_5tupleIJSF_SF_EEENSM_IJSG_SG_EEES6_PlJS6_EEE10hipError_tPvRmT3_T4_T5_T6_T7_T9_mT8_P12ihipStream_tbDpT10_ENKUlT_T0_E_clISt17integral_constantIbLb1EES18_IbLb0EEEEDaS14_S15_EUlS14_E_NS1_11comp_targetILNS1_3genE4ELNS1_11target_archE910ELNS1_3gpuE8ELNS1_3repE0EEENS1_30default_config_static_selectorELNS0_4arch9wavefront6targetE1EEEvT1_
		.amdhsa_group_segment_fixed_size 6344
		.amdhsa_private_segment_fixed_size 0
		.amdhsa_kernarg_size 128
		.amdhsa_user_sgpr_count 6
		.amdhsa_user_sgpr_private_segment_buffer 1
		.amdhsa_user_sgpr_dispatch_ptr 0
		.amdhsa_user_sgpr_queue_ptr 0
		.amdhsa_user_sgpr_kernarg_segment_ptr 1
		.amdhsa_user_sgpr_dispatch_id 0
		.amdhsa_user_sgpr_flat_scratch_init 0
		.amdhsa_user_sgpr_kernarg_preload_length 0
		.amdhsa_user_sgpr_kernarg_preload_offset 0
		.amdhsa_user_sgpr_private_segment_size 0
		.amdhsa_uses_dynamic_stack 0
		.amdhsa_system_sgpr_private_segment_wavefront_offset 0
		.amdhsa_system_sgpr_workgroup_id_x 1
		.amdhsa_system_sgpr_workgroup_id_y 0
		.amdhsa_system_sgpr_workgroup_id_z 0
		.amdhsa_system_sgpr_workgroup_info 0
		.amdhsa_system_vgpr_workitem_id 0
		.amdhsa_next_free_vgpr 43
		.amdhsa_next_free_sgpr 44
		.amdhsa_accum_offset 44
		.amdhsa_reserve_vcc 1
		.amdhsa_reserve_flat_scratch 0
		.amdhsa_float_round_mode_32 0
		.amdhsa_float_round_mode_16_64 0
		.amdhsa_float_denorm_mode_32 3
		.amdhsa_float_denorm_mode_16_64 3
		.amdhsa_dx10_clamp 1
		.amdhsa_ieee_mode 1
		.amdhsa_fp16_overflow 0
		.amdhsa_tg_split 0
		.amdhsa_exception_fp_ieee_invalid_op 0
		.amdhsa_exception_fp_denorm_src 0
		.amdhsa_exception_fp_ieee_div_zero 0
		.amdhsa_exception_fp_ieee_overflow 0
		.amdhsa_exception_fp_ieee_underflow 0
		.amdhsa_exception_fp_ieee_inexact 0
		.amdhsa_exception_int_div_zero 0
	.end_amdhsa_kernel
	.section	.text._ZN7rocprim17ROCPRIM_400000_NS6detail17trampoline_kernelINS0_14default_configENS1_25partition_config_selectorILNS1_17partition_subalgoE1ExNS0_10empty_typeEbEEZZNS1_14partition_implILS5_1ELb0ES3_jN6thrust23THRUST_200600_302600_NS6detail15normal_iteratorINSA_10device_ptrIxEEEEPS6_NSA_18transform_iteratorI7is_evenIxESF_NSA_11use_defaultESK_EENS0_5tupleIJSF_SF_EEENSM_IJSG_SG_EEES6_PlJS6_EEE10hipError_tPvRmT3_T4_T5_T6_T7_T9_mT8_P12ihipStream_tbDpT10_ENKUlT_T0_E_clISt17integral_constantIbLb1EES18_IbLb0EEEEDaS14_S15_EUlS14_E_NS1_11comp_targetILNS1_3genE4ELNS1_11target_archE910ELNS1_3gpuE8ELNS1_3repE0EEENS1_30default_config_static_selectorELNS0_4arch9wavefront6targetE1EEEvT1_,"axG",@progbits,_ZN7rocprim17ROCPRIM_400000_NS6detail17trampoline_kernelINS0_14default_configENS1_25partition_config_selectorILNS1_17partition_subalgoE1ExNS0_10empty_typeEbEEZZNS1_14partition_implILS5_1ELb0ES3_jN6thrust23THRUST_200600_302600_NS6detail15normal_iteratorINSA_10device_ptrIxEEEEPS6_NSA_18transform_iteratorI7is_evenIxESF_NSA_11use_defaultESK_EENS0_5tupleIJSF_SF_EEENSM_IJSG_SG_EEES6_PlJS6_EEE10hipError_tPvRmT3_T4_T5_T6_T7_T9_mT8_P12ihipStream_tbDpT10_ENKUlT_T0_E_clISt17integral_constantIbLb1EES18_IbLb0EEEEDaS14_S15_EUlS14_E_NS1_11comp_targetILNS1_3genE4ELNS1_11target_archE910ELNS1_3gpuE8ELNS1_3repE0EEENS1_30default_config_static_selectorELNS0_4arch9wavefront6targetE1EEEvT1_,comdat
.Lfunc_end403:
	.size	_ZN7rocprim17ROCPRIM_400000_NS6detail17trampoline_kernelINS0_14default_configENS1_25partition_config_selectorILNS1_17partition_subalgoE1ExNS0_10empty_typeEbEEZZNS1_14partition_implILS5_1ELb0ES3_jN6thrust23THRUST_200600_302600_NS6detail15normal_iteratorINSA_10device_ptrIxEEEEPS6_NSA_18transform_iteratorI7is_evenIxESF_NSA_11use_defaultESK_EENS0_5tupleIJSF_SF_EEENSM_IJSG_SG_EEES6_PlJS6_EEE10hipError_tPvRmT3_T4_T5_T6_T7_T9_mT8_P12ihipStream_tbDpT10_ENKUlT_T0_E_clISt17integral_constantIbLb1EES18_IbLb0EEEEDaS14_S15_EUlS14_E_NS1_11comp_targetILNS1_3genE4ELNS1_11target_archE910ELNS1_3gpuE8ELNS1_3repE0EEENS1_30default_config_static_selectorELNS0_4arch9wavefront6targetE1EEEvT1_, .Lfunc_end403-_ZN7rocprim17ROCPRIM_400000_NS6detail17trampoline_kernelINS0_14default_configENS1_25partition_config_selectorILNS1_17partition_subalgoE1ExNS0_10empty_typeEbEEZZNS1_14partition_implILS5_1ELb0ES3_jN6thrust23THRUST_200600_302600_NS6detail15normal_iteratorINSA_10device_ptrIxEEEEPS6_NSA_18transform_iteratorI7is_evenIxESF_NSA_11use_defaultESK_EENS0_5tupleIJSF_SF_EEENSM_IJSG_SG_EEES6_PlJS6_EEE10hipError_tPvRmT3_T4_T5_T6_T7_T9_mT8_P12ihipStream_tbDpT10_ENKUlT_T0_E_clISt17integral_constantIbLb1EES18_IbLb0EEEEDaS14_S15_EUlS14_E_NS1_11comp_targetILNS1_3genE4ELNS1_11target_archE910ELNS1_3gpuE8ELNS1_3repE0EEENS1_30default_config_static_selectorELNS0_4arch9wavefront6targetE1EEEvT1_
                                        ; -- End function
	.section	.AMDGPU.csdata,"",@progbits
; Kernel info:
; codeLenInByte = 4004
; NumSgprs: 48
; NumVgprs: 43
; NumAgprs: 0
; TotalNumVgprs: 43
; ScratchSize: 0
; MemoryBound: 0
; FloatMode: 240
; IeeeMode: 1
; LDSByteSize: 6344 bytes/workgroup (compile time only)
; SGPRBlocks: 5
; VGPRBlocks: 5
; NumSGPRsForWavesPerEU: 48
; NumVGPRsForWavesPerEU: 43
; AccumOffset: 44
; Occupancy: 8
; WaveLimiterHint : 1
; COMPUTE_PGM_RSRC2:SCRATCH_EN: 0
; COMPUTE_PGM_RSRC2:USER_SGPR: 6
; COMPUTE_PGM_RSRC2:TRAP_HANDLER: 0
; COMPUTE_PGM_RSRC2:TGID_X_EN: 1
; COMPUTE_PGM_RSRC2:TGID_Y_EN: 0
; COMPUTE_PGM_RSRC2:TGID_Z_EN: 0
; COMPUTE_PGM_RSRC2:TIDIG_COMP_CNT: 0
; COMPUTE_PGM_RSRC3_GFX90A:ACCUM_OFFSET: 10
; COMPUTE_PGM_RSRC3_GFX90A:TG_SPLIT: 0
	.section	.text._ZN7rocprim17ROCPRIM_400000_NS6detail17trampoline_kernelINS0_14default_configENS1_25partition_config_selectorILNS1_17partition_subalgoE1ExNS0_10empty_typeEbEEZZNS1_14partition_implILS5_1ELb0ES3_jN6thrust23THRUST_200600_302600_NS6detail15normal_iteratorINSA_10device_ptrIxEEEEPS6_NSA_18transform_iteratorI7is_evenIxESF_NSA_11use_defaultESK_EENS0_5tupleIJSF_SF_EEENSM_IJSG_SG_EEES6_PlJS6_EEE10hipError_tPvRmT3_T4_T5_T6_T7_T9_mT8_P12ihipStream_tbDpT10_ENKUlT_T0_E_clISt17integral_constantIbLb1EES18_IbLb0EEEEDaS14_S15_EUlS14_E_NS1_11comp_targetILNS1_3genE3ELNS1_11target_archE908ELNS1_3gpuE7ELNS1_3repE0EEENS1_30default_config_static_selectorELNS0_4arch9wavefront6targetE1EEEvT1_,"axG",@progbits,_ZN7rocprim17ROCPRIM_400000_NS6detail17trampoline_kernelINS0_14default_configENS1_25partition_config_selectorILNS1_17partition_subalgoE1ExNS0_10empty_typeEbEEZZNS1_14partition_implILS5_1ELb0ES3_jN6thrust23THRUST_200600_302600_NS6detail15normal_iteratorINSA_10device_ptrIxEEEEPS6_NSA_18transform_iteratorI7is_evenIxESF_NSA_11use_defaultESK_EENS0_5tupleIJSF_SF_EEENSM_IJSG_SG_EEES6_PlJS6_EEE10hipError_tPvRmT3_T4_T5_T6_T7_T9_mT8_P12ihipStream_tbDpT10_ENKUlT_T0_E_clISt17integral_constantIbLb1EES18_IbLb0EEEEDaS14_S15_EUlS14_E_NS1_11comp_targetILNS1_3genE3ELNS1_11target_archE908ELNS1_3gpuE7ELNS1_3repE0EEENS1_30default_config_static_selectorELNS0_4arch9wavefront6targetE1EEEvT1_,comdat
	.protected	_ZN7rocprim17ROCPRIM_400000_NS6detail17trampoline_kernelINS0_14default_configENS1_25partition_config_selectorILNS1_17partition_subalgoE1ExNS0_10empty_typeEbEEZZNS1_14partition_implILS5_1ELb0ES3_jN6thrust23THRUST_200600_302600_NS6detail15normal_iteratorINSA_10device_ptrIxEEEEPS6_NSA_18transform_iteratorI7is_evenIxESF_NSA_11use_defaultESK_EENS0_5tupleIJSF_SF_EEENSM_IJSG_SG_EEES6_PlJS6_EEE10hipError_tPvRmT3_T4_T5_T6_T7_T9_mT8_P12ihipStream_tbDpT10_ENKUlT_T0_E_clISt17integral_constantIbLb1EES18_IbLb0EEEEDaS14_S15_EUlS14_E_NS1_11comp_targetILNS1_3genE3ELNS1_11target_archE908ELNS1_3gpuE7ELNS1_3repE0EEENS1_30default_config_static_selectorELNS0_4arch9wavefront6targetE1EEEvT1_ ; -- Begin function _ZN7rocprim17ROCPRIM_400000_NS6detail17trampoline_kernelINS0_14default_configENS1_25partition_config_selectorILNS1_17partition_subalgoE1ExNS0_10empty_typeEbEEZZNS1_14partition_implILS5_1ELb0ES3_jN6thrust23THRUST_200600_302600_NS6detail15normal_iteratorINSA_10device_ptrIxEEEEPS6_NSA_18transform_iteratorI7is_evenIxESF_NSA_11use_defaultESK_EENS0_5tupleIJSF_SF_EEENSM_IJSG_SG_EEES6_PlJS6_EEE10hipError_tPvRmT3_T4_T5_T6_T7_T9_mT8_P12ihipStream_tbDpT10_ENKUlT_T0_E_clISt17integral_constantIbLb1EES18_IbLb0EEEEDaS14_S15_EUlS14_E_NS1_11comp_targetILNS1_3genE3ELNS1_11target_archE908ELNS1_3gpuE7ELNS1_3repE0EEENS1_30default_config_static_selectorELNS0_4arch9wavefront6targetE1EEEvT1_
	.globl	_ZN7rocprim17ROCPRIM_400000_NS6detail17trampoline_kernelINS0_14default_configENS1_25partition_config_selectorILNS1_17partition_subalgoE1ExNS0_10empty_typeEbEEZZNS1_14partition_implILS5_1ELb0ES3_jN6thrust23THRUST_200600_302600_NS6detail15normal_iteratorINSA_10device_ptrIxEEEEPS6_NSA_18transform_iteratorI7is_evenIxESF_NSA_11use_defaultESK_EENS0_5tupleIJSF_SF_EEENSM_IJSG_SG_EEES6_PlJS6_EEE10hipError_tPvRmT3_T4_T5_T6_T7_T9_mT8_P12ihipStream_tbDpT10_ENKUlT_T0_E_clISt17integral_constantIbLb1EES18_IbLb0EEEEDaS14_S15_EUlS14_E_NS1_11comp_targetILNS1_3genE3ELNS1_11target_archE908ELNS1_3gpuE7ELNS1_3repE0EEENS1_30default_config_static_selectorELNS0_4arch9wavefront6targetE1EEEvT1_
	.p2align	8
	.type	_ZN7rocprim17ROCPRIM_400000_NS6detail17trampoline_kernelINS0_14default_configENS1_25partition_config_selectorILNS1_17partition_subalgoE1ExNS0_10empty_typeEbEEZZNS1_14partition_implILS5_1ELb0ES3_jN6thrust23THRUST_200600_302600_NS6detail15normal_iteratorINSA_10device_ptrIxEEEEPS6_NSA_18transform_iteratorI7is_evenIxESF_NSA_11use_defaultESK_EENS0_5tupleIJSF_SF_EEENSM_IJSG_SG_EEES6_PlJS6_EEE10hipError_tPvRmT3_T4_T5_T6_T7_T9_mT8_P12ihipStream_tbDpT10_ENKUlT_T0_E_clISt17integral_constantIbLb1EES18_IbLb0EEEEDaS14_S15_EUlS14_E_NS1_11comp_targetILNS1_3genE3ELNS1_11target_archE908ELNS1_3gpuE7ELNS1_3repE0EEENS1_30default_config_static_selectorELNS0_4arch9wavefront6targetE1EEEvT1_,@function
_ZN7rocprim17ROCPRIM_400000_NS6detail17trampoline_kernelINS0_14default_configENS1_25partition_config_selectorILNS1_17partition_subalgoE1ExNS0_10empty_typeEbEEZZNS1_14partition_implILS5_1ELb0ES3_jN6thrust23THRUST_200600_302600_NS6detail15normal_iteratorINSA_10device_ptrIxEEEEPS6_NSA_18transform_iteratorI7is_evenIxESF_NSA_11use_defaultESK_EENS0_5tupleIJSF_SF_EEENSM_IJSG_SG_EEES6_PlJS6_EEE10hipError_tPvRmT3_T4_T5_T6_T7_T9_mT8_P12ihipStream_tbDpT10_ENKUlT_T0_E_clISt17integral_constantIbLb1EES18_IbLb0EEEEDaS14_S15_EUlS14_E_NS1_11comp_targetILNS1_3genE3ELNS1_11target_archE908ELNS1_3gpuE7ELNS1_3repE0EEENS1_30default_config_static_selectorELNS0_4arch9wavefront6targetE1EEEvT1_: ; @_ZN7rocprim17ROCPRIM_400000_NS6detail17trampoline_kernelINS0_14default_configENS1_25partition_config_selectorILNS1_17partition_subalgoE1ExNS0_10empty_typeEbEEZZNS1_14partition_implILS5_1ELb0ES3_jN6thrust23THRUST_200600_302600_NS6detail15normal_iteratorINSA_10device_ptrIxEEEEPS6_NSA_18transform_iteratorI7is_evenIxESF_NSA_11use_defaultESK_EENS0_5tupleIJSF_SF_EEENSM_IJSG_SG_EEES6_PlJS6_EEE10hipError_tPvRmT3_T4_T5_T6_T7_T9_mT8_P12ihipStream_tbDpT10_ENKUlT_T0_E_clISt17integral_constantIbLb1EES18_IbLb0EEEEDaS14_S15_EUlS14_E_NS1_11comp_targetILNS1_3genE3ELNS1_11target_archE908ELNS1_3gpuE7ELNS1_3repE0EEENS1_30default_config_static_selectorELNS0_4arch9wavefront6targetE1EEEvT1_
; %bb.0:
	.section	.rodata,"a",@progbits
	.p2align	6, 0x0
	.amdhsa_kernel _ZN7rocprim17ROCPRIM_400000_NS6detail17trampoline_kernelINS0_14default_configENS1_25partition_config_selectorILNS1_17partition_subalgoE1ExNS0_10empty_typeEbEEZZNS1_14partition_implILS5_1ELb0ES3_jN6thrust23THRUST_200600_302600_NS6detail15normal_iteratorINSA_10device_ptrIxEEEEPS6_NSA_18transform_iteratorI7is_evenIxESF_NSA_11use_defaultESK_EENS0_5tupleIJSF_SF_EEENSM_IJSG_SG_EEES6_PlJS6_EEE10hipError_tPvRmT3_T4_T5_T6_T7_T9_mT8_P12ihipStream_tbDpT10_ENKUlT_T0_E_clISt17integral_constantIbLb1EES18_IbLb0EEEEDaS14_S15_EUlS14_E_NS1_11comp_targetILNS1_3genE3ELNS1_11target_archE908ELNS1_3gpuE7ELNS1_3repE0EEENS1_30default_config_static_selectorELNS0_4arch9wavefront6targetE1EEEvT1_
		.amdhsa_group_segment_fixed_size 0
		.amdhsa_private_segment_fixed_size 0
		.amdhsa_kernarg_size 128
		.amdhsa_user_sgpr_count 6
		.amdhsa_user_sgpr_private_segment_buffer 1
		.amdhsa_user_sgpr_dispatch_ptr 0
		.amdhsa_user_sgpr_queue_ptr 0
		.amdhsa_user_sgpr_kernarg_segment_ptr 1
		.amdhsa_user_sgpr_dispatch_id 0
		.amdhsa_user_sgpr_flat_scratch_init 0
		.amdhsa_user_sgpr_kernarg_preload_length 0
		.amdhsa_user_sgpr_kernarg_preload_offset 0
		.amdhsa_user_sgpr_private_segment_size 0
		.amdhsa_uses_dynamic_stack 0
		.amdhsa_system_sgpr_private_segment_wavefront_offset 0
		.amdhsa_system_sgpr_workgroup_id_x 1
		.amdhsa_system_sgpr_workgroup_id_y 0
		.amdhsa_system_sgpr_workgroup_id_z 0
		.amdhsa_system_sgpr_workgroup_info 0
		.amdhsa_system_vgpr_workitem_id 0
		.amdhsa_next_free_vgpr 1
		.amdhsa_next_free_sgpr 0
		.amdhsa_accum_offset 4
		.amdhsa_reserve_vcc 0
		.amdhsa_reserve_flat_scratch 0
		.amdhsa_float_round_mode_32 0
		.amdhsa_float_round_mode_16_64 0
		.amdhsa_float_denorm_mode_32 3
		.amdhsa_float_denorm_mode_16_64 3
		.amdhsa_dx10_clamp 1
		.amdhsa_ieee_mode 1
		.amdhsa_fp16_overflow 0
		.amdhsa_tg_split 0
		.amdhsa_exception_fp_ieee_invalid_op 0
		.amdhsa_exception_fp_denorm_src 0
		.amdhsa_exception_fp_ieee_div_zero 0
		.amdhsa_exception_fp_ieee_overflow 0
		.amdhsa_exception_fp_ieee_underflow 0
		.amdhsa_exception_fp_ieee_inexact 0
		.amdhsa_exception_int_div_zero 0
	.end_amdhsa_kernel
	.section	.text._ZN7rocprim17ROCPRIM_400000_NS6detail17trampoline_kernelINS0_14default_configENS1_25partition_config_selectorILNS1_17partition_subalgoE1ExNS0_10empty_typeEbEEZZNS1_14partition_implILS5_1ELb0ES3_jN6thrust23THRUST_200600_302600_NS6detail15normal_iteratorINSA_10device_ptrIxEEEEPS6_NSA_18transform_iteratorI7is_evenIxESF_NSA_11use_defaultESK_EENS0_5tupleIJSF_SF_EEENSM_IJSG_SG_EEES6_PlJS6_EEE10hipError_tPvRmT3_T4_T5_T6_T7_T9_mT8_P12ihipStream_tbDpT10_ENKUlT_T0_E_clISt17integral_constantIbLb1EES18_IbLb0EEEEDaS14_S15_EUlS14_E_NS1_11comp_targetILNS1_3genE3ELNS1_11target_archE908ELNS1_3gpuE7ELNS1_3repE0EEENS1_30default_config_static_selectorELNS0_4arch9wavefront6targetE1EEEvT1_,"axG",@progbits,_ZN7rocprim17ROCPRIM_400000_NS6detail17trampoline_kernelINS0_14default_configENS1_25partition_config_selectorILNS1_17partition_subalgoE1ExNS0_10empty_typeEbEEZZNS1_14partition_implILS5_1ELb0ES3_jN6thrust23THRUST_200600_302600_NS6detail15normal_iteratorINSA_10device_ptrIxEEEEPS6_NSA_18transform_iteratorI7is_evenIxESF_NSA_11use_defaultESK_EENS0_5tupleIJSF_SF_EEENSM_IJSG_SG_EEES6_PlJS6_EEE10hipError_tPvRmT3_T4_T5_T6_T7_T9_mT8_P12ihipStream_tbDpT10_ENKUlT_T0_E_clISt17integral_constantIbLb1EES18_IbLb0EEEEDaS14_S15_EUlS14_E_NS1_11comp_targetILNS1_3genE3ELNS1_11target_archE908ELNS1_3gpuE7ELNS1_3repE0EEENS1_30default_config_static_selectorELNS0_4arch9wavefront6targetE1EEEvT1_,comdat
.Lfunc_end404:
	.size	_ZN7rocprim17ROCPRIM_400000_NS6detail17trampoline_kernelINS0_14default_configENS1_25partition_config_selectorILNS1_17partition_subalgoE1ExNS0_10empty_typeEbEEZZNS1_14partition_implILS5_1ELb0ES3_jN6thrust23THRUST_200600_302600_NS6detail15normal_iteratorINSA_10device_ptrIxEEEEPS6_NSA_18transform_iteratorI7is_evenIxESF_NSA_11use_defaultESK_EENS0_5tupleIJSF_SF_EEENSM_IJSG_SG_EEES6_PlJS6_EEE10hipError_tPvRmT3_T4_T5_T6_T7_T9_mT8_P12ihipStream_tbDpT10_ENKUlT_T0_E_clISt17integral_constantIbLb1EES18_IbLb0EEEEDaS14_S15_EUlS14_E_NS1_11comp_targetILNS1_3genE3ELNS1_11target_archE908ELNS1_3gpuE7ELNS1_3repE0EEENS1_30default_config_static_selectorELNS0_4arch9wavefront6targetE1EEEvT1_, .Lfunc_end404-_ZN7rocprim17ROCPRIM_400000_NS6detail17trampoline_kernelINS0_14default_configENS1_25partition_config_selectorILNS1_17partition_subalgoE1ExNS0_10empty_typeEbEEZZNS1_14partition_implILS5_1ELb0ES3_jN6thrust23THRUST_200600_302600_NS6detail15normal_iteratorINSA_10device_ptrIxEEEEPS6_NSA_18transform_iteratorI7is_evenIxESF_NSA_11use_defaultESK_EENS0_5tupleIJSF_SF_EEENSM_IJSG_SG_EEES6_PlJS6_EEE10hipError_tPvRmT3_T4_T5_T6_T7_T9_mT8_P12ihipStream_tbDpT10_ENKUlT_T0_E_clISt17integral_constantIbLb1EES18_IbLb0EEEEDaS14_S15_EUlS14_E_NS1_11comp_targetILNS1_3genE3ELNS1_11target_archE908ELNS1_3gpuE7ELNS1_3repE0EEENS1_30default_config_static_selectorELNS0_4arch9wavefront6targetE1EEEvT1_
                                        ; -- End function
	.section	.AMDGPU.csdata,"",@progbits
; Kernel info:
; codeLenInByte = 0
; NumSgprs: 4
; NumVgprs: 0
; NumAgprs: 0
; TotalNumVgprs: 0
; ScratchSize: 0
; MemoryBound: 0
; FloatMode: 240
; IeeeMode: 1
; LDSByteSize: 0 bytes/workgroup (compile time only)
; SGPRBlocks: 0
; VGPRBlocks: 0
; NumSGPRsForWavesPerEU: 4
; NumVGPRsForWavesPerEU: 1
; AccumOffset: 4
; Occupancy: 8
; WaveLimiterHint : 0
; COMPUTE_PGM_RSRC2:SCRATCH_EN: 0
; COMPUTE_PGM_RSRC2:USER_SGPR: 6
; COMPUTE_PGM_RSRC2:TRAP_HANDLER: 0
; COMPUTE_PGM_RSRC2:TGID_X_EN: 1
; COMPUTE_PGM_RSRC2:TGID_Y_EN: 0
; COMPUTE_PGM_RSRC2:TGID_Z_EN: 0
; COMPUTE_PGM_RSRC2:TIDIG_COMP_CNT: 0
; COMPUTE_PGM_RSRC3_GFX90A:ACCUM_OFFSET: 0
; COMPUTE_PGM_RSRC3_GFX90A:TG_SPLIT: 0
	.section	.text._ZN7rocprim17ROCPRIM_400000_NS6detail17trampoline_kernelINS0_14default_configENS1_25partition_config_selectorILNS1_17partition_subalgoE1ExNS0_10empty_typeEbEEZZNS1_14partition_implILS5_1ELb0ES3_jN6thrust23THRUST_200600_302600_NS6detail15normal_iteratorINSA_10device_ptrIxEEEEPS6_NSA_18transform_iteratorI7is_evenIxESF_NSA_11use_defaultESK_EENS0_5tupleIJSF_SF_EEENSM_IJSG_SG_EEES6_PlJS6_EEE10hipError_tPvRmT3_T4_T5_T6_T7_T9_mT8_P12ihipStream_tbDpT10_ENKUlT_T0_E_clISt17integral_constantIbLb1EES18_IbLb0EEEEDaS14_S15_EUlS14_E_NS1_11comp_targetILNS1_3genE2ELNS1_11target_archE906ELNS1_3gpuE6ELNS1_3repE0EEENS1_30default_config_static_selectorELNS0_4arch9wavefront6targetE1EEEvT1_,"axG",@progbits,_ZN7rocprim17ROCPRIM_400000_NS6detail17trampoline_kernelINS0_14default_configENS1_25partition_config_selectorILNS1_17partition_subalgoE1ExNS0_10empty_typeEbEEZZNS1_14partition_implILS5_1ELb0ES3_jN6thrust23THRUST_200600_302600_NS6detail15normal_iteratorINSA_10device_ptrIxEEEEPS6_NSA_18transform_iteratorI7is_evenIxESF_NSA_11use_defaultESK_EENS0_5tupleIJSF_SF_EEENSM_IJSG_SG_EEES6_PlJS6_EEE10hipError_tPvRmT3_T4_T5_T6_T7_T9_mT8_P12ihipStream_tbDpT10_ENKUlT_T0_E_clISt17integral_constantIbLb1EES18_IbLb0EEEEDaS14_S15_EUlS14_E_NS1_11comp_targetILNS1_3genE2ELNS1_11target_archE906ELNS1_3gpuE6ELNS1_3repE0EEENS1_30default_config_static_selectorELNS0_4arch9wavefront6targetE1EEEvT1_,comdat
	.protected	_ZN7rocprim17ROCPRIM_400000_NS6detail17trampoline_kernelINS0_14default_configENS1_25partition_config_selectorILNS1_17partition_subalgoE1ExNS0_10empty_typeEbEEZZNS1_14partition_implILS5_1ELb0ES3_jN6thrust23THRUST_200600_302600_NS6detail15normal_iteratorINSA_10device_ptrIxEEEEPS6_NSA_18transform_iteratorI7is_evenIxESF_NSA_11use_defaultESK_EENS0_5tupleIJSF_SF_EEENSM_IJSG_SG_EEES6_PlJS6_EEE10hipError_tPvRmT3_T4_T5_T6_T7_T9_mT8_P12ihipStream_tbDpT10_ENKUlT_T0_E_clISt17integral_constantIbLb1EES18_IbLb0EEEEDaS14_S15_EUlS14_E_NS1_11comp_targetILNS1_3genE2ELNS1_11target_archE906ELNS1_3gpuE6ELNS1_3repE0EEENS1_30default_config_static_selectorELNS0_4arch9wavefront6targetE1EEEvT1_ ; -- Begin function _ZN7rocprim17ROCPRIM_400000_NS6detail17trampoline_kernelINS0_14default_configENS1_25partition_config_selectorILNS1_17partition_subalgoE1ExNS0_10empty_typeEbEEZZNS1_14partition_implILS5_1ELb0ES3_jN6thrust23THRUST_200600_302600_NS6detail15normal_iteratorINSA_10device_ptrIxEEEEPS6_NSA_18transform_iteratorI7is_evenIxESF_NSA_11use_defaultESK_EENS0_5tupleIJSF_SF_EEENSM_IJSG_SG_EEES6_PlJS6_EEE10hipError_tPvRmT3_T4_T5_T6_T7_T9_mT8_P12ihipStream_tbDpT10_ENKUlT_T0_E_clISt17integral_constantIbLb1EES18_IbLb0EEEEDaS14_S15_EUlS14_E_NS1_11comp_targetILNS1_3genE2ELNS1_11target_archE906ELNS1_3gpuE6ELNS1_3repE0EEENS1_30default_config_static_selectorELNS0_4arch9wavefront6targetE1EEEvT1_
	.globl	_ZN7rocprim17ROCPRIM_400000_NS6detail17trampoline_kernelINS0_14default_configENS1_25partition_config_selectorILNS1_17partition_subalgoE1ExNS0_10empty_typeEbEEZZNS1_14partition_implILS5_1ELb0ES3_jN6thrust23THRUST_200600_302600_NS6detail15normal_iteratorINSA_10device_ptrIxEEEEPS6_NSA_18transform_iteratorI7is_evenIxESF_NSA_11use_defaultESK_EENS0_5tupleIJSF_SF_EEENSM_IJSG_SG_EEES6_PlJS6_EEE10hipError_tPvRmT3_T4_T5_T6_T7_T9_mT8_P12ihipStream_tbDpT10_ENKUlT_T0_E_clISt17integral_constantIbLb1EES18_IbLb0EEEEDaS14_S15_EUlS14_E_NS1_11comp_targetILNS1_3genE2ELNS1_11target_archE906ELNS1_3gpuE6ELNS1_3repE0EEENS1_30default_config_static_selectorELNS0_4arch9wavefront6targetE1EEEvT1_
	.p2align	8
	.type	_ZN7rocprim17ROCPRIM_400000_NS6detail17trampoline_kernelINS0_14default_configENS1_25partition_config_selectorILNS1_17partition_subalgoE1ExNS0_10empty_typeEbEEZZNS1_14partition_implILS5_1ELb0ES3_jN6thrust23THRUST_200600_302600_NS6detail15normal_iteratorINSA_10device_ptrIxEEEEPS6_NSA_18transform_iteratorI7is_evenIxESF_NSA_11use_defaultESK_EENS0_5tupleIJSF_SF_EEENSM_IJSG_SG_EEES6_PlJS6_EEE10hipError_tPvRmT3_T4_T5_T6_T7_T9_mT8_P12ihipStream_tbDpT10_ENKUlT_T0_E_clISt17integral_constantIbLb1EES18_IbLb0EEEEDaS14_S15_EUlS14_E_NS1_11comp_targetILNS1_3genE2ELNS1_11target_archE906ELNS1_3gpuE6ELNS1_3repE0EEENS1_30default_config_static_selectorELNS0_4arch9wavefront6targetE1EEEvT1_,@function
_ZN7rocprim17ROCPRIM_400000_NS6detail17trampoline_kernelINS0_14default_configENS1_25partition_config_selectorILNS1_17partition_subalgoE1ExNS0_10empty_typeEbEEZZNS1_14partition_implILS5_1ELb0ES3_jN6thrust23THRUST_200600_302600_NS6detail15normal_iteratorINSA_10device_ptrIxEEEEPS6_NSA_18transform_iteratorI7is_evenIxESF_NSA_11use_defaultESK_EENS0_5tupleIJSF_SF_EEENSM_IJSG_SG_EEES6_PlJS6_EEE10hipError_tPvRmT3_T4_T5_T6_T7_T9_mT8_P12ihipStream_tbDpT10_ENKUlT_T0_E_clISt17integral_constantIbLb1EES18_IbLb0EEEEDaS14_S15_EUlS14_E_NS1_11comp_targetILNS1_3genE2ELNS1_11target_archE906ELNS1_3gpuE6ELNS1_3repE0EEENS1_30default_config_static_selectorELNS0_4arch9wavefront6targetE1EEEvT1_: ; @_ZN7rocprim17ROCPRIM_400000_NS6detail17trampoline_kernelINS0_14default_configENS1_25partition_config_selectorILNS1_17partition_subalgoE1ExNS0_10empty_typeEbEEZZNS1_14partition_implILS5_1ELb0ES3_jN6thrust23THRUST_200600_302600_NS6detail15normal_iteratorINSA_10device_ptrIxEEEEPS6_NSA_18transform_iteratorI7is_evenIxESF_NSA_11use_defaultESK_EENS0_5tupleIJSF_SF_EEENSM_IJSG_SG_EEES6_PlJS6_EEE10hipError_tPvRmT3_T4_T5_T6_T7_T9_mT8_P12ihipStream_tbDpT10_ENKUlT_T0_E_clISt17integral_constantIbLb1EES18_IbLb0EEEEDaS14_S15_EUlS14_E_NS1_11comp_targetILNS1_3genE2ELNS1_11target_archE906ELNS1_3gpuE6ELNS1_3repE0EEENS1_30default_config_static_selectorELNS0_4arch9wavefront6targetE1EEEvT1_
; %bb.0:
	.section	.rodata,"a",@progbits
	.p2align	6, 0x0
	.amdhsa_kernel _ZN7rocprim17ROCPRIM_400000_NS6detail17trampoline_kernelINS0_14default_configENS1_25partition_config_selectorILNS1_17partition_subalgoE1ExNS0_10empty_typeEbEEZZNS1_14partition_implILS5_1ELb0ES3_jN6thrust23THRUST_200600_302600_NS6detail15normal_iteratorINSA_10device_ptrIxEEEEPS6_NSA_18transform_iteratorI7is_evenIxESF_NSA_11use_defaultESK_EENS0_5tupleIJSF_SF_EEENSM_IJSG_SG_EEES6_PlJS6_EEE10hipError_tPvRmT3_T4_T5_T6_T7_T9_mT8_P12ihipStream_tbDpT10_ENKUlT_T0_E_clISt17integral_constantIbLb1EES18_IbLb0EEEEDaS14_S15_EUlS14_E_NS1_11comp_targetILNS1_3genE2ELNS1_11target_archE906ELNS1_3gpuE6ELNS1_3repE0EEENS1_30default_config_static_selectorELNS0_4arch9wavefront6targetE1EEEvT1_
		.amdhsa_group_segment_fixed_size 0
		.amdhsa_private_segment_fixed_size 0
		.amdhsa_kernarg_size 128
		.amdhsa_user_sgpr_count 6
		.amdhsa_user_sgpr_private_segment_buffer 1
		.amdhsa_user_sgpr_dispatch_ptr 0
		.amdhsa_user_sgpr_queue_ptr 0
		.amdhsa_user_sgpr_kernarg_segment_ptr 1
		.amdhsa_user_sgpr_dispatch_id 0
		.amdhsa_user_sgpr_flat_scratch_init 0
		.amdhsa_user_sgpr_kernarg_preload_length 0
		.amdhsa_user_sgpr_kernarg_preload_offset 0
		.amdhsa_user_sgpr_private_segment_size 0
		.amdhsa_uses_dynamic_stack 0
		.amdhsa_system_sgpr_private_segment_wavefront_offset 0
		.amdhsa_system_sgpr_workgroup_id_x 1
		.amdhsa_system_sgpr_workgroup_id_y 0
		.amdhsa_system_sgpr_workgroup_id_z 0
		.amdhsa_system_sgpr_workgroup_info 0
		.amdhsa_system_vgpr_workitem_id 0
		.amdhsa_next_free_vgpr 1
		.amdhsa_next_free_sgpr 0
		.amdhsa_accum_offset 4
		.amdhsa_reserve_vcc 0
		.amdhsa_reserve_flat_scratch 0
		.amdhsa_float_round_mode_32 0
		.amdhsa_float_round_mode_16_64 0
		.amdhsa_float_denorm_mode_32 3
		.amdhsa_float_denorm_mode_16_64 3
		.amdhsa_dx10_clamp 1
		.amdhsa_ieee_mode 1
		.amdhsa_fp16_overflow 0
		.amdhsa_tg_split 0
		.amdhsa_exception_fp_ieee_invalid_op 0
		.amdhsa_exception_fp_denorm_src 0
		.amdhsa_exception_fp_ieee_div_zero 0
		.amdhsa_exception_fp_ieee_overflow 0
		.amdhsa_exception_fp_ieee_underflow 0
		.amdhsa_exception_fp_ieee_inexact 0
		.amdhsa_exception_int_div_zero 0
	.end_amdhsa_kernel
	.section	.text._ZN7rocprim17ROCPRIM_400000_NS6detail17trampoline_kernelINS0_14default_configENS1_25partition_config_selectorILNS1_17partition_subalgoE1ExNS0_10empty_typeEbEEZZNS1_14partition_implILS5_1ELb0ES3_jN6thrust23THRUST_200600_302600_NS6detail15normal_iteratorINSA_10device_ptrIxEEEEPS6_NSA_18transform_iteratorI7is_evenIxESF_NSA_11use_defaultESK_EENS0_5tupleIJSF_SF_EEENSM_IJSG_SG_EEES6_PlJS6_EEE10hipError_tPvRmT3_T4_T5_T6_T7_T9_mT8_P12ihipStream_tbDpT10_ENKUlT_T0_E_clISt17integral_constantIbLb1EES18_IbLb0EEEEDaS14_S15_EUlS14_E_NS1_11comp_targetILNS1_3genE2ELNS1_11target_archE906ELNS1_3gpuE6ELNS1_3repE0EEENS1_30default_config_static_selectorELNS0_4arch9wavefront6targetE1EEEvT1_,"axG",@progbits,_ZN7rocprim17ROCPRIM_400000_NS6detail17trampoline_kernelINS0_14default_configENS1_25partition_config_selectorILNS1_17partition_subalgoE1ExNS0_10empty_typeEbEEZZNS1_14partition_implILS5_1ELb0ES3_jN6thrust23THRUST_200600_302600_NS6detail15normal_iteratorINSA_10device_ptrIxEEEEPS6_NSA_18transform_iteratorI7is_evenIxESF_NSA_11use_defaultESK_EENS0_5tupleIJSF_SF_EEENSM_IJSG_SG_EEES6_PlJS6_EEE10hipError_tPvRmT3_T4_T5_T6_T7_T9_mT8_P12ihipStream_tbDpT10_ENKUlT_T0_E_clISt17integral_constantIbLb1EES18_IbLb0EEEEDaS14_S15_EUlS14_E_NS1_11comp_targetILNS1_3genE2ELNS1_11target_archE906ELNS1_3gpuE6ELNS1_3repE0EEENS1_30default_config_static_selectorELNS0_4arch9wavefront6targetE1EEEvT1_,comdat
.Lfunc_end405:
	.size	_ZN7rocprim17ROCPRIM_400000_NS6detail17trampoline_kernelINS0_14default_configENS1_25partition_config_selectorILNS1_17partition_subalgoE1ExNS0_10empty_typeEbEEZZNS1_14partition_implILS5_1ELb0ES3_jN6thrust23THRUST_200600_302600_NS6detail15normal_iteratorINSA_10device_ptrIxEEEEPS6_NSA_18transform_iteratorI7is_evenIxESF_NSA_11use_defaultESK_EENS0_5tupleIJSF_SF_EEENSM_IJSG_SG_EEES6_PlJS6_EEE10hipError_tPvRmT3_T4_T5_T6_T7_T9_mT8_P12ihipStream_tbDpT10_ENKUlT_T0_E_clISt17integral_constantIbLb1EES18_IbLb0EEEEDaS14_S15_EUlS14_E_NS1_11comp_targetILNS1_3genE2ELNS1_11target_archE906ELNS1_3gpuE6ELNS1_3repE0EEENS1_30default_config_static_selectorELNS0_4arch9wavefront6targetE1EEEvT1_, .Lfunc_end405-_ZN7rocprim17ROCPRIM_400000_NS6detail17trampoline_kernelINS0_14default_configENS1_25partition_config_selectorILNS1_17partition_subalgoE1ExNS0_10empty_typeEbEEZZNS1_14partition_implILS5_1ELb0ES3_jN6thrust23THRUST_200600_302600_NS6detail15normal_iteratorINSA_10device_ptrIxEEEEPS6_NSA_18transform_iteratorI7is_evenIxESF_NSA_11use_defaultESK_EENS0_5tupleIJSF_SF_EEENSM_IJSG_SG_EEES6_PlJS6_EEE10hipError_tPvRmT3_T4_T5_T6_T7_T9_mT8_P12ihipStream_tbDpT10_ENKUlT_T0_E_clISt17integral_constantIbLb1EES18_IbLb0EEEEDaS14_S15_EUlS14_E_NS1_11comp_targetILNS1_3genE2ELNS1_11target_archE906ELNS1_3gpuE6ELNS1_3repE0EEENS1_30default_config_static_selectorELNS0_4arch9wavefront6targetE1EEEvT1_
                                        ; -- End function
	.section	.AMDGPU.csdata,"",@progbits
; Kernel info:
; codeLenInByte = 0
; NumSgprs: 4
; NumVgprs: 0
; NumAgprs: 0
; TotalNumVgprs: 0
; ScratchSize: 0
; MemoryBound: 0
; FloatMode: 240
; IeeeMode: 1
; LDSByteSize: 0 bytes/workgroup (compile time only)
; SGPRBlocks: 0
; VGPRBlocks: 0
; NumSGPRsForWavesPerEU: 4
; NumVGPRsForWavesPerEU: 1
; AccumOffset: 4
; Occupancy: 8
; WaveLimiterHint : 0
; COMPUTE_PGM_RSRC2:SCRATCH_EN: 0
; COMPUTE_PGM_RSRC2:USER_SGPR: 6
; COMPUTE_PGM_RSRC2:TRAP_HANDLER: 0
; COMPUTE_PGM_RSRC2:TGID_X_EN: 1
; COMPUTE_PGM_RSRC2:TGID_Y_EN: 0
; COMPUTE_PGM_RSRC2:TGID_Z_EN: 0
; COMPUTE_PGM_RSRC2:TIDIG_COMP_CNT: 0
; COMPUTE_PGM_RSRC3_GFX90A:ACCUM_OFFSET: 0
; COMPUTE_PGM_RSRC3_GFX90A:TG_SPLIT: 0
	.section	.text._ZN7rocprim17ROCPRIM_400000_NS6detail17trampoline_kernelINS0_14default_configENS1_25partition_config_selectorILNS1_17partition_subalgoE1ExNS0_10empty_typeEbEEZZNS1_14partition_implILS5_1ELb0ES3_jN6thrust23THRUST_200600_302600_NS6detail15normal_iteratorINSA_10device_ptrIxEEEEPS6_NSA_18transform_iteratorI7is_evenIxESF_NSA_11use_defaultESK_EENS0_5tupleIJSF_SF_EEENSM_IJSG_SG_EEES6_PlJS6_EEE10hipError_tPvRmT3_T4_T5_T6_T7_T9_mT8_P12ihipStream_tbDpT10_ENKUlT_T0_E_clISt17integral_constantIbLb1EES18_IbLb0EEEEDaS14_S15_EUlS14_E_NS1_11comp_targetILNS1_3genE10ELNS1_11target_archE1200ELNS1_3gpuE4ELNS1_3repE0EEENS1_30default_config_static_selectorELNS0_4arch9wavefront6targetE1EEEvT1_,"axG",@progbits,_ZN7rocprim17ROCPRIM_400000_NS6detail17trampoline_kernelINS0_14default_configENS1_25partition_config_selectorILNS1_17partition_subalgoE1ExNS0_10empty_typeEbEEZZNS1_14partition_implILS5_1ELb0ES3_jN6thrust23THRUST_200600_302600_NS6detail15normal_iteratorINSA_10device_ptrIxEEEEPS6_NSA_18transform_iteratorI7is_evenIxESF_NSA_11use_defaultESK_EENS0_5tupleIJSF_SF_EEENSM_IJSG_SG_EEES6_PlJS6_EEE10hipError_tPvRmT3_T4_T5_T6_T7_T9_mT8_P12ihipStream_tbDpT10_ENKUlT_T0_E_clISt17integral_constantIbLb1EES18_IbLb0EEEEDaS14_S15_EUlS14_E_NS1_11comp_targetILNS1_3genE10ELNS1_11target_archE1200ELNS1_3gpuE4ELNS1_3repE0EEENS1_30default_config_static_selectorELNS0_4arch9wavefront6targetE1EEEvT1_,comdat
	.protected	_ZN7rocprim17ROCPRIM_400000_NS6detail17trampoline_kernelINS0_14default_configENS1_25partition_config_selectorILNS1_17partition_subalgoE1ExNS0_10empty_typeEbEEZZNS1_14partition_implILS5_1ELb0ES3_jN6thrust23THRUST_200600_302600_NS6detail15normal_iteratorINSA_10device_ptrIxEEEEPS6_NSA_18transform_iteratorI7is_evenIxESF_NSA_11use_defaultESK_EENS0_5tupleIJSF_SF_EEENSM_IJSG_SG_EEES6_PlJS6_EEE10hipError_tPvRmT3_T4_T5_T6_T7_T9_mT8_P12ihipStream_tbDpT10_ENKUlT_T0_E_clISt17integral_constantIbLb1EES18_IbLb0EEEEDaS14_S15_EUlS14_E_NS1_11comp_targetILNS1_3genE10ELNS1_11target_archE1200ELNS1_3gpuE4ELNS1_3repE0EEENS1_30default_config_static_selectorELNS0_4arch9wavefront6targetE1EEEvT1_ ; -- Begin function _ZN7rocprim17ROCPRIM_400000_NS6detail17trampoline_kernelINS0_14default_configENS1_25partition_config_selectorILNS1_17partition_subalgoE1ExNS0_10empty_typeEbEEZZNS1_14partition_implILS5_1ELb0ES3_jN6thrust23THRUST_200600_302600_NS6detail15normal_iteratorINSA_10device_ptrIxEEEEPS6_NSA_18transform_iteratorI7is_evenIxESF_NSA_11use_defaultESK_EENS0_5tupleIJSF_SF_EEENSM_IJSG_SG_EEES6_PlJS6_EEE10hipError_tPvRmT3_T4_T5_T6_T7_T9_mT8_P12ihipStream_tbDpT10_ENKUlT_T0_E_clISt17integral_constantIbLb1EES18_IbLb0EEEEDaS14_S15_EUlS14_E_NS1_11comp_targetILNS1_3genE10ELNS1_11target_archE1200ELNS1_3gpuE4ELNS1_3repE0EEENS1_30default_config_static_selectorELNS0_4arch9wavefront6targetE1EEEvT1_
	.globl	_ZN7rocprim17ROCPRIM_400000_NS6detail17trampoline_kernelINS0_14default_configENS1_25partition_config_selectorILNS1_17partition_subalgoE1ExNS0_10empty_typeEbEEZZNS1_14partition_implILS5_1ELb0ES3_jN6thrust23THRUST_200600_302600_NS6detail15normal_iteratorINSA_10device_ptrIxEEEEPS6_NSA_18transform_iteratorI7is_evenIxESF_NSA_11use_defaultESK_EENS0_5tupleIJSF_SF_EEENSM_IJSG_SG_EEES6_PlJS6_EEE10hipError_tPvRmT3_T4_T5_T6_T7_T9_mT8_P12ihipStream_tbDpT10_ENKUlT_T0_E_clISt17integral_constantIbLb1EES18_IbLb0EEEEDaS14_S15_EUlS14_E_NS1_11comp_targetILNS1_3genE10ELNS1_11target_archE1200ELNS1_3gpuE4ELNS1_3repE0EEENS1_30default_config_static_selectorELNS0_4arch9wavefront6targetE1EEEvT1_
	.p2align	8
	.type	_ZN7rocprim17ROCPRIM_400000_NS6detail17trampoline_kernelINS0_14default_configENS1_25partition_config_selectorILNS1_17partition_subalgoE1ExNS0_10empty_typeEbEEZZNS1_14partition_implILS5_1ELb0ES3_jN6thrust23THRUST_200600_302600_NS6detail15normal_iteratorINSA_10device_ptrIxEEEEPS6_NSA_18transform_iteratorI7is_evenIxESF_NSA_11use_defaultESK_EENS0_5tupleIJSF_SF_EEENSM_IJSG_SG_EEES6_PlJS6_EEE10hipError_tPvRmT3_T4_T5_T6_T7_T9_mT8_P12ihipStream_tbDpT10_ENKUlT_T0_E_clISt17integral_constantIbLb1EES18_IbLb0EEEEDaS14_S15_EUlS14_E_NS1_11comp_targetILNS1_3genE10ELNS1_11target_archE1200ELNS1_3gpuE4ELNS1_3repE0EEENS1_30default_config_static_selectorELNS0_4arch9wavefront6targetE1EEEvT1_,@function
_ZN7rocprim17ROCPRIM_400000_NS6detail17trampoline_kernelINS0_14default_configENS1_25partition_config_selectorILNS1_17partition_subalgoE1ExNS0_10empty_typeEbEEZZNS1_14partition_implILS5_1ELb0ES3_jN6thrust23THRUST_200600_302600_NS6detail15normal_iteratorINSA_10device_ptrIxEEEEPS6_NSA_18transform_iteratorI7is_evenIxESF_NSA_11use_defaultESK_EENS0_5tupleIJSF_SF_EEENSM_IJSG_SG_EEES6_PlJS6_EEE10hipError_tPvRmT3_T4_T5_T6_T7_T9_mT8_P12ihipStream_tbDpT10_ENKUlT_T0_E_clISt17integral_constantIbLb1EES18_IbLb0EEEEDaS14_S15_EUlS14_E_NS1_11comp_targetILNS1_3genE10ELNS1_11target_archE1200ELNS1_3gpuE4ELNS1_3repE0EEENS1_30default_config_static_selectorELNS0_4arch9wavefront6targetE1EEEvT1_: ; @_ZN7rocprim17ROCPRIM_400000_NS6detail17trampoline_kernelINS0_14default_configENS1_25partition_config_selectorILNS1_17partition_subalgoE1ExNS0_10empty_typeEbEEZZNS1_14partition_implILS5_1ELb0ES3_jN6thrust23THRUST_200600_302600_NS6detail15normal_iteratorINSA_10device_ptrIxEEEEPS6_NSA_18transform_iteratorI7is_evenIxESF_NSA_11use_defaultESK_EENS0_5tupleIJSF_SF_EEENSM_IJSG_SG_EEES6_PlJS6_EEE10hipError_tPvRmT3_T4_T5_T6_T7_T9_mT8_P12ihipStream_tbDpT10_ENKUlT_T0_E_clISt17integral_constantIbLb1EES18_IbLb0EEEEDaS14_S15_EUlS14_E_NS1_11comp_targetILNS1_3genE10ELNS1_11target_archE1200ELNS1_3gpuE4ELNS1_3repE0EEENS1_30default_config_static_selectorELNS0_4arch9wavefront6targetE1EEEvT1_
; %bb.0:
	.section	.rodata,"a",@progbits
	.p2align	6, 0x0
	.amdhsa_kernel _ZN7rocprim17ROCPRIM_400000_NS6detail17trampoline_kernelINS0_14default_configENS1_25partition_config_selectorILNS1_17partition_subalgoE1ExNS0_10empty_typeEbEEZZNS1_14partition_implILS5_1ELb0ES3_jN6thrust23THRUST_200600_302600_NS6detail15normal_iteratorINSA_10device_ptrIxEEEEPS6_NSA_18transform_iteratorI7is_evenIxESF_NSA_11use_defaultESK_EENS0_5tupleIJSF_SF_EEENSM_IJSG_SG_EEES6_PlJS6_EEE10hipError_tPvRmT3_T4_T5_T6_T7_T9_mT8_P12ihipStream_tbDpT10_ENKUlT_T0_E_clISt17integral_constantIbLb1EES18_IbLb0EEEEDaS14_S15_EUlS14_E_NS1_11comp_targetILNS1_3genE10ELNS1_11target_archE1200ELNS1_3gpuE4ELNS1_3repE0EEENS1_30default_config_static_selectorELNS0_4arch9wavefront6targetE1EEEvT1_
		.amdhsa_group_segment_fixed_size 0
		.amdhsa_private_segment_fixed_size 0
		.amdhsa_kernarg_size 128
		.amdhsa_user_sgpr_count 6
		.amdhsa_user_sgpr_private_segment_buffer 1
		.amdhsa_user_sgpr_dispatch_ptr 0
		.amdhsa_user_sgpr_queue_ptr 0
		.amdhsa_user_sgpr_kernarg_segment_ptr 1
		.amdhsa_user_sgpr_dispatch_id 0
		.amdhsa_user_sgpr_flat_scratch_init 0
		.amdhsa_user_sgpr_kernarg_preload_length 0
		.amdhsa_user_sgpr_kernarg_preload_offset 0
		.amdhsa_user_sgpr_private_segment_size 0
		.amdhsa_uses_dynamic_stack 0
		.amdhsa_system_sgpr_private_segment_wavefront_offset 0
		.amdhsa_system_sgpr_workgroup_id_x 1
		.amdhsa_system_sgpr_workgroup_id_y 0
		.amdhsa_system_sgpr_workgroup_id_z 0
		.amdhsa_system_sgpr_workgroup_info 0
		.amdhsa_system_vgpr_workitem_id 0
		.amdhsa_next_free_vgpr 1
		.amdhsa_next_free_sgpr 0
		.amdhsa_accum_offset 4
		.amdhsa_reserve_vcc 0
		.amdhsa_reserve_flat_scratch 0
		.amdhsa_float_round_mode_32 0
		.amdhsa_float_round_mode_16_64 0
		.amdhsa_float_denorm_mode_32 3
		.amdhsa_float_denorm_mode_16_64 3
		.amdhsa_dx10_clamp 1
		.amdhsa_ieee_mode 1
		.amdhsa_fp16_overflow 0
		.amdhsa_tg_split 0
		.amdhsa_exception_fp_ieee_invalid_op 0
		.amdhsa_exception_fp_denorm_src 0
		.amdhsa_exception_fp_ieee_div_zero 0
		.amdhsa_exception_fp_ieee_overflow 0
		.amdhsa_exception_fp_ieee_underflow 0
		.amdhsa_exception_fp_ieee_inexact 0
		.amdhsa_exception_int_div_zero 0
	.end_amdhsa_kernel
	.section	.text._ZN7rocprim17ROCPRIM_400000_NS6detail17trampoline_kernelINS0_14default_configENS1_25partition_config_selectorILNS1_17partition_subalgoE1ExNS0_10empty_typeEbEEZZNS1_14partition_implILS5_1ELb0ES3_jN6thrust23THRUST_200600_302600_NS6detail15normal_iteratorINSA_10device_ptrIxEEEEPS6_NSA_18transform_iteratorI7is_evenIxESF_NSA_11use_defaultESK_EENS0_5tupleIJSF_SF_EEENSM_IJSG_SG_EEES6_PlJS6_EEE10hipError_tPvRmT3_T4_T5_T6_T7_T9_mT8_P12ihipStream_tbDpT10_ENKUlT_T0_E_clISt17integral_constantIbLb1EES18_IbLb0EEEEDaS14_S15_EUlS14_E_NS1_11comp_targetILNS1_3genE10ELNS1_11target_archE1200ELNS1_3gpuE4ELNS1_3repE0EEENS1_30default_config_static_selectorELNS0_4arch9wavefront6targetE1EEEvT1_,"axG",@progbits,_ZN7rocprim17ROCPRIM_400000_NS6detail17trampoline_kernelINS0_14default_configENS1_25partition_config_selectorILNS1_17partition_subalgoE1ExNS0_10empty_typeEbEEZZNS1_14partition_implILS5_1ELb0ES3_jN6thrust23THRUST_200600_302600_NS6detail15normal_iteratorINSA_10device_ptrIxEEEEPS6_NSA_18transform_iteratorI7is_evenIxESF_NSA_11use_defaultESK_EENS0_5tupleIJSF_SF_EEENSM_IJSG_SG_EEES6_PlJS6_EEE10hipError_tPvRmT3_T4_T5_T6_T7_T9_mT8_P12ihipStream_tbDpT10_ENKUlT_T0_E_clISt17integral_constantIbLb1EES18_IbLb0EEEEDaS14_S15_EUlS14_E_NS1_11comp_targetILNS1_3genE10ELNS1_11target_archE1200ELNS1_3gpuE4ELNS1_3repE0EEENS1_30default_config_static_selectorELNS0_4arch9wavefront6targetE1EEEvT1_,comdat
.Lfunc_end406:
	.size	_ZN7rocprim17ROCPRIM_400000_NS6detail17trampoline_kernelINS0_14default_configENS1_25partition_config_selectorILNS1_17partition_subalgoE1ExNS0_10empty_typeEbEEZZNS1_14partition_implILS5_1ELb0ES3_jN6thrust23THRUST_200600_302600_NS6detail15normal_iteratorINSA_10device_ptrIxEEEEPS6_NSA_18transform_iteratorI7is_evenIxESF_NSA_11use_defaultESK_EENS0_5tupleIJSF_SF_EEENSM_IJSG_SG_EEES6_PlJS6_EEE10hipError_tPvRmT3_T4_T5_T6_T7_T9_mT8_P12ihipStream_tbDpT10_ENKUlT_T0_E_clISt17integral_constantIbLb1EES18_IbLb0EEEEDaS14_S15_EUlS14_E_NS1_11comp_targetILNS1_3genE10ELNS1_11target_archE1200ELNS1_3gpuE4ELNS1_3repE0EEENS1_30default_config_static_selectorELNS0_4arch9wavefront6targetE1EEEvT1_, .Lfunc_end406-_ZN7rocprim17ROCPRIM_400000_NS6detail17trampoline_kernelINS0_14default_configENS1_25partition_config_selectorILNS1_17partition_subalgoE1ExNS0_10empty_typeEbEEZZNS1_14partition_implILS5_1ELb0ES3_jN6thrust23THRUST_200600_302600_NS6detail15normal_iteratorINSA_10device_ptrIxEEEEPS6_NSA_18transform_iteratorI7is_evenIxESF_NSA_11use_defaultESK_EENS0_5tupleIJSF_SF_EEENSM_IJSG_SG_EEES6_PlJS6_EEE10hipError_tPvRmT3_T4_T5_T6_T7_T9_mT8_P12ihipStream_tbDpT10_ENKUlT_T0_E_clISt17integral_constantIbLb1EES18_IbLb0EEEEDaS14_S15_EUlS14_E_NS1_11comp_targetILNS1_3genE10ELNS1_11target_archE1200ELNS1_3gpuE4ELNS1_3repE0EEENS1_30default_config_static_selectorELNS0_4arch9wavefront6targetE1EEEvT1_
                                        ; -- End function
	.section	.AMDGPU.csdata,"",@progbits
; Kernel info:
; codeLenInByte = 0
; NumSgprs: 4
; NumVgprs: 0
; NumAgprs: 0
; TotalNumVgprs: 0
; ScratchSize: 0
; MemoryBound: 0
; FloatMode: 240
; IeeeMode: 1
; LDSByteSize: 0 bytes/workgroup (compile time only)
; SGPRBlocks: 0
; VGPRBlocks: 0
; NumSGPRsForWavesPerEU: 4
; NumVGPRsForWavesPerEU: 1
; AccumOffset: 4
; Occupancy: 8
; WaveLimiterHint : 0
; COMPUTE_PGM_RSRC2:SCRATCH_EN: 0
; COMPUTE_PGM_RSRC2:USER_SGPR: 6
; COMPUTE_PGM_RSRC2:TRAP_HANDLER: 0
; COMPUTE_PGM_RSRC2:TGID_X_EN: 1
; COMPUTE_PGM_RSRC2:TGID_Y_EN: 0
; COMPUTE_PGM_RSRC2:TGID_Z_EN: 0
; COMPUTE_PGM_RSRC2:TIDIG_COMP_CNT: 0
; COMPUTE_PGM_RSRC3_GFX90A:ACCUM_OFFSET: 0
; COMPUTE_PGM_RSRC3_GFX90A:TG_SPLIT: 0
	.section	.text._ZN7rocprim17ROCPRIM_400000_NS6detail17trampoline_kernelINS0_14default_configENS1_25partition_config_selectorILNS1_17partition_subalgoE1ExNS0_10empty_typeEbEEZZNS1_14partition_implILS5_1ELb0ES3_jN6thrust23THRUST_200600_302600_NS6detail15normal_iteratorINSA_10device_ptrIxEEEEPS6_NSA_18transform_iteratorI7is_evenIxESF_NSA_11use_defaultESK_EENS0_5tupleIJSF_SF_EEENSM_IJSG_SG_EEES6_PlJS6_EEE10hipError_tPvRmT3_T4_T5_T6_T7_T9_mT8_P12ihipStream_tbDpT10_ENKUlT_T0_E_clISt17integral_constantIbLb1EES18_IbLb0EEEEDaS14_S15_EUlS14_E_NS1_11comp_targetILNS1_3genE9ELNS1_11target_archE1100ELNS1_3gpuE3ELNS1_3repE0EEENS1_30default_config_static_selectorELNS0_4arch9wavefront6targetE1EEEvT1_,"axG",@progbits,_ZN7rocprim17ROCPRIM_400000_NS6detail17trampoline_kernelINS0_14default_configENS1_25partition_config_selectorILNS1_17partition_subalgoE1ExNS0_10empty_typeEbEEZZNS1_14partition_implILS5_1ELb0ES3_jN6thrust23THRUST_200600_302600_NS6detail15normal_iteratorINSA_10device_ptrIxEEEEPS6_NSA_18transform_iteratorI7is_evenIxESF_NSA_11use_defaultESK_EENS0_5tupleIJSF_SF_EEENSM_IJSG_SG_EEES6_PlJS6_EEE10hipError_tPvRmT3_T4_T5_T6_T7_T9_mT8_P12ihipStream_tbDpT10_ENKUlT_T0_E_clISt17integral_constantIbLb1EES18_IbLb0EEEEDaS14_S15_EUlS14_E_NS1_11comp_targetILNS1_3genE9ELNS1_11target_archE1100ELNS1_3gpuE3ELNS1_3repE0EEENS1_30default_config_static_selectorELNS0_4arch9wavefront6targetE1EEEvT1_,comdat
	.protected	_ZN7rocprim17ROCPRIM_400000_NS6detail17trampoline_kernelINS0_14default_configENS1_25partition_config_selectorILNS1_17partition_subalgoE1ExNS0_10empty_typeEbEEZZNS1_14partition_implILS5_1ELb0ES3_jN6thrust23THRUST_200600_302600_NS6detail15normal_iteratorINSA_10device_ptrIxEEEEPS6_NSA_18transform_iteratorI7is_evenIxESF_NSA_11use_defaultESK_EENS0_5tupleIJSF_SF_EEENSM_IJSG_SG_EEES6_PlJS6_EEE10hipError_tPvRmT3_T4_T5_T6_T7_T9_mT8_P12ihipStream_tbDpT10_ENKUlT_T0_E_clISt17integral_constantIbLb1EES18_IbLb0EEEEDaS14_S15_EUlS14_E_NS1_11comp_targetILNS1_3genE9ELNS1_11target_archE1100ELNS1_3gpuE3ELNS1_3repE0EEENS1_30default_config_static_selectorELNS0_4arch9wavefront6targetE1EEEvT1_ ; -- Begin function _ZN7rocprim17ROCPRIM_400000_NS6detail17trampoline_kernelINS0_14default_configENS1_25partition_config_selectorILNS1_17partition_subalgoE1ExNS0_10empty_typeEbEEZZNS1_14partition_implILS5_1ELb0ES3_jN6thrust23THRUST_200600_302600_NS6detail15normal_iteratorINSA_10device_ptrIxEEEEPS6_NSA_18transform_iteratorI7is_evenIxESF_NSA_11use_defaultESK_EENS0_5tupleIJSF_SF_EEENSM_IJSG_SG_EEES6_PlJS6_EEE10hipError_tPvRmT3_T4_T5_T6_T7_T9_mT8_P12ihipStream_tbDpT10_ENKUlT_T0_E_clISt17integral_constantIbLb1EES18_IbLb0EEEEDaS14_S15_EUlS14_E_NS1_11comp_targetILNS1_3genE9ELNS1_11target_archE1100ELNS1_3gpuE3ELNS1_3repE0EEENS1_30default_config_static_selectorELNS0_4arch9wavefront6targetE1EEEvT1_
	.globl	_ZN7rocprim17ROCPRIM_400000_NS6detail17trampoline_kernelINS0_14default_configENS1_25partition_config_selectorILNS1_17partition_subalgoE1ExNS0_10empty_typeEbEEZZNS1_14partition_implILS5_1ELb0ES3_jN6thrust23THRUST_200600_302600_NS6detail15normal_iteratorINSA_10device_ptrIxEEEEPS6_NSA_18transform_iteratorI7is_evenIxESF_NSA_11use_defaultESK_EENS0_5tupleIJSF_SF_EEENSM_IJSG_SG_EEES6_PlJS6_EEE10hipError_tPvRmT3_T4_T5_T6_T7_T9_mT8_P12ihipStream_tbDpT10_ENKUlT_T0_E_clISt17integral_constantIbLb1EES18_IbLb0EEEEDaS14_S15_EUlS14_E_NS1_11comp_targetILNS1_3genE9ELNS1_11target_archE1100ELNS1_3gpuE3ELNS1_3repE0EEENS1_30default_config_static_selectorELNS0_4arch9wavefront6targetE1EEEvT1_
	.p2align	8
	.type	_ZN7rocprim17ROCPRIM_400000_NS6detail17trampoline_kernelINS0_14default_configENS1_25partition_config_selectorILNS1_17partition_subalgoE1ExNS0_10empty_typeEbEEZZNS1_14partition_implILS5_1ELb0ES3_jN6thrust23THRUST_200600_302600_NS6detail15normal_iteratorINSA_10device_ptrIxEEEEPS6_NSA_18transform_iteratorI7is_evenIxESF_NSA_11use_defaultESK_EENS0_5tupleIJSF_SF_EEENSM_IJSG_SG_EEES6_PlJS6_EEE10hipError_tPvRmT3_T4_T5_T6_T7_T9_mT8_P12ihipStream_tbDpT10_ENKUlT_T0_E_clISt17integral_constantIbLb1EES18_IbLb0EEEEDaS14_S15_EUlS14_E_NS1_11comp_targetILNS1_3genE9ELNS1_11target_archE1100ELNS1_3gpuE3ELNS1_3repE0EEENS1_30default_config_static_selectorELNS0_4arch9wavefront6targetE1EEEvT1_,@function
_ZN7rocprim17ROCPRIM_400000_NS6detail17trampoline_kernelINS0_14default_configENS1_25partition_config_selectorILNS1_17partition_subalgoE1ExNS0_10empty_typeEbEEZZNS1_14partition_implILS5_1ELb0ES3_jN6thrust23THRUST_200600_302600_NS6detail15normal_iteratorINSA_10device_ptrIxEEEEPS6_NSA_18transform_iteratorI7is_evenIxESF_NSA_11use_defaultESK_EENS0_5tupleIJSF_SF_EEENSM_IJSG_SG_EEES6_PlJS6_EEE10hipError_tPvRmT3_T4_T5_T6_T7_T9_mT8_P12ihipStream_tbDpT10_ENKUlT_T0_E_clISt17integral_constantIbLb1EES18_IbLb0EEEEDaS14_S15_EUlS14_E_NS1_11comp_targetILNS1_3genE9ELNS1_11target_archE1100ELNS1_3gpuE3ELNS1_3repE0EEENS1_30default_config_static_selectorELNS0_4arch9wavefront6targetE1EEEvT1_: ; @_ZN7rocprim17ROCPRIM_400000_NS6detail17trampoline_kernelINS0_14default_configENS1_25partition_config_selectorILNS1_17partition_subalgoE1ExNS0_10empty_typeEbEEZZNS1_14partition_implILS5_1ELb0ES3_jN6thrust23THRUST_200600_302600_NS6detail15normal_iteratorINSA_10device_ptrIxEEEEPS6_NSA_18transform_iteratorI7is_evenIxESF_NSA_11use_defaultESK_EENS0_5tupleIJSF_SF_EEENSM_IJSG_SG_EEES6_PlJS6_EEE10hipError_tPvRmT3_T4_T5_T6_T7_T9_mT8_P12ihipStream_tbDpT10_ENKUlT_T0_E_clISt17integral_constantIbLb1EES18_IbLb0EEEEDaS14_S15_EUlS14_E_NS1_11comp_targetILNS1_3genE9ELNS1_11target_archE1100ELNS1_3gpuE3ELNS1_3repE0EEENS1_30default_config_static_selectorELNS0_4arch9wavefront6targetE1EEEvT1_
; %bb.0:
	.section	.rodata,"a",@progbits
	.p2align	6, 0x0
	.amdhsa_kernel _ZN7rocprim17ROCPRIM_400000_NS6detail17trampoline_kernelINS0_14default_configENS1_25partition_config_selectorILNS1_17partition_subalgoE1ExNS0_10empty_typeEbEEZZNS1_14partition_implILS5_1ELb0ES3_jN6thrust23THRUST_200600_302600_NS6detail15normal_iteratorINSA_10device_ptrIxEEEEPS6_NSA_18transform_iteratorI7is_evenIxESF_NSA_11use_defaultESK_EENS0_5tupleIJSF_SF_EEENSM_IJSG_SG_EEES6_PlJS6_EEE10hipError_tPvRmT3_T4_T5_T6_T7_T9_mT8_P12ihipStream_tbDpT10_ENKUlT_T0_E_clISt17integral_constantIbLb1EES18_IbLb0EEEEDaS14_S15_EUlS14_E_NS1_11comp_targetILNS1_3genE9ELNS1_11target_archE1100ELNS1_3gpuE3ELNS1_3repE0EEENS1_30default_config_static_selectorELNS0_4arch9wavefront6targetE1EEEvT1_
		.amdhsa_group_segment_fixed_size 0
		.amdhsa_private_segment_fixed_size 0
		.amdhsa_kernarg_size 128
		.amdhsa_user_sgpr_count 6
		.amdhsa_user_sgpr_private_segment_buffer 1
		.amdhsa_user_sgpr_dispatch_ptr 0
		.amdhsa_user_sgpr_queue_ptr 0
		.amdhsa_user_sgpr_kernarg_segment_ptr 1
		.amdhsa_user_sgpr_dispatch_id 0
		.amdhsa_user_sgpr_flat_scratch_init 0
		.amdhsa_user_sgpr_kernarg_preload_length 0
		.amdhsa_user_sgpr_kernarg_preload_offset 0
		.amdhsa_user_sgpr_private_segment_size 0
		.amdhsa_uses_dynamic_stack 0
		.amdhsa_system_sgpr_private_segment_wavefront_offset 0
		.amdhsa_system_sgpr_workgroup_id_x 1
		.amdhsa_system_sgpr_workgroup_id_y 0
		.amdhsa_system_sgpr_workgroup_id_z 0
		.amdhsa_system_sgpr_workgroup_info 0
		.amdhsa_system_vgpr_workitem_id 0
		.amdhsa_next_free_vgpr 1
		.amdhsa_next_free_sgpr 0
		.amdhsa_accum_offset 4
		.amdhsa_reserve_vcc 0
		.amdhsa_reserve_flat_scratch 0
		.amdhsa_float_round_mode_32 0
		.amdhsa_float_round_mode_16_64 0
		.amdhsa_float_denorm_mode_32 3
		.amdhsa_float_denorm_mode_16_64 3
		.amdhsa_dx10_clamp 1
		.amdhsa_ieee_mode 1
		.amdhsa_fp16_overflow 0
		.amdhsa_tg_split 0
		.amdhsa_exception_fp_ieee_invalid_op 0
		.amdhsa_exception_fp_denorm_src 0
		.amdhsa_exception_fp_ieee_div_zero 0
		.amdhsa_exception_fp_ieee_overflow 0
		.amdhsa_exception_fp_ieee_underflow 0
		.amdhsa_exception_fp_ieee_inexact 0
		.amdhsa_exception_int_div_zero 0
	.end_amdhsa_kernel
	.section	.text._ZN7rocprim17ROCPRIM_400000_NS6detail17trampoline_kernelINS0_14default_configENS1_25partition_config_selectorILNS1_17partition_subalgoE1ExNS0_10empty_typeEbEEZZNS1_14partition_implILS5_1ELb0ES3_jN6thrust23THRUST_200600_302600_NS6detail15normal_iteratorINSA_10device_ptrIxEEEEPS6_NSA_18transform_iteratorI7is_evenIxESF_NSA_11use_defaultESK_EENS0_5tupleIJSF_SF_EEENSM_IJSG_SG_EEES6_PlJS6_EEE10hipError_tPvRmT3_T4_T5_T6_T7_T9_mT8_P12ihipStream_tbDpT10_ENKUlT_T0_E_clISt17integral_constantIbLb1EES18_IbLb0EEEEDaS14_S15_EUlS14_E_NS1_11comp_targetILNS1_3genE9ELNS1_11target_archE1100ELNS1_3gpuE3ELNS1_3repE0EEENS1_30default_config_static_selectorELNS0_4arch9wavefront6targetE1EEEvT1_,"axG",@progbits,_ZN7rocprim17ROCPRIM_400000_NS6detail17trampoline_kernelINS0_14default_configENS1_25partition_config_selectorILNS1_17partition_subalgoE1ExNS0_10empty_typeEbEEZZNS1_14partition_implILS5_1ELb0ES3_jN6thrust23THRUST_200600_302600_NS6detail15normal_iteratorINSA_10device_ptrIxEEEEPS6_NSA_18transform_iteratorI7is_evenIxESF_NSA_11use_defaultESK_EENS0_5tupleIJSF_SF_EEENSM_IJSG_SG_EEES6_PlJS6_EEE10hipError_tPvRmT3_T4_T5_T6_T7_T9_mT8_P12ihipStream_tbDpT10_ENKUlT_T0_E_clISt17integral_constantIbLb1EES18_IbLb0EEEEDaS14_S15_EUlS14_E_NS1_11comp_targetILNS1_3genE9ELNS1_11target_archE1100ELNS1_3gpuE3ELNS1_3repE0EEENS1_30default_config_static_selectorELNS0_4arch9wavefront6targetE1EEEvT1_,comdat
.Lfunc_end407:
	.size	_ZN7rocprim17ROCPRIM_400000_NS6detail17trampoline_kernelINS0_14default_configENS1_25partition_config_selectorILNS1_17partition_subalgoE1ExNS0_10empty_typeEbEEZZNS1_14partition_implILS5_1ELb0ES3_jN6thrust23THRUST_200600_302600_NS6detail15normal_iteratorINSA_10device_ptrIxEEEEPS6_NSA_18transform_iteratorI7is_evenIxESF_NSA_11use_defaultESK_EENS0_5tupleIJSF_SF_EEENSM_IJSG_SG_EEES6_PlJS6_EEE10hipError_tPvRmT3_T4_T5_T6_T7_T9_mT8_P12ihipStream_tbDpT10_ENKUlT_T0_E_clISt17integral_constantIbLb1EES18_IbLb0EEEEDaS14_S15_EUlS14_E_NS1_11comp_targetILNS1_3genE9ELNS1_11target_archE1100ELNS1_3gpuE3ELNS1_3repE0EEENS1_30default_config_static_selectorELNS0_4arch9wavefront6targetE1EEEvT1_, .Lfunc_end407-_ZN7rocprim17ROCPRIM_400000_NS6detail17trampoline_kernelINS0_14default_configENS1_25partition_config_selectorILNS1_17partition_subalgoE1ExNS0_10empty_typeEbEEZZNS1_14partition_implILS5_1ELb0ES3_jN6thrust23THRUST_200600_302600_NS6detail15normal_iteratorINSA_10device_ptrIxEEEEPS6_NSA_18transform_iteratorI7is_evenIxESF_NSA_11use_defaultESK_EENS0_5tupleIJSF_SF_EEENSM_IJSG_SG_EEES6_PlJS6_EEE10hipError_tPvRmT3_T4_T5_T6_T7_T9_mT8_P12ihipStream_tbDpT10_ENKUlT_T0_E_clISt17integral_constantIbLb1EES18_IbLb0EEEEDaS14_S15_EUlS14_E_NS1_11comp_targetILNS1_3genE9ELNS1_11target_archE1100ELNS1_3gpuE3ELNS1_3repE0EEENS1_30default_config_static_selectorELNS0_4arch9wavefront6targetE1EEEvT1_
                                        ; -- End function
	.section	.AMDGPU.csdata,"",@progbits
; Kernel info:
; codeLenInByte = 0
; NumSgprs: 4
; NumVgprs: 0
; NumAgprs: 0
; TotalNumVgprs: 0
; ScratchSize: 0
; MemoryBound: 0
; FloatMode: 240
; IeeeMode: 1
; LDSByteSize: 0 bytes/workgroup (compile time only)
; SGPRBlocks: 0
; VGPRBlocks: 0
; NumSGPRsForWavesPerEU: 4
; NumVGPRsForWavesPerEU: 1
; AccumOffset: 4
; Occupancy: 8
; WaveLimiterHint : 0
; COMPUTE_PGM_RSRC2:SCRATCH_EN: 0
; COMPUTE_PGM_RSRC2:USER_SGPR: 6
; COMPUTE_PGM_RSRC2:TRAP_HANDLER: 0
; COMPUTE_PGM_RSRC2:TGID_X_EN: 1
; COMPUTE_PGM_RSRC2:TGID_Y_EN: 0
; COMPUTE_PGM_RSRC2:TGID_Z_EN: 0
; COMPUTE_PGM_RSRC2:TIDIG_COMP_CNT: 0
; COMPUTE_PGM_RSRC3_GFX90A:ACCUM_OFFSET: 0
; COMPUTE_PGM_RSRC3_GFX90A:TG_SPLIT: 0
	.section	.text._ZN7rocprim17ROCPRIM_400000_NS6detail17trampoline_kernelINS0_14default_configENS1_25partition_config_selectorILNS1_17partition_subalgoE1ExNS0_10empty_typeEbEEZZNS1_14partition_implILS5_1ELb0ES3_jN6thrust23THRUST_200600_302600_NS6detail15normal_iteratorINSA_10device_ptrIxEEEEPS6_NSA_18transform_iteratorI7is_evenIxESF_NSA_11use_defaultESK_EENS0_5tupleIJSF_SF_EEENSM_IJSG_SG_EEES6_PlJS6_EEE10hipError_tPvRmT3_T4_T5_T6_T7_T9_mT8_P12ihipStream_tbDpT10_ENKUlT_T0_E_clISt17integral_constantIbLb1EES18_IbLb0EEEEDaS14_S15_EUlS14_E_NS1_11comp_targetILNS1_3genE8ELNS1_11target_archE1030ELNS1_3gpuE2ELNS1_3repE0EEENS1_30default_config_static_selectorELNS0_4arch9wavefront6targetE1EEEvT1_,"axG",@progbits,_ZN7rocprim17ROCPRIM_400000_NS6detail17trampoline_kernelINS0_14default_configENS1_25partition_config_selectorILNS1_17partition_subalgoE1ExNS0_10empty_typeEbEEZZNS1_14partition_implILS5_1ELb0ES3_jN6thrust23THRUST_200600_302600_NS6detail15normal_iteratorINSA_10device_ptrIxEEEEPS6_NSA_18transform_iteratorI7is_evenIxESF_NSA_11use_defaultESK_EENS0_5tupleIJSF_SF_EEENSM_IJSG_SG_EEES6_PlJS6_EEE10hipError_tPvRmT3_T4_T5_T6_T7_T9_mT8_P12ihipStream_tbDpT10_ENKUlT_T0_E_clISt17integral_constantIbLb1EES18_IbLb0EEEEDaS14_S15_EUlS14_E_NS1_11comp_targetILNS1_3genE8ELNS1_11target_archE1030ELNS1_3gpuE2ELNS1_3repE0EEENS1_30default_config_static_selectorELNS0_4arch9wavefront6targetE1EEEvT1_,comdat
	.protected	_ZN7rocprim17ROCPRIM_400000_NS6detail17trampoline_kernelINS0_14default_configENS1_25partition_config_selectorILNS1_17partition_subalgoE1ExNS0_10empty_typeEbEEZZNS1_14partition_implILS5_1ELb0ES3_jN6thrust23THRUST_200600_302600_NS6detail15normal_iteratorINSA_10device_ptrIxEEEEPS6_NSA_18transform_iteratorI7is_evenIxESF_NSA_11use_defaultESK_EENS0_5tupleIJSF_SF_EEENSM_IJSG_SG_EEES6_PlJS6_EEE10hipError_tPvRmT3_T4_T5_T6_T7_T9_mT8_P12ihipStream_tbDpT10_ENKUlT_T0_E_clISt17integral_constantIbLb1EES18_IbLb0EEEEDaS14_S15_EUlS14_E_NS1_11comp_targetILNS1_3genE8ELNS1_11target_archE1030ELNS1_3gpuE2ELNS1_3repE0EEENS1_30default_config_static_selectorELNS0_4arch9wavefront6targetE1EEEvT1_ ; -- Begin function _ZN7rocprim17ROCPRIM_400000_NS6detail17trampoline_kernelINS0_14default_configENS1_25partition_config_selectorILNS1_17partition_subalgoE1ExNS0_10empty_typeEbEEZZNS1_14partition_implILS5_1ELb0ES3_jN6thrust23THRUST_200600_302600_NS6detail15normal_iteratorINSA_10device_ptrIxEEEEPS6_NSA_18transform_iteratorI7is_evenIxESF_NSA_11use_defaultESK_EENS0_5tupleIJSF_SF_EEENSM_IJSG_SG_EEES6_PlJS6_EEE10hipError_tPvRmT3_T4_T5_T6_T7_T9_mT8_P12ihipStream_tbDpT10_ENKUlT_T0_E_clISt17integral_constantIbLb1EES18_IbLb0EEEEDaS14_S15_EUlS14_E_NS1_11comp_targetILNS1_3genE8ELNS1_11target_archE1030ELNS1_3gpuE2ELNS1_3repE0EEENS1_30default_config_static_selectorELNS0_4arch9wavefront6targetE1EEEvT1_
	.globl	_ZN7rocprim17ROCPRIM_400000_NS6detail17trampoline_kernelINS0_14default_configENS1_25partition_config_selectorILNS1_17partition_subalgoE1ExNS0_10empty_typeEbEEZZNS1_14partition_implILS5_1ELb0ES3_jN6thrust23THRUST_200600_302600_NS6detail15normal_iteratorINSA_10device_ptrIxEEEEPS6_NSA_18transform_iteratorI7is_evenIxESF_NSA_11use_defaultESK_EENS0_5tupleIJSF_SF_EEENSM_IJSG_SG_EEES6_PlJS6_EEE10hipError_tPvRmT3_T4_T5_T6_T7_T9_mT8_P12ihipStream_tbDpT10_ENKUlT_T0_E_clISt17integral_constantIbLb1EES18_IbLb0EEEEDaS14_S15_EUlS14_E_NS1_11comp_targetILNS1_3genE8ELNS1_11target_archE1030ELNS1_3gpuE2ELNS1_3repE0EEENS1_30default_config_static_selectorELNS0_4arch9wavefront6targetE1EEEvT1_
	.p2align	8
	.type	_ZN7rocprim17ROCPRIM_400000_NS6detail17trampoline_kernelINS0_14default_configENS1_25partition_config_selectorILNS1_17partition_subalgoE1ExNS0_10empty_typeEbEEZZNS1_14partition_implILS5_1ELb0ES3_jN6thrust23THRUST_200600_302600_NS6detail15normal_iteratorINSA_10device_ptrIxEEEEPS6_NSA_18transform_iteratorI7is_evenIxESF_NSA_11use_defaultESK_EENS0_5tupleIJSF_SF_EEENSM_IJSG_SG_EEES6_PlJS6_EEE10hipError_tPvRmT3_T4_T5_T6_T7_T9_mT8_P12ihipStream_tbDpT10_ENKUlT_T0_E_clISt17integral_constantIbLb1EES18_IbLb0EEEEDaS14_S15_EUlS14_E_NS1_11comp_targetILNS1_3genE8ELNS1_11target_archE1030ELNS1_3gpuE2ELNS1_3repE0EEENS1_30default_config_static_selectorELNS0_4arch9wavefront6targetE1EEEvT1_,@function
_ZN7rocprim17ROCPRIM_400000_NS6detail17trampoline_kernelINS0_14default_configENS1_25partition_config_selectorILNS1_17partition_subalgoE1ExNS0_10empty_typeEbEEZZNS1_14partition_implILS5_1ELb0ES3_jN6thrust23THRUST_200600_302600_NS6detail15normal_iteratorINSA_10device_ptrIxEEEEPS6_NSA_18transform_iteratorI7is_evenIxESF_NSA_11use_defaultESK_EENS0_5tupleIJSF_SF_EEENSM_IJSG_SG_EEES6_PlJS6_EEE10hipError_tPvRmT3_T4_T5_T6_T7_T9_mT8_P12ihipStream_tbDpT10_ENKUlT_T0_E_clISt17integral_constantIbLb1EES18_IbLb0EEEEDaS14_S15_EUlS14_E_NS1_11comp_targetILNS1_3genE8ELNS1_11target_archE1030ELNS1_3gpuE2ELNS1_3repE0EEENS1_30default_config_static_selectorELNS0_4arch9wavefront6targetE1EEEvT1_: ; @_ZN7rocprim17ROCPRIM_400000_NS6detail17trampoline_kernelINS0_14default_configENS1_25partition_config_selectorILNS1_17partition_subalgoE1ExNS0_10empty_typeEbEEZZNS1_14partition_implILS5_1ELb0ES3_jN6thrust23THRUST_200600_302600_NS6detail15normal_iteratorINSA_10device_ptrIxEEEEPS6_NSA_18transform_iteratorI7is_evenIxESF_NSA_11use_defaultESK_EENS0_5tupleIJSF_SF_EEENSM_IJSG_SG_EEES6_PlJS6_EEE10hipError_tPvRmT3_T4_T5_T6_T7_T9_mT8_P12ihipStream_tbDpT10_ENKUlT_T0_E_clISt17integral_constantIbLb1EES18_IbLb0EEEEDaS14_S15_EUlS14_E_NS1_11comp_targetILNS1_3genE8ELNS1_11target_archE1030ELNS1_3gpuE2ELNS1_3repE0EEENS1_30default_config_static_selectorELNS0_4arch9wavefront6targetE1EEEvT1_
; %bb.0:
	.section	.rodata,"a",@progbits
	.p2align	6, 0x0
	.amdhsa_kernel _ZN7rocprim17ROCPRIM_400000_NS6detail17trampoline_kernelINS0_14default_configENS1_25partition_config_selectorILNS1_17partition_subalgoE1ExNS0_10empty_typeEbEEZZNS1_14partition_implILS5_1ELb0ES3_jN6thrust23THRUST_200600_302600_NS6detail15normal_iteratorINSA_10device_ptrIxEEEEPS6_NSA_18transform_iteratorI7is_evenIxESF_NSA_11use_defaultESK_EENS0_5tupleIJSF_SF_EEENSM_IJSG_SG_EEES6_PlJS6_EEE10hipError_tPvRmT3_T4_T5_T6_T7_T9_mT8_P12ihipStream_tbDpT10_ENKUlT_T0_E_clISt17integral_constantIbLb1EES18_IbLb0EEEEDaS14_S15_EUlS14_E_NS1_11comp_targetILNS1_3genE8ELNS1_11target_archE1030ELNS1_3gpuE2ELNS1_3repE0EEENS1_30default_config_static_selectorELNS0_4arch9wavefront6targetE1EEEvT1_
		.amdhsa_group_segment_fixed_size 0
		.amdhsa_private_segment_fixed_size 0
		.amdhsa_kernarg_size 128
		.amdhsa_user_sgpr_count 6
		.amdhsa_user_sgpr_private_segment_buffer 1
		.amdhsa_user_sgpr_dispatch_ptr 0
		.amdhsa_user_sgpr_queue_ptr 0
		.amdhsa_user_sgpr_kernarg_segment_ptr 1
		.amdhsa_user_sgpr_dispatch_id 0
		.amdhsa_user_sgpr_flat_scratch_init 0
		.amdhsa_user_sgpr_kernarg_preload_length 0
		.amdhsa_user_sgpr_kernarg_preload_offset 0
		.amdhsa_user_sgpr_private_segment_size 0
		.amdhsa_uses_dynamic_stack 0
		.amdhsa_system_sgpr_private_segment_wavefront_offset 0
		.amdhsa_system_sgpr_workgroup_id_x 1
		.amdhsa_system_sgpr_workgroup_id_y 0
		.amdhsa_system_sgpr_workgroup_id_z 0
		.amdhsa_system_sgpr_workgroup_info 0
		.amdhsa_system_vgpr_workitem_id 0
		.amdhsa_next_free_vgpr 1
		.amdhsa_next_free_sgpr 0
		.amdhsa_accum_offset 4
		.amdhsa_reserve_vcc 0
		.amdhsa_reserve_flat_scratch 0
		.amdhsa_float_round_mode_32 0
		.amdhsa_float_round_mode_16_64 0
		.amdhsa_float_denorm_mode_32 3
		.amdhsa_float_denorm_mode_16_64 3
		.amdhsa_dx10_clamp 1
		.amdhsa_ieee_mode 1
		.amdhsa_fp16_overflow 0
		.amdhsa_tg_split 0
		.amdhsa_exception_fp_ieee_invalid_op 0
		.amdhsa_exception_fp_denorm_src 0
		.amdhsa_exception_fp_ieee_div_zero 0
		.amdhsa_exception_fp_ieee_overflow 0
		.amdhsa_exception_fp_ieee_underflow 0
		.amdhsa_exception_fp_ieee_inexact 0
		.amdhsa_exception_int_div_zero 0
	.end_amdhsa_kernel
	.section	.text._ZN7rocprim17ROCPRIM_400000_NS6detail17trampoline_kernelINS0_14default_configENS1_25partition_config_selectorILNS1_17partition_subalgoE1ExNS0_10empty_typeEbEEZZNS1_14partition_implILS5_1ELb0ES3_jN6thrust23THRUST_200600_302600_NS6detail15normal_iteratorINSA_10device_ptrIxEEEEPS6_NSA_18transform_iteratorI7is_evenIxESF_NSA_11use_defaultESK_EENS0_5tupleIJSF_SF_EEENSM_IJSG_SG_EEES6_PlJS6_EEE10hipError_tPvRmT3_T4_T5_T6_T7_T9_mT8_P12ihipStream_tbDpT10_ENKUlT_T0_E_clISt17integral_constantIbLb1EES18_IbLb0EEEEDaS14_S15_EUlS14_E_NS1_11comp_targetILNS1_3genE8ELNS1_11target_archE1030ELNS1_3gpuE2ELNS1_3repE0EEENS1_30default_config_static_selectorELNS0_4arch9wavefront6targetE1EEEvT1_,"axG",@progbits,_ZN7rocprim17ROCPRIM_400000_NS6detail17trampoline_kernelINS0_14default_configENS1_25partition_config_selectorILNS1_17partition_subalgoE1ExNS0_10empty_typeEbEEZZNS1_14partition_implILS5_1ELb0ES3_jN6thrust23THRUST_200600_302600_NS6detail15normal_iteratorINSA_10device_ptrIxEEEEPS6_NSA_18transform_iteratorI7is_evenIxESF_NSA_11use_defaultESK_EENS0_5tupleIJSF_SF_EEENSM_IJSG_SG_EEES6_PlJS6_EEE10hipError_tPvRmT3_T4_T5_T6_T7_T9_mT8_P12ihipStream_tbDpT10_ENKUlT_T0_E_clISt17integral_constantIbLb1EES18_IbLb0EEEEDaS14_S15_EUlS14_E_NS1_11comp_targetILNS1_3genE8ELNS1_11target_archE1030ELNS1_3gpuE2ELNS1_3repE0EEENS1_30default_config_static_selectorELNS0_4arch9wavefront6targetE1EEEvT1_,comdat
.Lfunc_end408:
	.size	_ZN7rocprim17ROCPRIM_400000_NS6detail17trampoline_kernelINS0_14default_configENS1_25partition_config_selectorILNS1_17partition_subalgoE1ExNS0_10empty_typeEbEEZZNS1_14partition_implILS5_1ELb0ES3_jN6thrust23THRUST_200600_302600_NS6detail15normal_iteratorINSA_10device_ptrIxEEEEPS6_NSA_18transform_iteratorI7is_evenIxESF_NSA_11use_defaultESK_EENS0_5tupleIJSF_SF_EEENSM_IJSG_SG_EEES6_PlJS6_EEE10hipError_tPvRmT3_T4_T5_T6_T7_T9_mT8_P12ihipStream_tbDpT10_ENKUlT_T0_E_clISt17integral_constantIbLb1EES18_IbLb0EEEEDaS14_S15_EUlS14_E_NS1_11comp_targetILNS1_3genE8ELNS1_11target_archE1030ELNS1_3gpuE2ELNS1_3repE0EEENS1_30default_config_static_selectorELNS0_4arch9wavefront6targetE1EEEvT1_, .Lfunc_end408-_ZN7rocprim17ROCPRIM_400000_NS6detail17trampoline_kernelINS0_14default_configENS1_25partition_config_selectorILNS1_17partition_subalgoE1ExNS0_10empty_typeEbEEZZNS1_14partition_implILS5_1ELb0ES3_jN6thrust23THRUST_200600_302600_NS6detail15normal_iteratorINSA_10device_ptrIxEEEEPS6_NSA_18transform_iteratorI7is_evenIxESF_NSA_11use_defaultESK_EENS0_5tupleIJSF_SF_EEENSM_IJSG_SG_EEES6_PlJS6_EEE10hipError_tPvRmT3_T4_T5_T6_T7_T9_mT8_P12ihipStream_tbDpT10_ENKUlT_T0_E_clISt17integral_constantIbLb1EES18_IbLb0EEEEDaS14_S15_EUlS14_E_NS1_11comp_targetILNS1_3genE8ELNS1_11target_archE1030ELNS1_3gpuE2ELNS1_3repE0EEENS1_30default_config_static_selectorELNS0_4arch9wavefront6targetE1EEEvT1_
                                        ; -- End function
	.section	.AMDGPU.csdata,"",@progbits
; Kernel info:
; codeLenInByte = 0
; NumSgprs: 4
; NumVgprs: 0
; NumAgprs: 0
; TotalNumVgprs: 0
; ScratchSize: 0
; MemoryBound: 0
; FloatMode: 240
; IeeeMode: 1
; LDSByteSize: 0 bytes/workgroup (compile time only)
; SGPRBlocks: 0
; VGPRBlocks: 0
; NumSGPRsForWavesPerEU: 4
; NumVGPRsForWavesPerEU: 1
; AccumOffset: 4
; Occupancy: 8
; WaveLimiterHint : 0
; COMPUTE_PGM_RSRC2:SCRATCH_EN: 0
; COMPUTE_PGM_RSRC2:USER_SGPR: 6
; COMPUTE_PGM_RSRC2:TRAP_HANDLER: 0
; COMPUTE_PGM_RSRC2:TGID_X_EN: 1
; COMPUTE_PGM_RSRC2:TGID_Y_EN: 0
; COMPUTE_PGM_RSRC2:TGID_Z_EN: 0
; COMPUTE_PGM_RSRC2:TIDIG_COMP_CNT: 0
; COMPUTE_PGM_RSRC3_GFX90A:ACCUM_OFFSET: 0
; COMPUTE_PGM_RSRC3_GFX90A:TG_SPLIT: 0
	.section	.text._ZN7rocprim17ROCPRIM_400000_NS6detail17trampoline_kernelINS0_14default_configENS1_25partition_config_selectorILNS1_17partition_subalgoE1ExNS0_10empty_typeEbEEZZNS1_14partition_implILS5_1ELb0ES3_jN6thrust23THRUST_200600_302600_NS6detail15normal_iteratorINSA_10device_ptrIxEEEEPS6_NSA_18transform_iteratorI7is_evenIxESF_NSA_11use_defaultESK_EENS0_5tupleIJSF_SF_EEENSM_IJSG_SG_EEES6_PlJS6_EEE10hipError_tPvRmT3_T4_T5_T6_T7_T9_mT8_P12ihipStream_tbDpT10_ENKUlT_T0_E_clISt17integral_constantIbLb0EES18_IbLb1EEEEDaS14_S15_EUlS14_E_NS1_11comp_targetILNS1_3genE0ELNS1_11target_archE4294967295ELNS1_3gpuE0ELNS1_3repE0EEENS1_30default_config_static_selectorELNS0_4arch9wavefront6targetE1EEEvT1_,"axG",@progbits,_ZN7rocprim17ROCPRIM_400000_NS6detail17trampoline_kernelINS0_14default_configENS1_25partition_config_selectorILNS1_17partition_subalgoE1ExNS0_10empty_typeEbEEZZNS1_14partition_implILS5_1ELb0ES3_jN6thrust23THRUST_200600_302600_NS6detail15normal_iteratorINSA_10device_ptrIxEEEEPS6_NSA_18transform_iteratorI7is_evenIxESF_NSA_11use_defaultESK_EENS0_5tupleIJSF_SF_EEENSM_IJSG_SG_EEES6_PlJS6_EEE10hipError_tPvRmT3_T4_T5_T6_T7_T9_mT8_P12ihipStream_tbDpT10_ENKUlT_T0_E_clISt17integral_constantIbLb0EES18_IbLb1EEEEDaS14_S15_EUlS14_E_NS1_11comp_targetILNS1_3genE0ELNS1_11target_archE4294967295ELNS1_3gpuE0ELNS1_3repE0EEENS1_30default_config_static_selectorELNS0_4arch9wavefront6targetE1EEEvT1_,comdat
	.protected	_ZN7rocprim17ROCPRIM_400000_NS6detail17trampoline_kernelINS0_14default_configENS1_25partition_config_selectorILNS1_17partition_subalgoE1ExNS0_10empty_typeEbEEZZNS1_14partition_implILS5_1ELb0ES3_jN6thrust23THRUST_200600_302600_NS6detail15normal_iteratorINSA_10device_ptrIxEEEEPS6_NSA_18transform_iteratorI7is_evenIxESF_NSA_11use_defaultESK_EENS0_5tupleIJSF_SF_EEENSM_IJSG_SG_EEES6_PlJS6_EEE10hipError_tPvRmT3_T4_T5_T6_T7_T9_mT8_P12ihipStream_tbDpT10_ENKUlT_T0_E_clISt17integral_constantIbLb0EES18_IbLb1EEEEDaS14_S15_EUlS14_E_NS1_11comp_targetILNS1_3genE0ELNS1_11target_archE4294967295ELNS1_3gpuE0ELNS1_3repE0EEENS1_30default_config_static_selectorELNS0_4arch9wavefront6targetE1EEEvT1_ ; -- Begin function _ZN7rocprim17ROCPRIM_400000_NS6detail17trampoline_kernelINS0_14default_configENS1_25partition_config_selectorILNS1_17partition_subalgoE1ExNS0_10empty_typeEbEEZZNS1_14partition_implILS5_1ELb0ES3_jN6thrust23THRUST_200600_302600_NS6detail15normal_iteratorINSA_10device_ptrIxEEEEPS6_NSA_18transform_iteratorI7is_evenIxESF_NSA_11use_defaultESK_EENS0_5tupleIJSF_SF_EEENSM_IJSG_SG_EEES6_PlJS6_EEE10hipError_tPvRmT3_T4_T5_T6_T7_T9_mT8_P12ihipStream_tbDpT10_ENKUlT_T0_E_clISt17integral_constantIbLb0EES18_IbLb1EEEEDaS14_S15_EUlS14_E_NS1_11comp_targetILNS1_3genE0ELNS1_11target_archE4294967295ELNS1_3gpuE0ELNS1_3repE0EEENS1_30default_config_static_selectorELNS0_4arch9wavefront6targetE1EEEvT1_
	.globl	_ZN7rocprim17ROCPRIM_400000_NS6detail17trampoline_kernelINS0_14default_configENS1_25partition_config_selectorILNS1_17partition_subalgoE1ExNS0_10empty_typeEbEEZZNS1_14partition_implILS5_1ELb0ES3_jN6thrust23THRUST_200600_302600_NS6detail15normal_iteratorINSA_10device_ptrIxEEEEPS6_NSA_18transform_iteratorI7is_evenIxESF_NSA_11use_defaultESK_EENS0_5tupleIJSF_SF_EEENSM_IJSG_SG_EEES6_PlJS6_EEE10hipError_tPvRmT3_T4_T5_T6_T7_T9_mT8_P12ihipStream_tbDpT10_ENKUlT_T0_E_clISt17integral_constantIbLb0EES18_IbLb1EEEEDaS14_S15_EUlS14_E_NS1_11comp_targetILNS1_3genE0ELNS1_11target_archE4294967295ELNS1_3gpuE0ELNS1_3repE0EEENS1_30default_config_static_selectorELNS0_4arch9wavefront6targetE1EEEvT1_
	.p2align	8
	.type	_ZN7rocprim17ROCPRIM_400000_NS6detail17trampoline_kernelINS0_14default_configENS1_25partition_config_selectorILNS1_17partition_subalgoE1ExNS0_10empty_typeEbEEZZNS1_14partition_implILS5_1ELb0ES3_jN6thrust23THRUST_200600_302600_NS6detail15normal_iteratorINSA_10device_ptrIxEEEEPS6_NSA_18transform_iteratorI7is_evenIxESF_NSA_11use_defaultESK_EENS0_5tupleIJSF_SF_EEENSM_IJSG_SG_EEES6_PlJS6_EEE10hipError_tPvRmT3_T4_T5_T6_T7_T9_mT8_P12ihipStream_tbDpT10_ENKUlT_T0_E_clISt17integral_constantIbLb0EES18_IbLb1EEEEDaS14_S15_EUlS14_E_NS1_11comp_targetILNS1_3genE0ELNS1_11target_archE4294967295ELNS1_3gpuE0ELNS1_3repE0EEENS1_30default_config_static_selectorELNS0_4arch9wavefront6targetE1EEEvT1_,@function
_ZN7rocprim17ROCPRIM_400000_NS6detail17trampoline_kernelINS0_14default_configENS1_25partition_config_selectorILNS1_17partition_subalgoE1ExNS0_10empty_typeEbEEZZNS1_14partition_implILS5_1ELb0ES3_jN6thrust23THRUST_200600_302600_NS6detail15normal_iteratorINSA_10device_ptrIxEEEEPS6_NSA_18transform_iteratorI7is_evenIxESF_NSA_11use_defaultESK_EENS0_5tupleIJSF_SF_EEENSM_IJSG_SG_EEES6_PlJS6_EEE10hipError_tPvRmT3_T4_T5_T6_T7_T9_mT8_P12ihipStream_tbDpT10_ENKUlT_T0_E_clISt17integral_constantIbLb0EES18_IbLb1EEEEDaS14_S15_EUlS14_E_NS1_11comp_targetILNS1_3genE0ELNS1_11target_archE4294967295ELNS1_3gpuE0ELNS1_3repE0EEENS1_30default_config_static_selectorELNS0_4arch9wavefront6targetE1EEEvT1_: ; @_ZN7rocprim17ROCPRIM_400000_NS6detail17trampoline_kernelINS0_14default_configENS1_25partition_config_selectorILNS1_17partition_subalgoE1ExNS0_10empty_typeEbEEZZNS1_14partition_implILS5_1ELb0ES3_jN6thrust23THRUST_200600_302600_NS6detail15normal_iteratorINSA_10device_ptrIxEEEEPS6_NSA_18transform_iteratorI7is_evenIxESF_NSA_11use_defaultESK_EENS0_5tupleIJSF_SF_EEENSM_IJSG_SG_EEES6_PlJS6_EEE10hipError_tPvRmT3_T4_T5_T6_T7_T9_mT8_P12ihipStream_tbDpT10_ENKUlT_T0_E_clISt17integral_constantIbLb0EES18_IbLb1EEEEDaS14_S15_EUlS14_E_NS1_11comp_targetILNS1_3genE0ELNS1_11target_archE4294967295ELNS1_3gpuE0ELNS1_3repE0EEENS1_30default_config_static_selectorELNS0_4arch9wavefront6targetE1EEEvT1_
; %bb.0:
	.section	.rodata,"a",@progbits
	.p2align	6, 0x0
	.amdhsa_kernel _ZN7rocprim17ROCPRIM_400000_NS6detail17trampoline_kernelINS0_14default_configENS1_25partition_config_selectorILNS1_17partition_subalgoE1ExNS0_10empty_typeEbEEZZNS1_14partition_implILS5_1ELb0ES3_jN6thrust23THRUST_200600_302600_NS6detail15normal_iteratorINSA_10device_ptrIxEEEEPS6_NSA_18transform_iteratorI7is_evenIxESF_NSA_11use_defaultESK_EENS0_5tupleIJSF_SF_EEENSM_IJSG_SG_EEES6_PlJS6_EEE10hipError_tPvRmT3_T4_T5_T6_T7_T9_mT8_P12ihipStream_tbDpT10_ENKUlT_T0_E_clISt17integral_constantIbLb0EES18_IbLb1EEEEDaS14_S15_EUlS14_E_NS1_11comp_targetILNS1_3genE0ELNS1_11target_archE4294967295ELNS1_3gpuE0ELNS1_3repE0EEENS1_30default_config_static_selectorELNS0_4arch9wavefront6targetE1EEEvT1_
		.amdhsa_group_segment_fixed_size 0
		.amdhsa_private_segment_fixed_size 0
		.amdhsa_kernarg_size 144
		.amdhsa_user_sgpr_count 6
		.amdhsa_user_sgpr_private_segment_buffer 1
		.amdhsa_user_sgpr_dispatch_ptr 0
		.amdhsa_user_sgpr_queue_ptr 0
		.amdhsa_user_sgpr_kernarg_segment_ptr 1
		.amdhsa_user_sgpr_dispatch_id 0
		.amdhsa_user_sgpr_flat_scratch_init 0
		.amdhsa_user_sgpr_kernarg_preload_length 0
		.amdhsa_user_sgpr_kernarg_preload_offset 0
		.amdhsa_user_sgpr_private_segment_size 0
		.amdhsa_uses_dynamic_stack 0
		.amdhsa_system_sgpr_private_segment_wavefront_offset 0
		.amdhsa_system_sgpr_workgroup_id_x 1
		.amdhsa_system_sgpr_workgroup_id_y 0
		.amdhsa_system_sgpr_workgroup_id_z 0
		.amdhsa_system_sgpr_workgroup_info 0
		.amdhsa_system_vgpr_workitem_id 0
		.amdhsa_next_free_vgpr 1
		.amdhsa_next_free_sgpr 0
		.amdhsa_accum_offset 4
		.amdhsa_reserve_vcc 0
		.amdhsa_reserve_flat_scratch 0
		.amdhsa_float_round_mode_32 0
		.amdhsa_float_round_mode_16_64 0
		.amdhsa_float_denorm_mode_32 3
		.amdhsa_float_denorm_mode_16_64 3
		.amdhsa_dx10_clamp 1
		.amdhsa_ieee_mode 1
		.amdhsa_fp16_overflow 0
		.amdhsa_tg_split 0
		.amdhsa_exception_fp_ieee_invalid_op 0
		.amdhsa_exception_fp_denorm_src 0
		.amdhsa_exception_fp_ieee_div_zero 0
		.amdhsa_exception_fp_ieee_overflow 0
		.amdhsa_exception_fp_ieee_underflow 0
		.amdhsa_exception_fp_ieee_inexact 0
		.amdhsa_exception_int_div_zero 0
	.end_amdhsa_kernel
	.section	.text._ZN7rocprim17ROCPRIM_400000_NS6detail17trampoline_kernelINS0_14default_configENS1_25partition_config_selectorILNS1_17partition_subalgoE1ExNS0_10empty_typeEbEEZZNS1_14partition_implILS5_1ELb0ES3_jN6thrust23THRUST_200600_302600_NS6detail15normal_iteratorINSA_10device_ptrIxEEEEPS6_NSA_18transform_iteratorI7is_evenIxESF_NSA_11use_defaultESK_EENS0_5tupleIJSF_SF_EEENSM_IJSG_SG_EEES6_PlJS6_EEE10hipError_tPvRmT3_T4_T5_T6_T7_T9_mT8_P12ihipStream_tbDpT10_ENKUlT_T0_E_clISt17integral_constantIbLb0EES18_IbLb1EEEEDaS14_S15_EUlS14_E_NS1_11comp_targetILNS1_3genE0ELNS1_11target_archE4294967295ELNS1_3gpuE0ELNS1_3repE0EEENS1_30default_config_static_selectorELNS0_4arch9wavefront6targetE1EEEvT1_,"axG",@progbits,_ZN7rocprim17ROCPRIM_400000_NS6detail17trampoline_kernelINS0_14default_configENS1_25partition_config_selectorILNS1_17partition_subalgoE1ExNS0_10empty_typeEbEEZZNS1_14partition_implILS5_1ELb0ES3_jN6thrust23THRUST_200600_302600_NS6detail15normal_iteratorINSA_10device_ptrIxEEEEPS6_NSA_18transform_iteratorI7is_evenIxESF_NSA_11use_defaultESK_EENS0_5tupleIJSF_SF_EEENSM_IJSG_SG_EEES6_PlJS6_EEE10hipError_tPvRmT3_T4_T5_T6_T7_T9_mT8_P12ihipStream_tbDpT10_ENKUlT_T0_E_clISt17integral_constantIbLb0EES18_IbLb1EEEEDaS14_S15_EUlS14_E_NS1_11comp_targetILNS1_3genE0ELNS1_11target_archE4294967295ELNS1_3gpuE0ELNS1_3repE0EEENS1_30default_config_static_selectorELNS0_4arch9wavefront6targetE1EEEvT1_,comdat
.Lfunc_end409:
	.size	_ZN7rocprim17ROCPRIM_400000_NS6detail17trampoline_kernelINS0_14default_configENS1_25partition_config_selectorILNS1_17partition_subalgoE1ExNS0_10empty_typeEbEEZZNS1_14partition_implILS5_1ELb0ES3_jN6thrust23THRUST_200600_302600_NS6detail15normal_iteratorINSA_10device_ptrIxEEEEPS6_NSA_18transform_iteratorI7is_evenIxESF_NSA_11use_defaultESK_EENS0_5tupleIJSF_SF_EEENSM_IJSG_SG_EEES6_PlJS6_EEE10hipError_tPvRmT3_T4_T5_T6_T7_T9_mT8_P12ihipStream_tbDpT10_ENKUlT_T0_E_clISt17integral_constantIbLb0EES18_IbLb1EEEEDaS14_S15_EUlS14_E_NS1_11comp_targetILNS1_3genE0ELNS1_11target_archE4294967295ELNS1_3gpuE0ELNS1_3repE0EEENS1_30default_config_static_selectorELNS0_4arch9wavefront6targetE1EEEvT1_, .Lfunc_end409-_ZN7rocprim17ROCPRIM_400000_NS6detail17trampoline_kernelINS0_14default_configENS1_25partition_config_selectorILNS1_17partition_subalgoE1ExNS0_10empty_typeEbEEZZNS1_14partition_implILS5_1ELb0ES3_jN6thrust23THRUST_200600_302600_NS6detail15normal_iteratorINSA_10device_ptrIxEEEEPS6_NSA_18transform_iteratorI7is_evenIxESF_NSA_11use_defaultESK_EENS0_5tupleIJSF_SF_EEENSM_IJSG_SG_EEES6_PlJS6_EEE10hipError_tPvRmT3_T4_T5_T6_T7_T9_mT8_P12ihipStream_tbDpT10_ENKUlT_T0_E_clISt17integral_constantIbLb0EES18_IbLb1EEEEDaS14_S15_EUlS14_E_NS1_11comp_targetILNS1_3genE0ELNS1_11target_archE4294967295ELNS1_3gpuE0ELNS1_3repE0EEENS1_30default_config_static_selectorELNS0_4arch9wavefront6targetE1EEEvT1_
                                        ; -- End function
	.section	.AMDGPU.csdata,"",@progbits
; Kernel info:
; codeLenInByte = 0
; NumSgprs: 4
; NumVgprs: 0
; NumAgprs: 0
; TotalNumVgprs: 0
; ScratchSize: 0
; MemoryBound: 0
; FloatMode: 240
; IeeeMode: 1
; LDSByteSize: 0 bytes/workgroup (compile time only)
; SGPRBlocks: 0
; VGPRBlocks: 0
; NumSGPRsForWavesPerEU: 4
; NumVGPRsForWavesPerEU: 1
; AccumOffset: 4
; Occupancy: 8
; WaveLimiterHint : 0
; COMPUTE_PGM_RSRC2:SCRATCH_EN: 0
; COMPUTE_PGM_RSRC2:USER_SGPR: 6
; COMPUTE_PGM_RSRC2:TRAP_HANDLER: 0
; COMPUTE_PGM_RSRC2:TGID_X_EN: 1
; COMPUTE_PGM_RSRC2:TGID_Y_EN: 0
; COMPUTE_PGM_RSRC2:TGID_Z_EN: 0
; COMPUTE_PGM_RSRC2:TIDIG_COMP_CNT: 0
; COMPUTE_PGM_RSRC3_GFX90A:ACCUM_OFFSET: 0
; COMPUTE_PGM_RSRC3_GFX90A:TG_SPLIT: 0
	.section	.text._ZN7rocprim17ROCPRIM_400000_NS6detail17trampoline_kernelINS0_14default_configENS1_25partition_config_selectorILNS1_17partition_subalgoE1ExNS0_10empty_typeEbEEZZNS1_14partition_implILS5_1ELb0ES3_jN6thrust23THRUST_200600_302600_NS6detail15normal_iteratorINSA_10device_ptrIxEEEEPS6_NSA_18transform_iteratorI7is_evenIxESF_NSA_11use_defaultESK_EENS0_5tupleIJSF_SF_EEENSM_IJSG_SG_EEES6_PlJS6_EEE10hipError_tPvRmT3_T4_T5_T6_T7_T9_mT8_P12ihipStream_tbDpT10_ENKUlT_T0_E_clISt17integral_constantIbLb0EES18_IbLb1EEEEDaS14_S15_EUlS14_E_NS1_11comp_targetILNS1_3genE5ELNS1_11target_archE942ELNS1_3gpuE9ELNS1_3repE0EEENS1_30default_config_static_selectorELNS0_4arch9wavefront6targetE1EEEvT1_,"axG",@progbits,_ZN7rocprim17ROCPRIM_400000_NS6detail17trampoline_kernelINS0_14default_configENS1_25partition_config_selectorILNS1_17partition_subalgoE1ExNS0_10empty_typeEbEEZZNS1_14partition_implILS5_1ELb0ES3_jN6thrust23THRUST_200600_302600_NS6detail15normal_iteratorINSA_10device_ptrIxEEEEPS6_NSA_18transform_iteratorI7is_evenIxESF_NSA_11use_defaultESK_EENS0_5tupleIJSF_SF_EEENSM_IJSG_SG_EEES6_PlJS6_EEE10hipError_tPvRmT3_T4_T5_T6_T7_T9_mT8_P12ihipStream_tbDpT10_ENKUlT_T0_E_clISt17integral_constantIbLb0EES18_IbLb1EEEEDaS14_S15_EUlS14_E_NS1_11comp_targetILNS1_3genE5ELNS1_11target_archE942ELNS1_3gpuE9ELNS1_3repE0EEENS1_30default_config_static_selectorELNS0_4arch9wavefront6targetE1EEEvT1_,comdat
	.protected	_ZN7rocprim17ROCPRIM_400000_NS6detail17trampoline_kernelINS0_14default_configENS1_25partition_config_selectorILNS1_17partition_subalgoE1ExNS0_10empty_typeEbEEZZNS1_14partition_implILS5_1ELb0ES3_jN6thrust23THRUST_200600_302600_NS6detail15normal_iteratorINSA_10device_ptrIxEEEEPS6_NSA_18transform_iteratorI7is_evenIxESF_NSA_11use_defaultESK_EENS0_5tupleIJSF_SF_EEENSM_IJSG_SG_EEES6_PlJS6_EEE10hipError_tPvRmT3_T4_T5_T6_T7_T9_mT8_P12ihipStream_tbDpT10_ENKUlT_T0_E_clISt17integral_constantIbLb0EES18_IbLb1EEEEDaS14_S15_EUlS14_E_NS1_11comp_targetILNS1_3genE5ELNS1_11target_archE942ELNS1_3gpuE9ELNS1_3repE0EEENS1_30default_config_static_selectorELNS0_4arch9wavefront6targetE1EEEvT1_ ; -- Begin function _ZN7rocprim17ROCPRIM_400000_NS6detail17trampoline_kernelINS0_14default_configENS1_25partition_config_selectorILNS1_17partition_subalgoE1ExNS0_10empty_typeEbEEZZNS1_14partition_implILS5_1ELb0ES3_jN6thrust23THRUST_200600_302600_NS6detail15normal_iteratorINSA_10device_ptrIxEEEEPS6_NSA_18transform_iteratorI7is_evenIxESF_NSA_11use_defaultESK_EENS0_5tupleIJSF_SF_EEENSM_IJSG_SG_EEES6_PlJS6_EEE10hipError_tPvRmT3_T4_T5_T6_T7_T9_mT8_P12ihipStream_tbDpT10_ENKUlT_T0_E_clISt17integral_constantIbLb0EES18_IbLb1EEEEDaS14_S15_EUlS14_E_NS1_11comp_targetILNS1_3genE5ELNS1_11target_archE942ELNS1_3gpuE9ELNS1_3repE0EEENS1_30default_config_static_selectorELNS0_4arch9wavefront6targetE1EEEvT1_
	.globl	_ZN7rocprim17ROCPRIM_400000_NS6detail17trampoline_kernelINS0_14default_configENS1_25partition_config_selectorILNS1_17partition_subalgoE1ExNS0_10empty_typeEbEEZZNS1_14partition_implILS5_1ELb0ES3_jN6thrust23THRUST_200600_302600_NS6detail15normal_iteratorINSA_10device_ptrIxEEEEPS6_NSA_18transform_iteratorI7is_evenIxESF_NSA_11use_defaultESK_EENS0_5tupleIJSF_SF_EEENSM_IJSG_SG_EEES6_PlJS6_EEE10hipError_tPvRmT3_T4_T5_T6_T7_T9_mT8_P12ihipStream_tbDpT10_ENKUlT_T0_E_clISt17integral_constantIbLb0EES18_IbLb1EEEEDaS14_S15_EUlS14_E_NS1_11comp_targetILNS1_3genE5ELNS1_11target_archE942ELNS1_3gpuE9ELNS1_3repE0EEENS1_30default_config_static_selectorELNS0_4arch9wavefront6targetE1EEEvT1_
	.p2align	8
	.type	_ZN7rocprim17ROCPRIM_400000_NS6detail17trampoline_kernelINS0_14default_configENS1_25partition_config_selectorILNS1_17partition_subalgoE1ExNS0_10empty_typeEbEEZZNS1_14partition_implILS5_1ELb0ES3_jN6thrust23THRUST_200600_302600_NS6detail15normal_iteratorINSA_10device_ptrIxEEEEPS6_NSA_18transform_iteratorI7is_evenIxESF_NSA_11use_defaultESK_EENS0_5tupleIJSF_SF_EEENSM_IJSG_SG_EEES6_PlJS6_EEE10hipError_tPvRmT3_T4_T5_T6_T7_T9_mT8_P12ihipStream_tbDpT10_ENKUlT_T0_E_clISt17integral_constantIbLb0EES18_IbLb1EEEEDaS14_S15_EUlS14_E_NS1_11comp_targetILNS1_3genE5ELNS1_11target_archE942ELNS1_3gpuE9ELNS1_3repE0EEENS1_30default_config_static_selectorELNS0_4arch9wavefront6targetE1EEEvT1_,@function
_ZN7rocprim17ROCPRIM_400000_NS6detail17trampoline_kernelINS0_14default_configENS1_25partition_config_selectorILNS1_17partition_subalgoE1ExNS0_10empty_typeEbEEZZNS1_14partition_implILS5_1ELb0ES3_jN6thrust23THRUST_200600_302600_NS6detail15normal_iteratorINSA_10device_ptrIxEEEEPS6_NSA_18transform_iteratorI7is_evenIxESF_NSA_11use_defaultESK_EENS0_5tupleIJSF_SF_EEENSM_IJSG_SG_EEES6_PlJS6_EEE10hipError_tPvRmT3_T4_T5_T6_T7_T9_mT8_P12ihipStream_tbDpT10_ENKUlT_T0_E_clISt17integral_constantIbLb0EES18_IbLb1EEEEDaS14_S15_EUlS14_E_NS1_11comp_targetILNS1_3genE5ELNS1_11target_archE942ELNS1_3gpuE9ELNS1_3repE0EEENS1_30default_config_static_selectorELNS0_4arch9wavefront6targetE1EEEvT1_: ; @_ZN7rocprim17ROCPRIM_400000_NS6detail17trampoline_kernelINS0_14default_configENS1_25partition_config_selectorILNS1_17partition_subalgoE1ExNS0_10empty_typeEbEEZZNS1_14partition_implILS5_1ELb0ES3_jN6thrust23THRUST_200600_302600_NS6detail15normal_iteratorINSA_10device_ptrIxEEEEPS6_NSA_18transform_iteratorI7is_evenIxESF_NSA_11use_defaultESK_EENS0_5tupleIJSF_SF_EEENSM_IJSG_SG_EEES6_PlJS6_EEE10hipError_tPvRmT3_T4_T5_T6_T7_T9_mT8_P12ihipStream_tbDpT10_ENKUlT_T0_E_clISt17integral_constantIbLb0EES18_IbLb1EEEEDaS14_S15_EUlS14_E_NS1_11comp_targetILNS1_3genE5ELNS1_11target_archE942ELNS1_3gpuE9ELNS1_3repE0EEENS1_30default_config_static_selectorELNS0_4arch9wavefront6targetE1EEEvT1_
; %bb.0:
	.section	.rodata,"a",@progbits
	.p2align	6, 0x0
	.amdhsa_kernel _ZN7rocprim17ROCPRIM_400000_NS6detail17trampoline_kernelINS0_14default_configENS1_25partition_config_selectorILNS1_17partition_subalgoE1ExNS0_10empty_typeEbEEZZNS1_14partition_implILS5_1ELb0ES3_jN6thrust23THRUST_200600_302600_NS6detail15normal_iteratorINSA_10device_ptrIxEEEEPS6_NSA_18transform_iteratorI7is_evenIxESF_NSA_11use_defaultESK_EENS0_5tupleIJSF_SF_EEENSM_IJSG_SG_EEES6_PlJS6_EEE10hipError_tPvRmT3_T4_T5_T6_T7_T9_mT8_P12ihipStream_tbDpT10_ENKUlT_T0_E_clISt17integral_constantIbLb0EES18_IbLb1EEEEDaS14_S15_EUlS14_E_NS1_11comp_targetILNS1_3genE5ELNS1_11target_archE942ELNS1_3gpuE9ELNS1_3repE0EEENS1_30default_config_static_selectorELNS0_4arch9wavefront6targetE1EEEvT1_
		.amdhsa_group_segment_fixed_size 0
		.amdhsa_private_segment_fixed_size 0
		.amdhsa_kernarg_size 144
		.amdhsa_user_sgpr_count 6
		.amdhsa_user_sgpr_private_segment_buffer 1
		.amdhsa_user_sgpr_dispatch_ptr 0
		.amdhsa_user_sgpr_queue_ptr 0
		.amdhsa_user_sgpr_kernarg_segment_ptr 1
		.amdhsa_user_sgpr_dispatch_id 0
		.amdhsa_user_sgpr_flat_scratch_init 0
		.amdhsa_user_sgpr_kernarg_preload_length 0
		.amdhsa_user_sgpr_kernarg_preload_offset 0
		.amdhsa_user_sgpr_private_segment_size 0
		.amdhsa_uses_dynamic_stack 0
		.amdhsa_system_sgpr_private_segment_wavefront_offset 0
		.amdhsa_system_sgpr_workgroup_id_x 1
		.amdhsa_system_sgpr_workgroup_id_y 0
		.amdhsa_system_sgpr_workgroup_id_z 0
		.amdhsa_system_sgpr_workgroup_info 0
		.amdhsa_system_vgpr_workitem_id 0
		.amdhsa_next_free_vgpr 1
		.amdhsa_next_free_sgpr 0
		.amdhsa_accum_offset 4
		.amdhsa_reserve_vcc 0
		.amdhsa_reserve_flat_scratch 0
		.amdhsa_float_round_mode_32 0
		.amdhsa_float_round_mode_16_64 0
		.amdhsa_float_denorm_mode_32 3
		.amdhsa_float_denorm_mode_16_64 3
		.amdhsa_dx10_clamp 1
		.amdhsa_ieee_mode 1
		.amdhsa_fp16_overflow 0
		.amdhsa_tg_split 0
		.amdhsa_exception_fp_ieee_invalid_op 0
		.amdhsa_exception_fp_denorm_src 0
		.amdhsa_exception_fp_ieee_div_zero 0
		.amdhsa_exception_fp_ieee_overflow 0
		.amdhsa_exception_fp_ieee_underflow 0
		.amdhsa_exception_fp_ieee_inexact 0
		.amdhsa_exception_int_div_zero 0
	.end_amdhsa_kernel
	.section	.text._ZN7rocprim17ROCPRIM_400000_NS6detail17trampoline_kernelINS0_14default_configENS1_25partition_config_selectorILNS1_17partition_subalgoE1ExNS0_10empty_typeEbEEZZNS1_14partition_implILS5_1ELb0ES3_jN6thrust23THRUST_200600_302600_NS6detail15normal_iteratorINSA_10device_ptrIxEEEEPS6_NSA_18transform_iteratorI7is_evenIxESF_NSA_11use_defaultESK_EENS0_5tupleIJSF_SF_EEENSM_IJSG_SG_EEES6_PlJS6_EEE10hipError_tPvRmT3_T4_T5_T6_T7_T9_mT8_P12ihipStream_tbDpT10_ENKUlT_T0_E_clISt17integral_constantIbLb0EES18_IbLb1EEEEDaS14_S15_EUlS14_E_NS1_11comp_targetILNS1_3genE5ELNS1_11target_archE942ELNS1_3gpuE9ELNS1_3repE0EEENS1_30default_config_static_selectorELNS0_4arch9wavefront6targetE1EEEvT1_,"axG",@progbits,_ZN7rocprim17ROCPRIM_400000_NS6detail17trampoline_kernelINS0_14default_configENS1_25partition_config_selectorILNS1_17partition_subalgoE1ExNS0_10empty_typeEbEEZZNS1_14partition_implILS5_1ELb0ES3_jN6thrust23THRUST_200600_302600_NS6detail15normal_iteratorINSA_10device_ptrIxEEEEPS6_NSA_18transform_iteratorI7is_evenIxESF_NSA_11use_defaultESK_EENS0_5tupleIJSF_SF_EEENSM_IJSG_SG_EEES6_PlJS6_EEE10hipError_tPvRmT3_T4_T5_T6_T7_T9_mT8_P12ihipStream_tbDpT10_ENKUlT_T0_E_clISt17integral_constantIbLb0EES18_IbLb1EEEEDaS14_S15_EUlS14_E_NS1_11comp_targetILNS1_3genE5ELNS1_11target_archE942ELNS1_3gpuE9ELNS1_3repE0EEENS1_30default_config_static_selectorELNS0_4arch9wavefront6targetE1EEEvT1_,comdat
.Lfunc_end410:
	.size	_ZN7rocprim17ROCPRIM_400000_NS6detail17trampoline_kernelINS0_14default_configENS1_25partition_config_selectorILNS1_17partition_subalgoE1ExNS0_10empty_typeEbEEZZNS1_14partition_implILS5_1ELb0ES3_jN6thrust23THRUST_200600_302600_NS6detail15normal_iteratorINSA_10device_ptrIxEEEEPS6_NSA_18transform_iteratorI7is_evenIxESF_NSA_11use_defaultESK_EENS0_5tupleIJSF_SF_EEENSM_IJSG_SG_EEES6_PlJS6_EEE10hipError_tPvRmT3_T4_T5_T6_T7_T9_mT8_P12ihipStream_tbDpT10_ENKUlT_T0_E_clISt17integral_constantIbLb0EES18_IbLb1EEEEDaS14_S15_EUlS14_E_NS1_11comp_targetILNS1_3genE5ELNS1_11target_archE942ELNS1_3gpuE9ELNS1_3repE0EEENS1_30default_config_static_selectorELNS0_4arch9wavefront6targetE1EEEvT1_, .Lfunc_end410-_ZN7rocprim17ROCPRIM_400000_NS6detail17trampoline_kernelINS0_14default_configENS1_25partition_config_selectorILNS1_17partition_subalgoE1ExNS0_10empty_typeEbEEZZNS1_14partition_implILS5_1ELb0ES3_jN6thrust23THRUST_200600_302600_NS6detail15normal_iteratorINSA_10device_ptrIxEEEEPS6_NSA_18transform_iteratorI7is_evenIxESF_NSA_11use_defaultESK_EENS0_5tupleIJSF_SF_EEENSM_IJSG_SG_EEES6_PlJS6_EEE10hipError_tPvRmT3_T4_T5_T6_T7_T9_mT8_P12ihipStream_tbDpT10_ENKUlT_T0_E_clISt17integral_constantIbLb0EES18_IbLb1EEEEDaS14_S15_EUlS14_E_NS1_11comp_targetILNS1_3genE5ELNS1_11target_archE942ELNS1_3gpuE9ELNS1_3repE0EEENS1_30default_config_static_selectorELNS0_4arch9wavefront6targetE1EEEvT1_
                                        ; -- End function
	.section	.AMDGPU.csdata,"",@progbits
; Kernel info:
; codeLenInByte = 0
; NumSgprs: 4
; NumVgprs: 0
; NumAgprs: 0
; TotalNumVgprs: 0
; ScratchSize: 0
; MemoryBound: 0
; FloatMode: 240
; IeeeMode: 1
; LDSByteSize: 0 bytes/workgroup (compile time only)
; SGPRBlocks: 0
; VGPRBlocks: 0
; NumSGPRsForWavesPerEU: 4
; NumVGPRsForWavesPerEU: 1
; AccumOffset: 4
; Occupancy: 8
; WaveLimiterHint : 0
; COMPUTE_PGM_RSRC2:SCRATCH_EN: 0
; COMPUTE_PGM_RSRC2:USER_SGPR: 6
; COMPUTE_PGM_RSRC2:TRAP_HANDLER: 0
; COMPUTE_PGM_RSRC2:TGID_X_EN: 1
; COMPUTE_PGM_RSRC2:TGID_Y_EN: 0
; COMPUTE_PGM_RSRC2:TGID_Z_EN: 0
; COMPUTE_PGM_RSRC2:TIDIG_COMP_CNT: 0
; COMPUTE_PGM_RSRC3_GFX90A:ACCUM_OFFSET: 0
; COMPUTE_PGM_RSRC3_GFX90A:TG_SPLIT: 0
	.section	.text._ZN7rocprim17ROCPRIM_400000_NS6detail17trampoline_kernelINS0_14default_configENS1_25partition_config_selectorILNS1_17partition_subalgoE1ExNS0_10empty_typeEbEEZZNS1_14partition_implILS5_1ELb0ES3_jN6thrust23THRUST_200600_302600_NS6detail15normal_iteratorINSA_10device_ptrIxEEEEPS6_NSA_18transform_iteratorI7is_evenIxESF_NSA_11use_defaultESK_EENS0_5tupleIJSF_SF_EEENSM_IJSG_SG_EEES6_PlJS6_EEE10hipError_tPvRmT3_T4_T5_T6_T7_T9_mT8_P12ihipStream_tbDpT10_ENKUlT_T0_E_clISt17integral_constantIbLb0EES18_IbLb1EEEEDaS14_S15_EUlS14_E_NS1_11comp_targetILNS1_3genE4ELNS1_11target_archE910ELNS1_3gpuE8ELNS1_3repE0EEENS1_30default_config_static_selectorELNS0_4arch9wavefront6targetE1EEEvT1_,"axG",@progbits,_ZN7rocprim17ROCPRIM_400000_NS6detail17trampoline_kernelINS0_14default_configENS1_25partition_config_selectorILNS1_17partition_subalgoE1ExNS0_10empty_typeEbEEZZNS1_14partition_implILS5_1ELb0ES3_jN6thrust23THRUST_200600_302600_NS6detail15normal_iteratorINSA_10device_ptrIxEEEEPS6_NSA_18transform_iteratorI7is_evenIxESF_NSA_11use_defaultESK_EENS0_5tupleIJSF_SF_EEENSM_IJSG_SG_EEES6_PlJS6_EEE10hipError_tPvRmT3_T4_T5_T6_T7_T9_mT8_P12ihipStream_tbDpT10_ENKUlT_T0_E_clISt17integral_constantIbLb0EES18_IbLb1EEEEDaS14_S15_EUlS14_E_NS1_11comp_targetILNS1_3genE4ELNS1_11target_archE910ELNS1_3gpuE8ELNS1_3repE0EEENS1_30default_config_static_selectorELNS0_4arch9wavefront6targetE1EEEvT1_,comdat
	.protected	_ZN7rocprim17ROCPRIM_400000_NS6detail17trampoline_kernelINS0_14default_configENS1_25partition_config_selectorILNS1_17partition_subalgoE1ExNS0_10empty_typeEbEEZZNS1_14partition_implILS5_1ELb0ES3_jN6thrust23THRUST_200600_302600_NS6detail15normal_iteratorINSA_10device_ptrIxEEEEPS6_NSA_18transform_iteratorI7is_evenIxESF_NSA_11use_defaultESK_EENS0_5tupleIJSF_SF_EEENSM_IJSG_SG_EEES6_PlJS6_EEE10hipError_tPvRmT3_T4_T5_T6_T7_T9_mT8_P12ihipStream_tbDpT10_ENKUlT_T0_E_clISt17integral_constantIbLb0EES18_IbLb1EEEEDaS14_S15_EUlS14_E_NS1_11comp_targetILNS1_3genE4ELNS1_11target_archE910ELNS1_3gpuE8ELNS1_3repE0EEENS1_30default_config_static_selectorELNS0_4arch9wavefront6targetE1EEEvT1_ ; -- Begin function _ZN7rocprim17ROCPRIM_400000_NS6detail17trampoline_kernelINS0_14default_configENS1_25partition_config_selectorILNS1_17partition_subalgoE1ExNS0_10empty_typeEbEEZZNS1_14partition_implILS5_1ELb0ES3_jN6thrust23THRUST_200600_302600_NS6detail15normal_iteratorINSA_10device_ptrIxEEEEPS6_NSA_18transform_iteratorI7is_evenIxESF_NSA_11use_defaultESK_EENS0_5tupleIJSF_SF_EEENSM_IJSG_SG_EEES6_PlJS6_EEE10hipError_tPvRmT3_T4_T5_T6_T7_T9_mT8_P12ihipStream_tbDpT10_ENKUlT_T0_E_clISt17integral_constantIbLb0EES18_IbLb1EEEEDaS14_S15_EUlS14_E_NS1_11comp_targetILNS1_3genE4ELNS1_11target_archE910ELNS1_3gpuE8ELNS1_3repE0EEENS1_30default_config_static_selectorELNS0_4arch9wavefront6targetE1EEEvT1_
	.globl	_ZN7rocprim17ROCPRIM_400000_NS6detail17trampoline_kernelINS0_14default_configENS1_25partition_config_selectorILNS1_17partition_subalgoE1ExNS0_10empty_typeEbEEZZNS1_14partition_implILS5_1ELb0ES3_jN6thrust23THRUST_200600_302600_NS6detail15normal_iteratorINSA_10device_ptrIxEEEEPS6_NSA_18transform_iteratorI7is_evenIxESF_NSA_11use_defaultESK_EENS0_5tupleIJSF_SF_EEENSM_IJSG_SG_EEES6_PlJS6_EEE10hipError_tPvRmT3_T4_T5_T6_T7_T9_mT8_P12ihipStream_tbDpT10_ENKUlT_T0_E_clISt17integral_constantIbLb0EES18_IbLb1EEEEDaS14_S15_EUlS14_E_NS1_11comp_targetILNS1_3genE4ELNS1_11target_archE910ELNS1_3gpuE8ELNS1_3repE0EEENS1_30default_config_static_selectorELNS0_4arch9wavefront6targetE1EEEvT1_
	.p2align	8
	.type	_ZN7rocprim17ROCPRIM_400000_NS6detail17trampoline_kernelINS0_14default_configENS1_25partition_config_selectorILNS1_17partition_subalgoE1ExNS0_10empty_typeEbEEZZNS1_14partition_implILS5_1ELb0ES3_jN6thrust23THRUST_200600_302600_NS6detail15normal_iteratorINSA_10device_ptrIxEEEEPS6_NSA_18transform_iteratorI7is_evenIxESF_NSA_11use_defaultESK_EENS0_5tupleIJSF_SF_EEENSM_IJSG_SG_EEES6_PlJS6_EEE10hipError_tPvRmT3_T4_T5_T6_T7_T9_mT8_P12ihipStream_tbDpT10_ENKUlT_T0_E_clISt17integral_constantIbLb0EES18_IbLb1EEEEDaS14_S15_EUlS14_E_NS1_11comp_targetILNS1_3genE4ELNS1_11target_archE910ELNS1_3gpuE8ELNS1_3repE0EEENS1_30default_config_static_selectorELNS0_4arch9wavefront6targetE1EEEvT1_,@function
_ZN7rocprim17ROCPRIM_400000_NS6detail17trampoline_kernelINS0_14default_configENS1_25partition_config_selectorILNS1_17partition_subalgoE1ExNS0_10empty_typeEbEEZZNS1_14partition_implILS5_1ELb0ES3_jN6thrust23THRUST_200600_302600_NS6detail15normal_iteratorINSA_10device_ptrIxEEEEPS6_NSA_18transform_iteratorI7is_evenIxESF_NSA_11use_defaultESK_EENS0_5tupleIJSF_SF_EEENSM_IJSG_SG_EEES6_PlJS6_EEE10hipError_tPvRmT3_T4_T5_T6_T7_T9_mT8_P12ihipStream_tbDpT10_ENKUlT_T0_E_clISt17integral_constantIbLb0EES18_IbLb1EEEEDaS14_S15_EUlS14_E_NS1_11comp_targetILNS1_3genE4ELNS1_11target_archE910ELNS1_3gpuE8ELNS1_3repE0EEENS1_30default_config_static_selectorELNS0_4arch9wavefront6targetE1EEEvT1_: ; @_ZN7rocprim17ROCPRIM_400000_NS6detail17trampoline_kernelINS0_14default_configENS1_25partition_config_selectorILNS1_17partition_subalgoE1ExNS0_10empty_typeEbEEZZNS1_14partition_implILS5_1ELb0ES3_jN6thrust23THRUST_200600_302600_NS6detail15normal_iteratorINSA_10device_ptrIxEEEEPS6_NSA_18transform_iteratorI7is_evenIxESF_NSA_11use_defaultESK_EENS0_5tupleIJSF_SF_EEENSM_IJSG_SG_EEES6_PlJS6_EEE10hipError_tPvRmT3_T4_T5_T6_T7_T9_mT8_P12ihipStream_tbDpT10_ENKUlT_T0_E_clISt17integral_constantIbLb0EES18_IbLb1EEEEDaS14_S15_EUlS14_E_NS1_11comp_targetILNS1_3genE4ELNS1_11target_archE910ELNS1_3gpuE8ELNS1_3repE0EEENS1_30default_config_static_selectorELNS0_4arch9wavefront6targetE1EEEvT1_
; %bb.0:
	s_load_dwordx2 s[6:7], s[4:5], 0x20
	s_load_dwordx4 s[20:23], s[4:5], 0x50
	s_load_dwordx2 s[2:3], s[4:5], 0x60
	s_load_dwordx2 s[30:31], s[4:5], 0x70
	v_cmp_eq_u32_e64 s[0:1], 0, v0
	s_and_saveexec_b64 s[8:9], s[0:1]
	s_cbranch_execz .LBB411_4
; %bb.1:
	s_mov_b64 s[12:13], exec
	v_mbcnt_lo_u32_b32 v1, s12, 0
	v_mbcnt_hi_u32_b32 v1, s13, v1
	v_cmp_eq_u32_e32 vcc, 0, v1
                                        ; implicit-def: $vgpr2
	s_and_saveexec_b64 s[10:11], vcc
	s_cbranch_execz .LBB411_3
; %bb.2:
	s_load_dwordx2 s[14:15], s[4:5], 0x80
	s_bcnt1_i32_b64 s12, s[12:13]
	v_mov_b32_e32 v2, 0
	v_mov_b32_e32 v3, s12
	s_waitcnt lgkmcnt(0)
	global_atomic_add v2, v2, v3, s[14:15] glc
.LBB411_3:
	s_or_b64 exec, exec, s[10:11]
	s_waitcnt vmcnt(0)
	v_readfirstlane_b32 s10, v2
	v_add_u32_e32 v1, s10, v1
	v_mov_b32_e32 v2, 0
	ds_write_b32 v2, v1
.LBB411_4:
	s_or_b64 exec, exec, s[8:9]
	v_mov_b32_e32 v3, 0
	s_load_dwordx4 s[16:19], s[4:5], 0x8
	s_load_dwordx4 s[24:27], s[4:5], 0x30
	s_load_dword s8, s[4:5], 0x78
	s_waitcnt lgkmcnt(0)
	s_barrier
	ds_read_b32 v1, v3
	s_waitcnt lgkmcnt(0)
	s_barrier
	global_load_dwordx2 v[10:11], v3, s[22:23]
	v_mov_b32_e32 v5, s3
	s_lshl_b64 s[4:5], s[18:19], 3
	s_movk_i32 s3, 0x300
	s_add_u32 s9, s16, s4
	v_mul_lo_u32 v2, v1, s3
	s_mul_i32 s3, s8, 0x300
	s_addc_u32 s10, s17, s5
	s_add_i32 s11, s8, -1
	s_add_i32 s8, s3, s18
	s_sub_i32 s33, s2, s8
	s_addk_i32 s33, 0x300
	v_mov_b32_e32 v4, s2
	s_add_u32 s2, s18, s3
	v_readfirstlane_b32 s40, v1
	s_addc_u32 s3, s19, 0
	s_cmp_eq_u32 s40, s11
	s_cselect_b64 s[22:23], -1, 0
	s_cmp_lg_u32 s40, s11
	v_cmp_lt_u64_e32 vcc, s[2:3], v[4:5]
	s_cselect_b64 s[2:3], -1, 0
	v_lshlrev_b64 v[12:13], 3, v[2:3]
	s_or_b64 s[28:29], vcc, s[2:3]
	v_mov_b32_e32 v1, s10
	v_add_co_u32_e32 v14, vcc, s9, v12
	v_addc_co_u32_e32 v15, vcc, v1, v13, vcc
	s_mov_b64 s[2:3], -1
	s_and_b64 vcc, exec, s[28:29]
	v_lshlrev_b32_e32 v24, 3, v0
	v_lshrrev_b32_e32 v1, 2, v0
	s_cbranch_vccz .LBB411_6
; %bb.5:
	v_add_co_u32_e32 v2, vcc, v14, v24
	v_addc_co_u32_e32 v3, vcc, 0, v15, vcc
	v_add_co_u32_e32 v4, vcc, 0x1000, v2
	v_addc_co_u32_e32 v5, vcc, 0, v3, vcc
	flat_load_dwordx2 v[6:7], v[2:3]
	flat_load_dwordx2 v[8:9], v[2:3] offset:1536
	flat_load_dwordx2 v[16:17], v[2:3] offset:3072
	;; [unrolled: 1-line block ×3, first 2 shown]
	v_add_u32_e32 v3, 0xc0, v0
	v_add_u32_e32 v4, 0x180, v0
	;; [unrolled: 1-line block ×3, first 2 shown]
	v_and_b32_e32 v2, 56, v1
	v_lshrrev_b32_e32 v3, 2, v3
	v_lshrrev_b32_e32 v4, 2, v4
	v_lshrrev_b32_e32 v5, 2, v5
	v_add_u32_e32 v2, v2, v24
	v_and_b32_e32 v3, 0x78, v3
	v_and_b32_e32 v4, 0xf8, v4
	;; [unrolled: 1-line block ×3, first 2 shown]
	v_add_u32_e32 v3, v3, v24
	v_add_u32_e32 v4, v4, v24
	;; [unrolled: 1-line block ×3, first 2 shown]
	s_mov_b64 s[2:3], 0
	s_waitcnt vmcnt(0) lgkmcnt(0)
	ds_write_b64 v2, v[6:7]
	ds_write_b64 v3, v[8:9] offset:1536
	ds_write_b64 v4, v[16:17] offset:3072
	;; [unrolled: 1-line block ×3, first 2 shown]
	s_waitcnt lgkmcnt(0)
	s_barrier
.LBB411_6:
	s_andn2_b64 vcc, exec, s[2:3]
	v_cmp_gt_u32_e64 s[2:3], s33, v0
	s_cbranch_vccnz .LBB411_16
; %bb.7:
                                        ; implicit-def: $vgpr2_vgpr3_vgpr4_vgpr5_vgpr6_vgpr7_vgpr8_vgpr9
	s_and_saveexec_b64 s[8:9], s[2:3]
	s_cbranch_execz .LBB411_9
; %bb.8:
	v_add_co_u32_e32 v2, vcc, v14, v24
	v_addc_co_u32_e32 v3, vcc, 0, v15, vcc
	flat_load_dwordx2 v[2:3], v[2:3]
.LBB411_9:
	s_or_b64 exec, exec, s[8:9]
	v_add_u32_e32 v16, 0xc0, v0
	v_cmp_gt_u32_e32 vcc, s33, v16
	s_and_saveexec_b64 s[2:3], vcc
	s_cbranch_execz .LBB411_11
; %bb.10:
	v_add_co_u32_e32 v4, vcc, v14, v24
	v_addc_co_u32_e32 v5, vcc, 0, v15, vcc
	flat_load_dwordx2 v[4:5], v[4:5] offset:1536
.LBB411_11:
	s_or_b64 exec, exec, s[2:3]
	v_add_u32_e32 v17, 0x180, v0
	v_cmp_gt_u32_e32 vcc, s33, v17
	s_and_saveexec_b64 s[2:3], vcc
	s_cbranch_execz .LBB411_13
; %bb.12:
	v_add_co_u32_e32 v6, vcc, v14, v24
	v_addc_co_u32_e32 v7, vcc, 0, v15, vcc
	flat_load_dwordx2 v[6:7], v[6:7] offset:3072
.LBB411_13:
	s_or_b64 exec, exec, s[2:3]
	v_add_u32_e32 v18, 0x240, v0
	v_cmp_gt_u32_e32 vcc, s33, v18
	s_and_saveexec_b64 s[2:3], vcc
	s_cbranch_execz .LBB411_15
; %bb.14:
	v_lshlrev_b32_e32 v8, 3, v18
	v_add_co_u32_e32 v8, vcc, v14, v8
	v_addc_co_u32_e32 v9, vcc, 0, v15, vcc
	flat_load_dwordx2 v[8:9], v[8:9]
.LBB411_15:
	s_or_b64 exec, exec, s[2:3]
	v_and_b32_e32 v1, 56, v1
	v_add_u32_e32 v1, v1, v24
	s_waitcnt vmcnt(0) lgkmcnt(0)
	ds_write_b64 v1, v[2:3]
	v_lshrrev_b32_e32 v1, 2, v16
	v_and_b32_e32 v1, 0x78, v1
	v_add_u32_e32 v1, v1, v24
	ds_write_b64 v1, v[4:5] offset:1536
	v_lshrrev_b32_e32 v1, 2, v17
	v_and_b32_e32 v1, 0xf8, v1
	v_add_u32_e32 v1, v1, v24
	ds_write_b64 v1, v[6:7] offset:3072
	;; [unrolled: 4-line block ×3, first 2 shown]
	s_waitcnt lgkmcnt(0)
	s_barrier
.LBB411_16:
	v_lshlrev_b32_e32 v25, 2, v0
	v_lshrrev_b32_e32 v15, 3, v0
	v_add_lshl_u32 v1, v15, v25, 3
	s_add_u32 s2, s6, s4
	ds_read2_b64 v[6:9], v1 offset1:1
	ds_read2_b64 v[2:5], v1 offset0:2 offset1:3
	s_addc_u32 s3, s7, s5
	v_mov_b32_e32 v1, s3
	v_add_co_u32_e32 v14, vcc, s2, v12
	v_addc_co_u32_e32 v1, vcc, v1, v13, vcc
	s_mov_b64 s[2:3], -1
	s_and_b64 vcc, exec, s[28:29]
	v_lshrrev_b32_e32 v16, 5, v0
	s_waitcnt lgkmcnt(0)
	s_barrier
	s_cbranch_vccz .LBB411_18
; %bb.17:
	v_add_co_u32_e32 v17, vcc, v14, v24
	v_addc_co_u32_e32 v27, vcc, 0, v1, vcc
	v_add_co_u32_e32 v26, vcc, 0x1000, v17
	v_readfirstlane_b32 s2, v14
	v_readfirstlane_b32 s3, v1
	v_addc_co_u32_e32 v27, vcc, 0, v27, vcc
	s_nop 3
	global_load_dwordx2 v[18:19], v24, s[2:3]
	global_load_dwordx2 v[20:21], v24, s[2:3] offset:1536
	global_load_dwordx2 v[22:23], v24, s[2:3] offset:3072
	s_waitcnt vmcnt(2)
	v_add_u32_e32 v19, 0xc0, v0
	global_load_dwordx2 v[26:27], v[26:27], off offset:512
	s_waitcnt vmcnt(2)
	v_add_u32_e32 v21, 0x180, v0
	s_waitcnt vmcnt(1)
	v_add_u32_e32 v23, 0x240, v0
	v_and_b32_e32 v17, 4, v16
	v_lshrrev_b32_e32 v19, 5, v19
	v_lshrrev_b32_e32 v21, 5, v21
	;; [unrolled: 1-line block ×3, first 2 shown]
	v_add_u32_e32 v17, v17, v0
	v_and_b32_e32 v19, 12, v19
	v_and_b32_e32 v21, 28, v21
	;; [unrolled: 1-line block ×3, first 2 shown]
	v_add_u32_e32 v19, v19, v0
	v_add_u32_e32 v21, v21, v0
	;; [unrolled: 1-line block ×3, first 2 shown]
	s_mov_b64 s[2:3], 0
	v_xor_b32_e32 v18, -1, v18
	v_xor_b32_e32 v20, -1, v20
	;; [unrolled: 1-line block ×3, first 2 shown]
	v_and_b32_e32 v18, 1, v18
	s_waitcnt vmcnt(0)
	v_xor_b32_e32 v26, -1, v26
	v_and_b32_e32 v20, 1, v20
	v_and_b32_e32 v22, 1, v22
	ds_write_b8 v17, v18
	ds_write_b8 v19, v20 offset:192
	ds_write_b8 v21, v22 offset:384
	v_and_b32_e32 v17, 1, v26
	ds_write_b8 v23, v17 offset:576
	s_waitcnt lgkmcnt(0)
	s_barrier
.LBB411_18:
	s_andn2_b64 vcc, exec, s[2:3]
	s_cbranch_vccnz .LBB411_28
; %bb.19:
	v_cmp_gt_u32_e32 vcc, s33, v0
	v_mov_b32_e32 v17, 0
	v_mov_b32_e32 v18, 0
	s_and_saveexec_b64 s[2:3], vcc
	s_cbranch_execz .LBB411_21
; %bb.20:
	v_readfirstlane_b32 s4, v14
	v_readfirstlane_b32 s5, v1
	s_nop 4
	global_load_dwordx2 v[18:19], v24, s[4:5]
	s_waitcnt vmcnt(0)
	v_xor_b32_e32 v18, -1, v18
	v_and_b32_e32 v18, 1, v18
.LBB411_21:
	s_or_b64 exec, exec, s[2:3]
	v_add_u32_e32 v19, 0xc0, v0
	v_cmp_gt_u32_e32 vcc, s33, v19
	s_and_saveexec_b64 s[2:3], vcc
	s_cbranch_execz .LBB411_23
; %bb.22:
	v_readfirstlane_b32 s4, v14
	v_readfirstlane_b32 s5, v1
	s_nop 4
	global_load_dwordx2 v[20:21], v24, s[4:5] offset:1536
	s_waitcnt vmcnt(0)
	v_xor_b32_e32 v17, -1, v20
	v_and_b32_e32 v17, 1, v17
.LBB411_23:
	s_or_b64 exec, exec, s[2:3]
	v_add_u32_e32 v20, 0x180, v0
	v_cmp_gt_u32_e32 vcc, s33, v20
	v_mov_b32_e32 v21, 0
	v_mov_b32_e32 v22, 0
	s_and_saveexec_b64 s[2:3], vcc
	s_cbranch_execz .LBB411_25
; %bb.24:
	v_readfirstlane_b32 s4, v14
	v_readfirstlane_b32 s5, v1
	s_nop 4
	global_load_dwordx2 v[22:23], v24, s[4:5] offset:3072
	s_waitcnt vmcnt(0)
	v_xor_b32_e32 v22, -1, v22
	v_and_b32_e32 v22, 1, v22
.LBB411_25:
	s_or_b64 exec, exec, s[2:3]
	v_add_u32_e32 v23, 0x240, v0
	v_cmp_gt_u32_e32 vcc, s33, v23
	s_and_saveexec_b64 s[2:3], vcc
	s_cbranch_execz .LBB411_27
; %bb.26:
	v_lshlrev_b32_e32 v21, 3, v23
	v_readfirstlane_b32 s4, v14
	v_readfirstlane_b32 s5, v1
	s_nop 4
	global_load_dwordx2 v[26:27], v21, s[4:5]
	s_waitcnt vmcnt(0)
	v_xor_b32_e32 v1, -1, v26
	v_and_b32_e32 v21, 1, v1
.LBB411_27:
	s_or_b64 exec, exec, s[2:3]
	v_and_b32_e32 v1, 4, v16
	v_add_u32_e32 v1, v1, v0
	ds_write_b8 v1, v18
	v_lshrrev_b32_e32 v1, 5, v19
	v_and_b32_e32 v1, 12, v1
	v_add_u32_e32 v1, v1, v0
	ds_write_b8 v1, v17 offset:192
	v_lshrrev_b32_e32 v1, 5, v20
	v_and_b32_e32 v1, 28, v1
	v_add_u32_e32 v1, v1, v0
	ds_write_b8 v1, v22 offset:384
	;; [unrolled: 4-line block ×3, first 2 shown]
	s_waitcnt lgkmcnt(0)
	s_barrier
.LBB411_28:
	v_and_b32_e32 v1, 28, v15
	v_add_u32_e32 v1, v1, v25
	ds_read_b32 v26, v1
	s_cmp_lg_u32 s40, 0
	v_lshrrev_b32_e32 v29, 6, v0
	s_waitcnt lgkmcnt(0)
	s_barrier
	v_lshrrev_b32_e32 v1, 24, v26
	v_bfe_u32 v27, v26, 16, 8
	v_add_u32_sdwa v14, v26, v26 dst_sel:DWORD dst_unused:UNUSED_PAD src0_sel:BYTE_1 src1_sel:BYTE_0
	v_add3_u32 v30, v14, v27, v1
	v_mbcnt_lo_u32_b32 v14, -1, 0
	v_mbcnt_hi_u32_b32 v28, -1, v14
	v_and_b32_e32 v14, 15, v28
	v_cmp_eq_u32_e64 s[14:15], 0, v14
	v_cmp_lt_u32_e64 s[12:13], 1, v14
	v_cmp_lt_u32_e64 s[10:11], 3, v14
	;; [unrolled: 1-line block ×3, first 2 shown]
	v_and_b32_e32 v14, 16, v28
	v_cmp_eq_u32_e64 s[4:5], 0, v14
	v_and_b32_e32 v14, 0xc0, v0
	v_min_u32_e32 v14, 0x80, v14
	v_or_b32_e32 v14, 63, v14
	v_cmp_lt_u32_e64 s[2:3], 31, v28
	v_cmp_eq_u32_e64 s[6:7], v14, v0
	s_cbranch_scc0 .LBB411_55
; %bb.29:
	v_mov_b32_dpp v14, v30 row_shr:1 row_mask:0xf bank_mask:0xf
	v_cndmask_b32_e64 v14, v14, 0, s[14:15]
	v_add_u32_e32 v14, v14, v30
	s_nop 1
	v_mov_b32_dpp v15, v14 row_shr:2 row_mask:0xf bank_mask:0xf
	v_cndmask_b32_e64 v15, 0, v15, s[12:13]
	v_add_u32_e32 v14, v14, v15
	s_nop 1
	;; [unrolled: 4-line block ×4, first 2 shown]
	v_mov_b32_dpp v15, v14 row_bcast:15 row_mask:0xf bank_mask:0xf
	v_cndmask_b32_e64 v15, v15, 0, s[4:5]
	v_add_u32_e32 v14, v14, v15
	s_nop 1
	v_mov_b32_dpp v15, v14 row_bcast:31 row_mask:0xf bank_mask:0xf
	v_cndmask_b32_e64 v15, 0, v15, s[2:3]
	v_add_u32_e32 v14, v14, v15
	s_and_saveexec_b64 s[16:17], s[6:7]
	s_cbranch_execz .LBB411_31
; %bb.30:
	v_lshlrev_b32_e32 v15, 2, v29
	ds_write_b32 v15, v14
.LBB411_31:
	s_or_b64 exec, exec, s[16:17]
	v_cmp_gt_u32_e32 vcc, 3, v0
	s_waitcnt lgkmcnt(0)
	s_barrier
	s_and_saveexec_b64 s[16:17], vcc
	s_cbranch_execz .LBB411_33
; %bb.32:
	ds_read_b32 v15, v25
	v_and_b32_e32 v16, 3, v28
	v_cmp_ne_u32_e32 vcc, 0, v16
	s_waitcnt lgkmcnt(0)
	v_mov_b32_dpp v17, v15 row_shr:1 row_mask:0xf bank_mask:0xf
	v_cndmask_b32_e32 v17, 0, v17, vcc
	v_add_u32_e32 v15, v17, v15
	v_cmp_lt_u32_e32 vcc, 1, v16
	s_nop 0
	v_mov_b32_dpp v17, v15 row_shr:2 row_mask:0xf bank_mask:0xf
	v_cndmask_b32_e32 v16, 0, v17, vcc
	v_add_u32_e32 v15, v15, v16
	ds_write_b32 v25, v15
.LBB411_33:
	s_or_b64 exec, exec, s[16:17]
	v_cmp_gt_u32_e32 vcc, 64, v0
	v_cmp_lt_u32_e64 s[16:17], 63, v0
	s_waitcnt lgkmcnt(0)
	s_barrier
	s_waitcnt lgkmcnt(0)
                                        ; implicit-def: $vgpr31
	s_and_saveexec_b64 s[34:35], s[16:17]
	s_cbranch_execz .LBB411_35
; %bb.34:
	v_lshl_add_u32 v15, v29, 2, -4
	ds_read_b32 v31, v15
	s_waitcnt lgkmcnt(0)
	v_add_u32_e32 v14, v31, v14
.LBB411_35:
	s_or_b64 exec, exec, s[34:35]
	v_add_u32_e32 v15, -1, v28
	v_and_b32_e32 v16, 64, v28
	v_cmp_lt_i32_e64 s[16:17], v15, v16
	v_cndmask_b32_e64 v15, v15, v28, s[16:17]
	v_lshlrev_b32_e32 v15, 2, v15
	ds_bpermute_b32 v32, v15, v14
	v_cmp_eq_u32_e64 s[16:17], 0, v28
	s_and_saveexec_b64 s[34:35], vcc
	s_cbranch_execz .LBB411_54
; %bb.36:
	v_mov_b32_e32 v21, 0
	ds_read_b32 v14, v21 offset:8
	s_and_saveexec_b64 s[36:37], s[16:17]
	s_cbranch_execz .LBB411_38
; %bb.37:
	s_add_i32 s38, s40, 64
	s_mov_b32 s39, 0
	s_lshl_b64 s[38:39], s[38:39], 3
	s_add_u32 s38, s30, s38
	v_mov_b32_e32 v15, 1
	s_addc_u32 s39, s31, s39
	s_waitcnt lgkmcnt(0)
	global_store_dwordx2 v21, v[14:15], s[38:39]
.LBB411_38:
	s_or_b64 exec, exec, s[36:37]
	v_xad_u32 v16, v28, -1, s40
	v_add_u32_e32 v20, 64, v16
	v_lshlrev_b64 v[18:19], 3, v[20:21]
	v_mov_b32_e32 v15, s31
	v_add_co_u32_e32 v22, vcc, s30, v18
	v_addc_co_u32_e32 v23, vcc, v15, v19, vcc
	global_load_dwordx2 v[18:19], v[22:23], off glc
	s_waitcnt vmcnt(0)
	v_cmp_eq_u16_sdwa s[38:39], v19, v21 src0_sel:BYTE_0 src1_sel:DWORD
	s_and_saveexec_b64 s[36:37], s[38:39]
	s_cbranch_execz .LBB411_42
; %bb.39:
	s_mov_b64 s[38:39], 0
	v_mov_b32_e32 v15, 0
.LBB411_40:                             ; =>This Inner Loop Header: Depth=1
	global_load_dwordx2 v[18:19], v[22:23], off glc
	s_waitcnt vmcnt(0)
	v_cmp_ne_u16_sdwa s[42:43], v19, v15 src0_sel:BYTE_0 src1_sel:DWORD
	s_or_b64 s[38:39], s[42:43], s[38:39]
	s_andn2_b64 exec, exec, s[38:39]
	s_cbranch_execnz .LBB411_40
; %bb.41:
	s_or_b64 exec, exec, s[38:39]
.LBB411_42:
	s_or_b64 exec, exec, s[36:37]
	v_and_b32_e32 v34, 63, v28
	v_mov_b32_e32 v33, 2
	v_cmp_ne_u32_e32 vcc, 63, v34
	v_cmp_eq_u16_sdwa s[36:37], v19, v33 src0_sel:BYTE_0 src1_sel:DWORD
	v_lshlrev_b64 v[20:21], v28, -1
	v_addc_co_u32_e32 v22, vcc, 0, v28, vcc
	v_and_b32_e32 v15, s37, v21
	v_lshlrev_b32_e32 v35, 2, v22
	v_or_b32_e32 v15, 0x80000000, v15
	ds_bpermute_b32 v22, v35, v18
	v_and_b32_e32 v17, s36, v20
	v_ffbl_b32_e32 v15, v15
	v_add_u32_e32 v15, 32, v15
	v_ffbl_b32_e32 v17, v17
	v_min_u32_e32 v15, v17, v15
	v_cmp_lt_u32_e32 vcc, v34, v15
	s_waitcnt lgkmcnt(0)
	v_cndmask_b32_e32 v17, 0, v22, vcc
	v_cmp_gt_u32_e32 vcc, 62, v34
	v_add_u32_e32 v17, v17, v18
	v_cndmask_b32_e64 v18, 0, 1, vcc
	v_lshlrev_b32_e32 v18, 1, v18
	v_add_lshl_u32 v36, v18, v28, 2
	ds_bpermute_b32 v18, v36, v17
	v_add_u32_e32 v37, 2, v34
	v_cmp_le_u32_e32 vcc, v37, v15
	v_add_u32_e32 v39, 4, v34
	v_add_u32_e32 v41, 8, v34
	s_waitcnt lgkmcnt(0)
	v_cndmask_b32_e32 v18, 0, v18, vcc
	v_cmp_gt_u32_e32 vcc, 60, v34
	v_add_u32_e32 v17, v17, v18
	v_cndmask_b32_e64 v18, 0, 1, vcc
	v_lshlrev_b32_e32 v18, 2, v18
	v_add_lshl_u32 v38, v18, v28, 2
	ds_bpermute_b32 v18, v38, v17
	v_cmp_le_u32_e32 vcc, v39, v15
	v_add_u32_e32 v43, 16, v34
	v_add_u32_e32 v45, 32, v34
	s_waitcnt lgkmcnt(0)
	v_cndmask_b32_e32 v18, 0, v18, vcc
	v_cmp_gt_u32_e32 vcc, 56, v34
	v_add_u32_e32 v17, v17, v18
	v_cndmask_b32_e64 v18, 0, 1, vcc
	v_lshlrev_b32_e32 v18, 3, v18
	v_add_lshl_u32 v40, v18, v28, 2
	ds_bpermute_b32 v18, v40, v17
	v_cmp_le_u32_e32 vcc, v41, v15
	s_waitcnt lgkmcnt(0)
	v_cndmask_b32_e32 v18, 0, v18, vcc
	v_cmp_gt_u32_e32 vcc, 48, v34
	v_add_u32_e32 v17, v17, v18
	v_cndmask_b32_e64 v18, 0, 1, vcc
	v_lshlrev_b32_e32 v18, 4, v18
	v_add_lshl_u32 v42, v18, v28, 2
	ds_bpermute_b32 v18, v42, v17
	v_cmp_le_u32_e32 vcc, v43, v15
	;; [unrolled: 9-line block ×3, first 2 shown]
	s_waitcnt lgkmcnt(0)
	v_cndmask_b32_e32 v15, 0, v18, vcc
	v_add_u32_e32 v18, v17, v15
	v_mov_b32_e32 v17, 0
	s_branch .LBB411_44
.LBB411_43:                             ;   in Loop: Header=BB411_44 Depth=1
	s_or_b64 exec, exec, s[36:37]
	v_cmp_eq_u16_sdwa s[36:37], v19, v33 src0_sel:BYTE_0 src1_sel:DWORD
	v_and_b32_e32 v22, s37, v21
	v_or_b32_e32 v22, 0x80000000, v22
	ds_bpermute_b32 v46, v35, v18
	v_and_b32_e32 v23, s36, v20
	v_ffbl_b32_e32 v22, v22
	v_add_u32_e32 v22, 32, v22
	v_ffbl_b32_e32 v23, v23
	v_min_u32_e32 v22, v23, v22
	v_cmp_lt_u32_e32 vcc, v34, v22
	s_waitcnt lgkmcnt(0)
	v_cndmask_b32_e32 v23, 0, v46, vcc
	v_add_u32_e32 v18, v23, v18
	ds_bpermute_b32 v23, v36, v18
	v_cmp_le_u32_e32 vcc, v37, v22
	v_subrev_u32_e32 v16, 64, v16
	s_waitcnt lgkmcnt(0)
	v_cndmask_b32_e32 v23, 0, v23, vcc
	v_add_u32_e32 v18, v18, v23
	ds_bpermute_b32 v23, v38, v18
	v_cmp_le_u32_e32 vcc, v39, v22
	s_waitcnt lgkmcnt(0)
	v_cndmask_b32_e32 v23, 0, v23, vcc
	v_add_u32_e32 v18, v18, v23
	ds_bpermute_b32 v23, v40, v18
	v_cmp_le_u32_e32 vcc, v41, v22
	s_waitcnt lgkmcnt(0)
	v_cndmask_b32_e32 v23, 0, v23, vcc
	v_add_u32_e32 v18, v18, v23
	ds_bpermute_b32 v23, v42, v18
	v_cmp_le_u32_e32 vcc, v43, v22
	s_waitcnt lgkmcnt(0)
	v_cndmask_b32_e32 v23, 0, v23, vcc
	v_add_u32_e32 v18, v18, v23
	ds_bpermute_b32 v23, v44, v18
	v_cmp_le_u32_e32 vcc, v45, v22
	s_waitcnt lgkmcnt(0)
	v_cndmask_b32_e32 v22, 0, v23, vcc
	v_add3_u32 v18, v22, v15, v18
.LBB411_44:                             ; =>This Loop Header: Depth=1
                                        ;     Child Loop BB411_47 Depth 2
	v_cmp_ne_u16_sdwa s[36:37], v19, v33 src0_sel:BYTE_0 src1_sel:DWORD
	v_cndmask_b32_e64 v15, 0, 1, s[36:37]
	;;#ASMSTART
	;;#ASMEND
	v_cmp_ne_u32_e32 vcc, 0, v15
	s_cmp_lg_u64 vcc, exec
	v_mov_b32_e32 v15, v18
	s_cbranch_scc1 .LBB411_49
; %bb.45:                               ;   in Loop: Header=BB411_44 Depth=1
	v_lshlrev_b64 v[18:19], 3, v[16:17]
	v_mov_b32_e32 v23, s31
	v_add_co_u32_e32 v22, vcc, s30, v18
	v_addc_co_u32_e32 v23, vcc, v23, v19, vcc
	global_load_dwordx2 v[18:19], v[22:23], off glc
	s_waitcnt vmcnt(0)
	v_cmp_eq_u16_sdwa s[38:39], v19, v17 src0_sel:BYTE_0 src1_sel:DWORD
	s_and_saveexec_b64 s[36:37], s[38:39]
	s_cbranch_execz .LBB411_43
; %bb.46:                               ;   in Loop: Header=BB411_44 Depth=1
	s_mov_b64 s[38:39], 0
.LBB411_47:                             ;   Parent Loop BB411_44 Depth=1
                                        ; =>  This Inner Loop Header: Depth=2
	global_load_dwordx2 v[18:19], v[22:23], off glc
	s_waitcnt vmcnt(0)
	v_cmp_ne_u16_sdwa s[42:43], v19, v17 src0_sel:BYTE_0 src1_sel:DWORD
	s_or_b64 s[38:39], s[42:43], s[38:39]
	s_andn2_b64 exec, exec, s[38:39]
	s_cbranch_execnz .LBB411_47
; %bb.48:                               ;   in Loop: Header=BB411_44 Depth=1
	s_or_b64 exec, exec, s[38:39]
	s_branch .LBB411_43
.LBB411_49:                             ;   in Loop: Header=BB411_44 Depth=1
                                        ; implicit-def: $vgpr18
                                        ; implicit-def: $vgpr19
	s_cbranch_execz .LBB411_44
; %bb.50:
	s_and_saveexec_b64 s[36:37], s[16:17]
	s_cbranch_execz .LBB411_52
; %bb.51:
	s_add_i32 s38, s40, 64
	s_mov_b32 s39, 0
	s_lshl_b64 s[38:39], s[38:39], 3
	s_add_u32 s38, s30, s38
	v_add_u32_e32 v16, v15, v14
	v_mov_b32_e32 v17, 2
	s_addc_u32 s39, s31, s39
	v_mov_b32_e32 v18, 0
	global_store_dwordx2 v18, v[16:17], s[38:39]
	ds_write_b64 v18, v[14:15] offset:6336
.LBB411_52:
	s_or_b64 exec, exec, s[36:37]
	s_and_b64 exec, exec, s[0:1]
	s_cbranch_execz .LBB411_54
; %bb.53:
	v_mov_b32_e32 v14, 0
	ds_write_b32 v14, v15 offset:8
.LBB411_54:
	s_or_b64 exec, exec, s[34:35]
	v_mov_b32_e32 v14, 0
	s_waitcnt lgkmcnt(0)
	s_barrier
	ds_read_b32 v15, v14 offset:8
	v_cndmask_b32_e64 v16, v32, v31, s[16:17]
	v_cndmask_b32_e64 v16, v16, 0, s[0:1]
	s_waitcnt lgkmcnt(0)
	s_barrier
	v_add_u32_e32 v18, v15, v16
	ds_read_b64 v[14:15], v14 offset:6336
	v_add_u32_sdwa v19, v18, v26 dst_sel:DWORD dst_unused:UNUSED_PAD src0_sel:DWORD src1_sel:BYTE_0
	v_add_u32_sdwa v17, v19, v26 dst_sel:DWORD dst_unused:UNUSED_PAD src0_sel:DWORD src1_sel:BYTE_1
	v_add_u32_e32 v16, v17, v27
	s_branch .LBB411_65
.LBB411_55:
                                        ; implicit-def: $vgpr15
                                        ; implicit-def: $vgpr16
                                        ; implicit-def: $vgpr17
                                        ; implicit-def: $vgpr19
                                        ; implicit-def: $vgpr18
	s_cbranch_execz .LBB411_65
; %bb.56:
	s_waitcnt lgkmcnt(0)
	v_mov_b32_dpp v14, v30 row_shr:1 row_mask:0xf bank_mask:0xf
	v_cndmask_b32_e64 v14, v14, 0, s[14:15]
	v_add_u32_e32 v14, v14, v30
	s_nop 1
	v_mov_b32_dpp v15, v14 row_shr:2 row_mask:0xf bank_mask:0xf
	v_cndmask_b32_e64 v15, 0, v15, s[12:13]
	v_add_u32_e32 v14, v14, v15
	s_nop 1
	;; [unrolled: 4-line block ×4, first 2 shown]
	v_mov_b32_dpp v15, v14 row_bcast:15 row_mask:0xf bank_mask:0xf
	v_cndmask_b32_e64 v15, v15, 0, s[4:5]
	v_add_u32_e32 v14, v14, v15
	s_nop 1
	v_mov_b32_dpp v15, v14 row_bcast:31 row_mask:0xf bank_mask:0xf
	v_cndmask_b32_e64 v15, 0, v15, s[2:3]
	v_add_u32_e32 v14, v14, v15
	s_and_saveexec_b64 s[2:3], s[6:7]
	s_cbranch_execz .LBB411_58
; %bb.57:
	v_lshlrev_b32_e32 v15, 2, v29
	ds_write_b32 v15, v14
.LBB411_58:
	s_or_b64 exec, exec, s[2:3]
	v_cmp_gt_u32_e32 vcc, 3, v0
	s_waitcnt lgkmcnt(0)
	s_barrier
	s_and_saveexec_b64 s[2:3], vcc
	s_cbranch_execz .LBB411_60
; %bb.59:
	ds_read_b32 v15, v25
	v_and_b32_e32 v16, 3, v28
	v_cmp_ne_u32_e32 vcc, 0, v16
	s_waitcnt lgkmcnt(0)
	v_mov_b32_dpp v17, v15 row_shr:1 row_mask:0xf bank_mask:0xf
	v_cndmask_b32_e32 v17, 0, v17, vcc
	v_add_u32_e32 v15, v17, v15
	v_cmp_lt_u32_e32 vcc, 1, v16
	s_nop 0
	v_mov_b32_dpp v17, v15 row_shr:2 row_mask:0xf bank_mask:0xf
	v_cndmask_b32_e32 v16, 0, v17, vcc
	v_add_u32_e32 v15, v15, v16
	ds_write_b32 v25, v15
.LBB411_60:
	s_or_b64 exec, exec, s[2:3]
	v_cmp_lt_u32_e32 vcc, 63, v0
	v_mov_b32_e32 v15, 0
	v_mov_b32_e32 v16, 0
	s_waitcnt lgkmcnt(0)
	s_barrier
	s_and_saveexec_b64 s[2:3], vcc
	s_cbranch_execz .LBB411_62
; %bb.61:
	v_lshl_add_u32 v16, v29, 2, -4
	ds_read_b32 v16, v16
.LBB411_62:
	s_or_b64 exec, exec, s[2:3]
	v_add_u32_e32 v17, -1, v28
	v_and_b32_e32 v18, 64, v28
	v_cmp_lt_i32_e32 vcc, v17, v18
	v_cndmask_b32_e32 v17, v17, v28, vcc
	s_waitcnt lgkmcnt(0)
	v_add_u32_e32 v14, v16, v14
	v_lshlrev_b32_e32 v17, 2, v17
	ds_bpermute_b32 v17, v17, v14
	ds_read_b32 v14, v15 offset:8
	s_and_saveexec_b64 s[2:3], s[0:1]
	s_cbranch_execz .LBB411_64
; %bb.63:
	v_mov_b32_e32 v18, 0
	v_mov_b32_e32 v15, 2
	s_waitcnt lgkmcnt(0)
	global_store_dwordx2 v18, v[14:15], s[30:31] offset:512
.LBB411_64:
	s_or_b64 exec, exec, s[2:3]
	v_cmp_eq_u32_e32 vcc, 0, v28
	s_waitcnt lgkmcnt(1)
	v_cndmask_b32_e32 v16, v17, v16, vcc
	v_cndmask_b32_e64 v18, v16, 0, s[0:1]
	v_add_u32_sdwa v19, v18, v26 dst_sel:DWORD dst_unused:UNUSED_PAD src0_sel:DWORD src1_sel:BYTE_0
	v_add_u32_sdwa v17, v19, v26 dst_sel:DWORD dst_unused:UNUSED_PAD src0_sel:DWORD src1_sel:BYTE_1
	v_mov_b32_e32 v15, 0
	v_add_u32_e32 v16, v17, v27
	s_waitcnt lgkmcnt(0)
	s_barrier
.LBB411_65:
	s_waitcnt lgkmcnt(0)
	v_add_u32_e32 v21, v14, v25
	v_sub_u32_e32 v18, v18, v15
	v_and_b32_e32 v23, 1, v26
	v_sub_u32_e32 v22, v21, v18
	v_cmp_eq_u32_e32 vcc, 1, v23
	v_cndmask_b32_e32 v18, v22, v18, vcc
	v_lshlrev_b32_e32 v18, 3, v18
	v_lshrrev_b32_e32 v20, 8, v26
	ds_write_b64 v18, v[6:7]
	v_sub_u32_e32 v6, v19, v15
	v_sub_u32_e32 v7, v21, v6
	v_and_b32_e32 v18, 1, v20
	v_add_u32_e32 v7, 1, v7
	v_cmp_eq_u32_e32 vcc, 1, v18
	v_cndmask_b32_e32 v6, v7, v6, vcc
	v_lshlrev_b32_e32 v6, 3, v6
	ds_write_b64 v6, v[8:9]
	v_sub_u32_e32 v6, v17, v15
	v_mov_b32_e32 v8, 1
	v_sub_u32_e32 v7, v21, v6
	v_and_b32_sdwa v8, v8, v26 dst_sel:DWORD dst_unused:UNUSED_PAD src0_sel:DWORD src1_sel:WORD_1
	v_add_u32_e32 v7, 2, v7
	v_cmp_eq_u32_e32 vcc, 1, v8
	v_cndmask_b32_e32 v6, v7, v6, vcc
	v_lshlrev_b32_e32 v6, 3, v6
	ds_write_b64 v6, v[2:3]
	v_sub_u32_e32 v2, v16, v15
	v_sub_u32_e32 v3, v21, v2
	v_and_b32_e32 v1, 1, v1
	v_add_u32_e32 v3, 3, v3
	v_cmp_eq_u32_e32 vcc, 1, v1
	v_cndmask_b32_e32 v1, v3, v2, vcc
	s_waitcnt vmcnt(0)
	v_add_co_u32_e32 v20, vcc, v10, v15
	v_addc_co_u32_e32 v21, vcc, 0, v11, vcc
	v_add_co_u32_e32 v10, vcc, v20, v14
	v_addc_co_u32_e32 v11, vcc, 0, v21, vcc
	v_mov_b32_e32 v15, s19
	v_sub_co_u32_e32 v22, vcc, s18, v10
	v_subb_co_u32_e32 v23, vcc, v15, v11, vcc
	v_lshlrev_b32_e32 v1, 3, v1
	v_lshlrev_b64 v[22:23], 3, v[22:23]
	ds_write_b64 v1, v[4:5]
	s_waitcnt lgkmcnt(0)
	s_barrier
	ds_read2st64_b64 v[6:9], v24 offset1:3
	ds_read2st64_b64 v[2:5], v24 offset0:6 offset1:9
	v_mov_b32_e32 v15, s27
	v_add_co_u32_e32 v17, vcc, s26, v22
	v_addc_co_u32_e32 v15, vcc, v15, v23, vcc
	v_add_co_u32_e32 v12, vcc, v17, v12
	v_lshlrev_b64 v[20:21], 3, v[20:21]
	v_addc_co_u32_e32 v13, vcc, v15, v13, vcc
	v_mov_b32_e32 v17, s25
	v_add_co_u32_e64 v15, s[2:3], s24, v20
	v_add_u32_e32 v18, 0xc0, v0
	v_add_u32_e32 v16, 0x180, v0
	;; [unrolled: 1-line block ×3, first 2 shown]
	s_andn2_b64 vcc, exec, s[28:29]
	v_addc_co_u32_e64 v17, s[2:3], v17, v21, s[2:3]
	s_cbranch_vccnz .LBB411_67
; %bb.66:
	v_cmp_lt_u32_e32 vcc, v0, v14
	v_cndmask_b32_e32 v20, v12, v15, vcc
	v_cndmask_b32_e32 v19, v13, v17, vcc
	v_add_co_u32_e32 v20, vcc, v20, v24
	v_addc_co_u32_e32 v21, vcc, 0, v19, vcc
	v_cmp_lt_u32_e32 vcc, v18, v14
	s_waitcnt lgkmcnt(1)
	global_store_dwordx2 v[20:21], v[6:7], off
	v_cndmask_b32_e32 v20, v12, v15, vcc
	v_cndmask_b32_e32 v19, v13, v17, vcc
	v_add_co_u32_e32 v20, vcc, v20, v24
	v_addc_co_u32_e32 v21, vcc, 0, v19, vcc
	v_cmp_lt_u32_e32 vcc, v16, v14
	global_store_dwordx2 v[20:21], v[8:9], off offset:1536
	v_cndmask_b32_e32 v20, v12, v15, vcc
	v_cndmask_b32_e32 v19, v13, v17, vcc
	v_add_co_u32_e32 v20, vcc, v20, v24
	v_addc_co_u32_e32 v21, vcc, 0, v19, vcc
	s_mov_b64 s[2:3], -1
	s_waitcnt lgkmcnt(0)
	global_store_dwordx2 v[20:21], v[2:3], off offset:3072
	s_cbranch_execz .LBB411_68
	s_branch .LBB411_73
.LBB411_67:
	s_mov_b64 s[2:3], 0
.LBB411_68:
	v_cmp_gt_u32_e32 vcc, s33, v0
	s_and_saveexec_b64 s[2:3], vcc
	s_cbranch_execnz .LBB411_78
; %bb.69:
	s_or_b64 exec, exec, s[2:3]
	v_cmp_gt_u32_e32 vcc, s33, v18
	s_and_saveexec_b64 s[2:3], vcc
	s_cbranch_execnz .LBB411_79
.LBB411_70:
	s_or_b64 exec, exec, s[2:3]
	v_cmp_gt_u32_e32 vcc, s33, v16
	s_and_saveexec_b64 s[2:3], vcc
	s_cbranch_execz .LBB411_72
.LBB411_71:
	v_cmp_lt_u32_e32 vcc, v16, v14
	s_waitcnt lgkmcnt(1)
	v_cndmask_b32_e32 v6, v12, v15, vcc
	v_cndmask_b32_e32 v0, v13, v17, vcc
	v_add_co_u32_e32 v6, vcc, v6, v24
	v_addc_co_u32_e32 v7, vcc, 0, v0, vcc
	s_waitcnt lgkmcnt(0)
	global_store_dwordx2 v[6:7], v[2:3], off offset:3072
.LBB411_72:
	s_or_b64 exec, exec, s[2:3]
	v_cmp_gt_u32_e64 s[2:3], s33, v1
.LBB411_73:
	s_and_saveexec_b64 s[4:5], s[2:3]
	s_cbranch_execnz .LBB411_76
; %bb.74:
	s_or_b64 exec, exec, s[4:5]
	s_and_b64 s[0:1], s[0:1], s[22:23]
	s_and_saveexec_b64 s[2:3], s[0:1]
	s_cbranch_execnz .LBB411_77
.LBB411_75:
	s_endpgm
.LBB411_76:
	v_cmp_lt_u32_e32 vcc, v1, v14
	v_cndmask_b32_e32 v0, v12, v15, vcc
	v_lshlrev_b32_e32 v1, 3, v1
	s_waitcnt lgkmcnt(0)
	v_cndmask_b32_e32 v2, v13, v17, vcc
	v_add_co_u32_e32 v0, vcc, v0, v1
	v_addc_co_u32_e32 v1, vcc, 0, v2, vcc
	global_store_dwordx2 v[0:1], v[4:5], off
	s_or_b64 exec, exec, s[4:5]
	s_and_b64 s[0:1], s[0:1], s[22:23]
	s_and_saveexec_b64 s[2:3], s[0:1]
	s_cbranch_execz .LBB411_75
.LBB411_77:
	v_mov_b32_e32 v0, 0
	global_store_dwordx2 v0, v[10:11], s[20:21]
	s_endpgm
.LBB411_78:
	v_cmp_lt_u32_e32 vcc, v0, v14
	v_cndmask_b32_e32 v19, v12, v15, vcc
	v_cndmask_b32_e32 v0, v13, v17, vcc
	v_add_co_u32_e32 v20, vcc, v19, v24
	v_addc_co_u32_e32 v21, vcc, 0, v0, vcc
	s_waitcnt lgkmcnt(1)
	global_store_dwordx2 v[20:21], v[6:7], off
	s_or_b64 exec, exec, s[2:3]
	v_cmp_gt_u32_e32 vcc, s33, v18
	s_and_saveexec_b64 s[2:3], vcc
	s_cbranch_execz .LBB411_70
.LBB411_79:
	v_cmp_lt_u32_e32 vcc, v18, v14
	s_waitcnt lgkmcnt(1)
	v_cndmask_b32_e32 v6, v12, v15, vcc
	v_cndmask_b32_e32 v0, v13, v17, vcc
	v_add_co_u32_e32 v6, vcc, v6, v24
	v_addc_co_u32_e32 v7, vcc, 0, v0, vcc
	global_store_dwordx2 v[6:7], v[8:9], off offset:1536
	s_or_b64 exec, exec, s[2:3]
	v_cmp_gt_u32_e32 vcc, s33, v16
	s_and_saveexec_b64 s[2:3], vcc
	s_cbranch_execnz .LBB411_71
	s_branch .LBB411_72
	.section	.rodata,"a",@progbits
	.p2align	6, 0x0
	.amdhsa_kernel _ZN7rocprim17ROCPRIM_400000_NS6detail17trampoline_kernelINS0_14default_configENS1_25partition_config_selectorILNS1_17partition_subalgoE1ExNS0_10empty_typeEbEEZZNS1_14partition_implILS5_1ELb0ES3_jN6thrust23THRUST_200600_302600_NS6detail15normal_iteratorINSA_10device_ptrIxEEEEPS6_NSA_18transform_iteratorI7is_evenIxESF_NSA_11use_defaultESK_EENS0_5tupleIJSF_SF_EEENSM_IJSG_SG_EEES6_PlJS6_EEE10hipError_tPvRmT3_T4_T5_T6_T7_T9_mT8_P12ihipStream_tbDpT10_ENKUlT_T0_E_clISt17integral_constantIbLb0EES18_IbLb1EEEEDaS14_S15_EUlS14_E_NS1_11comp_targetILNS1_3genE4ELNS1_11target_archE910ELNS1_3gpuE8ELNS1_3repE0EEENS1_30default_config_static_selectorELNS0_4arch9wavefront6targetE1EEEvT1_
		.amdhsa_group_segment_fixed_size 6344
		.amdhsa_private_segment_fixed_size 0
		.amdhsa_kernarg_size 144
		.amdhsa_user_sgpr_count 6
		.amdhsa_user_sgpr_private_segment_buffer 1
		.amdhsa_user_sgpr_dispatch_ptr 0
		.amdhsa_user_sgpr_queue_ptr 0
		.amdhsa_user_sgpr_kernarg_segment_ptr 1
		.amdhsa_user_sgpr_dispatch_id 0
		.amdhsa_user_sgpr_flat_scratch_init 0
		.amdhsa_user_sgpr_kernarg_preload_length 0
		.amdhsa_user_sgpr_kernarg_preload_offset 0
		.amdhsa_user_sgpr_private_segment_size 0
		.amdhsa_uses_dynamic_stack 0
		.amdhsa_system_sgpr_private_segment_wavefront_offset 0
		.amdhsa_system_sgpr_workgroup_id_x 1
		.amdhsa_system_sgpr_workgroup_id_y 0
		.amdhsa_system_sgpr_workgroup_id_z 0
		.amdhsa_system_sgpr_workgroup_info 0
		.amdhsa_system_vgpr_workitem_id 0
		.amdhsa_next_free_vgpr 47
		.amdhsa_next_free_sgpr 44
		.amdhsa_accum_offset 48
		.amdhsa_reserve_vcc 1
		.amdhsa_reserve_flat_scratch 0
		.amdhsa_float_round_mode_32 0
		.amdhsa_float_round_mode_16_64 0
		.amdhsa_float_denorm_mode_32 3
		.amdhsa_float_denorm_mode_16_64 3
		.amdhsa_dx10_clamp 1
		.amdhsa_ieee_mode 1
		.amdhsa_fp16_overflow 0
		.amdhsa_tg_split 0
		.amdhsa_exception_fp_ieee_invalid_op 0
		.amdhsa_exception_fp_denorm_src 0
		.amdhsa_exception_fp_ieee_div_zero 0
		.amdhsa_exception_fp_ieee_overflow 0
		.amdhsa_exception_fp_ieee_underflow 0
		.amdhsa_exception_fp_ieee_inexact 0
		.amdhsa_exception_int_div_zero 0
	.end_amdhsa_kernel
	.section	.text._ZN7rocprim17ROCPRIM_400000_NS6detail17trampoline_kernelINS0_14default_configENS1_25partition_config_selectorILNS1_17partition_subalgoE1ExNS0_10empty_typeEbEEZZNS1_14partition_implILS5_1ELb0ES3_jN6thrust23THRUST_200600_302600_NS6detail15normal_iteratorINSA_10device_ptrIxEEEEPS6_NSA_18transform_iteratorI7is_evenIxESF_NSA_11use_defaultESK_EENS0_5tupleIJSF_SF_EEENSM_IJSG_SG_EEES6_PlJS6_EEE10hipError_tPvRmT3_T4_T5_T6_T7_T9_mT8_P12ihipStream_tbDpT10_ENKUlT_T0_E_clISt17integral_constantIbLb0EES18_IbLb1EEEEDaS14_S15_EUlS14_E_NS1_11comp_targetILNS1_3genE4ELNS1_11target_archE910ELNS1_3gpuE8ELNS1_3repE0EEENS1_30default_config_static_selectorELNS0_4arch9wavefront6targetE1EEEvT1_,"axG",@progbits,_ZN7rocprim17ROCPRIM_400000_NS6detail17trampoline_kernelINS0_14default_configENS1_25partition_config_selectorILNS1_17partition_subalgoE1ExNS0_10empty_typeEbEEZZNS1_14partition_implILS5_1ELb0ES3_jN6thrust23THRUST_200600_302600_NS6detail15normal_iteratorINSA_10device_ptrIxEEEEPS6_NSA_18transform_iteratorI7is_evenIxESF_NSA_11use_defaultESK_EENS0_5tupleIJSF_SF_EEENSM_IJSG_SG_EEES6_PlJS6_EEE10hipError_tPvRmT3_T4_T5_T6_T7_T9_mT8_P12ihipStream_tbDpT10_ENKUlT_T0_E_clISt17integral_constantIbLb0EES18_IbLb1EEEEDaS14_S15_EUlS14_E_NS1_11comp_targetILNS1_3genE4ELNS1_11target_archE910ELNS1_3gpuE8ELNS1_3repE0EEENS1_30default_config_static_selectorELNS0_4arch9wavefront6targetE1EEEvT1_,comdat
.Lfunc_end411:
	.size	_ZN7rocprim17ROCPRIM_400000_NS6detail17trampoline_kernelINS0_14default_configENS1_25partition_config_selectorILNS1_17partition_subalgoE1ExNS0_10empty_typeEbEEZZNS1_14partition_implILS5_1ELb0ES3_jN6thrust23THRUST_200600_302600_NS6detail15normal_iteratorINSA_10device_ptrIxEEEEPS6_NSA_18transform_iteratorI7is_evenIxESF_NSA_11use_defaultESK_EENS0_5tupleIJSF_SF_EEENSM_IJSG_SG_EEES6_PlJS6_EEE10hipError_tPvRmT3_T4_T5_T6_T7_T9_mT8_P12ihipStream_tbDpT10_ENKUlT_T0_E_clISt17integral_constantIbLb0EES18_IbLb1EEEEDaS14_S15_EUlS14_E_NS1_11comp_targetILNS1_3genE4ELNS1_11target_archE910ELNS1_3gpuE8ELNS1_3repE0EEENS1_30default_config_static_selectorELNS0_4arch9wavefront6targetE1EEEvT1_, .Lfunc_end411-_ZN7rocprim17ROCPRIM_400000_NS6detail17trampoline_kernelINS0_14default_configENS1_25partition_config_selectorILNS1_17partition_subalgoE1ExNS0_10empty_typeEbEEZZNS1_14partition_implILS5_1ELb0ES3_jN6thrust23THRUST_200600_302600_NS6detail15normal_iteratorINSA_10device_ptrIxEEEEPS6_NSA_18transform_iteratorI7is_evenIxESF_NSA_11use_defaultESK_EENS0_5tupleIJSF_SF_EEENSM_IJSG_SG_EEES6_PlJS6_EEE10hipError_tPvRmT3_T4_T5_T6_T7_T9_mT8_P12ihipStream_tbDpT10_ENKUlT_T0_E_clISt17integral_constantIbLb0EES18_IbLb1EEEEDaS14_S15_EUlS14_E_NS1_11comp_targetILNS1_3genE4ELNS1_11target_archE910ELNS1_3gpuE8ELNS1_3repE0EEENS1_30default_config_static_selectorELNS0_4arch9wavefront6targetE1EEEvT1_
                                        ; -- End function
	.section	.AMDGPU.csdata,"",@progbits
; Kernel info:
; codeLenInByte = 4100
; NumSgprs: 48
; NumVgprs: 47
; NumAgprs: 0
; TotalNumVgprs: 47
; ScratchSize: 0
; MemoryBound: 0
; FloatMode: 240
; IeeeMode: 1
; LDSByteSize: 6344 bytes/workgroup (compile time only)
; SGPRBlocks: 5
; VGPRBlocks: 5
; NumSGPRsForWavesPerEU: 48
; NumVGPRsForWavesPerEU: 47
; AccumOffset: 48
; Occupancy: 8
; WaveLimiterHint : 1
; COMPUTE_PGM_RSRC2:SCRATCH_EN: 0
; COMPUTE_PGM_RSRC2:USER_SGPR: 6
; COMPUTE_PGM_RSRC2:TRAP_HANDLER: 0
; COMPUTE_PGM_RSRC2:TGID_X_EN: 1
; COMPUTE_PGM_RSRC2:TGID_Y_EN: 0
; COMPUTE_PGM_RSRC2:TGID_Z_EN: 0
; COMPUTE_PGM_RSRC2:TIDIG_COMP_CNT: 0
; COMPUTE_PGM_RSRC3_GFX90A:ACCUM_OFFSET: 11
; COMPUTE_PGM_RSRC3_GFX90A:TG_SPLIT: 0
	.section	.text._ZN7rocprim17ROCPRIM_400000_NS6detail17trampoline_kernelINS0_14default_configENS1_25partition_config_selectorILNS1_17partition_subalgoE1ExNS0_10empty_typeEbEEZZNS1_14partition_implILS5_1ELb0ES3_jN6thrust23THRUST_200600_302600_NS6detail15normal_iteratorINSA_10device_ptrIxEEEEPS6_NSA_18transform_iteratorI7is_evenIxESF_NSA_11use_defaultESK_EENS0_5tupleIJSF_SF_EEENSM_IJSG_SG_EEES6_PlJS6_EEE10hipError_tPvRmT3_T4_T5_T6_T7_T9_mT8_P12ihipStream_tbDpT10_ENKUlT_T0_E_clISt17integral_constantIbLb0EES18_IbLb1EEEEDaS14_S15_EUlS14_E_NS1_11comp_targetILNS1_3genE3ELNS1_11target_archE908ELNS1_3gpuE7ELNS1_3repE0EEENS1_30default_config_static_selectorELNS0_4arch9wavefront6targetE1EEEvT1_,"axG",@progbits,_ZN7rocprim17ROCPRIM_400000_NS6detail17trampoline_kernelINS0_14default_configENS1_25partition_config_selectorILNS1_17partition_subalgoE1ExNS0_10empty_typeEbEEZZNS1_14partition_implILS5_1ELb0ES3_jN6thrust23THRUST_200600_302600_NS6detail15normal_iteratorINSA_10device_ptrIxEEEEPS6_NSA_18transform_iteratorI7is_evenIxESF_NSA_11use_defaultESK_EENS0_5tupleIJSF_SF_EEENSM_IJSG_SG_EEES6_PlJS6_EEE10hipError_tPvRmT3_T4_T5_T6_T7_T9_mT8_P12ihipStream_tbDpT10_ENKUlT_T0_E_clISt17integral_constantIbLb0EES18_IbLb1EEEEDaS14_S15_EUlS14_E_NS1_11comp_targetILNS1_3genE3ELNS1_11target_archE908ELNS1_3gpuE7ELNS1_3repE0EEENS1_30default_config_static_selectorELNS0_4arch9wavefront6targetE1EEEvT1_,comdat
	.protected	_ZN7rocprim17ROCPRIM_400000_NS6detail17trampoline_kernelINS0_14default_configENS1_25partition_config_selectorILNS1_17partition_subalgoE1ExNS0_10empty_typeEbEEZZNS1_14partition_implILS5_1ELb0ES3_jN6thrust23THRUST_200600_302600_NS6detail15normal_iteratorINSA_10device_ptrIxEEEEPS6_NSA_18transform_iteratorI7is_evenIxESF_NSA_11use_defaultESK_EENS0_5tupleIJSF_SF_EEENSM_IJSG_SG_EEES6_PlJS6_EEE10hipError_tPvRmT3_T4_T5_T6_T7_T9_mT8_P12ihipStream_tbDpT10_ENKUlT_T0_E_clISt17integral_constantIbLb0EES18_IbLb1EEEEDaS14_S15_EUlS14_E_NS1_11comp_targetILNS1_3genE3ELNS1_11target_archE908ELNS1_3gpuE7ELNS1_3repE0EEENS1_30default_config_static_selectorELNS0_4arch9wavefront6targetE1EEEvT1_ ; -- Begin function _ZN7rocprim17ROCPRIM_400000_NS6detail17trampoline_kernelINS0_14default_configENS1_25partition_config_selectorILNS1_17partition_subalgoE1ExNS0_10empty_typeEbEEZZNS1_14partition_implILS5_1ELb0ES3_jN6thrust23THRUST_200600_302600_NS6detail15normal_iteratorINSA_10device_ptrIxEEEEPS6_NSA_18transform_iteratorI7is_evenIxESF_NSA_11use_defaultESK_EENS0_5tupleIJSF_SF_EEENSM_IJSG_SG_EEES6_PlJS6_EEE10hipError_tPvRmT3_T4_T5_T6_T7_T9_mT8_P12ihipStream_tbDpT10_ENKUlT_T0_E_clISt17integral_constantIbLb0EES18_IbLb1EEEEDaS14_S15_EUlS14_E_NS1_11comp_targetILNS1_3genE3ELNS1_11target_archE908ELNS1_3gpuE7ELNS1_3repE0EEENS1_30default_config_static_selectorELNS0_4arch9wavefront6targetE1EEEvT1_
	.globl	_ZN7rocprim17ROCPRIM_400000_NS6detail17trampoline_kernelINS0_14default_configENS1_25partition_config_selectorILNS1_17partition_subalgoE1ExNS0_10empty_typeEbEEZZNS1_14partition_implILS5_1ELb0ES3_jN6thrust23THRUST_200600_302600_NS6detail15normal_iteratorINSA_10device_ptrIxEEEEPS6_NSA_18transform_iteratorI7is_evenIxESF_NSA_11use_defaultESK_EENS0_5tupleIJSF_SF_EEENSM_IJSG_SG_EEES6_PlJS6_EEE10hipError_tPvRmT3_T4_T5_T6_T7_T9_mT8_P12ihipStream_tbDpT10_ENKUlT_T0_E_clISt17integral_constantIbLb0EES18_IbLb1EEEEDaS14_S15_EUlS14_E_NS1_11comp_targetILNS1_3genE3ELNS1_11target_archE908ELNS1_3gpuE7ELNS1_3repE0EEENS1_30default_config_static_selectorELNS0_4arch9wavefront6targetE1EEEvT1_
	.p2align	8
	.type	_ZN7rocprim17ROCPRIM_400000_NS6detail17trampoline_kernelINS0_14default_configENS1_25partition_config_selectorILNS1_17partition_subalgoE1ExNS0_10empty_typeEbEEZZNS1_14partition_implILS5_1ELb0ES3_jN6thrust23THRUST_200600_302600_NS6detail15normal_iteratorINSA_10device_ptrIxEEEEPS6_NSA_18transform_iteratorI7is_evenIxESF_NSA_11use_defaultESK_EENS0_5tupleIJSF_SF_EEENSM_IJSG_SG_EEES6_PlJS6_EEE10hipError_tPvRmT3_T4_T5_T6_T7_T9_mT8_P12ihipStream_tbDpT10_ENKUlT_T0_E_clISt17integral_constantIbLb0EES18_IbLb1EEEEDaS14_S15_EUlS14_E_NS1_11comp_targetILNS1_3genE3ELNS1_11target_archE908ELNS1_3gpuE7ELNS1_3repE0EEENS1_30default_config_static_selectorELNS0_4arch9wavefront6targetE1EEEvT1_,@function
_ZN7rocprim17ROCPRIM_400000_NS6detail17trampoline_kernelINS0_14default_configENS1_25partition_config_selectorILNS1_17partition_subalgoE1ExNS0_10empty_typeEbEEZZNS1_14partition_implILS5_1ELb0ES3_jN6thrust23THRUST_200600_302600_NS6detail15normal_iteratorINSA_10device_ptrIxEEEEPS6_NSA_18transform_iteratorI7is_evenIxESF_NSA_11use_defaultESK_EENS0_5tupleIJSF_SF_EEENSM_IJSG_SG_EEES6_PlJS6_EEE10hipError_tPvRmT3_T4_T5_T6_T7_T9_mT8_P12ihipStream_tbDpT10_ENKUlT_T0_E_clISt17integral_constantIbLb0EES18_IbLb1EEEEDaS14_S15_EUlS14_E_NS1_11comp_targetILNS1_3genE3ELNS1_11target_archE908ELNS1_3gpuE7ELNS1_3repE0EEENS1_30default_config_static_selectorELNS0_4arch9wavefront6targetE1EEEvT1_: ; @_ZN7rocprim17ROCPRIM_400000_NS6detail17trampoline_kernelINS0_14default_configENS1_25partition_config_selectorILNS1_17partition_subalgoE1ExNS0_10empty_typeEbEEZZNS1_14partition_implILS5_1ELb0ES3_jN6thrust23THRUST_200600_302600_NS6detail15normal_iteratorINSA_10device_ptrIxEEEEPS6_NSA_18transform_iteratorI7is_evenIxESF_NSA_11use_defaultESK_EENS0_5tupleIJSF_SF_EEENSM_IJSG_SG_EEES6_PlJS6_EEE10hipError_tPvRmT3_T4_T5_T6_T7_T9_mT8_P12ihipStream_tbDpT10_ENKUlT_T0_E_clISt17integral_constantIbLb0EES18_IbLb1EEEEDaS14_S15_EUlS14_E_NS1_11comp_targetILNS1_3genE3ELNS1_11target_archE908ELNS1_3gpuE7ELNS1_3repE0EEENS1_30default_config_static_selectorELNS0_4arch9wavefront6targetE1EEEvT1_
; %bb.0:
	.section	.rodata,"a",@progbits
	.p2align	6, 0x0
	.amdhsa_kernel _ZN7rocprim17ROCPRIM_400000_NS6detail17trampoline_kernelINS0_14default_configENS1_25partition_config_selectorILNS1_17partition_subalgoE1ExNS0_10empty_typeEbEEZZNS1_14partition_implILS5_1ELb0ES3_jN6thrust23THRUST_200600_302600_NS6detail15normal_iteratorINSA_10device_ptrIxEEEEPS6_NSA_18transform_iteratorI7is_evenIxESF_NSA_11use_defaultESK_EENS0_5tupleIJSF_SF_EEENSM_IJSG_SG_EEES6_PlJS6_EEE10hipError_tPvRmT3_T4_T5_T6_T7_T9_mT8_P12ihipStream_tbDpT10_ENKUlT_T0_E_clISt17integral_constantIbLb0EES18_IbLb1EEEEDaS14_S15_EUlS14_E_NS1_11comp_targetILNS1_3genE3ELNS1_11target_archE908ELNS1_3gpuE7ELNS1_3repE0EEENS1_30default_config_static_selectorELNS0_4arch9wavefront6targetE1EEEvT1_
		.amdhsa_group_segment_fixed_size 0
		.amdhsa_private_segment_fixed_size 0
		.amdhsa_kernarg_size 144
		.amdhsa_user_sgpr_count 6
		.amdhsa_user_sgpr_private_segment_buffer 1
		.amdhsa_user_sgpr_dispatch_ptr 0
		.amdhsa_user_sgpr_queue_ptr 0
		.amdhsa_user_sgpr_kernarg_segment_ptr 1
		.amdhsa_user_sgpr_dispatch_id 0
		.amdhsa_user_sgpr_flat_scratch_init 0
		.amdhsa_user_sgpr_kernarg_preload_length 0
		.amdhsa_user_sgpr_kernarg_preload_offset 0
		.amdhsa_user_sgpr_private_segment_size 0
		.amdhsa_uses_dynamic_stack 0
		.amdhsa_system_sgpr_private_segment_wavefront_offset 0
		.amdhsa_system_sgpr_workgroup_id_x 1
		.amdhsa_system_sgpr_workgroup_id_y 0
		.amdhsa_system_sgpr_workgroup_id_z 0
		.amdhsa_system_sgpr_workgroup_info 0
		.amdhsa_system_vgpr_workitem_id 0
		.amdhsa_next_free_vgpr 1
		.amdhsa_next_free_sgpr 0
		.amdhsa_accum_offset 4
		.amdhsa_reserve_vcc 0
		.amdhsa_reserve_flat_scratch 0
		.amdhsa_float_round_mode_32 0
		.amdhsa_float_round_mode_16_64 0
		.amdhsa_float_denorm_mode_32 3
		.amdhsa_float_denorm_mode_16_64 3
		.amdhsa_dx10_clamp 1
		.amdhsa_ieee_mode 1
		.amdhsa_fp16_overflow 0
		.amdhsa_tg_split 0
		.amdhsa_exception_fp_ieee_invalid_op 0
		.amdhsa_exception_fp_denorm_src 0
		.amdhsa_exception_fp_ieee_div_zero 0
		.amdhsa_exception_fp_ieee_overflow 0
		.amdhsa_exception_fp_ieee_underflow 0
		.amdhsa_exception_fp_ieee_inexact 0
		.amdhsa_exception_int_div_zero 0
	.end_amdhsa_kernel
	.section	.text._ZN7rocprim17ROCPRIM_400000_NS6detail17trampoline_kernelINS0_14default_configENS1_25partition_config_selectorILNS1_17partition_subalgoE1ExNS0_10empty_typeEbEEZZNS1_14partition_implILS5_1ELb0ES3_jN6thrust23THRUST_200600_302600_NS6detail15normal_iteratorINSA_10device_ptrIxEEEEPS6_NSA_18transform_iteratorI7is_evenIxESF_NSA_11use_defaultESK_EENS0_5tupleIJSF_SF_EEENSM_IJSG_SG_EEES6_PlJS6_EEE10hipError_tPvRmT3_T4_T5_T6_T7_T9_mT8_P12ihipStream_tbDpT10_ENKUlT_T0_E_clISt17integral_constantIbLb0EES18_IbLb1EEEEDaS14_S15_EUlS14_E_NS1_11comp_targetILNS1_3genE3ELNS1_11target_archE908ELNS1_3gpuE7ELNS1_3repE0EEENS1_30default_config_static_selectorELNS0_4arch9wavefront6targetE1EEEvT1_,"axG",@progbits,_ZN7rocprim17ROCPRIM_400000_NS6detail17trampoline_kernelINS0_14default_configENS1_25partition_config_selectorILNS1_17partition_subalgoE1ExNS0_10empty_typeEbEEZZNS1_14partition_implILS5_1ELb0ES3_jN6thrust23THRUST_200600_302600_NS6detail15normal_iteratorINSA_10device_ptrIxEEEEPS6_NSA_18transform_iteratorI7is_evenIxESF_NSA_11use_defaultESK_EENS0_5tupleIJSF_SF_EEENSM_IJSG_SG_EEES6_PlJS6_EEE10hipError_tPvRmT3_T4_T5_T6_T7_T9_mT8_P12ihipStream_tbDpT10_ENKUlT_T0_E_clISt17integral_constantIbLb0EES18_IbLb1EEEEDaS14_S15_EUlS14_E_NS1_11comp_targetILNS1_3genE3ELNS1_11target_archE908ELNS1_3gpuE7ELNS1_3repE0EEENS1_30default_config_static_selectorELNS0_4arch9wavefront6targetE1EEEvT1_,comdat
.Lfunc_end412:
	.size	_ZN7rocprim17ROCPRIM_400000_NS6detail17trampoline_kernelINS0_14default_configENS1_25partition_config_selectorILNS1_17partition_subalgoE1ExNS0_10empty_typeEbEEZZNS1_14partition_implILS5_1ELb0ES3_jN6thrust23THRUST_200600_302600_NS6detail15normal_iteratorINSA_10device_ptrIxEEEEPS6_NSA_18transform_iteratorI7is_evenIxESF_NSA_11use_defaultESK_EENS0_5tupleIJSF_SF_EEENSM_IJSG_SG_EEES6_PlJS6_EEE10hipError_tPvRmT3_T4_T5_T6_T7_T9_mT8_P12ihipStream_tbDpT10_ENKUlT_T0_E_clISt17integral_constantIbLb0EES18_IbLb1EEEEDaS14_S15_EUlS14_E_NS1_11comp_targetILNS1_3genE3ELNS1_11target_archE908ELNS1_3gpuE7ELNS1_3repE0EEENS1_30default_config_static_selectorELNS0_4arch9wavefront6targetE1EEEvT1_, .Lfunc_end412-_ZN7rocprim17ROCPRIM_400000_NS6detail17trampoline_kernelINS0_14default_configENS1_25partition_config_selectorILNS1_17partition_subalgoE1ExNS0_10empty_typeEbEEZZNS1_14partition_implILS5_1ELb0ES3_jN6thrust23THRUST_200600_302600_NS6detail15normal_iteratorINSA_10device_ptrIxEEEEPS6_NSA_18transform_iteratorI7is_evenIxESF_NSA_11use_defaultESK_EENS0_5tupleIJSF_SF_EEENSM_IJSG_SG_EEES6_PlJS6_EEE10hipError_tPvRmT3_T4_T5_T6_T7_T9_mT8_P12ihipStream_tbDpT10_ENKUlT_T0_E_clISt17integral_constantIbLb0EES18_IbLb1EEEEDaS14_S15_EUlS14_E_NS1_11comp_targetILNS1_3genE3ELNS1_11target_archE908ELNS1_3gpuE7ELNS1_3repE0EEENS1_30default_config_static_selectorELNS0_4arch9wavefront6targetE1EEEvT1_
                                        ; -- End function
	.section	.AMDGPU.csdata,"",@progbits
; Kernel info:
; codeLenInByte = 0
; NumSgprs: 4
; NumVgprs: 0
; NumAgprs: 0
; TotalNumVgprs: 0
; ScratchSize: 0
; MemoryBound: 0
; FloatMode: 240
; IeeeMode: 1
; LDSByteSize: 0 bytes/workgroup (compile time only)
; SGPRBlocks: 0
; VGPRBlocks: 0
; NumSGPRsForWavesPerEU: 4
; NumVGPRsForWavesPerEU: 1
; AccumOffset: 4
; Occupancy: 8
; WaveLimiterHint : 0
; COMPUTE_PGM_RSRC2:SCRATCH_EN: 0
; COMPUTE_PGM_RSRC2:USER_SGPR: 6
; COMPUTE_PGM_RSRC2:TRAP_HANDLER: 0
; COMPUTE_PGM_RSRC2:TGID_X_EN: 1
; COMPUTE_PGM_RSRC2:TGID_Y_EN: 0
; COMPUTE_PGM_RSRC2:TGID_Z_EN: 0
; COMPUTE_PGM_RSRC2:TIDIG_COMP_CNT: 0
; COMPUTE_PGM_RSRC3_GFX90A:ACCUM_OFFSET: 0
; COMPUTE_PGM_RSRC3_GFX90A:TG_SPLIT: 0
	.section	.text._ZN7rocprim17ROCPRIM_400000_NS6detail17trampoline_kernelINS0_14default_configENS1_25partition_config_selectorILNS1_17partition_subalgoE1ExNS0_10empty_typeEbEEZZNS1_14partition_implILS5_1ELb0ES3_jN6thrust23THRUST_200600_302600_NS6detail15normal_iteratorINSA_10device_ptrIxEEEEPS6_NSA_18transform_iteratorI7is_evenIxESF_NSA_11use_defaultESK_EENS0_5tupleIJSF_SF_EEENSM_IJSG_SG_EEES6_PlJS6_EEE10hipError_tPvRmT3_T4_T5_T6_T7_T9_mT8_P12ihipStream_tbDpT10_ENKUlT_T0_E_clISt17integral_constantIbLb0EES18_IbLb1EEEEDaS14_S15_EUlS14_E_NS1_11comp_targetILNS1_3genE2ELNS1_11target_archE906ELNS1_3gpuE6ELNS1_3repE0EEENS1_30default_config_static_selectorELNS0_4arch9wavefront6targetE1EEEvT1_,"axG",@progbits,_ZN7rocprim17ROCPRIM_400000_NS6detail17trampoline_kernelINS0_14default_configENS1_25partition_config_selectorILNS1_17partition_subalgoE1ExNS0_10empty_typeEbEEZZNS1_14partition_implILS5_1ELb0ES3_jN6thrust23THRUST_200600_302600_NS6detail15normal_iteratorINSA_10device_ptrIxEEEEPS6_NSA_18transform_iteratorI7is_evenIxESF_NSA_11use_defaultESK_EENS0_5tupleIJSF_SF_EEENSM_IJSG_SG_EEES6_PlJS6_EEE10hipError_tPvRmT3_T4_T5_T6_T7_T9_mT8_P12ihipStream_tbDpT10_ENKUlT_T0_E_clISt17integral_constantIbLb0EES18_IbLb1EEEEDaS14_S15_EUlS14_E_NS1_11comp_targetILNS1_3genE2ELNS1_11target_archE906ELNS1_3gpuE6ELNS1_3repE0EEENS1_30default_config_static_selectorELNS0_4arch9wavefront6targetE1EEEvT1_,comdat
	.protected	_ZN7rocprim17ROCPRIM_400000_NS6detail17trampoline_kernelINS0_14default_configENS1_25partition_config_selectorILNS1_17partition_subalgoE1ExNS0_10empty_typeEbEEZZNS1_14partition_implILS5_1ELb0ES3_jN6thrust23THRUST_200600_302600_NS6detail15normal_iteratorINSA_10device_ptrIxEEEEPS6_NSA_18transform_iteratorI7is_evenIxESF_NSA_11use_defaultESK_EENS0_5tupleIJSF_SF_EEENSM_IJSG_SG_EEES6_PlJS6_EEE10hipError_tPvRmT3_T4_T5_T6_T7_T9_mT8_P12ihipStream_tbDpT10_ENKUlT_T0_E_clISt17integral_constantIbLb0EES18_IbLb1EEEEDaS14_S15_EUlS14_E_NS1_11comp_targetILNS1_3genE2ELNS1_11target_archE906ELNS1_3gpuE6ELNS1_3repE0EEENS1_30default_config_static_selectorELNS0_4arch9wavefront6targetE1EEEvT1_ ; -- Begin function _ZN7rocprim17ROCPRIM_400000_NS6detail17trampoline_kernelINS0_14default_configENS1_25partition_config_selectorILNS1_17partition_subalgoE1ExNS0_10empty_typeEbEEZZNS1_14partition_implILS5_1ELb0ES3_jN6thrust23THRUST_200600_302600_NS6detail15normal_iteratorINSA_10device_ptrIxEEEEPS6_NSA_18transform_iteratorI7is_evenIxESF_NSA_11use_defaultESK_EENS0_5tupleIJSF_SF_EEENSM_IJSG_SG_EEES6_PlJS6_EEE10hipError_tPvRmT3_T4_T5_T6_T7_T9_mT8_P12ihipStream_tbDpT10_ENKUlT_T0_E_clISt17integral_constantIbLb0EES18_IbLb1EEEEDaS14_S15_EUlS14_E_NS1_11comp_targetILNS1_3genE2ELNS1_11target_archE906ELNS1_3gpuE6ELNS1_3repE0EEENS1_30default_config_static_selectorELNS0_4arch9wavefront6targetE1EEEvT1_
	.globl	_ZN7rocprim17ROCPRIM_400000_NS6detail17trampoline_kernelINS0_14default_configENS1_25partition_config_selectorILNS1_17partition_subalgoE1ExNS0_10empty_typeEbEEZZNS1_14partition_implILS5_1ELb0ES3_jN6thrust23THRUST_200600_302600_NS6detail15normal_iteratorINSA_10device_ptrIxEEEEPS6_NSA_18transform_iteratorI7is_evenIxESF_NSA_11use_defaultESK_EENS0_5tupleIJSF_SF_EEENSM_IJSG_SG_EEES6_PlJS6_EEE10hipError_tPvRmT3_T4_T5_T6_T7_T9_mT8_P12ihipStream_tbDpT10_ENKUlT_T0_E_clISt17integral_constantIbLb0EES18_IbLb1EEEEDaS14_S15_EUlS14_E_NS1_11comp_targetILNS1_3genE2ELNS1_11target_archE906ELNS1_3gpuE6ELNS1_3repE0EEENS1_30default_config_static_selectorELNS0_4arch9wavefront6targetE1EEEvT1_
	.p2align	8
	.type	_ZN7rocprim17ROCPRIM_400000_NS6detail17trampoline_kernelINS0_14default_configENS1_25partition_config_selectorILNS1_17partition_subalgoE1ExNS0_10empty_typeEbEEZZNS1_14partition_implILS5_1ELb0ES3_jN6thrust23THRUST_200600_302600_NS6detail15normal_iteratorINSA_10device_ptrIxEEEEPS6_NSA_18transform_iteratorI7is_evenIxESF_NSA_11use_defaultESK_EENS0_5tupleIJSF_SF_EEENSM_IJSG_SG_EEES6_PlJS6_EEE10hipError_tPvRmT3_T4_T5_T6_T7_T9_mT8_P12ihipStream_tbDpT10_ENKUlT_T0_E_clISt17integral_constantIbLb0EES18_IbLb1EEEEDaS14_S15_EUlS14_E_NS1_11comp_targetILNS1_3genE2ELNS1_11target_archE906ELNS1_3gpuE6ELNS1_3repE0EEENS1_30default_config_static_selectorELNS0_4arch9wavefront6targetE1EEEvT1_,@function
_ZN7rocprim17ROCPRIM_400000_NS6detail17trampoline_kernelINS0_14default_configENS1_25partition_config_selectorILNS1_17partition_subalgoE1ExNS0_10empty_typeEbEEZZNS1_14partition_implILS5_1ELb0ES3_jN6thrust23THRUST_200600_302600_NS6detail15normal_iteratorINSA_10device_ptrIxEEEEPS6_NSA_18transform_iteratorI7is_evenIxESF_NSA_11use_defaultESK_EENS0_5tupleIJSF_SF_EEENSM_IJSG_SG_EEES6_PlJS6_EEE10hipError_tPvRmT3_T4_T5_T6_T7_T9_mT8_P12ihipStream_tbDpT10_ENKUlT_T0_E_clISt17integral_constantIbLb0EES18_IbLb1EEEEDaS14_S15_EUlS14_E_NS1_11comp_targetILNS1_3genE2ELNS1_11target_archE906ELNS1_3gpuE6ELNS1_3repE0EEENS1_30default_config_static_selectorELNS0_4arch9wavefront6targetE1EEEvT1_: ; @_ZN7rocprim17ROCPRIM_400000_NS6detail17trampoline_kernelINS0_14default_configENS1_25partition_config_selectorILNS1_17partition_subalgoE1ExNS0_10empty_typeEbEEZZNS1_14partition_implILS5_1ELb0ES3_jN6thrust23THRUST_200600_302600_NS6detail15normal_iteratorINSA_10device_ptrIxEEEEPS6_NSA_18transform_iteratorI7is_evenIxESF_NSA_11use_defaultESK_EENS0_5tupleIJSF_SF_EEENSM_IJSG_SG_EEES6_PlJS6_EEE10hipError_tPvRmT3_T4_T5_T6_T7_T9_mT8_P12ihipStream_tbDpT10_ENKUlT_T0_E_clISt17integral_constantIbLb0EES18_IbLb1EEEEDaS14_S15_EUlS14_E_NS1_11comp_targetILNS1_3genE2ELNS1_11target_archE906ELNS1_3gpuE6ELNS1_3repE0EEENS1_30default_config_static_selectorELNS0_4arch9wavefront6targetE1EEEvT1_
; %bb.0:
	.section	.rodata,"a",@progbits
	.p2align	6, 0x0
	.amdhsa_kernel _ZN7rocprim17ROCPRIM_400000_NS6detail17trampoline_kernelINS0_14default_configENS1_25partition_config_selectorILNS1_17partition_subalgoE1ExNS0_10empty_typeEbEEZZNS1_14partition_implILS5_1ELb0ES3_jN6thrust23THRUST_200600_302600_NS6detail15normal_iteratorINSA_10device_ptrIxEEEEPS6_NSA_18transform_iteratorI7is_evenIxESF_NSA_11use_defaultESK_EENS0_5tupleIJSF_SF_EEENSM_IJSG_SG_EEES6_PlJS6_EEE10hipError_tPvRmT3_T4_T5_T6_T7_T9_mT8_P12ihipStream_tbDpT10_ENKUlT_T0_E_clISt17integral_constantIbLb0EES18_IbLb1EEEEDaS14_S15_EUlS14_E_NS1_11comp_targetILNS1_3genE2ELNS1_11target_archE906ELNS1_3gpuE6ELNS1_3repE0EEENS1_30default_config_static_selectorELNS0_4arch9wavefront6targetE1EEEvT1_
		.amdhsa_group_segment_fixed_size 0
		.amdhsa_private_segment_fixed_size 0
		.amdhsa_kernarg_size 144
		.amdhsa_user_sgpr_count 6
		.amdhsa_user_sgpr_private_segment_buffer 1
		.amdhsa_user_sgpr_dispatch_ptr 0
		.amdhsa_user_sgpr_queue_ptr 0
		.amdhsa_user_sgpr_kernarg_segment_ptr 1
		.amdhsa_user_sgpr_dispatch_id 0
		.amdhsa_user_sgpr_flat_scratch_init 0
		.amdhsa_user_sgpr_kernarg_preload_length 0
		.amdhsa_user_sgpr_kernarg_preload_offset 0
		.amdhsa_user_sgpr_private_segment_size 0
		.amdhsa_uses_dynamic_stack 0
		.amdhsa_system_sgpr_private_segment_wavefront_offset 0
		.amdhsa_system_sgpr_workgroup_id_x 1
		.amdhsa_system_sgpr_workgroup_id_y 0
		.amdhsa_system_sgpr_workgroup_id_z 0
		.amdhsa_system_sgpr_workgroup_info 0
		.amdhsa_system_vgpr_workitem_id 0
		.amdhsa_next_free_vgpr 1
		.amdhsa_next_free_sgpr 0
		.amdhsa_accum_offset 4
		.amdhsa_reserve_vcc 0
		.amdhsa_reserve_flat_scratch 0
		.amdhsa_float_round_mode_32 0
		.amdhsa_float_round_mode_16_64 0
		.amdhsa_float_denorm_mode_32 3
		.amdhsa_float_denorm_mode_16_64 3
		.amdhsa_dx10_clamp 1
		.amdhsa_ieee_mode 1
		.amdhsa_fp16_overflow 0
		.amdhsa_tg_split 0
		.amdhsa_exception_fp_ieee_invalid_op 0
		.amdhsa_exception_fp_denorm_src 0
		.amdhsa_exception_fp_ieee_div_zero 0
		.amdhsa_exception_fp_ieee_overflow 0
		.amdhsa_exception_fp_ieee_underflow 0
		.amdhsa_exception_fp_ieee_inexact 0
		.amdhsa_exception_int_div_zero 0
	.end_amdhsa_kernel
	.section	.text._ZN7rocprim17ROCPRIM_400000_NS6detail17trampoline_kernelINS0_14default_configENS1_25partition_config_selectorILNS1_17partition_subalgoE1ExNS0_10empty_typeEbEEZZNS1_14partition_implILS5_1ELb0ES3_jN6thrust23THRUST_200600_302600_NS6detail15normal_iteratorINSA_10device_ptrIxEEEEPS6_NSA_18transform_iteratorI7is_evenIxESF_NSA_11use_defaultESK_EENS0_5tupleIJSF_SF_EEENSM_IJSG_SG_EEES6_PlJS6_EEE10hipError_tPvRmT3_T4_T5_T6_T7_T9_mT8_P12ihipStream_tbDpT10_ENKUlT_T0_E_clISt17integral_constantIbLb0EES18_IbLb1EEEEDaS14_S15_EUlS14_E_NS1_11comp_targetILNS1_3genE2ELNS1_11target_archE906ELNS1_3gpuE6ELNS1_3repE0EEENS1_30default_config_static_selectorELNS0_4arch9wavefront6targetE1EEEvT1_,"axG",@progbits,_ZN7rocprim17ROCPRIM_400000_NS6detail17trampoline_kernelINS0_14default_configENS1_25partition_config_selectorILNS1_17partition_subalgoE1ExNS0_10empty_typeEbEEZZNS1_14partition_implILS5_1ELb0ES3_jN6thrust23THRUST_200600_302600_NS6detail15normal_iteratorINSA_10device_ptrIxEEEEPS6_NSA_18transform_iteratorI7is_evenIxESF_NSA_11use_defaultESK_EENS0_5tupleIJSF_SF_EEENSM_IJSG_SG_EEES6_PlJS6_EEE10hipError_tPvRmT3_T4_T5_T6_T7_T9_mT8_P12ihipStream_tbDpT10_ENKUlT_T0_E_clISt17integral_constantIbLb0EES18_IbLb1EEEEDaS14_S15_EUlS14_E_NS1_11comp_targetILNS1_3genE2ELNS1_11target_archE906ELNS1_3gpuE6ELNS1_3repE0EEENS1_30default_config_static_selectorELNS0_4arch9wavefront6targetE1EEEvT1_,comdat
.Lfunc_end413:
	.size	_ZN7rocprim17ROCPRIM_400000_NS6detail17trampoline_kernelINS0_14default_configENS1_25partition_config_selectorILNS1_17partition_subalgoE1ExNS0_10empty_typeEbEEZZNS1_14partition_implILS5_1ELb0ES3_jN6thrust23THRUST_200600_302600_NS6detail15normal_iteratorINSA_10device_ptrIxEEEEPS6_NSA_18transform_iteratorI7is_evenIxESF_NSA_11use_defaultESK_EENS0_5tupleIJSF_SF_EEENSM_IJSG_SG_EEES6_PlJS6_EEE10hipError_tPvRmT3_T4_T5_T6_T7_T9_mT8_P12ihipStream_tbDpT10_ENKUlT_T0_E_clISt17integral_constantIbLb0EES18_IbLb1EEEEDaS14_S15_EUlS14_E_NS1_11comp_targetILNS1_3genE2ELNS1_11target_archE906ELNS1_3gpuE6ELNS1_3repE0EEENS1_30default_config_static_selectorELNS0_4arch9wavefront6targetE1EEEvT1_, .Lfunc_end413-_ZN7rocprim17ROCPRIM_400000_NS6detail17trampoline_kernelINS0_14default_configENS1_25partition_config_selectorILNS1_17partition_subalgoE1ExNS0_10empty_typeEbEEZZNS1_14partition_implILS5_1ELb0ES3_jN6thrust23THRUST_200600_302600_NS6detail15normal_iteratorINSA_10device_ptrIxEEEEPS6_NSA_18transform_iteratorI7is_evenIxESF_NSA_11use_defaultESK_EENS0_5tupleIJSF_SF_EEENSM_IJSG_SG_EEES6_PlJS6_EEE10hipError_tPvRmT3_T4_T5_T6_T7_T9_mT8_P12ihipStream_tbDpT10_ENKUlT_T0_E_clISt17integral_constantIbLb0EES18_IbLb1EEEEDaS14_S15_EUlS14_E_NS1_11comp_targetILNS1_3genE2ELNS1_11target_archE906ELNS1_3gpuE6ELNS1_3repE0EEENS1_30default_config_static_selectorELNS0_4arch9wavefront6targetE1EEEvT1_
                                        ; -- End function
	.section	.AMDGPU.csdata,"",@progbits
; Kernel info:
; codeLenInByte = 0
; NumSgprs: 4
; NumVgprs: 0
; NumAgprs: 0
; TotalNumVgprs: 0
; ScratchSize: 0
; MemoryBound: 0
; FloatMode: 240
; IeeeMode: 1
; LDSByteSize: 0 bytes/workgroup (compile time only)
; SGPRBlocks: 0
; VGPRBlocks: 0
; NumSGPRsForWavesPerEU: 4
; NumVGPRsForWavesPerEU: 1
; AccumOffset: 4
; Occupancy: 8
; WaveLimiterHint : 0
; COMPUTE_PGM_RSRC2:SCRATCH_EN: 0
; COMPUTE_PGM_RSRC2:USER_SGPR: 6
; COMPUTE_PGM_RSRC2:TRAP_HANDLER: 0
; COMPUTE_PGM_RSRC2:TGID_X_EN: 1
; COMPUTE_PGM_RSRC2:TGID_Y_EN: 0
; COMPUTE_PGM_RSRC2:TGID_Z_EN: 0
; COMPUTE_PGM_RSRC2:TIDIG_COMP_CNT: 0
; COMPUTE_PGM_RSRC3_GFX90A:ACCUM_OFFSET: 0
; COMPUTE_PGM_RSRC3_GFX90A:TG_SPLIT: 0
	.section	.text._ZN7rocprim17ROCPRIM_400000_NS6detail17trampoline_kernelINS0_14default_configENS1_25partition_config_selectorILNS1_17partition_subalgoE1ExNS0_10empty_typeEbEEZZNS1_14partition_implILS5_1ELb0ES3_jN6thrust23THRUST_200600_302600_NS6detail15normal_iteratorINSA_10device_ptrIxEEEEPS6_NSA_18transform_iteratorI7is_evenIxESF_NSA_11use_defaultESK_EENS0_5tupleIJSF_SF_EEENSM_IJSG_SG_EEES6_PlJS6_EEE10hipError_tPvRmT3_T4_T5_T6_T7_T9_mT8_P12ihipStream_tbDpT10_ENKUlT_T0_E_clISt17integral_constantIbLb0EES18_IbLb1EEEEDaS14_S15_EUlS14_E_NS1_11comp_targetILNS1_3genE10ELNS1_11target_archE1200ELNS1_3gpuE4ELNS1_3repE0EEENS1_30default_config_static_selectorELNS0_4arch9wavefront6targetE1EEEvT1_,"axG",@progbits,_ZN7rocprim17ROCPRIM_400000_NS6detail17trampoline_kernelINS0_14default_configENS1_25partition_config_selectorILNS1_17partition_subalgoE1ExNS0_10empty_typeEbEEZZNS1_14partition_implILS5_1ELb0ES3_jN6thrust23THRUST_200600_302600_NS6detail15normal_iteratorINSA_10device_ptrIxEEEEPS6_NSA_18transform_iteratorI7is_evenIxESF_NSA_11use_defaultESK_EENS0_5tupleIJSF_SF_EEENSM_IJSG_SG_EEES6_PlJS6_EEE10hipError_tPvRmT3_T4_T5_T6_T7_T9_mT8_P12ihipStream_tbDpT10_ENKUlT_T0_E_clISt17integral_constantIbLb0EES18_IbLb1EEEEDaS14_S15_EUlS14_E_NS1_11comp_targetILNS1_3genE10ELNS1_11target_archE1200ELNS1_3gpuE4ELNS1_3repE0EEENS1_30default_config_static_selectorELNS0_4arch9wavefront6targetE1EEEvT1_,comdat
	.protected	_ZN7rocprim17ROCPRIM_400000_NS6detail17trampoline_kernelINS0_14default_configENS1_25partition_config_selectorILNS1_17partition_subalgoE1ExNS0_10empty_typeEbEEZZNS1_14partition_implILS5_1ELb0ES3_jN6thrust23THRUST_200600_302600_NS6detail15normal_iteratorINSA_10device_ptrIxEEEEPS6_NSA_18transform_iteratorI7is_evenIxESF_NSA_11use_defaultESK_EENS0_5tupleIJSF_SF_EEENSM_IJSG_SG_EEES6_PlJS6_EEE10hipError_tPvRmT3_T4_T5_T6_T7_T9_mT8_P12ihipStream_tbDpT10_ENKUlT_T0_E_clISt17integral_constantIbLb0EES18_IbLb1EEEEDaS14_S15_EUlS14_E_NS1_11comp_targetILNS1_3genE10ELNS1_11target_archE1200ELNS1_3gpuE4ELNS1_3repE0EEENS1_30default_config_static_selectorELNS0_4arch9wavefront6targetE1EEEvT1_ ; -- Begin function _ZN7rocprim17ROCPRIM_400000_NS6detail17trampoline_kernelINS0_14default_configENS1_25partition_config_selectorILNS1_17partition_subalgoE1ExNS0_10empty_typeEbEEZZNS1_14partition_implILS5_1ELb0ES3_jN6thrust23THRUST_200600_302600_NS6detail15normal_iteratorINSA_10device_ptrIxEEEEPS6_NSA_18transform_iteratorI7is_evenIxESF_NSA_11use_defaultESK_EENS0_5tupleIJSF_SF_EEENSM_IJSG_SG_EEES6_PlJS6_EEE10hipError_tPvRmT3_T4_T5_T6_T7_T9_mT8_P12ihipStream_tbDpT10_ENKUlT_T0_E_clISt17integral_constantIbLb0EES18_IbLb1EEEEDaS14_S15_EUlS14_E_NS1_11comp_targetILNS1_3genE10ELNS1_11target_archE1200ELNS1_3gpuE4ELNS1_3repE0EEENS1_30default_config_static_selectorELNS0_4arch9wavefront6targetE1EEEvT1_
	.globl	_ZN7rocprim17ROCPRIM_400000_NS6detail17trampoline_kernelINS0_14default_configENS1_25partition_config_selectorILNS1_17partition_subalgoE1ExNS0_10empty_typeEbEEZZNS1_14partition_implILS5_1ELb0ES3_jN6thrust23THRUST_200600_302600_NS6detail15normal_iteratorINSA_10device_ptrIxEEEEPS6_NSA_18transform_iteratorI7is_evenIxESF_NSA_11use_defaultESK_EENS0_5tupleIJSF_SF_EEENSM_IJSG_SG_EEES6_PlJS6_EEE10hipError_tPvRmT3_T4_T5_T6_T7_T9_mT8_P12ihipStream_tbDpT10_ENKUlT_T0_E_clISt17integral_constantIbLb0EES18_IbLb1EEEEDaS14_S15_EUlS14_E_NS1_11comp_targetILNS1_3genE10ELNS1_11target_archE1200ELNS1_3gpuE4ELNS1_3repE0EEENS1_30default_config_static_selectorELNS0_4arch9wavefront6targetE1EEEvT1_
	.p2align	8
	.type	_ZN7rocprim17ROCPRIM_400000_NS6detail17trampoline_kernelINS0_14default_configENS1_25partition_config_selectorILNS1_17partition_subalgoE1ExNS0_10empty_typeEbEEZZNS1_14partition_implILS5_1ELb0ES3_jN6thrust23THRUST_200600_302600_NS6detail15normal_iteratorINSA_10device_ptrIxEEEEPS6_NSA_18transform_iteratorI7is_evenIxESF_NSA_11use_defaultESK_EENS0_5tupleIJSF_SF_EEENSM_IJSG_SG_EEES6_PlJS6_EEE10hipError_tPvRmT3_T4_T5_T6_T7_T9_mT8_P12ihipStream_tbDpT10_ENKUlT_T0_E_clISt17integral_constantIbLb0EES18_IbLb1EEEEDaS14_S15_EUlS14_E_NS1_11comp_targetILNS1_3genE10ELNS1_11target_archE1200ELNS1_3gpuE4ELNS1_3repE0EEENS1_30default_config_static_selectorELNS0_4arch9wavefront6targetE1EEEvT1_,@function
_ZN7rocprim17ROCPRIM_400000_NS6detail17trampoline_kernelINS0_14default_configENS1_25partition_config_selectorILNS1_17partition_subalgoE1ExNS0_10empty_typeEbEEZZNS1_14partition_implILS5_1ELb0ES3_jN6thrust23THRUST_200600_302600_NS6detail15normal_iteratorINSA_10device_ptrIxEEEEPS6_NSA_18transform_iteratorI7is_evenIxESF_NSA_11use_defaultESK_EENS0_5tupleIJSF_SF_EEENSM_IJSG_SG_EEES6_PlJS6_EEE10hipError_tPvRmT3_T4_T5_T6_T7_T9_mT8_P12ihipStream_tbDpT10_ENKUlT_T0_E_clISt17integral_constantIbLb0EES18_IbLb1EEEEDaS14_S15_EUlS14_E_NS1_11comp_targetILNS1_3genE10ELNS1_11target_archE1200ELNS1_3gpuE4ELNS1_3repE0EEENS1_30default_config_static_selectorELNS0_4arch9wavefront6targetE1EEEvT1_: ; @_ZN7rocprim17ROCPRIM_400000_NS6detail17trampoline_kernelINS0_14default_configENS1_25partition_config_selectorILNS1_17partition_subalgoE1ExNS0_10empty_typeEbEEZZNS1_14partition_implILS5_1ELb0ES3_jN6thrust23THRUST_200600_302600_NS6detail15normal_iteratorINSA_10device_ptrIxEEEEPS6_NSA_18transform_iteratorI7is_evenIxESF_NSA_11use_defaultESK_EENS0_5tupleIJSF_SF_EEENSM_IJSG_SG_EEES6_PlJS6_EEE10hipError_tPvRmT3_T4_T5_T6_T7_T9_mT8_P12ihipStream_tbDpT10_ENKUlT_T0_E_clISt17integral_constantIbLb0EES18_IbLb1EEEEDaS14_S15_EUlS14_E_NS1_11comp_targetILNS1_3genE10ELNS1_11target_archE1200ELNS1_3gpuE4ELNS1_3repE0EEENS1_30default_config_static_selectorELNS0_4arch9wavefront6targetE1EEEvT1_
; %bb.0:
	.section	.rodata,"a",@progbits
	.p2align	6, 0x0
	.amdhsa_kernel _ZN7rocprim17ROCPRIM_400000_NS6detail17trampoline_kernelINS0_14default_configENS1_25partition_config_selectorILNS1_17partition_subalgoE1ExNS0_10empty_typeEbEEZZNS1_14partition_implILS5_1ELb0ES3_jN6thrust23THRUST_200600_302600_NS6detail15normal_iteratorINSA_10device_ptrIxEEEEPS6_NSA_18transform_iteratorI7is_evenIxESF_NSA_11use_defaultESK_EENS0_5tupleIJSF_SF_EEENSM_IJSG_SG_EEES6_PlJS6_EEE10hipError_tPvRmT3_T4_T5_T6_T7_T9_mT8_P12ihipStream_tbDpT10_ENKUlT_T0_E_clISt17integral_constantIbLb0EES18_IbLb1EEEEDaS14_S15_EUlS14_E_NS1_11comp_targetILNS1_3genE10ELNS1_11target_archE1200ELNS1_3gpuE4ELNS1_3repE0EEENS1_30default_config_static_selectorELNS0_4arch9wavefront6targetE1EEEvT1_
		.amdhsa_group_segment_fixed_size 0
		.amdhsa_private_segment_fixed_size 0
		.amdhsa_kernarg_size 144
		.amdhsa_user_sgpr_count 6
		.amdhsa_user_sgpr_private_segment_buffer 1
		.amdhsa_user_sgpr_dispatch_ptr 0
		.amdhsa_user_sgpr_queue_ptr 0
		.amdhsa_user_sgpr_kernarg_segment_ptr 1
		.amdhsa_user_sgpr_dispatch_id 0
		.amdhsa_user_sgpr_flat_scratch_init 0
		.amdhsa_user_sgpr_kernarg_preload_length 0
		.amdhsa_user_sgpr_kernarg_preload_offset 0
		.amdhsa_user_sgpr_private_segment_size 0
		.amdhsa_uses_dynamic_stack 0
		.amdhsa_system_sgpr_private_segment_wavefront_offset 0
		.amdhsa_system_sgpr_workgroup_id_x 1
		.amdhsa_system_sgpr_workgroup_id_y 0
		.amdhsa_system_sgpr_workgroup_id_z 0
		.amdhsa_system_sgpr_workgroup_info 0
		.amdhsa_system_vgpr_workitem_id 0
		.amdhsa_next_free_vgpr 1
		.amdhsa_next_free_sgpr 0
		.amdhsa_accum_offset 4
		.amdhsa_reserve_vcc 0
		.amdhsa_reserve_flat_scratch 0
		.amdhsa_float_round_mode_32 0
		.amdhsa_float_round_mode_16_64 0
		.amdhsa_float_denorm_mode_32 3
		.amdhsa_float_denorm_mode_16_64 3
		.amdhsa_dx10_clamp 1
		.amdhsa_ieee_mode 1
		.amdhsa_fp16_overflow 0
		.amdhsa_tg_split 0
		.amdhsa_exception_fp_ieee_invalid_op 0
		.amdhsa_exception_fp_denorm_src 0
		.amdhsa_exception_fp_ieee_div_zero 0
		.amdhsa_exception_fp_ieee_overflow 0
		.amdhsa_exception_fp_ieee_underflow 0
		.amdhsa_exception_fp_ieee_inexact 0
		.amdhsa_exception_int_div_zero 0
	.end_amdhsa_kernel
	.section	.text._ZN7rocprim17ROCPRIM_400000_NS6detail17trampoline_kernelINS0_14default_configENS1_25partition_config_selectorILNS1_17partition_subalgoE1ExNS0_10empty_typeEbEEZZNS1_14partition_implILS5_1ELb0ES3_jN6thrust23THRUST_200600_302600_NS6detail15normal_iteratorINSA_10device_ptrIxEEEEPS6_NSA_18transform_iteratorI7is_evenIxESF_NSA_11use_defaultESK_EENS0_5tupleIJSF_SF_EEENSM_IJSG_SG_EEES6_PlJS6_EEE10hipError_tPvRmT3_T4_T5_T6_T7_T9_mT8_P12ihipStream_tbDpT10_ENKUlT_T0_E_clISt17integral_constantIbLb0EES18_IbLb1EEEEDaS14_S15_EUlS14_E_NS1_11comp_targetILNS1_3genE10ELNS1_11target_archE1200ELNS1_3gpuE4ELNS1_3repE0EEENS1_30default_config_static_selectorELNS0_4arch9wavefront6targetE1EEEvT1_,"axG",@progbits,_ZN7rocprim17ROCPRIM_400000_NS6detail17trampoline_kernelINS0_14default_configENS1_25partition_config_selectorILNS1_17partition_subalgoE1ExNS0_10empty_typeEbEEZZNS1_14partition_implILS5_1ELb0ES3_jN6thrust23THRUST_200600_302600_NS6detail15normal_iteratorINSA_10device_ptrIxEEEEPS6_NSA_18transform_iteratorI7is_evenIxESF_NSA_11use_defaultESK_EENS0_5tupleIJSF_SF_EEENSM_IJSG_SG_EEES6_PlJS6_EEE10hipError_tPvRmT3_T4_T5_T6_T7_T9_mT8_P12ihipStream_tbDpT10_ENKUlT_T0_E_clISt17integral_constantIbLb0EES18_IbLb1EEEEDaS14_S15_EUlS14_E_NS1_11comp_targetILNS1_3genE10ELNS1_11target_archE1200ELNS1_3gpuE4ELNS1_3repE0EEENS1_30default_config_static_selectorELNS0_4arch9wavefront6targetE1EEEvT1_,comdat
.Lfunc_end414:
	.size	_ZN7rocprim17ROCPRIM_400000_NS6detail17trampoline_kernelINS0_14default_configENS1_25partition_config_selectorILNS1_17partition_subalgoE1ExNS0_10empty_typeEbEEZZNS1_14partition_implILS5_1ELb0ES3_jN6thrust23THRUST_200600_302600_NS6detail15normal_iteratorINSA_10device_ptrIxEEEEPS6_NSA_18transform_iteratorI7is_evenIxESF_NSA_11use_defaultESK_EENS0_5tupleIJSF_SF_EEENSM_IJSG_SG_EEES6_PlJS6_EEE10hipError_tPvRmT3_T4_T5_T6_T7_T9_mT8_P12ihipStream_tbDpT10_ENKUlT_T0_E_clISt17integral_constantIbLb0EES18_IbLb1EEEEDaS14_S15_EUlS14_E_NS1_11comp_targetILNS1_3genE10ELNS1_11target_archE1200ELNS1_3gpuE4ELNS1_3repE0EEENS1_30default_config_static_selectorELNS0_4arch9wavefront6targetE1EEEvT1_, .Lfunc_end414-_ZN7rocprim17ROCPRIM_400000_NS6detail17trampoline_kernelINS0_14default_configENS1_25partition_config_selectorILNS1_17partition_subalgoE1ExNS0_10empty_typeEbEEZZNS1_14partition_implILS5_1ELb0ES3_jN6thrust23THRUST_200600_302600_NS6detail15normal_iteratorINSA_10device_ptrIxEEEEPS6_NSA_18transform_iteratorI7is_evenIxESF_NSA_11use_defaultESK_EENS0_5tupleIJSF_SF_EEENSM_IJSG_SG_EEES6_PlJS6_EEE10hipError_tPvRmT3_T4_T5_T6_T7_T9_mT8_P12ihipStream_tbDpT10_ENKUlT_T0_E_clISt17integral_constantIbLb0EES18_IbLb1EEEEDaS14_S15_EUlS14_E_NS1_11comp_targetILNS1_3genE10ELNS1_11target_archE1200ELNS1_3gpuE4ELNS1_3repE0EEENS1_30default_config_static_selectorELNS0_4arch9wavefront6targetE1EEEvT1_
                                        ; -- End function
	.section	.AMDGPU.csdata,"",@progbits
; Kernel info:
; codeLenInByte = 0
; NumSgprs: 4
; NumVgprs: 0
; NumAgprs: 0
; TotalNumVgprs: 0
; ScratchSize: 0
; MemoryBound: 0
; FloatMode: 240
; IeeeMode: 1
; LDSByteSize: 0 bytes/workgroup (compile time only)
; SGPRBlocks: 0
; VGPRBlocks: 0
; NumSGPRsForWavesPerEU: 4
; NumVGPRsForWavesPerEU: 1
; AccumOffset: 4
; Occupancy: 8
; WaveLimiterHint : 0
; COMPUTE_PGM_RSRC2:SCRATCH_EN: 0
; COMPUTE_PGM_RSRC2:USER_SGPR: 6
; COMPUTE_PGM_RSRC2:TRAP_HANDLER: 0
; COMPUTE_PGM_RSRC2:TGID_X_EN: 1
; COMPUTE_PGM_RSRC2:TGID_Y_EN: 0
; COMPUTE_PGM_RSRC2:TGID_Z_EN: 0
; COMPUTE_PGM_RSRC2:TIDIG_COMP_CNT: 0
; COMPUTE_PGM_RSRC3_GFX90A:ACCUM_OFFSET: 0
; COMPUTE_PGM_RSRC3_GFX90A:TG_SPLIT: 0
	.section	.text._ZN7rocprim17ROCPRIM_400000_NS6detail17trampoline_kernelINS0_14default_configENS1_25partition_config_selectorILNS1_17partition_subalgoE1ExNS0_10empty_typeEbEEZZNS1_14partition_implILS5_1ELb0ES3_jN6thrust23THRUST_200600_302600_NS6detail15normal_iteratorINSA_10device_ptrIxEEEEPS6_NSA_18transform_iteratorI7is_evenIxESF_NSA_11use_defaultESK_EENS0_5tupleIJSF_SF_EEENSM_IJSG_SG_EEES6_PlJS6_EEE10hipError_tPvRmT3_T4_T5_T6_T7_T9_mT8_P12ihipStream_tbDpT10_ENKUlT_T0_E_clISt17integral_constantIbLb0EES18_IbLb1EEEEDaS14_S15_EUlS14_E_NS1_11comp_targetILNS1_3genE9ELNS1_11target_archE1100ELNS1_3gpuE3ELNS1_3repE0EEENS1_30default_config_static_selectorELNS0_4arch9wavefront6targetE1EEEvT1_,"axG",@progbits,_ZN7rocprim17ROCPRIM_400000_NS6detail17trampoline_kernelINS0_14default_configENS1_25partition_config_selectorILNS1_17partition_subalgoE1ExNS0_10empty_typeEbEEZZNS1_14partition_implILS5_1ELb0ES3_jN6thrust23THRUST_200600_302600_NS6detail15normal_iteratorINSA_10device_ptrIxEEEEPS6_NSA_18transform_iteratorI7is_evenIxESF_NSA_11use_defaultESK_EENS0_5tupleIJSF_SF_EEENSM_IJSG_SG_EEES6_PlJS6_EEE10hipError_tPvRmT3_T4_T5_T6_T7_T9_mT8_P12ihipStream_tbDpT10_ENKUlT_T0_E_clISt17integral_constantIbLb0EES18_IbLb1EEEEDaS14_S15_EUlS14_E_NS1_11comp_targetILNS1_3genE9ELNS1_11target_archE1100ELNS1_3gpuE3ELNS1_3repE0EEENS1_30default_config_static_selectorELNS0_4arch9wavefront6targetE1EEEvT1_,comdat
	.protected	_ZN7rocprim17ROCPRIM_400000_NS6detail17trampoline_kernelINS0_14default_configENS1_25partition_config_selectorILNS1_17partition_subalgoE1ExNS0_10empty_typeEbEEZZNS1_14partition_implILS5_1ELb0ES3_jN6thrust23THRUST_200600_302600_NS6detail15normal_iteratorINSA_10device_ptrIxEEEEPS6_NSA_18transform_iteratorI7is_evenIxESF_NSA_11use_defaultESK_EENS0_5tupleIJSF_SF_EEENSM_IJSG_SG_EEES6_PlJS6_EEE10hipError_tPvRmT3_T4_T5_T6_T7_T9_mT8_P12ihipStream_tbDpT10_ENKUlT_T0_E_clISt17integral_constantIbLb0EES18_IbLb1EEEEDaS14_S15_EUlS14_E_NS1_11comp_targetILNS1_3genE9ELNS1_11target_archE1100ELNS1_3gpuE3ELNS1_3repE0EEENS1_30default_config_static_selectorELNS0_4arch9wavefront6targetE1EEEvT1_ ; -- Begin function _ZN7rocprim17ROCPRIM_400000_NS6detail17trampoline_kernelINS0_14default_configENS1_25partition_config_selectorILNS1_17partition_subalgoE1ExNS0_10empty_typeEbEEZZNS1_14partition_implILS5_1ELb0ES3_jN6thrust23THRUST_200600_302600_NS6detail15normal_iteratorINSA_10device_ptrIxEEEEPS6_NSA_18transform_iteratorI7is_evenIxESF_NSA_11use_defaultESK_EENS0_5tupleIJSF_SF_EEENSM_IJSG_SG_EEES6_PlJS6_EEE10hipError_tPvRmT3_T4_T5_T6_T7_T9_mT8_P12ihipStream_tbDpT10_ENKUlT_T0_E_clISt17integral_constantIbLb0EES18_IbLb1EEEEDaS14_S15_EUlS14_E_NS1_11comp_targetILNS1_3genE9ELNS1_11target_archE1100ELNS1_3gpuE3ELNS1_3repE0EEENS1_30default_config_static_selectorELNS0_4arch9wavefront6targetE1EEEvT1_
	.globl	_ZN7rocprim17ROCPRIM_400000_NS6detail17trampoline_kernelINS0_14default_configENS1_25partition_config_selectorILNS1_17partition_subalgoE1ExNS0_10empty_typeEbEEZZNS1_14partition_implILS5_1ELb0ES3_jN6thrust23THRUST_200600_302600_NS6detail15normal_iteratorINSA_10device_ptrIxEEEEPS6_NSA_18transform_iteratorI7is_evenIxESF_NSA_11use_defaultESK_EENS0_5tupleIJSF_SF_EEENSM_IJSG_SG_EEES6_PlJS6_EEE10hipError_tPvRmT3_T4_T5_T6_T7_T9_mT8_P12ihipStream_tbDpT10_ENKUlT_T0_E_clISt17integral_constantIbLb0EES18_IbLb1EEEEDaS14_S15_EUlS14_E_NS1_11comp_targetILNS1_3genE9ELNS1_11target_archE1100ELNS1_3gpuE3ELNS1_3repE0EEENS1_30default_config_static_selectorELNS0_4arch9wavefront6targetE1EEEvT1_
	.p2align	8
	.type	_ZN7rocprim17ROCPRIM_400000_NS6detail17trampoline_kernelINS0_14default_configENS1_25partition_config_selectorILNS1_17partition_subalgoE1ExNS0_10empty_typeEbEEZZNS1_14partition_implILS5_1ELb0ES3_jN6thrust23THRUST_200600_302600_NS6detail15normal_iteratorINSA_10device_ptrIxEEEEPS6_NSA_18transform_iteratorI7is_evenIxESF_NSA_11use_defaultESK_EENS0_5tupleIJSF_SF_EEENSM_IJSG_SG_EEES6_PlJS6_EEE10hipError_tPvRmT3_T4_T5_T6_T7_T9_mT8_P12ihipStream_tbDpT10_ENKUlT_T0_E_clISt17integral_constantIbLb0EES18_IbLb1EEEEDaS14_S15_EUlS14_E_NS1_11comp_targetILNS1_3genE9ELNS1_11target_archE1100ELNS1_3gpuE3ELNS1_3repE0EEENS1_30default_config_static_selectorELNS0_4arch9wavefront6targetE1EEEvT1_,@function
_ZN7rocprim17ROCPRIM_400000_NS6detail17trampoline_kernelINS0_14default_configENS1_25partition_config_selectorILNS1_17partition_subalgoE1ExNS0_10empty_typeEbEEZZNS1_14partition_implILS5_1ELb0ES3_jN6thrust23THRUST_200600_302600_NS6detail15normal_iteratorINSA_10device_ptrIxEEEEPS6_NSA_18transform_iteratorI7is_evenIxESF_NSA_11use_defaultESK_EENS0_5tupleIJSF_SF_EEENSM_IJSG_SG_EEES6_PlJS6_EEE10hipError_tPvRmT3_T4_T5_T6_T7_T9_mT8_P12ihipStream_tbDpT10_ENKUlT_T0_E_clISt17integral_constantIbLb0EES18_IbLb1EEEEDaS14_S15_EUlS14_E_NS1_11comp_targetILNS1_3genE9ELNS1_11target_archE1100ELNS1_3gpuE3ELNS1_3repE0EEENS1_30default_config_static_selectorELNS0_4arch9wavefront6targetE1EEEvT1_: ; @_ZN7rocprim17ROCPRIM_400000_NS6detail17trampoline_kernelINS0_14default_configENS1_25partition_config_selectorILNS1_17partition_subalgoE1ExNS0_10empty_typeEbEEZZNS1_14partition_implILS5_1ELb0ES3_jN6thrust23THRUST_200600_302600_NS6detail15normal_iteratorINSA_10device_ptrIxEEEEPS6_NSA_18transform_iteratorI7is_evenIxESF_NSA_11use_defaultESK_EENS0_5tupleIJSF_SF_EEENSM_IJSG_SG_EEES6_PlJS6_EEE10hipError_tPvRmT3_T4_T5_T6_T7_T9_mT8_P12ihipStream_tbDpT10_ENKUlT_T0_E_clISt17integral_constantIbLb0EES18_IbLb1EEEEDaS14_S15_EUlS14_E_NS1_11comp_targetILNS1_3genE9ELNS1_11target_archE1100ELNS1_3gpuE3ELNS1_3repE0EEENS1_30default_config_static_selectorELNS0_4arch9wavefront6targetE1EEEvT1_
; %bb.0:
	.section	.rodata,"a",@progbits
	.p2align	6, 0x0
	.amdhsa_kernel _ZN7rocprim17ROCPRIM_400000_NS6detail17trampoline_kernelINS0_14default_configENS1_25partition_config_selectorILNS1_17partition_subalgoE1ExNS0_10empty_typeEbEEZZNS1_14partition_implILS5_1ELb0ES3_jN6thrust23THRUST_200600_302600_NS6detail15normal_iteratorINSA_10device_ptrIxEEEEPS6_NSA_18transform_iteratorI7is_evenIxESF_NSA_11use_defaultESK_EENS0_5tupleIJSF_SF_EEENSM_IJSG_SG_EEES6_PlJS6_EEE10hipError_tPvRmT3_T4_T5_T6_T7_T9_mT8_P12ihipStream_tbDpT10_ENKUlT_T0_E_clISt17integral_constantIbLb0EES18_IbLb1EEEEDaS14_S15_EUlS14_E_NS1_11comp_targetILNS1_3genE9ELNS1_11target_archE1100ELNS1_3gpuE3ELNS1_3repE0EEENS1_30default_config_static_selectorELNS0_4arch9wavefront6targetE1EEEvT1_
		.amdhsa_group_segment_fixed_size 0
		.amdhsa_private_segment_fixed_size 0
		.amdhsa_kernarg_size 144
		.amdhsa_user_sgpr_count 6
		.amdhsa_user_sgpr_private_segment_buffer 1
		.amdhsa_user_sgpr_dispatch_ptr 0
		.amdhsa_user_sgpr_queue_ptr 0
		.amdhsa_user_sgpr_kernarg_segment_ptr 1
		.amdhsa_user_sgpr_dispatch_id 0
		.amdhsa_user_sgpr_flat_scratch_init 0
		.amdhsa_user_sgpr_kernarg_preload_length 0
		.amdhsa_user_sgpr_kernarg_preload_offset 0
		.amdhsa_user_sgpr_private_segment_size 0
		.amdhsa_uses_dynamic_stack 0
		.amdhsa_system_sgpr_private_segment_wavefront_offset 0
		.amdhsa_system_sgpr_workgroup_id_x 1
		.amdhsa_system_sgpr_workgroup_id_y 0
		.amdhsa_system_sgpr_workgroup_id_z 0
		.amdhsa_system_sgpr_workgroup_info 0
		.amdhsa_system_vgpr_workitem_id 0
		.amdhsa_next_free_vgpr 1
		.amdhsa_next_free_sgpr 0
		.amdhsa_accum_offset 4
		.amdhsa_reserve_vcc 0
		.amdhsa_reserve_flat_scratch 0
		.amdhsa_float_round_mode_32 0
		.amdhsa_float_round_mode_16_64 0
		.amdhsa_float_denorm_mode_32 3
		.amdhsa_float_denorm_mode_16_64 3
		.amdhsa_dx10_clamp 1
		.amdhsa_ieee_mode 1
		.amdhsa_fp16_overflow 0
		.amdhsa_tg_split 0
		.amdhsa_exception_fp_ieee_invalid_op 0
		.amdhsa_exception_fp_denorm_src 0
		.amdhsa_exception_fp_ieee_div_zero 0
		.amdhsa_exception_fp_ieee_overflow 0
		.amdhsa_exception_fp_ieee_underflow 0
		.amdhsa_exception_fp_ieee_inexact 0
		.amdhsa_exception_int_div_zero 0
	.end_amdhsa_kernel
	.section	.text._ZN7rocprim17ROCPRIM_400000_NS6detail17trampoline_kernelINS0_14default_configENS1_25partition_config_selectorILNS1_17partition_subalgoE1ExNS0_10empty_typeEbEEZZNS1_14partition_implILS5_1ELb0ES3_jN6thrust23THRUST_200600_302600_NS6detail15normal_iteratorINSA_10device_ptrIxEEEEPS6_NSA_18transform_iteratorI7is_evenIxESF_NSA_11use_defaultESK_EENS0_5tupleIJSF_SF_EEENSM_IJSG_SG_EEES6_PlJS6_EEE10hipError_tPvRmT3_T4_T5_T6_T7_T9_mT8_P12ihipStream_tbDpT10_ENKUlT_T0_E_clISt17integral_constantIbLb0EES18_IbLb1EEEEDaS14_S15_EUlS14_E_NS1_11comp_targetILNS1_3genE9ELNS1_11target_archE1100ELNS1_3gpuE3ELNS1_3repE0EEENS1_30default_config_static_selectorELNS0_4arch9wavefront6targetE1EEEvT1_,"axG",@progbits,_ZN7rocprim17ROCPRIM_400000_NS6detail17trampoline_kernelINS0_14default_configENS1_25partition_config_selectorILNS1_17partition_subalgoE1ExNS0_10empty_typeEbEEZZNS1_14partition_implILS5_1ELb0ES3_jN6thrust23THRUST_200600_302600_NS6detail15normal_iteratorINSA_10device_ptrIxEEEEPS6_NSA_18transform_iteratorI7is_evenIxESF_NSA_11use_defaultESK_EENS0_5tupleIJSF_SF_EEENSM_IJSG_SG_EEES6_PlJS6_EEE10hipError_tPvRmT3_T4_T5_T6_T7_T9_mT8_P12ihipStream_tbDpT10_ENKUlT_T0_E_clISt17integral_constantIbLb0EES18_IbLb1EEEEDaS14_S15_EUlS14_E_NS1_11comp_targetILNS1_3genE9ELNS1_11target_archE1100ELNS1_3gpuE3ELNS1_3repE0EEENS1_30default_config_static_selectorELNS0_4arch9wavefront6targetE1EEEvT1_,comdat
.Lfunc_end415:
	.size	_ZN7rocprim17ROCPRIM_400000_NS6detail17trampoline_kernelINS0_14default_configENS1_25partition_config_selectorILNS1_17partition_subalgoE1ExNS0_10empty_typeEbEEZZNS1_14partition_implILS5_1ELb0ES3_jN6thrust23THRUST_200600_302600_NS6detail15normal_iteratorINSA_10device_ptrIxEEEEPS6_NSA_18transform_iteratorI7is_evenIxESF_NSA_11use_defaultESK_EENS0_5tupleIJSF_SF_EEENSM_IJSG_SG_EEES6_PlJS6_EEE10hipError_tPvRmT3_T4_T5_T6_T7_T9_mT8_P12ihipStream_tbDpT10_ENKUlT_T0_E_clISt17integral_constantIbLb0EES18_IbLb1EEEEDaS14_S15_EUlS14_E_NS1_11comp_targetILNS1_3genE9ELNS1_11target_archE1100ELNS1_3gpuE3ELNS1_3repE0EEENS1_30default_config_static_selectorELNS0_4arch9wavefront6targetE1EEEvT1_, .Lfunc_end415-_ZN7rocprim17ROCPRIM_400000_NS6detail17trampoline_kernelINS0_14default_configENS1_25partition_config_selectorILNS1_17partition_subalgoE1ExNS0_10empty_typeEbEEZZNS1_14partition_implILS5_1ELb0ES3_jN6thrust23THRUST_200600_302600_NS6detail15normal_iteratorINSA_10device_ptrIxEEEEPS6_NSA_18transform_iteratorI7is_evenIxESF_NSA_11use_defaultESK_EENS0_5tupleIJSF_SF_EEENSM_IJSG_SG_EEES6_PlJS6_EEE10hipError_tPvRmT3_T4_T5_T6_T7_T9_mT8_P12ihipStream_tbDpT10_ENKUlT_T0_E_clISt17integral_constantIbLb0EES18_IbLb1EEEEDaS14_S15_EUlS14_E_NS1_11comp_targetILNS1_3genE9ELNS1_11target_archE1100ELNS1_3gpuE3ELNS1_3repE0EEENS1_30default_config_static_selectorELNS0_4arch9wavefront6targetE1EEEvT1_
                                        ; -- End function
	.section	.AMDGPU.csdata,"",@progbits
; Kernel info:
; codeLenInByte = 0
; NumSgprs: 4
; NumVgprs: 0
; NumAgprs: 0
; TotalNumVgprs: 0
; ScratchSize: 0
; MemoryBound: 0
; FloatMode: 240
; IeeeMode: 1
; LDSByteSize: 0 bytes/workgroup (compile time only)
; SGPRBlocks: 0
; VGPRBlocks: 0
; NumSGPRsForWavesPerEU: 4
; NumVGPRsForWavesPerEU: 1
; AccumOffset: 4
; Occupancy: 8
; WaveLimiterHint : 0
; COMPUTE_PGM_RSRC2:SCRATCH_EN: 0
; COMPUTE_PGM_RSRC2:USER_SGPR: 6
; COMPUTE_PGM_RSRC2:TRAP_HANDLER: 0
; COMPUTE_PGM_RSRC2:TGID_X_EN: 1
; COMPUTE_PGM_RSRC2:TGID_Y_EN: 0
; COMPUTE_PGM_RSRC2:TGID_Z_EN: 0
; COMPUTE_PGM_RSRC2:TIDIG_COMP_CNT: 0
; COMPUTE_PGM_RSRC3_GFX90A:ACCUM_OFFSET: 0
; COMPUTE_PGM_RSRC3_GFX90A:TG_SPLIT: 0
	.section	.text._ZN7rocprim17ROCPRIM_400000_NS6detail17trampoline_kernelINS0_14default_configENS1_25partition_config_selectorILNS1_17partition_subalgoE1ExNS0_10empty_typeEbEEZZNS1_14partition_implILS5_1ELb0ES3_jN6thrust23THRUST_200600_302600_NS6detail15normal_iteratorINSA_10device_ptrIxEEEEPS6_NSA_18transform_iteratorI7is_evenIxESF_NSA_11use_defaultESK_EENS0_5tupleIJSF_SF_EEENSM_IJSG_SG_EEES6_PlJS6_EEE10hipError_tPvRmT3_T4_T5_T6_T7_T9_mT8_P12ihipStream_tbDpT10_ENKUlT_T0_E_clISt17integral_constantIbLb0EES18_IbLb1EEEEDaS14_S15_EUlS14_E_NS1_11comp_targetILNS1_3genE8ELNS1_11target_archE1030ELNS1_3gpuE2ELNS1_3repE0EEENS1_30default_config_static_selectorELNS0_4arch9wavefront6targetE1EEEvT1_,"axG",@progbits,_ZN7rocprim17ROCPRIM_400000_NS6detail17trampoline_kernelINS0_14default_configENS1_25partition_config_selectorILNS1_17partition_subalgoE1ExNS0_10empty_typeEbEEZZNS1_14partition_implILS5_1ELb0ES3_jN6thrust23THRUST_200600_302600_NS6detail15normal_iteratorINSA_10device_ptrIxEEEEPS6_NSA_18transform_iteratorI7is_evenIxESF_NSA_11use_defaultESK_EENS0_5tupleIJSF_SF_EEENSM_IJSG_SG_EEES6_PlJS6_EEE10hipError_tPvRmT3_T4_T5_T6_T7_T9_mT8_P12ihipStream_tbDpT10_ENKUlT_T0_E_clISt17integral_constantIbLb0EES18_IbLb1EEEEDaS14_S15_EUlS14_E_NS1_11comp_targetILNS1_3genE8ELNS1_11target_archE1030ELNS1_3gpuE2ELNS1_3repE0EEENS1_30default_config_static_selectorELNS0_4arch9wavefront6targetE1EEEvT1_,comdat
	.protected	_ZN7rocprim17ROCPRIM_400000_NS6detail17trampoline_kernelINS0_14default_configENS1_25partition_config_selectorILNS1_17partition_subalgoE1ExNS0_10empty_typeEbEEZZNS1_14partition_implILS5_1ELb0ES3_jN6thrust23THRUST_200600_302600_NS6detail15normal_iteratorINSA_10device_ptrIxEEEEPS6_NSA_18transform_iteratorI7is_evenIxESF_NSA_11use_defaultESK_EENS0_5tupleIJSF_SF_EEENSM_IJSG_SG_EEES6_PlJS6_EEE10hipError_tPvRmT3_T4_T5_T6_T7_T9_mT8_P12ihipStream_tbDpT10_ENKUlT_T0_E_clISt17integral_constantIbLb0EES18_IbLb1EEEEDaS14_S15_EUlS14_E_NS1_11comp_targetILNS1_3genE8ELNS1_11target_archE1030ELNS1_3gpuE2ELNS1_3repE0EEENS1_30default_config_static_selectorELNS0_4arch9wavefront6targetE1EEEvT1_ ; -- Begin function _ZN7rocprim17ROCPRIM_400000_NS6detail17trampoline_kernelINS0_14default_configENS1_25partition_config_selectorILNS1_17partition_subalgoE1ExNS0_10empty_typeEbEEZZNS1_14partition_implILS5_1ELb0ES3_jN6thrust23THRUST_200600_302600_NS6detail15normal_iteratorINSA_10device_ptrIxEEEEPS6_NSA_18transform_iteratorI7is_evenIxESF_NSA_11use_defaultESK_EENS0_5tupleIJSF_SF_EEENSM_IJSG_SG_EEES6_PlJS6_EEE10hipError_tPvRmT3_T4_T5_T6_T7_T9_mT8_P12ihipStream_tbDpT10_ENKUlT_T0_E_clISt17integral_constantIbLb0EES18_IbLb1EEEEDaS14_S15_EUlS14_E_NS1_11comp_targetILNS1_3genE8ELNS1_11target_archE1030ELNS1_3gpuE2ELNS1_3repE0EEENS1_30default_config_static_selectorELNS0_4arch9wavefront6targetE1EEEvT1_
	.globl	_ZN7rocprim17ROCPRIM_400000_NS6detail17trampoline_kernelINS0_14default_configENS1_25partition_config_selectorILNS1_17partition_subalgoE1ExNS0_10empty_typeEbEEZZNS1_14partition_implILS5_1ELb0ES3_jN6thrust23THRUST_200600_302600_NS6detail15normal_iteratorINSA_10device_ptrIxEEEEPS6_NSA_18transform_iteratorI7is_evenIxESF_NSA_11use_defaultESK_EENS0_5tupleIJSF_SF_EEENSM_IJSG_SG_EEES6_PlJS6_EEE10hipError_tPvRmT3_T4_T5_T6_T7_T9_mT8_P12ihipStream_tbDpT10_ENKUlT_T0_E_clISt17integral_constantIbLb0EES18_IbLb1EEEEDaS14_S15_EUlS14_E_NS1_11comp_targetILNS1_3genE8ELNS1_11target_archE1030ELNS1_3gpuE2ELNS1_3repE0EEENS1_30default_config_static_selectorELNS0_4arch9wavefront6targetE1EEEvT1_
	.p2align	8
	.type	_ZN7rocprim17ROCPRIM_400000_NS6detail17trampoline_kernelINS0_14default_configENS1_25partition_config_selectorILNS1_17partition_subalgoE1ExNS0_10empty_typeEbEEZZNS1_14partition_implILS5_1ELb0ES3_jN6thrust23THRUST_200600_302600_NS6detail15normal_iteratorINSA_10device_ptrIxEEEEPS6_NSA_18transform_iteratorI7is_evenIxESF_NSA_11use_defaultESK_EENS0_5tupleIJSF_SF_EEENSM_IJSG_SG_EEES6_PlJS6_EEE10hipError_tPvRmT3_T4_T5_T6_T7_T9_mT8_P12ihipStream_tbDpT10_ENKUlT_T0_E_clISt17integral_constantIbLb0EES18_IbLb1EEEEDaS14_S15_EUlS14_E_NS1_11comp_targetILNS1_3genE8ELNS1_11target_archE1030ELNS1_3gpuE2ELNS1_3repE0EEENS1_30default_config_static_selectorELNS0_4arch9wavefront6targetE1EEEvT1_,@function
_ZN7rocprim17ROCPRIM_400000_NS6detail17trampoline_kernelINS0_14default_configENS1_25partition_config_selectorILNS1_17partition_subalgoE1ExNS0_10empty_typeEbEEZZNS1_14partition_implILS5_1ELb0ES3_jN6thrust23THRUST_200600_302600_NS6detail15normal_iteratorINSA_10device_ptrIxEEEEPS6_NSA_18transform_iteratorI7is_evenIxESF_NSA_11use_defaultESK_EENS0_5tupleIJSF_SF_EEENSM_IJSG_SG_EEES6_PlJS6_EEE10hipError_tPvRmT3_T4_T5_T6_T7_T9_mT8_P12ihipStream_tbDpT10_ENKUlT_T0_E_clISt17integral_constantIbLb0EES18_IbLb1EEEEDaS14_S15_EUlS14_E_NS1_11comp_targetILNS1_3genE8ELNS1_11target_archE1030ELNS1_3gpuE2ELNS1_3repE0EEENS1_30default_config_static_selectorELNS0_4arch9wavefront6targetE1EEEvT1_: ; @_ZN7rocprim17ROCPRIM_400000_NS6detail17trampoline_kernelINS0_14default_configENS1_25partition_config_selectorILNS1_17partition_subalgoE1ExNS0_10empty_typeEbEEZZNS1_14partition_implILS5_1ELb0ES3_jN6thrust23THRUST_200600_302600_NS6detail15normal_iteratorINSA_10device_ptrIxEEEEPS6_NSA_18transform_iteratorI7is_evenIxESF_NSA_11use_defaultESK_EENS0_5tupleIJSF_SF_EEENSM_IJSG_SG_EEES6_PlJS6_EEE10hipError_tPvRmT3_T4_T5_T6_T7_T9_mT8_P12ihipStream_tbDpT10_ENKUlT_T0_E_clISt17integral_constantIbLb0EES18_IbLb1EEEEDaS14_S15_EUlS14_E_NS1_11comp_targetILNS1_3genE8ELNS1_11target_archE1030ELNS1_3gpuE2ELNS1_3repE0EEENS1_30default_config_static_selectorELNS0_4arch9wavefront6targetE1EEEvT1_
; %bb.0:
	.section	.rodata,"a",@progbits
	.p2align	6, 0x0
	.amdhsa_kernel _ZN7rocprim17ROCPRIM_400000_NS6detail17trampoline_kernelINS0_14default_configENS1_25partition_config_selectorILNS1_17partition_subalgoE1ExNS0_10empty_typeEbEEZZNS1_14partition_implILS5_1ELb0ES3_jN6thrust23THRUST_200600_302600_NS6detail15normal_iteratorINSA_10device_ptrIxEEEEPS6_NSA_18transform_iteratorI7is_evenIxESF_NSA_11use_defaultESK_EENS0_5tupleIJSF_SF_EEENSM_IJSG_SG_EEES6_PlJS6_EEE10hipError_tPvRmT3_T4_T5_T6_T7_T9_mT8_P12ihipStream_tbDpT10_ENKUlT_T0_E_clISt17integral_constantIbLb0EES18_IbLb1EEEEDaS14_S15_EUlS14_E_NS1_11comp_targetILNS1_3genE8ELNS1_11target_archE1030ELNS1_3gpuE2ELNS1_3repE0EEENS1_30default_config_static_selectorELNS0_4arch9wavefront6targetE1EEEvT1_
		.amdhsa_group_segment_fixed_size 0
		.amdhsa_private_segment_fixed_size 0
		.amdhsa_kernarg_size 144
		.amdhsa_user_sgpr_count 6
		.amdhsa_user_sgpr_private_segment_buffer 1
		.amdhsa_user_sgpr_dispatch_ptr 0
		.amdhsa_user_sgpr_queue_ptr 0
		.amdhsa_user_sgpr_kernarg_segment_ptr 1
		.amdhsa_user_sgpr_dispatch_id 0
		.amdhsa_user_sgpr_flat_scratch_init 0
		.amdhsa_user_sgpr_kernarg_preload_length 0
		.amdhsa_user_sgpr_kernarg_preload_offset 0
		.amdhsa_user_sgpr_private_segment_size 0
		.amdhsa_uses_dynamic_stack 0
		.amdhsa_system_sgpr_private_segment_wavefront_offset 0
		.amdhsa_system_sgpr_workgroup_id_x 1
		.amdhsa_system_sgpr_workgroup_id_y 0
		.amdhsa_system_sgpr_workgroup_id_z 0
		.amdhsa_system_sgpr_workgroup_info 0
		.amdhsa_system_vgpr_workitem_id 0
		.amdhsa_next_free_vgpr 1
		.amdhsa_next_free_sgpr 0
		.amdhsa_accum_offset 4
		.amdhsa_reserve_vcc 0
		.amdhsa_reserve_flat_scratch 0
		.amdhsa_float_round_mode_32 0
		.amdhsa_float_round_mode_16_64 0
		.amdhsa_float_denorm_mode_32 3
		.amdhsa_float_denorm_mode_16_64 3
		.amdhsa_dx10_clamp 1
		.amdhsa_ieee_mode 1
		.amdhsa_fp16_overflow 0
		.amdhsa_tg_split 0
		.amdhsa_exception_fp_ieee_invalid_op 0
		.amdhsa_exception_fp_denorm_src 0
		.amdhsa_exception_fp_ieee_div_zero 0
		.amdhsa_exception_fp_ieee_overflow 0
		.amdhsa_exception_fp_ieee_underflow 0
		.amdhsa_exception_fp_ieee_inexact 0
		.amdhsa_exception_int_div_zero 0
	.end_amdhsa_kernel
	.section	.text._ZN7rocprim17ROCPRIM_400000_NS6detail17trampoline_kernelINS0_14default_configENS1_25partition_config_selectorILNS1_17partition_subalgoE1ExNS0_10empty_typeEbEEZZNS1_14partition_implILS5_1ELb0ES3_jN6thrust23THRUST_200600_302600_NS6detail15normal_iteratorINSA_10device_ptrIxEEEEPS6_NSA_18transform_iteratorI7is_evenIxESF_NSA_11use_defaultESK_EENS0_5tupleIJSF_SF_EEENSM_IJSG_SG_EEES6_PlJS6_EEE10hipError_tPvRmT3_T4_T5_T6_T7_T9_mT8_P12ihipStream_tbDpT10_ENKUlT_T0_E_clISt17integral_constantIbLb0EES18_IbLb1EEEEDaS14_S15_EUlS14_E_NS1_11comp_targetILNS1_3genE8ELNS1_11target_archE1030ELNS1_3gpuE2ELNS1_3repE0EEENS1_30default_config_static_selectorELNS0_4arch9wavefront6targetE1EEEvT1_,"axG",@progbits,_ZN7rocprim17ROCPRIM_400000_NS6detail17trampoline_kernelINS0_14default_configENS1_25partition_config_selectorILNS1_17partition_subalgoE1ExNS0_10empty_typeEbEEZZNS1_14partition_implILS5_1ELb0ES3_jN6thrust23THRUST_200600_302600_NS6detail15normal_iteratorINSA_10device_ptrIxEEEEPS6_NSA_18transform_iteratorI7is_evenIxESF_NSA_11use_defaultESK_EENS0_5tupleIJSF_SF_EEENSM_IJSG_SG_EEES6_PlJS6_EEE10hipError_tPvRmT3_T4_T5_T6_T7_T9_mT8_P12ihipStream_tbDpT10_ENKUlT_T0_E_clISt17integral_constantIbLb0EES18_IbLb1EEEEDaS14_S15_EUlS14_E_NS1_11comp_targetILNS1_3genE8ELNS1_11target_archE1030ELNS1_3gpuE2ELNS1_3repE0EEENS1_30default_config_static_selectorELNS0_4arch9wavefront6targetE1EEEvT1_,comdat
.Lfunc_end416:
	.size	_ZN7rocprim17ROCPRIM_400000_NS6detail17trampoline_kernelINS0_14default_configENS1_25partition_config_selectorILNS1_17partition_subalgoE1ExNS0_10empty_typeEbEEZZNS1_14partition_implILS5_1ELb0ES3_jN6thrust23THRUST_200600_302600_NS6detail15normal_iteratorINSA_10device_ptrIxEEEEPS6_NSA_18transform_iteratorI7is_evenIxESF_NSA_11use_defaultESK_EENS0_5tupleIJSF_SF_EEENSM_IJSG_SG_EEES6_PlJS6_EEE10hipError_tPvRmT3_T4_T5_T6_T7_T9_mT8_P12ihipStream_tbDpT10_ENKUlT_T0_E_clISt17integral_constantIbLb0EES18_IbLb1EEEEDaS14_S15_EUlS14_E_NS1_11comp_targetILNS1_3genE8ELNS1_11target_archE1030ELNS1_3gpuE2ELNS1_3repE0EEENS1_30default_config_static_selectorELNS0_4arch9wavefront6targetE1EEEvT1_, .Lfunc_end416-_ZN7rocprim17ROCPRIM_400000_NS6detail17trampoline_kernelINS0_14default_configENS1_25partition_config_selectorILNS1_17partition_subalgoE1ExNS0_10empty_typeEbEEZZNS1_14partition_implILS5_1ELb0ES3_jN6thrust23THRUST_200600_302600_NS6detail15normal_iteratorINSA_10device_ptrIxEEEEPS6_NSA_18transform_iteratorI7is_evenIxESF_NSA_11use_defaultESK_EENS0_5tupleIJSF_SF_EEENSM_IJSG_SG_EEES6_PlJS6_EEE10hipError_tPvRmT3_T4_T5_T6_T7_T9_mT8_P12ihipStream_tbDpT10_ENKUlT_T0_E_clISt17integral_constantIbLb0EES18_IbLb1EEEEDaS14_S15_EUlS14_E_NS1_11comp_targetILNS1_3genE8ELNS1_11target_archE1030ELNS1_3gpuE2ELNS1_3repE0EEENS1_30default_config_static_selectorELNS0_4arch9wavefront6targetE1EEEvT1_
                                        ; -- End function
	.section	.AMDGPU.csdata,"",@progbits
; Kernel info:
; codeLenInByte = 0
; NumSgprs: 4
; NumVgprs: 0
; NumAgprs: 0
; TotalNumVgprs: 0
; ScratchSize: 0
; MemoryBound: 0
; FloatMode: 240
; IeeeMode: 1
; LDSByteSize: 0 bytes/workgroup (compile time only)
; SGPRBlocks: 0
; VGPRBlocks: 0
; NumSGPRsForWavesPerEU: 4
; NumVGPRsForWavesPerEU: 1
; AccumOffset: 4
; Occupancy: 8
; WaveLimiterHint : 0
; COMPUTE_PGM_RSRC2:SCRATCH_EN: 0
; COMPUTE_PGM_RSRC2:USER_SGPR: 6
; COMPUTE_PGM_RSRC2:TRAP_HANDLER: 0
; COMPUTE_PGM_RSRC2:TGID_X_EN: 1
; COMPUTE_PGM_RSRC2:TGID_Y_EN: 0
; COMPUTE_PGM_RSRC2:TGID_Z_EN: 0
; COMPUTE_PGM_RSRC2:TIDIG_COMP_CNT: 0
; COMPUTE_PGM_RSRC3_GFX90A:ACCUM_OFFSET: 0
; COMPUTE_PGM_RSRC3_GFX90A:TG_SPLIT: 0
	.section	.text._ZN7rocprim17ROCPRIM_400000_NS6detail17trampoline_kernelINS0_14default_configENS1_25partition_config_selectorILNS1_17partition_subalgoE1EiNS0_10empty_typeEbEEZZNS1_14partition_implILS5_1ELb0ES3_jN6thrust23THRUST_200600_302600_NS6detail15normal_iteratorINSA_10device_ptrIiEEEEPS6_NSA_18transform_iteratorI7is_evenIiESF_NSA_11use_defaultESK_EENS0_5tupleIJSF_SF_EEENSM_IJSG_SG_EEES6_PlJS6_EEE10hipError_tPvRmT3_T4_T5_T6_T7_T9_mT8_P12ihipStream_tbDpT10_ENKUlT_T0_E_clISt17integral_constantIbLb0EES19_EEDaS14_S15_EUlS14_E_NS1_11comp_targetILNS1_3genE0ELNS1_11target_archE4294967295ELNS1_3gpuE0ELNS1_3repE0EEENS1_30default_config_static_selectorELNS0_4arch9wavefront6targetE1EEEvT1_,"axG",@progbits,_ZN7rocprim17ROCPRIM_400000_NS6detail17trampoline_kernelINS0_14default_configENS1_25partition_config_selectorILNS1_17partition_subalgoE1EiNS0_10empty_typeEbEEZZNS1_14partition_implILS5_1ELb0ES3_jN6thrust23THRUST_200600_302600_NS6detail15normal_iteratorINSA_10device_ptrIiEEEEPS6_NSA_18transform_iteratorI7is_evenIiESF_NSA_11use_defaultESK_EENS0_5tupleIJSF_SF_EEENSM_IJSG_SG_EEES6_PlJS6_EEE10hipError_tPvRmT3_T4_T5_T6_T7_T9_mT8_P12ihipStream_tbDpT10_ENKUlT_T0_E_clISt17integral_constantIbLb0EES19_EEDaS14_S15_EUlS14_E_NS1_11comp_targetILNS1_3genE0ELNS1_11target_archE4294967295ELNS1_3gpuE0ELNS1_3repE0EEENS1_30default_config_static_selectorELNS0_4arch9wavefront6targetE1EEEvT1_,comdat
	.protected	_ZN7rocprim17ROCPRIM_400000_NS6detail17trampoline_kernelINS0_14default_configENS1_25partition_config_selectorILNS1_17partition_subalgoE1EiNS0_10empty_typeEbEEZZNS1_14partition_implILS5_1ELb0ES3_jN6thrust23THRUST_200600_302600_NS6detail15normal_iteratorINSA_10device_ptrIiEEEEPS6_NSA_18transform_iteratorI7is_evenIiESF_NSA_11use_defaultESK_EENS0_5tupleIJSF_SF_EEENSM_IJSG_SG_EEES6_PlJS6_EEE10hipError_tPvRmT3_T4_T5_T6_T7_T9_mT8_P12ihipStream_tbDpT10_ENKUlT_T0_E_clISt17integral_constantIbLb0EES19_EEDaS14_S15_EUlS14_E_NS1_11comp_targetILNS1_3genE0ELNS1_11target_archE4294967295ELNS1_3gpuE0ELNS1_3repE0EEENS1_30default_config_static_selectorELNS0_4arch9wavefront6targetE1EEEvT1_ ; -- Begin function _ZN7rocprim17ROCPRIM_400000_NS6detail17trampoline_kernelINS0_14default_configENS1_25partition_config_selectorILNS1_17partition_subalgoE1EiNS0_10empty_typeEbEEZZNS1_14partition_implILS5_1ELb0ES3_jN6thrust23THRUST_200600_302600_NS6detail15normal_iteratorINSA_10device_ptrIiEEEEPS6_NSA_18transform_iteratorI7is_evenIiESF_NSA_11use_defaultESK_EENS0_5tupleIJSF_SF_EEENSM_IJSG_SG_EEES6_PlJS6_EEE10hipError_tPvRmT3_T4_T5_T6_T7_T9_mT8_P12ihipStream_tbDpT10_ENKUlT_T0_E_clISt17integral_constantIbLb0EES19_EEDaS14_S15_EUlS14_E_NS1_11comp_targetILNS1_3genE0ELNS1_11target_archE4294967295ELNS1_3gpuE0ELNS1_3repE0EEENS1_30default_config_static_selectorELNS0_4arch9wavefront6targetE1EEEvT1_
	.globl	_ZN7rocprim17ROCPRIM_400000_NS6detail17trampoline_kernelINS0_14default_configENS1_25partition_config_selectorILNS1_17partition_subalgoE1EiNS0_10empty_typeEbEEZZNS1_14partition_implILS5_1ELb0ES3_jN6thrust23THRUST_200600_302600_NS6detail15normal_iteratorINSA_10device_ptrIiEEEEPS6_NSA_18transform_iteratorI7is_evenIiESF_NSA_11use_defaultESK_EENS0_5tupleIJSF_SF_EEENSM_IJSG_SG_EEES6_PlJS6_EEE10hipError_tPvRmT3_T4_T5_T6_T7_T9_mT8_P12ihipStream_tbDpT10_ENKUlT_T0_E_clISt17integral_constantIbLb0EES19_EEDaS14_S15_EUlS14_E_NS1_11comp_targetILNS1_3genE0ELNS1_11target_archE4294967295ELNS1_3gpuE0ELNS1_3repE0EEENS1_30default_config_static_selectorELNS0_4arch9wavefront6targetE1EEEvT1_
	.p2align	8
	.type	_ZN7rocprim17ROCPRIM_400000_NS6detail17trampoline_kernelINS0_14default_configENS1_25partition_config_selectorILNS1_17partition_subalgoE1EiNS0_10empty_typeEbEEZZNS1_14partition_implILS5_1ELb0ES3_jN6thrust23THRUST_200600_302600_NS6detail15normal_iteratorINSA_10device_ptrIiEEEEPS6_NSA_18transform_iteratorI7is_evenIiESF_NSA_11use_defaultESK_EENS0_5tupleIJSF_SF_EEENSM_IJSG_SG_EEES6_PlJS6_EEE10hipError_tPvRmT3_T4_T5_T6_T7_T9_mT8_P12ihipStream_tbDpT10_ENKUlT_T0_E_clISt17integral_constantIbLb0EES19_EEDaS14_S15_EUlS14_E_NS1_11comp_targetILNS1_3genE0ELNS1_11target_archE4294967295ELNS1_3gpuE0ELNS1_3repE0EEENS1_30default_config_static_selectorELNS0_4arch9wavefront6targetE1EEEvT1_,@function
_ZN7rocprim17ROCPRIM_400000_NS6detail17trampoline_kernelINS0_14default_configENS1_25partition_config_selectorILNS1_17partition_subalgoE1EiNS0_10empty_typeEbEEZZNS1_14partition_implILS5_1ELb0ES3_jN6thrust23THRUST_200600_302600_NS6detail15normal_iteratorINSA_10device_ptrIiEEEEPS6_NSA_18transform_iteratorI7is_evenIiESF_NSA_11use_defaultESK_EENS0_5tupleIJSF_SF_EEENSM_IJSG_SG_EEES6_PlJS6_EEE10hipError_tPvRmT3_T4_T5_T6_T7_T9_mT8_P12ihipStream_tbDpT10_ENKUlT_T0_E_clISt17integral_constantIbLb0EES19_EEDaS14_S15_EUlS14_E_NS1_11comp_targetILNS1_3genE0ELNS1_11target_archE4294967295ELNS1_3gpuE0ELNS1_3repE0EEENS1_30default_config_static_selectorELNS0_4arch9wavefront6targetE1EEEvT1_: ; @_ZN7rocprim17ROCPRIM_400000_NS6detail17trampoline_kernelINS0_14default_configENS1_25partition_config_selectorILNS1_17partition_subalgoE1EiNS0_10empty_typeEbEEZZNS1_14partition_implILS5_1ELb0ES3_jN6thrust23THRUST_200600_302600_NS6detail15normal_iteratorINSA_10device_ptrIiEEEEPS6_NSA_18transform_iteratorI7is_evenIiESF_NSA_11use_defaultESK_EENS0_5tupleIJSF_SF_EEENSM_IJSG_SG_EEES6_PlJS6_EEE10hipError_tPvRmT3_T4_T5_T6_T7_T9_mT8_P12ihipStream_tbDpT10_ENKUlT_T0_E_clISt17integral_constantIbLb0EES19_EEDaS14_S15_EUlS14_E_NS1_11comp_targetILNS1_3genE0ELNS1_11target_archE4294967295ELNS1_3gpuE0ELNS1_3repE0EEENS1_30default_config_static_selectorELNS0_4arch9wavefront6targetE1EEEvT1_
; %bb.0:
	.section	.rodata,"a",@progbits
	.p2align	6, 0x0
	.amdhsa_kernel _ZN7rocprim17ROCPRIM_400000_NS6detail17trampoline_kernelINS0_14default_configENS1_25partition_config_selectorILNS1_17partition_subalgoE1EiNS0_10empty_typeEbEEZZNS1_14partition_implILS5_1ELb0ES3_jN6thrust23THRUST_200600_302600_NS6detail15normal_iteratorINSA_10device_ptrIiEEEEPS6_NSA_18transform_iteratorI7is_evenIiESF_NSA_11use_defaultESK_EENS0_5tupleIJSF_SF_EEENSM_IJSG_SG_EEES6_PlJS6_EEE10hipError_tPvRmT3_T4_T5_T6_T7_T9_mT8_P12ihipStream_tbDpT10_ENKUlT_T0_E_clISt17integral_constantIbLb0EES19_EEDaS14_S15_EUlS14_E_NS1_11comp_targetILNS1_3genE0ELNS1_11target_archE4294967295ELNS1_3gpuE0ELNS1_3repE0EEENS1_30default_config_static_selectorELNS0_4arch9wavefront6targetE1EEEvT1_
		.amdhsa_group_segment_fixed_size 0
		.amdhsa_private_segment_fixed_size 0
		.amdhsa_kernarg_size 128
		.amdhsa_user_sgpr_count 6
		.amdhsa_user_sgpr_private_segment_buffer 1
		.amdhsa_user_sgpr_dispatch_ptr 0
		.amdhsa_user_sgpr_queue_ptr 0
		.amdhsa_user_sgpr_kernarg_segment_ptr 1
		.amdhsa_user_sgpr_dispatch_id 0
		.amdhsa_user_sgpr_flat_scratch_init 0
		.amdhsa_user_sgpr_kernarg_preload_length 0
		.amdhsa_user_sgpr_kernarg_preload_offset 0
		.amdhsa_user_sgpr_private_segment_size 0
		.amdhsa_uses_dynamic_stack 0
		.amdhsa_system_sgpr_private_segment_wavefront_offset 0
		.amdhsa_system_sgpr_workgroup_id_x 1
		.amdhsa_system_sgpr_workgroup_id_y 0
		.amdhsa_system_sgpr_workgroup_id_z 0
		.amdhsa_system_sgpr_workgroup_info 0
		.amdhsa_system_vgpr_workitem_id 0
		.amdhsa_next_free_vgpr 1
		.amdhsa_next_free_sgpr 0
		.amdhsa_accum_offset 4
		.amdhsa_reserve_vcc 0
		.amdhsa_reserve_flat_scratch 0
		.amdhsa_float_round_mode_32 0
		.amdhsa_float_round_mode_16_64 0
		.amdhsa_float_denorm_mode_32 3
		.amdhsa_float_denorm_mode_16_64 3
		.amdhsa_dx10_clamp 1
		.amdhsa_ieee_mode 1
		.amdhsa_fp16_overflow 0
		.amdhsa_tg_split 0
		.amdhsa_exception_fp_ieee_invalid_op 0
		.amdhsa_exception_fp_denorm_src 0
		.amdhsa_exception_fp_ieee_div_zero 0
		.amdhsa_exception_fp_ieee_overflow 0
		.amdhsa_exception_fp_ieee_underflow 0
		.amdhsa_exception_fp_ieee_inexact 0
		.amdhsa_exception_int_div_zero 0
	.end_amdhsa_kernel
	.section	.text._ZN7rocprim17ROCPRIM_400000_NS6detail17trampoline_kernelINS0_14default_configENS1_25partition_config_selectorILNS1_17partition_subalgoE1EiNS0_10empty_typeEbEEZZNS1_14partition_implILS5_1ELb0ES3_jN6thrust23THRUST_200600_302600_NS6detail15normal_iteratorINSA_10device_ptrIiEEEEPS6_NSA_18transform_iteratorI7is_evenIiESF_NSA_11use_defaultESK_EENS0_5tupleIJSF_SF_EEENSM_IJSG_SG_EEES6_PlJS6_EEE10hipError_tPvRmT3_T4_T5_T6_T7_T9_mT8_P12ihipStream_tbDpT10_ENKUlT_T0_E_clISt17integral_constantIbLb0EES19_EEDaS14_S15_EUlS14_E_NS1_11comp_targetILNS1_3genE0ELNS1_11target_archE4294967295ELNS1_3gpuE0ELNS1_3repE0EEENS1_30default_config_static_selectorELNS0_4arch9wavefront6targetE1EEEvT1_,"axG",@progbits,_ZN7rocprim17ROCPRIM_400000_NS6detail17trampoline_kernelINS0_14default_configENS1_25partition_config_selectorILNS1_17partition_subalgoE1EiNS0_10empty_typeEbEEZZNS1_14partition_implILS5_1ELb0ES3_jN6thrust23THRUST_200600_302600_NS6detail15normal_iteratorINSA_10device_ptrIiEEEEPS6_NSA_18transform_iteratorI7is_evenIiESF_NSA_11use_defaultESK_EENS0_5tupleIJSF_SF_EEENSM_IJSG_SG_EEES6_PlJS6_EEE10hipError_tPvRmT3_T4_T5_T6_T7_T9_mT8_P12ihipStream_tbDpT10_ENKUlT_T0_E_clISt17integral_constantIbLb0EES19_EEDaS14_S15_EUlS14_E_NS1_11comp_targetILNS1_3genE0ELNS1_11target_archE4294967295ELNS1_3gpuE0ELNS1_3repE0EEENS1_30default_config_static_selectorELNS0_4arch9wavefront6targetE1EEEvT1_,comdat
.Lfunc_end417:
	.size	_ZN7rocprim17ROCPRIM_400000_NS6detail17trampoline_kernelINS0_14default_configENS1_25partition_config_selectorILNS1_17partition_subalgoE1EiNS0_10empty_typeEbEEZZNS1_14partition_implILS5_1ELb0ES3_jN6thrust23THRUST_200600_302600_NS6detail15normal_iteratorINSA_10device_ptrIiEEEEPS6_NSA_18transform_iteratorI7is_evenIiESF_NSA_11use_defaultESK_EENS0_5tupleIJSF_SF_EEENSM_IJSG_SG_EEES6_PlJS6_EEE10hipError_tPvRmT3_T4_T5_T6_T7_T9_mT8_P12ihipStream_tbDpT10_ENKUlT_T0_E_clISt17integral_constantIbLb0EES19_EEDaS14_S15_EUlS14_E_NS1_11comp_targetILNS1_3genE0ELNS1_11target_archE4294967295ELNS1_3gpuE0ELNS1_3repE0EEENS1_30default_config_static_selectorELNS0_4arch9wavefront6targetE1EEEvT1_, .Lfunc_end417-_ZN7rocprim17ROCPRIM_400000_NS6detail17trampoline_kernelINS0_14default_configENS1_25partition_config_selectorILNS1_17partition_subalgoE1EiNS0_10empty_typeEbEEZZNS1_14partition_implILS5_1ELb0ES3_jN6thrust23THRUST_200600_302600_NS6detail15normal_iteratorINSA_10device_ptrIiEEEEPS6_NSA_18transform_iteratorI7is_evenIiESF_NSA_11use_defaultESK_EENS0_5tupleIJSF_SF_EEENSM_IJSG_SG_EEES6_PlJS6_EEE10hipError_tPvRmT3_T4_T5_T6_T7_T9_mT8_P12ihipStream_tbDpT10_ENKUlT_T0_E_clISt17integral_constantIbLb0EES19_EEDaS14_S15_EUlS14_E_NS1_11comp_targetILNS1_3genE0ELNS1_11target_archE4294967295ELNS1_3gpuE0ELNS1_3repE0EEENS1_30default_config_static_selectorELNS0_4arch9wavefront6targetE1EEEvT1_
                                        ; -- End function
	.section	.AMDGPU.csdata,"",@progbits
; Kernel info:
; codeLenInByte = 0
; NumSgprs: 4
; NumVgprs: 0
; NumAgprs: 0
; TotalNumVgprs: 0
; ScratchSize: 0
; MemoryBound: 0
; FloatMode: 240
; IeeeMode: 1
; LDSByteSize: 0 bytes/workgroup (compile time only)
; SGPRBlocks: 0
; VGPRBlocks: 0
; NumSGPRsForWavesPerEU: 4
; NumVGPRsForWavesPerEU: 1
; AccumOffset: 4
; Occupancy: 8
; WaveLimiterHint : 0
; COMPUTE_PGM_RSRC2:SCRATCH_EN: 0
; COMPUTE_PGM_RSRC2:USER_SGPR: 6
; COMPUTE_PGM_RSRC2:TRAP_HANDLER: 0
; COMPUTE_PGM_RSRC2:TGID_X_EN: 1
; COMPUTE_PGM_RSRC2:TGID_Y_EN: 0
; COMPUTE_PGM_RSRC2:TGID_Z_EN: 0
; COMPUTE_PGM_RSRC2:TIDIG_COMP_CNT: 0
; COMPUTE_PGM_RSRC3_GFX90A:ACCUM_OFFSET: 0
; COMPUTE_PGM_RSRC3_GFX90A:TG_SPLIT: 0
	.section	.text._ZN7rocprim17ROCPRIM_400000_NS6detail17trampoline_kernelINS0_14default_configENS1_25partition_config_selectorILNS1_17partition_subalgoE1EiNS0_10empty_typeEbEEZZNS1_14partition_implILS5_1ELb0ES3_jN6thrust23THRUST_200600_302600_NS6detail15normal_iteratorINSA_10device_ptrIiEEEEPS6_NSA_18transform_iteratorI7is_evenIiESF_NSA_11use_defaultESK_EENS0_5tupleIJSF_SF_EEENSM_IJSG_SG_EEES6_PlJS6_EEE10hipError_tPvRmT3_T4_T5_T6_T7_T9_mT8_P12ihipStream_tbDpT10_ENKUlT_T0_E_clISt17integral_constantIbLb0EES19_EEDaS14_S15_EUlS14_E_NS1_11comp_targetILNS1_3genE5ELNS1_11target_archE942ELNS1_3gpuE9ELNS1_3repE0EEENS1_30default_config_static_selectorELNS0_4arch9wavefront6targetE1EEEvT1_,"axG",@progbits,_ZN7rocprim17ROCPRIM_400000_NS6detail17trampoline_kernelINS0_14default_configENS1_25partition_config_selectorILNS1_17partition_subalgoE1EiNS0_10empty_typeEbEEZZNS1_14partition_implILS5_1ELb0ES3_jN6thrust23THRUST_200600_302600_NS6detail15normal_iteratorINSA_10device_ptrIiEEEEPS6_NSA_18transform_iteratorI7is_evenIiESF_NSA_11use_defaultESK_EENS0_5tupleIJSF_SF_EEENSM_IJSG_SG_EEES6_PlJS6_EEE10hipError_tPvRmT3_T4_T5_T6_T7_T9_mT8_P12ihipStream_tbDpT10_ENKUlT_T0_E_clISt17integral_constantIbLb0EES19_EEDaS14_S15_EUlS14_E_NS1_11comp_targetILNS1_3genE5ELNS1_11target_archE942ELNS1_3gpuE9ELNS1_3repE0EEENS1_30default_config_static_selectorELNS0_4arch9wavefront6targetE1EEEvT1_,comdat
	.protected	_ZN7rocprim17ROCPRIM_400000_NS6detail17trampoline_kernelINS0_14default_configENS1_25partition_config_selectorILNS1_17partition_subalgoE1EiNS0_10empty_typeEbEEZZNS1_14partition_implILS5_1ELb0ES3_jN6thrust23THRUST_200600_302600_NS6detail15normal_iteratorINSA_10device_ptrIiEEEEPS6_NSA_18transform_iteratorI7is_evenIiESF_NSA_11use_defaultESK_EENS0_5tupleIJSF_SF_EEENSM_IJSG_SG_EEES6_PlJS6_EEE10hipError_tPvRmT3_T4_T5_T6_T7_T9_mT8_P12ihipStream_tbDpT10_ENKUlT_T0_E_clISt17integral_constantIbLb0EES19_EEDaS14_S15_EUlS14_E_NS1_11comp_targetILNS1_3genE5ELNS1_11target_archE942ELNS1_3gpuE9ELNS1_3repE0EEENS1_30default_config_static_selectorELNS0_4arch9wavefront6targetE1EEEvT1_ ; -- Begin function _ZN7rocprim17ROCPRIM_400000_NS6detail17trampoline_kernelINS0_14default_configENS1_25partition_config_selectorILNS1_17partition_subalgoE1EiNS0_10empty_typeEbEEZZNS1_14partition_implILS5_1ELb0ES3_jN6thrust23THRUST_200600_302600_NS6detail15normal_iteratorINSA_10device_ptrIiEEEEPS6_NSA_18transform_iteratorI7is_evenIiESF_NSA_11use_defaultESK_EENS0_5tupleIJSF_SF_EEENSM_IJSG_SG_EEES6_PlJS6_EEE10hipError_tPvRmT3_T4_T5_T6_T7_T9_mT8_P12ihipStream_tbDpT10_ENKUlT_T0_E_clISt17integral_constantIbLb0EES19_EEDaS14_S15_EUlS14_E_NS1_11comp_targetILNS1_3genE5ELNS1_11target_archE942ELNS1_3gpuE9ELNS1_3repE0EEENS1_30default_config_static_selectorELNS0_4arch9wavefront6targetE1EEEvT1_
	.globl	_ZN7rocprim17ROCPRIM_400000_NS6detail17trampoline_kernelINS0_14default_configENS1_25partition_config_selectorILNS1_17partition_subalgoE1EiNS0_10empty_typeEbEEZZNS1_14partition_implILS5_1ELb0ES3_jN6thrust23THRUST_200600_302600_NS6detail15normal_iteratorINSA_10device_ptrIiEEEEPS6_NSA_18transform_iteratorI7is_evenIiESF_NSA_11use_defaultESK_EENS0_5tupleIJSF_SF_EEENSM_IJSG_SG_EEES6_PlJS6_EEE10hipError_tPvRmT3_T4_T5_T6_T7_T9_mT8_P12ihipStream_tbDpT10_ENKUlT_T0_E_clISt17integral_constantIbLb0EES19_EEDaS14_S15_EUlS14_E_NS1_11comp_targetILNS1_3genE5ELNS1_11target_archE942ELNS1_3gpuE9ELNS1_3repE0EEENS1_30default_config_static_selectorELNS0_4arch9wavefront6targetE1EEEvT1_
	.p2align	8
	.type	_ZN7rocprim17ROCPRIM_400000_NS6detail17trampoline_kernelINS0_14default_configENS1_25partition_config_selectorILNS1_17partition_subalgoE1EiNS0_10empty_typeEbEEZZNS1_14partition_implILS5_1ELb0ES3_jN6thrust23THRUST_200600_302600_NS6detail15normal_iteratorINSA_10device_ptrIiEEEEPS6_NSA_18transform_iteratorI7is_evenIiESF_NSA_11use_defaultESK_EENS0_5tupleIJSF_SF_EEENSM_IJSG_SG_EEES6_PlJS6_EEE10hipError_tPvRmT3_T4_T5_T6_T7_T9_mT8_P12ihipStream_tbDpT10_ENKUlT_T0_E_clISt17integral_constantIbLb0EES19_EEDaS14_S15_EUlS14_E_NS1_11comp_targetILNS1_3genE5ELNS1_11target_archE942ELNS1_3gpuE9ELNS1_3repE0EEENS1_30default_config_static_selectorELNS0_4arch9wavefront6targetE1EEEvT1_,@function
_ZN7rocprim17ROCPRIM_400000_NS6detail17trampoline_kernelINS0_14default_configENS1_25partition_config_selectorILNS1_17partition_subalgoE1EiNS0_10empty_typeEbEEZZNS1_14partition_implILS5_1ELb0ES3_jN6thrust23THRUST_200600_302600_NS6detail15normal_iteratorINSA_10device_ptrIiEEEEPS6_NSA_18transform_iteratorI7is_evenIiESF_NSA_11use_defaultESK_EENS0_5tupleIJSF_SF_EEENSM_IJSG_SG_EEES6_PlJS6_EEE10hipError_tPvRmT3_T4_T5_T6_T7_T9_mT8_P12ihipStream_tbDpT10_ENKUlT_T0_E_clISt17integral_constantIbLb0EES19_EEDaS14_S15_EUlS14_E_NS1_11comp_targetILNS1_3genE5ELNS1_11target_archE942ELNS1_3gpuE9ELNS1_3repE0EEENS1_30default_config_static_selectorELNS0_4arch9wavefront6targetE1EEEvT1_: ; @_ZN7rocprim17ROCPRIM_400000_NS6detail17trampoline_kernelINS0_14default_configENS1_25partition_config_selectorILNS1_17partition_subalgoE1EiNS0_10empty_typeEbEEZZNS1_14partition_implILS5_1ELb0ES3_jN6thrust23THRUST_200600_302600_NS6detail15normal_iteratorINSA_10device_ptrIiEEEEPS6_NSA_18transform_iteratorI7is_evenIiESF_NSA_11use_defaultESK_EENS0_5tupleIJSF_SF_EEENSM_IJSG_SG_EEES6_PlJS6_EEE10hipError_tPvRmT3_T4_T5_T6_T7_T9_mT8_P12ihipStream_tbDpT10_ENKUlT_T0_E_clISt17integral_constantIbLb0EES19_EEDaS14_S15_EUlS14_E_NS1_11comp_targetILNS1_3genE5ELNS1_11target_archE942ELNS1_3gpuE9ELNS1_3repE0EEENS1_30default_config_static_selectorELNS0_4arch9wavefront6targetE1EEEvT1_
; %bb.0:
	.section	.rodata,"a",@progbits
	.p2align	6, 0x0
	.amdhsa_kernel _ZN7rocprim17ROCPRIM_400000_NS6detail17trampoline_kernelINS0_14default_configENS1_25partition_config_selectorILNS1_17partition_subalgoE1EiNS0_10empty_typeEbEEZZNS1_14partition_implILS5_1ELb0ES3_jN6thrust23THRUST_200600_302600_NS6detail15normal_iteratorINSA_10device_ptrIiEEEEPS6_NSA_18transform_iteratorI7is_evenIiESF_NSA_11use_defaultESK_EENS0_5tupleIJSF_SF_EEENSM_IJSG_SG_EEES6_PlJS6_EEE10hipError_tPvRmT3_T4_T5_T6_T7_T9_mT8_P12ihipStream_tbDpT10_ENKUlT_T0_E_clISt17integral_constantIbLb0EES19_EEDaS14_S15_EUlS14_E_NS1_11comp_targetILNS1_3genE5ELNS1_11target_archE942ELNS1_3gpuE9ELNS1_3repE0EEENS1_30default_config_static_selectorELNS0_4arch9wavefront6targetE1EEEvT1_
		.amdhsa_group_segment_fixed_size 0
		.amdhsa_private_segment_fixed_size 0
		.amdhsa_kernarg_size 128
		.amdhsa_user_sgpr_count 6
		.amdhsa_user_sgpr_private_segment_buffer 1
		.amdhsa_user_sgpr_dispatch_ptr 0
		.amdhsa_user_sgpr_queue_ptr 0
		.amdhsa_user_sgpr_kernarg_segment_ptr 1
		.amdhsa_user_sgpr_dispatch_id 0
		.amdhsa_user_sgpr_flat_scratch_init 0
		.amdhsa_user_sgpr_kernarg_preload_length 0
		.amdhsa_user_sgpr_kernarg_preload_offset 0
		.amdhsa_user_sgpr_private_segment_size 0
		.amdhsa_uses_dynamic_stack 0
		.amdhsa_system_sgpr_private_segment_wavefront_offset 0
		.amdhsa_system_sgpr_workgroup_id_x 1
		.amdhsa_system_sgpr_workgroup_id_y 0
		.amdhsa_system_sgpr_workgroup_id_z 0
		.amdhsa_system_sgpr_workgroup_info 0
		.amdhsa_system_vgpr_workitem_id 0
		.amdhsa_next_free_vgpr 1
		.amdhsa_next_free_sgpr 0
		.amdhsa_accum_offset 4
		.amdhsa_reserve_vcc 0
		.amdhsa_reserve_flat_scratch 0
		.amdhsa_float_round_mode_32 0
		.amdhsa_float_round_mode_16_64 0
		.amdhsa_float_denorm_mode_32 3
		.amdhsa_float_denorm_mode_16_64 3
		.amdhsa_dx10_clamp 1
		.amdhsa_ieee_mode 1
		.amdhsa_fp16_overflow 0
		.amdhsa_tg_split 0
		.amdhsa_exception_fp_ieee_invalid_op 0
		.amdhsa_exception_fp_denorm_src 0
		.amdhsa_exception_fp_ieee_div_zero 0
		.amdhsa_exception_fp_ieee_overflow 0
		.amdhsa_exception_fp_ieee_underflow 0
		.amdhsa_exception_fp_ieee_inexact 0
		.amdhsa_exception_int_div_zero 0
	.end_amdhsa_kernel
	.section	.text._ZN7rocprim17ROCPRIM_400000_NS6detail17trampoline_kernelINS0_14default_configENS1_25partition_config_selectorILNS1_17partition_subalgoE1EiNS0_10empty_typeEbEEZZNS1_14partition_implILS5_1ELb0ES3_jN6thrust23THRUST_200600_302600_NS6detail15normal_iteratorINSA_10device_ptrIiEEEEPS6_NSA_18transform_iteratorI7is_evenIiESF_NSA_11use_defaultESK_EENS0_5tupleIJSF_SF_EEENSM_IJSG_SG_EEES6_PlJS6_EEE10hipError_tPvRmT3_T4_T5_T6_T7_T9_mT8_P12ihipStream_tbDpT10_ENKUlT_T0_E_clISt17integral_constantIbLb0EES19_EEDaS14_S15_EUlS14_E_NS1_11comp_targetILNS1_3genE5ELNS1_11target_archE942ELNS1_3gpuE9ELNS1_3repE0EEENS1_30default_config_static_selectorELNS0_4arch9wavefront6targetE1EEEvT1_,"axG",@progbits,_ZN7rocprim17ROCPRIM_400000_NS6detail17trampoline_kernelINS0_14default_configENS1_25partition_config_selectorILNS1_17partition_subalgoE1EiNS0_10empty_typeEbEEZZNS1_14partition_implILS5_1ELb0ES3_jN6thrust23THRUST_200600_302600_NS6detail15normal_iteratorINSA_10device_ptrIiEEEEPS6_NSA_18transform_iteratorI7is_evenIiESF_NSA_11use_defaultESK_EENS0_5tupleIJSF_SF_EEENSM_IJSG_SG_EEES6_PlJS6_EEE10hipError_tPvRmT3_T4_T5_T6_T7_T9_mT8_P12ihipStream_tbDpT10_ENKUlT_T0_E_clISt17integral_constantIbLb0EES19_EEDaS14_S15_EUlS14_E_NS1_11comp_targetILNS1_3genE5ELNS1_11target_archE942ELNS1_3gpuE9ELNS1_3repE0EEENS1_30default_config_static_selectorELNS0_4arch9wavefront6targetE1EEEvT1_,comdat
.Lfunc_end418:
	.size	_ZN7rocprim17ROCPRIM_400000_NS6detail17trampoline_kernelINS0_14default_configENS1_25partition_config_selectorILNS1_17partition_subalgoE1EiNS0_10empty_typeEbEEZZNS1_14partition_implILS5_1ELb0ES3_jN6thrust23THRUST_200600_302600_NS6detail15normal_iteratorINSA_10device_ptrIiEEEEPS6_NSA_18transform_iteratorI7is_evenIiESF_NSA_11use_defaultESK_EENS0_5tupleIJSF_SF_EEENSM_IJSG_SG_EEES6_PlJS6_EEE10hipError_tPvRmT3_T4_T5_T6_T7_T9_mT8_P12ihipStream_tbDpT10_ENKUlT_T0_E_clISt17integral_constantIbLb0EES19_EEDaS14_S15_EUlS14_E_NS1_11comp_targetILNS1_3genE5ELNS1_11target_archE942ELNS1_3gpuE9ELNS1_3repE0EEENS1_30default_config_static_selectorELNS0_4arch9wavefront6targetE1EEEvT1_, .Lfunc_end418-_ZN7rocprim17ROCPRIM_400000_NS6detail17trampoline_kernelINS0_14default_configENS1_25partition_config_selectorILNS1_17partition_subalgoE1EiNS0_10empty_typeEbEEZZNS1_14partition_implILS5_1ELb0ES3_jN6thrust23THRUST_200600_302600_NS6detail15normal_iteratorINSA_10device_ptrIiEEEEPS6_NSA_18transform_iteratorI7is_evenIiESF_NSA_11use_defaultESK_EENS0_5tupleIJSF_SF_EEENSM_IJSG_SG_EEES6_PlJS6_EEE10hipError_tPvRmT3_T4_T5_T6_T7_T9_mT8_P12ihipStream_tbDpT10_ENKUlT_T0_E_clISt17integral_constantIbLb0EES19_EEDaS14_S15_EUlS14_E_NS1_11comp_targetILNS1_3genE5ELNS1_11target_archE942ELNS1_3gpuE9ELNS1_3repE0EEENS1_30default_config_static_selectorELNS0_4arch9wavefront6targetE1EEEvT1_
                                        ; -- End function
	.section	.AMDGPU.csdata,"",@progbits
; Kernel info:
; codeLenInByte = 0
; NumSgprs: 4
; NumVgprs: 0
; NumAgprs: 0
; TotalNumVgprs: 0
; ScratchSize: 0
; MemoryBound: 0
; FloatMode: 240
; IeeeMode: 1
; LDSByteSize: 0 bytes/workgroup (compile time only)
; SGPRBlocks: 0
; VGPRBlocks: 0
; NumSGPRsForWavesPerEU: 4
; NumVGPRsForWavesPerEU: 1
; AccumOffset: 4
; Occupancy: 8
; WaveLimiterHint : 0
; COMPUTE_PGM_RSRC2:SCRATCH_EN: 0
; COMPUTE_PGM_RSRC2:USER_SGPR: 6
; COMPUTE_PGM_RSRC2:TRAP_HANDLER: 0
; COMPUTE_PGM_RSRC2:TGID_X_EN: 1
; COMPUTE_PGM_RSRC2:TGID_Y_EN: 0
; COMPUTE_PGM_RSRC2:TGID_Z_EN: 0
; COMPUTE_PGM_RSRC2:TIDIG_COMP_CNT: 0
; COMPUTE_PGM_RSRC3_GFX90A:ACCUM_OFFSET: 0
; COMPUTE_PGM_RSRC3_GFX90A:TG_SPLIT: 0
	.section	.text._ZN7rocprim17ROCPRIM_400000_NS6detail17trampoline_kernelINS0_14default_configENS1_25partition_config_selectorILNS1_17partition_subalgoE1EiNS0_10empty_typeEbEEZZNS1_14partition_implILS5_1ELb0ES3_jN6thrust23THRUST_200600_302600_NS6detail15normal_iteratorINSA_10device_ptrIiEEEEPS6_NSA_18transform_iteratorI7is_evenIiESF_NSA_11use_defaultESK_EENS0_5tupleIJSF_SF_EEENSM_IJSG_SG_EEES6_PlJS6_EEE10hipError_tPvRmT3_T4_T5_T6_T7_T9_mT8_P12ihipStream_tbDpT10_ENKUlT_T0_E_clISt17integral_constantIbLb0EES19_EEDaS14_S15_EUlS14_E_NS1_11comp_targetILNS1_3genE4ELNS1_11target_archE910ELNS1_3gpuE8ELNS1_3repE0EEENS1_30default_config_static_selectorELNS0_4arch9wavefront6targetE1EEEvT1_,"axG",@progbits,_ZN7rocprim17ROCPRIM_400000_NS6detail17trampoline_kernelINS0_14default_configENS1_25partition_config_selectorILNS1_17partition_subalgoE1EiNS0_10empty_typeEbEEZZNS1_14partition_implILS5_1ELb0ES3_jN6thrust23THRUST_200600_302600_NS6detail15normal_iteratorINSA_10device_ptrIiEEEEPS6_NSA_18transform_iteratorI7is_evenIiESF_NSA_11use_defaultESK_EENS0_5tupleIJSF_SF_EEENSM_IJSG_SG_EEES6_PlJS6_EEE10hipError_tPvRmT3_T4_T5_T6_T7_T9_mT8_P12ihipStream_tbDpT10_ENKUlT_T0_E_clISt17integral_constantIbLb0EES19_EEDaS14_S15_EUlS14_E_NS1_11comp_targetILNS1_3genE4ELNS1_11target_archE910ELNS1_3gpuE8ELNS1_3repE0EEENS1_30default_config_static_selectorELNS0_4arch9wavefront6targetE1EEEvT1_,comdat
	.protected	_ZN7rocprim17ROCPRIM_400000_NS6detail17trampoline_kernelINS0_14default_configENS1_25partition_config_selectorILNS1_17partition_subalgoE1EiNS0_10empty_typeEbEEZZNS1_14partition_implILS5_1ELb0ES3_jN6thrust23THRUST_200600_302600_NS6detail15normal_iteratorINSA_10device_ptrIiEEEEPS6_NSA_18transform_iteratorI7is_evenIiESF_NSA_11use_defaultESK_EENS0_5tupleIJSF_SF_EEENSM_IJSG_SG_EEES6_PlJS6_EEE10hipError_tPvRmT3_T4_T5_T6_T7_T9_mT8_P12ihipStream_tbDpT10_ENKUlT_T0_E_clISt17integral_constantIbLb0EES19_EEDaS14_S15_EUlS14_E_NS1_11comp_targetILNS1_3genE4ELNS1_11target_archE910ELNS1_3gpuE8ELNS1_3repE0EEENS1_30default_config_static_selectorELNS0_4arch9wavefront6targetE1EEEvT1_ ; -- Begin function _ZN7rocprim17ROCPRIM_400000_NS6detail17trampoline_kernelINS0_14default_configENS1_25partition_config_selectorILNS1_17partition_subalgoE1EiNS0_10empty_typeEbEEZZNS1_14partition_implILS5_1ELb0ES3_jN6thrust23THRUST_200600_302600_NS6detail15normal_iteratorINSA_10device_ptrIiEEEEPS6_NSA_18transform_iteratorI7is_evenIiESF_NSA_11use_defaultESK_EENS0_5tupleIJSF_SF_EEENSM_IJSG_SG_EEES6_PlJS6_EEE10hipError_tPvRmT3_T4_T5_T6_T7_T9_mT8_P12ihipStream_tbDpT10_ENKUlT_T0_E_clISt17integral_constantIbLb0EES19_EEDaS14_S15_EUlS14_E_NS1_11comp_targetILNS1_3genE4ELNS1_11target_archE910ELNS1_3gpuE8ELNS1_3repE0EEENS1_30default_config_static_selectorELNS0_4arch9wavefront6targetE1EEEvT1_
	.globl	_ZN7rocprim17ROCPRIM_400000_NS6detail17trampoline_kernelINS0_14default_configENS1_25partition_config_selectorILNS1_17partition_subalgoE1EiNS0_10empty_typeEbEEZZNS1_14partition_implILS5_1ELb0ES3_jN6thrust23THRUST_200600_302600_NS6detail15normal_iteratorINSA_10device_ptrIiEEEEPS6_NSA_18transform_iteratorI7is_evenIiESF_NSA_11use_defaultESK_EENS0_5tupleIJSF_SF_EEENSM_IJSG_SG_EEES6_PlJS6_EEE10hipError_tPvRmT3_T4_T5_T6_T7_T9_mT8_P12ihipStream_tbDpT10_ENKUlT_T0_E_clISt17integral_constantIbLb0EES19_EEDaS14_S15_EUlS14_E_NS1_11comp_targetILNS1_3genE4ELNS1_11target_archE910ELNS1_3gpuE8ELNS1_3repE0EEENS1_30default_config_static_selectorELNS0_4arch9wavefront6targetE1EEEvT1_
	.p2align	8
	.type	_ZN7rocprim17ROCPRIM_400000_NS6detail17trampoline_kernelINS0_14default_configENS1_25partition_config_selectorILNS1_17partition_subalgoE1EiNS0_10empty_typeEbEEZZNS1_14partition_implILS5_1ELb0ES3_jN6thrust23THRUST_200600_302600_NS6detail15normal_iteratorINSA_10device_ptrIiEEEEPS6_NSA_18transform_iteratorI7is_evenIiESF_NSA_11use_defaultESK_EENS0_5tupleIJSF_SF_EEENSM_IJSG_SG_EEES6_PlJS6_EEE10hipError_tPvRmT3_T4_T5_T6_T7_T9_mT8_P12ihipStream_tbDpT10_ENKUlT_T0_E_clISt17integral_constantIbLb0EES19_EEDaS14_S15_EUlS14_E_NS1_11comp_targetILNS1_3genE4ELNS1_11target_archE910ELNS1_3gpuE8ELNS1_3repE0EEENS1_30default_config_static_selectorELNS0_4arch9wavefront6targetE1EEEvT1_,@function
_ZN7rocprim17ROCPRIM_400000_NS6detail17trampoline_kernelINS0_14default_configENS1_25partition_config_selectorILNS1_17partition_subalgoE1EiNS0_10empty_typeEbEEZZNS1_14partition_implILS5_1ELb0ES3_jN6thrust23THRUST_200600_302600_NS6detail15normal_iteratorINSA_10device_ptrIiEEEEPS6_NSA_18transform_iteratorI7is_evenIiESF_NSA_11use_defaultESK_EENS0_5tupleIJSF_SF_EEENSM_IJSG_SG_EEES6_PlJS6_EEE10hipError_tPvRmT3_T4_T5_T6_T7_T9_mT8_P12ihipStream_tbDpT10_ENKUlT_T0_E_clISt17integral_constantIbLb0EES19_EEDaS14_S15_EUlS14_E_NS1_11comp_targetILNS1_3genE4ELNS1_11target_archE910ELNS1_3gpuE8ELNS1_3repE0EEENS1_30default_config_static_selectorELNS0_4arch9wavefront6targetE1EEEvT1_: ; @_ZN7rocprim17ROCPRIM_400000_NS6detail17trampoline_kernelINS0_14default_configENS1_25partition_config_selectorILNS1_17partition_subalgoE1EiNS0_10empty_typeEbEEZZNS1_14partition_implILS5_1ELb0ES3_jN6thrust23THRUST_200600_302600_NS6detail15normal_iteratorINSA_10device_ptrIiEEEEPS6_NSA_18transform_iteratorI7is_evenIiESF_NSA_11use_defaultESK_EENS0_5tupleIJSF_SF_EEENSM_IJSG_SG_EEES6_PlJS6_EEE10hipError_tPvRmT3_T4_T5_T6_T7_T9_mT8_P12ihipStream_tbDpT10_ENKUlT_T0_E_clISt17integral_constantIbLb0EES19_EEDaS14_S15_EUlS14_E_NS1_11comp_targetILNS1_3genE4ELNS1_11target_archE910ELNS1_3gpuE8ELNS1_3repE0EEENS1_30default_config_static_selectorELNS0_4arch9wavefront6targetE1EEEvT1_
; %bb.0:
	s_load_dwordx2 s[0:1], s[4:5], 0x60
	s_load_dwordx4 s[24:27], s[4:5], 0x8
	s_load_dwordx2 s[2:3], s[4:5], 0x20
	s_load_dwordx4 s[20:23], s[4:5], 0x50
	s_mul_i32 s10, s6, 0x700
	s_waitcnt lgkmcnt(0)
	v_mov_b32_e32 v3, s1
	s_load_dword s1, s[4:5], 0x78
	s_lshl_b64 s[8:9], s[26:27], 2
	s_add_u32 s7, s24, s8
	s_addc_u32 s12, s25, s9
	v_mov_b32_e32 v2, s0
	s_waitcnt lgkmcnt(0)
	s_add_i32 s13, s1, -1
	s_mulk_i32 s1, 0x700
	s_add_i32 s11, s1, s26
	s_sub_i32 s33, s0, s11
	s_addk_i32 s33, 0x700
	s_add_u32 s0, s26, s1
	s_addc_u32 s1, s27, 0
	s_cmp_eq_u32 s6, s13
	s_load_dwordx2 s[30:31], s[22:23], 0x0
	s_cselect_b64 s[22:23], -1, 0
	s_cmp_lg_u32 s6, s13
	s_mov_b32 s11, 0
	v_cmp_lt_u64_e32 vcc, s[0:1], v[2:3]
	s_cselect_b64 s[0:1], -1, 0
	s_or_b64 s[24:25], s[0:1], vcc
	s_lshl_b64 s[28:29], s[10:11], 2
	s_add_u32 s7, s7, s28
	s_addc_u32 s12, s12, s29
	s_mov_b64 s[0:1], -1
	s_and_b64 vcc, exec, s[24:25]
	v_lshlrev_b32_e32 v1, 2, v0
	s_cbranch_vccz .LBB419_2
; %bb.1:
	v_mov_b32_e32 v3, s12
	v_add_co_u32_e32 v2, vcc, s7, v1
	v_addc_co_u32_e32 v3, vcc, 0, v3, vcc
	v_add_co_u32_e32 v4, vcc, 0x1000, v2
	v_addc_co_u32_e32 v5, vcc, 0, v3, vcc
	flat_load_dword v6, v[2:3]
	flat_load_dword v7, v[2:3] offset:1024
	flat_load_dword v8, v[2:3] offset:2048
	;; [unrolled: 1-line block ×3, first 2 shown]
	flat_load_dword v10, v[4:5]
	flat_load_dword v11, v[4:5] offset:1024
	flat_load_dword v12, v[4:5] offset:2048
	s_mov_b64 s[0:1], 0
	s_waitcnt vmcnt(0) lgkmcnt(0)
	ds_write2st64_b32 v1, v6, v7 offset1:4
	ds_write2st64_b32 v1, v8, v9 offset0:8 offset1:12
	ds_write2st64_b32 v1, v10, v11 offset0:16 offset1:20
	ds_write_b32 v1, v12 offset:6144
	s_waitcnt lgkmcnt(0)
	s_barrier
.LBB419_2:
	s_andn2_b64 vcc, exec, s[0:1]
	v_cmp_gt_u32_e64 s[0:1], s33, v0
	s_cbranch_vccnz .LBB419_18
; %bb.3:
                                        ; implicit-def: $vgpr2_vgpr3_vgpr4_vgpr5_vgpr6_vgpr7_vgpr8
	s_and_saveexec_b64 s[10:11], s[0:1]
	s_cbranch_execz .LBB419_5
; %bb.4:
	v_mov_b32_e32 v3, s12
	v_add_co_u32_e32 v2, vcc, s7, v1
	v_addc_co_u32_e32 v3, vcc, 0, v3, vcc
	flat_load_dword v2, v[2:3]
.LBB419_5:
	s_or_b64 exec, exec, s[10:11]
	v_or_b32_e32 v9, 0x100, v0
	v_cmp_gt_u32_e32 vcc, s33, v9
	s_and_saveexec_b64 s[0:1], vcc
	s_cbranch_execz .LBB419_7
; %bb.6:
	v_mov_b32_e32 v3, s12
	v_add_co_u32_e32 v10, vcc, s7, v1
	v_addc_co_u32_e32 v11, vcc, 0, v3, vcc
	flat_load_dword v3, v[10:11] offset:1024
.LBB419_7:
	s_or_b64 exec, exec, s[0:1]
	v_or_b32_e32 v9, 0x200, v0
	v_cmp_gt_u32_e32 vcc, s33, v9
	s_and_saveexec_b64 s[0:1], vcc
	s_cbranch_execz .LBB419_9
; %bb.8:
	v_mov_b32_e32 v4, s12
	v_add_co_u32_e32 v10, vcc, s7, v1
	v_addc_co_u32_e32 v11, vcc, 0, v4, vcc
	flat_load_dword v4, v[10:11] offset:2048
.LBB419_9:
	;; [unrolled: 11-line block ×3, first 2 shown]
	s_or_b64 exec, exec, s[0:1]
	v_or_b32_e32 v9, 0x400, v0
	v_cmp_gt_u32_e32 vcc, s33, v9
	s_and_saveexec_b64 s[0:1], vcc
	s_cbranch_execz .LBB419_13
; %bb.12:
	v_lshlrev_b32_e32 v6, 2, v9
	v_mov_b32_e32 v9, s12
	v_add_co_u32_e32 v10, vcc, s7, v6
	v_addc_co_u32_e32 v11, vcc, 0, v9, vcc
	flat_load_dword v6, v[10:11]
.LBB419_13:
	s_or_b64 exec, exec, s[0:1]
	v_or_b32_e32 v9, 0x500, v0
	v_cmp_gt_u32_e32 vcc, s33, v9
	s_and_saveexec_b64 s[0:1], vcc
	s_cbranch_execz .LBB419_15
; %bb.14:
	v_lshlrev_b32_e32 v7, 2, v9
	v_mov_b32_e32 v9, s12
	v_add_co_u32_e32 v10, vcc, s7, v7
	v_addc_co_u32_e32 v11, vcc, 0, v9, vcc
	flat_load_dword v7, v[10:11]
.LBB419_15:
	s_or_b64 exec, exec, s[0:1]
	v_or_b32_e32 v9, 0x600, v0
	v_cmp_gt_u32_e32 vcc, s33, v9
	s_and_saveexec_b64 s[0:1], vcc
	s_cbranch_execz .LBB419_17
; %bb.16:
	v_lshlrev_b32_e32 v8, 2, v9
	v_mov_b32_e32 v9, s12
	v_add_co_u32_e32 v8, vcc, s7, v8
	v_addc_co_u32_e32 v9, vcc, 0, v9, vcc
	flat_load_dword v8, v[8:9]
.LBB419_17:
	s_or_b64 exec, exec, s[0:1]
	s_waitcnt vmcnt(0) lgkmcnt(0)
	ds_write2st64_b32 v1, v2, v3 offset1:4
	ds_write2st64_b32 v1, v4, v5 offset0:8 offset1:12
	ds_write2st64_b32 v1, v6, v7 offset0:16 offset1:20
	ds_write_b32 v1, v8 offset:6144
	s_waitcnt lgkmcnt(0)
	s_barrier
.LBB419_18:
	v_mul_u32_u24_e32 v19, 7, v0
	v_lshlrev_b32_e32 v8, 2, v19
	s_waitcnt lgkmcnt(0)
	ds_read2_b32 v[6:7], v8 offset1:1
	ds_read2_b32 v[4:5], v8 offset0:2 offset1:3
	ds_read2_b32 v[2:3], v8 offset0:4 offset1:5
	ds_read_b32 v18, v8 offset:24
	s_add_u32 s0, s2, s8
	s_addc_u32 s1, s3, s9
	s_add_u32 s0, s0, s28
	s_addc_u32 s1, s1, s29
	s_mov_b64 s[2:3], -1
	s_and_b64 vcc, exec, s[24:25]
	s_waitcnt lgkmcnt(0)
	s_barrier
	s_cbranch_vccz .LBB419_20
; %bb.19:
	v_mov_b32_e32 v9, s1
	v_add_co_u32_e32 v10, vcc, s0, v1
	v_addc_co_u32_e32 v9, vcc, 0, v9, vcc
	s_movk_i32 s2, 0x1000
	v_add_co_u32_e32 v10, vcc, s2, v10
	global_load_dword v12, v1, s[0:1]
	global_load_dword v13, v1, s[0:1] offset:1024
	global_load_dword v14, v1, s[0:1] offset:2048
	;; [unrolled: 1-line block ×3, first 2 shown]
	v_addc_co_u32_e32 v11, vcc, 0, v9, vcc
	global_load_dword v9, v[10:11], off
	global_load_dword v16, v[10:11], off offset:1024
	global_load_dword v17, v[10:11], off offset:2048
	s_mov_b64 s[2:3], 0
	s_waitcnt vmcnt(6)
	v_xor_b32_e32 v10, -1, v12
	s_waitcnt vmcnt(5)
	v_xor_b32_e32 v11, -1, v13
	;; [unrolled: 2-line block ×4, first 2 shown]
	v_and_b32_e32 v10, 1, v10
	v_and_b32_e32 v11, 1, v11
	s_waitcnt vmcnt(2)
	v_xor_b32_e32 v9, -1, v9
	v_and_b32_e32 v12, 1, v12
	v_and_b32_e32 v13, 1, v13
	ds_write_b8 v0, v10
	ds_write_b8 v0, v11 offset:256
	ds_write_b8 v0, v12 offset:512
	;; [unrolled: 1-line block ×3, first 2 shown]
	s_waitcnt vmcnt(1)
	v_xor_b32_e32 v10, -1, v16
	s_waitcnt vmcnt(0)
	v_xor_b32_e32 v11, -1, v17
	v_and_b32_e32 v9, 1, v9
	v_and_b32_e32 v10, 1, v10
	;; [unrolled: 1-line block ×3, first 2 shown]
	ds_write_b8 v0, v9 offset:1024
	ds_write_b8 v0, v10 offset:1280
	;; [unrolled: 1-line block ×3, first 2 shown]
	s_waitcnt lgkmcnt(0)
	s_barrier
.LBB419_20:
	s_load_dwordx2 s[34:35], s[4:5], 0x70
	s_andn2_b64 vcc, exec, s[2:3]
	s_cbranch_vccnz .LBB419_36
; %bb.21:
	v_cmp_gt_u32_e32 vcc, s33, v0
	v_mov_b32_e32 v9, 0
	v_mov_b32_e32 v10, 0
	s_and_saveexec_b64 s[2:3], vcc
	s_cbranch_execz .LBB419_23
; %bb.22:
	global_load_dword v10, v1, s[0:1]
	s_waitcnt vmcnt(0)
	v_xor_b32_e32 v10, -1, v10
	v_and_b32_e32 v10, 1, v10
.LBB419_23:
	s_or_b64 exec, exec, s[2:3]
	v_or_b32_e32 v11, 0x100, v0
	v_cmp_gt_u32_e32 vcc, s33, v11
	s_and_saveexec_b64 s[2:3], vcc
	s_cbranch_execz .LBB419_25
; %bb.24:
	global_load_dword v9, v1, s[0:1] offset:1024
	s_waitcnt vmcnt(0)
	v_xor_b32_e32 v9, -1, v9
	v_and_b32_e32 v9, 1, v9
.LBB419_25:
	s_or_b64 exec, exec, s[2:3]
	v_or_b32_e32 v11, 0x200, v0
	v_cmp_gt_u32_e32 vcc, s33, v11
	v_mov_b32_e32 v11, 0
	v_mov_b32_e32 v12, 0
	s_and_saveexec_b64 s[2:3], vcc
	s_cbranch_execz .LBB419_27
; %bb.26:
	global_load_dword v12, v1, s[0:1] offset:2048
	s_waitcnt vmcnt(0)
	v_xor_b32_e32 v12, -1, v12
	v_and_b32_e32 v12, 1, v12
.LBB419_27:
	s_or_b64 exec, exec, s[2:3]
	v_or_b32_e32 v13, 0x300, v0
	v_cmp_gt_u32_e32 vcc, s33, v13
	s_and_saveexec_b64 s[2:3], vcc
	s_cbranch_execz .LBB419_29
; %bb.28:
	global_load_dword v11, v1, s[0:1] offset:3072
	s_waitcnt vmcnt(0)
	v_xor_b32_e32 v11, -1, v11
	v_and_b32_e32 v11, 1, v11
.LBB419_29:
	s_or_b64 exec, exec, s[2:3]
	v_or_b32_e32 v15, 0x400, v0
	v_cmp_gt_u32_e32 vcc, s33, v15
	v_mov_b32_e32 v13, 0
	v_mov_b32_e32 v14, 0
	s_and_saveexec_b64 s[2:3], vcc
	s_cbranch_execz .LBB419_31
; %bb.30:
	v_lshlrev_b32_e32 v14, 2, v15
	global_load_dword v14, v14, s[0:1]
	s_waitcnt vmcnt(0)
	v_xor_b32_e32 v14, -1, v14
	v_and_b32_e32 v14, 1, v14
.LBB419_31:
	s_or_b64 exec, exec, s[2:3]
	v_or_b32_e32 v15, 0x500, v0
	v_cmp_gt_u32_e32 vcc, s33, v15
	s_and_saveexec_b64 s[2:3], vcc
	s_cbranch_execz .LBB419_33
; %bb.32:
	v_lshlrev_b32_e32 v13, 2, v15
	global_load_dword v13, v13, s[0:1]
	s_waitcnt vmcnt(0)
	v_xor_b32_e32 v13, -1, v13
	v_and_b32_e32 v13, 1, v13
.LBB419_33:
	s_or_b64 exec, exec, s[2:3]
	v_or_b32_e32 v16, 0x600, v0
	v_cmp_gt_u32_e32 vcc, s33, v16
	v_mov_b32_e32 v15, 0
	s_and_saveexec_b64 s[2:3], vcc
	s_cbranch_execz .LBB419_35
; %bb.34:
	v_lshlrev_b32_e32 v15, 2, v16
	global_load_dword v15, v15, s[0:1]
	s_waitcnt vmcnt(0)
	v_xor_b32_e32 v15, -1, v15
	v_and_b32_e32 v15, 1, v15
.LBB419_35:
	s_or_b64 exec, exec, s[2:3]
	ds_write_b8 v0, v10
	ds_write_b8 v0, v9 offset:256
	ds_write_b8 v0, v12 offset:512
	;; [unrolled: 1-line block ×6, first 2 shown]
	s_waitcnt lgkmcnt(0)
	s_barrier
.LBB419_36:
	s_movk_i32 s0, 0xffeb
	v_mad_i32_i24 v28, v0, s0, v8
	s_waitcnt lgkmcnt(0)
	ds_read_u8 v8, v28
	ds_read_u8 v9, v28 offset:1
	ds_read_u8 v10, v28 offset:2
	;; [unrolled: 1-line block ×6, first 2 shown]
	s_waitcnt lgkmcnt(6)
	v_and_b32_e32 v26, 1, v8
	s_waitcnt lgkmcnt(5)
	v_and_b32_e32 v25, 1, v9
	;; [unrolled: 2-line block ×5, first 2 shown]
	v_add3_u32 v8, v25, v26, v24
	s_waitcnt lgkmcnt(1)
	v_and_b32_e32 v21, 1, v13
	s_waitcnt lgkmcnt(0)
	v_and_b32_e32 v20, 1, v14
	v_add3_u32 v8, v8, v23, v22
	v_add3_u32 v30, v8, v21, v20
	v_mbcnt_lo_u32_b32 v8, -1, 0
	v_mbcnt_hi_u32_b32 v27, -1, v8
	v_and_b32_e32 v8, 15, v27
	v_cmp_eq_u32_e64 s[14:15], 0, v8
	v_cmp_lt_u32_e64 s[12:13], 1, v8
	v_cmp_lt_u32_e64 s[10:11], 3, v8
	;; [unrolled: 1-line block ×3, first 2 shown]
	v_and_b32_e32 v8, 16, v27
	v_cmp_eq_u32_e64 s[18:19], 0, v8
	v_or_b32_e32 v8, 63, v0
	s_cmp_lg_u32 s6, 0
	v_cmp_lt_u32_e64 s[0:1], 31, v27
	v_lshrrev_b32_e32 v29, 6, v0
	v_cmp_eq_u32_e64 s[2:3], v8, v0
	s_barrier
	s_cbranch_scc0 .LBB419_63
; %bb.37:
	v_mov_b32_dpp v8, v30 row_shr:1 row_mask:0xf bank_mask:0xf
	v_cndmask_b32_e64 v8, v8, 0, s[14:15]
	v_add_u32_e32 v8, v8, v30
	s_nop 1
	v_mov_b32_dpp v9, v8 row_shr:2 row_mask:0xf bank_mask:0xf
	v_cndmask_b32_e64 v9, 0, v9, s[12:13]
	v_add_u32_e32 v8, v8, v9
	s_nop 1
	;; [unrolled: 4-line block ×4, first 2 shown]
	v_mov_b32_dpp v9, v8 row_bcast:15 row_mask:0xf bank_mask:0xf
	v_cndmask_b32_e64 v9, v9, 0, s[18:19]
	v_add_u32_e32 v8, v8, v9
	s_nop 1
	v_mov_b32_dpp v9, v8 row_bcast:31 row_mask:0xf bank_mask:0xf
	v_cndmask_b32_e64 v9, 0, v9, s[0:1]
	v_add_u32_e32 v8, v8, v9
	s_and_saveexec_b64 s[16:17], s[2:3]
	s_cbranch_execz .LBB419_39
; %bb.38:
	v_lshlrev_b32_e32 v9, 2, v29
	ds_write_b32 v9, v8
.LBB419_39:
	s_or_b64 exec, exec, s[16:17]
	v_cmp_gt_u32_e32 vcc, 4, v0
	s_waitcnt lgkmcnt(0)
	s_barrier
	s_and_saveexec_b64 s[16:17], vcc
	s_cbranch_execz .LBB419_41
; %bb.40:
	ds_read_b32 v9, v1
	v_and_b32_e32 v10, 3, v27
	v_cmp_ne_u32_e32 vcc, 0, v10
	s_waitcnt lgkmcnt(0)
	v_mov_b32_dpp v11, v9 row_shr:1 row_mask:0xf bank_mask:0xf
	v_cndmask_b32_e32 v11, 0, v11, vcc
	v_add_u32_e32 v9, v11, v9
	v_cmp_lt_u32_e32 vcc, 1, v10
	s_nop 0
	v_mov_b32_dpp v11, v9 row_shr:2 row_mask:0xf bank_mask:0xf
	v_cndmask_b32_e32 v10, 0, v11, vcc
	v_add_u32_e32 v9, v9, v10
	ds_write_b32 v1, v9
.LBB419_41:
	s_or_b64 exec, exec, s[16:17]
	v_cmp_gt_u32_e32 vcc, 64, v0
	v_cmp_lt_u32_e64 s[16:17], 63, v0
	s_waitcnt lgkmcnt(0)
	s_barrier
	s_waitcnt lgkmcnt(0)
                                        ; implicit-def: $vgpr31
	s_and_saveexec_b64 s[36:37], s[16:17]
	s_cbranch_execz .LBB419_43
; %bb.42:
	v_lshl_add_u32 v9, v29, 2, -4
	ds_read_b32 v31, v9
	s_waitcnt lgkmcnt(0)
	v_add_u32_e32 v8, v31, v8
.LBB419_43:
	s_or_b64 exec, exec, s[36:37]
	v_add_u32_e32 v9, -1, v27
	v_and_b32_e32 v10, 64, v27
	v_cmp_lt_i32_e64 s[16:17], v9, v10
	v_cndmask_b32_e64 v9, v9, v27, s[16:17]
	v_lshlrev_b32_e32 v9, 2, v9
	ds_bpermute_b32 v32, v9, v8
	v_cmp_eq_u32_e64 s[16:17], 0, v27
	s_and_saveexec_b64 s[36:37], vcc
	s_cbranch_execz .LBB419_62
; %bb.44:
	v_mov_b32_e32 v15, 0
	ds_read_b32 v8, v15 offset:12
	s_and_saveexec_b64 s[38:39], s[16:17]
	s_cbranch_execz .LBB419_46
; %bb.45:
	s_add_i32 s40, s6, 64
	s_mov_b32 s41, 0
	s_lshl_b64 s[40:41], s[40:41], 3
	s_add_u32 s40, s34, s40
	v_mov_b32_e32 v9, 1
	s_addc_u32 s41, s35, s41
	s_waitcnt lgkmcnt(0)
	global_store_dwordx2 v15, v[8:9], s[40:41]
.LBB419_46:
	s_or_b64 exec, exec, s[38:39]
	v_xad_u32 v10, v27, -1, s6
	v_add_u32_e32 v14, 64, v10
	v_lshlrev_b64 v[12:13], 3, v[14:15]
	v_mov_b32_e32 v9, s35
	v_add_co_u32_e32 v16, vcc, s34, v12
	v_addc_co_u32_e32 v17, vcc, v9, v13, vcc
	global_load_dwordx2 v[12:13], v[16:17], off glc
	s_waitcnt vmcnt(0)
	v_cmp_eq_u16_sdwa s[40:41], v13, v15 src0_sel:BYTE_0 src1_sel:DWORD
	s_and_saveexec_b64 s[38:39], s[40:41]
	s_cbranch_execz .LBB419_50
; %bb.47:
	s_mov_b64 s[40:41], 0
	v_mov_b32_e32 v9, 0
.LBB419_48:                             ; =>This Inner Loop Header: Depth=1
	global_load_dwordx2 v[12:13], v[16:17], off glc
	s_waitcnt vmcnt(0)
	v_cmp_ne_u16_sdwa s[42:43], v13, v9 src0_sel:BYTE_0 src1_sel:DWORD
	s_or_b64 s[40:41], s[42:43], s[40:41]
	s_andn2_b64 exec, exec, s[40:41]
	s_cbranch_execnz .LBB419_48
; %bb.49:
	s_or_b64 exec, exec, s[40:41]
.LBB419_50:
	s_or_b64 exec, exec, s[38:39]
	v_and_b32_e32 v34, 63, v27
	v_mov_b32_e32 v33, 2
	v_cmp_ne_u32_e32 vcc, 63, v34
	v_cmp_eq_u16_sdwa s[38:39], v13, v33 src0_sel:BYTE_0 src1_sel:DWORD
	v_lshlrev_b64 v[14:15], v27, -1
	v_addc_co_u32_e32 v16, vcc, 0, v27, vcc
	v_and_b32_e32 v9, s39, v15
	v_lshlrev_b32_e32 v35, 2, v16
	v_or_b32_e32 v9, 0x80000000, v9
	ds_bpermute_b32 v16, v35, v12
	v_and_b32_e32 v11, s38, v14
	v_ffbl_b32_e32 v9, v9
	v_add_u32_e32 v9, 32, v9
	v_ffbl_b32_e32 v11, v11
	v_min_u32_e32 v9, v11, v9
	v_cmp_lt_u32_e32 vcc, v34, v9
	s_waitcnt lgkmcnt(0)
	v_cndmask_b32_e32 v11, 0, v16, vcc
	v_cmp_gt_u32_e32 vcc, 62, v34
	v_add_u32_e32 v11, v11, v12
	v_cndmask_b32_e64 v12, 0, 1, vcc
	v_lshlrev_b32_e32 v12, 1, v12
	v_add_lshl_u32 v36, v12, v27, 2
	ds_bpermute_b32 v12, v36, v11
	v_add_u32_e32 v37, 2, v34
	v_cmp_le_u32_e32 vcc, v37, v9
	v_add_u32_e32 v39, 4, v34
	v_add_u32_e32 v41, 8, v34
	s_waitcnt lgkmcnt(0)
	v_cndmask_b32_e32 v12, 0, v12, vcc
	v_cmp_gt_u32_e32 vcc, 60, v34
	v_add_u32_e32 v11, v11, v12
	v_cndmask_b32_e64 v12, 0, 1, vcc
	v_lshlrev_b32_e32 v12, 2, v12
	v_add_lshl_u32 v38, v12, v27, 2
	ds_bpermute_b32 v12, v38, v11
	v_cmp_le_u32_e32 vcc, v39, v9
	v_add_u32_e32 v43, 16, v34
	v_add_u32_e32 v45, 32, v34
	s_waitcnt lgkmcnt(0)
	v_cndmask_b32_e32 v12, 0, v12, vcc
	v_cmp_gt_u32_e32 vcc, 56, v34
	v_add_u32_e32 v11, v11, v12
	v_cndmask_b32_e64 v12, 0, 1, vcc
	v_lshlrev_b32_e32 v12, 3, v12
	v_add_lshl_u32 v40, v12, v27, 2
	ds_bpermute_b32 v12, v40, v11
	v_cmp_le_u32_e32 vcc, v41, v9
	s_waitcnt lgkmcnt(0)
	v_cndmask_b32_e32 v12, 0, v12, vcc
	v_cmp_gt_u32_e32 vcc, 48, v34
	v_add_u32_e32 v11, v11, v12
	v_cndmask_b32_e64 v12, 0, 1, vcc
	v_lshlrev_b32_e32 v12, 4, v12
	v_add_lshl_u32 v42, v12, v27, 2
	ds_bpermute_b32 v12, v42, v11
	v_cmp_le_u32_e32 vcc, v43, v9
	;; [unrolled: 9-line block ×3, first 2 shown]
	s_waitcnt lgkmcnt(0)
	v_cndmask_b32_e32 v9, 0, v12, vcc
	v_add_u32_e32 v12, v11, v9
	v_mov_b32_e32 v11, 0
	s_branch .LBB419_52
.LBB419_51:                             ;   in Loop: Header=BB419_52 Depth=1
	s_or_b64 exec, exec, s[38:39]
	v_cmp_eq_u16_sdwa s[38:39], v13, v33 src0_sel:BYTE_0 src1_sel:DWORD
	v_and_b32_e32 v16, s39, v15
	v_or_b32_e32 v16, 0x80000000, v16
	ds_bpermute_b32 v46, v35, v12
	v_and_b32_e32 v17, s38, v14
	v_ffbl_b32_e32 v16, v16
	v_add_u32_e32 v16, 32, v16
	v_ffbl_b32_e32 v17, v17
	v_min_u32_e32 v16, v17, v16
	v_cmp_lt_u32_e32 vcc, v34, v16
	s_waitcnt lgkmcnt(0)
	v_cndmask_b32_e32 v17, 0, v46, vcc
	v_add_u32_e32 v12, v17, v12
	ds_bpermute_b32 v17, v36, v12
	v_cmp_le_u32_e32 vcc, v37, v16
	v_subrev_u32_e32 v10, 64, v10
	s_waitcnt lgkmcnt(0)
	v_cndmask_b32_e32 v17, 0, v17, vcc
	v_add_u32_e32 v12, v12, v17
	ds_bpermute_b32 v17, v38, v12
	v_cmp_le_u32_e32 vcc, v39, v16
	s_waitcnt lgkmcnt(0)
	v_cndmask_b32_e32 v17, 0, v17, vcc
	v_add_u32_e32 v12, v12, v17
	ds_bpermute_b32 v17, v40, v12
	v_cmp_le_u32_e32 vcc, v41, v16
	;; [unrolled: 5-line block ×4, first 2 shown]
	s_waitcnt lgkmcnt(0)
	v_cndmask_b32_e32 v16, 0, v17, vcc
	v_add3_u32 v12, v16, v9, v12
.LBB419_52:                             ; =>This Loop Header: Depth=1
                                        ;     Child Loop BB419_55 Depth 2
	v_cmp_ne_u16_sdwa s[38:39], v13, v33 src0_sel:BYTE_0 src1_sel:DWORD
	v_cndmask_b32_e64 v9, 0, 1, s[38:39]
	;;#ASMSTART
	;;#ASMEND
	v_cmp_ne_u32_e32 vcc, 0, v9
	s_cmp_lg_u64 vcc, exec
	v_mov_b32_e32 v9, v12
	s_cbranch_scc1 .LBB419_57
; %bb.53:                               ;   in Loop: Header=BB419_52 Depth=1
	v_lshlrev_b64 v[12:13], 3, v[10:11]
	v_mov_b32_e32 v17, s35
	v_add_co_u32_e32 v16, vcc, s34, v12
	v_addc_co_u32_e32 v17, vcc, v17, v13, vcc
	global_load_dwordx2 v[12:13], v[16:17], off glc
	s_waitcnt vmcnt(0)
	v_cmp_eq_u16_sdwa s[40:41], v13, v11 src0_sel:BYTE_0 src1_sel:DWORD
	s_and_saveexec_b64 s[38:39], s[40:41]
	s_cbranch_execz .LBB419_51
; %bb.54:                               ;   in Loop: Header=BB419_52 Depth=1
	s_mov_b64 s[40:41], 0
.LBB419_55:                             ;   Parent Loop BB419_52 Depth=1
                                        ; =>  This Inner Loop Header: Depth=2
	global_load_dwordx2 v[12:13], v[16:17], off glc
	s_waitcnt vmcnt(0)
	v_cmp_ne_u16_sdwa s[42:43], v13, v11 src0_sel:BYTE_0 src1_sel:DWORD
	s_or_b64 s[40:41], s[42:43], s[40:41]
	s_andn2_b64 exec, exec, s[40:41]
	s_cbranch_execnz .LBB419_55
; %bb.56:                               ;   in Loop: Header=BB419_52 Depth=1
	s_or_b64 exec, exec, s[40:41]
	s_branch .LBB419_51
.LBB419_57:                             ;   in Loop: Header=BB419_52 Depth=1
                                        ; implicit-def: $vgpr12
                                        ; implicit-def: $vgpr13
	s_cbranch_execz .LBB419_52
; %bb.58:
	s_and_saveexec_b64 s[38:39], s[16:17]
	s_cbranch_execz .LBB419_60
; %bb.59:
	s_add_i32 s6, s6, 64
	s_mov_b32 s7, 0
	s_lshl_b64 s[6:7], s[6:7], 3
	s_add_u32 s6, s34, s6
	v_add_u32_e32 v10, v9, v8
	v_mov_b32_e32 v11, 2
	s_addc_u32 s7, s35, s7
	v_mov_b32_e32 v12, 0
	global_store_dwordx2 v12, v[10:11], s[6:7]
	ds_write_b64 v12, v[8:9] offset:7168
.LBB419_60:
	s_or_b64 exec, exec, s[38:39]
	v_cmp_eq_u32_e32 vcc, 0, v0
	s_and_b64 exec, exec, vcc
	s_cbranch_execz .LBB419_62
; %bb.61:
	v_mov_b32_e32 v8, 0
	ds_write_b32 v8, v9 offset:12
.LBB419_62:
	s_or_b64 exec, exec, s[36:37]
	v_mov_b32_e32 v8, 0
	s_waitcnt lgkmcnt(0)
	s_barrier
	ds_read_b32 v9, v8 offset:12
	v_cndmask_b32_e64 v10, v32, v31, s[16:17]
	v_cmp_ne_u32_e32 vcc, 0, v0
	v_cndmask_b32_e32 v10, 0, v10, vcc
	s_waitcnt lgkmcnt(0)
	v_add_u32_e32 v16, v9, v10
	v_add_u32_e32 v15, v16, v26
	;; [unrolled: 1-line block ×3, first 2 shown]
	s_barrier
	ds_read_b64 v[8:9], v8 offset:7168
	v_add_u32_e32 v12, v14, v24
	v_add_u32_e32 v13, v12, v23
	;; [unrolled: 1-line block ×4, first 2 shown]
	s_branch .LBB419_73
.LBB419_63:
                                        ; implicit-def: $vgpr9
                                        ; implicit-def: $vgpr10
                                        ; implicit-def: $vgpr11
                                        ; implicit-def: $vgpr13
                                        ; implicit-def: $vgpr12
                                        ; implicit-def: $vgpr14
                                        ; implicit-def: $vgpr15
                                        ; implicit-def: $vgpr16
	s_cbranch_execz .LBB419_73
; %bb.64:
	s_waitcnt lgkmcnt(0)
	v_mov_b32_dpp v8, v30 row_shr:1 row_mask:0xf bank_mask:0xf
	v_cndmask_b32_e64 v8, v8, 0, s[14:15]
	v_add_u32_e32 v8, v8, v30
	s_nop 1
	v_mov_b32_dpp v9, v8 row_shr:2 row_mask:0xf bank_mask:0xf
	v_cndmask_b32_e64 v9, 0, v9, s[12:13]
	v_add_u32_e32 v8, v8, v9
	s_nop 1
	;; [unrolled: 4-line block ×4, first 2 shown]
	v_mov_b32_dpp v9, v8 row_bcast:15 row_mask:0xf bank_mask:0xf
	v_cndmask_b32_e64 v9, v9, 0, s[18:19]
	v_add_u32_e32 v8, v8, v9
	s_nop 1
	v_mov_b32_dpp v9, v8 row_bcast:31 row_mask:0xf bank_mask:0xf
	v_cndmask_b32_e64 v9, 0, v9, s[0:1]
	v_add_u32_e32 v8, v8, v9
	s_and_saveexec_b64 s[0:1], s[2:3]
	s_cbranch_execz .LBB419_66
; %bb.65:
	v_lshlrev_b32_e32 v9, 2, v29
	ds_write_b32 v9, v8
.LBB419_66:
	s_or_b64 exec, exec, s[0:1]
	v_cmp_gt_u32_e32 vcc, 4, v0
	s_waitcnt lgkmcnt(0)
	s_barrier
	s_and_saveexec_b64 s[0:1], vcc
	s_cbranch_execz .LBB419_68
; %bb.67:
	v_mad_i32_i24 v9, v0, -3, v28
	ds_read_b32 v10, v9
	v_and_b32_e32 v11, 3, v27
	v_cmp_ne_u32_e32 vcc, 0, v11
	s_waitcnt lgkmcnt(0)
	v_mov_b32_dpp v12, v10 row_shr:1 row_mask:0xf bank_mask:0xf
	v_cndmask_b32_e32 v12, 0, v12, vcc
	v_add_u32_e32 v10, v12, v10
	v_cmp_lt_u32_e32 vcc, 1, v11
	s_nop 0
	v_mov_b32_dpp v12, v10 row_shr:2 row_mask:0xf bank_mask:0xf
	v_cndmask_b32_e32 v11, 0, v12, vcc
	v_add_u32_e32 v10, v10, v11
	ds_write_b32 v9, v10
.LBB419_68:
	s_or_b64 exec, exec, s[0:1]
	v_cmp_lt_u32_e32 vcc, 63, v0
	v_mov_b32_e32 v9, 0
	v_mov_b32_e32 v10, 0
	s_waitcnt lgkmcnt(0)
	s_barrier
	s_and_saveexec_b64 s[0:1], vcc
	s_cbranch_execz .LBB419_70
; %bb.69:
	v_lshl_add_u32 v10, v29, 2, -4
	ds_read_b32 v10, v10
.LBB419_70:
	s_or_b64 exec, exec, s[0:1]
	v_add_u32_e32 v11, -1, v27
	v_and_b32_e32 v12, 64, v27
	v_cmp_lt_i32_e32 vcc, v11, v12
	v_cndmask_b32_e32 v11, v11, v27, vcc
	s_waitcnt lgkmcnt(0)
	v_add_u32_e32 v8, v10, v8
	v_lshlrev_b32_e32 v11, 2, v11
	ds_bpermute_b32 v11, v11, v8
	ds_read_b32 v8, v9 offset:12
	v_cmp_eq_u32_e32 vcc, 0, v0
	s_and_saveexec_b64 s[0:1], vcc
	s_cbranch_execz .LBB419_72
; %bb.71:
	v_mov_b32_e32 v12, 0
	v_mov_b32_e32 v9, 2
	s_waitcnt lgkmcnt(0)
	global_store_dwordx2 v12, v[8:9], s[34:35] offset:512
.LBB419_72:
	s_or_b64 exec, exec, s[0:1]
	v_cmp_eq_u32_e64 s[0:1], 0, v27
	s_waitcnt lgkmcnt(1)
	v_cndmask_b32_e64 v10, v11, v10, s[0:1]
	v_cndmask_b32_e64 v16, v10, 0, vcc
	v_add_u32_e32 v15, v16, v26
	v_add_u32_e32 v14, v15, v25
	;; [unrolled: 1-line block ×5, first 2 shown]
	v_mov_b32_e32 v9, 0
	v_add_u32_e32 v10, v11, v21
	s_waitcnt lgkmcnt(0)
	s_barrier
.LBB419_73:
	s_waitcnt lgkmcnt(0)
	v_add_u32_e32 v17, v8, v19
	v_sub_u32_e32 v16, v16, v9
	v_sub_u32_e32 v19, v17, v16
	v_cmp_eq_u32_e32 vcc, 1, v26
	v_cndmask_b32_e32 v16, v19, v16, vcc
	v_lshlrev_b32_e32 v16, 2, v16
	ds_write_b32 v16, v6
	v_sub_u32_e32 v6, v15, v9
	v_sub_u32_e32 v15, v17, v6
	v_add_u32_e32 v15, 1, v15
	v_cmp_eq_u32_e32 vcc, 1, v25
	v_cndmask_b32_e32 v6, v15, v6, vcc
	v_lshlrev_b32_e32 v6, 2, v6
	ds_write_b32 v6, v7
	v_sub_u32_e32 v6, v14, v9
	v_sub_u32_e32 v7, v17, v6
	v_add_u32_e32 v7, 2, v7
	;; [unrolled: 7-line block ×6, first 2 shown]
	v_cmp_eq_u32_e32 vcc, 1, v20
	v_cndmask_b32_e32 v2, v3, v2, vcc
	v_lshlrev_b32_e32 v2, 2, v2
	ds_write_b32 v2, v18
	v_mov_b32_e32 v2, s31
	v_add_co_u32_e32 v22, vcc, s30, v9
	v_addc_co_u32_e32 v23, vcc, 0, v2, vcc
	s_load_dwordx4 s[0:3], s[4:5], 0x30
	v_add_co_u32_e32 v2, vcc, v22, v8
	v_addc_co_u32_e32 v3, vcc, 0, v23, vcc
	v_mov_b32_e32 v9, s27
	v_sub_co_u32_e32 v24, vcc, s26, v2
	v_subb_co_u32_e32 v25, vcc, v9, v3, vcc
	v_lshlrev_b64 v[24:25], 2, v[24:25]
	s_waitcnt lgkmcnt(0)
	s_barrier
	ds_read2st64_b32 v[10:11], v1 offset1:4
	ds_read2st64_b32 v[6:7], v1 offset0:8 offset1:12
	ds_read2st64_b32 v[4:5], v1 offset0:16 offset1:20
	ds_read_b32 v12, v1 offset:6144
	v_mov_b32_e32 v9, s3
	v_add_co_u32_e32 v15, vcc, s2, v24
	v_addc_co_u32_e32 v16, vcc, v9, v25, vcc
	v_mov_b32_e32 v18, s29
	v_add_co_u32_e32 v9, vcc, s28, v15
	v_lshlrev_b64 v[22:23], 2, v[22:23]
	v_addc_co_u32_e32 v15, vcc, v16, v18, vcc
	v_mov_b32_e32 v18, s1
	v_add_co_u32_e64 v16, s[0:1], s0, v22
	v_or_b32_e32 v21, 0x100, v0
	v_or_b32_e32 v20, 0x200, v0
	v_or_b32_e32 v19, 0x300, v0
	v_or_b32_e32 v17, 0x400, v0
	v_or_b32_e32 v14, 0x500, v0
	v_or_b32_e32 v13, 0x600, v0
	s_andn2_b64 vcc, exec, s[24:25]
	v_addc_co_u32_e64 v18, s[0:1], v18, v23, s[0:1]
	s_cbranch_vccnz .LBB419_75
; %bb.74:
	v_cmp_gt_u32_e32 vcc, v8, v0
	v_cndmask_b32_e32 v22, v9, v16, vcc
	v_cndmask_b32_e32 v23, v15, v18, vcc
	v_add_co_u32_e32 v22, vcc, v22, v1
	v_addc_co_u32_e32 v23, vcc, 0, v23, vcc
	v_cmp_lt_u32_e32 vcc, v21, v8
	s_waitcnt lgkmcnt(3)
	global_store_dword v[22:23], v10, off
	v_cndmask_b32_e32 v22, v9, v16, vcc
	v_cndmask_b32_e32 v23, v15, v18, vcc
	v_add_co_u32_e32 v22, vcc, v22, v1
	v_addc_co_u32_e32 v23, vcc, 0, v23, vcc
	v_cmp_lt_u32_e32 vcc, v20, v8
	global_store_dword v[22:23], v11, off offset:1024
	v_cndmask_b32_e32 v22, v9, v16, vcc
	v_cndmask_b32_e32 v23, v15, v18, vcc
	v_add_co_u32_e32 v22, vcc, v22, v1
	v_addc_co_u32_e32 v23, vcc, 0, v23, vcc
	v_cmp_lt_u32_e32 vcc, v19, v8
	s_waitcnt lgkmcnt(2)
	global_store_dword v[22:23], v6, off offset:2048
	v_cndmask_b32_e32 v22, v9, v16, vcc
	v_cndmask_b32_e32 v23, v15, v18, vcc
	v_add_co_u32_e32 v22, vcc, v22, v1
	v_addc_co_u32_e32 v23, vcc, 0, v23, vcc
	v_cmp_lt_u32_e32 vcc, v17, v8
	global_store_dword v[22:23], v7, off offset:3072
	v_cndmask_b32_e32 v22, v9, v16, vcc
	v_lshlrev_b32_e32 v24, 2, v17
	v_cndmask_b32_e32 v23, v15, v18, vcc
	v_add_co_u32_e32 v22, vcc, v22, v24
	v_addc_co_u32_e32 v23, vcc, 0, v23, vcc
	v_cmp_lt_u32_e32 vcc, v14, v8
	s_waitcnt lgkmcnt(1)
	global_store_dword v[22:23], v4, off
	v_cndmask_b32_e32 v22, v9, v16, vcc
	v_lshlrev_b32_e32 v24, 2, v14
	v_cndmask_b32_e32 v23, v15, v18, vcc
	v_add_co_u32_e32 v22, vcc, v22, v24
	v_addc_co_u32_e32 v23, vcc, 0, v23, vcc
	s_mov_b64 s[0:1], -1
	global_store_dword v[22:23], v5, off
	s_cbranch_execz .LBB419_76
	s_branch .LBB419_84
.LBB419_75:
	s_mov_b64 s[0:1], 0
.LBB419_76:
	v_cmp_gt_u32_e32 vcc, s33, v0
	s_and_saveexec_b64 s[0:1], vcc
	s_cbranch_execnz .LBB419_89
; %bb.77:
	s_or_b64 exec, exec, s[0:1]
	v_cmp_gt_u32_e32 vcc, s33, v21
	s_and_saveexec_b64 s[0:1], vcc
	s_cbranch_execnz .LBB419_90
.LBB419_78:
	s_or_b64 exec, exec, s[0:1]
	v_cmp_gt_u32_e32 vcc, s33, v20
	s_and_saveexec_b64 s[0:1], vcc
	s_cbranch_execnz .LBB419_91
.LBB419_79:
	s_or_b64 exec, exec, s[0:1]
	v_cmp_gt_u32_e32 vcc, s33, v19
	s_and_saveexec_b64 s[0:1], vcc
	s_cbranch_execnz .LBB419_92
.LBB419_80:
	s_or_b64 exec, exec, s[0:1]
	v_cmp_gt_u32_e32 vcc, s33, v17
	s_and_saveexec_b64 s[0:1], vcc
	s_cbranch_execnz .LBB419_93
.LBB419_81:
	s_or_b64 exec, exec, s[0:1]
	v_cmp_gt_u32_e32 vcc, s33, v14
	s_and_saveexec_b64 s[0:1], vcc
	s_cbranch_execz .LBB419_83
.LBB419_82:
	v_cmp_lt_u32_e32 vcc, v14, v8
	s_waitcnt lgkmcnt(1)
	v_cndmask_b32_e32 v4, v9, v16, vcc
	v_lshlrev_b32_e32 v6, 2, v14
	v_cndmask_b32_e32 v1, v15, v18, vcc
	v_add_co_u32_e32 v6, vcc, v4, v6
	v_addc_co_u32_e32 v7, vcc, 0, v1, vcc
	global_store_dword v[6:7], v5, off
.LBB419_83:
	s_or_b64 exec, exec, s[0:1]
	v_cmp_gt_u32_e64 s[0:1], s33, v13
.LBB419_84:
	s_and_saveexec_b64 s[2:3], s[0:1]
	s_cbranch_execz .LBB419_86
; %bb.85:
	v_cmp_lt_u32_e32 vcc, v13, v8
	s_waitcnt lgkmcnt(1)
	v_cndmask_b32_e32 v4, v9, v16, vcc
	v_lshlrev_b32_e32 v5, 2, v13
	v_cndmask_b32_e32 v1, v15, v18, vcc
	v_add_co_u32_e32 v4, vcc, v4, v5
	v_addc_co_u32_e32 v5, vcc, 0, v1, vcc
	s_waitcnt lgkmcnt(0)
	global_store_dword v[4:5], v12, off
.LBB419_86:
	s_or_b64 exec, exec, s[2:3]
	v_cmp_eq_u32_e32 vcc, 0, v0
	s_and_b64 s[0:1], vcc, s[22:23]
	s_and_saveexec_b64 s[2:3], s[0:1]
	s_cbranch_execz .LBB419_88
; %bb.87:
	v_mov_b32_e32 v0, 0
	global_store_dwordx2 v0, v[2:3], s[20:21]
.LBB419_88:
	s_endpgm
.LBB419_89:
	v_cmp_gt_u32_e32 vcc, v8, v0
	v_cndmask_b32_e32 v22, v9, v16, vcc
	v_cndmask_b32_e32 v23, v15, v18, vcc
	v_add_co_u32_e32 v22, vcc, v22, v1
	v_addc_co_u32_e32 v23, vcc, 0, v23, vcc
	s_waitcnt lgkmcnt(3)
	global_store_dword v[22:23], v10, off
	s_or_b64 exec, exec, s[0:1]
	v_cmp_gt_u32_e32 vcc, s33, v21
	s_and_saveexec_b64 s[0:1], vcc
	s_cbranch_execz .LBB419_78
.LBB419_90:
	v_cmp_lt_u32_e32 vcc, v21, v8
	v_cndmask_b32_e32 v21, v9, v16, vcc
	s_waitcnt lgkmcnt(3)
	v_cndmask_b32_e32 v10, v15, v18, vcc
	v_add_co_u32_e32 v22, vcc, v21, v1
	v_addc_co_u32_e32 v23, vcc, 0, v10, vcc
	global_store_dword v[22:23], v11, off offset:1024
	s_or_b64 exec, exec, s[0:1]
	v_cmp_gt_u32_e32 vcc, s33, v20
	s_and_saveexec_b64 s[0:1], vcc
	s_cbranch_execz .LBB419_79
.LBB419_91:
	v_cmp_lt_u32_e32 vcc, v20, v8
	s_waitcnt lgkmcnt(3)
	v_cndmask_b32_e32 v10, v9, v16, vcc
	v_cndmask_b32_e32 v11, v15, v18, vcc
	v_add_co_u32_e32 v10, vcc, v10, v1
	v_addc_co_u32_e32 v11, vcc, 0, v11, vcc
	s_waitcnt lgkmcnt(2)
	global_store_dword v[10:11], v6, off offset:2048
	s_or_b64 exec, exec, s[0:1]
	v_cmp_gt_u32_e32 vcc, s33, v19
	s_and_saveexec_b64 s[0:1], vcc
	s_cbranch_execz .LBB419_80
.LBB419_92:
	v_cmp_lt_u32_e32 vcc, v19, v8
	s_waitcnt lgkmcnt(3)
	v_cndmask_b32_e32 v10, v9, v16, vcc
	s_waitcnt lgkmcnt(2)
	v_cndmask_b32_e32 v6, v15, v18, vcc
	v_add_co_u32_e32 v10, vcc, v10, v1
	v_addc_co_u32_e32 v11, vcc, 0, v6, vcc
	global_store_dword v[10:11], v7, off offset:3072
	s_or_b64 exec, exec, s[0:1]
	v_cmp_gt_u32_e32 vcc, s33, v17
	s_and_saveexec_b64 s[0:1], vcc
	s_cbranch_execz .LBB419_81
.LBB419_93:
	v_cmp_lt_u32_e32 vcc, v17, v8
	s_waitcnt lgkmcnt(2)
	v_cndmask_b32_e32 v6, v9, v16, vcc
	v_lshlrev_b32_e32 v7, 2, v17
	v_cndmask_b32_e32 v1, v15, v18, vcc
	v_add_co_u32_e32 v6, vcc, v6, v7
	v_addc_co_u32_e32 v7, vcc, 0, v1, vcc
	s_waitcnt lgkmcnt(1)
	global_store_dword v[6:7], v4, off
	s_or_b64 exec, exec, s[0:1]
	v_cmp_gt_u32_e32 vcc, s33, v14
	s_and_saveexec_b64 s[0:1], vcc
	s_cbranch_execnz .LBB419_82
	s_branch .LBB419_83
	.section	.rodata,"a",@progbits
	.p2align	6, 0x0
	.amdhsa_kernel _ZN7rocprim17ROCPRIM_400000_NS6detail17trampoline_kernelINS0_14default_configENS1_25partition_config_selectorILNS1_17partition_subalgoE1EiNS0_10empty_typeEbEEZZNS1_14partition_implILS5_1ELb0ES3_jN6thrust23THRUST_200600_302600_NS6detail15normal_iteratorINSA_10device_ptrIiEEEEPS6_NSA_18transform_iteratorI7is_evenIiESF_NSA_11use_defaultESK_EENS0_5tupleIJSF_SF_EEENSM_IJSG_SG_EEES6_PlJS6_EEE10hipError_tPvRmT3_T4_T5_T6_T7_T9_mT8_P12ihipStream_tbDpT10_ENKUlT_T0_E_clISt17integral_constantIbLb0EES19_EEDaS14_S15_EUlS14_E_NS1_11comp_targetILNS1_3genE4ELNS1_11target_archE910ELNS1_3gpuE8ELNS1_3repE0EEENS1_30default_config_static_selectorELNS0_4arch9wavefront6targetE1EEEvT1_
		.amdhsa_group_segment_fixed_size 7176
		.amdhsa_private_segment_fixed_size 0
		.amdhsa_kernarg_size 128
		.amdhsa_user_sgpr_count 6
		.amdhsa_user_sgpr_private_segment_buffer 1
		.amdhsa_user_sgpr_dispatch_ptr 0
		.amdhsa_user_sgpr_queue_ptr 0
		.amdhsa_user_sgpr_kernarg_segment_ptr 1
		.amdhsa_user_sgpr_dispatch_id 0
		.amdhsa_user_sgpr_flat_scratch_init 0
		.amdhsa_user_sgpr_kernarg_preload_length 0
		.amdhsa_user_sgpr_kernarg_preload_offset 0
		.amdhsa_user_sgpr_private_segment_size 0
		.amdhsa_uses_dynamic_stack 0
		.amdhsa_system_sgpr_private_segment_wavefront_offset 0
		.amdhsa_system_sgpr_workgroup_id_x 1
		.amdhsa_system_sgpr_workgroup_id_y 0
		.amdhsa_system_sgpr_workgroup_id_z 0
		.amdhsa_system_sgpr_workgroup_info 0
		.amdhsa_system_vgpr_workitem_id 0
		.amdhsa_next_free_vgpr 47
		.amdhsa_next_free_sgpr 44
		.amdhsa_accum_offset 48
		.amdhsa_reserve_vcc 1
		.amdhsa_reserve_flat_scratch 0
		.amdhsa_float_round_mode_32 0
		.amdhsa_float_round_mode_16_64 0
		.amdhsa_float_denorm_mode_32 3
		.amdhsa_float_denorm_mode_16_64 3
		.amdhsa_dx10_clamp 1
		.amdhsa_ieee_mode 1
		.amdhsa_fp16_overflow 0
		.amdhsa_tg_split 0
		.amdhsa_exception_fp_ieee_invalid_op 0
		.amdhsa_exception_fp_denorm_src 0
		.amdhsa_exception_fp_ieee_div_zero 0
		.amdhsa_exception_fp_ieee_overflow 0
		.amdhsa_exception_fp_ieee_underflow 0
		.amdhsa_exception_fp_ieee_inexact 0
		.amdhsa_exception_int_div_zero 0
	.end_amdhsa_kernel
	.section	.text._ZN7rocprim17ROCPRIM_400000_NS6detail17trampoline_kernelINS0_14default_configENS1_25partition_config_selectorILNS1_17partition_subalgoE1EiNS0_10empty_typeEbEEZZNS1_14partition_implILS5_1ELb0ES3_jN6thrust23THRUST_200600_302600_NS6detail15normal_iteratorINSA_10device_ptrIiEEEEPS6_NSA_18transform_iteratorI7is_evenIiESF_NSA_11use_defaultESK_EENS0_5tupleIJSF_SF_EEENSM_IJSG_SG_EEES6_PlJS6_EEE10hipError_tPvRmT3_T4_T5_T6_T7_T9_mT8_P12ihipStream_tbDpT10_ENKUlT_T0_E_clISt17integral_constantIbLb0EES19_EEDaS14_S15_EUlS14_E_NS1_11comp_targetILNS1_3genE4ELNS1_11target_archE910ELNS1_3gpuE8ELNS1_3repE0EEENS1_30default_config_static_selectorELNS0_4arch9wavefront6targetE1EEEvT1_,"axG",@progbits,_ZN7rocprim17ROCPRIM_400000_NS6detail17trampoline_kernelINS0_14default_configENS1_25partition_config_selectorILNS1_17partition_subalgoE1EiNS0_10empty_typeEbEEZZNS1_14partition_implILS5_1ELb0ES3_jN6thrust23THRUST_200600_302600_NS6detail15normal_iteratorINSA_10device_ptrIiEEEEPS6_NSA_18transform_iteratorI7is_evenIiESF_NSA_11use_defaultESK_EENS0_5tupleIJSF_SF_EEENSM_IJSG_SG_EEES6_PlJS6_EEE10hipError_tPvRmT3_T4_T5_T6_T7_T9_mT8_P12ihipStream_tbDpT10_ENKUlT_T0_E_clISt17integral_constantIbLb0EES19_EEDaS14_S15_EUlS14_E_NS1_11comp_targetILNS1_3genE4ELNS1_11target_archE910ELNS1_3gpuE8ELNS1_3repE0EEENS1_30default_config_static_selectorELNS0_4arch9wavefront6targetE1EEEvT1_,comdat
.Lfunc_end419:
	.size	_ZN7rocprim17ROCPRIM_400000_NS6detail17trampoline_kernelINS0_14default_configENS1_25partition_config_selectorILNS1_17partition_subalgoE1EiNS0_10empty_typeEbEEZZNS1_14partition_implILS5_1ELb0ES3_jN6thrust23THRUST_200600_302600_NS6detail15normal_iteratorINSA_10device_ptrIiEEEEPS6_NSA_18transform_iteratorI7is_evenIiESF_NSA_11use_defaultESK_EENS0_5tupleIJSF_SF_EEENSM_IJSG_SG_EEES6_PlJS6_EEE10hipError_tPvRmT3_T4_T5_T6_T7_T9_mT8_P12ihipStream_tbDpT10_ENKUlT_T0_E_clISt17integral_constantIbLb0EES19_EEDaS14_S15_EUlS14_E_NS1_11comp_targetILNS1_3genE4ELNS1_11target_archE910ELNS1_3gpuE8ELNS1_3repE0EEENS1_30default_config_static_selectorELNS0_4arch9wavefront6targetE1EEEvT1_, .Lfunc_end419-_ZN7rocprim17ROCPRIM_400000_NS6detail17trampoline_kernelINS0_14default_configENS1_25partition_config_selectorILNS1_17partition_subalgoE1EiNS0_10empty_typeEbEEZZNS1_14partition_implILS5_1ELb0ES3_jN6thrust23THRUST_200600_302600_NS6detail15normal_iteratorINSA_10device_ptrIiEEEEPS6_NSA_18transform_iteratorI7is_evenIiESF_NSA_11use_defaultESK_EENS0_5tupleIJSF_SF_EEENSM_IJSG_SG_EEES6_PlJS6_EEE10hipError_tPvRmT3_T4_T5_T6_T7_T9_mT8_P12ihipStream_tbDpT10_ENKUlT_T0_E_clISt17integral_constantIbLb0EES19_EEDaS14_S15_EUlS14_E_NS1_11comp_targetILNS1_3genE4ELNS1_11target_archE910ELNS1_3gpuE8ELNS1_3repE0EEENS1_30default_config_static_selectorELNS0_4arch9wavefront6targetE1EEEvT1_
                                        ; -- End function
	.section	.AMDGPU.csdata,"",@progbits
; Kernel info:
; codeLenInByte = 4616
; NumSgprs: 48
; NumVgprs: 47
; NumAgprs: 0
; TotalNumVgprs: 47
; ScratchSize: 0
; MemoryBound: 0
; FloatMode: 240
; IeeeMode: 1
; LDSByteSize: 7176 bytes/workgroup (compile time only)
; SGPRBlocks: 5
; VGPRBlocks: 5
; NumSGPRsForWavesPerEU: 48
; NumVGPRsForWavesPerEU: 47
; AccumOffset: 48
; Occupancy: 8
; WaveLimiterHint : 1
; COMPUTE_PGM_RSRC2:SCRATCH_EN: 0
; COMPUTE_PGM_RSRC2:USER_SGPR: 6
; COMPUTE_PGM_RSRC2:TRAP_HANDLER: 0
; COMPUTE_PGM_RSRC2:TGID_X_EN: 1
; COMPUTE_PGM_RSRC2:TGID_Y_EN: 0
; COMPUTE_PGM_RSRC2:TGID_Z_EN: 0
; COMPUTE_PGM_RSRC2:TIDIG_COMP_CNT: 0
; COMPUTE_PGM_RSRC3_GFX90A:ACCUM_OFFSET: 11
; COMPUTE_PGM_RSRC3_GFX90A:TG_SPLIT: 0
	.section	.text._ZN7rocprim17ROCPRIM_400000_NS6detail17trampoline_kernelINS0_14default_configENS1_25partition_config_selectorILNS1_17partition_subalgoE1EiNS0_10empty_typeEbEEZZNS1_14partition_implILS5_1ELb0ES3_jN6thrust23THRUST_200600_302600_NS6detail15normal_iteratorINSA_10device_ptrIiEEEEPS6_NSA_18transform_iteratorI7is_evenIiESF_NSA_11use_defaultESK_EENS0_5tupleIJSF_SF_EEENSM_IJSG_SG_EEES6_PlJS6_EEE10hipError_tPvRmT3_T4_T5_T6_T7_T9_mT8_P12ihipStream_tbDpT10_ENKUlT_T0_E_clISt17integral_constantIbLb0EES19_EEDaS14_S15_EUlS14_E_NS1_11comp_targetILNS1_3genE3ELNS1_11target_archE908ELNS1_3gpuE7ELNS1_3repE0EEENS1_30default_config_static_selectorELNS0_4arch9wavefront6targetE1EEEvT1_,"axG",@progbits,_ZN7rocprim17ROCPRIM_400000_NS6detail17trampoline_kernelINS0_14default_configENS1_25partition_config_selectorILNS1_17partition_subalgoE1EiNS0_10empty_typeEbEEZZNS1_14partition_implILS5_1ELb0ES3_jN6thrust23THRUST_200600_302600_NS6detail15normal_iteratorINSA_10device_ptrIiEEEEPS6_NSA_18transform_iteratorI7is_evenIiESF_NSA_11use_defaultESK_EENS0_5tupleIJSF_SF_EEENSM_IJSG_SG_EEES6_PlJS6_EEE10hipError_tPvRmT3_T4_T5_T6_T7_T9_mT8_P12ihipStream_tbDpT10_ENKUlT_T0_E_clISt17integral_constantIbLb0EES19_EEDaS14_S15_EUlS14_E_NS1_11comp_targetILNS1_3genE3ELNS1_11target_archE908ELNS1_3gpuE7ELNS1_3repE0EEENS1_30default_config_static_selectorELNS0_4arch9wavefront6targetE1EEEvT1_,comdat
	.protected	_ZN7rocprim17ROCPRIM_400000_NS6detail17trampoline_kernelINS0_14default_configENS1_25partition_config_selectorILNS1_17partition_subalgoE1EiNS0_10empty_typeEbEEZZNS1_14partition_implILS5_1ELb0ES3_jN6thrust23THRUST_200600_302600_NS6detail15normal_iteratorINSA_10device_ptrIiEEEEPS6_NSA_18transform_iteratorI7is_evenIiESF_NSA_11use_defaultESK_EENS0_5tupleIJSF_SF_EEENSM_IJSG_SG_EEES6_PlJS6_EEE10hipError_tPvRmT3_T4_T5_T6_T7_T9_mT8_P12ihipStream_tbDpT10_ENKUlT_T0_E_clISt17integral_constantIbLb0EES19_EEDaS14_S15_EUlS14_E_NS1_11comp_targetILNS1_3genE3ELNS1_11target_archE908ELNS1_3gpuE7ELNS1_3repE0EEENS1_30default_config_static_selectorELNS0_4arch9wavefront6targetE1EEEvT1_ ; -- Begin function _ZN7rocprim17ROCPRIM_400000_NS6detail17trampoline_kernelINS0_14default_configENS1_25partition_config_selectorILNS1_17partition_subalgoE1EiNS0_10empty_typeEbEEZZNS1_14partition_implILS5_1ELb0ES3_jN6thrust23THRUST_200600_302600_NS6detail15normal_iteratorINSA_10device_ptrIiEEEEPS6_NSA_18transform_iteratorI7is_evenIiESF_NSA_11use_defaultESK_EENS0_5tupleIJSF_SF_EEENSM_IJSG_SG_EEES6_PlJS6_EEE10hipError_tPvRmT3_T4_T5_T6_T7_T9_mT8_P12ihipStream_tbDpT10_ENKUlT_T0_E_clISt17integral_constantIbLb0EES19_EEDaS14_S15_EUlS14_E_NS1_11comp_targetILNS1_3genE3ELNS1_11target_archE908ELNS1_3gpuE7ELNS1_3repE0EEENS1_30default_config_static_selectorELNS0_4arch9wavefront6targetE1EEEvT1_
	.globl	_ZN7rocprim17ROCPRIM_400000_NS6detail17trampoline_kernelINS0_14default_configENS1_25partition_config_selectorILNS1_17partition_subalgoE1EiNS0_10empty_typeEbEEZZNS1_14partition_implILS5_1ELb0ES3_jN6thrust23THRUST_200600_302600_NS6detail15normal_iteratorINSA_10device_ptrIiEEEEPS6_NSA_18transform_iteratorI7is_evenIiESF_NSA_11use_defaultESK_EENS0_5tupleIJSF_SF_EEENSM_IJSG_SG_EEES6_PlJS6_EEE10hipError_tPvRmT3_T4_T5_T6_T7_T9_mT8_P12ihipStream_tbDpT10_ENKUlT_T0_E_clISt17integral_constantIbLb0EES19_EEDaS14_S15_EUlS14_E_NS1_11comp_targetILNS1_3genE3ELNS1_11target_archE908ELNS1_3gpuE7ELNS1_3repE0EEENS1_30default_config_static_selectorELNS0_4arch9wavefront6targetE1EEEvT1_
	.p2align	8
	.type	_ZN7rocprim17ROCPRIM_400000_NS6detail17trampoline_kernelINS0_14default_configENS1_25partition_config_selectorILNS1_17partition_subalgoE1EiNS0_10empty_typeEbEEZZNS1_14partition_implILS5_1ELb0ES3_jN6thrust23THRUST_200600_302600_NS6detail15normal_iteratorINSA_10device_ptrIiEEEEPS6_NSA_18transform_iteratorI7is_evenIiESF_NSA_11use_defaultESK_EENS0_5tupleIJSF_SF_EEENSM_IJSG_SG_EEES6_PlJS6_EEE10hipError_tPvRmT3_T4_T5_T6_T7_T9_mT8_P12ihipStream_tbDpT10_ENKUlT_T0_E_clISt17integral_constantIbLb0EES19_EEDaS14_S15_EUlS14_E_NS1_11comp_targetILNS1_3genE3ELNS1_11target_archE908ELNS1_3gpuE7ELNS1_3repE0EEENS1_30default_config_static_selectorELNS0_4arch9wavefront6targetE1EEEvT1_,@function
_ZN7rocprim17ROCPRIM_400000_NS6detail17trampoline_kernelINS0_14default_configENS1_25partition_config_selectorILNS1_17partition_subalgoE1EiNS0_10empty_typeEbEEZZNS1_14partition_implILS5_1ELb0ES3_jN6thrust23THRUST_200600_302600_NS6detail15normal_iteratorINSA_10device_ptrIiEEEEPS6_NSA_18transform_iteratorI7is_evenIiESF_NSA_11use_defaultESK_EENS0_5tupleIJSF_SF_EEENSM_IJSG_SG_EEES6_PlJS6_EEE10hipError_tPvRmT3_T4_T5_T6_T7_T9_mT8_P12ihipStream_tbDpT10_ENKUlT_T0_E_clISt17integral_constantIbLb0EES19_EEDaS14_S15_EUlS14_E_NS1_11comp_targetILNS1_3genE3ELNS1_11target_archE908ELNS1_3gpuE7ELNS1_3repE0EEENS1_30default_config_static_selectorELNS0_4arch9wavefront6targetE1EEEvT1_: ; @_ZN7rocprim17ROCPRIM_400000_NS6detail17trampoline_kernelINS0_14default_configENS1_25partition_config_selectorILNS1_17partition_subalgoE1EiNS0_10empty_typeEbEEZZNS1_14partition_implILS5_1ELb0ES3_jN6thrust23THRUST_200600_302600_NS6detail15normal_iteratorINSA_10device_ptrIiEEEEPS6_NSA_18transform_iteratorI7is_evenIiESF_NSA_11use_defaultESK_EENS0_5tupleIJSF_SF_EEENSM_IJSG_SG_EEES6_PlJS6_EEE10hipError_tPvRmT3_T4_T5_T6_T7_T9_mT8_P12ihipStream_tbDpT10_ENKUlT_T0_E_clISt17integral_constantIbLb0EES19_EEDaS14_S15_EUlS14_E_NS1_11comp_targetILNS1_3genE3ELNS1_11target_archE908ELNS1_3gpuE7ELNS1_3repE0EEENS1_30default_config_static_selectorELNS0_4arch9wavefront6targetE1EEEvT1_
; %bb.0:
	.section	.rodata,"a",@progbits
	.p2align	6, 0x0
	.amdhsa_kernel _ZN7rocprim17ROCPRIM_400000_NS6detail17trampoline_kernelINS0_14default_configENS1_25partition_config_selectorILNS1_17partition_subalgoE1EiNS0_10empty_typeEbEEZZNS1_14partition_implILS5_1ELb0ES3_jN6thrust23THRUST_200600_302600_NS6detail15normal_iteratorINSA_10device_ptrIiEEEEPS6_NSA_18transform_iteratorI7is_evenIiESF_NSA_11use_defaultESK_EENS0_5tupleIJSF_SF_EEENSM_IJSG_SG_EEES6_PlJS6_EEE10hipError_tPvRmT3_T4_T5_T6_T7_T9_mT8_P12ihipStream_tbDpT10_ENKUlT_T0_E_clISt17integral_constantIbLb0EES19_EEDaS14_S15_EUlS14_E_NS1_11comp_targetILNS1_3genE3ELNS1_11target_archE908ELNS1_3gpuE7ELNS1_3repE0EEENS1_30default_config_static_selectorELNS0_4arch9wavefront6targetE1EEEvT1_
		.amdhsa_group_segment_fixed_size 0
		.amdhsa_private_segment_fixed_size 0
		.amdhsa_kernarg_size 128
		.amdhsa_user_sgpr_count 6
		.amdhsa_user_sgpr_private_segment_buffer 1
		.amdhsa_user_sgpr_dispatch_ptr 0
		.amdhsa_user_sgpr_queue_ptr 0
		.amdhsa_user_sgpr_kernarg_segment_ptr 1
		.amdhsa_user_sgpr_dispatch_id 0
		.amdhsa_user_sgpr_flat_scratch_init 0
		.amdhsa_user_sgpr_kernarg_preload_length 0
		.amdhsa_user_sgpr_kernarg_preload_offset 0
		.amdhsa_user_sgpr_private_segment_size 0
		.amdhsa_uses_dynamic_stack 0
		.amdhsa_system_sgpr_private_segment_wavefront_offset 0
		.amdhsa_system_sgpr_workgroup_id_x 1
		.amdhsa_system_sgpr_workgroup_id_y 0
		.amdhsa_system_sgpr_workgroup_id_z 0
		.amdhsa_system_sgpr_workgroup_info 0
		.amdhsa_system_vgpr_workitem_id 0
		.amdhsa_next_free_vgpr 1
		.amdhsa_next_free_sgpr 0
		.amdhsa_accum_offset 4
		.amdhsa_reserve_vcc 0
		.amdhsa_reserve_flat_scratch 0
		.amdhsa_float_round_mode_32 0
		.amdhsa_float_round_mode_16_64 0
		.amdhsa_float_denorm_mode_32 3
		.amdhsa_float_denorm_mode_16_64 3
		.amdhsa_dx10_clamp 1
		.amdhsa_ieee_mode 1
		.amdhsa_fp16_overflow 0
		.amdhsa_tg_split 0
		.amdhsa_exception_fp_ieee_invalid_op 0
		.amdhsa_exception_fp_denorm_src 0
		.amdhsa_exception_fp_ieee_div_zero 0
		.amdhsa_exception_fp_ieee_overflow 0
		.amdhsa_exception_fp_ieee_underflow 0
		.amdhsa_exception_fp_ieee_inexact 0
		.amdhsa_exception_int_div_zero 0
	.end_amdhsa_kernel
	.section	.text._ZN7rocprim17ROCPRIM_400000_NS6detail17trampoline_kernelINS0_14default_configENS1_25partition_config_selectorILNS1_17partition_subalgoE1EiNS0_10empty_typeEbEEZZNS1_14partition_implILS5_1ELb0ES3_jN6thrust23THRUST_200600_302600_NS6detail15normal_iteratorINSA_10device_ptrIiEEEEPS6_NSA_18transform_iteratorI7is_evenIiESF_NSA_11use_defaultESK_EENS0_5tupleIJSF_SF_EEENSM_IJSG_SG_EEES6_PlJS6_EEE10hipError_tPvRmT3_T4_T5_T6_T7_T9_mT8_P12ihipStream_tbDpT10_ENKUlT_T0_E_clISt17integral_constantIbLb0EES19_EEDaS14_S15_EUlS14_E_NS1_11comp_targetILNS1_3genE3ELNS1_11target_archE908ELNS1_3gpuE7ELNS1_3repE0EEENS1_30default_config_static_selectorELNS0_4arch9wavefront6targetE1EEEvT1_,"axG",@progbits,_ZN7rocprim17ROCPRIM_400000_NS6detail17trampoline_kernelINS0_14default_configENS1_25partition_config_selectorILNS1_17partition_subalgoE1EiNS0_10empty_typeEbEEZZNS1_14partition_implILS5_1ELb0ES3_jN6thrust23THRUST_200600_302600_NS6detail15normal_iteratorINSA_10device_ptrIiEEEEPS6_NSA_18transform_iteratorI7is_evenIiESF_NSA_11use_defaultESK_EENS0_5tupleIJSF_SF_EEENSM_IJSG_SG_EEES6_PlJS6_EEE10hipError_tPvRmT3_T4_T5_T6_T7_T9_mT8_P12ihipStream_tbDpT10_ENKUlT_T0_E_clISt17integral_constantIbLb0EES19_EEDaS14_S15_EUlS14_E_NS1_11comp_targetILNS1_3genE3ELNS1_11target_archE908ELNS1_3gpuE7ELNS1_3repE0EEENS1_30default_config_static_selectorELNS0_4arch9wavefront6targetE1EEEvT1_,comdat
.Lfunc_end420:
	.size	_ZN7rocprim17ROCPRIM_400000_NS6detail17trampoline_kernelINS0_14default_configENS1_25partition_config_selectorILNS1_17partition_subalgoE1EiNS0_10empty_typeEbEEZZNS1_14partition_implILS5_1ELb0ES3_jN6thrust23THRUST_200600_302600_NS6detail15normal_iteratorINSA_10device_ptrIiEEEEPS6_NSA_18transform_iteratorI7is_evenIiESF_NSA_11use_defaultESK_EENS0_5tupleIJSF_SF_EEENSM_IJSG_SG_EEES6_PlJS6_EEE10hipError_tPvRmT3_T4_T5_T6_T7_T9_mT8_P12ihipStream_tbDpT10_ENKUlT_T0_E_clISt17integral_constantIbLb0EES19_EEDaS14_S15_EUlS14_E_NS1_11comp_targetILNS1_3genE3ELNS1_11target_archE908ELNS1_3gpuE7ELNS1_3repE0EEENS1_30default_config_static_selectorELNS0_4arch9wavefront6targetE1EEEvT1_, .Lfunc_end420-_ZN7rocprim17ROCPRIM_400000_NS6detail17trampoline_kernelINS0_14default_configENS1_25partition_config_selectorILNS1_17partition_subalgoE1EiNS0_10empty_typeEbEEZZNS1_14partition_implILS5_1ELb0ES3_jN6thrust23THRUST_200600_302600_NS6detail15normal_iteratorINSA_10device_ptrIiEEEEPS6_NSA_18transform_iteratorI7is_evenIiESF_NSA_11use_defaultESK_EENS0_5tupleIJSF_SF_EEENSM_IJSG_SG_EEES6_PlJS6_EEE10hipError_tPvRmT3_T4_T5_T6_T7_T9_mT8_P12ihipStream_tbDpT10_ENKUlT_T0_E_clISt17integral_constantIbLb0EES19_EEDaS14_S15_EUlS14_E_NS1_11comp_targetILNS1_3genE3ELNS1_11target_archE908ELNS1_3gpuE7ELNS1_3repE0EEENS1_30default_config_static_selectorELNS0_4arch9wavefront6targetE1EEEvT1_
                                        ; -- End function
	.section	.AMDGPU.csdata,"",@progbits
; Kernel info:
; codeLenInByte = 0
; NumSgprs: 4
; NumVgprs: 0
; NumAgprs: 0
; TotalNumVgprs: 0
; ScratchSize: 0
; MemoryBound: 0
; FloatMode: 240
; IeeeMode: 1
; LDSByteSize: 0 bytes/workgroup (compile time only)
; SGPRBlocks: 0
; VGPRBlocks: 0
; NumSGPRsForWavesPerEU: 4
; NumVGPRsForWavesPerEU: 1
; AccumOffset: 4
; Occupancy: 8
; WaveLimiterHint : 0
; COMPUTE_PGM_RSRC2:SCRATCH_EN: 0
; COMPUTE_PGM_RSRC2:USER_SGPR: 6
; COMPUTE_PGM_RSRC2:TRAP_HANDLER: 0
; COMPUTE_PGM_RSRC2:TGID_X_EN: 1
; COMPUTE_PGM_RSRC2:TGID_Y_EN: 0
; COMPUTE_PGM_RSRC2:TGID_Z_EN: 0
; COMPUTE_PGM_RSRC2:TIDIG_COMP_CNT: 0
; COMPUTE_PGM_RSRC3_GFX90A:ACCUM_OFFSET: 0
; COMPUTE_PGM_RSRC3_GFX90A:TG_SPLIT: 0
	.section	.text._ZN7rocprim17ROCPRIM_400000_NS6detail17trampoline_kernelINS0_14default_configENS1_25partition_config_selectorILNS1_17partition_subalgoE1EiNS0_10empty_typeEbEEZZNS1_14partition_implILS5_1ELb0ES3_jN6thrust23THRUST_200600_302600_NS6detail15normal_iteratorINSA_10device_ptrIiEEEEPS6_NSA_18transform_iteratorI7is_evenIiESF_NSA_11use_defaultESK_EENS0_5tupleIJSF_SF_EEENSM_IJSG_SG_EEES6_PlJS6_EEE10hipError_tPvRmT3_T4_T5_T6_T7_T9_mT8_P12ihipStream_tbDpT10_ENKUlT_T0_E_clISt17integral_constantIbLb0EES19_EEDaS14_S15_EUlS14_E_NS1_11comp_targetILNS1_3genE2ELNS1_11target_archE906ELNS1_3gpuE6ELNS1_3repE0EEENS1_30default_config_static_selectorELNS0_4arch9wavefront6targetE1EEEvT1_,"axG",@progbits,_ZN7rocprim17ROCPRIM_400000_NS6detail17trampoline_kernelINS0_14default_configENS1_25partition_config_selectorILNS1_17partition_subalgoE1EiNS0_10empty_typeEbEEZZNS1_14partition_implILS5_1ELb0ES3_jN6thrust23THRUST_200600_302600_NS6detail15normal_iteratorINSA_10device_ptrIiEEEEPS6_NSA_18transform_iteratorI7is_evenIiESF_NSA_11use_defaultESK_EENS0_5tupleIJSF_SF_EEENSM_IJSG_SG_EEES6_PlJS6_EEE10hipError_tPvRmT3_T4_T5_T6_T7_T9_mT8_P12ihipStream_tbDpT10_ENKUlT_T0_E_clISt17integral_constantIbLb0EES19_EEDaS14_S15_EUlS14_E_NS1_11comp_targetILNS1_3genE2ELNS1_11target_archE906ELNS1_3gpuE6ELNS1_3repE0EEENS1_30default_config_static_selectorELNS0_4arch9wavefront6targetE1EEEvT1_,comdat
	.protected	_ZN7rocprim17ROCPRIM_400000_NS6detail17trampoline_kernelINS0_14default_configENS1_25partition_config_selectorILNS1_17partition_subalgoE1EiNS0_10empty_typeEbEEZZNS1_14partition_implILS5_1ELb0ES3_jN6thrust23THRUST_200600_302600_NS6detail15normal_iteratorINSA_10device_ptrIiEEEEPS6_NSA_18transform_iteratorI7is_evenIiESF_NSA_11use_defaultESK_EENS0_5tupleIJSF_SF_EEENSM_IJSG_SG_EEES6_PlJS6_EEE10hipError_tPvRmT3_T4_T5_T6_T7_T9_mT8_P12ihipStream_tbDpT10_ENKUlT_T0_E_clISt17integral_constantIbLb0EES19_EEDaS14_S15_EUlS14_E_NS1_11comp_targetILNS1_3genE2ELNS1_11target_archE906ELNS1_3gpuE6ELNS1_3repE0EEENS1_30default_config_static_selectorELNS0_4arch9wavefront6targetE1EEEvT1_ ; -- Begin function _ZN7rocprim17ROCPRIM_400000_NS6detail17trampoline_kernelINS0_14default_configENS1_25partition_config_selectorILNS1_17partition_subalgoE1EiNS0_10empty_typeEbEEZZNS1_14partition_implILS5_1ELb0ES3_jN6thrust23THRUST_200600_302600_NS6detail15normal_iteratorINSA_10device_ptrIiEEEEPS6_NSA_18transform_iteratorI7is_evenIiESF_NSA_11use_defaultESK_EENS0_5tupleIJSF_SF_EEENSM_IJSG_SG_EEES6_PlJS6_EEE10hipError_tPvRmT3_T4_T5_T6_T7_T9_mT8_P12ihipStream_tbDpT10_ENKUlT_T0_E_clISt17integral_constantIbLb0EES19_EEDaS14_S15_EUlS14_E_NS1_11comp_targetILNS1_3genE2ELNS1_11target_archE906ELNS1_3gpuE6ELNS1_3repE0EEENS1_30default_config_static_selectorELNS0_4arch9wavefront6targetE1EEEvT1_
	.globl	_ZN7rocprim17ROCPRIM_400000_NS6detail17trampoline_kernelINS0_14default_configENS1_25partition_config_selectorILNS1_17partition_subalgoE1EiNS0_10empty_typeEbEEZZNS1_14partition_implILS5_1ELb0ES3_jN6thrust23THRUST_200600_302600_NS6detail15normal_iteratorINSA_10device_ptrIiEEEEPS6_NSA_18transform_iteratorI7is_evenIiESF_NSA_11use_defaultESK_EENS0_5tupleIJSF_SF_EEENSM_IJSG_SG_EEES6_PlJS6_EEE10hipError_tPvRmT3_T4_T5_T6_T7_T9_mT8_P12ihipStream_tbDpT10_ENKUlT_T0_E_clISt17integral_constantIbLb0EES19_EEDaS14_S15_EUlS14_E_NS1_11comp_targetILNS1_3genE2ELNS1_11target_archE906ELNS1_3gpuE6ELNS1_3repE0EEENS1_30default_config_static_selectorELNS0_4arch9wavefront6targetE1EEEvT1_
	.p2align	8
	.type	_ZN7rocprim17ROCPRIM_400000_NS6detail17trampoline_kernelINS0_14default_configENS1_25partition_config_selectorILNS1_17partition_subalgoE1EiNS0_10empty_typeEbEEZZNS1_14partition_implILS5_1ELb0ES3_jN6thrust23THRUST_200600_302600_NS6detail15normal_iteratorINSA_10device_ptrIiEEEEPS6_NSA_18transform_iteratorI7is_evenIiESF_NSA_11use_defaultESK_EENS0_5tupleIJSF_SF_EEENSM_IJSG_SG_EEES6_PlJS6_EEE10hipError_tPvRmT3_T4_T5_T6_T7_T9_mT8_P12ihipStream_tbDpT10_ENKUlT_T0_E_clISt17integral_constantIbLb0EES19_EEDaS14_S15_EUlS14_E_NS1_11comp_targetILNS1_3genE2ELNS1_11target_archE906ELNS1_3gpuE6ELNS1_3repE0EEENS1_30default_config_static_selectorELNS0_4arch9wavefront6targetE1EEEvT1_,@function
_ZN7rocprim17ROCPRIM_400000_NS6detail17trampoline_kernelINS0_14default_configENS1_25partition_config_selectorILNS1_17partition_subalgoE1EiNS0_10empty_typeEbEEZZNS1_14partition_implILS5_1ELb0ES3_jN6thrust23THRUST_200600_302600_NS6detail15normal_iteratorINSA_10device_ptrIiEEEEPS6_NSA_18transform_iteratorI7is_evenIiESF_NSA_11use_defaultESK_EENS0_5tupleIJSF_SF_EEENSM_IJSG_SG_EEES6_PlJS6_EEE10hipError_tPvRmT3_T4_T5_T6_T7_T9_mT8_P12ihipStream_tbDpT10_ENKUlT_T0_E_clISt17integral_constantIbLb0EES19_EEDaS14_S15_EUlS14_E_NS1_11comp_targetILNS1_3genE2ELNS1_11target_archE906ELNS1_3gpuE6ELNS1_3repE0EEENS1_30default_config_static_selectorELNS0_4arch9wavefront6targetE1EEEvT1_: ; @_ZN7rocprim17ROCPRIM_400000_NS6detail17trampoline_kernelINS0_14default_configENS1_25partition_config_selectorILNS1_17partition_subalgoE1EiNS0_10empty_typeEbEEZZNS1_14partition_implILS5_1ELb0ES3_jN6thrust23THRUST_200600_302600_NS6detail15normal_iteratorINSA_10device_ptrIiEEEEPS6_NSA_18transform_iteratorI7is_evenIiESF_NSA_11use_defaultESK_EENS0_5tupleIJSF_SF_EEENSM_IJSG_SG_EEES6_PlJS6_EEE10hipError_tPvRmT3_T4_T5_T6_T7_T9_mT8_P12ihipStream_tbDpT10_ENKUlT_T0_E_clISt17integral_constantIbLb0EES19_EEDaS14_S15_EUlS14_E_NS1_11comp_targetILNS1_3genE2ELNS1_11target_archE906ELNS1_3gpuE6ELNS1_3repE0EEENS1_30default_config_static_selectorELNS0_4arch9wavefront6targetE1EEEvT1_
; %bb.0:
	.section	.rodata,"a",@progbits
	.p2align	6, 0x0
	.amdhsa_kernel _ZN7rocprim17ROCPRIM_400000_NS6detail17trampoline_kernelINS0_14default_configENS1_25partition_config_selectorILNS1_17partition_subalgoE1EiNS0_10empty_typeEbEEZZNS1_14partition_implILS5_1ELb0ES3_jN6thrust23THRUST_200600_302600_NS6detail15normal_iteratorINSA_10device_ptrIiEEEEPS6_NSA_18transform_iteratorI7is_evenIiESF_NSA_11use_defaultESK_EENS0_5tupleIJSF_SF_EEENSM_IJSG_SG_EEES6_PlJS6_EEE10hipError_tPvRmT3_T4_T5_T6_T7_T9_mT8_P12ihipStream_tbDpT10_ENKUlT_T0_E_clISt17integral_constantIbLb0EES19_EEDaS14_S15_EUlS14_E_NS1_11comp_targetILNS1_3genE2ELNS1_11target_archE906ELNS1_3gpuE6ELNS1_3repE0EEENS1_30default_config_static_selectorELNS0_4arch9wavefront6targetE1EEEvT1_
		.amdhsa_group_segment_fixed_size 0
		.amdhsa_private_segment_fixed_size 0
		.amdhsa_kernarg_size 128
		.amdhsa_user_sgpr_count 6
		.amdhsa_user_sgpr_private_segment_buffer 1
		.amdhsa_user_sgpr_dispatch_ptr 0
		.amdhsa_user_sgpr_queue_ptr 0
		.amdhsa_user_sgpr_kernarg_segment_ptr 1
		.amdhsa_user_sgpr_dispatch_id 0
		.amdhsa_user_sgpr_flat_scratch_init 0
		.amdhsa_user_sgpr_kernarg_preload_length 0
		.amdhsa_user_sgpr_kernarg_preload_offset 0
		.amdhsa_user_sgpr_private_segment_size 0
		.amdhsa_uses_dynamic_stack 0
		.amdhsa_system_sgpr_private_segment_wavefront_offset 0
		.amdhsa_system_sgpr_workgroup_id_x 1
		.amdhsa_system_sgpr_workgroup_id_y 0
		.amdhsa_system_sgpr_workgroup_id_z 0
		.amdhsa_system_sgpr_workgroup_info 0
		.amdhsa_system_vgpr_workitem_id 0
		.amdhsa_next_free_vgpr 1
		.amdhsa_next_free_sgpr 0
		.amdhsa_accum_offset 4
		.amdhsa_reserve_vcc 0
		.amdhsa_reserve_flat_scratch 0
		.amdhsa_float_round_mode_32 0
		.amdhsa_float_round_mode_16_64 0
		.amdhsa_float_denorm_mode_32 3
		.amdhsa_float_denorm_mode_16_64 3
		.amdhsa_dx10_clamp 1
		.amdhsa_ieee_mode 1
		.amdhsa_fp16_overflow 0
		.amdhsa_tg_split 0
		.amdhsa_exception_fp_ieee_invalid_op 0
		.amdhsa_exception_fp_denorm_src 0
		.amdhsa_exception_fp_ieee_div_zero 0
		.amdhsa_exception_fp_ieee_overflow 0
		.amdhsa_exception_fp_ieee_underflow 0
		.amdhsa_exception_fp_ieee_inexact 0
		.amdhsa_exception_int_div_zero 0
	.end_amdhsa_kernel
	.section	.text._ZN7rocprim17ROCPRIM_400000_NS6detail17trampoline_kernelINS0_14default_configENS1_25partition_config_selectorILNS1_17partition_subalgoE1EiNS0_10empty_typeEbEEZZNS1_14partition_implILS5_1ELb0ES3_jN6thrust23THRUST_200600_302600_NS6detail15normal_iteratorINSA_10device_ptrIiEEEEPS6_NSA_18transform_iteratorI7is_evenIiESF_NSA_11use_defaultESK_EENS0_5tupleIJSF_SF_EEENSM_IJSG_SG_EEES6_PlJS6_EEE10hipError_tPvRmT3_T4_T5_T6_T7_T9_mT8_P12ihipStream_tbDpT10_ENKUlT_T0_E_clISt17integral_constantIbLb0EES19_EEDaS14_S15_EUlS14_E_NS1_11comp_targetILNS1_3genE2ELNS1_11target_archE906ELNS1_3gpuE6ELNS1_3repE0EEENS1_30default_config_static_selectorELNS0_4arch9wavefront6targetE1EEEvT1_,"axG",@progbits,_ZN7rocprim17ROCPRIM_400000_NS6detail17trampoline_kernelINS0_14default_configENS1_25partition_config_selectorILNS1_17partition_subalgoE1EiNS0_10empty_typeEbEEZZNS1_14partition_implILS5_1ELb0ES3_jN6thrust23THRUST_200600_302600_NS6detail15normal_iteratorINSA_10device_ptrIiEEEEPS6_NSA_18transform_iteratorI7is_evenIiESF_NSA_11use_defaultESK_EENS0_5tupleIJSF_SF_EEENSM_IJSG_SG_EEES6_PlJS6_EEE10hipError_tPvRmT3_T4_T5_T6_T7_T9_mT8_P12ihipStream_tbDpT10_ENKUlT_T0_E_clISt17integral_constantIbLb0EES19_EEDaS14_S15_EUlS14_E_NS1_11comp_targetILNS1_3genE2ELNS1_11target_archE906ELNS1_3gpuE6ELNS1_3repE0EEENS1_30default_config_static_selectorELNS0_4arch9wavefront6targetE1EEEvT1_,comdat
.Lfunc_end421:
	.size	_ZN7rocprim17ROCPRIM_400000_NS6detail17trampoline_kernelINS0_14default_configENS1_25partition_config_selectorILNS1_17partition_subalgoE1EiNS0_10empty_typeEbEEZZNS1_14partition_implILS5_1ELb0ES3_jN6thrust23THRUST_200600_302600_NS6detail15normal_iteratorINSA_10device_ptrIiEEEEPS6_NSA_18transform_iteratorI7is_evenIiESF_NSA_11use_defaultESK_EENS0_5tupleIJSF_SF_EEENSM_IJSG_SG_EEES6_PlJS6_EEE10hipError_tPvRmT3_T4_T5_T6_T7_T9_mT8_P12ihipStream_tbDpT10_ENKUlT_T0_E_clISt17integral_constantIbLb0EES19_EEDaS14_S15_EUlS14_E_NS1_11comp_targetILNS1_3genE2ELNS1_11target_archE906ELNS1_3gpuE6ELNS1_3repE0EEENS1_30default_config_static_selectorELNS0_4arch9wavefront6targetE1EEEvT1_, .Lfunc_end421-_ZN7rocprim17ROCPRIM_400000_NS6detail17trampoline_kernelINS0_14default_configENS1_25partition_config_selectorILNS1_17partition_subalgoE1EiNS0_10empty_typeEbEEZZNS1_14partition_implILS5_1ELb0ES3_jN6thrust23THRUST_200600_302600_NS6detail15normal_iteratorINSA_10device_ptrIiEEEEPS6_NSA_18transform_iteratorI7is_evenIiESF_NSA_11use_defaultESK_EENS0_5tupleIJSF_SF_EEENSM_IJSG_SG_EEES6_PlJS6_EEE10hipError_tPvRmT3_T4_T5_T6_T7_T9_mT8_P12ihipStream_tbDpT10_ENKUlT_T0_E_clISt17integral_constantIbLb0EES19_EEDaS14_S15_EUlS14_E_NS1_11comp_targetILNS1_3genE2ELNS1_11target_archE906ELNS1_3gpuE6ELNS1_3repE0EEENS1_30default_config_static_selectorELNS0_4arch9wavefront6targetE1EEEvT1_
                                        ; -- End function
	.section	.AMDGPU.csdata,"",@progbits
; Kernel info:
; codeLenInByte = 0
; NumSgprs: 4
; NumVgprs: 0
; NumAgprs: 0
; TotalNumVgprs: 0
; ScratchSize: 0
; MemoryBound: 0
; FloatMode: 240
; IeeeMode: 1
; LDSByteSize: 0 bytes/workgroup (compile time only)
; SGPRBlocks: 0
; VGPRBlocks: 0
; NumSGPRsForWavesPerEU: 4
; NumVGPRsForWavesPerEU: 1
; AccumOffset: 4
; Occupancy: 8
; WaveLimiterHint : 0
; COMPUTE_PGM_RSRC2:SCRATCH_EN: 0
; COMPUTE_PGM_RSRC2:USER_SGPR: 6
; COMPUTE_PGM_RSRC2:TRAP_HANDLER: 0
; COMPUTE_PGM_RSRC2:TGID_X_EN: 1
; COMPUTE_PGM_RSRC2:TGID_Y_EN: 0
; COMPUTE_PGM_RSRC2:TGID_Z_EN: 0
; COMPUTE_PGM_RSRC2:TIDIG_COMP_CNT: 0
; COMPUTE_PGM_RSRC3_GFX90A:ACCUM_OFFSET: 0
; COMPUTE_PGM_RSRC3_GFX90A:TG_SPLIT: 0
	.section	.text._ZN7rocprim17ROCPRIM_400000_NS6detail17trampoline_kernelINS0_14default_configENS1_25partition_config_selectorILNS1_17partition_subalgoE1EiNS0_10empty_typeEbEEZZNS1_14partition_implILS5_1ELb0ES3_jN6thrust23THRUST_200600_302600_NS6detail15normal_iteratorINSA_10device_ptrIiEEEEPS6_NSA_18transform_iteratorI7is_evenIiESF_NSA_11use_defaultESK_EENS0_5tupleIJSF_SF_EEENSM_IJSG_SG_EEES6_PlJS6_EEE10hipError_tPvRmT3_T4_T5_T6_T7_T9_mT8_P12ihipStream_tbDpT10_ENKUlT_T0_E_clISt17integral_constantIbLb0EES19_EEDaS14_S15_EUlS14_E_NS1_11comp_targetILNS1_3genE10ELNS1_11target_archE1200ELNS1_3gpuE4ELNS1_3repE0EEENS1_30default_config_static_selectorELNS0_4arch9wavefront6targetE1EEEvT1_,"axG",@progbits,_ZN7rocprim17ROCPRIM_400000_NS6detail17trampoline_kernelINS0_14default_configENS1_25partition_config_selectorILNS1_17partition_subalgoE1EiNS0_10empty_typeEbEEZZNS1_14partition_implILS5_1ELb0ES3_jN6thrust23THRUST_200600_302600_NS6detail15normal_iteratorINSA_10device_ptrIiEEEEPS6_NSA_18transform_iteratorI7is_evenIiESF_NSA_11use_defaultESK_EENS0_5tupleIJSF_SF_EEENSM_IJSG_SG_EEES6_PlJS6_EEE10hipError_tPvRmT3_T4_T5_T6_T7_T9_mT8_P12ihipStream_tbDpT10_ENKUlT_T0_E_clISt17integral_constantIbLb0EES19_EEDaS14_S15_EUlS14_E_NS1_11comp_targetILNS1_3genE10ELNS1_11target_archE1200ELNS1_3gpuE4ELNS1_3repE0EEENS1_30default_config_static_selectorELNS0_4arch9wavefront6targetE1EEEvT1_,comdat
	.protected	_ZN7rocprim17ROCPRIM_400000_NS6detail17trampoline_kernelINS0_14default_configENS1_25partition_config_selectorILNS1_17partition_subalgoE1EiNS0_10empty_typeEbEEZZNS1_14partition_implILS5_1ELb0ES3_jN6thrust23THRUST_200600_302600_NS6detail15normal_iteratorINSA_10device_ptrIiEEEEPS6_NSA_18transform_iteratorI7is_evenIiESF_NSA_11use_defaultESK_EENS0_5tupleIJSF_SF_EEENSM_IJSG_SG_EEES6_PlJS6_EEE10hipError_tPvRmT3_T4_T5_T6_T7_T9_mT8_P12ihipStream_tbDpT10_ENKUlT_T0_E_clISt17integral_constantIbLb0EES19_EEDaS14_S15_EUlS14_E_NS1_11comp_targetILNS1_3genE10ELNS1_11target_archE1200ELNS1_3gpuE4ELNS1_3repE0EEENS1_30default_config_static_selectorELNS0_4arch9wavefront6targetE1EEEvT1_ ; -- Begin function _ZN7rocprim17ROCPRIM_400000_NS6detail17trampoline_kernelINS0_14default_configENS1_25partition_config_selectorILNS1_17partition_subalgoE1EiNS0_10empty_typeEbEEZZNS1_14partition_implILS5_1ELb0ES3_jN6thrust23THRUST_200600_302600_NS6detail15normal_iteratorINSA_10device_ptrIiEEEEPS6_NSA_18transform_iteratorI7is_evenIiESF_NSA_11use_defaultESK_EENS0_5tupleIJSF_SF_EEENSM_IJSG_SG_EEES6_PlJS6_EEE10hipError_tPvRmT3_T4_T5_T6_T7_T9_mT8_P12ihipStream_tbDpT10_ENKUlT_T0_E_clISt17integral_constantIbLb0EES19_EEDaS14_S15_EUlS14_E_NS1_11comp_targetILNS1_3genE10ELNS1_11target_archE1200ELNS1_3gpuE4ELNS1_3repE0EEENS1_30default_config_static_selectorELNS0_4arch9wavefront6targetE1EEEvT1_
	.globl	_ZN7rocprim17ROCPRIM_400000_NS6detail17trampoline_kernelINS0_14default_configENS1_25partition_config_selectorILNS1_17partition_subalgoE1EiNS0_10empty_typeEbEEZZNS1_14partition_implILS5_1ELb0ES3_jN6thrust23THRUST_200600_302600_NS6detail15normal_iteratorINSA_10device_ptrIiEEEEPS6_NSA_18transform_iteratorI7is_evenIiESF_NSA_11use_defaultESK_EENS0_5tupleIJSF_SF_EEENSM_IJSG_SG_EEES6_PlJS6_EEE10hipError_tPvRmT3_T4_T5_T6_T7_T9_mT8_P12ihipStream_tbDpT10_ENKUlT_T0_E_clISt17integral_constantIbLb0EES19_EEDaS14_S15_EUlS14_E_NS1_11comp_targetILNS1_3genE10ELNS1_11target_archE1200ELNS1_3gpuE4ELNS1_3repE0EEENS1_30default_config_static_selectorELNS0_4arch9wavefront6targetE1EEEvT1_
	.p2align	8
	.type	_ZN7rocprim17ROCPRIM_400000_NS6detail17trampoline_kernelINS0_14default_configENS1_25partition_config_selectorILNS1_17partition_subalgoE1EiNS0_10empty_typeEbEEZZNS1_14partition_implILS5_1ELb0ES3_jN6thrust23THRUST_200600_302600_NS6detail15normal_iteratorINSA_10device_ptrIiEEEEPS6_NSA_18transform_iteratorI7is_evenIiESF_NSA_11use_defaultESK_EENS0_5tupleIJSF_SF_EEENSM_IJSG_SG_EEES6_PlJS6_EEE10hipError_tPvRmT3_T4_T5_T6_T7_T9_mT8_P12ihipStream_tbDpT10_ENKUlT_T0_E_clISt17integral_constantIbLb0EES19_EEDaS14_S15_EUlS14_E_NS1_11comp_targetILNS1_3genE10ELNS1_11target_archE1200ELNS1_3gpuE4ELNS1_3repE0EEENS1_30default_config_static_selectorELNS0_4arch9wavefront6targetE1EEEvT1_,@function
_ZN7rocprim17ROCPRIM_400000_NS6detail17trampoline_kernelINS0_14default_configENS1_25partition_config_selectorILNS1_17partition_subalgoE1EiNS0_10empty_typeEbEEZZNS1_14partition_implILS5_1ELb0ES3_jN6thrust23THRUST_200600_302600_NS6detail15normal_iteratorINSA_10device_ptrIiEEEEPS6_NSA_18transform_iteratorI7is_evenIiESF_NSA_11use_defaultESK_EENS0_5tupleIJSF_SF_EEENSM_IJSG_SG_EEES6_PlJS6_EEE10hipError_tPvRmT3_T4_T5_T6_T7_T9_mT8_P12ihipStream_tbDpT10_ENKUlT_T0_E_clISt17integral_constantIbLb0EES19_EEDaS14_S15_EUlS14_E_NS1_11comp_targetILNS1_3genE10ELNS1_11target_archE1200ELNS1_3gpuE4ELNS1_3repE0EEENS1_30default_config_static_selectorELNS0_4arch9wavefront6targetE1EEEvT1_: ; @_ZN7rocprim17ROCPRIM_400000_NS6detail17trampoline_kernelINS0_14default_configENS1_25partition_config_selectorILNS1_17partition_subalgoE1EiNS0_10empty_typeEbEEZZNS1_14partition_implILS5_1ELb0ES3_jN6thrust23THRUST_200600_302600_NS6detail15normal_iteratorINSA_10device_ptrIiEEEEPS6_NSA_18transform_iteratorI7is_evenIiESF_NSA_11use_defaultESK_EENS0_5tupleIJSF_SF_EEENSM_IJSG_SG_EEES6_PlJS6_EEE10hipError_tPvRmT3_T4_T5_T6_T7_T9_mT8_P12ihipStream_tbDpT10_ENKUlT_T0_E_clISt17integral_constantIbLb0EES19_EEDaS14_S15_EUlS14_E_NS1_11comp_targetILNS1_3genE10ELNS1_11target_archE1200ELNS1_3gpuE4ELNS1_3repE0EEENS1_30default_config_static_selectorELNS0_4arch9wavefront6targetE1EEEvT1_
; %bb.0:
	.section	.rodata,"a",@progbits
	.p2align	6, 0x0
	.amdhsa_kernel _ZN7rocprim17ROCPRIM_400000_NS6detail17trampoline_kernelINS0_14default_configENS1_25partition_config_selectorILNS1_17partition_subalgoE1EiNS0_10empty_typeEbEEZZNS1_14partition_implILS5_1ELb0ES3_jN6thrust23THRUST_200600_302600_NS6detail15normal_iteratorINSA_10device_ptrIiEEEEPS6_NSA_18transform_iteratorI7is_evenIiESF_NSA_11use_defaultESK_EENS0_5tupleIJSF_SF_EEENSM_IJSG_SG_EEES6_PlJS6_EEE10hipError_tPvRmT3_T4_T5_T6_T7_T9_mT8_P12ihipStream_tbDpT10_ENKUlT_T0_E_clISt17integral_constantIbLb0EES19_EEDaS14_S15_EUlS14_E_NS1_11comp_targetILNS1_3genE10ELNS1_11target_archE1200ELNS1_3gpuE4ELNS1_3repE0EEENS1_30default_config_static_selectorELNS0_4arch9wavefront6targetE1EEEvT1_
		.amdhsa_group_segment_fixed_size 0
		.amdhsa_private_segment_fixed_size 0
		.amdhsa_kernarg_size 128
		.amdhsa_user_sgpr_count 6
		.amdhsa_user_sgpr_private_segment_buffer 1
		.amdhsa_user_sgpr_dispatch_ptr 0
		.amdhsa_user_sgpr_queue_ptr 0
		.amdhsa_user_sgpr_kernarg_segment_ptr 1
		.amdhsa_user_sgpr_dispatch_id 0
		.amdhsa_user_sgpr_flat_scratch_init 0
		.amdhsa_user_sgpr_kernarg_preload_length 0
		.amdhsa_user_sgpr_kernarg_preload_offset 0
		.amdhsa_user_sgpr_private_segment_size 0
		.amdhsa_uses_dynamic_stack 0
		.amdhsa_system_sgpr_private_segment_wavefront_offset 0
		.amdhsa_system_sgpr_workgroup_id_x 1
		.amdhsa_system_sgpr_workgroup_id_y 0
		.amdhsa_system_sgpr_workgroup_id_z 0
		.amdhsa_system_sgpr_workgroup_info 0
		.amdhsa_system_vgpr_workitem_id 0
		.amdhsa_next_free_vgpr 1
		.amdhsa_next_free_sgpr 0
		.amdhsa_accum_offset 4
		.amdhsa_reserve_vcc 0
		.amdhsa_reserve_flat_scratch 0
		.amdhsa_float_round_mode_32 0
		.amdhsa_float_round_mode_16_64 0
		.amdhsa_float_denorm_mode_32 3
		.amdhsa_float_denorm_mode_16_64 3
		.amdhsa_dx10_clamp 1
		.amdhsa_ieee_mode 1
		.amdhsa_fp16_overflow 0
		.amdhsa_tg_split 0
		.amdhsa_exception_fp_ieee_invalid_op 0
		.amdhsa_exception_fp_denorm_src 0
		.amdhsa_exception_fp_ieee_div_zero 0
		.amdhsa_exception_fp_ieee_overflow 0
		.amdhsa_exception_fp_ieee_underflow 0
		.amdhsa_exception_fp_ieee_inexact 0
		.amdhsa_exception_int_div_zero 0
	.end_amdhsa_kernel
	.section	.text._ZN7rocprim17ROCPRIM_400000_NS6detail17trampoline_kernelINS0_14default_configENS1_25partition_config_selectorILNS1_17partition_subalgoE1EiNS0_10empty_typeEbEEZZNS1_14partition_implILS5_1ELb0ES3_jN6thrust23THRUST_200600_302600_NS6detail15normal_iteratorINSA_10device_ptrIiEEEEPS6_NSA_18transform_iteratorI7is_evenIiESF_NSA_11use_defaultESK_EENS0_5tupleIJSF_SF_EEENSM_IJSG_SG_EEES6_PlJS6_EEE10hipError_tPvRmT3_T4_T5_T6_T7_T9_mT8_P12ihipStream_tbDpT10_ENKUlT_T0_E_clISt17integral_constantIbLb0EES19_EEDaS14_S15_EUlS14_E_NS1_11comp_targetILNS1_3genE10ELNS1_11target_archE1200ELNS1_3gpuE4ELNS1_3repE0EEENS1_30default_config_static_selectorELNS0_4arch9wavefront6targetE1EEEvT1_,"axG",@progbits,_ZN7rocprim17ROCPRIM_400000_NS6detail17trampoline_kernelINS0_14default_configENS1_25partition_config_selectorILNS1_17partition_subalgoE1EiNS0_10empty_typeEbEEZZNS1_14partition_implILS5_1ELb0ES3_jN6thrust23THRUST_200600_302600_NS6detail15normal_iteratorINSA_10device_ptrIiEEEEPS6_NSA_18transform_iteratorI7is_evenIiESF_NSA_11use_defaultESK_EENS0_5tupleIJSF_SF_EEENSM_IJSG_SG_EEES6_PlJS6_EEE10hipError_tPvRmT3_T4_T5_T6_T7_T9_mT8_P12ihipStream_tbDpT10_ENKUlT_T0_E_clISt17integral_constantIbLb0EES19_EEDaS14_S15_EUlS14_E_NS1_11comp_targetILNS1_3genE10ELNS1_11target_archE1200ELNS1_3gpuE4ELNS1_3repE0EEENS1_30default_config_static_selectorELNS0_4arch9wavefront6targetE1EEEvT1_,comdat
.Lfunc_end422:
	.size	_ZN7rocprim17ROCPRIM_400000_NS6detail17trampoline_kernelINS0_14default_configENS1_25partition_config_selectorILNS1_17partition_subalgoE1EiNS0_10empty_typeEbEEZZNS1_14partition_implILS5_1ELb0ES3_jN6thrust23THRUST_200600_302600_NS6detail15normal_iteratorINSA_10device_ptrIiEEEEPS6_NSA_18transform_iteratorI7is_evenIiESF_NSA_11use_defaultESK_EENS0_5tupleIJSF_SF_EEENSM_IJSG_SG_EEES6_PlJS6_EEE10hipError_tPvRmT3_T4_T5_T6_T7_T9_mT8_P12ihipStream_tbDpT10_ENKUlT_T0_E_clISt17integral_constantIbLb0EES19_EEDaS14_S15_EUlS14_E_NS1_11comp_targetILNS1_3genE10ELNS1_11target_archE1200ELNS1_3gpuE4ELNS1_3repE0EEENS1_30default_config_static_selectorELNS0_4arch9wavefront6targetE1EEEvT1_, .Lfunc_end422-_ZN7rocprim17ROCPRIM_400000_NS6detail17trampoline_kernelINS0_14default_configENS1_25partition_config_selectorILNS1_17partition_subalgoE1EiNS0_10empty_typeEbEEZZNS1_14partition_implILS5_1ELb0ES3_jN6thrust23THRUST_200600_302600_NS6detail15normal_iteratorINSA_10device_ptrIiEEEEPS6_NSA_18transform_iteratorI7is_evenIiESF_NSA_11use_defaultESK_EENS0_5tupleIJSF_SF_EEENSM_IJSG_SG_EEES6_PlJS6_EEE10hipError_tPvRmT3_T4_T5_T6_T7_T9_mT8_P12ihipStream_tbDpT10_ENKUlT_T0_E_clISt17integral_constantIbLb0EES19_EEDaS14_S15_EUlS14_E_NS1_11comp_targetILNS1_3genE10ELNS1_11target_archE1200ELNS1_3gpuE4ELNS1_3repE0EEENS1_30default_config_static_selectorELNS0_4arch9wavefront6targetE1EEEvT1_
                                        ; -- End function
	.section	.AMDGPU.csdata,"",@progbits
; Kernel info:
; codeLenInByte = 0
; NumSgprs: 4
; NumVgprs: 0
; NumAgprs: 0
; TotalNumVgprs: 0
; ScratchSize: 0
; MemoryBound: 0
; FloatMode: 240
; IeeeMode: 1
; LDSByteSize: 0 bytes/workgroup (compile time only)
; SGPRBlocks: 0
; VGPRBlocks: 0
; NumSGPRsForWavesPerEU: 4
; NumVGPRsForWavesPerEU: 1
; AccumOffset: 4
; Occupancy: 8
; WaveLimiterHint : 0
; COMPUTE_PGM_RSRC2:SCRATCH_EN: 0
; COMPUTE_PGM_RSRC2:USER_SGPR: 6
; COMPUTE_PGM_RSRC2:TRAP_HANDLER: 0
; COMPUTE_PGM_RSRC2:TGID_X_EN: 1
; COMPUTE_PGM_RSRC2:TGID_Y_EN: 0
; COMPUTE_PGM_RSRC2:TGID_Z_EN: 0
; COMPUTE_PGM_RSRC2:TIDIG_COMP_CNT: 0
; COMPUTE_PGM_RSRC3_GFX90A:ACCUM_OFFSET: 0
; COMPUTE_PGM_RSRC3_GFX90A:TG_SPLIT: 0
	.section	.text._ZN7rocprim17ROCPRIM_400000_NS6detail17trampoline_kernelINS0_14default_configENS1_25partition_config_selectorILNS1_17partition_subalgoE1EiNS0_10empty_typeEbEEZZNS1_14partition_implILS5_1ELb0ES3_jN6thrust23THRUST_200600_302600_NS6detail15normal_iteratorINSA_10device_ptrIiEEEEPS6_NSA_18transform_iteratorI7is_evenIiESF_NSA_11use_defaultESK_EENS0_5tupleIJSF_SF_EEENSM_IJSG_SG_EEES6_PlJS6_EEE10hipError_tPvRmT3_T4_T5_T6_T7_T9_mT8_P12ihipStream_tbDpT10_ENKUlT_T0_E_clISt17integral_constantIbLb0EES19_EEDaS14_S15_EUlS14_E_NS1_11comp_targetILNS1_3genE9ELNS1_11target_archE1100ELNS1_3gpuE3ELNS1_3repE0EEENS1_30default_config_static_selectorELNS0_4arch9wavefront6targetE1EEEvT1_,"axG",@progbits,_ZN7rocprim17ROCPRIM_400000_NS6detail17trampoline_kernelINS0_14default_configENS1_25partition_config_selectorILNS1_17partition_subalgoE1EiNS0_10empty_typeEbEEZZNS1_14partition_implILS5_1ELb0ES3_jN6thrust23THRUST_200600_302600_NS6detail15normal_iteratorINSA_10device_ptrIiEEEEPS6_NSA_18transform_iteratorI7is_evenIiESF_NSA_11use_defaultESK_EENS0_5tupleIJSF_SF_EEENSM_IJSG_SG_EEES6_PlJS6_EEE10hipError_tPvRmT3_T4_T5_T6_T7_T9_mT8_P12ihipStream_tbDpT10_ENKUlT_T0_E_clISt17integral_constantIbLb0EES19_EEDaS14_S15_EUlS14_E_NS1_11comp_targetILNS1_3genE9ELNS1_11target_archE1100ELNS1_3gpuE3ELNS1_3repE0EEENS1_30default_config_static_selectorELNS0_4arch9wavefront6targetE1EEEvT1_,comdat
	.protected	_ZN7rocprim17ROCPRIM_400000_NS6detail17trampoline_kernelINS0_14default_configENS1_25partition_config_selectorILNS1_17partition_subalgoE1EiNS0_10empty_typeEbEEZZNS1_14partition_implILS5_1ELb0ES3_jN6thrust23THRUST_200600_302600_NS6detail15normal_iteratorINSA_10device_ptrIiEEEEPS6_NSA_18transform_iteratorI7is_evenIiESF_NSA_11use_defaultESK_EENS0_5tupleIJSF_SF_EEENSM_IJSG_SG_EEES6_PlJS6_EEE10hipError_tPvRmT3_T4_T5_T6_T7_T9_mT8_P12ihipStream_tbDpT10_ENKUlT_T0_E_clISt17integral_constantIbLb0EES19_EEDaS14_S15_EUlS14_E_NS1_11comp_targetILNS1_3genE9ELNS1_11target_archE1100ELNS1_3gpuE3ELNS1_3repE0EEENS1_30default_config_static_selectorELNS0_4arch9wavefront6targetE1EEEvT1_ ; -- Begin function _ZN7rocprim17ROCPRIM_400000_NS6detail17trampoline_kernelINS0_14default_configENS1_25partition_config_selectorILNS1_17partition_subalgoE1EiNS0_10empty_typeEbEEZZNS1_14partition_implILS5_1ELb0ES3_jN6thrust23THRUST_200600_302600_NS6detail15normal_iteratorINSA_10device_ptrIiEEEEPS6_NSA_18transform_iteratorI7is_evenIiESF_NSA_11use_defaultESK_EENS0_5tupleIJSF_SF_EEENSM_IJSG_SG_EEES6_PlJS6_EEE10hipError_tPvRmT3_T4_T5_T6_T7_T9_mT8_P12ihipStream_tbDpT10_ENKUlT_T0_E_clISt17integral_constantIbLb0EES19_EEDaS14_S15_EUlS14_E_NS1_11comp_targetILNS1_3genE9ELNS1_11target_archE1100ELNS1_3gpuE3ELNS1_3repE0EEENS1_30default_config_static_selectorELNS0_4arch9wavefront6targetE1EEEvT1_
	.globl	_ZN7rocprim17ROCPRIM_400000_NS6detail17trampoline_kernelINS0_14default_configENS1_25partition_config_selectorILNS1_17partition_subalgoE1EiNS0_10empty_typeEbEEZZNS1_14partition_implILS5_1ELb0ES3_jN6thrust23THRUST_200600_302600_NS6detail15normal_iteratorINSA_10device_ptrIiEEEEPS6_NSA_18transform_iteratorI7is_evenIiESF_NSA_11use_defaultESK_EENS0_5tupleIJSF_SF_EEENSM_IJSG_SG_EEES6_PlJS6_EEE10hipError_tPvRmT3_T4_T5_T6_T7_T9_mT8_P12ihipStream_tbDpT10_ENKUlT_T0_E_clISt17integral_constantIbLb0EES19_EEDaS14_S15_EUlS14_E_NS1_11comp_targetILNS1_3genE9ELNS1_11target_archE1100ELNS1_3gpuE3ELNS1_3repE0EEENS1_30default_config_static_selectorELNS0_4arch9wavefront6targetE1EEEvT1_
	.p2align	8
	.type	_ZN7rocprim17ROCPRIM_400000_NS6detail17trampoline_kernelINS0_14default_configENS1_25partition_config_selectorILNS1_17partition_subalgoE1EiNS0_10empty_typeEbEEZZNS1_14partition_implILS5_1ELb0ES3_jN6thrust23THRUST_200600_302600_NS6detail15normal_iteratorINSA_10device_ptrIiEEEEPS6_NSA_18transform_iteratorI7is_evenIiESF_NSA_11use_defaultESK_EENS0_5tupleIJSF_SF_EEENSM_IJSG_SG_EEES6_PlJS6_EEE10hipError_tPvRmT3_T4_T5_T6_T7_T9_mT8_P12ihipStream_tbDpT10_ENKUlT_T0_E_clISt17integral_constantIbLb0EES19_EEDaS14_S15_EUlS14_E_NS1_11comp_targetILNS1_3genE9ELNS1_11target_archE1100ELNS1_3gpuE3ELNS1_3repE0EEENS1_30default_config_static_selectorELNS0_4arch9wavefront6targetE1EEEvT1_,@function
_ZN7rocprim17ROCPRIM_400000_NS6detail17trampoline_kernelINS0_14default_configENS1_25partition_config_selectorILNS1_17partition_subalgoE1EiNS0_10empty_typeEbEEZZNS1_14partition_implILS5_1ELb0ES3_jN6thrust23THRUST_200600_302600_NS6detail15normal_iteratorINSA_10device_ptrIiEEEEPS6_NSA_18transform_iteratorI7is_evenIiESF_NSA_11use_defaultESK_EENS0_5tupleIJSF_SF_EEENSM_IJSG_SG_EEES6_PlJS6_EEE10hipError_tPvRmT3_T4_T5_T6_T7_T9_mT8_P12ihipStream_tbDpT10_ENKUlT_T0_E_clISt17integral_constantIbLb0EES19_EEDaS14_S15_EUlS14_E_NS1_11comp_targetILNS1_3genE9ELNS1_11target_archE1100ELNS1_3gpuE3ELNS1_3repE0EEENS1_30default_config_static_selectorELNS0_4arch9wavefront6targetE1EEEvT1_: ; @_ZN7rocprim17ROCPRIM_400000_NS6detail17trampoline_kernelINS0_14default_configENS1_25partition_config_selectorILNS1_17partition_subalgoE1EiNS0_10empty_typeEbEEZZNS1_14partition_implILS5_1ELb0ES3_jN6thrust23THRUST_200600_302600_NS6detail15normal_iteratorINSA_10device_ptrIiEEEEPS6_NSA_18transform_iteratorI7is_evenIiESF_NSA_11use_defaultESK_EENS0_5tupleIJSF_SF_EEENSM_IJSG_SG_EEES6_PlJS6_EEE10hipError_tPvRmT3_T4_T5_T6_T7_T9_mT8_P12ihipStream_tbDpT10_ENKUlT_T0_E_clISt17integral_constantIbLb0EES19_EEDaS14_S15_EUlS14_E_NS1_11comp_targetILNS1_3genE9ELNS1_11target_archE1100ELNS1_3gpuE3ELNS1_3repE0EEENS1_30default_config_static_selectorELNS0_4arch9wavefront6targetE1EEEvT1_
; %bb.0:
	.section	.rodata,"a",@progbits
	.p2align	6, 0x0
	.amdhsa_kernel _ZN7rocprim17ROCPRIM_400000_NS6detail17trampoline_kernelINS0_14default_configENS1_25partition_config_selectorILNS1_17partition_subalgoE1EiNS0_10empty_typeEbEEZZNS1_14partition_implILS5_1ELb0ES3_jN6thrust23THRUST_200600_302600_NS6detail15normal_iteratorINSA_10device_ptrIiEEEEPS6_NSA_18transform_iteratorI7is_evenIiESF_NSA_11use_defaultESK_EENS0_5tupleIJSF_SF_EEENSM_IJSG_SG_EEES6_PlJS6_EEE10hipError_tPvRmT3_T4_T5_T6_T7_T9_mT8_P12ihipStream_tbDpT10_ENKUlT_T0_E_clISt17integral_constantIbLb0EES19_EEDaS14_S15_EUlS14_E_NS1_11comp_targetILNS1_3genE9ELNS1_11target_archE1100ELNS1_3gpuE3ELNS1_3repE0EEENS1_30default_config_static_selectorELNS0_4arch9wavefront6targetE1EEEvT1_
		.amdhsa_group_segment_fixed_size 0
		.amdhsa_private_segment_fixed_size 0
		.amdhsa_kernarg_size 128
		.amdhsa_user_sgpr_count 6
		.amdhsa_user_sgpr_private_segment_buffer 1
		.amdhsa_user_sgpr_dispatch_ptr 0
		.amdhsa_user_sgpr_queue_ptr 0
		.amdhsa_user_sgpr_kernarg_segment_ptr 1
		.amdhsa_user_sgpr_dispatch_id 0
		.amdhsa_user_sgpr_flat_scratch_init 0
		.amdhsa_user_sgpr_kernarg_preload_length 0
		.amdhsa_user_sgpr_kernarg_preload_offset 0
		.amdhsa_user_sgpr_private_segment_size 0
		.amdhsa_uses_dynamic_stack 0
		.amdhsa_system_sgpr_private_segment_wavefront_offset 0
		.amdhsa_system_sgpr_workgroup_id_x 1
		.amdhsa_system_sgpr_workgroup_id_y 0
		.amdhsa_system_sgpr_workgroup_id_z 0
		.amdhsa_system_sgpr_workgroup_info 0
		.amdhsa_system_vgpr_workitem_id 0
		.amdhsa_next_free_vgpr 1
		.amdhsa_next_free_sgpr 0
		.amdhsa_accum_offset 4
		.amdhsa_reserve_vcc 0
		.amdhsa_reserve_flat_scratch 0
		.amdhsa_float_round_mode_32 0
		.amdhsa_float_round_mode_16_64 0
		.amdhsa_float_denorm_mode_32 3
		.amdhsa_float_denorm_mode_16_64 3
		.amdhsa_dx10_clamp 1
		.amdhsa_ieee_mode 1
		.amdhsa_fp16_overflow 0
		.amdhsa_tg_split 0
		.amdhsa_exception_fp_ieee_invalid_op 0
		.amdhsa_exception_fp_denorm_src 0
		.amdhsa_exception_fp_ieee_div_zero 0
		.amdhsa_exception_fp_ieee_overflow 0
		.amdhsa_exception_fp_ieee_underflow 0
		.amdhsa_exception_fp_ieee_inexact 0
		.amdhsa_exception_int_div_zero 0
	.end_amdhsa_kernel
	.section	.text._ZN7rocprim17ROCPRIM_400000_NS6detail17trampoline_kernelINS0_14default_configENS1_25partition_config_selectorILNS1_17partition_subalgoE1EiNS0_10empty_typeEbEEZZNS1_14partition_implILS5_1ELb0ES3_jN6thrust23THRUST_200600_302600_NS6detail15normal_iteratorINSA_10device_ptrIiEEEEPS6_NSA_18transform_iteratorI7is_evenIiESF_NSA_11use_defaultESK_EENS0_5tupleIJSF_SF_EEENSM_IJSG_SG_EEES6_PlJS6_EEE10hipError_tPvRmT3_T4_T5_T6_T7_T9_mT8_P12ihipStream_tbDpT10_ENKUlT_T0_E_clISt17integral_constantIbLb0EES19_EEDaS14_S15_EUlS14_E_NS1_11comp_targetILNS1_3genE9ELNS1_11target_archE1100ELNS1_3gpuE3ELNS1_3repE0EEENS1_30default_config_static_selectorELNS0_4arch9wavefront6targetE1EEEvT1_,"axG",@progbits,_ZN7rocprim17ROCPRIM_400000_NS6detail17trampoline_kernelINS0_14default_configENS1_25partition_config_selectorILNS1_17partition_subalgoE1EiNS0_10empty_typeEbEEZZNS1_14partition_implILS5_1ELb0ES3_jN6thrust23THRUST_200600_302600_NS6detail15normal_iteratorINSA_10device_ptrIiEEEEPS6_NSA_18transform_iteratorI7is_evenIiESF_NSA_11use_defaultESK_EENS0_5tupleIJSF_SF_EEENSM_IJSG_SG_EEES6_PlJS6_EEE10hipError_tPvRmT3_T4_T5_T6_T7_T9_mT8_P12ihipStream_tbDpT10_ENKUlT_T0_E_clISt17integral_constantIbLb0EES19_EEDaS14_S15_EUlS14_E_NS1_11comp_targetILNS1_3genE9ELNS1_11target_archE1100ELNS1_3gpuE3ELNS1_3repE0EEENS1_30default_config_static_selectorELNS0_4arch9wavefront6targetE1EEEvT1_,comdat
.Lfunc_end423:
	.size	_ZN7rocprim17ROCPRIM_400000_NS6detail17trampoline_kernelINS0_14default_configENS1_25partition_config_selectorILNS1_17partition_subalgoE1EiNS0_10empty_typeEbEEZZNS1_14partition_implILS5_1ELb0ES3_jN6thrust23THRUST_200600_302600_NS6detail15normal_iteratorINSA_10device_ptrIiEEEEPS6_NSA_18transform_iteratorI7is_evenIiESF_NSA_11use_defaultESK_EENS0_5tupleIJSF_SF_EEENSM_IJSG_SG_EEES6_PlJS6_EEE10hipError_tPvRmT3_T4_T5_T6_T7_T9_mT8_P12ihipStream_tbDpT10_ENKUlT_T0_E_clISt17integral_constantIbLb0EES19_EEDaS14_S15_EUlS14_E_NS1_11comp_targetILNS1_3genE9ELNS1_11target_archE1100ELNS1_3gpuE3ELNS1_3repE0EEENS1_30default_config_static_selectorELNS0_4arch9wavefront6targetE1EEEvT1_, .Lfunc_end423-_ZN7rocprim17ROCPRIM_400000_NS6detail17trampoline_kernelINS0_14default_configENS1_25partition_config_selectorILNS1_17partition_subalgoE1EiNS0_10empty_typeEbEEZZNS1_14partition_implILS5_1ELb0ES3_jN6thrust23THRUST_200600_302600_NS6detail15normal_iteratorINSA_10device_ptrIiEEEEPS6_NSA_18transform_iteratorI7is_evenIiESF_NSA_11use_defaultESK_EENS0_5tupleIJSF_SF_EEENSM_IJSG_SG_EEES6_PlJS6_EEE10hipError_tPvRmT3_T4_T5_T6_T7_T9_mT8_P12ihipStream_tbDpT10_ENKUlT_T0_E_clISt17integral_constantIbLb0EES19_EEDaS14_S15_EUlS14_E_NS1_11comp_targetILNS1_3genE9ELNS1_11target_archE1100ELNS1_3gpuE3ELNS1_3repE0EEENS1_30default_config_static_selectorELNS0_4arch9wavefront6targetE1EEEvT1_
                                        ; -- End function
	.section	.AMDGPU.csdata,"",@progbits
; Kernel info:
; codeLenInByte = 0
; NumSgprs: 4
; NumVgprs: 0
; NumAgprs: 0
; TotalNumVgprs: 0
; ScratchSize: 0
; MemoryBound: 0
; FloatMode: 240
; IeeeMode: 1
; LDSByteSize: 0 bytes/workgroup (compile time only)
; SGPRBlocks: 0
; VGPRBlocks: 0
; NumSGPRsForWavesPerEU: 4
; NumVGPRsForWavesPerEU: 1
; AccumOffset: 4
; Occupancy: 8
; WaveLimiterHint : 0
; COMPUTE_PGM_RSRC2:SCRATCH_EN: 0
; COMPUTE_PGM_RSRC2:USER_SGPR: 6
; COMPUTE_PGM_RSRC2:TRAP_HANDLER: 0
; COMPUTE_PGM_RSRC2:TGID_X_EN: 1
; COMPUTE_PGM_RSRC2:TGID_Y_EN: 0
; COMPUTE_PGM_RSRC2:TGID_Z_EN: 0
; COMPUTE_PGM_RSRC2:TIDIG_COMP_CNT: 0
; COMPUTE_PGM_RSRC3_GFX90A:ACCUM_OFFSET: 0
; COMPUTE_PGM_RSRC3_GFX90A:TG_SPLIT: 0
	.section	.text._ZN7rocprim17ROCPRIM_400000_NS6detail17trampoline_kernelINS0_14default_configENS1_25partition_config_selectorILNS1_17partition_subalgoE1EiNS0_10empty_typeEbEEZZNS1_14partition_implILS5_1ELb0ES3_jN6thrust23THRUST_200600_302600_NS6detail15normal_iteratorINSA_10device_ptrIiEEEEPS6_NSA_18transform_iteratorI7is_evenIiESF_NSA_11use_defaultESK_EENS0_5tupleIJSF_SF_EEENSM_IJSG_SG_EEES6_PlJS6_EEE10hipError_tPvRmT3_T4_T5_T6_T7_T9_mT8_P12ihipStream_tbDpT10_ENKUlT_T0_E_clISt17integral_constantIbLb0EES19_EEDaS14_S15_EUlS14_E_NS1_11comp_targetILNS1_3genE8ELNS1_11target_archE1030ELNS1_3gpuE2ELNS1_3repE0EEENS1_30default_config_static_selectorELNS0_4arch9wavefront6targetE1EEEvT1_,"axG",@progbits,_ZN7rocprim17ROCPRIM_400000_NS6detail17trampoline_kernelINS0_14default_configENS1_25partition_config_selectorILNS1_17partition_subalgoE1EiNS0_10empty_typeEbEEZZNS1_14partition_implILS5_1ELb0ES3_jN6thrust23THRUST_200600_302600_NS6detail15normal_iteratorINSA_10device_ptrIiEEEEPS6_NSA_18transform_iteratorI7is_evenIiESF_NSA_11use_defaultESK_EENS0_5tupleIJSF_SF_EEENSM_IJSG_SG_EEES6_PlJS6_EEE10hipError_tPvRmT3_T4_T5_T6_T7_T9_mT8_P12ihipStream_tbDpT10_ENKUlT_T0_E_clISt17integral_constantIbLb0EES19_EEDaS14_S15_EUlS14_E_NS1_11comp_targetILNS1_3genE8ELNS1_11target_archE1030ELNS1_3gpuE2ELNS1_3repE0EEENS1_30default_config_static_selectorELNS0_4arch9wavefront6targetE1EEEvT1_,comdat
	.protected	_ZN7rocprim17ROCPRIM_400000_NS6detail17trampoline_kernelINS0_14default_configENS1_25partition_config_selectorILNS1_17partition_subalgoE1EiNS0_10empty_typeEbEEZZNS1_14partition_implILS5_1ELb0ES3_jN6thrust23THRUST_200600_302600_NS6detail15normal_iteratorINSA_10device_ptrIiEEEEPS6_NSA_18transform_iteratorI7is_evenIiESF_NSA_11use_defaultESK_EENS0_5tupleIJSF_SF_EEENSM_IJSG_SG_EEES6_PlJS6_EEE10hipError_tPvRmT3_T4_T5_T6_T7_T9_mT8_P12ihipStream_tbDpT10_ENKUlT_T0_E_clISt17integral_constantIbLb0EES19_EEDaS14_S15_EUlS14_E_NS1_11comp_targetILNS1_3genE8ELNS1_11target_archE1030ELNS1_3gpuE2ELNS1_3repE0EEENS1_30default_config_static_selectorELNS0_4arch9wavefront6targetE1EEEvT1_ ; -- Begin function _ZN7rocprim17ROCPRIM_400000_NS6detail17trampoline_kernelINS0_14default_configENS1_25partition_config_selectorILNS1_17partition_subalgoE1EiNS0_10empty_typeEbEEZZNS1_14partition_implILS5_1ELb0ES3_jN6thrust23THRUST_200600_302600_NS6detail15normal_iteratorINSA_10device_ptrIiEEEEPS6_NSA_18transform_iteratorI7is_evenIiESF_NSA_11use_defaultESK_EENS0_5tupleIJSF_SF_EEENSM_IJSG_SG_EEES6_PlJS6_EEE10hipError_tPvRmT3_T4_T5_T6_T7_T9_mT8_P12ihipStream_tbDpT10_ENKUlT_T0_E_clISt17integral_constantIbLb0EES19_EEDaS14_S15_EUlS14_E_NS1_11comp_targetILNS1_3genE8ELNS1_11target_archE1030ELNS1_3gpuE2ELNS1_3repE0EEENS1_30default_config_static_selectorELNS0_4arch9wavefront6targetE1EEEvT1_
	.globl	_ZN7rocprim17ROCPRIM_400000_NS6detail17trampoline_kernelINS0_14default_configENS1_25partition_config_selectorILNS1_17partition_subalgoE1EiNS0_10empty_typeEbEEZZNS1_14partition_implILS5_1ELb0ES3_jN6thrust23THRUST_200600_302600_NS6detail15normal_iteratorINSA_10device_ptrIiEEEEPS6_NSA_18transform_iteratorI7is_evenIiESF_NSA_11use_defaultESK_EENS0_5tupleIJSF_SF_EEENSM_IJSG_SG_EEES6_PlJS6_EEE10hipError_tPvRmT3_T4_T5_T6_T7_T9_mT8_P12ihipStream_tbDpT10_ENKUlT_T0_E_clISt17integral_constantIbLb0EES19_EEDaS14_S15_EUlS14_E_NS1_11comp_targetILNS1_3genE8ELNS1_11target_archE1030ELNS1_3gpuE2ELNS1_3repE0EEENS1_30default_config_static_selectorELNS0_4arch9wavefront6targetE1EEEvT1_
	.p2align	8
	.type	_ZN7rocprim17ROCPRIM_400000_NS6detail17trampoline_kernelINS0_14default_configENS1_25partition_config_selectorILNS1_17partition_subalgoE1EiNS0_10empty_typeEbEEZZNS1_14partition_implILS5_1ELb0ES3_jN6thrust23THRUST_200600_302600_NS6detail15normal_iteratorINSA_10device_ptrIiEEEEPS6_NSA_18transform_iteratorI7is_evenIiESF_NSA_11use_defaultESK_EENS0_5tupleIJSF_SF_EEENSM_IJSG_SG_EEES6_PlJS6_EEE10hipError_tPvRmT3_T4_T5_T6_T7_T9_mT8_P12ihipStream_tbDpT10_ENKUlT_T0_E_clISt17integral_constantIbLb0EES19_EEDaS14_S15_EUlS14_E_NS1_11comp_targetILNS1_3genE8ELNS1_11target_archE1030ELNS1_3gpuE2ELNS1_3repE0EEENS1_30default_config_static_selectorELNS0_4arch9wavefront6targetE1EEEvT1_,@function
_ZN7rocprim17ROCPRIM_400000_NS6detail17trampoline_kernelINS0_14default_configENS1_25partition_config_selectorILNS1_17partition_subalgoE1EiNS0_10empty_typeEbEEZZNS1_14partition_implILS5_1ELb0ES3_jN6thrust23THRUST_200600_302600_NS6detail15normal_iteratorINSA_10device_ptrIiEEEEPS6_NSA_18transform_iteratorI7is_evenIiESF_NSA_11use_defaultESK_EENS0_5tupleIJSF_SF_EEENSM_IJSG_SG_EEES6_PlJS6_EEE10hipError_tPvRmT3_T4_T5_T6_T7_T9_mT8_P12ihipStream_tbDpT10_ENKUlT_T0_E_clISt17integral_constantIbLb0EES19_EEDaS14_S15_EUlS14_E_NS1_11comp_targetILNS1_3genE8ELNS1_11target_archE1030ELNS1_3gpuE2ELNS1_3repE0EEENS1_30default_config_static_selectorELNS0_4arch9wavefront6targetE1EEEvT1_: ; @_ZN7rocprim17ROCPRIM_400000_NS6detail17trampoline_kernelINS0_14default_configENS1_25partition_config_selectorILNS1_17partition_subalgoE1EiNS0_10empty_typeEbEEZZNS1_14partition_implILS5_1ELb0ES3_jN6thrust23THRUST_200600_302600_NS6detail15normal_iteratorINSA_10device_ptrIiEEEEPS6_NSA_18transform_iteratorI7is_evenIiESF_NSA_11use_defaultESK_EENS0_5tupleIJSF_SF_EEENSM_IJSG_SG_EEES6_PlJS6_EEE10hipError_tPvRmT3_T4_T5_T6_T7_T9_mT8_P12ihipStream_tbDpT10_ENKUlT_T0_E_clISt17integral_constantIbLb0EES19_EEDaS14_S15_EUlS14_E_NS1_11comp_targetILNS1_3genE8ELNS1_11target_archE1030ELNS1_3gpuE2ELNS1_3repE0EEENS1_30default_config_static_selectorELNS0_4arch9wavefront6targetE1EEEvT1_
; %bb.0:
	.section	.rodata,"a",@progbits
	.p2align	6, 0x0
	.amdhsa_kernel _ZN7rocprim17ROCPRIM_400000_NS6detail17trampoline_kernelINS0_14default_configENS1_25partition_config_selectorILNS1_17partition_subalgoE1EiNS0_10empty_typeEbEEZZNS1_14partition_implILS5_1ELb0ES3_jN6thrust23THRUST_200600_302600_NS6detail15normal_iteratorINSA_10device_ptrIiEEEEPS6_NSA_18transform_iteratorI7is_evenIiESF_NSA_11use_defaultESK_EENS0_5tupleIJSF_SF_EEENSM_IJSG_SG_EEES6_PlJS6_EEE10hipError_tPvRmT3_T4_T5_T6_T7_T9_mT8_P12ihipStream_tbDpT10_ENKUlT_T0_E_clISt17integral_constantIbLb0EES19_EEDaS14_S15_EUlS14_E_NS1_11comp_targetILNS1_3genE8ELNS1_11target_archE1030ELNS1_3gpuE2ELNS1_3repE0EEENS1_30default_config_static_selectorELNS0_4arch9wavefront6targetE1EEEvT1_
		.amdhsa_group_segment_fixed_size 0
		.amdhsa_private_segment_fixed_size 0
		.amdhsa_kernarg_size 128
		.amdhsa_user_sgpr_count 6
		.amdhsa_user_sgpr_private_segment_buffer 1
		.amdhsa_user_sgpr_dispatch_ptr 0
		.amdhsa_user_sgpr_queue_ptr 0
		.amdhsa_user_sgpr_kernarg_segment_ptr 1
		.amdhsa_user_sgpr_dispatch_id 0
		.amdhsa_user_sgpr_flat_scratch_init 0
		.amdhsa_user_sgpr_kernarg_preload_length 0
		.amdhsa_user_sgpr_kernarg_preload_offset 0
		.amdhsa_user_sgpr_private_segment_size 0
		.amdhsa_uses_dynamic_stack 0
		.amdhsa_system_sgpr_private_segment_wavefront_offset 0
		.amdhsa_system_sgpr_workgroup_id_x 1
		.amdhsa_system_sgpr_workgroup_id_y 0
		.amdhsa_system_sgpr_workgroup_id_z 0
		.amdhsa_system_sgpr_workgroup_info 0
		.amdhsa_system_vgpr_workitem_id 0
		.amdhsa_next_free_vgpr 1
		.amdhsa_next_free_sgpr 0
		.amdhsa_accum_offset 4
		.amdhsa_reserve_vcc 0
		.amdhsa_reserve_flat_scratch 0
		.amdhsa_float_round_mode_32 0
		.amdhsa_float_round_mode_16_64 0
		.amdhsa_float_denorm_mode_32 3
		.amdhsa_float_denorm_mode_16_64 3
		.amdhsa_dx10_clamp 1
		.amdhsa_ieee_mode 1
		.amdhsa_fp16_overflow 0
		.amdhsa_tg_split 0
		.amdhsa_exception_fp_ieee_invalid_op 0
		.amdhsa_exception_fp_denorm_src 0
		.amdhsa_exception_fp_ieee_div_zero 0
		.amdhsa_exception_fp_ieee_overflow 0
		.amdhsa_exception_fp_ieee_underflow 0
		.amdhsa_exception_fp_ieee_inexact 0
		.amdhsa_exception_int_div_zero 0
	.end_amdhsa_kernel
	.section	.text._ZN7rocprim17ROCPRIM_400000_NS6detail17trampoline_kernelINS0_14default_configENS1_25partition_config_selectorILNS1_17partition_subalgoE1EiNS0_10empty_typeEbEEZZNS1_14partition_implILS5_1ELb0ES3_jN6thrust23THRUST_200600_302600_NS6detail15normal_iteratorINSA_10device_ptrIiEEEEPS6_NSA_18transform_iteratorI7is_evenIiESF_NSA_11use_defaultESK_EENS0_5tupleIJSF_SF_EEENSM_IJSG_SG_EEES6_PlJS6_EEE10hipError_tPvRmT3_T4_T5_T6_T7_T9_mT8_P12ihipStream_tbDpT10_ENKUlT_T0_E_clISt17integral_constantIbLb0EES19_EEDaS14_S15_EUlS14_E_NS1_11comp_targetILNS1_3genE8ELNS1_11target_archE1030ELNS1_3gpuE2ELNS1_3repE0EEENS1_30default_config_static_selectorELNS0_4arch9wavefront6targetE1EEEvT1_,"axG",@progbits,_ZN7rocprim17ROCPRIM_400000_NS6detail17trampoline_kernelINS0_14default_configENS1_25partition_config_selectorILNS1_17partition_subalgoE1EiNS0_10empty_typeEbEEZZNS1_14partition_implILS5_1ELb0ES3_jN6thrust23THRUST_200600_302600_NS6detail15normal_iteratorINSA_10device_ptrIiEEEEPS6_NSA_18transform_iteratorI7is_evenIiESF_NSA_11use_defaultESK_EENS0_5tupleIJSF_SF_EEENSM_IJSG_SG_EEES6_PlJS6_EEE10hipError_tPvRmT3_T4_T5_T6_T7_T9_mT8_P12ihipStream_tbDpT10_ENKUlT_T0_E_clISt17integral_constantIbLb0EES19_EEDaS14_S15_EUlS14_E_NS1_11comp_targetILNS1_3genE8ELNS1_11target_archE1030ELNS1_3gpuE2ELNS1_3repE0EEENS1_30default_config_static_selectorELNS0_4arch9wavefront6targetE1EEEvT1_,comdat
.Lfunc_end424:
	.size	_ZN7rocprim17ROCPRIM_400000_NS6detail17trampoline_kernelINS0_14default_configENS1_25partition_config_selectorILNS1_17partition_subalgoE1EiNS0_10empty_typeEbEEZZNS1_14partition_implILS5_1ELb0ES3_jN6thrust23THRUST_200600_302600_NS6detail15normal_iteratorINSA_10device_ptrIiEEEEPS6_NSA_18transform_iteratorI7is_evenIiESF_NSA_11use_defaultESK_EENS0_5tupleIJSF_SF_EEENSM_IJSG_SG_EEES6_PlJS6_EEE10hipError_tPvRmT3_T4_T5_T6_T7_T9_mT8_P12ihipStream_tbDpT10_ENKUlT_T0_E_clISt17integral_constantIbLb0EES19_EEDaS14_S15_EUlS14_E_NS1_11comp_targetILNS1_3genE8ELNS1_11target_archE1030ELNS1_3gpuE2ELNS1_3repE0EEENS1_30default_config_static_selectorELNS0_4arch9wavefront6targetE1EEEvT1_, .Lfunc_end424-_ZN7rocprim17ROCPRIM_400000_NS6detail17trampoline_kernelINS0_14default_configENS1_25partition_config_selectorILNS1_17partition_subalgoE1EiNS0_10empty_typeEbEEZZNS1_14partition_implILS5_1ELb0ES3_jN6thrust23THRUST_200600_302600_NS6detail15normal_iteratorINSA_10device_ptrIiEEEEPS6_NSA_18transform_iteratorI7is_evenIiESF_NSA_11use_defaultESK_EENS0_5tupleIJSF_SF_EEENSM_IJSG_SG_EEES6_PlJS6_EEE10hipError_tPvRmT3_T4_T5_T6_T7_T9_mT8_P12ihipStream_tbDpT10_ENKUlT_T0_E_clISt17integral_constantIbLb0EES19_EEDaS14_S15_EUlS14_E_NS1_11comp_targetILNS1_3genE8ELNS1_11target_archE1030ELNS1_3gpuE2ELNS1_3repE0EEENS1_30default_config_static_selectorELNS0_4arch9wavefront6targetE1EEEvT1_
                                        ; -- End function
	.section	.AMDGPU.csdata,"",@progbits
; Kernel info:
; codeLenInByte = 0
; NumSgprs: 4
; NumVgprs: 0
; NumAgprs: 0
; TotalNumVgprs: 0
; ScratchSize: 0
; MemoryBound: 0
; FloatMode: 240
; IeeeMode: 1
; LDSByteSize: 0 bytes/workgroup (compile time only)
; SGPRBlocks: 0
; VGPRBlocks: 0
; NumSGPRsForWavesPerEU: 4
; NumVGPRsForWavesPerEU: 1
; AccumOffset: 4
; Occupancy: 8
; WaveLimiterHint : 0
; COMPUTE_PGM_RSRC2:SCRATCH_EN: 0
; COMPUTE_PGM_RSRC2:USER_SGPR: 6
; COMPUTE_PGM_RSRC2:TRAP_HANDLER: 0
; COMPUTE_PGM_RSRC2:TGID_X_EN: 1
; COMPUTE_PGM_RSRC2:TGID_Y_EN: 0
; COMPUTE_PGM_RSRC2:TGID_Z_EN: 0
; COMPUTE_PGM_RSRC2:TIDIG_COMP_CNT: 0
; COMPUTE_PGM_RSRC3_GFX90A:ACCUM_OFFSET: 0
; COMPUTE_PGM_RSRC3_GFX90A:TG_SPLIT: 0
	.section	.text._ZN7rocprim17ROCPRIM_400000_NS6detail17trampoline_kernelINS0_14default_configENS1_25partition_config_selectorILNS1_17partition_subalgoE1EiNS0_10empty_typeEbEEZZNS1_14partition_implILS5_1ELb0ES3_jN6thrust23THRUST_200600_302600_NS6detail15normal_iteratorINSA_10device_ptrIiEEEEPS6_NSA_18transform_iteratorI7is_evenIiESF_NSA_11use_defaultESK_EENS0_5tupleIJSF_SF_EEENSM_IJSG_SG_EEES6_PlJS6_EEE10hipError_tPvRmT3_T4_T5_T6_T7_T9_mT8_P12ihipStream_tbDpT10_ENKUlT_T0_E_clISt17integral_constantIbLb1EES19_EEDaS14_S15_EUlS14_E_NS1_11comp_targetILNS1_3genE0ELNS1_11target_archE4294967295ELNS1_3gpuE0ELNS1_3repE0EEENS1_30default_config_static_selectorELNS0_4arch9wavefront6targetE1EEEvT1_,"axG",@progbits,_ZN7rocprim17ROCPRIM_400000_NS6detail17trampoline_kernelINS0_14default_configENS1_25partition_config_selectorILNS1_17partition_subalgoE1EiNS0_10empty_typeEbEEZZNS1_14partition_implILS5_1ELb0ES3_jN6thrust23THRUST_200600_302600_NS6detail15normal_iteratorINSA_10device_ptrIiEEEEPS6_NSA_18transform_iteratorI7is_evenIiESF_NSA_11use_defaultESK_EENS0_5tupleIJSF_SF_EEENSM_IJSG_SG_EEES6_PlJS6_EEE10hipError_tPvRmT3_T4_T5_T6_T7_T9_mT8_P12ihipStream_tbDpT10_ENKUlT_T0_E_clISt17integral_constantIbLb1EES19_EEDaS14_S15_EUlS14_E_NS1_11comp_targetILNS1_3genE0ELNS1_11target_archE4294967295ELNS1_3gpuE0ELNS1_3repE0EEENS1_30default_config_static_selectorELNS0_4arch9wavefront6targetE1EEEvT1_,comdat
	.protected	_ZN7rocprim17ROCPRIM_400000_NS6detail17trampoline_kernelINS0_14default_configENS1_25partition_config_selectorILNS1_17partition_subalgoE1EiNS0_10empty_typeEbEEZZNS1_14partition_implILS5_1ELb0ES3_jN6thrust23THRUST_200600_302600_NS6detail15normal_iteratorINSA_10device_ptrIiEEEEPS6_NSA_18transform_iteratorI7is_evenIiESF_NSA_11use_defaultESK_EENS0_5tupleIJSF_SF_EEENSM_IJSG_SG_EEES6_PlJS6_EEE10hipError_tPvRmT3_T4_T5_T6_T7_T9_mT8_P12ihipStream_tbDpT10_ENKUlT_T0_E_clISt17integral_constantIbLb1EES19_EEDaS14_S15_EUlS14_E_NS1_11comp_targetILNS1_3genE0ELNS1_11target_archE4294967295ELNS1_3gpuE0ELNS1_3repE0EEENS1_30default_config_static_selectorELNS0_4arch9wavefront6targetE1EEEvT1_ ; -- Begin function _ZN7rocprim17ROCPRIM_400000_NS6detail17trampoline_kernelINS0_14default_configENS1_25partition_config_selectorILNS1_17partition_subalgoE1EiNS0_10empty_typeEbEEZZNS1_14partition_implILS5_1ELb0ES3_jN6thrust23THRUST_200600_302600_NS6detail15normal_iteratorINSA_10device_ptrIiEEEEPS6_NSA_18transform_iteratorI7is_evenIiESF_NSA_11use_defaultESK_EENS0_5tupleIJSF_SF_EEENSM_IJSG_SG_EEES6_PlJS6_EEE10hipError_tPvRmT3_T4_T5_T6_T7_T9_mT8_P12ihipStream_tbDpT10_ENKUlT_T0_E_clISt17integral_constantIbLb1EES19_EEDaS14_S15_EUlS14_E_NS1_11comp_targetILNS1_3genE0ELNS1_11target_archE4294967295ELNS1_3gpuE0ELNS1_3repE0EEENS1_30default_config_static_selectorELNS0_4arch9wavefront6targetE1EEEvT1_
	.globl	_ZN7rocprim17ROCPRIM_400000_NS6detail17trampoline_kernelINS0_14default_configENS1_25partition_config_selectorILNS1_17partition_subalgoE1EiNS0_10empty_typeEbEEZZNS1_14partition_implILS5_1ELb0ES3_jN6thrust23THRUST_200600_302600_NS6detail15normal_iteratorINSA_10device_ptrIiEEEEPS6_NSA_18transform_iteratorI7is_evenIiESF_NSA_11use_defaultESK_EENS0_5tupleIJSF_SF_EEENSM_IJSG_SG_EEES6_PlJS6_EEE10hipError_tPvRmT3_T4_T5_T6_T7_T9_mT8_P12ihipStream_tbDpT10_ENKUlT_T0_E_clISt17integral_constantIbLb1EES19_EEDaS14_S15_EUlS14_E_NS1_11comp_targetILNS1_3genE0ELNS1_11target_archE4294967295ELNS1_3gpuE0ELNS1_3repE0EEENS1_30default_config_static_selectorELNS0_4arch9wavefront6targetE1EEEvT1_
	.p2align	8
	.type	_ZN7rocprim17ROCPRIM_400000_NS6detail17trampoline_kernelINS0_14default_configENS1_25partition_config_selectorILNS1_17partition_subalgoE1EiNS0_10empty_typeEbEEZZNS1_14partition_implILS5_1ELb0ES3_jN6thrust23THRUST_200600_302600_NS6detail15normal_iteratorINSA_10device_ptrIiEEEEPS6_NSA_18transform_iteratorI7is_evenIiESF_NSA_11use_defaultESK_EENS0_5tupleIJSF_SF_EEENSM_IJSG_SG_EEES6_PlJS6_EEE10hipError_tPvRmT3_T4_T5_T6_T7_T9_mT8_P12ihipStream_tbDpT10_ENKUlT_T0_E_clISt17integral_constantIbLb1EES19_EEDaS14_S15_EUlS14_E_NS1_11comp_targetILNS1_3genE0ELNS1_11target_archE4294967295ELNS1_3gpuE0ELNS1_3repE0EEENS1_30default_config_static_selectorELNS0_4arch9wavefront6targetE1EEEvT1_,@function
_ZN7rocprim17ROCPRIM_400000_NS6detail17trampoline_kernelINS0_14default_configENS1_25partition_config_selectorILNS1_17partition_subalgoE1EiNS0_10empty_typeEbEEZZNS1_14partition_implILS5_1ELb0ES3_jN6thrust23THRUST_200600_302600_NS6detail15normal_iteratorINSA_10device_ptrIiEEEEPS6_NSA_18transform_iteratorI7is_evenIiESF_NSA_11use_defaultESK_EENS0_5tupleIJSF_SF_EEENSM_IJSG_SG_EEES6_PlJS6_EEE10hipError_tPvRmT3_T4_T5_T6_T7_T9_mT8_P12ihipStream_tbDpT10_ENKUlT_T0_E_clISt17integral_constantIbLb1EES19_EEDaS14_S15_EUlS14_E_NS1_11comp_targetILNS1_3genE0ELNS1_11target_archE4294967295ELNS1_3gpuE0ELNS1_3repE0EEENS1_30default_config_static_selectorELNS0_4arch9wavefront6targetE1EEEvT1_: ; @_ZN7rocprim17ROCPRIM_400000_NS6detail17trampoline_kernelINS0_14default_configENS1_25partition_config_selectorILNS1_17partition_subalgoE1EiNS0_10empty_typeEbEEZZNS1_14partition_implILS5_1ELb0ES3_jN6thrust23THRUST_200600_302600_NS6detail15normal_iteratorINSA_10device_ptrIiEEEEPS6_NSA_18transform_iteratorI7is_evenIiESF_NSA_11use_defaultESK_EENS0_5tupleIJSF_SF_EEENSM_IJSG_SG_EEES6_PlJS6_EEE10hipError_tPvRmT3_T4_T5_T6_T7_T9_mT8_P12ihipStream_tbDpT10_ENKUlT_T0_E_clISt17integral_constantIbLb1EES19_EEDaS14_S15_EUlS14_E_NS1_11comp_targetILNS1_3genE0ELNS1_11target_archE4294967295ELNS1_3gpuE0ELNS1_3repE0EEENS1_30default_config_static_selectorELNS0_4arch9wavefront6targetE1EEEvT1_
; %bb.0:
	.section	.rodata,"a",@progbits
	.p2align	6, 0x0
	.amdhsa_kernel _ZN7rocprim17ROCPRIM_400000_NS6detail17trampoline_kernelINS0_14default_configENS1_25partition_config_selectorILNS1_17partition_subalgoE1EiNS0_10empty_typeEbEEZZNS1_14partition_implILS5_1ELb0ES3_jN6thrust23THRUST_200600_302600_NS6detail15normal_iteratorINSA_10device_ptrIiEEEEPS6_NSA_18transform_iteratorI7is_evenIiESF_NSA_11use_defaultESK_EENS0_5tupleIJSF_SF_EEENSM_IJSG_SG_EEES6_PlJS6_EEE10hipError_tPvRmT3_T4_T5_T6_T7_T9_mT8_P12ihipStream_tbDpT10_ENKUlT_T0_E_clISt17integral_constantIbLb1EES19_EEDaS14_S15_EUlS14_E_NS1_11comp_targetILNS1_3genE0ELNS1_11target_archE4294967295ELNS1_3gpuE0ELNS1_3repE0EEENS1_30default_config_static_selectorELNS0_4arch9wavefront6targetE1EEEvT1_
		.amdhsa_group_segment_fixed_size 0
		.amdhsa_private_segment_fixed_size 0
		.amdhsa_kernarg_size 144
		.amdhsa_user_sgpr_count 6
		.amdhsa_user_sgpr_private_segment_buffer 1
		.amdhsa_user_sgpr_dispatch_ptr 0
		.amdhsa_user_sgpr_queue_ptr 0
		.amdhsa_user_sgpr_kernarg_segment_ptr 1
		.amdhsa_user_sgpr_dispatch_id 0
		.amdhsa_user_sgpr_flat_scratch_init 0
		.amdhsa_user_sgpr_kernarg_preload_length 0
		.amdhsa_user_sgpr_kernarg_preload_offset 0
		.amdhsa_user_sgpr_private_segment_size 0
		.amdhsa_uses_dynamic_stack 0
		.amdhsa_system_sgpr_private_segment_wavefront_offset 0
		.amdhsa_system_sgpr_workgroup_id_x 1
		.amdhsa_system_sgpr_workgroup_id_y 0
		.amdhsa_system_sgpr_workgroup_id_z 0
		.amdhsa_system_sgpr_workgroup_info 0
		.amdhsa_system_vgpr_workitem_id 0
		.amdhsa_next_free_vgpr 1
		.amdhsa_next_free_sgpr 0
		.amdhsa_accum_offset 4
		.amdhsa_reserve_vcc 0
		.amdhsa_reserve_flat_scratch 0
		.amdhsa_float_round_mode_32 0
		.amdhsa_float_round_mode_16_64 0
		.amdhsa_float_denorm_mode_32 3
		.amdhsa_float_denorm_mode_16_64 3
		.amdhsa_dx10_clamp 1
		.amdhsa_ieee_mode 1
		.amdhsa_fp16_overflow 0
		.amdhsa_tg_split 0
		.amdhsa_exception_fp_ieee_invalid_op 0
		.amdhsa_exception_fp_denorm_src 0
		.amdhsa_exception_fp_ieee_div_zero 0
		.amdhsa_exception_fp_ieee_overflow 0
		.amdhsa_exception_fp_ieee_underflow 0
		.amdhsa_exception_fp_ieee_inexact 0
		.amdhsa_exception_int_div_zero 0
	.end_amdhsa_kernel
	.section	.text._ZN7rocprim17ROCPRIM_400000_NS6detail17trampoline_kernelINS0_14default_configENS1_25partition_config_selectorILNS1_17partition_subalgoE1EiNS0_10empty_typeEbEEZZNS1_14partition_implILS5_1ELb0ES3_jN6thrust23THRUST_200600_302600_NS6detail15normal_iteratorINSA_10device_ptrIiEEEEPS6_NSA_18transform_iteratorI7is_evenIiESF_NSA_11use_defaultESK_EENS0_5tupleIJSF_SF_EEENSM_IJSG_SG_EEES6_PlJS6_EEE10hipError_tPvRmT3_T4_T5_T6_T7_T9_mT8_P12ihipStream_tbDpT10_ENKUlT_T0_E_clISt17integral_constantIbLb1EES19_EEDaS14_S15_EUlS14_E_NS1_11comp_targetILNS1_3genE0ELNS1_11target_archE4294967295ELNS1_3gpuE0ELNS1_3repE0EEENS1_30default_config_static_selectorELNS0_4arch9wavefront6targetE1EEEvT1_,"axG",@progbits,_ZN7rocprim17ROCPRIM_400000_NS6detail17trampoline_kernelINS0_14default_configENS1_25partition_config_selectorILNS1_17partition_subalgoE1EiNS0_10empty_typeEbEEZZNS1_14partition_implILS5_1ELb0ES3_jN6thrust23THRUST_200600_302600_NS6detail15normal_iteratorINSA_10device_ptrIiEEEEPS6_NSA_18transform_iteratorI7is_evenIiESF_NSA_11use_defaultESK_EENS0_5tupleIJSF_SF_EEENSM_IJSG_SG_EEES6_PlJS6_EEE10hipError_tPvRmT3_T4_T5_T6_T7_T9_mT8_P12ihipStream_tbDpT10_ENKUlT_T0_E_clISt17integral_constantIbLb1EES19_EEDaS14_S15_EUlS14_E_NS1_11comp_targetILNS1_3genE0ELNS1_11target_archE4294967295ELNS1_3gpuE0ELNS1_3repE0EEENS1_30default_config_static_selectorELNS0_4arch9wavefront6targetE1EEEvT1_,comdat
.Lfunc_end425:
	.size	_ZN7rocprim17ROCPRIM_400000_NS6detail17trampoline_kernelINS0_14default_configENS1_25partition_config_selectorILNS1_17partition_subalgoE1EiNS0_10empty_typeEbEEZZNS1_14partition_implILS5_1ELb0ES3_jN6thrust23THRUST_200600_302600_NS6detail15normal_iteratorINSA_10device_ptrIiEEEEPS6_NSA_18transform_iteratorI7is_evenIiESF_NSA_11use_defaultESK_EENS0_5tupleIJSF_SF_EEENSM_IJSG_SG_EEES6_PlJS6_EEE10hipError_tPvRmT3_T4_T5_T6_T7_T9_mT8_P12ihipStream_tbDpT10_ENKUlT_T0_E_clISt17integral_constantIbLb1EES19_EEDaS14_S15_EUlS14_E_NS1_11comp_targetILNS1_3genE0ELNS1_11target_archE4294967295ELNS1_3gpuE0ELNS1_3repE0EEENS1_30default_config_static_selectorELNS0_4arch9wavefront6targetE1EEEvT1_, .Lfunc_end425-_ZN7rocprim17ROCPRIM_400000_NS6detail17trampoline_kernelINS0_14default_configENS1_25partition_config_selectorILNS1_17partition_subalgoE1EiNS0_10empty_typeEbEEZZNS1_14partition_implILS5_1ELb0ES3_jN6thrust23THRUST_200600_302600_NS6detail15normal_iteratorINSA_10device_ptrIiEEEEPS6_NSA_18transform_iteratorI7is_evenIiESF_NSA_11use_defaultESK_EENS0_5tupleIJSF_SF_EEENSM_IJSG_SG_EEES6_PlJS6_EEE10hipError_tPvRmT3_T4_T5_T6_T7_T9_mT8_P12ihipStream_tbDpT10_ENKUlT_T0_E_clISt17integral_constantIbLb1EES19_EEDaS14_S15_EUlS14_E_NS1_11comp_targetILNS1_3genE0ELNS1_11target_archE4294967295ELNS1_3gpuE0ELNS1_3repE0EEENS1_30default_config_static_selectorELNS0_4arch9wavefront6targetE1EEEvT1_
                                        ; -- End function
	.section	.AMDGPU.csdata,"",@progbits
; Kernel info:
; codeLenInByte = 0
; NumSgprs: 4
; NumVgprs: 0
; NumAgprs: 0
; TotalNumVgprs: 0
; ScratchSize: 0
; MemoryBound: 0
; FloatMode: 240
; IeeeMode: 1
; LDSByteSize: 0 bytes/workgroup (compile time only)
; SGPRBlocks: 0
; VGPRBlocks: 0
; NumSGPRsForWavesPerEU: 4
; NumVGPRsForWavesPerEU: 1
; AccumOffset: 4
; Occupancy: 8
; WaveLimiterHint : 0
; COMPUTE_PGM_RSRC2:SCRATCH_EN: 0
; COMPUTE_PGM_RSRC2:USER_SGPR: 6
; COMPUTE_PGM_RSRC2:TRAP_HANDLER: 0
; COMPUTE_PGM_RSRC2:TGID_X_EN: 1
; COMPUTE_PGM_RSRC2:TGID_Y_EN: 0
; COMPUTE_PGM_RSRC2:TGID_Z_EN: 0
; COMPUTE_PGM_RSRC2:TIDIG_COMP_CNT: 0
; COMPUTE_PGM_RSRC3_GFX90A:ACCUM_OFFSET: 0
; COMPUTE_PGM_RSRC3_GFX90A:TG_SPLIT: 0
	.section	.text._ZN7rocprim17ROCPRIM_400000_NS6detail17trampoline_kernelINS0_14default_configENS1_25partition_config_selectorILNS1_17partition_subalgoE1EiNS0_10empty_typeEbEEZZNS1_14partition_implILS5_1ELb0ES3_jN6thrust23THRUST_200600_302600_NS6detail15normal_iteratorINSA_10device_ptrIiEEEEPS6_NSA_18transform_iteratorI7is_evenIiESF_NSA_11use_defaultESK_EENS0_5tupleIJSF_SF_EEENSM_IJSG_SG_EEES6_PlJS6_EEE10hipError_tPvRmT3_T4_T5_T6_T7_T9_mT8_P12ihipStream_tbDpT10_ENKUlT_T0_E_clISt17integral_constantIbLb1EES19_EEDaS14_S15_EUlS14_E_NS1_11comp_targetILNS1_3genE5ELNS1_11target_archE942ELNS1_3gpuE9ELNS1_3repE0EEENS1_30default_config_static_selectorELNS0_4arch9wavefront6targetE1EEEvT1_,"axG",@progbits,_ZN7rocprim17ROCPRIM_400000_NS6detail17trampoline_kernelINS0_14default_configENS1_25partition_config_selectorILNS1_17partition_subalgoE1EiNS0_10empty_typeEbEEZZNS1_14partition_implILS5_1ELb0ES3_jN6thrust23THRUST_200600_302600_NS6detail15normal_iteratorINSA_10device_ptrIiEEEEPS6_NSA_18transform_iteratorI7is_evenIiESF_NSA_11use_defaultESK_EENS0_5tupleIJSF_SF_EEENSM_IJSG_SG_EEES6_PlJS6_EEE10hipError_tPvRmT3_T4_T5_T6_T7_T9_mT8_P12ihipStream_tbDpT10_ENKUlT_T0_E_clISt17integral_constantIbLb1EES19_EEDaS14_S15_EUlS14_E_NS1_11comp_targetILNS1_3genE5ELNS1_11target_archE942ELNS1_3gpuE9ELNS1_3repE0EEENS1_30default_config_static_selectorELNS0_4arch9wavefront6targetE1EEEvT1_,comdat
	.protected	_ZN7rocprim17ROCPRIM_400000_NS6detail17trampoline_kernelINS0_14default_configENS1_25partition_config_selectorILNS1_17partition_subalgoE1EiNS0_10empty_typeEbEEZZNS1_14partition_implILS5_1ELb0ES3_jN6thrust23THRUST_200600_302600_NS6detail15normal_iteratorINSA_10device_ptrIiEEEEPS6_NSA_18transform_iteratorI7is_evenIiESF_NSA_11use_defaultESK_EENS0_5tupleIJSF_SF_EEENSM_IJSG_SG_EEES6_PlJS6_EEE10hipError_tPvRmT3_T4_T5_T6_T7_T9_mT8_P12ihipStream_tbDpT10_ENKUlT_T0_E_clISt17integral_constantIbLb1EES19_EEDaS14_S15_EUlS14_E_NS1_11comp_targetILNS1_3genE5ELNS1_11target_archE942ELNS1_3gpuE9ELNS1_3repE0EEENS1_30default_config_static_selectorELNS0_4arch9wavefront6targetE1EEEvT1_ ; -- Begin function _ZN7rocprim17ROCPRIM_400000_NS6detail17trampoline_kernelINS0_14default_configENS1_25partition_config_selectorILNS1_17partition_subalgoE1EiNS0_10empty_typeEbEEZZNS1_14partition_implILS5_1ELb0ES3_jN6thrust23THRUST_200600_302600_NS6detail15normal_iteratorINSA_10device_ptrIiEEEEPS6_NSA_18transform_iteratorI7is_evenIiESF_NSA_11use_defaultESK_EENS0_5tupleIJSF_SF_EEENSM_IJSG_SG_EEES6_PlJS6_EEE10hipError_tPvRmT3_T4_T5_T6_T7_T9_mT8_P12ihipStream_tbDpT10_ENKUlT_T0_E_clISt17integral_constantIbLb1EES19_EEDaS14_S15_EUlS14_E_NS1_11comp_targetILNS1_3genE5ELNS1_11target_archE942ELNS1_3gpuE9ELNS1_3repE0EEENS1_30default_config_static_selectorELNS0_4arch9wavefront6targetE1EEEvT1_
	.globl	_ZN7rocprim17ROCPRIM_400000_NS6detail17trampoline_kernelINS0_14default_configENS1_25partition_config_selectorILNS1_17partition_subalgoE1EiNS0_10empty_typeEbEEZZNS1_14partition_implILS5_1ELb0ES3_jN6thrust23THRUST_200600_302600_NS6detail15normal_iteratorINSA_10device_ptrIiEEEEPS6_NSA_18transform_iteratorI7is_evenIiESF_NSA_11use_defaultESK_EENS0_5tupleIJSF_SF_EEENSM_IJSG_SG_EEES6_PlJS6_EEE10hipError_tPvRmT3_T4_T5_T6_T7_T9_mT8_P12ihipStream_tbDpT10_ENKUlT_T0_E_clISt17integral_constantIbLb1EES19_EEDaS14_S15_EUlS14_E_NS1_11comp_targetILNS1_3genE5ELNS1_11target_archE942ELNS1_3gpuE9ELNS1_3repE0EEENS1_30default_config_static_selectorELNS0_4arch9wavefront6targetE1EEEvT1_
	.p2align	8
	.type	_ZN7rocprim17ROCPRIM_400000_NS6detail17trampoline_kernelINS0_14default_configENS1_25partition_config_selectorILNS1_17partition_subalgoE1EiNS0_10empty_typeEbEEZZNS1_14partition_implILS5_1ELb0ES3_jN6thrust23THRUST_200600_302600_NS6detail15normal_iteratorINSA_10device_ptrIiEEEEPS6_NSA_18transform_iteratorI7is_evenIiESF_NSA_11use_defaultESK_EENS0_5tupleIJSF_SF_EEENSM_IJSG_SG_EEES6_PlJS6_EEE10hipError_tPvRmT3_T4_T5_T6_T7_T9_mT8_P12ihipStream_tbDpT10_ENKUlT_T0_E_clISt17integral_constantIbLb1EES19_EEDaS14_S15_EUlS14_E_NS1_11comp_targetILNS1_3genE5ELNS1_11target_archE942ELNS1_3gpuE9ELNS1_3repE0EEENS1_30default_config_static_selectorELNS0_4arch9wavefront6targetE1EEEvT1_,@function
_ZN7rocprim17ROCPRIM_400000_NS6detail17trampoline_kernelINS0_14default_configENS1_25partition_config_selectorILNS1_17partition_subalgoE1EiNS0_10empty_typeEbEEZZNS1_14partition_implILS5_1ELb0ES3_jN6thrust23THRUST_200600_302600_NS6detail15normal_iteratorINSA_10device_ptrIiEEEEPS6_NSA_18transform_iteratorI7is_evenIiESF_NSA_11use_defaultESK_EENS0_5tupleIJSF_SF_EEENSM_IJSG_SG_EEES6_PlJS6_EEE10hipError_tPvRmT3_T4_T5_T6_T7_T9_mT8_P12ihipStream_tbDpT10_ENKUlT_T0_E_clISt17integral_constantIbLb1EES19_EEDaS14_S15_EUlS14_E_NS1_11comp_targetILNS1_3genE5ELNS1_11target_archE942ELNS1_3gpuE9ELNS1_3repE0EEENS1_30default_config_static_selectorELNS0_4arch9wavefront6targetE1EEEvT1_: ; @_ZN7rocprim17ROCPRIM_400000_NS6detail17trampoline_kernelINS0_14default_configENS1_25partition_config_selectorILNS1_17partition_subalgoE1EiNS0_10empty_typeEbEEZZNS1_14partition_implILS5_1ELb0ES3_jN6thrust23THRUST_200600_302600_NS6detail15normal_iteratorINSA_10device_ptrIiEEEEPS6_NSA_18transform_iteratorI7is_evenIiESF_NSA_11use_defaultESK_EENS0_5tupleIJSF_SF_EEENSM_IJSG_SG_EEES6_PlJS6_EEE10hipError_tPvRmT3_T4_T5_T6_T7_T9_mT8_P12ihipStream_tbDpT10_ENKUlT_T0_E_clISt17integral_constantIbLb1EES19_EEDaS14_S15_EUlS14_E_NS1_11comp_targetILNS1_3genE5ELNS1_11target_archE942ELNS1_3gpuE9ELNS1_3repE0EEENS1_30default_config_static_selectorELNS0_4arch9wavefront6targetE1EEEvT1_
; %bb.0:
	.section	.rodata,"a",@progbits
	.p2align	6, 0x0
	.amdhsa_kernel _ZN7rocprim17ROCPRIM_400000_NS6detail17trampoline_kernelINS0_14default_configENS1_25partition_config_selectorILNS1_17partition_subalgoE1EiNS0_10empty_typeEbEEZZNS1_14partition_implILS5_1ELb0ES3_jN6thrust23THRUST_200600_302600_NS6detail15normal_iteratorINSA_10device_ptrIiEEEEPS6_NSA_18transform_iteratorI7is_evenIiESF_NSA_11use_defaultESK_EENS0_5tupleIJSF_SF_EEENSM_IJSG_SG_EEES6_PlJS6_EEE10hipError_tPvRmT3_T4_T5_T6_T7_T9_mT8_P12ihipStream_tbDpT10_ENKUlT_T0_E_clISt17integral_constantIbLb1EES19_EEDaS14_S15_EUlS14_E_NS1_11comp_targetILNS1_3genE5ELNS1_11target_archE942ELNS1_3gpuE9ELNS1_3repE0EEENS1_30default_config_static_selectorELNS0_4arch9wavefront6targetE1EEEvT1_
		.amdhsa_group_segment_fixed_size 0
		.amdhsa_private_segment_fixed_size 0
		.amdhsa_kernarg_size 144
		.amdhsa_user_sgpr_count 6
		.amdhsa_user_sgpr_private_segment_buffer 1
		.amdhsa_user_sgpr_dispatch_ptr 0
		.amdhsa_user_sgpr_queue_ptr 0
		.amdhsa_user_sgpr_kernarg_segment_ptr 1
		.amdhsa_user_sgpr_dispatch_id 0
		.amdhsa_user_sgpr_flat_scratch_init 0
		.amdhsa_user_sgpr_kernarg_preload_length 0
		.amdhsa_user_sgpr_kernarg_preload_offset 0
		.amdhsa_user_sgpr_private_segment_size 0
		.amdhsa_uses_dynamic_stack 0
		.amdhsa_system_sgpr_private_segment_wavefront_offset 0
		.amdhsa_system_sgpr_workgroup_id_x 1
		.amdhsa_system_sgpr_workgroup_id_y 0
		.amdhsa_system_sgpr_workgroup_id_z 0
		.amdhsa_system_sgpr_workgroup_info 0
		.amdhsa_system_vgpr_workitem_id 0
		.amdhsa_next_free_vgpr 1
		.amdhsa_next_free_sgpr 0
		.amdhsa_accum_offset 4
		.amdhsa_reserve_vcc 0
		.amdhsa_reserve_flat_scratch 0
		.amdhsa_float_round_mode_32 0
		.amdhsa_float_round_mode_16_64 0
		.amdhsa_float_denorm_mode_32 3
		.amdhsa_float_denorm_mode_16_64 3
		.amdhsa_dx10_clamp 1
		.amdhsa_ieee_mode 1
		.amdhsa_fp16_overflow 0
		.amdhsa_tg_split 0
		.amdhsa_exception_fp_ieee_invalid_op 0
		.amdhsa_exception_fp_denorm_src 0
		.amdhsa_exception_fp_ieee_div_zero 0
		.amdhsa_exception_fp_ieee_overflow 0
		.amdhsa_exception_fp_ieee_underflow 0
		.amdhsa_exception_fp_ieee_inexact 0
		.amdhsa_exception_int_div_zero 0
	.end_amdhsa_kernel
	.section	.text._ZN7rocprim17ROCPRIM_400000_NS6detail17trampoline_kernelINS0_14default_configENS1_25partition_config_selectorILNS1_17partition_subalgoE1EiNS0_10empty_typeEbEEZZNS1_14partition_implILS5_1ELb0ES3_jN6thrust23THRUST_200600_302600_NS6detail15normal_iteratorINSA_10device_ptrIiEEEEPS6_NSA_18transform_iteratorI7is_evenIiESF_NSA_11use_defaultESK_EENS0_5tupleIJSF_SF_EEENSM_IJSG_SG_EEES6_PlJS6_EEE10hipError_tPvRmT3_T4_T5_T6_T7_T9_mT8_P12ihipStream_tbDpT10_ENKUlT_T0_E_clISt17integral_constantIbLb1EES19_EEDaS14_S15_EUlS14_E_NS1_11comp_targetILNS1_3genE5ELNS1_11target_archE942ELNS1_3gpuE9ELNS1_3repE0EEENS1_30default_config_static_selectorELNS0_4arch9wavefront6targetE1EEEvT1_,"axG",@progbits,_ZN7rocprim17ROCPRIM_400000_NS6detail17trampoline_kernelINS0_14default_configENS1_25partition_config_selectorILNS1_17partition_subalgoE1EiNS0_10empty_typeEbEEZZNS1_14partition_implILS5_1ELb0ES3_jN6thrust23THRUST_200600_302600_NS6detail15normal_iteratorINSA_10device_ptrIiEEEEPS6_NSA_18transform_iteratorI7is_evenIiESF_NSA_11use_defaultESK_EENS0_5tupleIJSF_SF_EEENSM_IJSG_SG_EEES6_PlJS6_EEE10hipError_tPvRmT3_T4_T5_T6_T7_T9_mT8_P12ihipStream_tbDpT10_ENKUlT_T0_E_clISt17integral_constantIbLb1EES19_EEDaS14_S15_EUlS14_E_NS1_11comp_targetILNS1_3genE5ELNS1_11target_archE942ELNS1_3gpuE9ELNS1_3repE0EEENS1_30default_config_static_selectorELNS0_4arch9wavefront6targetE1EEEvT1_,comdat
.Lfunc_end426:
	.size	_ZN7rocprim17ROCPRIM_400000_NS6detail17trampoline_kernelINS0_14default_configENS1_25partition_config_selectorILNS1_17partition_subalgoE1EiNS0_10empty_typeEbEEZZNS1_14partition_implILS5_1ELb0ES3_jN6thrust23THRUST_200600_302600_NS6detail15normal_iteratorINSA_10device_ptrIiEEEEPS6_NSA_18transform_iteratorI7is_evenIiESF_NSA_11use_defaultESK_EENS0_5tupleIJSF_SF_EEENSM_IJSG_SG_EEES6_PlJS6_EEE10hipError_tPvRmT3_T4_T5_T6_T7_T9_mT8_P12ihipStream_tbDpT10_ENKUlT_T0_E_clISt17integral_constantIbLb1EES19_EEDaS14_S15_EUlS14_E_NS1_11comp_targetILNS1_3genE5ELNS1_11target_archE942ELNS1_3gpuE9ELNS1_3repE0EEENS1_30default_config_static_selectorELNS0_4arch9wavefront6targetE1EEEvT1_, .Lfunc_end426-_ZN7rocprim17ROCPRIM_400000_NS6detail17trampoline_kernelINS0_14default_configENS1_25partition_config_selectorILNS1_17partition_subalgoE1EiNS0_10empty_typeEbEEZZNS1_14partition_implILS5_1ELb0ES3_jN6thrust23THRUST_200600_302600_NS6detail15normal_iteratorINSA_10device_ptrIiEEEEPS6_NSA_18transform_iteratorI7is_evenIiESF_NSA_11use_defaultESK_EENS0_5tupleIJSF_SF_EEENSM_IJSG_SG_EEES6_PlJS6_EEE10hipError_tPvRmT3_T4_T5_T6_T7_T9_mT8_P12ihipStream_tbDpT10_ENKUlT_T0_E_clISt17integral_constantIbLb1EES19_EEDaS14_S15_EUlS14_E_NS1_11comp_targetILNS1_3genE5ELNS1_11target_archE942ELNS1_3gpuE9ELNS1_3repE0EEENS1_30default_config_static_selectorELNS0_4arch9wavefront6targetE1EEEvT1_
                                        ; -- End function
	.section	.AMDGPU.csdata,"",@progbits
; Kernel info:
; codeLenInByte = 0
; NumSgprs: 4
; NumVgprs: 0
; NumAgprs: 0
; TotalNumVgprs: 0
; ScratchSize: 0
; MemoryBound: 0
; FloatMode: 240
; IeeeMode: 1
; LDSByteSize: 0 bytes/workgroup (compile time only)
; SGPRBlocks: 0
; VGPRBlocks: 0
; NumSGPRsForWavesPerEU: 4
; NumVGPRsForWavesPerEU: 1
; AccumOffset: 4
; Occupancy: 8
; WaveLimiterHint : 0
; COMPUTE_PGM_RSRC2:SCRATCH_EN: 0
; COMPUTE_PGM_RSRC2:USER_SGPR: 6
; COMPUTE_PGM_RSRC2:TRAP_HANDLER: 0
; COMPUTE_PGM_RSRC2:TGID_X_EN: 1
; COMPUTE_PGM_RSRC2:TGID_Y_EN: 0
; COMPUTE_PGM_RSRC2:TGID_Z_EN: 0
; COMPUTE_PGM_RSRC2:TIDIG_COMP_CNT: 0
; COMPUTE_PGM_RSRC3_GFX90A:ACCUM_OFFSET: 0
; COMPUTE_PGM_RSRC3_GFX90A:TG_SPLIT: 0
	.section	.text._ZN7rocprim17ROCPRIM_400000_NS6detail17trampoline_kernelINS0_14default_configENS1_25partition_config_selectorILNS1_17partition_subalgoE1EiNS0_10empty_typeEbEEZZNS1_14partition_implILS5_1ELb0ES3_jN6thrust23THRUST_200600_302600_NS6detail15normal_iteratorINSA_10device_ptrIiEEEEPS6_NSA_18transform_iteratorI7is_evenIiESF_NSA_11use_defaultESK_EENS0_5tupleIJSF_SF_EEENSM_IJSG_SG_EEES6_PlJS6_EEE10hipError_tPvRmT3_T4_T5_T6_T7_T9_mT8_P12ihipStream_tbDpT10_ENKUlT_T0_E_clISt17integral_constantIbLb1EES19_EEDaS14_S15_EUlS14_E_NS1_11comp_targetILNS1_3genE4ELNS1_11target_archE910ELNS1_3gpuE8ELNS1_3repE0EEENS1_30default_config_static_selectorELNS0_4arch9wavefront6targetE1EEEvT1_,"axG",@progbits,_ZN7rocprim17ROCPRIM_400000_NS6detail17trampoline_kernelINS0_14default_configENS1_25partition_config_selectorILNS1_17partition_subalgoE1EiNS0_10empty_typeEbEEZZNS1_14partition_implILS5_1ELb0ES3_jN6thrust23THRUST_200600_302600_NS6detail15normal_iteratorINSA_10device_ptrIiEEEEPS6_NSA_18transform_iteratorI7is_evenIiESF_NSA_11use_defaultESK_EENS0_5tupleIJSF_SF_EEENSM_IJSG_SG_EEES6_PlJS6_EEE10hipError_tPvRmT3_T4_T5_T6_T7_T9_mT8_P12ihipStream_tbDpT10_ENKUlT_T0_E_clISt17integral_constantIbLb1EES19_EEDaS14_S15_EUlS14_E_NS1_11comp_targetILNS1_3genE4ELNS1_11target_archE910ELNS1_3gpuE8ELNS1_3repE0EEENS1_30default_config_static_selectorELNS0_4arch9wavefront6targetE1EEEvT1_,comdat
	.protected	_ZN7rocprim17ROCPRIM_400000_NS6detail17trampoline_kernelINS0_14default_configENS1_25partition_config_selectorILNS1_17partition_subalgoE1EiNS0_10empty_typeEbEEZZNS1_14partition_implILS5_1ELb0ES3_jN6thrust23THRUST_200600_302600_NS6detail15normal_iteratorINSA_10device_ptrIiEEEEPS6_NSA_18transform_iteratorI7is_evenIiESF_NSA_11use_defaultESK_EENS0_5tupleIJSF_SF_EEENSM_IJSG_SG_EEES6_PlJS6_EEE10hipError_tPvRmT3_T4_T5_T6_T7_T9_mT8_P12ihipStream_tbDpT10_ENKUlT_T0_E_clISt17integral_constantIbLb1EES19_EEDaS14_S15_EUlS14_E_NS1_11comp_targetILNS1_3genE4ELNS1_11target_archE910ELNS1_3gpuE8ELNS1_3repE0EEENS1_30default_config_static_selectorELNS0_4arch9wavefront6targetE1EEEvT1_ ; -- Begin function _ZN7rocprim17ROCPRIM_400000_NS6detail17trampoline_kernelINS0_14default_configENS1_25partition_config_selectorILNS1_17partition_subalgoE1EiNS0_10empty_typeEbEEZZNS1_14partition_implILS5_1ELb0ES3_jN6thrust23THRUST_200600_302600_NS6detail15normal_iteratorINSA_10device_ptrIiEEEEPS6_NSA_18transform_iteratorI7is_evenIiESF_NSA_11use_defaultESK_EENS0_5tupleIJSF_SF_EEENSM_IJSG_SG_EEES6_PlJS6_EEE10hipError_tPvRmT3_T4_T5_T6_T7_T9_mT8_P12ihipStream_tbDpT10_ENKUlT_T0_E_clISt17integral_constantIbLb1EES19_EEDaS14_S15_EUlS14_E_NS1_11comp_targetILNS1_3genE4ELNS1_11target_archE910ELNS1_3gpuE8ELNS1_3repE0EEENS1_30default_config_static_selectorELNS0_4arch9wavefront6targetE1EEEvT1_
	.globl	_ZN7rocprim17ROCPRIM_400000_NS6detail17trampoline_kernelINS0_14default_configENS1_25partition_config_selectorILNS1_17partition_subalgoE1EiNS0_10empty_typeEbEEZZNS1_14partition_implILS5_1ELb0ES3_jN6thrust23THRUST_200600_302600_NS6detail15normal_iteratorINSA_10device_ptrIiEEEEPS6_NSA_18transform_iteratorI7is_evenIiESF_NSA_11use_defaultESK_EENS0_5tupleIJSF_SF_EEENSM_IJSG_SG_EEES6_PlJS6_EEE10hipError_tPvRmT3_T4_T5_T6_T7_T9_mT8_P12ihipStream_tbDpT10_ENKUlT_T0_E_clISt17integral_constantIbLb1EES19_EEDaS14_S15_EUlS14_E_NS1_11comp_targetILNS1_3genE4ELNS1_11target_archE910ELNS1_3gpuE8ELNS1_3repE0EEENS1_30default_config_static_selectorELNS0_4arch9wavefront6targetE1EEEvT1_
	.p2align	8
	.type	_ZN7rocprim17ROCPRIM_400000_NS6detail17trampoline_kernelINS0_14default_configENS1_25partition_config_selectorILNS1_17partition_subalgoE1EiNS0_10empty_typeEbEEZZNS1_14partition_implILS5_1ELb0ES3_jN6thrust23THRUST_200600_302600_NS6detail15normal_iteratorINSA_10device_ptrIiEEEEPS6_NSA_18transform_iteratorI7is_evenIiESF_NSA_11use_defaultESK_EENS0_5tupleIJSF_SF_EEENSM_IJSG_SG_EEES6_PlJS6_EEE10hipError_tPvRmT3_T4_T5_T6_T7_T9_mT8_P12ihipStream_tbDpT10_ENKUlT_T0_E_clISt17integral_constantIbLb1EES19_EEDaS14_S15_EUlS14_E_NS1_11comp_targetILNS1_3genE4ELNS1_11target_archE910ELNS1_3gpuE8ELNS1_3repE0EEENS1_30default_config_static_selectorELNS0_4arch9wavefront6targetE1EEEvT1_,@function
_ZN7rocprim17ROCPRIM_400000_NS6detail17trampoline_kernelINS0_14default_configENS1_25partition_config_selectorILNS1_17partition_subalgoE1EiNS0_10empty_typeEbEEZZNS1_14partition_implILS5_1ELb0ES3_jN6thrust23THRUST_200600_302600_NS6detail15normal_iteratorINSA_10device_ptrIiEEEEPS6_NSA_18transform_iteratorI7is_evenIiESF_NSA_11use_defaultESK_EENS0_5tupleIJSF_SF_EEENSM_IJSG_SG_EEES6_PlJS6_EEE10hipError_tPvRmT3_T4_T5_T6_T7_T9_mT8_P12ihipStream_tbDpT10_ENKUlT_T0_E_clISt17integral_constantIbLb1EES19_EEDaS14_S15_EUlS14_E_NS1_11comp_targetILNS1_3genE4ELNS1_11target_archE910ELNS1_3gpuE8ELNS1_3repE0EEENS1_30default_config_static_selectorELNS0_4arch9wavefront6targetE1EEEvT1_: ; @_ZN7rocprim17ROCPRIM_400000_NS6detail17trampoline_kernelINS0_14default_configENS1_25partition_config_selectorILNS1_17partition_subalgoE1EiNS0_10empty_typeEbEEZZNS1_14partition_implILS5_1ELb0ES3_jN6thrust23THRUST_200600_302600_NS6detail15normal_iteratorINSA_10device_ptrIiEEEEPS6_NSA_18transform_iteratorI7is_evenIiESF_NSA_11use_defaultESK_EENS0_5tupleIJSF_SF_EEENSM_IJSG_SG_EEES6_PlJS6_EEE10hipError_tPvRmT3_T4_T5_T6_T7_T9_mT8_P12ihipStream_tbDpT10_ENKUlT_T0_E_clISt17integral_constantIbLb1EES19_EEDaS14_S15_EUlS14_E_NS1_11comp_targetILNS1_3genE4ELNS1_11target_archE910ELNS1_3gpuE8ELNS1_3repE0EEENS1_30default_config_static_selectorELNS0_4arch9wavefront6targetE1EEEvT1_
; %bb.0:
	s_load_dwordx2 s[6:7], s[4:5], 0x20
	s_load_dwordx4 s[20:23], s[4:5], 0x50
	s_load_dwordx2 s[2:3], s[4:5], 0x60
	s_load_dwordx2 s[30:31], s[4:5], 0x70
	v_cmp_eq_u32_e64 s[0:1], 0, v0
	s_and_saveexec_b64 s[8:9], s[0:1]
	s_cbranch_execz .LBB427_4
; %bb.1:
	s_mov_b64 s[12:13], exec
	v_mbcnt_lo_u32_b32 v1, s12, 0
	v_mbcnt_hi_u32_b32 v1, s13, v1
	v_cmp_eq_u32_e32 vcc, 0, v1
                                        ; implicit-def: $vgpr2
	s_and_saveexec_b64 s[10:11], vcc
	s_cbranch_execz .LBB427_3
; %bb.2:
	s_load_dwordx2 s[14:15], s[4:5], 0x80
	s_bcnt1_i32_b64 s12, s[12:13]
	v_mov_b32_e32 v2, 0
	v_mov_b32_e32 v3, s12
	s_waitcnt lgkmcnt(0)
	global_atomic_add v2, v2, v3, s[14:15] glc
.LBB427_3:
	s_or_b64 exec, exec, s[10:11]
	s_waitcnt vmcnt(0)
	v_readfirstlane_b32 s10, v2
	v_add_u32_e32 v1, s10, v1
	v_mov_b32_e32 v2, 0
	ds_write_b32 v2, v1
.LBB427_4:
	s_or_b64 exec, exec, s[8:9]
	v_mov_b32_e32 v3, 0
	s_load_dwordx4 s[16:19], s[4:5], 0x8
	s_load_dwordx4 s[24:27], s[4:5], 0x30
	s_load_dword s8, s[4:5], 0x78
	s_waitcnt lgkmcnt(0)
	s_barrier
	ds_read_b32 v1, v3
	s_waitcnt lgkmcnt(0)
	s_barrier
	global_load_dwordx2 v[10:11], v3, s[22:23]
	v_mov_b32_e32 v5, s3
	s_lshl_b64 s[4:5], s[18:19], 2
	s_movk_i32 s3, 0x700
	s_add_u32 s9, s16, s4
	v_mul_lo_u32 v2, v1, s3
	s_mul_i32 s3, s8, 0x700
	s_addc_u32 s10, s17, s5
	s_add_i32 s11, s8, -1
	s_add_i32 s8, s3, s18
	s_sub_i32 s33, s2, s8
	s_addk_i32 s33, 0x700
	v_mov_b32_e32 v4, s2
	s_add_u32 s2, s18, s3
	v_readfirstlane_b32 s40, v1
	s_addc_u32 s3, s19, 0
	s_cmp_eq_u32 s40, s11
	s_cselect_b64 s[22:23], -1, 0
	s_cmp_lg_u32 s40, s11
	v_cmp_lt_u64_e32 vcc, s[2:3], v[4:5]
	s_cselect_b64 s[2:3], -1, 0
	v_lshlrev_b64 v[12:13], 2, v[2:3]
	s_or_b64 s[28:29], vcc, s[2:3]
	v_mov_b32_e32 v2, s10
	v_add_co_u32_e32 v1, vcc, s9, v12
	v_addc_co_u32_e32 v9, vcc, v2, v13, vcc
	s_mov_b64 s[2:3], -1
	s_and_b64 vcc, exec, s[28:29]
	v_lshlrev_b32_e32 v22, 2, v0
	s_cbranch_vccz .LBB427_6
; %bb.5:
	v_add_co_u32_e32 v2, vcc, v1, v22
	v_addc_co_u32_e32 v3, vcc, 0, v9, vcc
	v_add_co_u32_e32 v4, vcc, 0x1000, v2
	v_addc_co_u32_e32 v5, vcc, 0, v3, vcc
	flat_load_dword v6, v[2:3]
	flat_load_dword v7, v[2:3] offset:1024
	flat_load_dword v8, v[2:3] offset:2048
	;; [unrolled: 1-line block ×3, first 2 shown]
	flat_load_dword v15, v[4:5]
	flat_load_dword v16, v[4:5] offset:1024
	flat_load_dword v17, v[4:5] offset:2048
	s_mov_b64 s[2:3], 0
	s_waitcnt vmcnt(0) lgkmcnt(0)
	ds_write2st64_b32 v22, v6, v7 offset1:4
	ds_write2st64_b32 v22, v8, v14 offset0:8 offset1:12
	ds_write2st64_b32 v22, v15, v16 offset0:16 offset1:20
	ds_write_b32 v22, v17 offset:6144
	s_waitcnt lgkmcnt(0)
	s_barrier
.LBB427_6:
	s_andn2_b64 vcc, exec, s[2:3]
	v_cmp_gt_u32_e64 s[2:3], s33, v0
	s_cbranch_vccnz .LBB427_22
; %bb.7:
                                        ; implicit-def: $vgpr2_vgpr3_vgpr4_vgpr5_vgpr6_vgpr7_vgpr8
	s_and_saveexec_b64 s[8:9], s[2:3]
	s_cbranch_execz .LBB427_9
; %bb.8:
	v_add_co_u32_e32 v2, vcc, v1, v22
	v_addc_co_u32_e32 v3, vcc, 0, v9, vcc
	flat_load_dword v2, v[2:3]
.LBB427_9:
	s_or_b64 exec, exec, s[8:9]
	v_or_b32_e32 v14, 0x100, v0
	v_cmp_gt_u32_e32 vcc, s33, v14
	s_and_saveexec_b64 s[2:3], vcc
	s_cbranch_execz .LBB427_11
; %bb.10:
	v_add_co_u32_e32 v14, vcc, v1, v22
	v_addc_co_u32_e32 v15, vcc, 0, v9, vcc
	flat_load_dword v3, v[14:15] offset:1024
.LBB427_11:
	s_or_b64 exec, exec, s[2:3]
	v_or_b32_e32 v14, 0x200, v0
	v_cmp_gt_u32_e32 vcc, s33, v14
	s_and_saveexec_b64 s[2:3], vcc
	s_cbranch_execz .LBB427_13
; %bb.12:
	v_add_co_u32_e32 v14, vcc, v1, v22
	v_addc_co_u32_e32 v15, vcc, 0, v9, vcc
	flat_load_dword v4, v[14:15] offset:2048
.LBB427_13:
	s_or_b64 exec, exec, s[2:3]
	v_or_b32_e32 v14, 0x300, v0
	v_cmp_gt_u32_e32 vcc, s33, v14
	s_and_saveexec_b64 s[2:3], vcc
	s_cbranch_execz .LBB427_15
; %bb.14:
	v_add_co_u32_e32 v14, vcc, v1, v22
	v_addc_co_u32_e32 v15, vcc, 0, v9, vcc
	flat_load_dword v5, v[14:15] offset:3072
.LBB427_15:
	s_or_b64 exec, exec, s[2:3]
	v_or_b32_e32 v14, 0x400, v0
	v_cmp_gt_u32_e32 vcc, s33, v14
	s_and_saveexec_b64 s[2:3], vcc
	s_cbranch_execz .LBB427_17
; %bb.16:
	v_lshlrev_b32_e32 v6, 2, v14
	v_add_co_u32_e32 v14, vcc, v1, v6
	v_addc_co_u32_e32 v15, vcc, 0, v9, vcc
	flat_load_dword v6, v[14:15]
.LBB427_17:
	s_or_b64 exec, exec, s[2:3]
	v_or_b32_e32 v14, 0x500, v0
	v_cmp_gt_u32_e32 vcc, s33, v14
	s_and_saveexec_b64 s[2:3], vcc
	s_cbranch_execz .LBB427_19
; %bb.18:
	v_lshlrev_b32_e32 v7, 2, v14
	v_add_co_u32_e32 v14, vcc, v1, v7
	v_addc_co_u32_e32 v15, vcc, 0, v9, vcc
	flat_load_dword v7, v[14:15]
.LBB427_19:
	;; [unrolled: 11-line block ×3, first 2 shown]
	s_or_b64 exec, exec, s[2:3]
	s_waitcnt vmcnt(0) lgkmcnt(0)
	ds_write2st64_b32 v22, v2, v3 offset1:4
	ds_write2st64_b32 v22, v4, v5 offset0:8 offset1:12
	ds_write2st64_b32 v22, v6, v7 offset0:16 offset1:20
	ds_write_b32 v22, v8 offset:6144
	s_waitcnt lgkmcnt(0)
	s_barrier
.LBB427_22:
	v_mul_u32_u24_e32 v24, 7, v0
	v_lshlrev_b32_e32 v9, 2, v24
	ds_read2_b32 v[6:7], v9 offset1:1
	ds_read2_b32 v[4:5], v9 offset0:2 offset1:3
	ds_read2_b32 v[2:3], v9 offset0:4 offset1:5
	ds_read_b32 v23, v9 offset:24
	s_add_u32 s2, s6, s4
	s_addc_u32 s3, s7, s5
	v_mov_b32_e32 v1, s3
	v_add_co_u32_e32 v8, vcc, s2, v12
	v_addc_co_u32_e32 v1, vcc, v1, v13, vcc
	s_mov_b64 s[2:3], -1
	s_and_b64 vcc, exec, s[28:29]
	s_waitcnt lgkmcnt(0)
	s_barrier
	s_cbranch_vccz .LBB427_24
; %bb.23:
	v_add_co_u32_e32 v14, vcc, v8, v22
	v_readfirstlane_b32 s2, v8
	v_readfirstlane_b32 s3, v1
	v_addc_co_u32_e32 v15, vcc, 0, v1, vcc
	s_nop 3
	global_load_dword v16, v22, s[2:3]
	global_load_dword v17, v22, s[2:3] offset:1024
	global_load_dword v18, v22, s[2:3] offset:2048
	;; [unrolled: 1-line block ×3, first 2 shown]
	s_movk_i32 s2, 0x1000
	v_add_co_u32_e32 v14, vcc, s2, v14
	v_addc_co_u32_e32 v15, vcc, 0, v15, vcc
	global_load_dword v20, v[14:15], off
	global_load_dword v21, v[14:15], off offset:1024
	global_load_dword v25, v[14:15], off offset:2048
	s_mov_b64 s[2:3], 0
	s_waitcnt vmcnt(6)
	v_xor_b32_e32 v14, -1, v16
	s_waitcnt vmcnt(5)
	v_xor_b32_e32 v15, -1, v17
	;; [unrolled: 2-line block ×4, first 2 shown]
	v_and_b32_e32 v14, 1, v14
	v_and_b32_e32 v15, 1, v15
	;; [unrolled: 1-line block ×3, first 2 shown]
	s_waitcnt vmcnt(2)
	v_xor_b32_e32 v18, -1, v20
	s_waitcnt vmcnt(1)
	v_xor_b32_e32 v19, -1, v21
	;; [unrolled: 2-line block ×3, first 2 shown]
	v_and_b32_e32 v17, 1, v17
	v_and_b32_e32 v18, 1, v18
	;; [unrolled: 1-line block ×4, first 2 shown]
	ds_write_b8 v0, v14
	ds_write_b8 v0, v15 offset:256
	ds_write_b8 v0, v16 offset:512
	;; [unrolled: 1-line block ×6, first 2 shown]
	s_waitcnt lgkmcnt(0)
	s_barrier
.LBB427_24:
	s_andn2_b64 vcc, exec, s[2:3]
	s_cbranch_vccnz .LBB427_40
; %bb.25:
	v_cmp_gt_u32_e32 vcc, s33, v0
	v_mov_b32_e32 v14, 0
	v_mov_b32_e32 v15, 0
	s_and_saveexec_b64 s[2:3], vcc
	s_cbranch_execz .LBB427_27
; %bb.26:
	v_readfirstlane_b32 s4, v8
	v_readfirstlane_b32 s5, v1
	s_nop 4
	global_load_dword v15, v22, s[4:5]
	s_waitcnt vmcnt(0)
	v_xor_b32_e32 v15, -1, v15
	v_and_b32_e32 v15, 1, v15
.LBB427_27:
	s_or_b64 exec, exec, s[2:3]
	v_or_b32_e32 v16, 0x100, v0
	v_cmp_gt_u32_e32 vcc, s33, v16
	s_and_saveexec_b64 s[2:3], vcc
	s_cbranch_execz .LBB427_29
; %bb.28:
	v_readfirstlane_b32 s4, v8
	v_readfirstlane_b32 s5, v1
	s_nop 4
	global_load_dword v14, v22, s[4:5] offset:1024
	s_waitcnt vmcnt(0)
	v_xor_b32_e32 v14, -1, v14
	v_and_b32_e32 v14, 1, v14
.LBB427_29:
	s_or_b64 exec, exec, s[2:3]
	v_or_b32_e32 v16, 0x200, v0
	v_cmp_gt_u32_e32 vcc, s33, v16
	v_mov_b32_e32 v16, 0
	v_mov_b32_e32 v17, 0
	s_and_saveexec_b64 s[2:3], vcc
	s_cbranch_execz .LBB427_31
; %bb.30:
	v_readfirstlane_b32 s4, v8
	v_readfirstlane_b32 s5, v1
	s_nop 4
	global_load_dword v17, v22, s[4:5] offset:2048
	s_waitcnt vmcnt(0)
	v_xor_b32_e32 v17, -1, v17
	v_and_b32_e32 v17, 1, v17
.LBB427_31:
	s_or_b64 exec, exec, s[2:3]
	v_or_b32_e32 v18, 0x300, v0
	v_cmp_gt_u32_e32 vcc, s33, v18
	s_and_saveexec_b64 s[2:3], vcc
	s_cbranch_execz .LBB427_33
; %bb.32:
	v_readfirstlane_b32 s4, v8
	v_readfirstlane_b32 s5, v1
	s_nop 4
	global_load_dword v16, v22, s[4:5] offset:3072
	s_waitcnt vmcnt(0)
	v_xor_b32_e32 v16, -1, v16
	v_and_b32_e32 v16, 1, v16
.LBB427_33:
	s_or_b64 exec, exec, s[2:3]
	v_or_b32_e32 v20, 0x400, v0
	v_cmp_gt_u32_e32 vcc, s33, v20
	v_mov_b32_e32 v18, 0
	v_mov_b32_e32 v19, 0
	s_and_saveexec_b64 s[2:3], vcc
	s_cbranch_execz .LBB427_35
; %bb.34:
	v_lshlrev_b32_e32 v19, 2, v20
	v_readfirstlane_b32 s4, v8
	v_readfirstlane_b32 s5, v1
	s_nop 4
	global_load_dword v19, v19, s[4:5]
	s_waitcnt vmcnt(0)
	v_xor_b32_e32 v19, -1, v19
	v_and_b32_e32 v19, 1, v19
.LBB427_35:
	s_or_b64 exec, exec, s[2:3]
	v_or_b32_e32 v20, 0x500, v0
	v_cmp_gt_u32_e32 vcc, s33, v20
	s_and_saveexec_b64 s[2:3], vcc
	s_cbranch_execz .LBB427_37
; %bb.36:
	v_lshlrev_b32_e32 v18, 2, v20
	v_readfirstlane_b32 s4, v8
	v_readfirstlane_b32 s5, v1
	s_nop 4
	global_load_dword v18, v18, s[4:5]
	s_waitcnt vmcnt(0)
	v_xor_b32_e32 v18, -1, v18
	v_and_b32_e32 v18, 1, v18
.LBB427_37:
	s_or_b64 exec, exec, s[2:3]
	v_or_b32_e32 v21, 0x600, v0
	v_cmp_gt_u32_e32 vcc, s33, v21
	v_mov_b32_e32 v20, 0
	s_and_saveexec_b64 s[2:3], vcc
	s_cbranch_execz .LBB427_39
; %bb.38:
	v_lshlrev_b32_e32 v20, 2, v21
	v_readfirstlane_b32 s4, v8
	v_readfirstlane_b32 s5, v1
	s_nop 4
	global_load_dword v1, v20, s[4:5]
	s_waitcnt vmcnt(0)
	v_xor_b32_e32 v1, -1, v1
	v_and_b32_e32 v20, 1, v1
.LBB427_39:
	s_or_b64 exec, exec, s[2:3]
	ds_write_b8 v0, v15
	ds_write_b8 v0, v14 offset:256
	ds_write_b8 v0, v17 offset:512
	;; [unrolled: 1-line block ×6, first 2 shown]
	s_waitcnt lgkmcnt(0)
	s_barrier
.LBB427_40:
	s_movk_i32 s2, 0xffeb
	v_mad_i32_i24 v32, v0, s2, v9
	ds_read_u8 v1, v32
	ds_read_u8 v8, v32 offset:1
	ds_read_u8 v9, v32 offset:2
	;; [unrolled: 1-line block ×6, first 2 shown]
	s_waitcnt lgkmcnt(6)
	v_and_b32_e32 v30, 1, v1
	s_waitcnt lgkmcnt(5)
	v_and_b32_e32 v29, 1, v8
	;; [unrolled: 2-line block ×5, first 2 shown]
	v_add3_u32 v8, v29, v30, v28
	s_waitcnt lgkmcnt(1)
	v_and_b32_e32 v25, 1, v16
	s_waitcnt lgkmcnt(0)
	v_and_b32_e32 v1, 1, v17
	v_add3_u32 v8, v8, v27, v26
	v_add3_u32 v34, v8, v25, v1
	v_mbcnt_lo_u32_b32 v8, -1, 0
	v_mbcnt_hi_u32_b32 v31, -1, v8
	v_and_b32_e32 v8, 15, v31
	v_cmp_eq_u32_e64 s[14:15], 0, v8
	v_cmp_lt_u32_e64 s[12:13], 1, v8
	v_cmp_lt_u32_e64 s[10:11], 3, v8
	;; [unrolled: 1-line block ×3, first 2 shown]
	v_and_b32_e32 v8, 16, v31
	v_cmp_eq_u32_e64 s[6:7], 0, v8
	v_or_b32_e32 v8, 63, v0
	s_cmp_lg_u32 s40, 0
	v_cmp_lt_u32_e64 s[2:3], 31, v31
	v_lshrrev_b32_e32 v33, 6, v0
	v_cmp_eq_u32_e64 s[4:5], v8, v0
	s_barrier
	s_cbranch_scc0 .LBB427_71
; %bb.41:
	v_mov_b32_dpp v8, v34 row_shr:1 row_mask:0xf bank_mask:0xf
	v_cndmask_b32_e64 v8, v8, 0, s[14:15]
	v_add_u32_e32 v8, v8, v34
	s_nop 1
	v_mov_b32_dpp v9, v8 row_shr:2 row_mask:0xf bank_mask:0xf
	v_cndmask_b32_e64 v9, 0, v9, s[12:13]
	v_add_u32_e32 v8, v8, v9
	s_nop 1
	;; [unrolled: 4-line block ×4, first 2 shown]
	v_mov_b32_dpp v9, v8 row_bcast:15 row_mask:0xf bank_mask:0xf
	v_cndmask_b32_e64 v9, v9, 0, s[6:7]
	v_add_u32_e32 v8, v8, v9
	s_nop 1
	v_mov_b32_dpp v9, v8 row_bcast:31 row_mask:0xf bank_mask:0xf
	v_cndmask_b32_e64 v9, 0, v9, s[2:3]
	v_add_u32_e32 v8, v8, v9
	s_and_saveexec_b64 s[16:17], s[4:5]
	s_cbranch_execz .LBB427_43
; %bb.42:
	v_lshlrev_b32_e32 v9, 2, v33
	ds_write_b32 v9, v8
.LBB427_43:
	s_or_b64 exec, exec, s[16:17]
	v_cmp_gt_u32_e32 vcc, 4, v0
	s_waitcnt lgkmcnt(0)
	s_barrier
	s_and_saveexec_b64 s[16:17], vcc
	s_cbranch_execz .LBB427_45
; %bb.44:
	ds_read_b32 v9, v22
	v_and_b32_e32 v14, 3, v31
	v_cmp_ne_u32_e32 vcc, 0, v14
	s_waitcnt lgkmcnt(0)
	v_mov_b32_dpp v15, v9 row_shr:1 row_mask:0xf bank_mask:0xf
	v_cndmask_b32_e32 v15, 0, v15, vcc
	v_add_u32_e32 v9, v15, v9
	v_cmp_lt_u32_e32 vcc, 1, v14
	s_nop 0
	v_mov_b32_dpp v15, v9 row_shr:2 row_mask:0xf bank_mask:0xf
	v_cndmask_b32_e32 v14, 0, v15, vcc
	v_add_u32_e32 v9, v9, v14
	ds_write_b32 v22, v9
.LBB427_45:
	s_or_b64 exec, exec, s[16:17]
	v_cmp_gt_u32_e32 vcc, 64, v0
	v_cmp_lt_u32_e64 s[16:17], 63, v0
	s_waitcnt lgkmcnt(0)
	s_barrier
	s_waitcnt lgkmcnt(0)
                                        ; implicit-def: $vgpr35
	s_and_saveexec_b64 s[34:35], s[16:17]
	s_cbranch_execz .LBB427_47
; %bb.46:
	v_lshl_add_u32 v9, v33, 2, -4
	ds_read_b32 v35, v9
	s_waitcnt lgkmcnt(0)
	v_add_u32_e32 v8, v35, v8
.LBB427_47:
	s_or_b64 exec, exec, s[34:35]
	v_add_u32_e32 v9, -1, v31
	v_and_b32_e32 v14, 64, v31
	v_cmp_lt_i32_e64 s[16:17], v9, v14
	v_cndmask_b32_e64 v9, v9, v31, s[16:17]
	v_lshlrev_b32_e32 v9, 2, v9
	ds_bpermute_b32 v36, v9, v8
	v_cmp_eq_u32_e64 s[16:17], 0, v31
	s_and_saveexec_b64 s[34:35], vcc
	s_cbranch_execz .LBB427_70
; %bb.48:
	v_mov_b32_e32 v21, 0
	ds_read_b32 v8, v21 offset:12
	s_and_saveexec_b64 s[36:37], s[16:17]
	s_cbranch_execz .LBB427_50
; %bb.49:
	s_add_i32 s38, s40, 64
	s_mov_b32 s39, 0
	s_lshl_b64 s[38:39], s[38:39], 3
	s_add_u32 s38, s30, s38
	v_mov_b32_e32 v9, 1
	s_addc_u32 s39, s31, s39
	s_waitcnt lgkmcnt(0)
	global_store_dwordx2 v21, v[8:9], s[38:39]
.LBB427_50:
	s_or_b64 exec, exec, s[36:37]
	v_xad_u32 v14, v31, -1, s40
	v_add_u32_e32 v20, 64, v14
	v_lshlrev_b64 v[16:17], 3, v[20:21]
	v_mov_b32_e32 v9, s31
	v_add_co_u32_e32 v16, vcc, s30, v16
	v_addc_co_u32_e32 v17, vcc, v9, v17, vcc
	global_load_dwordx2 v[18:19], v[16:17], off glc
	s_waitcnt vmcnt(0)
	v_cmp_eq_u16_sdwa s[38:39], v19, v21 src0_sel:BYTE_0 src1_sel:DWORD
	s_and_saveexec_b64 s[36:37], s[38:39]
	s_cbranch_execz .LBB427_56
; %bb.51:
	s_mov_b32 s41, 1
	s_mov_b64 s[38:39], 0
	v_mov_b32_e32 v9, 0
.LBB427_52:                             ; =>This Loop Header: Depth=1
                                        ;     Child Loop BB427_53 Depth 2
	s_max_u32 s42, s41, 1
.LBB427_53:                             ;   Parent Loop BB427_52 Depth=1
                                        ; =>  This Inner Loop Header: Depth=2
	s_add_i32 s42, s42, -1
	s_cmp_eq_u32 s42, 0
	s_sleep 1
	s_cbranch_scc0 .LBB427_53
; %bb.54:                               ;   in Loop: Header=BB427_52 Depth=1
	global_load_dwordx2 v[18:19], v[16:17], off glc
	s_cmp_lt_u32 s41, 32
	s_cselect_b64 s[42:43], -1, 0
	s_cmp_lg_u64 s[42:43], 0
	s_addc_u32 s41, s41, 0
	s_waitcnt vmcnt(0)
	v_cmp_ne_u16_sdwa s[42:43], v19, v9 src0_sel:BYTE_0 src1_sel:DWORD
	s_or_b64 s[38:39], s[42:43], s[38:39]
	s_andn2_b64 exec, exec, s[38:39]
	s_cbranch_execnz .LBB427_52
; %bb.55:
	s_or_b64 exec, exec, s[38:39]
.LBB427_56:
	s_or_b64 exec, exec, s[36:37]
	v_and_b32_e32 v38, 63, v31
	v_mov_b32_e32 v37, 2
	v_cmp_ne_u32_e32 vcc, 63, v38
	v_cmp_eq_u16_sdwa s[36:37], v19, v37 src0_sel:BYTE_0 src1_sel:DWORD
	v_lshlrev_b64 v[16:17], v31, -1
	v_addc_co_u32_e32 v20, vcc, 0, v31, vcc
	v_and_b32_e32 v9, s37, v17
	v_lshlrev_b32_e32 v39, 2, v20
	v_or_b32_e32 v9, 0x80000000, v9
	ds_bpermute_b32 v20, v39, v18
	v_and_b32_e32 v15, s36, v16
	v_ffbl_b32_e32 v9, v9
	v_add_u32_e32 v9, 32, v9
	v_ffbl_b32_e32 v15, v15
	v_min_u32_e32 v9, v15, v9
	v_cmp_lt_u32_e32 vcc, v38, v9
	s_waitcnt lgkmcnt(0)
	v_cndmask_b32_e32 v15, 0, v20, vcc
	v_cmp_gt_u32_e32 vcc, 62, v38
	v_add_u32_e32 v15, v15, v18
	v_cndmask_b32_e64 v18, 0, 1, vcc
	v_lshlrev_b32_e32 v18, 1, v18
	v_add_lshl_u32 v40, v18, v31, 2
	ds_bpermute_b32 v18, v40, v15
	v_add_u32_e32 v41, 2, v38
	v_cmp_le_u32_e32 vcc, v41, v9
	v_add_u32_e32 v43, 4, v38
	v_add_u32_e32 v45, 8, v38
	s_waitcnt lgkmcnt(0)
	v_cndmask_b32_e32 v18, 0, v18, vcc
	v_cmp_gt_u32_e32 vcc, 60, v38
	v_add_u32_e32 v15, v15, v18
	v_cndmask_b32_e64 v18, 0, 1, vcc
	v_lshlrev_b32_e32 v18, 2, v18
	v_add_lshl_u32 v42, v18, v31, 2
	ds_bpermute_b32 v18, v42, v15
	v_cmp_le_u32_e32 vcc, v43, v9
	v_add_u32_e32 v47, 16, v38
	v_add_u32_e32 v49, 32, v38
	s_waitcnt lgkmcnt(0)
	v_cndmask_b32_e32 v18, 0, v18, vcc
	v_cmp_gt_u32_e32 vcc, 56, v38
	v_add_u32_e32 v15, v15, v18
	v_cndmask_b32_e64 v18, 0, 1, vcc
	v_lshlrev_b32_e32 v18, 3, v18
	v_add_lshl_u32 v44, v18, v31, 2
	ds_bpermute_b32 v18, v44, v15
	v_cmp_le_u32_e32 vcc, v45, v9
	s_waitcnt lgkmcnt(0)
	v_cndmask_b32_e32 v18, 0, v18, vcc
	v_cmp_gt_u32_e32 vcc, 48, v38
	v_add_u32_e32 v15, v15, v18
	v_cndmask_b32_e64 v18, 0, 1, vcc
	v_lshlrev_b32_e32 v18, 4, v18
	v_add_lshl_u32 v46, v18, v31, 2
	ds_bpermute_b32 v18, v46, v15
	v_cmp_le_u32_e32 vcc, v47, v9
	;; [unrolled: 9-line block ×3, first 2 shown]
	s_waitcnt lgkmcnt(0)
	v_cndmask_b32_e32 v9, 0, v18, vcc
	v_add_u32_e32 v18, v15, v9
	v_mov_b32_e32 v15, 0
	s_branch .LBB427_58
.LBB427_57:                             ;   in Loop: Header=BB427_58 Depth=1
	s_or_b64 exec, exec, s[36:37]
	v_cmp_eq_u16_sdwa s[36:37], v19, v37 src0_sel:BYTE_0 src1_sel:DWORD
	v_and_b32_e32 v20, s37, v17
	v_or_b32_e32 v20, 0x80000000, v20
	ds_bpermute_b32 v50, v39, v18
	v_and_b32_e32 v21, s36, v16
	v_ffbl_b32_e32 v20, v20
	v_add_u32_e32 v20, 32, v20
	v_ffbl_b32_e32 v21, v21
	v_min_u32_e32 v20, v21, v20
	v_cmp_lt_u32_e32 vcc, v38, v20
	s_waitcnt lgkmcnt(0)
	v_cndmask_b32_e32 v21, 0, v50, vcc
	v_add_u32_e32 v18, v21, v18
	ds_bpermute_b32 v21, v40, v18
	v_cmp_le_u32_e32 vcc, v41, v20
	v_subrev_u32_e32 v14, 64, v14
	s_waitcnt lgkmcnt(0)
	v_cndmask_b32_e32 v21, 0, v21, vcc
	v_add_u32_e32 v18, v18, v21
	ds_bpermute_b32 v21, v42, v18
	v_cmp_le_u32_e32 vcc, v43, v20
	s_waitcnt lgkmcnt(0)
	v_cndmask_b32_e32 v21, 0, v21, vcc
	v_add_u32_e32 v18, v18, v21
	ds_bpermute_b32 v21, v44, v18
	v_cmp_le_u32_e32 vcc, v45, v20
	;; [unrolled: 5-line block ×4, first 2 shown]
	s_waitcnt lgkmcnt(0)
	v_cndmask_b32_e32 v20, 0, v21, vcc
	v_add3_u32 v18, v20, v9, v18
.LBB427_58:                             ; =>This Loop Header: Depth=1
                                        ;     Child Loop BB427_61 Depth 2
                                        ;       Child Loop BB427_62 Depth 3
	v_cmp_ne_u16_sdwa s[36:37], v19, v37 src0_sel:BYTE_0 src1_sel:DWORD
	v_cndmask_b32_e64 v9, 0, 1, s[36:37]
	;;#ASMSTART
	;;#ASMEND
	v_cmp_ne_u32_e32 vcc, 0, v9
	s_cmp_lg_u64 vcc, exec
	v_mov_b32_e32 v9, v18
	s_cbranch_scc1 .LBB427_65
; %bb.59:                               ;   in Loop: Header=BB427_58 Depth=1
	v_lshlrev_b64 v[18:19], 3, v[14:15]
	v_mov_b32_e32 v21, s31
	v_add_co_u32_e32 v20, vcc, s30, v18
	v_addc_co_u32_e32 v21, vcc, v21, v19, vcc
	global_load_dwordx2 v[18:19], v[20:21], off glc
	s_waitcnt vmcnt(0)
	v_cmp_eq_u16_sdwa s[38:39], v19, v15 src0_sel:BYTE_0 src1_sel:DWORD
	s_and_saveexec_b64 s[36:37], s[38:39]
	s_cbranch_execz .LBB427_57
; %bb.60:                               ;   in Loop: Header=BB427_58 Depth=1
	s_mov_b32 s41, 1
	s_mov_b64 s[38:39], 0
.LBB427_61:                             ;   Parent Loop BB427_58 Depth=1
                                        ; =>  This Loop Header: Depth=2
                                        ;       Child Loop BB427_62 Depth 3
	s_max_u32 s42, s41, 1
.LBB427_62:                             ;   Parent Loop BB427_58 Depth=1
                                        ;     Parent Loop BB427_61 Depth=2
                                        ; =>    This Inner Loop Header: Depth=3
	s_add_i32 s42, s42, -1
	s_cmp_eq_u32 s42, 0
	s_sleep 1
	s_cbranch_scc0 .LBB427_62
; %bb.63:                               ;   in Loop: Header=BB427_61 Depth=2
	global_load_dwordx2 v[18:19], v[20:21], off glc
	s_cmp_lt_u32 s41, 32
	s_cselect_b64 s[42:43], -1, 0
	s_cmp_lg_u64 s[42:43], 0
	s_addc_u32 s41, s41, 0
	s_waitcnt vmcnt(0)
	v_cmp_ne_u16_sdwa s[42:43], v19, v15 src0_sel:BYTE_0 src1_sel:DWORD
	s_or_b64 s[38:39], s[42:43], s[38:39]
	s_andn2_b64 exec, exec, s[38:39]
	s_cbranch_execnz .LBB427_61
; %bb.64:                               ;   in Loop: Header=BB427_58 Depth=1
	s_or_b64 exec, exec, s[38:39]
	s_branch .LBB427_57
.LBB427_65:                             ;   in Loop: Header=BB427_58 Depth=1
                                        ; implicit-def: $vgpr18
                                        ; implicit-def: $vgpr19
	s_cbranch_execz .LBB427_58
; %bb.66:
	s_and_saveexec_b64 s[36:37], s[16:17]
	s_cbranch_execz .LBB427_68
; %bb.67:
	s_add_i32 s38, s40, 64
	s_mov_b32 s39, 0
	s_lshl_b64 s[38:39], s[38:39], 3
	s_add_u32 s38, s30, s38
	v_add_u32_e32 v14, v9, v8
	v_mov_b32_e32 v15, 2
	s_addc_u32 s39, s31, s39
	v_mov_b32_e32 v16, 0
	global_store_dwordx2 v16, v[14:15], s[38:39]
	ds_write_b64 v16, v[8:9] offset:7168
.LBB427_68:
	s_or_b64 exec, exec, s[36:37]
	s_and_b64 exec, exec, s[0:1]
	s_cbranch_execz .LBB427_70
; %bb.69:
	v_mov_b32_e32 v8, 0
	ds_write_b32 v8, v9 offset:12
.LBB427_70:
	s_or_b64 exec, exec, s[34:35]
	v_mov_b32_e32 v8, 0
	s_waitcnt lgkmcnt(0)
	s_barrier
	ds_read_b32 v9, v8 offset:12
	v_cndmask_b32_e64 v14, v36, v35, s[16:17]
	v_cndmask_b32_e64 v14, v14, 0, s[0:1]
	s_waitcnt lgkmcnt(0)
	s_barrier
	v_add_u32_e32 v20, v9, v14
	v_add_u32_e32 v19, v20, v30
	v_add_u32_e32 v18, v19, v29
	ds_read_b64 v[8:9], v8 offset:7168
	v_add_u32_e32 v16, v18, v28
	v_add_u32_e32 v17, v16, v27
	;; [unrolled: 1-line block ×4, first 2 shown]
	s_branch .LBB427_81
.LBB427_71:
                                        ; implicit-def: $vgpr9
                                        ; implicit-def: $vgpr14
                                        ; implicit-def: $vgpr15
                                        ; implicit-def: $vgpr17
                                        ; implicit-def: $vgpr16
                                        ; implicit-def: $vgpr18
                                        ; implicit-def: $vgpr19
                                        ; implicit-def: $vgpr20
	s_cbranch_execz .LBB427_81
; %bb.72:
	s_waitcnt lgkmcnt(0)
	v_mov_b32_dpp v8, v34 row_shr:1 row_mask:0xf bank_mask:0xf
	v_cndmask_b32_e64 v8, v8, 0, s[14:15]
	v_add_u32_e32 v8, v8, v34
	s_nop 1
	v_mov_b32_dpp v9, v8 row_shr:2 row_mask:0xf bank_mask:0xf
	v_cndmask_b32_e64 v9, 0, v9, s[12:13]
	v_add_u32_e32 v8, v8, v9
	s_nop 1
	;; [unrolled: 4-line block ×4, first 2 shown]
	v_mov_b32_dpp v9, v8 row_bcast:15 row_mask:0xf bank_mask:0xf
	v_cndmask_b32_e64 v9, v9, 0, s[6:7]
	v_add_u32_e32 v8, v8, v9
	s_nop 1
	v_mov_b32_dpp v9, v8 row_bcast:31 row_mask:0xf bank_mask:0xf
	v_cndmask_b32_e64 v9, 0, v9, s[2:3]
	v_add_u32_e32 v8, v8, v9
	s_and_saveexec_b64 s[2:3], s[4:5]
	s_cbranch_execz .LBB427_74
; %bb.73:
	v_lshlrev_b32_e32 v9, 2, v33
	ds_write_b32 v9, v8
.LBB427_74:
	s_or_b64 exec, exec, s[2:3]
	v_cmp_gt_u32_e32 vcc, 4, v0
	s_waitcnt lgkmcnt(0)
	s_barrier
	s_and_saveexec_b64 s[2:3], vcc
	s_cbranch_execz .LBB427_76
; %bb.75:
	v_mad_i32_i24 v9, v0, -3, v32
	ds_read_b32 v14, v9
	v_and_b32_e32 v15, 3, v31
	v_cmp_ne_u32_e32 vcc, 0, v15
	s_waitcnt lgkmcnt(0)
	v_mov_b32_dpp v16, v14 row_shr:1 row_mask:0xf bank_mask:0xf
	v_cndmask_b32_e32 v16, 0, v16, vcc
	v_add_u32_e32 v14, v16, v14
	v_cmp_lt_u32_e32 vcc, 1, v15
	s_nop 0
	v_mov_b32_dpp v16, v14 row_shr:2 row_mask:0xf bank_mask:0xf
	v_cndmask_b32_e32 v15, 0, v16, vcc
	v_add_u32_e32 v14, v14, v15
	ds_write_b32 v9, v14
.LBB427_76:
	s_or_b64 exec, exec, s[2:3]
	v_cmp_lt_u32_e32 vcc, 63, v0
	v_mov_b32_e32 v9, 0
	v_mov_b32_e32 v14, 0
	s_waitcnt lgkmcnt(0)
	s_barrier
	s_and_saveexec_b64 s[2:3], vcc
	s_cbranch_execz .LBB427_78
; %bb.77:
	v_lshl_add_u32 v14, v33, 2, -4
	ds_read_b32 v14, v14
.LBB427_78:
	s_or_b64 exec, exec, s[2:3]
	v_add_u32_e32 v15, -1, v31
	v_and_b32_e32 v16, 64, v31
	v_cmp_lt_i32_e32 vcc, v15, v16
	v_cndmask_b32_e32 v15, v15, v31, vcc
	s_waitcnt lgkmcnt(0)
	v_add_u32_e32 v8, v14, v8
	v_lshlrev_b32_e32 v15, 2, v15
	ds_bpermute_b32 v15, v15, v8
	ds_read_b32 v8, v9 offset:12
	s_and_saveexec_b64 s[2:3], s[0:1]
	s_cbranch_execz .LBB427_80
; %bb.79:
	v_mov_b32_e32 v16, 0
	v_mov_b32_e32 v9, 2
	s_waitcnt lgkmcnt(0)
	global_store_dwordx2 v16, v[8:9], s[30:31] offset:512
.LBB427_80:
	s_or_b64 exec, exec, s[2:3]
	v_cmp_eq_u32_e32 vcc, 0, v31
	s_waitcnt lgkmcnt(1)
	v_cndmask_b32_e32 v14, v15, v14, vcc
	v_cndmask_b32_e64 v20, v14, 0, s[0:1]
	v_add_u32_e32 v19, v20, v30
	v_add_u32_e32 v18, v19, v29
	;; [unrolled: 1-line block ×5, first 2 shown]
	v_mov_b32_e32 v9, 0
	v_add_u32_e32 v14, v15, v25
	s_waitcnt lgkmcnt(0)
	s_barrier
.LBB427_81:
	s_waitcnt lgkmcnt(0)
	v_add_u32_e32 v21, v8, v24
	v_sub_u32_e32 v20, v20, v9
	v_sub_u32_e32 v24, v21, v20
	v_cmp_eq_u32_e32 vcc, 1, v30
	v_cndmask_b32_e32 v20, v24, v20, vcc
	v_lshlrev_b32_e32 v20, 2, v20
	ds_write_b32 v20, v6
	v_sub_u32_e32 v6, v19, v9
	v_sub_u32_e32 v19, v21, v6
	v_add_u32_e32 v19, 1, v19
	v_cmp_eq_u32_e32 vcc, 1, v29
	v_cndmask_b32_e32 v6, v19, v6, vcc
	v_lshlrev_b32_e32 v6, 2, v6
	ds_write_b32 v6, v7
	v_sub_u32_e32 v6, v18, v9
	v_sub_u32_e32 v7, v21, v6
	v_add_u32_e32 v7, 2, v7
	;; [unrolled: 7-line block ×6, first 2 shown]
	v_cmp_eq_u32_e32 vcc, 1, v1
	v_cndmask_b32_e32 v1, v3, v2, vcc
	s_waitcnt vmcnt(0)
	v_add_co_u32_e32 v24, vcc, v10, v9
	v_addc_co_u32_e32 v25, vcc, 0, v11, vcc
	v_add_co_u32_e32 v2, vcc, v24, v8
	v_addc_co_u32_e32 v3, vcc, 0, v25, vcc
	v_mov_b32_e32 v9, s19
	v_sub_co_u32_e32 v10, vcc, s18, v2
	v_subb_co_u32_e32 v11, vcc, v9, v3, vcc
	v_lshlrev_b64 v[10:11], 2, v[10:11]
	v_lshlrev_b32_e32 v1, 2, v1
	v_mov_b32_e32 v9, s27
	v_add_co_u32_e32 v10, vcc, s26, v10
	ds_write_b32 v1, v23
	s_waitcnt lgkmcnt(0)
	s_barrier
	ds_read2st64_b32 v[14:15], v22 offset1:4
	ds_read2st64_b32 v[6:7], v22 offset0:8 offset1:12
	ds_read2st64_b32 v[4:5], v22 offset0:16 offset1:20
	ds_read_b32 v1, v22 offset:6144
	v_addc_co_u32_e32 v11, vcc, v9, v11, vcc
	v_add_co_u32_e32 v9, vcc, v10, v12
	v_addc_co_u32_e32 v10, vcc, v11, v13, vcc
	v_lshlrev_b64 v[12:13], 2, v[24:25]
	v_mov_b32_e32 v23, s25
	v_add_co_u32_e64 v11, s[2:3], s24, v12
	v_or_b32_e32 v21, 0x100, v0
	v_or_b32_e32 v20, 0x200, v0
	v_or_b32_e32 v19, 0x300, v0
	v_or_b32_e32 v18, 0x400, v0
	v_or_b32_e32 v17, 0x500, v0
	v_or_b32_e32 v16, 0x600, v0
	s_andn2_b64 vcc, exec, s[28:29]
	v_addc_co_u32_e64 v12, s[2:3], v23, v13, s[2:3]
	s_cbranch_vccnz .LBB427_83
; %bb.82:
	v_cmp_gt_u32_e32 vcc, v8, v0
	v_cndmask_b32_e32 v23, v9, v11, vcc
	v_cndmask_b32_e32 v13, v10, v12, vcc
	v_add_co_u32_e32 v24, vcc, v23, v22
	v_addc_co_u32_e32 v25, vcc, 0, v13, vcc
	v_cmp_lt_u32_e32 vcc, v21, v8
	v_cndmask_b32_e32 v23, v9, v11, vcc
	s_waitcnt lgkmcnt(3)
	global_store_dword v[24:25], v14, off
	v_cndmask_b32_e32 v13, v10, v12, vcc
	v_add_co_u32_e32 v24, vcc, v23, v22
	v_addc_co_u32_e32 v25, vcc, 0, v13, vcc
	v_cmp_lt_u32_e32 vcc, v20, v8
	v_cndmask_b32_e32 v23, v9, v11, vcc
	global_store_dword v[24:25], v15, off offset:1024
	v_cndmask_b32_e32 v13, v10, v12, vcc
	v_add_co_u32_e32 v24, vcc, v23, v22
	v_addc_co_u32_e32 v25, vcc, 0, v13, vcc
	v_cmp_lt_u32_e32 vcc, v19, v8
	v_cndmask_b32_e32 v23, v9, v11, vcc
	s_waitcnt lgkmcnt(2)
	global_store_dword v[24:25], v6, off offset:2048
	v_cndmask_b32_e32 v13, v10, v12, vcc
	v_add_co_u32_e32 v24, vcc, v23, v22
	v_addc_co_u32_e32 v25, vcc, 0, v13, vcc
	v_cmp_lt_u32_e32 vcc, v18, v8
	global_store_dword v[24:25], v7, off offset:3072
	v_cndmask_b32_e32 v23, v9, v11, vcc
	v_lshlrev_b32_e32 v24, 2, v18
	v_cndmask_b32_e32 v13, v10, v12, vcc
	v_add_co_u32_e32 v24, vcc, v23, v24
	v_addc_co_u32_e32 v25, vcc, 0, v13, vcc
	v_cmp_lt_u32_e32 vcc, v17, v8
	s_waitcnt lgkmcnt(1)
	global_store_dword v[24:25], v4, off
	v_cndmask_b32_e32 v23, v9, v11, vcc
	v_lshlrev_b32_e32 v24, 2, v17
	v_cndmask_b32_e32 v13, v10, v12, vcc
	v_add_co_u32_e32 v24, vcc, v23, v24
	v_addc_co_u32_e32 v25, vcc, 0, v13, vcc
	s_mov_b64 s[2:3], -1
	global_store_dword v[24:25], v5, off
	s_cbranch_execz .LBB427_84
	s_branch .LBB427_92
.LBB427_83:
	s_mov_b64 s[2:3], 0
.LBB427_84:
	v_cmp_gt_u32_e32 vcc, s33, v0
	s_and_saveexec_b64 s[2:3], vcc
	s_cbranch_execnz .LBB427_97
; %bb.85:
	s_or_b64 exec, exec, s[2:3]
	v_cmp_gt_u32_e32 vcc, s33, v21
	s_and_saveexec_b64 s[2:3], vcc
	s_cbranch_execnz .LBB427_98
.LBB427_86:
	s_or_b64 exec, exec, s[2:3]
	v_cmp_gt_u32_e32 vcc, s33, v20
	s_and_saveexec_b64 s[2:3], vcc
	s_cbranch_execnz .LBB427_99
.LBB427_87:
	s_or_b64 exec, exec, s[2:3]
	v_cmp_gt_u32_e32 vcc, s33, v19
	s_and_saveexec_b64 s[2:3], vcc
	s_cbranch_execnz .LBB427_100
.LBB427_88:
	s_or_b64 exec, exec, s[2:3]
	v_cmp_gt_u32_e32 vcc, s33, v18
	s_and_saveexec_b64 s[2:3], vcc
	s_cbranch_execnz .LBB427_101
.LBB427_89:
	s_or_b64 exec, exec, s[2:3]
	v_cmp_gt_u32_e32 vcc, s33, v17
	s_and_saveexec_b64 s[2:3], vcc
	s_cbranch_execz .LBB427_91
.LBB427_90:
	v_cmp_lt_u32_e32 vcc, v17, v8
	s_waitcnt lgkmcnt(1)
	v_cndmask_b32_e32 v4, v9, v11, vcc
	v_lshlrev_b32_e32 v6, 2, v17
	v_cndmask_b32_e32 v0, v10, v12, vcc
	v_add_co_u32_e32 v6, vcc, v4, v6
	v_addc_co_u32_e32 v7, vcc, 0, v0, vcc
	global_store_dword v[6:7], v5, off
.LBB427_91:
	s_or_b64 exec, exec, s[2:3]
	v_cmp_gt_u32_e64 s[2:3], s33, v16
.LBB427_92:
	s_and_saveexec_b64 s[4:5], s[2:3]
	s_cbranch_execnz .LBB427_95
; %bb.93:
	s_or_b64 exec, exec, s[4:5]
	s_and_b64 s[0:1], s[0:1], s[22:23]
	s_and_saveexec_b64 s[2:3], s[0:1]
	s_cbranch_execnz .LBB427_96
.LBB427_94:
	s_endpgm
.LBB427_95:
	v_cmp_lt_u32_e32 vcc, v16, v8
	s_waitcnt lgkmcnt(1)
	v_cndmask_b32_e32 v4, v9, v11, vcc
	v_lshlrev_b32_e32 v5, 2, v16
	v_cndmask_b32_e32 v0, v10, v12, vcc
	v_add_co_u32_e32 v4, vcc, v4, v5
	v_addc_co_u32_e32 v5, vcc, 0, v0, vcc
	s_waitcnt lgkmcnt(0)
	global_store_dword v[4:5], v1, off
	s_or_b64 exec, exec, s[4:5]
	s_and_b64 s[0:1], s[0:1], s[22:23]
	s_and_saveexec_b64 s[2:3], s[0:1]
	s_cbranch_execz .LBB427_94
.LBB427_96:
	v_mov_b32_e32 v0, 0
	global_store_dwordx2 v0, v[2:3], s[20:21]
	s_endpgm
.LBB427_97:
	v_cmp_gt_u32_e32 vcc, v8, v0
	v_cndmask_b32_e32 v13, v9, v11, vcc
	v_cndmask_b32_e32 v0, v10, v12, vcc
	v_add_co_u32_e32 v24, vcc, v13, v22
	v_addc_co_u32_e32 v25, vcc, 0, v0, vcc
	s_waitcnt lgkmcnt(3)
	global_store_dword v[24:25], v14, off
	s_or_b64 exec, exec, s[2:3]
	v_cmp_gt_u32_e32 vcc, s33, v21
	s_and_saveexec_b64 s[2:3], vcc
	s_cbranch_execz .LBB427_86
.LBB427_98:
	v_cmp_lt_u32_e32 vcc, v21, v8
	v_cndmask_b32_e32 v13, v9, v11, vcc
	v_cndmask_b32_e32 v0, v10, v12, vcc
	v_add_co_u32_e32 v24, vcc, v13, v22
	v_addc_co_u32_e32 v25, vcc, 0, v0, vcc
	s_waitcnt lgkmcnt(3)
	global_store_dword v[24:25], v15, off offset:1024
	s_or_b64 exec, exec, s[2:3]
	v_cmp_gt_u32_e32 vcc, s33, v20
	s_and_saveexec_b64 s[2:3], vcc
	s_cbranch_execz .LBB427_87
.LBB427_99:
	v_cmp_lt_u32_e32 vcc, v20, v8
	v_cndmask_b32_e32 v13, v9, v11, vcc
	v_cndmask_b32_e32 v0, v10, v12, vcc
	s_waitcnt lgkmcnt(3)
	v_add_co_u32_e32 v14, vcc, v13, v22
	v_addc_co_u32_e32 v15, vcc, 0, v0, vcc
	s_waitcnt lgkmcnt(2)
	global_store_dword v[14:15], v6, off offset:2048
	s_or_b64 exec, exec, s[2:3]
	v_cmp_gt_u32_e32 vcc, s33, v19
	s_and_saveexec_b64 s[2:3], vcc
	s_cbranch_execz .LBB427_88
.LBB427_100:
	v_cmp_lt_u32_e32 vcc, v19, v8
	s_waitcnt lgkmcnt(2)
	v_cndmask_b32_e32 v6, v9, v11, vcc
	v_cndmask_b32_e32 v0, v10, v12, vcc
	v_add_co_u32_e32 v14, vcc, v6, v22
	v_addc_co_u32_e32 v15, vcc, 0, v0, vcc
	global_store_dword v[14:15], v7, off offset:3072
	s_or_b64 exec, exec, s[2:3]
	v_cmp_gt_u32_e32 vcc, s33, v18
	s_and_saveexec_b64 s[2:3], vcc
	s_cbranch_execz .LBB427_89
.LBB427_101:
	v_cmp_lt_u32_e32 vcc, v18, v8
	s_waitcnt lgkmcnt(2)
	v_cndmask_b32_e32 v6, v9, v11, vcc
	v_lshlrev_b32_e32 v7, 2, v18
	v_cndmask_b32_e32 v0, v10, v12, vcc
	v_add_co_u32_e32 v6, vcc, v6, v7
	v_addc_co_u32_e32 v7, vcc, 0, v0, vcc
	s_waitcnt lgkmcnt(1)
	global_store_dword v[6:7], v4, off
	s_or_b64 exec, exec, s[2:3]
	v_cmp_gt_u32_e32 vcc, s33, v17
	s_and_saveexec_b64 s[2:3], vcc
	s_cbranch_execnz .LBB427_90
	s_branch .LBB427_91
	.section	.rodata,"a",@progbits
	.p2align	6, 0x0
	.amdhsa_kernel _ZN7rocprim17ROCPRIM_400000_NS6detail17trampoline_kernelINS0_14default_configENS1_25partition_config_selectorILNS1_17partition_subalgoE1EiNS0_10empty_typeEbEEZZNS1_14partition_implILS5_1ELb0ES3_jN6thrust23THRUST_200600_302600_NS6detail15normal_iteratorINSA_10device_ptrIiEEEEPS6_NSA_18transform_iteratorI7is_evenIiESF_NSA_11use_defaultESK_EENS0_5tupleIJSF_SF_EEENSM_IJSG_SG_EEES6_PlJS6_EEE10hipError_tPvRmT3_T4_T5_T6_T7_T9_mT8_P12ihipStream_tbDpT10_ENKUlT_T0_E_clISt17integral_constantIbLb1EES19_EEDaS14_S15_EUlS14_E_NS1_11comp_targetILNS1_3genE4ELNS1_11target_archE910ELNS1_3gpuE8ELNS1_3repE0EEENS1_30default_config_static_selectorELNS0_4arch9wavefront6targetE1EEEvT1_
		.amdhsa_group_segment_fixed_size 7176
		.amdhsa_private_segment_fixed_size 0
		.amdhsa_kernarg_size 144
		.amdhsa_user_sgpr_count 6
		.amdhsa_user_sgpr_private_segment_buffer 1
		.amdhsa_user_sgpr_dispatch_ptr 0
		.amdhsa_user_sgpr_queue_ptr 0
		.amdhsa_user_sgpr_kernarg_segment_ptr 1
		.amdhsa_user_sgpr_dispatch_id 0
		.amdhsa_user_sgpr_flat_scratch_init 0
		.amdhsa_user_sgpr_kernarg_preload_length 0
		.amdhsa_user_sgpr_kernarg_preload_offset 0
		.amdhsa_user_sgpr_private_segment_size 0
		.amdhsa_uses_dynamic_stack 0
		.amdhsa_system_sgpr_private_segment_wavefront_offset 0
		.amdhsa_system_sgpr_workgroup_id_x 1
		.amdhsa_system_sgpr_workgroup_id_y 0
		.amdhsa_system_sgpr_workgroup_id_z 0
		.amdhsa_system_sgpr_workgroup_info 0
		.amdhsa_system_vgpr_workitem_id 0
		.amdhsa_next_free_vgpr 51
		.amdhsa_next_free_sgpr 44
		.amdhsa_accum_offset 52
		.amdhsa_reserve_vcc 1
		.amdhsa_reserve_flat_scratch 0
		.amdhsa_float_round_mode_32 0
		.amdhsa_float_round_mode_16_64 0
		.amdhsa_float_denorm_mode_32 3
		.amdhsa_float_denorm_mode_16_64 3
		.amdhsa_dx10_clamp 1
		.amdhsa_ieee_mode 1
		.amdhsa_fp16_overflow 0
		.amdhsa_tg_split 0
		.amdhsa_exception_fp_ieee_invalid_op 0
		.amdhsa_exception_fp_denorm_src 0
		.amdhsa_exception_fp_ieee_div_zero 0
		.amdhsa_exception_fp_ieee_overflow 0
		.amdhsa_exception_fp_ieee_underflow 0
		.amdhsa_exception_fp_ieee_inexact 0
		.amdhsa_exception_int_div_zero 0
	.end_amdhsa_kernel
	.section	.text._ZN7rocprim17ROCPRIM_400000_NS6detail17trampoline_kernelINS0_14default_configENS1_25partition_config_selectorILNS1_17partition_subalgoE1EiNS0_10empty_typeEbEEZZNS1_14partition_implILS5_1ELb0ES3_jN6thrust23THRUST_200600_302600_NS6detail15normal_iteratorINSA_10device_ptrIiEEEEPS6_NSA_18transform_iteratorI7is_evenIiESF_NSA_11use_defaultESK_EENS0_5tupleIJSF_SF_EEENSM_IJSG_SG_EEES6_PlJS6_EEE10hipError_tPvRmT3_T4_T5_T6_T7_T9_mT8_P12ihipStream_tbDpT10_ENKUlT_T0_E_clISt17integral_constantIbLb1EES19_EEDaS14_S15_EUlS14_E_NS1_11comp_targetILNS1_3genE4ELNS1_11target_archE910ELNS1_3gpuE8ELNS1_3repE0EEENS1_30default_config_static_selectorELNS0_4arch9wavefront6targetE1EEEvT1_,"axG",@progbits,_ZN7rocprim17ROCPRIM_400000_NS6detail17trampoline_kernelINS0_14default_configENS1_25partition_config_selectorILNS1_17partition_subalgoE1EiNS0_10empty_typeEbEEZZNS1_14partition_implILS5_1ELb0ES3_jN6thrust23THRUST_200600_302600_NS6detail15normal_iteratorINSA_10device_ptrIiEEEEPS6_NSA_18transform_iteratorI7is_evenIiESF_NSA_11use_defaultESK_EENS0_5tupleIJSF_SF_EEENSM_IJSG_SG_EEES6_PlJS6_EEE10hipError_tPvRmT3_T4_T5_T6_T7_T9_mT8_P12ihipStream_tbDpT10_ENKUlT_T0_E_clISt17integral_constantIbLb1EES19_EEDaS14_S15_EUlS14_E_NS1_11comp_targetILNS1_3genE4ELNS1_11target_archE910ELNS1_3gpuE8ELNS1_3repE0EEENS1_30default_config_static_selectorELNS0_4arch9wavefront6targetE1EEEvT1_,comdat
.Lfunc_end427:
	.size	_ZN7rocprim17ROCPRIM_400000_NS6detail17trampoline_kernelINS0_14default_configENS1_25partition_config_selectorILNS1_17partition_subalgoE1EiNS0_10empty_typeEbEEZZNS1_14partition_implILS5_1ELb0ES3_jN6thrust23THRUST_200600_302600_NS6detail15normal_iteratorINSA_10device_ptrIiEEEEPS6_NSA_18transform_iteratorI7is_evenIiESF_NSA_11use_defaultESK_EENS0_5tupleIJSF_SF_EEENSM_IJSG_SG_EEES6_PlJS6_EEE10hipError_tPvRmT3_T4_T5_T6_T7_T9_mT8_P12ihipStream_tbDpT10_ENKUlT_T0_E_clISt17integral_constantIbLb1EES19_EEDaS14_S15_EUlS14_E_NS1_11comp_targetILNS1_3genE4ELNS1_11target_archE910ELNS1_3gpuE8ELNS1_3repE0EEENS1_30default_config_static_selectorELNS0_4arch9wavefront6targetE1EEEvT1_, .Lfunc_end427-_ZN7rocprim17ROCPRIM_400000_NS6detail17trampoline_kernelINS0_14default_configENS1_25partition_config_selectorILNS1_17partition_subalgoE1EiNS0_10empty_typeEbEEZZNS1_14partition_implILS5_1ELb0ES3_jN6thrust23THRUST_200600_302600_NS6detail15normal_iteratorINSA_10device_ptrIiEEEEPS6_NSA_18transform_iteratorI7is_evenIiESF_NSA_11use_defaultESK_EENS0_5tupleIJSF_SF_EEENSM_IJSG_SG_EEES6_PlJS6_EEE10hipError_tPvRmT3_T4_T5_T6_T7_T9_mT8_P12ihipStream_tbDpT10_ENKUlT_T0_E_clISt17integral_constantIbLb1EES19_EEDaS14_S15_EUlS14_E_NS1_11comp_targetILNS1_3genE4ELNS1_11target_archE910ELNS1_3gpuE8ELNS1_3repE0EEENS1_30default_config_static_selectorELNS0_4arch9wavefront6targetE1EEEvT1_
                                        ; -- End function
	.section	.AMDGPU.csdata,"",@progbits
; Kernel info:
; codeLenInByte = 4892
; NumSgprs: 48
; NumVgprs: 51
; NumAgprs: 0
; TotalNumVgprs: 51
; ScratchSize: 0
; MemoryBound: 0
; FloatMode: 240
; IeeeMode: 1
; LDSByteSize: 7176 bytes/workgroup (compile time only)
; SGPRBlocks: 5
; VGPRBlocks: 6
; NumSGPRsForWavesPerEU: 48
; NumVGPRsForWavesPerEU: 51
; AccumOffset: 52
; Occupancy: 8
; WaveLimiterHint : 1
; COMPUTE_PGM_RSRC2:SCRATCH_EN: 0
; COMPUTE_PGM_RSRC2:USER_SGPR: 6
; COMPUTE_PGM_RSRC2:TRAP_HANDLER: 0
; COMPUTE_PGM_RSRC2:TGID_X_EN: 1
; COMPUTE_PGM_RSRC2:TGID_Y_EN: 0
; COMPUTE_PGM_RSRC2:TGID_Z_EN: 0
; COMPUTE_PGM_RSRC2:TIDIG_COMP_CNT: 0
; COMPUTE_PGM_RSRC3_GFX90A:ACCUM_OFFSET: 12
; COMPUTE_PGM_RSRC3_GFX90A:TG_SPLIT: 0
	.section	.text._ZN7rocprim17ROCPRIM_400000_NS6detail17trampoline_kernelINS0_14default_configENS1_25partition_config_selectorILNS1_17partition_subalgoE1EiNS0_10empty_typeEbEEZZNS1_14partition_implILS5_1ELb0ES3_jN6thrust23THRUST_200600_302600_NS6detail15normal_iteratorINSA_10device_ptrIiEEEEPS6_NSA_18transform_iteratorI7is_evenIiESF_NSA_11use_defaultESK_EENS0_5tupleIJSF_SF_EEENSM_IJSG_SG_EEES6_PlJS6_EEE10hipError_tPvRmT3_T4_T5_T6_T7_T9_mT8_P12ihipStream_tbDpT10_ENKUlT_T0_E_clISt17integral_constantIbLb1EES19_EEDaS14_S15_EUlS14_E_NS1_11comp_targetILNS1_3genE3ELNS1_11target_archE908ELNS1_3gpuE7ELNS1_3repE0EEENS1_30default_config_static_selectorELNS0_4arch9wavefront6targetE1EEEvT1_,"axG",@progbits,_ZN7rocprim17ROCPRIM_400000_NS6detail17trampoline_kernelINS0_14default_configENS1_25partition_config_selectorILNS1_17partition_subalgoE1EiNS0_10empty_typeEbEEZZNS1_14partition_implILS5_1ELb0ES3_jN6thrust23THRUST_200600_302600_NS6detail15normal_iteratorINSA_10device_ptrIiEEEEPS6_NSA_18transform_iteratorI7is_evenIiESF_NSA_11use_defaultESK_EENS0_5tupleIJSF_SF_EEENSM_IJSG_SG_EEES6_PlJS6_EEE10hipError_tPvRmT3_T4_T5_T6_T7_T9_mT8_P12ihipStream_tbDpT10_ENKUlT_T0_E_clISt17integral_constantIbLb1EES19_EEDaS14_S15_EUlS14_E_NS1_11comp_targetILNS1_3genE3ELNS1_11target_archE908ELNS1_3gpuE7ELNS1_3repE0EEENS1_30default_config_static_selectorELNS0_4arch9wavefront6targetE1EEEvT1_,comdat
	.protected	_ZN7rocprim17ROCPRIM_400000_NS6detail17trampoline_kernelINS0_14default_configENS1_25partition_config_selectorILNS1_17partition_subalgoE1EiNS0_10empty_typeEbEEZZNS1_14partition_implILS5_1ELb0ES3_jN6thrust23THRUST_200600_302600_NS6detail15normal_iteratorINSA_10device_ptrIiEEEEPS6_NSA_18transform_iteratorI7is_evenIiESF_NSA_11use_defaultESK_EENS0_5tupleIJSF_SF_EEENSM_IJSG_SG_EEES6_PlJS6_EEE10hipError_tPvRmT3_T4_T5_T6_T7_T9_mT8_P12ihipStream_tbDpT10_ENKUlT_T0_E_clISt17integral_constantIbLb1EES19_EEDaS14_S15_EUlS14_E_NS1_11comp_targetILNS1_3genE3ELNS1_11target_archE908ELNS1_3gpuE7ELNS1_3repE0EEENS1_30default_config_static_selectorELNS0_4arch9wavefront6targetE1EEEvT1_ ; -- Begin function _ZN7rocprim17ROCPRIM_400000_NS6detail17trampoline_kernelINS0_14default_configENS1_25partition_config_selectorILNS1_17partition_subalgoE1EiNS0_10empty_typeEbEEZZNS1_14partition_implILS5_1ELb0ES3_jN6thrust23THRUST_200600_302600_NS6detail15normal_iteratorINSA_10device_ptrIiEEEEPS6_NSA_18transform_iteratorI7is_evenIiESF_NSA_11use_defaultESK_EENS0_5tupleIJSF_SF_EEENSM_IJSG_SG_EEES6_PlJS6_EEE10hipError_tPvRmT3_T4_T5_T6_T7_T9_mT8_P12ihipStream_tbDpT10_ENKUlT_T0_E_clISt17integral_constantIbLb1EES19_EEDaS14_S15_EUlS14_E_NS1_11comp_targetILNS1_3genE3ELNS1_11target_archE908ELNS1_3gpuE7ELNS1_3repE0EEENS1_30default_config_static_selectorELNS0_4arch9wavefront6targetE1EEEvT1_
	.globl	_ZN7rocprim17ROCPRIM_400000_NS6detail17trampoline_kernelINS0_14default_configENS1_25partition_config_selectorILNS1_17partition_subalgoE1EiNS0_10empty_typeEbEEZZNS1_14partition_implILS5_1ELb0ES3_jN6thrust23THRUST_200600_302600_NS6detail15normal_iteratorINSA_10device_ptrIiEEEEPS6_NSA_18transform_iteratorI7is_evenIiESF_NSA_11use_defaultESK_EENS0_5tupleIJSF_SF_EEENSM_IJSG_SG_EEES6_PlJS6_EEE10hipError_tPvRmT3_T4_T5_T6_T7_T9_mT8_P12ihipStream_tbDpT10_ENKUlT_T0_E_clISt17integral_constantIbLb1EES19_EEDaS14_S15_EUlS14_E_NS1_11comp_targetILNS1_3genE3ELNS1_11target_archE908ELNS1_3gpuE7ELNS1_3repE0EEENS1_30default_config_static_selectorELNS0_4arch9wavefront6targetE1EEEvT1_
	.p2align	8
	.type	_ZN7rocprim17ROCPRIM_400000_NS6detail17trampoline_kernelINS0_14default_configENS1_25partition_config_selectorILNS1_17partition_subalgoE1EiNS0_10empty_typeEbEEZZNS1_14partition_implILS5_1ELb0ES3_jN6thrust23THRUST_200600_302600_NS6detail15normal_iteratorINSA_10device_ptrIiEEEEPS6_NSA_18transform_iteratorI7is_evenIiESF_NSA_11use_defaultESK_EENS0_5tupleIJSF_SF_EEENSM_IJSG_SG_EEES6_PlJS6_EEE10hipError_tPvRmT3_T4_T5_T6_T7_T9_mT8_P12ihipStream_tbDpT10_ENKUlT_T0_E_clISt17integral_constantIbLb1EES19_EEDaS14_S15_EUlS14_E_NS1_11comp_targetILNS1_3genE3ELNS1_11target_archE908ELNS1_3gpuE7ELNS1_3repE0EEENS1_30default_config_static_selectorELNS0_4arch9wavefront6targetE1EEEvT1_,@function
_ZN7rocprim17ROCPRIM_400000_NS6detail17trampoline_kernelINS0_14default_configENS1_25partition_config_selectorILNS1_17partition_subalgoE1EiNS0_10empty_typeEbEEZZNS1_14partition_implILS5_1ELb0ES3_jN6thrust23THRUST_200600_302600_NS6detail15normal_iteratorINSA_10device_ptrIiEEEEPS6_NSA_18transform_iteratorI7is_evenIiESF_NSA_11use_defaultESK_EENS0_5tupleIJSF_SF_EEENSM_IJSG_SG_EEES6_PlJS6_EEE10hipError_tPvRmT3_T4_T5_T6_T7_T9_mT8_P12ihipStream_tbDpT10_ENKUlT_T0_E_clISt17integral_constantIbLb1EES19_EEDaS14_S15_EUlS14_E_NS1_11comp_targetILNS1_3genE3ELNS1_11target_archE908ELNS1_3gpuE7ELNS1_3repE0EEENS1_30default_config_static_selectorELNS0_4arch9wavefront6targetE1EEEvT1_: ; @_ZN7rocprim17ROCPRIM_400000_NS6detail17trampoline_kernelINS0_14default_configENS1_25partition_config_selectorILNS1_17partition_subalgoE1EiNS0_10empty_typeEbEEZZNS1_14partition_implILS5_1ELb0ES3_jN6thrust23THRUST_200600_302600_NS6detail15normal_iteratorINSA_10device_ptrIiEEEEPS6_NSA_18transform_iteratorI7is_evenIiESF_NSA_11use_defaultESK_EENS0_5tupleIJSF_SF_EEENSM_IJSG_SG_EEES6_PlJS6_EEE10hipError_tPvRmT3_T4_T5_T6_T7_T9_mT8_P12ihipStream_tbDpT10_ENKUlT_T0_E_clISt17integral_constantIbLb1EES19_EEDaS14_S15_EUlS14_E_NS1_11comp_targetILNS1_3genE3ELNS1_11target_archE908ELNS1_3gpuE7ELNS1_3repE0EEENS1_30default_config_static_selectorELNS0_4arch9wavefront6targetE1EEEvT1_
; %bb.0:
	.section	.rodata,"a",@progbits
	.p2align	6, 0x0
	.amdhsa_kernel _ZN7rocprim17ROCPRIM_400000_NS6detail17trampoline_kernelINS0_14default_configENS1_25partition_config_selectorILNS1_17partition_subalgoE1EiNS0_10empty_typeEbEEZZNS1_14partition_implILS5_1ELb0ES3_jN6thrust23THRUST_200600_302600_NS6detail15normal_iteratorINSA_10device_ptrIiEEEEPS6_NSA_18transform_iteratorI7is_evenIiESF_NSA_11use_defaultESK_EENS0_5tupleIJSF_SF_EEENSM_IJSG_SG_EEES6_PlJS6_EEE10hipError_tPvRmT3_T4_T5_T6_T7_T9_mT8_P12ihipStream_tbDpT10_ENKUlT_T0_E_clISt17integral_constantIbLb1EES19_EEDaS14_S15_EUlS14_E_NS1_11comp_targetILNS1_3genE3ELNS1_11target_archE908ELNS1_3gpuE7ELNS1_3repE0EEENS1_30default_config_static_selectorELNS0_4arch9wavefront6targetE1EEEvT1_
		.amdhsa_group_segment_fixed_size 0
		.amdhsa_private_segment_fixed_size 0
		.amdhsa_kernarg_size 144
		.amdhsa_user_sgpr_count 6
		.amdhsa_user_sgpr_private_segment_buffer 1
		.amdhsa_user_sgpr_dispatch_ptr 0
		.amdhsa_user_sgpr_queue_ptr 0
		.amdhsa_user_sgpr_kernarg_segment_ptr 1
		.amdhsa_user_sgpr_dispatch_id 0
		.amdhsa_user_sgpr_flat_scratch_init 0
		.amdhsa_user_sgpr_kernarg_preload_length 0
		.amdhsa_user_sgpr_kernarg_preload_offset 0
		.amdhsa_user_sgpr_private_segment_size 0
		.amdhsa_uses_dynamic_stack 0
		.amdhsa_system_sgpr_private_segment_wavefront_offset 0
		.amdhsa_system_sgpr_workgroup_id_x 1
		.amdhsa_system_sgpr_workgroup_id_y 0
		.amdhsa_system_sgpr_workgroup_id_z 0
		.amdhsa_system_sgpr_workgroup_info 0
		.amdhsa_system_vgpr_workitem_id 0
		.amdhsa_next_free_vgpr 1
		.amdhsa_next_free_sgpr 0
		.amdhsa_accum_offset 4
		.amdhsa_reserve_vcc 0
		.amdhsa_reserve_flat_scratch 0
		.amdhsa_float_round_mode_32 0
		.amdhsa_float_round_mode_16_64 0
		.amdhsa_float_denorm_mode_32 3
		.amdhsa_float_denorm_mode_16_64 3
		.amdhsa_dx10_clamp 1
		.amdhsa_ieee_mode 1
		.amdhsa_fp16_overflow 0
		.amdhsa_tg_split 0
		.amdhsa_exception_fp_ieee_invalid_op 0
		.amdhsa_exception_fp_denorm_src 0
		.amdhsa_exception_fp_ieee_div_zero 0
		.amdhsa_exception_fp_ieee_overflow 0
		.amdhsa_exception_fp_ieee_underflow 0
		.amdhsa_exception_fp_ieee_inexact 0
		.amdhsa_exception_int_div_zero 0
	.end_amdhsa_kernel
	.section	.text._ZN7rocprim17ROCPRIM_400000_NS6detail17trampoline_kernelINS0_14default_configENS1_25partition_config_selectorILNS1_17partition_subalgoE1EiNS0_10empty_typeEbEEZZNS1_14partition_implILS5_1ELb0ES3_jN6thrust23THRUST_200600_302600_NS6detail15normal_iteratorINSA_10device_ptrIiEEEEPS6_NSA_18transform_iteratorI7is_evenIiESF_NSA_11use_defaultESK_EENS0_5tupleIJSF_SF_EEENSM_IJSG_SG_EEES6_PlJS6_EEE10hipError_tPvRmT3_T4_T5_T6_T7_T9_mT8_P12ihipStream_tbDpT10_ENKUlT_T0_E_clISt17integral_constantIbLb1EES19_EEDaS14_S15_EUlS14_E_NS1_11comp_targetILNS1_3genE3ELNS1_11target_archE908ELNS1_3gpuE7ELNS1_3repE0EEENS1_30default_config_static_selectorELNS0_4arch9wavefront6targetE1EEEvT1_,"axG",@progbits,_ZN7rocprim17ROCPRIM_400000_NS6detail17trampoline_kernelINS0_14default_configENS1_25partition_config_selectorILNS1_17partition_subalgoE1EiNS0_10empty_typeEbEEZZNS1_14partition_implILS5_1ELb0ES3_jN6thrust23THRUST_200600_302600_NS6detail15normal_iteratorINSA_10device_ptrIiEEEEPS6_NSA_18transform_iteratorI7is_evenIiESF_NSA_11use_defaultESK_EENS0_5tupleIJSF_SF_EEENSM_IJSG_SG_EEES6_PlJS6_EEE10hipError_tPvRmT3_T4_T5_T6_T7_T9_mT8_P12ihipStream_tbDpT10_ENKUlT_T0_E_clISt17integral_constantIbLb1EES19_EEDaS14_S15_EUlS14_E_NS1_11comp_targetILNS1_3genE3ELNS1_11target_archE908ELNS1_3gpuE7ELNS1_3repE0EEENS1_30default_config_static_selectorELNS0_4arch9wavefront6targetE1EEEvT1_,comdat
.Lfunc_end428:
	.size	_ZN7rocprim17ROCPRIM_400000_NS6detail17trampoline_kernelINS0_14default_configENS1_25partition_config_selectorILNS1_17partition_subalgoE1EiNS0_10empty_typeEbEEZZNS1_14partition_implILS5_1ELb0ES3_jN6thrust23THRUST_200600_302600_NS6detail15normal_iteratorINSA_10device_ptrIiEEEEPS6_NSA_18transform_iteratorI7is_evenIiESF_NSA_11use_defaultESK_EENS0_5tupleIJSF_SF_EEENSM_IJSG_SG_EEES6_PlJS6_EEE10hipError_tPvRmT3_T4_T5_T6_T7_T9_mT8_P12ihipStream_tbDpT10_ENKUlT_T0_E_clISt17integral_constantIbLb1EES19_EEDaS14_S15_EUlS14_E_NS1_11comp_targetILNS1_3genE3ELNS1_11target_archE908ELNS1_3gpuE7ELNS1_3repE0EEENS1_30default_config_static_selectorELNS0_4arch9wavefront6targetE1EEEvT1_, .Lfunc_end428-_ZN7rocprim17ROCPRIM_400000_NS6detail17trampoline_kernelINS0_14default_configENS1_25partition_config_selectorILNS1_17partition_subalgoE1EiNS0_10empty_typeEbEEZZNS1_14partition_implILS5_1ELb0ES3_jN6thrust23THRUST_200600_302600_NS6detail15normal_iteratorINSA_10device_ptrIiEEEEPS6_NSA_18transform_iteratorI7is_evenIiESF_NSA_11use_defaultESK_EENS0_5tupleIJSF_SF_EEENSM_IJSG_SG_EEES6_PlJS6_EEE10hipError_tPvRmT3_T4_T5_T6_T7_T9_mT8_P12ihipStream_tbDpT10_ENKUlT_T0_E_clISt17integral_constantIbLb1EES19_EEDaS14_S15_EUlS14_E_NS1_11comp_targetILNS1_3genE3ELNS1_11target_archE908ELNS1_3gpuE7ELNS1_3repE0EEENS1_30default_config_static_selectorELNS0_4arch9wavefront6targetE1EEEvT1_
                                        ; -- End function
	.section	.AMDGPU.csdata,"",@progbits
; Kernel info:
; codeLenInByte = 0
; NumSgprs: 4
; NumVgprs: 0
; NumAgprs: 0
; TotalNumVgprs: 0
; ScratchSize: 0
; MemoryBound: 0
; FloatMode: 240
; IeeeMode: 1
; LDSByteSize: 0 bytes/workgroup (compile time only)
; SGPRBlocks: 0
; VGPRBlocks: 0
; NumSGPRsForWavesPerEU: 4
; NumVGPRsForWavesPerEU: 1
; AccumOffset: 4
; Occupancy: 8
; WaveLimiterHint : 0
; COMPUTE_PGM_RSRC2:SCRATCH_EN: 0
; COMPUTE_PGM_RSRC2:USER_SGPR: 6
; COMPUTE_PGM_RSRC2:TRAP_HANDLER: 0
; COMPUTE_PGM_RSRC2:TGID_X_EN: 1
; COMPUTE_PGM_RSRC2:TGID_Y_EN: 0
; COMPUTE_PGM_RSRC2:TGID_Z_EN: 0
; COMPUTE_PGM_RSRC2:TIDIG_COMP_CNT: 0
; COMPUTE_PGM_RSRC3_GFX90A:ACCUM_OFFSET: 0
; COMPUTE_PGM_RSRC3_GFX90A:TG_SPLIT: 0
	.section	.text._ZN7rocprim17ROCPRIM_400000_NS6detail17trampoline_kernelINS0_14default_configENS1_25partition_config_selectorILNS1_17partition_subalgoE1EiNS0_10empty_typeEbEEZZNS1_14partition_implILS5_1ELb0ES3_jN6thrust23THRUST_200600_302600_NS6detail15normal_iteratorINSA_10device_ptrIiEEEEPS6_NSA_18transform_iteratorI7is_evenIiESF_NSA_11use_defaultESK_EENS0_5tupleIJSF_SF_EEENSM_IJSG_SG_EEES6_PlJS6_EEE10hipError_tPvRmT3_T4_T5_T6_T7_T9_mT8_P12ihipStream_tbDpT10_ENKUlT_T0_E_clISt17integral_constantIbLb1EES19_EEDaS14_S15_EUlS14_E_NS1_11comp_targetILNS1_3genE2ELNS1_11target_archE906ELNS1_3gpuE6ELNS1_3repE0EEENS1_30default_config_static_selectorELNS0_4arch9wavefront6targetE1EEEvT1_,"axG",@progbits,_ZN7rocprim17ROCPRIM_400000_NS6detail17trampoline_kernelINS0_14default_configENS1_25partition_config_selectorILNS1_17partition_subalgoE1EiNS0_10empty_typeEbEEZZNS1_14partition_implILS5_1ELb0ES3_jN6thrust23THRUST_200600_302600_NS6detail15normal_iteratorINSA_10device_ptrIiEEEEPS6_NSA_18transform_iteratorI7is_evenIiESF_NSA_11use_defaultESK_EENS0_5tupleIJSF_SF_EEENSM_IJSG_SG_EEES6_PlJS6_EEE10hipError_tPvRmT3_T4_T5_T6_T7_T9_mT8_P12ihipStream_tbDpT10_ENKUlT_T0_E_clISt17integral_constantIbLb1EES19_EEDaS14_S15_EUlS14_E_NS1_11comp_targetILNS1_3genE2ELNS1_11target_archE906ELNS1_3gpuE6ELNS1_3repE0EEENS1_30default_config_static_selectorELNS0_4arch9wavefront6targetE1EEEvT1_,comdat
	.protected	_ZN7rocprim17ROCPRIM_400000_NS6detail17trampoline_kernelINS0_14default_configENS1_25partition_config_selectorILNS1_17partition_subalgoE1EiNS0_10empty_typeEbEEZZNS1_14partition_implILS5_1ELb0ES3_jN6thrust23THRUST_200600_302600_NS6detail15normal_iteratorINSA_10device_ptrIiEEEEPS6_NSA_18transform_iteratorI7is_evenIiESF_NSA_11use_defaultESK_EENS0_5tupleIJSF_SF_EEENSM_IJSG_SG_EEES6_PlJS6_EEE10hipError_tPvRmT3_T4_T5_T6_T7_T9_mT8_P12ihipStream_tbDpT10_ENKUlT_T0_E_clISt17integral_constantIbLb1EES19_EEDaS14_S15_EUlS14_E_NS1_11comp_targetILNS1_3genE2ELNS1_11target_archE906ELNS1_3gpuE6ELNS1_3repE0EEENS1_30default_config_static_selectorELNS0_4arch9wavefront6targetE1EEEvT1_ ; -- Begin function _ZN7rocprim17ROCPRIM_400000_NS6detail17trampoline_kernelINS0_14default_configENS1_25partition_config_selectorILNS1_17partition_subalgoE1EiNS0_10empty_typeEbEEZZNS1_14partition_implILS5_1ELb0ES3_jN6thrust23THRUST_200600_302600_NS6detail15normal_iteratorINSA_10device_ptrIiEEEEPS6_NSA_18transform_iteratorI7is_evenIiESF_NSA_11use_defaultESK_EENS0_5tupleIJSF_SF_EEENSM_IJSG_SG_EEES6_PlJS6_EEE10hipError_tPvRmT3_T4_T5_T6_T7_T9_mT8_P12ihipStream_tbDpT10_ENKUlT_T0_E_clISt17integral_constantIbLb1EES19_EEDaS14_S15_EUlS14_E_NS1_11comp_targetILNS1_3genE2ELNS1_11target_archE906ELNS1_3gpuE6ELNS1_3repE0EEENS1_30default_config_static_selectorELNS0_4arch9wavefront6targetE1EEEvT1_
	.globl	_ZN7rocprim17ROCPRIM_400000_NS6detail17trampoline_kernelINS0_14default_configENS1_25partition_config_selectorILNS1_17partition_subalgoE1EiNS0_10empty_typeEbEEZZNS1_14partition_implILS5_1ELb0ES3_jN6thrust23THRUST_200600_302600_NS6detail15normal_iteratorINSA_10device_ptrIiEEEEPS6_NSA_18transform_iteratorI7is_evenIiESF_NSA_11use_defaultESK_EENS0_5tupleIJSF_SF_EEENSM_IJSG_SG_EEES6_PlJS6_EEE10hipError_tPvRmT3_T4_T5_T6_T7_T9_mT8_P12ihipStream_tbDpT10_ENKUlT_T0_E_clISt17integral_constantIbLb1EES19_EEDaS14_S15_EUlS14_E_NS1_11comp_targetILNS1_3genE2ELNS1_11target_archE906ELNS1_3gpuE6ELNS1_3repE0EEENS1_30default_config_static_selectorELNS0_4arch9wavefront6targetE1EEEvT1_
	.p2align	8
	.type	_ZN7rocprim17ROCPRIM_400000_NS6detail17trampoline_kernelINS0_14default_configENS1_25partition_config_selectorILNS1_17partition_subalgoE1EiNS0_10empty_typeEbEEZZNS1_14partition_implILS5_1ELb0ES3_jN6thrust23THRUST_200600_302600_NS6detail15normal_iteratorINSA_10device_ptrIiEEEEPS6_NSA_18transform_iteratorI7is_evenIiESF_NSA_11use_defaultESK_EENS0_5tupleIJSF_SF_EEENSM_IJSG_SG_EEES6_PlJS6_EEE10hipError_tPvRmT3_T4_T5_T6_T7_T9_mT8_P12ihipStream_tbDpT10_ENKUlT_T0_E_clISt17integral_constantIbLb1EES19_EEDaS14_S15_EUlS14_E_NS1_11comp_targetILNS1_3genE2ELNS1_11target_archE906ELNS1_3gpuE6ELNS1_3repE0EEENS1_30default_config_static_selectorELNS0_4arch9wavefront6targetE1EEEvT1_,@function
_ZN7rocprim17ROCPRIM_400000_NS6detail17trampoline_kernelINS0_14default_configENS1_25partition_config_selectorILNS1_17partition_subalgoE1EiNS0_10empty_typeEbEEZZNS1_14partition_implILS5_1ELb0ES3_jN6thrust23THRUST_200600_302600_NS6detail15normal_iteratorINSA_10device_ptrIiEEEEPS6_NSA_18transform_iteratorI7is_evenIiESF_NSA_11use_defaultESK_EENS0_5tupleIJSF_SF_EEENSM_IJSG_SG_EEES6_PlJS6_EEE10hipError_tPvRmT3_T4_T5_T6_T7_T9_mT8_P12ihipStream_tbDpT10_ENKUlT_T0_E_clISt17integral_constantIbLb1EES19_EEDaS14_S15_EUlS14_E_NS1_11comp_targetILNS1_3genE2ELNS1_11target_archE906ELNS1_3gpuE6ELNS1_3repE0EEENS1_30default_config_static_selectorELNS0_4arch9wavefront6targetE1EEEvT1_: ; @_ZN7rocprim17ROCPRIM_400000_NS6detail17trampoline_kernelINS0_14default_configENS1_25partition_config_selectorILNS1_17partition_subalgoE1EiNS0_10empty_typeEbEEZZNS1_14partition_implILS5_1ELb0ES3_jN6thrust23THRUST_200600_302600_NS6detail15normal_iteratorINSA_10device_ptrIiEEEEPS6_NSA_18transform_iteratorI7is_evenIiESF_NSA_11use_defaultESK_EENS0_5tupleIJSF_SF_EEENSM_IJSG_SG_EEES6_PlJS6_EEE10hipError_tPvRmT3_T4_T5_T6_T7_T9_mT8_P12ihipStream_tbDpT10_ENKUlT_T0_E_clISt17integral_constantIbLb1EES19_EEDaS14_S15_EUlS14_E_NS1_11comp_targetILNS1_3genE2ELNS1_11target_archE906ELNS1_3gpuE6ELNS1_3repE0EEENS1_30default_config_static_selectorELNS0_4arch9wavefront6targetE1EEEvT1_
; %bb.0:
	.section	.rodata,"a",@progbits
	.p2align	6, 0x0
	.amdhsa_kernel _ZN7rocprim17ROCPRIM_400000_NS6detail17trampoline_kernelINS0_14default_configENS1_25partition_config_selectorILNS1_17partition_subalgoE1EiNS0_10empty_typeEbEEZZNS1_14partition_implILS5_1ELb0ES3_jN6thrust23THRUST_200600_302600_NS6detail15normal_iteratorINSA_10device_ptrIiEEEEPS6_NSA_18transform_iteratorI7is_evenIiESF_NSA_11use_defaultESK_EENS0_5tupleIJSF_SF_EEENSM_IJSG_SG_EEES6_PlJS6_EEE10hipError_tPvRmT3_T4_T5_T6_T7_T9_mT8_P12ihipStream_tbDpT10_ENKUlT_T0_E_clISt17integral_constantIbLb1EES19_EEDaS14_S15_EUlS14_E_NS1_11comp_targetILNS1_3genE2ELNS1_11target_archE906ELNS1_3gpuE6ELNS1_3repE0EEENS1_30default_config_static_selectorELNS0_4arch9wavefront6targetE1EEEvT1_
		.amdhsa_group_segment_fixed_size 0
		.amdhsa_private_segment_fixed_size 0
		.amdhsa_kernarg_size 144
		.amdhsa_user_sgpr_count 6
		.amdhsa_user_sgpr_private_segment_buffer 1
		.amdhsa_user_sgpr_dispatch_ptr 0
		.amdhsa_user_sgpr_queue_ptr 0
		.amdhsa_user_sgpr_kernarg_segment_ptr 1
		.amdhsa_user_sgpr_dispatch_id 0
		.amdhsa_user_sgpr_flat_scratch_init 0
		.amdhsa_user_sgpr_kernarg_preload_length 0
		.amdhsa_user_sgpr_kernarg_preload_offset 0
		.amdhsa_user_sgpr_private_segment_size 0
		.amdhsa_uses_dynamic_stack 0
		.amdhsa_system_sgpr_private_segment_wavefront_offset 0
		.amdhsa_system_sgpr_workgroup_id_x 1
		.amdhsa_system_sgpr_workgroup_id_y 0
		.amdhsa_system_sgpr_workgroup_id_z 0
		.amdhsa_system_sgpr_workgroup_info 0
		.amdhsa_system_vgpr_workitem_id 0
		.amdhsa_next_free_vgpr 1
		.amdhsa_next_free_sgpr 0
		.amdhsa_accum_offset 4
		.amdhsa_reserve_vcc 0
		.amdhsa_reserve_flat_scratch 0
		.amdhsa_float_round_mode_32 0
		.amdhsa_float_round_mode_16_64 0
		.amdhsa_float_denorm_mode_32 3
		.amdhsa_float_denorm_mode_16_64 3
		.amdhsa_dx10_clamp 1
		.amdhsa_ieee_mode 1
		.amdhsa_fp16_overflow 0
		.amdhsa_tg_split 0
		.amdhsa_exception_fp_ieee_invalid_op 0
		.amdhsa_exception_fp_denorm_src 0
		.amdhsa_exception_fp_ieee_div_zero 0
		.amdhsa_exception_fp_ieee_overflow 0
		.amdhsa_exception_fp_ieee_underflow 0
		.amdhsa_exception_fp_ieee_inexact 0
		.amdhsa_exception_int_div_zero 0
	.end_amdhsa_kernel
	.section	.text._ZN7rocprim17ROCPRIM_400000_NS6detail17trampoline_kernelINS0_14default_configENS1_25partition_config_selectorILNS1_17partition_subalgoE1EiNS0_10empty_typeEbEEZZNS1_14partition_implILS5_1ELb0ES3_jN6thrust23THRUST_200600_302600_NS6detail15normal_iteratorINSA_10device_ptrIiEEEEPS6_NSA_18transform_iteratorI7is_evenIiESF_NSA_11use_defaultESK_EENS0_5tupleIJSF_SF_EEENSM_IJSG_SG_EEES6_PlJS6_EEE10hipError_tPvRmT3_T4_T5_T6_T7_T9_mT8_P12ihipStream_tbDpT10_ENKUlT_T0_E_clISt17integral_constantIbLb1EES19_EEDaS14_S15_EUlS14_E_NS1_11comp_targetILNS1_3genE2ELNS1_11target_archE906ELNS1_3gpuE6ELNS1_3repE0EEENS1_30default_config_static_selectorELNS0_4arch9wavefront6targetE1EEEvT1_,"axG",@progbits,_ZN7rocprim17ROCPRIM_400000_NS6detail17trampoline_kernelINS0_14default_configENS1_25partition_config_selectorILNS1_17partition_subalgoE1EiNS0_10empty_typeEbEEZZNS1_14partition_implILS5_1ELb0ES3_jN6thrust23THRUST_200600_302600_NS6detail15normal_iteratorINSA_10device_ptrIiEEEEPS6_NSA_18transform_iteratorI7is_evenIiESF_NSA_11use_defaultESK_EENS0_5tupleIJSF_SF_EEENSM_IJSG_SG_EEES6_PlJS6_EEE10hipError_tPvRmT3_T4_T5_T6_T7_T9_mT8_P12ihipStream_tbDpT10_ENKUlT_T0_E_clISt17integral_constantIbLb1EES19_EEDaS14_S15_EUlS14_E_NS1_11comp_targetILNS1_3genE2ELNS1_11target_archE906ELNS1_3gpuE6ELNS1_3repE0EEENS1_30default_config_static_selectorELNS0_4arch9wavefront6targetE1EEEvT1_,comdat
.Lfunc_end429:
	.size	_ZN7rocprim17ROCPRIM_400000_NS6detail17trampoline_kernelINS0_14default_configENS1_25partition_config_selectorILNS1_17partition_subalgoE1EiNS0_10empty_typeEbEEZZNS1_14partition_implILS5_1ELb0ES3_jN6thrust23THRUST_200600_302600_NS6detail15normal_iteratorINSA_10device_ptrIiEEEEPS6_NSA_18transform_iteratorI7is_evenIiESF_NSA_11use_defaultESK_EENS0_5tupleIJSF_SF_EEENSM_IJSG_SG_EEES6_PlJS6_EEE10hipError_tPvRmT3_T4_T5_T6_T7_T9_mT8_P12ihipStream_tbDpT10_ENKUlT_T0_E_clISt17integral_constantIbLb1EES19_EEDaS14_S15_EUlS14_E_NS1_11comp_targetILNS1_3genE2ELNS1_11target_archE906ELNS1_3gpuE6ELNS1_3repE0EEENS1_30default_config_static_selectorELNS0_4arch9wavefront6targetE1EEEvT1_, .Lfunc_end429-_ZN7rocprim17ROCPRIM_400000_NS6detail17trampoline_kernelINS0_14default_configENS1_25partition_config_selectorILNS1_17partition_subalgoE1EiNS0_10empty_typeEbEEZZNS1_14partition_implILS5_1ELb0ES3_jN6thrust23THRUST_200600_302600_NS6detail15normal_iteratorINSA_10device_ptrIiEEEEPS6_NSA_18transform_iteratorI7is_evenIiESF_NSA_11use_defaultESK_EENS0_5tupleIJSF_SF_EEENSM_IJSG_SG_EEES6_PlJS6_EEE10hipError_tPvRmT3_T4_T5_T6_T7_T9_mT8_P12ihipStream_tbDpT10_ENKUlT_T0_E_clISt17integral_constantIbLb1EES19_EEDaS14_S15_EUlS14_E_NS1_11comp_targetILNS1_3genE2ELNS1_11target_archE906ELNS1_3gpuE6ELNS1_3repE0EEENS1_30default_config_static_selectorELNS0_4arch9wavefront6targetE1EEEvT1_
                                        ; -- End function
	.section	.AMDGPU.csdata,"",@progbits
; Kernel info:
; codeLenInByte = 0
; NumSgprs: 4
; NumVgprs: 0
; NumAgprs: 0
; TotalNumVgprs: 0
; ScratchSize: 0
; MemoryBound: 0
; FloatMode: 240
; IeeeMode: 1
; LDSByteSize: 0 bytes/workgroup (compile time only)
; SGPRBlocks: 0
; VGPRBlocks: 0
; NumSGPRsForWavesPerEU: 4
; NumVGPRsForWavesPerEU: 1
; AccumOffset: 4
; Occupancy: 8
; WaveLimiterHint : 0
; COMPUTE_PGM_RSRC2:SCRATCH_EN: 0
; COMPUTE_PGM_RSRC2:USER_SGPR: 6
; COMPUTE_PGM_RSRC2:TRAP_HANDLER: 0
; COMPUTE_PGM_RSRC2:TGID_X_EN: 1
; COMPUTE_PGM_RSRC2:TGID_Y_EN: 0
; COMPUTE_PGM_RSRC2:TGID_Z_EN: 0
; COMPUTE_PGM_RSRC2:TIDIG_COMP_CNT: 0
; COMPUTE_PGM_RSRC3_GFX90A:ACCUM_OFFSET: 0
; COMPUTE_PGM_RSRC3_GFX90A:TG_SPLIT: 0
	.section	.text._ZN7rocprim17ROCPRIM_400000_NS6detail17trampoline_kernelINS0_14default_configENS1_25partition_config_selectorILNS1_17partition_subalgoE1EiNS0_10empty_typeEbEEZZNS1_14partition_implILS5_1ELb0ES3_jN6thrust23THRUST_200600_302600_NS6detail15normal_iteratorINSA_10device_ptrIiEEEEPS6_NSA_18transform_iteratorI7is_evenIiESF_NSA_11use_defaultESK_EENS0_5tupleIJSF_SF_EEENSM_IJSG_SG_EEES6_PlJS6_EEE10hipError_tPvRmT3_T4_T5_T6_T7_T9_mT8_P12ihipStream_tbDpT10_ENKUlT_T0_E_clISt17integral_constantIbLb1EES19_EEDaS14_S15_EUlS14_E_NS1_11comp_targetILNS1_3genE10ELNS1_11target_archE1200ELNS1_3gpuE4ELNS1_3repE0EEENS1_30default_config_static_selectorELNS0_4arch9wavefront6targetE1EEEvT1_,"axG",@progbits,_ZN7rocprim17ROCPRIM_400000_NS6detail17trampoline_kernelINS0_14default_configENS1_25partition_config_selectorILNS1_17partition_subalgoE1EiNS0_10empty_typeEbEEZZNS1_14partition_implILS5_1ELb0ES3_jN6thrust23THRUST_200600_302600_NS6detail15normal_iteratorINSA_10device_ptrIiEEEEPS6_NSA_18transform_iteratorI7is_evenIiESF_NSA_11use_defaultESK_EENS0_5tupleIJSF_SF_EEENSM_IJSG_SG_EEES6_PlJS6_EEE10hipError_tPvRmT3_T4_T5_T6_T7_T9_mT8_P12ihipStream_tbDpT10_ENKUlT_T0_E_clISt17integral_constantIbLb1EES19_EEDaS14_S15_EUlS14_E_NS1_11comp_targetILNS1_3genE10ELNS1_11target_archE1200ELNS1_3gpuE4ELNS1_3repE0EEENS1_30default_config_static_selectorELNS0_4arch9wavefront6targetE1EEEvT1_,comdat
	.protected	_ZN7rocprim17ROCPRIM_400000_NS6detail17trampoline_kernelINS0_14default_configENS1_25partition_config_selectorILNS1_17partition_subalgoE1EiNS0_10empty_typeEbEEZZNS1_14partition_implILS5_1ELb0ES3_jN6thrust23THRUST_200600_302600_NS6detail15normal_iteratorINSA_10device_ptrIiEEEEPS6_NSA_18transform_iteratorI7is_evenIiESF_NSA_11use_defaultESK_EENS0_5tupleIJSF_SF_EEENSM_IJSG_SG_EEES6_PlJS6_EEE10hipError_tPvRmT3_T4_T5_T6_T7_T9_mT8_P12ihipStream_tbDpT10_ENKUlT_T0_E_clISt17integral_constantIbLb1EES19_EEDaS14_S15_EUlS14_E_NS1_11comp_targetILNS1_3genE10ELNS1_11target_archE1200ELNS1_3gpuE4ELNS1_3repE0EEENS1_30default_config_static_selectorELNS0_4arch9wavefront6targetE1EEEvT1_ ; -- Begin function _ZN7rocprim17ROCPRIM_400000_NS6detail17trampoline_kernelINS0_14default_configENS1_25partition_config_selectorILNS1_17partition_subalgoE1EiNS0_10empty_typeEbEEZZNS1_14partition_implILS5_1ELb0ES3_jN6thrust23THRUST_200600_302600_NS6detail15normal_iteratorINSA_10device_ptrIiEEEEPS6_NSA_18transform_iteratorI7is_evenIiESF_NSA_11use_defaultESK_EENS0_5tupleIJSF_SF_EEENSM_IJSG_SG_EEES6_PlJS6_EEE10hipError_tPvRmT3_T4_T5_T6_T7_T9_mT8_P12ihipStream_tbDpT10_ENKUlT_T0_E_clISt17integral_constantIbLb1EES19_EEDaS14_S15_EUlS14_E_NS1_11comp_targetILNS1_3genE10ELNS1_11target_archE1200ELNS1_3gpuE4ELNS1_3repE0EEENS1_30default_config_static_selectorELNS0_4arch9wavefront6targetE1EEEvT1_
	.globl	_ZN7rocprim17ROCPRIM_400000_NS6detail17trampoline_kernelINS0_14default_configENS1_25partition_config_selectorILNS1_17partition_subalgoE1EiNS0_10empty_typeEbEEZZNS1_14partition_implILS5_1ELb0ES3_jN6thrust23THRUST_200600_302600_NS6detail15normal_iteratorINSA_10device_ptrIiEEEEPS6_NSA_18transform_iteratorI7is_evenIiESF_NSA_11use_defaultESK_EENS0_5tupleIJSF_SF_EEENSM_IJSG_SG_EEES6_PlJS6_EEE10hipError_tPvRmT3_T4_T5_T6_T7_T9_mT8_P12ihipStream_tbDpT10_ENKUlT_T0_E_clISt17integral_constantIbLb1EES19_EEDaS14_S15_EUlS14_E_NS1_11comp_targetILNS1_3genE10ELNS1_11target_archE1200ELNS1_3gpuE4ELNS1_3repE0EEENS1_30default_config_static_selectorELNS0_4arch9wavefront6targetE1EEEvT1_
	.p2align	8
	.type	_ZN7rocprim17ROCPRIM_400000_NS6detail17trampoline_kernelINS0_14default_configENS1_25partition_config_selectorILNS1_17partition_subalgoE1EiNS0_10empty_typeEbEEZZNS1_14partition_implILS5_1ELb0ES3_jN6thrust23THRUST_200600_302600_NS6detail15normal_iteratorINSA_10device_ptrIiEEEEPS6_NSA_18transform_iteratorI7is_evenIiESF_NSA_11use_defaultESK_EENS0_5tupleIJSF_SF_EEENSM_IJSG_SG_EEES6_PlJS6_EEE10hipError_tPvRmT3_T4_T5_T6_T7_T9_mT8_P12ihipStream_tbDpT10_ENKUlT_T0_E_clISt17integral_constantIbLb1EES19_EEDaS14_S15_EUlS14_E_NS1_11comp_targetILNS1_3genE10ELNS1_11target_archE1200ELNS1_3gpuE4ELNS1_3repE0EEENS1_30default_config_static_selectorELNS0_4arch9wavefront6targetE1EEEvT1_,@function
_ZN7rocprim17ROCPRIM_400000_NS6detail17trampoline_kernelINS0_14default_configENS1_25partition_config_selectorILNS1_17partition_subalgoE1EiNS0_10empty_typeEbEEZZNS1_14partition_implILS5_1ELb0ES3_jN6thrust23THRUST_200600_302600_NS6detail15normal_iteratorINSA_10device_ptrIiEEEEPS6_NSA_18transform_iteratorI7is_evenIiESF_NSA_11use_defaultESK_EENS0_5tupleIJSF_SF_EEENSM_IJSG_SG_EEES6_PlJS6_EEE10hipError_tPvRmT3_T4_T5_T6_T7_T9_mT8_P12ihipStream_tbDpT10_ENKUlT_T0_E_clISt17integral_constantIbLb1EES19_EEDaS14_S15_EUlS14_E_NS1_11comp_targetILNS1_3genE10ELNS1_11target_archE1200ELNS1_3gpuE4ELNS1_3repE0EEENS1_30default_config_static_selectorELNS0_4arch9wavefront6targetE1EEEvT1_: ; @_ZN7rocprim17ROCPRIM_400000_NS6detail17trampoline_kernelINS0_14default_configENS1_25partition_config_selectorILNS1_17partition_subalgoE1EiNS0_10empty_typeEbEEZZNS1_14partition_implILS5_1ELb0ES3_jN6thrust23THRUST_200600_302600_NS6detail15normal_iteratorINSA_10device_ptrIiEEEEPS6_NSA_18transform_iteratorI7is_evenIiESF_NSA_11use_defaultESK_EENS0_5tupleIJSF_SF_EEENSM_IJSG_SG_EEES6_PlJS6_EEE10hipError_tPvRmT3_T4_T5_T6_T7_T9_mT8_P12ihipStream_tbDpT10_ENKUlT_T0_E_clISt17integral_constantIbLb1EES19_EEDaS14_S15_EUlS14_E_NS1_11comp_targetILNS1_3genE10ELNS1_11target_archE1200ELNS1_3gpuE4ELNS1_3repE0EEENS1_30default_config_static_selectorELNS0_4arch9wavefront6targetE1EEEvT1_
; %bb.0:
	.section	.rodata,"a",@progbits
	.p2align	6, 0x0
	.amdhsa_kernel _ZN7rocprim17ROCPRIM_400000_NS6detail17trampoline_kernelINS0_14default_configENS1_25partition_config_selectorILNS1_17partition_subalgoE1EiNS0_10empty_typeEbEEZZNS1_14partition_implILS5_1ELb0ES3_jN6thrust23THRUST_200600_302600_NS6detail15normal_iteratorINSA_10device_ptrIiEEEEPS6_NSA_18transform_iteratorI7is_evenIiESF_NSA_11use_defaultESK_EENS0_5tupleIJSF_SF_EEENSM_IJSG_SG_EEES6_PlJS6_EEE10hipError_tPvRmT3_T4_T5_T6_T7_T9_mT8_P12ihipStream_tbDpT10_ENKUlT_T0_E_clISt17integral_constantIbLb1EES19_EEDaS14_S15_EUlS14_E_NS1_11comp_targetILNS1_3genE10ELNS1_11target_archE1200ELNS1_3gpuE4ELNS1_3repE0EEENS1_30default_config_static_selectorELNS0_4arch9wavefront6targetE1EEEvT1_
		.amdhsa_group_segment_fixed_size 0
		.amdhsa_private_segment_fixed_size 0
		.amdhsa_kernarg_size 144
		.amdhsa_user_sgpr_count 6
		.amdhsa_user_sgpr_private_segment_buffer 1
		.amdhsa_user_sgpr_dispatch_ptr 0
		.amdhsa_user_sgpr_queue_ptr 0
		.amdhsa_user_sgpr_kernarg_segment_ptr 1
		.amdhsa_user_sgpr_dispatch_id 0
		.amdhsa_user_sgpr_flat_scratch_init 0
		.amdhsa_user_sgpr_kernarg_preload_length 0
		.amdhsa_user_sgpr_kernarg_preload_offset 0
		.amdhsa_user_sgpr_private_segment_size 0
		.amdhsa_uses_dynamic_stack 0
		.amdhsa_system_sgpr_private_segment_wavefront_offset 0
		.amdhsa_system_sgpr_workgroup_id_x 1
		.amdhsa_system_sgpr_workgroup_id_y 0
		.amdhsa_system_sgpr_workgroup_id_z 0
		.amdhsa_system_sgpr_workgroup_info 0
		.amdhsa_system_vgpr_workitem_id 0
		.amdhsa_next_free_vgpr 1
		.amdhsa_next_free_sgpr 0
		.amdhsa_accum_offset 4
		.amdhsa_reserve_vcc 0
		.amdhsa_reserve_flat_scratch 0
		.amdhsa_float_round_mode_32 0
		.amdhsa_float_round_mode_16_64 0
		.amdhsa_float_denorm_mode_32 3
		.amdhsa_float_denorm_mode_16_64 3
		.amdhsa_dx10_clamp 1
		.amdhsa_ieee_mode 1
		.amdhsa_fp16_overflow 0
		.amdhsa_tg_split 0
		.amdhsa_exception_fp_ieee_invalid_op 0
		.amdhsa_exception_fp_denorm_src 0
		.amdhsa_exception_fp_ieee_div_zero 0
		.amdhsa_exception_fp_ieee_overflow 0
		.amdhsa_exception_fp_ieee_underflow 0
		.amdhsa_exception_fp_ieee_inexact 0
		.amdhsa_exception_int_div_zero 0
	.end_amdhsa_kernel
	.section	.text._ZN7rocprim17ROCPRIM_400000_NS6detail17trampoline_kernelINS0_14default_configENS1_25partition_config_selectorILNS1_17partition_subalgoE1EiNS0_10empty_typeEbEEZZNS1_14partition_implILS5_1ELb0ES3_jN6thrust23THRUST_200600_302600_NS6detail15normal_iteratorINSA_10device_ptrIiEEEEPS6_NSA_18transform_iteratorI7is_evenIiESF_NSA_11use_defaultESK_EENS0_5tupleIJSF_SF_EEENSM_IJSG_SG_EEES6_PlJS6_EEE10hipError_tPvRmT3_T4_T5_T6_T7_T9_mT8_P12ihipStream_tbDpT10_ENKUlT_T0_E_clISt17integral_constantIbLb1EES19_EEDaS14_S15_EUlS14_E_NS1_11comp_targetILNS1_3genE10ELNS1_11target_archE1200ELNS1_3gpuE4ELNS1_3repE0EEENS1_30default_config_static_selectorELNS0_4arch9wavefront6targetE1EEEvT1_,"axG",@progbits,_ZN7rocprim17ROCPRIM_400000_NS6detail17trampoline_kernelINS0_14default_configENS1_25partition_config_selectorILNS1_17partition_subalgoE1EiNS0_10empty_typeEbEEZZNS1_14partition_implILS5_1ELb0ES3_jN6thrust23THRUST_200600_302600_NS6detail15normal_iteratorINSA_10device_ptrIiEEEEPS6_NSA_18transform_iteratorI7is_evenIiESF_NSA_11use_defaultESK_EENS0_5tupleIJSF_SF_EEENSM_IJSG_SG_EEES6_PlJS6_EEE10hipError_tPvRmT3_T4_T5_T6_T7_T9_mT8_P12ihipStream_tbDpT10_ENKUlT_T0_E_clISt17integral_constantIbLb1EES19_EEDaS14_S15_EUlS14_E_NS1_11comp_targetILNS1_3genE10ELNS1_11target_archE1200ELNS1_3gpuE4ELNS1_3repE0EEENS1_30default_config_static_selectorELNS0_4arch9wavefront6targetE1EEEvT1_,comdat
.Lfunc_end430:
	.size	_ZN7rocprim17ROCPRIM_400000_NS6detail17trampoline_kernelINS0_14default_configENS1_25partition_config_selectorILNS1_17partition_subalgoE1EiNS0_10empty_typeEbEEZZNS1_14partition_implILS5_1ELb0ES3_jN6thrust23THRUST_200600_302600_NS6detail15normal_iteratorINSA_10device_ptrIiEEEEPS6_NSA_18transform_iteratorI7is_evenIiESF_NSA_11use_defaultESK_EENS0_5tupleIJSF_SF_EEENSM_IJSG_SG_EEES6_PlJS6_EEE10hipError_tPvRmT3_T4_T5_T6_T7_T9_mT8_P12ihipStream_tbDpT10_ENKUlT_T0_E_clISt17integral_constantIbLb1EES19_EEDaS14_S15_EUlS14_E_NS1_11comp_targetILNS1_3genE10ELNS1_11target_archE1200ELNS1_3gpuE4ELNS1_3repE0EEENS1_30default_config_static_selectorELNS0_4arch9wavefront6targetE1EEEvT1_, .Lfunc_end430-_ZN7rocprim17ROCPRIM_400000_NS6detail17trampoline_kernelINS0_14default_configENS1_25partition_config_selectorILNS1_17partition_subalgoE1EiNS0_10empty_typeEbEEZZNS1_14partition_implILS5_1ELb0ES3_jN6thrust23THRUST_200600_302600_NS6detail15normal_iteratorINSA_10device_ptrIiEEEEPS6_NSA_18transform_iteratorI7is_evenIiESF_NSA_11use_defaultESK_EENS0_5tupleIJSF_SF_EEENSM_IJSG_SG_EEES6_PlJS6_EEE10hipError_tPvRmT3_T4_T5_T6_T7_T9_mT8_P12ihipStream_tbDpT10_ENKUlT_T0_E_clISt17integral_constantIbLb1EES19_EEDaS14_S15_EUlS14_E_NS1_11comp_targetILNS1_3genE10ELNS1_11target_archE1200ELNS1_3gpuE4ELNS1_3repE0EEENS1_30default_config_static_selectorELNS0_4arch9wavefront6targetE1EEEvT1_
                                        ; -- End function
	.section	.AMDGPU.csdata,"",@progbits
; Kernel info:
; codeLenInByte = 0
; NumSgprs: 4
; NumVgprs: 0
; NumAgprs: 0
; TotalNumVgprs: 0
; ScratchSize: 0
; MemoryBound: 0
; FloatMode: 240
; IeeeMode: 1
; LDSByteSize: 0 bytes/workgroup (compile time only)
; SGPRBlocks: 0
; VGPRBlocks: 0
; NumSGPRsForWavesPerEU: 4
; NumVGPRsForWavesPerEU: 1
; AccumOffset: 4
; Occupancy: 8
; WaveLimiterHint : 0
; COMPUTE_PGM_RSRC2:SCRATCH_EN: 0
; COMPUTE_PGM_RSRC2:USER_SGPR: 6
; COMPUTE_PGM_RSRC2:TRAP_HANDLER: 0
; COMPUTE_PGM_RSRC2:TGID_X_EN: 1
; COMPUTE_PGM_RSRC2:TGID_Y_EN: 0
; COMPUTE_PGM_RSRC2:TGID_Z_EN: 0
; COMPUTE_PGM_RSRC2:TIDIG_COMP_CNT: 0
; COMPUTE_PGM_RSRC3_GFX90A:ACCUM_OFFSET: 0
; COMPUTE_PGM_RSRC3_GFX90A:TG_SPLIT: 0
	.section	.text._ZN7rocprim17ROCPRIM_400000_NS6detail17trampoline_kernelINS0_14default_configENS1_25partition_config_selectorILNS1_17partition_subalgoE1EiNS0_10empty_typeEbEEZZNS1_14partition_implILS5_1ELb0ES3_jN6thrust23THRUST_200600_302600_NS6detail15normal_iteratorINSA_10device_ptrIiEEEEPS6_NSA_18transform_iteratorI7is_evenIiESF_NSA_11use_defaultESK_EENS0_5tupleIJSF_SF_EEENSM_IJSG_SG_EEES6_PlJS6_EEE10hipError_tPvRmT3_T4_T5_T6_T7_T9_mT8_P12ihipStream_tbDpT10_ENKUlT_T0_E_clISt17integral_constantIbLb1EES19_EEDaS14_S15_EUlS14_E_NS1_11comp_targetILNS1_3genE9ELNS1_11target_archE1100ELNS1_3gpuE3ELNS1_3repE0EEENS1_30default_config_static_selectorELNS0_4arch9wavefront6targetE1EEEvT1_,"axG",@progbits,_ZN7rocprim17ROCPRIM_400000_NS6detail17trampoline_kernelINS0_14default_configENS1_25partition_config_selectorILNS1_17partition_subalgoE1EiNS0_10empty_typeEbEEZZNS1_14partition_implILS5_1ELb0ES3_jN6thrust23THRUST_200600_302600_NS6detail15normal_iteratorINSA_10device_ptrIiEEEEPS6_NSA_18transform_iteratorI7is_evenIiESF_NSA_11use_defaultESK_EENS0_5tupleIJSF_SF_EEENSM_IJSG_SG_EEES6_PlJS6_EEE10hipError_tPvRmT3_T4_T5_T6_T7_T9_mT8_P12ihipStream_tbDpT10_ENKUlT_T0_E_clISt17integral_constantIbLb1EES19_EEDaS14_S15_EUlS14_E_NS1_11comp_targetILNS1_3genE9ELNS1_11target_archE1100ELNS1_3gpuE3ELNS1_3repE0EEENS1_30default_config_static_selectorELNS0_4arch9wavefront6targetE1EEEvT1_,comdat
	.protected	_ZN7rocprim17ROCPRIM_400000_NS6detail17trampoline_kernelINS0_14default_configENS1_25partition_config_selectorILNS1_17partition_subalgoE1EiNS0_10empty_typeEbEEZZNS1_14partition_implILS5_1ELb0ES3_jN6thrust23THRUST_200600_302600_NS6detail15normal_iteratorINSA_10device_ptrIiEEEEPS6_NSA_18transform_iteratorI7is_evenIiESF_NSA_11use_defaultESK_EENS0_5tupleIJSF_SF_EEENSM_IJSG_SG_EEES6_PlJS6_EEE10hipError_tPvRmT3_T4_T5_T6_T7_T9_mT8_P12ihipStream_tbDpT10_ENKUlT_T0_E_clISt17integral_constantIbLb1EES19_EEDaS14_S15_EUlS14_E_NS1_11comp_targetILNS1_3genE9ELNS1_11target_archE1100ELNS1_3gpuE3ELNS1_3repE0EEENS1_30default_config_static_selectorELNS0_4arch9wavefront6targetE1EEEvT1_ ; -- Begin function _ZN7rocprim17ROCPRIM_400000_NS6detail17trampoline_kernelINS0_14default_configENS1_25partition_config_selectorILNS1_17partition_subalgoE1EiNS0_10empty_typeEbEEZZNS1_14partition_implILS5_1ELb0ES3_jN6thrust23THRUST_200600_302600_NS6detail15normal_iteratorINSA_10device_ptrIiEEEEPS6_NSA_18transform_iteratorI7is_evenIiESF_NSA_11use_defaultESK_EENS0_5tupleIJSF_SF_EEENSM_IJSG_SG_EEES6_PlJS6_EEE10hipError_tPvRmT3_T4_T5_T6_T7_T9_mT8_P12ihipStream_tbDpT10_ENKUlT_T0_E_clISt17integral_constantIbLb1EES19_EEDaS14_S15_EUlS14_E_NS1_11comp_targetILNS1_3genE9ELNS1_11target_archE1100ELNS1_3gpuE3ELNS1_3repE0EEENS1_30default_config_static_selectorELNS0_4arch9wavefront6targetE1EEEvT1_
	.globl	_ZN7rocprim17ROCPRIM_400000_NS6detail17trampoline_kernelINS0_14default_configENS1_25partition_config_selectorILNS1_17partition_subalgoE1EiNS0_10empty_typeEbEEZZNS1_14partition_implILS5_1ELb0ES3_jN6thrust23THRUST_200600_302600_NS6detail15normal_iteratorINSA_10device_ptrIiEEEEPS6_NSA_18transform_iteratorI7is_evenIiESF_NSA_11use_defaultESK_EENS0_5tupleIJSF_SF_EEENSM_IJSG_SG_EEES6_PlJS6_EEE10hipError_tPvRmT3_T4_T5_T6_T7_T9_mT8_P12ihipStream_tbDpT10_ENKUlT_T0_E_clISt17integral_constantIbLb1EES19_EEDaS14_S15_EUlS14_E_NS1_11comp_targetILNS1_3genE9ELNS1_11target_archE1100ELNS1_3gpuE3ELNS1_3repE0EEENS1_30default_config_static_selectorELNS0_4arch9wavefront6targetE1EEEvT1_
	.p2align	8
	.type	_ZN7rocprim17ROCPRIM_400000_NS6detail17trampoline_kernelINS0_14default_configENS1_25partition_config_selectorILNS1_17partition_subalgoE1EiNS0_10empty_typeEbEEZZNS1_14partition_implILS5_1ELb0ES3_jN6thrust23THRUST_200600_302600_NS6detail15normal_iteratorINSA_10device_ptrIiEEEEPS6_NSA_18transform_iteratorI7is_evenIiESF_NSA_11use_defaultESK_EENS0_5tupleIJSF_SF_EEENSM_IJSG_SG_EEES6_PlJS6_EEE10hipError_tPvRmT3_T4_T5_T6_T7_T9_mT8_P12ihipStream_tbDpT10_ENKUlT_T0_E_clISt17integral_constantIbLb1EES19_EEDaS14_S15_EUlS14_E_NS1_11comp_targetILNS1_3genE9ELNS1_11target_archE1100ELNS1_3gpuE3ELNS1_3repE0EEENS1_30default_config_static_selectorELNS0_4arch9wavefront6targetE1EEEvT1_,@function
_ZN7rocprim17ROCPRIM_400000_NS6detail17trampoline_kernelINS0_14default_configENS1_25partition_config_selectorILNS1_17partition_subalgoE1EiNS0_10empty_typeEbEEZZNS1_14partition_implILS5_1ELb0ES3_jN6thrust23THRUST_200600_302600_NS6detail15normal_iteratorINSA_10device_ptrIiEEEEPS6_NSA_18transform_iteratorI7is_evenIiESF_NSA_11use_defaultESK_EENS0_5tupleIJSF_SF_EEENSM_IJSG_SG_EEES6_PlJS6_EEE10hipError_tPvRmT3_T4_T5_T6_T7_T9_mT8_P12ihipStream_tbDpT10_ENKUlT_T0_E_clISt17integral_constantIbLb1EES19_EEDaS14_S15_EUlS14_E_NS1_11comp_targetILNS1_3genE9ELNS1_11target_archE1100ELNS1_3gpuE3ELNS1_3repE0EEENS1_30default_config_static_selectorELNS0_4arch9wavefront6targetE1EEEvT1_: ; @_ZN7rocprim17ROCPRIM_400000_NS6detail17trampoline_kernelINS0_14default_configENS1_25partition_config_selectorILNS1_17partition_subalgoE1EiNS0_10empty_typeEbEEZZNS1_14partition_implILS5_1ELb0ES3_jN6thrust23THRUST_200600_302600_NS6detail15normal_iteratorINSA_10device_ptrIiEEEEPS6_NSA_18transform_iteratorI7is_evenIiESF_NSA_11use_defaultESK_EENS0_5tupleIJSF_SF_EEENSM_IJSG_SG_EEES6_PlJS6_EEE10hipError_tPvRmT3_T4_T5_T6_T7_T9_mT8_P12ihipStream_tbDpT10_ENKUlT_T0_E_clISt17integral_constantIbLb1EES19_EEDaS14_S15_EUlS14_E_NS1_11comp_targetILNS1_3genE9ELNS1_11target_archE1100ELNS1_3gpuE3ELNS1_3repE0EEENS1_30default_config_static_selectorELNS0_4arch9wavefront6targetE1EEEvT1_
; %bb.0:
	.section	.rodata,"a",@progbits
	.p2align	6, 0x0
	.amdhsa_kernel _ZN7rocprim17ROCPRIM_400000_NS6detail17trampoline_kernelINS0_14default_configENS1_25partition_config_selectorILNS1_17partition_subalgoE1EiNS0_10empty_typeEbEEZZNS1_14partition_implILS5_1ELb0ES3_jN6thrust23THRUST_200600_302600_NS6detail15normal_iteratorINSA_10device_ptrIiEEEEPS6_NSA_18transform_iteratorI7is_evenIiESF_NSA_11use_defaultESK_EENS0_5tupleIJSF_SF_EEENSM_IJSG_SG_EEES6_PlJS6_EEE10hipError_tPvRmT3_T4_T5_T6_T7_T9_mT8_P12ihipStream_tbDpT10_ENKUlT_T0_E_clISt17integral_constantIbLb1EES19_EEDaS14_S15_EUlS14_E_NS1_11comp_targetILNS1_3genE9ELNS1_11target_archE1100ELNS1_3gpuE3ELNS1_3repE0EEENS1_30default_config_static_selectorELNS0_4arch9wavefront6targetE1EEEvT1_
		.amdhsa_group_segment_fixed_size 0
		.amdhsa_private_segment_fixed_size 0
		.amdhsa_kernarg_size 144
		.amdhsa_user_sgpr_count 6
		.amdhsa_user_sgpr_private_segment_buffer 1
		.amdhsa_user_sgpr_dispatch_ptr 0
		.amdhsa_user_sgpr_queue_ptr 0
		.amdhsa_user_sgpr_kernarg_segment_ptr 1
		.amdhsa_user_sgpr_dispatch_id 0
		.amdhsa_user_sgpr_flat_scratch_init 0
		.amdhsa_user_sgpr_kernarg_preload_length 0
		.amdhsa_user_sgpr_kernarg_preload_offset 0
		.amdhsa_user_sgpr_private_segment_size 0
		.amdhsa_uses_dynamic_stack 0
		.amdhsa_system_sgpr_private_segment_wavefront_offset 0
		.amdhsa_system_sgpr_workgroup_id_x 1
		.amdhsa_system_sgpr_workgroup_id_y 0
		.amdhsa_system_sgpr_workgroup_id_z 0
		.amdhsa_system_sgpr_workgroup_info 0
		.amdhsa_system_vgpr_workitem_id 0
		.amdhsa_next_free_vgpr 1
		.amdhsa_next_free_sgpr 0
		.amdhsa_accum_offset 4
		.amdhsa_reserve_vcc 0
		.amdhsa_reserve_flat_scratch 0
		.amdhsa_float_round_mode_32 0
		.amdhsa_float_round_mode_16_64 0
		.amdhsa_float_denorm_mode_32 3
		.amdhsa_float_denorm_mode_16_64 3
		.amdhsa_dx10_clamp 1
		.amdhsa_ieee_mode 1
		.amdhsa_fp16_overflow 0
		.amdhsa_tg_split 0
		.amdhsa_exception_fp_ieee_invalid_op 0
		.amdhsa_exception_fp_denorm_src 0
		.amdhsa_exception_fp_ieee_div_zero 0
		.amdhsa_exception_fp_ieee_overflow 0
		.amdhsa_exception_fp_ieee_underflow 0
		.amdhsa_exception_fp_ieee_inexact 0
		.amdhsa_exception_int_div_zero 0
	.end_amdhsa_kernel
	.section	.text._ZN7rocprim17ROCPRIM_400000_NS6detail17trampoline_kernelINS0_14default_configENS1_25partition_config_selectorILNS1_17partition_subalgoE1EiNS0_10empty_typeEbEEZZNS1_14partition_implILS5_1ELb0ES3_jN6thrust23THRUST_200600_302600_NS6detail15normal_iteratorINSA_10device_ptrIiEEEEPS6_NSA_18transform_iteratorI7is_evenIiESF_NSA_11use_defaultESK_EENS0_5tupleIJSF_SF_EEENSM_IJSG_SG_EEES6_PlJS6_EEE10hipError_tPvRmT3_T4_T5_T6_T7_T9_mT8_P12ihipStream_tbDpT10_ENKUlT_T0_E_clISt17integral_constantIbLb1EES19_EEDaS14_S15_EUlS14_E_NS1_11comp_targetILNS1_3genE9ELNS1_11target_archE1100ELNS1_3gpuE3ELNS1_3repE0EEENS1_30default_config_static_selectorELNS0_4arch9wavefront6targetE1EEEvT1_,"axG",@progbits,_ZN7rocprim17ROCPRIM_400000_NS6detail17trampoline_kernelINS0_14default_configENS1_25partition_config_selectorILNS1_17partition_subalgoE1EiNS0_10empty_typeEbEEZZNS1_14partition_implILS5_1ELb0ES3_jN6thrust23THRUST_200600_302600_NS6detail15normal_iteratorINSA_10device_ptrIiEEEEPS6_NSA_18transform_iteratorI7is_evenIiESF_NSA_11use_defaultESK_EENS0_5tupleIJSF_SF_EEENSM_IJSG_SG_EEES6_PlJS6_EEE10hipError_tPvRmT3_T4_T5_T6_T7_T9_mT8_P12ihipStream_tbDpT10_ENKUlT_T0_E_clISt17integral_constantIbLb1EES19_EEDaS14_S15_EUlS14_E_NS1_11comp_targetILNS1_3genE9ELNS1_11target_archE1100ELNS1_3gpuE3ELNS1_3repE0EEENS1_30default_config_static_selectorELNS0_4arch9wavefront6targetE1EEEvT1_,comdat
.Lfunc_end431:
	.size	_ZN7rocprim17ROCPRIM_400000_NS6detail17trampoline_kernelINS0_14default_configENS1_25partition_config_selectorILNS1_17partition_subalgoE1EiNS0_10empty_typeEbEEZZNS1_14partition_implILS5_1ELb0ES3_jN6thrust23THRUST_200600_302600_NS6detail15normal_iteratorINSA_10device_ptrIiEEEEPS6_NSA_18transform_iteratorI7is_evenIiESF_NSA_11use_defaultESK_EENS0_5tupleIJSF_SF_EEENSM_IJSG_SG_EEES6_PlJS6_EEE10hipError_tPvRmT3_T4_T5_T6_T7_T9_mT8_P12ihipStream_tbDpT10_ENKUlT_T0_E_clISt17integral_constantIbLb1EES19_EEDaS14_S15_EUlS14_E_NS1_11comp_targetILNS1_3genE9ELNS1_11target_archE1100ELNS1_3gpuE3ELNS1_3repE0EEENS1_30default_config_static_selectorELNS0_4arch9wavefront6targetE1EEEvT1_, .Lfunc_end431-_ZN7rocprim17ROCPRIM_400000_NS6detail17trampoline_kernelINS0_14default_configENS1_25partition_config_selectorILNS1_17partition_subalgoE1EiNS0_10empty_typeEbEEZZNS1_14partition_implILS5_1ELb0ES3_jN6thrust23THRUST_200600_302600_NS6detail15normal_iteratorINSA_10device_ptrIiEEEEPS6_NSA_18transform_iteratorI7is_evenIiESF_NSA_11use_defaultESK_EENS0_5tupleIJSF_SF_EEENSM_IJSG_SG_EEES6_PlJS6_EEE10hipError_tPvRmT3_T4_T5_T6_T7_T9_mT8_P12ihipStream_tbDpT10_ENKUlT_T0_E_clISt17integral_constantIbLb1EES19_EEDaS14_S15_EUlS14_E_NS1_11comp_targetILNS1_3genE9ELNS1_11target_archE1100ELNS1_3gpuE3ELNS1_3repE0EEENS1_30default_config_static_selectorELNS0_4arch9wavefront6targetE1EEEvT1_
                                        ; -- End function
	.section	.AMDGPU.csdata,"",@progbits
; Kernel info:
; codeLenInByte = 0
; NumSgprs: 4
; NumVgprs: 0
; NumAgprs: 0
; TotalNumVgprs: 0
; ScratchSize: 0
; MemoryBound: 0
; FloatMode: 240
; IeeeMode: 1
; LDSByteSize: 0 bytes/workgroup (compile time only)
; SGPRBlocks: 0
; VGPRBlocks: 0
; NumSGPRsForWavesPerEU: 4
; NumVGPRsForWavesPerEU: 1
; AccumOffset: 4
; Occupancy: 8
; WaveLimiterHint : 0
; COMPUTE_PGM_RSRC2:SCRATCH_EN: 0
; COMPUTE_PGM_RSRC2:USER_SGPR: 6
; COMPUTE_PGM_RSRC2:TRAP_HANDLER: 0
; COMPUTE_PGM_RSRC2:TGID_X_EN: 1
; COMPUTE_PGM_RSRC2:TGID_Y_EN: 0
; COMPUTE_PGM_RSRC2:TGID_Z_EN: 0
; COMPUTE_PGM_RSRC2:TIDIG_COMP_CNT: 0
; COMPUTE_PGM_RSRC3_GFX90A:ACCUM_OFFSET: 0
; COMPUTE_PGM_RSRC3_GFX90A:TG_SPLIT: 0
	.section	.text._ZN7rocprim17ROCPRIM_400000_NS6detail17trampoline_kernelINS0_14default_configENS1_25partition_config_selectorILNS1_17partition_subalgoE1EiNS0_10empty_typeEbEEZZNS1_14partition_implILS5_1ELb0ES3_jN6thrust23THRUST_200600_302600_NS6detail15normal_iteratorINSA_10device_ptrIiEEEEPS6_NSA_18transform_iteratorI7is_evenIiESF_NSA_11use_defaultESK_EENS0_5tupleIJSF_SF_EEENSM_IJSG_SG_EEES6_PlJS6_EEE10hipError_tPvRmT3_T4_T5_T6_T7_T9_mT8_P12ihipStream_tbDpT10_ENKUlT_T0_E_clISt17integral_constantIbLb1EES19_EEDaS14_S15_EUlS14_E_NS1_11comp_targetILNS1_3genE8ELNS1_11target_archE1030ELNS1_3gpuE2ELNS1_3repE0EEENS1_30default_config_static_selectorELNS0_4arch9wavefront6targetE1EEEvT1_,"axG",@progbits,_ZN7rocprim17ROCPRIM_400000_NS6detail17trampoline_kernelINS0_14default_configENS1_25partition_config_selectorILNS1_17partition_subalgoE1EiNS0_10empty_typeEbEEZZNS1_14partition_implILS5_1ELb0ES3_jN6thrust23THRUST_200600_302600_NS6detail15normal_iteratorINSA_10device_ptrIiEEEEPS6_NSA_18transform_iteratorI7is_evenIiESF_NSA_11use_defaultESK_EENS0_5tupleIJSF_SF_EEENSM_IJSG_SG_EEES6_PlJS6_EEE10hipError_tPvRmT3_T4_T5_T6_T7_T9_mT8_P12ihipStream_tbDpT10_ENKUlT_T0_E_clISt17integral_constantIbLb1EES19_EEDaS14_S15_EUlS14_E_NS1_11comp_targetILNS1_3genE8ELNS1_11target_archE1030ELNS1_3gpuE2ELNS1_3repE0EEENS1_30default_config_static_selectorELNS0_4arch9wavefront6targetE1EEEvT1_,comdat
	.protected	_ZN7rocprim17ROCPRIM_400000_NS6detail17trampoline_kernelINS0_14default_configENS1_25partition_config_selectorILNS1_17partition_subalgoE1EiNS0_10empty_typeEbEEZZNS1_14partition_implILS5_1ELb0ES3_jN6thrust23THRUST_200600_302600_NS6detail15normal_iteratorINSA_10device_ptrIiEEEEPS6_NSA_18transform_iteratorI7is_evenIiESF_NSA_11use_defaultESK_EENS0_5tupleIJSF_SF_EEENSM_IJSG_SG_EEES6_PlJS6_EEE10hipError_tPvRmT3_T4_T5_T6_T7_T9_mT8_P12ihipStream_tbDpT10_ENKUlT_T0_E_clISt17integral_constantIbLb1EES19_EEDaS14_S15_EUlS14_E_NS1_11comp_targetILNS1_3genE8ELNS1_11target_archE1030ELNS1_3gpuE2ELNS1_3repE0EEENS1_30default_config_static_selectorELNS0_4arch9wavefront6targetE1EEEvT1_ ; -- Begin function _ZN7rocprim17ROCPRIM_400000_NS6detail17trampoline_kernelINS0_14default_configENS1_25partition_config_selectorILNS1_17partition_subalgoE1EiNS0_10empty_typeEbEEZZNS1_14partition_implILS5_1ELb0ES3_jN6thrust23THRUST_200600_302600_NS6detail15normal_iteratorINSA_10device_ptrIiEEEEPS6_NSA_18transform_iteratorI7is_evenIiESF_NSA_11use_defaultESK_EENS0_5tupleIJSF_SF_EEENSM_IJSG_SG_EEES6_PlJS6_EEE10hipError_tPvRmT3_T4_T5_T6_T7_T9_mT8_P12ihipStream_tbDpT10_ENKUlT_T0_E_clISt17integral_constantIbLb1EES19_EEDaS14_S15_EUlS14_E_NS1_11comp_targetILNS1_3genE8ELNS1_11target_archE1030ELNS1_3gpuE2ELNS1_3repE0EEENS1_30default_config_static_selectorELNS0_4arch9wavefront6targetE1EEEvT1_
	.globl	_ZN7rocprim17ROCPRIM_400000_NS6detail17trampoline_kernelINS0_14default_configENS1_25partition_config_selectorILNS1_17partition_subalgoE1EiNS0_10empty_typeEbEEZZNS1_14partition_implILS5_1ELb0ES3_jN6thrust23THRUST_200600_302600_NS6detail15normal_iteratorINSA_10device_ptrIiEEEEPS6_NSA_18transform_iteratorI7is_evenIiESF_NSA_11use_defaultESK_EENS0_5tupleIJSF_SF_EEENSM_IJSG_SG_EEES6_PlJS6_EEE10hipError_tPvRmT3_T4_T5_T6_T7_T9_mT8_P12ihipStream_tbDpT10_ENKUlT_T0_E_clISt17integral_constantIbLb1EES19_EEDaS14_S15_EUlS14_E_NS1_11comp_targetILNS1_3genE8ELNS1_11target_archE1030ELNS1_3gpuE2ELNS1_3repE0EEENS1_30default_config_static_selectorELNS0_4arch9wavefront6targetE1EEEvT1_
	.p2align	8
	.type	_ZN7rocprim17ROCPRIM_400000_NS6detail17trampoline_kernelINS0_14default_configENS1_25partition_config_selectorILNS1_17partition_subalgoE1EiNS0_10empty_typeEbEEZZNS1_14partition_implILS5_1ELb0ES3_jN6thrust23THRUST_200600_302600_NS6detail15normal_iteratorINSA_10device_ptrIiEEEEPS6_NSA_18transform_iteratorI7is_evenIiESF_NSA_11use_defaultESK_EENS0_5tupleIJSF_SF_EEENSM_IJSG_SG_EEES6_PlJS6_EEE10hipError_tPvRmT3_T4_T5_T6_T7_T9_mT8_P12ihipStream_tbDpT10_ENKUlT_T0_E_clISt17integral_constantIbLb1EES19_EEDaS14_S15_EUlS14_E_NS1_11comp_targetILNS1_3genE8ELNS1_11target_archE1030ELNS1_3gpuE2ELNS1_3repE0EEENS1_30default_config_static_selectorELNS0_4arch9wavefront6targetE1EEEvT1_,@function
_ZN7rocprim17ROCPRIM_400000_NS6detail17trampoline_kernelINS0_14default_configENS1_25partition_config_selectorILNS1_17partition_subalgoE1EiNS0_10empty_typeEbEEZZNS1_14partition_implILS5_1ELb0ES3_jN6thrust23THRUST_200600_302600_NS6detail15normal_iteratorINSA_10device_ptrIiEEEEPS6_NSA_18transform_iteratorI7is_evenIiESF_NSA_11use_defaultESK_EENS0_5tupleIJSF_SF_EEENSM_IJSG_SG_EEES6_PlJS6_EEE10hipError_tPvRmT3_T4_T5_T6_T7_T9_mT8_P12ihipStream_tbDpT10_ENKUlT_T0_E_clISt17integral_constantIbLb1EES19_EEDaS14_S15_EUlS14_E_NS1_11comp_targetILNS1_3genE8ELNS1_11target_archE1030ELNS1_3gpuE2ELNS1_3repE0EEENS1_30default_config_static_selectorELNS0_4arch9wavefront6targetE1EEEvT1_: ; @_ZN7rocprim17ROCPRIM_400000_NS6detail17trampoline_kernelINS0_14default_configENS1_25partition_config_selectorILNS1_17partition_subalgoE1EiNS0_10empty_typeEbEEZZNS1_14partition_implILS5_1ELb0ES3_jN6thrust23THRUST_200600_302600_NS6detail15normal_iteratorINSA_10device_ptrIiEEEEPS6_NSA_18transform_iteratorI7is_evenIiESF_NSA_11use_defaultESK_EENS0_5tupleIJSF_SF_EEENSM_IJSG_SG_EEES6_PlJS6_EEE10hipError_tPvRmT3_T4_T5_T6_T7_T9_mT8_P12ihipStream_tbDpT10_ENKUlT_T0_E_clISt17integral_constantIbLb1EES19_EEDaS14_S15_EUlS14_E_NS1_11comp_targetILNS1_3genE8ELNS1_11target_archE1030ELNS1_3gpuE2ELNS1_3repE0EEENS1_30default_config_static_selectorELNS0_4arch9wavefront6targetE1EEEvT1_
; %bb.0:
	.section	.rodata,"a",@progbits
	.p2align	6, 0x0
	.amdhsa_kernel _ZN7rocprim17ROCPRIM_400000_NS6detail17trampoline_kernelINS0_14default_configENS1_25partition_config_selectorILNS1_17partition_subalgoE1EiNS0_10empty_typeEbEEZZNS1_14partition_implILS5_1ELb0ES3_jN6thrust23THRUST_200600_302600_NS6detail15normal_iteratorINSA_10device_ptrIiEEEEPS6_NSA_18transform_iteratorI7is_evenIiESF_NSA_11use_defaultESK_EENS0_5tupleIJSF_SF_EEENSM_IJSG_SG_EEES6_PlJS6_EEE10hipError_tPvRmT3_T4_T5_T6_T7_T9_mT8_P12ihipStream_tbDpT10_ENKUlT_T0_E_clISt17integral_constantIbLb1EES19_EEDaS14_S15_EUlS14_E_NS1_11comp_targetILNS1_3genE8ELNS1_11target_archE1030ELNS1_3gpuE2ELNS1_3repE0EEENS1_30default_config_static_selectorELNS0_4arch9wavefront6targetE1EEEvT1_
		.amdhsa_group_segment_fixed_size 0
		.amdhsa_private_segment_fixed_size 0
		.amdhsa_kernarg_size 144
		.amdhsa_user_sgpr_count 6
		.amdhsa_user_sgpr_private_segment_buffer 1
		.amdhsa_user_sgpr_dispatch_ptr 0
		.amdhsa_user_sgpr_queue_ptr 0
		.amdhsa_user_sgpr_kernarg_segment_ptr 1
		.amdhsa_user_sgpr_dispatch_id 0
		.amdhsa_user_sgpr_flat_scratch_init 0
		.amdhsa_user_sgpr_kernarg_preload_length 0
		.amdhsa_user_sgpr_kernarg_preload_offset 0
		.amdhsa_user_sgpr_private_segment_size 0
		.amdhsa_uses_dynamic_stack 0
		.amdhsa_system_sgpr_private_segment_wavefront_offset 0
		.amdhsa_system_sgpr_workgroup_id_x 1
		.amdhsa_system_sgpr_workgroup_id_y 0
		.amdhsa_system_sgpr_workgroup_id_z 0
		.amdhsa_system_sgpr_workgroup_info 0
		.amdhsa_system_vgpr_workitem_id 0
		.amdhsa_next_free_vgpr 1
		.amdhsa_next_free_sgpr 0
		.amdhsa_accum_offset 4
		.amdhsa_reserve_vcc 0
		.amdhsa_reserve_flat_scratch 0
		.amdhsa_float_round_mode_32 0
		.amdhsa_float_round_mode_16_64 0
		.amdhsa_float_denorm_mode_32 3
		.amdhsa_float_denorm_mode_16_64 3
		.amdhsa_dx10_clamp 1
		.amdhsa_ieee_mode 1
		.amdhsa_fp16_overflow 0
		.amdhsa_tg_split 0
		.amdhsa_exception_fp_ieee_invalid_op 0
		.amdhsa_exception_fp_denorm_src 0
		.amdhsa_exception_fp_ieee_div_zero 0
		.amdhsa_exception_fp_ieee_overflow 0
		.amdhsa_exception_fp_ieee_underflow 0
		.amdhsa_exception_fp_ieee_inexact 0
		.amdhsa_exception_int_div_zero 0
	.end_amdhsa_kernel
	.section	.text._ZN7rocprim17ROCPRIM_400000_NS6detail17trampoline_kernelINS0_14default_configENS1_25partition_config_selectorILNS1_17partition_subalgoE1EiNS0_10empty_typeEbEEZZNS1_14partition_implILS5_1ELb0ES3_jN6thrust23THRUST_200600_302600_NS6detail15normal_iteratorINSA_10device_ptrIiEEEEPS6_NSA_18transform_iteratorI7is_evenIiESF_NSA_11use_defaultESK_EENS0_5tupleIJSF_SF_EEENSM_IJSG_SG_EEES6_PlJS6_EEE10hipError_tPvRmT3_T4_T5_T6_T7_T9_mT8_P12ihipStream_tbDpT10_ENKUlT_T0_E_clISt17integral_constantIbLb1EES19_EEDaS14_S15_EUlS14_E_NS1_11comp_targetILNS1_3genE8ELNS1_11target_archE1030ELNS1_3gpuE2ELNS1_3repE0EEENS1_30default_config_static_selectorELNS0_4arch9wavefront6targetE1EEEvT1_,"axG",@progbits,_ZN7rocprim17ROCPRIM_400000_NS6detail17trampoline_kernelINS0_14default_configENS1_25partition_config_selectorILNS1_17partition_subalgoE1EiNS0_10empty_typeEbEEZZNS1_14partition_implILS5_1ELb0ES3_jN6thrust23THRUST_200600_302600_NS6detail15normal_iteratorINSA_10device_ptrIiEEEEPS6_NSA_18transform_iteratorI7is_evenIiESF_NSA_11use_defaultESK_EENS0_5tupleIJSF_SF_EEENSM_IJSG_SG_EEES6_PlJS6_EEE10hipError_tPvRmT3_T4_T5_T6_T7_T9_mT8_P12ihipStream_tbDpT10_ENKUlT_T0_E_clISt17integral_constantIbLb1EES19_EEDaS14_S15_EUlS14_E_NS1_11comp_targetILNS1_3genE8ELNS1_11target_archE1030ELNS1_3gpuE2ELNS1_3repE0EEENS1_30default_config_static_selectorELNS0_4arch9wavefront6targetE1EEEvT1_,comdat
.Lfunc_end432:
	.size	_ZN7rocprim17ROCPRIM_400000_NS6detail17trampoline_kernelINS0_14default_configENS1_25partition_config_selectorILNS1_17partition_subalgoE1EiNS0_10empty_typeEbEEZZNS1_14partition_implILS5_1ELb0ES3_jN6thrust23THRUST_200600_302600_NS6detail15normal_iteratorINSA_10device_ptrIiEEEEPS6_NSA_18transform_iteratorI7is_evenIiESF_NSA_11use_defaultESK_EENS0_5tupleIJSF_SF_EEENSM_IJSG_SG_EEES6_PlJS6_EEE10hipError_tPvRmT3_T4_T5_T6_T7_T9_mT8_P12ihipStream_tbDpT10_ENKUlT_T0_E_clISt17integral_constantIbLb1EES19_EEDaS14_S15_EUlS14_E_NS1_11comp_targetILNS1_3genE8ELNS1_11target_archE1030ELNS1_3gpuE2ELNS1_3repE0EEENS1_30default_config_static_selectorELNS0_4arch9wavefront6targetE1EEEvT1_, .Lfunc_end432-_ZN7rocprim17ROCPRIM_400000_NS6detail17trampoline_kernelINS0_14default_configENS1_25partition_config_selectorILNS1_17partition_subalgoE1EiNS0_10empty_typeEbEEZZNS1_14partition_implILS5_1ELb0ES3_jN6thrust23THRUST_200600_302600_NS6detail15normal_iteratorINSA_10device_ptrIiEEEEPS6_NSA_18transform_iteratorI7is_evenIiESF_NSA_11use_defaultESK_EENS0_5tupleIJSF_SF_EEENSM_IJSG_SG_EEES6_PlJS6_EEE10hipError_tPvRmT3_T4_T5_T6_T7_T9_mT8_P12ihipStream_tbDpT10_ENKUlT_T0_E_clISt17integral_constantIbLb1EES19_EEDaS14_S15_EUlS14_E_NS1_11comp_targetILNS1_3genE8ELNS1_11target_archE1030ELNS1_3gpuE2ELNS1_3repE0EEENS1_30default_config_static_selectorELNS0_4arch9wavefront6targetE1EEEvT1_
                                        ; -- End function
	.section	.AMDGPU.csdata,"",@progbits
; Kernel info:
; codeLenInByte = 0
; NumSgprs: 4
; NumVgprs: 0
; NumAgprs: 0
; TotalNumVgprs: 0
; ScratchSize: 0
; MemoryBound: 0
; FloatMode: 240
; IeeeMode: 1
; LDSByteSize: 0 bytes/workgroup (compile time only)
; SGPRBlocks: 0
; VGPRBlocks: 0
; NumSGPRsForWavesPerEU: 4
; NumVGPRsForWavesPerEU: 1
; AccumOffset: 4
; Occupancy: 8
; WaveLimiterHint : 0
; COMPUTE_PGM_RSRC2:SCRATCH_EN: 0
; COMPUTE_PGM_RSRC2:USER_SGPR: 6
; COMPUTE_PGM_RSRC2:TRAP_HANDLER: 0
; COMPUTE_PGM_RSRC2:TGID_X_EN: 1
; COMPUTE_PGM_RSRC2:TGID_Y_EN: 0
; COMPUTE_PGM_RSRC2:TGID_Z_EN: 0
; COMPUTE_PGM_RSRC2:TIDIG_COMP_CNT: 0
; COMPUTE_PGM_RSRC3_GFX90A:ACCUM_OFFSET: 0
; COMPUTE_PGM_RSRC3_GFX90A:TG_SPLIT: 0
	.section	.text._ZN7rocprim17ROCPRIM_400000_NS6detail17trampoline_kernelINS0_14default_configENS1_25partition_config_selectorILNS1_17partition_subalgoE1EiNS0_10empty_typeEbEEZZNS1_14partition_implILS5_1ELb0ES3_jN6thrust23THRUST_200600_302600_NS6detail15normal_iteratorINSA_10device_ptrIiEEEEPS6_NSA_18transform_iteratorI7is_evenIiESF_NSA_11use_defaultESK_EENS0_5tupleIJSF_SF_EEENSM_IJSG_SG_EEES6_PlJS6_EEE10hipError_tPvRmT3_T4_T5_T6_T7_T9_mT8_P12ihipStream_tbDpT10_ENKUlT_T0_E_clISt17integral_constantIbLb1EES18_IbLb0EEEEDaS14_S15_EUlS14_E_NS1_11comp_targetILNS1_3genE0ELNS1_11target_archE4294967295ELNS1_3gpuE0ELNS1_3repE0EEENS1_30default_config_static_selectorELNS0_4arch9wavefront6targetE1EEEvT1_,"axG",@progbits,_ZN7rocprim17ROCPRIM_400000_NS6detail17trampoline_kernelINS0_14default_configENS1_25partition_config_selectorILNS1_17partition_subalgoE1EiNS0_10empty_typeEbEEZZNS1_14partition_implILS5_1ELb0ES3_jN6thrust23THRUST_200600_302600_NS6detail15normal_iteratorINSA_10device_ptrIiEEEEPS6_NSA_18transform_iteratorI7is_evenIiESF_NSA_11use_defaultESK_EENS0_5tupleIJSF_SF_EEENSM_IJSG_SG_EEES6_PlJS6_EEE10hipError_tPvRmT3_T4_T5_T6_T7_T9_mT8_P12ihipStream_tbDpT10_ENKUlT_T0_E_clISt17integral_constantIbLb1EES18_IbLb0EEEEDaS14_S15_EUlS14_E_NS1_11comp_targetILNS1_3genE0ELNS1_11target_archE4294967295ELNS1_3gpuE0ELNS1_3repE0EEENS1_30default_config_static_selectorELNS0_4arch9wavefront6targetE1EEEvT1_,comdat
	.protected	_ZN7rocprim17ROCPRIM_400000_NS6detail17trampoline_kernelINS0_14default_configENS1_25partition_config_selectorILNS1_17partition_subalgoE1EiNS0_10empty_typeEbEEZZNS1_14partition_implILS5_1ELb0ES3_jN6thrust23THRUST_200600_302600_NS6detail15normal_iteratorINSA_10device_ptrIiEEEEPS6_NSA_18transform_iteratorI7is_evenIiESF_NSA_11use_defaultESK_EENS0_5tupleIJSF_SF_EEENSM_IJSG_SG_EEES6_PlJS6_EEE10hipError_tPvRmT3_T4_T5_T6_T7_T9_mT8_P12ihipStream_tbDpT10_ENKUlT_T0_E_clISt17integral_constantIbLb1EES18_IbLb0EEEEDaS14_S15_EUlS14_E_NS1_11comp_targetILNS1_3genE0ELNS1_11target_archE4294967295ELNS1_3gpuE0ELNS1_3repE0EEENS1_30default_config_static_selectorELNS0_4arch9wavefront6targetE1EEEvT1_ ; -- Begin function _ZN7rocprim17ROCPRIM_400000_NS6detail17trampoline_kernelINS0_14default_configENS1_25partition_config_selectorILNS1_17partition_subalgoE1EiNS0_10empty_typeEbEEZZNS1_14partition_implILS5_1ELb0ES3_jN6thrust23THRUST_200600_302600_NS6detail15normal_iteratorINSA_10device_ptrIiEEEEPS6_NSA_18transform_iteratorI7is_evenIiESF_NSA_11use_defaultESK_EENS0_5tupleIJSF_SF_EEENSM_IJSG_SG_EEES6_PlJS6_EEE10hipError_tPvRmT3_T4_T5_T6_T7_T9_mT8_P12ihipStream_tbDpT10_ENKUlT_T0_E_clISt17integral_constantIbLb1EES18_IbLb0EEEEDaS14_S15_EUlS14_E_NS1_11comp_targetILNS1_3genE0ELNS1_11target_archE4294967295ELNS1_3gpuE0ELNS1_3repE0EEENS1_30default_config_static_selectorELNS0_4arch9wavefront6targetE1EEEvT1_
	.globl	_ZN7rocprim17ROCPRIM_400000_NS6detail17trampoline_kernelINS0_14default_configENS1_25partition_config_selectorILNS1_17partition_subalgoE1EiNS0_10empty_typeEbEEZZNS1_14partition_implILS5_1ELb0ES3_jN6thrust23THRUST_200600_302600_NS6detail15normal_iteratorINSA_10device_ptrIiEEEEPS6_NSA_18transform_iteratorI7is_evenIiESF_NSA_11use_defaultESK_EENS0_5tupleIJSF_SF_EEENSM_IJSG_SG_EEES6_PlJS6_EEE10hipError_tPvRmT3_T4_T5_T6_T7_T9_mT8_P12ihipStream_tbDpT10_ENKUlT_T0_E_clISt17integral_constantIbLb1EES18_IbLb0EEEEDaS14_S15_EUlS14_E_NS1_11comp_targetILNS1_3genE0ELNS1_11target_archE4294967295ELNS1_3gpuE0ELNS1_3repE0EEENS1_30default_config_static_selectorELNS0_4arch9wavefront6targetE1EEEvT1_
	.p2align	8
	.type	_ZN7rocprim17ROCPRIM_400000_NS6detail17trampoline_kernelINS0_14default_configENS1_25partition_config_selectorILNS1_17partition_subalgoE1EiNS0_10empty_typeEbEEZZNS1_14partition_implILS5_1ELb0ES3_jN6thrust23THRUST_200600_302600_NS6detail15normal_iteratorINSA_10device_ptrIiEEEEPS6_NSA_18transform_iteratorI7is_evenIiESF_NSA_11use_defaultESK_EENS0_5tupleIJSF_SF_EEENSM_IJSG_SG_EEES6_PlJS6_EEE10hipError_tPvRmT3_T4_T5_T6_T7_T9_mT8_P12ihipStream_tbDpT10_ENKUlT_T0_E_clISt17integral_constantIbLb1EES18_IbLb0EEEEDaS14_S15_EUlS14_E_NS1_11comp_targetILNS1_3genE0ELNS1_11target_archE4294967295ELNS1_3gpuE0ELNS1_3repE0EEENS1_30default_config_static_selectorELNS0_4arch9wavefront6targetE1EEEvT1_,@function
_ZN7rocprim17ROCPRIM_400000_NS6detail17trampoline_kernelINS0_14default_configENS1_25partition_config_selectorILNS1_17partition_subalgoE1EiNS0_10empty_typeEbEEZZNS1_14partition_implILS5_1ELb0ES3_jN6thrust23THRUST_200600_302600_NS6detail15normal_iteratorINSA_10device_ptrIiEEEEPS6_NSA_18transform_iteratorI7is_evenIiESF_NSA_11use_defaultESK_EENS0_5tupleIJSF_SF_EEENSM_IJSG_SG_EEES6_PlJS6_EEE10hipError_tPvRmT3_T4_T5_T6_T7_T9_mT8_P12ihipStream_tbDpT10_ENKUlT_T0_E_clISt17integral_constantIbLb1EES18_IbLb0EEEEDaS14_S15_EUlS14_E_NS1_11comp_targetILNS1_3genE0ELNS1_11target_archE4294967295ELNS1_3gpuE0ELNS1_3repE0EEENS1_30default_config_static_selectorELNS0_4arch9wavefront6targetE1EEEvT1_: ; @_ZN7rocprim17ROCPRIM_400000_NS6detail17trampoline_kernelINS0_14default_configENS1_25partition_config_selectorILNS1_17partition_subalgoE1EiNS0_10empty_typeEbEEZZNS1_14partition_implILS5_1ELb0ES3_jN6thrust23THRUST_200600_302600_NS6detail15normal_iteratorINSA_10device_ptrIiEEEEPS6_NSA_18transform_iteratorI7is_evenIiESF_NSA_11use_defaultESK_EENS0_5tupleIJSF_SF_EEENSM_IJSG_SG_EEES6_PlJS6_EEE10hipError_tPvRmT3_T4_T5_T6_T7_T9_mT8_P12ihipStream_tbDpT10_ENKUlT_T0_E_clISt17integral_constantIbLb1EES18_IbLb0EEEEDaS14_S15_EUlS14_E_NS1_11comp_targetILNS1_3genE0ELNS1_11target_archE4294967295ELNS1_3gpuE0ELNS1_3repE0EEENS1_30default_config_static_selectorELNS0_4arch9wavefront6targetE1EEEvT1_
; %bb.0:
	.section	.rodata,"a",@progbits
	.p2align	6, 0x0
	.amdhsa_kernel _ZN7rocprim17ROCPRIM_400000_NS6detail17trampoline_kernelINS0_14default_configENS1_25partition_config_selectorILNS1_17partition_subalgoE1EiNS0_10empty_typeEbEEZZNS1_14partition_implILS5_1ELb0ES3_jN6thrust23THRUST_200600_302600_NS6detail15normal_iteratorINSA_10device_ptrIiEEEEPS6_NSA_18transform_iteratorI7is_evenIiESF_NSA_11use_defaultESK_EENS0_5tupleIJSF_SF_EEENSM_IJSG_SG_EEES6_PlJS6_EEE10hipError_tPvRmT3_T4_T5_T6_T7_T9_mT8_P12ihipStream_tbDpT10_ENKUlT_T0_E_clISt17integral_constantIbLb1EES18_IbLb0EEEEDaS14_S15_EUlS14_E_NS1_11comp_targetILNS1_3genE0ELNS1_11target_archE4294967295ELNS1_3gpuE0ELNS1_3repE0EEENS1_30default_config_static_selectorELNS0_4arch9wavefront6targetE1EEEvT1_
		.amdhsa_group_segment_fixed_size 0
		.amdhsa_private_segment_fixed_size 0
		.amdhsa_kernarg_size 128
		.amdhsa_user_sgpr_count 6
		.amdhsa_user_sgpr_private_segment_buffer 1
		.amdhsa_user_sgpr_dispatch_ptr 0
		.amdhsa_user_sgpr_queue_ptr 0
		.amdhsa_user_sgpr_kernarg_segment_ptr 1
		.amdhsa_user_sgpr_dispatch_id 0
		.amdhsa_user_sgpr_flat_scratch_init 0
		.amdhsa_user_sgpr_kernarg_preload_length 0
		.amdhsa_user_sgpr_kernarg_preload_offset 0
		.amdhsa_user_sgpr_private_segment_size 0
		.amdhsa_uses_dynamic_stack 0
		.amdhsa_system_sgpr_private_segment_wavefront_offset 0
		.amdhsa_system_sgpr_workgroup_id_x 1
		.amdhsa_system_sgpr_workgroup_id_y 0
		.amdhsa_system_sgpr_workgroup_id_z 0
		.amdhsa_system_sgpr_workgroup_info 0
		.amdhsa_system_vgpr_workitem_id 0
		.amdhsa_next_free_vgpr 1
		.amdhsa_next_free_sgpr 0
		.amdhsa_accum_offset 4
		.amdhsa_reserve_vcc 0
		.amdhsa_reserve_flat_scratch 0
		.amdhsa_float_round_mode_32 0
		.amdhsa_float_round_mode_16_64 0
		.amdhsa_float_denorm_mode_32 3
		.amdhsa_float_denorm_mode_16_64 3
		.amdhsa_dx10_clamp 1
		.amdhsa_ieee_mode 1
		.amdhsa_fp16_overflow 0
		.amdhsa_tg_split 0
		.amdhsa_exception_fp_ieee_invalid_op 0
		.amdhsa_exception_fp_denorm_src 0
		.amdhsa_exception_fp_ieee_div_zero 0
		.amdhsa_exception_fp_ieee_overflow 0
		.amdhsa_exception_fp_ieee_underflow 0
		.amdhsa_exception_fp_ieee_inexact 0
		.amdhsa_exception_int_div_zero 0
	.end_amdhsa_kernel
	.section	.text._ZN7rocprim17ROCPRIM_400000_NS6detail17trampoline_kernelINS0_14default_configENS1_25partition_config_selectorILNS1_17partition_subalgoE1EiNS0_10empty_typeEbEEZZNS1_14partition_implILS5_1ELb0ES3_jN6thrust23THRUST_200600_302600_NS6detail15normal_iteratorINSA_10device_ptrIiEEEEPS6_NSA_18transform_iteratorI7is_evenIiESF_NSA_11use_defaultESK_EENS0_5tupleIJSF_SF_EEENSM_IJSG_SG_EEES6_PlJS6_EEE10hipError_tPvRmT3_T4_T5_T6_T7_T9_mT8_P12ihipStream_tbDpT10_ENKUlT_T0_E_clISt17integral_constantIbLb1EES18_IbLb0EEEEDaS14_S15_EUlS14_E_NS1_11comp_targetILNS1_3genE0ELNS1_11target_archE4294967295ELNS1_3gpuE0ELNS1_3repE0EEENS1_30default_config_static_selectorELNS0_4arch9wavefront6targetE1EEEvT1_,"axG",@progbits,_ZN7rocprim17ROCPRIM_400000_NS6detail17trampoline_kernelINS0_14default_configENS1_25partition_config_selectorILNS1_17partition_subalgoE1EiNS0_10empty_typeEbEEZZNS1_14partition_implILS5_1ELb0ES3_jN6thrust23THRUST_200600_302600_NS6detail15normal_iteratorINSA_10device_ptrIiEEEEPS6_NSA_18transform_iteratorI7is_evenIiESF_NSA_11use_defaultESK_EENS0_5tupleIJSF_SF_EEENSM_IJSG_SG_EEES6_PlJS6_EEE10hipError_tPvRmT3_T4_T5_T6_T7_T9_mT8_P12ihipStream_tbDpT10_ENKUlT_T0_E_clISt17integral_constantIbLb1EES18_IbLb0EEEEDaS14_S15_EUlS14_E_NS1_11comp_targetILNS1_3genE0ELNS1_11target_archE4294967295ELNS1_3gpuE0ELNS1_3repE0EEENS1_30default_config_static_selectorELNS0_4arch9wavefront6targetE1EEEvT1_,comdat
.Lfunc_end433:
	.size	_ZN7rocprim17ROCPRIM_400000_NS6detail17trampoline_kernelINS0_14default_configENS1_25partition_config_selectorILNS1_17partition_subalgoE1EiNS0_10empty_typeEbEEZZNS1_14partition_implILS5_1ELb0ES3_jN6thrust23THRUST_200600_302600_NS6detail15normal_iteratorINSA_10device_ptrIiEEEEPS6_NSA_18transform_iteratorI7is_evenIiESF_NSA_11use_defaultESK_EENS0_5tupleIJSF_SF_EEENSM_IJSG_SG_EEES6_PlJS6_EEE10hipError_tPvRmT3_T4_T5_T6_T7_T9_mT8_P12ihipStream_tbDpT10_ENKUlT_T0_E_clISt17integral_constantIbLb1EES18_IbLb0EEEEDaS14_S15_EUlS14_E_NS1_11comp_targetILNS1_3genE0ELNS1_11target_archE4294967295ELNS1_3gpuE0ELNS1_3repE0EEENS1_30default_config_static_selectorELNS0_4arch9wavefront6targetE1EEEvT1_, .Lfunc_end433-_ZN7rocprim17ROCPRIM_400000_NS6detail17trampoline_kernelINS0_14default_configENS1_25partition_config_selectorILNS1_17partition_subalgoE1EiNS0_10empty_typeEbEEZZNS1_14partition_implILS5_1ELb0ES3_jN6thrust23THRUST_200600_302600_NS6detail15normal_iteratorINSA_10device_ptrIiEEEEPS6_NSA_18transform_iteratorI7is_evenIiESF_NSA_11use_defaultESK_EENS0_5tupleIJSF_SF_EEENSM_IJSG_SG_EEES6_PlJS6_EEE10hipError_tPvRmT3_T4_T5_T6_T7_T9_mT8_P12ihipStream_tbDpT10_ENKUlT_T0_E_clISt17integral_constantIbLb1EES18_IbLb0EEEEDaS14_S15_EUlS14_E_NS1_11comp_targetILNS1_3genE0ELNS1_11target_archE4294967295ELNS1_3gpuE0ELNS1_3repE0EEENS1_30default_config_static_selectorELNS0_4arch9wavefront6targetE1EEEvT1_
                                        ; -- End function
	.section	.AMDGPU.csdata,"",@progbits
; Kernel info:
; codeLenInByte = 0
; NumSgprs: 4
; NumVgprs: 0
; NumAgprs: 0
; TotalNumVgprs: 0
; ScratchSize: 0
; MemoryBound: 0
; FloatMode: 240
; IeeeMode: 1
; LDSByteSize: 0 bytes/workgroup (compile time only)
; SGPRBlocks: 0
; VGPRBlocks: 0
; NumSGPRsForWavesPerEU: 4
; NumVGPRsForWavesPerEU: 1
; AccumOffset: 4
; Occupancy: 8
; WaveLimiterHint : 0
; COMPUTE_PGM_RSRC2:SCRATCH_EN: 0
; COMPUTE_PGM_RSRC2:USER_SGPR: 6
; COMPUTE_PGM_RSRC2:TRAP_HANDLER: 0
; COMPUTE_PGM_RSRC2:TGID_X_EN: 1
; COMPUTE_PGM_RSRC2:TGID_Y_EN: 0
; COMPUTE_PGM_RSRC2:TGID_Z_EN: 0
; COMPUTE_PGM_RSRC2:TIDIG_COMP_CNT: 0
; COMPUTE_PGM_RSRC3_GFX90A:ACCUM_OFFSET: 0
; COMPUTE_PGM_RSRC3_GFX90A:TG_SPLIT: 0
	.section	.text._ZN7rocprim17ROCPRIM_400000_NS6detail17trampoline_kernelINS0_14default_configENS1_25partition_config_selectorILNS1_17partition_subalgoE1EiNS0_10empty_typeEbEEZZNS1_14partition_implILS5_1ELb0ES3_jN6thrust23THRUST_200600_302600_NS6detail15normal_iteratorINSA_10device_ptrIiEEEEPS6_NSA_18transform_iteratorI7is_evenIiESF_NSA_11use_defaultESK_EENS0_5tupleIJSF_SF_EEENSM_IJSG_SG_EEES6_PlJS6_EEE10hipError_tPvRmT3_T4_T5_T6_T7_T9_mT8_P12ihipStream_tbDpT10_ENKUlT_T0_E_clISt17integral_constantIbLb1EES18_IbLb0EEEEDaS14_S15_EUlS14_E_NS1_11comp_targetILNS1_3genE5ELNS1_11target_archE942ELNS1_3gpuE9ELNS1_3repE0EEENS1_30default_config_static_selectorELNS0_4arch9wavefront6targetE1EEEvT1_,"axG",@progbits,_ZN7rocprim17ROCPRIM_400000_NS6detail17trampoline_kernelINS0_14default_configENS1_25partition_config_selectorILNS1_17partition_subalgoE1EiNS0_10empty_typeEbEEZZNS1_14partition_implILS5_1ELb0ES3_jN6thrust23THRUST_200600_302600_NS6detail15normal_iteratorINSA_10device_ptrIiEEEEPS6_NSA_18transform_iteratorI7is_evenIiESF_NSA_11use_defaultESK_EENS0_5tupleIJSF_SF_EEENSM_IJSG_SG_EEES6_PlJS6_EEE10hipError_tPvRmT3_T4_T5_T6_T7_T9_mT8_P12ihipStream_tbDpT10_ENKUlT_T0_E_clISt17integral_constantIbLb1EES18_IbLb0EEEEDaS14_S15_EUlS14_E_NS1_11comp_targetILNS1_3genE5ELNS1_11target_archE942ELNS1_3gpuE9ELNS1_3repE0EEENS1_30default_config_static_selectorELNS0_4arch9wavefront6targetE1EEEvT1_,comdat
	.protected	_ZN7rocprim17ROCPRIM_400000_NS6detail17trampoline_kernelINS0_14default_configENS1_25partition_config_selectorILNS1_17partition_subalgoE1EiNS0_10empty_typeEbEEZZNS1_14partition_implILS5_1ELb0ES3_jN6thrust23THRUST_200600_302600_NS6detail15normal_iteratorINSA_10device_ptrIiEEEEPS6_NSA_18transform_iteratorI7is_evenIiESF_NSA_11use_defaultESK_EENS0_5tupleIJSF_SF_EEENSM_IJSG_SG_EEES6_PlJS6_EEE10hipError_tPvRmT3_T4_T5_T6_T7_T9_mT8_P12ihipStream_tbDpT10_ENKUlT_T0_E_clISt17integral_constantIbLb1EES18_IbLb0EEEEDaS14_S15_EUlS14_E_NS1_11comp_targetILNS1_3genE5ELNS1_11target_archE942ELNS1_3gpuE9ELNS1_3repE0EEENS1_30default_config_static_selectorELNS0_4arch9wavefront6targetE1EEEvT1_ ; -- Begin function _ZN7rocprim17ROCPRIM_400000_NS6detail17trampoline_kernelINS0_14default_configENS1_25partition_config_selectorILNS1_17partition_subalgoE1EiNS0_10empty_typeEbEEZZNS1_14partition_implILS5_1ELb0ES3_jN6thrust23THRUST_200600_302600_NS6detail15normal_iteratorINSA_10device_ptrIiEEEEPS6_NSA_18transform_iteratorI7is_evenIiESF_NSA_11use_defaultESK_EENS0_5tupleIJSF_SF_EEENSM_IJSG_SG_EEES6_PlJS6_EEE10hipError_tPvRmT3_T4_T5_T6_T7_T9_mT8_P12ihipStream_tbDpT10_ENKUlT_T0_E_clISt17integral_constantIbLb1EES18_IbLb0EEEEDaS14_S15_EUlS14_E_NS1_11comp_targetILNS1_3genE5ELNS1_11target_archE942ELNS1_3gpuE9ELNS1_3repE0EEENS1_30default_config_static_selectorELNS0_4arch9wavefront6targetE1EEEvT1_
	.globl	_ZN7rocprim17ROCPRIM_400000_NS6detail17trampoline_kernelINS0_14default_configENS1_25partition_config_selectorILNS1_17partition_subalgoE1EiNS0_10empty_typeEbEEZZNS1_14partition_implILS5_1ELb0ES3_jN6thrust23THRUST_200600_302600_NS6detail15normal_iteratorINSA_10device_ptrIiEEEEPS6_NSA_18transform_iteratorI7is_evenIiESF_NSA_11use_defaultESK_EENS0_5tupleIJSF_SF_EEENSM_IJSG_SG_EEES6_PlJS6_EEE10hipError_tPvRmT3_T4_T5_T6_T7_T9_mT8_P12ihipStream_tbDpT10_ENKUlT_T0_E_clISt17integral_constantIbLb1EES18_IbLb0EEEEDaS14_S15_EUlS14_E_NS1_11comp_targetILNS1_3genE5ELNS1_11target_archE942ELNS1_3gpuE9ELNS1_3repE0EEENS1_30default_config_static_selectorELNS0_4arch9wavefront6targetE1EEEvT1_
	.p2align	8
	.type	_ZN7rocprim17ROCPRIM_400000_NS6detail17trampoline_kernelINS0_14default_configENS1_25partition_config_selectorILNS1_17partition_subalgoE1EiNS0_10empty_typeEbEEZZNS1_14partition_implILS5_1ELb0ES3_jN6thrust23THRUST_200600_302600_NS6detail15normal_iteratorINSA_10device_ptrIiEEEEPS6_NSA_18transform_iteratorI7is_evenIiESF_NSA_11use_defaultESK_EENS0_5tupleIJSF_SF_EEENSM_IJSG_SG_EEES6_PlJS6_EEE10hipError_tPvRmT3_T4_T5_T6_T7_T9_mT8_P12ihipStream_tbDpT10_ENKUlT_T0_E_clISt17integral_constantIbLb1EES18_IbLb0EEEEDaS14_S15_EUlS14_E_NS1_11comp_targetILNS1_3genE5ELNS1_11target_archE942ELNS1_3gpuE9ELNS1_3repE0EEENS1_30default_config_static_selectorELNS0_4arch9wavefront6targetE1EEEvT1_,@function
_ZN7rocprim17ROCPRIM_400000_NS6detail17trampoline_kernelINS0_14default_configENS1_25partition_config_selectorILNS1_17partition_subalgoE1EiNS0_10empty_typeEbEEZZNS1_14partition_implILS5_1ELb0ES3_jN6thrust23THRUST_200600_302600_NS6detail15normal_iteratorINSA_10device_ptrIiEEEEPS6_NSA_18transform_iteratorI7is_evenIiESF_NSA_11use_defaultESK_EENS0_5tupleIJSF_SF_EEENSM_IJSG_SG_EEES6_PlJS6_EEE10hipError_tPvRmT3_T4_T5_T6_T7_T9_mT8_P12ihipStream_tbDpT10_ENKUlT_T0_E_clISt17integral_constantIbLb1EES18_IbLb0EEEEDaS14_S15_EUlS14_E_NS1_11comp_targetILNS1_3genE5ELNS1_11target_archE942ELNS1_3gpuE9ELNS1_3repE0EEENS1_30default_config_static_selectorELNS0_4arch9wavefront6targetE1EEEvT1_: ; @_ZN7rocprim17ROCPRIM_400000_NS6detail17trampoline_kernelINS0_14default_configENS1_25partition_config_selectorILNS1_17partition_subalgoE1EiNS0_10empty_typeEbEEZZNS1_14partition_implILS5_1ELb0ES3_jN6thrust23THRUST_200600_302600_NS6detail15normal_iteratorINSA_10device_ptrIiEEEEPS6_NSA_18transform_iteratorI7is_evenIiESF_NSA_11use_defaultESK_EENS0_5tupleIJSF_SF_EEENSM_IJSG_SG_EEES6_PlJS6_EEE10hipError_tPvRmT3_T4_T5_T6_T7_T9_mT8_P12ihipStream_tbDpT10_ENKUlT_T0_E_clISt17integral_constantIbLb1EES18_IbLb0EEEEDaS14_S15_EUlS14_E_NS1_11comp_targetILNS1_3genE5ELNS1_11target_archE942ELNS1_3gpuE9ELNS1_3repE0EEENS1_30default_config_static_selectorELNS0_4arch9wavefront6targetE1EEEvT1_
; %bb.0:
	.section	.rodata,"a",@progbits
	.p2align	6, 0x0
	.amdhsa_kernel _ZN7rocprim17ROCPRIM_400000_NS6detail17trampoline_kernelINS0_14default_configENS1_25partition_config_selectorILNS1_17partition_subalgoE1EiNS0_10empty_typeEbEEZZNS1_14partition_implILS5_1ELb0ES3_jN6thrust23THRUST_200600_302600_NS6detail15normal_iteratorINSA_10device_ptrIiEEEEPS6_NSA_18transform_iteratorI7is_evenIiESF_NSA_11use_defaultESK_EENS0_5tupleIJSF_SF_EEENSM_IJSG_SG_EEES6_PlJS6_EEE10hipError_tPvRmT3_T4_T5_T6_T7_T9_mT8_P12ihipStream_tbDpT10_ENKUlT_T0_E_clISt17integral_constantIbLb1EES18_IbLb0EEEEDaS14_S15_EUlS14_E_NS1_11comp_targetILNS1_3genE5ELNS1_11target_archE942ELNS1_3gpuE9ELNS1_3repE0EEENS1_30default_config_static_selectorELNS0_4arch9wavefront6targetE1EEEvT1_
		.amdhsa_group_segment_fixed_size 0
		.amdhsa_private_segment_fixed_size 0
		.amdhsa_kernarg_size 128
		.amdhsa_user_sgpr_count 6
		.amdhsa_user_sgpr_private_segment_buffer 1
		.amdhsa_user_sgpr_dispatch_ptr 0
		.amdhsa_user_sgpr_queue_ptr 0
		.amdhsa_user_sgpr_kernarg_segment_ptr 1
		.amdhsa_user_sgpr_dispatch_id 0
		.amdhsa_user_sgpr_flat_scratch_init 0
		.amdhsa_user_sgpr_kernarg_preload_length 0
		.amdhsa_user_sgpr_kernarg_preload_offset 0
		.amdhsa_user_sgpr_private_segment_size 0
		.amdhsa_uses_dynamic_stack 0
		.amdhsa_system_sgpr_private_segment_wavefront_offset 0
		.amdhsa_system_sgpr_workgroup_id_x 1
		.amdhsa_system_sgpr_workgroup_id_y 0
		.amdhsa_system_sgpr_workgroup_id_z 0
		.amdhsa_system_sgpr_workgroup_info 0
		.amdhsa_system_vgpr_workitem_id 0
		.amdhsa_next_free_vgpr 1
		.amdhsa_next_free_sgpr 0
		.amdhsa_accum_offset 4
		.amdhsa_reserve_vcc 0
		.amdhsa_reserve_flat_scratch 0
		.amdhsa_float_round_mode_32 0
		.amdhsa_float_round_mode_16_64 0
		.amdhsa_float_denorm_mode_32 3
		.amdhsa_float_denorm_mode_16_64 3
		.amdhsa_dx10_clamp 1
		.amdhsa_ieee_mode 1
		.amdhsa_fp16_overflow 0
		.amdhsa_tg_split 0
		.amdhsa_exception_fp_ieee_invalid_op 0
		.amdhsa_exception_fp_denorm_src 0
		.amdhsa_exception_fp_ieee_div_zero 0
		.amdhsa_exception_fp_ieee_overflow 0
		.amdhsa_exception_fp_ieee_underflow 0
		.amdhsa_exception_fp_ieee_inexact 0
		.amdhsa_exception_int_div_zero 0
	.end_amdhsa_kernel
	.section	.text._ZN7rocprim17ROCPRIM_400000_NS6detail17trampoline_kernelINS0_14default_configENS1_25partition_config_selectorILNS1_17partition_subalgoE1EiNS0_10empty_typeEbEEZZNS1_14partition_implILS5_1ELb0ES3_jN6thrust23THRUST_200600_302600_NS6detail15normal_iteratorINSA_10device_ptrIiEEEEPS6_NSA_18transform_iteratorI7is_evenIiESF_NSA_11use_defaultESK_EENS0_5tupleIJSF_SF_EEENSM_IJSG_SG_EEES6_PlJS6_EEE10hipError_tPvRmT3_T4_T5_T6_T7_T9_mT8_P12ihipStream_tbDpT10_ENKUlT_T0_E_clISt17integral_constantIbLb1EES18_IbLb0EEEEDaS14_S15_EUlS14_E_NS1_11comp_targetILNS1_3genE5ELNS1_11target_archE942ELNS1_3gpuE9ELNS1_3repE0EEENS1_30default_config_static_selectorELNS0_4arch9wavefront6targetE1EEEvT1_,"axG",@progbits,_ZN7rocprim17ROCPRIM_400000_NS6detail17trampoline_kernelINS0_14default_configENS1_25partition_config_selectorILNS1_17partition_subalgoE1EiNS0_10empty_typeEbEEZZNS1_14partition_implILS5_1ELb0ES3_jN6thrust23THRUST_200600_302600_NS6detail15normal_iteratorINSA_10device_ptrIiEEEEPS6_NSA_18transform_iteratorI7is_evenIiESF_NSA_11use_defaultESK_EENS0_5tupleIJSF_SF_EEENSM_IJSG_SG_EEES6_PlJS6_EEE10hipError_tPvRmT3_T4_T5_T6_T7_T9_mT8_P12ihipStream_tbDpT10_ENKUlT_T0_E_clISt17integral_constantIbLb1EES18_IbLb0EEEEDaS14_S15_EUlS14_E_NS1_11comp_targetILNS1_3genE5ELNS1_11target_archE942ELNS1_3gpuE9ELNS1_3repE0EEENS1_30default_config_static_selectorELNS0_4arch9wavefront6targetE1EEEvT1_,comdat
.Lfunc_end434:
	.size	_ZN7rocprim17ROCPRIM_400000_NS6detail17trampoline_kernelINS0_14default_configENS1_25partition_config_selectorILNS1_17partition_subalgoE1EiNS0_10empty_typeEbEEZZNS1_14partition_implILS5_1ELb0ES3_jN6thrust23THRUST_200600_302600_NS6detail15normal_iteratorINSA_10device_ptrIiEEEEPS6_NSA_18transform_iteratorI7is_evenIiESF_NSA_11use_defaultESK_EENS0_5tupleIJSF_SF_EEENSM_IJSG_SG_EEES6_PlJS6_EEE10hipError_tPvRmT3_T4_T5_T6_T7_T9_mT8_P12ihipStream_tbDpT10_ENKUlT_T0_E_clISt17integral_constantIbLb1EES18_IbLb0EEEEDaS14_S15_EUlS14_E_NS1_11comp_targetILNS1_3genE5ELNS1_11target_archE942ELNS1_3gpuE9ELNS1_3repE0EEENS1_30default_config_static_selectorELNS0_4arch9wavefront6targetE1EEEvT1_, .Lfunc_end434-_ZN7rocprim17ROCPRIM_400000_NS6detail17trampoline_kernelINS0_14default_configENS1_25partition_config_selectorILNS1_17partition_subalgoE1EiNS0_10empty_typeEbEEZZNS1_14partition_implILS5_1ELb0ES3_jN6thrust23THRUST_200600_302600_NS6detail15normal_iteratorINSA_10device_ptrIiEEEEPS6_NSA_18transform_iteratorI7is_evenIiESF_NSA_11use_defaultESK_EENS0_5tupleIJSF_SF_EEENSM_IJSG_SG_EEES6_PlJS6_EEE10hipError_tPvRmT3_T4_T5_T6_T7_T9_mT8_P12ihipStream_tbDpT10_ENKUlT_T0_E_clISt17integral_constantIbLb1EES18_IbLb0EEEEDaS14_S15_EUlS14_E_NS1_11comp_targetILNS1_3genE5ELNS1_11target_archE942ELNS1_3gpuE9ELNS1_3repE0EEENS1_30default_config_static_selectorELNS0_4arch9wavefront6targetE1EEEvT1_
                                        ; -- End function
	.section	.AMDGPU.csdata,"",@progbits
; Kernel info:
; codeLenInByte = 0
; NumSgprs: 4
; NumVgprs: 0
; NumAgprs: 0
; TotalNumVgprs: 0
; ScratchSize: 0
; MemoryBound: 0
; FloatMode: 240
; IeeeMode: 1
; LDSByteSize: 0 bytes/workgroup (compile time only)
; SGPRBlocks: 0
; VGPRBlocks: 0
; NumSGPRsForWavesPerEU: 4
; NumVGPRsForWavesPerEU: 1
; AccumOffset: 4
; Occupancy: 8
; WaveLimiterHint : 0
; COMPUTE_PGM_RSRC2:SCRATCH_EN: 0
; COMPUTE_PGM_RSRC2:USER_SGPR: 6
; COMPUTE_PGM_RSRC2:TRAP_HANDLER: 0
; COMPUTE_PGM_RSRC2:TGID_X_EN: 1
; COMPUTE_PGM_RSRC2:TGID_Y_EN: 0
; COMPUTE_PGM_RSRC2:TGID_Z_EN: 0
; COMPUTE_PGM_RSRC2:TIDIG_COMP_CNT: 0
; COMPUTE_PGM_RSRC3_GFX90A:ACCUM_OFFSET: 0
; COMPUTE_PGM_RSRC3_GFX90A:TG_SPLIT: 0
	.section	.text._ZN7rocprim17ROCPRIM_400000_NS6detail17trampoline_kernelINS0_14default_configENS1_25partition_config_selectorILNS1_17partition_subalgoE1EiNS0_10empty_typeEbEEZZNS1_14partition_implILS5_1ELb0ES3_jN6thrust23THRUST_200600_302600_NS6detail15normal_iteratorINSA_10device_ptrIiEEEEPS6_NSA_18transform_iteratorI7is_evenIiESF_NSA_11use_defaultESK_EENS0_5tupleIJSF_SF_EEENSM_IJSG_SG_EEES6_PlJS6_EEE10hipError_tPvRmT3_T4_T5_T6_T7_T9_mT8_P12ihipStream_tbDpT10_ENKUlT_T0_E_clISt17integral_constantIbLb1EES18_IbLb0EEEEDaS14_S15_EUlS14_E_NS1_11comp_targetILNS1_3genE4ELNS1_11target_archE910ELNS1_3gpuE8ELNS1_3repE0EEENS1_30default_config_static_selectorELNS0_4arch9wavefront6targetE1EEEvT1_,"axG",@progbits,_ZN7rocprim17ROCPRIM_400000_NS6detail17trampoline_kernelINS0_14default_configENS1_25partition_config_selectorILNS1_17partition_subalgoE1EiNS0_10empty_typeEbEEZZNS1_14partition_implILS5_1ELb0ES3_jN6thrust23THRUST_200600_302600_NS6detail15normal_iteratorINSA_10device_ptrIiEEEEPS6_NSA_18transform_iteratorI7is_evenIiESF_NSA_11use_defaultESK_EENS0_5tupleIJSF_SF_EEENSM_IJSG_SG_EEES6_PlJS6_EEE10hipError_tPvRmT3_T4_T5_T6_T7_T9_mT8_P12ihipStream_tbDpT10_ENKUlT_T0_E_clISt17integral_constantIbLb1EES18_IbLb0EEEEDaS14_S15_EUlS14_E_NS1_11comp_targetILNS1_3genE4ELNS1_11target_archE910ELNS1_3gpuE8ELNS1_3repE0EEENS1_30default_config_static_selectorELNS0_4arch9wavefront6targetE1EEEvT1_,comdat
	.protected	_ZN7rocprim17ROCPRIM_400000_NS6detail17trampoline_kernelINS0_14default_configENS1_25partition_config_selectorILNS1_17partition_subalgoE1EiNS0_10empty_typeEbEEZZNS1_14partition_implILS5_1ELb0ES3_jN6thrust23THRUST_200600_302600_NS6detail15normal_iteratorINSA_10device_ptrIiEEEEPS6_NSA_18transform_iteratorI7is_evenIiESF_NSA_11use_defaultESK_EENS0_5tupleIJSF_SF_EEENSM_IJSG_SG_EEES6_PlJS6_EEE10hipError_tPvRmT3_T4_T5_T6_T7_T9_mT8_P12ihipStream_tbDpT10_ENKUlT_T0_E_clISt17integral_constantIbLb1EES18_IbLb0EEEEDaS14_S15_EUlS14_E_NS1_11comp_targetILNS1_3genE4ELNS1_11target_archE910ELNS1_3gpuE8ELNS1_3repE0EEENS1_30default_config_static_selectorELNS0_4arch9wavefront6targetE1EEEvT1_ ; -- Begin function _ZN7rocprim17ROCPRIM_400000_NS6detail17trampoline_kernelINS0_14default_configENS1_25partition_config_selectorILNS1_17partition_subalgoE1EiNS0_10empty_typeEbEEZZNS1_14partition_implILS5_1ELb0ES3_jN6thrust23THRUST_200600_302600_NS6detail15normal_iteratorINSA_10device_ptrIiEEEEPS6_NSA_18transform_iteratorI7is_evenIiESF_NSA_11use_defaultESK_EENS0_5tupleIJSF_SF_EEENSM_IJSG_SG_EEES6_PlJS6_EEE10hipError_tPvRmT3_T4_T5_T6_T7_T9_mT8_P12ihipStream_tbDpT10_ENKUlT_T0_E_clISt17integral_constantIbLb1EES18_IbLb0EEEEDaS14_S15_EUlS14_E_NS1_11comp_targetILNS1_3genE4ELNS1_11target_archE910ELNS1_3gpuE8ELNS1_3repE0EEENS1_30default_config_static_selectorELNS0_4arch9wavefront6targetE1EEEvT1_
	.globl	_ZN7rocprim17ROCPRIM_400000_NS6detail17trampoline_kernelINS0_14default_configENS1_25partition_config_selectorILNS1_17partition_subalgoE1EiNS0_10empty_typeEbEEZZNS1_14partition_implILS5_1ELb0ES3_jN6thrust23THRUST_200600_302600_NS6detail15normal_iteratorINSA_10device_ptrIiEEEEPS6_NSA_18transform_iteratorI7is_evenIiESF_NSA_11use_defaultESK_EENS0_5tupleIJSF_SF_EEENSM_IJSG_SG_EEES6_PlJS6_EEE10hipError_tPvRmT3_T4_T5_T6_T7_T9_mT8_P12ihipStream_tbDpT10_ENKUlT_T0_E_clISt17integral_constantIbLb1EES18_IbLb0EEEEDaS14_S15_EUlS14_E_NS1_11comp_targetILNS1_3genE4ELNS1_11target_archE910ELNS1_3gpuE8ELNS1_3repE0EEENS1_30default_config_static_selectorELNS0_4arch9wavefront6targetE1EEEvT1_
	.p2align	8
	.type	_ZN7rocprim17ROCPRIM_400000_NS6detail17trampoline_kernelINS0_14default_configENS1_25partition_config_selectorILNS1_17partition_subalgoE1EiNS0_10empty_typeEbEEZZNS1_14partition_implILS5_1ELb0ES3_jN6thrust23THRUST_200600_302600_NS6detail15normal_iteratorINSA_10device_ptrIiEEEEPS6_NSA_18transform_iteratorI7is_evenIiESF_NSA_11use_defaultESK_EENS0_5tupleIJSF_SF_EEENSM_IJSG_SG_EEES6_PlJS6_EEE10hipError_tPvRmT3_T4_T5_T6_T7_T9_mT8_P12ihipStream_tbDpT10_ENKUlT_T0_E_clISt17integral_constantIbLb1EES18_IbLb0EEEEDaS14_S15_EUlS14_E_NS1_11comp_targetILNS1_3genE4ELNS1_11target_archE910ELNS1_3gpuE8ELNS1_3repE0EEENS1_30default_config_static_selectorELNS0_4arch9wavefront6targetE1EEEvT1_,@function
_ZN7rocprim17ROCPRIM_400000_NS6detail17trampoline_kernelINS0_14default_configENS1_25partition_config_selectorILNS1_17partition_subalgoE1EiNS0_10empty_typeEbEEZZNS1_14partition_implILS5_1ELb0ES3_jN6thrust23THRUST_200600_302600_NS6detail15normal_iteratorINSA_10device_ptrIiEEEEPS6_NSA_18transform_iteratorI7is_evenIiESF_NSA_11use_defaultESK_EENS0_5tupleIJSF_SF_EEENSM_IJSG_SG_EEES6_PlJS6_EEE10hipError_tPvRmT3_T4_T5_T6_T7_T9_mT8_P12ihipStream_tbDpT10_ENKUlT_T0_E_clISt17integral_constantIbLb1EES18_IbLb0EEEEDaS14_S15_EUlS14_E_NS1_11comp_targetILNS1_3genE4ELNS1_11target_archE910ELNS1_3gpuE8ELNS1_3repE0EEENS1_30default_config_static_selectorELNS0_4arch9wavefront6targetE1EEEvT1_: ; @_ZN7rocprim17ROCPRIM_400000_NS6detail17trampoline_kernelINS0_14default_configENS1_25partition_config_selectorILNS1_17partition_subalgoE1EiNS0_10empty_typeEbEEZZNS1_14partition_implILS5_1ELb0ES3_jN6thrust23THRUST_200600_302600_NS6detail15normal_iteratorINSA_10device_ptrIiEEEEPS6_NSA_18transform_iteratorI7is_evenIiESF_NSA_11use_defaultESK_EENS0_5tupleIJSF_SF_EEENSM_IJSG_SG_EEES6_PlJS6_EEE10hipError_tPvRmT3_T4_T5_T6_T7_T9_mT8_P12ihipStream_tbDpT10_ENKUlT_T0_E_clISt17integral_constantIbLb1EES18_IbLb0EEEEDaS14_S15_EUlS14_E_NS1_11comp_targetILNS1_3genE4ELNS1_11target_archE910ELNS1_3gpuE8ELNS1_3repE0EEENS1_30default_config_static_selectorELNS0_4arch9wavefront6targetE1EEEvT1_
; %bb.0:
	s_load_dwordx2 s[0:1], s[4:5], 0x60
	s_load_dwordx4 s[24:27], s[4:5], 0x8
	s_load_dwordx2 s[2:3], s[4:5], 0x20
	s_load_dwordx4 s[20:23], s[4:5], 0x50
	s_mul_i32 s10, s6, 0x700
	s_waitcnt lgkmcnt(0)
	v_mov_b32_e32 v3, s1
	s_load_dword s1, s[4:5], 0x78
	s_lshl_b64 s[8:9], s[26:27], 2
	s_add_u32 s7, s24, s8
	s_addc_u32 s12, s25, s9
	v_mov_b32_e32 v2, s0
	s_waitcnt lgkmcnt(0)
	s_add_i32 s13, s1, -1
	s_mulk_i32 s1, 0x700
	s_add_i32 s11, s1, s26
	s_sub_i32 s33, s0, s11
	s_addk_i32 s33, 0x700
	s_add_u32 s0, s26, s1
	s_addc_u32 s1, s27, 0
	s_cmp_eq_u32 s6, s13
	s_load_dwordx2 s[30:31], s[22:23], 0x0
	s_cselect_b64 s[22:23], -1, 0
	s_cmp_lg_u32 s6, s13
	s_mov_b32 s11, 0
	v_cmp_lt_u64_e32 vcc, s[0:1], v[2:3]
	s_cselect_b64 s[0:1], -1, 0
	s_or_b64 s[24:25], s[0:1], vcc
	s_lshl_b64 s[28:29], s[10:11], 2
	s_add_u32 s7, s7, s28
	s_addc_u32 s12, s12, s29
	s_mov_b64 s[0:1], -1
	s_and_b64 vcc, exec, s[24:25]
	v_lshlrev_b32_e32 v1, 2, v0
	s_cbranch_vccz .LBB435_2
; %bb.1:
	v_mov_b32_e32 v3, s12
	v_add_co_u32_e32 v2, vcc, s7, v1
	v_addc_co_u32_e32 v3, vcc, 0, v3, vcc
	v_add_co_u32_e32 v4, vcc, 0x1000, v2
	v_addc_co_u32_e32 v5, vcc, 0, v3, vcc
	flat_load_dword v6, v[2:3]
	flat_load_dword v7, v[2:3] offset:1024
	flat_load_dword v8, v[2:3] offset:2048
	;; [unrolled: 1-line block ×3, first 2 shown]
	flat_load_dword v10, v[4:5]
	flat_load_dword v11, v[4:5] offset:1024
	flat_load_dword v12, v[4:5] offset:2048
	s_mov_b64 s[0:1], 0
	s_waitcnt vmcnt(0) lgkmcnt(0)
	ds_write2st64_b32 v1, v6, v7 offset1:4
	ds_write2st64_b32 v1, v8, v9 offset0:8 offset1:12
	ds_write2st64_b32 v1, v10, v11 offset0:16 offset1:20
	ds_write_b32 v1, v12 offset:6144
	s_waitcnt lgkmcnt(0)
	s_barrier
.LBB435_2:
	s_andn2_b64 vcc, exec, s[0:1]
	v_cmp_gt_u32_e64 s[0:1], s33, v0
	s_cbranch_vccnz .LBB435_18
; %bb.3:
                                        ; implicit-def: $vgpr2_vgpr3_vgpr4_vgpr5_vgpr6_vgpr7_vgpr8
	s_and_saveexec_b64 s[10:11], s[0:1]
	s_cbranch_execz .LBB435_5
; %bb.4:
	v_mov_b32_e32 v3, s12
	v_add_co_u32_e32 v2, vcc, s7, v1
	v_addc_co_u32_e32 v3, vcc, 0, v3, vcc
	flat_load_dword v2, v[2:3]
.LBB435_5:
	s_or_b64 exec, exec, s[10:11]
	v_or_b32_e32 v9, 0x100, v0
	v_cmp_gt_u32_e32 vcc, s33, v9
	s_and_saveexec_b64 s[0:1], vcc
	s_cbranch_execz .LBB435_7
; %bb.6:
	v_mov_b32_e32 v3, s12
	v_add_co_u32_e32 v10, vcc, s7, v1
	v_addc_co_u32_e32 v11, vcc, 0, v3, vcc
	flat_load_dword v3, v[10:11] offset:1024
.LBB435_7:
	s_or_b64 exec, exec, s[0:1]
	v_or_b32_e32 v9, 0x200, v0
	v_cmp_gt_u32_e32 vcc, s33, v9
	s_and_saveexec_b64 s[0:1], vcc
	s_cbranch_execz .LBB435_9
; %bb.8:
	v_mov_b32_e32 v4, s12
	v_add_co_u32_e32 v10, vcc, s7, v1
	v_addc_co_u32_e32 v11, vcc, 0, v4, vcc
	flat_load_dword v4, v[10:11] offset:2048
.LBB435_9:
	;; [unrolled: 11-line block ×3, first 2 shown]
	s_or_b64 exec, exec, s[0:1]
	v_or_b32_e32 v9, 0x400, v0
	v_cmp_gt_u32_e32 vcc, s33, v9
	s_and_saveexec_b64 s[0:1], vcc
	s_cbranch_execz .LBB435_13
; %bb.12:
	v_lshlrev_b32_e32 v6, 2, v9
	v_mov_b32_e32 v9, s12
	v_add_co_u32_e32 v10, vcc, s7, v6
	v_addc_co_u32_e32 v11, vcc, 0, v9, vcc
	flat_load_dword v6, v[10:11]
.LBB435_13:
	s_or_b64 exec, exec, s[0:1]
	v_or_b32_e32 v9, 0x500, v0
	v_cmp_gt_u32_e32 vcc, s33, v9
	s_and_saveexec_b64 s[0:1], vcc
	s_cbranch_execz .LBB435_15
; %bb.14:
	v_lshlrev_b32_e32 v7, 2, v9
	v_mov_b32_e32 v9, s12
	v_add_co_u32_e32 v10, vcc, s7, v7
	v_addc_co_u32_e32 v11, vcc, 0, v9, vcc
	flat_load_dword v7, v[10:11]
.LBB435_15:
	;; [unrolled: 12-line block ×3, first 2 shown]
	s_or_b64 exec, exec, s[0:1]
	s_waitcnt vmcnt(0) lgkmcnt(0)
	ds_write2st64_b32 v1, v2, v3 offset1:4
	ds_write2st64_b32 v1, v4, v5 offset0:8 offset1:12
	ds_write2st64_b32 v1, v6, v7 offset0:16 offset1:20
	ds_write_b32 v1, v8 offset:6144
	s_waitcnt lgkmcnt(0)
	s_barrier
.LBB435_18:
	v_mul_u32_u24_e32 v19, 7, v0
	v_lshlrev_b32_e32 v8, 2, v19
	s_waitcnt lgkmcnt(0)
	ds_read2_b32 v[6:7], v8 offset1:1
	ds_read2_b32 v[4:5], v8 offset0:2 offset1:3
	ds_read2_b32 v[2:3], v8 offset0:4 offset1:5
	ds_read_b32 v18, v8 offset:24
	s_add_u32 s0, s2, s8
	s_addc_u32 s1, s3, s9
	s_add_u32 s0, s0, s28
	s_addc_u32 s1, s1, s29
	s_mov_b64 s[2:3], -1
	s_and_b64 vcc, exec, s[24:25]
	s_waitcnt lgkmcnt(0)
	s_barrier
	s_cbranch_vccz .LBB435_20
; %bb.19:
	v_mov_b32_e32 v9, s1
	v_add_co_u32_e32 v10, vcc, s0, v1
	v_addc_co_u32_e32 v9, vcc, 0, v9, vcc
	s_movk_i32 s2, 0x1000
	v_add_co_u32_e32 v10, vcc, s2, v10
	global_load_dword v12, v1, s[0:1]
	global_load_dword v13, v1, s[0:1] offset:1024
	global_load_dword v14, v1, s[0:1] offset:2048
	;; [unrolled: 1-line block ×3, first 2 shown]
	v_addc_co_u32_e32 v11, vcc, 0, v9, vcc
	global_load_dword v9, v[10:11], off
	global_load_dword v16, v[10:11], off offset:1024
	global_load_dword v17, v[10:11], off offset:2048
	s_mov_b64 s[2:3], 0
	s_waitcnt vmcnt(6)
	v_xor_b32_e32 v10, -1, v12
	s_waitcnt vmcnt(5)
	v_xor_b32_e32 v11, -1, v13
	;; [unrolled: 2-line block ×4, first 2 shown]
	v_and_b32_e32 v10, 1, v10
	v_and_b32_e32 v11, 1, v11
	s_waitcnt vmcnt(2)
	v_xor_b32_e32 v9, -1, v9
	v_and_b32_e32 v12, 1, v12
	v_and_b32_e32 v13, 1, v13
	ds_write_b8 v0, v10
	ds_write_b8 v0, v11 offset:256
	ds_write_b8 v0, v12 offset:512
	ds_write_b8 v0, v13 offset:768
	s_waitcnt vmcnt(1)
	v_xor_b32_e32 v10, -1, v16
	s_waitcnt vmcnt(0)
	v_xor_b32_e32 v11, -1, v17
	v_and_b32_e32 v9, 1, v9
	v_and_b32_e32 v10, 1, v10
	;; [unrolled: 1-line block ×3, first 2 shown]
	ds_write_b8 v0, v9 offset:1024
	ds_write_b8 v0, v10 offset:1280
	;; [unrolled: 1-line block ×3, first 2 shown]
	s_waitcnt lgkmcnt(0)
	s_barrier
.LBB435_20:
	s_load_dwordx2 s[34:35], s[4:5], 0x70
	s_andn2_b64 vcc, exec, s[2:3]
	s_cbranch_vccnz .LBB435_36
; %bb.21:
	v_cmp_gt_u32_e32 vcc, s33, v0
	v_mov_b32_e32 v9, 0
	v_mov_b32_e32 v10, 0
	s_and_saveexec_b64 s[2:3], vcc
	s_cbranch_execz .LBB435_23
; %bb.22:
	global_load_dword v10, v1, s[0:1]
	s_waitcnt vmcnt(0)
	v_xor_b32_e32 v10, -1, v10
	v_and_b32_e32 v10, 1, v10
.LBB435_23:
	s_or_b64 exec, exec, s[2:3]
	v_or_b32_e32 v11, 0x100, v0
	v_cmp_gt_u32_e32 vcc, s33, v11
	s_and_saveexec_b64 s[2:3], vcc
	s_cbranch_execz .LBB435_25
; %bb.24:
	global_load_dword v9, v1, s[0:1] offset:1024
	s_waitcnt vmcnt(0)
	v_xor_b32_e32 v9, -1, v9
	v_and_b32_e32 v9, 1, v9
.LBB435_25:
	s_or_b64 exec, exec, s[2:3]
	v_or_b32_e32 v11, 0x200, v0
	v_cmp_gt_u32_e32 vcc, s33, v11
	v_mov_b32_e32 v11, 0
	v_mov_b32_e32 v12, 0
	s_and_saveexec_b64 s[2:3], vcc
	s_cbranch_execz .LBB435_27
; %bb.26:
	global_load_dword v12, v1, s[0:1] offset:2048
	s_waitcnt vmcnt(0)
	v_xor_b32_e32 v12, -1, v12
	v_and_b32_e32 v12, 1, v12
.LBB435_27:
	s_or_b64 exec, exec, s[2:3]
	v_or_b32_e32 v13, 0x300, v0
	v_cmp_gt_u32_e32 vcc, s33, v13
	s_and_saveexec_b64 s[2:3], vcc
	s_cbranch_execz .LBB435_29
; %bb.28:
	global_load_dword v11, v1, s[0:1] offset:3072
	s_waitcnt vmcnt(0)
	v_xor_b32_e32 v11, -1, v11
	v_and_b32_e32 v11, 1, v11
.LBB435_29:
	s_or_b64 exec, exec, s[2:3]
	v_or_b32_e32 v15, 0x400, v0
	v_cmp_gt_u32_e32 vcc, s33, v15
	v_mov_b32_e32 v13, 0
	v_mov_b32_e32 v14, 0
	s_and_saveexec_b64 s[2:3], vcc
	s_cbranch_execz .LBB435_31
; %bb.30:
	v_lshlrev_b32_e32 v14, 2, v15
	global_load_dword v14, v14, s[0:1]
	s_waitcnt vmcnt(0)
	v_xor_b32_e32 v14, -1, v14
	v_and_b32_e32 v14, 1, v14
.LBB435_31:
	s_or_b64 exec, exec, s[2:3]
	v_or_b32_e32 v15, 0x500, v0
	v_cmp_gt_u32_e32 vcc, s33, v15
	s_and_saveexec_b64 s[2:3], vcc
	s_cbranch_execz .LBB435_33
; %bb.32:
	v_lshlrev_b32_e32 v13, 2, v15
	global_load_dword v13, v13, s[0:1]
	s_waitcnt vmcnt(0)
	v_xor_b32_e32 v13, -1, v13
	v_and_b32_e32 v13, 1, v13
.LBB435_33:
	s_or_b64 exec, exec, s[2:3]
	v_or_b32_e32 v16, 0x600, v0
	v_cmp_gt_u32_e32 vcc, s33, v16
	v_mov_b32_e32 v15, 0
	s_and_saveexec_b64 s[2:3], vcc
	s_cbranch_execz .LBB435_35
; %bb.34:
	v_lshlrev_b32_e32 v15, 2, v16
	global_load_dword v15, v15, s[0:1]
	s_waitcnt vmcnt(0)
	v_xor_b32_e32 v15, -1, v15
	v_and_b32_e32 v15, 1, v15
.LBB435_35:
	s_or_b64 exec, exec, s[2:3]
	ds_write_b8 v0, v10
	ds_write_b8 v0, v9 offset:256
	ds_write_b8 v0, v12 offset:512
	ds_write_b8 v0, v11 offset:768
	ds_write_b8 v0, v14 offset:1024
	ds_write_b8 v0, v13 offset:1280
	ds_write_b8 v0, v15 offset:1536
	s_waitcnt lgkmcnt(0)
	s_barrier
.LBB435_36:
	s_movk_i32 s0, 0xffeb
	v_mad_i32_i24 v28, v0, s0, v8
	s_waitcnt lgkmcnt(0)
	ds_read_u8 v8, v28
	ds_read_u8 v9, v28 offset:1
	ds_read_u8 v10, v28 offset:2
	;; [unrolled: 1-line block ×6, first 2 shown]
	s_waitcnt lgkmcnt(6)
	v_and_b32_e32 v26, 1, v8
	s_waitcnt lgkmcnt(5)
	v_and_b32_e32 v25, 1, v9
	;; [unrolled: 2-line block ×5, first 2 shown]
	v_add3_u32 v8, v25, v26, v24
	s_waitcnt lgkmcnt(1)
	v_and_b32_e32 v21, 1, v13
	s_waitcnt lgkmcnt(0)
	v_and_b32_e32 v20, 1, v14
	v_add3_u32 v8, v8, v23, v22
	v_add3_u32 v30, v8, v21, v20
	v_mbcnt_lo_u32_b32 v8, -1, 0
	v_mbcnt_hi_u32_b32 v27, -1, v8
	v_and_b32_e32 v8, 15, v27
	v_cmp_eq_u32_e64 s[14:15], 0, v8
	v_cmp_lt_u32_e64 s[12:13], 1, v8
	v_cmp_lt_u32_e64 s[10:11], 3, v8
	v_cmp_lt_u32_e64 s[8:9], 7, v8
	v_and_b32_e32 v8, 16, v27
	v_cmp_eq_u32_e64 s[18:19], 0, v8
	v_or_b32_e32 v8, 63, v0
	s_cmp_lg_u32 s6, 0
	v_cmp_lt_u32_e64 s[0:1], 31, v27
	v_lshrrev_b32_e32 v29, 6, v0
	v_cmp_eq_u32_e64 s[2:3], v8, v0
	s_barrier
	s_cbranch_scc0 .LBB435_67
; %bb.37:
	v_mov_b32_dpp v8, v30 row_shr:1 row_mask:0xf bank_mask:0xf
	v_cndmask_b32_e64 v8, v8, 0, s[14:15]
	v_add_u32_e32 v8, v8, v30
	s_nop 1
	v_mov_b32_dpp v9, v8 row_shr:2 row_mask:0xf bank_mask:0xf
	v_cndmask_b32_e64 v9, 0, v9, s[12:13]
	v_add_u32_e32 v8, v8, v9
	s_nop 1
	;; [unrolled: 4-line block ×4, first 2 shown]
	v_mov_b32_dpp v9, v8 row_bcast:15 row_mask:0xf bank_mask:0xf
	v_cndmask_b32_e64 v9, v9, 0, s[18:19]
	v_add_u32_e32 v8, v8, v9
	s_nop 1
	v_mov_b32_dpp v9, v8 row_bcast:31 row_mask:0xf bank_mask:0xf
	v_cndmask_b32_e64 v9, 0, v9, s[0:1]
	v_add_u32_e32 v8, v8, v9
	s_and_saveexec_b64 s[16:17], s[2:3]
	s_cbranch_execz .LBB435_39
; %bb.38:
	v_lshlrev_b32_e32 v9, 2, v29
	ds_write_b32 v9, v8
.LBB435_39:
	s_or_b64 exec, exec, s[16:17]
	v_cmp_gt_u32_e32 vcc, 4, v0
	s_waitcnt lgkmcnt(0)
	s_barrier
	s_and_saveexec_b64 s[16:17], vcc
	s_cbranch_execz .LBB435_41
; %bb.40:
	ds_read_b32 v9, v1
	v_and_b32_e32 v10, 3, v27
	v_cmp_ne_u32_e32 vcc, 0, v10
	s_waitcnt lgkmcnt(0)
	v_mov_b32_dpp v11, v9 row_shr:1 row_mask:0xf bank_mask:0xf
	v_cndmask_b32_e32 v11, 0, v11, vcc
	v_add_u32_e32 v9, v11, v9
	v_cmp_lt_u32_e32 vcc, 1, v10
	s_nop 0
	v_mov_b32_dpp v11, v9 row_shr:2 row_mask:0xf bank_mask:0xf
	v_cndmask_b32_e32 v10, 0, v11, vcc
	v_add_u32_e32 v9, v9, v10
	ds_write_b32 v1, v9
.LBB435_41:
	s_or_b64 exec, exec, s[16:17]
	v_cmp_gt_u32_e32 vcc, 64, v0
	v_cmp_lt_u32_e64 s[16:17], 63, v0
	s_waitcnt lgkmcnt(0)
	s_barrier
	s_waitcnt lgkmcnt(0)
                                        ; implicit-def: $vgpr31
	s_and_saveexec_b64 s[36:37], s[16:17]
	s_cbranch_execz .LBB435_43
; %bb.42:
	v_lshl_add_u32 v9, v29, 2, -4
	ds_read_b32 v31, v9
	s_waitcnt lgkmcnt(0)
	v_add_u32_e32 v8, v31, v8
.LBB435_43:
	s_or_b64 exec, exec, s[36:37]
	v_add_u32_e32 v9, -1, v27
	v_and_b32_e32 v10, 64, v27
	v_cmp_lt_i32_e64 s[16:17], v9, v10
	v_cndmask_b32_e64 v9, v9, v27, s[16:17]
	v_lshlrev_b32_e32 v9, 2, v9
	ds_bpermute_b32 v32, v9, v8
	v_cmp_eq_u32_e64 s[16:17], 0, v27
	s_and_saveexec_b64 s[36:37], vcc
	s_cbranch_execz .LBB435_66
; %bb.44:
	v_mov_b32_e32 v17, 0
	ds_read_b32 v8, v17 offset:12
	s_and_saveexec_b64 s[38:39], s[16:17]
	s_cbranch_execz .LBB435_46
; %bb.45:
	s_add_i32 s40, s6, 64
	s_mov_b32 s41, 0
	s_lshl_b64 s[40:41], s[40:41], 3
	s_add_u32 s40, s34, s40
	v_mov_b32_e32 v9, 1
	s_addc_u32 s41, s35, s41
	s_waitcnt lgkmcnt(0)
	global_store_dwordx2 v17, v[8:9], s[40:41]
.LBB435_46:
	s_or_b64 exec, exec, s[38:39]
	v_xad_u32 v10, v27, -1, s6
	v_add_u32_e32 v16, 64, v10
	v_lshlrev_b64 v[12:13], 3, v[16:17]
	v_mov_b32_e32 v9, s35
	v_add_co_u32_e32 v12, vcc, s34, v12
	v_addc_co_u32_e32 v13, vcc, v9, v13, vcc
	global_load_dwordx2 v[14:15], v[12:13], off glc
	s_waitcnt vmcnt(0)
	v_cmp_eq_u16_sdwa s[40:41], v15, v17 src0_sel:BYTE_0 src1_sel:DWORD
	s_and_saveexec_b64 s[38:39], s[40:41]
	s_cbranch_execz .LBB435_52
; %bb.47:
	s_mov_b32 s7, 1
	s_mov_b64 s[40:41], 0
	v_mov_b32_e32 v9, 0
.LBB435_48:                             ; =>This Loop Header: Depth=1
                                        ;     Child Loop BB435_49 Depth 2
	s_max_u32 s42, s7, 1
.LBB435_49:                             ;   Parent Loop BB435_48 Depth=1
                                        ; =>  This Inner Loop Header: Depth=2
	s_add_i32 s42, s42, -1
	s_cmp_eq_u32 s42, 0
	s_sleep 1
	s_cbranch_scc0 .LBB435_49
; %bb.50:                               ;   in Loop: Header=BB435_48 Depth=1
	global_load_dwordx2 v[14:15], v[12:13], off glc
	s_cmp_lt_u32 s7, 32
	s_cselect_b64 s[42:43], -1, 0
	s_cmp_lg_u64 s[42:43], 0
	s_addc_u32 s7, s7, 0
	s_waitcnt vmcnt(0)
	v_cmp_ne_u16_sdwa s[42:43], v15, v9 src0_sel:BYTE_0 src1_sel:DWORD
	s_or_b64 s[40:41], s[42:43], s[40:41]
	s_andn2_b64 exec, exec, s[40:41]
	s_cbranch_execnz .LBB435_48
; %bb.51:
	s_or_b64 exec, exec, s[40:41]
.LBB435_52:
	s_or_b64 exec, exec, s[38:39]
	v_and_b32_e32 v34, 63, v27
	v_mov_b32_e32 v33, 2
	v_cmp_ne_u32_e32 vcc, 63, v34
	v_cmp_eq_u16_sdwa s[38:39], v15, v33 src0_sel:BYTE_0 src1_sel:DWORD
	v_lshlrev_b64 v[12:13], v27, -1
	v_addc_co_u32_e32 v16, vcc, 0, v27, vcc
	v_and_b32_e32 v9, s39, v13
	v_lshlrev_b32_e32 v35, 2, v16
	v_or_b32_e32 v9, 0x80000000, v9
	ds_bpermute_b32 v16, v35, v14
	v_and_b32_e32 v11, s38, v12
	v_ffbl_b32_e32 v9, v9
	v_add_u32_e32 v9, 32, v9
	v_ffbl_b32_e32 v11, v11
	v_min_u32_e32 v9, v11, v9
	v_cmp_lt_u32_e32 vcc, v34, v9
	s_waitcnt lgkmcnt(0)
	v_cndmask_b32_e32 v11, 0, v16, vcc
	v_cmp_gt_u32_e32 vcc, 62, v34
	v_add_u32_e32 v11, v11, v14
	v_cndmask_b32_e64 v14, 0, 1, vcc
	v_lshlrev_b32_e32 v14, 1, v14
	v_add_lshl_u32 v36, v14, v27, 2
	ds_bpermute_b32 v14, v36, v11
	v_add_u32_e32 v37, 2, v34
	v_cmp_le_u32_e32 vcc, v37, v9
	v_add_u32_e32 v39, 4, v34
	v_add_u32_e32 v41, 8, v34
	s_waitcnt lgkmcnt(0)
	v_cndmask_b32_e32 v14, 0, v14, vcc
	v_cmp_gt_u32_e32 vcc, 60, v34
	v_add_u32_e32 v11, v11, v14
	v_cndmask_b32_e64 v14, 0, 1, vcc
	v_lshlrev_b32_e32 v14, 2, v14
	v_add_lshl_u32 v38, v14, v27, 2
	ds_bpermute_b32 v14, v38, v11
	v_cmp_le_u32_e32 vcc, v39, v9
	v_add_u32_e32 v43, 16, v34
	v_add_u32_e32 v45, 32, v34
	s_waitcnt lgkmcnt(0)
	v_cndmask_b32_e32 v14, 0, v14, vcc
	v_cmp_gt_u32_e32 vcc, 56, v34
	v_add_u32_e32 v11, v11, v14
	v_cndmask_b32_e64 v14, 0, 1, vcc
	v_lshlrev_b32_e32 v14, 3, v14
	v_add_lshl_u32 v40, v14, v27, 2
	ds_bpermute_b32 v14, v40, v11
	v_cmp_le_u32_e32 vcc, v41, v9
	s_waitcnt lgkmcnt(0)
	v_cndmask_b32_e32 v14, 0, v14, vcc
	v_cmp_gt_u32_e32 vcc, 48, v34
	v_add_u32_e32 v11, v11, v14
	v_cndmask_b32_e64 v14, 0, 1, vcc
	v_lshlrev_b32_e32 v14, 4, v14
	v_add_lshl_u32 v42, v14, v27, 2
	ds_bpermute_b32 v14, v42, v11
	v_cmp_le_u32_e32 vcc, v43, v9
	;; [unrolled: 9-line block ×3, first 2 shown]
	s_waitcnt lgkmcnt(0)
	v_cndmask_b32_e32 v9, 0, v14, vcc
	v_add_u32_e32 v14, v11, v9
	v_mov_b32_e32 v11, 0
	s_branch .LBB435_54
.LBB435_53:                             ;   in Loop: Header=BB435_54 Depth=1
	s_or_b64 exec, exec, s[38:39]
	v_cmp_eq_u16_sdwa s[38:39], v15, v33 src0_sel:BYTE_0 src1_sel:DWORD
	v_and_b32_e32 v16, s39, v13
	v_or_b32_e32 v16, 0x80000000, v16
	ds_bpermute_b32 v46, v35, v14
	v_and_b32_e32 v17, s38, v12
	v_ffbl_b32_e32 v16, v16
	v_add_u32_e32 v16, 32, v16
	v_ffbl_b32_e32 v17, v17
	v_min_u32_e32 v16, v17, v16
	v_cmp_lt_u32_e32 vcc, v34, v16
	s_waitcnt lgkmcnt(0)
	v_cndmask_b32_e32 v17, 0, v46, vcc
	v_add_u32_e32 v14, v17, v14
	ds_bpermute_b32 v17, v36, v14
	v_cmp_le_u32_e32 vcc, v37, v16
	v_subrev_u32_e32 v10, 64, v10
	s_waitcnt lgkmcnt(0)
	v_cndmask_b32_e32 v17, 0, v17, vcc
	v_add_u32_e32 v14, v14, v17
	ds_bpermute_b32 v17, v38, v14
	v_cmp_le_u32_e32 vcc, v39, v16
	s_waitcnt lgkmcnt(0)
	v_cndmask_b32_e32 v17, 0, v17, vcc
	v_add_u32_e32 v14, v14, v17
	ds_bpermute_b32 v17, v40, v14
	v_cmp_le_u32_e32 vcc, v41, v16
	;; [unrolled: 5-line block ×4, first 2 shown]
	s_waitcnt lgkmcnt(0)
	v_cndmask_b32_e32 v16, 0, v17, vcc
	v_add3_u32 v14, v16, v9, v14
.LBB435_54:                             ; =>This Loop Header: Depth=1
                                        ;     Child Loop BB435_57 Depth 2
                                        ;       Child Loop BB435_58 Depth 3
	v_cmp_ne_u16_sdwa s[38:39], v15, v33 src0_sel:BYTE_0 src1_sel:DWORD
	v_cndmask_b32_e64 v9, 0, 1, s[38:39]
	;;#ASMSTART
	;;#ASMEND
	v_cmp_ne_u32_e32 vcc, 0, v9
	s_cmp_lg_u64 vcc, exec
	v_mov_b32_e32 v9, v14
	s_cbranch_scc1 .LBB435_61
; %bb.55:                               ;   in Loop: Header=BB435_54 Depth=1
	v_lshlrev_b64 v[14:15], 3, v[10:11]
	v_mov_b32_e32 v17, s35
	v_add_co_u32_e32 v16, vcc, s34, v14
	v_addc_co_u32_e32 v17, vcc, v17, v15, vcc
	global_load_dwordx2 v[14:15], v[16:17], off glc
	s_waitcnt vmcnt(0)
	v_cmp_eq_u16_sdwa s[40:41], v15, v11 src0_sel:BYTE_0 src1_sel:DWORD
	s_and_saveexec_b64 s[38:39], s[40:41]
	s_cbranch_execz .LBB435_53
; %bb.56:                               ;   in Loop: Header=BB435_54 Depth=1
	s_mov_b32 s7, 1
	s_mov_b64 s[40:41], 0
.LBB435_57:                             ;   Parent Loop BB435_54 Depth=1
                                        ; =>  This Loop Header: Depth=2
                                        ;       Child Loop BB435_58 Depth 3
	s_max_u32 s42, s7, 1
.LBB435_58:                             ;   Parent Loop BB435_54 Depth=1
                                        ;     Parent Loop BB435_57 Depth=2
                                        ; =>    This Inner Loop Header: Depth=3
	s_add_i32 s42, s42, -1
	s_cmp_eq_u32 s42, 0
	s_sleep 1
	s_cbranch_scc0 .LBB435_58
; %bb.59:                               ;   in Loop: Header=BB435_57 Depth=2
	global_load_dwordx2 v[14:15], v[16:17], off glc
	s_cmp_lt_u32 s7, 32
	s_cselect_b64 s[42:43], -1, 0
	s_cmp_lg_u64 s[42:43], 0
	s_addc_u32 s7, s7, 0
	s_waitcnt vmcnt(0)
	v_cmp_ne_u16_sdwa s[42:43], v15, v11 src0_sel:BYTE_0 src1_sel:DWORD
	s_or_b64 s[40:41], s[42:43], s[40:41]
	s_andn2_b64 exec, exec, s[40:41]
	s_cbranch_execnz .LBB435_57
; %bb.60:                               ;   in Loop: Header=BB435_54 Depth=1
	s_or_b64 exec, exec, s[40:41]
	s_branch .LBB435_53
.LBB435_61:                             ;   in Loop: Header=BB435_54 Depth=1
                                        ; implicit-def: $vgpr14
                                        ; implicit-def: $vgpr15
	s_cbranch_execz .LBB435_54
; %bb.62:
	s_and_saveexec_b64 s[38:39], s[16:17]
	s_cbranch_execz .LBB435_64
; %bb.63:
	s_add_i32 s6, s6, 64
	s_mov_b32 s7, 0
	s_lshl_b64 s[6:7], s[6:7], 3
	s_add_u32 s6, s34, s6
	v_add_u32_e32 v10, v9, v8
	v_mov_b32_e32 v11, 2
	s_addc_u32 s7, s35, s7
	v_mov_b32_e32 v12, 0
	global_store_dwordx2 v12, v[10:11], s[6:7]
	ds_write_b64 v12, v[8:9] offset:7168
.LBB435_64:
	s_or_b64 exec, exec, s[38:39]
	v_cmp_eq_u32_e32 vcc, 0, v0
	s_and_b64 exec, exec, vcc
	s_cbranch_execz .LBB435_66
; %bb.65:
	v_mov_b32_e32 v8, 0
	ds_write_b32 v8, v9 offset:12
.LBB435_66:
	s_or_b64 exec, exec, s[36:37]
	v_mov_b32_e32 v8, 0
	s_waitcnt lgkmcnt(0)
	s_barrier
	ds_read_b32 v9, v8 offset:12
	v_cndmask_b32_e64 v10, v32, v31, s[16:17]
	v_cmp_ne_u32_e32 vcc, 0, v0
	v_cndmask_b32_e32 v10, 0, v10, vcc
	s_waitcnt lgkmcnt(0)
	v_add_u32_e32 v16, v9, v10
	v_add_u32_e32 v15, v16, v26
	;; [unrolled: 1-line block ×3, first 2 shown]
	s_barrier
	ds_read_b64 v[8:9], v8 offset:7168
	v_add_u32_e32 v12, v14, v24
	v_add_u32_e32 v13, v12, v23
	;; [unrolled: 1-line block ×4, first 2 shown]
	s_branch .LBB435_77
.LBB435_67:
                                        ; implicit-def: $vgpr9
                                        ; implicit-def: $vgpr10
                                        ; implicit-def: $vgpr11
                                        ; implicit-def: $vgpr13
                                        ; implicit-def: $vgpr12
                                        ; implicit-def: $vgpr14
                                        ; implicit-def: $vgpr15
                                        ; implicit-def: $vgpr16
	s_cbranch_execz .LBB435_77
; %bb.68:
	s_waitcnt lgkmcnt(0)
	v_mov_b32_dpp v8, v30 row_shr:1 row_mask:0xf bank_mask:0xf
	v_cndmask_b32_e64 v8, v8, 0, s[14:15]
	v_add_u32_e32 v8, v8, v30
	s_nop 1
	v_mov_b32_dpp v9, v8 row_shr:2 row_mask:0xf bank_mask:0xf
	v_cndmask_b32_e64 v9, 0, v9, s[12:13]
	v_add_u32_e32 v8, v8, v9
	s_nop 1
	;; [unrolled: 4-line block ×4, first 2 shown]
	v_mov_b32_dpp v9, v8 row_bcast:15 row_mask:0xf bank_mask:0xf
	v_cndmask_b32_e64 v9, v9, 0, s[18:19]
	v_add_u32_e32 v8, v8, v9
	s_nop 1
	v_mov_b32_dpp v9, v8 row_bcast:31 row_mask:0xf bank_mask:0xf
	v_cndmask_b32_e64 v9, 0, v9, s[0:1]
	v_add_u32_e32 v8, v8, v9
	s_and_saveexec_b64 s[0:1], s[2:3]
	s_cbranch_execz .LBB435_70
; %bb.69:
	v_lshlrev_b32_e32 v9, 2, v29
	ds_write_b32 v9, v8
.LBB435_70:
	s_or_b64 exec, exec, s[0:1]
	v_cmp_gt_u32_e32 vcc, 4, v0
	s_waitcnt lgkmcnt(0)
	s_barrier
	s_and_saveexec_b64 s[0:1], vcc
	s_cbranch_execz .LBB435_72
; %bb.71:
	v_mad_i32_i24 v9, v0, -3, v28
	ds_read_b32 v10, v9
	v_and_b32_e32 v11, 3, v27
	v_cmp_ne_u32_e32 vcc, 0, v11
	s_waitcnt lgkmcnt(0)
	v_mov_b32_dpp v12, v10 row_shr:1 row_mask:0xf bank_mask:0xf
	v_cndmask_b32_e32 v12, 0, v12, vcc
	v_add_u32_e32 v10, v12, v10
	v_cmp_lt_u32_e32 vcc, 1, v11
	s_nop 0
	v_mov_b32_dpp v12, v10 row_shr:2 row_mask:0xf bank_mask:0xf
	v_cndmask_b32_e32 v11, 0, v12, vcc
	v_add_u32_e32 v10, v10, v11
	ds_write_b32 v9, v10
.LBB435_72:
	s_or_b64 exec, exec, s[0:1]
	v_cmp_lt_u32_e32 vcc, 63, v0
	v_mov_b32_e32 v9, 0
	v_mov_b32_e32 v10, 0
	s_waitcnt lgkmcnt(0)
	s_barrier
	s_and_saveexec_b64 s[0:1], vcc
	s_cbranch_execz .LBB435_74
; %bb.73:
	v_lshl_add_u32 v10, v29, 2, -4
	ds_read_b32 v10, v10
.LBB435_74:
	s_or_b64 exec, exec, s[0:1]
	v_add_u32_e32 v11, -1, v27
	v_and_b32_e32 v12, 64, v27
	v_cmp_lt_i32_e32 vcc, v11, v12
	v_cndmask_b32_e32 v11, v11, v27, vcc
	s_waitcnt lgkmcnt(0)
	v_add_u32_e32 v8, v10, v8
	v_lshlrev_b32_e32 v11, 2, v11
	ds_bpermute_b32 v11, v11, v8
	ds_read_b32 v8, v9 offset:12
	v_cmp_eq_u32_e32 vcc, 0, v0
	s_and_saveexec_b64 s[0:1], vcc
	s_cbranch_execz .LBB435_76
; %bb.75:
	v_mov_b32_e32 v12, 0
	v_mov_b32_e32 v9, 2
	s_waitcnt lgkmcnt(0)
	global_store_dwordx2 v12, v[8:9], s[34:35] offset:512
.LBB435_76:
	s_or_b64 exec, exec, s[0:1]
	v_cmp_eq_u32_e64 s[0:1], 0, v27
	s_waitcnt lgkmcnt(1)
	v_cndmask_b32_e64 v10, v11, v10, s[0:1]
	v_cndmask_b32_e64 v16, v10, 0, vcc
	v_add_u32_e32 v15, v16, v26
	v_add_u32_e32 v14, v15, v25
	;; [unrolled: 1-line block ×5, first 2 shown]
	v_mov_b32_e32 v9, 0
	v_add_u32_e32 v10, v11, v21
	s_waitcnt lgkmcnt(0)
	s_barrier
.LBB435_77:
	s_waitcnt lgkmcnt(0)
	v_add_u32_e32 v17, v8, v19
	v_sub_u32_e32 v16, v16, v9
	v_sub_u32_e32 v19, v17, v16
	v_cmp_eq_u32_e32 vcc, 1, v26
	v_cndmask_b32_e32 v16, v19, v16, vcc
	v_lshlrev_b32_e32 v16, 2, v16
	ds_write_b32 v16, v6
	v_sub_u32_e32 v6, v15, v9
	v_sub_u32_e32 v15, v17, v6
	v_add_u32_e32 v15, 1, v15
	v_cmp_eq_u32_e32 vcc, 1, v25
	v_cndmask_b32_e32 v6, v15, v6, vcc
	v_lshlrev_b32_e32 v6, 2, v6
	ds_write_b32 v6, v7
	v_sub_u32_e32 v6, v14, v9
	v_sub_u32_e32 v7, v17, v6
	v_add_u32_e32 v7, 2, v7
	;; [unrolled: 7-line block ×6, first 2 shown]
	v_cmp_eq_u32_e32 vcc, 1, v20
	v_cndmask_b32_e32 v2, v3, v2, vcc
	v_lshlrev_b32_e32 v2, 2, v2
	ds_write_b32 v2, v18
	v_mov_b32_e32 v2, s31
	v_add_co_u32_e32 v22, vcc, s30, v9
	v_addc_co_u32_e32 v23, vcc, 0, v2, vcc
	s_load_dwordx4 s[0:3], s[4:5], 0x30
	v_add_co_u32_e32 v2, vcc, v22, v8
	v_addc_co_u32_e32 v3, vcc, 0, v23, vcc
	v_mov_b32_e32 v9, s27
	v_sub_co_u32_e32 v24, vcc, s26, v2
	v_subb_co_u32_e32 v25, vcc, v9, v3, vcc
	v_lshlrev_b64 v[24:25], 2, v[24:25]
	s_waitcnt lgkmcnt(0)
	s_barrier
	ds_read2st64_b32 v[10:11], v1 offset1:4
	ds_read2st64_b32 v[6:7], v1 offset0:8 offset1:12
	ds_read2st64_b32 v[4:5], v1 offset0:16 offset1:20
	ds_read_b32 v12, v1 offset:6144
	v_mov_b32_e32 v9, s3
	v_add_co_u32_e32 v15, vcc, s2, v24
	v_addc_co_u32_e32 v16, vcc, v9, v25, vcc
	v_mov_b32_e32 v18, s29
	v_add_co_u32_e32 v9, vcc, s28, v15
	v_lshlrev_b64 v[22:23], 2, v[22:23]
	v_addc_co_u32_e32 v15, vcc, v16, v18, vcc
	v_mov_b32_e32 v18, s1
	v_add_co_u32_e64 v16, s[0:1], s0, v22
	v_or_b32_e32 v21, 0x100, v0
	v_or_b32_e32 v20, 0x200, v0
	;; [unrolled: 1-line block ×6, first 2 shown]
	s_andn2_b64 vcc, exec, s[24:25]
	v_addc_co_u32_e64 v18, s[0:1], v18, v23, s[0:1]
	s_cbranch_vccnz .LBB435_79
; %bb.78:
	v_cmp_gt_u32_e32 vcc, v8, v0
	v_cndmask_b32_e32 v22, v9, v16, vcc
	v_cndmask_b32_e32 v23, v15, v18, vcc
	v_add_co_u32_e32 v22, vcc, v22, v1
	v_addc_co_u32_e32 v23, vcc, 0, v23, vcc
	v_cmp_lt_u32_e32 vcc, v21, v8
	s_waitcnt lgkmcnt(3)
	global_store_dword v[22:23], v10, off
	v_cndmask_b32_e32 v22, v9, v16, vcc
	v_cndmask_b32_e32 v23, v15, v18, vcc
	v_add_co_u32_e32 v22, vcc, v22, v1
	v_addc_co_u32_e32 v23, vcc, 0, v23, vcc
	v_cmp_lt_u32_e32 vcc, v20, v8
	global_store_dword v[22:23], v11, off offset:1024
	v_cndmask_b32_e32 v22, v9, v16, vcc
	v_cndmask_b32_e32 v23, v15, v18, vcc
	v_add_co_u32_e32 v22, vcc, v22, v1
	v_addc_co_u32_e32 v23, vcc, 0, v23, vcc
	v_cmp_lt_u32_e32 vcc, v19, v8
	s_waitcnt lgkmcnt(2)
	global_store_dword v[22:23], v6, off offset:2048
	v_cndmask_b32_e32 v22, v9, v16, vcc
	v_cndmask_b32_e32 v23, v15, v18, vcc
	v_add_co_u32_e32 v22, vcc, v22, v1
	v_addc_co_u32_e32 v23, vcc, 0, v23, vcc
	v_cmp_lt_u32_e32 vcc, v17, v8
	global_store_dword v[22:23], v7, off offset:3072
	v_cndmask_b32_e32 v22, v9, v16, vcc
	v_lshlrev_b32_e32 v24, 2, v17
	v_cndmask_b32_e32 v23, v15, v18, vcc
	v_add_co_u32_e32 v22, vcc, v22, v24
	v_addc_co_u32_e32 v23, vcc, 0, v23, vcc
	v_cmp_lt_u32_e32 vcc, v14, v8
	s_waitcnt lgkmcnt(1)
	global_store_dword v[22:23], v4, off
	v_cndmask_b32_e32 v22, v9, v16, vcc
	v_lshlrev_b32_e32 v24, 2, v14
	v_cndmask_b32_e32 v23, v15, v18, vcc
	v_add_co_u32_e32 v22, vcc, v22, v24
	v_addc_co_u32_e32 v23, vcc, 0, v23, vcc
	s_mov_b64 s[0:1], -1
	global_store_dword v[22:23], v5, off
	s_cbranch_execz .LBB435_80
	s_branch .LBB435_88
.LBB435_79:
	s_mov_b64 s[0:1], 0
.LBB435_80:
	v_cmp_gt_u32_e32 vcc, s33, v0
	s_and_saveexec_b64 s[0:1], vcc
	s_cbranch_execnz .LBB435_93
; %bb.81:
	s_or_b64 exec, exec, s[0:1]
	v_cmp_gt_u32_e32 vcc, s33, v21
	s_and_saveexec_b64 s[0:1], vcc
	s_cbranch_execnz .LBB435_94
.LBB435_82:
	s_or_b64 exec, exec, s[0:1]
	v_cmp_gt_u32_e32 vcc, s33, v20
	s_and_saveexec_b64 s[0:1], vcc
	s_cbranch_execnz .LBB435_95
.LBB435_83:
	s_or_b64 exec, exec, s[0:1]
	v_cmp_gt_u32_e32 vcc, s33, v19
	s_and_saveexec_b64 s[0:1], vcc
	s_cbranch_execnz .LBB435_96
.LBB435_84:
	s_or_b64 exec, exec, s[0:1]
	v_cmp_gt_u32_e32 vcc, s33, v17
	s_and_saveexec_b64 s[0:1], vcc
	s_cbranch_execnz .LBB435_97
.LBB435_85:
	s_or_b64 exec, exec, s[0:1]
	v_cmp_gt_u32_e32 vcc, s33, v14
	s_and_saveexec_b64 s[0:1], vcc
	s_cbranch_execz .LBB435_87
.LBB435_86:
	v_cmp_lt_u32_e32 vcc, v14, v8
	s_waitcnt lgkmcnt(1)
	v_cndmask_b32_e32 v4, v9, v16, vcc
	v_lshlrev_b32_e32 v6, 2, v14
	v_cndmask_b32_e32 v1, v15, v18, vcc
	v_add_co_u32_e32 v6, vcc, v4, v6
	v_addc_co_u32_e32 v7, vcc, 0, v1, vcc
	global_store_dword v[6:7], v5, off
.LBB435_87:
	s_or_b64 exec, exec, s[0:1]
	v_cmp_gt_u32_e64 s[0:1], s33, v13
.LBB435_88:
	s_and_saveexec_b64 s[2:3], s[0:1]
	s_cbranch_execz .LBB435_90
; %bb.89:
	v_cmp_lt_u32_e32 vcc, v13, v8
	s_waitcnt lgkmcnt(1)
	v_cndmask_b32_e32 v4, v9, v16, vcc
	v_lshlrev_b32_e32 v5, 2, v13
	v_cndmask_b32_e32 v1, v15, v18, vcc
	v_add_co_u32_e32 v4, vcc, v4, v5
	v_addc_co_u32_e32 v5, vcc, 0, v1, vcc
	s_waitcnt lgkmcnt(0)
	global_store_dword v[4:5], v12, off
.LBB435_90:
	s_or_b64 exec, exec, s[2:3]
	v_cmp_eq_u32_e32 vcc, 0, v0
	s_and_b64 s[0:1], vcc, s[22:23]
	s_and_saveexec_b64 s[2:3], s[0:1]
	s_cbranch_execz .LBB435_92
; %bb.91:
	v_mov_b32_e32 v0, 0
	global_store_dwordx2 v0, v[2:3], s[20:21]
.LBB435_92:
	s_endpgm
.LBB435_93:
	v_cmp_gt_u32_e32 vcc, v8, v0
	v_cndmask_b32_e32 v22, v9, v16, vcc
	v_cndmask_b32_e32 v23, v15, v18, vcc
	v_add_co_u32_e32 v22, vcc, v22, v1
	v_addc_co_u32_e32 v23, vcc, 0, v23, vcc
	s_waitcnt lgkmcnt(3)
	global_store_dword v[22:23], v10, off
	s_or_b64 exec, exec, s[0:1]
	v_cmp_gt_u32_e32 vcc, s33, v21
	s_and_saveexec_b64 s[0:1], vcc
	s_cbranch_execz .LBB435_82
.LBB435_94:
	v_cmp_lt_u32_e32 vcc, v21, v8
	v_cndmask_b32_e32 v21, v9, v16, vcc
	s_waitcnt lgkmcnt(3)
	v_cndmask_b32_e32 v10, v15, v18, vcc
	v_add_co_u32_e32 v22, vcc, v21, v1
	v_addc_co_u32_e32 v23, vcc, 0, v10, vcc
	global_store_dword v[22:23], v11, off offset:1024
	s_or_b64 exec, exec, s[0:1]
	v_cmp_gt_u32_e32 vcc, s33, v20
	s_and_saveexec_b64 s[0:1], vcc
	s_cbranch_execz .LBB435_83
.LBB435_95:
	v_cmp_lt_u32_e32 vcc, v20, v8
	s_waitcnt lgkmcnt(3)
	v_cndmask_b32_e32 v10, v9, v16, vcc
	v_cndmask_b32_e32 v11, v15, v18, vcc
	v_add_co_u32_e32 v10, vcc, v10, v1
	v_addc_co_u32_e32 v11, vcc, 0, v11, vcc
	s_waitcnt lgkmcnt(2)
	global_store_dword v[10:11], v6, off offset:2048
	s_or_b64 exec, exec, s[0:1]
	v_cmp_gt_u32_e32 vcc, s33, v19
	s_and_saveexec_b64 s[0:1], vcc
	s_cbranch_execz .LBB435_84
.LBB435_96:
	v_cmp_lt_u32_e32 vcc, v19, v8
	s_waitcnt lgkmcnt(3)
	v_cndmask_b32_e32 v10, v9, v16, vcc
	s_waitcnt lgkmcnt(2)
	v_cndmask_b32_e32 v6, v15, v18, vcc
	v_add_co_u32_e32 v10, vcc, v10, v1
	v_addc_co_u32_e32 v11, vcc, 0, v6, vcc
	global_store_dword v[10:11], v7, off offset:3072
	s_or_b64 exec, exec, s[0:1]
	v_cmp_gt_u32_e32 vcc, s33, v17
	s_and_saveexec_b64 s[0:1], vcc
	s_cbranch_execz .LBB435_85
.LBB435_97:
	v_cmp_lt_u32_e32 vcc, v17, v8
	s_waitcnt lgkmcnt(2)
	v_cndmask_b32_e32 v6, v9, v16, vcc
	v_lshlrev_b32_e32 v7, 2, v17
	v_cndmask_b32_e32 v1, v15, v18, vcc
	v_add_co_u32_e32 v6, vcc, v6, v7
	v_addc_co_u32_e32 v7, vcc, 0, v1, vcc
	s_waitcnt lgkmcnt(1)
	global_store_dword v[6:7], v4, off
	s_or_b64 exec, exec, s[0:1]
	v_cmp_gt_u32_e32 vcc, s33, v14
	s_and_saveexec_b64 s[0:1], vcc
	s_cbranch_execnz .LBB435_86
	s_branch .LBB435_87
	.section	.rodata,"a",@progbits
	.p2align	6, 0x0
	.amdhsa_kernel _ZN7rocprim17ROCPRIM_400000_NS6detail17trampoline_kernelINS0_14default_configENS1_25partition_config_selectorILNS1_17partition_subalgoE1EiNS0_10empty_typeEbEEZZNS1_14partition_implILS5_1ELb0ES3_jN6thrust23THRUST_200600_302600_NS6detail15normal_iteratorINSA_10device_ptrIiEEEEPS6_NSA_18transform_iteratorI7is_evenIiESF_NSA_11use_defaultESK_EENS0_5tupleIJSF_SF_EEENSM_IJSG_SG_EEES6_PlJS6_EEE10hipError_tPvRmT3_T4_T5_T6_T7_T9_mT8_P12ihipStream_tbDpT10_ENKUlT_T0_E_clISt17integral_constantIbLb1EES18_IbLb0EEEEDaS14_S15_EUlS14_E_NS1_11comp_targetILNS1_3genE4ELNS1_11target_archE910ELNS1_3gpuE8ELNS1_3repE0EEENS1_30default_config_static_selectorELNS0_4arch9wavefront6targetE1EEEvT1_
		.amdhsa_group_segment_fixed_size 7176
		.amdhsa_private_segment_fixed_size 0
		.amdhsa_kernarg_size 128
		.amdhsa_user_sgpr_count 6
		.amdhsa_user_sgpr_private_segment_buffer 1
		.amdhsa_user_sgpr_dispatch_ptr 0
		.amdhsa_user_sgpr_queue_ptr 0
		.amdhsa_user_sgpr_kernarg_segment_ptr 1
		.amdhsa_user_sgpr_dispatch_id 0
		.amdhsa_user_sgpr_flat_scratch_init 0
		.amdhsa_user_sgpr_kernarg_preload_length 0
		.amdhsa_user_sgpr_kernarg_preload_offset 0
		.amdhsa_user_sgpr_private_segment_size 0
		.amdhsa_uses_dynamic_stack 0
		.amdhsa_system_sgpr_private_segment_wavefront_offset 0
		.amdhsa_system_sgpr_workgroup_id_x 1
		.amdhsa_system_sgpr_workgroup_id_y 0
		.amdhsa_system_sgpr_workgroup_id_z 0
		.amdhsa_system_sgpr_workgroup_info 0
		.amdhsa_system_vgpr_workitem_id 0
		.amdhsa_next_free_vgpr 47
		.amdhsa_next_free_sgpr 44
		.amdhsa_accum_offset 48
		.amdhsa_reserve_vcc 1
		.amdhsa_reserve_flat_scratch 0
		.amdhsa_float_round_mode_32 0
		.amdhsa_float_round_mode_16_64 0
		.amdhsa_float_denorm_mode_32 3
		.amdhsa_float_denorm_mode_16_64 3
		.amdhsa_dx10_clamp 1
		.amdhsa_ieee_mode 1
		.amdhsa_fp16_overflow 0
		.amdhsa_tg_split 0
		.amdhsa_exception_fp_ieee_invalid_op 0
		.amdhsa_exception_fp_denorm_src 0
		.amdhsa_exception_fp_ieee_div_zero 0
		.amdhsa_exception_fp_ieee_overflow 0
		.amdhsa_exception_fp_ieee_underflow 0
		.amdhsa_exception_fp_ieee_inexact 0
		.amdhsa_exception_int_div_zero 0
	.end_amdhsa_kernel
	.section	.text._ZN7rocprim17ROCPRIM_400000_NS6detail17trampoline_kernelINS0_14default_configENS1_25partition_config_selectorILNS1_17partition_subalgoE1EiNS0_10empty_typeEbEEZZNS1_14partition_implILS5_1ELb0ES3_jN6thrust23THRUST_200600_302600_NS6detail15normal_iteratorINSA_10device_ptrIiEEEEPS6_NSA_18transform_iteratorI7is_evenIiESF_NSA_11use_defaultESK_EENS0_5tupleIJSF_SF_EEENSM_IJSG_SG_EEES6_PlJS6_EEE10hipError_tPvRmT3_T4_T5_T6_T7_T9_mT8_P12ihipStream_tbDpT10_ENKUlT_T0_E_clISt17integral_constantIbLb1EES18_IbLb0EEEEDaS14_S15_EUlS14_E_NS1_11comp_targetILNS1_3genE4ELNS1_11target_archE910ELNS1_3gpuE8ELNS1_3repE0EEENS1_30default_config_static_selectorELNS0_4arch9wavefront6targetE1EEEvT1_,"axG",@progbits,_ZN7rocprim17ROCPRIM_400000_NS6detail17trampoline_kernelINS0_14default_configENS1_25partition_config_selectorILNS1_17partition_subalgoE1EiNS0_10empty_typeEbEEZZNS1_14partition_implILS5_1ELb0ES3_jN6thrust23THRUST_200600_302600_NS6detail15normal_iteratorINSA_10device_ptrIiEEEEPS6_NSA_18transform_iteratorI7is_evenIiESF_NSA_11use_defaultESK_EENS0_5tupleIJSF_SF_EEENSM_IJSG_SG_EEES6_PlJS6_EEE10hipError_tPvRmT3_T4_T5_T6_T7_T9_mT8_P12ihipStream_tbDpT10_ENKUlT_T0_E_clISt17integral_constantIbLb1EES18_IbLb0EEEEDaS14_S15_EUlS14_E_NS1_11comp_targetILNS1_3genE4ELNS1_11target_archE910ELNS1_3gpuE8ELNS1_3repE0EEENS1_30default_config_static_selectorELNS0_4arch9wavefront6targetE1EEEvT1_,comdat
.Lfunc_end435:
	.size	_ZN7rocprim17ROCPRIM_400000_NS6detail17trampoline_kernelINS0_14default_configENS1_25partition_config_selectorILNS1_17partition_subalgoE1EiNS0_10empty_typeEbEEZZNS1_14partition_implILS5_1ELb0ES3_jN6thrust23THRUST_200600_302600_NS6detail15normal_iteratorINSA_10device_ptrIiEEEEPS6_NSA_18transform_iteratorI7is_evenIiESF_NSA_11use_defaultESK_EENS0_5tupleIJSF_SF_EEENSM_IJSG_SG_EEES6_PlJS6_EEE10hipError_tPvRmT3_T4_T5_T6_T7_T9_mT8_P12ihipStream_tbDpT10_ENKUlT_T0_E_clISt17integral_constantIbLb1EES18_IbLb0EEEEDaS14_S15_EUlS14_E_NS1_11comp_targetILNS1_3genE4ELNS1_11target_archE910ELNS1_3gpuE8ELNS1_3repE0EEENS1_30default_config_static_selectorELNS0_4arch9wavefront6targetE1EEEvT1_, .Lfunc_end435-_ZN7rocprim17ROCPRIM_400000_NS6detail17trampoline_kernelINS0_14default_configENS1_25partition_config_selectorILNS1_17partition_subalgoE1EiNS0_10empty_typeEbEEZZNS1_14partition_implILS5_1ELb0ES3_jN6thrust23THRUST_200600_302600_NS6detail15normal_iteratorINSA_10device_ptrIiEEEEPS6_NSA_18transform_iteratorI7is_evenIiESF_NSA_11use_defaultESK_EENS0_5tupleIJSF_SF_EEENSM_IJSG_SG_EEES6_PlJS6_EEE10hipError_tPvRmT3_T4_T5_T6_T7_T9_mT8_P12ihipStream_tbDpT10_ENKUlT_T0_E_clISt17integral_constantIbLb1EES18_IbLb0EEEEDaS14_S15_EUlS14_E_NS1_11comp_targetILNS1_3genE4ELNS1_11target_archE910ELNS1_3gpuE8ELNS1_3repE0EEENS1_30default_config_static_selectorELNS0_4arch9wavefront6targetE1EEEvT1_
                                        ; -- End function
	.section	.AMDGPU.csdata,"",@progbits
; Kernel info:
; codeLenInByte = 4696
; NumSgprs: 48
; NumVgprs: 47
; NumAgprs: 0
; TotalNumVgprs: 47
; ScratchSize: 0
; MemoryBound: 0
; FloatMode: 240
; IeeeMode: 1
; LDSByteSize: 7176 bytes/workgroup (compile time only)
; SGPRBlocks: 5
; VGPRBlocks: 5
; NumSGPRsForWavesPerEU: 48
; NumVGPRsForWavesPerEU: 47
; AccumOffset: 48
; Occupancy: 8
; WaveLimiterHint : 1
; COMPUTE_PGM_RSRC2:SCRATCH_EN: 0
; COMPUTE_PGM_RSRC2:USER_SGPR: 6
; COMPUTE_PGM_RSRC2:TRAP_HANDLER: 0
; COMPUTE_PGM_RSRC2:TGID_X_EN: 1
; COMPUTE_PGM_RSRC2:TGID_Y_EN: 0
; COMPUTE_PGM_RSRC2:TGID_Z_EN: 0
; COMPUTE_PGM_RSRC2:TIDIG_COMP_CNT: 0
; COMPUTE_PGM_RSRC3_GFX90A:ACCUM_OFFSET: 11
; COMPUTE_PGM_RSRC3_GFX90A:TG_SPLIT: 0
	.section	.text._ZN7rocprim17ROCPRIM_400000_NS6detail17trampoline_kernelINS0_14default_configENS1_25partition_config_selectorILNS1_17partition_subalgoE1EiNS0_10empty_typeEbEEZZNS1_14partition_implILS5_1ELb0ES3_jN6thrust23THRUST_200600_302600_NS6detail15normal_iteratorINSA_10device_ptrIiEEEEPS6_NSA_18transform_iteratorI7is_evenIiESF_NSA_11use_defaultESK_EENS0_5tupleIJSF_SF_EEENSM_IJSG_SG_EEES6_PlJS6_EEE10hipError_tPvRmT3_T4_T5_T6_T7_T9_mT8_P12ihipStream_tbDpT10_ENKUlT_T0_E_clISt17integral_constantIbLb1EES18_IbLb0EEEEDaS14_S15_EUlS14_E_NS1_11comp_targetILNS1_3genE3ELNS1_11target_archE908ELNS1_3gpuE7ELNS1_3repE0EEENS1_30default_config_static_selectorELNS0_4arch9wavefront6targetE1EEEvT1_,"axG",@progbits,_ZN7rocprim17ROCPRIM_400000_NS6detail17trampoline_kernelINS0_14default_configENS1_25partition_config_selectorILNS1_17partition_subalgoE1EiNS0_10empty_typeEbEEZZNS1_14partition_implILS5_1ELb0ES3_jN6thrust23THRUST_200600_302600_NS6detail15normal_iteratorINSA_10device_ptrIiEEEEPS6_NSA_18transform_iteratorI7is_evenIiESF_NSA_11use_defaultESK_EENS0_5tupleIJSF_SF_EEENSM_IJSG_SG_EEES6_PlJS6_EEE10hipError_tPvRmT3_T4_T5_T6_T7_T9_mT8_P12ihipStream_tbDpT10_ENKUlT_T0_E_clISt17integral_constantIbLb1EES18_IbLb0EEEEDaS14_S15_EUlS14_E_NS1_11comp_targetILNS1_3genE3ELNS1_11target_archE908ELNS1_3gpuE7ELNS1_3repE0EEENS1_30default_config_static_selectorELNS0_4arch9wavefront6targetE1EEEvT1_,comdat
	.protected	_ZN7rocprim17ROCPRIM_400000_NS6detail17trampoline_kernelINS0_14default_configENS1_25partition_config_selectorILNS1_17partition_subalgoE1EiNS0_10empty_typeEbEEZZNS1_14partition_implILS5_1ELb0ES3_jN6thrust23THRUST_200600_302600_NS6detail15normal_iteratorINSA_10device_ptrIiEEEEPS6_NSA_18transform_iteratorI7is_evenIiESF_NSA_11use_defaultESK_EENS0_5tupleIJSF_SF_EEENSM_IJSG_SG_EEES6_PlJS6_EEE10hipError_tPvRmT3_T4_T5_T6_T7_T9_mT8_P12ihipStream_tbDpT10_ENKUlT_T0_E_clISt17integral_constantIbLb1EES18_IbLb0EEEEDaS14_S15_EUlS14_E_NS1_11comp_targetILNS1_3genE3ELNS1_11target_archE908ELNS1_3gpuE7ELNS1_3repE0EEENS1_30default_config_static_selectorELNS0_4arch9wavefront6targetE1EEEvT1_ ; -- Begin function _ZN7rocprim17ROCPRIM_400000_NS6detail17trampoline_kernelINS0_14default_configENS1_25partition_config_selectorILNS1_17partition_subalgoE1EiNS0_10empty_typeEbEEZZNS1_14partition_implILS5_1ELb0ES3_jN6thrust23THRUST_200600_302600_NS6detail15normal_iteratorINSA_10device_ptrIiEEEEPS6_NSA_18transform_iteratorI7is_evenIiESF_NSA_11use_defaultESK_EENS0_5tupleIJSF_SF_EEENSM_IJSG_SG_EEES6_PlJS6_EEE10hipError_tPvRmT3_T4_T5_T6_T7_T9_mT8_P12ihipStream_tbDpT10_ENKUlT_T0_E_clISt17integral_constantIbLb1EES18_IbLb0EEEEDaS14_S15_EUlS14_E_NS1_11comp_targetILNS1_3genE3ELNS1_11target_archE908ELNS1_3gpuE7ELNS1_3repE0EEENS1_30default_config_static_selectorELNS0_4arch9wavefront6targetE1EEEvT1_
	.globl	_ZN7rocprim17ROCPRIM_400000_NS6detail17trampoline_kernelINS0_14default_configENS1_25partition_config_selectorILNS1_17partition_subalgoE1EiNS0_10empty_typeEbEEZZNS1_14partition_implILS5_1ELb0ES3_jN6thrust23THRUST_200600_302600_NS6detail15normal_iteratorINSA_10device_ptrIiEEEEPS6_NSA_18transform_iteratorI7is_evenIiESF_NSA_11use_defaultESK_EENS0_5tupleIJSF_SF_EEENSM_IJSG_SG_EEES6_PlJS6_EEE10hipError_tPvRmT3_T4_T5_T6_T7_T9_mT8_P12ihipStream_tbDpT10_ENKUlT_T0_E_clISt17integral_constantIbLb1EES18_IbLb0EEEEDaS14_S15_EUlS14_E_NS1_11comp_targetILNS1_3genE3ELNS1_11target_archE908ELNS1_3gpuE7ELNS1_3repE0EEENS1_30default_config_static_selectorELNS0_4arch9wavefront6targetE1EEEvT1_
	.p2align	8
	.type	_ZN7rocprim17ROCPRIM_400000_NS6detail17trampoline_kernelINS0_14default_configENS1_25partition_config_selectorILNS1_17partition_subalgoE1EiNS0_10empty_typeEbEEZZNS1_14partition_implILS5_1ELb0ES3_jN6thrust23THRUST_200600_302600_NS6detail15normal_iteratorINSA_10device_ptrIiEEEEPS6_NSA_18transform_iteratorI7is_evenIiESF_NSA_11use_defaultESK_EENS0_5tupleIJSF_SF_EEENSM_IJSG_SG_EEES6_PlJS6_EEE10hipError_tPvRmT3_T4_T5_T6_T7_T9_mT8_P12ihipStream_tbDpT10_ENKUlT_T0_E_clISt17integral_constantIbLb1EES18_IbLb0EEEEDaS14_S15_EUlS14_E_NS1_11comp_targetILNS1_3genE3ELNS1_11target_archE908ELNS1_3gpuE7ELNS1_3repE0EEENS1_30default_config_static_selectorELNS0_4arch9wavefront6targetE1EEEvT1_,@function
_ZN7rocprim17ROCPRIM_400000_NS6detail17trampoline_kernelINS0_14default_configENS1_25partition_config_selectorILNS1_17partition_subalgoE1EiNS0_10empty_typeEbEEZZNS1_14partition_implILS5_1ELb0ES3_jN6thrust23THRUST_200600_302600_NS6detail15normal_iteratorINSA_10device_ptrIiEEEEPS6_NSA_18transform_iteratorI7is_evenIiESF_NSA_11use_defaultESK_EENS0_5tupleIJSF_SF_EEENSM_IJSG_SG_EEES6_PlJS6_EEE10hipError_tPvRmT3_T4_T5_T6_T7_T9_mT8_P12ihipStream_tbDpT10_ENKUlT_T0_E_clISt17integral_constantIbLb1EES18_IbLb0EEEEDaS14_S15_EUlS14_E_NS1_11comp_targetILNS1_3genE3ELNS1_11target_archE908ELNS1_3gpuE7ELNS1_3repE0EEENS1_30default_config_static_selectorELNS0_4arch9wavefront6targetE1EEEvT1_: ; @_ZN7rocprim17ROCPRIM_400000_NS6detail17trampoline_kernelINS0_14default_configENS1_25partition_config_selectorILNS1_17partition_subalgoE1EiNS0_10empty_typeEbEEZZNS1_14partition_implILS5_1ELb0ES3_jN6thrust23THRUST_200600_302600_NS6detail15normal_iteratorINSA_10device_ptrIiEEEEPS6_NSA_18transform_iteratorI7is_evenIiESF_NSA_11use_defaultESK_EENS0_5tupleIJSF_SF_EEENSM_IJSG_SG_EEES6_PlJS6_EEE10hipError_tPvRmT3_T4_T5_T6_T7_T9_mT8_P12ihipStream_tbDpT10_ENKUlT_T0_E_clISt17integral_constantIbLb1EES18_IbLb0EEEEDaS14_S15_EUlS14_E_NS1_11comp_targetILNS1_3genE3ELNS1_11target_archE908ELNS1_3gpuE7ELNS1_3repE0EEENS1_30default_config_static_selectorELNS0_4arch9wavefront6targetE1EEEvT1_
; %bb.0:
	.section	.rodata,"a",@progbits
	.p2align	6, 0x0
	.amdhsa_kernel _ZN7rocprim17ROCPRIM_400000_NS6detail17trampoline_kernelINS0_14default_configENS1_25partition_config_selectorILNS1_17partition_subalgoE1EiNS0_10empty_typeEbEEZZNS1_14partition_implILS5_1ELb0ES3_jN6thrust23THRUST_200600_302600_NS6detail15normal_iteratorINSA_10device_ptrIiEEEEPS6_NSA_18transform_iteratorI7is_evenIiESF_NSA_11use_defaultESK_EENS0_5tupleIJSF_SF_EEENSM_IJSG_SG_EEES6_PlJS6_EEE10hipError_tPvRmT3_T4_T5_T6_T7_T9_mT8_P12ihipStream_tbDpT10_ENKUlT_T0_E_clISt17integral_constantIbLb1EES18_IbLb0EEEEDaS14_S15_EUlS14_E_NS1_11comp_targetILNS1_3genE3ELNS1_11target_archE908ELNS1_3gpuE7ELNS1_3repE0EEENS1_30default_config_static_selectorELNS0_4arch9wavefront6targetE1EEEvT1_
		.amdhsa_group_segment_fixed_size 0
		.amdhsa_private_segment_fixed_size 0
		.amdhsa_kernarg_size 128
		.amdhsa_user_sgpr_count 6
		.amdhsa_user_sgpr_private_segment_buffer 1
		.amdhsa_user_sgpr_dispatch_ptr 0
		.amdhsa_user_sgpr_queue_ptr 0
		.amdhsa_user_sgpr_kernarg_segment_ptr 1
		.amdhsa_user_sgpr_dispatch_id 0
		.amdhsa_user_sgpr_flat_scratch_init 0
		.amdhsa_user_sgpr_kernarg_preload_length 0
		.amdhsa_user_sgpr_kernarg_preload_offset 0
		.amdhsa_user_sgpr_private_segment_size 0
		.amdhsa_uses_dynamic_stack 0
		.amdhsa_system_sgpr_private_segment_wavefront_offset 0
		.amdhsa_system_sgpr_workgroup_id_x 1
		.amdhsa_system_sgpr_workgroup_id_y 0
		.amdhsa_system_sgpr_workgroup_id_z 0
		.amdhsa_system_sgpr_workgroup_info 0
		.amdhsa_system_vgpr_workitem_id 0
		.amdhsa_next_free_vgpr 1
		.amdhsa_next_free_sgpr 0
		.amdhsa_accum_offset 4
		.amdhsa_reserve_vcc 0
		.amdhsa_reserve_flat_scratch 0
		.amdhsa_float_round_mode_32 0
		.amdhsa_float_round_mode_16_64 0
		.amdhsa_float_denorm_mode_32 3
		.amdhsa_float_denorm_mode_16_64 3
		.amdhsa_dx10_clamp 1
		.amdhsa_ieee_mode 1
		.amdhsa_fp16_overflow 0
		.amdhsa_tg_split 0
		.amdhsa_exception_fp_ieee_invalid_op 0
		.amdhsa_exception_fp_denorm_src 0
		.amdhsa_exception_fp_ieee_div_zero 0
		.amdhsa_exception_fp_ieee_overflow 0
		.amdhsa_exception_fp_ieee_underflow 0
		.amdhsa_exception_fp_ieee_inexact 0
		.amdhsa_exception_int_div_zero 0
	.end_amdhsa_kernel
	.section	.text._ZN7rocprim17ROCPRIM_400000_NS6detail17trampoline_kernelINS0_14default_configENS1_25partition_config_selectorILNS1_17partition_subalgoE1EiNS0_10empty_typeEbEEZZNS1_14partition_implILS5_1ELb0ES3_jN6thrust23THRUST_200600_302600_NS6detail15normal_iteratorINSA_10device_ptrIiEEEEPS6_NSA_18transform_iteratorI7is_evenIiESF_NSA_11use_defaultESK_EENS0_5tupleIJSF_SF_EEENSM_IJSG_SG_EEES6_PlJS6_EEE10hipError_tPvRmT3_T4_T5_T6_T7_T9_mT8_P12ihipStream_tbDpT10_ENKUlT_T0_E_clISt17integral_constantIbLb1EES18_IbLb0EEEEDaS14_S15_EUlS14_E_NS1_11comp_targetILNS1_3genE3ELNS1_11target_archE908ELNS1_3gpuE7ELNS1_3repE0EEENS1_30default_config_static_selectorELNS0_4arch9wavefront6targetE1EEEvT1_,"axG",@progbits,_ZN7rocprim17ROCPRIM_400000_NS6detail17trampoline_kernelINS0_14default_configENS1_25partition_config_selectorILNS1_17partition_subalgoE1EiNS0_10empty_typeEbEEZZNS1_14partition_implILS5_1ELb0ES3_jN6thrust23THRUST_200600_302600_NS6detail15normal_iteratorINSA_10device_ptrIiEEEEPS6_NSA_18transform_iteratorI7is_evenIiESF_NSA_11use_defaultESK_EENS0_5tupleIJSF_SF_EEENSM_IJSG_SG_EEES6_PlJS6_EEE10hipError_tPvRmT3_T4_T5_T6_T7_T9_mT8_P12ihipStream_tbDpT10_ENKUlT_T0_E_clISt17integral_constantIbLb1EES18_IbLb0EEEEDaS14_S15_EUlS14_E_NS1_11comp_targetILNS1_3genE3ELNS1_11target_archE908ELNS1_3gpuE7ELNS1_3repE0EEENS1_30default_config_static_selectorELNS0_4arch9wavefront6targetE1EEEvT1_,comdat
.Lfunc_end436:
	.size	_ZN7rocprim17ROCPRIM_400000_NS6detail17trampoline_kernelINS0_14default_configENS1_25partition_config_selectorILNS1_17partition_subalgoE1EiNS0_10empty_typeEbEEZZNS1_14partition_implILS5_1ELb0ES3_jN6thrust23THRUST_200600_302600_NS6detail15normal_iteratorINSA_10device_ptrIiEEEEPS6_NSA_18transform_iteratorI7is_evenIiESF_NSA_11use_defaultESK_EENS0_5tupleIJSF_SF_EEENSM_IJSG_SG_EEES6_PlJS6_EEE10hipError_tPvRmT3_T4_T5_T6_T7_T9_mT8_P12ihipStream_tbDpT10_ENKUlT_T0_E_clISt17integral_constantIbLb1EES18_IbLb0EEEEDaS14_S15_EUlS14_E_NS1_11comp_targetILNS1_3genE3ELNS1_11target_archE908ELNS1_3gpuE7ELNS1_3repE0EEENS1_30default_config_static_selectorELNS0_4arch9wavefront6targetE1EEEvT1_, .Lfunc_end436-_ZN7rocprim17ROCPRIM_400000_NS6detail17trampoline_kernelINS0_14default_configENS1_25partition_config_selectorILNS1_17partition_subalgoE1EiNS0_10empty_typeEbEEZZNS1_14partition_implILS5_1ELb0ES3_jN6thrust23THRUST_200600_302600_NS6detail15normal_iteratorINSA_10device_ptrIiEEEEPS6_NSA_18transform_iteratorI7is_evenIiESF_NSA_11use_defaultESK_EENS0_5tupleIJSF_SF_EEENSM_IJSG_SG_EEES6_PlJS6_EEE10hipError_tPvRmT3_T4_T5_T6_T7_T9_mT8_P12ihipStream_tbDpT10_ENKUlT_T0_E_clISt17integral_constantIbLb1EES18_IbLb0EEEEDaS14_S15_EUlS14_E_NS1_11comp_targetILNS1_3genE3ELNS1_11target_archE908ELNS1_3gpuE7ELNS1_3repE0EEENS1_30default_config_static_selectorELNS0_4arch9wavefront6targetE1EEEvT1_
                                        ; -- End function
	.section	.AMDGPU.csdata,"",@progbits
; Kernel info:
; codeLenInByte = 0
; NumSgprs: 4
; NumVgprs: 0
; NumAgprs: 0
; TotalNumVgprs: 0
; ScratchSize: 0
; MemoryBound: 0
; FloatMode: 240
; IeeeMode: 1
; LDSByteSize: 0 bytes/workgroup (compile time only)
; SGPRBlocks: 0
; VGPRBlocks: 0
; NumSGPRsForWavesPerEU: 4
; NumVGPRsForWavesPerEU: 1
; AccumOffset: 4
; Occupancy: 8
; WaveLimiterHint : 0
; COMPUTE_PGM_RSRC2:SCRATCH_EN: 0
; COMPUTE_PGM_RSRC2:USER_SGPR: 6
; COMPUTE_PGM_RSRC2:TRAP_HANDLER: 0
; COMPUTE_PGM_RSRC2:TGID_X_EN: 1
; COMPUTE_PGM_RSRC2:TGID_Y_EN: 0
; COMPUTE_PGM_RSRC2:TGID_Z_EN: 0
; COMPUTE_PGM_RSRC2:TIDIG_COMP_CNT: 0
; COMPUTE_PGM_RSRC3_GFX90A:ACCUM_OFFSET: 0
; COMPUTE_PGM_RSRC3_GFX90A:TG_SPLIT: 0
	.section	.text._ZN7rocprim17ROCPRIM_400000_NS6detail17trampoline_kernelINS0_14default_configENS1_25partition_config_selectorILNS1_17partition_subalgoE1EiNS0_10empty_typeEbEEZZNS1_14partition_implILS5_1ELb0ES3_jN6thrust23THRUST_200600_302600_NS6detail15normal_iteratorINSA_10device_ptrIiEEEEPS6_NSA_18transform_iteratorI7is_evenIiESF_NSA_11use_defaultESK_EENS0_5tupleIJSF_SF_EEENSM_IJSG_SG_EEES6_PlJS6_EEE10hipError_tPvRmT3_T4_T5_T6_T7_T9_mT8_P12ihipStream_tbDpT10_ENKUlT_T0_E_clISt17integral_constantIbLb1EES18_IbLb0EEEEDaS14_S15_EUlS14_E_NS1_11comp_targetILNS1_3genE2ELNS1_11target_archE906ELNS1_3gpuE6ELNS1_3repE0EEENS1_30default_config_static_selectorELNS0_4arch9wavefront6targetE1EEEvT1_,"axG",@progbits,_ZN7rocprim17ROCPRIM_400000_NS6detail17trampoline_kernelINS0_14default_configENS1_25partition_config_selectorILNS1_17partition_subalgoE1EiNS0_10empty_typeEbEEZZNS1_14partition_implILS5_1ELb0ES3_jN6thrust23THRUST_200600_302600_NS6detail15normal_iteratorINSA_10device_ptrIiEEEEPS6_NSA_18transform_iteratorI7is_evenIiESF_NSA_11use_defaultESK_EENS0_5tupleIJSF_SF_EEENSM_IJSG_SG_EEES6_PlJS6_EEE10hipError_tPvRmT3_T4_T5_T6_T7_T9_mT8_P12ihipStream_tbDpT10_ENKUlT_T0_E_clISt17integral_constantIbLb1EES18_IbLb0EEEEDaS14_S15_EUlS14_E_NS1_11comp_targetILNS1_3genE2ELNS1_11target_archE906ELNS1_3gpuE6ELNS1_3repE0EEENS1_30default_config_static_selectorELNS0_4arch9wavefront6targetE1EEEvT1_,comdat
	.protected	_ZN7rocprim17ROCPRIM_400000_NS6detail17trampoline_kernelINS0_14default_configENS1_25partition_config_selectorILNS1_17partition_subalgoE1EiNS0_10empty_typeEbEEZZNS1_14partition_implILS5_1ELb0ES3_jN6thrust23THRUST_200600_302600_NS6detail15normal_iteratorINSA_10device_ptrIiEEEEPS6_NSA_18transform_iteratorI7is_evenIiESF_NSA_11use_defaultESK_EENS0_5tupleIJSF_SF_EEENSM_IJSG_SG_EEES6_PlJS6_EEE10hipError_tPvRmT3_T4_T5_T6_T7_T9_mT8_P12ihipStream_tbDpT10_ENKUlT_T0_E_clISt17integral_constantIbLb1EES18_IbLb0EEEEDaS14_S15_EUlS14_E_NS1_11comp_targetILNS1_3genE2ELNS1_11target_archE906ELNS1_3gpuE6ELNS1_3repE0EEENS1_30default_config_static_selectorELNS0_4arch9wavefront6targetE1EEEvT1_ ; -- Begin function _ZN7rocprim17ROCPRIM_400000_NS6detail17trampoline_kernelINS0_14default_configENS1_25partition_config_selectorILNS1_17partition_subalgoE1EiNS0_10empty_typeEbEEZZNS1_14partition_implILS5_1ELb0ES3_jN6thrust23THRUST_200600_302600_NS6detail15normal_iteratorINSA_10device_ptrIiEEEEPS6_NSA_18transform_iteratorI7is_evenIiESF_NSA_11use_defaultESK_EENS0_5tupleIJSF_SF_EEENSM_IJSG_SG_EEES6_PlJS6_EEE10hipError_tPvRmT3_T4_T5_T6_T7_T9_mT8_P12ihipStream_tbDpT10_ENKUlT_T0_E_clISt17integral_constantIbLb1EES18_IbLb0EEEEDaS14_S15_EUlS14_E_NS1_11comp_targetILNS1_3genE2ELNS1_11target_archE906ELNS1_3gpuE6ELNS1_3repE0EEENS1_30default_config_static_selectorELNS0_4arch9wavefront6targetE1EEEvT1_
	.globl	_ZN7rocprim17ROCPRIM_400000_NS6detail17trampoline_kernelINS0_14default_configENS1_25partition_config_selectorILNS1_17partition_subalgoE1EiNS0_10empty_typeEbEEZZNS1_14partition_implILS5_1ELb0ES3_jN6thrust23THRUST_200600_302600_NS6detail15normal_iteratorINSA_10device_ptrIiEEEEPS6_NSA_18transform_iteratorI7is_evenIiESF_NSA_11use_defaultESK_EENS0_5tupleIJSF_SF_EEENSM_IJSG_SG_EEES6_PlJS6_EEE10hipError_tPvRmT3_T4_T5_T6_T7_T9_mT8_P12ihipStream_tbDpT10_ENKUlT_T0_E_clISt17integral_constantIbLb1EES18_IbLb0EEEEDaS14_S15_EUlS14_E_NS1_11comp_targetILNS1_3genE2ELNS1_11target_archE906ELNS1_3gpuE6ELNS1_3repE0EEENS1_30default_config_static_selectorELNS0_4arch9wavefront6targetE1EEEvT1_
	.p2align	8
	.type	_ZN7rocprim17ROCPRIM_400000_NS6detail17trampoline_kernelINS0_14default_configENS1_25partition_config_selectorILNS1_17partition_subalgoE1EiNS0_10empty_typeEbEEZZNS1_14partition_implILS5_1ELb0ES3_jN6thrust23THRUST_200600_302600_NS6detail15normal_iteratorINSA_10device_ptrIiEEEEPS6_NSA_18transform_iteratorI7is_evenIiESF_NSA_11use_defaultESK_EENS0_5tupleIJSF_SF_EEENSM_IJSG_SG_EEES6_PlJS6_EEE10hipError_tPvRmT3_T4_T5_T6_T7_T9_mT8_P12ihipStream_tbDpT10_ENKUlT_T0_E_clISt17integral_constantIbLb1EES18_IbLb0EEEEDaS14_S15_EUlS14_E_NS1_11comp_targetILNS1_3genE2ELNS1_11target_archE906ELNS1_3gpuE6ELNS1_3repE0EEENS1_30default_config_static_selectorELNS0_4arch9wavefront6targetE1EEEvT1_,@function
_ZN7rocprim17ROCPRIM_400000_NS6detail17trampoline_kernelINS0_14default_configENS1_25partition_config_selectorILNS1_17partition_subalgoE1EiNS0_10empty_typeEbEEZZNS1_14partition_implILS5_1ELb0ES3_jN6thrust23THRUST_200600_302600_NS6detail15normal_iteratorINSA_10device_ptrIiEEEEPS6_NSA_18transform_iteratorI7is_evenIiESF_NSA_11use_defaultESK_EENS0_5tupleIJSF_SF_EEENSM_IJSG_SG_EEES6_PlJS6_EEE10hipError_tPvRmT3_T4_T5_T6_T7_T9_mT8_P12ihipStream_tbDpT10_ENKUlT_T0_E_clISt17integral_constantIbLb1EES18_IbLb0EEEEDaS14_S15_EUlS14_E_NS1_11comp_targetILNS1_3genE2ELNS1_11target_archE906ELNS1_3gpuE6ELNS1_3repE0EEENS1_30default_config_static_selectorELNS0_4arch9wavefront6targetE1EEEvT1_: ; @_ZN7rocprim17ROCPRIM_400000_NS6detail17trampoline_kernelINS0_14default_configENS1_25partition_config_selectorILNS1_17partition_subalgoE1EiNS0_10empty_typeEbEEZZNS1_14partition_implILS5_1ELb0ES3_jN6thrust23THRUST_200600_302600_NS6detail15normal_iteratorINSA_10device_ptrIiEEEEPS6_NSA_18transform_iteratorI7is_evenIiESF_NSA_11use_defaultESK_EENS0_5tupleIJSF_SF_EEENSM_IJSG_SG_EEES6_PlJS6_EEE10hipError_tPvRmT3_T4_T5_T6_T7_T9_mT8_P12ihipStream_tbDpT10_ENKUlT_T0_E_clISt17integral_constantIbLb1EES18_IbLb0EEEEDaS14_S15_EUlS14_E_NS1_11comp_targetILNS1_3genE2ELNS1_11target_archE906ELNS1_3gpuE6ELNS1_3repE0EEENS1_30default_config_static_selectorELNS0_4arch9wavefront6targetE1EEEvT1_
; %bb.0:
	.section	.rodata,"a",@progbits
	.p2align	6, 0x0
	.amdhsa_kernel _ZN7rocprim17ROCPRIM_400000_NS6detail17trampoline_kernelINS0_14default_configENS1_25partition_config_selectorILNS1_17partition_subalgoE1EiNS0_10empty_typeEbEEZZNS1_14partition_implILS5_1ELb0ES3_jN6thrust23THRUST_200600_302600_NS6detail15normal_iteratorINSA_10device_ptrIiEEEEPS6_NSA_18transform_iteratorI7is_evenIiESF_NSA_11use_defaultESK_EENS0_5tupleIJSF_SF_EEENSM_IJSG_SG_EEES6_PlJS6_EEE10hipError_tPvRmT3_T4_T5_T6_T7_T9_mT8_P12ihipStream_tbDpT10_ENKUlT_T0_E_clISt17integral_constantIbLb1EES18_IbLb0EEEEDaS14_S15_EUlS14_E_NS1_11comp_targetILNS1_3genE2ELNS1_11target_archE906ELNS1_3gpuE6ELNS1_3repE0EEENS1_30default_config_static_selectorELNS0_4arch9wavefront6targetE1EEEvT1_
		.amdhsa_group_segment_fixed_size 0
		.amdhsa_private_segment_fixed_size 0
		.amdhsa_kernarg_size 128
		.amdhsa_user_sgpr_count 6
		.amdhsa_user_sgpr_private_segment_buffer 1
		.amdhsa_user_sgpr_dispatch_ptr 0
		.amdhsa_user_sgpr_queue_ptr 0
		.amdhsa_user_sgpr_kernarg_segment_ptr 1
		.amdhsa_user_sgpr_dispatch_id 0
		.amdhsa_user_sgpr_flat_scratch_init 0
		.amdhsa_user_sgpr_kernarg_preload_length 0
		.amdhsa_user_sgpr_kernarg_preload_offset 0
		.amdhsa_user_sgpr_private_segment_size 0
		.amdhsa_uses_dynamic_stack 0
		.amdhsa_system_sgpr_private_segment_wavefront_offset 0
		.amdhsa_system_sgpr_workgroup_id_x 1
		.amdhsa_system_sgpr_workgroup_id_y 0
		.amdhsa_system_sgpr_workgroup_id_z 0
		.amdhsa_system_sgpr_workgroup_info 0
		.amdhsa_system_vgpr_workitem_id 0
		.amdhsa_next_free_vgpr 1
		.amdhsa_next_free_sgpr 0
		.amdhsa_accum_offset 4
		.amdhsa_reserve_vcc 0
		.amdhsa_reserve_flat_scratch 0
		.amdhsa_float_round_mode_32 0
		.amdhsa_float_round_mode_16_64 0
		.amdhsa_float_denorm_mode_32 3
		.amdhsa_float_denorm_mode_16_64 3
		.amdhsa_dx10_clamp 1
		.amdhsa_ieee_mode 1
		.amdhsa_fp16_overflow 0
		.amdhsa_tg_split 0
		.amdhsa_exception_fp_ieee_invalid_op 0
		.amdhsa_exception_fp_denorm_src 0
		.amdhsa_exception_fp_ieee_div_zero 0
		.amdhsa_exception_fp_ieee_overflow 0
		.amdhsa_exception_fp_ieee_underflow 0
		.amdhsa_exception_fp_ieee_inexact 0
		.amdhsa_exception_int_div_zero 0
	.end_amdhsa_kernel
	.section	.text._ZN7rocprim17ROCPRIM_400000_NS6detail17trampoline_kernelINS0_14default_configENS1_25partition_config_selectorILNS1_17partition_subalgoE1EiNS0_10empty_typeEbEEZZNS1_14partition_implILS5_1ELb0ES3_jN6thrust23THRUST_200600_302600_NS6detail15normal_iteratorINSA_10device_ptrIiEEEEPS6_NSA_18transform_iteratorI7is_evenIiESF_NSA_11use_defaultESK_EENS0_5tupleIJSF_SF_EEENSM_IJSG_SG_EEES6_PlJS6_EEE10hipError_tPvRmT3_T4_T5_T6_T7_T9_mT8_P12ihipStream_tbDpT10_ENKUlT_T0_E_clISt17integral_constantIbLb1EES18_IbLb0EEEEDaS14_S15_EUlS14_E_NS1_11comp_targetILNS1_3genE2ELNS1_11target_archE906ELNS1_3gpuE6ELNS1_3repE0EEENS1_30default_config_static_selectorELNS0_4arch9wavefront6targetE1EEEvT1_,"axG",@progbits,_ZN7rocprim17ROCPRIM_400000_NS6detail17trampoline_kernelINS0_14default_configENS1_25partition_config_selectorILNS1_17partition_subalgoE1EiNS0_10empty_typeEbEEZZNS1_14partition_implILS5_1ELb0ES3_jN6thrust23THRUST_200600_302600_NS6detail15normal_iteratorINSA_10device_ptrIiEEEEPS6_NSA_18transform_iteratorI7is_evenIiESF_NSA_11use_defaultESK_EENS0_5tupleIJSF_SF_EEENSM_IJSG_SG_EEES6_PlJS6_EEE10hipError_tPvRmT3_T4_T5_T6_T7_T9_mT8_P12ihipStream_tbDpT10_ENKUlT_T0_E_clISt17integral_constantIbLb1EES18_IbLb0EEEEDaS14_S15_EUlS14_E_NS1_11comp_targetILNS1_3genE2ELNS1_11target_archE906ELNS1_3gpuE6ELNS1_3repE0EEENS1_30default_config_static_selectorELNS0_4arch9wavefront6targetE1EEEvT1_,comdat
.Lfunc_end437:
	.size	_ZN7rocprim17ROCPRIM_400000_NS6detail17trampoline_kernelINS0_14default_configENS1_25partition_config_selectorILNS1_17partition_subalgoE1EiNS0_10empty_typeEbEEZZNS1_14partition_implILS5_1ELb0ES3_jN6thrust23THRUST_200600_302600_NS6detail15normal_iteratorINSA_10device_ptrIiEEEEPS6_NSA_18transform_iteratorI7is_evenIiESF_NSA_11use_defaultESK_EENS0_5tupleIJSF_SF_EEENSM_IJSG_SG_EEES6_PlJS6_EEE10hipError_tPvRmT3_T4_T5_T6_T7_T9_mT8_P12ihipStream_tbDpT10_ENKUlT_T0_E_clISt17integral_constantIbLb1EES18_IbLb0EEEEDaS14_S15_EUlS14_E_NS1_11comp_targetILNS1_3genE2ELNS1_11target_archE906ELNS1_3gpuE6ELNS1_3repE0EEENS1_30default_config_static_selectorELNS0_4arch9wavefront6targetE1EEEvT1_, .Lfunc_end437-_ZN7rocprim17ROCPRIM_400000_NS6detail17trampoline_kernelINS0_14default_configENS1_25partition_config_selectorILNS1_17partition_subalgoE1EiNS0_10empty_typeEbEEZZNS1_14partition_implILS5_1ELb0ES3_jN6thrust23THRUST_200600_302600_NS6detail15normal_iteratorINSA_10device_ptrIiEEEEPS6_NSA_18transform_iteratorI7is_evenIiESF_NSA_11use_defaultESK_EENS0_5tupleIJSF_SF_EEENSM_IJSG_SG_EEES6_PlJS6_EEE10hipError_tPvRmT3_T4_T5_T6_T7_T9_mT8_P12ihipStream_tbDpT10_ENKUlT_T0_E_clISt17integral_constantIbLb1EES18_IbLb0EEEEDaS14_S15_EUlS14_E_NS1_11comp_targetILNS1_3genE2ELNS1_11target_archE906ELNS1_3gpuE6ELNS1_3repE0EEENS1_30default_config_static_selectorELNS0_4arch9wavefront6targetE1EEEvT1_
                                        ; -- End function
	.section	.AMDGPU.csdata,"",@progbits
; Kernel info:
; codeLenInByte = 0
; NumSgprs: 4
; NumVgprs: 0
; NumAgprs: 0
; TotalNumVgprs: 0
; ScratchSize: 0
; MemoryBound: 0
; FloatMode: 240
; IeeeMode: 1
; LDSByteSize: 0 bytes/workgroup (compile time only)
; SGPRBlocks: 0
; VGPRBlocks: 0
; NumSGPRsForWavesPerEU: 4
; NumVGPRsForWavesPerEU: 1
; AccumOffset: 4
; Occupancy: 8
; WaveLimiterHint : 0
; COMPUTE_PGM_RSRC2:SCRATCH_EN: 0
; COMPUTE_PGM_RSRC2:USER_SGPR: 6
; COMPUTE_PGM_RSRC2:TRAP_HANDLER: 0
; COMPUTE_PGM_RSRC2:TGID_X_EN: 1
; COMPUTE_PGM_RSRC2:TGID_Y_EN: 0
; COMPUTE_PGM_RSRC2:TGID_Z_EN: 0
; COMPUTE_PGM_RSRC2:TIDIG_COMP_CNT: 0
; COMPUTE_PGM_RSRC3_GFX90A:ACCUM_OFFSET: 0
; COMPUTE_PGM_RSRC3_GFX90A:TG_SPLIT: 0
	.section	.text._ZN7rocprim17ROCPRIM_400000_NS6detail17trampoline_kernelINS0_14default_configENS1_25partition_config_selectorILNS1_17partition_subalgoE1EiNS0_10empty_typeEbEEZZNS1_14partition_implILS5_1ELb0ES3_jN6thrust23THRUST_200600_302600_NS6detail15normal_iteratorINSA_10device_ptrIiEEEEPS6_NSA_18transform_iteratorI7is_evenIiESF_NSA_11use_defaultESK_EENS0_5tupleIJSF_SF_EEENSM_IJSG_SG_EEES6_PlJS6_EEE10hipError_tPvRmT3_T4_T5_T6_T7_T9_mT8_P12ihipStream_tbDpT10_ENKUlT_T0_E_clISt17integral_constantIbLb1EES18_IbLb0EEEEDaS14_S15_EUlS14_E_NS1_11comp_targetILNS1_3genE10ELNS1_11target_archE1200ELNS1_3gpuE4ELNS1_3repE0EEENS1_30default_config_static_selectorELNS0_4arch9wavefront6targetE1EEEvT1_,"axG",@progbits,_ZN7rocprim17ROCPRIM_400000_NS6detail17trampoline_kernelINS0_14default_configENS1_25partition_config_selectorILNS1_17partition_subalgoE1EiNS0_10empty_typeEbEEZZNS1_14partition_implILS5_1ELb0ES3_jN6thrust23THRUST_200600_302600_NS6detail15normal_iteratorINSA_10device_ptrIiEEEEPS6_NSA_18transform_iteratorI7is_evenIiESF_NSA_11use_defaultESK_EENS0_5tupleIJSF_SF_EEENSM_IJSG_SG_EEES6_PlJS6_EEE10hipError_tPvRmT3_T4_T5_T6_T7_T9_mT8_P12ihipStream_tbDpT10_ENKUlT_T0_E_clISt17integral_constantIbLb1EES18_IbLb0EEEEDaS14_S15_EUlS14_E_NS1_11comp_targetILNS1_3genE10ELNS1_11target_archE1200ELNS1_3gpuE4ELNS1_3repE0EEENS1_30default_config_static_selectorELNS0_4arch9wavefront6targetE1EEEvT1_,comdat
	.protected	_ZN7rocprim17ROCPRIM_400000_NS6detail17trampoline_kernelINS0_14default_configENS1_25partition_config_selectorILNS1_17partition_subalgoE1EiNS0_10empty_typeEbEEZZNS1_14partition_implILS5_1ELb0ES3_jN6thrust23THRUST_200600_302600_NS6detail15normal_iteratorINSA_10device_ptrIiEEEEPS6_NSA_18transform_iteratorI7is_evenIiESF_NSA_11use_defaultESK_EENS0_5tupleIJSF_SF_EEENSM_IJSG_SG_EEES6_PlJS6_EEE10hipError_tPvRmT3_T4_T5_T6_T7_T9_mT8_P12ihipStream_tbDpT10_ENKUlT_T0_E_clISt17integral_constantIbLb1EES18_IbLb0EEEEDaS14_S15_EUlS14_E_NS1_11comp_targetILNS1_3genE10ELNS1_11target_archE1200ELNS1_3gpuE4ELNS1_3repE0EEENS1_30default_config_static_selectorELNS0_4arch9wavefront6targetE1EEEvT1_ ; -- Begin function _ZN7rocprim17ROCPRIM_400000_NS6detail17trampoline_kernelINS0_14default_configENS1_25partition_config_selectorILNS1_17partition_subalgoE1EiNS0_10empty_typeEbEEZZNS1_14partition_implILS5_1ELb0ES3_jN6thrust23THRUST_200600_302600_NS6detail15normal_iteratorINSA_10device_ptrIiEEEEPS6_NSA_18transform_iteratorI7is_evenIiESF_NSA_11use_defaultESK_EENS0_5tupleIJSF_SF_EEENSM_IJSG_SG_EEES6_PlJS6_EEE10hipError_tPvRmT3_T4_T5_T6_T7_T9_mT8_P12ihipStream_tbDpT10_ENKUlT_T0_E_clISt17integral_constantIbLb1EES18_IbLb0EEEEDaS14_S15_EUlS14_E_NS1_11comp_targetILNS1_3genE10ELNS1_11target_archE1200ELNS1_3gpuE4ELNS1_3repE0EEENS1_30default_config_static_selectorELNS0_4arch9wavefront6targetE1EEEvT1_
	.globl	_ZN7rocprim17ROCPRIM_400000_NS6detail17trampoline_kernelINS0_14default_configENS1_25partition_config_selectorILNS1_17partition_subalgoE1EiNS0_10empty_typeEbEEZZNS1_14partition_implILS5_1ELb0ES3_jN6thrust23THRUST_200600_302600_NS6detail15normal_iteratorINSA_10device_ptrIiEEEEPS6_NSA_18transform_iteratorI7is_evenIiESF_NSA_11use_defaultESK_EENS0_5tupleIJSF_SF_EEENSM_IJSG_SG_EEES6_PlJS6_EEE10hipError_tPvRmT3_T4_T5_T6_T7_T9_mT8_P12ihipStream_tbDpT10_ENKUlT_T0_E_clISt17integral_constantIbLb1EES18_IbLb0EEEEDaS14_S15_EUlS14_E_NS1_11comp_targetILNS1_3genE10ELNS1_11target_archE1200ELNS1_3gpuE4ELNS1_3repE0EEENS1_30default_config_static_selectorELNS0_4arch9wavefront6targetE1EEEvT1_
	.p2align	8
	.type	_ZN7rocprim17ROCPRIM_400000_NS6detail17trampoline_kernelINS0_14default_configENS1_25partition_config_selectorILNS1_17partition_subalgoE1EiNS0_10empty_typeEbEEZZNS1_14partition_implILS5_1ELb0ES3_jN6thrust23THRUST_200600_302600_NS6detail15normal_iteratorINSA_10device_ptrIiEEEEPS6_NSA_18transform_iteratorI7is_evenIiESF_NSA_11use_defaultESK_EENS0_5tupleIJSF_SF_EEENSM_IJSG_SG_EEES6_PlJS6_EEE10hipError_tPvRmT3_T4_T5_T6_T7_T9_mT8_P12ihipStream_tbDpT10_ENKUlT_T0_E_clISt17integral_constantIbLb1EES18_IbLb0EEEEDaS14_S15_EUlS14_E_NS1_11comp_targetILNS1_3genE10ELNS1_11target_archE1200ELNS1_3gpuE4ELNS1_3repE0EEENS1_30default_config_static_selectorELNS0_4arch9wavefront6targetE1EEEvT1_,@function
_ZN7rocprim17ROCPRIM_400000_NS6detail17trampoline_kernelINS0_14default_configENS1_25partition_config_selectorILNS1_17partition_subalgoE1EiNS0_10empty_typeEbEEZZNS1_14partition_implILS5_1ELb0ES3_jN6thrust23THRUST_200600_302600_NS6detail15normal_iteratorINSA_10device_ptrIiEEEEPS6_NSA_18transform_iteratorI7is_evenIiESF_NSA_11use_defaultESK_EENS0_5tupleIJSF_SF_EEENSM_IJSG_SG_EEES6_PlJS6_EEE10hipError_tPvRmT3_T4_T5_T6_T7_T9_mT8_P12ihipStream_tbDpT10_ENKUlT_T0_E_clISt17integral_constantIbLb1EES18_IbLb0EEEEDaS14_S15_EUlS14_E_NS1_11comp_targetILNS1_3genE10ELNS1_11target_archE1200ELNS1_3gpuE4ELNS1_3repE0EEENS1_30default_config_static_selectorELNS0_4arch9wavefront6targetE1EEEvT1_: ; @_ZN7rocprim17ROCPRIM_400000_NS6detail17trampoline_kernelINS0_14default_configENS1_25partition_config_selectorILNS1_17partition_subalgoE1EiNS0_10empty_typeEbEEZZNS1_14partition_implILS5_1ELb0ES3_jN6thrust23THRUST_200600_302600_NS6detail15normal_iteratorINSA_10device_ptrIiEEEEPS6_NSA_18transform_iteratorI7is_evenIiESF_NSA_11use_defaultESK_EENS0_5tupleIJSF_SF_EEENSM_IJSG_SG_EEES6_PlJS6_EEE10hipError_tPvRmT3_T4_T5_T6_T7_T9_mT8_P12ihipStream_tbDpT10_ENKUlT_T0_E_clISt17integral_constantIbLb1EES18_IbLb0EEEEDaS14_S15_EUlS14_E_NS1_11comp_targetILNS1_3genE10ELNS1_11target_archE1200ELNS1_3gpuE4ELNS1_3repE0EEENS1_30default_config_static_selectorELNS0_4arch9wavefront6targetE1EEEvT1_
; %bb.0:
	.section	.rodata,"a",@progbits
	.p2align	6, 0x0
	.amdhsa_kernel _ZN7rocprim17ROCPRIM_400000_NS6detail17trampoline_kernelINS0_14default_configENS1_25partition_config_selectorILNS1_17partition_subalgoE1EiNS0_10empty_typeEbEEZZNS1_14partition_implILS5_1ELb0ES3_jN6thrust23THRUST_200600_302600_NS6detail15normal_iteratorINSA_10device_ptrIiEEEEPS6_NSA_18transform_iteratorI7is_evenIiESF_NSA_11use_defaultESK_EENS0_5tupleIJSF_SF_EEENSM_IJSG_SG_EEES6_PlJS6_EEE10hipError_tPvRmT3_T4_T5_T6_T7_T9_mT8_P12ihipStream_tbDpT10_ENKUlT_T0_E_clISt17integral_constantIbLb1EES18_IbLb0EEEEDaS14_S15_EUlS14_E_NS1_11comp_targetILNS1_3genE10ELNS1_11target_archE1200ELNS1_3gpuE4ELNS1_3repE0EEENS1_30default_config_static_selectorELNS0_4arch9wavefront6targetE1EEEvT1_
		.amdhsa_group_segment_fixed_size 0
		.amdhsa_private_segment_fixed_size 0
		.amdhsa_kernarg_size 128
		.amdhsa_user_sgpr_count 6
		.amdhsa_user_sgpr_private_segment_buffer 1
		.amdhsa_user_sgpr_dispatch_ptr 0
		.amdhsa_user_sgpr_queue_ptr 0
		.amdhsa_user_sgpr_kernarg_segment_ptr 1
		.amdhsa_user_sgpr_dispatch_id 0
		.amdhsa_user_sgpr_flat_scratch_init 0
		.amdhsa_user_sgpr_kernarg_preload_length 0
		.amdhsa_user_sgpr_kernarg_preload_offset 0
		.amdhsa_user_sgpr_private_segment_size 0
		.amdhsa_uses_dynamic_stack 0
		.amdhsa_system_sgpr_private_segment_wavefront_offset 0
		.amdhsa_system_sgpr_workgroup_id_x 1
		.amdhsa_system_sgpr_workgroup_id_y 0
		.amdhsa_system_sgpr_workgroup_id_z 0
		.amdhsa_system_sgpr_workgroup_info 0
		.amdhsa_system_vgpr_workitem_id 0
		.amdhsa_next_free_vgpr 1
		.amdhsa_next_free_sgpr 0
		.amdhsa_accum_offset 4
		.amdhsa_reserve_vcc 0
		.amdhsa_reserve_flat_scratch 0
		.amdhsa_float_round_mode_32 0
		.amdhsa_float_round_mode_16_64 0
		.amdhsa_float_denorm_mode_32 3
		.amdhsa_float_denorm_mode_16_64 3
		.amdhsa_dx10_clamp 1
		.amdhsa_ieee_mode 1
		.amdhsa_fp16_overflow 0
		.amdhsa_tg_split 0
		.amdhsa_exception_fp_ieee_invalid_op 0
		.amdhsa_exception_fp_denorm_src 0
		.amdhsa_exception_fp_ieee_div_zero 0
		.amdhsa_exception_fp_ieee_overflow 0
		.amdhsa_exception_fp_ieee_underflow 0
		.amdhsa_exception_fp_ieee_inexact 0
		.amdhsa_exception_int_div_zero 0
	.end_amdhsa_kernel
	.section	.text._ZN7rocprim17ROCPRIM_400000_NS6detail17trampoline_kernelINS0_14default_configENS1_25partition_config_selectorILNS1_17partition_subalgoE1EiNS0_10empty_typeEbEEZZNS1_14partition_implILS5_1ELb0ES3_jN6thrust23THRUST_200600_302600_NS6detail15normal_iteratorINSA_10device_ptrIiEEEEPS6_NSA_18transform_iteratorI7is_evenIiESF_NSA_11use_defaultESK_EENS0_5tupleIJSF_SF_EEENSM_IJSG_SG_EEES6_PlJS6_EEE10hipError_tPvRmT3_T4_T5_T6_T7_T9_mT8_P12ihipStream_tbDpT10_ENKUlT_T0_E_clISt17integral_constantIbLb1EES18_IbLb0EEEEDaS14_S15_EUlS14_E_NS1_11comp_targetILNS1_3genE10ELNS1_11target_archE1200ELNS1_3gpuE4ELNS1_3repE0EEENS1_30default_config_static_selectorELNS0_4arch9wavefront6targetE1EEEvT1_,"axG",@progbits,_ZN7rocprim17ROCPRIM_400000_NS6detail17trampoline_kernelINS0_14default_configENS1_25partition_config_selectorILNS1_17partition_subalgoE1EiNS0_10empty_typeEbEEZZNS1_14partition_implILS5_1ELb0ES3_jN6thrust23THRUST_200600_302600_NS6detail15normal_iteratorINSA_10device_ptrIiEEEEPS6_NSA_18transform_iteratorI7is_evenIiESF_NSA_11use_defaultESK_EENS0_5tupleIJSF_SF_EEENSM_IJSG_SG_EEES6_PlJS6_EEE10hipError_tPvRmT3_T4_T5_T6_T7_T9_mT8_P12ihipStream_tbDpT10_ENKUlT_T0_E_clISt17integral_constantIbLb1EES18_IbLb0EEEEDaS14_S15_EUlS14_E_NS1_11comp_targetILNS1_3genE10ELNS1_11target_archE1200ELNS1_3gpuE4ELNS1_3repE0EEENS1_30default_config_static_selectorELNS0_4arch9wavefront6targetE1EEEvT1_,comdat
.Lfunc_end438:
	.size	_ZN7rocprim17ROCPRIM_400000_NS6detail17trampoline_kernelINS0_14default_configENS1_25partition_config_selectorILNS1_17partition_subalgoE1EiNS0_10empty_typeEbEEZZNS1_14partition_implILS5_1ELb0ES3_jN6thrust23THRUST_200600_302600_NS6detail15normal_iteratorINSA_10device_ptrIiEEEEPS6_NSA_18transform_iteratorI7is_evenIiESF_NSA_11use_defaultESK_EENS0_5tupleIJSF_SF_EEENSM_IJSG_SG_EEES6_PlJS6_EEE10hipError_tPvRmT3_T4_T5_T6_T7_T9_mT8_P12ihipStream_tbDpT10_ENKUlT_T0_E_clISt17integral_constantIbLb1EES18_IbLb0EEEEDaS14_S15_EUlS14_E_NS1_11comp_targetILNS1_3genE10ELNS1_11target_archE1200ELNS1_3gpuE4ELNS1_3repE0EEENS1_30default_config_static_selectorELNS0_4arch9wavefront6targetE1EEEvT1_, .Lfunc_end438-_ZN7rocprim17ROCPRIM_400000_NS6detail17trampoline_kernelINS0_14default_configENS1_25partition_config_selectorILNS1_17partition_subalgoE1EiNS0_10empty_typeEbEEZZNS1_14partition_implILS5_1ELb0ES3_jN6thrust23THRUST_200600_302600_NS6detail15normal_iteratorINSA_10device_ptrIiEEEEPS6_NSA_18transform_iteratorI7is_evenIiESF_NSA_11use_defaultESK_EENS0_5tupleIJSF_SF_EEENSM_IJSG_SG_EEES6_PlJS6_EEE10hipError_tPvRmT3_T4_T5_T6_T7_T9_mT8_P12ihipStream_tbDpT10_ENKUlT_T0_E_clISt17integral_constantIbLb1EES18_IbLb0EEEEDaS14_S15_EUlS14_E_NS1_11comp_targetILNS1_3genE10ELNS1_11target_archE1200ELNS1_3gpuE4ELNS1_3repE0EEENS1_30default_config_static_selectorELNS0_4arch9wavefront6targetE1EEEvT1_
                                        ; -- End function
	.section	.AMDGPU.csdata,"",@progbits
; Kernel info:
; codeLenInByte = 0
; NumSgprs: 4
; NumVgprs: 0
; NumAgprs: 0
; TotalNumVgprs: 0
; ScratchSize: 0
; MemoryBound: 0
; FloatMode: 240
; IeeeMode: 1
; LDSByteSize: 0 bytes/workgroup (compile time only)
; SGPRBlocks: 0
; VGPRBlocks: 0
; NumSGPRsForWavesPerEU: 4
; NumVGPRsForWavesPerEU: 1
; AccumOffset: 4
; Occupancy: 8
; WaveLimiterHint : 0
; COMPUTE_PGM_RSRC2:SCRATCH_EN: 0
; COMPUTE_PGM_RSRC2:USER_SGPR: 6
; COMPUTE_PGM_RSRC2:TRAP_HANDLER: 0
; COMPUTE_PGM_RSRC2:TGID_X_EN: 1
; COMPUTE_PGM_RSRC2:TGID_Y_EN: 0
; COMPUTE_PGM_RSRC2:TGID_Z_EN: 0
; COMPUTE_PGM_RSRC2:TIDIG_COMP_CNT: 0
; COMPUTE_PGM_RSRC3_GFX90A:ACCUM_OFFSET: 0
; COMPUTE_PGM_RSRC3_GFX90A:TG_SPLIT: 0
	.section	.text._ZN7rocprim17ROCPRIM_400000_NS6detail17trampoline_kernelINS0_14default_configENS1_25partition_config_selectorILNS1_17partition_subalgoE1EiNS0_10empty_typeEbEEZZNS1_14partition_implILS5_1ELb0ES3_jN6thrust23THRUST_200600_302600_NS6detail15normal_iteratorINSA_10device_ptrIiEEEEPS6_NSA_18transform_iteratorI7is_evenIiESF_NSA_11use_defaultESK_EENS0_5tupleIJSF_SF_EEENSM_IJSG_SG_EEES6_PlJS6_EEE10hipError_tPvRmT3_T4_T5_T6_T7_T9_mT8_P12ihipStream_tbDpT10_ENKUlT_T0_E_clISt17integral_constantIbLb1EES18_IbLb0EEEEDaS14_S15_EUlS14_E_NS1_11comp_targetILNS1_3genE9ELNS1_11target_archE1100ELNS1_3gpuE3ELNS1_3repE0EEENS1_30default_config_static_selectorELNS0_4arch9wavefront6targetE1EEEvT1_,"axG",@progbits,_ZN7rocprim17ROCPRIM_400000_NS6detail17trampoline_kernelINS0_14default_configENS1_25partition_config_selectorILNS1_17partition_subalgoE1EiNS0_10empty_typeEbEEZZNS1_14partition_implILS5_1ELb0ES3_jN6thrust23THRUST_200600_302600_NS6detail15normal_iteratorINSA_10device_ptrIiEEEEPS6_NSA_18transform_iteratorI7is_evenIiESF_NSA_11use_defaultESK_EENS0_5tupleIJSF_SF_EEENSM_IJSG_SG_EEES6_PlJS6_EEE10hipError_tPvRmT3_T4_T5_T6_T7_T9_mT8_P12ihipStream_tbDpT10_ENKUlT_T0_E_clISt17integral_constantIbLb1EES18_IbLb0EEEEDaS14_S15_EUlS14_E_NS1_11comp_targetILNS1_3genE9ELNS1_11target_archE1100ELNS1_3gpuE3ELNS1_3repE0EEENS1_30default_config_static_selectorELNS0_4arch9wavefront6targetE1EEEvT1_,comdat
	.protected	_ZN7rocprim17ROCPRIM_400000_NS6detail17trampoline_kernelINS0_14default_configENS1_25partition_config_selectorILNS1_17partition_subalgoE1EiNS0_10empty_typeEbEEZZNS1_14partition_implILS5_1ELb0ES3_jN6thrust23THRUST_200600_302600_NS6detail15normal_iteratorINSA_10device_ptrIiEEEEPS6_NSA_18transform_iteratorI7is_evenIiESF_NSA_11use_defaultESK_EENS0_5tupleIJSF_SF_EEENSM_IJSG_SG_EEES6_PlJS6_EEE10hipError_tPvRmT3_T4_T5_T6_T7_T9_mT8_P12ihipStream_tbDpT10_ENKUlT_T0_E_clISt17integral_constantIbLb1EES18_IbLb0EEEEDaS14_S15_EUlS14_E_NS1_11comp_targetILNS1_3genE9ELNS1_11target_archE1100ELNS1_3gpuE3ELNS1_3repE0EEENS1_30default_config_static_selectorELNS0_4arch9wavefront6targetE1EEEvT1_ ; -- Begin function _ZN7rocprim17ROCPRIM_400000_NS6detail17trampoline_kernelINS0_14default_configENS1_25partition_config_selectorILNS1_17partition_subalgoE1EiNS0_10empty_typeEbEEZZNS1_14partition_implILS5_1ELb0ES3_jN6thrust23THRUST_200600_302600_NS6detail15normal_iteratorINSA_10device_ptrIiEEEEPS6_NSA_18transform_iteratorI7is_evenIiESF_NSA_11use_defaultESK_EENS0_5tupleIJSF_SF_EEENSM_IJSG_SG_EEES6_PlJS6_EEE10hipError_tPvRmT3_T4_T5_T6_T7_T9_mT8_P12ihipStream_tbDpT10_ENKUlT_T0_E_clISt17integral_constantIbLb1EES18_IbLb0EEEEDaS14_S15_EUlS14_E_NS1_11comp_targetILNS1_3genE9ELNS1_11target_archE1100ELNS1_3gpuE3ELNS1_3repE0EEENS1_30default_config_static_selectorELNS0_4arch9wavefront6targetE1EEEvT1_
	.globl	_ZN7rocprim17ROCPRIM_400000_NS6detail17trampoline_kernelINS0_14default_configENS1_25partition_config_selectorILNS1_17partition_subalgoE1EiNS0_10empty_typeEbEEZZNS1_14partition_implILS5_1ELb0ES3_jN6thrust23THRUST_200600_302600_NS6detail15normal_iteratorINSA_10device_ptrIiEEEEPS6_NSA_18transform_iteratorI7is_evenIiESF_NSA_11use_defaultESK_EENS0_5tupleIJSF_SF_EEENSM_IJSG_SG_EEES6_PlJS6_EEE10hipError_tPvRmT3_T4_T5_T6_T7_T9_mT8_P12ihipStream_tbDpT10_ENKUlT_T0_E_clISt17integral_constantIbLb1EES18_IbLb0EEEEDaS14_S15_EUlS14_E_NS1_11comp_targetILNS1_3genE9ELNS1_11target_archE1100ELNS1_3gpuE3ELNS1_3repE0EEENS1_30default_config_static_selectorELNS0_4arch9wavefront6targetE1EEEvT1_
	.p2align	8
	.type	_ZN7rocprim17ROCPRIM_400000_NS6detail17trampoline_kernelINS0_14default_configENS1_25partition_config_selectorILNS1_17partition_subalgoE1EiNS0_10empty_typeEbEEZZNS1_14partition_implILS5_1ELb0ES3_jN6thrust23THRUST_200600_302600_NS6detail15normal_iteratorINSA_10device_ptrIiEEEEPS6_NSA_18transform_iteratorI7is_evenIiESF_NSA_11use_defaultESK_EENS0_5tupleIJSF_SF_EEENSM_IJSG_SG_EEES6_PlJS6_EEE10hipError_tPvRmT3_T4_T5_T6_T7_T9_mT8_P12ihipStream_tbDpT10_ENKUlT_T0_E_clISt17integral_constantIbLb1EES18_IbLb0EEEEDaS14_S15_EUlS14_E_NS1_11comp_targetILNS1_3genE9ELNS1_11target_archE1100ELNS1_3gpuE3ELNS1_3repE0EEENS1_30default_config_static_selectorELNS0_4arch9wavefront6targetE1EEEvT1_,@function
_ZN7rocprim17ROCPRIM_400000_NS6detail17trampoline_kernelINS0_14default_configENS1_25partition_config_selectorILNS1_17partition_subalgoE1EiNS0_10empty_typeEbEEZZNS1_14partition_implILS5_1ELb0ES3_jN6thrust23THRUST_200600_302600_NS6detail15normal_iteratorINSA_10device_ptrIiEEEEPS6_NSA_18transform_iteratorI7is_evenIiESF_NSA_11use_defaultESK_EENS0_5tupleIJSF_SF_EEENSM_IJSG_SG_EEES6_PlJS6_EEE10hipError_tPvRmT3_T4_T5_T6_T7_T9_mT8_P12ihipStream_tbDpT10_ENKUlT_T0_E_clISt17integral_constantIbLb1EES18_IbLb0EEEEDaS14_S15_EUlS14_E_NS1_11comp_targetILNS1_3genE9ELNS1_11target_archE1100ELNS1_3gpuE3ELNS1_3repE0EEENS1_30default_config_static_selectorELNS0_4arch9wavefront6targetE1EEEvT1_: ; @_ZN7rocprim17ROCPRIM_400000_NS6detail17trampoline_kernelINS0_14default_configENS1_25partition_config_selectorILNS1_17partition_subalgoE1EiNS0_10empty_typeEbEEZZNS1_14partition_implILS5_1ELb0ES3_jN6thrust23THRUST_200600_302600_NS6detail15normal_iteratorINSA_10device_ptrIiEEEEPS6_NSA_18transform_iteratorI7is_evenIiESF_NSA_11use_defaultESK_EENS0_5tupleIJSF_SF_EEENSM_IJSG_SG_EEES6_PlJS6_EEE10hipError_tPvRmT3_T4_T5_T6_T7_T9_mT8_P12ihipStream_tbDpT10_ENKUlT_T0_E_clISt17integral_constantIbLb1EES18_IbLb0EEEEDaS14_S15_EUlS14_E_NS1_11comp_targetILNS1_3genE9ELNS1_11target_archE1100ELNS1_3gpuE3ELNS1_3repE0EEENS1_30default_config_static_selectorELNS0_4arch9wavefront6targetE1EEEvT1_
; %bb.0:
	.section	.rodata,"a",@progbits
	.p2align	6, 0x0
	.amdhsa_kernel _ZN7rocprim17ROCPRIM_400000_NS6detail17trampoline_kernelINS0_14default_configENS1_25partition_config_selectorILNS1_17partition_subalgoE1EiNS0_10empty_typeEbEEZZNS1_14partition_implILS5_1ELb0ES3_jN6thrust23THRUST_200600_302600_NS6detail15normal_iteratorINSA_10device_ptrIiEEEEPS6_NSA_18transform_iteratorI7is_evenIiESF_NSA_11use_defaultESK_EENS0_5tupleIJSF_SF_EEENSM_IJSG_SG_EEES6_PlJS6_EEE10hipError_tPvRmT3_T4_T5_T6_T7_T9_mT8_P12ihipStream_tbDpT10_ENKUlT_T0_E_clISt17integral_constantIbLb1EES18_IbLb0EEEEDaS14_S15_EUlS14_E_NS1_11comp_targetILNS1_3genE9ELNS1_11target_archE1100ELNS1_3gpuE3ELNS1_3repE0EEENS1_30default_config_static_selectorELNS0_4arch9wavefront6targetE1EEEvT1_
		.amdhsa_group_segment_fixed_size 0
		.amdhsa_private_segment_fixed_size 0
		.amdhsa_kernarg_size 128
		.amdhsa_user_sgpr_count 6
		.amdhsa_user_sgpr_private_segment_buffer 1
		.amdhsa_user_sgpr_dispatch_ptr 0
		.amdhsa_user_sgpr_queue_ptr 0
		.amdhsa_user_sgpr_kernarg_segment_ptr 1
		.amdhsa_user_sgpr_dispatch_id 0
		.amdhsa_user_sgpr_flat_scratch_init 0
		.amdhsa_user_sgpr_kernarg_preload_length 0
		.amdhsa_user_sgpr_kernarg_preload_offset 0
		.amdhsa_user_sgpr_private_segment_size 0
		.amdhsa_uses_dynamic_stack 0
		.amdhsa_system_sgpr_private_segment_wavefront_offset 0
		.amdhsa_system_sgpr_workgroup_id_x 1
		.amdhsa_system_sgpr_workgroup_id_y 0
		.amdhsa_system_sgpr_workgroup_id_z 0
		.amdhsa_system_sgpr_workgroup_info 0
		.amdhsa_system_vgpr_workitem_id 0
		.amdhsa_next_free_vgpr 1
		.amdhsa_next_free_sgpr 0
		.amdhsa_accum_offset 4
		.amdhsa_reserve_vcc 0
		.amdhsa_reserve_flat_scratch 0
		.amdhsa_float_round_mode_32 0
		.amdhsa_float_round_mode_16_64 0
		.amdhsa_float_denorm_mode_32 3
		.amdhsa_float_denorm_mode_16_64 3
		.amdhsa_dx10_clamp 1
		.amdhsa_ieee_mode 1
		.amdhsa_fp16_overflow 0
		.amdhsa_tg_split 0
		.amdhsa_exception_fp_ieee_invalid_op 0
		.amdhsa_exception_fp_denorm_src 0
		.amdhsa_exception_fp_ieee_div_zero 0
		.amdhsa_exception_fp_ieee_overflow 0
		.amdhsa_exception_fp_ieee_underflow 0
		.amdhsa_exception_fp_ieee_inexact 0
		.amdhsa_exception_int_div_zero 0
	.end_amdhsa_kernel
	.section	.text._ZN7rocprim17ROCPRIM_400000_NS6detail17trampoline_kernelINS0_14default_configENS1_25partition_config_selectorILNS1_17partition_subalgoE1EiNS0_10empty_typeEbEEZZNS1_14partition_implILS5_1ELb0ES3_jN6thrust23THRUST_200600_302600_NS6detail15normal_iteratorINSA_10device_ptrIiEEEEPS6_NSA_18transform_iteratorI7is_evenIiESF_NSA_11use_defaultESK_EENS0_5tupleIJSF_SF_EEENSM_IJSG_SG_EEES6_PlJS6_EEE10hipError_tPvRmT3_T4_T5_T6_T7_T9_mT8_P12ihipStream_tbDpT10_ENKUlT_T0_E_clISt17integral_constantIbLb1EES18_IbLb0EEEEDaS14_S15_EUlS14_E_NS1_11comp_targetILNS1_3genE9ELNS1_11target_archE1100ELNS1_3gpuE3ELNS1_3repE0EEENS1_30default_config_static_selectorELNS0_4arch9wavefront6targetE1EEEvT1_,"axG",@progbits,_ZN7rocprim17ROCPRIM_400000_NS6detail17trampoline_kernelINS0_14default_configENS1_25partition_config_selectorILNS1_17partition_subalgoE1EiNS0_10empty_typeEbEEZZNS1_14partition_implILS5_1ELb0ES3_jN6thrust23THRUST_200600_302600_NS6detail15normal_iteratorINSA_10device_ptrIiEEEEPS6_NSA_18transform_iteratorI7is_evenIiESF_NSA_11use_defaultESK_EENS0_5tupleIJSF_SF_EEENSM_IJSG_SG_EEES6_PlJS6_EEE10hipError_tPvRmT3_T4_T5_T6_T7_T9_mT8_P12ihipStream_tbDpT10_ENKUlT_T0_E_clISt17integral_constantIbLb1EES18_IbLb0EEEEDaS14_S15_EUlS14_E_NS1_11comp_targetILNS1_3genE9ELNS1_11target_archE1100ELNS1_3gpuE3ELNS1_3repE0EEENS1_30default_config_static_selectorELNS0_4arch9wavefront6targetE1EEEvT1_,comdat
.Lfunc_end439:
	.size	_ZN7rocprim17ROCPRIM_400000_NS6detail17trampoline_kernelINS0_14default_configENS1_25partition_config_selectorILNS1_17partition_subalgoE1EiNS0_10empty_typeEbEEZZNS1_14partition_implILS5_1ELb0ES3_jN6thrust23THRUST_200600_302600_NS6detail15normal_iteratorINSA_10device_ptrIiEEEEPS6_NSA_18transform_iteratorI7is_evenIiESF_NSA_11use_defaultESK_EENS0_5tupleIJSF_SF_EEENSM_IJSG_SG_EEES6_PlJS6_EEE10hipError_tPvRmT3_T4_T5_T6_T7_T9_mT8_P12ihipStream_tbDpT10_ENKUlT_T0_E_clISt17integral_constantIbLb1EES18_IbLb0EEEEDaS14_S15_EUlS14_E_NS1_11comp_targetILNS1_3genE9ELNS1_11target_archE1100ELNS1_3gpuE3ELNS1_3repE0EEENS1_30default_config_static_selectorELNS0_4arch9wavefront6targetE1EEEvT1_, .Lfunc_end439-_ZN7rocprim17ROCPRIM_400000_NS6detail17trampoline_kernelINS0_14default_configENS1_25partition_config_selectorILNS1_17partition_subalgoE1EiNS0_10empty_typeEbEEZZNS1_14partition_implILS5_1ELb0ES3_jN6thrust23THRUST_200600_302600_NS6detail15normal_iteratorINSA_10device_ptrIiEEEEPS6_NSA_18transform_iteratorI7is_evenIiESF_NSA_11use_defaultESK_EENS0_5tupleIJSF_SF_EEENSM_IJSG_SG_EEES6_PlJS6_EEE10hipError_tPvRmT3_T4_T5_T6_T7_T9_mT8_P12ihipStream_tbDpT10_ENKUlT_T0_E_clISt17integral_constantIbLb1EES18_IbLb0EEEEDaS14_S15_EUlS14_E_NS1_11comp_targetILNS1_3genE9ELNS1_11target_archE1100ELNS1_3gpuE3ELNS1_3repE0EEENS1_30default_config_static_selectorELNS0_4arch9wavefront6targetE1EEEvT1_
                                        ; -- End function
	.section	.AMDGPU.csdata,"",@progbits
; Kernel info:
; codeLenInByte = 0
; NumSgprs: 4
; NumVgprs: 0
; NumAgprs: 0
; TotalNumVgprs: 0
; ScratchSize: 0
; MemoryBound: 0
; FloatMode: 240
; IeeeMode: 1
; LDSByteSize: 0 bytes/workgroup (compile time only)
; SGPRBlocks: 0
; VGPRBlocks: 0
; NumSGPRsForWavesPerEU: 4
; NumVGPRsForWavesPerEU: 1
; AccumOffset: 4
; Occupancy: 8
; WaveLimiterHint : 0
; COMPUTE_PGM_RSRC2:SCRATCH_EN: 0
; COMPUTE_PGM_RSRC2:USER_SGPR: 6
; COMPUTE_PGM_RSRC2:TRAP_HANDLER: 0
; COMPUTE_PGM_RSRC2:TGID_X_EN: 1
; COMPUTE_PGM_RSRC2:TGID_Y_EN: 0
; COMPUTE_PGM_RSRC2:TGID_Z_EN: 0
; COMPUTE_PGM_RSRC2:TIDIG_COMP_CNT: 0
; COMPUTE_PGM_RSRC3_GFX90A:ACCUM_OFFSET: 0
; COMPUTE_PGM_RSRC3_GFX90A:TG_SPLIT: 0
	.section	.text._ZN7rocprim17ROCPRIM_400000_NS6detail17trampoline_kernelINS0_14default_configENS1_25partition_config_selectorILNS1_17partition_subalgoE1EiNS0_10empty_typeEbEEZZNS1_14partition_implILS5_1ELb0ES3_jN6thrust23THRUST_200600_302600_NS6detail15normal_iteratorINSA_10device_ptrIiEEEEPS6_NSA_18transform_iteratorI7is_evenIiESF_NSA_11use_defaultESK_EENS0_5tupleIJSF_SF_EEENSM_IJSG_SG_EEES6_PlJS6_EEE10hipError_tPvRmT3_T4_T5_T6_T7_T9_mT8_P12ihipStream_tbDpT10_ENKUlT_T0_E_clISt17integral_constantIbLb1EES18_IbLb0EEEEDaS14_S15_EUlS14_E_NS1_11comp_targetILNS1_3genE8ELNS1_11target_archE1030ELNS1_3gpuE2ELNS1_3repE0EEENS1_30default_config_static_selectorELNS0_4arch9wavefront6targetE1EEEvT1_,"axG",@progbits,_ZN7rocprim17ROCPRIM_400000_NS6detail17trampoline_kernelINS0_14default_configENS1_25partition_config_selectorILNS1_17partition_subalgoE1EiNS0_10empty_typeEbEEZZNS1_14partition_implILS5_1ELb0ES3_jN6thrust23THRUST_200600_302600_NS6detail15normal_iteratorINSA_10device_ptrIiEEEEPS6_NSA_18transform_iteratorI7is_evenIiESF_NSA_11use_defaultESK_EENS0_5tupleIJSF_SF_EEENSM_IJSG_SG_EEES6_PlJS6_EEE10hipError_tPvRmT3_T4_T5_T6_T7_T9_mT8_P12ihipStream_tbDpT10_ENKUlT_T0_E_clISt17integral_constantIbLb1EES18_IbLb0EEEEDaS14_S15_EUlS14_E_NS1_11comp_targetILNS1_3genE8ELNS1_11target_archE1030ELNS1_3gpuE2ELNS1_3repE0EEENS1_30default_config_static_selectorELNS0_4arch9wavefront6targetE1EEEvT1_,comdat
	.protected	_ZN7rocprim17ROCPRIM_400000_NS6detail17trampoline_kernelINS0_14default_configENS1_25partition_config_selectorILNS1_17partition_subalgoE1EiNS0_10empty_typeEbEEZZNS1_14partition_implILS5_1ELb0ES3_jN6thrust23THRUST_200600_302600_NS6detail15normal_iteratorINSA_10device_ptrIiEEEEPS6_NSA_18transform_iteratorI7is_evenIiESF_NSA_11use_defaultESK_EENS0_5tupleIJSF_SF_EEENSM_IJSG_SG_EEES6_PlJS6_EEE10hipError_tPvRmT3_T4_T5_T6_T7_T9_mT8_P12ihipStream_tbDpT10_ENKUlT_T0_E_clISt17integral_constantIbLb1EES18_IbLb0EEEEDaS14_S15_EUlS14_E_NS1_11comp_targetILNS1_3genE8ELNS1_11target_archE1030ELNS1_3gpuE2ELNS1_3repE0EEENS1_30default_config_static_selectorELNS0_4arch9wavefront6targetE1EEEvT1_ ; -- Begin function _ZN7rocprim17ROCPRIM_400000_NS6detail17trampoline_kernelINS0_14default_configENS1_25partition_config_selectorILNS1_17partition_subalgoE1EiNS0_10empty_typeEbEEZZNS1_14partition_implILS5_1ELb0ES3_jN6thrust23THRUST_200600_302600_NS6detail15normal_iteratorINSA_10device_ptrIiEEEEPS6_NSA_18transform_iteratorI7is_evenIiESF_NSA_11use_defaultESK_EENS0_5tupleIJSF_SF_EEENSM_IJSG_SG_EEES6_PlJS6_EEE10hipError_tPvRmT3_T4_T5_T6_T7_T9_mT8_P12ihipStream_tbDpT10_ENKUlT_T0_E_clISt17integral_constantIbLb1EES18_IbLb0EEEEDaS14_S15_EUlS14_E_NS1_11comp_targetILNS1_3genE8ELNS1_11target_archE1030ELNS1_3gpuE2ELNS1_3repE0EEENS1_30default_config_static_selectorELNS0_4arch9wavefront6targetE1EEEvT1_
	.globl	_ZN7rocprim17ROCPRIM_400000_NS6detail17trampoline_kernelINS0_14default_configENS1_25partition_config_selectorILNS1_17partition_subalgoE1EiNS0_10empty_typeEbEEZZNS1_14partition_implILS5_1ELb0ES3_jN6thrust23THRUST_200600_302600_NS6detail15normal_iteratorINSA_10device_ptrIiEEEEPS6_NSA_18transform_iteratorI7is_evenIiESF_NSA_11use_defaultESK_EENS0_5tupleIJSF_SF_EEENSM_IJSG_SG_EEES6_PlJS6_EEE10hipError_tPvRmT3_T4_T5_T6_T7_T9_mT8_P12ihipStream_tbDpT10_ENKUlT_T0_E_clISt17integral_constantIbLb1EES18_IbLb0EEEEDaS14_S15_EUlS14_E_NS1_11comp_targetILNS1_3genE8ELNS1_11target_archE1030ELNS1_3gpuE2ELNS1_3repE0EEENS1_30default_config_static_selectorELNS0_4arch9wavefront6targetE1EEEvT1_
	.p2align	8
	.type	_ZN7rocprim17ROCPRIM_400000_NS6detail17trampoline_kernelINS0_14default_configENS1_25partition_config_selectorILNS1_17partition_subalgoE1EiNS0_10empty_typeEbEEZZNS1_14partition_implILS5_1ELb0ES3_jN6thrust23THRUST_200600_302600_NS6detail15normal_iteratorINSA_10device_ptrIiEEEEPS6_NSA_18transform_iteratorI7is_evenIiESF_NSA_11use_defaultESK_EENS0_5tupleIJSF_SF_EEENSM_IJSG_SG_EEES6_PlJS6_EEE10hipError_tPvRmT3_T4_T5_T6_T7_T9_mT8_P12ihipStream_tbDpT10_ENKUlT_T0_E_clISt17integral_constantIbLb1EES18_IbLb0EEEEDaS14_S15_EUlS14_E_NS1_11comp_targetILNS1_3genE8ELNS1_11target_archE1030ELNS1_3gpuE2ELNS1_3repE0EEENS1_30default_config_static_selectorELNS0_4arch9wavefront6targetE1EEEvT1_,@function
_ZN7rocprim17ROCPRIM_400000_NS6detail17trampoline_kernelINS0_14default_configENS1_25partition_config_selectorILNS1_17partition_subalgoE1EiNS0_10empty_typeEbEEZZNS1_14partition_implILS5_1ELb0ES3_jN6thrust23THRUST_200600_302600_NS6detail15normal_iteratorINSA_10device_ptrIiEEEEPS6_NSA_18transform_iteratorI7is_evenIiESF_NSA_11use_defaultESK_EENS0_5tupleIJSF_SF_EEENSM_IJSG_SG_EEES6_PlJS6_EEE10hipError_tPvRmT3_T4_T5_T6_T7_T9_mT8_P12ihipStream_tbDpT10_ENKUlT_T0_E_clISt17integral_constantIbLb1EES18_IbLb0EEEEDaS14_S15_EUlS14_E_NS1_11comp_targetILNS1_3genE8ELNS1_11target_archE1030ELNS1_3gpuE2ELNS1_3repE0EEENS1_30default_config_static_selectorELNS0_4arch9wavefront6targetE1EEEvT1_: ; @_ZN7rocprim17ROCPRIM_400000_NS6detail17trampoline_kernelINS0_14default_configENS1_25partition_config_selectorILNS1_17partition_subalgoE1EiNS0_10empty_typeEbEEZZNS1_14partition_implILS5_1ELb0ES3_jN6thrust23THRUST_200600_302600_NS6detail15normal_iteratorINSA_10device_ptrIiEEEEPS6_NSA_18transform_iteratorI7is_evenIiESF_NSA_11use_defaultESK_EENS0_5tupleIJSF_SF_EEENSM_IJSG_SG_EEES6_PlJS6_EEE10hipError_tPvRmT3_T4_T5_T6_T7_T9_mT8_P12ihipStream_tbDpT10_ENKUlT_T0_E_clISt17integral_constantIbLb1EES18_IbLb0EEEEDaS14_S15_EUlS14_E_NS1_11comp_targetILNS1_3genE8ELNS1_11target_archE1030ELNS1_3gpuE2ELNS1_3repE0EEENS1_30default_config_static_selectorELNS0_4arch9wavefront6targetE1EEEvT1_
; %bb.0:
	.section	.rodata,"a",@progbits
	.p2align	6, 0x0
	.amdhsa_kernel _ZN7rocprim17ROCPRIM_400000_NS6detail17trampoline_kernelINS0_14default_configENS1_25partition_config_selectorILNS1_17partition_subalgoE1EiNS0_10empty_typeEbEEZZNS1_14partition_implILS5_1ELb0ES3_jN6thrust23THRUST_200600_302600_NS6detail15normal_iteratorINSA_10device_ptrIiEEEEPS6_NSA_18transform_iteratorI7is_evenIiESF_NSA_11use_defaultESK_EENS0_5tupleIJSF_SF_EEENSM_IJSG_SG_EEES6_PlJS6_EEE10hipError_tPvRmT3_T4_T5_T6_T7_T9_mT8_P12ihipStream_tbDpT10_ENKUlT_T0_E_clISt17integral_constantIbLb1EES18_IbLb0EEEEDaS14_S15_EUlS14_E_NS1_11comp_targetILNS1_3genE8ELNS1_11target_archE1030ELNS1_3gpuE2ELNS1_3repE0EEENS1_30default_config_static_selectorELNS0_4arch9wavefront6targetE1EEEvT1_
		.amdhsa_group_segment_fixed_size 0
		.amdhsa_private_segment_fixed_size 0
		.amdhsa_kernarg_size 128
		.amdhsa_user_sgpr_count 6
		.amdhsa_user_sgpr_private_segment_buffer 1
		.amdhsa_user_sgpr_dispatch_ptr 0
		.amdhsa_user_sgpr_queue_ptr 0
		.amdhsa_user_sgpr_kernarg_segment_ptr 1
		.amdhsa_user_sgpr_dispatch_id 0
		.amdhsa_user_sgpr_flat_scratch_init 0
		.amdhsa_user_sgpr_kernarg_preload_length 0
		.amdhsa_user_sgpr_kernarg_preload_offset 0
		.amdhsa_user_sgpr_private_segment_size 0
		.amdhsa_uses_dynamic_stack 0
		.amdhsa_system_sgpr_private_segment_wavefront_offset 0
		.amdhsa_system_sgpr_workgroup_id_x 1
		.amdhsa_system_sgpr_workgroup_id_y 0
		.amdhsa_system_sgpr_workgroup_id_z 0
		.amdhsa_system_sgpr_workgroup_info 0
		.amdhsa_system_vgpr_workitem_id 0
		.amdhsa_next_free_vgpr 1
		.amdhsa_next_free_sgpr 0
		.amdhsa_accum_offset 4
		.amdhsa_reserve_vcc 0
		.amdhsa_reserve_flat_scratch 0
		.amdhsa_float_round_mode_32 0
		.amdhsa_float_round_mode_16_64 0
		.amdhsa_float_denorm_mode_32 3
		.amdhsa_float_denorm_mode_16_64 3
		.amdhsa_dx10_clamp 1
		.amdhsa_ieee_mode 1
		.amdhsa_fp16_overflow 0
		.amdhsa_tg_split 0
		.amdhsa_exception_fp_ieee_invalid_op 0
		.amdhsa_exception_fp_denorm_src 0
		.amdhsa_exception_fp_ieee_div_zero 0
		.amdhsa_exception_fp_ieee_overflow 0
		.amdhsa_exception_fp_ieee_underflow 0
		.amdhsa_exception_fp_ieee_inexact 0
		.amdhsa_exception_int_div_zero 0
	.end_amdhsa_kernel
	.section	.text._ZN7rocprim17ROCPRIM_400000_NS6detail17trampoline_kernelINS0_14default_configENS1_25partition_config_selectorILNS1_17partition_subalgoE1EiNS0_10empty_typeEbEEZZNS1_14partition_implILS5_1ELb0ES3_jN6thrust23THRUST_200600_302600_NS6detail15normal_iteratorINSA_10device_ptrIiEEEEPS6_NSA_18transform_iteratorI7is_evenIiESF_NSA_11use_defaultESK_EENS0_5tupleIJSF_SF_EEENSM_IJSG_SG_EEES6_PlJS6_EEE10hipError_tPvRmT3_T4_T5_T6_T7_T9_mT8_P12ihipStream_tbDpT10_ENKUlT_T0_E_clISt17integral_constantIbLb1EES18_IbLb0EEEEDaS14_S15_EUlS14_E_NS1_11comp_targetILNS1_3genE8ELNS1_11target_archE1030ELNS1_3gpuE2ELNS1_3repE0EEENS1_30default_config_static_selectorELNS0_4arch9wavefront6targetE1EEEvT1_,"axG",@progbits,_ZN7rocprim17ROCPRIM_400000_NS6detail17trampoline_kernelINS0_14default_configENS1_25partition_config_selectorILNS1_17partition_subalgoE1EiNS0_10empty_typeEbEEZZNS1_14partition_implILS5_1ELb0ES3_jN6thrust23THRUST_200600_302600_NS6detail15normal_iteratorINSA_10device_ptrIiEEEEPS6_NSA_18transform_iteratorI7is_evenIiESF_NSA_11use_defaultESK_EENS0_5tupleIJSF_SF_EEENSM_IJSG_SG_EEES6_PlJS6_EEE10hipError_tPvRmT3_T4_T5_T6_T7_T9_mT8_P12ihipStream_tbDpT10_ENKUlT_T0_E_clISt17integral_constantIbLb1EES18_IbLb0EEEEDaS14_S15_EUlS14_E_NS1_11comp_targetILNS1_3genE8ELNS1_11target_archE1030ELNS1_3gpuE2ELNS1_3repE0EEENS1_30default_config_static_selectorELNS0_4arch9wavefront6targetE1EEEvT1_,comdat
.Lfunc_end440:
	.size	_ZN7rocprim17ROCPRIM_400000_NS6detail17trampoline_kernelINS0_14default_configENS1_25partition_config_selectorILNS1_17partition_subalgoE1EiNS0_10empty_typeEbEEZZNS1_14partition_implILS5_1ELb0ES3_jN6thrust23THRUST_200600_302600_NS6detail15normal_iteratorINSA_10device_ptrIiEEEEPS6_NSA_18transform_iteratorI7is_evenIiESF_NSA_11use_defaultESK_EENS0_5tupleIJSF_SF_EEENSM_IJSG_SG_EEES6_PlJS6_EEE10hipError_tPvRmT3_T4_T5_T6_T7_T9_mT8_P12ihipStream_tbDpT10_ENKUlT_T0_E_clISt17integral_constantIbLb1EES18_IbLb0EEEEDaS14_S15_EUlS14_E_NS1_11comp_targetILNS1_3genE8ELNS1_11target_archE1030ELNS1_3gpuE2ELNS1_3repE0EEENS1_30default_config_static_selectorELNS0_4arch9wavefront6targetE1EEEvT1_, .Lfunc_end440-_ZN7rocprim17ROCPRIM_400000_NS6detail17trampoline_kernelINS0_14default_configENS1_25partition_config_selectorILNS1_17partition_subalgoE1EiNS0_10empty_typeEbEEZZNS1_14partition_implILS5_1ELb0ES3_jN6thrust23THRUST_200600_302600_NS6detail15normal_iteratorINSA_10device_ptrIiEEEEPS6_NSA_18transform_iteratorI7is_evenIiESF_NSA_11use_defaultESK_EENS0_5tupleIJSF_SF_EEENSM_IJSG_SG_EEES6_PlJS6_EEE10hipError_tPvRmT3_T4_T5_T6_T7_T9_mT8_P12ihipStream_tbDpT10_ENKUlT_T0_E_clISt17integral_constantIbLb1EES18_IbLb0EEEEDaS14_S15_EUlS14_E_NS1_11comp_targetILNS1_3genE8ELNS1_11target_archE1030ELNS1_3gpuE2ELNS1_3repE0EEENS1_30default_config_static_selectorELNS0_4arch9wavefront6targetE1EEEvT1_
                                        ; -- End function
	.section	.AMDGPU.csdata,"",@progbits
; Kernel info:
; codeLenInByte = 0
; NumSgprs: 4
; NumVgprs: 0
; NumAgprs: 0
; TotalNumVgprs: 0
; ScratchSize: 0
; MemoryBound: 0
; FloatMode: 240
; IeeeMode: 1
; LDSByteSize: 0 bytes/workgroup (compile time only)
; SGPRBlocks: 0
; VGPRBlocks: 0
; NumSGPRsForWavesPerEU: 4
; NumVGPRsForWavesPerEU: 1
; AccumOffset: 4
; Occupancy: 8
; WaveLimiterHint : 0
; COMPUTE_PGM_RSRC2:SCRATCH_EN: 0
; COMPUTE_PGM_RSRC2:USER_SGPR: 6
; COMPUTE_PGM_RSRC2:TRAP_HANDLER: 0
; COMPUTE_PGM_RSRC2:TGID_X_EN: 1
; COMPUTE_PGM_RSRC2:TGID_Y_EN: 0
; COMPUTE_PGM_RSRC2:TGID_Z_EN: 0
; COMPUTE_PGM_RSRC2:TIDIG_COMP_CNT: 0
; COMPUTE_PGM_RSRC3_GFX90A:ACCUM_OFFSET: 0
; COMPUTE_PGM_RSRC3_GFX90A:TG_SPLIT: 0
	.section	.text._ZN7rocprim17ROCPRIM_400000_NS6detail17trampoline_kernelINS0_14default_configENS1_25partition_config_selectorILNS1_17partition_subalgoE1EiNS0_10empty_typeEbEEZZNS1_14partition_implILS5_1ELb0ES3_jN6thrust23THRUST_200600_302600_NS6detail15normal_iteratorINSA_10device_ptrIiEEEEPS6_NSA_18transform_iteratorI7is_evenIiESF_NSA_11use_defaultESK_EENS0_5tupleIJSF_SF_EEENSM_IJSG_SG_EEES6_PlJS6_EEE10hipError_tPvRmT3_T4_T5_T6_T7_T9_mT8_P12ihipStream_tbDpT10_ENKUlT_T0_E_clISt17integral_constantIbLb0EES18_IbLb1EEEEDaS14_S15_EUlS14_E_NS1_11comp_targetILNS1_3genE0ELNS1_11target_archE4294967295ELNS1_3gpuE0ELNS1_3repE0EEENS1_30default_config_static_selectorELNS0_4arch9wavefront6targetE1EEEvT1_,"axG",@progbits,_ZN7rocprim17ROCPRIM_400000_NS6detail17trampoline_kernelINS0_14default_configENS1_25partition_config_selectorILNS1_17partition_subalgoE1EiNS0_10empty_typeEbEEZZNS1_14partition_implILS5_1ELb0ES3_jN6thrust23THRUST_200600_302600_NS6detail15normal_iteratorINSA_10device_ptrIiEEEEPS6_NSA_18transform_iteratorI7is_evenIiESF_NSA_11use_defaultESK_EENS0_5tupleIJSF_SF_EEENSM_IJSG_SG_EEES6_PlJS6_EEE10hipError_tPvRmT3_T4_T5_T6_T7_T9_mT8_P12ihipStream_tbDpT10_ENKUlT_T0_E_clISt17integral_constantIbLb0EES18_IbLb1EEEEDaS14_S15_EUlS14_E_NS1_11comp_targetILNS1_3genE0ELNS1_11target_archE4294967295ELNS1_3gpuE0ELNS1_3repE0EEENS1_30default_config_static_selectorELNS0_4arch9wavefront6targetE1EEEvT1_,comdat
	.protected	_ZN7rocprim17ROCPRIM_400000_NS6detail17trampoline_kernelINS0_14default_configENS1_25partition_config_selectorILNS1_17partition_subalgoE1EiNS0_10empty_typeEbEEZZNS1_14partition_implILS5_1ELb0ES3_jN6thrust23THRUST_200600_302600_NS6detail15normal_iteratorINSA_10device_ptrIiEEEEPS6_NSA_18transform_iteratorI7is_evenIiESF_NSA_11use_defaultESK_EENS0_5tupleIJSF_SF_EEENSM_IJSG_SG_EEES6_PlJS6_EEE10hipError_tPvRmT3_T4_T5_T6_T7_T9_mT8_P12ihipStream_tbDpT10_ENKUlT_T0_E_clISt17integral_constantIbLb0EES18_IbLb1EEEEDaS14_S15_EUlS14_E_NS1_11comp_targetILNS1_3genE0ELNS1_11target_archE4294967295ELNS1_3gpuE0ELNS1_3repE0EEENS1_30default_config_static_selectorELNS0_4arch9wavefront6targetE1EEEvT1_ ; -- Begin function _ZN7rocprim17ROCPRIM_400000_NS6detail17trampoline_kernelINS0_14default_configENS1_25partition_config_selectorILNS1_17partition_subalgoE1EiNS0_10empty_typeEbEEZZNS1_14partition_implILS5_1ELb0ES3_jN6thrust23THRUST_200600_302600_NS6detail15normal_iteratorINSA_10device_ptrIiEEEEPS6_NSA_18transform_iteratorI7is_evenIiESF_NSA_11use_defaultESK_EENS0_5tupleIJSF_SF_EEENSM_IJSG_SG_EEES6_PlJS6_EEE10hipError_tPvRmT3_T4_T5_T6_T7_T9_mT8_P12ihipStream_tbDpT10_ENKUlT_T0_E_clISt17integral_constantIbLb0EES18_IbLb1EEEEDaS14_S15_EUlS14_E_NS1_11comp_targetILNS1_3genE0ELNS1_11target_archE4294967295ELNS1_3gpuE0ELNS1_3repE0EEENS1_30default_config_static_selectorELNS0_4arch9wavefront6targetE1EEEvT1_
	.globl	_ZN7rocprim17ROCPRIM_400000_NS6detail17trampoline_kernelINS0_14default_configENS1_25partition_config_selectorILNS1_17partition_subalgoE1EiNS0_10empty_typeEbEEZZNS1_14partition_implILS5_1ELb0ES3_jN6thrust23THRUST_200600_302600_NS6detail15normal_iteratorINSA_10device_ptrIiEEEEPS6_NSA_18transform_iteratorI7is_evenIiESF_NSA_11use_defaultESK_EENS0_5tupleIJSF_SF_EEENSM_IJSG_SG_EEES6_PlJS6_EEE10hipError_tPvRmT3_T4_T5_T6_T7_T9_mT8_P12ihipStream_tbDpT10_ENKUlT_T0_E_clISt17integral_constantIbLb0EES18_IbLb1EEEEDaS14_S15_EUlS14_E_NS1_11comp_targetILNS1_3genE0ELNS1_11target_archE4294967295ELNS1_3gpuE0ELNS1_3repE0EEENS1_30default_config_static_selectorELNS0_4arch9wavefront6targetE1EEEvT1_
	.p2align	8
	.type	_ZN7rocprim17ROCPRIM_400000_NS6detail17trampoline_kernelINS0_14default_configENS1_25partition_config_selectorILNS1_17partition_subalgoE1EiNS0_10empty_typeEbEEZZNS1_14partition_implILS5_1ELb0ES3_jN6thrust23THRUST_200600_302600_NS6detail15normal_iteratorINSA_10device_ptrIiEEEEPS6_NSA_18transform_iteratorI7is_evenIiESF_NSA_11use_defaultESK_EENS0_5tupleIJSF_SF_EEENSM_IJSG_SG_EEES6_PlJS6_EEE10hipError_tPvRmT3_T4_T5_T6_T7_T9_mT8_P12ihipStream_tbDpT10_ENKUlT_T0_E_clISt17integral_constantIbLb0EES18_IbLb1EEEEDaS14_S15_EUlS14_E_NS1_11comp_targetILNS1_3genE0ELNS1_11target_archE4294967295ELNS1_3gpuE0ELNS1_3repE0EEENS1_30default_config_static_selectorELNS0_4arch9wavefront6targetE1EEEvT1_,@function
_ZN7rocprim17ROCPRIM_400000_NS6detail17trampoline_kernelINS0_14default_configENS1_25partition_config_selectorILNS1_17partition_subalgoE1EiNS0_10empty_typeEbEEZZNS1_14partition_implILS5_1ELb0ES3_jN6thrust23THRUST_200600_302600_NS6detail15normal_iteratorINSA_10device_ptrIiEEEEPS6_NSA_18transform_iteratorI7is_evenIiESF_NSA_11use_defaultESK_EENS0_5tupleIJSF_SF_EEENSM_IJSG_SG_EEES6_PlJS6_EEE10hipError_tPvRmT3_T4_T5_T6_T7_T9_mT8_P12ihipStream_tbDpT10_ENKUlT_T0_E_clISt17integral_constantIbLb0EES18_IbLb1EEEEDaS14_S15_EUlS14_E_NS1_11comp_targetILNS1_3genE0ELNS1_11target_archE4294967295ELNS1_3gpuE0ELNS1_3repE0EEENS1_30default_config_static_selectorELNS0_4arch9wavefront6targetE1EEEvT1_: ; @_ZN7rocprim17ROCPRIM_400000_NS6detail17trampoline_kernelINS0_14default_configENS1_25partition_config_selectorILNS1_17partition_subalgoE1EiNS0_10empty_typeEbEEZZNS1_14partition_implILS5_1ELb0ES3_jN6thrust23THRUST_200600_302600_NS6detail15normal_iteratorINSA_10device_ptrIiEEEEPS6_NSA_18transform_iteratorI7is_evenIiESF_NSA_11use_defaultESK_EENS0_5tupleIJSF_SF_EEENSM_IJSG_SG_EEES6_PlJS6_EEE10hipError_tPvRmT3_T4_T5_T6_T7_T9_mT8_P12ihipStream_tbDpT10_ENKUlT_T0_E_clISt17integral_constantIbLb0EES18_IbLb1EEEEDaS14_S15_EUlS14_E_NS1_11comp_targetILNS1_3genE0ELNS1_11target_archE4294967295ELNS1_3gpuE0ELNS1_3repE0EEENS1_30default_config_static_selectorELNS0_4arch9wavefront6targetE1EEEvT1_
; %bb.0:
	.section	.rodata,"a",@progbits
	.p2align	6, 0x0
	.amdhsa_kernel _ZN7rocprim17ROCPRIM_400000_NS6detail17trampoline_kernelINS0_14default_configENS1_25partition_config_selectorILNS1_17partition_subalgoE1EiNS0_10empty_typeEbEEZZNS1_14partition_implILS5_1ELb0ES3_jN6thrust23THRUST_200600_302600_NS6detail15normal_iteratorINSA_10device_ptrIiEEEEPS6_NSA_18transform_iteratorI7is_evenIiESF_NSA_11use_defaultESK_EENS0_5tupleIJSF_SF_EEENSM_IJSG_SG_EEES6_PlJS6_EEE10hipError_tPvRmT3_T4_T5_T6_T7_T9_mT8_P12ihipStream_tbDpT10_ENKUlT_T0_E_clISt17integral_constantIbLb0EES18_IbLb1EEEEDaS14_S15_EUlS14_E_NS1_11comp_targetILNS1_3genE0ELNS1_11target_archE4294967295ELNS1_3gpuE0ELNS1_3repE0EEENS1_30default_config_static_selectorELNS0_4arch9wavefront6targetE1EEEvT1_
		.amdhsa_group_segment_fixed_size 0
		.amdhsa_private_segment_fixed_size 0
		.amdhsa_kernarg_size 144
		.amdhsa_user_sgpr_count 6
		.amdhsa_user_sgpr_private_segment_buffer 1
		.amdhsa_user_sgpr_dispatch_ptr 0
		.amdhsa_user_sgpr_queue_ptr 0
		.amdhsa_user_sgpr_kernarg_segment_ptr 1
		.amdhsa_user_sgpr_dispatch_id 0
		.amdhsa_user_sgpr_flat_scratch_init 0
		.amdhsa_user_sgpr_kernarg_preload_length 0
		.amdhsa_user_sgpr_kernarg_preload_offset 0
		.amdhsa_user_sgpr_private_segment_size 0
		.amdhsa_uses_dynamic_stack 0
		.amdhsa_system_sgpr_private_segment_wavefront_offset 0
		.amdhsa_system_sgpr_workgroup_id_x 1
		.amdhsa_system_sgpr_workgroup_id_y 0
		.amdhsa_system_sgpr_workgroup_id_z 0
		.amdhsa_system_sgpr_workgroup_info 0
		.amdhsa_system_vgpr_workitem_id 0
		.amdhsa_next_free_vgpr 1
		.amdhsa_next_free_sgpr 0
		.amdhsa_accum_offset 4
		.amdhsa_reserve_vcc 0
		.amdhsa_reserve_flat_scratch 0
		.amdhsa_float_round_mode_32 0
		.amdhsa_float_round_mode_16_64 0
		.amdhsa_float_denorm_mode_32 3
		.amdhsa_float_denorm_mode_16_64 3
		.amdhsa_dx10_clamp 1
		.amdhsa_ieee_mode 1
		.amdhsa_fp16_overflow 0
		.amdhsa_tg_split 0
		.amdhsa_exception_fp_ieee_invalid_op 0
		.amdhsa_exception_fp_denorm_src 0
		.amdhsa_exception_fp_ieee_div_zero 0
		.amdhsa_exception_fp_ieee_overflow 0
		.amdhsa_exception_fp_ieee_underflow 0
		.amdhsa_exception_fp_ieee_inexact 0
		.amdhsa_exception_int_div_zero 0
	.end_amdhsa_kernel
	.section	.text._ZN7rocprim17ROCPRIM_400000_NS6detail17trampoline_kernelINS0_14default_configENS1_25partition_config_selectorILNS1_17partition_subalgoE1EiNS0_10empty_typeEbEEZZNS1_14partition_implILS5_1ELb0ES3_jN6thrust23THRUST_200600_302600_NS6detail15normal_iteratorINSA_10device_ptrIiEEEEPS6_NSA_18transform_iteratorI7is_evenIiESF_NSA_11use_defaultESK_EENS0_5tupleIJSF_SF_EEENSM_IJSG_SG_EEES6_PlJS6_EEE10hipError_tPvRmT3_T4_T5_T6_T7_T9_mT8_P12ihipStream_tbDpT10_ENKUlT_T0_E_clISt17integral_constantIbLb0EES18_IbLb1EEEEDaS14_S15_EUlS14_E_NS1_11comp_targetILNS1_3genE0ELNS1_11target_archE4294967295ELNS1_3gpuE0ELNS1_3repE0EEENS1_30default_config_static_selectorELNS0_4arch9wavefront6targetE1EEEvT1_,"axG",@progbits,_ZN7rocprim17ROCPRIM_400000_NS6detail17trampoline_kernelINS0_14default_configENS1_25partition_config_selectorILNS1_17partition_subalgoE1EiNS0_10empty_typeEbEEZZNS1_14partition_implILS5_1ELb0ES3_jN6thrust23THRUST_200600_302600_NS6detail15normal_iteratorINSA_10device_ptrIiEEEEPS6_NSA_18transform_iteratorI7is_evenIiESF_NSA_11use_defaultESK_EENS0_5tupleIJSF_SF_EEENSM_IJSG_SG_EEES6_PlJS6_EEE10hipError_tPvRmT3_T4_T5_T6_T7_T9_mT8_P12ihipStream_tbDpT10_ENKUlT_T0_E_clISt17integral_constantIbLb0EES18_IbLb1EEEEDaS14_S15_EUlS14_E_NS1_11comp_targetILNS1_3genE0ELNS1_11target_archE4294967295ELNS1_3gpuE0ELNS1_3repE0EEENS1_30default_config_static_selectorELNS0_4arch9wavefront6targetE1EEEvT1_,comdat
.Lfunc_end441:
	.size	_ZN7rocprim17ROCPRIM_400000_NS6detail17trampoline_kernelINS0_14default_configENS1_25partition_config_selectorILNS1_17partition_subalgoE1EiNS0_10empty_typeEbEEZZNS1_14partition_implILS5_1ELb0ES3_jN6thrust23THRUST_200600_302600_NS6detail15normal_iteratorINSA_10device_ptrIiEEEEPS6_NSA_18transform_iteratorI7is_evenIiESF_NSA_11use_defaultESK_EENS0_5tupleIJSF_SF_EEENSM_IJSG_SG_EEES6_PlJS6_EEE10hipError_tPvRmT3_T4_T5_T6_T7_T9_mT8_P12ihipStream_tbDpT10_ENKUlT_T0_E_clISt17integral_constantIbLb0EES18_IbLb1EEEEDaS14_S15_EUlS14_E_NS1_11comp_targetILNS1_3genE0ELNS1_11target_archE4294967295ELNS1_3gpuE0ELNS1_3repE0EEENS1_30default_config_static_selectorELNS0_4arch9wavefront6targetE1EEEvT1_, .Lfunc_end441-_ZN7rocprim17ROCPRIM_400000_NS6detail17trampoline_kernelINS0_14default_configENS1_25partition_config_selectorILNS1_17partition_subalgoE1EiNS0_10empty_typeEbEEZZNS1_14partition_implILS5_1ELb0ES3_jN6thrust23THRUST_200600_302600_NS6detail15normal_iteratorINSA_10device_ptrIiEEEEPS6_NSA_18transform_iteratorI7is_evenIiESF_NSA_11use_defaultESK_EENS0_5tupleIJSF_SF_EEENSM_IJSG_SG_EEES6_PlJS6_EEE10hipError_tPvRmT3_T4_T5_T6_T7_T9_mT8_P12ihipStream_tbDpT10_ENKUlT_T0_E_clISt17integral_constantIbLb0EES18_IbLb1EEEEDaS14_S15_EUlS14_E_NS1_11comp_targetILNS1_3genE0ELNS1_11target_archE4294967295ELNS1_3gpuE0ELNS1_3repE0EEENS1_30default_config_static_selectorELNS0_4arch9wavefront6targetE1EEEvT1_
                                        ; -- End function
	.section	.AMDGPU.csdata,"",@progbits
; Kernel info:
; codeLenInByte = 0
; NumSgprs: 4
; NumVgprs: 0
; NumAgprs: 0
; TotalNumVgprs: 0
; ScratchSize: 0
; MemoryBound: 0
; FloatMode: 240
; IeeeMode: 1
; LDSByteSize: 0 bytes/workgroup (compile time only)
; SGPRBlocks: 0
; VGPRBlocks: 0
; NumSGPRsForWavesPerEU: 4
; NumVGPRsForWavesPerEU: 1
; AccumOffset: 4
; Occupancy: 8
; WaveLimiterHint : 0
; COMPUTE_PGM_RSRC2:SCRATCH_EN: 0
; COMPUTE_PGM_RSRC2:USER_SGPR: 6
; COMPUTE_PGM_RSRC2:TRAP_HANDLER: 0
; COMPUTE_PGM_RSRC2:TGID_X_EN: 1
; COMPUTE_PGM_RSRC2:TGID_Y_EN: 0
; COMPUTE_PGM_RSRC2:TGID_Z_EN: 0
; COMPUTE_PGM_RSRC2:TIDIG_COMP_CNT: 0
; COMPUTE_PGM_RSRC3_GFX90A:ACCUM_OFFSET: 0
; COMPUTE_PGM_RSRC3_GFX90A:TG_SPLIT: 0
	.section	.text._ZN7rocprim17ROCPRIM_400000_NS6detail17trampoline_kernelINS0_14default_configENS1_25partition_config_selectorILNS1_17partition_subalgoE1EiNS0_10empty_typeEbEEZZNS1_14partition_implILS5_1ELb0ES3_jN6thrust23THRUST_200600_302600_NS6detail15normal_iteratorINSA_10device_ptrIiEEEEPS6_NSA_18transform_iteratorI7is_evenIiESF_NSA_11use_defaultESK_EENS0_5tupleIJSF_SF_EEENSM_IJSG_SG_EEES6_PlJS6_EEE10hipError_tPvRmT3_T4_T5_T6_T7_T9_mT8_P12ihipStream_tbDpT10_ENKUlT_T0_E_clISt17integral_constantIbLb0EES18_IbLb1EEEEDaS14_S15_EUlS14_E_NS1_11comp_targetILNS1_3genE5ELNS1_11target_archE942ELNS1_3gpuE9ELNS1_3repE0EEENS1_30default_config_static_selectorELNS0_4arch9wavefront6targetE1EEEvT1_,"axG",@progbits,_ZN7rocprim17ROCPRIM_400000_NS6detail17trampoline_kernelINS0_14default_configENS1_25partition_config_selectorILNS1_17partition_subalgoE1EiNS0_10empty_typeEbEEZZNS1_14partition_implILS5_1ELb0ES3_jN6thrust23THRUST_200600_302600_NS6detail15normal_iteratorINSA_10device_ptrIiEEEEPS6_NSA_18transform_iteratorI7is_evenIiESF_NSA_11use_defaultESK_EENS0_5tupleIJSF_SF_EEENSM_IJSG_SG_EEES6_PlJS6_EEE10hipError_tPvRmT3_T4_T5_T6_T7_T9_mT8_P12ihipStream_tbDpT10_ENKUlT_T0_E_clISt17integral_constantIbLb0EES18_IbLb1EEEEDaS14_S15_EUlS14_E_NS1_11comp_targetILNS1_3genE5ELNS1_11target_archE942ELNS1_3gpuE9ELNS1_3repE0EEENS1_30default_config_static_selectorELNS0_4arch9wavefront6targetE1EEEvT1_,comdat
	.protected	_ZN7rocprim17ROCPRIM_400000_NS6detail17trampoline_kernelINS0_14default_configENS1_25partition_config_selectorILNS1_17partition_subalgoE1EiNS0_10empty_typeEbEEZZNS1_14partition_implILS5_1ELb0ES3_jN6thrust23THRUST_200600_302600_NS6detail15normal_iteratorINSA_10device_ptrIiEEEEPS6_NSA_18transform_iteratorI7is_evenIiESF_NSA_11use_defaultESK_EENS0_5tupleIJSF_SF_EEENSM_IJSG_SG_EEES6_PlJS6_EEE10hipError_tPvRmT3_T4_T5_T6_T7_T9_mT8_P12ihipStream_tbDpT10_ENKUlT_T0_E_clISt17integral_constantIbLb0EES18_IbLb1EEEEDaS14_S15_EUlS14_E_NS1_11comp_targetILNS1_3genE5ELNS1_11target_archE942ELNS1_3gpuE9ELNS1_3repE0EEENS1_30default_config_static_selectorELNS0_4arch9wavefront6targetE1EEEvT1_ ; -- Begin function _ZN7rocprim17ROCPRIM_400000_NS6detail17trampoline_kernelINS0_14default_configENS1_25partition_config_selectorILNS1_17partition_subalgoE1EiNS0_10empty_typeEbEEZZNS1_14partition_implILS5_1ELb0ES3_jN6thrust23THRUST_200600_302600_NS6detail15normal_iteratorINSA_10device_ptrIiEEEEPS6_NSA_18transform_iteratorI7is_evenIiESF_NSA_11use_defaultESK_EENS0_5tupleIJSF_SF_EEENSM_IJSG_SG_EEES6_PlJS6_EEE10hipError_tPvRmT3_T4_T5_T6_T7_T9_mT8_P12ihipStream_tbDpT10_ENKUlT_T0_E_clISt17integral_constantIbLb0EES18_IbLb1EEEEDaS14_S15_EUlS14_E_NS1_11comp_targetILNS1_3genE5ELNS1_11target_archE942ELNS1_3gpuE9ELNS1_3repE0EEENS1_30default_config_static_selectorELNS0_4arch9wavefront6targetE1EEEvT1_
	.globl	_ZN7rocprim17ROCPRIM_400000_NS6detail17trampoline_kernelINS0_14default_configENS1_25partition_config_selectorILNS1_17partition_subalgoE1EiNS0_10empty_typeEbEEZZNS1_14partition_implILS5_1ELb0ES3_jN6thrust23THRUST_200600_302600_NS6detail15normal_iteratorINSA_10device_ptrIiEEEEPS6_NSA_18transform_iteratorI7is_evenIiESF_NSA_11use_defaultESK_EENS0_5tupleIJSF_SF_EEENSM_IJSG_SG_EEES6_PlJS6_EEE10hipError_tPvRmT3_T4_T5_T6_T7_T9_mT8_P12ihipStream_tbDpT10_ENKUlT_T0_E_clISt17integral_constantIbLb0EES18_IbLb1EEEEDaS14_S15_EUlS14_E_NS1_11comp_targetILNS1_3genE5ELNS1_11target_archE942ELNS1_3gpuE9ELNS1_3repE0EEENS1_30default_config_static_selectorELNS0_4arch9wavefront6targetE1EEEvT1_
	.p2align	8
	.type	_ZN7rocprim17ROCPRIM_400000_NS6detail17trampoline_kernelINS0_14default_configENS1_25partition_config_selectorILNS1_17partition_subalgoE1EiNS0_10empty_typeEbEEZZNS1_14partition_implILS5_1ELb0ES3_jN6thrust23THRUST_200600_302600_NS6detail15normal_iteratorINSA_10device_ptrIiEEEEPS6_NSA_18transform_iteratorI7is_evenIiESF_NSA_11use_defaultESK_EENS0_5tupleIJSF_SF_EEENSM_IJSG_SG_EEES6_PlJS6_EEE10hipError_tPvRmT3_T4_T5_T6_T7_T9_mT8_P12ihipStream_tbDpT10_ENKUlT_T0_E_clISt17integral_constantIbLb0EES18_IbLb1EEEEDaS14_S15_EUlS14_E_NS1_11comp_targetILNS1_3genE5ELNS1_11target_archE942ELNS1_3gpuE9ELNS1_3repE0EEENS1_30default_config_static_selectorELNS0_4arch9wavefront6targetE1EEEvT1_,@function
_ZN7rocprim17ROCPRIM_400000_NS6detail17trampoline_kernelINS0_14default_configENS1_25partition_config_selectorILNS1_17partition_subalgoE1EiNS0_10empty_typeEbEEZZNS1_14partition_implILS5_1ELb0ES3_jN6thrust23THRUST_200600_302600_NS6detail15normal_iteratorINSA_10device_ptrIiEEEEPS6_NSA_18transform_iteratorI7is_evenIiESF_NSA_11use_defaultESK_EENS0_5tupleIJSF_SF_EEENSM_IJSG_SG_EEES6_PlJS6_EEE10hipError_tPvRmT3_T4_T5_T6_T7_T9_mT8_P12ihipStream_tbDpT10_ENKUlT_T0_E_clISt17integral_constantIbLb0EES18_IbLb1EEEEDaS14_S15_EUlS14_E_NS1_11comp_targetILNS1_3genE5ELNS1_11target_archE942ELNS1_3gpuE9ELNS1_3repE0EEENS1_30default_config_static_selectorELNS0_4arch9wavefront6targetE1EEEvT1_: ; @_ZN7rocprim17ROCPRIM_400000_NS6detail17trampoline_kernelINS0_14default_configENS1_25partition_config_selectorILNS1_17partition_subalgoE1EiNS0_10empty_typeEbEEZZNS1_14partition_implILS5_1ELb0ES3_jN6thrust23THRUST_200600_302600_NS6detail15normal_iteratorINSA_10device_ptrIiEEEEPS6_NSA_18transform_iteratorI7is_evenIiESF_NSA_11use_defaultESK_EENS0_5tupleIJSF_SF_EEENSM_IJSG_SG_EEES6_PlJS6_EEE10hipError_tPvRmT3_T4_T5_T6_T7_T9_mT8_P12ihipStream_tbDpT10_ENKUlT_T0_E_clISt17integral_constantIbLb0EES18_IbLb1EEEEDaS14_S15_EUlS14_E_NS1_11comp_targetILNS1_3genE5ELNS1_11target_archE942ELNS1_3gpuE9ELNS1_3repE0EEENS1_30default_config_static_selectorELNS0_4arch9wavefront6targetE1EEEvT1_
; %bb.0:
	.section	.rodata,"a",@progbits
	.p2align	6, 0x0
	.amdhsa_kernel _ZN7rocprim17ROCPRIM_400000_NS6detail17trampoline_kernelINS0_14default_configENS1_25partition_config_selectorILNS1_17partition_subalgoE1EiNS0_10empty_typeEbEEZZNS1_14partition_implILS5_1ELb0ES3_jN6thrust23THRUST_200600_302600_NS6detail15normal_iteratorINSA_10device_ptrIiEEEEPS6_NSA_18transform_iteratorI7is_evenIiESF_NSA_11use_defaultESK_EENS0_5tupleIJSF_SF_EEENSM_IJSG_SG_EEES6_PlJS6_EEE10hipError_tPvRmT3_T4_T5_T6_T7_T9_mT8_P12ihipStream_tbDpT10_ENKUlT_T0_E_clISt17integral_constantIbLb0EES18_IbLb1EEEEDaS14_S15_EUlS14_E_NS1_11comp_targetILNS1_3genE5ELNS1_11target_archE942ELNS1_3gpuE9ELNS1_3repE0EEENS1_30default_config_static_selectorELNS0_4arch9wavefront6targetE1EEEvT1_
		.amdhsa_group_segment_fixed_size 0
		.amdhsa_private_segment_fixed_size 0
		.amdhsa_kernarg_size 144
		.amdhsa_user_sgpr_count 6
		.amdhsa_user_sgpr_private_segment_buffer 1
		.amdhsa_user_sgpr_dispatch_ptr 0
		.amdhsa_user_sgpr_queue_ptr 0
		.amdhsa_user_sgpr_kernarg_segment_ptr 1
		.amdhsa_user_sgpr_dispatch_id 0
		.amdhsa_user_sgpr_flat_scratch_init 0
		.amdhsa_user_sgpr_kernarg_preload_length 0
		.amdhsa_user_sgpr_kernarg_preload_offset 0
		.amdhsa_user_sgpr_private_segment_size 0
		.amdhsa_uses_dynamic_stack 0
		.amdhsa_system_sgpr_private_segment_wavefront_offset 0
		.amdhsa_system_sgpr_workgroup_id_x 1
		.amdhsa_system_sgpr_workgroup_id_y 0
		.amdhsa_system_sgpr_workgroup_id_z 0
		.amdhsa_system_sgpr_workgroup_info 0
		.amdhsa_system_vgpr_workitem_id 0
		.amdhsa_next_free_vgpr 1
		.amdhsa_next_free_sgpr 0
		.amdhsa_accum_offset 4
		.amdhsa_reserve_vcc 0
		.amdhsa_reserve_flat_scratch 0
		.amdhsa_float_round_mode_32 0
		.amdhsa_float_round_mode_16_64 0
		.amdhsa_float_denorm_mode_32 3
		.amdhsa_float_denorm_mode_16_64 3
		.amdhsa_dx10_clamp 1
		.amdhsa_ieee_mode 1
		.amdhsa_fp16_overflow 0
		.amdhsa_tg_split 0
		.amdhsa_exception_fp_ieee_invalid_op 0
		.amdhsa_exception_fp_denorm_src 0
		.amdhsa_exception_fp_ieee_div_zero 0
		.amdhsa_exception_fp_ieee_overflow 0
		.amdhsa_exception_fp_ieee_underflow 0
		.amdhsa_exception_fp_ieee_inexact 0
		.amdhsa_exception_int_div_zero 0
	.end_amdhsa_kernel
	.section	.text._ZN7rocprim17ROCPRIM_400000_NS6detail17trampoline_kernelINS0_14default_configENS1_25partition_config_selectorILNS1_17partition_subalgoE1EiNS0_10empty_typeEbEEZZNS1_14partition_implILS5_1ELb0ES3_jN6thrust23THRUST_200600_302600_NS6detail15normal_iteratorINSA_10device_ptrIiEEEEPS6_NSA_18transform_iteratorI7is_evenIiESF_NSA_11use_defaultESK_EENS0_5tupleIJSF_SF_EEENSM_IJSG_SG_EEES6_PlJS6_EEE10hipError_tPvRmT3_T4_T5_T6_T7_T9_mT8_P12ihipStream_tbDpT10_ENKUlT_T0_E_clISt17integral_constantIbLb0EES18_IbLb1EEEEDaS14_S15_EUlS14_E_NS1_11comp_targetILNS1_3genE5ELNS1_11target_archE942ELNS1_3gpuE9ELNS1_3repE0EEENS1_30default_config_static_selectorELNS0_4arch9wavefront6targetE1EEEvT1_,"axG",@progbits,_ZN7rocprim17ROCPRIM_400000_NS6detail17trampoline_kernelINS0_14default_configENS1_25partition_config_selectorILNS1_17partition_subalgoE1EiNS0_10empty_typeEbEEZZNS1_14partition_implILS5_1ELb0ES3_jN6thrust23THRUST_200600_302600_NS6detail15normal_iteratorINSA_10device_ptrIiEEEEPS6_NSA_18transform_iteratorI7is_evenIiESF_NSA_11use_defaultESK_EENS0_5tupleIJSF_SF_EEENSM_IJSG_SG_EEES6_PlJS6_EEE10hipError_tPvRmT3_T4_T5_T6_T7_T9_mT8_P12ihipStream_tbDpT10_ENKUlT_T0_E_clISt17integral_constantIbLb0EES18_IbLb1EEEEDaS14_S15_EUlS14_E_NS1_11comp_targetILNS1_3genE5ELNS1_11target_archE942ELNS1_3gpuE9ELNS1_3repE0EEENS1_30default_config_static_selectorELNS0_4arch9wavefront6targetE1EEEvT1_,comdat
.Lfunc_end442:
	.size	_ZN7rocprim17ROCPRIM_400000_NS6detail17trampoline_kernelINS0_14default_configENS1_25partition_config_selectorILNS1_17partition_subalgoE1EiNS0_10empty_typeEbEEZZNS1_14partition_implILS5_1ELb0ES3_jN6thrust23THRUST_200600_302600_NS6detail15normal_iteratorINSA_10device_ptrIiEEEEPS6_NSA_18transform_iteratorI7is_evenIiESF_NSA_11use_defaultESK_EENS0_5tupleIJSF_SF_EEENSM_IJSG_SG_EEES6_PlJS6_EEE10hipError_tPvRmT3_T4_T5_T6_T7_T9_mT8_P12ihipStream_tbDpT10_ENKUlT_T0_E_clISt17integral_constantIbLb0EES18_IbLb1EEEEDaS14_S15_EUlS14_E_NS1_11comp_targetILNS1_3genE5ELNS1_11target_archE942ELNS1_3gpuE9ELNS1_3repE0EEENS1_30default_config_static_selectorELNS0_4arch9wavefront6targetE1EEEvT1_, .Lfunc_end442-_ZN7rocprim17ROCPRIM_400000_NS6detail17trampoline_kernelINS0_14default_configENS1_25partition_config_selectorILNS1_17partition_subalgoE1EiNS0_10empty_typeEbEEZZNS1_14partition_implILS5_1ELb0ES3_jN6thrust23THRUST_200600_302600_NS6detail15normal_iteratorINSA_10device_ptrIiEEEEPS6_NSA_18transform_iteratorI7is_evenIiESF_NSA_11use_defaultESK_EENS0_5tupleIJSF_SF_EEENSM_IJSG_SG_EEES6_PlJS6_EEE10hipError_tPvRmT3_T4_T5_T6_T7_T9_mT8_P12ihipStream_tbDpT10_ENKUlT_T0_E_clISt17integral_constantIbLb0EES18_IbLb1EEEEDaS14_S15_EUlS14_E_NS1_11comp_targetILNS1_3genE5ELNS1_11target_archE942ELNS1_3gpuE9ELNS1_3repE0EEENS1_30default_config_static_selectorELNS0_4arch9wavefront6targetE1EEEvT1_
                                        ; -- End function
	.section	.AMDGPU.csdata,"",@progbits
; Kernel info:
; codeLenInByte = 0
; NumSgprs: 4
; NumVgprs: 0
; NumAgprs: 0
; TotalNumVgprs: 0
; ScratchSize: 0
; MemoryBound: 0
; FloatMode: 240
; IeeeMode: 1
; LDSByteSize: 0 bytes/workgroup (compile time only)
; SGPRBlocks: 0
; VGPRBlocks: 0
; NumSGPRsForWavesPerEU: 4
; NumVGPRsForWavesPerEU: 1
; AccumOffset: 4
; Occupancy: 8
; WaveLimiterHint : 0
; COMPUTE_PGM_RSRC2:SCRATCH_EN: 0
; COMPUTE_PGM_RSRC2:USER_SGPR: 6
; COMPUTE_PGM_RSRC2:TRAP_HANDLER: 0
; COMPUTE_PGM_RSRC2:TGID_X_EN: 1
; COMPUTE_PGM_RSRC2:TGID_Y_EN: 0
; COMPUTE_PGM_RSRC2:TGID_Z_EN: 0
; COMPUTE_PGM_RSRC2:TIDIG_COMP_CNT: 0
; COMPUTE_PGM_RSRC3_GFX90A:ACCUM_OFFSET: 0
; COMPUTE_PGM_RSRC3_GFX90A:TG_SPLIT: 0
	.section	.text._ZN7rocprim17ROCPRIM_400000_NS6detail17trampoline_kernelINS0_14default_configENS1_25partition_config_selectorILNS1_17partition_subalgoE1EiNS0_10empty_typeEbEEZZNS1_14partition_implILS5_1ELb0ES3_jN6thrust23THRUST_200600_302600_NS6detail15normal_iteratorINSA_10device_ptrIiEEEEPS6_NSA_18transform_iteratorI7is_evenIiESF_NSA_11use_defaultESK_EENS0_5tupleIJSF_SF_EEENSM_IJSG_SG_EEES6_PlJS6_EEE10hipError_tPvRmT3_T4_T5_T6_T7_T9_mT8_P12ihipStream_tbDpT10_ENKUlT_T0_E_clISt17integral_constantIbLb0EES18_IbLb1EEEEDaS14_S15_EUlS14_E_NS1_11comp_targetILNS1_3genE4ELNS1_11target_archE910ELNS1_3gpuE8ELNS1_3repE0EEENS1_30default_config_static_selectorELNS0_4arch9wavefront6targetE1EEEvT1_,"axG",@progbits,_ZN7rocprim17ROCPRIM_400000_NS6detail17trampoline_kernelINS0_14default_configENS1_25partition_config_selectorILNS1_17partition_subalgoE1EiNS0_10empty_typeEbEEZZNS1_14partition_implILS5_1ELb0ES3_jN6thrust23THRUST_200600_302600_NS6detail15normal_iteratorINSA_10device_ptrIiEEEEPS6_NSA_18transform_iteratorI7is_evenIiESF_NSA_11use_defaultESK_EENS0_5tupleIJSF_SF_EEENSM_IJSG_SG_EEES6_PlJS6_EEE10hipError_tPvRmT3_T4_T5_T6_T7_T9_mT8_P12ihipStream_tbDpT10_ENKUlT_T0_E_clISt17integral_constantIbLb0EES18_IbLb1EEEEDaS14_S15_EUlS14_E_NS1_11comp_targetILNS1_3genE4ELNS1_11target_archE910ELNS1_3gpuE8ELNS1_3repE0EEENS1_30default_config_static_selectorELNS0_4arch9wavefront6targetE1EEEvT1_,comdat
	.protected	_ZN7rocprim17ROCPRIM_400000_NS6detail17trampoline_kernelINS0_14default_configENS1_25partition_config_selectorILNS1_17partition_subalgoE1EiNS0_10empty_typeEbEEZZNS1_14partition_implILS5_1ELb0ES3_jN6thrust23THRUST_200600_302600_NS6detail15normal_iteratorINSA_10device_ptrIiEEEEPS6_NSA_18transform_iteratorI7is_evenIiESF_NSA_11use_defaultESK_EENS0_5tupleIJSF_SF_EEENSM_IJSG_SG_EEES6_PlJS6_EEE10hipError_tPvRmT3_T4_T5_T6_T7_T9_mT8_P12ihipStream_tbDpT10_ENKUlT_T0_E_clISt17integral_constantIbLb0EES18_IbLb1EEEEDaS14_S15_EUlS14_E_NS1_11comp_targetILNS1_3genE4ELNS1_11target_archE910ELNS1_3gpuE8ELNS1_3repE0EEENS1_30default_config_static_selectorELNS0_4arch9wavefront6targetE1EEEvT1_ ; -- Begin function _ZN7rocprim17ROCPRIM_400000_NS6detail17trampoline_kernelINS0_14default_configENS1_25partition_config_selectorILNS1_17partition_subalgoE1EiNS0_10empty_typeEbEEZZNS1_14partition_implILS5_1ELb0ES3_jN6thrust23THRUST_200600_302600_NS6detail15normal_iteratorINSA_10device_ptrIiEEEEPS6_NSA_18transform_iteratorI7is_evenIiESF_NSA_11use_defaultESK_EENS0_5tupleIJSF_SF_EEENSM_IJSG_SG_EEES6_PlJS6_EEE10hipError_tPvRmT3_T4_T5_T6_T7_T9_mT8_P12ihipStream_tbDpT10_ENKUlT_T0_E_clISt17integral_constantIbLb0EES18_IbLb1EEEEDaS14_S15_EUlS14_E_NS1_11comp_targetILNS1_3genE4ELNS1_11target_archE910ELNS1_3gpuE8ELNS1_3repE0EEENS1_30default_config_static_selectorELNS0_4arch9wavefront6targetE1EEEvT1_
	.globl	_ZN7rocprim17ROCPRIM_400000_NS6detail17trampoline_kernelINS0_14default_configENS1_25partition_config_selectorILNS1_17partition_subalgoE1EiNS0_10empty_typeEbEEZZNS1_14partition_implILS5_1ELb0ES3_jN6thrust23THRUST_200600_302600_NS6detail15normal_iteratorINSA_10device_ptrIiEEEEPS6_NSA_18transform_iteratorI7is_evenIiESF_NSA_11use_defaultESK_EENS0_5tupleIJSF_SF_EEENSM_IJSG_SG_EEES6_PlJS6_EEE10hipError_tPvRmT3_T4_T5_T6_T7_T9_mT8_P12ihipStream_tbDpT10_ENKUlT_T0_E_clISt17integral_constantIbLb0EES18_IbLb1EEEEDaS14_S15_EUlS14_E_NS1_11comp_targetILNS1_3genE4ELNS1_11target_archE910ELNS1_3gpuE8ELNS1_3repE0EEENS1_30default_config_static_selectorELNS0_4arch9wavefront6targetE1EEEvT1_
	.p2align	8
	.type	_ZN7rocprim17ROCPRIM_400000_NS6detail17trampoline_kernelINS0_14default_configENS1_25partition_config_selectorILNS1_17partition_subalgoE1EiNS0_10empty_typeEbEEZZNS1_14partition_implILS5_1ELb0ES3_jN6thrust23THRUST_200600_302600_NS6detail15normal_iteratorINSA_10device_ptrIiEEEEPS6_NSA_18transform_iteratorI7is_evenIiESF_NSA_11use_defaultESK_EENS0_5tupleIJSF_SF_EEENSM_IJSG_SG_EEES6_PlJS6_EEE10hipError_tPvRmT3_T4_T5_T6_T7_T9_mT8_P12ihipStream_tbDpT10_ENKUlT_T0_E_clISt17integral_constantIbLb0EES18_IbLb1EEEEDaS14_S15_EUlS14_E_NS1_11comp_targetILNS1_3genE4ELNS1_11target_archE910ELNS1_3gpuE8ELNS1_3repE0EEENS1_30default_config_static_selectorELNS0_4arch9wavefront6targetE1EEEvT1_,@function
_ZN7rocprim17ROCPRIM_400000_NS6detail17trampoline_kernelINS0_14default_configENS1_25partition_config_selectorILNS1_17partition_subalgoE1EiNS0_10empty_typeEbEEZZNS1_14partition_implILS5_1ELb0ES3_jN6thrust23THRUST_200600_302600_NS6detail15normal_iteratorINSA_10device_ptrIiEEEEPS6_NSA_18transform_iteratorI7is_evenIiESF_NSA_11use_defaultESK_EENS0_5tupleIJSF_SF_EEENSM_IJSG_SG_EEES6_PlJS6_EEE10hipError_tPvRmT3_T4_T5_T6_T7_T9_mT8_P12ihipStream_tbDpT10_ENKUlT_T0_E_clISt17integral_constantIbLb0EES18_IbLb1EEEEDaS14_S15_EUlS14_E_NS1_11comp_targetILNS1_3genE4ELNS1_11target_archE910ELNS1_3gpuE8ELNS1_3repE0EEENS1_30default_config_static_selectorELNS0_4arch9wavefront6targetE1EEEvT1_: ; @_ZN7rocprim17ROCPRIM_400000_NS6detail17trampoline_kernelINS0_14default_configENS1_25partition_config_selectorILNS1_17partition_subalgoE1EiNS0_10empty_typeEbEEZZNS1_14partition_implILS5_1ELb0ES3_jN6thrust23THRUST_200600_302600_NS6detail15normal_iteratorINSA_10device_ptrIiEEEEPS6_NSA_18transform_iteratorI7is_evenIiESF_NSA_11use_defaultESK_EENS0_5tupleIJSF_SF_EEENSM_IJSG_SG_EEES6_PlJS6_EEE10hipError_tPvRmT3_T4_T5_T6_T7_T9_mT8_P12ihipStream_tbDpT10_ENKUlT_T0_E_clISt17integral_constantIbLb0EES18_IbLb1EEEEDaS14_S15_EUlS14_E_NS1_11comp_targetILNS1_3genE4ELNS1_11target_archE910ELNS1_3gpuE8ELNS1_3repE0EEENS1_30default_config_static_selectorELNS0_4arch9wavefront6targetE1EEEvT1_
; %bb.0:
	s_load_dwordx2 s[6:7], s[4:5], 0x20
	s_load_dwordx4 s[20:23], s[4:5], 0x50
	s_load_dwordx2 s[2:3], s[4:5], 0x60
	s_load_dwordx2 s[30:31], s[4:5], 0x70
	v_cmp_eq_u32_e64 s[0:1], 0, v0
	s_and_saveexec_b64 s[8:9], s[0:1]
	s_cbranch_execz .LBB443_4
; %bb.1:
	s_mov_b64 s[12:13], exec
	v_mbcnt_lo_u32_b32 v1, s12, 0
	v_mbcnt_hi_u32_b32 v1, s13, v1
	v_cmp_eq_u32_e32 vcc, 0, v1
                                        ; implicit-def: $vgpr2
	s_and_saveexec_b64 s[10:11], vcc
	s_cbranch_execz .LBB443_3
; %bb.2:
	s_load_dwordx2 s[14:15], s[4:5], 0x80
	s_bcnt1_i32_b64 s12, s[12:13]
	v_mov_b32_e32 v2, 0
	v_mov_b32_e32 v3, s12
	s_waitcnt lgkmcnt(0)
	global_atomic_add v2, v2, v3, s[14:15] glc
.LBB443_3:
	s_or_b64 exec, exec, s[10:11]
	s_waitcnt vmcnt(0)
	v_readfirstlane_b32 s10, v2
	v_add_u32_e32 v1, s10, v1
	v_mov_b32_e32 v2, 0
	ds_write_b32 v2, v1
.LBB443_4:
	s_or_b64 exec, exec, s[8:9]
	v_mov_b32_e32 v3, 0
	s_load_dwordx4 s[16:19], s[4:5], 0x8
	s_load_dwordx4 s[24:27], s[4:5], 0x30
	s_load_dword s8, s[4:5], 0x78
	s_waitcnt lgkmcnt(0)
	s_barrier
	ds_read_b32 v1, v3
	s_waitcnt lgkmcnt(0)
	s_barrier
	global_load_dwordx2 v[10:11], v3, s[22:23]
	v_mov_b32_e32 v5, s3
	s_lshl_b64 s[4:5], s[18:19], 2
	s_movk_i32 s3, 0x700
	s_add_u32 s9, s16, s4
	v_mul_lo_u32 v2, v1, s3
	s_mul_i32 s3, s8, 0x700
	s_addc_u32 s10, s17, s5
	s_add_i32 s11, s8, -1
	s_add_i32 s8, s3, s18
	s_sub_i32 s33, s2, s8
	s_addk_i32 s33, 0x700
	v_mov_b32_e32 v4, s2
	s_add_u32 s2, s18, s3
	v_readfirstlane_b32 s40, v1
	s_addc_u32 s3, s19, 0
	s_cmp_eq_u32 s40, s11
	s_cselect_b64 s[22:23], -1, 0
	s_cmp_lg_u32 s40, s11
	v_cmp_lt_u64_e32 vcc, s[2:3], v[4:5]
	s_cselect_b64 s[2:3], -1, 0
	v_lshlrev_b64 v[12:13], 2, v[2:3]
	s_or_b64 s[28:29], vcc, s[2:3]
	v_mov_b32_e32 v2, s10
	v_add_co_u32_e32 v1, vcc, s9, v12
	v_addc_co_u32_e32 v9, vcc, v2, v13, vcc
	s_mov_b64 s[2:3], -1
	s_and_b64 vcc, exec, s[28:29]
	v_lshlrev_b32_e32 v22, 2, v0
	s_cbranch_vccz .LBB443_6
; %bb.5:
	v_add_co_u32_e32 v2, vcc, v1, v22
	v_addc_co_u32_e32 v3, vcc, 0, v9, vcc
	v_add_co_u32_e32 v4, vcc, 0x1000, v2
	v_addc_co_u32_e32 v5, vcc, 0, v3, vcc
	flat_load_dword v6, v[2:3]
	flat_load_dword v7, v[2:3] offset:1024
	flat_load_dword v8, v[2:3] offset:2048
	;; [unrolled: 1-line block ×3, first 2 shown]
	flat_load_dword v15, v[4:5]
	flat_load_dword v16, v[4:5] offset:1024
	flat_load_dword v17, v[4:5] offset:2048
	s_mov_b64 s[2:3], 0
	s_waitcnt vmcnt(0) lgkmcnt(0)
	ds_write2st64_b32 v22, v6, v7 offset1:4
	ds_write2st64_b32 v22, v8, v14 offset0:8 offset1:12
	ds_write2st64_b32 v22, v15, v16 offset0:16 offset1:20
	ds_write_b32 v22, v17 offset:6144
	s_waitcnt lgkmcnt(0)
	s_barrier
.LBB443_6:
	s_andn2_b64 vcc, exec, s[2:3]
	v_cmp_gt_u32_e64 s[2:3], s33, v0
	s_cbranch_vccnz .LBB443_22
; %bb.7:
                                        ; implicit-def: $vgpr2_vgpr3_vgpr4_vgpr5_vgpr6_vgpr7_vgpr8
	s_and_saveexec_b64 s[8:9], s[2:3]
	s_cbranch_execz .LBB443_9
; %bb.8:
	v_add_co_u32_e32 v2, vcc, v1, v22
	v_addc_co_u32_e32 v3, vcc, 0, v9, vcc
	flat_load_dword v2, v[2:3]
.LBB443_9:
	s_or_b64 exec, exec, s[8:9]
	v_or_b32_e32 v14, 0x100, v0
	v_cmp_gt_u32_e32 vcc, s33, v14
	s_and_saveexec_b64 s[2:3], vcc
	s_cbranch_execz .LBB443_11
; %bb.10:
	v_add_co_u32_e32 v14, vcc, v1, v22
	v_addc_co_u32_e32 v15, vcc, 0, v9, vcc
	flat_load_dword v3, v[14:15] offset:1024
.LBB443_11:
	s_or_b64 exec, exec, s[2:3]
	v_or_b32_e32 v14, 0x200, v0
	v_cmp_gt_u32_e32 vcc, s33, v14
	s_and_saveexec_b64 s[2:3], vcc
	s_cbranch_execz .LBB443_13
; %bb.12:
	v_add_co_u32_e32 v14, vcc, v1, v22
	v_addc_co_u32_e32 v15, vcc, 0, v9, vcc
	flat_load_dword v4, v[14:15] offset:2048
.LBB443_13:
	;; [unrolled: 10-line block ×3, first 2 shown]
	s_or_b64 exec, exec, s[2:3]
	v_or_b32_e32 v14, 0x400, v0
	v_cmp_gt_u32_e32 vcc, s33, v14
	s_and_saveexec_b64 s[2:3], vcc
	s_cbranch_execz .LBB443_17
; %bb.16:
	v_lshlrev_b32_e32 v6, 2, v14
	v_add_co_u32_e32 v14, vcc, v1, v6
	v_addc_co_u32_e32 v15, vcc, 0, v9, vcc
	flat_load_dword v6, v[14:15]
.LBB443_17:
	s_or_b64 exec, exec, s[2:3]
	v_or_b32_e32 v14, 0x500, v0
	v_cmp_gt_u32_e32 vcc, s33, v14
	s_and_saveexec_b64 s[2:3], vcc
	s_cbranch_execz .LBB443_19
; %bb.18:
	v_lshlrev_b32_e32 v7, 2, v14
	v_add_co_u32_e32 v14, vcc, v1, v7
	v_addc_co_u32_e32 v15, vcc, 0, v9, vcc
	flat_load_dword v7, v[14:15]
.LBB443_19:
	;; [unrolled: 11-line block ×3, first 2 shown]
	s_or_b64 exec, exec, s[2:3]
	s_waitcnt vmcnt(0) lgkmcnt(0)
	ds_write2st64_b32 v22, v2, v3 offset1:4
	ds_write2st64_b32 v22, v4, v5 offset0:8 offset1:12
	ds_write2st64_b32 v22, v6, v7 offset0:16 offset1:20
	ds_write_b32 v22, v8 offset:6144
	s_waitcnt lgkmcnt(0)
	s_barrier
.LBB443_22:
	v_mul_u32_u24_e32 v24, 7, v0
	v_lshlrev_b32_e32 v9, 2, v24
	ds_read2_b32 v[6:7], v9 offset1:1
	ds_read2_b32 v[4:5], v9 offset0:2 offset1:3
	ds_read2_b32 v[2:3], v9 offset0:4 offset1:5
	ds_read_b32 v23, v9 offset:24
	s_add_u32 s2, s6, s4
	s_addc_u32 s3, s7, s5
	v_mov_b32_e32 v1, s3
	v_add_co_u32_e32 v8, vcc, s2, v12
	v_addc_co_u32_e32 v1, vcc, v1, v13, vcc
	s_mov_b64 s[2:3], -1
	s_and_b64 vcc, exec, s[28:29]
	s_waitcnt lgkmcnt(0)
	s_barrier
	s_cbranch_vccz .LBB443_24
; %bb.23:
	v_add_co_u32_e32 v14, vcc, v8, v22
	v_readfirstlane_b32 s2, v8
	v_readfirstlane_b32 s3, v1
	v_addc_co_u32_e32 v15, vcc, 0, v1, vcc
	s_nop 3
	global_load_dword v16, v22, s[2:3]
	global_load_dword v17, v22, s[2:3] offset:1024
	global_load_dword v18, v22, s[2:3] offset:2048
	;; [unrolled: 1-line block ×3, first 2 shown]
	s_movk_i32 s2, 0x1000
	v_add_co_u32_e32 v14, vcc, s2, v14
	v_addc_co_u32_e32 v15, vcc, 0, v15, vcc
	global_load_dword v20, v[14:15], off
	global_load_dword v21, v[14:15], off offset:1024
	global_load_dword v25, v[14:15], off offset:2048
	s_mov_b64 s[2:3], 0
	s_waitcnt vmcnt(6)
	v_xor_b32_e32 v14, -1, v16
	s_waitcnt vmcnt(5)
	v_xor_b32_e32 v15, -1, v17
	;; [unrolled: 2-line block ×4, first 2 shown]
	v_and_b32_e32 v14, 1, v14
	v_and_b32_e32 v15, 1, v15
	;; [unrolled: 1-line block ×3, first 2 shown]
	s_waitcnt vmcnt(2)
	v_xor_b32_e32 v18, -1, v20
	s_waitcnt vmcnt(1)
	v_xor_b32_e32 v19, -1, v21
	;; [unrolled: 2-line block ×3, first 2 shown]
	v_and_b32_e32 v17, 1, v17
	v_and_b32_e32 v18, 1, v18
	v_and_b32_e32 v19, 1, v19
	v_and_b32_e32 v20, 1, v20
	ds_write_b8 v0, v14
	ds_write_b8 v0, v15 offset:256
	ds_write_b8 v0, v16 offset:512
	;; [unrolled: 1-line block ×6, first 2 shown]
	s_waitcnt lgkmcnt(0)
	s_barrier
.LBB443_24:
	s_andn2_b64 vcc, exec, s[2:3]
	s_cbranch_vccnz .LBB443_40
; %bb.25:
	v_cmp_gt_u32_e32 vcc, s33, v0
	v_mov_b32_e32 v14, 0
	v_mov_b32_e32 v15, 0
	s_and_saveexec_b64 s[2:3], vcc
	s_cbranch_execz .LBB443_27
; %bb.26:
	v_readfirstlane_b32 s4, v8
	v_readfirstlane_b32 s5, v1
	s_nop 4
	global_load_dword v15, v22, s[4:5]
	s_waitcnt vmcnt(0)
	v_xor_b32_e32 v15, -1, v15
	v_and_b32_e32 v15, 1, v15
.LBB443_27:
	s_or_b64 exec, exec, s[2:3]
	v_or_b32_e32 v16, 0x100, v0
	v_cmp_gt_u32_e32 vcc, s33, v16
	s_and_saveexec_b64 s[2:3], vcc
	s_cbranch_execz .LBB443_29
; %bb.28:
	v_readfirstlane_b32 s4, v8
	v_readfirstlane_b32 s5, v1
	s_nop 4
	global_load_dword v14, v22, s[4:5] offset:1024
	s_waitcnt vmcnt(0)
	v_xor_b32_e32 v14, -1, v14
	v_and_b32_e32 v14, 1, v14
.LBB443_29:
	s_or_b64 exec, exec, s[2:3]
	v_or_b32_e32 v16, 0x200, v0
	v_cmp_gt_u32_e32 vcc, s33, v16
	v_mov_b32_e32 v16, 0
	v_mov_b32_e32 v17, 0
	s_and_saveexec_b64 s[2:3], vcc
	s_cbranch_execz .LBB443_31
; %bb.30:
	v_readfirstlane_b32 s4, v8
	v_readfirstlane_b32 s5, v1
	s_nop 4
	global_load_dword v17, v22, s[4:5] offset:2048
	s_waitcnt vmcnt(0)
	v_xor_b32_e32 v17, -1, v17
	v_and_b32_e32 v17, 1, v17
.LBB443_31:
	s_or_b64 exec, exec, s[2:3]
	v_or_b32_e32 v18, 0x300, v0
	v_cmp_gt_u32_e32 vcc, s33, v18
	s_and_saveexec_b64 s[2:3], vcc
	s_cbranch_execz .LBB443_33
; %bb.32:
	v_readfirstlane_b32 s4, v8
	v_readfirstlane_b32 s5, v1
	s_nop 4
	global_load_dword v16, v22, s[4:5] offset:3072
	s_waitcnt vmcnt(0)
	v_xor_b32_e32 v16, -1, v16
	v_and_b32_e32 v16, 1, v16
.LBB443_33:
	s_or_b64 exec, exec, s[2:3]
	v_or_b32_e32 v20, 0x400, v0
	v_cmp_gt_u32_e32 vcc, s33, v20
	v_mov_b32_e32 v18, 0
	v_mov_b32_e32 v19, 0
	s_and_saveexec_b64 s[2:3], vcc
	s_cbranch_execz .LBB443_35
; %bb.34:
	v_lshlrev_b32_e32 v19, 2, v20
	v_readfirstlane_b32 s4, v8
	v_readfirstlane_b32 s5, v1
	s_nop 4
	global_load_dword v19, v19, s[4:5]
	s_waitcnt vmcnt(0)
	v_xor_b32_e32 v19, -1, v19
	v_and_b32_e32 v19, 1, v19
.LBB443_35:
	s_or_b64 exec, exec, s[2:3]
	v_or_b32_e32 v20, 0x500, v0
	v_cmp_gt_u32_e32 vcc, s33, v20
	s_and_saveexec_b64 s[2:3], vcc
	s_cbranch_execz .LBB443_37
; %bb.36:
	v_lshlrev_b32_e32 v18, 2, v20
	v_readfirstlane_b32 s4, v8
	v_readfirstlane_b32 s5, v1
	s_nop 4
	global_load_dword v18, v18, s[4:5]
	s_waitcnt vmcnt(0)
	v_xor_b32_e32 v18, -1, v18
	v_and_b32_e32 v18, 1, v18
.LBB443_37:
	s_or_b64 exec, exec, s[2:3]
	v_or_b32_e32 v21, 0x600, v0
	v_cmp_gt_u32_e32 vcc, s33, v21
	v_mov_b32_e32 v20, 0
	s_and_saveexec_b64 s[2:3], vcc
	s_cbranch_execz .LBB443_39
; %bb.38:
	v_lshlrev_b32_e32 v20, 2, v21
	v_readfirstlane_b32 s4, v8
	v_readfirstlane_b32 s5, v1
	s_nop 4
	global_load_dword v1, v20, s[4:5]
	s_waitcnt vmcnt(0)
	v_xor_b32_e32 v1, -1, v1
	v_and_b32_e32 v20, 1, v1
.LBB443_39:
	s_or_b64 exec, exec, s[2:3]
	ds_write_b8 v0, v15
	ds_write_b8 v0, v14 offset:256
	ds_write_b8 v0, v17 offset:512
	;; [unrolled: 1-line block ×6, first 2 shown]
	s_waitcnt lgkmcnt(0)
	s_barrier
.LBB443_40:
	s_movk_i32 s2, 0xffeb
	v_mad_i32_i24 v32, v0, s2, v9
	ds_read_u8 v1, v32
	ds_read_u8 v8, v32 offset:1
	ds_read_u8 v9, v32 offset:2
	;; [unrolled: 1-line block ×6, first 2 shown]
	s_waitcnt lgkmcnt(6)
	v_and_b32_e32 v30, 1, v1
	s_waitcnt lgkmcnt(5)
	v_and_b32_e32 v29, 1, v8
	;; [unrolled: 2-line block ×5, first 2 shown]
	v_add3_u32 v8, v29, v30, v28
	s_waitcnt lgkmcnt(1)
	v_and_b32_e32 v25, 1, v16
	s_waitcnt lgkmcnt(0)
	v_and_b32_e32 v1, 1, v17
	v_add3_u32 v8, v8, v27, v26
	v_add3_u32 v34, v8, v25, v1
	v_mbcnt_lo_u32_b32 v8, -1, 0
	v_mbcnt_hi_u32_b32 v31, -1, v8
	v_and_b32_e32 v8, 15, v31
	v_cmp_eq_u32_e64 s[14:15], 0, v8
	v_cmp_lt_u32_e64 s[12:13], 1, v8
	v_cmp_lt_u32_e64 s[10:11], 3, v8
	;; [unrolled: 1-line block ×3, first 2 shown]
	v_and_b32_e32 v8, 16, v31
	v_cmp_eq_u32_e64 s[6:7], 0, v8
	v_or_b32_e32 v8, 63, v0
	s_cmp_lg_u32 s40, 0
	v_cmp_lt_u32_e64 s[2:3], 31, v31
	v_lshrrev_b32_e32 v33, 6, v0
	v_cmp_eq_u32_e64 s[4:5], v8, v0
	s_barrier
	s_cbranch_scc0 .LBB443_67
; %bb.41:
	v_mov_b32_dpp v8, v34 row_shr:1 row_mask:0xf bank_mask:0xf
	v_cndmask_b32_e64 v8, v8, 0, s[14:15]
	v_add_u32_e32 v8, v8, v34
	s_nop 1
	v_mov_b32_dpp v9, v8 row_shr:2 row_mask:0xf bank_mask:0xf
	v_cndmask_b32_e64 v9, 0, v9, s[12:13]
	v_add_u32_e32 v8, v8, v9
	s_nop 1
	;; [unrolled: 4-line block ×4, first 2 shown]
	v_mov_b32_dpp v9, v8 row_bcast:15 row_mask:0xf bank_mask:0xf
	v_cndmask_b32_e64 v9, v9, 0, s[6:7]
	v_add_u32_e32 v8, v8, v9
	s_nop 1
	v_mov_b32_dpp v9, v8 row_bcast:31 row_mask:0xf bank_mask:0xf
	v_cndmask_b32_e64 v9, 0, v9, s[2:3]
	v_add_u32_e32 v8, v8, v9
	s_and_saveexec_b64 s[16:17], s[4:5]
	s_cbranch_execz .LBB443_43
; %bb.42:
	v_lshlrev_b32_e32 v9, 2, v33
	ds_write_b32 v9, v8
.LBB443_43:
	s_or_b64 exec, exec, s[16:17]
	v_cmp_gt_u32_e32 vcc, 4, v0
	s_waitcnt lgkmcnt(0)
	s_barrier
	s_and_saveexec_b64 s[16:17], vcc
	s_cbranch_execz .LBB443_45
; %bb.44:
	ds_read_b32 v9, v22
	v_and_b32_e32 v14, 3, v31
	v_cmp_ne_u32_e32 vcc, 0, v14
	s_waitcnt lgkmcnt(0)
	v_mov_b32_dpp v15, v9 row_shr:1 row_mask:0xf bank_mask:0xf
	v_cndmask_b32_e32 v15, 0, v15, vcc
	v_add_u32_e32 v9, v15, v9
	v_cmp_lt_u32_e32 vcc, 1, v14
	s_nop 0
	v_mov_b32_dpp v15, v9 row_shr:2 row_mask:0xf bank_mask:0xf
	v_cndmask_b32_e32 v14, 0, v15, vcc
	v_add_u32_e32 v9, v9, v14
	ds_write_b32 v22, v9
.LBB443_45:
	s_or_b64 exec, exec, s[16:17]
	v_cmp_gt_u32_e32 vcc, 64, v0
	v_cmp_lt_u32_e64 s[16:17], 63, v0
	s_waitcnt lgkmcnt(0)
	s_barrier
	s_waitcnt lgkmcnt(0)
                                        ; implicit-def: $vgpr35
	s_and_saveexec_b64 s[34:35], s[16:17]
	s_cbranch_execz .LBB443_47
; %bb.46:
	v_lshl_add_u32 v9, v33, 2, -4
	ds_read_b32 v35, v9
	s_waitcnt lgkmcnt(0)
	v_add_u32_e32 v8, v35, v8
.LBB443_47:
	s_or_b64 exec, exec, s[34:35]
	v_add_u32_e32 v9, -1, v31
	v_and_b32_e32 v14, 64, v31
	v_cmp_lt_i32_e64 s[16:17], v9, v14
	v_cndmask_b32_e64 v9, v9, v31, s[16:17]
	v_lshlrev_b32_e32 v9, 2, v9
	ds_bpermute_b32 v36, v9, v8
	v_cmp_eq_u32_e64 s[16:17], 0, v31
	s_and_saveexec_b64 s[34:35], vcc
	s_cbranch_execz .LBB443_66
; %bb.48:
	v_mov_b32_e32 v19, 0
	ds_read_b32 v8, v19 offset:12
	s_and_saveexec_b64 s[36:37], s[16:17]
	s_cbranch_execz .LBB443_50
; %bb.49:
	s_add_i32 s38, s40, 64
	s_mov_b32 s39, 0
	s_lshl_b64 s[38:39], s[38:39], 3
	s_add_u32 s38, s30, s38
	v_mov_b32_e32 v9, 1
	s_addc_u32 s39, s31, s39
	s_waitcnt lgkmcnt(0)
	global_store_dwordx2 v19, v[8:9], s[38:39]
.LBB443_50:
	s_or_b64 exec, exec, s[36:37]
	v_xad_u32 v14, v31, -1, s40
	v_add_u32_e32 v18, 64, v14
	v_lshlrev_b64 v[16:17], 3, v[18:19]
	v_mov_b32_e32 v9, s31
	v_add_co_u32_e32 v20, vcc, s30, v16
	v_addc_co_u32_e32 v21, vcc, v9, v17, vcc
	global_load_dwordx2 v[16:17], v[20:21], off glc
	s_waitcnt vmcnt(0)
	v_cmp_eq_u16_sdwa s[38:39], v17, v19 src0_sel:BYTE_0 src1_sel:DWORD
	s_and_saveexec_b64 s[36:37], s[38:39]
	s_cbranch_execz .LBB443_54
; %bb.51:
	s_mov_b64 s[38:39], 0
	v_mov_b32_e32 v9, 0
.LBB443_52:                             ; =>This Inner Loop Header: Depth=1
	global_load_dwordx2 v[16:17], v[20:21], off glc
	s_waitcnt vmcnt(0)
	v_cmp_ne_u16_sdwa s[42:43], v17, v9 src0_sel:BYTE_0 src1_sel:DWORD
	s_or_b64 s[38:39], s[42:43], s[38:39]
	s_andn2_b64 exec, exec, s[38:39]
	s_cbranch_execnz .LBB443_52
; %bb.53:
	s_or_b64 exec, exec, s[38:39]
.LBB443_54:
	s_or_b64 exec, exec, s[36:37]
	v_and_b32_e32 v38, 63, v31
	v_mov_b32_e32 v37, 2
	v_cmp_ne_u32_e32 vcc, 63, v38
	v_cmp_eq_u16_sdwa s[36:37], v17, v37 src0_sel:BYTE_0 src1_sel:DWORD
	v_lshlrev_b64 v[18:19], v31, -1
	v_addc_co_u32_e32 v20, vcc, 0, v31, vcc
	v_and_b32_e32 v9, s37, v19
	v_lshlrev_b32_e32 v39, 2, v20
	v_or_b32_e32 v9, 0x80000000, v9
	ds_bpermute_b32 v20, v39, v16
	v_and_b32_e32 v15, s36, v18
	v_ffbl_b32_e32 v9, v9
	v_add_u32_e32 v9, 32, v9
	v_ffbl_b32_e32 v15, v15
	v_min_u32_e32 v9, v15, v9
	v_cmp_lt_u32_e32 vcc, v38, v9
	s_waitcnt lgkmcnt(0)
	v_cndmask_b32_e32 v15, 0, v20, vcc
	v_cmp_gt_u32_e32 vcc, 62, v38
	v_add_u32_e32 v15, v15, v16
	v_cndmask_b32_e64 v16, 0, 1, vcc
	v_lshlrev_b32_e32 v16, 1, v16
	v_add_lshl_u32 v40, v16, v31, 2
	ds_bpermute_b32 v16, v40, v15
	v_add_u32_e32 v41, 2, v38
	v_cmp_le_u32_e32 vcc, v41, v9
	v_add_u32_e32 v43, 4, v38
	v_add_u32_e32 v45, 8, v38
	s_waitcnt lgkmcnt(0)
	v_cndmask_b32_e32 v16, 0, v16, vcc
	v_cmp_gt_u32_e32 vcc, 60, v38
	v_add_u32_e32 v15, v15, v16
	v_cndmask_b32_e64 v16, 0, 1, vcc
	v_lshlrev_b32_e32 v16, 2, v16
	v_add_lshl_u32 v42, v16, v31, 2
	ds_bpermute_b32 v16, v42, v15
	v_cmp_le_u32_e32 vcc, v43, v9
	v_add_u32_e32 v47, 16, v38
	v_add_u32_e32 v49, 32, v38
	s_waitcnt lgkmcnt(0)
	v_cndmask_b32_e32 v16, 0, v16, vcc
	v_cmp_gt_u32_e32 vcc, 56, v38
	v_add_u32_e32 v15, v15, v16
	v_cndmask_b32_e64 v16, 0, 1, vcc
	v_lshlrev_b32_e32 v16, 3, v16
	v_add_lshl_u32 v44, v16, v31, 2
	ds_bpermute_b32 v16, v44, v15
	v_cmp_le_u32_e32 vcc, v45, v9
	s_waitcnt lgkmcnt(0)
	v_cndmask_b32_e32 v16, 0, v16, vcc
	v_cmp_gt_u32_e32 vcc, 48, v38
	v_add_u32_e32 v15, v15, v16
	v_cndmask_b32_e64 v16, 0, 1, vcc
	v_lshlrev_b32_e32 v16, 4, v16
	v_add_lshl_u32 v46, v16, v31, 2
	ds_bpermute_b32 v16, v46, v15
	v_cmp_le_u32_e32 vcc, v47, v9
	;; [unrolled: 9-line block ×3, first 2 shown]
	s_waitcnt lgkmcnt(0)
	v_cndmask_b32_e32 v9, 0, v16, vcc
	v_add_u32_e32 v16, v15, v9
	v_mov_b32_e32 v15, 0
	s_branch .LBB443_56
.LBB443_55:                             ;   in Loop: Header=BB443_56 Depth=1
	s_or_b64 exec, exec, s[36:37]
	v_cmp_eq_u16_sdwa s[36:37], v17, v37 src0_sel:BYTE_0 src1_sel:DWORD
	v_and_b32_e32 v20, s37, v19
	v_or_b32_e32 v20, 0x80000000, v20
	ds_bpermute_b32 v50, v39, v16
	v_and_b32_e32 v21, s36, v18
	v_ffbl_b32_e32 v20, v20
	v_add_u32_e32 v20, 32, v20
	v_ffbl_b32_e32 v21, v21
	v_min_u32_e32 v20, v21, v20
	v_cmp_lt_u32_e32 vcc, v38, v20
	s_waitcnt lgkmcnt(0)
	v_cndmask_b32_e32 v21, 0, v50, vcc
	v_add_u32_e32 v16, v21, v16
	ds_bpermute_b32 v21, v40, v16
	v_cmp_le_u32_e32 vcc, v41, v20
	v_subrev_u32_e32 v14, 64, v14
	s_waitcnt lgkmcnt(0)
	v_cndmask_b32_e32 v21, 0, v21, vcc
	v_add_u32_e32 v16, v16, v21
	ds_bpermute_b32 v21, v42, v16
	v_cmp_le_u32_e32 vcc, v43, v20
	s_waitcnt lgkmcnt(0)
	v_cndmask_b32_e32 v21, 0, v21, vcc
	v_add_u32_e32 v16, v16, v21
	ds_bpermute_b32 v21, v44, v16
	v_cmp_le_u32_e32 vcc, v45, v20
	;; [unrolled: 5-line block ×4, first 2 shown]
	s_waitcnt lgkmcnt(0)
	v_cndmask_b32_e32 v20, 0, v21, vcc
	v_add3_u32 v16, v20, v9, v16
.LBB443_56:                             ; =>This Loop Header: Depth=1
                                        ;     Child Loop BB443_59 Depth 2
	v_cmp_ne_u16_sdwa s[36:37], v17, v37 src0_sel:BYTE_0 src1_sel:DWORD
	v_cndmask_b32_e64 v9, 0, 1, s[36:37]
	;;#ASMSTART
	;;#ASMEND
	v_cmp_ne_u32_e32 vcc, 0, v9
	s_cmp_lg_u64 vcc, exec
	v_mov_b32_e32 v9, v16
	s_cbranch_scc1 .LBB443_61
; %bb.57:                               ;   in Loop: Header=BB443_56 Depth=1
	v_lshlrev_b64 v[16:17], 3, v[14:15]
	v_mov_b32_e32 v21, s31
	v_add_co_u32_e32 v20, vcc, s30, v16
	v_addc_co_u32_e32 v21, vcc, v21, v17, vcc
	global_load_dwordx2 v[16:17], v[20:21], off glc
	s_waitcnt vmcnt(0)
	v_cmp_eq_u16_sdwa s[38:39], v17, v15 src0_sel:BYTE_0 src1_sel:DWORD
	s_and_saveexec_b64 s[36:37], s[38:39]
	s_cbranch_execz .LBB443_55
; %bb.58:                               ;   in Loop: Header=BB443_56 Depth=1
	s_mov_b64 s[38:39], 0
.LBB443_59:                             ;   Parent Loop BB443_56 Depth=1
                                        ; =>  This Inner Loop Header: Depth=2
	global_load_dwordx2 v[16:17], v[20:21], off glc
	s_waitcnt vmcnt(0)
	v_cmp_ne_u16_sdwa s[42:43], v17, v15 src0_sel:BYTE_0 src1_sel:DWORD
	s_or_b64 s[38:39], s[42:43], s[38:39]
	s_andn2_b64 exec, exec, s[38:39]
	s_cbranch_execnz .LBB443_59
; %bb.60:                               ;   in Loop: Header=BB443_56 Depth=1
	s_or_b64 exec, exec, s[38:39]
	s_branch .LBB443_55
.LBB443_61:                             ;   in Loop: Header=BB443_56 Depth=1
                                        ; implicit-def: $vgpr16
                                        ; implicit-def: $vgpr17
	s_cbranch_execz .LBB443_56
; %bb.62:
	s_and_saveexec_b64 s[36:37], s[16:17]
	s_cbranch_execz .LBB443_64
; %bb.63:
	s_add_i32 s38, s40, 64
	s_mov_b32 s39, 0
	s_lshl_b64 s[38:39], s[38:39], 3
	s_add_u32 s38, s30, s38
	v_add_u32_e32 v14, v9, v8
	v_mov_b32_e32 v15, 2
	s_addc_u32 s39, s31, s39
	v_mov_b32_e32 v16, 0
	global_store_dwordx2 v16, v[14:15], s[38:39]
	ds_write_b64 v16, v[8:9] offset:7168
.LBB443_64:
	s_or_b64 exec, exec, s[36:37]
	s_and_b64 exec, exec, s[0:1]
	s_cbranch_execz .LBB443_66
; %bb.65:
	v_mov_b32_e32 v8, 0
	ds_write_b32 v8, v9 offset:12
.LBB443_66:
	s_or_b64 exec, exec, s[34:35]
	v_mov_b32_e32 v8, 0
	s_waitcnt lgkmcnt(0)
	s_barrier
	ds_read_b32 v9, v8 offset:12
	v_cndmask_b32_e64 v14, v36, v35, s[16:17]
	v_cndmask_b32_e64 v14, v14, 0, s[0:1]
	s_waitcnt lgkmcnt(0)
	s_barrier
	v_add_u32_e32 v20, v9, v14
	v_add_u32_e32 v19, v20, v30
	;; [unrolled: 1-line block ×3, first 2 shown]
	ds_read_b64 v[8:9], v8 offset:7168
	v_add_u32_e32 v16, v18, v28
	v_add_u32_e32 v17, v16, v27
	;; [unrolled: 1-line block ×4, first 2 shown]
	s_branch .LBB443_77
.LBB443_67:
                                        ; implicit-def: $vgpr9
                                        ; implicit-def: $vgpr14
                                        ; implicit-def: $vgpr15
                                        ; implicit-def: $vgpr17
                                        ; implicit-def: $vgpr16
                                        ; implicit-def: $vgpr18
                                        ; implicit-def: $vgpr19
                                        ; implicit-def: $vgpr20
	s_cbranch_execz .LBB443_77
; %bb.68:
	s_waitcnt lgkmcnt(0)
	v_mov_b32_dpp v8, v34 row_shr:1 row_mask:0xf bank_mask:0xf
	v_cndmask_b32_e64 v8, v8, 0, s[14:15]
	v_add_u32_e32 v8, v8, v34
	s_nop 1
	v_mov_b32_dpp v9, v8 row_shr:2 row_mask:0xf bank_mask:0xf
	v_cndmask_b32_e64 v9, 0, v9, s[12:13]
	v_add_u32_e32 v8, v8, v9
	s_nop 1
	;; [unrolled: 4-line block ×4, first 2 shown]
	v_mov_b32_dpp v9, v8 row_bcast:15 row_mask:0xf bank_mask:0xf
	v_cndmask_b32_e64 v9, v9, 0, s[6:7]
	v_add_u32_e32 v8, v8, v9
	s_nop 1
	v_mov_b32_dpp v9, v8 row_bcast:31 row_mask:0xf bank_mask:0xf
	v_cndmask_b32_e64 v9, 0, v9, s[2:3]
	v_add_u32_e32 v8, v8, v9
	s_and_saveexec_b64 s[2:3], s[4:5]
	s_cbranch_execz .LBB443_70
; %bb.69:
	v_lshlrev_b32_e32 v9, 2, v33
	ds_write_b32 v9, v8
.LBB443_70:
	s_or_b64 exec, exec, s[2:3]
	v_cmp_gt_u32_e32 vcc, 4, v0
	s_waitcnt lgkmcnt(0)
	s_barrier
	s_and_saveexec_b64 s[2:3], vcc
	s_cbranch_execz .LBB443_72
; %bb.71:
	v_mad_i32_i24 v9, v0, -3, v32
	ds_read_b32 v14, v9
	v_and_b32_e32 v15, 3, v31
	v_cmp_ne_u32_e32 vcc, 0, v15
	s_waitcnt lgkmcnt(0)
	v_mov_b32_dpp v16, v14 row_shr:1 row_mask:0xf bank_mask:0xf
	v_cndmask_b32_e32 v16, 0, v16, vcc
	v_add_u32_e32 v14, v16, v14
	v_cmp_lt_u32_e32 vcc, 1, v15
	s_nop 0
	v_mov_b32_dpp v16, v14 row_shr:2 row_mask:0xf bank_mask:0xf
	v_cndmask_b32_e32 v15, 0, v16, vcc
	v_add_u32_e32 v14, v14, v15
	ds_write_b32 v9, v14
.LBB443_72:
	s_or_b64 exec, exec, s[2:3]
	v_cmp_lt_u32_e32 vcc, 63, v0
	v_mov_b32_e32 v9, 0
	v_mov_b32_e32 v14, 0
	s_waitcnt lgkmcnt(0)
	s_barrier
	s_and_saveexec_b64 s[2:3], vcc
	s_cbranch_execz .LBB443_74
; %bb.73:
	v_lshl_add_u32 v14, v33, 2, -4
	ds_read_b32 v14, v14
.LBB443_74:
	s_or_b64 exec, exec, s[2:3]
	v_add_u32_e32 v15, -1, v31
	v_and_b32_e32 v16, 64, v31
	v_cmp_lt_i32_e32 vcc, v15, v16
	v_cndmask_b32_e32 v15, v15, v31, vcc
	s_waitcnt lgkmcnt(0)
	v_add_u32_e32 v8, v14, v8
	v_lshlrev_b32_e32 v15, 2, v15
	ds_bpermute_b32 v15, v15, v8
	ds_read_b32 v8, v9 offset:12
	s_and_saveexec_b64 s[2:3], s[0:1]
	s_cbranch_execz .LBB443_76
; %bb.75:
	v_mov_b32_e32 v16, 0
	v_mov_b32_e32 v9, 2
	s_waitcnt lgkmcnt(0)
	global_store_dwordx2 v16, v[8:9], s[30:31] offset:512
.LBB443_76:
	s_or_b64 exec, exec, s[2:3]
	v_cmp_eq_u32_e32 vcc, 0, v31
	s_waitcnt lgkmcnt(1)
	v_cndmask_b32_e32 v14, v15, v14, vcc
	v_cndmask_b32_e64 v20, v14, 0, s[0:1]
	v_add_u32_e32 v19, v20, v30
	v_add_u32_e32 v18, v19, v29
	;; [unrolled: 1-line block ×5, first 2 shown]
	v_mov_b32_e32 v9, 0
	v_add_u32_e32 v14, v15, v25
	s_waitcnt lgkmcnt(0)
	s_barrier
.LBB443_77:
	s_waitcnt lgkmcnt(0)
	v_add_u32_e32 v21, v8, v24
	v_sub_u32_e32 v20, v20, v9
	v_sub_u32_e32 v24, v21, v20
	v_cmp_eq_u32_e32 vcc, 1, v30
	v_cndmask_b32_e32 v20, v24, v20, vcc
	v_lshlrev_b32_e32 v20, 2, v20
	ds_write_b32 v20, v6
	v_sub_u32_e32 v6, v19, v9
	v_sub_u32_e32 v19, v21, v6
	v_add_u32_e32 v19, 1, v19
	v_cmp_eq_u32_e32 vcc, 1, v29
	v_cndmask_b32_e32 v6, v19, v6, vcc
	v_lshlrev_b32_e32 v6, 2, v6
	ds_write_b32 v6, v7
	v_sub_u32_e32 v6, v18, v9
	v_sub_u32_e32 v7, v21, v6
	v_add_u32_e32 v7, 2, v7
	;; [unrolled: 7-line block ×6, first 2 shown]
	v_cmp_eq_u32_e32 vcc, 1, v1
	v_cndmask_b32_e32 v1, v3, v2, vcc
	s_waitcnt vmcnt(0)
	v_add_co_u32_e32 v24, vcc, v10, v9
	v_addc_co_u32_e32 v25, vcc, 0, v11, vcc
	v_add_co_u32_e32 v2, vcc, v24, v8
	v_addc_co_u32_e32 v3, vcc, 0, v25, vcc
	v_mov_b32_e32 v9, s19
	v_sub_co_u32_e32 v10, vcc, s18, v2
	v_subb_co_u32_e32 v11, vcc, v9, v3, vcc
	v_lshlrev_b64 v[10:11], 2, v[10:11]
	v_lshlrev_b32_e32 v1, 2, v1
	v_mov_b32_e32 v9, s27
	v_add_co_u32_e32 v10, vcc, s26, v10
	ds_write_b32 v1, v23
	s_waitcnt lgkmcnt(0)
	s_barrier
	ds_read2st64_b32 v[14:15], v22 offset1:4
	ds_read2st64_b32 v[6:7], v22 offset0:8 offset1:12
	ds_read2st64_b32 v[4:5], v22 offset0:16 offset1:20
	ds_read_b32 v1, v22 offset:6144
	v_addc_co_u32_e32 v11, vcc, v9, v11, vcc
	v_add_co_u32_e32 v9, vcc, v10, v12
	v_addc_co_u32_e32 v10, vcc, v11, v13, vcc
	v_lshlrev_b64 v[12:13], 2, v[24:25]
	v_mov_b32_e32 v23, s25
	v_add_co_u32_e64 v11, s[2:3], s24, v12
	v_or_b32_e32 v21, 0x100, v0
	v_or_b32_e32 v20, 0x200, v0
	;; [unrolled: 1-line block ×6, first 2 shown]
	s_andn2_b64 vcc, exec, s[28:29]
	v_addc_co_u32_e64 v12, s[2:3], v23, v13, s[2:3]
	s_cbranch_vccnz .LBB443_79
; %bb.78:
	v_cmp_gt_u32_e32 vcc, v8, v0
	v_cndmask_b32_e32 v23, v9, v11, vcc
	v_cndmask_b32_e32 v13, v10, v12, vcc
	v_add_co_u32_e32 v24, vcc, v23, v22
	v_addc_co_u32_e32 v25, vcc, 0, v13, vcc
	v_cmp_lt_u32_e32 vcc, v21, v8
	v_cndmask_b32_e32 v23, v9, v11, vcc
	s_waitcnt lgkmcnt(3)
	global_store_dword v[24:25], v14, off
	v_cndmask_b32_e32 v13, v10, v12, vcc
	v_add_co_u32_e32 v24, vcc, v23, v22
	v_addc_co_u32_e32 v25, vcc, 0, v13, vcc
	v_cmp_lt_u32_e32 vcc, v20, v8
	v_cndmask_b32_e32 v23, v9, v11, vcc
	global_store_dword v[24:25], v15, off offset:1024
	v_cndmask_b32_e32 v13, v10, v12, vcc
	v_add_co_u32_e32 v24, vcc, v23, v22
	v_addc_co_u32_e32 v25, vcc, 0, v13, vcc
	v_cmp_lt_u32_e32 vcc, v19, v8
	v_cndmask_b32_e32 v23, v9, v11, vcc
	s_waitcnt lgkmcnt(2)
	global_store_dword v[24:25], v6, off offset:2048
	v_cndmask_b32_e32 v13, v10, v12, vcc
	v_add_co_u32_e32 v24, vcc, v23, v22
	v_addc_co_u32_e32 v25, vcc, 0, v13, vcc
	v_cmp_lt_u32_e32 vcc, v18, v8
	global_store_dword v[24:25], v7, off offset:3072
	v_cndmask_b32_e32 v23, v9, v11, vcc
	v_lshlrev_b32_e32 v24, 2, v18
	v_cndmask_b32_e32 v13, v10, v12, vcc
	v_add_co_u32_e32 v24, vcc, v23, v24
	v_addc_co_u32_e32 v25, vcc, 0, v13, vcc
	v_cmp_lt_u32_e32 vcc, v17, v8
	s_waitcnt lgkmcnt(1)
	global_store_dword v[24:25], v4, off
	v_cndmask_b32_e32 v23, v9, v11, vcc
	v_lshlrev_b32_e32 v24, 2, v17
	v_cndmask_b32_e32 v13, v10, v12, vcc
	v_add_co_u32_e32 v24, vcc, v23, v24
	v_addc_co_u32_e32 v25, vcc, 0, v13, vcc
	s_mov_b64 s[2:3], -1
	global_store_dword v[24:25], v5, off
	s_cbranch_execz .LBB443_80
	s_branch .LBB443_88
.LBB443_79:
	s_mov_b64 s[2:3], 0
.LBB443_80:
	v_cmp_gt_u32_e32 vcc, s33, v0
	s_and_saveexec_b64 s[2:3], vcc
	s_cbranch_execnz .LBB443_93
; %bb.81:
	s_or_b64 exec, exec, s[2:3]
	v_cmp_gt_u32_e32 vcc, s33, v21
	s_and_saveexec_b64 s[2:3], vcc
	s_cbranch_execnz .LBB443_94
.LBB443_82:
	s_or_b64 exec, exec, s[2:3]
	v_cmp_gt_u32_e32 vcc, s33, v20
	s_and_saveexec_b64 s[2:3], vcc
	s_cbranch_execnz .LBB443_95
.LBB443_83:
	s_or_b64 exec, exec, s[2:3]
	v_cmp_gt_u32_e32 vcc, s33, v19
	s_and_saveexec_b64 s[2:3], vcc
	s_cbranch_execnz .LBB443_96
.LBB443_84:
	s_or_b64 exec, exec, s[2:3]
	v_cmp_gt_u32_e32 vcc, s33, v18
	s_and_saveexec_b64 s[2:3], vcc
	s_cbranch_execnz .LBB443_97
.LBB443_85:
	s_or_b64 exec, exec, s[2:3]
	v_cmp_gt_u32_e32 vcc, s33, v17
	s_and_saveexec_b64 s[2:3], vcc
	s_cbranch_execz .LBB443_87
.LBB443_86:
	v_cmp_lt_u32_e32 vcc, v17, v8
	s_waitcnt lgkmcnt(1)
	v_cndmask_b32_e32 v4, v9, v11, vcc
	v_lshlrev_b32_e32 v6, 2, v17
	v_cndmask_b32_e32 v0, v10, v12, vcc
	v_add_co_u32_e32 v6, vcc, v4, v6
	v_addc_co_u32_e32 v7, vcc, 0, v0, vcc
	global_store_dword v[6:7], v5, off
.LBB443_87:
	s_or_b64 exec, exec, s[2:3]
	v_cmp_gt_u32_e64 s[2:3], s33, v16
.LBB443_88:
	s_and_saveexec_b64 s[4:5], s[2:3]
	s_cbranch_execnz .LBB443_91
; %bb.89:
	s_or_b64 exec, exec, s[4:5]
	s_and_b64 s[0:1], s[0:1], s[22:23]
	s_and_saveexec_b64 s[2:3], s[0:1]
	s_cbranch_execnz .LBB443_92
.LBB443_90:
	s_endpgm
.LBB443_91:
	v_cmp_lt_u32_e32 vcc, v16, v8
	s_waitcnt lgkmcnt(1)
	v_cndmask_b32_e32 v4, v9, v11, vcc
	v_lshlrev_b32_e32 v5, 2, v16
	v_cndmask_b32_e32 v0, v10, v12, vcc
	v_add_co_u32_e32 v4, vcc, v4, v5
	v_addc_co_u32_e32 v5, vcc, 0, v0, vcc
	s_waitcnt lgkmcnt(0)
	global_store_dword v[4:5], v1, off
	s_or_b64 exec, exec, s[4:5]
	s_and_b64 s[0:1], s[0:1], s[22:23]
	s_and_saveexec_b64 s[2:3], s[0:1]
	s_cbranch_execz .LBB443_90
.LBB443_92:
	v_mov_b32_e32 v0, 0
	global_store_dwordx2 v0, v[2:3], s[20:21]
	s_endpgm
.LBB443_93:
	v_cmp_gt_u32_e32 vcc, v8, v0
	v_cndmask_b32_e32 v13, v9, v11, vcc
	v_cndmask_b32_e32 v0, v10, v12, vcc
	v_add_co_u32_e32 v24, vcc, v13, v22
	v_addc_co_u32_e32 v25, vcc, 0, v0, vcc
	s_waitcnt lgkmcnt(3)
	global_store_dword v[24:25], v14, off
	s_or_b64 exec, exec, s[2:3]
	v_cmp_gt_u32_e32 vcc, s33, v21
	s_and_saveexec_b64 s[2:3], vcc
	s_cbranch_execz .LBB443_82
.LBB443_94:
	v_cmp_lt_u32_e32 vcc, v21, v8
	v_cndmask_b32_e32 v13, v9, v11, vcc
	v_cndmask_b32_e32 v0, v10, v12, vcc
	v_add_co_u32_e32 v24, vcc, v13, v22
	v_addc_co_u32_e32 v25, vcc, 0, v0, vcc
	s_waitcnt lgkmcnt(3)
	global_store_dword v[24:25], v15, off offset:1024
	s_or_b64 exec, exec, s[2:3]
	v_cmp_gt_u32_e32 vcc, s33, v20
	s_and_saveexec_b64 s[2:3], vcc
	s_cbranch_execz .LBB443_83
.LBB443_95:
	v_cmp_lt_u32_e32 vcc, v20, v8
	v_cndmask_b32_e32 v13, v9, v11, vcc
	v_cndmask_b32_e32 v0, v10, v12, vcc
	s_waitcnt lgkmcnt(3)
	v_add_co_u32_e32 v14, vcc, v13, v22
	v_addc_co_u32_e32 v15, vcc, 0, v0, vcc
	s_waitcnt lgkmcnt(2)
	global_store_dword v[14:15], v6, off offset:2048
	s_or_b64 exec, exec, s[2:3]
	v_cmp_gt_u32_e32 vcc, s33, v19
	s_and_saveexec_b64 s[2:3], vcc
	s_cbranch_execz .LBB443_84
.LBB443_96:
	v_cmp_lt_u32_e32 vcc, v19, v8
	s_waitcnt lgkmcnt(2)
	v_cndmask_b32_e32 v6, v9, v11, vcc
	v_cndmask_b32_e32 v0, v10, v12, vcc
	v_add_co_u32_e32 v14, vcc, v6, v22
	v_addc_co_u32_e32 v15, vcc, 0, v0, vcc
	global_store_dword v[14:15], v7, off offset:3072
	s_or_b64 exec, exec, s[2:3]
	v_cmp_gt_u32_e32 vcc, s33, v18
	s_and_saveexec_b64 s[2:3], vcc
	s_cbranch_execz .LBB443_85
.LBB443_97:
	v_cmp_lt_u32_e32 vcc, v18, v8
	s_waitcnt lgkmcnt(2)
	v_cndmask_b32_e32 v6, v9, v11, vcc
	v_lshlrev_b32_e32 v7, 2, v18
	v_cndmask_b32_e32 v0, v10, v12, vcc
	v_add_co_u32_e32 v6, vcc, v6, v7
	v_addc_co_u32_e32 v7, vcc, 0, v0, vcc
	s_waitcnt lgkmcnt(1)
	global_store_dword v[6:7], v4, off
	s_or_b64 exec, exec, s[2:3]
	v_cmp_gt_u32_e32 vcc, s33, v17
	s_and_saveexec_b64 s[2:3], vcc
	s_cbranch_execnz .LBB443_86
	s_branch .LBB443_87
	.section	.rodata,"a",@progbits
	.p2align	6, 0x0
	.amdhsa_kernel _ZN7rocprim17ROCPRIM_400000_NS6detail17trampoline_kernelINS0_14default_configENS1_25partition_config_selectorILNS1_17partition_subalgoE1EiNS0_10empty_typeEbEEZZNS1_14partition_implILS5_1ELb0ES3_jN6thrust23THRUST_200600_302600_NS6detail15normal_iteratorINSA_10device_ptrIiEEEEPS6_NSA_18transform_iteratorI7is_evenIiESF_NSA_11use_defaultESK_EENS0_5tupleIJSF_SF_EEENSM_IJSG_SG_EEES6_PlJS6_EEE10hipError_tPvRmT3_T4_T5_T6_T7_T9_mT8_P12ihipStream_tbDpT10_ENKUlT_T0_E_clISt17integral_constantIbLb0EES18_IbLb1EEEEDaS14_S15_EUlS14_E_NS1_11comp_targetILNS1_3genE4ELNS1_11target_archE910ELNS1_3gpuE8ELNS1_3repE0EEENS1_30default_config_static_selectorELNS0_4arch9wavefront6targetE1EEEvT1_
		.amdhsa_group_segment_fixed_size 7176
		.amdhsa_private_segment_fixed_size 0
		.amdhsa_kernarg_size 144
		.amdhsa_user_sgpr_count 6
		.amdhsa_user_sgpr_private_segment_buffer 1
		.amdhsa_user_sgpr_dispatch_ptr 0
		.amdhsa_user_sgpr_queue_ptr 0
		.amdhsa_user_sgpr_kernarg_segment_ptr 1
		.amdhsa_user_sgpr_dispatch_id 0
		.amdhsa_user_sgpr_flat_scratch_init 0
		.amdhsa_user_sgpr_kernarg_preload_length 0
		.amdhsa_user_sgpr_kernarg_preload_offset 0
		.amdhsa_user_sgpr_private_segment_size 0
		.amdhsa_uses_dynamic_stack 0
		.amdhsa_system_sgpr_private_segment_wavefront_offset 0
		.amdhsa_system_sgpr_workgroup_id_x 1
		.amdhsa_system_sgpr_workgroup_id_y 0
		.amdhsa_system_sgpr_workgroup_id_z 0
		.amdhsa_system_sgpr_workgroup_info 0
		.amdhsa_system_vgpr_workitem_id 0
		.amdhsa_next_free_vgpr 51
		.amdhsa_next_free_sgpr 44
		.amdhsa_accum_offset 52
		.amdhsa_reserve_vcc 1
		.amdhsa_reserve_flat_scratch 0
		.amdhsa_float_round_mode_32 0
		.amdhsa_float_round_mode_16_64 0
		.amdhsa_float_denorm_mode_32 3
		.amdhsa_float_denorm_mode_16_64 3
		.amdhsa_dx10_clamp 1
		.amdhsa_ieee_mode 1
		.amdhsa_fp16_overflow 0
		.amdhsa_tg_split 0
		.amdhsa_exception_fp_ieee_invalid_op 0
		.amdhsa_exception_fp_denorm_src 0
		.amdhsa_exception_fp_ieee_div_zero 0
		.amdhsa_exception_fp_ieee_overflow 0
		.amdhsa_exception_fp_ieee_underflow 0
		.amdhsa_exception_fp_ieee_inexact 0
		.amdhsa_exception_int_div_zero 0
	.end_amdhsa_kernel
	.section	.text._ZN7rocprim17ROCPRIM_400000_NS6detail17trampoline_kernelINS0_14default_configENS1_25partition_config_selectorILNS1_17partition_subalgoE1EiNS0_10empty_typeEbEEZZNS1_14partition_implILS5_1ELb0ES3_jN6thrust23THRUST_200600_302600_NS6detail15normal_iteratorINSA_10device_ptrIiEEEEPS6_NSA_18transform_iteratorI7is_evenIiESF_NSA_11use_defaultESK_EENS0_5tupleIJSF_SF_EEENSM_IJSG_SG_EEES6_PlJS6_EEE10hipError_tPvRmT3_T4_T5_T6_T7_T9_mT8_P12ihipStream_tbDpT10_ENKUlT_T0_E_clISt17integral_constantIbLb0EES18_IbLb1EEEEDaS14_S15_EUlS14_E_NS1_11comp_targetILNS1_3genE4ELNS1_11target_archE910ELNS1_3gpuE8ELNS1_3repE0EEENS1_30default_config_static_selectorELNS0_4arch9wavefront6targetE1EEEvT1_,"axG",@progbits,_ZN7rocprim17ROCPRIM_400000_NS6detail17trampoline_kernelINS0_14default_configENS1_25partition_config_selectorILNS1_17partition_subalgoE1EiNS0_10empty_typeEbEEZZNS1_14partition_implILS5_1ELb0ES3_jN6thrust23THRUST_200600_302600_NS6detail15normal_iteratorINSA_10device_ptrIiEEEEPS6_NSA_18transform_iteratorI7is_evenIiESF_NSA_11use_defaultESK_EENS0_5tupleIJSF_SF_EEENSM_IJSG_SG_EEES6_PlJS6_EEE10hipError_tPvRmT3_T4_T5_T6_T7_T9_mT8_P12ihipStream_tbDpT10_ENKUlT_T0_E_clISt17integral_constantIbLb0EES18_IbLb1EEEEDaS14_S15_EUlS14_E_NS1_11comp_targetILNS1_3genE4ELNS1_11target_archE910ELNS1_3gpuE8ELNS1_3repE0EEENS1_30default_config_static_selectorELNS0_4arch9wavefront6targetE1EEEvT1_,comdat
.Lfunc_end443:
	.size	_ZN7rocprim17ROCPRIM_400000_NS6detail17trampoline_kernelINS0_14default_configENS1_25partition_config_selectorILNS1_17partition_subalgoE1EiNS0_10empty_typeEbEEZZNS1_14partition_implILS5_1ELb0ES3_jN6thrust23THRUST_200600_302600_NS6detail15normal_iteratorINSA_10device_ptrIiEEEEPS6_NSA_18transform_iteratorI7is_evenIiESF_NSA_11use_defaultESK_EENS0_5tupleIJSF_SF_EEENSM_IJSG_SG_EEES6_PlJS6_EEE10hipError_tPvRmT3_T4_T5_T6_T7_T9_mT8_P12ihipStream_tbDpT10_ENKUlT_T0_E_clISt17integral_constantIbLb0EES18_IbLb1EEEEDaS14_S15_EUlS14_E_NS1_11comp_targetILNS1_3genE4ELNS1_11target_archE910ELNS1_3gpuE8ELNS1_3repE0EEENS1_30default_config_static_selectorELNS0_4arch9wavefront6targetE1EEEvT1_, .Lfunc_end443-_ZN7rocprim17ROCPRIM_400000_NS6detail17trampoline_kernelINS0_14default_configENS1_25partition_config_selectorILNS1_17partition_subalgoE1EiNS0_10empty_typeEbEEZZNS1_14partition_implILS5_1ELb0ES3_jN6thrust23THRUST_200600_302600_NS6detail15normal_iteratorINSA_10device_ptrIiEEEEPS6_NSA_18transform_iteratorI7is_evenIiESF_NSA_11use_defaultESK_EENS0_5tupleIJSF_SF_EEENSM_IJSG_SG_EEES6_PlJS6_EEE10hipError_tPvRmT3_T4_T5_T6_T7_T9_mT8_P12ihipStream_tbDpT10_ENKUlT_T0_E_clISt17integral_constantIbLb0EES18_IbLb1EEEEDaS14_S15_EUlS14_E_NS1_11comp_targetILNS1_3genE4ELNS1_11target_archE910ELNS1_3gpuE8ELNS1_3repE0EEENS1_30default_config_static_selectorELNS0_4arch9wavefront6targetE1EEEvT1_
                                        ; -- End function
	.section	.AMDGPU.csdata,"",@progbits
; Kernel info:
; codeLenInByte = 4812
; NumSgprs: 48
; NumVgprs: 51
; NumAgprs: 0
; TotalNumVgprs: 51
; ScratchSize: 0
; MemoryBound: 0
; FloatMode: 240
; IeeeMode: 1
; LDSByteSize: 7176 bytes/workgroup (compile time only)
; SGPRBlocks: 5
; VGPRBlocks: 6
; NumSGPRsForWavesPerEU: 48
; NumVGPRsForWavesPerEU: 51
; AccumOffset: 52
; Occupancy: 8
; WaveLimiterHint : 1
; COMPUTE_PGM_RSRC2:SCRATCH_EN: 0
; COMPUTE_PGM_RSRC2:USER_SGPR: 6
; COMPUTE_PGM_RSRC2:TRAP_HANDLER: 0
; COMPUTE_PGM_RSRC2:TGID_X_EN: 1
; COMPUTE_PGM_RSRC2:TGID_Y_EN: 0
; COMPUTE_PGM_RSRC2:TGID_Z_EN: 0
; COMPUTE_PGM_RSRC2:TIDIG_COMP_CNT: 0
; COMPUTE_PGM_RSRC3_GFX90A:ACCUM_OFFSET: 12
; COMPUTE_PGM_RSRC3_GFX90A:TG_SPLIT: 0
	.section	.text._ZN7rocprim17ROCPRIM_400000_NS6detail17trampoline_kernelINS0_14default_configENS1_25partition_config_selectorILNS1_17partition_subalgoE1EiNS0_10empty_typeEbEEZZNS1_14partition_implILS5_1ELb0ES3_jN6thrust23THRUST_200600_302600_NS6detail15normal_iteratorINSA_10device_ptrIiEEEEPS6_NSA_18transform_iteratorI7is_evenIiESF_NSA_11use_defaultESK_EENS0_5tupleIJSF_SF_EEENSM_IJSG_SG_EEES6_PlJS6_EEE10hipError_tPvRmT3_T4_T5_T6_T7_T9_mT8_P12ihipStream_tbDpT10_ENKUlT_T0_E_clISt17integral_constantIbLb0EES18_IbLb1EEEEDaS14_S15_EUlS14_E_NS1_11comp_targetILNS1_3genE3ELNS1_11target_archE908ELNS1_3gpuE7ELNS1_3repE0EEENS1_30default_config_static_selectorELNS0_4arch9wavefront6targetE1EEEvT1_,"axG",@progbits,_ZN7rocprim17ROCPRIM_400000_NS6detail17trampoline_kernelINS0_14default_configENS1_25partition_config_selectorILNS1_17partition_subalgoE1EiNS0_10empty_typeEbEEZZNS1_14partition_implILS5_1ELb0ES3_jN6thrust23THRUST_200600_302600_NS6detail15normal_iteratorINSA_10device_ptrIiEEEEPS6_NSA_18transform_iteratorI7is_evenIiESF_NSA_11use_defaultESK_EENS0_5tupleIJSF_SF_EEENSM_IJSG_SG_EEES6_PlJS6_EEE10hipError_tPvRmT3_T4_T5_T6_T7_T9_mT8_P12ihipStream_tbDpT10_ENKUlT_T0_E_clISt17integral_constantIbLb0EES18_IbLb1EEEEDaS14_S15_EUlS14_E_NS1_11comp_targetILNS1_3genE3ELNS1_11target_archE908ELNS1_3gpuE7ELNS1_3repE0EEENS1_30default_config_static_selectorELNS0_4arch9wavefront6targetE1EEEvT1_,comdat
	.protected	_ZN7rocprim17ROCPRIM_400000_NS6detail17trampoline_kernelINS0_14default_configENS1_25partition_config_selectorILNS1_17partition_subalgoE1EiNS0_10empty_typeEbEEZZNS1_14partition_implILS5_1ELb0ES3_jN6thrust23THRUST_200600_302600_NS6detail15normal_iteratorINSA_10device_ptrIiEEEEPS6_NSA_18transform_iteratorI7is_evenIiESF_NSA_11use_defaultESK_EENS0_5tupleIJSF_SF_EEENSM_IJSG_SG_EEES6_PlJS6_EEE10hipError_tPvRmT3_T4_T5_T6_T7_T9_mT8_P12ihipStream_tbDpT10_ENKUlT_T0_E_clISt17integral_constantIbLb0EES18_IbLb1EEEEDaS14_S15_EUlS14_E_NS1_11comp_targetILNS1_3genE3ELNS1_11target_archE908ELNS1_3gpuE7ELNS1_3repE0EEENS1_30default_config_static_selectorELNS0_4arch9wavefront6targetE1EEEvT1_ ; -- Begin function _ZN7rocprim17ROCPRIM_400000_NS6detail17trampoline_kernelINS0_14default_configENS1_25partition_config_selectorILNS1_17partition_subalgoE1EiNS0_10empty_typeEbEEZZNS1_14partition_implILS5_1ELb0ES3_jN6thrust23THRUST_200600_302600_NS6detail15normal_iteratorINSA_10device_ptrIiEEEEPS6_NSA_18transform_iteratorI7is_evenIiESF_NSA_11use_defaultESK_EENS0_5tupleIJSF_SF_EEENSM_IJSG_SG_EEES6_PlJS6_EEE10hipError_tPvRmT3_T4_T5_T6_T7_T9_mT8_P12ihipStream_tbDpT10_ENKUlT_T0_E_clISt17integral_constantIbLb0EES18_IbLb1EEEEDaS14_S15_EUlS14_E_NS1_11comp_targetILNS1_3genE3ELNS1_11target_archE908ELNS1_3gpuE7ELNS1_3repE0EEENS1_30default_config_static_selectorELNS0_4arch9wavefront6targetE1EEEvT1_
	.globl	_ZN7rocprim17ROCPRIM_400000_NS6detail17trampoline_kernelINS0_14default_configENS1_25partition_config_selectorILNS1_17partition_subalgoE1EiNS0_10empty_typeEbEEZZNS1_14partition_implILS5_1ELb0ES3_jN6thrust23THRUST_200600_302600_NS6detail15normal_iteratorINSA_10device_ptrIiEEEEPS6_NSA_18transform_iteratorI7is_evenIiESF_NSA_11use_defaultESK_EENS0_5tupleIJSF_SF_EEENSM_IJSG_SG_EEES6_PlJS6_EEE10hipError_tPvRmT3_T4_T5_T6_T7_T9_mT8_P12ihipStream_tbDpT10_ENKUlT_T0_E_clISt17integral_constantIbLb0EES18_IbLb1EEEEDaS14_S15_EUlS14_E_NS1_11comp_targetILNS1_3genE3ELNS1_11target_archE908ELNS1_3gpuE7ELNS1_3repE0EEENS1_30default_config_static_selectorELNS0_4arch9wavefront6targetE1EEEvT1_
	.p2align	8
	.type	_ZN7rocprim17ROCPRIM_400000_NS6detail17trampoline_kernelINS0_14default_configENS1_25partition_config_selectorILNS1_17partition_subalgoE1EiNS0_10empty_typeEbEEZZNS1_14partition_implILS5_1ELb0ES3_jN6thrust23THRUST_200600_302600_NS6detail15normal_iteratorINSA_10device_ptrIiEEEEPS6_NSA_18transform_iteratorI7is_evenIiESF_NSA_11use_defaultESK_EENS0_5tupleIJSF_SF_EEENSM_IJSG_SG_EEES6_PlJS6_EEE10hipError_tPvRmT3_T4_T5_T6_T7_T9_mT8_P12ihipStream_tbDpT10_ENKUlT_T0_E_clISt17integral_constantIbLb0EES18_IbLb1EEEEDaS14_S15_EUlS14_E_NS1_11comp_targetILNS1_3genE3ELNS1_11target_archE908ELNS1_3gpuE7ELNS1_3repE0EEENS1_30default_config_static_selectorELNS0_4arch9wavefront6targetE1EEEvT1_,@function
_ZN7rocprim17ROCPRIM_400000_NS6detail17trampoline_kernelINS0_14default_configENS1_25partition_config_selectorILNS1_17partition_subalgoE1EiNS0_10empty_typeEbEEZZNS1_14partition_implILS5_1ELb0ES3_jN6thrust23THRUST_200600_302600_NS6detail15normal_iteratorINSA_10device_ptrIiEEEEPS6_NSA_18transform_iteratorI7is_evenIiESF_NSA_11use_defaultESK_EENS0_5tupleIJSF_SF_EEENSM_IJSG_SG_EEES6_PlJS6_EEE10hipError_tPvRmT3_T4_T5_T6_T7_T9_mT8_P12ihipStream_tbDpT10_ENKUlT_T0_E_clISt17integral_constantIbLb0EES18_IbLb1EEEEDaS14_S15_EUlS14_E_NS1_11comp_targetILNS1_3genE3ELNS1_11target_archE908ELNS1_3gpuE7ELNS1_3repE0EEENS1_30default_config_static_selectorELNS0_4arch9wavefront6targetE1EEEvT1_: ; @_ZN7rocprim17ROCPRIM_400000_NS6detail17trampoline_kernelINS0_14default_configENS1_25partition_config_selectorILNS1_17partition_subalgoE1EiNS0_10empty_typeEbEEZZNS1_14partition_implILS5_1ELb0ES3_jN6thrust23THRUST_200600_302600_NS6detail15normal_iteratorINSA_10device_ptrIiEEEEPS6_NSA_18transform_iteratorI7is_evenIiESF_NSA_11use_defaultESK_EENS0_5tupleIJSF_SF_EEENSM_IJSG_SG_EEES6_PlJS6_EEE10hipError_tPvRmT3_T4_T5_T6_T7_T9_mT8_P12ihipStream_tbDpT10_ENKUlT_T0_E_clISt17integral_constantIbLb0EES18_IbLb1EEEEDaS14_S15_EUlS14_E_NS1_11comp_targetILNS1_3genE3ELNS1_11target_archE908ELNS1_3gpuE7ELNS1_3repE0EEENS1_30default_config_static_selectorELNS0_4arch9wavefront6targetE1EEEvT1_
; %bb.0:
	.section	.rodata,"a",@progbits
	.p2align	6, 0x0
	.amdhsa_kernel _ZN7rocprim17ROCPRIM_400000_NS6detail17trampoline_kernelINS0_14default_configENS1_25partition_config_selectorILNS1_17partition_subalgoE1EiNS0_10empty_typeEbEEZZNS1_14partition_implILS5_1ELb0ES3_jN6thrust23THRUST_200600_302600_NS6detail15normal_iteratorINSA_10device_ptrIiEEEEPS6_NSA_18transform_iteratorI7is_evenIiESF_NSA_11use_defaultESK_EENS0_5tupleIJSF_SF_EEENSM_IJSG_SG_EEES6_PlJS6_EEE10hipError_tPvRmT3_T4_T5_T6_T7_T9_mT8_P12ihipStream_tbDpT10_ENKUlT_T0_E_clISt17integral_constantIbLb0EES18_IbLb1EEEEDaS14_S15_EUlS14_E_NS1_11comp_targetILNS1_3genE3ELNS1_11target_archE908ELNS1_3gpuE7ELNS1_3repE0EEENS1_30default_config_static_selectorELNS0_4arch9wavefront6targetE1EEEvT1_
		.amdhsa_group_segment_fixed_size 0
		.amdhsa_private_segment_fixed_size 0
		.amdhsa_kernarg_size 144
		.amdhsa_user_sgpr_count 6
		.amdhsa_user_sgpr_private_segment_buffer 1
		.amdhsa_user_sgpr_dispatch_ptr 0
		.amdhsa_user_sgpr_queue_ptr 0
		.amdhsa_user_sgpr_kernarg_segment_ptr 1
		.amdhsa_user_sgpr_dispatch_id 0
		.amdhsa_user_sgpr_flat_scratch_init 0
		.amdhsa_user_sgpr_kernarg_preload_length 0
		.amdhsa_user_sgpr_kernarg_preload_offset 0
		.amdhsa_user_sgpr_private_segment_size 0
		.amdhsa_uses_dynamic_stack 0
		.amdhsa_system_sgpr_private_segment_wavefront_offset 0
		.amdhsa_system_sgpr_workgroup_id_x 1
		.amdhsa_system_sgpr_workgroup_id_y 0
		.amdhsa_system_sgpr_workgroup_id_z 0
		.amdhsa_system_sgpr_workgroup_info 0
		.amdhsa_system_vgpr_workitem_id 0
		.amdhsa_next_free_vgpr 1
		.amdhsa_next_free_sgpr 0
		.amdhsa_accum_offset 4
		.amdhsa_reserve_vcc 0
		.amdhsa_reserve_flat_scratch 0
		.amdhsa_float_round_mode_32 0
		.amdhsa_float_round_mode_16_64 0
		.amdhsa_float_denorm_mode_32 3
		.amdhsa_float_denorm_mode_16_64 3
		.amdhsa_dx10_clamp 1
		.amdhsa_ieee_mode 1
		.amdhsa_fp16_overflow 0
		.amdhsa_tg_split 0
		.amdhsa_exception_fp_ieee_invalid_op 0
		.amdhsa_exception_fp_denorm_src 0
		.amdhsa_exception_fp_ieee_div_zero 0
		.amdhsa_exception_fp_ieee_overflow 0
		.amdhsa_exception_fp_ieee_underflow 0
		.amdhsa_exception_fp_ieee_inexact 0
		.amdhsa_exception_int_div_zero 0
	.end_amdhsa_kernel
	.section	.text._ZN7rocprim17ROCPRIM_400000_NS6detail17trampoline_kernelINS0_14default_configENS1_25partition_config_selectorILNS1_17partition_subalgoE1EiNS0_10empty_typeEbEEZZNS1_14partition_implILS5_1ELb0ES3_jN6thrust23THRUST_200600_302600_NS6detail15normal_iteratorINSA_10device_ptrIiEEEEPS6_NSA_18transform_iteratorI7is_evenIiESF_NSA_11use_defaultESK_EENS0_5tupleIJSF_SF_EEENSM_IJSG_SG_EEES6_PlJS6_EEE10hipError_tPvRmT3_T4_T5_T6_T7_T9_mT8_P12ihipStream_tbDpT10_ENKUlT_T0_E_clISt17integral_constantIbLb0EES18_IbLb1EEEEDaS14_S15_EUlS14_E_NS1_11comp_targetILNS1_3genE3ELNS1_11target_archE908ELNS1_3gpuE7ELNS1_3repE0EEENS1_30default_config_static_selectorELNS0_4arch9wavefront6targetE1EEEvT1_,"axG",@progbits,_ZN7rocprim17ROCPRIM_400000_NS6detail17trampoline_kernelINS0_14default_configENS1_25partition_config_selectorILNS1_17partition_subalgoE1EiNS0_10empty_typeEbEEZZNS1_14partition_implILS5_1ELb0ES3_jN6thrust23THRUST_200600_302600_NS6detail15normal_iteratorINSA_10device_ptrIiEEEEPS6_NSA_18transform_iteratorI7is_evenIiESF_NSA_11use_defaultESK_EENS0_5tupleIJSF_SF_EEENSM_IJSG_SG_EEES6_PlJS6_EEE10hipError_tPvRmT3_T4_T5_T6_T7_T9_mT8_P12ihipStream_tbDpT10_ENKUlT_T0_E_clISt17integral_constantIbLb0EES18_IbLb1EEEEDaS14_S15_EUlS14_E_NS1_11comp_targetILNS1_3genE3ELNS1_11target_archE908ELNS1_3gpuE7ELNS1_3repE0EEENS1_30default_config_static_selectorELNS0_4arch9wavefront6targetE1EEEvT1_,comdat
.Lfunc_end444:
	.size	_ZN7rocprim17ROCPRIM_400000_NS6detail17trampoline_kernelINS0_14default_configENS1_25partition_config_selectorILNS1_17partition_subalgoE1EiNS0_10empty_typeEbEEZZNS1_14partition_implILS5_1ELb0ES3_jN6thrust23THRUST_200600_302600_NS6detail15normal_iteratorINSA_10device_ptrIiEEEEPS6_NSA_18transform_iteratorI7is_evenIiESF_NSA_11use_defaultESK_EENS0_5tupleIJSF_SF_EEENSM_IJSG_SG_EEES6_PlJS6_EEE10hipError_tPvRmT3_T4_T5_T6_T7_T9_mT8_P12ihipStream_tbDpT10_ENKUlT_T0_E_clISt17integral_constantIbLb0EES18_IbLb1EEEEDaS14_S15_EUlS14_E_NS1_11comp_targetILNS1_3genE3ELNS1_11target_archE908ELNS1_3gpuE7ELNS1_3repE0EEENS1_30default_config_static_selectorELNS0_4arch9wavefront6targetE1EEEvT1_, .Lfunc_end444-_ZN7rocprim17ROCPRIM_400000_NS6detail17trampoline_kernelINS0_14default_configENS1_25partition_config_selectorILNS1_17partition_subalgoE1EiNS0_10empty_typeEbEEZZNS1_14partition_implILS5_1ELb0ES3_jN6thrust23THRUST_200600_302600_NS6detail15normal_iteratorINSA_10device_ptrIiEEEEPS6_NSA_18transform_iteratorI7is_evenIiESF_NSA_11use_defaultESK_EENS0_5tupleIJSF_SF_EEENSM_IJSG_SG_EEES6_PlJS6_EEE10hipError_tPvRmT3_T4_T5_T6_T7_T9_mT8_P12ihipStream_tbDpT10_ENKUlT_T0_E_clISt17integral_constantIbLb0EES18_IbLb1EEEEDaS14_S15_EUlS14_E_NS1_11comp_targetILNS1_3genE3ELNS1_11target_archE908ELNS1_3gpuE7ELNS1_3repE0EEENS1_30default_config_static_selectorELNS0_4arch9wavefront6targetE1EEEvT1_
                                        ; -- End function
	.section	.AMDGPU.csdata,"",@progbits
; Kernel info:
; codeLenInByte = 0
; NumSgprs: 4
; NumVgprs: 0
; NumAgprs: 0
; TotalNumVgprs: 0
; ScratchSize: 0
; MemoryBound: 0
; FloatMode: 240
; IeeeMode: 1
; LDSByteSize: 0 bytes/workgroup (compile time only)
; SGPRBlocks: 0
; VGPRBlocks: 0
; NumSGPRsForWavesPerEU: 4
; NumVGPRsForWavesPerEU: 1
; AccumOffset: 4
; Occupancy: 8
; WaveLimiterHint : 0
; COMPUTE_PGM_RSRC2:SCRATCH_EN: 0
; COMPUTE_PGM_RSRC2:USER_SGPR: 6
; COMPUTE_PGM_RSRC2:TRAP_HANDLER: 0
; COMPUTE_PGM_RSRC2:TGID_X_EN: 1
; COMPUTE_PGM_RSRC2:TGID_Y_EN: 0
; COMPUTE_PGM_RSRC2:TGID_Z_EN: 0
; COMPUTE_PGM_RSRC2:TIDIG_COMP_CNT: 0
; COMPUTE_PGM_RSRC3_GFX90A:ACCUM_OFFSET: 0
; COMPUTE_PGM_RSRC3_GFX90A:TG_SPLIT: 0
	.section	.text._ZN7rocprim17ROCPRIM_400000_NS6detail17trampoline_kernelINS0_14default_configENS1_25partition_config_selectorILNS1_17partition_subalgoE1EiNS0_10empty_typeEbEEZZNS1_14partition_implILS5_1ELb0ES3_jN6thrust23THRUST_200600_302600_NS6detail15normal_iteratorINSA_10device_ptrIiEEEEPS6_NSA_18transform_iteratorI7is_evenIiESF_NSA_11use_defaultESK_EENS0_5tupleIJSF_SF_EEENSM_IJSG_SG_EEES6_PlJS6_EEE10hipError_tPvRmT3_T4_T5_T6_T7_T9_mT8_P12ihipStream_tbDpT10_ENKUlT_T0_E_clISt17integral_constantIbLb0EES18_IbLb1EEEEDaS14_S15_EUlS14_E_NS1_11comp_targetILNS1_3genE2ELNS1_11target_archE906ELNS1_3gpuE6ELNS1_3repE0EEENS1_30default_config_static_selectorELNS0_4arch9wavefront6targetE1EEEvT1_,"axG",@progbits,_ZN7rocprim17ROCPRIM_400000_NS6detail17trampoline_kernelINS0_14default_configENS1_25partition_config_selectorILNS1_17partition_subalgoE1EiNS0_10empty_typeEbEEZZNS1_14partition_implILS5_1ELb0ES3_jN6thrust23THRUST_200600_302600_NS6detail15normal_iteratorINSA_10device_ptrIiEEEEPS6_NSA_18transform_iteratorI7is_evenIiESF_NSA_11use_defaultESK_EENS0_5tupleIJSF_SF_EEENSM_IJSG_SG_EEES6_PlJS6_EEE10hipError_tPvRmT3_T4_T5_T6_T7_T9_mT8_P12ihipStream_tbDpT10_ENKUlT_T0_E_clISt17integral_constantIbLb0EES18_IbLb1EEEEDaS14_S15_EUlS14_E_NS1_11comp_targetILNS1_3genE2ELNS1_11target_archE906ELNS1_3gpuE6ELNS1_3repE0EEENS1_30default_config_static_selectorELNS0_4arch9wavefront6targetE1EEEvT1_,comdat
	.protected	_ZN7rocprim17ROCPRIM_400000_NS6detail17trampoline_kernelINS0_14default_configENS1_25partition_config_selectorILNS1_17partition_subalgoE1EiNS0_10empty_typeEbEEZZNS1_14partition_implILS5_1ELb0ES3_jN6thrust23THRUST_200600_302600_NS6detail15normal_iteratorINSA_10device_ptrIiEEEEPS6_NSA_18transform_iteratorI7is_evenIiESF_NSA_11use_defaultESK_EENS0_5tupleIJSF_SF_EEENSM_IJSG_SG_EEES6_PlJS6_EEE10hipError_tPvRmT3_T4_T5_T6_T7_T9_mT8_P12ihipStream_tbDpT10_ENKUlT_T0_E_clISt17integral_constantIbLb0EES18_IbLb1EEEEDaS14_S15_EUlS14_E_NS1_11comp_targetILNS1_3genE2ELNS1_11target_archE906ELNS1_3gpuE6ELNS1_3repE0EEENS1_30default_config_static_selectorELNS0_4arch9wavefront6targetE1EEEvT1_ ; -- Begin function _ZN7rocprim17ROCPRIM_400000_NS6detail17trampoline_kernelINS0_14default_configENS1_25partition_config_selectorILNS1_17partition_subalgoE1EiNS0_10empty_typeEbEEZZNS1_14partition_implILS5_1ELb0ES3_jN6thrust23THRUST_200600_302600_NS6detail15normal_iteratorINSA_10device_ptrIiEEEEPS6_NSA_18transform_iteratorI7is_evenIiESF_NSA_11use_defaultESK_EENS0_5tupleIJSF_SF_EEENSM_IJSG_SG_EEES6_PlJS6_EEE10hipError_tPvRmT3_T4_T5_T6_T7_T9_mT8_P12ihipStream_tbDpT10_ENKUlT_T0_E_clISt17integral_constantIbLb0EES18_IbLb1EEEEDaS14_S15_EUlS14_E_NS1_11comp_targetILNS1_3genE2ELNS1_11target_archE906ELNS1_3gpuE6ELNS1_3repE0EEENS1_30default_config_static_selectorELNS0_4arch9wavefront6targetE1EEEvT1_
	.globl	_ZN7rocprim17ROCPRIM_400000_NS6detail17trampoline_kernelINS0_14default_configENS1_25partition_config_selectorILNS1_17partition_subalgoE1EiNS0_10empty_typeEbEEZZNS1_14partition_implILS5_1ELb0ES3_jN6thrust23THRUST_200600_302600_NS6detail15normal_iteratorINSA_10device_ptrIiEEEEPS6_NSA_18transform_iteratorI7is_evenIiESF_NSA_11use_defaultESK_EENS0_5tupleIJSF_SF_EEENSM_IJSG_SG_EEES6_PlJS6_EEE10hipError_tPvRmT3_T4_T5_T6_T7_T9_mT8_P12ihipStream_tbDpT10_ENKUlT_T0_E_clISt17integral_constantIbLb0EES18_IbLb1EEEEDaS14_S15_EUlS14_E_NS1_11comp_targetILNS1_3genE2ELNS1_11target_archE906ELNS1_3gpuE6ELNS1_3repE0EEENS1_30default_config_static_selectorELNS0_4arch9wavefront6targetE1EEEvT1_
	.p2align	8
	.type	_ZN7rocprim17ROCPRIM_400000_NS6detail17trampoline_kernelINS0_14default_configENS1_25partition_config_selectorILNS1_17partition_subalgoE1EiNS0_10empty_typeEbEEZZNS1_14partition_implILS5_1ELb0ES3_jN6thrust23THRUST_200600_302600_NS6detail15normal_iteratorINSA_10device_ptrIiEEEEPS6_NSA_18transform_iteratorI7is_evenIiESF_NSA_11use_defaultESK_EENS0_5tupleIJSF_SF_EEENSM_IJSG_SG_EEES6_PlJS6_EEE10hipError_tPvRmT3_T4_T5_T6_T7_T9_mT8_P12ihipStream_tbDpT10_ENKUlT_T0_E_clISt17integral_constantIbLb0EES18_IbLb1EEEEDaS14_S15_EUlS14_E_NS1_11comp_targetILNS1_3genE2ELNS1_11target_archE906ELNS1_3gpuE6ELNS1_3repE0EEENS1_30default_config_static_selectorELNS0_4arch9wavefront6targetE1EEEvT1_,@function
_ZN7rocprim17ROCPRIM_400000_NS6detail17trampoline_kernelINS0_14default_configENS1_25partition_config_selectorILNS1_17partition_subalgoE1EiNS0_10empty_typeEbEEZZNS1_14partition_implILS5_1ELb0ES3_jN6thrust23THRUST_200600_302600_NS6detail15normal_iteratorINSA_10device_ptrIiEEEEPS6_NSA_18transform_iteratorI7is_evenIiESF_NSA_11use_defaultESK_EENS0_5tupleIJSF_SF_EEENSM_IJSG_SG_EEES6_PlJS6_EEE10hipError_tPvRmT3_T4_T5_T6_T7_T9_mT8_P12ihipStream_tbDpT10_ENKUlT_T0_E_clISt17integral_constantIbLb0EES18_IbLb1EEEEDaS14_S15_EUlS14_E_NS1_11comp_targetILNS1_3genE2ELNS1_11target_archE906ELNS1_3gpuE6ELNS1_3repE0EEENS1_30default_config_static_selectorELNS0_4arch9wavefront6targetE1EEEvT1_: ; @_ZN7rocprim17ROCPRIM_400000_NS6detail17trampoline_kernelINS0_14default_configENS1_25partition_config_selectorILNS1_17partition_subalgoE1EiNS0_10empty_typeEbEEZZNS1_14partition_implILS5_1ELb0ES3_jN6thrust23THRUST_200600_302600_NS6detail15normal_iteratorINSA_10device_ptrIiEEEEPS6_NSA_18transform_iteratorI7is_evenIiESF_NSA_11use_defaultESK_EENS0_5tupleIJSF_SF_EEENSM_IJSG_SG_EEES6_PlJS6_EEE10hipError_tPvRmT3_T4_T5_T6_T7_T9_mT8_P12ihipStream_tbDpT10_ENKUlT_T0_E_clISt17integral_constantIbLb0EES18_IbLb1EEEEDaS14_S15_EUlS14_E_NS1_11comp_targetILNS1_3genE2ELNS1_11target_archE906ELNS1_3gpuE6ELNS1_3repE0EEENS1_30default_config_static_selectorELNS0_4arch9wavefront6targetE1EEEvT1_
; %bb.0:
	.section	.rodata,"a",@progbits
	.p2align	6, 0x0
	.amdhsa_kernel _ZN7rocprim17ROCPRIM_400000_NS6detail17trampoline_kernelINS0_14default_configENS1_25partition_config_selectorILNS1_17partition_subalgoE1EiNS0_10empty_typeEbEEZZNS1_14partition_implILS5_1ELb0ES3_jN6thrust23THRUST_200600_302600_NS6detail15normal_iteratorINSA_10device_ptrIiEEEEPS6_NSA_18transform_iteratorI7is_evenIiESF_NSA_11use_defaultESK_EENS0_5tupleIJSF_SF_EEENSM_IJSG_SG_EEES6_PlJS6_EEE10hipError_tPvRmT3_T4_T5_T6_T7_T9_mT8_P12ihipStream_tbDpT10_ENKUlT_T0_E_clISt17integral_constantIbLb0EES18_IbLb1EEEEDaS14_S15_EUlS14_E_NS1_11comp_targetILNS1_3genE2ELNS1_11target_archE906ELNS1_3gpuE6ELNS1_3repE0EEENS1_30default_config_static_selectorELNS0_4arch9wavefront6targetE1EEEvT1_
		.amdhsa_group_segment_fixed_size 0
		.amdhsa_private_segment_fixed_size 0
		.amdhsa_kernarg_size 144
		.amdhsa_user_sgpr_count 6
		.amdhsa_user_sgpr_private_segment_buffer 1
		.amdhsa_user_sgpr_dispatch_ptr 0
		.amdhsa_user_sgpr_queue_ptr 0
		.amdhsa_user_sgpr_kernarg_segment_ptr 1
		.amdhsa_user_sgpr_dispatch_id 0
		.amdhsa_user_sgpr_flat_scratch_init 0
		.amdhsa_user_sgpr_kernarg_preload_length 0
		.amdhsa_user_sgpr_kernarg_preload_offset 0
		.amdhsa_user_sgpr_private_segment_size 0
		.amdhsa_uses_dynamic_stack 0
		.amdhsa_system_sgpr_private_segment_wavefront_offset 0
		.amdhsa_system_sgpr_workgroup_id_x 1
		.amdhsa_system_sgpr_workgroup_id_y 0
		.amdhsa_system_sgpr_workgroup_id_z 0
		.amdhsa_system_sgpr_workgroup_info 0
		.amdhsa_system_vgpr_workitem_id 0
		.amdhsa_next_free_vgpr 1
		.amdhsa_next_free_sgpr 0
		.amdhsa_accum_offset 4
		.amdhsa_reserve_vcc 0
		.amdhsa_reserve_flat_scratch 0
		.amdhsa_float_round_mode_32 0
		.amdhsa_float_round_mode_16_64 0
		.amdhsa_float_denorm_mode_32 3
		.amdhsa_float_denorm_mode_16_64 3
		.amdhsa_dx10_clamp 1
		.amdhsa_ieee_mode 1
		.amdhsa_fp16_overflow 0
		.amdhsa_tg_split 0
		.amdhsa_exception_fp_ieee_invalid_op 0
		.amdhsa_exception_fp_denorm_src 0
		.amdhsa_exception_fp_ieee_div_zero 0
		.amdhsa_exception_fp_ieee_overflow 0
		.amdhsa_exception_fp_ieee_underflow 0
		.amdhsa_exception_fp_ieee_inexact 0
		.amdhsa_exception_int_div_zero 0
	.end_amdhsa_kernel
	.section	.text._ZN7rocprim17ROCPRIM_400000_NS6detail17trampoline_kernelINS0_14default_configENS1_25partition_config_selectorILNS1_17partition_subalgoE1EiNS0_10empty_typeEbEEZZNS1_14partition_implILS5_1ELb0ES3_jN6thrust23THRUST_200600_302600_NS6detail15normal_iteratorINSA_10device_ptrIiEEEEPS6_NSA_18transform_iteratorI7is_evenIiESF_NSA_11use_defaultESK_EENS0_5tupleIJSF_SF_EEENSM_IJSG_SG_EEES6_PlJS6_EEE10hipError_tPvRmT3_T4_T5_T6_T7_T9_mT8_P12ihipStream_tbDpT10_ENKUlT_T0_E_clISt17integral_constantIbLb0EES18_IbLb1EEEEDaS14_S15_EUlS14_E_NS1_11comp_targetILNS1_3genE2ELNS1_11target_archE906ELNS1_3gpuE6ELNS1_3repE0EEENS1_30default_config_static_selectorELNS0_4arch9wavefront6targetE1EEEvT1_,"axG",@progbits,_ZN7rocprim17ROCPRIM_400000_NS6detail17trampoline_kernelINS0_14default_configENS1_25partition_config_selectorILNS1_17partition_subalgoE1EiNS0_10empty_typeEbEEZZNS1_14partition_implILS5_1ELb0ES3_jN6thrust23THRUST_200600_302600_NS6detail15normal_iteratorINSA_10device_ptrIiEEEEPS6_NSA_18transform_iteratorI7is_evenIiESF_NSA_11use_defaultESK_EENS0_5tupleIJSF_SF_EEENSM_IJSG_SG_EEES6_PlJS6_EEE10hipError_tPvRmT3_T4_T5_T6_T7_T9_mT8_P12ihipStream_tbDpT10_ENKUlT_T0_E_clISt17integral_constantIbLb0EES18_IbLb1EEEEDaS14_S15_EUlS14_E_NS1_11comp_targetILNS1_3genE2ELNS1_11target_archE906ELNS1_3gpuE6ELNS1_3repE0EEENS1_30default_config_static_selectorELNS0_4arch9wavefront6targetE1EEEvT1_,comdat
.Lfunc_end445:
	.size	_ZN7rocprim17ROCPRIM_400000_NS6detail17trampoline_kernelINS0_14default_configENS1_25partition_config_selectorILNS1_17partition_subalgoE1EiNS0_10empty_typeEbEEZZNS1_14partition_implILS5_1ELb0ES3_jN6thrust23THRUST_200600_302600_NS6detail15normal_iteratorINSA_10device_ptrIiEEEEPS6_NSA_18transform_iteratorI7is_evenIiESF_NSA_11use_defaultESK_EENS0_5tupleIJSF_SF_EEENSM_IJSG_SG_EEES6_PlJS6_EEE10hipError_tPvRmT3_T4_T5_T6_T7_T9_mT8_P12ihipStream_tbDpT10_ENKUlT_T0_E_clISt17integral_constantIbLb0EES18_IbLb1EEEEDaS14_S15_EUlS14_E_NS1_11comp_targetILNS1_3genE2ELNS1_11target_archE906ELNS1_3gpuE6ELNS1_3repE0EEENS1_30default_config_static_selectorELNS0_4arch9wavefront6targetE1EEEvT1_, .Lfunc_end445-_ZN7rocprim17ROCPRIM_400000_NS6detail17trampoline_kernelINS0_14default_configENS1_25partition_config_selectorILNS1_17partition_subalgoE1EiNS0_10empty_typeEbEEZZNS1_14partition_implILS5_1ELb0ES3_jN6thrust23THRUST_200600_302600_NS6detail15normal_iteratorINSA_10device_ptrIiEEEEPS6_NSA_18transform_iteratorI7is_evenIiESF_NSA_11use_defaultESK_EENS0_5tupleIJSF_SF_EEENSM_IJSG_SG_EEES6_PlJS6_EEE10hipError_tPvRmT3_T4_T5_T6_T7_T9_mT8_P12ihipStream_tbDpT10_ENKUlT_T0_E_clISt17integral_constantIbLb0EES18_IbLb1EEEEDaS14_S15_EUlS14_E_NS1_11comp_targetILNS1_3genE2ELNS1_11target_archE906ELNS1_3gpuE6ELNS1_3repE0EEENS1_30default_config_static_selectorELNS0_4arch9wavefront6targetE1EEEvT1_
                                        ; -- End function
	.section	.AMDGPU.csdata,"",@progbits
; Kernel info:
; codeLenInByte = 0
; NumSgprs: 4
; NumVgprs: 0
; NumAgprs: 0
; TotalNumVgprs: 0
; ScratchSize: 0
; MemoryBound: 0
; FloatMode: 240
; IeeeMode: 1
; LDSByteSize: 0 bytes/workgroup (compile time only)
; SGPRBlocks: 0
; VGPRBlocks: 0
; NumSGPRsForWavesPerEU: 4
; NumVGPRsForWavesPerEU: 1
; AccumOffset: 4
; Occupancy: 8
; WaveLimiterHint : 0
; COMPUTE_PGM_RSRC2:SCRATCH_EN: 0
; COMPUTE_PGM_RSRC2:USER_SGPR: 6
; COMPUTE_PGM_RSRC2:TRAP_HANDLER: 0
; COMPUTE_PGM_RSRC2:TGID_X_EN: 1
; COMPUTE_PGM_RSRC2:TGID_Y_EN: 0
; COMPUTE_PGM_RSRC2:TGID_Z_EN: 0
; COMPUTE_PGM_RSRC2:TIDIG_COMP_CNT: 0
; COMPUTE_PGM_RSRC3_GFX90A:ACCUM_OFFSET: 0
; COMPUTE_PGM_RSRC3_GFX90A:TG_SPLIT: 0
	.section	.text._ZN7rocprim17ROCPRIM_400000_NS6detail17trampoline_kernelINS0_14default_configENS1_25partition_config_selectorILNS1_17partition_subalgoE1EiNS0_10empty_typeEbEEZZNS1_14partition_implILS5_1ELb0ES3_jN6thrust23THRUST_200600_302600_NS6detail15normal_iteratorINSA_10device_ptrIiEEEEPS6_NSA_18transform_iteratorI7is_evenIiESF_NSA_11use_defaultESK_EENS0_5tupleIJSF_SF_EEENSM_IJSG_SG_EEES6_PlJS6_EEE10hipError_tPvRmT3_T4_T5_T6_T7_T9_mT8_P12ihipStream_tbDpT10_ENKUlT_T0_E_clISt17integral_constantIbLb0EES18_IbLb1EEEEDaS14_S15_EUlS14_E_NS1_11comp_targetILNS1_3genE10ELNS1_11target_archE1200ELNS1_3gpuE4ELNS1_3repE0EEENS1_30default_config_static_selectorELNS0_4arch9wavefront6targetE1EEEvT1_,"axG",@progbits,_ZN7rocprim17ROCPRIM_400000_NS6detail17trampoline_kernelINS0_14default_configENS1_25partition_config_selectorILNS1_17partition_subalgoE1EiNS0_10empty_typeEbEEZZNS1_14partition_implILS5_1ELb0ES3_jN6thrust23THRUST_200600_302600_NS6detail15normal_iteratorINSA_10device_ptrIiEEEEPS6_NSA_18transform_iteratorI7is_evenIiESF_NSA_11use_defaultESK_EENS0_5tupleIJSF_SF_EEENSM_IJSG_SG_EEES6_PlJS6_EEE10hipError_tPvRmT3_T4_T5_T6_T7_T9_mT8_P12ihipStream_tbDpT10_ENKUlT_T0_E_clISt17integral_constantIbLb0EES18_IbLb1EEEEDaS14_S15_EUlS14_E_NS1_11comp_targetILNS1_3genE10ELNS1_11target_archE1200ELNS1_3gpuE4ELNS1_3repE0EEENS1_30default_config_static_selectorELNS0_4arch9wavefront6targetE1EEEvT1_,comdat
	.protected	_ZN7rocprim17ROCPRIM_400000_NS6detail17trampoline_kernelINS0_14default_configENS1_25partition_config_selectorILNS1_17partition_subalgoE1EiNS0_10empty_typeEbEEZZNS1_14partition_implILS5_1ELb0ES3_jN6thrust23THRUST_200600_302600_NS6detail15normal_iteratorINSA_10device_ptrIiEEEEPS6_NSA_18transform_iteratorI7is_evenIiESF_NSA_11use_defaultESK_EENS0_5tupleIJSF_SF_EEENSM_IJSG_SG_EEES6_PlJS6_EEE10hipError_tPvRmT3_T4_T5_T6_T7_T9_mT8_P12ihipStream_tbDpT10_ENKUlT_T0_E_clISt17integral_constantIbLb0EES18_IbLb1EEEEDaS14_S15_EUlS14_E_NS1_11comp_targetILNS1_3genE10ELNS1_11target_archE1200ELNS1_3gpuE4ELNS1_3repE0EEENS1_30default_config_static_selectorELNS0_4arch9wavefront6targetE1EEEvT1_ ; -- Begin function _ZN7rocprim17ROCPRIM_400000_NS6detail17trampoline_kernelINS0_14default_configENS1_25partition_config_selectorILNS1_17partition_subalgoE1EiNS0_10empty_typeEbEEZZNS1_14partition_implILS5_1ELb0ES3_jN6thrust23THRUST_200600_302600_NS6detail15normal_iteratorINSA_10device_ptrIiEEEEPS6_NSA_18transform_iteratorI7is_evenIiESF_NSA_11use_defaultESK_EENS0_5tupleIJSF_SF_EEENSM_IJSG_SG_EEES6_PlJS6_EEE10hipError_tPvRmT3_T4_T5_T6_T7_T9_mT8_P12ihipStream_tbDpT10_ENKUlT_T0_E_clISt17integral_constantIbLb0EES18_IbLb1EEEEDaS14_S15_EUlS14_E_NS1_11comp_targetILNS1_3genE10ELNS1_11target_archE1200ELNS1_3gpuE4ELNS1_3repE0EEENS1_30default_config_static_selectorELNS0_4arch9wavefront6targetE1EEEvT1_
	.globl	_ZN7rocprim17ROCPRIM_400000_NS6detail17trampoline_kernelINS0_14default_configENS1_25partition_config_selectorILNS1_17partition_subalgoE1EiNS0_10empty_typeEbEEZZNS1_14partition_implILS5_1ELb0ES3_jN6thrust23THRUST_200600_302600_NS6detail15normal_iteratorINSA_10device_ptrIiEEEEPS6_NSA_18transform_iteratorI7is_evenIiESF_NSA_11use_defaultESK_EENS0_5tupleIJSF_SF_EEENSM_IJSG_SG_EEES6_PlJS6_EEE10hipError_tPvRmT3_T4_T5_T6_T7_T9_mT8_P12ihipStream_tbDpT10_ENKUlT_T0_E_clISt17integral_constantIbLb0EES18_IbLb1EEEEDaS14_S15_EUlS14_E_NS1_11comp_targetILNS1_3genE10ELNS1_11target_archE1200ELNS1_3gpuE4ELNS1_3repE0EEENS1_30default_config_static_selectorELNS0_4arch9wavefront6targetE1EEEvT1_
	.p2align	8
	.type	_ZN7rocprim17ROCPRIM_400000_NS6detail17trampoline_kernelINS0_14default_configENS1_25partition_config_selectorILNS1_17partition_subalgoE1EiNS0_10empty_typeEbEEZZNS1_14partition_implILS5_1ELb0ES3_jN6thrust23THRUST_200600_302600_NS6detail15normal_iteratorINSA_10device_ptrIiEEEEPS6_NSA_18transform_iteratorI7is_evenIiESF_NSA_11use_defaultESK_EENS0_5tupleIJSF_SF_EEENSM_IJSG_SG_EEES6_PlJS6_EEE10hipError_tPvRmT3_T4_T5_T6_T7_T9_mT8_P12ihipStream_tbDpT10_ENKUlT_T0_E_clISt17integral_constantIbLb0EES18_IbLb1EEEEDaS14_S15_EUlS14_E_NS1_11comp_targetILNS1_3genE10ELNS1_11target_archE1200ELNS1_3gpuE4ELNS1_3repE0EEENS1_30default_config_static_selectorELNS0_4arch9wavefront6targetE1EEEvT1_,@function
_ZN7rocprim17ROCPRIM_400000_NS6detail17trampoline_kernelINS0_14default_configENS1_25partition_config_selectorILNS1_17partition_subalgoE1EiNS0_10empty_typeEbEEZZNS1_14partition_implILS5_1ELb0ES3_jN6thrust23THRUST_200600_302600_NS6detail15normal_iteratorINSA_10device_ptrIiEEEEPS6_NSA_18transform_iteratorI7is_evenIiESF_NSA_11use_defaultESK_EENS0_5tupleIJSF_SF_EEENSM_IJSG_SG_EEES6_PlJS6_EEE10hipError_tPvRmT3_T4_T5_T6_T7_T9_mT8_P12ihipStream_tbDpT10_ENKUlT_T0_E_clISt17integral_constantIbLb0EES18_IbLb1EEEEDaS14_S15_EUlS14_E_NS1_11comp_targetILNS1_3genE10ELNS1_11target_archE1200ELNS1_3gpuE4ELNS1_3repE0EEENS1_30default_config_static_selectorELNS0_4arch9wavefront6targetE1EEEvT1_: ; @_ZN7rocprim17ROCPRIM_400000_NS6detail17trampoline_kernelINS0_14default_configENS1_25partition_config_selectorILNS1_17partition_subalgoE1EiNS0_10empty_typeEbEEZZNS1_14partition_implILS5_1ELb0ES3_jN6thrust23THRUST_200600_302600_NS6detail15normal_iteratorINSA_10device_ptrIiEEEEPS6_NSA_18transform_iteratorI7is_evenIiESF_NSA_11use_defaultESK_EENS0_5tupleIJSF_SF_EEENSM_IJSG_SG_EEES6_PlJS6_EEE10hipError_tPvRmT3_T4_T5_T6_T7_T9_mT8_P12ihipStream_tbDpT10_ENKUlT_T0_E_clISt17integral_constantIbLb0EES18_IbLb1EEEEDaS14_S15_EUlS14_E_NS1_11comp_targetILNS1_3genE10ELNS1_11target_archE1200ELNS1_3gpuE4ELNS1_3repE0EEENS1_30default_config_static_selectorELNS0_4arch9wavefront6targetE1EEEvT1_
; %bb.0:
	.section	.rodata,"a",@progbits
	.p2align	6, 0x0
	.amdhsa_kernel _ZN7rocprim17ROCPRIM_400000_NS6detail17trampoline_kernelINS0_14default_configENS1_25partition_config_selectorILNS1_17partition_subalgoE1EiNS0_10empty_typeEbEEZZNS1_14partition_implILS5_1ELb0ES3_jN6thrust23THRUST_200600_302600_NS6detail15normal_iteratorINSA_10device_ptrIiEEEEPS6_NSA_18transform_iteratorI7is_evenIiESF_NSA_11use_defaultESK_EENS0_5tupleIJSF_SF_EEENSM_IJSG_SG_EEES6_PlJS6_EEE10hipError_tPvRmT3_T4_T5_T6_T7_T9_mT8_P12ihipStream_tbDpT10_ENKUlT_T0_E_clISt17integral_constantIbLb0EES18_IbLb1EEEEDaS14_S15_EUlS14_E_NS1_11comp_targetILNS1_3genE10ELNS1_11target_archE1200ELNS1_3gpuE4ELNS1_3repE0EEENS1_30default_config_static_selectorELNS0_4arch9wavefront6targetE1EEEvT1_
		.amdhsa_group_segment_fixed_size 0
		.amdhsa_private_segment_fixed_size 0
		.amdhsa_kernarg_size 144
		.amdhsa_user_sgpr_count 6
		.amdhsa_user_sgpr_private_segment_buffer 1
		.amdhsa_user_sgpr_dispatch_ptr 0
		.amdhsa_user_sgpr_queue_ptr 0
		.amdhsa_user_sgpr_kernarg_segment_ptr 1
		.amdhsa_user_sgpr_dispatch_id 0
		.amdhsa_user_sgpr_flat_scratch_init 0
		.amdhsa_user_sgpr_kernarg_preload_length 0
		.amdhsa_user_sgpr_kernarg_preload_offset 0
		.amdhsa_user_sgpr_private_segment_size 0
		.amdhsa_uses_dynamic_stack 0
		.amdhsa_system_sgpr_private_segment_wavefront_offset 0
		.amdhsa_system_sgpr_workgroup_id_x 1
		.amdhsa_system_sgpr_workgroup_id_y 0
		.amdhsa_system_sgpr_workgroup_id_z 0
		.amdhsa_system_sgpr_workgroup_info 0
		.amdhsa_system_vgpr_workitem_id 0
		.amdhsa_next_free_vgpr 1
		.amdhsa_next_free_sgpr 0
		.amdhsa_accum_offset 4
		.amdhsa_reserve_vcc 0
		.amdhsa_reserve_flat_scratch 0
		.amdhsa_float_round_mode_32 0
		.amdhsa_float_round_mode_16_64 0
		.amdhsa_float_denorm_mode_32 3
		.amdhsa_float_denorm_mode_16_64 3
		.amdhsa_dx10_clamp 1
		.amdhsa_ieee_mode 1
		.amdhsa_fp16_overflow 0
		.amdhsa_tg_split 0
		.amdhsa_exception_fp_ieee_invalid_op 0
		.amdhsa_exception_fp_denorm_src 0
		.amdhsa_exception_fp_ieee_div_zero 0
		.amdhsa_exception_fp_ieee_overflow 0
		.amdhsa_exception_fp_ieee_underflow 0
		.amdhsa_exception_fp_ieee_inexact 0
		.amdhsa_exception_int_div_zero 0
	.end_amdhsa_kernel
	.section	.text._ZN7rocprim17ROCPRIM_400000_NS6detail17trampoline_kernelINS0_14default_configENS1_25partition_config_selectorILNS1_17partition_subalgoE1EiNS0_10empty_typeEbEEZZNS1_14partition_implILS5_1ELb0ES3_jN6thrust23THRUST_200600_302600_NS6detail15normal_iteratorINSA_10device_ptrIiEEEEPS6_NSA_18transform_iteratorI7is_evenIiESF_NSA_11use_defaultESK_EENS0_5tupleIJSF_SF_EEENSM_IJSG_SG_EEES6_PlJS6_EEE10hipError_tPvRmT3_T4_T5_T6_T7_T9_mT8_P12ihipStream_tbDpT10_ENKUlT_T0_E_clISt17integral_constantIbLb0EES18_IbLb1EEEEDaS14_S15_EUlS14_E_NS1_11comp_targetILNS1_3genE10ELNS1_11target_archE1200ELNS1_3gpuE4ELNS1_3repE0EEENS1_30default_config_static_selectorELNS0_4arch9wavefront6targetE1EEEvT1_,"axG",@progbits,_ZN7rocprim17ROCPRIM_400000_NS6detail17trampoline_kernelINS0_14default_configENS1_25partition_config_selectorILNS1_17partition_subalgoE1EiNS0_10empty_typeEbEEZZNS1_14partition_implILS5_1ELb0ES3_jN6thrust23THRUST_200600_302600_NS6detail15normal_iteratorINSA_10device_ptrIiEEEEPS6_NSA_18transform_iteratorI7is_evenIiESF_NSA_11use_defaultESK_EENS0_5tupleIJSF_SF_EEENSM_IJSG_SG_EEES6_PlJS6_EEE10hipError_tPvRmT3_T4_T5_T6_T7_T9_mT8_P12ihipStream_tbDpT10_ENKUlT_T0_E_clISt17integral_constantIbLb0EES18_IbLb1EEEEDaS14_S15_EUlS14_E_NS1_11comp_targetILNS1_3genE10ELNS1_11target_archE1200ELNS1_3gpuE4ELNS1_3repE0EEENS1_30default_config_static_selectorELNS0_4arch9wavefront6targetE1EEEvT1_,comdat
.Lfunc_end446:
	.size	_ZN7rocprim17ROCPRIM_400000_NS6detail17trampoline_kernelINS0_14default_configENS1_25partition_config_selectorILNS1_17partition_subalgoE1EiNS0_10empty_typeEbEEZZNS1_14partition_implILS5_1ELb0ES3_jN6thrust23THRUST_200600_302600_NS6detail15normal_iteratorINSA_10device_ptrIiEEEEPS6_NSA_18transform_iteratorI7is_evenIiESF_NSA_11use_defaultESK_EENS0_5tupleIJSF_SF_EEENSM_IJSG_SG_EEES6_PlJS6_EEE10hipError_tPvRmT3_T4_T5_T6_T7_T9_mT8_P12ihipStream_tbDpT10_ENKUlT_T0_E_clISt17integral_constantIbLb0EES18_IbLb1EEEEDaS14_S15_EUlS14_E_NS1_11comp_targetILNS1_3genE10ELNS1_11target_archE1200ELNS1_3gpuE4ELNS1_3repE0EEENS1_30default_config_static_selectorELNS0_4arch9wavefront6targetE1EEEvT1_, .Lfunc_end446-_ZN7rocprim17ROCPRIM_400000_NS6detail17trampoline_kernelINS0_14default_configENS1_25partition_config_selectorILNS1_17partition_subalgoE1EiNS0_10empty_typeEbEEZZNS1_14partition_implILS5_1ELb0ES3_jN6thrust23THRUST_200600_302600_NS6detail15normal_iteratorINSA_10device_ptrIiEEEEPS6_NSA_18transform_iteratorI7is_evenIiESF_NSA_11use_defaultESK_EENS0_5tupleIJSF_SF_EEENSM_IJSG_SG_EEES6_PlJS6_EEE10hipError_tPvRmT3_T4_T5_T6_T7_T9_mT8_P12ihipStream_tbDpT10_ENKUlT_T0_E_clISt17integral_constantIbLb0EES18_IbLb1EEEEDaS14_S15_EUlS14_E_NS1_11comp_targetILNS1_3genE10ELNS1_11target_archE1200ELNS1_3gpuE4ELNS1_3repE0EEENS1_30default_config_static_selectorELNS0_4arch9wavefront6targetE1EEEvT1_
                                        ; -- End function
	.section	.AMDGPU.csdata,"",@progbits
; Kernel info:
; codeLenInByte = 0
; NumSgprs: 4
; NumVgprs: 0
; NumAgprs: 0
; TotalNumVgprs: 0
; ScratchSize: 0
; MemoryBound: 0
; FloatMode: 240
; IeeeMode: 1
; LDSByteSize: 0 bytes/workgroup (compile time only)
; SGPRBlocks: 0
; VGPRBlocks: 0
; NumSGPRsForWavesPerEU: 4
; NumVGPRsForWavesPerEU: 1
; AccumOffset: 4
; Occupancy: 8
; WaveLimiterHint : 0
; COMPUTE_PGM_RSRC2:SCRATCH_EN: 0
; COMPUTE_PGM_RSRC2:USER_SGPR: 6
; COMPUTE_PGM_RSRC2:TRAP_HANDLER: 0
; COMPUTE_PGM_RSRC2:TGID_X_EN: 1
; COMPUTE_PGM_RSRC2:TGID_Y_EN: 0
; COMPUTE_PGM_RSRC2:TGID_Z_EN: 0
; COMPUTE_PGM_RSRC2:TIDIG_COMP_CNT: 0
; COMPUTE_PGM_RSRC3_GFX90A:ACCUM_OFFSET: 0
; COMPUTE_PGM_RSRC3_GFX90A:TG_SPLIT: 0
	.section	.text._ZN7rocprim17ROCPRIM_400000_NS6detail17trampoline_kernelINS0_14default_configENS1_25partition_config_selectorILNS1_17partition_subalgoE1EiNS0_10empty_typeEbEEZZNS1_14partition_implILS5_1ELb0ES3_jN6thrust23THRUST_200600_302600_NS6detail15normal_iteratorINSA_10device_ptrIiEEEEPS6_NSA_18transform_iteratorI7is_evenIiESF_NSA_11use_defaultESK_EENS0_5tupleIJSF_SF_EEENSM_IJSG_SG_EEES6_PlJS6_EEE10hipError_tPvRmT3_T4_T5_T6_T7_T9_mT8_P12ihipStream_tbDpT10_ENKUlT_T0_E_clISt17integral_constantIbLb0EES18_IbLb1EEEEDaS14_S15_EUlS14_E_NS1_11comp_targetILNS1_3genE9ELNS1_11target_archE1100ELNS1_3gpuE3ELNS1_3repE0EEENS1_30default_config_static_selectorELNS0_4arch9wavefront6targetE1EEEvT1_,"axG",@progbits,_ZN7rocprim17ROCPRIM_400000_NS6detail17trampoline_kernelINS0_14default_configENS1_25partition_config_selectorILNS1_17partition_subalgoE1EiNS0_10empty_typeEbEEZZNS1_14partition_implILS5_1ELb0ES3_jN6thrust23THRUST_200600_302600_NS6detail15normal_iteratorINSA_10device_ptrIiEEEEPS6_NSA_18transform_iteratorI7is_evenIiESF_NSA_11use_defaultESK_EENS0_5tupleIJSF_SF_EEENSM_IJSG_SG_EEES6_PlJS6_EEE10hipError_tPvRmT3_T4_T5_T6_T7_T9_mT8_P12ihipStream_tbDpT10_ENKUlT_T0_E_clISt17integral_constantIbLb0EES18_IbLb1EEEEDaS14_S15_EUlS14_E_NS1_11comp_targetILNS1_3genE9ELNS1_11target_archE1100ELNS1_3gpuE3ELNS1_3repE0EEENS1_30default_config_static_selectorELNS0_4arch9wavefront6targetE1EEEvT1_,comdat
	.protected	_ZN7rocprim17ROCPRIM_400000_NS6detail17trampoline_kernelINS0_14default_configENS1_25partition_config_selectorILNS1_17partition_subalgoE1EiNS0_10empty_typeEbEEZZNS1_14partition_implILS5_1ELb0ES3_jN6thrust23THRUST_200600_302600_NS6detail15normal_iteratorINSA_10device_ptrIiEEEEPS6_NSA_18transform_iteratorI7is_evenIiESF_NSA_11use_defaultESK_EENS0_5tupleIJSF_SF_EEENSM_IJSG_SG_EEES6_PlJS6_EEE10hipError_tPvRmT3_T4_T5_T6_T7_T9_mT8_P12ihipStream_tbDpT10_ENKUlT_T0_E_clISt17integral_constantIbLb0EES18_IbLb1EEEEDaS14_S15_EUlS14_E_NS1_11comp_targetILNS1_3genE9ELNS1_11target_archE1100ELNS1_3gpuE3ELNS1_3repE0EEENS1_30default_config_static_selectorELNS0_4arch9wavefront6targetE1EEEvT1_ ; -- Begin function _ZN7rocprim17ROCPRIM_400000_NS6detail17trampoline_kernelINS0_14default_configENS1_25partition_config_selectorILNS1_17partition_subalgoE1EiNS0_10empty_typeEbEEZZNS1_14partition_implILS5_1ELb0ES3_jN6thrust23THRUST_200600_302600_NS6detail15normal_iteratorINSA_10device_ptrIiEEEEPS6_NSA_18transform_iteratorI7is_evenIiESF_NSA_11use_defaultESK_EENS0_5tupleIJSF_SF_EEENSM_IJSG_SG_EEES6_PlJS6_EEE10hipError_tPvRmT3_T4_T5_T6_T7_T9_mT8_P12ihipStream_tbDpT10_ENKUlT_T0_E_clISt17integral_constantIbLb0EES18_IbLb1EEEEDaS14_S15_EUlS14_E_NS1_11comp_targetILNS1_3genE9ELNS1_11target_archE1100ELNS1_3gpuE3ELNS1_3repE0EEENS1_30default_config_static_selectorELNS0_4arch9wavefront6targetE1EEEvT1_
	.globl	_ZN7rocprim17ROCPRIM_400000_NS6detail17trampoline_kernelINS0_14default_configENS1_25partition_config_selectorILNS1_17partition_subalgoE1EiNS0_10empty_typeEbEEZZNS1_14partition_implILS5_1ELb0ES3_jN6thrust23THRUST_200600_302600_NS6detail15normal_iteratorINSA_10device_ptrIiEEEEPS6_NSA_18transform_iteratorI7is_evenIiESF_NSA_11use_defaultESK_EENS0_5tupleIJSF_SF_EEENSM_IJSG_SG_EEES6_PlJS6_EEE10hipError_tPvRmT3_T4_T5_T6_T7_T9_mT8_P12ihipStream_tbDpT10_ENKUlT_T0_E_clISt17integral_constantIbLb0EES18_IbLb1EEEEDaS14_S15_EUlS14_E_NS1_11comp_targetILNS1_3genE9ELNS1_11target_archE1100ELNS1_3gpuE3ELNS1_3repE0EEENS1_30default_config_static_selectorELNS0_4arch9wavefront6targetE1EEEvT1_
	.p2align	8
	.type	_ZN7rocprim17ROCPRIM_400000_NS6detail17trampoline_kernelINS0_14default_configENS1_25partition_config_selectorILNS1_17partition_subalgoE1EiNS0_10empty_typeEbEEZZNS1_14partition_implILS5_1ELb0ES3_jN6thrust23THRUST_200600_302600_NS6detail15normal_iteratorINSA_10device_ptrIiEEEEPS6_NSA_18transform_iteratorI7is_evenIiESF_NSA_11use_defaultESK_EENS0_5tupleIJSF_SF_EEENSM_IJSG_SG_EEES6_PlJS6_EEE10hipError_tPvRmT3_T4_T5_T6_T7_T9_mT8_P12ihipStream_tbDpT10_ENKUlT_T0_E_clISt17integral_constantIbLb0EES18_IbLb1EEEEDaS14_S15_EUlS14_E_NS1_11comp_targetILNS1_3genE9ELNS1_11target_archE1100ELNS1_3gpuE3ELNS1_3repE0EEENS1_30default_config_static_selectorELNS0_4arch9wavefront6targetE1EEEvT1_,@function
_ZN7rocprim17ROCPRIM_400000_NS6detail17trampoline_kernelINS0_14default_configENS1_25partition_config_selectorILNS1_17partition_subalgoE1EiNS0_10empty_typeEbEEZZNS1_14partition_implILS5_1ELb0ES3_jN6thrust23THRUST_200600_302600_NS6detail15normal_iteratorINSA_10device_ptrIiEEEEPS6_NSA_18transform_iteratorI7is_evenIiESF_NSA_11use_defaultESK_EENS0_5tupleIJSF_SF_EEENSM_IJSG_SG_EEES6_PlJS6_EEE10hipError_tPvRmT3_T4_T5_T6_T7_T9_mT8_P12ihipStream_tbDpT10_ENKUlT_T0_E_clISt17integral_constantIbLb0EES18_IbLb1EEEEDaS14_S15_EUlS14_E_NS1_11comp_targetILNS1_3genE9ELNS1_11target_archE1100ELNS1_3gpuE3ELNS1_3repE0EEENS1_30default_config_static_selectorELNS0_4arch9wavefront6targetE1EEEvT1_: ; @_ZN7rocprim17ROCPRIM_400000_NS6detail17trampoline_kernelINS0_14default_configENS1_25partition_config_selectorILNS1_17partition_subalgoE1EiNS0_10empty_typeEbEEZZNS1_14partition_implILS5_1ELb0ES3_jN6thrust23THRUST_200600_302600_NS6detail15normal_iteratorINSA_10device_ptrIiEEEEPS6_NSA_18transform_iteratorI7is_evenIiESF_NSA_11use_defaultESK_EENS0_5tupleIJSF_SF_EEENSM_IJSG_SG_EEES6_PlJS6_EEE10hipError_tPvRmT3_T4_T5_T6_T7_T9_mT8_P12ihipStream_tbDpT10_ENKUlT_T0_E_clISt17integral_constantIbLb0EES18_IbLb1EEEEDaS14_S15_EUlS14_E_NS1_11comp_targetILNS1_3genE9ELNS1_11target_archE1100ELNS1_3gpuE3ELNS1_3repE0EEENS1_30default_config_static_selectorELNS0_4arch9wavefront6targetE1EEEvT1_
; %bb.0:
	.section	.rodata,"a",@progbits
	.p2align	6, 0x0
	.amdhsa_kernel _ZN7rocprim17ROCPRIM_400000_NS6detail17trampoline_kernelINS0_14default_configENS1_25partition_config_selectorILNS1_17partition_subalgoE1EiNS0_10empty_typeEbEEZZNS1_14partition_implILS5_1ELb0ES3_jN6thrust23THRUST_200600_302600_NS6detail15normal_iteratorINSA_10device_ptrIiEEEEPS6_NSA_18transform_iteratorI7is_evenIiESF_NSA_11use_defaultESK_EENS0_5tupleIJSF_SF_EEENSM_IJSG_SG_EEES6_PlJS6_EEE10hipError_tPvRmT3_T4_T5_T6_T7_T9_mT8_P12ihipStream_tbDpT10_ENKUlT_T0_E_clISt17integral_constantIbLb0EES18_IbLb1EEEEDaS14_S15_EUlS14_E_NS1_11comp_targetILNS1_3genE9ELNS1_11target_archE1100ELNS1_3gpuE3ELNS1_3repE0EEENS1_30default_config_static_selectorELNS0_4arch9wavefront6targetE1EEEvT1_
		.amdhsa_group_segment_fixed_size 0
		.amdhsa_private_segment_fixed_size 0
		.amdhsa_kernarg_size 144
		.amdhsa_user_sgpr_count 6
		.amdhsa_user_sgpr_private_segment_buffer 1
		.amdhsa_user_sgpr_dispatch_ptr 0
		.amdhsa_user_sgpr_queue_ptr 0
		.amdhsa_user_sgpr_kernarg_segment_ptr 1
		.amdhsa_user_sgpr_dispatch_id 0
		.amdhsa_user_sgpr_flat_scratch_init 0
		.amdhsa_user_sgpr_kernarg_preload_length 0
		.amdhsa_user_sgpr_kernarg_preload_offset 0
		.amdhsa_user_sgpr_private_segment_size 0
		.amdhsa_uses_dynamic_stack 0
		.amdhsa_system_sgpr_private_segment_wavefront_offset 0
		.amdhsa_system_sgpr_workgroup_id_x 1
		.amdhsa_system_sgpr_workgroup_id_y 0
		.amdhsa_system_sgpr_workgroup_id_z 0
		.amdhsa_system_sgpr_workgroup_info 0
		.amdhsa_system_vgpr_workitem_id 0
		.amdhsa_next_free_vgpr 1
		.amdhsa_next_free_sgpr 0
		.amdhsa_accum_offset 4
		.amdhsa_reserve_vcc 0
		.amdhsa_reserve_flat_scratch 0
		.amdhsa_float_round_mode_32 0
		.amdhsa_float_round_mode_16_64 0
		.amdhsa_float_denorm_mode_32 3
		.amdhsa_float_denorm_mode_16_64 3
		.amdhsa_dx10_clamp 1
		.amdhsa_ieee_mode 1
		.amdhsa_fp16_overflow 0
		.amdhsa_tg_split 0
		.amdhsa_exception_fp_ieee_invalid_op 0
		.amdhsa_exception_fp_denorm_src 0
		.amdhsa_exception_fp_ieee_div_zero 0
		.amdhsa_exception_fp_ieee_overflow 0
		.amdhsa_exception_fp_ieee_underflow 0
		.amdhsa_exception_fp_ieee_inexact 0
		.amdhsa_exception_int_div_zero 0
	.end_amdhsa_kernel
	.section	.text._ZN7rocprim17ROCPRIM_400000_NS6detail17trampoline_kernelINS0_14default_configENS1_25partition_config_selectorILNS1_17partition_subalgoE1EiNS0_10empty_typeEbEEZZNS1_14partition_implILS5_1ELb0ES3_jN6thrust23THRUST_200600_302600_NS6detail15normal_iteratorINSA_10device_ptrIiEEEEPS6_NSA_18transform_iteratorI7is_evenIiESF_NSA_11use_defaultESK_EENS0_5tupleIJSF_SF_EEENSM_IJSG_SG_EEES6_PlJS6_EEE10hipError_tPvRmT3_T4_T5_T6_T7_T9_mT8_P12ihipStream_tbDpT10_ENKUlT_T0_E_clISt17integral_constantIbLb0EES18_IbLb1EEEEDaS14_S15_EUlS14_E_NS1_11comp_targetILNS1_3genE9ELNS1_11target_archE1100ELNS1_3gpuE3ELNS1_3repE0EEENS1_30default_config_static_selectorELNS0_4arch9wavefront6targetE1EEEvT1_,"axG",@progbits,_ZN7rocprim17ROCPRIM_400000_NS6detail17trampoline_kernelINS0_14default_configENS1_25partition_config_selectorILNS1_17partition_subalgoE1EiNS0_10empty_typeEbEEZZNS1_14partition_implILS5_1ELb0ES3_jN6thrust23THRUST_200600_302600_NS6detail15normal_iteratorINSA_10device_ptrIiEEEEPS6_NSA_18transform_iteratorI7is_evenIiESF_NSA_11use_defaultESK_EENS0_5tupleIJSF_SF_EEENSM_IJSG_SG_EEES6_PlJS6_EEE10hipError_tPvRmT3_T4_T5_T6_T7_T9_mT8_P12ihipStream_tbDpT10_ENKUlT_T0_E_clISt17integral_constantIbLb0EES18_IbLb1EEEEDaS14_S15_EUlS14_E_NS1_11comp_targetILNS1_3genE9ELNS1_11target_archE1100ELNS1_3gpuE3ELNS1_3repE0EEENS1_30default_config_static_selectorELNS0_4arch9wavefront6targetE1EEEvT1_,comdat
.Lfunc_end447:
	.size	_ZN7rocprim17ROCPRIM_400000_NS6detail17trampoline_kernelINS0_14default_configENS1_25partition_config_selectorILNS1_17partition_subalgoE1EiNS0_10empty_typeEbEEZZNS1_14partition_implILS5_1ELb0ES3_jN6thrust23THRUST_200600_302600_NS6detail15normal_iteratorINSA_10device_ptrIiEEEEPS6_NSA_18transform_iteratorI7is_evenIiESF_NSA_11use_defaultESK_EENS0_5tupleIJSF_SF_EEENSM_IJSG_SG_EEES6_PlJS6_EEE10hipError_tPvRmT3_T4_T5_T6_T7_T9_mT8_P12ihipStream_tbDpT10_ENKUlT_T0_E_clISt17integral_constantIbLb0EES18_IbLb1EEEEDaS14_S15_EUlS14_E_NS1_11comp_targetILNS1_3genE9ELNS1_11target_archE1100ELNS1_3gpuE3ELNS1_3repE0EEENS1_30default_config_static_selectorELNS0_4arch9wavefront6targetE1EEEvT1_, .Lfunc_end447-_ZN7rocprim17ROCPRIM_400000_NS6detail17trampoline_kernelINS0_14default_configENS1_25partition_config_selectorILNS1_17partition_subalgoE1EiNS0_10empty_typeEbEEZZNS1_14partition_implILS5_1ELb0ES3_jN6thrust23THRUST_200600_302600_NS6detail15normal_iteratorINSA_10device_ptrIiEEEEPS6_NSA_18transform_iteratorI7is_evenIiESF_NSA_11use_defaultESK_EENS0_5tupleIJSF_SF_EEENSM_IJSG_SG_EEES6_PlJS6_EEE10hipError_tPvRmT3_T4_T5_T6_T7_T9_mT8_P12ihipStream_tbDpT10_ENKUlT_T0_E_clISt17integral_constantIbLb0EES18_IbLb1EEEEDaS14_S15_EUlS14_E_NS1_11comp_targetILNS1_3genE9ELNS1_11target_archE1100ELNS1_3gpuE3ELNS1_3repE0EEENS1_30default_config_static_selectorELNS0_4arch9wavefront6targetE1EEEvT1_
                                        ; -- End function
	.section	.AMDGPU.csdata,"",@progbits
; Kernel info:
; codeLenInByte = 0
; NumSgprs: 4
; NumVgprs: 0
; NumAgprs: 0
; TotalNumVgprs: 0
; ScratchSize: 0
; MemoryBound: 0
; FloatMode: 240
; IeeeMode: 1
; LDSByteSize: 0 bytes/workgroup (compile time only)
; SGPRBlocks: 0
; VGPRBlocks: 0
; NumSGPRsForWavesPerEU: 4
; NumVGPRsForWavesPerEU: 1
; AccumOffset: 4
; Occupancy: 8
; WaveLimiterHint : 0
; COMPUTE_PGM_RSRC2:SCRATCH_EN: 0
; COMPUTE_PGM_RSRC2:USER_SGPR: 6
; COMPUTE_PGM_RSRC2:TRAP_HANDLER: 0
; COMPUTE_PGM_RSRC2:TGID_X_EN: 1
; COMPUTE_PGM_RSRC2:TGID_Y_EN: 0
; COMPUTE_PGM_RSRC2:TGID_Z_EN: 0
; COMPUTE_PGM_RSRC2:TIDIG_COMP_CNT: 0
; COMPUTE_PGM_RSRC3_GFX90A:ACCUM_OFFSET: 0
; COMPUTE_PGM_RSRC3_GFX90A:TG_SPLIT: 0
	.section	.text._ZN7rocprim17ROCPRIM_400000_NS6detail17trampoline_kernelINS0_14default_configENS1_25partition_config_selectorILNS1_17partition_subalgoE1EiNS0_10empty_typeEbEEZZNS1_14partition_implILS5_1ELb0ES3_jN6thrust23THRUST_200600_302600_NS6detail15normal_iteratorINSA_10device_ptrIiEEEEPS6_NSA_18transform_iteratorI7is_evenIiESF_NSA_11use_defaultESK_EENS0_5tupleIJSF_SF_EEENSM_IJSG_SG_EEES6_PlJS6_EEE10hipError_tPvRmT3_T4_T5_T6_T7_T9_mT8_P12ihipStream_tbDpT10_ENKUlT_T0_E_clISt17integral_constantIbLb0EES18_IbLb1EEEEDaS14_S15_EUlS14_E_NS1_11comp_targetILNS1_3genE8ELNS1_11target_archE1030ELNS1_3gpuE2ELNS1_3repE0EEENS1_30default_config_static_selectorELNS0_4arch9wavefront6targetE1EEEvT1_,"axG",@progbits,_ZN7rocprim17ROCPRIM_400000_NS6detail17trampoline_kernelINS0_14default_configENS1_25partition_config_selectorILNS1_17partition_subalgoE1EiNS0_10empty_typeEbEEZZNS1_14partition_implILS5_1ELb0ES3_jN6thrust23THRUST_200600_302600_NS6detail15normal_iteratorINSA_10device_ptrIiEEEEPS6_NSA_18transform_iteratorI7is_evenIiESF_NSA_11use_defaultESK_EENS0_5tupleIJSF_SF_EEENSM_IJSG_SG_EEES6_PlJS6_EEE10hipError_tPvRmT3_T4_T5_T6_T7_T9_mT8_P12ihipStream_tbDpT10_ENKUlT_T0_E_clISt17integral_constantIbLb0EES18_IbLb1EEEEDaS14_S15_EUlS14_E_NS1_11comp_targetILNS1_3genE8ELNS1_11target_archE1030ELNS1_3gpuE2ELNS1_3repE0EEENS1_30default_config_static_selectorELNS0_4arch9wavefront6targetE1EEEvT1_,comdat
	.protected	_ZN7rocprim17ROCPRIM_400000_NS6detail17trampoline_kernelINS0_14default_configENS1_25partition_config_selectorILNS1_17partition_subalgoE1EiNS0_10empty_typeEbEEZZNS1_14partition_implILS5_1ELb0ES3_jN6thrust23THRUST_200600_302600_NS6detail15normal_iteratorINSA_10device_ptrIiEEEEPS6_NSA_18transform_iteratorI7is_evenIiESF_NSA_11use_defaultESK_EENS0_5tupleIJSF_SF_EEENSM_IJSG_SG_EEES6_PlJS6_EEE10hipError_tPvRmT3_T4_T5_T6_T7_T9_mT8_P12ihipStream_tbDpT10_ENKUlT_T0_E_clISt17integral_constantIbLb0EES18_IbLb1EEEEDaS14_S15_EUlS14_E_NS1_11comp_targetILNS1_3genE8ELNS1_11target_archE1030ELNS1_3gpuE2ELNS1_3repE0EEENS1_30default_config_static_selectorELNS0_4arch9wavefront6targetE1EEEvT1_ ; -- Begin function _ZN7rocprim17ROCPRIM_400000_NS6detail17trampoline_kernelINS0_14default_configENS1_25partition_config_selectorILNS1_17partition_subalgoE1EiNS0_10empty_typeEbEEZZNS1_14partition_implILS5_1ELb0ES3_jN6thrust23THRUST_200600_302600_NS6detail15normal_iteratorINSA_10device_ptrIiEEEEPS6_NSA_18transform_iteratorI7is_evenIiESF_NSA_11use_defaultESK_EENS0_5tupleIJSF_SF_EEENSM_IJSG_SG_EEES6_PlJS6_EEE10hipError_tPvRmT3_T4_T5_T6_T7_T9_mT8_P12ihipStream_tbDpT10_ENKUlT_T0_E_clISt17integral_constantIbLb0EES18_IbLb1EEEEDaS14_S15_EUlS14_E_NS1_11comp_targetILNS1_3genE8ELNS1_11target_archE1030ELNS1_3gpuE2ELNS1_3repE0EEENS1_30default_config_static_selectorELNS0_4arch9wavefront6targetE1EEEvT1_
	.globl	_ZN7rocprim17ROCPRIM_400000_NS6detail17trampoline_kernelINS0_14default_configENS1_25partition_config_selectorILNS1_17partition_subalgoE1EiNS0_10empty_typeEbEEZZNS1_14partition_implILS5_1ELb0ES3_jN6thrust23THRUST_200600_302600_NS6detail15normal_iteratorINSA_10device_ptrIiEEEEPS6_NSA_18transform_iteratorI7is_evenIiESF_NSA_11use_defaultESK_EENS0_5tupleIJSF_SF_EEENSM_IJSG_SG_EEES6_PlJS6_EEE10hipError_tPvRmT3_T4_T5_T6_T7_T9_mT8_P12ihipStream_tbDpT10_ENKUlT_T0_E_clISt17integral_constantIbLb0EES18_IbLb1EEEEDaS14_S15_EUlS14_E_NS1_11comp_targetILNS1_3genE8ELNS1_11target_archE1030ELNS1_3gpuE2ELNS1_3repE0EEENS1_30default_config_static_selectorELNS0_4arch9wavefront6targetE1EEEvT1_
	.p2align	8
	.type	_ZN7rocprim17ROCPRIM_400000_NS6detail17trampoline_kernelINS0_14default_configENS1_25partition_config_selectorILNS1_17partition_subalgoE1EiNS0_10empty_typeEbEEZZNS1_14partition_implILS5_1ELb0ES3_jN6thrust23THRUST_200600_302600_NS6detail15normal_iteratorINSA_10device_ptrIiEEEEPS6_NSA_18transform_iteratorI7is_evenIiESF_NSA_11use_defaultESK_EENS0_5tupleIJSF_SF_EEENSM_IJSG_SG_EEES6_PlJS6_EEE10hipError_tPvRmT3_T4_T5_T6_T7_T9_mT8_P12ihipStream_tbDpT10_ENKUlT_T0_E_clISt17integral_constantIbLb0EES18_IbLb1EEEEDaS14_S15_EUlS14_E_NS1_11comp_targetILNS1_3genE8ELNS1_11target_archE1030ELNS1_3gpuE2ELNS1_3repE0EEENS1_30default_config_static_selectorELNS0_4arch9wavefront6targetE1EEEvT1_,@function
_ZN7rocprim17ROCPRIM_400000_NS6detail17trampoline_kernelINS0_14default_configENS1_25partition_config_selectorILNS1_17partition_subalgoE1EiNS0_10empty_typeEbEEZZNS1_14partition_implILS5_1ELb0ES3_jN6thrust23THRUST_200600_302600_NS6detail15normal_iteratorINSA_10device_ptrIiEEEEPS6_NSA_18transform_iteratorI7is_evenIiESF_NSA_11use_defaultESK_EENS0_5tupleIJSF_SF_EEENSM_IJSG_SG_EEES6_PlJS6_EEE10hipError_tPvRmT3_T4_T5_T6_T7_T9_mT8_P12ihipStream_tbDpT10_ENKUlT_T0_E_clISt17integral_constantIbLb0EES18_IbLb1EEEEDaS14_S15_EUlS14_E_NS1_11comp_targetILNS1_3genE8ELNS1_11target_archE1030ELNS1_3gpuE2ELNS1_3repE0EEENS1_30default_config_static_selectorELNS0_4arch9wavefront6targetE1EEEvT1_: ; @_ZN7rocprim17ROCPRIM_400000_NS6detail17trampoline_kernelINS0_14default_configENS1_25partition_config_selectorILNS1_17partition_subalgoE1EiNS0_10empty_typeEbEEZZNS1_14partition_implILS5_1ELb0ES3_jN6thrust23THRUST_200600_302600_NS6detail15normal_iteratorINSA_10device_ptrIiEEEEPS6_NSA_18transform_iteratorI7is_evenIiESF_NSA_11use_defaultESK_EENS0_5tupleIJSF_SF_EEENSM_IJSG_SG_EEES6_PlJS6_EEE10hipError_tPvRmT3_T4_T5_T6_T7_T9_mT8_P12ihipStream_tbDpT10_ENKUlT_T0_E_clISt17integral_constantIbLb0EES18_IbLb1EEEEDaS14_S15_EUlS14_E_NS1_11comp_targetILNS1_3genE8ELNS1_11target_archE1030ELNS1_3gpuE2ELNS1_3repE0EEENS1_30default_config_static_selectorELNS0_4arch9wavefront6targetE1EEEvT1_
; %bb.0:
	.section	.rodata,"a",@progbits
	.p2align	6, 0x0
	.amdhsa_kernel _ZN7rocprim17ROCPRIM_400000_NS6detail17trampoline_kernelINS0_14default_configENS1_25partition_config_selectorILNS1_17partition_subalgoE1EiNS0_10empty_typeEbEEZZNS1_14partition_implILS5_1ELb0ES3_jN6thrust23THRUST_200600_302600_NS6detail15normal_iteratorINSA_10device_ptrIiEEEEPS6_NSA_18transform_iteratorI7is_evenIiESF_NSA_11use_defaultESK_EENS0_5tupleIJSF_SF_EEENSM_IJSG_SG_EEES6_PlJS6_EEE10hipError_tPvRmT3_T4_T5_T6_T7_T9_mT8_P12ihipStream_tbDpT10_ENKUlT_T0_E_clISt17integral_constantIbLb0EES18_IbLb1EEEEDaS14_S15_EUlS14_E_NS1_11comp_targetILNS1_3genE8ELNS1_11target_archE1030ELNS1_3gpuE2ELNS1_3repE0EEENS1_30default_config_static_selectorELNS0_4arch9wavefront6targetE1EEEvT1_
		.amdhsa_group_segment_fixed_size 0
		.amdhsa_private_segment_fixed_size 0
		.amdhsa_kernarg_size 144
		.amdhsa_user_sgpr_count 6
		.amdhsa_user_sgpr_private_segment_buffer 1
		.amdhsa_user_sgpr_dispatch_ptr 0
		.amdhsa_user_sgpr_queue_ptr 0
		.amdhsa_user_sgpr_kernarg_segment_ptr 1
		.amdhsa_user_sgpr_dispatch_id 0
		.amdhsa_user_sgpr_flat_scratch_init 0
		.amdhsa_user_sgpr_kernarg_preload_length 0
		.amdhsa_user_sgpr_kernarg_preload_offset 0
		.amdhsa_user_sgpr_private_segment_size 0
		.amdhsa_uses_dynamic_stack 0
		.amdhsa_system_sgpr_private_segment_wavefront_offset 0
		.amdhsa_system_sgpr_workgroup_id_x 1
		.amdhsa_system_sgpr_workgroup_id_y 0
		.amdhsa_system_sgpr_workgroup_id_z 0
		.amdhsa_system_sgpr_workgroup_info 0
		.amdhsa_system_vgpr_workitem_id 0
		.amdhsa_next_free_vgpr 1
		.amdhsa_next_free_sgpr 0
		.amdhsa_accum_offset 4
		.amdhsa_reserve_vcc 0
		.amdhsa_reserve_flat_scratch 0
		.amdhsa_float_round_mode_32 0
		.amdhsa_float_round_mode_16_64 0
		.amdhsa_float_denorm_mode_32 3
		.amdhsa_float_denorm_mode_16_64 3
		.amdhsa_dx10_clamp 1
		.amdhsa_ieee_mode 1
		.amdhsa_fp16_overflow 0
		.amdhsa_tg_split 0
		.amdhsa_exception_fp_ieee_invalid_op 0
		.amdhsa_exception_fp_denorm_src 0
		.amdhsa_exception_fp_ieee_div_zero 0
		.amdhsa_exception_fp_ieee_overflow 0
		.amdhsa_exception_fp_ieee_underflow 0
		.amdhsa_exception_fp_ieee_inexact 0
		.amdhsa_exception_int_div_zero 0
	.end_amdhsa_kernel
	.section	.text._ZN7rocprim17ROCPRIM_400000_NS6detail17trampoline_kernelINS0_14default_configENS1_25partition_config_selectorILNS1_17partition_subalgoE1EiNS0_10empty_typeEbEEZZNS1_14partition_implILS5_1ELb0ES3_jN6thrust23THRUST_200600_302600_NS6detail15normal_iteratorINSA_10device_ptrIiEEEEPS6_NSA_18transform_iteratorI7is_evenIiESF_NSA_11use_defaultESK_EENS0_5tupleIJSF_SF_EEENSM_IJSG_SG_EEES6_PlJS6_EEE10hipError_tPvRmT3_T4_T5_T6_T7_T9_mT8_P12ihipStream_tbDpT10_ENKUlT_T0_E_clISt17integral_constantIbLb0EES18_IbLb1EEEEDaS14_S15_EUlS14_E_NS1_11comp_targetILNS1_3genE8ELNS1_11target_archE1030ELNS1_3gpuE2ELNS1_3repE0EEENS1_30default_config_static_selectorELNS0_4arch9wavefront6targetE1EEEvT1_,"axG",@progbits,_ZN7rocprim17ROCPRIM_400000_NS6detail17trampoline_kernelINS0_14default_configENS1_25partition_config_selectorILNS1_17partition_subalgoE1EiNS0_10empty_typeEbEEZZNS1_14partition_implILS5_1ELb0ES3_jN6thrust23THRUST_200600_302600_NS6detail15normal_iteratorINSA_10device_ptrIiEEEEPS6_NSA_18transform_iteratorI7is_evenIiESF_NSA_11use_defaultESK_EENS0_5tupleIJSF_SF_EEENSM_IJSG_SG_EEES6_PlJS6_EEE10hipError_tPvRmT3_T4_T5_T6_T7_T9_mT8_P12ihipStream_tbDpT10_ENKUlT_T0_E_clISt17integral_constantIbLb0EES18_IbLb1EEEEDaS14_S15_EUlS14_E_NS1_11comp_targetILNS1_3genE8ELNS1_11target_archE1030ELNS1_3gpuE2ELNS1_3repE0EEENS1_30default_config_static_selectorELNS0_4arch9wavefront6targetE1EEEvT1_,comdat
.Lfunc_end448:
	.size	_ZN7rocprim17ROCPRIM_400000_NS6detail17trampoline_kernelINS0_14default_configENS1_25partition_config_selectorILNS1_17partition_subalgoE1EiNS0_10empty_typeEbEEZZNS1_14partition_implILS5_1ELb0ES3_jN6thrust23THRUST_200600_302600_NS6detail15normal_iteratorINSA_10device_ptrIiEEEEPS6_NSA_18transform_iteratorI7is_evenIiESF_NSA_11use_defaultESK_EENS0_5tupleIJSF_SF_EEENSM_IJSG_SG_EEES6_PlJS6_EEE10hipError_tPvRmT3_T4_T5_T6_T7_T9_mT8_P12ihipStream_tbDpT10_ENKUlT_T0_E_clISt17integral_constantIbLb0EES18_IbLb1EEEEDaS14_S15_EUlS14_E_NS1_11comp_targetILNS1_3genE8ELNS1_11target_archE1030ELNS1_3gpuE2ELNS1_3repE0EEENS1_30default_config_static_selectorELNS0_4arch9wavefront6targetE1EEEvT1_, .Lfunc_end448-_ZN7rocprim17ROCPRIM_400000_NS6detail17trampoline_kernelINS0_14default_configENS1_25partition_config_selectorILNS1_17partition_subalgoE1EiNS0_10empty_typeEbEEZZNS1_14partition_implILS5_1ELb0ES3_jN6thrust23THRUST_200600_302600_NS6detail15normal_iteratorINSA_10device_ptrIiEEEEPS6_NSA_18transform_iteratorI7is_evenIiESF_NSA_11use_defaultESK_EENS0_5tupleIJSF_SF_EEENSM_IJSG_SG_EEES6_PlJS6_EEE10hipError_tPvRmT3_T4_T5_T6_T7_T9_mT8_P12ihipStream_tbDpT10_ENKUlT_T0_E_clISt17integral_constantIbLb0EES18_IbLb1EEEEDaS14_S15_EUlS14_E_NS1_11comp_targetILNS1_3genE8ELNS1_11target_archE1030ELNS1_3gpuE2ELNS1_3repE0EEENS1_30default_config_static_selectorELNS0_4arch9wavefront6targetE1EEEvT1_
                                        ; -- End function
	.section	.AMDGPU.csdata,"",@progbits
; Kernel info:
; codeLenInByte = 0
; NumSgprs: 4
; NumVgprs: 0
; NumAgprs: 0
; TotalNumVgprs: 0
; ScratchSize: 0
; MemoryBound: 0
; FloatMode: 240
; IeeeMode: 1
; LDSByteSize: 0 bytes/workgroup (compile time only)
; SGPRBlocks: 0
; VGPRBlocks: 0
; NumSGPRsForWavesPerEU: 4
; NumVGPRsForWavesPerEU: 1
; AccumOffset: 4
; Occupancy: 8
; WaveLimiterHint : 0
; COMPUTE_PGM_RSRC2:SCRATCH_EN: 0
; COMPUTE_PGM_RSRC2:USER_SGPR: 6
; COMPUTE_PGM_RSRC2:TRAP_HANDLER: 0
; COMPUTE_PGM_RSRC2:TGID_X_EN: 1
; COMPUTE_PGM_RSRC2:TGID_Y_EN: 0
; COMPUTE_PGM_RSRC2:TGID_Z_EN: 0
; COMPUTE_PGM_RSRC2:TIDIG_COMP_CNT: 0
; COMPUTE_PGM_RSRC3_GFX90A:ACCUM_OFFSET: 0
; COMPUTE_PGM_RSRC3_GFX90A:TG_SPLIT: 0
	.section	.text._ZN7rocprim17ROCPRIM_400000_NS6detail17trampoline_kernelINS0_14default_configENS1_25partition_config_selectorILNS1_17partition_subalgoE1EsNS0_10empty_typeEbEEZZNS1_14partition_implILS5_1ELb0ES3_jN6thrust23THRUST_200600_302600_NS6detail15normal_iteratorINSA_10device_ptrIsEEEEPS6_NSA_18transform_iteratorI7is_evenIsESF_NSA_11use_defaultESK_EENS0_5tupleIJSF_SF_EEENSM_IJSG_SG_EEES6_PlJS6_EEE10hipError_tPvRmT3_T4_T5_T6_T7_T9_mT8_P12ihipStream_tbDpT10_ENKUlT_T0_E_clISt17integral_constantIbLb0EES19_EEDaS14_S15_EUlS14_E_NS1_11comp_targetILNS1_3genE0ELNS1_11target_archE4294967295ELNS1_3gpuE0ELNS1_3repE0EEENS1_30default_config_static_selectorELNS0_4arch9wavefront6targetE1EEEvT1_,"axG",@progbits,_ZN7rocprim17ROCPRIM_400000_NS6detail17trampoline_kernelINS0_14default_configENS1_25partition_config_selectorILNS1_17partition_subalgoE1EsNS0_10empty_typeEbEEZZNS1_14partition_implILS5_1ELb0ES3_jN6thrust23THRUST_200600_302600_NS6detail15normal_iteratorINSA_10device_ptrIsEEEEPS6_NSA_18transform_iteratorI7is_evenIsESF_NSA_11use_defaultESK_EENS0_5tupleIJSF_SF_EEENSM_IJSG_SG_EEES6_PlJS6_EEE10hipError_tPvRmT3_T4_T5_T6_T7_T9_mT8_P12ihipStream_tbDpT10_ENKUlT_T0_E_clISt17integral_constantIbLb0EES19_EEDaS14_S15_EUlS14_E_NS1_11comp_targetILNS1_3genE0ELNS1_11target_archE4294967295ELNS1_3gpuE0ELNS1_3repE0EEENS1_30default_config_static_selectorELNS0_4arch9wavefront6targetE1EEEvT1_,comdat
	.protected	_ZN7rocprim17ROCPRIM_400000_NS6detail17trampoline_kernelINS0_14default_configENS1_25partition_config_selectorILNS1_17partition_subalgoE1EsNS0_10empty_typeEbEEZZNS1_14partition_implILS5_1ELb0ES3_jN6thrust23THRUST_200600_302600_NS6detail15normal_iteratorINSA_10device_ptrIsEEEEPS6_NSA_18transform_iteratorI7is_evenIsESF_NSA_11use_defaultESK_EENS0_5tupleIJSF_SF_EEENSM_IJSG_SG_EEES6_PlJS6_EEE10hipError_tPvRmT3_T4_T5_T6_T7_T9_mT8_P12ihipStream_tbDpT10_ENKUlT_T0_E_clISt17integral_constantIbLb0EES19_EEDaS14_S15_EUlS14_E_NS1_11comp_targetILNS1_3genE0ELNS1_11target_archE4294967295ELNS1_3gpuE0ELNS1_3repE0EEENS1_30default_config_static_selectorELNS0_4arch9wavefront6targetE1EEEvT1_ ; -- Begin function _ZN7rocprim17ROCPRIM_400000_NS6detail17trampoline_kernelINS0_14default_configENS1_25partition_config_selectorILNS1_17partition_subalgoE1EsNS0_10empty_typeEbEEZZNS1_14partition_implILS5_1ELb0ES3_jN6thrust23THRUST_200600_302600_NS6detail15normal_iteratorINSA_10device_ptrIsEEEEPS6_NSA_18transform_iteratorI7is_evenIsESF_NSA_11use_defaultESK_EENS0_5tupleIJSF_SF_EEENSM_IJSG_SG_EEES6_PlJS6_EEE10hipError_tPvRmT3_T4_T5_T6_T7_T9_mT8_P12ihipStream_tbDpT10_ENKUlT_T0_E_clISt17integral_constantIbLb0EES19_EEDaS14_S15_EUlS14_E_NS1_11comp_targetILNS1_3genE0ELNS1_11target_archE4294967295ELNS1_3gpuE0ELNS1_3repE0EEENS1_30default_config_static_selectorELNS0_4arch9wavefront6targetE1EEEvT1_
	.globl	_ZN7rocprim17ROCPRIM_400000_NS6detail17trampoline_kernelINS0_14default_configENS1_25partition_config_selectorILNS1_17partition_subalgoE1EsNS0_10empty_typeEbEEZZNS1_14partition_implILS5_1ELb0ES3_jN6thrust23THRUST_200600_302600_NS6detail15normal_iteratorINSA_10device_ptrIsEEEEPS6_NSA_18transform_iteratorI7is_evenIsESF_NSA_11use_defaultESK_EENS0_5tupleIJSF_SF_EEENSM_IJSG_SG_EEES6_PlJS6_EEE10hipError_tPvRmT3_T4_T5_T6_T7_T9_mT8_P12ihipStream_tbDpT10_ENKUlT_T0_E_clISt17integral_constantIbLb0EES19_EEDaS14_S15_EUlS14_E_NS1_11comp_targetILNS1_3genE0ELNS1_11target_archE4294967295ELNS1_3gpuE0ELNS1_3repE0EEENS1_30default_config_static_selectorELNS0_4arch9wavefront6targetE1EEEvT1_
	.p2align	8
	.type	_ZN7rocprim17ROCPRIM_400000_NS6detail17trampoline_kernelINS0_14default_configENS1_25partition_config_selectorILNS1_17partition_subalgoE1EsNS0_10empty_typeEbEEZZNS1_14partition_implILS5_1ELb0ES3_jN6thrust23THRUST_200600_302600_NS6detail15normal_iteratorINSA_10device_ptrIsEEEEPS6_NSA_18transform_iteratorI7is_evenIsESF_NSA_11use_defaultESK_EENS0_5tupleIJSF_SF_EEENSM_IJSG_SG_EEES6_PlJS6_EEE10hipError_tPvRmT3_T4_T5_T6_T7_T9_mT8_P12ihipStream_tbDpT10_ENKUlT_T0_E_clISt17integral_constantIbLb0EES19_EEDaS14_S15_EUlS14_E_NS1_11comp_targetILNS1_3genE0ELNS1_11target_archE4294967295ELNS1_3gpuE0ELNS1_3repE0EEENS1_30default_config_static_selectorELNS0_4arch9wavefront6targetE1EEEvT1_,@function
_ZN7rocprim17ROCPRIM_400000_NS6detail17trampoline_kernelINS0_14default_configENS1_25partition_config_selectorILNS1_17partition_subalgoE1EsNS0_10empty_typeEbEEZZNS1_14partition_implILS5_1ELb0ES3_jN6thrust23THRUST_200600_302600_NS6detail15normal_iteratorINSA_10device_ptrIsEEEEPS6_NSA_18transform_iteratorI7is_evenIsESF_NSA_11use_defaultESK_EENS0_5tupleIJSF_SF_EEENSM_IJSG_SG_EEES6_PlJS6_EEE10hipError_tPvRmT3_T4_T5_T6_T7_T9_mT8_P12ihipStream_tbDpT10_ENKUlT_T0_E_clISt17integral_constantIbLb0EES19_EEDaS14_S15_EUlS14_E_NS1_11comp_targetILNS1_3genE0ELNS1_11target_archE4294967295ELNS1_3gpuE0ELNS1_3repE0EEENS1_30default_config_static_selectorELNS0_4arch9wavefront6targetE1EEEvT1_: ; @_ZN7rocprim17ROCPRIM_400000_NS6detail17trampoline_kernelINS0_14default_configENS1_25partition_config_selectorILNS1_17partition_subalgoE1EsNS0_10empty_typeEbEEZZNS1_14partition_implILS5_1ELb0ES3_jN6thrust23THRUST_200600_302600_NS6detail15normal_iteratorINSA_10device_ptrIsEEEEPS6_NSA_18transform_iteratorI7is_evenIsESF_NSA_11use_defaultESK_EENS0_5tupleIJSF_SF_EEENSM_IJSG_SG_EEES6_PlJS6_EEE10hipError_tPvRmT3_T4_T5_T6_T7_T9_mT8_P12ihipStream_tbDpT10_ENKUlT_T0_E_clISt17integral_constantIbLb0EES19_EEDaS14_S15_EUlS14_E_NS1_11comp_targetILNS1_3genE0ELNS1_11target_archE4294967295ELNS1_3gpuE0ELNS1_3repE0EEENS1_30default_config_static_selectorELNS0_4arch9wavefront6targetE1EEEvT1_
; %bb.0:
	.section	.rodata,"a",@progbits
	.p2align	6, 0x0
	.amdhsa_kernel _ZN7rocprim17ROCPRIM_400000_NS6detail17trampoline_kernelINS0_14default_configENS1_25partition_config_selectorILNS1_17partition_subalgoE1EsNS0_10empty_typeEbEEZZNS1_14partition_implILS5_1ELb0ES3_jN6thrust23THRUST_200600_302600_NS6detail15normal_iteratorINSA_10device_ptrIsEEEEPS6_NSA_18transform_iteratorI7is_evenIsESF_NSA_11use_defaultESK_EENS0_5tupleIJSF_SF_EEENSM_IJSG_SG_EEES6_PlJS6_EEE10hipError_tPvRmT3_T4_T5_T6_T7_T9_mT8_P12ihipStream_tbDpT10_ENKUlT_T0_E_clISt17integral_constantIbLb0EES19_EEDaS14_S15_EUlS14_E_NS1_11comp_targetILNS1_3genE0ELNS1_11target_archE4294967295ELNS1_3gpuE0ELNS1_3repE0EEENS1_30default_config_static_selectorELNS0_4arch9wavefront6targetE1EEEvT1_
		.amdhsa_group_segment_fixed_size 0
		.amdhsa_private_segment_fixed_size 0
		.amdhsa_kernarg_size 128
		.amdhsa_user_sgpr_count 6
		.amdhsa_user_sgpr_private_segment_buffer 1
		.amdhsa_user_sgpr_dispatch_ptr 0
		.amdhsa_user_sgpr_queue_ptr 0
		.amdhsa_user_sgpr_kernarg_segment_ptr 1
		.amdhsa_user_sgpr_dispatch_id 0
		.amdhsa_user_sgpr_flat_scratch_init 0
		.amdhsa_user_sgpr_kernarg_preload_length 0
		.amdhsa_user_sgpr_kernarg_preload_offset 0
		.amdhsa_user_sgpr_private_segment_size 0
		.amdhsa_uses_dynamic_stack 0
		.amdhsa_system_sgpr_private_segment_wavefront_offset 0
		.amdhsa_system_sgpr_workgroup_id_x 1
		.amdhsa_system_sgpr_workgroup_id_y 0
		.amdhsa_system_sgpr_workgroup_id_z 0
		.amdhsa_system_sgpr_workgroup_info 0
		.amdhsa_system_vgpr_workitem_id 0
		.amdhsa_next_free_vgpr 1
		.amdhsa_next_free_sgpr 0
		.amdhsa_accum_offset 4
		.amdhsa_reserve_vcc 0
		.amdhsa_reserve_flat_scratch 0
		.amdhsa_float_round_mode_32 0
		.amdhsa_float_round_mode_16_64 0
		.amdhsa_float_denorm_mode_32 3
		.amdhsa_float_denorm_mode_16_64 3
		.amdhsa_dx10_clamp 1
		.amdhsa_ieee_mode 1
		.amdhsa_fp16_overflow 0
		.amdhsa_tg_split 0
		.amdhsa_exception_fp_ieee_invalid_op 0
		.amdhsa_exception_fp_denorm_src 0
		.amdhsa_exception_fp_ieee_div_zero 0
		.amdhsa_exception_fp_ieee_overflow 0
		.amdhsa_exception_fp_ieee_underflow 0
		.amdhsa_exception_fp_ieee_inexact 0
		.amdhsa_exception_int_div_zero 0
	.end_amdhsa_kernel
	.section	.text._ZN7rocprim17ROCPRIM_400000_NS6detail17trampoline_kernelINS0_14default_configENS1_25partition_config_selectorILNS1_17partition_subalgoE1EsNS0_10empty_typeEbEEZZNS1_14partition_implILS5_1ELb0ES3_jN6thrust23THRUST_200600_302600_NS6detail15normal_iteratorINSA_10device_ptrIsEEEEPS6_NSA_18transform_iteratorI7is_evenIsESF_NSA_11use_defaultESK_EENS0_5tupleIJSF_SF_EEENSM_IJSG_SG_EEES6_PlJS6_EEE10hipError_tPvRmT3_T4_T5_T6_T7_T9_mT8_P12ihipStream_tbDpT10_ENKUlT_T0_E_clISt17integral_constantIbLb0EES19_EEDaS14_S15_EUlS14_E_NS1_11comp_targetILNS1_3genE0ELNS1_11target_archE4294967295ELNS1_3gpuE0ELNS1_3repE0EEENS1_30default_config_static_selectorELNS0_4arch9wavefront6targetE1EEEvT1_,"axG",@progbits,_ZN7rocprim17ROCPRIM_400000_NS6detail17trampoline_kernelINS0_14default_configENS1_25partition_config_selectorILNS1_17partition_subalgoE1EsNS0_10empty_typeEbEEZZNS1_14partition_implILS5_1ELb0ES3_jN6thrust23THRUST_200600_302600_NS6detail15normal_iteratorINSA_10device_ptrIsEEEEPS6_NSA_18transform_iteratorI7is_evenIsESF_NSA_11use_defaultESK_EENS0_5tupleIJSF_SF_EEENSM_IJSG_SG_EEES6_PlJS6_EEE10hipError_tPvRmT3_T4_T5_T6_T7_T9_mT8_P12ihipStream_tbDpT10_ENKUlT_T0_E_clISt17integral_constantIbLb0EES19_EEDaS14_S15_EUlS14_E_NS1_11comp_targetILNS1_3genE0ELNS1_11target_archE4294967295ELNS1_3gpuE0ELNS1_3repE0EEENS1_30default_config_static_selectorELNS0_4arch9wavefront6targetE1EEEvT1_,comdat
.Lfunc_end449:
	.size	_ZN7rocprim17ROCPRIM_400000_NS6detail17trampoline_kernelINS0_14default_configENS1_25partition_config_selectorILNS1_17partition_subalgoE1EsNS0_10empty_typeEbEEZZNS1_14partition_implILS5_1ELb0ES3_jN6thrust23THRUST_200600_302600_NS6detail15normal_iteratorINSA_10device_ptrIsEEEEPS6_NSA_18transform_iteratorI7is_evenIsESF_NSA_11use_defaultESK_EENS0_5tupleIJSF_SF_EEENSM_IJSG_SG_EEES6_PlJS6_EEE10hipError_tPvRmT3_T4_T5_T6_T7_T9_mT8_P12ihipStream_tbDpT10_ENKUlT_T0_E_clISt17integral_constantIbLb0EES19_EEDaS14_S15_EUlS14_E_NS1_11comp_targetILNS1_3genE0ELNS1_11target_archE4294967295ELNS1_3gpuE0ELNS1_3repE0EEENS1_30default_config_static_selectorELNS0_4arch9wavefront6targetE1EEEvT1_, .Lfunc_end449-_ZN7rocprim17ROCPRIM_400000_NS6detail17trampoline_kernelINS0_14default_configENS1_25partition_config_selectorILNS1_17partition_subalgoE1EsNS0_10empty_typeEbEEZZNS1_14partition_implILS5_1ELb0ES3_jN6thrust23THRUST_200600_302600_NS6detail15normal_iteratorINSA_10device_ptrIsEEEEPS6_NSA_18transform_iteratorI7is_evenIsESF_NSA_11use_defaultESK_EENS0_5tupleIJSF_SF_EEENSM_IJSG_SG_EEES6_PlJS6_EEE10hipError_tPvRmT3_T4_T5_T6_T7_T9_mT8_P12ihipStream_tbDpT10_ENKUlT_T0_E_clISt17integral_constantIbLb0EES19_EEDaS14_S15_EUlS14_E_NS1_11comp_targetILNS1_3genE0ELNS1_11target_archE4294967295ELNS1_3gpuE0ELNS1_3repE0EEENS1_30default_config_static_selectorELNS0_4arch9wavefront6targetE1EEEvT1_
                                        ; -- End function
	.section	.AMDGPU.csdata,"",@progbits
; Kernel info:
; codeLenInByte = 0
; NumSgprs: 4
; NumVgprs: 0
; NumAgprs: 0
; TotalNumVgprs: 0
; ScratchSize: 0
; MemoryBound: 0
; FloatMode: 240
; IeeeMode: 1
; LDSByteSize: 0 bytes/workgroup (compile time only)
; SGPRBlocks: 0
; VGPRBlocks: 0
; NumSGPRsForWavesPerEU: 4
; NumVGPRsForWavesPerEU: 1
; AccumOffset: 4
; Occupancy: 8
; WaveLimiterHint : 0
; COMPUTE_PGM_RSRC2:SCRATCH_EN: 0
; COMPUTE_PGM_RSRC2:USER_SGPR: 6
; COMPUTE_PGM_RSRC2:TRAP_HANDLER: 0
; COMPUTE_PGM_RSRC2:TGID_X_EN: 1
; COMPUTE_PGM_RSRC2:TGID_Y_EN: 0
; COMPUTE_PGM_RSRC2:TGID_Z_EN: 0
; COMPUTE_PGM_RSRC2:TIDIG_COMP_CNT: 0
; COMPUTE_PGM_RSRC3_GFX90A:ACCUM_OFFSET: 0
; COMPUTE_PGM_RSRC3_GFX90A:TG_SPLIT: 0
	.section	.text._ZN7rocprim17ROCPRIM_400000_NS6detail17trampoline_kernelINS0_14default_configENS1_25partition_config_selectorILNS1_17partition_subalgoE1EsNS0_10empty_typeEbEEZZNS1_14partition_implILS5_1ELb0ES3_jN6thrust23THRUST_200600_302600_NS6detail15normal_iteratorINSA_10device_ptrIsEEEEPS6_NSA_18transform_iteratorI7is_evenIsESF_NSA_11use_defaultESK_EENS0_5tupleIJSF_SF_EEENSM_IJSG_SG_EEES6_PlJS6_EEE10hipError_tPvRmT3_T4_T5_T6_T7_T9_mT8_P12ihipStream_tbDpT10_ENKUlT_T0_E_clISt17integral_constantIbLb0EES19_EEDaS14_S15_EUlS14_E_NS1_11comp_targetILNS1_3genE5ELNS1_11target_archE942ELNS1_3gpuE9ELNS1_3repE0EEENS1_30default_config_static_selectorELNS0_4arch9wavefront6targetE1EEEvT1_,"axG",@progbits,_ZN7rocprim17ROCPRIM_400000_NS6detail17trampoline_kernelINS0_14default_configENS1_25partition_config_selectorILNS1_17partition_subalgoE1EsNS0_10empty_typeEbEEZZNS1_14partition_implILS5_1ELb0ES3_jN6thrust23THRUST_200600_302600_NS6detail15normal_iteratorINSA_10device_ptrIsEEEEPS6_NSA_18transform_iteratorI7is_evenIsESF_NSA_11use_defaultESK_EENS0_5tupleIJSF_SF_EEENSM_IJSG_SG_EEES6_PlJS6_EEE10hipError_tPvRmT3_T4_T5_T6_T7_T9_mT8_P12ihipStream_tbDpT10_ENKUlT_T0_E_clISt17integral_constantIbLb0EES19_EEDaS14_S15_EUlS14_E_NS1_11comp_targetILNS1_3genE5ELNS1_11target_archE942ELNS1_3gpuE9ELNS1_3repE0EEENS1_30default_config_static_selectorELNS0_4arch9wavefront6targetE1EEEvT1_,comdat
	.protected	_ZN7rocprim17ROCPRIM_400000_NS6detail17trampoline_kernelINS0_14default_configENS1_25partition_config_selectorILNS1_17partition_subalgoE1EsNS0_10empty_typeEbEEZZNS1_14partition_implILS5_1ELb0ES3_jN6thrust23THRUST_200600_302600_NS6detail15normal_iteratorINSA_10device_ptrIsEEEEPS6_NSA_18transform_iteratorI7is_evenIsESF_NSA_11use_defaultESK_EENS0_5tupleIJSF_SF_EEENSM_IJSG_SG_EEES6_PlJS6_EEE10hipError_tPvRmT3_T4_T5_T6_T7_T9_mT8_P12ihipStream_tbDpT10_ENKUlT_T0_E_clISt17integral_constantIbLb0EES19_EEDaS14_S15_EUlS14_E_NS1_11comp_targetILNS1_3genE5ELNS1_11target_archE942ELNS1_3gpuE9ELNS1_3repE0EEENS1_30default_config_static_selectorELNS0_4arch9wavefront6targetE1EEEvT1_ ; -- Begin function _ZN7rocprim17ROCPRIM_400000_NS6detail17trampoline_kernelINS0_14default_configENS1_25partition_config_selectorILNS1_17partition_subalgoE1EsNS0_10empty_typeEbEEZZNS1_14partition_implILS5_1ELb0ES3_jN6thrust23THRUST_200600_302600_NS6detail15normal_iteratorINSA_10device_ptrIsEEEEPS6_NSA_18transform_iteratorI7is_evenIsESF_NSA_11use_defaultESK_EENS0_5tupleIJSF_SF_EEENSM_IJSG_SG_EEES6_PlJS6_EEE10hipError_tPvRmT3_T4_T5_T6_T7_T9_mT8_P12ihipStream_tbDpT10_ENKUlT_T0_E_clISt17integral_constantIbLb0EES19_EEDaS14_S15_EUlS14_E_NS1_11comp_targetILNS1_3genE5ELNS1_11target_archE942ELNS1_3gpuE9ELNS1_3repE0EEENS1_30default_config_static_selectorELNS0_4arch9wavefront6targetE1EEEvT1_
	.globl	_ZN7rocprim17ROCPRIM_400000_NS6detail17trampoline_kernelINS0_14default_configENS1_25partition_config_selectorILNS1_17partition_subalgoE1EsNS0_10empty_typeEbEEZZNS1_14partition_implILS5_1ELb0ES3_jN6thrust23THRUST_200600_302600_NS6detail15normal_iteratorINSA_10device_ptrIsEEEEPS6_NSA_18transform_iteratorI7is_evenIsESF_NSA_11use_defaultESK_EENS0_5tupleIJSF_SF_EEENSM_IJSG_SG_EEES6_PlJS6_EEE10hipError_tPvRmT3_T4_T5_T6_T7_T9_mT8_P12ihipStream_tbDpT10_ENKUlT_T0_E_clISt17integral_constantIbLb0EES19_EEDaS14_S15_EUlS14_E_NS1_11comp_targetILNS1_3genE5ELNS1_11target_archE942ELNS1_3gpuE9ELNS1_3repE0EEENS1_30default_config_static_selectorELNS0_4arch9wavefront6targetE1EEEvT1_
	.p2align	8
	.type	_ZN7rocprim17ROCPRIM_400000_NS6detail17trampoline_kernelINS0_14default_configENS1_25partition_config_selectorILNS1_17partition_subalgoE1EsNS0_10empty_typeEbEEZZNS1_14partition_implILS5_1ELb0ES3_jN6thrust23THRUST_200600_302600_NS6detail15normal_iteratorINSA_10device_ptrIsEEEEPS6_NSA_18transform_iteratorI7is_evenIsESF_NSA_11use_defaultESK_EENS0_5tupleIJSF_SF_EEENSM_IJSG_SG_EEES6_PlJS6_EEE10hipError_tPvRmT3_T4_T5_T6_T7_T9_mT8_P12ihipStream_tbDpT10_ENKUlT_T0_E_clISt17integral_constantIbLb0EES19_EEDaS14_S15_EUlS14_E_NS1_11comp_targetILNS1_3genE5ELNS1_11target_archE942ELNS1_3gpuE9ELNS1_3repE0EEENS1_30default_config_static_selectorELNS0_4arch9wavefront6targetE1EEEvT1_,@function
_ZN7rocprim17ROCPRIM_400000_NS6detail17trampoline_kernelINS0_14default_configENS1_25partition_config_selectorILNS1_17partition_subalgoE1EsNS0_10empty_typeEbEEZZNS1_14partition_implILS5_1ELb0ES3_jN6thrust23THRUST_200600_302600_NS6detail15normal_iteratorINSA_10device_ptrIsEEEEPS6_NSA_18transform_iteratorI7is_evenIsESF_NSA_11use_defaultESK_EENS0_5tupleIJSF_SF_EEENSM_IJSG_SG_EEES6_PlJS6_EEE10hipError_tPvRmT3_T4_T5_T6_T7_T9_mT8_P12ihipStream_tbDpT10_ENKUlT_T0_E_clISt17integral_constantIbLb0EES19_EEDaS14_S15_EUlS14_E_NS1_11comp_targetILNS1_3genE5ELNS1_11target_archE942ELNS1_3gpuE9ELNS1_3repE0EEENS1_30default_config_static_selectorELNS0_4arch9wavefront6targetE1EEEvT1_: ; @_ZN7rocprim17ROCPRIM_400000_NS6detail17trampoline_kernelINS0_14default_configENS1_25partition_config_selectorILNS1_17partition_subalgoE1EsNS0_10empty_typeEbEEZZNS1_14partition_implILS5_1ELb0ES3_jN6thrust23THRUST_200600_302600_NS6detail15normal_iteratorINSA_10device_ptrIsEEEEPS6_NSA_18transform_iteratorI7is_evenIsESF_NSA_11use_defaultESK_EENS0_5tupleIJSF_SF_EEENSM_IJSG_SG_EEES6_PlJS6_EEE10hipError_tPvRmT3_T4_T5_T6_T7_T9_mT8_P12ihipStream_tbDpT10_ENKUlT_T0_E_clISt17integral_constantIbLb0EES19_EEDaS14_S15_EUlS14_E_NS1_11comp_targetILNS1_3genE5ELNS1_11target_archE942ELNS1_3gpuE9ELNS1_3repE0EEENS1_30default_config_static_selectorELNS0_4arch9wavefront6targetE1EEEvT1_
; %bb.0:
	.section	.rodata,"a",@progbits
	.p2align	6, 0x0
	.amdhsa_kernel _ZN7rocprim17ROCPRIM_400000_NS6detail17trampoline_kernelINS0_14default_configENS1_25partition_config_selectorILNS1_17partition_subalgoE1EsNS0_10empty_typeEbEEZZNS1_14partition_implILS5_1ELb0ES3_jN6thrust23THRUST_200600_302600_NS6detail15normal_iteratorINSA_10device_ptrIsEEEEPS6_NSA_18transform_iteratorI7is_evenIsESF_NSA_11use_defaultESK_EENS0_5tupleIJSF_SF_EEENSM_IJSG_SG_EEES6_PlJS6_EEE10hipError_tPvRmT3_T4_T5_T6_T7_T9_mT8_P12ihipStream_tbDpT10_ENKUlT_T0_E_clISt17integral_constantIbLb0EES19_EEDaS14_S15_EUlS14_E_NS1_11comp_targetILNS1_3genE5ELNS1_11target_archE942ELNS1_3gpuE9ELNS1_3repE0EEENS1_30default_config_static_selectorELNS0_4arch9wavefront6targetE1EEEvT1_
		.amdhsa_group_segment_fixed_size 0
		.amdhsa_private_segment_fixed_size 0
		.amdhsa_kernarg_size 128
		.amdhsa_user_sgpr_count 6
		.amdhsa_user_sgpr_private_segment_buffer 1
		.amdhsa_user_sgpr_dispatch_ptr 0
		.amdhsa_user_sgpr_queue_ptr 0
		.amdhsa_user_sgpr_kernarg_segment_ptr 1
		.amdhsa_user_sgpr_dispatch_id 0
		.amdhsa_user_sgpr_flat_scratch_init 0
		.amdhsa_user_sgpr_kernarg_preload_length 0
		.amdhsa_user_sgpr_kernarg_preload_offset 0
		.amdhsa_user_sgpr_private_segment_size 0
		.amdhsa_uses_dynamic_stack 0
		.amdhsa_system_sgpr_private_segment_wavefront_offset 0
		.amdhsa_system_sgpr_workgroup_id_x 1
		.amdhsa_system_sgpr_workgroup_id_y 0
		.amdhsa_system_sgpr_workgroup_id_z 0
		.amdhsa_system_sgpr_workgroup_info 0
		.amdhsa_system_vgpr_workitem_id 0
		.amdhsa_next_free_vgpr 1
		.amdhsa_next_free_sgpr 0
		.amdhsa_accum_offset 4
		.amdhsa_reserve_vcc 0
		.amdhsa_reserve_flat_scratch 0
		.amdhsa_float_round_mode_32 0
		.amdhsa_float_round_mode_16_64 0
		.amdhsa_float_denorm_mode_32 3
		.amdhsa_float_denorm_mode_16_64 3
		.amdhsa_dx10_clamp 1
		.amdhsa_ieee_mode 1
		.amdhsa_fp16_overflow 0
		.amdhsa_tg_split 0
		.amdhsa_exception_fp_ieee_invalid_op 0
		.amdhsa_exception_fp_denorm_src 0
		.amdhsa_exception_fp_ieee_div_zero 0
		.amdhsa_exception_fp_ieee_overflow 0
		.amdhsa_exception_fp_ieee_underflow 0
		.amdhsa_exception_fp_ieee_inexact 0
		.amdhsa_exception_int_div_zero 0
	.end_amdhsa_kernel
	.section	.text._ZN7rocprim17ROCPRIM_400000_NS6detail17trampoline_kernelINS0_14default_configENS1_25partition_config_selectorILNS1_17partition_subalgoE1EsNS0_10empty_typeEbEEZZNS1_14partition_implILS5_1ELb0ES3_jN6thrust23THRUST_200600_302600_NS6detail15normal_iteratorINSA_10device_ptrIsEEEEPS6_NSA_18transform_iteratorI7is_evenIsESF_NSA_11use_defaultESK_EENS0_5tupleIJSF_SF_EEENSM_IJSG_SG_EEES6_PlJS6_EEE10hipError_tPvRmT3_T4_T5_T6_T7_T9_mT8_P12ihipStream_tbDpT10_ENKUlT_T0_E_clISt17integral_constantIbLb0EES19_EEDaS14_S15_EUlS14_E_NS1_11comp_targetILNS1_3genE5ELNS1_11target_archE942ELNS1_3gpuE9ELNS1_3repE0EEENS1_30default_config_static_selectorELNS0_4arch9wavefront6targetE1EEEvT1_,"axG",@progbits,_ZN7rocprim17ROCPRIM_400000_NS6detail17trampoline_kernelINS0_14default_configENS1_25partition_config_selectorILNS1_17partition_subalgoE1EsNS0_10empty_typeEbEEZZNS1_14partition_implILS5_1ELb0ES3_jN6thrust23THRUST_200600_302600_NS6detail15normal_iteratorINSA_10device_ptrIsEEEEPS6_NSA_18transform_iteratorI7is_evenIsESF_NSA_11use_defaultESK_EENS0_5tupleIJSF_SF_EEENSM_IJSG_SG_EEES6_PlJS6_EEE10hipError_tPvRmT3_T4_T5_T6_T7_T9_mT8_P12ihipStream_tbDpT10_ENKUlT_T0_E_clISt17integral_constantIbLb0EES19_EEDaS14_S15_EUlS14_E_NS1_11comp_targetILNS1_3genE5ELNS1_11target_archE942ELNS1_3gpuE9ELNS1_3repE0EEENS1_30default_config_static_selectorELNS0_4arch9wavefront6targetE1EEEvT1_,comdat
.Lfunc_end450:
	.size	_ZN7rocprim17ROCPRIM_400000_NS6detail17trampoline_kernelINS0_14default_configENS1_25partition_config_selectorILNS1_17partition_subalgoE1EsNS0_10empty_typeEbEEZZNS1_14partition_implILS5_1ELb0ES3_jN6thrust23THRUST_200600_302600_NS6detail15normal_iteratorINSA_10device_ptrIsEEEEPS6_NSA_18transform_iteratorI7is_evenIsESF_NSA_11use_defaultESK_EENS0_5tupleIJSF_SF_EEENSM_IJSG_SG_EEES6_PlJS6_EEE10hipError_tPvRmT3_T4_T5_T6_T7_T9_mT8_P12ihipStream_tbDpT10_ENKUlT_T0_E_clISt17integral_constantIbLb0EES19_EEDaS14_S15_EUlS14_E_NS1_11comp_targetILNS1_3genE5ELNS1_11target_archE942ELNS1_3gpuE9ELNS1_3repE0EEENS1_30default_config_static_selectorELNS0_4arch9wavefront6targetE1EEEvT1_, .Lfunc_end450-_ZN7rocprim17ROCPRIM_400000_NS6detail17trampoline_kernelINS0_14default_configENS1_25partition_config_selectorILNS1_17partition_subalgoE1EsNS0_10empty_typeEbEEZZNS1_14partition_implILS5_1ELb0ES3_jN6thrust23THRUST_200600_302600_NS6detail15normal_iteratorINSA_10device_ptrIsEEEEPS6_NSA_18transform_iteratorI7is_evenIsESF_NSA_11use_defaultESK_EENS0_5tupleIJSF_SF_EEENSM_IJSG_SG_EEES6_PlJS6_EEE10hipError_tPvRmT3_T4_T5_T6_T7_T9_mT8_P12ihipStream_tbDpT10_ENKUlT_T0_E_clISt17integral_constantIbLb0EES19_EEDaS14_S15_EUlS14_E_NS1_11comp_targetILNS1_3genE5ELNS1_11target_archE942ELNS1_3gpuE9ELNS1_3repE0EEENS1_30default_config_static_selectorELNS0_4arch9wavefront6targetE1EEEvT1_
                                        ; -- End function
	.section	.AMDGPU.csdata,"",@progbits
; Kernel info:
; codeLenInByte = 0
; NumSgprs: 4
; NumVgprs: 0
; NumAgprs: 0
; TotalNumVgprs: 0
; ScratchSize: 0
; MemoryBound: 0
; FloatMode: 240
; IeeeMode: 1
; LDSByteSize: 0 bytes/workgroup (compile time only)
; SGPRBlocks: 0
; VGPRBlocks: 0
; NumSGPRsForWavesPerEU: 4
; NumVGPRsForWavesPerEU: 1
; AccumOffset: 4
; Occupancy: 8
; WaveLimiterHint : 0
; COMPUTE_PGM_RSRC2:SCRATCH_EN: 0
; COMPUTE_PGM_RSRC2:USER_SGPR: 6
; COMPUTE_PGM_RSRC2:TRAP_HANDLER: 0
; COMPUTE_PGM_RSRC2:TGID_X_EN: 1
; COMPUTE_PGM_RSRC2:TGID_Y_EN: 0
; COMPUTE_PGM_RSRC2:TGID_Z_EN: 0
; COMPUTE_PGM_RSRC2:TIDIG_COMP_CNT: 0
; COMPUTE_PGM_RSRC3_GFX90A:ACCUM_OFFSET: 0
; COMPUTE_PGM_RSRC3_GFX90A:TG_SPLIT: 0
	.section	.text._ZN7rocprim17ROCPRIM_400000_NS6detail17trampoline_kernelINS0_14default_configENS1_25partition_config_selectorILNS1_17partition_subalgoE1EsNS0_10empty_typeEbEEZZNS1_14partition_implILS5_1ELb0ES3_jN6thrust23THRUST_200600_302600_NS6detail15normal_iteratorINSA_10device_ptrIsEEEEPS6_NSA_18transform_iteratorI7is_evenIsESF_NSA_11use_defaultESK_EENS0_5tupleIJSF_SF_EEENSM_IJSG_SG_EEES6_PlJS6_EEE10hipError_tPvRmT3_T4_T5_T6_T7_T9_mT8_P12ihipStream_tbDpT10_ENKUlT_T0_E_clISt17integral_constantIbLb0EES19_EEDaS14_S15_EUlS14_E_NS1_11comp_targetILNS1_3genE4ELNS1_11target_archE910ELNS1_3gpuE8ELNS1_3repE0EEENS1_30default_config_static_selectorELNS0_4arch9wavefront6targetE1EEEvT1_,"axG",@progbits,_ZN7rocprim17ROCPRIM_400000_NS6detail17trampoline_kernelINS0_14default_configENS1_25partition_config_selectorILNS1_17partition_subalgoE1EsNS0_10empty_typeEbEEZZNS1_14partition_implILS5_1ELb0ES3_jN6thrust23THRUST_200600_302600_NS6detail15normal_iteratorINSA_10device_ptrIsEEEEPS6_NSA_18transform_iteratorI7is_evenIsESF_NSA_11use_defaultESK_EENS0_5tupleIJSF_SF_EEENSM_IJSG_SG_EEES6_PlJS6_EEE10hipError_tPvRmT3_T4_T5_T6_T7_T9_mT8_P12ihipStream_tbDpT10_ENKUlT_T0_E_clISt17integral_constantIbLb0EES19_EEDaS14_S15_EUlS14_E_NS1_11comp_targetILNS1_3genE4ELNS1_11target_archE910ELNS1_3gpuE8ELNS1_3repE0EEENS1_30default_config_static_selectorELNS0_4arch9wavefront6targetE1EEEvT1_,comdat
	.protected	_ZN7rocprim17ROCPRIM_400000_NS6detail17trampoline_kernelINS0_14default_configENS1_25partition_config_selectorILNS1_17partition_subalgoE1EsNS0_10empty_typeEbEEZZNS1_14partition_implILS5_1ELb0ES3_jN6thrust23THRUST_200600_302600_NS6detail15normal_iteratorINSA_10device_ptrIsEEEEPS6_NSA_18transform_iteratorI7is_evenIsESF_NSA_11use_defaultESK_EENS0_5tupleIJSF_SF_EEENSM_IJSG_SG_EEES6_PlJS6_EEE10hipError_tPvRmT3_T4_T5_T6_T7_T9_mT8_P12ihipStream_tbDpT10_ENKUlT_T0_E_clISt17integral_constantIbLb0EES19_EEDaS14_S15_EUlS14_E_NS1_11comp_targetILNS1_3genE4ELNS1_11target_archE910ELNS1_3gpuE8ELNS1_3repE0EEENS1_30default_config_static_selectorELNS0_4arch9wavefront6targetE1EEEvT1_ ; -- Begin function _ZN7rocprim17ROCPRIM_400000_NS6detail17trampoline_kernelINS0_14default_configENS1_25partition_config_selectorILNS1_17partition_subalgoE1EsNS0_10empty_typeEbEEZZNS1_14partition_implILS5_1ELb0ES3_jN6thrust23THRUST_200600_302600_NS6detail15normal_iteratorINSA_10device_ptrIsEEEEPS6_NSA_18transform_iteratorI7is_evenIsESF_NSA_11use_defaultESK_EENS0_5tupleIJSF_SF_EEENSM_IJSG_SG_EEES6_PlJS6_EEE10hipError_tPvRmT3_T4_T5_T6_T7_T9_mT8_P12ihipStream_tbDpT10_ENKUlT_T0_E_clISt17integral_constantIbLb0EES19_EEDaS14_S15_EUlS14_E_NS1_11comp_targetILNS1_3genE4ELNS1_11target_archE910ELNS1_3gpuE8ELNS1_3repE0EEENS1_30default_config_static_selectorELNS0_4arch9wavefront6targetE1EEEvT1_
	.globl	_ZN7rocprim17ROCPRIM_400000_NS6detail17trampoline_kernelINS0_14default_configENS1_25partition_config_selectorILNS1_17partition_subalgoE1EsNS0_10empty_typeEbEEZZNS1_14partition_implILS5_1ELb0ES3_jN6thrust23THRUST_200600_302600_NS6detail15normal_iteratorINSA_10device_ptrIsEEEEPS6_NSA_18transform_iteratorI7is_evenIsESF_NSA_11use_defaultESK_EENS0_5tupleIJSF_SF_EEENSM_IJSG_SG_EEES6_PlJS6_EEE10hipError_tPvRmT3_T4_T5_T6_T7_T9_mT8_P12ihipStream_tbDpT10_ENKUlT_T0_E_clISt17integral_constantIbLb0EES19_EEDaS14_S15_EUlS14_E_NS1_11comp_targetILNS1_3genE4ELNS1_11target_archE910ELNS1_3gpuE8ELNS1_3repE0EEENS1_30default_config_static_selectorELNS0_4arch9wavefront6targetE1EEEvT1_
	.p2align	8
	.type	_ZN7rocprim17ROCPRIM_400000_NS6detail17trampoline_kernelINS0_14default_configENS1_25partition_config_selectorILNS1_17partition_subalgoE1EsNS0_10empty_typeEbEEZZNS1_14partition_implILS5_1ELb0ES3_jN6thrust23THRUST_200600_302600_NS6detail15normal_iteratorINSA_10device_ptrIsEEEEPS6_NSA_18transform_iteratorI7is_evenIsESF_NSA_11use_defaultESK_EENS0_5tupleIJSF_SF_EEENSM_IJSG_SG_EEES6_PlJS6_EEE10hipError_tPvRmT3_T4_T5_T6_T7_T9_mT8_P12ihipStream_tbDpT10_ENKUlT_T0_E_clISt17integral_constantIbLb0EES19_EEDaS14_S15_EUlS14_E_NS1_11comp_targetILNS1_3genE4ELNS1_11target_archE910ELNS1_3gpuE8ELNS1_3repE0EEENS1_30default_config_static_selectorELNS0_4arch9wavefront6targetE1EEEvT1_,@function
_ZN7rocprim17ROCPRIM_400000_NS6detail17trampoline_kernelINS0_14default_configENS1_25partition_config_selectorILNS1_17partition_subalgoE1EsNS0_10empty_typeEbEEZZNS1_14partition_implILS5_1ELb0ES3_jN6thrust23THRUST_200600_302600_NS6detail15normal_iteratorINSA_10device_ptrIsEEEEPS6_NSA_18transform_iteratorI7is_evenIsESF_NSA_11use_defaultESK_EENS0_5tupleIJSF_SF_EEENSM_IJSG_SG_EEES6_PlJS6_EEE10hipError_tPvRmT3_T4_T5_T6_T7_T9_mT8_P12ihipStream_tbDpT10_ENKUlT_T0_E_clISt17integral_constantIbLb0EES19_EEDaS14_S15_EUlS14_E_NS1_11comp_targetILNS1_3genE4ELNS1_11target_archE910ELNS1_3gpuE8ELNS1_3repE0EEENS1_30default_config_static_selectorELNS0_4arch9wavefront6targetE1EEEvT1_: ; @_ZN7rocprim17ROCPRIM_400000_NS6detail17trampoline_kernelINS0_14default_configENS1_25partition_config_selectorILNS1_17partition_subalgoE1EsNS0_10empty_typeEbEEZZNS1_14partition_implILS5_1ELb0ES3_jN6thrust23THRUST_200600_302600_NS6detail15normal_iteratorINSA_10device_ptrIsEEEEPS6_NSA_18transform_iteratorI7is_evenIsESF_NSA_11use_defaultESK_EENS0_5tupleIJSF_SF_EEENSM_IJSG_SG_EEES6_PlJS6_EEE10hipError_tPvRmT3_T4_T5_T6_T7_T9_mT8_P12ihipStream_tbDpT10_ENKUlT_T0_E_clISt17integral_constantIbLb0EES19_EEDaS14_S15_EUlS14_E_NS1_11comp_targetILNS1_3genE4ELNS1_11target_archE910ELNS1_3gpuE8ELNS1_3repE0EEENS1_30default_config_static_selectorELNS0_4arch9wavefront6targetE1EEEvT1_
; %bb.0:
	s_load_dwordx2 s[0:1], s[4:5], 0x60
	s_load_dwordx4 s[24:27], s[4:5], 0x8
	s_load_dwordx2 s[2:3], s[4:5], 0x20
	s_load_dwordx4 s[20:23], s[4:5], 0x50
	s_mul_i32 s10, s6, 0x1400
	s_waitcnt lgkmcnt(0)
	v_mov_b32_e32 v3, s1
	s_load_dword s1, s[4:5], 0x78
	s_lshl_b64 s[8:9], s[26:27], 1
	s_add_u32 s7, s24, s8
	s_addc_u32 s12, s25, s9
	v_mov_b32_e32 v2, s0
	s_waitcnt lgkmcnt(0)
	s_add_i32 s13, s1, -1
	s_mulk_i32 s1, 0x1400
	s_add_i32 s11, s1, s26
	s_sub_i32 s33, s0, s11
	s_addk_i32 s33, 0x1400
	s_add_u32 s0, s26, s1
	s_addc_u32 s1, s27, 0
	s_cmp_eq_u32 s6, s13
	s_load_dwordx2 s[30:31], s[22:23], 0x0
	s_cselect_b64 s[22:23], -1, 0
	s_cmp_lg_u32 s6, s13
	s_mov_b32 s11, 0
	v_cmp_lt_u64_e32 vcc, s[0:1], v[2:3]
	s_cselect_b64 s[0:1], -1, 0
	s_or_b64 s[24:25], s[0:1], vcc
	s_lshl_b64 s[28:29], s[10:11], 1
	s_add_u32 s7, s7, s28
	s_addc_u32 s12, s12, s29
	s_mov_b64 s[0:1], -1
	s_and_b64 vcc, exec, s[24:25]
	v_lshlrev_b32_e32 v1, 1, v0
	s_cbranch_vccz .LBB451_2
; %bb.1:
	v_mov_b32_e32 v3, s12
	v_add_co_u32_e32 v2, vcc, s7, v1
	v_addc_co_u32_e32 v3, vcc, 0, v3, vcc
	v_add_co_u32_e32 v4, vcc, 0x1000, v2
	v_addc_co_u32_e32 v5, vcc, 0, v3, vcc
	flat_load_ushort v6, v[2:3]
	flat_load_ushort v7, v[2:3] offset:512
	flat_load_ushort v8, v[2:3] offset:1024
	;; [unrolled: 1-line block ×7, first 2 shown]
	v_add_co_u32_e32 v2, vcc, 0x2000, v2
	v_addc_co_u32_e32 v3, vcc, 0, v3, vcc
	flat_load_ushort v14, v[4:5]
	flat_load_ushort v15, v[4:5] offset:512
	flat_load_ushort v16, v[4:5] offset:1024
	;; [unrolled: 1-line block ×7, first 2 shown]
	s_nop 0
	flat_load_ushort v4, v[2:3]
	flat_load_ushort v5, v[2:3] offset:512
	flat_load_ushort v22, v[2:3] offset:1024
	;; [unrolled: 1-line block ×3, first 2 shown]
	s_mov_b64 s[0:1], 0
	s_waitcnt vmcnt(0) lgkmcnt(0)
	ds_write_b16 v1, v6
	ds_write_b16 v1, v7 offset:512
	ds_write_b16 v1, v8 offset:1024
	;; [unrolled: 1-line block ×19, first 2 shown]
	s_waitcnt lgkmcnt(0)
	s_barrier
.LBB451_2:
	s_andn2_b64 vcc, exec, s[0:1]
	v_cmp_gt_u32_e64 s[0:1], s33, v0
	s_cbranch_vccnz .LBB451_44
; %bb.3:
                                        ; implicit-def: $vgpr2
	s_and_saveexec_b64 s[10:11], s[0:1]
	s_cbranch_execz .LBB451_5
; %bb.4:
	v_mov_b32_e32 v3, s12
	v_add_co_u32_e32 v2, vcc, s7, v1
	v_addc_co_u32_e32 v3, vcc, 0, v3, vcc
	flat_load_ushort v2, v[2:3]
.LBB451_5:
	s_or_b64 exec, exec, s[10:11]
	v_or_b32_e32 v3, 0x100, v0
	v_cmp_gt_u32_e32 vcc, s33, v3
                                        ; implicit-def: $vgpr3
	s_and_saveexec_b64 s[0:1], vcc
	s_cbranch_execz .LBB451_7
; %bb.6:
	v_mov_b32_e32 v3, s12
	v_add_co_u32_e32 v4, vcc, s7, v1
	v_addc_co_u32_e32 v5, vcc, 0, v3, vcc
	flat_load_ushort v3, v[4:5] offset:512
.LBB451_7:
	s_or_b64 exec, exec, s[0:1]
	v_or_b32_e32 v4, 0x200, v0
	v_cmp_gt_u32_e32 vcc, s33, v4
                                        ; implicit-def: $vgpr4
	s_and_saveexec_b64 s[0:1], vcc
	s_cbranch_execz .LBB451_9
; %bb.8:
	v_mov_b32_e32 v5, s12
	v_add_co_u32_e32 v4, vcc, s7, v1
	v_addc_co_u32_e32 v5, vcc, 0, v5, vcc
	flat_load_ushort v4, v[4:5] offset:1024
.LBB451_9:
	s_or_b64 exec, exec, s[0:1]
	v_or_b32_e32 v5, 0x300, v0
	v_cmp_gt_u32_e32 vcc, s33, v5
                                        ; implicit-def: $vgpr5
	s_and_saveexec_b64 s[0:1], vcc
	s_cbranch_execz .LBB451_11
; %bb.10:
	v_mov_b32_e32 v5, s12
	v_add_co_u32_e32 v6, vcc, s7, v1
	v_addc_co_u32_e32 v7, vcc, 0, v5, vcc
	flat_load_ushort v5, v[6:7] offset:1536
.LBB451_11:
	s_or_b64 exec, exec, s[0:1]
	v_or_b32_e32 v6, 0x400, v0
	v_cmp_gt_u32_e32 vcc, s33, v6
                                        ; implicit-def: $vgpr6
	s_and_saveexec_b64 s[0:1], vcc
	s_cbranch_execz .LBB451_13
; %bb.12:
	v_mov_b32_e32 v7, s12
	v_add_co_u32_e32 v6, vcc, s7, v1
	v_addc_co_u32_e32 v7, vcc, 0, v7, vcc
	flat_load_ushort v6, v[6:7] offset:2048
.LBB451_13:
	s_or_b64 exec, exec, s[0:1]
	v_or_b32_e32 v7, 0x500, v0
	v_cmp_gt_u32_e32 vcc, s33, v7
                                        ; implicit-def: $vgpr7
	s_and_saveexec_b64 s[0:1], vcc
	s_cbranch_execz .LBB451_15
; %bb.14:
	v_mov_b32_e32 v7, s12
	v_add_co_u32_e32 v8, vcc, s7, v1
	v_addc_co_u32_e32 v9, vcc, 0, v7, vcc
	flat_load_ushort v7, v[8:9] offset:2560
.LBB451_15:
	s_or_b64 exec, exec, s[0:1]
	v_or_b32_e32 v8, 0x600, v0
	v_cmp_gt_u32_e32 vcc, s33, v8
                                        ; implicit-def: $vgpr8
	s_and_saveexec_b64 s[0:1], vcc
	s_cbranch_execz .LBB451_17
; %bb.16:
	v_mov_b32_e32 v9, s12
	v_add_co_u32_e32 v8, vcc, s7, v1
	v_addc_co_u32_e32 v9, vcc, 0, v9, vcc
	flat_load_ushort v8, v[8:9] offset:3072
.LBB451_17:
	s_or_b64 exec, exec, s[0:1]
	v_or_b32_e32 v9, 0x700, v0
	v_cmp_gt_u32_e32 vcc, s33, v9
                                        ; implicit-def: $vgpr9
	s_and_saveexec_b64 s[0:1], vcc
	s_cbranch_execz .LBB451_19
; %bb.18:
	v_mov_b32_e32 v9, s12
	v_add_co_u32_e32 v10, vcc, s7, v1
	v_addc_co_u32_e32 v11, vcc, 0, v9, vcc
	flat_load_ushort v9, v[10:11] offset:3584
.LBB451_19:
	s_or_b64 exec, exec, s[0:1]
	v_or_b32_e32 v11, 0x800, v0
	v_cmp_gt_u32_e32 vcc, s33, v11
                                        ; implicit-def: $vgpr10
	s_and_saveexec_b64 s[0:1], vcc
	s_cbranch_execz .LBB451_21
; %bb.20:
	v_lshlrev_b32_e32 v10, 1, v11
	v_mov_b32_e32 v11, s12
	v_add_co_u32_e32 v10, vcc, s7, v10
	v_addc_co_u32_e32 v11, vcc, 0, v11, vcc
	flat_load_ushort v10, v[10:11]
.LBB451_21:
	s_or_b64 exec, exec, s[0:1]
	v_or_b32_e32 v12, 0x900, v0
	v_cmp_gt_u32_e32 vcc, s33, v12
                                        ; implicit-def: $vgpr11
	s_and_saveexec_b64 s[0:1], vcc
	s_cbranch_execz .LBB451_23
; %bb.22:
	v_lshlrev_b32_e32 v11, 1, v12
	v_mov_b32_e32 v13, s12
	v_add_co_u32_e32 v12, vcc, s7, v11
	v_addc_co_u32_e32 v13, vcc, 0, v13, vcc
	flat_load_ushort v11, v[12:13]
.LBB451_23:
	s_or_b64 exec, exec, s[0:1]
	v_or_b32_e32 v13, 0xa00, v0
	v_cmp_gt_u32_e32 vcc, s33, v13
                                        ; implicit-def: $vgpr12
	s_and_saveexec_b64 s[0:1], vcc
	s_cbranch_execz .LBB451_25
; %bb.24:
	v_lshlrev_b32_e32 v12, 1, v13
	v_mov_b32_e32 v13, s12
	v_add_co_u32_e32 v12, vcc, s7, v12
	v_addc_co_u32_e32 v13, vcc, 0, v13, vcc
	flat_load_ushort v12, v[12:13]
.LBB451_25:
	s_or_b64 exec, exec, s[0:1]
	v_or_b32_e32 v14, 0xb00, v0
	v_cmp_gt_u32_e32 vcc, s33, v14
                                        ; implicit-def: $vgpr13
	s_and_saveexec_b64 s[0:1], vcc
	s_cbranch_execz .LBB451_27
; %bb.26:
	v_lshlrev_b32_e32 v13, 1, v14
	v_mov_b32_e32 v15, s12
	v_add_co_u32_e32 v14, vcc, s7, v13
	v_addc_co_u32_e32 v15, vcc, 0, v15, vcc
	flat_load_ushort v13, v[14:15]
.LBB451_27:
	s_or_b64 exec, exec, s[0:1]
	v_or_b32_e32 v15, 0xc00, v0
	v_cmp_gt_u32_e32 vcc, s33, v15
                                        ; implicit-def: $vgpr14
	s_and_saveexec_b64 s[0:1], vcc
	s_cbranch_execz .LBB451_29
; %bb.28:
	v_lshlrev_b32_e32 v14, 1, v15
	v_mov_b32_e32 v15, s12
	v_add_co_u32_e32 v14, vcc, s7, v14
	v_addc_co_u32_e32 v15, vcc, 0, v15, vcc
	flat_load_ushort v14, v[14:15]
.LBB451_29:
	s_or_b64 exec, exec, s[0:1]
	v_or_b32_e32 v16, 0xd00, v0
	v_cmp_gt_u32_e32 vcc, s33, v16
                                        ; implicit-def: $vgpr15
	s_and_saveexec_b64 s[0:1], vcc
	s_cbranch_execz .LBB451_31
; %bb.30:
	v_lshlrev_b32_e32 v15, 1, v16
	v_mov_b32_e32 v17, s12
	v_add_co_u32_e32 v16, vcc, s7, v15
	v_addc_co_u32_e32 v17, vcc, 0, v17, vcc
	flat_load_ushort v15, v[16:17]
.LBB451_31:
	s_or_b64 exec, exec, s[0:1]
	v_or_b32_e32 v17, 0xe00, v0
	v_cmp_gt_u32_e32 vcc, s33, v17
                                        ; implicit-def: $vgpr16
	s_and_saveexec_b64 s[0:1], vcc
	s_cbranch_execz .LBB451_33
; %bb.32:
	v_lshlrev_b32_e32 v16, 1, v17
	v_mov_b32_e32 v17, s12
	v_add_co_u32_e32 v16, vcc, s7, v16
	v_addc_co_u32_e32 v17, vcc, 0, v17, vcc
	flat_load_ushort v16, v[16:17]
.LBB451_33:
	s_or_b64 exec, exec, s[0:1]
	v_or_b32_e32 v18, 0xf00, v0
	v_cmp_gt_u32_e32 vcc, s33, v18
                                        ; implicit-def: $vgpr17
	s_and_saveexec_b64 s[0:1], vcc
	s_cbranch_execz .LBB451_35
; %bb.34:
	v_lshlrev_b32_e32 v17, 1, v18
	v_mov_b32_e32 v19, s12
	v_add_co_u32_e32 v18, vcc, s7, v17
	v_addc_co_u32_e32 v19, vcc, 0, v19, vcc
	flat_load_ushort v17, v[18:19]
.LBB451_35:
	s_or_b64 exec, exec, s[0:1]
	v_or_b32_e32 v19, 0x1000, v0
	v_cmp_gt_u32_e32 vcc, s33, v19
                                        ; implicit-def: $vgpr18
	s_and_saveexec_b64 s[0:1], vcc
	s_cbranch_execz .LBB451_37
; %bb.36:
	v_lshlrev_b32_e32 v18, 1, v19
	v_mov_b32_e32 v19, s12
	v_add_co_u32_e32 v18, vcc, s7, v18
	v_addc_co_u32_e32 v19, vcc, 0, v19, vcc
	flat_load_ushort v18, v[18:19]
.LBB451_37:
	s_or_b64 exec, exec, s[0:1]
	v_or_b32_e32 v20, 0x1100, v0
	v_cmp_gt_u32_e32 vcc, s33, v20
                                        ; implicit-def: $vgpr19
	s_and_saveexec_b64 s[0:1], vcc
	s_cbranch_execz .LBB451_39
; %bb.38:
	v_lshlrev_b32_e32 v19, 1, v20
	v_mov_b32_e32 v21, s12
	v_add_co_u32_e32 v20, vcc, s7, v19
	v_addc_co_u32_e32 v21, vcc, 0, v21, vcc
	flat_load_ushort v19, v[20:21]
.LBB451_39:
	s_or_b64 exec, exec, s[0:1]
	v_or_b32_e32 v21, 0x1200, v0
	v_cmp_gt_u32_e32 vcc, s33, v21
                                        ; implicit-def: $vgpr20
	s_and_saveexec_b64 s[0:1], vcc
	s_cbranch_execz .LBB451_41
; %bb.40:
	v_lshlrev_b32_e32 v20, 1, v21
	v_mov_b32_e32 v21, s12
	v_add_co_u32_e32 v20, vcc, s7, v20
	v_addc_co_u32_e32 v21, vcc, 0, v21, vcc
	flat_load_ushort v20, v[20:21]
.LBB451_41:
	s_or_b64 exec, exec, s[0:1]
	v_or_b32_e32 v22, 0x1300, v0
	v_cmp_gt_u32_e32 vcc, s33, v22
                                        ; implicit-def: $vgpr21
	s_and_saveexec_b64 s[0:1], vcc
	s_cbranch_execz .LBB451_43
; %bb.42:
	v_lshlrev_b32_e32 v21, 1, v22
	v_mov_b32_e32 v23, s12
	v_add_co_u32_e32 v22, vcc, s7, v21
	v_addc_co_u32_e32 v23, vcc, 0, v23, vcc
	flat_load_ushort v21, v[22:23]
.LBB451_43:
	s_or_b64 exec, exec, s[0:1]
	s_waitcnt vmcnt(0) lgkmcnt(0)
	ds_write_b16 v1, v2
	ds_write_b16 v1, v3 offset:512
	ds_write_b16 v1, v4 offset:1024
	;; [unrolled: 1-line block ×19, first 2 shown]
	s_waitcnt lgkmcnt(0)
	s_barrier
.LBB451_44:
	v_mul_u32_u24_e32 v26, 20, v0
	v_lshlrev_b32_e32 v6, 1, v26
	s_waitcnt lgkmcnt(0)
	ds_read_b64 v[10:11], v6 offset:32
	ds_read2_b64 v[2:5], v6 offset0:2 offset1:3
	ds_read2_b64 v[6:9], v6 offset1:1
	s_add_u32 s0, s2, s8
	s_addc_u32 s1, s3, s9
	s_add_u32 s0, s0, s28
	s_addc_u32 s1, s1, s29
	s_mov_b64 s[2:3], -1
	s_and_b64 vcc, exec, s[24:25]
	s_waitcnt lgkmcnt(0)
	s_barrier
	s_cbranch_vccz .LBB451_46
; %bb.45:
	v_mov_b32_e32 v12, s1
	v_add_co_u32_e32 v14, vcc, s0, v1
	s_movk_i32 s2, 0x1000
	v_addc_co_u32_e32 v15, vcc, 0, v12, vcc
	v_add_co_u32_e32 v12, vcc, s2, v14
	s_movk_i32 s3, 0x2000
	v_addc_co_u32_e32 v13, vcc, 0, v15, vcc
	global_load_ubyte v16, v1, s[0:1]
	global_load_ubyte v17, v1, s[0:1] offset:512
	global_load_ubyte v18, v1, s[0:1] offset:1024
	;; [unrolled: 1-line block ×7, first 2 shown]
	v_add_co_u32_e32 v14, vcc, s3, v14
	v_addc_co_u32_e32 v15, vcc, 0, v15, vcc
	global_load_ubyte v24, v[14:15], off offset:-4096
	global_load_ubyte v25, v[12:13], off offset:512
	global_load_ubyte v27, v[12:13], off offset:1024
	;; [unrolled: 1-line block ×7, first 2 shown]
	global_load_ubyte v33, v[14:15], off
	global_load_ubyte v34, v[14:15], off offset:512
	global_load_ubyte v35, v[14:15], off offset:1024
	;; [unrolled: 1-line block ×3, first 2 shown]
	s_mov_b64 s[2:3], 0
	s_waitcnt vmcnt(19)
	v_xor_b32_e32 v12, -1, v16
	s_waitcnt vmcnt(18)
	v_xor_b32_e32 v13, -1, v17
	;; [unrolled: 2-line block ×8, first 2 shown]
	v_and_b32_e32 v12, 1, v12
	v_and_b32_e32 v13, 1, v13
	;; [unrolled: 1-line block ×8, first 2 shown]
	ds_write_b8 v0, v12
	ds_write_b8 v0, v13 offset:256
	ds_write_b8 v0, v14 offset:512
	;; [unrolled: 1-line block ×7, first 2 shown]
	s_waitcnt vmcnt(11)
	v_xor_b32_e32 v12, -1, v24
	s_waitcnt vmcnt(10)
	v_xor_b32_e32 v13, -1, v25
	;; [unrolled: 2-line block ×12, first 2 shown]
	v_and_b32_e32 v12, 1, v12
	v_and_b32_e32 v13, 1, v13
	;; [unrolled: 1-line block ×12, first 2 shown]
	ds_write_b8 v0, v12 offset:2048
	ds_write_b8 v0, v13 offset:2304
	;; [unrolled: 1-line block ×12, first 2 shown]
	s_waitcnt lgkmcnt(0)
	s_barrier
.LBB451_46:
	s_load_dwordx2 s[34:35], s[4:5], 0x70
	s_andn2_b64 vcc, exec, s[2:3]
	s_cbranch_vccnz .LBB451_88
; %bb.47:
	v_cmp_gt_u32_e32 vcc, s33, v0
	v_mov_b32_e32 v12, 0
	v_mov_b32_e32 v13, 0
	s_and_saveexec_b64 s[2:3], vcc
	s_cbranch_execz .LBB451_49
; %bb.48:
	global_load_ubyte v13, v1, s[0:1]
	s_waitcnt vmcnt(0)
	v_xor_b32_e32 v13, -1, v13
	v_and_b32_e32 v13, 1, v13
.LBB451_49:
	s_or_b64 exec, exec, s[2:3]
	v_or_b32_e32 v14, 0x100, v0
	v_cmp_gt_u32_e32 vcc, s33, v14
	s_and_saveexec_b64 s[2:3], vcc
	s_cbranch_execz .LBB451_51
; %bb.50:
	global_load_ubyte v12, v1, s[0:1] offset:512
	s_waitcnt vmcnt(0)
	v_xor_b32_e32 v12, -1, v12
	v_and_b32_e32 v12, 1, v12
.LBB451_51:
	s_or_b64 exec, exec, s[2:3]
	v_or_b32_e32 v14, 0x200, v0
	v_cmp_gt_u32_e32 vcc, s33, v14
	v_mov_b32_e32 v14, 0
	v_mov_b32_e32 v15, 0
	s_and_saveexec_b64 s[2:3], vcc
	s_cbranch_execz .LBB451_53
; %bb.52:
	global_load_ubyte v15, v1, s[0:1] offset:1024
	s_waitcnt vmcnt(0)
	v_xor_b32_e32 v15, -1, v15
	v_and_b32_e32 v15, 1, v15
.LBB451_53:
	s_or_b64 exec, exec, s[2:3]
	v_or_b32_e32 v16, 0x300, v0
	v_cmp_gt_u32_e32 vcc, s33, v16
	s_and_saveexec_b64 s[2:3], vcc
	s_cbranch_execz .LBB451_55
; %bb.54:
	global_load_ubyte v14, v1, s[0:1] offset:1536
	s_waitcnt vmcnt(0)
	v_xor_b32_e32 v14, -1, v14
	v_and_b32_e32 v14, 1, v14
.LBB451_55:
	s_or_b64 exec, exec, s[2:3]
	v_or_b32_e32 v16, 0x400, v0
	v_cmp_gt_u32_e32 vcc, s33, v16
	v_mov_b32_e32 v16, 0
	v_mov_b32_e32 v17, 0
	s_and_saveexec_b64 s[2:3], vcc
	s_cbranch_execz .LBB451_57
; %bb.56:
	global_load_ubyte v17, v1, s[0:1] offset:2048
	s_waitcnt vmcnt(0)
	v_xor_b32_e32 v17, -1, v17
	v_and_b32_e32 v17, 1, v17
.LBB451_57:
	;; [unrolled: 24-line block ×3, first 2 shown]
	s_or_b64 exec, exec, s[2:3]
	v_or_b32_e32 v20, 0x700, v0
	v_cmp_gt_u32_e32 vcc, s33, v20
	s_and_saveexec_b64 s[2:3], vcc
	s_cbranch_execz .LBB451_63
; %bb.62:
	global_load_ubyte v18, v1, s[0:1] offset:3584
	s_waitcnt vmcnt(0)
	v_xor_b32_e32 v18, -1, v18
	v_and_b32_e32 v18, 1, v18
.LBB451_63:
	s_or_b64 exec, exec, s[2:3]
	v_or_b32_e32 v22, 0x800, v0
	v_cmp_gt_u32_e32 vcc, s33, v22
	v_mov_b32_e32 v20, 0
	v_mov_b32_e32 v21, 0
	s_and_saveexec_b64 s[2:3], vcc
	s_cbranch_execz .LBB451_65
; %bb.64:
	v_lshlrev_b32_e32 v21, 1, v22
	global_load_ubyte v21, v21, s[0:1]
	s_waitcnt vmcnt(0)
	v_xor_b32_e32 v21, -1, v21
	v_and_b32_e32 v21, 1, v21
.LBB451_65:
	s_or_b64 exec, exec, s[2:3]
	v_or_b32_e32 v22, 0x900, v0
	v_cmp_gt_u32_e32 vcc, s33, v22
	s_and_saveexec_b64 s[2:3], vcc
	s_cbranch_execz .LBB451_67
; %bb.66:
	v_lshlrev_b32_e32 v20, 1, v22
	global_load_ubyte v20, v20, s[0:1]
	s_waitcnt vmcnt(0)
	v_xor_b32_e32 v20, -1, v20
	v_and_b32_e32 v20, 1, v20
.LBB451_67:
	s_or_b64 exec, exec, s[2:3]
	v_or_b32_e32 v24, 0xa00, v0
	v_cmp_gt_u32_e32 vcc, s33, v24
	v_mov_b32_e32 v22, 0
	v_mov_b32_e32 v23, 0
	s_and_saveexec_b64 s[2:3], vcc
	s_cbranch_execz .LBB451_69
; %bb.68:
	v_lshlrev_b32_e32 v23, 1, v24
	global_load_ubyte v23, v23, s[0:1]
	s_waitcnt vmcnt(0)
	v_xor_b32_e32 v23, -1, v23
	v_and_b32_e32 v23, 1, v23
.LBB451_69:
	s_or_b64 exec, exec, s[2:3]
	v_or_b32_e32 v24, 0xb00, v0
	v_cmp_gt_u32_e32 vcc, s33, v24
	s_and_saveexec_b64 s[2:3], vcc
	s_cbranch_execz .LBB451_71
; %bb.70:
	v_lshlrev_b32_e32 v22, 1, v24
	global_load_ubyte v22, v22, s[0:1]
	s_waitcnt vmcnt(0)
	v_xor_b32_e32 v22, -1, v22
	v_and_b32_e32 v22, 1, v22
.LBB451_71:
	;; [unrolled: 26-line block ×6, first 2 shown]
	s_or_b64 exec, exec, s[2:3]
	ds_write_b8 v0, v13
	ds_write_b8 v0, v12 offset:256
	ds_write_b8 v0, v15 offset:512
	;; [unrolled: 1-line block ×19, first 2 shown]
	s_waitcnt lgkmcnt(0)
	s_barrier
.LBB451_88:
	s_waitcnt lgkmcnt(0)
	ds_read2_b32 v[16:17], v26 offset1:1
	ds_read2_b32 v[14:15], v26 offset0:2 offset1:3
	ds_read_b32 v28, v26 offset:16
	s_cmp_lg_u32 s6, 0
	v_lshrrev_b32_e32 v47, 6, v0
	s_waitcnt lgkmcnt(2)
	v_lshrrev_b32_e32 v33, 24, v16
	v_bfe_u32 v45, v16, 16, 8
	v_add_u32_sdwa v12, v16, v16 dst_sel:DWORD dst_unused:UNUSED_PAD src0_sel:BYTE_1 src1_sel:BYTE_0
	v_and_b32_e32 v42, 0xff, v17
	v_bfe_u32 v43, v17, 8, 8
	v_add3_u32 v12, v12, v45, v33
	v_lshrrev_b32_e32 v32, 24, v17
	v_bfe_u32 v44, v17, 16, 8
	v_add3_u32 v12, v12, v42, v43
	s_waitcnt lgkmcnt(1)
	v_and_b32_e32 v39, 0xff, v14
	v_bfe_u32 v40, v14, 8, 8
	v_add3_u32 v12, v12, v44, v32
	v_lshrrev_b32_e32 v31, 24, v14
	v_bfe_u32 v41, v14, 16, 8
	v_add3_u32 v12, v12, v39, v40
	v_and_b32_e32 v36, 0xff, v15
	v_bfe_u32 v37, v15, 8, 8
	v_add3_u32 v12, v12, v41, v31
	v_lshrrev_b32_e32 v30, 24, v15
	v_bfe_u32 v38, v15, 16, 8
	v_add3_u32 v12, v12, v36, v37
	s_waitcnt lgkmcnt(0)
	v_and_b32_e32 v34, 0xff, v28
	v_bfe_u32 v35, v28, 8, 8
	v_add3_u32 v12, v12, v38, v30
	v_lshrrev_b32_e32 v27, 24, v28
	v_bfe_u32 v29, v28, 16, 8
	v_add3_u32 v12, v12, v34, v35
	v_add3_u32 v48, v12, v29, v27
	v_mbcnt_lo_u32_b32 v12, -1, 0
	v_mbcnt_hi_u32_b32 v46, -1, v12
	v_and_b32_e32 v12, 15, v46
	v_cmp_eq_u32_e64 s[14:15], 0, v12
	v_cmp_lt_u32_e64 s[12:13], 1, v12
	v_cmp_lt_u32_e64 s[10:11], 3, v12
	;; [unrolled: 1-line block ×3, first 2 shown]
	v_and_b32_e32 v12, 16, v46
	v_cmp_eq_u32_e64 s[18:19], 0, v12
	v_or_b32_e32 v12, 63, v0
	v_cmp_lt_u32_e64 s[0:1], 31, v46
	v_cmp_eq_u32_e64 s[2:3], v12, v0
	s_barrier
	s_cbranch_scc0 .LBB451_115
; %bb.89:
	v_mov_b32_dpp v12, v48 row_shr:1 row_mask:0xf bank_mask:0xf
	v_cndmask_b32_e64 v12, v12, 0, s[14:15]
	v_add_u32_e32 v12, v12, v48
	s_nop 1
	v_mov_b32_dpp v13, v12 row_shr:2 row_mask:0xf bank_mask:0xf
	v_cndmask_b32_e64 v13, 0, v13, s[12:13]
	v_add_u32_e32 v12, v12, v13
	s_nop 1
	;; [unrolled: 4-line block ×4, first 2 shown]
	v_mov_b32_dpp v13, v12 row_bcast:15 row_mask:0xf bank_mask:0xf
	v_cndmask_b32_e64 v13, v13, 0, s[18:19]
	v_add_u32_e32 v12, v12, v13
	s_nop 1
	v_mov_b32_dpp v13, v12 row_bcast:31 row_mask:0xf bank_mask:0xf
	v_cndmask_b32_e64 v13, 0, v13, s[0:1]
	v_add_u32_e32 v12, v12, v13
	s_and_saveexec_b64 s[16:17], s[2:3]
	s_cbranch_execz .LBB451_91
; %bb.90:
	v_lshlrev_b32_e32 v13, 2, v47
	ds_write_b32 v13, v12
.LBB451_91:
	s_or_b64 exec, exec, s[16:17]
	v_cmp_gt_u32_e32 vcc, 4, v0
	s_waitcnt lgkmcnt(0)
	s_barrier
	s_and_saveexec_b64 s[16:17], vcc
	s_cbranch_execz .LBB451_93
; %bb.92:
	v_lshlrev_b32_e32 v13, 2, v0
	ds_read_b32 v18, v13
	v_and_b32_e32 v19, 3, v46
	v_cmp_ne_u32_e32 vcc, 0, v19
	s_waitcnt lgkmcnt(0)
	v_mov_b32_dpp v20, v18 row_shr:1 row_mask:0xf bank_mask:0xf
	v_cndmask_b32_e32 v20, 0, v20, vcc
	v_add_u32_e32 v18, v20, v18
	v_cmp_lt_u32_e32 vcc, 1, v19
	s_nop 0
	v_mov_b32_dpp v20, v18 row_shr:2 row_mask:0xf bank_mask:0xf
	v_cndmask_b32_e32 v19, 0, v20, vcc
	v_add_u32_e32 v18, v18, v19
	ds_write_b32 v13, v18
.LBB451_93:
	s_or_b64 exec, exec, s[16:17]
	v_cmp_gt_u32_e32 vcc, 64, v0
	v_cmp_lt_u32_e64 s[16:17], 63, v0
	s_waitcnt lgkmcnt(0)
	s_barrier
	s_waitcnt lgkmcnt(0)
                                        ; implicit-def: $vgpr49
	s_and_saveexec_b64 s[36:37], s[16:17]
	s_cbranch_execz .LBB451_95
; %bb.94:
	v_lshl_add_u32 v13, v47, 2, -4
	ds_read_b32 v49, v13
	s_waitcnt lgkmcnt(0)
	v_add_u32_e32 v12, v49, v12
.LBB451_95:
	s_or_b64 exec, exec, s[36:37]
	v_add_u32_e32 v13, -1, v46
	v_and_b32_e32 v18, 64, v46
	v_cmp_lt_i32_e64 s[16:17], v13, v18
	v_cndmask_b32_e64 v13, v13, v46, s[16:17]
	v_lshlrev_b32_e32 v13, 2, v13
	ds_bpermute_b32 v50, v13, v12
	v_cmp_eq_u32_e64 s[16:17], 0, v46
	s_and_saveexec_b64 s[36:37], vcc
	s_cbranch_execz .LBB451_114
; %bb.96:
	v_mov_b32_e32 v23, 0
	ds_read_b32 v12, v23 offset:12
	s_and_saveexec_b64 s[38:39], s[16:17]
	s_cbranch_execz .LBB451_98
; %bb.97:
	s_add_i32 s40, s6, 64
	s_mov_b32 s41, 0
	s_lshl_b64 s[40:41], s[40:41], 3
	s_add_u32 s40, s34, s40
	v_mov_b32_e32 v13, 1
	s_addc_u32 s41, s35, s41
	s_waitcnt lgkmcnt(0)
	global_store_dwordx2 v23, v[12:13], s[40:41]
.LBB451_98:
	s_or_b64 exec, exec, s[38:39]
	v_xad_u32 v18, v46, -1, s6
	v_add_u32_e32 v22, 64, v18
	v_lshlrev_b64 v[20:21], 3, v[22:23]
	v_mov_b32_e32 v13, s35
	v_add_co_u32_e32 v24, vcc, s34, v20
	v_addc_co_u32_e32 v25, vcc, v13, v21, vcc
	global_load_dwordx2 v[20:21], v[24:25], off glc
	s_waitcnt vmcnt(0)
	v_cmp_eq_u16_sdwa s[40:41], v21, v23 src0_sel:BYTE_0 src1_sel:DWORD
	s_and_saveexec_b64 s[38:39], s[40:41]
	s_cbranch_execz .LBB451_102
; %bb.99:
	s_mov_b64 s[40:41], 0
	v_mov_b32_e32 v13, 0
.LBB451_100:                            ; =>This Inner Loop Header: Depth=1
	global_load_dwordx2 v[20:21], v[24:25], off glc
	s_waitcnt vmcnt(0)
	v_cmp_ne_u16_sdwa s[42:43], v21, v13 src0_sel:BYTE_0 src1_sel:DWORD
	s_or_b64 s[40:41], s[42:43], s[40:41]
	s_andn2_b64 exec, exec, s[40:41]
	s_cbranch_execnz .LBB451_100
; %bb.101:
	s_or_b64 exec, exec, s[40:41]
.LBB451_102:
	s_or_b64 exec, exec, s[38:39]
	v_and_b32_e32 v52, 63, v46
	v_mov_b32_e32 v51, 2
	v_cmp_ne_u32_e32 vcc, 63, v52
	v_cmp_eq_u16_sdwa s[38:39], v21, v51 src0_sel:BYTE_0 src1_sel:DWORD
	v_lshlrev_b64 v[22:23], v46, -1
	v_addc_co_u32_e32 v24, vcc, 0, v46, vcc
	v_and_b32_e32 v13, s39, v23
	v_lshlrev_b32_e32 v53, 2, v24
	v_or_b32_e32 v13, 0x80000000, v13
	ds_bpermute_b32 v24, v53, v20
	v_and_b32_e32 v19, s38, v22
	v_ffbl_b32_e32 v13, v13
	v_add_u32_e32 v13, 32, v13
	v_ffbl_b32_e32 v19, v19
	v_min_u32_e32 v13, v19, v13
	v_cmp_lt_u32_e32 vcc, v52, v13
	s_waitcnt lgkmcnt(0)
	v_cndmask_b32_e32 v19, 0, v24, vcc
	v_cmp_gt_u32_e32 vcc, 62, v52
	v_add_u32_e32 v19, v19, v20
	v_cndmask_b32_e64 v20, 0, 1, vcc
	v_lshlrev_b32_e32 v20, 1, v20
	v_add_lshl_u32 v54, v20, v46, 2
	ds_bpermute_b32 v20, v54, v19
	v_add_u32_e32 v55, 2, v52
	v_cmp_le_u32_e32 vcc, v55, v13
	v_add_u32_e32 v57, 4, v52
	v_add_u32_e32 v59, 8, v52
	s_waitcnt lgkmcnt(0)
	v_cndmask_b32_e32 v20, 0, v20, vcc
	v_cmp_gt_u32_e32 vcc, 60, v52
	v_add_u32_e32 v19, v19, v20
	v_cndmask_b32_e64 v20, 0, 1, vcc
	v_lshlrev_b32_e32 v20, 2, v20
	v_add_lshl_u32 v56, v20, v46, 2
	ds_bpermute_b32 v20, v56, v19
	v_cmp_le_u32_e32 vcc, v57, v13
	v_add_u32_e32 v61, 16, v52
	v_add_u32_e32 v63, 32, v52
	s_waitcnt lgkmcnt(0)
	v_cndmask_b32_e32 v20, 0, v20, vcc
	v_cmp_gt_u32_e32 vcc, 56, v52
	v_add_u32_e32 v19, v19, v20
	v_cndmask_b32_e64 v20, 0, 1, vcc
	v_lshlrev_b32_e32 v20, 3, v20
	v_add_lshl_u32 v58, v20, v46, 2
	ds_bpermute_b32 v20, v58, v19
	v_cmp_le_u32_e32 vcc, v59, v13
	s_waitcnt lgkmcnt(0)
	v_cndmask_b32_e32 v20, 0, v20, vcc
	v_cmp_gt_u32_e32 vcc, 48, v52
	v_add_u32_e32 v19, v19, v20
	v_cndmask_b32_e64 v20, 0, 1, vcc
	v_lshlrev_b32_e32 v20, 4, v20
	v_add_lshl_u32 v60, v20, v46, 2
	ds_bpermute_b32 v20, v60, v19
	v_cmp_le_u32_e32 vcc, v61, v13
	;; [unrolled: 9-line block ×3, first 2 shown]
	s_waitcnt lgkmcnt(0)
	v_cndmask_b32_e32 v13, 0, v20, vcc
	v_add_u32_e32 v20, v19, v13
	v_mov_b32_e32 v19, 0
	s_branch .LBB451_104
.LBB451_103:                            ;   in Loop: Header=BB451_104 Depth=1
	s_or_b64 exec, exec, s[38:39]
	v_cmp_eq_u16_sdwa s[38:39], v21, v51 src0_sel:BYTE_0 src1_sel:DWORD
	v_and_b32_e32 v24, s39, v23
	v_or_b32_e32 v24, 0x80000000, v24
	ds_bpermute_b32 v64, v53, v20
	v_and_b32_e32 v25, s38, v22
	v_ffbl_b32_e32 v24, v24
	v_add_u32_e32 v24, 32, v24
	v_ffbl_b32_e32 v25, v25
	v_min_u32_e32 v24, v25, v24
	v_cmp_lt_u32_e32 vcc, v52, v24
	s_waitcnt lgkmcnt(0)
	v_cndmask_b32_e32 v25, 0, v64, vcc
	v_add_u32_e32 v20, v25, v20
	ds_bpermute_b32 v25, v54, v20
	v_cmp_le_u32_e32 vcc, v55, v24
	v_subrev_u32_e32 v18, 64, v18
	s_waitcnt lgkmcnt(0)
	v_cndmask_b32_e32 v25, 0, v25, vcc
	v_add_u32_e32 v20, v20, v25
	ds_bpermute_b32 v25, v56, v20
	v_cmp_le_u32_e32 vcc, v57, v24
	s_waitcnt lgkmcnt(0)
	v_cndmask_b32_e32 v25, 0, v25, vcc
	v_add_u32_e32 v20, v20, v25
	ds_bpermute_b32 v25, v58, v20
	v_cmp_le_u32_e32 vcc, v59, v24
	;; [unrolled: 5-line block ×4, first 2 shown]
	s_waitcnt lgkmcnt(0)
	v_cndmask_b32_e32 v24, 0, v25, vcc
	v_add3_u32 v20, v24, v13, v20
.LBB451_104:                            ; =>This Loop Header: Depth=1
                                        ;     Child Loop BB451_107 Depth 2
	v_cmp_ne_u16_sdwa s[38:39], v21, v51 src0_sel:BYTE_0 src1_sel:DWORD
	v_cndmask_b32_e64 v13, 0, 1, s[38:39]
	;;#ASMSTART
	;;#ASMEND
	v_cmp_ne_u32_e32 vcc, 0, v13
	s_cmp_lg_u64 vcc, exec
	v_mov_b32_e32 v13, v20
	s_cbranch_scc1 .LBB451_109
; %bb.105:                              ;   in Loop: Header=BB451_104 Depth=1
	v_lshlrev_b64 v[20:21], 3, v[18:19]
	v_mov_b32_e32 v25, s35
	v_add_co_u32_e32 v24, vcc, s34, v20
	v_addc_co_u32_e32 v25, vcc, v25, v21, vcc
	global_load_dwordx2 v[20:21], v[24:25], off glc
	s_waitcnt vmcnt(0)
	v_cmp_eq_u16_sdwa s[40:41], v21, v19 src0_sel:BYTE_0 src1_sel:DWORD
	s_and_saveexec_b64 s[38:39], s[40:41]
	s_cbranch_execz .LBB451_103
; %bb.106:                              ;   in Loop: Header=BB451_104 Depth=1
	s_mov_b64 s[40:41], 0
.LBB451_107:                            ;   Parent Loop BB451_104 Depth=1
                                        ; =>  This Inner Loop Header: Depth=2
	global_load_dwordx2 v[20:21], v[24:25], off glc
	s_waitcnt vmcnt(0)
	v_cmp_ne_u16_sdwa s[42:43], v21, v19 src0_sel:BYTE_0 src1_sel:DWORD
	s_or_b64 s[40:41], s[42:43], s[40:41]
	s_andn2_b64 exec, exec, s[40:41]
	s_cbranch_execnz .LBB451_107
; %bb.108:                              ;   in Loop: Header=BB451_104 Depth=1
	s_or_b64 exec, exec, s[40:41]
	s_branch .LBB451_103
.LBB451_109:                            ;   in Loop: Header=BB451_104 Depth=1
                                        ; implicit-def: $vgpr20
                                        ; implicit-def: $vgpr21
	s_cbranch_execz .LBB451_104
; %bb.110:
	s_and_saveexec_b64 s[38:39], s[16:17]
	s_cbranch_execz .LBB451_112
; %bb.111:
	s_add_i32 s6, s6, 64
	s_mov_b32 s7, 0
	s_lshl_b64 s[6:7], s[6:7], 3
	s_add_u32 s6, s34, s6
	v_add_u32_e32 v18, v13, v12
	v_mov_b32_e32 v19, 2
	s_addc_u32 s7, s35, s7
	v_mov_b32_e32 v20, 0
	global_store_dwordx2 v20, v[18:19], s[6:7]
	ds_write_b64 v20, v[12:13] offset:10240
.LBB451_112:
	s_or_b64 exec, exec, s[38:39]
	v_cmp_eq_u32_e32 vcc, 0, v0
	s_and_b64 exec, exec, vcc
	s_cbranch_execz .LBB451_114
; %bb.113:
	v_mov_b32_e32 v12, 0
	ds_write_b32 v12, v13 offset:12
.LBB451_114:
	s_or_b64 exec, exec, s[36:37]
	v_mov_b32_e32 v12, 0
	s_waitcnt lgkmcnt(0)
	s_barrier
	ds_read_b32 v19, v12 offset:12
	s_waitcnt lgkmcnt(0)
	s_barrier
	ds_read_b64 v[12:13], v12 offset:10240
	v_cndmask_b32_e64 v18, v50, v49, s[16:17]
	v_cmp_ne_u32_e32 vcc, 0, v0
	v_cndmask_b32_e32 v18, 0, v18, vcc
	v_add_u32_e32 v22, v19, v18
	s_branch .LBB451_125
.LBB451_115:
                                        ; implicit-def: $vgpr13
                                        ; implicit-def: $vgpr22
	s_cbranch_execz .LBB451_125
; %bb.116:
	s_waitcnt lgkmcnt(0)
	v_mov_b32_dpp v12, v48 row_shr:1 row_mask:0xf bank_mask:0xf
	v_cndmask_b32_e64 v12, v12, 0, s[14:15]
	v_add_u32_e32 v12, v12, v48
	s_nop 1
	v_mov_b32_dpp v13, v12 row_shr:2 row_mask:0xf bank_mask:0xf
	v_cndmask_b32_e64 v13, 0, v13, s[12:13]
	v_add_u32_e32 v12, v12, v13
	s_nop 1
	;; [unrolled: 4-line block ×4, first 2 shown]
	v_mov_b32_dpp v13, v12 row_bcast:15 row_mask:0xf bank_mask:0xf
	v_cndmask_b32_e64 v13, v13, 0, s[18:19]
	v_add_u32_e32 v12, v12, v13
	s_nop 1
	v_mov_b32_dpp v13, v12 row_bcast:31 row_mask:0xf bank_mask:0xf
	v_cndmask_b32_e64 v13, 0, v13, s[0:1]
	v_add_u32_e32 v12, v12, v13
	s_and_saveexec_b64 s[0:1], s[2:3]
	s_cbranch_execz .LBB451_118
; %bb.117:
	v_lshlrev_b32_e32 v13, 2, v47
	ds_write_b32 v13, v12
.LBB451_118:
	s_or_b64 exec, exec, s[0:1]
	v_cmp_gt_u32_e32 vcc, 4, v0
	s_waitcnt lgkmcnt(0)
	s_barrier
	s_and_saveexec_b64 s[0:1], vcc
	s_cbranch_execz .LBB451_120
; %bb.119:
	v_lshlrev_b32_e32 v13, 2, v0
	ds_read_b32 v18, v13
	v_and_b32_e32 v19, 3, v46
	v_cmp_ne_u32_e32 vcc, 0, v19
	s_waitcnt lgkmcnt(0)
	v_mov_b32_dpp v20, v18 row_shr:1 row_mask:0xf bank_mask:0xf
	v_cndmask_b32_e32 v20, 0, v20, vcc
	v_add_u32_e32 v18, v20, v18
	v_cmp_lt_u32_e32 vcc, 1, v19
	s_nop 0
	v_mov_b32_dpp v20, v18 row_shr:2 row_mask:0xf bank_mask:0xf
	v_cndmask_b32_e32 v19, 0, v20, vcc
	v_add_u32_e32 v18, v18, v19
	ds_write_b32 v13, v18
.LBB451_120:
	s_or_b64 exec, exec, s[0:1]
	v_cmp_lt_u32_e32 vcc, 63, v0
	v_mov_b32_e32 v13, 0
	v_mov_b32_e32 v18, 0
	s_waitcnt lgkmcnt(0)
	s_barrier
	s_and_saveexec_b64 s[0:1], vcc
	s_cbranch_execz .LBB451_122
; %bb.121:
	v_lshl_add_u32 v18, v47, 2, -4
	ds_read_b32 v18, v18
.LBB451_122:
	s_or_b64 exec, exec, s[0:1]
	v_add_u32_e32 v19, -1, v46
	v_and_b32_e32 v20, 64, v46
	v_cmp_lt_i32_e32 vcc, v19, v20
	v_cndmask_b32_e32 v19, v19, v46, vcc
	s_waitcnt lgkmcnt(0)
	v_add_u32_e32 v12, v18, v12
	v_lshlrev_b32_e32 v19, 2, v19
	ds_bpermute_b32 v19, v19, v12
	ds_read_b32 v12, v13 offset:12
	v_cmp_eq_u32_e32 vcc, 0, v0
	s_and_saveexec_b64 s[0:1], vcc
	s_cbranch_execz .LBB451_124
; %bb.123:
	v_mov_b32_e32 v20, 0
	v_mov_b32_e32 v13, 2
	s_waitcnt lgkmcnt(0)
	global_store_dwordx2 v20, v[12:13], s[34:35] offset:512
.LBB451_124:
	s_or_b64 exec, exec, s[0:1]
	v_cmp_eq_u32_e64 s[0:1], 0, v46
	s_waitcnt lgkmcnt(1)
	v_cndmask_b32_e64 v18, v19, v18, s[0:1]
	v_mov_b32_e32 v13, 0
	v_cndmask_b32_e64 v22, v18, 0, vcc
	s_waitcnt lgkmcnt(0)
	s_barrier
.LBB451_125:
	v_add_u32_sdwa v24, v22, v16 dst_sel:DWORD dst_unused:UNUSED_PAD src0_sel:DWORD src1_sel:BYTE_0
	s_waitcnt lgkmcnt(0)
	v_add_u32_e32 v26, v12, v26
	v_sub_u32_e32 v22, v22, v13
	v_and_b32_e32 v51, 1, v16
	v_sub_u32_e32 v50, v26, v22
	v_cmp_eq_u32_e32 vcc, 1, v51
	v_cndmask_b32_e32 v22, v50, v22, vcc
	v_lshlrev_b32_e32 v22, 1, v22
	v_lshrrev_b32_e32 v23, 8, v16
	ds_write_b16 v22, v6
	v_sub_u32_e32 v22, v24, v13
	v_add_u32_sdwa v25, v24, v16 dst_sel:DWORD dst_unused:UNUSED_PAD src0_sel:DWORD src1_sel:BYTE_1
	v_sub_u32_e32 v24, v26, v22
	v_and_b32_e32 v23, 1, v23
	v_add_u32_e32 v24, 1, v24
	v_cmp_eq_u32_e32 vcc, 1, v23
	v_cndmask_b32_e32 v22, v24, v22, vcc
	v_lshlrev_b32_e32 v22, 1, v22
	ds_write_b16_d16_hi v22, v6
	v_sub_u32_e32 v6, v25, v13
	v_mov_b32_e32 v23, 1
	v_sub_u32_e32 v22, v26, v6
	v_and_b32_sdwa v16, v23, v16 dst_sel:DWORD dst_unused:UNUSED_PAD src0_sel:DWORD src1_sel:WORD_1
	v_add_u32_e32 v22, 2, v22
	v_cmp_eq_u32_e32 vcc, 1, v16
	v_cndmask_b32_e32 v6, v22, v6, vcc
	v_add_u32_e32 v45, v25, v45
	v_lshlrev_b32_e32 v6, 1, v6
	ds_write_b16 v6, v7
	v_sub_u32_e32 v6, v45, v13
	v_sub_u32_e32 v16, v26, v6
	v_and_b32_e32 v22, 1, v33
	v_add_u32_e32 v16, 3, v16
	v_cmp_eq_u32_e32 vcc, 1, v22
	v_cndmask_b32_e32 v6, v16, v6, vcc
	v_add_u32_e32 v46, v45, v33
	v_lshlrev_b32_e32 v6, 1, v6
	ds_write_b16_d16_hi v6, v7
	v_sub_u32_e32 v6, v46, v13
	v_sub_u32_e32 v7, v26, v6
	v_and_b32_e32 v16, 1, v17
	v_add_u32_e32 v7, 4, v7
	v_cmp_eq_u32_e32 vcc, 1, v16
	v_cndmask_b32_e32 v6, v7, v6, vcc
	v_add_u32_e32 v42, v46, v42
	v_lshlrev_b32_e32 v6, 1, v6
	v_lshrrev_b32_e32 v21, 8, v17
	ds_write_b16 v6, v8
	v_sub_u32_e32 v6, v42, v13
	v_sub_u32_e32 v7, v26, v6
	v_and_b32_e32 v16, 1, v21
	v_add_u32_e32 v7, 5, v7
	v_cmp_eq_u32_e32 vcc, 1, v16
	v_cndmask_b32_e32 v6, v7, v6, vcc
	v_add_u32_e32 v43, v42, v43
	v_lshlrev_b32_e32 v6, 1, v6
	ds_write_b16_d16_hi v6, v8
	v_sub_u32_e32 v6, v43, v13
	v_sub_u32_e32 v7, v26, v6
	v_and_b32_sdwa v8, v23, v17 dst_sel:DWORD dst_unused:UNUSED_PAD src0_sel:DWORD src1_sel:WORD_1
	v_add_u32_e32 v7, 6, v7
	v_cmp_eq_u32_e32 vcc, 1, v8
	v_cndmask_b32_e32 v6, v7, v6, vcc
	v_add_u32_e32 v44, v43, v44
	v_lshlrev_b32_e32 v6, 1, v6
	ds_write_b16 v6, v9
	v_sub_u32_e32 v6, v44, v13
	v_sub_u32_e32 v7, v26, v6
	v_and_b32_e32 v8, 1, v32
	v_add_u32_e32 v7, 7, v7
	v_cmp_eq_u32_e32 vcc, 1, v8
	v_cndmask_b32_e32 v6, v7, v6, vcc
	v_add_u32_e32 v47, v44, v32
	v_lshlrev_b32_e32 v6, 1, v6
	ds_write_b16_d16_hi v6, v9
	v_sub_u32_e32 v6, v47, v13
	v_sub_u32_e32 v7, v26, v6
	v_and_b32_e32 v8, 1, v14
	v_add_u32_e32 v7, 8, v7
	v_cmp_eq_u32_e32 vcc, 1, v8
	v_cndmask_b32_e32 v6, v7, v6, vcc
	v_add_u32_e32 v39, v47, v39
	v_lshlrev_b32_e32 v6, 1, v6
	v_lshrrev_b32_e32 v20, 8, v14
	ds_write_b16 v6, v2
	v_sub_u32_e32 v6, v39, v13
	v_sub_u32_e32 v7, v26, v6
	v_and_b32_e32 v8, 1, v20
	v_add_u32_e32 v7, 9, v7
	v_cmp_eq_u32_e32 vcc, 1, v8
	v_cndmask_b32_e32 v6, v7, v6, vcc
	v_add_u32_e32 v40, v39, v40
	v_lshlrev_b32_e32 v6, 1, v6
	ds_write_b16_d16_hi v6, v2
	v_sub_u32_e32 v2, v40, v13
	;; [unrolled: 37-line block ×4, first 2 shown]
	v_sub_u32_e32 v3, v26, v2
	v_and_b32_sdwa v4, v23, v28 dst_sel:DWORD dst_unused:UNUSED_PAD src0_sel:DWORD src1_sel:WORD_1
	v_add_u32_e32 v3, 18, v3
	v_cmp_eq_u32_e32 vcc, 1, v4
	v_cndmask_b32_e32 v2, v3, v2, vcc
	v_lshlrev_b32_e32 v2, 1, v2
	ds_write_b16 v2, v11
	v_sub_u32_e32 v2, v29, v13
	v_add_u32_e32 v2, v35, v2
	v_sub_u32_e32 v3, v26, v2
	v_and_b32_e32 v4, 1, v27
	v_add_u32_e32 v3, 19, v3
	v_cmp_eq_u32_e32 vcc, 1, v4
	v_cndmask_b32_e32 v2, v3, v2, vcc
	v_lshlrev_b32_e32 v2, 1, v2
	ds_write_b16_d16_hi v2, v11
	v_mov_b32_e32 v2, s31
	v_add_co_u32_e32 v48, vcc, s30, v13
	s_waitcnt lgkmcnt(0)
	s_barrier
	ds_read_u16 v47, v1
	ds_read_u16 v46, v1 offset:512
	ds_read_u16 v44, v1 offset:1024
	;; [unrolled: 1-line block ×15, first 2 shown]
	v_addc_co_u32_e32 v49, vcc, 0, v2, vcc
	s_load_dwordx4 s[0:3], s[4:5], 0x30
	v_add_co_u32_e32 v2, vcc, v48, v12
	v_addc_co_u32_e32 v3, vcc, 0, v49, vcc
	v_mov_b32_e32 v9, s27
	v_sub_co_u32_e32 v8, vcc, s26, v2
	ds_read_u16 v16, v1 offset:8192
	ds_read_u16 v11, v1 offset:8704
	;; [unrolled: 1-line block ×4, first 2 shown]
	v_subb_co_u32_e32 v9, vcc, v9, v3, vcc
	v_lshlrev_b64 v[8:9], 1, v[8:9]
	s_waitcnt lgkmcnt(0)
	v_mov_b32_e32 v13, s3
	v_add_co_u32_e32 v8, vcc, s2, v8
	v_addc_co_u32_e32 v9, vcc, v13, v9, vcc
	v_mov_b32_e32 v13, s29
	v_add_co_u32_e32 v8, vcc, s28, v8
	v_lshlrev_b64 v[48:49], 1, v[48:49]
	v_addc_co_u32_e32 v9, vcc, v9, v13, vcc
	v_mov_b32_e32 v14, s1
	v_add_co_u32_e64 v13, s[0:1], s0, v48
	v_or_b32_e32 v45, 0x100, v0
	v_or_b32_e32 v43, 0x200, v0
	;; [unrolled: 1-line block ×19, first 2 shown]
	s_andn2_b64 vcc, exec, s[24:25]
	v_addc_co_u32_e64 v14, s[0:1], v14, v49, s[0:1]
	s_cbranch_vccnz .LBB451_127
; %bb.126:
	v_cmp_lt_u32_e32 vcc, v0, v12
	v_cndmask_b32_e32 v48, v8, v13, vcc
	v_cndmask_b32_e32 v49, v9, v14, vcc
	v_add_co_u32_e32 v48, vcc, v48, v1
	v_addc_co_u32_e32 v49, vcc, 0, v49, vcc
	v_cmp_lt_u32_e32 vcc, v45, v12
	global_store_short v[48:49], v47, off
	v_cndmask_b32_e32 v48, v8, v13, vcc
	v_cndmask_b32_e32 v49, v9, v14, vcc
	v_add_co_u32_e32 v48, vcc, v48, v1
	v_addc_co_u32_e32 v49, vcc, 0, v49, vcc
	v_cmp_lt_u32_e32 vcc, v43, v12
	global_store_short v[48:49], v46, off offset:512
	v_cndmask_b32_e32 v48, v8, v13, vcc
	v_cndmask_b32_e32 v49, v9, v14, vcc
	v_add_co_u32_e32 v48, vcc, v48, v1
	v_addc_co_u32_e32 v49, vcc, 0, v49, vcc
	v_cmp_lt_u32_e32 vcc, v41, v12
	global_store_short v[48:49], v44, off offset:1024
	;; [unrolled: 6-line block ×7, first 2 shown]
	v_cndmask_b32_e32 v48, v8, v13, vcc
	v_lshlrev_b32_e32 v50, 1, v31
	v_cndmask_b32_e32 v49, v9, v14, vcc
	v_add_co_u32_e32 v48, vcc, v48, v50
	v_addc_co_u32_e32 v49, vcc, 0, v49, vcc
	v_cmp_lt_u32_e32 vcc, v29, v12
	global_store_short v[48:49], v32, off
	v_cndmask_b32_e32 v48, v8, v13, vcc
	v_lshlrev_b32_e32 v50, 1, v29
	v_cndmask_b32_e32 v49, v9, v14, vcc
	v_add_co_u32_e32 v48, vcc, v48, v50
	v_addc_co_u32_e32 v49, vcc, 0, v49, vcc
	v_cmp_lt_u32_e32 vcc, v27, v12
	global_store_short v[48:49], v30, off
	;; [unrolled: 7-line block ×10, first 2 shown]
	v_cndmask_b32_e32 v48, v8, v13, vcc
	v_lshlrev_b32_e32 v50, 1, v7
	v_cndmask_b32_e32 v49, v9, v14, vcc
	v_add_co_u32_e32 v48, vcc, v48, v50
	v_addc_co_u32_e32 v49, vcc, 0, v49, vcc
	s_mov_b64 s[0:1], -1
	global_store_short v[48:49], v6, off
	s_cbranch_execz .LBB451_128
	s_branch .LBB451_149
.LBB451_127:
	s_mov_b64 s[0:1], 0
.LBB451_128:
	v_cmp_gt_u32_e32 vcc, s33, v0
	s_and_saveexec_b64 s[0:1], vcc
	s_cbranch_execnz .LBB451_154
; %bb.129:
	s_or_b64 exec, exec, s[0:1]
	v_cmp_gt_u32_e32 vcc, s33, v45
	s_and_saveexec_b64 s[0:1], vcc
	s_cbranch_execnz .LBB451_155
.LBB451_130:
	s_or_b64 exec, exec, s[0:1]
	v_cmp_gt_u32_e32 vcc, s33, v43
	s_and_saveexec_b64 s[0:1], vcc
	s_cbranch_execnz .LBB451_156
.LBB451_131:
	s_or_b64 exec, exec, s[0:1]
	v_cmp_gt_u32_e32 vcc, s33, v41
	s_and_saveexec_b64 s[0:1], vcc
	s_cbranch_execnz .LBB451_157
.LBB451_132:
	s_or_b64 exec, exec, s[0:1]
	v_cmp_gt_u32_e32 vcc, s33, v39
	s_and_saveexec_b64 s[0:1], vcc
	s_cbranch_execnz .LBB451_158
.LBB451_133:
	s_or_b64 exec, exec, s[0:1]
	v_cmp_gt_u32_e32 vcc, s33, v37
	s_and_saveexec_b64 s[0:1], vcc
	s_cbranch_execnz .LBB451_159
.LBB451_134:
	s_or_b64 exec, exec, s[0:1]
	v_cmp_gt_u32_e32 vcc, s33, v35
	s_and_saveexec_b64 s[0:1], vcc
	s_cbranch_execnz .LBB451_160
.LBB451_135:
	s_or_b64 exec, exec, s[0:1]
	v_cmp_gt_u32_e32 vcc, s33, v33
	s_and_saveexec_b64 s[0:1], vcc
	s_cbranch_execnz .LBB451_161
.LBB451_136:
	s_or_b64 exec, exec, s[0:1]
	v_cmp_gt_u32_e32 vcc, s33, v31
	s_and_saveexec_b64 s[0:1], vcc
	s_cbranch_execnz .LBB451_162
.LBB451_137:
	s_or_b64 exec, exec, s[0:1]
	v_cmp_gt_u32_e32 vcc, s33, v29
	s_and_saveexec_b64 s[0:1], vcc
	s_cbranch_execnz .LBB451_163
.LBB451_138:
	s_or_b64 exec, exec, s[0:1]
	v_cmp_gt_u32_e32 vcc, s33, v27
	s_and_saveexec_b64 s[0:1], vcc
	s_cbranch_execnz .LBB451_164
.LBB451_139:
	s_or_b64 exec, exec, s[0:1]
	v_cmp_gt_u32_e32 vcc, s33, v25
	s_and_saveexec_b64 s[0:1], vcc
	s_cbranch_execnz .LBB451_165
.LBB451_140:
	s_or_b64 exec, exec, s[0:1]
	v_cmp_gt_u32_e32 vcc, s33, v23
	s_and_saveexec_b64 s[0:1], vcc
	s_cbranch_execnz .LBB451_166
.LBB451_141:
	s_or_b64 exec, exec, s[0:1]
	v_cmp_gt_u32_e32 vcc, s33, v21
	s_and_saveexec_b64 s[0:1], vcc
	s_cbranch_execnz .LBB451_167
.LBB451_142:
	s_or_b64 exec, exec, s[0:1]
	v_cmp_gt_u32_e32 vcc, s33, v19
	s_and_saveexec_b64 s[0:1], vcc
	s_cbranch_execnz .LBB451_168
.LBB451_143:
	s_or_b64 exec, exec, s[0:1]
	v_cmp_gt_u32_e32 vcc, s33, v17
	s_and_saveexec_b64 s[0:1], vcc
	s_cbranch_execnz .LBB451_169
.LBB451_144:
	s_or_b64 exec, exec, s[0:1]
	v_cmp_gt_u32_e32 vcc, s33, v15
	s_and_saveexec_b64 s[0:1], vcc
	s_cbranch_execnz .LBB451_170
.LBB451_145:
	s_or_b64 exec, exec, s[0:1]
	v_cmp_gt_u32_e32 vcc, s33, v10
	s_and_saveexec_b64 s[0:1], vcc
	s_cbranch_execnz .LBB451_171
.LBB451_146:
	s_or_b64 exec, exec, s[0:1]
	v_cmp_gt_u32_e32 vcc, s33, v7
	s_and_saveexec_b64 s[0:1], vcc
	s_cbranch_execz .LBB451_148
.LBB451_147:
	v_cmp_lt_u32_e32 vcc, v7, v12
	v_cndmask_b32_e32 v10, v8, v13, vcc
	v_lshlrev_b32_e32 v7, 1, v7
	v_cndmask_b32_e32 v1, v9, v14, vcc
	v_add_co_u32_e32 v10, vcc, v10, v7
	v_addc_co_u32_e32 v11, vcc, 0, v1, vcc
	global_store_short v[10:11], v6, off
.LBB451_148:
	s_or_b64 exec, exec, s[0:1]
	v_cmp_gt_u32_e64 s[0:1], s33, v5
.LBB451_149:
	s_and_saveexec_b64 s[2:3], s[0:1]
	s_cbranch_execz .LBB451_151
; %bb.150:
	v_cmp_lt_u32_e32 vcc, v5, v12
	v_cndmask_b32_e32 v6, v8, v13, vcc
	v_lshlrev_b32_e32 v5, 1, v5
	v_cndmask_b32_e32 v1, v9, v14, vcc
	v_add_co_u32_e32 v6, vcc, v6, v5
	v_addc_co_u32_e32 v7, vcc, 0, v1, vcc
	global_store_short v[6:7], v4, off
.LBB451_151:
	s_or_b64 exec, exec, s[2:3]
	v_cmp_eq_u32_e32 vcc, 0, v0
	s_and_b64 s[0:1], vcc, s[22:23]
	s_and_saveexec_b64 s[2:3], s[0:1]
	s_cbranch_execz .LBB451_153
; %bb.152:
	v_mov_b32_e32 v0, 0
	global_store_dwordx2 v0, v[2:3], s[20:21]
.LBB451_153:
	s_endpgm
.LBB451_154:
	v_cmp_lt_u32_e32 vcc, v0, v12
	v_cndmask_b32_e32 v48, v8, v13, vcc
	v_cndmask_b32_e32 v49, v9, v14, vcc
	v_add_co_u32_e32 v48, vcc, v48, v1
	v_addc_co_u32_e32 v49, vcc, 0, v49, vcc
	global_store_short v[48:49], v47, off
	s_or_b64 exec, exec, s[0:1]
	v_cmp_gt_u32_e32 vcc, s33, v45
	s_and_saveexec_b64 s[0:1], vcc
	s_cbranch_execz .LBB451_130
.LBB451_155:
	v_cmp_lt_u32_e32 vcc, v45, v12
	v_cndmask_b32_e32 v47, v8, v13, vcc
	v_cndmask_b32_e32 v45, v9, v14, vcc
	v_add_co_u32_e32 v48, vcc, v47, v1
	v_addc_co_u32_e32 v49, vcc, 0, v45, vcc
	global_store_short v[48:49], v46, off offset:512
	s_or_b64 exec, exec, s[0:1]
	v_cmp_gt_u32_e32 vcc, s33, v43
	s_and_saveexec_b64 s[0:1], vcc
	s_cbranch_execz .LBB451_131
.LBB451_156:
	v_cmp_lt_u32_e32 vcc, v43, v12
	v_cndmask_b32_e32 v45, v8, v13, vcc
	v_cndmask_b32_e32 v43, v9, v14, vcc
	v_add_co_u32_e32 v46, vcc, v45, v1
	v_addc_co_u32_e32 v47, vcc, 0, v43, vcc
	global_store_short v[46:47], v44, off offset:1024
	s_or_b64 exec, exec, s[0:1]
	v_cmp_gt_u32_e32 vcc, s33, v41
	s_and_saveexec_b64 s[0:1], vcc
	s_cbranch_execz .LBB451_132
.LBB451_157:
	v_cmp_lt_u32_e32 vcc, v41, v12
	v_cndmask_b32_e32 v43, v8, v13, vcc
	v_cndmask_b32_e32 v41, v9, v14, vcc
	v_add_co_u32_e32 v44, vcc, v43, v1
	v_addc_co_u32_e32 v45, vcc, 0, v41, vcc
	global_store_short v[44:45], v42, off offset:1536
	s_or_b64 exec, exec, s[0:1]
	v_cmp_gt_u32_e32 vcc, s33, v39
	s_and_saveexec_b64 s[0:1], vcc
	s_cbranch_execz .LBB451_133
.LBB451_158:
	v_cmp_lt_u32_e32 vcc, v39, v12
	v_cndmask_b32_e32 v41, v8, v13, vcc
	v_cndmask_b32_e32 v39, v9, v14, vcc
	v_add_co_u32_e32 v42, vcc, v41, v1
	v_addc_co_u32_e32 v43, vcc, 0, v39, vcc
	global_store_short v[42:43], v40, off offset:2048
	s_or_b64 exec, exec, s[0:1]
	v_cmp_gt_u32_e32 vcc, s33, v37
	s_and_saveexec_b64 s[0:1], vcc
	s_cbranch_execz .LBB451_134
.LBB451_159:
	v_cmp_lt_u32_e32 vcc, v37, v12
	v_cndmask_b32_e32 v39, v8, v13, vcc
	v_cndmask_b32_e32 v37, v9, v14, vcc
	v_add_co_u32_e32 v40, vcc, v39, v1
	v_addc_co_u32_e32 v41, vcc, 0, v37, vcc
	global_store_short v[40:41], v38, off offset:2560
	s_or_b64 exec, exec, s[0:1]
	v_cmp_gt_u32_e32 vcc, s33, v35
	s_and_saveexec_b64 s[0:1], vcc
	s_cbranch_execz .LBB451_135
.LBB451_160:
	v_cmp_lt_u32_e32 vcc, v35, v12
	v_cndmask_b32_e32 v37, v8, v13, vcc
	v_cndmask_b32_e32 v35, v9, v14, vcc
	v_add_co_u32_e32 v38, vcc, v37, v1
	v_addc_co_u32_e32 v39, vcc, 0, v35, vcc
	global_store_short v[38:39], v36, off offset:3072
	s_or_b64 exec, exec, s[0:1]
	v_cmp_gt_u32_e32 vcc, s33, v33
	s_and_saveexec_b64 s[0:1], vcc
	s_cbranch_execz .LBB451_136
.LBB451_161:
	v_cmp_lt_u32_e32 vcc, v33, v12
	v_cndmask_b32_e32 v35, v8, v13, vcc
	v_cndmask_b32_e32 v33, v9, v14, vcc
	v_add_co_u32_e32 v36, vcc, v35, v1
	v_addc_co_u32_e32 v37, vcc, 0, v33, vcc
	global_store_short v[36:37], v34, off offset:3584
	s_or_b64 exec, exec, s[0:1]
	v_cmp_gt_u32_e32 vcc, s33, v31
	s_and_saveexec_b64 s[0:1], vcc
	s_cbranch_execz .LBB451_137
.LBB451_162:
	v_cmp_lt_u32_e32 vcc, v31, v12
	v_cndmask_b32_e32 v33, v8, v13, vcc
	v_lshlrev_b32_e32 v31, 1, v31
	v_cndmask_b32_e32 v1, v9, v14, vcc
	v_add_co_u32_e32 v34, vcc, v33, v31
	v_addc_co_u32_e32 v35, vcc, 0, v1, vcc
	global_store_short v[34:35], v32, off
	s_or_b64 exec, exec, s[0:1]
	v_cmp_gt_u32_e32 vcc, s33, v29
	s_and_saveexec_b64 s[0:1], vcc
	s_cbranch_execz .LBB451_138
.LBB451_163:
	v_cmp_lt_u32_e32 vcc, v29, v12
	v_cndmask_b32_e32 v31, v8, v13, vcc
	v_lshlrev_b32_e32 v29, 1, v29
	v_cndmask_b32_e32 v1, v9, v14, vcc
	v_add_co_u32_e32 v32, vcc, v31, v29
	v_addc_co_u32_e32 v33, vcc, 0, v1, vcc
	global_store_short v[32:33], v30, off
	s_or_b64 exec, exec, s[0:1]
	v_cmp_gt_u32_e32 vcc, s33, v27
	s_and_saveexec_b64 s[0:1], vcc
	s_cbranch_execz .LBB451_139
.LBB451_164:
	v_cmp_lt_u32_e32 vcc, v27, v12
	v_cndmask_b32_e32 v29, v8, v13, vcc
	v_lshlrev_b32_e32 v27, 1, v27
	v_cndmask_b32_e32 v1, v9, v14, vcc
	v_add_co_u32_e32 v30, vcc, v29, v27
	v_addc_co_u32_e32 v31, vcc, 0, v1, vcc
	global_store_short v[30:31], v28, off
	s_or_b64 exec, exec, s[0:1]
	v_cmp_gt_u32_e32 vcc, s33, v25
	s_and_saveexec_b64 s[0:1], vcc
	s_cbranch_execz .LBB451_140
.LBB451_165:
	v_cmp_lt_u32_e32 vcc, v25, v12
	v_cndmask_b32_e32 v27, v8, v13, vcc
	v_lshlrev_b32_e32 v25, 1, v25
	v_cndmask_b32_e32 v1, v9, v14, vcc
	v_add_co_u32_e32 v28, vcc, v27, v25
	v_addc_co_u32_e32 v29, vcc, 0, v1, vcc
	global_store_short v[28:29], v26, off
	s_or_b64 exec, exec, s[0:1]
	v_cmp_gt_u32_e32 vcc, s33, v23
	s_and_saveexec_b64 s[0:1], vcc
	s_cbranch_execz .LBB451_141
.LBB451_166:
	v_cmp_lt_u32_e32 vcc, v23, v12
	v_cndmask_b32_e32 v25, v8, v13, vcc
	v_lshlrev_b32_e32 v23, 1, v23
	v_cndmask_b32_e32 v1, v9, v14, vcc
	v_add_co_u32_e32 v26, vcc, v25, v23
	v_addc_co_u32_e32 v27, vcc, 0, v1, vcc
	global_store_short v[26:27], v24, off
	s_or_b64 exec, exec, s[0:1]
	v_cmp_gt_u32_e32 vcc, s33, v21
	s_and_saveexec_b64 s[0:1], vcc
	s_cbranch_execz .LBB451_142
.LBB451_167:
	v_cmp_lt_u32_e32 vcc, v21, v12
	v_cndmask_b32_e32 v23, v8, v13, vcc
	v_lshlrev_b32_e32 v21, 1, v21
	v_cndmask_b32_e32 v1, v9, v14, vcc
	v_add_co_u32_e32 v24, vcc, v23, v21
	v_addc_co_u32_e32 v25, vcc, 0, v1, vcc
	global_store_short v[24:25], v22, off
	s_or_b64 exec, exec, s[0:1]
	v_cmp_gt_u32_e32 vcc, s33, v19
	s_and_saveexec_b64 s[0:1], vcc
	s_cbranch_execz .LBB451_143
.LBB451_168:
	v_cmp_lt_u32_e32 vcc, v19, v12
	v_cndmask_b32_e32 v21, v8, v13, vcc
	v_lshlrev_b32_e32 v19, 1, v19
	v_cndmask_b32_e32 v1, v9, v14, vcc
	v_add_co_u32_e32 v22, vcc, v21, v19
	v_addc_co_u32_e32 v23, vcc, 0, v1, vcc
	global_store_short v[22:23], v20, off
	s_or_b64 exec, exec, s[0:1]
	v_cmp_gt_u32_e32 vcc, s33, v17
	s_and_saveexec_b64 s[0:1], vcc
	s_cbranch_execz .LBB451_144
.LBB451_169:
	v_cmp_lt_u32_e32 vcc, v17, v12
	v_cndmask_b32_e32 v19, v8, v13, vcc
	v_lshlrev_b32_e32 v17, 1, v17
	v_cndmask_b32_e32 v1, v9, v14, vcc
	v_add_co_u32_e32 v20, vcc, v19, v17
	v_addc_co_u32_e32 v21, vcc, 0, v1, vcc
	global_store_short v[20:21], v18, off
	s_or_b64 exec, exec, s[0:1]
	v_cmp_gt_u32_e32 vcc, s33, v15
	s_and_saveexec_b64 s[0:1], vcc
	s_cbranch_execz .LBB451_145
.LBB451_170:
	v_cmp_lt_u32_e32 vcc, v15, v12
	v_cndmask_b32_e32 v17, v8, v13, vcc
	v_lshlrev_b32_e32 v15, 1, v15
	v_cndmask_b32_e32 v1, v9, v14, vcc
	v_add_co_u32_e32 v18, vcc, v17, v15
	v_addc_co_u32_e32 v19, vcc, 0, v1, vcc
	global_store_short v[18:19], v16, off
	s_or_b64 exec, exec, s[0:1]
	v_cmp_gt_u32_e32 vcc, s33, v10
	s_and_saveexec_b64 s[0:1], vcc
	s_cbranch_execz .LBB451_146
.LBB451_171:
	v_cmp_lt_u32_e32 vcc, v10, v12
	v_cndmask_b32_e32 v15, v8, v13, vcc
	v_lshlrev_b32_e32 v10, 1, v10
	v_cndmask_b32_e32 v1, v9, v14, vcc
	v_add_co_u32_e32 v16, vcc, v15, v10
	v_addc_co_u32_e32 v17, vcc, 0, v1, vcc
	global_store_short v[16:17], v11, off
	s_or_b64 exec, exec, s[0:1]
	v_cmp_gt_u32_e32 vcc, s33, v7
	s_and_saveexec_b64 s[0:1], vcc
	s_cbranch_execnz .LBB451_147
	s_branch .LBB451_148
	.section	.rodata,"a",@progbits
	.p2align	6, 0x0
	.amdhsa_kernel _ZN7rocprim17ROCPRIM_400000_NS6detail17trampoline_kernelINS0_14default_configENS1_25partition_config_selectorILNS1_17partition_subalgoE1EsNS0_10empty_typeEbEEZZNS1_14partition_implILS5_1ELb0ES3_jN6thrust23THRUST_200600_302600_NS6detail15normal_iteratorINSA_10device_ptrIsEEEEPS6_NSA_18transform_iteratorI7is_evenIsESF_NSA_11use_defaultESK_EENS0_5tupleIJSF_SF_EEENSM_IJSG_SG_EEES6_PlJS6_EEE10hipError_tPvRmT3_T4_T5_T6_T7_T9_mT8_P12ihipStream_tbDpT10_ENKUlT_T0_E_clISt17integral_constantIbLb0EES19_EEDaS14_S15_EUlS14_E_NS1_11comp_targetILNS1_3genE4ELNS1_11target_archE910ELNS1_3gpuE8ELNS1_3repE0EEENS1_30default_config_static_selectorELNS0_4arch9wavefront6targetE1EEEvT1_
		.amdhsa_group_segment_fixed_size 10248
		.amdhsa_private_segment_fixed_size 0
		.amdhsa_kernarg_size 128
		.amdhsa_user_sgpr_count 6
		.amdhsa_user_sgpr_private_segment_buffer 1
		.amdhsa_user_sgpr_dispatch_ptr 0
		.amdhsa_user_sgpr_queue_ptr 0
		.amdhsa_user_sgpr_kernarg_segment_ptr 1
		.amdhsa_user_sgpr_dispatch_id 0
		.amdhsa_user_sgpr_flat_scratch_init 0
		.amdhsa_user_sgpr_kernarg_preload_length 0
		.amdhsa_user_sgpr_kernarg_preload_offset 0
		.amdhsa_user_sgpr_private_segment_size 0
		.amdhsa_uses_dynamic_stack 0
		.amdhsa_system_sgpr_private_segment_wavefront_offset 0
		.amdhsa_system_sgpr_workgroup_id_x 1
		.amdhsa_system_sgpr_workgroup_id_y 0
		.amdhsa_system_sgpr_workgroup_id_z 0
		.amdhsa_system_sgpr_workgroup_info 0
		.amdhsa_system_vgpr_workitem_id 0
		.amdhsa_next_free_vgpr 65
		.amdhsa_next_free_sgpr 44
		.amdhsa_accum_offset 68
		.amdhsa_reserve_vcc 1
		.amdhsa_reserve_flat_scratch 0
		.amdhsa_float_round_mode_32 0
		.amdhsa_float_round_mode_16_64 0
		.amdhsa_float_denorm_mode_32 3
		.amdhsa_float_denorm_mode_16_64 3
		.amdhsa_dx10_clamp 1
		.amdhsa_ieee_mode 1
		.amdhsa_fp16_overflow 0
		.amdhsa_tg_split 0
		.amdhsa_exception_fp_ieee_invalid_op 0
		.amdhsa_exception_fp_denorm_src 0
		.amdhsa_exception_fp_ieee_div_zero 0
		.amdhsa_exception_fp_ieee_overflow 0
		.amdhsa_exception_fp_ieee_underflow 0
		.amdhsa_exception_fp_ieee_inexact 0
		.amdhsa_exception_int_div_zero 0
	.end_amdhsa_kernel
	.section	.text._ZN7rocprim17ROCPRIM_400000_NS6detail17trampoline_kernelINS0_14default_configENS1_25partition_config_selectorILNS1_17partition_subalgoE1EsNS0_10empty_typeEbEEZZNS1_14partition_implILS5_1ELb0ES3_jN6thrust23THRUST_200600_302600_NS6detail15normal_iteratorINSA_10device_ptrIsEEEEPS6_NSA_18transform_iteratorI7is_evenIsESF_NSA_11use_defaultESK_EENS0_5tupleIJSF_SF_EEENSM_IJSG_SG_EEES6_PlJS6_EEE10hipError_tPvRmT3_T4_T5_T6_T7_T9_mT8_P12ihipStream_tbDpT10_ENKUlT_T0_E_clISt17integral_constantIbLb0EES19_EEDaS14_S15_EUlS14_E_NS1_11comp_targetILNS1_3genE4ELNS1_11target_archE910ELNS1_3gpuE8ELNS1_3repE0EEENS1_30default_config_static_selectorELNS0_4arch9wavefront6targetE1EEEvT1_,"axG",@progbits,_ZN7rocprim17ROCPRIM_400000_NS6detail17trampoline_kernelINS0_14default_configENS1_25partition_config_selectorILNS1_17partition_subalgoE1EsNS0_10empty_typeEbEEZZNS1_14partition_implILS5_1ELb0ES3_jN6thrust23THRUST_200600_302600_NS6detail15normal_iteratorINSA_10device_ptrIsEEEEPS6_NSA_18transform_iteratorI7is_evenIsESF_NSA_11use_defaultESK_EENS0_5tupleIJSF_SF_EEENSM_IJSG_SG_EEES6_PlJS6_EEE10hipError_tPvRmT3_T4_T5_T6_T7_T9_mT8_P12ihipStream_tbDpT10_ENKUlT_T0_E_clISt17integral_constantIbLb0EES19_EEDaS14_S15_EUlS14_E_NS1_11comp_targetILNS1_3genE4ELNS1_11target_archE910ELNS1_3gpuE8ELNS1_3repE0EEENS1_30default_config_static_selectorELNS0_4arch9wavefront6targetE1EEEvT1_,comdat
.Lfunc_end451:
	.size	_ZN7rocprim17ROCPRIM_400000_NS6detail17trampoline_kernelINS0_14default_configENS1_25partition_config_selectorILNS1_17partition_subalgoE1EsNS0_10empty_typeEbEEZZNS1_14partition_implILS5_1ELb0ES3_jN6thrust23THRUST_200600_302600_NS6detail15normal_iteratorINSA_10device_ptrIsEEEEPS6_NSA_18transform_iteratorI7is_evenIsESF_NSA_11use_defaultESK_EENS0_5tupleIJSF_SF_EEENSM_IJSG_SG_EEES6_PlJS6_EEE10hipError_tPvRmT3_T4_T5_T6_T7_T9_mT8_P12ihipStream_tbDpT10_ENKUlT_T0_E_clISt17integral_constantIbLb0EES19_EEDaS14_S15_EUlS14_E_NS1_11comp_targetILNS1_3genE4ELNS1_11target_archE910ELNS1_3gpuE8ELNS1_3repE0EEENS1_30default_config_static_selectorELNS0_4arch9wavefront6targetE1EEEvT1_, .Lfunc_end451-_ZN7rocprim17ROCPRIM_400000_NS6detail17trampoline_kernelINS0_14default_configENS1_25partition_config_selectorILNS1_17partition_subalgoE1EsNS0_10empty_typeEbEEZZNS1_14partition_implILS5_1ELb0ES3_jN6thrust23THRUST_200600_302600_NS6detail15normal_iteratorINSA_10device_ptrIsEEEEPS6_NSA_18transform_iteratorI7is_evenIsESF_NSA_11use_defaultESK_EENS0_5tupleIJSF_SF_EEENSM_IJSG_SG_EEES6_PlJS6_EEE10hipError_tPvRmT3_T4_T5_T6_T7_T9_mT8_P12ihipStream_tbDpT10_ENKUlT_T0_E_clISt17integral_constantIbLb0EES19_EEDaS14_S15_EUlS14_E_NS1_11comp_targetILNS1_3genE4ELNS1_11target_archE910ELNS1_3gpuE8ELNS1_3repE0EEENS1_30default_config_static_selectorELNS0_4arch9wavefront6targetE1EEEvT1_
                                        ; -- End function
	.section	.AMDGPU.csdata,"",@progbits
; Kernel info:
; codeLenInByte = 8796
; NumSgprs: 48
; NumVgprs: 65
; NumAgprs: 0
; TotalNumVgprs: 65
; ScratchSize: 0
; MemoryBound: 0
; FloatMode: 240
; IeeeMode: 1
; LDSByteSize: 10248 bytes/workgroup (compile time only)
; SGPRBlocks: 5
; VGPRBlocks: 8
; NumSGPRsForWavesPerEU: 48
; NumVGPRsForWavesPerEU: 65
; AccumOffset: 68
; Occupancy: 6
; WaveLimiterHint : 1
; COMPUTE_PGM_RSRC2:SCRATCH_EN: 0
; COMPUTE_PGM_RSRC2:USER_SGPR: 6
; COMPUTE_PGM_RSRC2:TRAP_HANDLER: 0
; COMPUTE_PGM_RSRC2:TGID_X_EN: 1
; COMPUTE_PGM_RSRC2:TGID_Y_EN: 0
; COMPUTE_PGM_RSRC2:TGID_Z_EN: 0
; COMPUTE_PGM_RSRC2:TIDIG_COMP_CNT: 0
; COMPUTE_PGM_RSRC3_GFX90A:ACCUM_OFFSET: 16
; COMPUTE_PGM_RSRC3_GFX90A:TG_SPLIT: 0
	.section	.text._ZN7rocprim17ROCPRIM_400000_NS6detail17trampoline_kernelINS0_14default_configENS1_25partition_config_selectorILNS1_17partition_subalgoE1EsNS0_10empty_typeEbEEZZNS1_14partition_implILS5_1ELb0ES3_jN6thrust23THRUST_200600_302600_NS6detail15normal_iteratorINSA_10device_ptrIsEEEEPS6_NSA_18transform_iteratorI7is_evenIsESF_NSA_11use_defaultESK_EENS0_5tupleIJSF_SF_EEENSM_IJSG_SG_EEES6_PlJS6_EEE10hipError_tPvRmT3_T4_T5_T6_T7_T9_mT8_P12ihipStream_tbDpT10_ENKUlT_T0_E_clISt17integral_constantIbLb0EES19_EEDaS14_S15_EUlS14_E_NS1_11comp_targetILNS1_3genE3ELNS1_11target_archE908ELNS1_3gpuE7ELNS1_3repE0EEENS1_30default_config_static_selectorELNS0_4arch9wavefront6targetE1EEEvT1_,"axG",@progbits,_ZN7rocprim17ROCPRIM_400000_NS6detail17trampoline_kernelINS0_14default_configENS1_25partition_config_selectorILNS1_17partition_subalgoE1EsNS0_10empty_typeEbEEZZNS1_14partition_implILS5_1ELb0ES3_jN6thrust23THRUST_200600_302600_NS6detail15normal_iteratorINSA_10device_ptrIsEEEEPS6_NSA_18transform_iteratorI7is_evenIsESF_NSA_11use_defaultESK_EENS0_5tupleIJSF_SF_EEENSM_IJSG_SG_EEES6_PlJS6_EEE10hipError_tPvRmT3_T4_T5_T6_T7_T9_mT8_P12ihipStream_tbDpT10_ENKUlT_T0_E_clISt17integral_constantIbLb0EES19_EEDaS14_S15_EUlS14_E_NS1_11comp_targetILNS1_3genE3ELNS1_11target_archE908ELNS1_3gpuE7ELNS1_3repE0EEENS1_30default_config_static_selectorELNS0_4arch9wavefront6targetE1EEEvT1_,comdat
	.protected	_ZN7rocprim17ROCPRIM_400000_NS6detail17trampoline_kernelINS0_14default_configENS1_25partition_config_selectorILNS1_17partition_subalgoE1EsNS0_10empty_typeEbEEZZNS1_14partition_implILS5_1ELb0ES3_jN6thrust23THRUST_200600_302600_NS6detail15normal_iteratorINSA_10device_ptrIsEEEEPS6_NSA_18transform_iteratorI7is_evenIsESF_NSA_11use_defaultESK_EENS0_5tupleIJSF_SF_EEENSM_IJSG_SG_EEES6_PlJS6_EEE10hipError_tPvRmT3_T4_T5_T6_T7_T9_mT8_P12ihipStream_tbDpT10_ENKUlT_T0_E_clISt17integral_constantIbLb0EES19_EEDaS14_S15_EUlS14_E_NS1_11comp_targetILNS1_3genE3ELNS1_11target_archE908ELNS1_3gpuE7ELNS1_3repE0EEENS1_30default_config_static_selectorELNS0_4arch9wavefront6targetE1EEEvT1_ ; -- Begin function _ZN7rocprim17ROCPRIM_400000_NS6detail17trampoline_kernelINS0_14default_configENS1_25partition_config_selectorILNS1_17partition_subalgoE1EsNS0_10empty_typeEbEEZZNS1_14partition_implILS5_1ELb0ES3_jN6thrust23THRUST_200600_302600_NS6detail15normal_iteratorINSA_10device_ptrIsEEEEPS6_NSA_18transform_iteratorI7is_evenIsESF_NSA_11use_defaultESK_EENS0_5tupleIJSF_SF_EEENSM_IJSG_SG_EEES6_PlJS6_EEE10hipError_tPvRmT3_T4_T5_T6_T7_T9_mT8_P12ihipStream_tbDpT10_ENKUlT_T0_E_clISt17integral_constantIbLb0EES19_EEDaS14_S15_EUlS14_E_NS1_11comp_targetILNS1_3genE3ELNS1_11target_archE908ELNS1_3gpuE7ELNS1_3repE0EEENS1_30default_config_static_selectorELNS0_4arch9wavefront6targetE1EEEvT1_
	.globl	_ZN7rocprim17ROCPRIM_400000_NS6detail17trampoline_kernelINS0_14default_configENS1_25partition_config_selectorILNS1_17partition_subalgoE1EsNS0_10empty_typeEbEEZZNS1_14partition_implILS5_1ELb0ES3_jN6thrust23THRUST_200600_302600_NS6detail15normal_iteratorINSA_10device_ptrIsEEEEPS6_NSA_18transform_iteratorI7is_evenIsESF_NSA_11use_defaultESK_EENS0_5tupleIJSF_SF_EEENSM_IJSG_SG_EEES6_PlJS6_EEE10hipError_tPvRmT3_T4_T5_T6_T7_T9_mT8_P12ihipStream_tbDpT10_ENKUlT_T0_E_clISt17integral_constantIbLb0EES19_EEDaS14_S15_EUlS14_E_NS1_11comp_targetILNS1_3genE3ELNS1_11target_archE908ELNS1_3gpuE7ELNS1_3repE0EEENS1_30default_config_static_selectorELNS0_4arch9wavefront6targetE1EEEvT1_
	.p2align	8
	.type	_ZN7rocprim17ROCPRIM_400000_NS6detail17trampoline_kernelINS0_14default_configENS1_25partition_config_selectorILNS1_17partition_subalgoE1EsNS0_10empty_typeEbEEZZNS1_14partition_implILS5_1ELb0ES3_jN6thrust23THRUST_200600_302600_NS6detail15normal_iteratorINSA_10device_ptrIsEEEEPS6_NSA_18transform_iteratorI7is_evenIsESF_NSA_11use_defaultESK_EENS0_5tupleIJSF_SF_EEENSM_IJSG_SG_EEES6_PlJS6_EEE10hipError_tPvRmT3_T4_T5_T6_T7_T9_mT8_P12ihipStream_tbDpT10_ENKUlT_T0_E_clISt17integral_constantIbLb0EES19_EEDaS14_S15_EUlS14_E_NS1_11comp_targetILNS1_3genE3ELNS1_11target_archE908ELNS1_3gpuE7ELNS1_3repE0EEENS1_30default_config_static_selectorELNS0_4arch9wavefront6targetE1EEEvT1_,@function
_ZN7rocprim17ROCPRIM_400000_NS6detail17trampoline_kernelINS0_14default_configENS1_25partition_config_selectorILNS1_17partition_subalgoE1EsNS0_10empty_typeEbEEZZNS1_14partition_implILS5_1ELb0ES3_jN6thrust23THRUST_200600_302600_NS6detail15normal_iteratorINSA_10device_ptrIsEEEEPS6_NSA_18transform_iteratorI7is_evenIsESF_NSA_11use_defaultESK_EENS0_5tupleIJSF_SF_EEENSM_IJSG_SG_EEES6_PlJS6_EEE10hipError_tPvRmT3_T4_T5_T6_T7_T9_mT8_P12ihipStream_tbDpT10_ENKUlT_T0_E_clISt17integral_constantIbLb0EES19_EEDaS14_S15_EUlS14_E_NS1_11comp_targetILNS1_3genE3ELNS1_11target_archE908ELNS1_3gpuE7ELNS1_3repE0EEENS1_30default_config_static_selectorELNS0_4arch9wavefront6targetE1EEEvT1_: ; @_ZN7rocprim17ROCPRIM_400000_NS6detail17trampoline_kernelINS0_14default_configENS1_25partition_config_selectorILNS1_17partition_subalgoE1EsNS0_10empty_typeEbEEZZNS1_14partition_implILS5_1ELb0ES3_jN6thrust23THRUST_200600_302600_NS6detail15normal_iteratorINSA_10device_ptrIsEEEEPS6_NSA_18transform_iteratorI7is_evenIsESF_NSA_11use_defaultESK_EENS0_5tupleIJSF_SF_EEENSM_IJSG_SG_EEES6_PlJS6_EEE10hipError_tPvRmT3_T4_T5_T6_T7_T9_mT8_P12ihipStream_tbDpT10_ENKUlT_T0_E_clISt17integral_constantIbLb0EES19_EEDaS14_S15_EUlS14_E_NS1_11comp_targetILNS1_3genE3ELNS1_11target_archE908ELNS1_3gpuE7ELNS1_3repE0EEENS1_30default_config_static_selectorELNS0_4arch9wavefront6targetE1EEEvT1_
; %bb.0:
	.section	.rodata,"a",@progbits
	.p2align	6, 0x0
	.amdhsa_kernel _ZN7rocprim17ROCPRIM_400000_NS6detail17trampoline_kernelINS0_14default_configENS1_25partition_config_selectorILNS1_17partition_subalgoE1EsNS0_10empty_typeEbEEZZNS1_14partition_implILS5_1ELb0ES3_jN6thrust23THRUST_200600_302600_NS6detail15normal_iteratorINSA_10device_ptrIsEEEEPS6_NSA_18transform_iteratorI7is_evenIsESF_NSA_11use_defaultESK_EENS0_5tupleIJSF_SF_EEENSM_IJSG_SG_EEES6_PlJS6_EEE10hipError_tPvRmT3_T4_T5_T6_T7_T9_mT8_P12ihipStream_tbDpT10_ENKUlT_T0_E_clISt17integral_constantIbLb0EES19_EEDaS14_S15_EUlS14_E_NS1_11comp_targetILNS1_3genE3ELNS1_11target_archE908ELNS1_3gpuE7ELNS1_3repE0EEENS1_30default_config_static_selectorELNS0_4arch9wavefront6targetE1EEEvT1_
		.amdhsa_group_segment_fixed_size 0
		.amdhsa_private_segment_fixed_size 0
		.amdhsa_kernarg_size 128
		.amdhsa_user_sgpr_count 6
		.amdhsa_user_sgpr_private_segment_buffer 1
		.amdhsa_user_sgpr_dispatch_ptr 0
		.amdhsa_user_sgpr_queue_ptr 0
		.amdhsa_user_sgpr_kernarg_segment_ptr 1
		.amdhsa_user_sgpr_dispatch_id 0
		.amdhsa_user_sgpr_flat_scratch_init 0
		.amdhsa_user_sgpr_kernarg_preload_length 0
		.amdhsa_user_sgpr_kernarg_preload_offset 0
		.amdhsa_user_sgpr_private_segment_size 0
		.amdhsa_uses_dynamic_stack 0
		.amdhsa_system_sgpr_private_segment_wavefront_offset 0
		.amdhsa_system_sgpr_workgroup_id_x 1
		.amdhsa_system_sgpr_workgroup_id_y 0
		.amdhsa_system_sgpr_workgroup_id_z 0
		.amdhsa_system_sgpr_workgroup_info 0
		.amdhsa_system_vgpr_workitem_id 0
		.amdhsa_next_free_vgpr 1
		.amdhsa_next_free_sgpr 0
		.amdhsa_accum_offset 4
		.amdhsa_reserve_vcc 0
		.amdhsa_reserve_flat_scratch 0
		.amdhsa_float_round_mode_32 0
		.amdhsa_float_round_mode_16_64 0
		.amdhsa_float_denorm_mode_32 3
		.amdhsa_float_denorm_mode_16_64 3
		.amdhsa_dx10_clamp 1
		.amdhsa_ieee_mode 1
		.amdhsa_fp16_overflow 0
		.amdhsa_tg_split 0
		.amdhsa_exception_fp_ieee_invalid_op 0
		.amdhsa_exception_fp_denorm_src 0
		.amdhsa_exception_fp_ieee_div_zero 0
		.amdhsa_exception_fp_ieee_overflow 0
		.amdhsa_exception_fp_ieee_underflow 0
		.amdhsa_exception_fp_ieee_inexact 0
		.amdhsa_exception_int_div_zero 0
	.end_amdhsa_kernel
	.section	.text._ZN7rocprim17ROCPRIM_400000_NS6detail17trampoline_kernelINS0_14default_configENS1_25partition_config_selectorILNS1_17partition_subalgoE1EsNS0_10empty_typeEbEEZZNS1_14partition_implILS5_1ELb0ES3_jN6thrust23THRUST_200600_302600_NS6detail15normal_iteratorINSA_10device_ptrIsEEEEPS6_NSA_18transform_iteratorI7is_evenIsESF_NSA_11use_defaultESK_EENS0_5tupleIJSF_SF_EEENSM_IJSG_SG_EEES6_PlJS6_EEE10hipError_tPvRmT3_T4_T5_T6_T7_T9_mT8_P12ihipStream_tbDpT10_ENKUlT_T0_E_clISt17integral_constantIbLb0EES19_EEDaS14_S15_EUlS14_E_NS1_11comp_targetILNS1_3genE3ELNS1_11target_archE908ELNS1_3gpuE7ELNS1_3repE0EEENS1_30default_config_static_selectorELNS0_4arch9wavefront6targetE1EEEvT1_,"axG",@progbits,_ZN7rocprim17ROCPRIM_400000_NS6detail17trampoline_kernelINS0_14default_configENS1_25partition_config_selectorILNS1_17partition_subalgoE1EsNS0_10empty_typeEbEEZZNS1_14partition_implILS5_1ELb0ES3_jN6thrust23THRUST_200600_302600_NS6detail15normal_iteratorINSA_10device_ptrIsEEEEPS6_NSA_18transform_iteratorI7is_evenIsESF_NSA_11use_defaultESK_EENS0_5tupleIJSF_SF_EEENSM_IJSG_SG_EEES6_PlJS6_EEE10hipError_tPvRmT3_T4_T5_T6_T7_T9_mT8_P12ihipStream_tbDpT10_ENKUlT_T0_E_clISt17integral_constantIbLb0EES19_EEDaS14_S15_EUlS14_E_NS1_11comp_targetILNS1_3genE3ELNS1_11target_archE908ELNS1_3gpuE7ELNS1_3repE0EEENS1_30default_config_static_selectorELNS0_4arch9wavefront6targetE1EEEvT1_,comdat
.Lfunc_end452:
	.size	_ZN7rocprim17ROCPRIM_400000_NS6detail17trampoline_kernelINS0_14default_configENS1_25partition_config_selectorILNS1_17partition_subalgoE1EsNS0_10empty_typeEbEEZZNS1_14partition_implILS5_1ELb0ES3_jN6thrust23THRUST_200600_302600_NS6detail15normal_iteratorINSA_10device_ptrIsEEEEPS6_NSA_18transform_iteratorI7is_evenIsESF_NSA_11use_defaultESK_EENS0_5tupleIJSF_SF_EEENSM_IJSG_SG_EEES6_PlJS6_EEE10hipError_tPvRmT3_T4_T5_T6_T7_T9_mT8_P12ihipStream_tbDpT10_ENKUlT_T0_E_clISt17integral_constantIbLb0EES19_EEDaS14_S15_EUlS14_E_NS1_11comp_targetILNS1_3genE3ELNS1_11target_archE908ELNS1_3gpuE7ELNS1_3repE0EEENS1_30default_config_static_selectorELNS0_4arch9wavefront6targetE1EEEvT1_, .Lfunc_end452-_ZN7rocprim17ROCPRIM_400000_NS6detail17trampoline_kernelINS0_14default_configENS1_25partition_config_selectorILNS1_17partition_subalgoE1EsNS0_10empty_typeEbEEZZNS1_14partition_implILS5_1ELb0ES3_jN6thrust23THRUST_200600_302600_NS6detail15normal_iteratorINSA_10device_ptrIsEEEEPS6_NSA_18transform_iteratorI7is_evenIsESF_NSA_11use_defaultESK_EENS0_5tupleIJSF_SF_EEENSM_IJSG_SG_EEES6_PlJS6_EEE10hipError_tPvRmT3_T4_T5_T6_T7_T9_mT8_P12ihipStream_tbDpT10_ENKUlT_T0_E_clISt17integral_constantIbLb0EES19_EEDaS14_S15_EUlS14_E_NS1_11comp_targetILNS1_3genE3ELNS1_11target_archE908ELNS1_3gpuE7ELNS1_3repE0EEENS1_30default_config_static_selectorELNS0_4arch9wavefront6targetE1EEEvT1_
                                        ; -- End function
	.section	.AMDGPU.csdata,"",@progbits
; Kernel info:
; codeLenInByte = 0
; NumSgprs: 4
; NumVgprs: 0
; NumAgprs: 0
; TotalNumVgprs: 0
; ScratchSize: 0
; MemoryBound: 0
; FloatMode: 240
; IeeeMode: 1
; LDSByteSize: 0 bytes/workgroup (compile time only)
; SGPRBlocks: 0
; VGPRBlocks: 0
; NumSGPRsForWavesPerEU: 4
; NumVGPRsForWavesPerEU: 1
; AccumOffset: 4
; Occupancy: 8
; WaveLimiterHint : 0
; COMPUTE_PGM_RSRC2:SCRATCH_EN: 0
; COMPUTE_PGM_RSRC2:USER_SGPR: 6
; COMPUTE_PGM_RSRC2:TRAP_HANDLER: 0
; COMPUTE_PGM_RSRC2:TGID_X_EN: 1
; COMPUTE_PGM_RSRC2:TGID_Y_EN: 0
; COMPUTE_PGM_RSRC2:TGID_Z_EN: 0
; COMPUTE_PGM_RSRC2:TIDIG_COMP_CNT: 0
; COMPUTE_PGM_RSRC3_GFX90A:ACCUM_OFFSET: 0
; COMPUTE_PGM_RSRC3_GFX90A:TG_SPLIT: 0
	.section	.text._ZN7rocprim17ROCPRIM_400000_NS6detail17trampoline_kernelINS0_14default_configENS1_25partition_config_selectorILNS1_17partition_subalgoE1EsNS0_10empty_typeEbEEZZNS1_14partition_implILS5_1ELb0ES3_jN6thrust23THRUST_200600_302600_NS6detail15normal_iteratorINSA_10device_ptrIsEEEEPS6_NSA_18transform_iteratorI7is_evenIsESF_NSA_11use_defaultESK_EENS0_5tupleIJSF_SF_EEENSM_IJSG_SG_EEES6_PlJS6_EEE10hipError_tPvRmT3_T4_T5_T6_T7_T9_mT8_P12ihipStream_tbDpT10_ENKUlT_T0_E_clISt17integral_constantIbLb0EES19_EEDaS14_S15_EUlS14_E_NS1_11comp_targetILNS1_3genE2ELNS1_11target_archE906ELNS1_3gpuE6ELNS1_3repE0EEENS1_30default_config_static_selectorELNS0_4arch9wavefront6targetE1EEEvT1_,"axG",@progbits,_ZN7rocprim17ROCPRIM_400000_NS6detail17trampoline_kernelINS0_14default_configENS1_25partition_config_selectorILNS1_17partition_subalgoE1EsNS0_10empty_typeEbEEZZNS1_14partition_implILS5_1ELb0ES3_jN6thrust23THRUST_200600_302600_NS6detail15normal_iteratorINSA_10device_ptrIsEEEEPS6_NSA_18transform_iteratorI7is_evenIsESF_NSA_11use_defaultESK_EENS0_5tupleIJSF_SF_EEENSM_IJSG_SG_EEES6_PlJS6_EEE10hipError_tPvRmT3_T4_T5_T6_T7_T9_mT8_P12ihipStream_tbDpT10_ENKUlT_T0_E_clISt17integral_constantIbLb0EES19_EEDaS14_S15_EUlS14_E_NS1_11comp_targetILNS1_3genE2ELNS1_11target_archE906ELNS1_3gpuE6ELNS1_3repE0EEENS1_30default_config_static_selectorELNS0_4arch9wavefront6targetE1EEEvT1_,comdat
	.protected	_ZN7rocprim17ROCPRIM_400000_NS6detail17trampoline_kernelINS0_14default_configENS1_25partition_config_selectorILNS1_17partition_subalgoE1EsNS0_10empty_typeEbEEZZNS1_14partition_implILS5_1ELb0ES3_jN6thrust23THRUST_200600_302600_NS6detail15normal_iteratorINSA_10device_ptrIsEEEEPS6_NSA_18transform_iteratorI7is_evenIsESF_NSA_11use_defaultESK_EENS0_5tupleIJSF_SF_EEENSM_IJSG_SG_EEES6_PlJS6_EEE10hipError_tPvRmT3_T4_T5_T6_T7_T9_mT8_P12ihipStream_tbDpT10_ENKUlT_T0_E_clISt17integral_constantIbLb0EES19_EEDaS14_S15_EUlS14_E_NS1_11comp_targetILNS1_3genE2ELNS1_11target_archE906ELNS1_3gpuE6ELNS1_3repE0EEENS1_30default_config_static_selectorELNS0_4arch9wavefront6targetE1EEEvT1_ ; -- Begin function _ZN7rocprim17ROCPRIM_400000_NS6detail17trampoline_kernelINS0_14default_configENS1_25partition_config_selectorILNS1_17partition_subalgoE1EsNS0_10empty_typeEbEEZZNS1_14partition_implILS5_1ELb0ES3_jN6thrust23THRUST_200600_302600_NS6detail15normal_iteratorINSA_10device_ptrIsEEEEPS6_NSA_18transform_iteratorI7is_evenIsESF_NSA_11use_defaultESK_EENS0_5tupleIJSF_SF_EEENSM_IJSG_SG_EEES6_PlJS6_EEE10hipError_tPvRmT3_T4_T5_T6_T7_T9_mT8_P12ihipStream_tbDpT10_ENKUlT_T0_E_clISt17integral_constantIbLb0EES19_EEDaS14_S15_EUlS14_E_NS1_11comp_targetILNS1_3genE2ELNS1_11target_archE906ELNS1_3gpuE6ELNS1_3repE0EEENS1_30default_config_static_selectorELNS0_4arch9wavefront6targetE1EEEvT1_
	.globl	_ZN7rocprim17ROCPRIM_400000_NS6detail17trampoline_kernelINS0_14default_configENS1_25partition_config_selectorILNS1_17partition_subalgoE1EsNS0_10empty_typeEbEEZZNS1_14partition_implILS5_1ELb0ES3_jN6thrust23THRUST_200600_302600_NS6detail15normal_iteratorINSA_10device_ptrIsEEEEPS6_NSA_18transform_iteratorI7is_evenIsESF_NSA_11use_defaultESK_EENS0_5tupleIJSF_SF_EEENSM_IJSG_SG_EEES6_PlJS6_EEE10hipError_tPvRmT3_T4_T5_T6_T7_T9_mT8_P12ihipStream_tbDpT10_ENKUlT_T0_E_clISt17integral_constantIbLb0EES19_EEDaS14_S15_EUlS14_E_NS1_11comp_targetILNS1_3genE2ELNS1_11target_archE906ELNS1_3gpuE6ELNS1_3repE0EEENS1_30default_config_static_selectorELNS0_4arch9wavefront6targetE1EEEvT1_
	.p2align	8
	.type	_ZN7rocprim17ROCPRIM_400000_NS6detail17trampoline_kernelINS0_14default_configENS1_25partition_config_selectorILNS1_17partition_subalgoE1EsNS0_10empty_typeEbEEZZNS1_14partition_implILS5_1ELb0ES3_jN6thrust23THRUST_200600_302600_NS6detail15normal_iteratorINSA_10device_ptrIsEEEEPS6_NSA_18transform_iteratorI7is_evenIsESF_NSA_11use_defaultESK_EENS0_5tupleIJSF_SF_EEENSM_IJSG_SG_EEES6_PlJS6_EEE10hipError_tPvRmT3_T4_T5_T6_T7_T9_mT8_P12ihipStream_tbDpT10_ENKUlT_T0_E_clISt17integral_constantIbLb0EES19_EEDaS14_S15_EUlS14_E_NS1_11comp_targetILNS1_3genE2ELNS1_11target_archE906ELNS1_3gpuE6ELNS1_3repE0EEENS1_30default_config_static_selectorELNS0_4arch9wavefront6targetE1EEEvT1_,@function
_ZN7rocprim17ROCPRIM_400000_NS6detail17trampoline_kernelINS0_14default_configENS1_25partition_config_selectorILNS1_17partition_subalgoE1EsNS0_10empty_typeEbEEZZNS1_14partition_implILS5_1ELb0ES3_jN6thrust23THRUST_200600_302600_NS6detail15normal_iteratorINSA_10device_ptrIsEEEEPS6_NSA_18transform_iteratorI7is_evenIsESF_NSA_11use_defaultESK_EENS0_5tupleIJSF_SF_EEENSM_IJSG_SG_EEES6_PlJS6_EEE10hipError_tPvRmT3_T4_T5_T6_T7_T9_mT8_P12ihipStream_tbDpT10_ENKUlT_T0_E_clISt17integral_constantIbLb0EES19_EEDaS14_S15_EUlS14_E_NS1_11comp_targetILNS1_3genE2ELNS1_11target_archE906ELNS1_3gpuE6ELNS1_3repE0EEENS1_30default_config_static_selectorELNS0_4arch9wavefront6targetE1EEEvT1_: ; @_ZN7rocprim17ROCPRIM_400000_NS6detail17trampoline_kernelINS0_14default_configENS1_25partition_config_selectorILNS1_17partition_subalgoE1EsNS0_10empty_typeEbEEZZNS1_14partition_implILS5_1ELb0ES3_jN6thrust23THRUST_200600_302600_NS6detail15normal_iteratorINSA_10device_ptrIsEEEEPS6_NSA_18transform_iteratorI7is_evenIsESF_NSA_11use_defaultESK_EENS0_5tupleIJSF_SF_EEENSM_IJSG_SG_EEES6_PlJS6_EEE10hipError_tPvRmT3_T4_T5_T6_T7_T9_mT8_P12ihipStream_tbDpT10_ENKUlT_T0_E_clISt17integral_constantIbLb0EES19_EEDaS14_S15_EUlS14_E_NS1_11comp_targetILNS1_3genE2ELNS1_11target_archE906ELNS1_3gpuE6ELNS1_3repE0EEENS1_30default_config_static_selectorELNS0_4arch9wavefront6targetE1EEEvT1_
; %bb.0:
	.section	.rodata,"a",@progbits
	.p2align	6, 0x0
	.amdhsa_kernel _ZN7rocprim17ROCPRIM_400000_NS6detail17trampoline_kernelINS0_14default_configENS1_25partition_config_selectorILNS1_17partition_subalgoE1EsNS0_10empty_typeEbEEZZNS1_14partition_implILS5_1ELb0ES3_jN6thrust23THRUST_200600_302600_NS6detail15normal_iteratorINSA_10device_ptrIsEEEEPS6_NSA_18transform_iteratorI7is_evenIsESF_NSA_11use_defaultESK_EENS0_5tupleIJSF_SF_EEENSM_IJSG_SG_EEES6_PlJS6_EEE10hipError_tPvRmT3_T4_T5_T6_T7_T9_mT8_P12ihipStream_tbDpT10_ENKUlT_T0_E_clISt17integral_constantIbLb0EES19_EEDaS14_S15_EUlS14_E_NS1_11comp_targetILNS1_3genE2ELNS1_11target_archE906ELNS1_3gpuE6ELNS1_3repE0EEENS1_30default_config_static_selectorELNS0_4arch9wavefront6targetE1EEEvT1_
		.amdhsa_group_segment_fixed_size 0
		.amdhsa_private_segment_fixed_size 0
		.amdhsa_kernarg_size 128
		.amdhsa_user_sgpr_count 6
		.amdhsa_user_sgpr_private_segment_buffer 1
		.amdhsa_user_sgpr_dispatch_ptr 0
		.amdhsa_user_sgpr_queue_ptr 0
		.amdhsa_user_sgpr_kernarg_segment_ptr 1
		.amdhsa_user_sgpr_dispatch_id 0
		.amdhsa_user_sgpr_flat_scratch_init 0
		.amdhsa_user_sgpr_kernarg_preload_length 0
		.amdhsa_user_sgpr_kernarg_preload_offset 0
		.amdhsa_user_sgpr_private_segment_size 0
		.amdhsa_uses_dynamic_stack 0
		.amdhsa_system_sgpr_private_segment_wavefront_offset 0
		.amdhsa_system_sgpr_workgroup_id_x 1
		.amdhsa_system_sgpr_workgroup_id_y 0
		.amdhsa_system_sgpr_workgroup_id_z 0
		.amdhsa_system_sgpr_workgroup_info 0
		.amdhsa_system_vgpr_workitem_id 0
		.amdhsa_next_free_vgpr 1
		.amdhsa_next_free_sgpr 0
		.amdhsa_accum_offset 4
		.amdhsa_reserve_vcc 0
		.amdhsa_reserve_flat_scratch 0
		.amdhsa_float_round_mode_32 0
		.amdhsa_float_round_mode_16_64 0
		.amdhsa_float_denorm_mode_32 3
		.amdhsa_float_denorm_mode_16_64 3
		.amdhsa_dx10_clamp 1
		.amdhsa_ieee_mode 1
		.amdhsa_fp16_overflow 0
		.amdhsa_tg_split 0
		.amdhsa_exception_fp_ieee_invalid_op 0
		.amdhsa_exception_fp_denorm_src 0
		.amdhsa_exception_fp_ieee_div_zero 0
		.amdhsa_exception_fp_ieee_overflow 0
		.amdhsa_exception_fp_ieee_underflow 0
		.amdhsa_exception_fp_ieee_inexact 0
		.amdhsa_exception_int_div_zero 0
	.end_amdhsa_kernel
	.section	.text._ZN7rocprim17ROCPRIM_400000_NS6detail17trampoline_kernelINS0_14default_configENS1_25partition_config_selectorILNS1_17partition_subalgoE1EsNS0_10empty_typeEbEEZZNS1_14partition_implILS5_1ELb0ES3_jN6thrust23THRUST_200600_302600_NS6detail15normal_iteratorINSA_10device_ptrIsEEEEPS6_NSA_18transform_iteratorI7is_evenIsESF_NSA_11use_defaultESK_EENS0_5tupleIJSF_SF_EEENSM_IJSG_SG_EEES6_PlJS6_EEE10hipError_tPvRmT3_T4_T5_T6_T7_T9_mT8_P12ihipStream_tbDpT10_ENKUlT_T0_E_clISt17integral_constantIbLb0EES19_EEDaS14_S15_EUlS14_E_NS1_11comp_targetILNS1_3genE2ELNS1_11target_archE906ELNS1_3gpuE6ELNS1_3repE0EEENS1_30default_config_static_selectorELNS0_4arch9wavefront6targetE1EEEvT1_,"axG",@progbits,_ZN7rocprim17ROCPRIM_400000_NS6detail17trampoline_kernelINS0_14default_configENS1_25partition_config_selectorILNS1_17partition_subalgoE1EsNS0_10empty_typeEbEEZZNS1_14partition_implILS5_1ELb0ES3_jN6thrust23THRUST_200600_302600_NS6detail15normal_iteratorINSA_10device_ptrIsEEEEPS6_NSA_18transform_iteratorI7is_evenIsESF_NSA_11use_defaultESK_EENS0_5tupleIJSF_SF_EEENSM_IJSG_SG_EEES6_PlJS6_EEE10hipError_tPvRmT3_T4_T5_T6_T7_T9_mT8_P12ihipStream_tbDpT10_ENKUlT_T0_E_clISt17integral_constantIbLb0EES19_EEDaS14_S15_EUlS14_E_NS1_11comp_targetILNS1_3genE2ELNS1_11target_archE906ELNS1_3gpuE6ELNS1_3repE0EEENS1_30default_config_static_selectorELNS0_4arch9wavefront6targetE1EEEvT1_,comdat
.Lfunc_end453:
	.size	_ZN7rocprim17ROCPRIM_400000_NS6detail17trampoline_kernelINS0_14default_configENS1_25partition_config_selectorILNS1_17partition_subalgoE1EsNS0_10empty_typeEbEEZZNS1_14partition_implILS5_1ELb0ES3_jN6thrust23THRUST_200600_302600_NS6detail15normal_iteratorINSA_10device_ptrIsEEEEPS6_NSA_18transform_iteratorI7is_evenIsESF_NSA_11use_defaultESK_EENS0_5tupleIJSF_SF_EEENSM_IJSG_SG_EEES6_PlJS6_EEE10hipError_tPvRmT3_T4_T5_T6_T7_T9_mT8_P12ihipStream_tbDpT10_ENKUlT_T0_E_clISt17integral_constantIbLb0EES19_EEDaS14_S15_EUlS14_E_NS1_11comp_targetILNS1_3genE2ELNS1_11target_archE906ELNS1_3gpuE6ELNS1_3repE0EEENS1_30default_config_static_selectorELNS0_4arch9wavefront6targetE1EEEvT1_, .Lfunc_end453-_ZN7rocprim17ROCPRIM_400000_NS6detail17trampoline_kernelINS0_14default_configENS1_25partition_config_selectorILNS1_17partition_subalgoE1EsNS0_10empty_typeEbEEZZNS1_14partition_implILS5_1ELb0ES3_jN6thrust23THRUST_200600_302600_NS6detail15normal_iteratorINSA_10device_ptrIsEEEEPS6_NSA_18transform_iteratorI7is_evenIsESF_NSA_11use_defaultESK_EENS0_5tupleIJSF_SF_EEENSM_IJSG_SG_EEES6_PlJS6_EEE10hipError_tPvRmT3_T4_T5_T6_T7_T9_mT8_P12ihipStream_tbDpT10_ENKUlT_T0_E_clISt17integral_constantIbLb0EES19_EEDaS14_S15_EUlS14_E_NS1_11comp_targetILNS1_3genE2ELNS1_11target_archE906ELNS1_3gpuE6ELNS1_3repE0EEENS1_30default_config_static_selectorELNS0_4arch9wavefront6targetE1EEEvT1_
                                        ; -- End function
	.section	.AMDGPU.csdata,"",@progbits
; Kernel info:
; codeLenInByte = 0
; NumSgprs: 4
; NumVgprs: 0
; NumAgprs: 0
; TotalNumVgprs: 0
; ScratchSize: 0
; MemoryBound: 0
; FloatMode: 240
; IeeeMode: 1
; LDSByteSize: 0 bytes/workgroup (compile time only)
; SGPRBlocks: 0
; VGPRBlocks: 0
; NumSGPRsForWavesPerEU: 4
; NumVGPRsForWavesPerEU: 1
; AccumOffset: 4
; Occupancy: 8
; WaveLimiterHint : 0
; COMPUTE_PGM_RSRC2:SCRATCH_EN: 0
; COMPUTE_PGM_RSRC2:USER_SGPR: 6
; COMPUTE_PGM_RSRC2:TRAP_HANDLER: 0
; COMPUTE_PGM_RSRC2:TGID_X_EN: 1
; COMPUTE_PGM_RSRC2:TGID_Y_EN: 0
; COMPUTE_PGM_RSRC2:TGID_Z_EN: 0
; COMPUTE_PGM_RSRC2:TIDIG_COMP_CNT: 0
; COMPUTE_PGM_RSRC3_GFX90A:ACCUM_OFFSET: 0
; COMPUTE_PGM_RSRC3_GFX90A:TG_SPLIT: 0
	.section	.text._ZN7rocprim17ROCPRIM_400000_NS6detail17trampoline_kernelINS0_14default_configENS1_25partition_config_selectorILNS1_17partition_subalgoE1EsNS0_10empty_typeEbEEZZNS1_14partition_implILS5_1ELb0ES3_jN6thrust23THRUST_200600_302600_NS6detail15normal_iteratorINSA_10device_ptrIsEEEEPS6_NSA_18transform_iteratorI7is_evenIsESF_NSA_11use_defaultESK_EENS0_5tupleIJSF_SF_EEENSM_IJSG_SG_EEES6_PlJS6_EEE10hipError_tPvRmT3_T4_T5_T6_T7_T9_mT8_P12ihipStream_tbDpT10_ENKUlT_T0_E_clISt17integral_constantIbLb0EES19_EEDaS14_S15_EUlS14_E_NS1_11comp_targetILNS1_3genE10ELNS1_11target_archE1200ELNS1_3gpuE4ELNS1_3repE0EEENS1_30default_config_static_selectorELNS0_4arch9wavefront6targetE1EEEvT1_,"axG",@progbits,_ZN7rocprim17ROCPRIM_400000_NS6detail17trampoline_kernelINS0_14default_configENS1_25partition_config_selectorILNS1_17partition_subalgoE1EsNS0_10empty_typeEbEEZZNS1_14partition_implILS5_1ELb0ES3_jN6thrust23THRUST_200600_302600_NS6detail15normal_iteratorINSA_10device_ptrIsEEEEPS6_NSA_18transform_iteratorI7is_evenIsESF_NSA_11use_defaultESK_EENS0_5tupleIJSF_SF_EEENSM_IJSG_SG_EEES6_PlJS6_EEE10hipError_tPvRmT3_T4_T5_T6_T7_T9_mT8_P12ihipStream_tbDpT10_ENKUlT_T0_E_clISt17integral_constantIbLb0EES19_EEDaS14_S15_EUlS14_E_NS1_11comp_targetILNS1_3genE10ELNS1_11target_archE1200ELNS1_3gpuE4ELNS1_3repE0EEENS1_30default_config_static_selectorELNS0_4arch9wavefront6targetE1EEEvT1_,comdat
	.protected	_ZN7rocprim17ROCPRIM_400000_NS6detail17trampoline_kernelINS0_14default_configENS1_25partition_config_selectorILNS1_17partition_subalgoE1EsNS0_10empty_typeEbEEZZNS1_14partition_implILS5_1ELb0ES3_jN6thrust23THRUST_200600_302600_NS6detail15normal_iteratorINSA_10device_ptrIsEEEEPS6_NSA_18transform_iteratorI7is_evenIsESF_NSA_11use_defaultESK_EENS0_5tupleIJSF_SF_EEENSM_IJSG_SG_EEES6_PlJS6_EEE10hipError_tPvRmT3_T4_T5_T6_T7_T9_mT8_P12ihipStream_tbDpT10_ENKUlT_T0_E_clISt17integral_constantIbLb0EES19_EEDaS14_S15_EUlS14_E_NS1_11comp_targetILNS1_3genE10ELNS1_11target_archE1200ELNS1_3gpuE4ELNS1_3repE0EEENS1_30default_config_static_selectorELNS0_4arch9wavefront6targetE1EEEvT1_ ; -- Begin function _ZN7rocprim17ROCPRIM_400000_NS6detail17trampoline_kernelINS0_14default_configENS1_25partition_config_selectorILNS1_17partition_subalgoE1EsNS0_10empty_typeEbEEZZNS1_14partition_implILS5_1ELb0ES3_jN6thrust23THRUST_200600_302600_NS6detail15normal_iteratorINSA_10device_ptrIsEEEEPS6_NSA_18transform_iteratorI7is_evenIsESF_NSA_11use_defaultESK_EENS0_5tupleIJSF_SF_EEENSM_IJSG_SG_EEES6_PlJS6_EEE10hipError_tPvRmT3_T4_T5_T6_T7_T9_mT8_P12ihipStream_tbDpT10_ENKUlT_T0_E_clISt17integral_constantIbLb0EES19_EEDaS14_S15_EUlS14_E_NS1_11comp_targetILNS1_3genE10ELNS1_11target_archE1200ELNS1_3gpuE4ELNS1_3repE0EEENS1_30default_config_static_selectorELNS0_4arch9wavefront6targetE1EEEvT1_
	.globl	_ZN7rocprim17ROCPRIM_400000_NS6detail17trampoline_kernelINS0_14default_configENS1_25partition_config_selectorILNS1_17partition_subalgoE1EsNS0_10empty_typeEbEEZZNS1_14partition_implILS5_1ELb0ES3_jN6thrust23THRUST_200600_302600_NS6detail15normal_iteratorINSA_10device_ptrIsEEEEPS6_NSA_18transform_iteratorI7is_evenIsESF_NSA_11use_defaultESK_EENS0_5tupleIJSF_SF_EEENSM_IJSG_SG_EEES6_PlJS6_EEE10hipError_tPvRmT3_T4_T5_T6_T7_T9_mT8_P12ihipStream_tbDpT10_ENKUlT_T0_E_clISt17integral_constantIbLb0EES19_EEDaS14_S15_EUlS14_E_NS1_11comp_targetILNS1_3genE10ELNS1_11target_archE1200ELNS1_3gpuE4ELNS1_3repE0EEENS1_30default_config_static_selectorELNS0_4arch9wavefront6targetE1EEEvT1_
	.p2align	8
	.type	_ZN7rocprim17ROCPRIM_400000_NS6detail17trampoline_kernelINS0_14default_configENS1_25partition_config_selectorILNS1_17partition_subalgoE1EsNS0_10empty_typeEbEEZZNS1_14partition_implILS5_1ELb0ES3_jN6thrust23THRUST_200600_302600_NS6detail15normal_iteratorINSA_10device_ptrIsEEEEPS6_NSA_18transform_iteratorI7is_evenIsESF_NSA_11use_defaultESK_EENS0_5tupleIJSF_SF_EEENSM_IJSG_SG_EEES6_PlJS6_EEE10hipError_tPvRmT3_T4_T5_T6_T7_T9_mT8_P12ihipStream_tbDpT10_ENKUlT_T0_E_clISt17integral_constantIbLb0EES19_EEDaS14_S15_EUlS14_E_NS1_11comp_targetILNS1_3genE10ELNS1_11target_archE1200ELNS1_3gpuE4ELNS1_3repE0EEENS1_30default_config_static_selectorELNS0_4arch9wavefront6targetE1EEEvT1_,@function
_ZN7rocprim17ROCPRIM_400000_NS6detail17trampoline_kernelINS0_14default_configENS1_25partition_config_selectorILNS1_17partition_subalgoE1EsNS0_10empty_typeEbEEZZNS1_14partition_implILS5_1ELb0ES3_jN6thrust23THRUST_200600_302600_NS6detail15normal_iteratorINSA_10device_ptrIsEEEEPS6_NSA_18transform_iteratorI7is_evenIsESF_NSA_11use_defaultESK_EENS0_5tupleIJSF_SF_EEENSM_IJSG_SG_EEES6_PlJS6_EEE10hipError_tPvRmT3_T4_T5_T6_T7_T9_mT8_P12ihipStream_tbDpT10_ENKUlT_T0_E_clISt17integral_constantIbLb0EES19_EEDaS14_S15_EUlS14_E_NS1_11comp_targetILNS1_3genE10ELNS1_11target_archE1200ELNS1_3gpuE4ELNS1_3repE0EEENS1_30default_config_static_selectorELNS0_4arch9wavefront6targetE1EEEvT1_: ; @_ZN7rocprim17ROCPRIM_400000_NS6detail17trampoline_kernelINS0_14default_configENS1_25partition_config_selectorILNS1_17partition_subalgoE1EsNS0_10empty_typeEbEEZZNS1_14partition_implILS5_1ELb0ES3_jN6thrust23THRUST_200600_302600_NS6detail15normal_iteratorINSA_10device_ptrIsEEEEPS6_NSA_18transform_iteratorI7is_evenIsESF_NSA_11use_defaultESK_EENS0_5tupleIJSF_SF_EEENSM_IJSG_SG_EEES6_PlJS6_EEE10hipError_tPvRmT3_T4_T5_T6_T7_T9_mT8_P12ihipStream_tbDpT10_ENKUlT_T0_E_clISt17integral_constantIbLb0EES19_EEDaS14_S15_EUlS14_E_NS1_11comp_targetILNS1_3genE10ELNS1_11target_archE1200ELNS1_3gpuE4ELNS1_3repE0EEENS1_30default_config_static_selectorELNS0_4arch9wavefront6targetE1EEEvT1_
; %bb.0:
	.section	.rodata,"a",@progbits
	.p2align	6, 0x0
	.amdhsa_kernel _ZN7rocprim17ROCPRIM_400000_NS6detail17trampoline_kernelINS0_14default_configENS1_25partition_config_selectorILNS1_17partition_subalgoE1EsNS0_10empty_typeEbEEZZNS1_14partition_implILS5_1ELb0ES3_jN6thrust23THRUST_200600_302600_NS6detail15normal_iteratorINSA_10device_ptrIsEEEEPS6_NSA_18transform_iteratorI7is_evenIsESF_NSA_11use_defaultESK_EENS0_5tupleIJSF_SF_EEENSM_IJSG_SG_EEES6_PlJS6_EEE10hipError_tPvRmT3_T4_T5_T6_T7_T9_mT8_P12ihipStream_tbDpT10_ENKUlT_T0_E_clISt17integral_constantIbLb0EES19_EEDaS14_S15_EUlS14_E_NS1_11comp_targetILNS1_3genE10ELNS1_11target_archE1200ELNS1_3gpuE4ELNS1_3repE0EEENS1_30default_config_static_selectorELNS0_4arch9wavefront6targetE1EEEvT1_
		.amdhsa_group_segment_fixed_size 0
		.amdhsa_private_segment_fixed_size 0
		.amdhsa_kernarg_size 128
		.amdhsa_user_sgpr_count 6
		.amdhsa_user_sgpr_private_segment_buffer 1
		.amdhsa_user_sgpr_dispatch_ptr 0
		.amdhsa_user_sgpr_queue_ptr 0
		.amdhsa_user_sgpr_kernarg_segment_ptr 1
		.amdhsa_user_sgpr_dispatch_id 0
		.amdhsa_user_sgpr_flat_scratch_init 0
		.amdhsa_user_sgpr_kernarg_preload_length 0
		.amdhsa_user_sgpr_kernarg_preload_offset 0
		.amdhsa_user_sgpr_private_segment_size 0
		.amdhsa_uses_dynamic_stack 0
		.amdhsa_system_sgpr_private_segment_wavefront_offset 0
		.amdhsa_system_sgpr_workgroup_id_x 1
		.amdhsa_system_sgpr_workgroup_id_y 0
		.amdhsa_system_sgpr_workgroup_id_z 0
		.amdhsa_system_sgpr_workgroup_info 0
		.amdhsa_system_vgpr_workitem_id 0
		.amdhsa_next_free_vgpr 1
		.amdhsa_next_free_sgpr 0
		.amdhsa_accum_offset 4
		.amdhsa_reserve_vcc 0
		.amdhsa_reserve_flat_scratch 0
		.amdhsa_float_round_mode_32 0
		.amdhsa_float_round_mode_16_64 0
		.amdhsa_float_denorm_mode_32 3
		.amdhsa_float_denorm_mode_16_64 3
		.amdhsa_dx10_clamp 1
		.amdhsa_ieee_mode 1
		.amdhsa_fp16_overflow 0
		.amdhsa_tg_split 0
		.amdhsa_exception_fp_ieee_invalid_op 0
		.amdhsa_exception_fp_denorm_src 0
		.amdhsa_exception_fp_ieee_div_zero 0
		.amdhsa_exception_fp_ieee_overflow 0
		.amdhsa_exception_fp_ieee_underflow 0
		.amdhsa_exception_fp_ieee_inexact 0
		.amdhsa_exception_int_div_zero 0
	.end_amdhsa_kernel
	.section	.text._ZN7rocprim17ROCPRIM_400000_NS6detail17trampoline_kernelINS0_14default_configENS1_25partition_config_selectorILNS1_17partition_subalgoE1EsNS0_10empty_typeEbEEZZNS1_14partition_implILS5_1ELb0ES3_jN6thrust23THRUST_200600_302600_NS6detail15normal_iteratorINSA_10device_ptrIsEEEEPS6_NSA_18transform_iteratorI7is_evenIsESF_NSA_11use_defaultESK_EENS0_5tupleIJSF_SF_EEENSM_IJSG_SG_EEES6_PlJS6_EEE10hipError_tPvRmT3_T4_T5_T6_T7_T9_mT8_P12ihipStream_tbDpT10_ENKUlT_T0_E_clISt17integral_constantIbLb0EES19_EEDaS14_S15_EUlS14_E_NS1_11comp_targetILNS1_3genE10ELNS1_11target_archE1200ELNS1_3gpuE4ELNS1_3repE0EEENS1_30default_config_static_selectorELNS0_4arch9wavefront6targetE1EEEvT1_,"axG",@progbits,_ZN7rocprim17ROCPRIM_400000_NS6detail17trampoline_kernelINS0_14default_configENS1_25partition_config_selectorILNS1_17partition_subalgoE1EsNS0_10empty_typeEbEEZZNS1_14partition_implILS5_1ELb0ES3_jN6thrust23THRUST_200600_302600_NS6detail15normal_iteratorINSA_10device_ptrIsEEEEPS6_NSA_18transform_iteratorI7is_evenIsESF_NSA_11use_defaultESK_EENS0_5tupleIJSF_SF_EEENSM_IJSG_SG_EEES6_PlJS6_EEE10hipError_tPvRmT3_T4_T5_T6_T7_T9_mT8_P12ihipStream_tbDpT10_ENKUlT_T0_E_clISt17integral_constantIbLb0EES19_EEDaS14_S15_EUlS14_E_NS1_11comp_targetILNS1_3genE10ELNS1_11target_archE1200ELNS1_3gpuE4ELNS1_3repE0EEENS1_30default_config_static_selectorELNS0_4arch9wavefront6targetE1EEEvT1_,comdat
.Lfunc_end454:
	.size	_ZN7rocprim17ROCPRIM_400000_NS6detail17trampoline_kernelINS0_14default_configENS1_25partition_config_selectorILNS1_17partition_subalgoE1EsNS0_10empty_typeEbEEZZNS1_14partition_implILS5_1ELb0ES3_jN6thrust23THRUST_200600_302600_NS6detail15normal_iteratorINSA_10device_ptrIsEEEEPS6_NSA_18transform_iteratorI7is_evenIsESF_NSA_11use_defaultESK_EENS0_5tupleIJSF_SF_EEENSM_IJSG_SG_EEES6_PlJS6_EEE10hipError_tPvRmT3_T4_T5_T6_T7_T9_mT8_P12ihipStream_tbDpT10_ENKUlT_T0_E_clISt17integral_constantIbLb0EES19_EEDaS14_S15_EUlS14_E_NS1_11comp_targetILNS1_3genE10ELNS1_11target_archE1200ELNS1_3gpuE4ELNS1_3repE0EEENS1_30default_config_static_selectorELNS0_4arch9wavefront6targetE1EEEvT1_, .Lfunc_end454-_ZN7rocprim17ROCPRIM_400000_NS6detail17trampoline_kernelINS0_14default_configENS1_25partition_config_selectorILNS1_17partition_subalgoE1EsNS0_10empty_typeEbEEZZNS1_14partition_implILS5_1ELb0ES3_jN6thrust23THRUST_200600_302600_NS6detail15normal_iteratorINSA_10device_ptrIsEEEEPS6_NSA_18transform_iteratorI7is_evenIsESF_NSA_11use_defaultESK_EENS0_5tupleIJSF_SF_EEENSM_IJSG_SG_EEES6_PlJS6_EEE10hipError_tPvRmT3_T4_T5_T6_T7_T9_mT8_P12ihipStream_tbDpT10_ENKUlT_T0_E_clISt17integral_constantIbLb0EES19_EEDaS14_S15_EUlS14_E_NS1_11comp_targetILNS1_3genE10ELNS1_11target_archE1200ELNS1_3gpuE4ELNS1_3repE0EEENS1_30default_config_static_selectorELNS0_4arch9wavefront6targetE1EEEvT1_
                                        ; -- End function
	.section	.AMDGPU.csdata,"",@progbits
; Kernel info:
; codeLenInByte = 0
; NumSgprs: 4
; NumVgprs: 0
; NumAgprs: 0
; TotalNumVgprs: 0
; ScratchSize: 0
; MemoryBound: 0
; FloatMode: 240
; IeeeMode: 1
; LDSByteSize: 0 bytes/workgroup (compile time only)
; SGPRBlocks: 0
; VGPRBlocks: 0
; NumSGPRsForWavesPerEU: 4
; NumVGPRsForWavesPerEU: 1
; AccumOffset: 4
; Occupancy: 8
; WaveLimiterHint : 0
; COMPUTE_PGM_RSRC2:SCRATCH_EN: 0
; COMPUTE_PGM_RSRC2:USER_SGPR: 6
; COMPUTE_PGM_RSRC2:TRAP_HANDLER: 0
; COMPUTE_PGM_RSRC2:TGID_X_EN: 1
; COMPUTE_PGM_RSRC2:TGID_Y_EN: 0
; COMPUTE_PGM_RSRC2:TGID_Z_EN: 0
; COMPUTE_PGM_RSRC2:TIDIG_COMP_CNT: 0
; COMPUTE_PGM_RSRC3_GFX90A:ACCUM_OFFSET: 0
; COMPUTE_PGM_RSRC3_GFX90A:TG_SPLIT: 0
	.section	.text._ZN7rocprim17ROCPRIM_400000_NS6detail17trampoline_kernelINS0_14default_configENS1_25partition_config_selectorILNS1_17partition_subalgoE1EsNS0_10empty_typeEbEEZZNS1_14partition_implILS5_1ELb0ES3_jN6thrust23THRUST_200600_302600_NS6detail15normal_iteratorINSA_10device_ptrIsEEEEPS6_NSA_18transform_iteratorI7is_evenIsESF_NSA_11use_defaultESK_EENS0_5tupleIJSF_SF_EEENSM_IJSG_SG_EEES6_PlJS6_EEE10hipError_tPvRmT3_T4_T5_T6_T7_T9_mT8_P12ihipStream_tbDpT10_ENKUlT_T0_E_clISt17integral_constantIbLb0EES19_EEDaS14_S15_EUlS14_E_NS1_11comp_targetILNS1_3genE9ELNS1_11target_archE1100ELNS1_3gpuE3ELNS1_3repE0EEENS1_30default_config_static_selectorELNS0_4arch9wavefront6targetE1EEEvT1_,"axG",@progbits,_ZN7rocprim17ROCPRIM_400000_NS6detail17trampoline_kernelINS0_14default_configENS1_25partition_config_selectorILNS1_17partition_subalgoE1EsNS0_10empty_typeEbEEZZNS1_14partition_implILS5_1ELb0ES3_jN6thrust23THRUST_200600_302600_NS6detail15normal_iteratorINSA_10device_ptrIsEEEEPS6_NSA_18transform_iteratorI7is_evenIsESF_NSA_11use_defaultESK_EENS0_5tupleIJSF_SF_EEENSM_IJSG_SG_EEES6_PlJS6_EEE10hipError_tPvRmT3_T4_T5_T6_T7_T9_mT8_P12ihipStream_tbDpT10_ENKUlT_T0_E_clISt17integral_constantIbLb0EES19_EEDaS14_S15_EUlS14_E_NS1_11comp_targetILNS1_3genE9ELNS1_11target_archE1100ELNS1_3gpuE3ELNS1_3repE0EEENS1_30default_config_static_selectorELNS0_4arch9wavefront6targetE1EEEvT1_,comdat
	.protected	_ZN7rocprim17ROCPRIM_400000_NS6detail17trampoline_kernelINS0_14default_configENS1_25partition_config_selectorILNS1_17partition_subalgoE1EsNS0_10empty_typeEbEEZZNS1_14partition_implILS5_1ELb0ES3_jN6thrust23THRUST_200600_302600_NS6detail15normal_iteratorINSA_10device_ptrIsEEEEPS6_NSA_18transform_iteratorI7is_evenIsESF_NSA_11use_defaultESK_EENS0_5tupleIJSF_SF_EEENSM_IJSG_SG_EEES6_PlJS6_EEE10hipError_tPvRmT3_T4_T5_T6_T7_T9_mT8_P12ihipStream_tbDpT10_ENKUlT_T0_E_clISt17integral_constantIbLb0EES19_EEDaS14_S15_EUlS14_E_NS1_11comp_targetILNS1_3genE9ELNS1_11target_archE1100ELNS1_3gpuE3ELNS1_3repE0EEENS1_30default_config_static_selectorELNS0_4arch9wavefront6targetE1EEEvT1_ ; -- Begin function _ZN7rocprim17ROCPRIM_400000_NS6detail17trampoline_kernelINS0_14default_configENS1_25partition_config_selectorILNS1_17partition_subalgoE1EsNS0_10empty_typeEbEEZZNS1_14partition_implILS5_1ELb0ES3_jN6thrust23THRUST_200600_302600_NS6detail15normal_iteratorINSA_10device_ptrIsEEEEPS6_NSA_18transform_iteratorI7is_evenIsESF_NSA_11use_defaultESK_EENS0_5tupleIJSF_SF_EEENSM_IJSG_SG_EEES6_PlJS6_EEE10hipError_tPvRmT3_T4_T5_T6_T7_T9_mT8_P12ihipStream_tbDpT10_ENKUlT_T0_E_clISt17integral_constantIbLb0EES19_EEDaS14_S15_EUlS14_E_NS1_11comp_targetILNS1_3genE9ELNS1_11target_archE1100ELNS1_3gpuE3ELNS1_3repE0EEENS1_30default_config_static_selectorELNS0_4arch9wavefront6targetE1EEEvT1_
	.globl	_ZN7rocprim17ROCPRIM_400000_NS6detail17trampoline_kernelINS0_14default_configENS1_25partition_config_selectorILNS1_17partition_subalgoE1EsNS0_10empty_typeEbEEZZNS1_14partition_implILS5_1ELb0ES3_jN6thrust23THRUST_200600_302600_NS6detail15normal_iteratorINSA_10device_ptrIsEEEEPS6_NSA_18transform_iteratorI7is_evenIsESF_NSA_11use_defaultESK_EENS0_5tupleIJSF_SF_EEENSM_IJSG_SG_EEES6_PlJS6_EEE10hipError_tPvRmT3_T4_T5_T6_T7_T9_mT8_P12ihipStream_tbDpT10_ENKUlT_T0_E_clISt17integral_constantIbLb0EES19_EEDaS14_S15_EUlS14_E_NS1_11comp_targetILNS1_3genE9ELNS1_11target_archE1100ELNS1_3gpuE3ELNS1_3repE0EEENS1_30default_config_static_selectorELNS0_4arch9wavefront6targetE1EEEvT1_
	.p2align	8
	.type	_ZN7rocprim17ROCPRIM_400000_NS6detail17trampoline_kernelINS0_14default_configENS1_25partition_config_selectorILNS1_17partition_subalgoE1EsNS0_10empty_typeEbEEZZNS1_14partition_implILS5_1ELb0ES3_jN6thrust23THRUST_200600_302600_NS6detail15normal_iteratorINSA_10device_ptrIsEEEEPS6_NSA_18transform_iteratorI7is_evenIsESF_NSA_11use_defaultESK_EENS0_5tupleIJSF_SF_EEENSM_IJSG_SG_EEES6_PlJS6_EEE10hipError_tPvRmT3_T4_T5_T6_T7_T9_mT8_P12ihipStream_tbDpT10_ENKUlT_T0_E_clISt17integral_constantIbLb0EES19_EEDaS14_S15_EUlS14_E_NS1_11comp_targetILNS1_3genE9ELNS1_11target_archE1100ELNS1_3gpuE3ELNS1_3repE0EEENS1_30default_config_static_selectorELNS0_4arch9wavefront6targetE1EEEvT1_,@function
_ZN7rocprim17ROCPRIM_400000_NS6detail17trampoline_kernelINS0_14default_configENS1_25partition_config_selectorILNS1_17partition_subalgoE1EsNS0_10empty_typeEbEEZZNS1_14partition_implILS5_1ELb0ES3_jN6thrust23THRUST_200600_302600_NS6detail15normal_iteratorINSA_10device_ptrIsEEEEPS6_NSA_18transform_iteratorI7is_evenIsESF_NSA_11use_defaultESK_EENS0_5tupleIJSF_SF_EEENSM_IJSG_SG_EEES6_PlJS6_EEE10hipError_tPvRmT3_T4_T5_T6_T7_T9_mT8_P12ihipStream_tbDpT10_ENKUlT_T0_E_clISt17integral_constantIbLb0EES19_EEDaS14_S15_EUlS14_E_NS1_11comp_targetILNS1_3genE9ELNS1_11target_archE1100ELNS1_3gpuE3ELNS1_3repE0EEENS1_30default_config_static_selectorELNS0_4arch9wavefront6targetE1EEEvT1_: ; @_ZN7rocprim17ROCPRIM_400000_NS6detail17trampoline_kernelINS0_14default_configENS1_25partition_config_selectorILNS1_17partition_subalgoE1EsNS0_10empty_typeEbEEZZNS1_14partition_implILS5_1ELb0ES3_jN6thrust23THRUST_200600_302600_NS6detail15normal_iteratorINSA_10device_ptrIsEEEEPS6_NSA_18transform_iteratorI7is_evenIsESF_NSA_11use_defaultESK_EENS0_5tupleIJSF_SF_EEENSM_IJSG_SG_EEES6_PlJS6_EEE10hipError_tPvRmT3_T4_T5_T6_T7_T9_mT8_P12ihipStream_tbDpT10_ENKUlT_T0_E_clISt17integral_constantIbLb0EES19_EEDaS14_S15_EUlS14_E_NS1_11comp_targetILNS1_3genE9ELNS1_11target_archE1100ELNS1_3gpuE3ELNS1_3repE0EEENS1_30default_config_static_selectorELNS0_4arch9wavefront6targetE1EEEvT1_
; %bb.0:
	.section	.rodata,"a",@progbits
	.p2align	6, 0x0
	.amdhsa_kernel _ZN7rocprim17ROCPRIM_400000_NS6detail17trampoline_kernelINS0_14default_configENS1_25partition_config_selectorILNS1_17partition_subalgoE1EsNS0_10empty_typeEbEEZZNS1_14partition_implILS5_1ELb0ES3_jN6thrust23THRUST_200600_302600_NS6detail15normal_iteratorINSA_10device_ptrIsEEEEPS6_NSA_18transform_iteratorI7is_evenIsESF_NSA_11use_defaultESK_EENS0_5tupleIJSF_SF_EEENSM_IJSG_SG_EEES6_PlJS6_EEE10hipError_tPvRmT3_T4_T5_T6_T7_T9_mT8_P12ihipStream_tbDpT10_ENKUlT_T0_E_clISt17integral_constantIbLb0EES19_EEDaS14_S15_EUlS14_E_NS1_11comp_targetILNS1_3genE9ELNS1_11target_archE1100ELNS1_3gpuE3ELNS1_3repE0EEENS1_30default_config_static_selectorELNS0_4arch9wavefront6targetE1EEEvT1_
		.amdhsa_group_segment_fixed_size 0
		.amdhsa_private_segment_fixed_size 0
		.amdhsa_kernarg_size 128
		.amdhsa_user_sgpr_count 6
		.amdhsa_user_sgpr_private_segment_buffer 1
		.amdhsa_user_sgpr_dispatch_ptr 0
		.amdhsa_user_sgpr_queue_ptr 0
		.amdhsa_user_sgpr_kernarg_segment_ptr 1
		.amdhsa_user_sgpr_dispatch_id 0
		.amdhsa_user_sgpr_flat_scratch_init 0
		.amdhsa_user_sgpr_kernarg_preload_length 0
		.amdhsa_user_sgpr_kernarg_preload_offset 0
		.amdhsa_user_sgpr_private_segment_size 0
		.amdhsa_uses_dynamic_stack 0
		.amdhsa_system_sgpr_private_segment_wavefront_offset 0
		.amdhsa_system_sgpr_workgroup_id_x 1
		.amdhsa_system_sgpr_workgroup_id_y 0
		.amdhsa_system_sgpr_workgroup_id_z 0
		.amdhsa_system_sgpr_workgroup_info 0
		.amdhsa_system_vgpr_workitem_id 0
		.amdhsa_next_free_vgpr 1
		.amdhsa_next_free_sgpr 0
		.amdhsa_accum_offset 4
		.amdhsa_reserve_vcc 0
		.amdhsa_reserve_flat_scratch 0
		.amdhsa_float_round_mode_32 0
		.amdhsa_float_round_mode_16_64 0
		.amdhsa_float_denorm_mode_32 3
		.amdhsa_float_denorm_mode_16_64 3
		.amdhsa_dx10_clamp 1
		.amdhsa_ieee_mode 1
		.amdhsa_fp16_overflow 0
		.amdhsa_tg_split 0
		.amdhsa_exception_fp_ieee_invalid_op 0
		.amdhsa_exception_fp_denorm_src 0
		.amdhsa_exception_fp_ieee_div_zero 0
		.amdhsa_exception_fp_ieee_overflow 0
		.amdhsa_exception_fp_ieee_underflow 0
		.amdhsa_exception_fp_ieee_inexact 0
		.amdhsa_exception_int_div_zero 0
	.end_amdhsa_kernel
	.section	.text._ZN7rocprim17ROCPRIM_400000_NS6detail17trampoline_kernelINS0_14default_configENS1_25partition_config_selectorILNS1_17partition_subalgoE1EsNS0_10empty_typeEbEEZZNS1_14partition_implILS5_1ELb0ES3_jN6thrust23THRUST_200600_302600_NS6detail15normal_iteratorINSA_10device_ptrIsEEEEPS6_NSA_18transform_iteratorI7is_evenIsESF_NSA_11use_defaultESK_EENS0_5tupleIJSF_SF_EEENSM_IJSG_SG_EEES6_PlJS6_EEE10hipError_tPvRmT3_T4_T5_T6_T7_T9_mT8_P12ihipStream_tbDpT10_ENKUlT_T0_E_clISt17integral_constantIbLb0EES19_EEDaS14_S15_EUlS14_E_NS1_11comp_targetILNS1_3genE9ELNS1_11target_archE1100ELNS1_3gpuE3ELNS1_3repE0EEENS1_30default_config_static_selectorELNS0_4arch9wavefront6targetE1EEEvT1_,"axG",@progbits,_ZN7rocprim17ROCPRIM_400000_NS6detail17trampoline_kernelINS0_14default_configENS1_25partition_config_selectorILNS1_17partition_subalgoE1EsNS0_10empty_typeEbEEZZNS1_14partition_implILS5_1ELb0ES3_jN6thrust23THRUST_200600_302600_NS6detail15normal_iteratorINSA_10device_ptrIsEEEEPS6_NSA_18transform_iteratorI7is_evenIsESF_NSA_11use_defaultESK_EENS0_5tupleIJSF_SF_EEENSM_IJSG_SG_EEES6_PlJS6_EEE10hipError_tPvRmT3_T4_T5_T6_T7_T9_mT8_P12ihipStream_tbDpT10_ENKUlT_T0_E_clISt17integral_constantIbLb0EES19_EEDaS14_S15_EUlS14_E_NS1_11comp_targetILNS1_3genE9ELNS1_11target_archE1100ELNS1_3gpuE3ELNS1_3repE0EEENS1_30default_config_static_selectorELNS0_4arch9wavefront6targetE1EEEvT1_,comdat
.Lfunc_end455:
	.size	_ZN7rocprim17ROCPRIM_400000_NS6detail17trampoline_kernelINS0_14default_configENS1_25partition_config_selectorILNS1_17partition_subalgoE1EsNS0_10empty_typeEbEEZZNS1_14partition_implILS5_1ELb0ES3_jN6thrust23THRUST_200600_302600_NS6detail15normal_iteratorINSA_10device_ptrIsEEEEPS6_NSA_18transform_iteratorI7is_evenIsESF_NSA_11use_defaultESK_EENS0_5tupleIJSF_SF_EEENSM_IJSG_SG_EEES6_PlJS6_EEE10hipError_tPvRmT3_T4_T5_T6_T7_T9_mT8_P12ihipStream_tbDpT10_ENKUlT_T0_E_clISt17integral_constantIbLb0EES19_EEDaS14_S15_EUlS14_E_NS1_11comp_targetILNS1_3genE9ELNS1_11target_archE1100ELNS1_3gpuE3ELNS1_3repE0EEENS1_30default_config_static_selectorELNS0_4arch9wavefront6targetE1EEEvT1_, .Lfunc_end455-_ZN7rocprim17ROCPRIM_400000_NS6detail17trampoline_kernelINS0_14default_configENS1_25partition_config_selectorILNS1_17partition_subalgoE1EsNS0_10empty_typeEbEEZZNS1_14partition_implILS5_1ELb0ES3_jN6thrust23THRUST_200600_302600_NS6detail15normal_iteratorINSA_10device_ptrIsEEEEPS6_NSA_18transform_iteratorI7is_evenIsESF_NSA_11use_defaultESK_EENS0_5tupleIJSF_SF_EEENSM_IJSG_SG_EEES6_PlJS6_EEE10hipError_tPvRmT3_T4_T5_T6_T7_T9_mT8_P12ihipStream_tbDpT10_ENKUlT_T0_E_clISt17integral_constantIbLb0EES19_EEDaS14_S15_EUlS14_E_NS1_11comp_targetILNS1_3genE9ELNS1_11target_archE1100ELNS1_3gpuE3ELNS1_3repE0EEENS1_30default_config_static_selectorELNS0_4arch9wavefront6targetE1EEEvT1_
                                        ; -- End function
	.section	.AMDGPU.csdata,"",@progbits
; Kernel info:
; codeLenInByte = 0
; NumSgprs: 4
; NumVgprs: 0
; NumAgprs: 0
; TotalNumVgprs: 0
; ScratchSize: 0
; MemoryBound: 0
; FloatMode: 240
; IeeeMode: 1
; LDSByteSize: 0 bytes/workgroup (compile time only)
; SGPRBlocks: 0
; VGPRBlocks: 0
; NumSGPRsForWavesPerEU: 4
; NumVGPRsForWavesPerEU: 1
; AccumOffset: 4
; Occupancy: 8
; WaveLimiterHint : 0
; COMPUTE_PGM_RSRC2:SCRATCH_EN: 0
; COMPUTE_PGM_RSRC2:USER_SGPR: 6
; COMPUTE_PGM_RSRC2:TRAP_HANDLER: 0
; COMPUTE_PGM_RSRC2:TGID_X_EN: 1
; COMPUTE_PGM_RSRC2:TGID_Y_EN: 0
; COMPUTE_PGM_RSRC2:TGID_Z_EN: 0
; COMPUTE_PGM_RSRC2:TIDIG_COMP_CNT: 0
; COMPUTE_PGM_RSRC3_GFX90A:ACCUM_OFFSET: 0
; COMPUTE_PGM_RSRC3_GFX90A:TG_SPLIT: 0
	.section	.text._ZN7rocprim17ROCPRIM_400000_NS6detail17trampoline_kernelINS0_14default_configENS1_25partition_config_selectorILNS1_17partition_subalgoE1EsNS0_10empty_typeEbEEZZNS1_14partition_implILS5_1ELb0ES3_jN6thrust23THRUST_200600_302600_NS6detail15normal_iteratorINSA_10device_ptrIsEEEEPS6_NSA_18transform_iteratorI7is_evenIsESF_NSA_11use_defaultESK_EENS0_5tupleIJSF_SF_EEENSM_IJSG_SG_EEES6_PlJS6_EEE10hipError_tPvRmT3_T4_T5_T6_T7_T9_mT8_P12ihipStream_tbDpT10_ENKUlT_T0_E_clISt17integral_constantIbLb0EES19_EEDaS14_S15_EUlS14_E_NS1_11comp_targetILNS1_3genE8ELNS1_11target_archE1030ELNS1_3gpuE2ELNS1_3repE0EEENS1_30default_config_static_selectorELNS0_4arch9wavefront6targetE1EEEvT1_,"axG",@progbits,_ZN7rocprim17ROCPRIM_400000_NS6detail17trampoline_kernelINS0_14default_configENS1_25partition_config_selectorILNS1_17partition_subalgoE1EsNS0_10empty_typeEbEEZZNS1_14partition_implILS5_1ELb0ES3_jN6thrust23THRUST_200600_302600_NS6detail15normal_iteratorINSA_10device_ptrIsEEEEPS6_NSA_18transform_iteratorI7is_evenIsESF_NSA_11use_defaultESK_EENS0_5tupleIJSF_SF_EEENSM_IJSG_SG_EEES6_PlJS6_EEE10hipError_tPvRmT3_T4_T5_T6_T7_T9_mT8_P12ihipStream_tbDpT10_ENKUlT_T0_E_clISt17integral_constantIbLb0EES19_EEDaS14_S15_EUlS14_E_NS1_11comp_targetILNS1_3genE8ELNS1_11target_archE1030ELNS1_3gpuE2ELNS1_3repE0EEENS1_30default_config_static_selectorELNS0_4arch9wavefront6targetE1EEEvT1_,comdat
	.protected	_ZN7rocprim17ROCPRIM_400000_NS6detail17trampoline_kernelINS0_14default_configENS1_25partition_config_selectorILNS1_17partition_subalgoE1EsNS0_10empty_typeEbEEZZNS1_14partition_implILS5_1ELb0ES3_jN6thrust23THRUST_200600_302600_NS6detail15normal_iteratorINSA_10device_ptrIsEEEEPS6_NSA_18transform_iteratorI7is_evenIsESF_NSA_11use_defaultESK_EENS0_5tupleIJSF_SF_EEENSM_IJSG_SG_EEES6_PlJS6_EEE10hipError_tPvRmT3_T4_T5_T6_T7_T9_mT8_P12ihipStream_tbDpT10_ENKUlT_T0_E_clISt17integral_constantIbLb0EES19_EEDaS14_S15_EUlS14_E_NS1_11comp_targetILNS1_3genE8ELNS1_11target_archE1030ELNS1_3gpuE2ELNS1_3repE0EEENS1_30default_config_static_selectorELNS0_4arch9wavefront6targetE1EEEvT1_ ; -- Begin function _ZN7rocprim17ROCPRIM_400000_NS6detail17trampoline_kernelINS0_14default_configENS1_25partition_config_selectorILNS1_17partition_subalgoE1EsNS0_10empty_typeEbEEZZNS1_14partition_implILS5_1ELb0ES3_jN6thrust23THRUST_200600_302600_NS6detail15normal_iteratorINSA_10device_ptrIsEEEEPS6_NSA_18transform_iteratorI7is_evenIsESF_NSA_11use_defaultESK_EENS0_5tupleIJSF_SF_EEENSM_IJSG_SG_EEES6_PlJS6_EEE10hipError_tPvRmT3_T4_T5_T6_T7_T9_mT8_P12ihipStream_tbDpT10_ENKUlT_T0_E_clISt17integral_constantIbLb0EES19_EEDaS14_S15_EUlS14_E_NS1_11comp_targetILNS1_3genE8ELNS1_11target_archE1030ELNS1_3gpuE2ELNS1_3repE0EEENS1_30default_config_static_selectorELNS0_4arch9wavefront6targetE1EEEvT1_
	.globl	_ZN7rocprim17ROCPRIM_400000_NS6detail17trampoline_kernelINS0_14default_configENS1_25partition_config_selectorILNS1_17partition_subalgoE1EsNS0_10empty_typeEbEEZZNS1_14partition_implILS5_1ELb0ES3_jN6thrust23THRUST_200600_302600_NS6detail15normal_iteratorINSA_10device_ptrIsEEEEPS6_NSA_18transform_iteratorI7is_evenIsESF_NSA_11use_defaultESK_EENS0_5tupleIJSF_SF_EEENSM_IJSG_SG_EEES6_PlJS6_EEE10hipError_tPvRmT3_T4_T5_T6_T7_T9_mT8_P12ihipStream_tbDpT10_ENKUlT_T0_E_clISt17integral_constantIbLb0EES19_EEDaS14_S15_EUlS14_E_NS1_11comp_targetILNS1_3genE8ELNS1_11target_archE1030ELNS1_3gpuE2ELNS1_3repE0EEENS1_30default_config_static_selectorELNS0_4arch9wavefront6targetE1EEEvT1_
	.p2align	8
	.type	_ZN7rocprim17ROCPRIM_400000_NS6detail17trampoline_kernelINS0_14default_configENS1_25partition_config_selectorILNS1_17partition_subalgoE1EsNS0_10empty_typeEbEEZZNS1_14partition_implILS5_1ELb0ES3_jN6thrust23THRUST_200600_302600_NS6detail15normal_iteratorINSA_10device_ptrIsEEEEPS6_NSA_18transform_iteratorI7is_evenIsESF_NSA_11use_defaultESK_EENS0_5tupleIJSF_SF_EEENSM_IJSG_SG_EEES6_PlJS6_EEE10hipError_tPvRmT3_T4_T5_T6_T7_T9_mT8_P12ihipStream_tbDpT10_ENKUlT_T0_E_clISt17integral_constantIbLb0EES19_EEDaS14_S15_EUlS14_E_NS1_11comp_targetILNS1_3genE8ELNS1_11target_archE1030ELNS1_3gpuE2ELNS1_3repE0EEENS1_30default_config_static_selectorELNS0_4arch9wavefront6targetE1EEEvT1_,@function
_ZN7rocprim17ROCPRIM_400000_NS6detail17trampoline_kernelINS0_14default_configENS1_25partition_config_selectorILNS1_17partition_subalgoE1EsNS0_10empty_typeEbEEZZNS1_14partition_implILS5_1ELb0ES3_jN6thrust23THRUST_200600_302600_NS6detail15normal_iteratorINSA_10device_ptrIsEEEEPS6_NSA_18transform_iteratorI7is_evenIsESF_NSA_11use_defaultESK_EENS0_5tupleIJSF_SF_EEENSM_IJSG_SG_EEES6_PlJS6_EEE10hipError_tPvRmT3_T4_T5_T6_T7_T9_mT8_P12ihipStream_tbDpT10_ENKUlT_T0_E_clISt17integral_constantIbLb0EES19_EEDaS14_S15_EUlS14_E_NS1_11comp_targetILNS1_3genE8ELNS1_11target_archE1030ELNS1_3gpuE2ELNS1_3repE0EEENS1_30default_config_static_selectorELNS0_4arch9wavefront6targetE1EEEvT1_: ; @_ZN7rocprim17ROCPRIM_400000_NS6detail17trampoline_kernelINS0_14default_configENS1_25partition_config_selectorILNS1_17partition_subalgoE1EsNS0_10empty_typeEbEEZZNS1_14partition_implILS5_1ELb0ES3_jN6thrust23THRUST_200600_302600_NS6detail15normal_iteratorINSA_10device_ptrIsEEEEPS6_NSA_18transform_iteratorI7is_evenIsESF_NSA_11use_defaultESK_EENS0_5tupleIJSF_SF_EEENSM_IJSG_SG_EEES6_PlJS6_EEE10hipError_tPvRmT3_T4_T5_T6_T7_T9_mT8_P12ihipStream_tbDpT10_ENKUlT_T0_E_clISt17integral_constantIbLb0EES19_EEDaS14_S15_EUlS14_E_NS1_11comp_targetILNS1_3genE8ELNS1_11target_archE1030ELNS1_3gpuE2ELNS1_3repE0EEENS1_30default_config_static_selectorELNS0_4arch9wavefront6targetE1EEEvT1_
; %bb.0:
	.section	.rodata,"a",@progbits
	.p2align	6, 0x0
	.amdhsa_kernel _ZN7rocprim17ROCPRIM_400000_NS6detail17trampoline_kernelINS0_14default_configENS1_25partition_config_selectorILNS1_17partition_subalgoE1EsNS0_10empty_typeEbEEZZNS1_14partition_implILS5_1ELb0ES3_jN6thrust23THRUST_200600_302600_NS6detail15normal_iteratorINSA_10device_ptrIsEEEEPS6_NSA_18transform_iteratorI7is_evenIsESF_NSA_11use_defaultESK_EENS0_5tupleIJSF_SF_EEENSM_IJSG_SG_EEES6_PlJS6_EEE10hipError_tPvRmT3_T4_T5_T6_T7_T9_mT8_P12ihipStream_tbDpT10_ENKUlT_T0_E_clISt17integral_constantIbLb0EES19_EEDaS14_S15_EUlS14_E_NS1_11comp_targetILNS1_3genE8ELNS1_11target_archE1030ELNS1_3gpuE2ELNS1_3repE0EEENS1_30default_config_static_selectorELNS0_4arch9wavefront6targetE1EEEvT1_
		.amdhsa_group_segment_fixed_size 0
		.amdhsa_private_segment_fixed_size 0
		.amdhsa_kernarg_size 128
		.amdhsa_user_sgpr_count 6
		.amdhsa_user_sgpr_private_segment_buffer 1
		.amdhsa_user_sgpr_dispatch_ptr 0
		.amdhsa_user_sgpr_queue_ptr 0
		.amdhsa_user_sgpr_kernarg_segment_ptr 1
		.amdhsa_user_sgpr_dispatch_id 0
		.amdhsa_user_sgpr_flat_scratch_init 0
		.amdhsa_user_sgpr_kernarg_preload_length 0
		.amdhsa_user_sgpr_kernarg_preload_offset 0
		.amdhsa_user_sgpr_private_segment_size 0
		.amdhsa_uses_dynamic_stack 0
		.amdhsa_system_sgpr_private_segment_wavefront_offset 0
		.amdhsa_system_sgpr_workgroup_id_x 1
		.amdhsa_system_sgpr_workgroup_id_y 0
		.amdhsa_system_sgpr_workgroup_id_z 0
		.amdhsa_system_sgpr_workgroup_info 0
		.amdhsa_system_vgpr_workitem_id 0
		.amdhsa_next_free_vgpr 1
		.amdhsa_next_free_sgpr 0
		.amdhsa_accum_offset 4
		.amdhsa_reserve_vcc 0
		.amdhsa_reserve_flat_scratch 0
		.amdhsa_float_round_mode_32 0
		.amdhsa_float_round_mode_16_64 0
		.amdhsa_float_denorm_mode_32 3
		.amdhsa_float_denorm_mode_16_64 3
		.amdhsa_dx10_clamp 1
		.amdhsa_ieee_mode 1
		.amdhsa_fp16_overflow 0
		.amdhsa_tg_split 0
		.amdhsa_exception_fp_ieee_invalid_op 0
		.amdhsa_exception_fp_denorm_src 0
		.amdhsa_exception_fp_ieee_div_zero 0
		.amdhsa_exception_fp_ieee_overflow 0
		.amdhsa_exception_fp_ieee_underflow 0
		.amdhsa_exception_fp_ieee_inexact 0
		.amdhsa_exception_int_div_zero 0
	.end_amdhsa_kernel
	.section	.text._ZN7rocprim17ROCPRIM_400000_NS6detail17trampoline_kernelINS0_14default_configENS1_25partition_config_selectorILNS1_17partition_subalgoE1EsNS0_10empty_typeEbEEZZNS1_14partition_implILS5_1ELb0ES3_jN6thrust23THRUST_200600_302600_NS6detail15normal_iteratorINSA_10device_ptrIsEEEEPS6_NSA_18transform_iteratorI7is_evenIsESF_NSA_11use_defaultESK_EENS0_5tupleIJSF_SF_EEENSM_IJSG_SG_EEES6_PlJS6_EEE10hipError_tPvRmT3_T4_T5_T6_T7_T9_mT8_P12ihipStream_tbDpT10_ENKUlT_T0_E_clISt17integral_constantIbLb0EES19_EEDaS14_S15_EUlS14_E_NS1_11comp_targetILNS1_3genE8ELNS1_11target_archE1030ELNS1_3gpuE2ELNS1_3repE0EEENS1_30default_config_static_selectorELNS0_4arch9wavefront6targetE1EEEvT1_,"axG",@progbits,_ZN7rocprim17ROCPRIM_400000_NS6detail17trampoline_kernelINS0_14default_configENS1_25partition_config_selectorILNS1_17partition_subalgoE1EsNS0_10empty_typeEbEEZZNS1_14partition_implILS5_1ELb0ES3_jN6thrust23THRUST_200600_302600_NS6detail15normal_iteratorINSA_10device_ptrIsEEEEPS6_NSA_18transform_iteratorI7is_evenIsESF_NSA_11use_defaultESK_EENS0_5tupleIJSF_SF_EEENSM_IJSG_SG_EEES6_PlJS6_EEE10hipError_tPvRmT3_T4_T5_T6_T7_T9_mT8_P12ihipStream_tbDpT10_ENKUlT_T0_E_clISt17integral_constantIbLb0EES19_EEDaS14_S15_EUlS14_E_NS1_11comp_targetILNS1_3genE8ELNS1_11target_archE1030ELNS1_3gpuE2ELNS1_3repE0EEENS1_30default_config_static_selectorELNS0_4arch9wavefront6targetE1EEEvT1_,comdat
.Lfunc_end456:
	.size	_ZN7rocprim17ROCPRIM_400000_NS6detail17trampoline_kernelINS0_14default_configENS1_25partition_config_selectorILNS1_17partition_subalgoE1EsNS0_10empty_typeEbEEZZNS1_14partition_implILS5_1ELb0ES3_jN6thrust23THRUST_200600_302600_NS6detail15normal_iteratorINSA_10device_ptrIsEEEEPS6_NSA_18transform_iteratorI7is_evenIsESF_NSA_11use_defaultESK_EENS0_5tupleIJSF_SF_EEENSM_IJSG_SG_EEES6_PlJS6_EEE10hipError_tPvRmT3_T4_T5_T6_T7_T9_mT8_P12ihipStream_tbDpT10_ENKUlT_T0_E_clISt17integral_constantIbLb0EES19_EEDaS14_S15_EUlS14_E_NS1_11comp_targetILNS1_3genE8ELNS1_11target_archE1030ELNS1_3gpuE2ELNS1_3repE0EEENS1_30default_config_static_selectorELNS0_4arch9wavefront6targetE1EEEvT1_, .Lfunc_end456-_ZN7rocprim17ROCPRIM_400000_NS6detail17trampoline_kernelINS0_14default_configENS1_25partition_config_selectorILNS1_17partition_subalgoE1EsNS0_10empty_typeEbEEZZNS1_14partition_implILS5_1ELb0ES3_jN6thrust23THRUST_200600_302600_NS6detail15normal_iteratorINSA_10device_ptrIsEEEEPS6_NSA_18transform_iteratorI7is_evenIsESF_NSA_11use_defaultESK_EENS0_5tupleIJSF_SF_EEENSM_IJSG_SG_EEES6_PlJS6_EEE10hipError_tPvRmT3_T4_T5_T6_T7_T9_mT8_P12ihipStream_tbDpT10_ENKUlT_T0_E_clISt17integral_constantIbLb0EES19_EEDaS14_S15_EUlS14_E_NS1_11comp_targetILNS1_3genE8ELNS1_11target_archE1030ELNS1_3gpuE2ELNS1_3repE0EEENS1_30default_config_static_selectorELNS0_4arch9wavefront6targetE1EEEvT1_
                                        ; -- End function
	.section	.AMDGPU.csdata,"",@progbits
; Kernel info:
; codeLenInByte = 0
; NumSgprs: 4
; NumVgprs: 0
; NumAgprs: 0
; TotalNumVgprs: 0
; ScratchSize: 0
; MemoryBound: 0
; FloatMode: 240
; IeeeMode: 1
; LDSByteSize: 0 bytes/workgroup (compile time only)
; SGPRBlocks: 0
; VGPRBlocks: 0
; NumSGPRsForWavesPerEU: 4
; NumVGPRsForWavesPerEU: 1
; AccumOffset: 4
; Occupancy: 8
; WaveLimiterHint : 0
; COMPUTE_PGM_RSRC2:SCRATCH_EN: 0
; COMPUTE_PGM_RSRC2:USER_SGPR: 6
; COMPUTE_PGM_RSRC2:TRAP_HANDLER: 0
; COMPUTE_PGM_RSRC2:TGID_X_EN: 1
; COMPUTE_PGM_RSRC2:TGID_Y_EN: 0
; COMPUTE_PGM_RSRC2:TGID_Z_EN: 0
; COMPUTE_PGM_RSRC2:TIDIG_COMP_CNT: 0
; COMPUTE_PGM_RSRC3_GFX90A:ACCUM_OFFSET: 0
; COMPUTE_PGM_RSRC3_GFX90A:TG_SPLIT: 0
	.section	.text._ZN7rocprim17ROCPRIM_400000_NS6detail17trampoline_kernelINS0_14default_configENS1_25partition_config_selectorILNS1_17partition_subalgoE1EsNS0_10empty_typeEbEEZZNS1_14partition_implILS5_1ELb0ES3_jN6thrust23THRUST_200600_302600_NS6detail15normal_iteratorINSA_10device_ptrIsEEEEPS6_NSA_18transform_iteratorI7is_evenIsESF_NSA_11use_defaultESK_EENS0_5tupleIJSF_SF_EEENSM_IJSG_SG_EEES6_PlJS6_EEE10hipError_tPvRmT3_T4_T5_T6_T7_T9_mT8_P12ihipStream_tbDpT10_ENKUlT_T0_E_clISt17integral_constantIbLb1EES19_EEDaS14_S15_EUlS14_E_NS1_11comp_targetILNS1_3genE0ELNS1_11target_archE4294967295ELNS1_3gpuE0ELNS1_3repE0EEENS1_30default_config_static_selectorELNS0_4arch9wavefront6targetE1EEEvT1_,"axG",@progbits,_ZN7rocprim17ROCPRIM_400000_NS6detail17trampoline_kernelINS0_14default_configENS1_25partition_config_selectorILNS1_17partition_subalgoE1EsNS0_10empty_typeEbEEZZNS1_14partition_implILS5_1ELb0ES3_jN6thrust23THRUST_200600_302600_NS6detail15normal_iteratorINSA_10device_ptrIsEEEEPS6_NSA_18transform_iteratorI7is_evenIsESF_NSA_11use_defaultESK_EENS0_5tupleIJSF_SF_EEENSM_IJSG_SG_EEES6_PlJS6_EEE10hipError_tPvRmT3_T4_T5_T6_T7_T9_mT8_P12ihipStream_tbDpT10_ENKUlT_T0_E_clISt17integral_constantIbLb1EES19_EEDaS14_S15_EUlS14_E_NS1_11comp_targetILNS1_3genE0ELNS1_11target_archE4294967295ELNS1_3gpuE0ELNS1_3repE0EEENS1_30default_config_static_selectorELNS0_4arch9wavefront6targetE1EEEvT1_,comdat
	.protected	_ZN7rocprim17ROCPRIM_400000_NS6detail17trampoline_kernelINS0_14default_configENS1_25partition_config_selectorILNS1_17partition_subalgoE1EsNS0_10empty_typeEbEEZZNS1_14partition_implILS5_1ELb0ES3_jN6thrust23THRUST_200600_302600_NS6detail15normal_iteratorINSA_10device_ptrIsEEEEPS6_NSA_18transform_iteratorI7is_evenIsESF_NSA_11use_defaultESK_EENS0_5tupleIJSF_SF_EEENSM_IJSG_SG_EEES6_PlJS6_EEE10hipError_tPvRmT3_T4_T5_T6_T7_T9_mT8_P12ihipStream_tbDpT10_ENKUlT_T0_E_clISt17integral_constantIbLb1EES19_EEDaS14_S15_EUlS14_E_NS1_11comp_targetILNS1_3genE0ELNS1_11target_archE4294967295ELNS1_3gpuE0ELNS1_3repE0EEENS1_30default_config_static_selectorELNS0_4arch9wavefront6targetE1EEEvT1_ ; -- Begin function _ZN7rocprim17ROCPRIM_400000_NS6detail17trampoline_kernelINS0_14default_configENS1_25partition_config_selectorILNS1_17partition_subalgoE1EsNS0_10empty_typeEbEEZZNS1_14partition_implILS5_1ELb0ES3_jN6thrust23THRUST_200600_302600_NS6detail15normal_iteratorINSA_10device_ptrIsEEEEPS6_NSA_18transform_iteratorI7is_evenIsESF_NSA_11use_defaultESK_EENS0_5tupleIJSF_SF_EEENSM_IJSG_SG_EEES6_PlJS6_EEE10hipError_tPvRmT3_T4_T5_T6_T7_T9_mT8_P12ihipStream_tbDpT10_ENKUlT_T0_E_clISt17integral_constantIbLb1EES19_EEDaS14_S15_EUlS14_E_NS1_11comp_targetILNS1_3genE0ELNS1_11target_archE4294967295ELNS1_3gpuE0ELNS1_3repE0EEENS1_30default_config_static_selectorELNS0_4arch9wavefront6targetE1EEEvT1_
	.globl	_ZN7rocprim17ROCPRIM_400000_NS6detail17trampoline_kernelINS0_14default_configENS1_25partition_config_selectorILNS1_17partition_subalgoE1EsNS0_10empty_typeEbEEZZNS1_14partition_implILS5_1ELb0ES3_jN6thrust23THRUST_200600_302600_NS6detail15normal_iteratorINSA_10device_ptrIsEEEEPS6_NSA_18transform_iteratorI7is_evenIsESF_NSA_11use_defaultESK_EENS0_5tupleIJSF_SF_EEENSM_IJSG_SG_EEES6_PlJS6_EEE10hipError_tPvRmT3_T4_T5_T6_T7_T9_mT8_P12ihipStream_tbDpT10_ENKUlT_T0_E_clISt17integral_constantIbLb1EES19_EEDaS14_S15_EUlS14_E_NS1_11comp_targetILNS1_3genE0ELNS1_11target_archE4294967295ELNS1_3gpuE0ELNS1_3repE0EEENS1_30default_config_static_selectorELNS0_4arch9wavefront6targetE1EEEvT1_
	.p2align	8
	.type	_ZN7rocprim17ROCPRIM_400000_NS6detail17trampoline_kernelINS0_14default_configENS1_25partition_config_selectorILNS1_17partition_subalgoE1EsNS0_10empty_typeEbEEZZNS1_14partition_implILS5_1ELb0ES3_jN6thrust23THRUST_200600_302600_NS6detail15normal_iteratorINSA_10device_ptrIsEEEEPS6_NSA_18transform_iteratorI7is_evenIsESF_NSA_11use_defaultESK_EENS0_5tupleIJSF_SF_EEENSM_IJSG_SG_EEES6_PlJS6_EEE10hipError_tPvRmT3_T4_T5_T6_T7_T9_mT8_P12ihipStream_tbDpT10_ENKUlT_T0_E_clISt17integral_constantIbLb1EES19_EEDaS14_S15_EUlS14_E_NS1_11comp_targetILNS1_3genE0ELNS1_11target_archE4294967295ELNS1_3gpuE0ELNS1_3repE0EEENS1_30default_config_static_selectorELNS0_4arch9wavefront6targetE1EEEvT1_,@function
_ZN7rocprim17ROCPRIM_400000_NS6detail17trampoline_kernelINS0_14default_configENS1_25partition_config_selectorILNS1_17partition_subalgoE1EsNS0_10empty_typeEbEEZZNS1_14partition_implILS5_1ELb0ES3_jN6thrust23THRUST_200600_302600_NS6detail15normal_iteratorINSA_10device_ptrIsEEEEPS6_NSA_18transform_iteratorI7is_evenIsESF_NSA_11use_defaultESK_EENS0_5tupleIJSF_SF_EEENSM_IJSG_SG_EEES6_PlJS6_EEE10hipError_tPvRmT3_T4_T5_T6_T7_T9_mT8_P12ihipStream_tbDpT10_ENKUlT_T0_E_clISt17integral_constantIbLb1EES19_EEDaS14_S15_EUlS14_E_NS1_11comp_targetILNS1_3genE0ELNS1_11target_archE4294967295ELNS1_3gpuE0ELNS1_3repE0EEENS1_30default_config_static_selectorELNS0_4arch9wavefront6targetE1EEEvT1_: ; @_ZN7rocprim17ROCPRIM_400000_NS6detail17trampoline_kernelINS0_14default_configENS1_25partition_config_selectorILNS1_17partition_subalgoE1EsNS0_10empty_typeEbEEZZNS1_14partition_implILS5_1ELb0ES3_jN6thrust23THRUST_200600_302600_NS6detail15normal_iteratorINSA_10device_ptrIsEEEEPS6_NSA_18transform_iteratorI7is_evenIsESF_NSA_11use_defaultESK_EENS0_5tupleIJSF_SF_EEENSM_IJSG_SG_EEES6_PlJS6_EEE10hipError_tPvRmT3_T4_T5_T6_T7_T9_mT8_P12ihipStream_tbDpT10_ENKUlT_T0_E_clISt17integral_constantIbLb1EES19_EEDaS14_S15_EUlS14_E_NS1_11comp_targetILNS1_3genE0ELNS1_11target_archE4294967295ELNS1_3gpuE0ELNS1_3repE0EEENS1_30default_config_static_selectorELNS0_4arch9wavefront6targetE1EEEvT1_
; %bb.0:
	.section	.rodata,"a",@progbits
	.p2align	6, 0x0
	.amdhsa_kernel _ZN7rocprim17ROCPRIM_400000_NS6detail17trampoline_kernelINS0_14default_configENS1_25partition_config_selectorILNS1_17partition_subalgoE1EsNS0_10empty_typeEbEEZZNS1_14partition_implILS5_1ELb0ES3_jN6thrust23THRUST_200600_302600_NS6detail15normal_iteratorINSA_10device_ptrIsEEEEPS6_NSA_18transform_iteratorI7is_evenIsESF_NSA_11use_defaultESK_EENS0_5tupleIJSF_SF_EEENSM_IJSG_SG_EEES6_PlJS6_EEE10hipError_tPvRmT3_T4_T5_T6_T7_T9_mT8_P12ihipStream_tbDpT10_ENKUlT_T0_E_clISt17integral_constantIbLb1EES19_EEDaS14_S15_EUlS14_E_NS1_11comp_targetILNS1_3genE0ELNS1_11target_archE4294967295ELNS1_3gpuE0ELNS1_3repE0EEENS1_30default_config_static_selectorELNS0_4arch9wavefront6targetE1EEEvT1_
		.amdhsa_group_segment_fixed_size 0
		.amdhsa_private_segment_fixed_size 0
		.amdhsa_kernarg_size 144
		.amdhsa_user_sgpr_count 6
		.amdhsa_user_sgpr_private_segment_buffer 1
		.amdhsa_user_sgpr_dispatch_ptr 0
		.amdhsa_user_sgpr_queue_ptr 0
		.amdhsa_user_sgpr_kernarg_segment_ptr 1
		.amdhsa_user_sgpr_dispatch_id 0
		.amdhsa_user_sgpr_flat_scratch_init 0
		.amdhsa_user_sgpr_kernarg_preload_length 0
		.amdhsa_user_sgpr_kernarg_preload_offset 0
		.amdhsa_user_sgpr_private_segment_size 0
		.amdhsa_uses_dynamic_stack 0
		.amdhsa_system_sgpr_private_segment_wavefront_offset 0
		.amdhsa_system_sgpr_workgroup_id_x 1
		.amdhsa_system_sgpr_workgroup_id_y 0
		.amdhsa_system_sgpr_workgroup_id_z 0
		.amdhsa_system_sgpr_workgroup_info 0
		.amdhsa_system_vgpr_workitem_id 0
		.amdhsa_next_free_vgpr 1
		.amdhsa_next_free_sgpr 0
		.amdhsa_accum_offset 4
		.amdhsa_reserve_vcc 0
		.amdhsa_reserve_flat_scratch 0
		.amdhsa_float_round_mode_32 0
		.amdhsa_float_round_mode_16_64 0
		.amdhsa_float_denorm_mode_32 3
		.amdhsa_float_denorm_mode_16_64 3
		.amdhsa_dx10_clamp 1
		.amdhsa_ieee_mode 1
		.amdhsa_fp16_overflow 0
		.amdhsa_tg_split 0
		.amdhsa_exception_fp_ieee_invalid_op 0
		.amdhsa_exception_fp_denorm_src 0
		.amdhsa_exception_fp_ieee_div_zero 0
		.amdhsa_exception_fp_ieee_overflow 0
		.amdhsa_exception_fp_ieee_underflow 0
		.amdhsa_exception_fp_ieee_inexact 0
		.amdhsa_exception_int_div_zero 0
	.end_amdhsa_kernel
	.section	.text._ZN7rocprim17ROCPRIM_400000_NS6detail17trampoline_kernelINS0_14default_configENS1_25partition_config_selectorILNS1_17partition_subalgoE1EsNS0_10empty_typeEbEEZZNS1_14partition_implILS5_1ELb0ES3_jN6thrust23THRUST_200600_302600_NS6detail15normal_iteratorINSA_10device_ptrIsEEEEPS6_NSA_18transform_iteratorI7is_evenIsESF_NSA_11use_defaultESK_EENS0_5tupleIJSF_SF_EEENSM_IJSG_SG_EEES6_PlJS6_EEE10hipError_tPvRmT3_T4_T5_T6_T7_T9_mT8_P12ihipStream_tbDpT10_ENKUlT_T0_E_clISt17integral_constantIbLb1EES19_EEDaS14_S15_EUlS14_E_NS1_11comp_targetILNS1_3genE0ELNS1_11target_archE4294967295ELNS1_3gpuE0ELNS1_3repE0EEENS1_30default_config_static_selectorELNS0_4arch9wavefront6targetE1EEEvT1_,"axG",@progbits,_ZN7rocprim17ROCPRIM_400000_NS6detail17trampoline_kernelINS0_14default_configENS1_25partition_config_selectorILNS1_17partition_subalgoE1EsNS0_10empty_typeEbEEZZNS1_14partition_implILS5_1ELb0ES3_jN6thrust23THRUST_200600_302600_NS6detail15normal_iteratorINSA_10device_ptrIsEEEEPS6_NSA_18transform_iteratorI7is_evenIsESF_NSA_11use_defaultESK_EENS0_5tupleIJSF_SF_EEENSM_IJSG_SG_EEES6_PlJS6_EEE10hipError_tPvRmT3_T4_T5_T6_T7_T9_mT8_P12ihipStream_tbDpT10_ENKUlT_T0_E_clISt17integral_constantIbLb1EES19_EEDaS14_S15_EUlS14_E_NS1_11comp_targetILNS1_3genE0ELNS1_11target_archE4294967295ELNS1_3gpuE0ELNS1_3repE0EEENS1_30default_config_static_selectorELNS0_4arch9wavefront6targetE1EEEvT1_,comdat
.Lfunc_end457:
	.size	_ZN7rocprim17ROCPRIM_400000_NS6detail17trampoline_kernelINS0_14default_configENS1_25partition_config_selectorILNS1_17partition_subalgoE1EsNS0_10empty_typeEbEEZZNS1_14partition_implILS5_1ELb0ES3_jN6thrust23THRUST_200600_302600_NS6detail15normal_iteratorINSA_10device_ptrIsEEEEPS6_NSA_18transform_iteratorI7is_evenIsESF_NSA_11use_defaultESK_EENS0_5tupleIJSF_SF_EEENSM_IJSG_SG_EEES6_PlJS6_EEE10hipError_tPvRmT3_T4_T5_T6_T7_T9_mT8_P12ihipStream_tbDpT10_ENKUlT_T0_E_clISt17integral_constantIbLb1EES19_EEDaS14_S15_EUlS14_E_NS1_11comp_targetILNS1_3genE0ELNS1_11target_archE4294967295ELNS1_3gpuE0ELNS1_3repE0EEENS1_30default_config_static_selectorELNS0_4arch9wavefront6targetE1EEEvT1_, .Lfunc_end457-_ZN7rocprim17ROCPRIM_400000_NS6detail17trampoline_kernelINS0_14default_configENS1_25partition_config_selectorILNS1_17partition_subalgoE1EsNS0_10empty_typeEbEEZZNS1_14partition_implILS5_1ELb0ES3_jN6thrust23THRUST_200600_302600_NS6detail15normal_iteratorINSA_10device_ptrIsEEEEPS6_NSA_18transform_iteratorI7is_evenIsESF_NSA_11use_defaultESK_EENS0_5tupleIJSF_SF_EEENSM_IJSG_SG_EEES6_PlJS6_EEE10hipError_tPvRmT3_T4_T5_T6_T7_T9_mT8_P12ihipStream_tbDpT10_ENKUlT_T0_E_clISt17integral_constantIbLb1EES19_EEDaS14_S15_EUlS14_E_NS1_11comp_targetILNS1_3genE0ELNS1_11target_archE4294967295ELNS1_3gpuE0ELNS1_3repE0EEENS1_30default_config_static_selectorELNS0_4arch9wavefront6targetE1EEEvT1_
                                        ; -- End function
	.section	.AMDGPU.csdata,"",@progbits
; Kernel info:
; codeLenInByte = 0
; NumSgprs: 4
; NumVgprs: 0
; NumAgprs: 0
; TotalNumVgprs: 0
; ScratchSize: 0
; MemoryBound: 0
; FloatMode: 240
; IeeeMode: 1
; LDSByteSize: 0 bytes/workgroup (compile time only)
; SGPRBlocks: 0
; VGPRBlocks: 0
; NumSGPRsForWavesPerEU: 4
; NumVGPRsForWavesPerEU: 1
; AccumOffset: 4
; Occupancy: 8
; WaveLimiterHint : 0
; COMPUTE_PGM_RSRC2:SCRATCH_EN: 0
; COMPUTE_PGM_RSRC2:USER_SGPR: 6
; COMPUTE_PGM_RSRC2:TRAP_HANDLER: 0
; COMPUTE_PGM_RSRC2:TGID_X_EN: 1
; COMPUTE_PGM_RSRC2:TGID_Y_EN: 0
; COMPUTE_PGM_RSRC2:TGID_Z_EN: 0
; COMPUTE_PGM_RSRC2:TIDIG_COMP_CNT: 0
; COMPUTE_PGM_RSRC3_GFX90A:ACCUM_OFFSET: 0
; COMPUTE_PGM_RSRC3_GFX90A:TG_SPLIT: 0
	.section	.text._ZN7rocprim17ROCPRIM_400000_NS6detail17trampoline_kernelINS0_14default_configENS1_25partition_config_selectorILNS1_17partition_subalgoE1EsNS0_10empty_typeEbEEZZNS1_14partition_implILS5_1ELb0ES3_jN6thrust23THRUST_200600_302600_NS6detail15normal_iteratorINSA_10device_ptrIsEEEEPS6_NSA_18transform_iteratorI7is_evenIsESF_NSA_11use_defaultESK_EENS0_5tupleIJSF_SF_EEENSM_IJSG_SG_EEES6_PlJS6_EEE10hipError_tPvRmT3_T4_T5_T6_T7_T9_mT8_P12ihipStream_tbDpT10_ENKUlT_T0_E_clISt17integral_constantIbLb1EES19_EEDaS14_S15_EUlS14_E_NS1_11comp_targetILNS1_3genE5ELNS1_11target_archE942ELNS1_3gpuE9ELNS1_3repE0EEENS1_30default_config_static_selectorELNS0_4arch9wavefront6targetE1EEEvT1_,"axG",@progbits,_ZN7rocprim17ROCPRIM_400000_NS6detail17trampoline_kernelINS0_14default_configENS1_25partition_config_selectorILNS1_17partition_subalgoE1EsNS0_10empty_typeEbEEZZNS1_14partition_implILS5_1ELb0ES3_jN6thrust23THRUST_200600_302600_NS6detail15normal_iteratorINSA_10device_ptrIsEEEEPS6_NSA_18transform_iteratorI7is_evenIsESF_NSA_11use_defaultESK_EENS0_5tupleIJSF_SF_EEENSM_IJSG_SG_EEES6_PlJS6_EEE10hipError_tPvRmT3_T4_T5_T6_T7_T9_mT8_P12ihipStream_tbDpT10_ENKUlT_T0_E_clISt17integral_constantIbLb1EES19_EEDaS14_S15_EUlS14_E_NS1_11comp_targetILNS1_3genE5ELNS1_11target_archE942ELNS1_3gpuE9ELNS1_3repE0EEENS1_30default_config_static_selectorELNS0_4arch9wavefront6targetE1EEEvT1_,comdat
	.protected	_ZN7rocprim17ROCPRIM_400000_NS6detail17trampoline_kernelINS0_14default_configENS1_25partition_config_selectorILNS1_17partition_subalgoE1EsNS0_10empty_typeEbEEZZNS1_14partition_implILS5_1ELb0ES3_jN6thrust23THRUST_200600_302600_NS6detail15normal_iteratorINSA_10device_ptrIsEEEEPS6_NSA_18transform_iteratorI7is_evenIsESF_NSA_11use_defaultESK_EENS0_5tupleIJSF_SF_EEENSM_IJSG_SG_EEES6_PlJS6_EEE10hipError_tPvRmT3_T4_T5_T6_T7_T9_mT8_P12ihipStream_tbDpT10_ENKUlT_T0_E_clISt17integral_constantIbLb1EES19_EEDaS14_S15_EUlS14_E_NS1_11comp_targetILNS1_3genE5ELNS1_11target_archE942ELNS1_3gpuE9ELNS1_3repE0EEENS1_30default_config_static_selectorELNS0_4arch9wavefront6targetE1EEEvT1_ ; -- Begin function _ZN7rocprim17ROCPRIM_400000_NS6detail17trampoline_kernelINS0_14default_configENS1_25partition_config_selectorILNS1_17partition_subalgoE1EsNS0_10empty_typeEbEEZZNS1_14partition_implILS5_1ELb0ES3_jN6thrust23THRUST_200600_302600_NS6detail15normal_iteratorINSA_10device_ptrIsEEEEPS6_NSA_18transform_iteratorI7is_evenIsESF_NSA_11use_defaultESK_EENS0_5tupleIJSF_SF_EEENSM_IJSG_SG_EEES6_PlJS6_EEE10hipError_tPvRmT3_T4_T5_T6_T7_T9_mT8_P12ihipStream_tbDpT10_ENKUlT_T0_E_clISt17integral_constantIbLb1EES19_EEDaS14_S15_EUlS14_E_NS1_11comp_targetILNS1_3genE5ELNS1_11target_archE942ELNS1_3gpuE9ELNS1_3repE0EEENS1_30default_config_static_selectorELNS0_4arch9wavefront6targetE1EEEvT1_
	.globl	_ZN7rocprim17ROCPRIM_400000_NS6detail17trampoline_kernelINS0_14default_configENS1_25partition_config_selectorILNS1_17partition_subalgoE1EsNS0_10empty_typeEbEEZZNS1_14partition_implILS5_1ELb0ES3_jN6thrust23THRUST_200600_302600_NS6detail15normal_iteratorINSA_10device_ptrIsEEEEPS6_NSA_18transform_iteratorI7is_evenIsESF_NSA_11use_defaultESK_EENS0_5tupleIJSF_SF_EEENSM_IJSG_SG_EEES6_PlJS6_EEE10hipError_tPvRmT3_T4_T5_T6_T7_T9_mT8_P12ihipStream_tbDpT10_ENKUlT_T0_E_clISt17integral_constantIbLb1EES19_EEDaS14_S15_EUlS14_E_NS1_11comp_targetILNS1_3genE5ELNS1_11target_archE942ELNS1_3gpuE9ELNS1_3repE0EEENS1_30default_config_static_selectorELNS0_4arch9wavefront6targetE1EEEvT1_
	.p2align	8
	.type	_ZN7rocprim17ROCPRIM_400000_NS6detail17trampoline_kernelINS0_14default_configENS1_25partition_config_selectorILNS1_17partition_subalgoE1EsNS0_10empty_typeEbEEZZNS1_14partition_implILS5_1ELb0ES3_jN6thrust23THRUST_200600_302600_NS6detail15normal_iteratorINSA_10device_ptrIsEEEEPS6_NSA_18transform_iteratorI7is_evenIsESF_NSA_11use_defaultESK_EENS0_5tupleIJSF_SF_EEENSM_IJSG_SG_EEES6_PlJS6_EEE10hipError_tPvRmT3_T4_T5_T6_T7_T9_mT8_P12ihipStream_tbDpT10_ENKUlT_T0_E_clISt17integral_constantIbLb1EES19_EEDaS14_S15_EUlS14_E_NS1_11comp_targetILNS1_3genE5ELNS1_11target_archE942ELNS1_3gpuE9ELNS1_3repE0EEENS1_30default_config_static_selectorELNS0_4arch9wavefront6targetE1EEEvT1_,@function
_ZN7rocprim17ROCPRIM_400000_NS6detail17trampoline_kernelINS0_14default_configENS1_25partition_config_selectorILNS1_17partition_subalgoE1EsNS0_10empty_typeEbEEZZNS1_14partition_implILS5_1ELb0ES3_jN6thrust23THRUST_200600_302600_NS6detail15normal_iteratorINSA_10device_ptrIsEEEEPS6_NSA_18transform_iteratorI7is_evenIsESF_NSA_11use_defaultESK_EENS0_5tupleIJSF_SF_EEENSM_IJSG_SG_EEES6_PlJS6_EEE10hipError_tPvRmT3_T4_T5_T6_T7_T9_mT8_P12ihipStream_tbDpT10_ENKUlT_T0_E_clISt17integral_constantIbLb1EES19_EEDaS14_S15_EUlS14_E_NS1_11comp_targetILNS1_3genE5ELNS1_11target_archE942ELNS1_3gpuE9ELNS1_3repE0EEENS1_30default_config_static_selectorELNS0_4arch9wavefront6targetE1EEEvT1_: ; @_ZN7rocprim17ROCPRIM_400000_NS6detail17trampoline_kernelINS0_14default_configENS1_25partition_config_selectorILNS1_17partition_subalgoE1EsNS0_10empty_typeEbEEZZNS1_14partition_implILS5_1ELb0ES3_jN6thrust23THRUST_200600_302600_NS6detail15normal_iteratorINSA_10device_ptrIsEEEEPS6_NSA_18transform_iteratorI7is_evenIsESF_NSA_11use_defaultESK_EENS0_5tupleIJSF_SF_EEENSM_IJSG_SG_EEES6_PlJS6_EEE10hipError_tPvRmT3_T4_T5_T6_T7_T9_mT8_P12ihipStream_tbDpT10_ENKUlT_T0_E_clISt17integral_constantIbLb1EES19_EEDaS14_S15_EUlS14_E_NS1_11comp_targetILNS1_3genE5ELNS1_11target_archE942ELNS1_3gpuE9ELNS1_3repE0EEENS1_30default_config_static_selectorELNS0_4arch9wavefront6targetE1EEEvT1_
; %bb.0:
	.section	.rodata,"a",@progbits
	.p2align	6, 0x0
	.amdhsa_kernel _ZN7rocprim17ROCPRIM_400000_NS6detail17trampoline_kernelINS0_14default_configENS1_25partition_config_selectorILNS1_17partition_subalgoE1EsNS0_10empty_typeEbEEZZNS1_14partition_implILS5_1ELb0ES3_jN6thrust23THRUST_200600_302600_NS6detail15normal_iteratorINSA_10device_ptrIsEEEEPS6_NSA_18transform_iteratorI7is_evenIsESF_NSA_11use_defaultESK_EENS0_5tupleIJSF_SF_EEENSM_IJSG_SG_EEES6_PlJS6_EEE10hipError_tPvRmT3_T4_T5_T6_T7_T9_mT8_P12ihipStream_tbDpT10_ENKUlT_T0_E_clISt17integral_constantIbLb1EES19_EEDaS14_S15_EUlS14_E_NS1_11comp_targetILNS1_3genE5ELNS1_11target_archE942ELNS1_3gpuE9ELNS1_3repE0EEENS1_30default_config_static_selectorELNS0_4arch9wavefront6targetE1EEEvT1_
		.amdhsa_group_segment_fixed_size 0
		.amdhsa_private_segment_fixed_size 0
		.amdhsa_kernarg_size 144
		.amdhsa_user_sgpr_count 6
		.amdhsa_user_sgpr_private_segment_buffer 1
		.amdhsa_user_sgpr_dispatch_ptr 0
		.amdhsa_user_sgpr_queue_ptr 0
		.amdhsa_user_sgpr_kernarg_segment_ptr 1
		.amdhsa_user_sgpr_dispatch_id 0
		.amdhsa_user_sgpr_flat_scratch_init 0
		.amdhsa_user_sgpr_kernarg_preload_length 0
		.amdhsa_user_sgpr_kernarg_preload_offset 0
		.amdhsa_user_sgpr_private_segment_size 0
		.amdhsa_uses_dynamic_stack 0
		.amdhsa_system_sgpr_private_segment_wavefront_offset 0
		.amdhsa_system_sgpr_workgroup_id_x 1
		.amdhsa_system_sgpr_workgroup_id_y 0
		.amdhsa_system_sgpr_workgroup_id_z 0
		.amdhsa_system_sgpr_workgroup_info 0
		.amdhsa_system_vgpr_workitem_id 0
		.amdhsa_next_free_vgpr 1
		.amdhsa_next_free_sgpr 0
		.amdhsa_accum_offset 4
		.amdhsa_reserve_vcc 0
		.amdhsa_reserve_flat_scratch 0
		.amdhsa_float_round_mode_32 0
		.amdhsa_float_round_mode_16_64 0
		.amdhsa_float_denorm_mode_32 3
		.amdhsa_float_denorm_mode_16_64 3
		.amdhsa_dx10_clamp 1
		.amdhsa_ieee_mode 1
		.amdhsa_fp16_overflow 0
		.amdhsa_tg_split 0
		.amdhsa_exception_fp_ieee_invalid_op 0
		.amdhsa_exception_fp_denorm_src 0
		.amdhsa_exception_fp_ieee_div_zero 0
		.amdhsa_exception_fp_ieee_overflow 0
		.amdhsa_exception_fp_ieee_underflow 0
		.amdhsa_exception_fp_ieee_inexact 0
		.amdhsa_exception_int_div_zero 0
	.end_amdhsa_kernel
	.section	.text._ZN7rocprim17ROCPRIM_400000_NS6detail17trampoline_kernelINS0_14default_configENS1_25partition_config_selectorILNS1_17partition_subalgoE1EsNS0_10empty_typeEbEEZZNS1_14partition_implILS5_1ELb0ES3_jN6thrust23THRUST_200600_302600_NS6detail15normal_iteratorINSA_10device_ptrIsEEEEPS6_NSA_18transform_iteratorI7is_evenIsESF_NSA_11use_defaultESK_EENS0_5tupleIJSF_SF_EEENSM_IJSG_SG_EEES6_PlJS6_EEE10hipError_tPvRmT3_T4_T5_T6_T7_T9_mT8_P12ihipStream_tbDpT10_ENKUlT_T0_E_clISt17integral_constantIbLb1EES19_EEDaS14_S15_EUlS14_E_NS1_11comp_targetILNS1_3genE5ELNS1_11target_archE942ELNS1_3gpuE9ELNS1_3repE0EEENS1_30default_config_static_selectorELNS0_4arch9wavefront6targetE1EEEvT1_,"axG",@progbits,_ZN7rocprim17ROCPRIM_400000_NS6detail17trampoline_kernelINS0_14default_configENS1_25partition_config_selectorILNS1_17partition_subalgoE1EsNS0_10empty_typeEbEEZZNS1_14partition_implILS5_1ELb0ES3_jN6thrust23THRUST_200600_302600_NS6detail15normal_iteratorINSA_10device_ptrIsEEEEPS6_NSA_18transform_iteratorI7is_evenIsESF_NSA_11use_defaultESK_EENS0_5tupleIJSF_SF_EEENSM_IJSG_SG_EEES6_PlJS6_EEE10hipError_tPvRmT3_T4_T5_T6_T7_T9_mT8_P12ihipStream_tbDpT10_ENKUlT_T0_E_clISt17integral_constantIbLb1EES19_EEDaS14_S15_EUlS14_E_NS1_11comp_targetILNS1_3genE5ELNS1_11target_archE942ELNS1_3gpuE9ELNS1_3repE0EEENS1_30default_config_static_selectorELNS0_4arch9wavefront6targetE1EEEvT1_,comdat
.Lfunc_end458:
	.size	_ZN7rocprim17ROCPRIM_400000_NS6detail17trampoline_kernelINS0_14default_configENS1_25partition_config_selectorILNS1_17partition_subalgoE1EsNS0_10empty_typeEbEEZZNS1_14partition_implILS5_1ELb0ES3_jN6thrust23THRUST_200600_302600_NS6detail15normal_iteratorINSA_10device_ptrIsEEEEPS6_NSA_18transform_iteratorI7is_evenIsESF_NSA_11use_defaultESK_EENS0_5tupleIJSF_SF_EEENSM_IJSG_SG_EEES6_PlJS6_EEE10hipError_tPvRmT3_T4_T5_T6_T7_T9_mT8_P12ihipStream_tbDpT10_ENKUlT_T0_E_clISt17integral_constantIbLb1EES19_EEDaS14_S15_EUlS14_E_NS1_11comp_targetILNS1_3genE5ELNS1_11target_archE942ELNS1_3gpuE9ELNS1_3repE0EEENS1_30default_config_static_selectorELNS0_4arch9wavefront6targetE1EEEvT1_, .Lfunc_end458-_ZN7rocprim17ROCPRIM_400000_NS6detail17trampoline_kernelINS0_14default_configENS1_25partition_config_selectorILNS1_17partition_subalgoE1EsNS0_10empty_typeEbEEZZNS1_14partition_implILS5_1ELb0ES3_jN6thrust23THRUST_200600_302600_NS6detail15normal_iteratorINSA_10device_ptrIsEEEEPS6_NSA_18transform_iteratorI7is_evenIsESF_NSA_11use_defaultESK_EENS0_5tupleIJSF_SF_EEENSM_IJSG_SG_EEES6_PlJS6_EEE10hipError_tPvRmT3_T4_T5_T6_T7_T9_mT8_P12ihipStream_tbDpT10_ENKUlT_T0_E_clISt17integral_constantIbLb1EES19_EEDaS14_S15_EUlS14_E_NS1_11comp_targetILNS1_3genE5ELNS1_11target_archE942ELNS1_3gpuE9ELNS1_3repE0EEENS1_30default_config_static_selectorELNS0_4arch9wavefront6targetE1EEEvT1_
                                        ; -- End function
	.section	.AMDGPU.csdata,"",@progbits
; Kernel info:
; codeLenInByte = 0
; NumSgprs: 4
; NumVgprs: 0
; NumAgprs: 0
; TotalNumVgprs: 0
; ScratchSize: 0
; MemoryBound: 0
; FloatMode: 240
; IeeeMode: 1
; LDSByteSize: 0 bytes/workgroup (compile time only)
; SGPRBlocks: 0
; VGPRBlocks: 0
; NumSGPRsForWavesPerEU: 4
; NumVGPRsForWavesPerEU: 1
; AccumOffset: 4
; Occupancy: 8
; WaveLimiterHint : 0
; COMPUTE_PGM_RSRC2:SCRATCH_EN: 0
; COMPUTE_PGM_RSRC2:USER_SGPR: 6
; COMPUTE_PGM_RSRC2:TRAP_HANDLER: 0
; COMPUTE_PGM_RSRC2:TGID_X_EN: 1
; COMPUTE_PGM_RSRC2:TGID_Y_EN: 0
; COMPUTE_PGM_RSRC2:TGID_Z_EN: 0
; COMPUTE_PGM_RSRC2:TIDIG_COMP_CNT: 0
; COMPUTE_PGM_RSRC3_GFX90A:ACCUM_OFFSET: 0
; COMPUTE_PGM_RSRC3_GFX90A:TG_SPLIT: 0
	.section	.text._ZN7rocprim17ROCPRIM_400000_NS6detail17trampoline_kernelINS0_14default_configENS1_25partition_config_selectorILNS1_17partition_subalgoE1EsNS0_10empty_typeEbEEZZNS1_14partition_implILS5_1ELb0ES3_jN6thrust23THRUST_200600_302600_NS6detail15normal_iteratorINSA_10device_ptrIsEEEEPS6_NSA_18transform_iteratorI7is_evenIsESF_NSA_11use_defaultESK_EENS0_5tupleIJSF_SF_EEENSM_IJSG_SG_EEES6_PlJS6_EEE10hipError_tPvRmT3_T4_T5_T6_T7_T9_mT8_P12ihipStream_tbDpT10_ENKUlT_T0_E_clISt17integral_constantIbLb1EES19_EEDaS14_S15_EUlS14_E_NS1_11comp_targetILNS1_3genE4ELNS1_11target_archE910ELNS1_3gpuE8ELNS1_3repE0EEENS1_30default_config_static_selectorELNS0_4arch9wavefront6targetE1EEEvT1_,"axG",@progbits,_ZN7rocprim17ROCPRIM_400000_NS6detail17trampoline_kernelINS0_14default_configENS1_25partition_config_selectorILNS1_17partition_subalgoE1EsNS0_10empty_typeEbEEZZNS1_14partition_implILS5_1ELb0ES3_jN6thrust23THRUST_200600_302600_NS6detail15normal_iteratorINSA_10device_ptrIsEEEEPS6_NSA_18transform_iteratorI7is_evenIsESF_NSA_11use_defaultESK_EENS0_5tupleIJSF_SF_EEENSM_IJSG_SG_EEES6_PlJS6_EEE10hipError_tPvRmT3_T4_T5_T6_T7_T9_mT8_P12ihipStream_tbDpT10_ENKUlT_T0_E_clISt17integral_constantIbLb1EES19_EEDaS14_S15_EUlS14_E_NS1_11comp_targetILNS1_3genE4ELNS1_11target_archE910ELNS1_3gpuE8ELNS1_3repE0EEENS1_30default_config_static_selectorELNS0_4arch9wavefront6targetE1EEEvT1_,comdat
	.protected	_ZN7rocprim17ROCPRIM_400000_NS6detail17trampoline_kernelINS0_14default_configENS1_25partition_config_selectorILNS1_17partition_subalgoE1EsNS0_10empty_typeEbEEZZNS1_14partition_implILS5_1ELb0ES3_jN6thrust23THRUST_200600_302600_NS6detail15normal_iteratorINSA_10device_ptrIsEEEEPS6_NSA_18transform_iteratorI7is_evenIsESF_NSA_11use_defaultESK_EENS0_5tupleIJSF_SF_EEENSM_IJSG_SG_EEES6_PlJS6_EEE10hipError_tPvRmT3_T4_T5_T6_T7_T9_mT8_P12ihipStream_tbDpT10_ENKUlT_T0_E_clISt17integral_constantIbLb1EES19_EEDaS14_S15_EUlS14_E_NS1_11comp_targetILNS1_3genE4ELNS1_11target_archE910ELNS1_3gpuE8ELNS1_3repE0EEENS1_30default_config_static_selectorELNS0_4arch9wavefront6targetE1EEEvT1_ ; -- Begin function _ZN7rocprim17ROCPRIM_400000_NS6detail17trampoline_kernelINS0_14default_configENS1_25partition_config_selectorILNS1_17partition_subalgoE1EsNS0_10empty_typeEbEEZZNS1_14partition_implILS5_1ELb0ES3_jN6thrust23THRUST_200600_302600_NS6detail15normal_iteratorINSA_10device_ptrIsEEEEPS6_NSA_18transform_iteratorI7is_evenIsESF_NSA_11use_defaultESK_EENS0_5tupleIJSF_SF_EEENSM_IJSG_SG_EEES6_PlJS6_EEE10hipError_tPvRmT3_T4_T5_T6_T7_T9_mT8_P12ihipStream_tbDpT10_ENKUlT_T0_E_clISt17integral_constantIbLb1EES19_EEDaS14_S15_EUlS14_E_NS1_11comp_targetILNS1_3genE4ELNS1_11target_archE910ELNS1_3gpuE8ELNS1_3repE0EEENS1_30default_config_static_selectorELNS0_4arch9wavefront6targetE1EEEvT1_
	.globl	_ZN7rocprim17ROCPRIM_400000_NS6detail17trampoline_kernelINS0_14default_configENS1_25partition_config_selectorILNS1_17partition_subalgoE1EsNS0_10empty_typeEbEEZZNS1_14partition_implILS5_1ELb0ES3_jN6thrust23THRUST_200600_302600_NS6detail15normal_iteratorINSA_10device_ptrIsEEEEPS6_NSA_18transform_iteratorI7is_evenIsESF_NSA_11use_defaultESK_EENS0_5tupleIJSF_SF_EEENSM_IJSG_SG_EEES6_PlJS6_EEE10hipError_tPvRmT3_T4_T5_T6_T7_T9_mT8_P12ihipStream_tbDpT10_ENKUlT_T0_E_clISt17integral_constantIbLb1EES19_EEDaS14_S15_EUlS14_E_NS1_11comp_targetILNS1_3genE4ELNS1_11target_archE910ELNS1_3gpuE8ELNS1_3repE0EEENS1_30default_config_static_selectorELNS0_4arch9wavefront6targetE1EEEvT1_
	.p2align	8
	.type	_ZN7rocprim17ROCPRIM_400000_NS6detail17trampoline_kernelINS0_14default_configENS1_25partition_config_selectorILNS1_17partition_subalgoE1EsNS0_10empty_typeEbEEZZNS1_14partition_implILS5_1ELb0ES3_jN6thrust23THRUST_200600_302600_NS6detail15normal_iteratorINSA_10device_ptrIsEEEEPS6_NSA_18transform_iteratorI7is_evenIsESF_NSA_11use_defaultESK_EENS0_5tupleIJSF_SF_EEENSM_IJSG_SG_EEES6_PlJS6_EEE10hipError_tPvRmT3_T4_T5_T6_T7_T9_mT8_P12ihipStream_tbDpT10_ENKUlT_T0_E_clISt17integral_constantIbLb1EES19_EEDaS14_S15_EUlS14_E_NS1_11comp_targetILNS1_3genE4ELNS1_11target_archE910ELNS1_3gpuE8ELNS1_3repE0EEENS1_30default_config_static_selectorELNS0_4arch9wavefront6targetE1EEEvT1_,@function
_ZN7rocprim17ROCPRIM_400000_NS6detail17trampoline_kernelINS0_14default_configENS1_25partition_config_selectorILNS1_17partition_subalgoE1EsNS0_10empty_typeEbEEZZNS1_14partition_implILS5_1ELb0ES3_jN6thrust23THRUST_200600_302600_NS6detail15normal_iteratorINSA_10device_ptrIsEEEEPS6_NSA_18transform_iteratorI7is_evenIsESF_NSA_11use_defaultESK_EENS0_5tupleIJSF_SF_EEENSM_IJSG_SG_EEES6_PlJS6_EEE10hipError_tPvRmT3_T4_T5_T6_T7_T9_mT8_P12ihipStream_tbDpT10_ENKUlT_T0_E_clISt17integral_constantIbLb1EES19_EEDaS14_S15_EUlS14_E_NS1_11comp_targetILNS1_3genE4ELNS1_11target_archE910ELNS1_3gpuE8ELNS1_3repE0EEENS1_30default_config_static_selectorELNS0_4arch9wavefront6targetE1EEEvT1_: ; @_ZN7rocprim17ROCPRIM_400000_NS6detail17trampoline_kernelINS0_14default_configENS1_25partition_config_selectorILNS1_17partition_subalgoE1EsNS0_10empty_typeEbEEZZNS1_14partition_implILS5_1ELb0ES3_jN6thrust23THRUST_200600_302600_NS6detail15normal_iteratorINSA_10device_ptrIsEEEEPS6_NSA_18transform_iteratorI7is_evenIsESF_NSA_11use_defaultESK_EENS0_5tupleIJSF_SF_EEENSM_IJSG_SG_EEES6_PlJS6_EEE10hipError_tPvRmT3_T4_T5_T6_T7_T9_mT8_P12ihipStream_tbDpT10_ENKUlT_T0_E_clISt17integral_constantIbLb1EES19_EEDaS14_S15_EUlS14_E_NS1_11comp_targetILNS1_3genE4ELNS1_11target_archE910ELNS1_3gpuE8ELNS1_3repE0EEENS1_30default_config_static_selectorELNS0_4arch9wavefront6targetE1EEEvT1_
; %bb.0:
	s_load_dwordx2 s[6:7], s[4:5], 0x20
	s_load_dwordx4 s[20:23], s[4:5], 0x50
	s_load_dwordx2 s[2:3], s[4:5], 0x60
	s_load_dwordx2 s[30:31], s[4:5], 0x70
	v_cmp_eq_u32_e64 s[0:1], 0, v0
	s_and_saveexec_b64 s[8:9], s[0:1]
	s_cbranch_execz .LBB459_4
; %bb.1:
	s_mov_b64 s[12:13], exec
	v_mbcnt_lo_u32_b32 v1, s12, 0
	v_mbcnt_hi_u32_b32 v1, s13, v1
	v_cmp_eq_u32_e32 vcc, 0, v1
                                        ; implicit-def: $vgpr2
	s_and_saveexec_b64 s[10:11], vcc
	s_cbranch_execz .LBB459_3
; %bb.2:
	s_load_dwordx2 s[14:15], s[4:5], 0x80
	s_bcnt1_i32_b64 s12, s[12:13]
	v_mov_b32_e32 v2, 0
	v_mov_b32_e32 v3, s12
	s_waitcnt lgkmcnt(0)
	global_atomic_add v2, v2, v3, s[14:15] glc
.LBB459_3:
	s_or_b64 exec, exec, s[10:11]
	s_waitcnt vmcnt(0)
	v_readfirstlane_b32 s10, v2
	v_add_u32_e32 v1, s10, v1
	v_mov_b32_e32 v2, 0
	ds_write_b32 v2, v1
.LBB459_4:
	s_or_b64 exec, exec, s[8:9]
	v_mov_b32_e32 v3, 0
	s_load_dwordx4 s[16:19], s[4:5], 0x8
	s_load_dwordx4 s[24:27], s[4:5], 0x30
	s_load_dword s8, s[4:5], 0x78
	s_waitcnt lgkmcnt(0)
	s_barrier
	ds_read_b32 v1, v3
	s_waitcnt lgkmcnt(0)
	s_barrier
	global_load_dwordx2 v[10:11], v3, s[22:23]
	v_mov_b32_e32 v5, s3
	s_lshl_b64 s[4:5], s[18:19], 1
	s_movk_i32 s3, 0x1400
	s_add_u32 s9, s16, s4
	v_mul_lo_u32 v2, v1, s3
	s_mul_i32 s3, s8, 0x1400
	s_addc_u32 s10, s17, s5
	s_add_i32 s11, s8, -1
	s_add_i32 s8, s3, s18
	s_sub_i32 s33, s2, s8
	s_addk_i32 s33, 0x1400
	v_mov_b32_e32 v4, s2
	s_add_u32 s2, s18, s3
	v_readfirstlane_b32 s40, v1
	s_addc_u32 s3, s19, 0
	s_cmp_eq_u32 s40, s11
	s_cselect_b64 s[22:23], -1, 0
	s_cmp_lg_u32 s40, s11
	v_cmp_lt_u64_e32 vcc, s[2:3], v[4:5]
	s_cselect_b64 s[2:3], -1, 0
	v_lshlrev_b64 v[12:13], 1, v[2:3]
	s_or_b64 s[28:29], vcc, s[2:3]
	v_mov_b32_e32 v2, s10
	v_add_co_u32_e32 v1, vcc, s9, v12
	v_addc_co_u32_e32 v2, vcc, v2, v13, vcc
	s_mov_b64 s[2:3], -1
	s_and_b64 vcc, exec, s[28:29]
	v_lshlrev_b32_e32 v30, 1, v0
	s_cbranch_vccz .LBB459_6
; %bb.5:
	v_add_co_u32_e32 v4, vcc, v1, v30
	v_addc_co_u32_e32 v5, vcc, 0, v2, vcc
	v_add_co_u32_e32 v6, vcc, 0x1000, v4
	v_addc_co_u32_e32 v7, vcc, 0, v5, vcc
	flat_load_ushort v3, v[4:5]
	flat_load_ushort v8, v[4:5] offset:512
	flat_load_ushort v9, v[4:5] offset:1024
	;; [unrolled: 1-line block ×7, first 2 shown]
	v_add_co_u32_e32 v4, vcc, 0x2000, v4
	v_addc_co_u32_e32 v5, vcc, 0, v5, vcc
	flat_load_ushort v19, v[6:7]
	flat_load_ushort v20, v[6:7] offset:512
	flat_load_ushort v21, v[6:7] offset:1024
	;; [unrolled: 1-line block ×7, first 2 shown]
	s_nop 0
	flat_load_ushort v6, v[4:5]
	flat_load_ushort v7, v[4:5] offset:512
	flat_load_ushort v27, v[4:5] offset:1024
	;; [unrolled: 1-line block ×3, first 2 shown]
	s_mov_b64 s[2:3], 0
	s_waitcnt vmcnt(0) lgkmcnt(0)
	ds_write_b16 v30, v3
	ds_write_b16 v30, v8 offset:512
	ds_write_b16 v30, v9 offset:1024
	;; [unrolled: 1-line block ×19, first 2 shown]
	s_waitcnt lgkmcnt(0)
	s_barrier
.LBB459_6:
	s_andn2_b64 vcc, exec, s[2:3]
	v_cmp_gt_u32_e64 s[2:3], s33, v0
	s_cbranch_vccnz .LBB459_48
; %bb.7:
                                        ; implicit-def: $vgpr3
	s_and_saveexec_b64 s[8:9], s[2:3]
	s_cbranch_execz .LBB459_9
; %bb.8:
	v_add_co_u32_e32 v4, vcc, v1, v30
	v_addc_co_u32_e32 v5, vcc, 0, v2, vcc
	flat_load_ushort v3, v[4:5]
.LBB459_9:
	s_or_b64 exec, exec, s[8:9]
	v_or_b32_e32 v4, 0x100, v0
	v_cmp_gt_u32_e32 vcc, s33, v4
                                        ; implicit-def: $vgpr4
	s_and_saveexec_b64 s[2:3], vcc
	s_cbranch_execz .LBB459_11
; %bb.10:
	v_add_co_u32_e32 v4, vcc, v1, v30
	v_addc_co_u32_e32 v5, vcc, 0, v2, vcc
	flat_load_ushort v4, v[4:5] offset:512
.LBB459_11:
	s_or_b64 exec, exec, s[2:3]
	v_or_b32_e32 v5, 0x200, v0
	v_cmp_gt_u32_e32 vcc, s33, v5
                                        ; implicit-def: $vgpr5
	s_and_saveexec_b64 s[2:3], vcc
	s_cbranch_execz .LBB459_13
; %bb.12:
	v_add_co_u32_e32 v6, vcc, v1, v30
	v_addc_co_u32_e32 v7, vcc, 0, v2, vcc
	flat_load_ushort v5, v[6:7] offset:1024
.LBB459_13:
	s_or_b64 exec, exec, s[2:3]
	v_or_b32_e32 v6, 0x300, v0
	v_cmp_gt_u32_e32 vcc, s33, v6
                                        ; implicit-def: $vgpr6
	s_and_saveexec_b64 s[2:3], vcc
	s_cbranch_execz .LBB459_15
; %bb.14:
	v_add_co_u32_e32 v6, vcc, v1, v30
	v_addc_co_u32_e32 v7, vcc, 0, v2, vcc
	flat_load_ushort v6, v[6:7] offset:1536
.LBB459_15:
	s_or_b64 exec, exec, s[2:3]
	v_or_b32_e32 v7, 0x400, v0
	v_cmp_gt_u32_e32 vcc, s33, v7
                                        ; implicit-def: $vgpr7
	s_and_saveexec_b64 s[2:3], vcc
	s_cbranch_execz .LBB459_17
; %bb.16:
	v_add_co_u32_e32 v8, vcc, v1, v30
	v_addc_co_u32_e32 v9, vcc, 0, v2, vcc
	flat_load_ushort v7, v[8:9] offset:2048
.LBB459_17:
	s_or_b64 exec, exec, s[2:3]
	v_or_b32_e32 v8, 0x500, v0
	v_cmp_gt_u32_e32 vcc, s33, v8
                                        ; implicit-def: $vgpr8
	s_and_saveexec_b64 s[2:3], vcc
	s_cbranch_execz .LBB459_19
; %bb.18:
	v_add_co_u32_e32 v8, vcc, v1, v30
	v_addc_co_u32_e32 v9, vcc, 0, v2, vcc
	flat_load_ushort v8, v[8:9] offset:2560
.LBB459_19:
	s_or_b64 exec, exec, s[2:3]
	v_or_b32_e32 v9, 0x600, v0
	v_cmp_gt_u32_e32 vcc, s33, v9
                                        ; implicit-def: $vgpr9
	s_and_saveexec_b64 s[2:3], vcc
	s_cbranch_execz .LBB459_21
; %bb.20:
	v_add_co_u32_e32 v14, vcc, v1, v30
	v_addc_co_u32_e32 v15, vcc, 0, v2, vcc
	flat_load_ushort v9, v[14:15] offset:3072
.LBB459_21:
	s_or_b64 exec, exec, s[2:3]
	v_or_b32_e32 v14, 0x700, v0
	v_cmp_gt_u32_e32 vcc, s33, v14
                                        ; implicit-def: $vgpr14
	s_and_saveexec_b64 s[2:3], vcc
	s_cbranch_execz .LBB459_23
; %bb.22:
	v_add_co_u32_e32 v14, vcc, v1, v30
	v_addc_co_u32_e32 v15, vcc, 0, v2, vcc
	flat_load_ushort v14, v[14:15] offset:3584
.LBB459_23:
	s_or_b64 exec, exec, s[2:3]
	v_or_b32_e32 v16, 0x800, v0
	v_cmp_gt_u32_e32 vcc, s33, v16
                                        ; implicit-def: $vgpr15
	s_and_saveexec_b64 s[2:3], vcc
	s_cbranch_execz .LBB459_25
; %bb.24:
	v_lshlrev_b32_e32 v15, 1, v16
	v_add_co_u32_e32 v16, vcc, v1, v15
	v_addc_co_u32_e32 v17, vcc, 0, v2, vcc
	flat_load_ushort v15, v[16:17]
.LBB459_25:
	s_or_b64 exec, exec, s[2:3]
	v_or_b32_e32 v17, 0x900, v0
	v_cmp_gt_u32_e32 vcc, s33, v17
                                        ; implicit-def: $vgpr16
	s_and_saveexec_b64 s[2:3], vcc
	s_cbranch_execz .LBB459_27
; %bb.26:
	v_lshlrev_b32_e32 v16, 1, v17
	v_add_co_u32_e32 v16, vcc, v1, v16
	v_addc_co_u32_e32 v17, vcc, 0, v2, vcc
	flat_load_ushort v16, v[16:17]
.LBB459_27:
	s_or_b64 exec, exec, s[2:3]
	v_or_b32_e32 v18, 0xa00, v0
	v_cmp_gt_u32_e32 vcc, s33, v18
                                        ; implicit-def: $vgpr17
	s_and_saveexec_b64 s[2:3], vcc
	s_cbranch_execz .LBB459_29
; %bb.28:
	v_lshlrev_b32_e32 v17, 1, v18
	v_add_co_u32_e32 v18, vcc, v1, v17
	v_addc_co_u32_e32 v19, vcc, 0, v2, vcc
	flat_load_ushort v17, v[18:19]
.LBB459_29:
	s_or_b64 exec, exec, s[2:3]
	v_or_b32_e32 v19, 0xb00, v0
	v_cmp_gt_u32_e32 vcc, s33, v19
                                        ; implicit-def: $vgpr18
	s_and_saveexec_b64 s[2:3], vcc
	s_cbranch_execz .LBB459_31
; %bb.30:
	v_lshlrev_b32_e32 v18, 1, v19
	v_add_co_u32_e32 v18, vcc, v1, v18
	v_addc_co_u32_e32 v19, vcc, 0, v2, vcc
	flat_load_ushort v18, v[18:19]
.LBB459_31:
	s_or_b64 exec, exec, s[2:3]
	v_or_b32_e32 v20, 0xc00, v0
	v_cmp_gt_u32_e32 vcc, s33, v20
                                        ; implicit-def: $vgpr19
	s_and_saveexec_b64 s[2:3], vcc
	s_cbranch_execz .LBB459_33
; %bb.32:
	v_lshlrev_b32_e32 v19, 1, v20
	v_add_co_u32_e32 v20, vcc, v1, v19
	v_addc_co_u32_e32 v21, vcc, 0, v2, vcc
	flat_load_ushort v19, v[20:21]
.LBB459_33:
	s_or_b64 exec, exec, s[2:3]
	v_or_b32_e32 v21, 0xd00, v0
	v_cmp_gt_u32_e32 vcc, s33, v21
                                        ; implicit-def: $vgpr20
	s_and_saveexec_b64 s[2:3], vcc
	s_cbranch_execz .LBB459_35
; %bb.34:
	v_lshlrev_b32_e32 v20, 1, v21
	v_add_co_u32_e32 v20, vcc, v1, v20
	v_addc_co_u32_e32 v21, vcc, 0, v2, vcc
	flat_load_ushort v20, v[20:21]
.LBB459_35:
	s_or_b64 exec, exec, s[2:3]
	v_or_b32_e32 v22, 0xe00, v0
	v_cmp_gt_u32_e32 vcc, s33, v22
                                        ; implicit-def: $vgpr21
	s_and_saveexec_b64 s[2:3], vcc
	s_cbranch_execz .LBB459_37
; %bb.36:
	v_lshlrev_b32_e32 v21, 1, v22
	v_add_co_u32_e32 v22, vcc, v1, v21
	v_addc_co_u32_e32 v23, vcc, 0, v2, vcc
	flat_load_ushort v21, v[22:23]
.LBB459_37:
	s_or_b64 exec, exec, s[2:3]
	v_or_b32_e32 v23, 0xf00, v0
	v_cmp_gt_u32_e32 vcc, s33, v23
                                        ; implicit-def: $vgpr22
	s_and_saveexec_b64 s[2:3], vcc
	s_cbranch_execz .LBB459_39
; %bb.38:
	v_lshlrev_b32_e32 v22, 1, v23
	v_add_co_u32_e32 v22, vcc, v1, v22
	v_addc_co_u32_e32 v23, vcc, 0, v2, vcc
	flat_load_ushort v22, v[22:23]
.LBB459_39:
	s_or_b64 exec, exec, s[2:3]
	v_or_b32_e32 v24, 0x1000, v0
	v_cmp_gt_u32_e32 vcc, s33, v24
                                        ; implicit-def: $vgpr23
	s_and_saveexec_b64 s[2:3], vcc
	s_cbranch_execz .LBB459_41
; %bb.40:
	v_lshlrev_b32_e32 v23, 1, v24
	v_add_co_u32_e32 v24, vcc, v1, v23
	v_addc_co_u32_e32 v25, vcc, 0, v2, vcc
	flat_load_ushort v23, v[24:25]
.LBB459_41:
	s_or_b64 exec, exec, s[2:3]
	v_or_b32_e32 v25, 0x1100, v0
	v_cmp_gt_u32_e32 vcc, s33, v25
                                        ; implicit-def: $vgpr24
	s_and_saveexec_b64 s[2:3], vcc
	s_cbranch_execz .LBB459_43
; %bb.42:
	v_lshlrev_b32_e32 v24, 1, v25
	v_add_co_u32_e32 v24, vcc, v1, v24
	v_addc_co_u32_e32 v25, vcc, 0, v2, vcc
	flat_load_ushort v24, v[24:25]
.LBB459_43:
	s_or_b64 exec, exec, s[2:3]
	v_or_b32_e32 v26, 0x1200, v0
	v_cmp_gt_u32_e32 vcc, s33, v26
                                        ; implicit-def: $vgpr25
	s_and_saveexec_b64 s[2:3], vcc
	s_cbranch_execz .LBB459_45
; %bb.44:
	v_lshlrev_b32_e32 v25, 1, v26
	v_add_co_u32_e32 v26, vcc, v1, v25
	v_addc_co_u32_e32 v27, vcc, 0, v2, vcc
	flat_load_ushort v25, v[26:27]
.LBB459_45:
	s_or_b64 exec, exec, s[2:3]
	v_or_b32_e32 v27, 0x1300, v0
	v_cmp_gt_u32_e32 vcc, s33, v27
                                        ; implicit-def: $vgpr26
	s_and_saveexec_b64 s[2:3], vcc
	s_cbranch_execz .LBB459_47
; %bb.46:
	v_lshlrev_b32_e32 v26, 1, v27
	v_add_co_u32_e32 v26, vcc, v1, v26
	v_addc_co_u32_e32 v27, vcc, 0, v2, vcc
	flat_load_ushort v26, v[26:27]
.LBB459_47:
	s_or_b64 exec, exec, s[2:3]
	s_waitcnt vmcnt(0) lgkmcnt(0)
	ds_write_b16 v30, v3
	ds_write_b16 v30, v4 offset:512
	ds_write_b16 v30, v5 offset:1024
	;; [unrolled: 1-line block ×19, first 2 shown]
	s_waitcnt lgkmcnt(0)
	s_barrier
.LBB459_48:
	v_mul_u32_u24_e32 v31, 20, v0
	v_lshlrev_b32_e32 v1, 1, v31
	ds_read_b64 v[14:15], v1 offset:32
	ds_read2_b64 v[2:5], v1 offset0:2 offset1:3
	ds_read2_b64 v[6:9], v1 offset1:1
	s_add_u32 s2, s6, s4
	s_addc_u32 s3, s7, s5
	v_mov_b32_e32 v1, s3
	v_add_co_u32_e32 v16, vcc, s2, v12
	v_addc_co_u32_e32 v1, vcc, v1, v13, vcc
	s_mov_b64 s[2:3], -1
	s_and_b64 vcc, exec, s[28:29]
	s_waitcnt lgkmcnt(0)
	s_barrier
	s_cbranch_vccz .LBB459_50
; %bb.49:
	v_add_co_u32_e32 v17, vcc, v16, v30
	v_readfirstlane_b32 s2, v16
	v_readfirstlane_b32 s3, v1
	v_addc_co_u32_e32 v21, vcc, 0, v1, vcc
	s_nop 3
	global_load_ubyte v22, v30, s[2:3]
	global_load_ubyte v23, v30, s[2:3] offset:512
	global_load_ubyte v24, v30, s[2:3] offset:1024
	;; [unrolled: 1-line block ×7, first 2 shown]
	s_movk_i32 s2, 0x1000
	v_add_co_u32_e32 v18, vcc, s2, v17
	v_addc_co_u32_e32 v19, vcc, 0, v21, vcc
	s_movk_i32 s2, 0x2000
	v_add_co_u32_e32 v20, vcc, s2, v17
	v_addc_co_u32_e32 v21, vcc, 0, v21, vcc
	global_load_ubyte v17, v[20:21], off offset:-4096
	global_load_ubyte v32, v[18:19], off offset:512
	global_load_ubyte v33, v[18:19], off offset:1024
	;; [unrolled: 1-line block ×7, first 2 shown]
	global_load_ubyte v39, v[20:21], off
	global_load_ubyte v40, v[20:21], off offset:512
	global_load_ubyte v41, v[20:21], off offset:1024
	;; [unrolled: 1-line block ×3, first 2 shown]
	s_mov_b64 s[2:3], 0
	s_waitcnt vmcnt(19)
	v_xor_b32_e32 v18, -1, v22
	s_waitcnt vmcnt(18)
	v_xor_b32_e32 v19, -1, v23
	;; [unrolled: 2-line block ×8, first 2 shown]
	v_and_b32_e32 v18, 1, v18
	s_waitcnt vmcnt(11)
	v_xor_b32_e32 v17, -1, v17
	s_waitcnt vmcnt(10)
	v_xor_b32_e32 v26, -1, v32
	;; [unrolled: 2-line block ×12, first 2 shown]
	v_and_b32_e32 v19, 1, v19
	v_and_b32_e32 v20, 1, v20
	;; [unrolled: 1-line block ×19, first 2 shown]
	ds_write_b8 v0, v18
	ds_write_b8 v0, v19 offset:256
	ds_write_b8 v0, v20 offset:512
	;; [unrolled: 1-line block ×19, first 2 shown]
	s_waitcnt lgkmcnt(0)
	s_barrier
.LBB459_50:
	s_andn2_b64 vcc, exec, s[2:3]
	s_cbranch_vccnz .LBB459_92
; %bb.51:
	v_cmp_gt_u32_e32 vcc, s33, v0
	v_mov_b32_e32 v17, 0
	v_mov_b32_e32 v18, 0
	s_and_saveexec_b64 s[2:3], vcc
	s_cbranch_execz .LBB459_53
; %bb.52:
	v_readfirstlane_b32 s4, v16
	v_readfirstlane_b32 s5, v1
	s_nop 4
	global_load_ubyte v18, v30, s[4:5]
	s_waitcnt vmcnt(0)
	v_xor_b32_e32 v18, -1, v18
	v_and_b32_e32 v18, 1, v18
.LBB459_53:
	s_or_b64 exec, exec, s[2:3]
	v_or_b32_e32 v19, 0x100, v0
	v_cmp_gt_u32_e32 vcc, s33, v19
	s_and_saveexec_b64 s[2:3], vcc
	s_cbranch_execz .LBB459_55
; %bb.54:
	v_readfirstlane_b32 s4, v16
	v_readfirstlane_b32 s5, v1
	s_nop 4
	global_load_ubyte v17, v30, s[4:5] offset:512
	s_waitcnt vmcnt(0)
	v_xor_b32_e32 v17, -1, v17
	v_and_b32_e32 v17, 1, v17
.LBB459_55:
	s_or_b64 exec, exec, s[2:3]
	v_or_b32_e32 v19, 0x200, v0
	v_cmp_gt_u32_e32 vcc, s33, v19
	v_mov_b32_e32 v19, 0
	v_mov_b32_e32 v20, 0
	s_and_saveexec_b64 s[2:3], vcc
	s_cbranch_execz .LBB459_57
; %bb.56:
	v_readfirstlane_b32 s4, v16
	v_readfirstlane_b32 s5, v1
	s_nop 4
	global_load_ubyte v20, v30, s[4:5] offset:1024
	s_waitcnt vmcnt(0)
	v_xor_b32_e32 v20, -1, v20
	v_and_b32_e32 v20, 1, v20
.LBB459_57:
	s_or_b64 exec, exec, s[2:3]
	v_or_b32_e32 v21, 0x300, v0
	v_cmp_gt_u32_e32 vcc, s33, v21
	s_and_saveexec_b64 s[2:3], vcc
	s_cbranch_execz .LBB459_59
; %bb.58:
	v_readfirstlane_b32 s4, v16
	v_readfirstlane_b32 s5, v1
	s_nop 4
	global_load_ubyte v19, v30, s[4:5] offset:1536
	s_waitcnt vmcnt(0)
	v_xor_b32_e32 v19, -1, v19
	v_and_b32_e32 v19, 1, v19
.LBB459_59:
	s_or_b64 exec, exec, s[2:3]
	v_or_b32_e32 v21, 0x400, v0
	v_cmp_gt_u32_e32 vcc, s33, v21
	v_mov_b32_e32 v21, 0
	v_mov_b32_e32 v22, 0
	s_and_saveexec_b64 s[2:3], vcc
	s_cbranch_execz .LBB459_61
; %bb.60:
	v_readfirstlane_b32 s4, v16
	v_readfirstlane_b32 s5, v1
	s_nop 4
	global_load_ubyte v22, v30, s[4:5] offset:2048
	s_waitcnt vmcnt(0)
	v_xor_b32_e32 v22, -1, v22
	v_and_b32_e32 v22, 1, v22
.LBB459_61:
	;; [unrolled: 30-line block ×3, first 2 shown]
	s_or_b64 exec, exec, s[2:3]
	v_or_b32_e32 v25, 0x700, v0
	v_cmp_gt_u32_e32 vcc, s33, v25
	s_and_saveexec_b64 s[2:3], vcc
	s_cbranch_execz .LBB459_67
; %bb.66:
	v_readfirstlane_b32 s4, v16
	v_readfirstlane_b32 s5, v1
	s_nop 4
	global_load_ubyte v23, v30, s[4:5] offset:3584
	s_waitcnt vmcnt(0)
	v_xor_b32_e32 v23, -1, v23
	v_and_b32_e32 v23, 1, v23
.LBB459_67:
	s_or_b64 exec, exec, s[2:3]
	v_or_b32_e32 v27, 0x800, v0
	v_cmp_gt_u32_e32 vcc, s33, v27
	v_mov_b32_e32 v25, 0
	v_mov_b32_e32 v26, 0
	s_and_saveexec_b64 s[2:3], vcc
	s_cbranch_execz .LBB459_69
; %bb.68:
	v_lshlrev_b32_e32 v26, 1, v27
	v_readfirstlane_b32 s4, v16
	v_readfirstlane_b32 s5, v1
	s_nop 4
	global_load_ubyte v26, v26, s[4:5]
	s_waitcnt vmcnt(0)
	v_xor_b32_e32 v26, -1, v26
	v_and_b32_e32 v26, 1, v26
.LBB459_69:
	s_or_b64 exec, exec, s[2:3]
	v_or_b32_e32 v27, 0x900, v0
	v_cmp_gt_u32_e32 vcc, s33, v27
	s_and_saveexec_b64 s[2:3], vcc
	s_cbranch_execz .LBB459_71
; %bb.70:
	v_lshlrev_b32_e32 v25, 1, v27
	v_readfirstlane_b32 s4, v16
	v_readfirstlane_b32 s5, v1
	s_nop 4
	global_load_ubyte v25, v25, s[4:5]
	s_waitcnt vmcnt(0)
	v_xor_b32_e32 v25, -1, v25
	v_and_b32_e32 v25, 1, v25
.LBB459_71:
	s_or_b64 exec, exec, s[2:3]
	v_or_b32_e32 v29, 0xa00, v0
	v_cmp_gt_u32_e32 vcc, s33, v29
	v_mov_b32_e32 v27, 0
	v_mov_b32_e32 v28, 0
	s_and_saveexec_b64 s[2:3], vcc
	s_cbranch_execz .LBB459_73
; %bb.72:
	v_lshlrev_b32_e32 v28, 1, v29
	v_readfirstlane_b32 s4, v16
	v_readfirstlane_b32 s5, v1
	s_nop 4
	global_load_ubyte v28, v28, s[4:5]
	s_waitcnt vmcnt(0)
	v_xor_b32_e32 v28, -1, v28
	v_and_b32_e32 v28, 1, v28
.LBB459_73:
	s_or_b64 exec, exec, s[2:3]
	v_or_b32_e32 v29, 0xb00, v0
	v_cmp_gt_u32_e32 vcc, s33, v29
	s_and_saveexec_b64 s[2:3], vcc
	s_cbranch_execz .LBB459_75
; %bb.74:
	v_lshlrev_b32_e32 v27, 1, v29
	v_readfirstlane_b32 s4, v16
	v_readfirstlane_b32 s5, v1
	s_nop 4
	global_load_ubyte v27, v27, s[4:5]
	s_waitcnt vmcnt(0)
	v_xor_b32_e32 v27, -1, v27
	v_and_b32_e32 v27, 1, v27
.LBB459_75:
	;; [unrolled: 32-line block ×6, first 2 shown]
	s_or_b64 exec, exec, s[2:3]
	ds_write_b8 v0, v18
	ds_write_b8 v0, v17 offset:256
	ds_write_b8 v0, v20 offset:512
	;; [unrolled: 1-line block ×19, first 2 shown]
	s_waitcnt lgkmcnt(0)
	s_barrier
.LBB459_92:
	ds_read2_b32 v[20:21], v31 offset1:1
	ds_read2_b32 v[18:19], v31 offset0:2 offset1:3
	ds_read_b32 v32, v31 offset:16
	s_cmp_lg_u32 s40, 0
	v_lshrrev_b32_e32 v51, 6, v0
	s_waitcnt lgkmcnt(2)
	v_lshrrev_b32_e32 v37, 24, v20
	v_bfe_u32 v49, v20, 16, 8
	v_add_u32_sdwa v16, v20, v20 dst_sel:DWORD dst_unused:UNUSED_PAD src0_sel:BYTE_1 src1_sel:BYTE_0
	v_and_b32_e32 v46, 0xff, v21
	v_bfe_u32 v47, v21, 8, 8
	v_add3_u32 v16, v16, v49, v37
	v_lshrrev_b32_e32 v36, 24, v21
	v_bfe_u32 v48, v21, 16, 8
	v_add3_u32 v16, v16, v46, v47
	s_waitcnt lgkmcnt(1)
	v_and_b32_e32 v43, 0xff, v18
	v_bfe_u32 v44, v18, 8, 8
	v_add3_u32 v16, v16, v48, v36
	v_lshrrev_b32_e32 v35, 24, v18
	v_bfe_u32 v45, v18, 16, 8
	v_add3_u32 v16, v16, v43, v44
	v_and_b32_e32 v40, 0xff, v19
	v_bfe_u32 v41, v19, 8, 8
	v_add3_u32 v16, v16, v45, v35
	v_lshrrev_b32_e32 v34, 24, v19
	v_bfe_u32 v42, v19, 16, 8
	v_add3_u32 v16, v16, v40, v41
	s_waitcnt lgkmcnt(0)
	v_and_b32_e32 v38, 0xff, v32
	v_bfe_u32 v39, v32, 8, 8
	v_add3_u32 v16, v16, v42, v34
	v_lshrrev_b32_e32 v1, 24, v32
	v_bfe_u32 v33, v32, 16, 8
	v_add3_u32 v16, v16, v38, v39
	v_add3_u32 v52, v16, v33, v1
	v_mbcnt_lo_u32_b32 v16, -1, 0
	v_mbcnt_hi_u32_b32 v50, -1, v16
	v_and_b32_e32 v16, 15, v50
	v_cmp_eq_u32_e64 s[14:15], 0, v16
	v_cmp_lt_u32_e64 s[12:13], 1, v16
	v_cmp_lt_u32_e64 s[10:11], 3, v16
	;; [unrolled: 1-line block ×3, first 2 shown]
	v_and_b32_e32 v16, 16, v50
	v_cmp_eq_u32_e64 s[6:7], 0, v16
	v_or_b32_e32 v16, 63, v0
	v_cmp_lt_u32_e64 s[2:3], 31, v50
	v_cmp_eq_u32_e64 s[4:5], v16, v0
	s_barrier
	s_cbranch_scc0 .LBB459_123
; %bb.93:
	v_mov_b32_dpp v16, v52 row_shr:1 row_mask:0xf bank_mask:0xf
	v_cndmask_b32_e64 v16, v16, 0, s[14:15]
	v_add_u32_e32 v16, v16, v52
	s_nop 1
	v_mov_b32_dpp v17, v16 row_shr:2 row_mask:0xf bank_mask:0xf
	v_cndmask_b32_e64 v17, 0, v17, s[12:13]
	v_add_u32_e32 v16, v16, v17
	s_nop 1
	v_mov_b32_dpp v17, v16 row_shr:4 row_mask:0xf bank_mask:0xf
	v_cndmask_b32_e64 v17, 0, v17, s[10:11]
	v_add_u32_e32 v16, v16, v17
	s_nop 1
	v_mov_b32_dpp v17, v16 row_shr:8 row_mask:0xf bank_mask:0xf
	v_cndmask_b32_e64 v17, 0, v17, s[8:9]
	v_add_u32_e32 v16, v16, v17
	s_nop 1
	v_mov_b32_dpp v17, v16 row_bcast:15 row_mask:0xf bank_mask:0xf
	v_cndmask_b32_e64 v17, v17, 0, s[6:7]
	v_add_u32_e32 v16, v16, v17
	s_nop 1
	v_mov_b32_dpp v17, v16 row_bcast:31 row_mask:0xf bank_mask:0xf
	v_cndmask_b32_e64 v17, 0, v17, s[2:3]
	v_add_u32_e32 v16, v16, v17
	s_and_saveexec_b64 s[16:17], s[4:5]
	s_cbranch_execz .LBB459_95
; %bb.94:
	v_lshlrev_b32_e32 v17, 2, v51
	ds_write_b32 v17, v16
.LBB459_95:
	s_or_b64 exec, exec, s[16:17]
	v_cmp_gt_u32_e32 vcc, 4, v0
	s_waitcnt lgkmcnt(0)
	s_barrier
	s_and_saveexec_b64 s[16:17], vcc
	s_cbranch_execz .LBB459_97
; %bb.96:
	v_lshlrev_b32_e32 v17, 2, v0
	ds_read_b32 v22, v17
	v_and_b32_e32 v23, 3, v50
	v_cmp_ne_u32_e32 vcc, 0, v23
	s_waitcnt lgkmcnt(0)
	v_mov_b32_dpp v24, v22 row_shr:1 row_mask:0xf bank_mask:0xf
	v_cndmask_b32_e32 v24, 0, v24, vcc
	v_add_u32_e32 v22, v24, v22
	v_cmp_lt_u32_e32 vcc, 1, v23
	s_nop 0
	v_mov_b32_dpp v24, v22 row_shr:2 row_mask:0xf bank_mask:0xf
	v_cndmask_b32_e32 v23, 0, v24, vcc
	v_add_u32_e32 v22, v22, v23
	ds_write_b32 v17, v22
.LBB459_97:
	s_or_b64 exec, exec, s[16:17]
	v_cmp_gt_u32_e32 vcc, 64, v0
	v_cmp_lt_u32_e64 s[16:17], 63, v0
	s_waitcnt lgkmcnt(0)
	s_barrier
	s_waitcnt lgkmcnt(0)
                                        ; implicit-def: $vgpr53
	s_and_saveexec_b64 s[34:35], s[16:17]
	s_cbranch_execz .LBB459_99
; %bb.98:
	v_lshl_add_u32 v17, v51, 2, -4
	ds_read_b32 v53, v17
	s_waitcnt lgkmcnt(0)
	v_add_u32_e32 v16, v53, v16
.LBB459_99:
	s_or_b64 exec, exec, s[34:35]
	v_add_u32_e32 v17, -1, v50
	v_and_b32_e32 v22, 64, v50
	v_cmp_lt_i32_e64 s[16:17], v17, v22
	v_cndmask_b32_e64 v17, v17, v50, s[16:17]
	v_lshlrev_b32_e32 v17, 2, v17
	ds_bpermute_b32 v54, v17, v16
	v_cmp_eq_u32_e64 s[16:17], 0, v50
	s_and_saveexec_b64 s[34:35], vcc
	s_cbranch_execz .LBB459_122
; %bb.100:
	v_mov_b32_e32 v29, 0
	ds_read_b32 v16, v29 offset:12
	s_and_saveexec_b64 s[36:37], s[16:17]
	s_cbranch_execz .LBB459_102
; %bb.101:
	s_add_i32 s38, s40, 64
	s_mov_b32 s39, 0
	s_lshl_b64 s[38:39], s[38:39], 3
	s_add_u32 s38, s30, s38
	v_mov_b32_e32 v17, 1
	s_addc_u32 s39, s31, s39
	s_waitcnt lgkmcnt(0)
	global_store_dwordx2 v29, v[16:17], s[38:39]
.LBB459_102:
	s_or_b64 exec, exec, s[36:37]
	v_xad_u32 v22, v50, -1, s40
	v_add_u32_e32 v28, 64, v22
	v_lshlrev_b64 v[24:25], 3, v[28:29]
	v_mov_b32_e32 v17, s31
	v_add_co_u32_e32 v24, vcc, s30, v24
	v_addc_co_u32_e32 v25, vcc, v17, v25, vcc
	global_load_dwordx2 v[26:27], v[24:25], off glc
	s_waitcnt vmcnt(0)
	v_cmp_eq_u16_sdwa s[38:39], v27, v29 src0_sel:BYTE_0 src1_sel:DWORD
	s_and_saveexec_b64 s[36:37], s[38:39]
	s_cbranch_execz .LBB459_108
; %bb.103:
	s_mov_b32 s41, 1
	s_mov_b64 s[38:39], 0
	v_mov_b32_e32 v17, 0
.LBB459_104:                            ; =>This Loop Header: Depth=1
                                        ;     Child Loop BB459_105 Depth 2
	s_max_u32 s42, s41, 1
.LBB459_105:                            ;   Parent Loop BB459_104 Depth=1
                                        ; =>  This Inner Loop Header: Depth=2
	s_add_i32 s42, s42, -1
	s_cmp_eq_u32 s42, 0
	s_sleep 1
	s_cbranch_scc0 .LBB459_105
; %bb.106:                              ;   in Loop: Header=BB459_104 Depth=1
	global_load_dwordx2 v[26:27], v[24:25], off glc
	s_cmp_lt_u32 s41, 32
	s_cselect_b64 s[42:43], -1, 0
	s_cmp_lg_u64 s[42:43], 0
	s_addc_u32 s41, s41, 0
	s_waitcnt vmcnt(0)
	v_cmp_ne_u16_sdwa s[42:43], v27, v17 src0_sel:BYTE_0 src1_sel:DWORD
	s_or_b64 s[38:39], s[42:43], s[38:39]
	s_andn2_b64 exec, exec, s[38:39]
	s_cbranch_execnz .LBB459_104
; %bb.107:
	s_or_b64 exec, exec, s[38:39]
.LBB459_108:
	s_or_b64 exec, exec, s[36:37]
	v_and_b32_e32 v56, 63, v50
	v_mov_b32_e32 v55, 2
	v_cmp_ne_u32_e32 vcc, 63, v56
	v_cmp_eq_u16_sdwa s[36:37], v27, v55 src0_sel:BYTE_0 src1_sel:DWORD
	v_lshlrev_b64 v[24:25], v50, -1
	v_addc_co_u32_e32 v28, vcc, 0, v50, vcc
	v_and_b32_e32 v17, s37, v25
	v_lshlrev_b32_e32 v57, 2, v28
	v_or_b32_e32 v17, 0x80000000, v17
	ds_bpermute_b32 v28, v57, v26
	v_and_b32_e32 v23, s36, v24
	v_ffbl_b32_e32 v17, v17
	v_add_u32_e32 v17, 32, v17
	v_ffbl_b32_e32 v23, v23
	v_min_u32_e32 v17, v23, v17
	v_cmp_lt_u32_e32 vcc, v56, v17
	s_waitcnt lgkmcnt(0)
	v_cndmask_b32_e32 v23, 0, v28, vcc
	v_cmp_gt_u32_e32 vcc, 62, v56
	v_add_u32_e32 v23, v23, v26
	v_cndmask_b32_e64 v26, 0, 1, vcc
	v_lshlrev_b32_e32 v26, 1, v26
	v_add_lshl_u32 v58, v26, v50, 2
	ds_bpermute_b32 v26, v58, v23
	v_add_u32_e32 v59, 2, v56
	v_cmp_le_u32_e32 vcc, v59, v17
	v_add_u32_e32 v61, 4, v56
	v_add_u32_e32 v63, 8, v56
	s_waitcnt lgkmcnt(0)
	v_cndmask_b32_e32 v26, 0, v26, vcc
	v_cmp_gt_u32_e32 vcc, 60, v56
	v_add_u32_e32 v23, v23, v26
	v_cndmask_b32_e64 v26, 0, 1, vcc
	v_lshlrev_b32_e32 v26, 2, v26
	v_add_lshl_u32 v60, v26, v50, 2
	ds_bpermute_b32 v26, v60, v23
	v_cmp_le_u32_e32 vcc, v61, v17
	v_add_u32_e32 v65, 16, v56
	v_add_u32_e32 v67, 32, v56
	s_waitcnt lgkmcnt(0)
	v_cndmask_b32_e32 v26, 0, v26, vcc
	v_cmp_gt_u32_e32 vcc, 56, v56
	v_add_u32_e32 v23, v23, v26
	v_cndmask_b32_e64 v26, 0, 1, vcc
	v_lshlrev_b32_e32 v26, 3, v26
	v_add_lshl_u32 v62, v26, v50, 2
	ds_bpermute_b32 v26, v62, v23
	v_cmp_le_u32_e32 vcc, v63, v17
	s_waitcnt lgkmcnt(0)
	v_cndmask_b32_e32 v26, 0, v26, vcc
	v_cmp_gt_u32_e32 vcc, 48, v56
	v_add_u32_e32 v23, v23, v26
	v_cndmask_b32_e64 v26, 0, 1, vcc
	v_lshlrev_b32_e32 v26, 4, v26
	v_add_lshl_u32 v64, v26, v50, 2
	ds_bpermute_b32 v26, v64, v23
	v_cmp_le_u32_e32 vcc, v65, v17
	;; [unrolled: 9-line block ×3, first 2 shown]
	s_waitcnt lgkmcnt(0)
	v_cndmask_b32_e32 v17, 0, v26, vcc
	v_add_u32_e32 v26, v23, v17
	v_mov_b32_e32 v23, 0
	s_branch .LBB459_110
.LBB459_109:                            ;   in Loop: Header=BB459_110 Depth=1
	s_or_b64 exec, exec, s[36:37]
	v_cmp_eq_u16_sdwa s[36:37], v27, v55 src0_sel:BYTE_0 src1_sel:DWORD
	v_and_b32_e32 v28, s37, v25
	v_or_b32_e32 v28, 0x80000000, v28
	ds_bpermute_b32 v68, v57, v26
	v_and_b32_e32 v29, s36, v24
	v_ffbl_b32_e32 v28, v28
	v_add_u32_e32 v28, 32, v28
	v_ffbl_b32_e32 v29, v29
	v_min_u32_e32 v28, v29, v28
	v_cmp_lt_u32_e32 vcc, v56, v28
	s_waitcnt lgkmcnt(0)
	v_cndmask_b32_e32 v29, 0, v68, vcc
	v_add_u32_e32 v26, v29, v26
	ds_bpermute_b32 v29, v58, v26
	v_cmp_le_u32_e32 vcc, v59, v28
	v_subrev_u32_e32 v22, 64, v22
	s_waitcnt lgkmcnt(0)
	v_cndmask_b32_e32 v29, 0, v29, vcc
	v_add_u32_e32 v26, v26, v29
	ds_bpermute_b32 v29, v60, v26
	v_cmp_le_u32_e32 vcc, v61, v28
	s_waitcnt lgkmcnt(0)
	v_cndmask_b32_e32 v29, 0, v29, vcc
	v_add_u32_e32 v26, v26, v29
	ds_bpermute_b32 v29, v62, v26
	v_cmp_le_u32_e32 vcc, v63, v28
	;; [unrolled: 5-line block ×4, first 2 shown]
	s_waitcnt lgkmcnt(0)
	v_cndmask_b32_e32 v28, 0, v29, vcc
	v_add3_u32 v26, v28, v17, v26
.LBB459_110:                            ; =>This Loop Header: Depth=1
                                        ;     Child Loop BB459_113 Depth 2
                                        ;       Child Loop BB459_114 Depth 3
	v_cmp_ne_u16_sdwa s[36:37], v27, v55 src0_sel:BYTE_0 src1_sel:DWORD
	v_cndmask_b32_e64 v17, 0, 1, s[36:37]
	;;#ASMSTART
	;;#ASMEND
	v_cmp_ne_u32_e32 vcc, 0, v17
	s_cmp_lg_u64 vcc, exec
	v_mov_b32_e32 v17, v26
	s_cbranch_scc1 .LBB459_117
; %bb.111:                              ;   in Loop: Header=BB459_110 Depth=1
	v_lshlrev_b64 v[26:27], 3, v[22:23]
	v_mov_b32_e32 v29, s31
	v_add_co_u32_e32 v28, vcc, s30, v26
	v_addc_co_u32_e32 v29, vcc, v29, v27, vcc
	global_load_dwordx2 v[26:27], v[28:29], off glc
	s_waitcnt vmcnt(0)
	v_cmp_eq_u16_sdwa s[38:39], v27, v23 src0_sel:BYTE_0 src1_sel:DWORD
	s_and_saveexec_b64 s[36:37], s[38:39]
	s_cbranch_execz .LBB459_109
; %bb.112:                              ;   in Loop: Header=BB459_110 Depth=1
	s_mov_b32 s41, 1
	s_mov_b64 s[38:39], 0
.LBB459_113:                            ;   Parent Loop BB459_110 Depth=1
                                        ; =>  This Loop Header: Depth=2
                                        ;       Child Loop BB459_114 Depth 3
	s_max_u32 s42, s41, 1
.LBB459_114:                            ;   Parent Loop BB459_110 Depth=1
                                        ;     Parent Loop BB459_113 Depth=2
                                        ; =>    This Inner Loop Header: Depth=3
	s_add_i32 s42, s42, -1
	s_cmp_eq_u32 s42, 0
	s_sleep 1
	s_cbranch_scc0 .LBB459_114
; %bb.115:                              ;   in Loop: Header=BB459_113 Depth=2
	global_load_dwordx2 v[26:27], v[28:29], off glc
	s_cmp_lt_u32 s41, 32
	s_cselect_b64 s[42:43], -1, 0
	s_cmp_lg_u64 s[42:43], 0
	s_addc_u32 s41, s41, 0
	s_waitcnt vmcnt(0)
	v_cmp_ne_u16_sdwa s[42:43], v27, v23 src0_sel:BYTE_0 src1_sel:DWORD
	s_or_b64 s[38:39], s[42:43], s[38:39]
	s_andn2_b64 exec, exec, s[38:39]
	s_cbranch_execnz .LBB459_113
; %bb.116:                              ;   in Loop: Header=BB459_110 Depth=1
	s_or_b64 exec, exec, s[38:39]
	s_branch .LBB459_109
.LBB459_117:                            ;   in Loop: Header=BB459_110 Depth=1
                                        ; implicit-def: $vgpr26
                                        ; implicit-def: $vgpr27
	s_cbranch_execz .LBB459_110
; %bb.118:
	s_and_saveexec_b64 s[36:37], s[16:17]
	s_cbranch_execz .LBB459_120
; %bb.119:
	s_add_i32 s38, s40, 64
	s_mov_b32 s39, 0
	s_lshl_b64 s[38:39], s[38:39], 3
	s_add_u32 s38, s30, s38
	v_add_u32_e32 v22, v17, v16
	v_mov_b32_e32 v23, 2
	s_addc_u32 s39, s31, s39
	v_mov_b32_e32 v24, 0
	global_store_dwordx2 v24, v[22:23], s[38:39]
	ds_write_b64 v24, v[16:17] offset:10240
.LBB459_120:
	s_or_b64 exec, exec, s[36:37]
	s_and_b64 exec, exec, s[0:1]
	s_cbranch_execz .LBB459_122
; %bb.121:
	v_mov_b32_e32 v16, 0
	ds_write_b32 v16, v17 offset:12
.LBB459_122:
	s_or_b64 exec, exec, s[34:35]
	v_mov_b32_e32 v16, 0
	s_waitcnt lgkmcnt(0)
	s_barrier
	ds_read_b32 v22, v16 offset:12
	s_waitcnt lgkmcnt(0)
	s_barrier
	ds_read_b64 v[16:17], v16 offset:10240
	v_cndmask_b32_e64 v23, v54, v53, s[16:17]
	v_cndmask_b32_e64 v23, v23, 0, s[0:1]
	v_add_u32_e32 v26, v22, v23
	s_branch .LBB459_133
.LBB459_123:
                                        ; implicit-def: $vgpr17
                                        ; implicit-def: $vgpr26
	s_cbranch_execz .LBB459_133
; %bb.124:
	s_waitcnt lgkmcnt(0)
	v_mov_b32_dpp v16, v52 row_shr:1 row_mask:0xf bank_mask:0xf
	v_cndmask_b32_e64 v16, v16, 0, s[14:15]
	v_add_u32_e32 v16, v16, v52
	s_nop 1
	v_mov_b32_dpp v17, v16 row_shr:2 row_mask:0xf bank_mask:0xf
	v_cndmask_b32_e64 v17, 0, v17, s[12:13]
	v_add_u32_e32 v16, v16, v17
	s_nop 1
	;; [unrolled: 4-line block ×4, first 2 shown]
	v_mov_b32_dpp v17, v16 row_bcast:15 row_mask:0xf bank_mask:0xf
	v_cndmask_b32_e64 v17, v17, 0, s[6:7]
	v_add_u32_e32 v16, v16, v17
	s_nop 1
	v_mov_b32_dpp v17, v16 row_bcast:31 row_mask:0xf bank_mask:0xf
	v_cndmask_b32_e64 v17, 0, v17, s[2:3]
	v_add_u32_e32 v16, v16, v17
	s_and_saveexec_b64 s[2:3], s[4:5]
	s_cbranch_execz .LBB459_126
; %bb.125:
	v_lshlrev_b32_e32 v17, 2, v51
	ds_write_b32 v17, v16
.LBB459_126:
	s_or_b64 exec, exec, s[2:3]
	v_cmp_gt_u32_e32 vcc, 4, v0
	s_waitcnt lgkmcnt(0)
	s_barrier
	s_and_saveexec_b64 s[2:3], vcc
	s_cbranch_execz .LBB459_128
; %bb.127:
	v_lshlrev_b32_e32 v17, 2, v0
	ds_read_b32 v22, v17
	v_and_b32_e32 v23, 3, v50
	v_cmp_ne_u32_e32 vcc, 0, v23
	s_waitcnt lgkmcnt(0)
	v_mov_b32_dpp v24, v22 row_shr:1 row_mask:0xf bank_mask:0xf
	v_cndmask_b32_e32 v24, 0, v24, vcc
	v_add_u32_e32 v22, v24, v22
	v_cmp_lt_u32_e32 vcc, 1, v23
	s_nop 0
	v_mov_b32_dpp v24, v22 row_shr:2 row_mask:0xf bank_mask:0xf
	v_cndmask_b32_e32 v23, 0, v24, vcc
	v_add_u32_e32 v22, v22, v23
	ds_write_b32 v17, v22
.LBB459_128:
	s_or_b64 exec, exec, s[2:3]
	v_cmp_lt_u32_e32 vcc, 63, v0
	v_mov_b32_e32 v17, 0
	v_mov_b32_e32 v22, 0
	s_waitcnt lgkmcnt(0)
	s_barrier
	s_and_saveexec_b64 s[2:3], vcc
	s_cbranch_execz .LBB459_130
; %bb.129:
	v_lshl_add_u32 v22, v51, 2, -4
	ds_read_b32 v22, v22
.LBB459_130:
	s_or_b64 exec, exec, s[2:3]
	v_add_u32_e32 v23, -1, v50
	v_and_b32_e32 v24, 64, v50
	v_cmp_lt_i32_e32 vcc, v23, v24
	v_cndmask_b32_e32 v23, v23, v50, vcc
	s_waitcnt lgkmcnt(0)
	v_add_u32_e32 v16, v22, v16
	v_lshlrev_b32_e32 v23, 2, v23
	ds_bpermute_b32 v23, v23, v16
	ds_read_b32 v16, v17 offset:12
	s_and_saveexec_b64 s[2:3], s[0:1]
	s_cbranch_execz .LBB459_132
; %bb.131:
	v_mov_b32_e32 v24, 0
	v_mov_b32_e32 v17, 2
	s_waitcnt lgkmcnt(0)
	global_store_dwordx2 v24, v[16:17], s[30:31] offset:512
.LBB459_132:
	s_or_b64 exec, exec, s[2:3]
	v_cmp_eq_u32_e32 vcc, 0, v50
	s_waitcnt lgkmcnt(1)
	v_cndmask_b32_e32 v22, v23, v22, vcc
	v_mov_b32_e32 v17, 0
	v_cndmask_b32_e64 v26, v22, 0, s[0:1]
	s_waitcnt lgkmcnt(0)
	s_barrier
.LBB459_133:
	v_add_u32_sdwa v28, v26, v20 dst_sel:DWORD dst_unused:UNUSED_PAD src0_sel:DWORD src1_sel:BYTE_0
	s_waitcnt lgkmcnt(0)
	v_add_u32_e32 v31, v16, v31
	v_sub_u32_e32 v26, v26, v17
	v_and_b32_e32 v55, 1, v20
	v_sub_u32_e32 v54, v31, v26
	v_cmp_eq_u32_e32 vcc, 1, v55
	v_cndmask_b32_e32 v26, v54, v26, vcc
	v_lshlrev_b32_e32 v26, 1, v26
	v_lshrrev_b32_e32 v27, 8, v20
	ds_write_b16 v26, v6
	v_sub_u32_e32 v26, v28, v17
	v_add_u32_sdwa v29, v28, v20 dst_sel:DWORD dst_unused:UNUSED_PAD src0_sel:DWORD src1_sel:BYTE_1
	v_sub_u32_e32 v28, v31, v26
	v_and_b32_e32 v27, 1, v27
	v_add_u32_e32 v28, 1, v28
	v_cmp_eq_u32_e32 vcc, 1, v27
	v_cndmask_b32_e32 v26, v28, v26, vcc
	v_lshlrev_b32_e32 v26, 1, v26
	ds_write_b16_d16_hi v26, v6
	v_sub_u32_e32 v6, v29, v17
	v_mov_b32_e32 v27, 1
	v_sub_u32_e32 v26, v31, v6
	v_and_b32_sdwa v20, v27, v20 dst_sel:DWORD dst_unused:UNUSED_PAD src0_sel:DWORD src1_sel:WORD_1
	v_add_u32_e32 v26, 2, v26
	v_cmp_eq_u32_e32 vcc, 1, v20
	v_cndmask_b32_e32 v6, v26, v6, vcc
	v_add_u32_e32 v49, v29, v49
	v_lshlrev_b32_e32 v6, 1, v6
	ds_write_b16 v6, v7
	v_sub_u32_e32 v6, v49, v17
	v_sub_u32_e32 v20, v31, v6
	v_and_b32_e32 v26, 1, v37
	v_add_u32_e32 v20, 3, v20
	v_cmp_eq_u32_e32 vcc, 1, v26
	v_cndmask_b32_e32 v6, v20, v6, vcc
	v_add_u32_e32 v50, v49, v37
	v_lshlrev_b32_e32 v6, 1, v6
	ds_write_b16_d16_hi v6, v7
	v_sub_u32_e32 v6, v50, v17
	v_sub_u32_e32 v7, v31, v6
	v_and_b32_e32 v20, 1, v21
	v_add_u32_e32 v7, 4, v7
	v_cmp_eq_u32_e32 vcc, 1, v20
	v_cndmask_b32_e32 v6, v7, v6, vcc
	v_add_u32_e32 v46, v50, v46
	v_lshlrev_b32_e32 v6, 1, v6
	v_lshrrev_b32_e32 v25, 8, v21
	ds_write_b16 v6, v8
	v_sub_u32_e32 v6, v46, v17
	v_sub_u32_e32 v7, v31, v6
	v_and_b32_e32 v20, 1, v25
	v_add_u32_e32 v7, 5, v7
	v_cmp_eq_u32_e32 vcc, 1, v20
	v_cndmask_b32_e32 v6, v7, v6, vcc
	v_add_u32_e32 v47, v46, v47
	v_lshlrev_b32_e32 v6, 1, v6
	ds_write_b16_d16_hi v6, v8
	v_sub_u32_e32 v6, v47, v17
	v_sub_u32_e32 v7, v31, v6
	v_and_b32_sdwa v8, v27, v21 dst_sel:DWORD dst_unused:UNUSED_PAD src0_sel:DWORD src1_sel:WORD_1
	v_add_u32_e32 v7, 6, v7
	v_cmp_eq_u32_e32 vcc, 1, v8
	v_cndmask_b32_e32 v6, v7, v6, vcc
	v_add_u32_e32 v48, v47, v48
	v_lshlrev_b32_e32 v6, 1, v6
	ds_write_b16 v6, v9
	v_sub_u32_e32 v6, v48, v17
	v_sub_u32_e32 v7, v31, v6
	v_and_b32_e32 v8, 1, v36
	v_add_u32_e32 v7, 7, v7
	v_cmp_eq_u32_e32 vcc, 1, v8
	v_cndmask_b32_e32 v6, v7, v6, vcc
	v_add_u32_e32 v51, v48, v36
	v_lshlrev_b32_e32 v6, 1, v6
	ds_write_b16_d16_hi v6, v9
	v_sub_u32_e32 v6, v51, v17
	v_sub_u32_e32 v7, v31, v6
	v_and_b32_e32 v8, 1, v18
	v_add_u32_e32 v7, 8, v7
	v_cmp_eq_u32_e32 vcc, 1, v8
	v_cndmask_b32_e32 v6, v7, v6, vcc
	v_add_u32_e32 v43, v51, v43
	v_lshlrev_b32_e32 v6, 1, v6
	v_lshrrev_b32_e32 v24, 8, v18
	ds_write_b16 v6, v2
	v_sub_u32_e32 v6, v43, v17
	v_sub_u32_e32 v7, v31, v6
	v_and_b32_e32 v8, 1, v24
	v_add_u32_e32 v7, 9, v7
	v_cmp_eq_u32_e32 vcc, 1, v8
	v_cndmask_b32_e32 v6, v7, v6, vcc
	v_add_u32_e32 v44, v43, v44
	v_lshlrev_b32_e32 v6, 1, v6
	ds_write_b16_d16_hi v6, v2
	v_sub_u32_e32 v2, v44, v17
	;; [unrolled: 37-line block ×4, first 2 shown]
	v_sub_u32_e32 v3, v31, v2
	v_and_b32_sdwa v4, v27, v32 dst_sel:DWORD dst_unused:UNUSED_PAD src0_sel:DWORD src1_sel:WORD_1
	v_add_u32_e32 v3, 18, v3
	v_cmp_eq_u32_e32 vcc, 1, v4
	v_cndmask_b32_e32 v2, v3, v2, vcc
	v_lshlrev_b32_e32 v2, 1, v2
	ds_write_b16 v2, v15
	v_sub_u32_e32 v2, v33, v17
	v_add_u32_e32 v2, v39, v2
	v_sub_u32_e32 v3, v31, v2
	v_and_b32_e32 v1, 1, v1
	v_add_u32_e32 v3, 19, v3
	v_cmp_eq_u32_e32 vcc, 1, v1
	v_cndmask_b32_e32 v1, v3, v2, vcc
	v_lshlrev_b32_e32 v1, 1, v1
	s_waitcnt vmcnt(0)
	v_add_co_u32_e32 v10, vcc, v10, v17
	ds_write_b16_d16_hi v1, v15
	s_waitcnt lgkmcnt(0)
	s_barrier
	ds_read_u16 v51, v30
	ds_read_u16 v50, v30 offset:512
	ds_read_u16 v48, v30 offset:1024
	;; [unrolled: 1-line block ×15, first 2 shown]
	v_addc_co_u32_e32 v11, vcc, 0, v11, vcc
	v_add_co_u32_e32 v2, vcc, v10, v16
	v_addc_co_u32_e32 v3, vcc, 0, v11, vcc
	v_mov_b32_e32 v7, s19
	v_sub_co_u32_e32 v8, vcc, s18, v2
	ds_read_u16 v19, v30 offset:8192
	ds_read_u16 v15, v30 offset:8704
	;; [unrolled: 1-line block ×4, first 2 shown]
	v_subb_co_u32_e32 v9, vcc, v7, v3, vcc
	v_lshlrev_b64 v[8:9], 1, v[8:9]
	v_mov_b32_e32 v7, s27
	v_add_co_u32_e32 v8, vcc, s26, v8
	v_addc_co_u32_e32 v9, vcc, v7, v9, vcc
	v_add_co_u32_e32 v7, vcc, v8, v12
	v_lshlrev_b64 v[10:11], 1, v[10:11]
	v_addc_co_u32_e32 v8, vcc, v9, v13, vcc
	v_mov_b32_e32 v12, s25
	v_add_co_u32_e64 v9, s[2:3], s24, v10
	v_or_b32_e32 v49, 0x100, v0
	v_or_b32_e32 v47, 0x200, v0
	;; [unrolled: 1-line block ×19, first 2 shown]
	s_andn2_b64 vcc, exec, s[28:29]
	v_addc_co_u32_e64 v10, s[2:3], v12, v11, s[2:3]
	s_cbranch_vccnz .LBB459_135
; %bb.134:
	v_cmp_lt_u32_e32 vcc, v0, v16
	v_cndmask_b32_e32 v12, v7, v9, vcc
	v_cndmask_b32_e32 v11, v8, v10, vcc
	v_add_co_u32_e32 v12, vcc, v12, v30
	v_addc_co_u32_e32 v13, vcc, 0, v11, vcc
	v_cmp_lt_u32_e32 vcc, v49, v16
	s_waitcnt lgkmcnt(14)
	global_store_short v[12:13], v51, off
	v_cndmask_b32_e32 v12, v7, v9, vcc
	v_cndmask_b32_e32 v11, v8, v10, vcc
	v_add_co_u32_e32 v12, vcc, v12, v30
	v_addc_co_u32_e32 v13, vcc, 0, v11, vcc
	v_cmp_lt_u32_e32 vcc, v47, v16
	global_store_short v[12:13], v50, off offset:512
	v_cndmask_b32_e32 v12, v7, v9, vcc
	v_cndmask_b32_e32 v11, v8, v10, vcc
	v_add_co_u32_e32 v12, vcc, v12, v30
	v_addc_co_u32_e32 v13, vcc, 0, v11, vcc
	v_cmp_lt_u32_e32 vcc, v45, v16
	global_store_short v[12:13], v48, off offset:1024
	;; [unrolled: 6-line block ×5, first 2 shown]
	v_cndmask_b32_e32 v12, v7, v9, vcc
	v_cndmask_b32_e32 v11, v8, v10, vcc
	v_add_co_u32_e32 v12, vcc, v12, v30
	v_addc_co_u32_e32 v13, vcc, 0, v11, vcc
	v_cmp_lt_u32_e32 vcc, v37, v16
	s_waitcnt lgkmcnt(13)
	global_store_short v[12:13], v40, off offset:3072
	v_cndmask_b32_e32 v12, v7, v9, vcc
	v_cndmask_b32_e32 v11, v8, v10, vcc
	v_add_co_u32_e32 v12, vcc, v12, v30
	v_addc_co_u32_e32 v13, vcc, 0, v11, vcc
	v_cmp_lt_u32_e32 vcc, v35, v16
	s_waitcnt lgkmcnt(12)
	global_store_short v[12:13], v38, off offset:3584
	v_cndmask_b32_e32 v12, v7, v9, vcc
	v_lshlrev_b32_e32 v13, 1, v35
	v_cndmask_b32_e32 v11, v8, v10, vcc
	v_add_co_u32_e32 v12, vcc, v12, v13
	v_addc_co_u32_e32 v13, vcc, 0, v11, vcc
	v_cmp_lt_u32_e32 vcc, v33, v16
	s_waitcnt lgkmcnt(11)
	global_store_short v[12:13], v36, off
	v_cndmask_b32_e32 v12, v7, v9, vcc
	v_lshlrev_b32_e32 v13, 1, v33
	v_cndmask_b32_e32 v11, v8, v10, vcc
	v_add_co_u32_e32 v12, vcc, v12, v13
	v_addc_co_u32_e32 v13, vcc, 0, v11, vcc
	v_cmp_lt_u32_e32 vcc, v31, v16
	s_waitcnt lgkmcnt(10)
	global_store_short v[12:13], v34, off
	;; [unrolled: 8-line block ×10, first 2 shown]
	v_cndmask_b32_e32 v12, v7, v9, vcc
	v_lshlrev_b32_e32 v13, 1, v6
	v_cndmask_b32_e32 v11, v8, v10, vcc
	v_add_co_u32_e32 v12, vcc, v12, v13
	v_addc_co_u32_e32 v13, vcc, 0, v11, vcc
	s_mov_b64 s[2:3], -1
	s_waitcnt lgkmcnt(1)
	global_store_short v[12:13], v5, off
	s_cbranch_execz .LBB459_136
	s_branch .LBB459_157
.LBB459_135:
	s_mov_b64 s[2:3], 0
.LBB459_136:
	v_cmp_gt_u32_e32 vcc, s33, v0
	s_and_saveexec_b64 s[2:3], vcc
	s_cbranch_execnz .LBB459_162
; %bb.137:
	s_or_b64 exec, exec, s[2:3]
	v_cmp_gt_u32_e32 vcc, s33, v49
	s_and_saveexec_b64 s[2:3], vcc
	s_cbranch_execnz .LBB459_163
.LBB459_138:
	s_or_b64 exec, exec, s[2:3]
	v_cmp_gt_u32_e32 vcc, s33, v47
	s_and_saveexec_b64 s[2:3], vcc
	s_cbranch_execnz .LBB459_164
.LBB459_139:
	s_or_b64 exec, exec, s[2:3]
	v_cmp_gt_u32_e32 vcc, s33, v45
	s_and_saveexec_b64 s[2:3], vcc
	s_cbranch_execnz .LBB459_165
.LBB459_140:
	s_or_b64 exec, exec, s[2:3]
	v_cmp_gt_u32_e32 vcc, s33, v43
	s_and_saveexec_b64 s[2:3], vcc
	s_cbranch_execnz .LBB459_166
.LBB459_141:
	s_or_b64 exec, exec, s[2:3]
	v_cmp_gt_u32_e32 vcc, s33, v41
	s_and_saveexec_b64 s[2:3], vcc
	s_cbranch_execnz .LBB459_167
.LBB459_142:
	s_or_b64 exec, exec, s[2:3]
	v_cmp_gt_u32_e32 vcc, s33, v39
	s_and_saveexec_b64 s[2:3], vcc
	s_cbranch_execnz .LBB459_168
.LBB459_143:
	s_or_b64 exec, exec, s[2:3]
	v_cmp_gt_u32_e32 vcc, s33, v37
	s_and_saveexec_b64 s[2:3], vcc
	s_cbranch_execnz .LBB459_169
.LBB459_144:
	s_or_b64 exec, exec, s[2:3]
	v_cmp_gt_u32_e32 vcc, s33, v35
	s_and_saveexec_b64 s[2:3], vcc
	s_cbranch_execnz .LBB459_170
.LBB459_145:
	s_or_b64 exec, exec, s[2:3]
	v_cmp_gt_u32_e32 vcc, s33, v33
	s_and_saveexec_b64 s[2:3], vcc
	s_cbranch_execnz .LBB459_171
.LBB459_146:
	s_or_b64 exec, exec, s[2:3]
	v_cmp_gt_u32_e32 vcc, s33, v31
	s_and_saveexec_b64 s[2:3], vcc
	s_cbranch_execnz .LBB459_172
.LBB459_147:
	s_or_b64 exec, exec, s[2:3]
	v_cmp_gt_u32_e32 vcc, s33, v28
	s_and_saveexec_b64 s[2:3], vcc
	s_cbranch_execnz .LBB459_173
.LBB459_148:
	s_or_b64 exec, exec, s[2:3]
	v_cmp_gt_u32_e32 vcc, s33, v26
	s_and_saveexec_b64 s[2:3], vcc
	s_cbranch_execnz .LBB459_174
.LBB459_149:
	s_or_b64 exec, exec, s[2:3]
	v_cmp_gt_u32_e32 vcc, s33, v24
	s_and_saveexec_b64 s[2:3], vcc
	s_cbranch_execnz .LBB459_175
.LBB459_150:
	s_or_b64 exec, exec, s[2:3]
	v_cmp_gt_u32_e32 vcc, s33, v22
	s_and_saveexec_b64 s[2:3], vcc
	s_cbranch_execnz .LBB459_176
.LBB459_151:
	s_or_b64 exec, exec, s[2:3]
	v_cmp_gt_u32_e32 vcc, s33, v20
	s_and_saveexec_b64 s[2:3], vcc
	s_cbranch_execnz .LBB459_177
.LBB459_152:
	s_or_b64 exec, exec, s[2:3]
	v_cmp_gt_u32_e32 vcc, s33, v18
	s_and_saveexec_b64 s[2:3], vcc
	s_cbranch_execnz .LBB459_178
.LBB459_153:
	s_or_b64 exec, exec, s[2:3]
	v_cmp_gt_u32_e32 vcc, s33, v14
	s_and_saveexec_b64 s[2:3], vcc
	s_cbranch_execnz .LBB459_179
.LBB459_154:
	s_or_b64 exec, exec, s[2:3]
	v_cmp_gt_u32_e32 vcc, s33, v6
	s_and_saveexec_b64 s[2:3], vcc
	s_cbranch_execz .LBB459_156
.LBB459_155:
	v_cmp_lt_u32_e32 vcc, v6, v16
	v_cndmask_b32_e32 v11, v7, v9, vcc
	v_lshlrev_b32_e32 v6, 1, v6
	v_cndmask_b32_e32 v0, v8, v10, vcc
	v_add_co_u32_e32 v12, vcc, v11, v6
	v_addc_co_u32_e32 v13, vcc, 0, v0, vcc
	s_waitcnt lgkmcnt(1)
	global_store_short v[12:13], v5, off
.LBB459_156:
	s_or_b64 exec, exec, s[2:3]
	v_cmp_gt_u32_e64 s[2:3], s33, v4
.LBB459_157:
	s_and_saveexec_b64 s[4:5], s[2:3]
	s_cbranch_execnz .LBB459_160
; %bb.158:
	s_or_b64 exec, exec, s[4:5]
	s_and_b64 s[0:1], s[0:1], s[22:23]
	s_and_saveexec_b64 s[2:3], s[0:1]
	s_cbranch_execnz .LBB459_161
.LBB459_159:
	s_endpgm
.LBB459_160:
	v_cmp_lt_u32_e32 vcc, v4, v16
	s_waitcnt lgkmcnt(1)
	v_cndmask_b32_e32 v5, v7, v9, vcc
	v_lshlrev_b32_e32 v4, 1, v4
	v_cndmask_b32_e32 v0, v8, v10, vcc
	v_add_co_u32_e32 v4, vcc, v5, v4
	v_addc_co_u32_e32 v5, vcc, 0, v0, vcc
	s_waitcnt lgkmcnt(0)
	global_store_short v[4:5], v1, off
	s_or_b64 exec, exec, s[4:5]
	s_and_b64 s[0:1], s[0:1], s[22:23]
	s_and_saveexec_b64 s[2:3], s[0:1]
	s_cbranch_execz .LBB459_159
.LBB459_161:
	v_mov_b32_e32 v0, 0
	global_store_dwordx2 v0, v[2:3], s[20:21]
	s_endpgm
.LBB459_162:
	v_cmp_lt_u32_e32 vcc, v0, v16
	v_cndmask_b32_e32 v11, v7, v9, vcc
	v_cndmask_b32_e32 v0, v8, v10, vcc
	v_add_co_u32_e32 v12, vcc, v11, v30
	v_addc_co_u32_e32 v13, vcc, 0, v0, vcc
	s_waitcnt lgkmcnt(14)
	global_store_short v[12:13], v51, off
	s_or_b64 exec, exec, s[2:3]
	v_cmp_gt_u32_e32 vcc, s33, v49
	s_and_saveexec_b64 s[2:3], vcc
	s_cbranch_execz .LBB459_138
.LBB459_163:
	v_cmp_lt_u32_e32 vcc, v49, v16
	v_cndmask_b32_e32 v11, v7, v9, vcc
	v_cndmask_b32_e32 v0, v8, v10, vcc
	v_add_co_u32_e32 v12, vcc, v11, v30
	v_addc_co_u32_e32 v13, vcc, 0, v0, vcc
	s_waitcnt lgkmcnt(14)
	global_store_short v[12:13], v50, off offset:512
	s_or_b64 exec, exec, s[2:3]
	v_cmp_gt_u32_e32 vcc, s33, v47
	s_and_saveexec_b64 s[2:3], vcc
	s_cbranch_execz .LBB459_139
.LBB459_164:
	v_cmp_lt_u32_e32 vcc, v47, v16
	v_cndmask_b32_e32 v11, v7, v9, vcc
	v_cndmask_b32_e32 v0, v8, v10, vcc
	v_add_co_u32_e32 v12, vcc, v11, v30
	v_addc_co_u32_e32 v13, vcc, 0, v0, vcc
	s_waitcnt lgkmcnt(14)
	global_store_short v[12:13], v48, off offset:1024
	s_or_b64 exec, exec, s[2:3]
	v_cmp_gt_u32_e32 vcc, s33, v45
	s_and_saveexec_b64 s[2:3], vcc
	s_cbranch_execz .LBB459_140
.LBB459_165:
	v_cmp_lt_u32_e32 vcc, v45, v16
	v_cndmask_b32_e32 v11, v7, v9, vcc
	v_cndmask_b32_e32 v0, v8, v10, vcc
	v_add_co_u32_e32 v12, vcc, v11, v30
	v_addc_co_u32_e32 v13, vcc, 0, v0, vcc
	s_waitcnt lgkmcnt(14)
	global_store_short v[12:13], v46, off offset:1536
	s_or_b64 exec, exec, s[2:3]
	v_cmp_gt_u32_e32 vcc, s33, v43
	s_and_saveexec_b64 s[2:3], vcc
	s_cbranch_execz .LBB459_141
.LBB459_166:
	v_cmp_lt_u32_e32 vcc, v43, v16
	v_cndmask_b32_e32 v11, v7, v9, vcc
	v_cndmask_b32_e32 v0, v8, v10, vcc
	v_add_co_u32_e32 v12, vcc, v11, v30
	v_addc_co_u32_e32 v13, vcc, 0, v0, vcc
	s_waitcnt lgkmcnt(14)
	global_store_short v[12:13], v44, off offset:2048
	s_or_b64 exec, exec, s[2:3]
	v_cmp_gt_u32_e32 vcc, s33, v41
	s_and_saveexec_b64 s[2:3], vcc
	s_cbranch_execz .LBB459_142
.LBB459_167:
	v_cmp_lt_u32_e32 vcc, v41, v16
	v_cndmask_b32_e32 v11, v7, v9, vcc
	v_cndmask_b32_e32 v0, v8, v10, vcc
	v_add_co_u32_e32 v12, vcc, v11, v30
	v_addc_co_u32_e32 v13, vcc, 0, v0, vcc
	s_waitcnt lgkmcnt(14)
	global_store_short v[12:13], v42, off offset:2560
	s_or_b64 exec, exec, s[2:3]
	v_cmp_gt_u32_e32 vcc, s33, v39
	s_and_saveexec_b64 s[2:3], vcc
	s_cbranch_execz .LBB459_143
.LBB459_168:
	v_cmp_lt_u32_e32 vcc, v39, v16
	v_cndmask_b32_e32 v11, v7, v9, vcc
	v_cndmask_b32_e32 v0, v8, v10, vcc
	v_add_co_u32_e32 v12, vcc, v11, v30
	v_addc_co_u32_e32 v13, vcc, 0, v0, vcc
	s_waitcnt lgkmcnt(13)
	global_store_short v[12:13], v40, off offset:3072
	s_or_b64 exec, exec, s[2:3]
	v_cmp_gt_u32_e32 vcc, s33, v37
	s_and_saveexec_b64 s[2:3], vcc
	s_cbranch_execz .LBB459_144
.LBB459_169:
	v_cmp_lt_u32_e32 vcc, v37, v16
	v_cndmask_b32_e32 v11, v7, v9, vcc
	v_cndmask_b32_e32 v0, v8, v10, vcc
	v_add_co_u32_e32 v12, vcc, v11, v30
	v_addc_co_u32_e32 v13, vcc, 0, v0, vcc
	s_waitcnt lgkmcnt(12)
	global_store_short v[12:13], v38, off offset:3584
	s_or_b64 exec, exec, s[2:3]
	v_cmp_gt_u32_e32 vcc, s33, v35
	s_and_saveexec_b64 s[2:3], vcc
	s_cbranch_execz .LBB459_145
.LBB459_170:
	v_cmp_lt_u32_e32 vcc, v35, v16
	v_cndmask_b32_e32 v11, v7, v9, vcc
	v_lshlrev_b32_e32 v12, 1, v35
	v_cndmask_b32_e32 v0, v8, v10, vcc
	v_add_co_u32_e32 v12, vcc, v11, v12
	v_addc_co_u32_e32 v13, vcc, 0, v0, vcc
	s_waitcnt lgkmcnt(11)
	global_store_short v[12:13], v36, off
	s_or_b64 exec, exec, s[2:3]
	v_cmp_gt_u32_e32 vcc, s33, v33
	s_and_saveexec_b64 s[2:3], vcc
	s_cbranch_execz .LBB459_146
.LBB459_171:
	v_cmp_lt_u32_e32 vcc, v33, v16
	v_cndmask_b32_e32 v11, v7, v9, vcc
	v_lshlrev_b32_e32 v12, 1, v33
	v_cndmask_b32_e32 v0, v8, v10, vcc
	v_add_co_u32_e32 v12, vcc, v11, v12
	v_addc_co_u32_e32 v13, vcc, 0, v0, vcc
	s_waitcnt lgkmcnt(10)
	global_store_short v[12:13], v34, off
	s_or_b64 exec, exec, s[2:3]
	v_cmp_gt_u32_e32 vcc, s33, v31
	s_and_saveexec_b64 s[2:3], vcc
	s_cbranch_execz .LBB459_147
.LBB459_172:
	v_cmp_lt_u32_e32 vcc, v31, v16
	v_cndmask_b32_e32 v11, v7, v9, vcc
	v_lshlrev_b32_e32 v12, 1, v31
	v_cndmask_b32_e32 v0, v8, v10, vcc
	v_add_co_u32_e32 v12, vcc, v11, v12
	v_addc_co_u32_e32 v13, vcc, 0, v0, vcc
	s_waitcnt lgkmcnt(9)
	global_store_short v[12:13], v32, off
	s_or_b64 exec, exec, s[2:3]
	v_cmp_gt_u32_e32 vcc, s33, v28
	s_and_saveexec_b64 s[2:3], vcc
	s_cbranch_execz .LBB459_148
.LBB459_173:
	v_cmp_lt_u32_e32 vcc, v28, v16
	v_cndmask_b32_e32 v11, v7, v9, vcc
	v_lshlrev_b32_e32 v12, 1, v28
	v_cndmask_b32_e32 v0, v8, v10, vcc
	v_add_co_u32_e32 v12, vcc, v11, v12
	v_addc_co_u32_e32 v13, vcc, 0, v0, vcc
	s_waitcnt lgkmcnt(8)
	global_store_short v[12:13], v29, off
	s_or_b64 exec, exec, s[2:3]
	v_cmp_gt_u32_e32 vcc, s33, v26
	s_and_saveexec_b64 s[2:3], vcc
	s_cbranch_execz .LBB459_149
.LBB459_174:
	v_cmp_lt_u32_e32 vcc, v26, v16
	v_cndmask_b32_e32 v11, v7, v9, vcc
	v_lshlrev_b32_e32 v12, 1, v26
	v_cndmask_b32_e32 v0, v8, v10, vcc
	v_add_co_u32_e32 v12, vcc, v11, v12
	v_addc_co_u32_e32 v13, vcc, 0, v0, vcc
	s_waitcnt lgkmcnt(7)
	global_store_short v[12:13], v27, off
	s_or_b64 exec, exec, s[2:3]
	v_cmp_gt_u32_e32 vcc, s33, v24
	s_and_saveexec_b64 s[2:3], vcc
	s_cbranch_execz .LBB459_150
.LBB459_175:
	v_cmp_lt_u32_e32 vcc, v24, v16
	v_cndmask_b32_e32 v11, v7, v9, vcc
	v_lshlrev_b32_e32 v12, 1, v24
	v_cndmask_b32_e32 v0, v8, v10, vcc
	v_add_co_u32_e32 v12, vcc, v11, v12
	v_addc_co_u32_e32 v13, vcc, 0, v0, vcc
	s_waitcnt lgkmcnt(6)
	global_store_short v[12:13], v25, off
	s_or_b64 exec, exec, s[2:3]
	v_cmp_gt_u32_e32 vcc, s33, v22
	s_and_saveexec_b64 s[2:3], vcc
	s_cbranch_execz .LBB459_151
.LBB459_176:
	v_cmp_lt_u32_e32 vcc, v22, v16
	v_cndmask_b32_e32 v11, v7, v9, vcc
	v_lshlrev_b32_e32 v12, 1, v22
	v_cndmask_b32_e32 v0, v8, v10, vcc
	v_add_co_u32_e32 v12, vcc, v11, v12
	v_addc_co_u32_e32 v13, vcc, 0, v0, vcc
	s_waitcnt lgkmcnt(5)
	global_store_short v[12:13], v23, off
	s_or_b64 exec, exec, s[2:3]
	v_cmp_gt_u32_e32 vcc, s33, v20
	s_and_saveexec_b64 s[2:3], vcc
	s_cbranch_execz .LBB459_152
.LBB459_177:
	v_cmp_lt_u32_e32 vcc, v20, v16
	v_cndmask_b32_e32 v11, v7, v9, vcc
	v_lshlrev_b32_e32 v12, 1, v20
	v_cndmask_b32_e32 v0, v8, v10, vcc
	v_add_co_u32_e32 v12, vcc, v11, v12
	v_addc_co_u32_e32 v13, vcc, 0, v0, vcc
	s_waitcnt lgkmcnt(4)
	global_store_short v[12:13], v21, off
	s_or_b64 exec, exec, s[2:3]
	v_cmp_gt_u32_e32 vcc, s33, v18
	s_and_saveexec_b64 s[2:3], vcc
	s_cbranch_execz .LBB459_153
.LBB459_178:
	v_cmp_lt_u32_e32 vcc, v18, v16
	v_cndmask_b32_e32 v11, v7, v9, vcc
	v_lshlrev_b32_e32 v12, 1, v18
	v_cndmask_b32_e32 v0, v8, v10, vcc
	v_add_co_u32_e32 v12, vcc, v11, v12
	v_addc_co_u32_e32 v13, vcc, 0, v0, vcc
	s_waitcnt lgkmcnt(3)
	global_store_short v[12:13], v19, off
	s_or_b64 exec, exec, s[2:3]
	v_cmp_gt_u32_e32 vcc, s33, v14
	s_and_saveexec_b64 s[2:3], vcc
	s_cbranch_execz .LBB459_154
.LBB459_179:
	v_cmp_lt_u32_e32 vcc, v14, v16
	v_cndmask_b32_e32 v11, v7, v9, vcc
	v_lshlrev_b32_e32 v12, 1, v14
	v_cndmask_b32_e32 v0, v8, v10, vcc
	v_add_co_u32_e32 v12, vcc, v11, v12
	v_addc_co_u32_e32 v13, vcc, 0, v0, vcc
	s_waitcnt lgkmcnt(2)
	global_store_short v[12:13], v15, off
	s_or_b64 exec, exec, s[2:3]
	v_cmp_gt_u32_e32 vcc, s33, v6
	s_and_saveexec_b64 s[2:3], vcc
	s_cbranch_execnz .LBB459_155
	s_branch .LBB459_156
	.section	.rodata,"a",@progbits
	.p2align	6, 0x0
	.amdhsa_kernel _ZN7rocprim17ROCPRIM_400000_NS6detail17trampoline_kernelINS0_14default_configENS1_25partition_config_selectorILNS1_17partition_subalgoE1EsNS0_10empty_typeEbEEZZNS1_14partition_implILS5_1ELb0ES3_jN6thrust23THRUST_200600_302600_NS6detail15normal_iteratorINSA_10device_ptrIsEEEEPS6_NSA_18transform_iteratorI7is_evenIsESF_NSA_11use_defaultESK_EENS0_5tupleIJSF_SF_EEENSM_IJSG_SG_EEES6_PlJS6_EEE10hipError_tPvRmT3_T4_T5_T6_T7_T9_mT8_P12ihipStream_tbDpT10_ENKUlT_T0_E_clISt17integral_constantIbLb1EES19_EEDaS14_S15_EUlS14_E_NS1_11comp_targetILNS1_3genE4ELNS1_11target_archE910ELNS1_3gpuE8ELNS1_3repE0EEENS1_30default_config_static_selectorELNS0_4arch9wavefront6targetE1EEEvT1_
		.amdhsa_group_segment_fixed_size 10248
		.amdhsa_private_segment_fixed_size 0
		.amdhsa_kernarg_size 144
		.amdhsa_user_sgpr_count 6
		.amdhsa_user_sgpr_private_segment_buffer 1
		.amdhsa_user_sgpr_dispatch_ptr 0
		.amdhsa_user_sgpr_queue_ptr 0
		.amdhsa_user_sgpr_kernarg_segment_ptr 1
		.amdhsa_user_sgpr_dispatch_id 0
		.amdhsa_user_sgpr_flat_scratch_init 0
		.amdhsa_user_sgpr_kernarg_preload_length 0
		.amdhsa_user_sgpr_kernarg_preload_offset 0
		.amdhsa_user_sgpr_private_segment_size 0
		.amdhsa_uses_dynamic_stack 0
		.amdhsa_system_sgpr_private_segment_wavefront_offset 0
		.amdhsa_system_sgpr_workgroup_id_x 1
		.amdhsa_system_sgpr_workgroup_id_y 0
		.amdhsa_system_sgpr_workgroup_id_z 0
		.amdhsa_system_sgpr_workgroup_info 0
		.amdhsa_system_vgpr_workitem_id 0
		.amdhsa_next_free_vgpr 69
		.amdhsa_next_free_sgpr 44
		.amdhsa_accum_offset 72
		.amdhsa_reserve_vcc 1
		.amdhsa_reserve_flat_scratch 0
		.amdhsa_float_round_mode_32 0
		.amdhsa_float_round_mode_16_64 0
		.amdhsa_float_denorm_mode_32 3
		.amdhsa_float_denorm_mode_16_64 3
		.amdhsa_dx10_clamp 1
		.amdhsa_ieee_mode 1
		.amdhsa_fp16_overflow 0
		.amdhsa_tg_split 0
		.amdhsa_exception_fp_ieee_invalid_op 0
		.amdhsa_exception_fp_denorm_src 0
		.amdhsa_exception_fp_ieee_div_zero 0
		.amdhsa_exception_fp_ieee_overflow 0
		.amdhsa_exception_fp_ieee_underflow 0
		.amdhsa_exception_fp_ieee_inexact 0
		.amdhsa_exception_int_div_zero 0
	.end_amdhsa_kernel
	.section	.text._ZN7rocprim17ROCPRIM_400000_NS6detail17trampoline_kernelINS0_14default_configENS1_25partition_config_selectorILNS1_17partition_subalgoE1EsNS0_10empty_typeEbEEZZNS1_14partition_implILS5_1ELb0ES3_jN6thrust23THRUST_200600_302600_NS6detail15normal_iteratorINSA_10device_ptrIsEEEEPS6_NSA_18transform_iteratorI7is_evenIsESF_NSA_11use_defaultESK_EENS0_5tupleIJSF_SF_EEENSM_IJSG_SG_EEES6_PlJS6_EEE10hipError_tPvRmT3_T4_T5_T6_T7_T9_mT8_P12ihipStream_tbDpT10_ENKUlT_T0_E_clISt17integral_constantIbLb1EES19_EEDaS14_S15_EUlS14_E_NS1_11comp_targetILNS1_3genE4ELNS1_11target_archE910ELNS1_3gpuE8ELNS1_3repE0EEENS1_30default_config_static_selectorELNS0_4arch9wavefront6targetE1EEEvT1_,"axG",@progbits,_ZN7rocprim17ROCPRIM_400000_NS6detail17trampoline_kernelINS0_14default_configENS1_25partition_config_selectorILNS1_17partition_subalgoE1EsNS0_10empty_typeEbEEZZNS1_14partition_implILS5_1ELb0ES3_jN6thrust23THRUST_200600_302600_NS6detail15normal_iteratorINSA_10device_ptrIsEEEEPS6_NSA_18transform_iteratorI7is_evenIsESF_NSA_11use_defaultESK_EENS0_5tupleIJSF_SF_EEENSM_IJSG_SG_EEES6_PlJS6_EEE10hipError_tPvRmT3_T4_T5_T6_T7_T9_mT8_P12ihipStream_tbDpT10_ENKUlT_T0_E_clISt17integral_constantIbLb1EES19_EEDaS14_S15_EUlS14_E_NS1_11comp_targetILNS1_3genE4ELNS1_11target_archE910ELNS1_3gpuE8ELNS1_3repE0EEENS1_30default_config_static_selectorELNS0_4arch9wavefront6targetE1EEEvT1_,comdat
.Lfunc_end459:
	.size	_ZN7rocprim17ROCPRIM_400000_NS6detail17trampoline_kernelINS0_14default_configENS1_25partition_config_selectorILNS1_17partition_subalgoE1EsNS0_10empty_typeEbEEZZNS1_14partition_implILS5_1ELb0ES3_jN6thrust23THRUST_200600_302600_NS6detail15normal_iteratorINSA_10device_ptrIsEEEEPS6_NSA_18transform_iteratorI7is_evenIsESF_NSA_11use_defaultESK_EENS0_5tupleIJSF_SF_EEENSM_IJSG_SG_EEES6_PlJS6_EEE10hipError_tPvRmT3_T4_T5_T6_T7_T9_mT8_P12ihipStream_tbDpT10_ENKUlT_T0_E_clISt17integral_constantIbLb1EES19_EEDaS14_S15_EUlS14_E_NS1_11comp_targetILNS1_3genE4ELNS1_11target_archE910ELNS1_3gpuE8ELNS1_3repE0EEENS1_30default_config_static_selectorELNS0_4arch9wavefront6targetE1EEEvT1_, .Lfunc_end459-_ZN7rocprim17ROCPRIM_400000_NS6detail17trampoline_kernelINS0_14default_configENS1_25partition_config_selectorILNS1_17partition_subalgoE1EsNS0_10empty_typeEbEEZZNS1_14partition_implILS5_1ELb0ES3_jN6thrust23THRUST_200600_302600_NS6detail15normal_iteratorINSA_10device_ptrIsEEEEPS6_NSA_18transform_iteratorI7is_evenIsESF_NSA_11use_defaultESK_EENS0_5tupleIJSF_SF_EEENSM_IJSG_SG_EEES6_PlJS6_EEE10hipError_tPvRmT3_T4_T5_T6_T7_T9_mT8_P12ihipStream_tbDpT10_ENKUlT_T0_E_clISt17integral_constantIbLb1EES19_EEDaS14_S15_EUlS14_E_NS1_11comp_targetILNS1_3genE4ELNS1_11target_archE910ELNS1_3gpuE8ELNS1_3repE0EEENS1_30default_config_static_selectorELNS0_4arch9wavefront6targetE1EEEvT1_
                                        ; -- End function
	.section	.AMDGPU.csdata,"",@progbits
; Kernel info:
; codeLenInByte = 9316
; NumSgprs: 48
; NumVgprs: 69
; NumAgprs: 0
; TotalNumVgprs: 69
; ScratchSize: 0
; MemoryBound: 0
; FloatMode: 240
; IeeeMode: 1
; LDSByteSize: 10248 bytes/workgroup (compile time only)
; SGPRBlocks: 5
; VGPRBlocks: 8
; NumSGPRsForWavesPerEU: 48
; NumVGPRsForWavesPerEU: 69
; AccumOffset: 72
; Occupancy: 6
; WaveLimiterHint : 1
; COMPUTE_PGM_RSRC2:SCRATCH_EN: 0
; COMPUTE_PGM_RSRC2:USER_SGPR: 6
; COMPUTE_PGM_RSRC2:TRAP_HANDLER: 0
; COMPUTE_PGM_RSRC2:TGID_X_EN: 1
; COMPUTE_PGM_RSRC2:TGID_Y_EN: 0
; COMPUTE_PGM_RSRC2:TGID_Z_EN: 0
; COMPUTE_PGM_RSRC2:TIDIG_COMP_CNT: 0
; COMPUTE_PGM_RSRC3_GFX90A:ACCUM_OFFSET: 17
; COMPUTE_PGM_RSRC3_GFX90A:TG_SPLIT: 0
	.section	.text._ZN7rocprim17ROCPRIM_400000_NS6detail17trampoline_kernelINS0_14default_configENS1_25partition_config_selectorILNS1_17partition_subalgoE1EsNS0_10empty_typeEbEEZZNS1_14partition_implILS5_1ELb0ES3_jN6thrust23THRUST_200600_302600_NS6detail15normal_iteratorINSA_10device_ptrIsEEEEPS6_NSA_18transform_iteratorI7is_evenIsESF_NSA_11use_defaultESK_EENS0_5tupleIJSF_SF_EEENSM_IJSG_SG_EEES6_PlJS6_EEE10hipError_tPvRmT3_T4_T5_T6_T7_T9_mT8_P12ihipStream_tbDpT10_ENKUlT_T0_E_clISt17integral_constantIbLb1EES19_EEDaS14_S15_EUlS14_E_NS1_11comp_targetILNS1_3genE3ELNS1_11target_archE908ELNS1_3gpuE7ELNS1_3repE0EEENS1_30default_config_static_selectorELNS0_4arch9wavefront6targetE1EEEvT1_,"axG",@progbits,_ZN7rocprim17ROCPRIM_400000_NS6detail17trampoline_kernelINS0_14default_configENS1_25partition_config_selectorILNS1_17partition_subalgoE1EsNS0_10empty_typeEbEEZZNS1_14partition_implILS5_1ELb0ES3_jN6thrust23THRUST_200600_302600_NS6detail15normal_iteratorINSA_10device_ptrIsEEEEPS6_NSA_18transform_iteratorI7is_evenIsESF_NSA_11use_defaultESK_EENS0_5tupleIJSF_SF_EEENSM_IJSG_SG_EEES6_PlJS6_EEE10hipError_tPvRmT3_T4_T5_T6_T7_T9_mT8_P12ihipStream_tbDpT10_ENKUlT_T0_E_clISt17integral_constantIbLb1EES19_EEDaS14_S15_EUlS14_E_NS1_11comp_targetILNS1_3genE3ELNS1_11target_archE908ELNS1_3gpuE7ELNS1_3repE0EEENS1_30default_config_static_selectorELNS0_4arch9wavefront6targetE1EEEvT1_,comdat
	.protected	_ZN7rocprim17ROCPRIM_400000_NS6detail17trampoline_kernelINS0_14default_configENS1_25partition_config_selectorILNS1_17partition_subalgoE1EsNS0_10empty_typeEbEEZZNS1_14partition_implILS5_1ELb0ES3_jN6thrust23THRUST_200600_302600_NS6detail15normal_iteratorINSA_10device_ptrIsEEEEPS6_NSA_18transform_iteratorI7is_evenIsESF_NSA_11use_defaultESK_EENS0_5tupleIJSF_SF_EEENSM_IJSG_SG_EEES6_PlJS6_EEE10hipError_tPvRmT3_T4_T5_T6_T7_T9_mT8_P12ihipStream_tbDpT10_ENKUlT_T0_E_clISt17integral_constantIbLb1EES19_EEDaS14_S15_EUlS14_E_NS1_11comp_targetILNS1_3genE3ELNS1_11target_archE908ELNS1_3gpuE7ELNS1_3repE0EEENS1_30default_config_static_selectorELNS0_4arch9wavefront6targetE1EEEvT1_ ; -- Begin function _ZN7rocprim17ROCPRIM_400000_NS6detail17trampoline_kernelINS0_14default_configENS1_25partition_config_selectorILNS1_17partition_subalgoE1EsNS0_10empty_typeEbEEZZNS1_14partition_implILS5_1ELb0ES3_jN6thrust23THRUST_200600_302600_NS6detail15normal_iteratorINSA_10device_ptrIsEEEEPS6_NSA_18transform_iteratorI7is_evenIsESF_NSA_11use_defaultESK_EENS0_5tupleIJSF_SF_EEENSM_IJSG_SG_EEES6_PlJS6_EEE10hipError_tPvRmT3_T4_T5_T6_T7_T9_mT8_P12ihipStream_tbDpT10_ENKUlT_T0_E_clISt17integral_constantIbLb1EES19_EEDaS14_S15_EUlS14_E_NS1_11comp_targetILNS1_3genE3ELNS1_11target_archE908ELNS1_3gpuE7ELNS1_3repE0EEENS1_30default_config_static_selectorELNS0_4arch9wavefront6targetE1EEEvT1_
	.globl	_ZN7rocprim17ROCPRIM_400000_NS6detail17trampoline_kernelINS0_14default_configENS1_25partition_config_selectorILNS1_17partition_subalgoE1EsNS0_10empty_typeEbEEZZNS1_14partition_implILS5_1ELb0ES3_jN6thrust23THRUST_200600_302600_NS6detail15normal_iteratorINSA_10device_ptrIsEEEEPS6_NSA_18transform_iteratorI7is_evenIsESF_NSA_11use_defaultESK_EENS0_5tupleIJSF_SF_EEENSM_IJSG_SG_EEES6_PlJS6_EEE10hipError_tPvRmT3_T4_T5_T6_T7_T9_mT8_P12ihipStream_tbDpT10_ENKUlT_T0_E_clISt17integral_constantIbLb1EES19_EEDaS14_S15_EUlS14_E_NS1_11comp_targetILNS1_3genE3ELNS1_11target_archE908ELNS1_3gpuE7ELNS1_3repE0EEENS1_30default_config_static_selectorELNS0_4arch9wavefront6targetE1EEEvT1_
	.p2align	8
	.type	_ZN7rocprim17ROCPRIM_400000_NS6detail17trampoline_kernelINS0_14default_configENS1_25partition_config_selectorILNS1_17partition_subalgoE1EsNS0_10empty_typeEbEEZZNS1_14partition_implILS5_1ELb0ES3_jN6thrust23THRUST_200600_302600_NS6detail15normal_iteratorINSA_10device_ptrIsEEEEPS6_NSA_18transform_iteratorI7is_evenIsESF_NSA_11use_defaultESK_EENS0_5tupleIJSF_SF_EEENSM_IJSG_SG_EEES6_PlJS6_EEE10hipError_tPvRmT3_T4_T5_T6_T7_T9_mT8_P12ihipStream_tbDpT10_ENKUlT_T0_E_clISt17integral_constantIbLb1EES19_EEDaS14_S15_EUlS14_E_NS1_11comp_targetILNS1_3genE3ELNS1_11target_archE908ELNS1_3gpuE7ELNS1_3repE0EEENS1_30default_config_static_selectorELNS0_4arch9wavefront6targetE1EEEvT1_,@function
_ZN7rocprim17ROCPRIM_400000_NS6detail17trampoline_kernelINS0_14default_configENS1_25partition_config_selectorILNS1_17partition_subalgoE1EsNS0_10empty_typeEbEEZZNS1_14partition_implILS5_1ELb0ES3_jN6thrust23THRUST_200600_302600_NS6detail15normal_iteratorINSA_10device_ptrIsEEEEPS6_NSA_18transform_iteratorI7is_evenIsESF_NSA_11use_defaultESK_EENS0_5tupleIJSF_SF_EEENSM_IJSG_SG_EEES6_PlJS6_EEE10hipError_tPvRmT3_T4_T5_T6_T7_T9_mT8_P12ihipStream_tbDpT10_ENKUlT_T0_E_clISt17integral_constantIbLb1EES19_EEDaS14_S15_EUlS14_E_NS1_11comp_targetILNS1_3genE3ELNS1_11target_archE908ELNS1_3gpuE7ELNS1_3repE0EEENS1_30default_config_static_selectorELNS0_4arch9wavefront6targetE1EEEvT1_: ; @_ZN7rocprim17ROCPRIM_400000_NS6detail17trampoline_kernelINS0_14default_configENS1_25partition_config_selectorILNS1_17partition_subalgoE1EsNS0_10empty_typeEbEEZZNS1_14partition_implILS5_1ELb0ES3_jN6thrust23THRUST_200600_302600_NS6detail15normal_iteratorINSA_10device_ptrIsEEEEPS6_NSA_18transform_iteratorI7is_evenIsESF_NSA_11use_defaultESK_EENS0_5tupleIJSF_SF_EEENSM_IJSG_SG_EEES6_PlJS6_EEE10hipError_tPvRmT3_T4_T5_T6_T7_T9_mT8_P12ihipStream_tbDpT10_ENKUlT_T0_E_clISt17integral_constantIbLb1EES19_EEDaS14_S15_EUlS14_E_NS1_11comp_targetILNS1_3genE3ELNS1_11target_archE908ELNS1_3gpuE7ELNS1_3repE0EEENS1_30default_config_static_selectorELNS0_4arch9wavefront6targetE1EEEvT1_
; %bb.0:
	.section	.rodata,"a",@progbits
	.p2align	6, 0x0
	.amdhsa_kernel _ZN7rocprim17ROCPRIM_400000_NS6detail17trampoline_kernelINS0_14default_configENS1_25partition_config_selectorILNS1_17partition_subalgoE1EsNS0_10empty_typeEbEEZZNS1_14partition_implILS5_1ELb0ES3_jN6thrust23THRUST_200600_302600_NS6detail15normal_iteratorINSA_10device_ptrIsEEEEPS6_NSA_18transform_iteratorI7is_evenIsESF_NSA_11use_defaultESK_EENS0_5tupleIJSF_SF_EEENSM_IJSG_SG_EEES6_PlJS6_EEE10hipError_tPvRmT3_T4_T5_T6_T7_T9_mT8_P12ihipStream_tbDpT10_ENKUlT_T0_E_clISt17integral_constantIbLb1EES19_EEDaS14_S15_EUlS14_E_NS1_11comp_targetILNS1_3genE3ELNS1_11target_archE908ELNS1_3gpuE7ELNS1_3repE0EEENS1_30default_config_static_selectorELNS0_4arch9wavefront6targetE1EEEvT1_
		.amdhsa_group_segment_fixed_size 0
		.amdhsa_private_segment_fixed_size 0
		.amdhsa_kernarg_size 144
		.amdhsa_user_sgpr_count 6
		.amdhsa_user_sgpr_private_segment_buffer 1
		.amdhsa_user_sgpr_dispatch_ptr 0
		.amdhsa_user_sgpr_queue_ptr 0
		.amdhsa_user_sgpr_kernarg_segment_ptr 1
		.amdhsa_user_sgpr_dispatch_id 0
		.amdhsa_user_sgpr_flat_scratch_init 0
		.amdhsa_user_sgpr_kernarg_preload_length 0
		.amdhsa_user_sgpr_kernarg_preload_offset 0
		.amdhsa_user_sgpr_private_segment_size 0
		.amdhsa_uses_dynamic_stack 0
		.amdhsa_system_sgpr_private_segment_wavefront_offset 0
		.amdhsa_system_sgpr_workgroup_id_x 1
		.amdhsa_system_sgpr_workgroup_id_y 0
		.amdhsa_system_sgpr_workgroup_id_z 0
		.amdhsa_system_sgpr_workgroup_info 0
		.amdhsa_system_vgpr_workitem_id 0
		.amdhsa_next_free_vgpr 1
		.amdhsa_next_free_sgpr 0
		.amdhsa_accum_offset 4
		.amdhsa_reserve_vcc 0
		.amdhsa_reserve_flat_scratch 0
		.amdhsa_float_round_mode_32 0
		.amdhsa_float_round_mode_16_64 0
		.amdhsa_float_denorm_mode_32 3
		.amdhsa_float_denorm_mode_16_64 3
		.amdhsa_dx10_clamp 1
		.amdhsa_ieee_mode 1
		.amdhsa_fp16_overflow 0
		.amdhsa_tg_split 0
		.amdhsa_exception_fp_ieee_invalid_op 0
		.amdhsa_exception_fp_denorm_src 0
		.amdhsa_exception_fp_ieee_div_zero 0
		.amdhsa_exception_fp_ieee_overflow 0
		.amdhsa_exception_fp_ieee_underflow 0
		.amdhsa_exception_fp_ieee_inexact 0
		.amdhsa_exception_int_div_zero 0
	.end_amdhsa_kernel
	.section	.text._ZN7rocprim17ROCPRIM_400000_NS6detail17trampoline_kernelINS0_14default_configENS1_25partition_config_selectorILNS1_17partition_subalgoE1EsNS0_10empty_typeEbEEZZNS1_14partition_implILS5_1ELb0ES3_jN6thrust23THRUST_200600_302600_NS6detail15normal_iteratorINSA_10device_ptrIsEEEEPS6_NSA_18transform_iteratorI7is_evenIsESF_NSA_11use_defaultESK_EENS0_5tupleIJSF_SF_EEENSM_IJSG_SG_EEES6_PlJS6_EEE10hipError_tPvRmT3_T4_T5_T6_T7_T9_mT8_P12ihipStream_tbDpT10_ENKUlT_T0_E_clISt17integral_constantIbLb1EES19_EEDaS14_S15_EUlS14_E_NS1_11comp_targetILNS1_3genE3ELNS1_11target_archE908ELNS1_3gpuE7ELNS1_3repE0EEENS1_30default_config_static_selectorELNS0_4arch9wavefront6targetE1EEEvT1_,"axG",@progbits,_ZN7rocprim17ROCPRIM_400000_NS6detail17trampoline_kernelINS0_14default_configENS1_25partition_config_selectorILNS1_17partition_subalgoE1EsNS0_10empty_typeEbEEZZNS1_14partition_implILS5_1ELb0ES3_jN6thrust23THRUST_200600_302600_NS6detail15normal_iteratorINSA_10device_ptrIsEEEEPS6_NSA_18transform_iteratorI7is_evenIsESF_NSA_11use_defaultESK_EENS0_5tupleIJSF_SF_EEENSM_IJSG_SG_EEES6_PlJS6_EEE10hipError_tPvRmT3_T4_T5_T6_T7_T9_mT8_P12ihipStream_tbDpT10_ENKUlT_T0_E_clISt17integral_constantIbLb1EES19_EEDaS14_S15_EUlS14_E_NS1_11comp_targetILNS1_3genE3ELNS1_11target_archE908ELNS1_3gpuE7ELNS1_3repE0EEENS1_30default_config_static_selectorELNS0_4arch9wavefront6targetE1EEEvT1_,comdat
.Lfunc_end460:
	.size	_ZN7rocprim17ROCPRIM_400000_NS6detail17trampoline_kernelINS0_14default_configENS1_25partition_config_selectorILNS1_17partition_subalgoE1EsNS0_10empty_typeEbEEZZNS1_14partition_implILS5_1ELb0ES3_jN6thrust23THRUST_200600_302600_NS6detail15normal_iteratorINSA_10device_ptrIsEEEEPS6_NSA_18transform_iteratorI7is_evenIsESF_NSA_11use_defaultESK_EENS0_5tupleIJSF_SF_EEENSM_IJSG_SG_EEES6_PlJS6_EEE10hipError_tPvRmT3_T4_T5_T6_T7_T9_mT8_P12ihipStream_tbDpT10_ENKUlT_T0_E_clISt17integral_constantIbLb1EES19_EEDaS14_S15_EUlS14_E_NS1_11comp_targetILNS1_3genE3ELNS1_11target_archE908ELNS1_3gpuE7ELNS1_3repE0EEENS1_30default_config_static_selectorELNS0_4arch9wavefront6targetE1EEEvT1_, .Lfunc_end460-_ZN7rocprim17ROCPRIM_400000_NS6detail17trampoline_kernelINS0_14default_configENS1_25partition_config_selectorILNS1_17partition_subalgoE1EsNS0_10empty_typeEbEEZZNS1_14partition_implILS5_1ELb0ES3_jN6thrust23THRUST_200600_302600_NS6detail15normal_iteratorINSA_10device_ptrIsEEEEPS6_NSA_18transform_iteratorI7is_evenIsESF_NSA_11use_defaultESK_EENS0_5tupleIJSF_SF_EEENSM_IJSG_SG_EEES6_PlJS6_EEE10hipError_tPvRmT3_T4_T5_T6_T7_T9_mT8_P12ihipStream_tbDpT10_ENKUlT_T0_E_clISt17integral_constantIbLb1EES19_EEDaS14_S15_EUlS14_E_NS1_11comp_targetILNS1_3genE3ELNS1_11target_archE908ELNS1_3gpuE7ELNS1_3repE0EEENS1_30default_config_static_selectorELNS0_4arch9wavefront6targetE1EEEvT1_
                                        ; -- End function
	.section	.AMDGPU.csdata,"",@progbits
; Kernel info:
; codeLenInByte = 0
; NumSgprs: 4
; NumVgprs: 0
; NumAgprs: 0
; TotalNumVgprs: 0
; ScratchSize: 0
; MemoryBound: 0
; FloatMode: 240
; IeeeMode: 1
; LDSByteSize: 0 bytes/workgroup (compile time only)
; SGPRBlocks: 0
; VGPRBlocks: 0
; NumSGPRsForWavesPerEU: 4
; NumVGPRsForWavesPerEU: 1
; AccumOffset: 4
; Occupancy: 8
; WaveLimiterHint : 0
; COMPUTE_PGM_RSRC2:SCRATCH_EN: 0
; COMPUTE_PGM_RSRC2:USER_SGPR: 6
; COMPUTE_PGM_RSRC2:TRAP_HANDLER: 0
; COMPUTE_PGM_RSRC2:TGID_X_EN: 1
; COMPUTE_PGM_RSRC2:TGID_Y_EN: 0
; COMPUTE_PGM_RSRC2:TGID_Z_EN: 0
; COMPUTE_PGM_RSRC2:TIDIG_COMP_CNT: 0
; COMPUTE_PGM_RSRC3_GFX90A:ACCUM_OFFSET: 0
; COMPUTE_PGM_RSRC3_GFX90A:TG_SPLIT: 0
	.section	.text._ZN7rocprim17ROCPRIM_400000_NS6detail17trampoline_kernelINS0_14default_configENS1_25partition_config_selectorILNS1_17partition_subalgoE1EsNS0_10empty_typeEbEEZZNS1_14partition_implILS5_1ELb0ES3_jN6thrust23THRUST_200600_302600_NS6detail15normal_iteratorINSA_10device_ptrIsEEEEPS6_NSA_18transform_iteratorI7is_evenIsESF_NSA_11use_defaultESK_EENS0_5tupleIJSF_SF_EEENSM_IJSG_SG_EEES6_PlJS6_EEE10hipError_tPvRmT3_T4_T5_T6_T7_T9_mT8_P12ihipStream_tbDpT10_ENKUlT_T0_E_clISt17integral_constantIbLb1EES19_EEDaS14_S15_EUlS14_E_NS1_11comp_targetILNS1_3genE2ELNS1_11target_archE906ELNS1_3gpuE6ELNS1_3repE0EEENS1_30default_config_static_selectorELNS0_4arch9wavefront6targetE1EEEvT1_,"axG",@progbits,_ZN7rocprim17ROCPRIM_400000_NS6detail17trampoline_kernelINS0_14default_configENS1_25partition_config_selectorILNS1_17partition_subalgoE1EsNS0_10empty_typeEbEEZZNS1_14partition_implILS5_1ELb0ES3_jN6thrust23THRUST_200600_302600_NS6detail15normal_iteratorINSA_10device_ptrIsEEEEPS6_NSA_18transform_iteratorI7is_evenIsESF_NSA_11use_defaultESK_EENS0_5tupleIJSF_SF_EEENSM_IJSG_SG_EEES6_PlJS6_EEE10hipError_tPvRmT3_T4_T5_T6_T7_T9_mT8_P12ihipStream_tbDpT10_ENKUlT_T0_E_clISt17integral_constantIbLb1EES19_EEDaS14_S15_EUlS14_E_NS1_11comp_targetILNS1_3genE2ELNS1_11target_archE906ELNS1_3gpuE6ELNS1_3repE0EEENS1_30default_config_static_selectorELNS0_4arch9wavefront6targetE1EEEvT1_,comdat
	.protected	_ZN7rocprim17ROCPRIM_400000_NS6detail17trampoline_kernelINS0_14default_configENS1_25partition_config_selectorILNS1_17partition_subalgoE1EsNS0_10empty_typeEbEEZZNS1_14partition_implILS5_1ELb0ES3_jN6thrust23THRUST_200600_302600_NS6detail15normal_iteratorINSA_10device_ptrIsEEEEPS6_NSA_18transform_iteratorI7is_evenIsESF_NSA_11use_defaultESK_EENS0_5tupleIJSF_SF_EEENSM_IJSG_SG_EEES6_PlJS6_EEE10hipError_tPvRmT3_T4_T5_T6_T7_T9_mT8_P12ihipStream_tbDpT10_ENKUlT_T0_E_clISt17integral_constantIbLb1EES19_EEDaS14_S15_EUlS14_E_NS1_11comp_targetILNS1_3genE2ELNS1_11target_archE906ELNS1_3gpuE6ELNS1_3repE0EEENS1_30default_config_static_selectorELNS0_4arch9wavefront6targetE1EEEvT1_ ; -- Begin function _ZN7rocprim17ROCPRIM_400000_NS6detail17trampoline_kernelINS0_14default_configENS1_25partition_config_selectorILNS1_17partition_subalgoE1EsNS0_10empty_typeEbEEZZNS1_14partition_implILS5_1ELb0ES3_jN6thrust23THRUST_200600_302600_NS6detail15normal_iteratorINSA_10device_ptrIsEEEEPS6_NSA_18transform_iteratorI7is_evenIsESF_NSA_11use_defaultESK_EENS0_5tupleIJSF_SF_EEENSM_IJSG_SG_EEES6_PlJS6_EEE10hipError_tPvRmT3_T4_T5_T6_T7_T9_mT8_P12ihipStream_tbDpT10_ENKUlT_T0_E_clISt17integral_constantIbLb1EES19_EEDaS14_S15_EUlS14_E_NS1_11comp_targetILNS1_3genE2ELNS1_11target_archE906ELNS1_3gpuE6ELNS1_3repE0EEENS1_30default_config_static_selectorELNS0_4arch9wavefront6targetE1EEEvT1_
	.globl	_ZN7rocprim17ROCPRIM_400000_NS6detail17trampoline_kernelINS0_14default_configENS1_25partition_config_selectorILNS1_17partition_subalgoE1EsNS0_10empty_typeEbEEZZNS1_14partition_implILS5_1ELb0ES3_jN6thrust23THRUST_200600_302600_NS6detail15normal_iteratorINSA_10device_ptrIsEEEEPS6_NSA_18transform_iteratorI7is_evenIsESF_NSA_11use_defaultESK_EENS0_5tupleIJSF_SF_EEENSM_IJSG_SG_EEES6_PlJS6_EEE10hipError_tPvRmT3_T4_T5_T6_T7_T9_mT8_P12ihipStream_tbDpT10_ENKUlT_T0_E_clISt17integral_constantIbLb1EES19_EEDaS14_S15_EUlS14_E_NS1_11comp_targetILNS1_3genE2ELNS1_11target_archE906ELNS1_3gpuE6ELNS1_3repE0EEENS1_30default_config_static_selectorELNS0_4arch9wavefront6targetE1EEEvT1_
	.p2align	8
	.type	_ZN7rocprim17ROCPRIM_400000_NS6detail17trampoline_kernelINS0_14default_configENS1_25partition_config_selectorILNS1_17partition_subalgoE1EsNS0_10empty_typeEbEEZZNS1_14partition_implILS5_1ELb0ES3_jN6thrust23THRUST_200600_302600_NS6detail15normal_iteratorINSA_10device_ptrIsEEEEPS6_NSA_18transform_iteratorI7is_evenIsESF_NSA_11use_defaultESK_EENS0_5tupleIJSF_SF_EEENSM_IJSG_SG_EEES6_PlJS6_EEE10hipError_tPvRmT3_T4_T5_T6_T7_T9_mT8_P12ihipStream_tbDpT10_ENKUlT_T0_E_clISt17integral_constantIbLb1EES19_EEDaS14_S15_EUlS14_E_NS1_11comp_targetILNS1_3genE2ELNS1_11target_archE906ELNS1_3gpuE6ELNS1_3repE0EEENS1_30default_config_static_selectorELNS0_4arch9wavefront6targetE1EEEvT1_,@function
_ZN7rocprim17ROCPRIM_400000_NS6detail17trampoline_kernelINS0_14default_configENS1_25partition_config_selectorILNS1_17partition_subalgoE1EsNS0_10empty_typeEbEEZZNS1_14partition_implILS5_1ELb0ES3_jN6thrust23THRUST_200600_302600_NS6detail15normal_iteratorINSA_10device_ptrIsEEEEPS6_NSA_18transform_iteratorI7is_evenIsESF_NSA_11use_defaultESK_EENS0_5tupleIJSF_SF_EEENSM_IJSG_SG_EEES6_PlJS6_EEE10hipError_tPvRmT3_T4_T5_T6_T7_T9_mT8_P12ihipStream_tbDpT10_ENKUlT_T0_E_clISt17integral_constantIbLb1EES19_EEDaS14_S15_EUlS14_E_NS1_11comp_targetILNS1_3genE2ELNS1_11target_archE906ELNS1_3gpuE6ELNS1_3repE0EEENS1_30default_config_static_selectorELNS0_4arch9wavefront6targetE1EEEvT1_: ; @_ZN7rocprim17ROCPRIM_400000_NS6detail17trampoline_kernelINS0_14default_configENS1_25partition_config_selectorILNS1_17partition_subalgoE1EsNS0_10empty_typeEbEEZZNS1_14partition_implILS5_1ELb0ES3_jN6thrust23THRUST_200600_302600_NS6detail15normal_iteratorINSA_10device_ptrIsEEEEPS6_NSA_18transform_iteratorI7is_evenIsESF_NSA_11use_defaultESK_EENS0_5tupleIJSF_SF_EEENSM_IJSG_SG_EEES6_PlJS6_EEE10hipError_tPvRmT3_T4_T5_T6_T7_T9_mT8_P12ihipStream_tbDpT10_ENKUlT_T0_E_clISt17integral_constantIbLb1EES19_EEDaS14_S15_EUlS14_E_NS1_11comp_targetILNS1_3genE2ELNS1_11target_archE906ELNS1_3gpuE6ELNS1_3repE0EEENS1_30default_config_static_selectorELNS0_4arch9wavefront6targetE1EEEvT1_
; %bb.0:
	.section	.rodata,"a",@progbits
	.p2align	6, 0x0
	.amdhsa_kernel _ZN7rocprim17ROCPRIM_400000_NS6detail17trampoline_kernelINS0_14default_configENS1_25partition_config_selectorILNS1_17partition_subalgoE1EsNS0_10empty_typeEbEEZZNS1_14partition_implILS5_1ELb0ES3_jN6thrust23THRUST_200600_302600_NS6detail15normal_iteratorINSA_10device_ptrIsEEEEPS6_NSA_18transform_iteratorI7is_evenIsESF_NSA_11use_defaultESK_EENS0_5tupleIJSF_SF_EEENSM_IJSG_SG_EEES6_PlJS6_EEE10hipError_tPvRmT3_T4_T5_T6_T7_T9_mT8_P12ihipStream_tbDpT10_ENKUlT_T0_E_clISt17integral_constantIbLb1EES19_EEDaS14_S15_EUlS14_E_NS1_11comp_targetILNS1_3genE2ELNS1_11target_archE906ELNS1_3gpuE6ELNS1_3repE0EEENS1_30default_config_static_selectorELNS0_4arch9wavefront6targetE1EEEvT1_
		.amdhsa_group_segment_fixed_size 0
		.amdhsa_private_segment_fixed_size 0
		.amdhsa_kernarg_size 144
		.amdhsa_user_sgpr_count 6
		.amdhsa_user_sgpr_private_segment_buffer 1
		.amdhsa_user_sgpr_dispatch_ptr 0
		.amdhsa_user_sgpr_queue_ptr 0
		.amdhsa_user_sgpr_kernarg_segment_ptr 1
		.amdhsa_user_sgpr_dispatch_id 0
		.amdhsa_user_sgpr_flat_scratch_init 0
		.amdhsa_user_sgpr_kernarg_preload_length 0
		.amdhsa_user_sgpr_kernarg_preload_offset 0
		.amdhsa_user_sgpr_private_segment_size 0
		.amdhsa_uses_dynamic_stack 0
		.amdhsa_system_sgpr_private_segment_wavefront_offset 0
		.amdhsa_system_sgpr_workgroup_id_x 1
		.amdhsa_system_sgpr_workgroup_id_y 0
		.amdhsa_system_sgpr_workgroup_id_z 0
		.amdhsa_system_sgpr_workgroup_info 0
		.amdhsa_system_vgpr_workitem_id 0
		.amdhsa_next_free_vgpr 1
		.amdhsa_next_free_sgpr 0
		.amdhsa_accum_offset 4
		.amdhsa_reserve_vcc 0
		.amdhsa_reserve_flat_scratch 0
		.amdhsa_float_round_mode_32 0
		.amdhsa_float_round_mode_16_64 0
		.amdhsa_float_denorm_mode_32 3
		.amdhsa_float_denorm_mode_16_64 3
		.amdhsa_dx10_clamp 1
		.amdhsa_ieee_mode 1
		.amdhsa_fp16_overflow 0
		.amdhsa_tg_split 0
		.amdhsa_exception_fp_ieee_invalid_op 0
		.amdhsa_exception_fp_denorm_src 0
		.amdhsa_exception_fp_ieee_div_zero 0
		.amdhsa_exception_fp_ieee_overflow 0
		.amdhsa_exception_fp_ieee_underflow 0
		.amdhsa_exception_fp_ieee_inexact 0
		.amdhsa_exception_int_div_zero 0
	.end_amdhsa_kernel
	.section	.text._ZN7rocprim17ROCPRIM_400000_NS6detail17trampoline_kernelINS0_14default_configENS1_25partition_config_selectorILNS1_17partition_subalgoE1EsNS0_10empty_typeEbEEZZNS1_14partition_implILS5_1ELb0ES3_jN6thrust23THRUST_200600_302600_NS6detail15normal_iteratorINSA_10device_ptrIsEEEEPS6_NSA_18transform_iteratorI7is_evenIsESF_NSA_11use_defaultESK_EENS0_5tupleIJSF_SF_EEENSM_IJSG_SG_EEES6_PlJS6_EEE10hipError_tPvRmT3_T4_T5_T6_T7_T9_mT8_P12ihipStream_tbDpT10_ENKUlT_T0_E_clISt17integral_constantIbLb1EES19_EEDaS14_S15_EUlS14_E_NS1_11comp_targetILNS1_3genE2ELNS1_11target_archE906ELNS1_3gpuE6ELNS1_3repE0EEENS1_30default_config_static_selectorELNS0_4arch9wavefront6targetE1EEEvT1_,"axG",@progbits,_ZN7rocprim17ROCPRIM_400000_NS6detail17trampoline_kernelINS0_14default_configENS1_25partition_config_selectorILNS1_17partition_subalgoE1EsNS0_10empty_typeEbEEZZNS1_14partition_implILS5_1ELb0ES3_jN6thrust23THRUST_200600_302600_NS6detail15normal_iteratorINSA_10device_ptrIsEEEEPS6_NSA_18transform_iteratorI7is_evenIsESF_NSA_11use_defaultESK_EENS0_5tupleIJSF_SF_EEENSM_IJSG_SG_EEES6_PlJS6_EEE10hipError_tPvRmT3_T4_T5_T6_T7_T9_mT8_P12ihipStream_tbDpT10_ENKUlT_T0_E_clISt17integral_constantIbLb1EES19_EEDaS14_S15_EUlS14_E_NS1_11comp_targetILNS1_3genE2ELNS1_11target_archE906ELNS1_3gpuE6ELNS1_3repE0EEENS1_30default_config_static_selectorELNS0_4arch9wavefront6targetE1EEEvT1_,comdat
.Lfunc_end461:
	.size	_ZN7rocprim17ROCPRIM_400000_NS6detail17trampoline_kernelINS0_14default_configENS1_25partition_config_selectorILNS1_17partition_subalgoE1EsNS0_10empty_typeEbEEZZNS1_14partition_implILS5_1ELb0ES3_jN6thrust23THRUST_200600_302600_NS6detail15normal_iteratorINSA_10device_ptrIsEEEEPS6_NSA_18transform_iteratorI7is_evenIsESF_NSA_11use_defaultESK_EENS0_5tupleIJSF_SF_EEENSM_IJSG_SG_EEES6_PlJS6_EEE10hipError_tPvRmT3_T4_T5_T6_T7_T9_mT8_P12ihipStream_tbDpT10_ENKUlT_T0_E_clISt17integral_constantIbLb1EES19_EEDaS14_S15_EUlS14_E_NS1_11comp_targetILNS1_3genE2ELNS1_11target_archE906ELNS1_3gpuE6ELNS1_3repE0EEENS1_30default_config_static_selectorELNS0_4arch9wavefront6targetE1EEEvT1_, .Lfunc_end461-_ZN7rocprim17ROCPRIM_400000_NS6detail17trampoline_kernelINS0_14default_configENS1_25partition_config_selectorILNS1_17partition_subalgoE1EsNS0_10empty_typeEbEEZZNS1_14partition_implILS5_1ELb0ES3_jN6thrust23THRUST_200600_302600_NS6detail15normal_iteratorINSA_10device_ptrIsEEEEPS6_NSA_18transform_iteratorI7is_evenIsESF_NSA_11use_defaultESK_EENS0_5tupleIJSF_SF_EEENSM_IJSG_SG_EEES6_PlJS6_EEE10hipError_tPvRmT3_T4_T5_T6_T7_T9_mT8_P12ihipStream_tbDpT10_ENKUlT_T0_E_clISt17integral_constantIbLb1EES19_EEDaS14_S15_EUlS14_E_NS1_11comp_targetILNS1_3genE2ELNS1_11target_archE906ELNS1_3gpuE6ELNS1_3repE0EEENS1_30default_config_static_selectorELNS0_4arch9wavefront6targetE1EEEvT1_
                                        ; -- End function
	.section	.AMDGPU.csdata,"",@progbits
; Kernel info:
; codeLenInByte = 0
; NumSgprs: 4
; NumVgprs: 0
; NumAgprs: 0
; TotalNumVgprs: 0
; ScratchSize: 0
; MemoryBound: 0
; FloatMode: 240
; IeeeMode: 1
; LDSByteSize: 0 bytes/workgroup (compile time only)
; SGPRBlocks: 0
; VGPRBlocks: 0
; NumSGPRsForWavesPerEU: 4
; NumVGPRsForWavesPerEU: 1
; AccumOffset: 4
; Occupancy: 8
; WaveLimiterHint : 0
; COMPUTE_PGM_RSRC2:SCRATCH_EN: 0
; COMPUTE_PGM_RSRC2:USER_SGPR: 6
; COMPUTE_PGM_RSRC2:TRAP_HANDLER: 0
; COMPUTE_PGM_RSRC2:TGID_X_EN: 1
; COMPUTE_PGM_RSRC2:TGID_Y_EN: 0
; COMPUTE_PGM_RSRC2:TGID_Z_EN: 0
; COMPUTE_PGM_RSRC2:TIDIG_COMP_CNT: 0
; COMPUTE_PGM_RSRC3_GFX90A:ACCUM_OFFSET: 0
; COMPUTE_PGM_RSRC3_GFX90A:TG_SPLIT: 0
	.section	.text._ZN7rocprim17ROCPRIM_400000_NS6detail17trampoline_kernelINS0_14default_configENS1_25partition_config_selectorILNS1_17partition_subalgoE1EsNS0_10empty_typeEbEEZZNS1_14partition_implILS5_1ELb0ES3_jN6thrust23THRUST_200600_302600_NS6detail15normal_iteratorINSA_10device_ptrIsEEEEPS6_NSA_18transform_iteratorI7is_evenIsESF_NSA_11use_defaultESK_EENS0_5tupleIJSF_SF_EEENSM_IJSG_SG_EEES6_PlJS6_EEE10hipError_tPvRmT3_T4_T5_T6_T7_T9_mT8_P12ihipStream_tbDpT10_ENKUlT_T0_E_clISt17integral_constantIbLb1EES19_EEDaS14_S15_EUlS14_E_NS1_11comp_targetILNS1_3genE10ELNS1_11target_archE1200ELNS1_3gpuE4ELNS1_3repE0EEENS1_30default_config_static_selectorELNS0_4arch9wavefront6targetE1EEEvT1_,"axG",@progbits,_ZN7rocprim17ROCPRIM_400000_NS6detail17trampoline_kernelINS0_14default_configENS1_25partition_config_selectorILNS1_17partition_subalgoE1EsNS0_10empty_typeEbEEZZNS1_14partition_implILS5_1ELb0ES3_jN6thrust23THRUST_200600_302600_NS6detail15normal_iteratorINSA_10device_ptrIsEEEEPS6_NSA_18transform_iteratorI7is_evenIsESF_NSA_11use_defaultESK_EENS0_5tupleIJSF_SF_EEENSM_IJSG_SG_EEES6_PlJS6_EEE10hipError_tPvRmT3_T4_T5_T6_T7_T9_mT8_P12ihipStream_tbDpT10_ENKUlT_T0_E_clISt17integral_constantIbLb1EES19_EEDaS14_S15_EUlS14_E_NS1_11comp_targetILNS1_3genE10ELNS1_11target_archE1200ELNS1_3gpuE4ELNS1_3repE0EEENS1_30default_config_static_selectorELNS0_4arch9wavefront6targetE1EEEvT1_,comdat
	.protected	_ZN7rocprim17ROCPRIM_400000_NS6detail17trampoline_kernelINS0_14default_configENS1_25partition_config_selectorILNS1_17partition_subalgoE1EsNS0_10empty_typeEbEEZZNS1_14partition_implILS5_1ELb0ES3_jN6thrust23THRUST_200600_302600_NS6detail15normal_iteratorINSA_10device_ptrIsEEEEPS6_NSA_18transform_iteratorI7is_evenIsESF_NSA_11use_defaultESK_EENS0_5tupleIJSF_SF_EEENSM_IJSG_SG_EEES6_PlJS6_EEE10hipError_tPvRmT3_T4_T5_T6_T7_T9_mT8_P12ihipStream_tbDpT10_ENKUlT_T0_E_clISt17integral_constantIbLb1EES19_EEDaS14_S15_EUlS14_E_NS1_11comp_targetILNS1_3genE10ELNS1_11target_archE1200ELNS1_3gpuE4ELNS1_3repE0EEENS1_30default_config_static_selectorELNS0_4arch9wavefront6targetE1EEEvT1_ ; -- Begin function _ZN7rocprim17ROCPRIM_400000_NS6detail17trampoline_kernelINS0_14default_configENS1_25partition_config_selectorILNS1_17partition_subalgoE1EsNS0_10empty_typeEbEEZZNS1_14partition_implILS5_1ELb0ES3_jN6thrust23THRUST_200600_302600_NS6detail15normal_iteratorINSA_10device_ptrIsEEEEPS6_NSA_18transform_iteratorI7is_evenIsESF_NSA_11use_defaultESK_EENS0_5tupleIJSF_SF_EEENSM_IJSG_SG_EEES6_PlJS6_EEE10hipError_tPvRmT3_T4_T5_T6_T7_T9_mT8_P12ihipStream_tbDpT10_ENKUlT_T0_E_clISt17integral_constantIbLb1EES19_EEDaS14_S15_EUlS14_E_NS1_11comp_targetILNS1_3genE10ELNS1_11target_archE1200ELNS1_3gpuE4ELNS1_3repE0EEENS1_30default_config_static_selectorELNS0_4arch9wavefront6targetE1EEEvT1_
	.globl	_ZN7rocprim17ROCPRIM_400000_NS6detail17trampoline_kernelINS0_14default_configENS1_25partition_config_selectorILNS1_17partition_subalgoE1EsNS0_10empty_typeEbEEZZNS1_14partition_implILS5_1ELb0ES3_jN6thrust23THRUST_200600_302600_NS6detail15normal_iteratorINSA_10device_ptrIsEEEEPS6_NSA_18transform_iteratorI7is_evenIsESF_NSA_11use_defaultESK_EENS0_5tupleIJSF_SF_EEENSM_IJSG_SG_EEES6_PlJS6_EEE10hipError_tPvRmT3_T4_T5_T6_T7_T9_mT8_P12ihipStream_tbDpT10_ENKUlT_T0_E_clISt17integral_constantIbLb1EES19_EEDaS14_S15_EUlS14_E_NS1_11comp_targetILNS1_3genE10ELNS1_11target_archE1200ELNS1_3gpuE4ELNS1_3repE0EEENS1_30default_config_static_selectorELNS0_4arch9wavefront6targetE1EEEvT1_
	.p2align	8
	.type	_ZN7rocprim17ROCPRIM_400000_NS6detail17trampoline_kernelINS0_14default_configENS1_25partition_config_selectorILNS1_17partition_subalgoE1EsNS0_10empty_typeEbEEZZNS1_14partition_implILS5_1ELb0ES3_jN6thrust23THRUST_200600_302600_NS6detail15normal_iteratorINSA_10device_ptrIsEEEEPS6_NSA_18transform_iteratorI7is_evenIsESF_NSA_11use_defaultESK_EENS0_5tupleIJSF_SF_EEENSM_IJSG_SG_EEES6_PlJS6_EEE10hipError_tPvRmT3_T4_T5_T6_T7_T9_mT8_P12ihipStream_tbDpT10_ENKUlT_T0_E_clISt17integral_constantIbLb1EES19_EEDaS14_S15_EUlS14_E_NS1_11comp_targetILNS1_3genE10ELNS1_11target_archE1200ELNS1_3gpuE4ELNS1_3repE0EEENS1_30default_config_static_selectorELNS0_4arch9wavefront6targetE1EEEvT1_,@function
_ZN7rocprim17ROCPRIM_400000_NS6detail17trampoline_kernelINS0_14default_configENS1_25partition_config_selectorILNS1_17partition_subalgoE1EsNS0_10empty_typeEbEEZZNS1_14partition_implILS5_1ELb0ES3_jN6thrust23THRUST_200600_302600_NS6detail15normal_iteratorINSA_10device_ptrIsEEEEPS6_NSA_18transform_iteratorI7is_evenIsESF_NSA_11use_defaultESK_EENS0_5tupleIJSF_SF_EEENSM_IJSG_SG_EEES6_PlJS6_EEE10hipError_tPvRmT3_T4_T5_T6_T7_T9_mT8_P12ihipStream_tbDpT10_ENKUlT_T0_E_clISt17integral_constantIbLb1EES19_EEDaS14_S15_EUlS14_E_NS1_11comp_targetILNS1_3genE10ELNS1_11target_archE1200ELNS1_3gpuE4ELNS1_3repE0EEENS1_30default_config_static_selectorELNS0_4arch9wavefront6targetE1EEEvT1_: ; @_ZN7rocprim17ROCPRIM_400000_NS6detail17trampoline_kernelINS0_14default_configENS1_25partition_config_selectorILNS1_17partition_subalgoE1EsNS0_10empty_typeEbEEZZNS1_14partition_implILS5_1ELb0ES3_jN6thrust23THRUST_200600_302600_NS6detail15normal_iteratorINSA_10device_ptrIsEEEEPS6_NSA_18transform_iteratorI7is_evenIsESF_NSA_11use_defaultESK_EENS0_5tupleIJSF_SF_EEENSM_IJSG_SG_EEES6_PlJS6_EEE10hipError_tPvRmT3_T4_T5_T6_T7_T9_mT8_P12ihipStream_tbDpT10_ENKUlT_T0_E_clISt17integral_constantIbLb1EES19_EEDaS14_S15_EUlS14_E_NS1_11comp_targetILNS1_3genE10ELNS1_11target_archE1200ELNS1_3gpuE4ELNS1_3repE0EEENS1_30default_config_static_selectorELNS0_4arch9wavefront6targetE1EEEvT1_
; %bb.0:
	.section	.rodata,"a",@progbits
	.p2align	6, 0x0
	.amdhsa_kernel _ZN7rocprim17ROCPRIM_400000_NS6detail17trampoline_kernelINS0_14default_configENS1_25partition_config_selectorILNS1_17partition_subalgoE1EsNS0_10empty_typeEbEEZZNS1_14partition_implILS5_1ELb0ES3_jN6thrust23THRUST_200600_302600_NS6detail15normal_iteratorINSA_10device_ptrIsEEEEPS6_NSA_18transform_iteratorI7is_evenIsESF_NSA_11use_defaultESK_EENS0_5tupleIJSF_SF_EEENSM_IJSG_SG_EEES6_PlJS6_EEE10hipError_tPvRmT3_T4_T5_T6_T7_T9_mT8_P12ihipStream_tbDpT10_ENKUlT_T0_E_clISt17integral_constantIbLb1EES19_EEDaS14_S15_EUlS14_E_NS1_11comp_targetILNS1_3genE10ELNS1_11target_archE1200ELNS1_3gpuE4ELNS1_3repE0EEENS1_30default_config_static_selectorELNS0_4arch9wavefront6targetE1EEEvT1_
		.amdhsa_group_segment_fixed_size 0
		.amdhsa_private_segment_fixed_size 0
		.amdhsa_kernarg_size 144
		.amdhsa_user_sgpr_count 6
		.amdhsa_user_sgpr_private_segment_buffer 1
		.amdhsa_user_sgpr_dispatch_ptr 0
		.amdhsa_user_sgpr_queue_ptr 0
		.amdhsa_user_sgpr_kernarg_segment_ptr 1
		.amdhsa_user_sgpr_dispatch_id 0
		.amdhsa_user_sgpr_flat_scratch_init 0
		.amdhsa_user_sgpr_kernarg_preload_length 0
		.amdhsa_user_sgpr_kernarg_preload_offset 0
		.amdhsa_user_sgpr_private_segment_size 0
		.amdhsa_uses_dynamic_stack 0
		.amdhsa_system_sgpr_private_segment_wavefront_offset 0
		.amdhsa_system_sgpr_workgroup_id_x 1
		.amdhsa_system_sgpr_workgroup_id_y 0
		.amdhsa_system_sgpr_workgroup_id_z 0
		.amdhsa_system_sgpr_workgroup_info 0
		.amdhsa_system_vgpr_workitem_id 0
		.amdhsa_next_free_vgpr 1
		.amdhsa_next_free_sgpr 0
		.amdhsa_accum_offset 4
		.amdhsa_reserve_vcc 0
		.amdhsa_reserve_flat_scratch 0
		.amdhsa_float_round_mode_32 0
		.amdhsa_float_round_mode_16_64 0
		.amdhsa_float_denorm_mode_32 3
		.amdhsa_float_denorm_mode_16_64 3
		.amdhsa_dx10_clamp 1
		.amdhsa_ieee_mode 1
		.amdhsa_fp16_overflow 0
		.amdhsa_tg_split 0
		.amdhsa_exception_fp_ieee_invalid_op 0
		.amdhsa_exception_fp_denorm_src 0
		.amdhsa_exception_fp_ieee_div_zero 0
		.amdhsa_exception_fp_ieee_overflow 0
		.amdhsa_exception_fp_ieee_underflow 0
		.amdhsa_exception_fp_ieee_inexact 0
		.amdhsa_exception_int_div_zero 0
	.end_amdhsa_kernel
	.section	.text._ZN7rocprim17ROCPRIM_400000_NS6detail17trampoline_kernelINS0_14default_configENS1_25partition_config_selectorILNS1_17partition_subalgoE1EsNS0_10empty_typeEbEEZZNS1_14partition_implILS5_1ELb0ES3_jN6thrust23THRUST_200600_302600_NS6detail15normal_iteratorINSA_10device_ptrIsEEEEPS6_NSA_18transform_iteratorI7is_evenIsESF_NSA_11use_defaultESK_EENS0_5tupleIJSF_SF_EEENSM_IJSG_SG_EEES6_PlJS6_EEE10hipError_tPvRmT3_T4_T5_T6_T7_T9_mT8_P12ihipStream_tbDpT10_ENKUlT_T0_E_clISt17integral_constantIbLb1EES19_EEDaS14_S15_EUlS14_E_NS1_11comp_targetILNS1_3genE10ELNS1_11target_archE1200ELNS1_3gpuE4ELNS1_3repE0EEENS1_30default_config_static_selectorELNS0_4arch9wavefront6targetE1EEEvT1_,"axG",@progbits,_ZN7rocprim17ROCPRIM_400000_NS6detail17trampoline_kernelINS0_14default_configENS1_25partition_config_selectorILNS1_17partition_subalgoE1EsNS0_10empty_typeEbEEZZNS1_14partition_implILS5_1ELb0ES3_jN6thrust23THRUST_200600_302600_NS6detail15normal_iteratorINSA_10device_ptrIsEEEEPS6_NSA_18transform_iteratorI7is_evenIsESF_NSA_11use_defaultESK_EENS0_5tupleIJSF_SF_EEENSM_IJSG_SG_EEES6_PlJS6_EEE10hipError_tPvRmT3_T4_T5_T6_T7_T9_mT8_P12ihipStream_tbDpT10_ENKUlT_T0_E_clISt17integral_constantIbLb1EES19_EEDaS14_S15_EUlS14_E_NS1_11comp_targetILNS1_3genE10ELNS1_11target_archE1200ELNS1_3gpuE4ELNS1_3repE0EEENS1_30default_config_static_selectorELNS0_4arch9wavefront6targetE1EEEvT1_,comdat
.Lfunc_end462:
	.size	_ZN7rocprim17ROCPRIM_400000_NS6detail17trampoline_kernelINS0_14default_configENS1_25partition_config_selectorILNS1_17partition_subalgoE1EsNS0_10empty_typeEbEEZZNS1_14partition_implILS5_1ELb0ES3_jN6thrust23THRUST_200600_302600_NS6detail15normal_iteratorINSA_10device_ptrIsEEEEPS6_NSA_18transform_iteratorI7is_evenIsESF_NSA_11use_defaultESK_EENS0_5tupleIJSF_SF_EEENSM_IJSG_SG_EEES6_PlJS6_EEE10hipError_tPvRmT3_T4_T5_T6_T7_T9_mT8_P12ihipStream_tbDpT10_ENKUlT_T0_E_clISt17integral_constantIbLb1EES19_EEDaS14_S15_EUlS14_E_NS1_11comp_targetILNS1_3genE10ELNS1_11target_archE1200ELNS1_3gpuE4ELNS1_3repE0EEENS1_30default_config_static_selectorELNS0_4arch9wavefront6targetE1EEEvT1_, .Lfunc_end462-_ZN7rocprim17ROCPRIM_400000_NS6detail17trampoline_kernelINS0_14default_configENS1_25partition_config_selectorILNS1_17partition_subalgoE1EsNS0_10empty_typeEbEEZZNS1_14partition_implILS5_1ELb0ES3_jN6thrust23THRUST_200600_302600_NS6detail15normal_iteratorINSA_10device_ptrIsEEEEPS6_NSA_18transform_iteratorI7is_evenIsESF_NSA_11use_defaultESK_EENS0_5tupleIJSF_SF_EEENSM_IJSG_SG_EEES6_PlJS6_EEE10hipError_tPvRmT3_T4_T5_T6_T7_T9_mT8_P12ihipStream_tbDpT10_ENKUlT_T0_E_clISt17integral_constantIbLb1EES19_EEDaS14_S15_EUlS14_E_NS1_11comp_targetILNS1_3genE10ELNS1_11target_archE1200ELNS1_3gpuE4ELNS1_3repE0EEENS1_30default_config_static_selectorELNS0_4arch9wavefront6targetE1EEEvT1_
                                        ; -- End function
	.section	.AMDGPU.csdata,"",@progbits
; Kernel info:
; codeLenInByte = 0
; NumSgprs: 4
; NumVgprs: 0
; NumAgprs: 0
; TotalNumVgprs: 0
; ScratchSize: 0
; MemoryBound: 0
; FloatMode: 240
; IeeeMode: 1
; LDSByteSize: 0 bytes/workgroup (compile time only)
; SGPRBlocks: 0
; VGPRBlocks: 0
; NumSGPRsForWavesPerEU: 4
; NumVGPRsForWavesPerEU: 1
; AccumOffset: 4
; Occupancy: 8
; WaveLimiterHint : 0
; COMPUTE_PGM_RSRC2:SCRATCH_EN: 0
; COMPUTE_PGM_RSRC2:USER_SGPR: 6
; COMPUTE_PGM_RSRC2:TRAP_HANDLER: 0
; COMPUTE_PGM_RSRC2:TGID_X_EN: 1
; COMPUTE_PGM_RSRC2:TGID_Y_EN: 0
; COMPUTE_PGM_RSRC2:TGID_Z_EN: 0
; COMPUTE_PGM_RSRC2:TIDIG_COMP_CNT: 0
; COMPUTE_PGM_RSRC3_GFX90A:ACCUM_OFFSET: 0
; COMPUTE_PGM_RSRC3_GFX90A:TG_SPLIT: 0
	.section	.text._ZN7rocprim17ROCPRIM_400000_NS6detail17trampoline_kernelINS0_14default_configENS1_25partition_config_selectorILNS1_17partition_subalgoE1EsNS0_10empty_typeEbEEZZNS1_14partition_implILS5_1ELb0ES3_jN6thrust23THRUST_200600_302600_NS6detail15normal_iteratorINSA_10device_ptrIsEEEEPS6_NSA_18transform_iteratorI7is_evenIsESF_NSA_11use_defaultESK_EENS0_5tupleIJSF_SF_EEENSM_IJSG_SG_EEES6_PlJS6_EEE10hipError_tPvRmT3_T4_T5_T6_T7_T9_mT8_P12ihipStream_tbDpT10_ENKUlT_T0_E_clISt17integral_constantIbLb1EES19_EEDaS14_S15_EUlS14_E_NS1_11comp_targetILNS1_3genE9ELNS1_11target_archE1100ELNS1_3gpuE3ELNS1_3repE0EEENS1_30default_config_static_selectorELNS0_4arch9wavefront6targetE1EEEvT1_,"axG",@progbits,_ZN7rocprim17ROCPRIM_400000_NS6detail17trampoline_kernelINS0_14default_configENS1_25partition_config_selectorILNS1_17partition_subalgoE1EsNS0_10empty_typeEbEEZZNS1_14partition_implILS5_1ELb0ES3_jN6thrust23THRUST_200600_302600_NS6detail15normal_iteratorINSA_10device_ptrIsEEEEPS6_NSA_18transform_iteratorI7is_evenIsESF_NSA_11use_defaultESK_EENS0_5tupleIJSF_SF_EEENSM_IJSG_SG_EEES6_PlJS6_EEE10hipError_tPvRmT3_T4_T5_T6_T7_T9_mT8_P12ihipStream_tbDpT10_ENKUlT_T0_E_clISt17integral_constantIbLb1EES19_EEDaS14_S15_EUlS14_E_NS1_11comp_targetILNS1_3genE9ELNS1_11target_archE1100ELNS1_3gpuE3ELNS1_3repE0EEENS1_30default_config_static_selectorELNS0_4arch9wavefront6targetE1EEEvT1_,comdat
	.protected	_ZN7rocprim17ROCPRIM_400000_NS6detail17trampoline_kernelINS0_14default_configENS1_25partition_config_selectorILNS1_17partition_subalgoE1EsNS0_10empty_typeEbEEZZNS1_14partition_implILS5_1ELb0ES3_jN6thrust23THRUST_200600_302600_NS6detail15normal_iteratorINSA_10device_ptrIsEEEEPS6_NSA_18transform_iteratorI7is_evenIsESF_NSA_11use_defaultESK_EENS0_5tupleIJSF_SF_EEENSM_IJSG_SG_EEES6_PlJS6_EEE10hipError_tPvRmT3_T4_T5_T6_T7_T9_mT8_P12ihipStream_tbDpT10_ENKUlT_T0_E_clISt17integral_constantIbLb1EES19_EEDaS14_S15_EUlS14_E_NS1_11comp_targetILNS1_3genE9ELNS1_11target_archE1100ELNS1_3gpuE3ELNS1_3repE0EEENS1_30default_config_static_selectorELNS0_4arch9wavefront6targetE1EEEvT1_ ; -- Begin function _ZN7rocprim17ROCPRIM_400000_NS6detail17trampoline_kernelINS0_14default_configENS1_25partition_config_selectorILNS1_17partition_subalgoE1EsNS0_10empty_typeEbEEZZNS1_14partition_implILS5_1ELb0ES3_jN6thrust23THRUST_200600_302600_NS6detail15normal_iteratorINSA_10device_ptrIsEEEEPS6_NSA_18transform_iteratorI7is_evenIsESF_NSA_11use_defaultESK_EENS0_5tupleIJSF_SF_EEENSM_IJSG_SG_EEES6_PlJS6_EEE10hipError_tPvRmT3_T4_T5_T6_T7_T9_mT8_P12ihipStream_tbDpT10_ENKUlT_T0_E_clISt17integral_constantIbLb1EES19_EEDaS14_S15_EUlS14_E_NS1_11comp_targetILNS1_3genE9ELNS1_11target_archE1100ELNS1_3gpuE3ELNS1_3repE0EEENS1_30default_config_static_selectorELNS0_4arch9wavefront6targetE1EEEvT1_
	.globl	_ZN7rocprim17ROCPRIM_400000_NS6detail17trampoline_kernelINS0_14default_configENS1_25partition_config_selectorILNS1_17partition_subalgoE1EsNS0_10empty_typeEbEEZZNS1_14partition_implILS5_1ELb0ES3_jN6thrust23THRUST_200600_302600_NS6detail15normal_iteratorINSA_10device_ptrIsEEEEPS6_NSA_18transform_iteratorI7is_evenIsESF_NSA_11use_defaultESK_EENS0_5tupleIJSF_SF_EEENSM_IJSG_SG_EEES6_PlJS6_EEE10hipError_tPvRmT3_T4_T5_T6_T7_T9_mT8_P12ihipStream_tbDpT10_ENKUlT_T0_E_clISt17integral_constantIbLb1EES19_EEDaS14_S15_EUlS14_E_NS1_11comp_targetILNS1_3genE9ELNS1_11target_archE1100ELNS1_3gpuE3ELNS1_3repE0EEENS1_30default_config_static_selectorELNS0_4arch9wavefront6targetE1EEEvT1_
	.p2align	8
	.type	_ZN7rocprim17ROCPRIM_400000_NS6detail17trampoline_kernelINS0_14default_configENS1_25partition_config_selectorILNS1_17partition_subalgoE1EsNS0_10empty_typeEbEEZZNS1_14partition_implILS5_1ELb0ES3_jN6thrust23THRUST_200600_302600_NS6detail15normal_iteratorINSA_10device_ptrIsEEEEPS6_NSA_18transform_iteratorI7is_evenIsESF_NSA_11use_defaultESK_EENS0_5tupleIJSF_SF_EEENSM_IJSG_SG_EEES6_PlJS6_EEE10hipError_tPvRmT3_T4_T5_T6_T7_T9_mT8_P12ihipStream_tbDpT10_ENKUlT_T0_E_clISt17integral_constantIbLb1EES19_EEDaS14_S15_EUlS14_E_NS1_11comp_targetILNS1_3genE9ELNS1_11target_archE1100ELNS1_3gpuE3ELNS1_3repE0EEENS1_30default_config_static_selectorELNS0_4arch9wavefront6targetE1EEEvT1_,@function
_ZN7rocprim17ROCPRIM_400000_NS6detail17trampoline_kernelINS0_14default_configENS1_25partition_config_selectorILNS1_17partition_subalgoE1EsNS0_10empty_typeEbEEZZNS1_14partition_implILS5_1ELb0ES3_jN6thrust23THRUST_200600_302600_NS6detail15normal_iteratorINSA_10device_ptrIsEEEEPS6_NSA_18transform_iteratorI7is_evenIsESF_NSA_11use_defaultESK_EENS0_5tupleIJSF_SF_EEENSM_IJSG_SG_EEES6_PlJS6_EEE10hipError_tPvRmT3_T4_T5_T6_T7_T9_mT8_P12ihipStream_tbDpT10_ENKUlT_T0_E_clISt17integral_constantIbLb1EES19_EEDaS14_S15_EUlS14_E_NS1_11comp_targetILNS1_3genE9ELNS1_11target_archE1100ELNS1_3gpuE3ELNS1_3repE0EEENS1_30default_config_static_selectorELNS0_4arch9wavefront6targetE1EEEvT1_: ; @_ZN7rocprim17ROCPRIM_400000_NS6detail17trampoline_kernelINS0_14default_configENS1_25partition_config_selectorILNS1_17partition_subalgoE1EsNS0_10empty_typeEbEEZZNS1_14partition_implILS5_1ELb0ES3_jN6thrust23THRUST_200600_302600_NS6detail15normal_iteratorINSA_10device_ptrIsEEEEPS6_NSA_18transform_iteratorI7is_evenIsESF_NSA_11use_defaultESK_EENS0_5tupleIJSF_SF_EEENSM_IJSG_SG_EEES6_PlJS6_EEE10hipError_tPvRmT3_T4_T5_T6_T7_T9_mT8_P12ihipStream_tbDpT10_ENKUlT_T0_E_clISt17integral_constantIbLb1EES19_EEDaS14_S15_EUlS14_E_NS1_11comp_targetILNS1_3genE9ELNS1_11target_archE1100ELNS1_3gpuE3ELNS1_3repE0EEENS1_30default_config_static_selectorELNS0_4arch9wavefront6targetE1EEEvT1_
; %bb.0:
	.section	.rodata,"a",@progbits
	.p2align	6, 0x0
	.amdhsa_kernel _ZN7rocprim17ROCPRIM_400000_NS6detail17trampoline_kernelINS0_14default_configENS1_25partition_config_selectorILNS1_17partition_subalgoE1EsNS0_10empty_typeEbEEZZNS1_14partition_implILS5_1ELb0ES3_jN6thrust23THRUST_200600_302600_NS6detail15normal_iteratorINSA_10device_ptrIsEEEEPS6_NSA_18transform_iteratorI7is_evenIsESF_NSA_11use_defaultESK_EENS0_5tupleIJSF_SF_EEENSM_IJSG_SG_EEES6_PlJS6_EEE10hipError_tPvRmT3_T4_T5_T6_T7_T9_mT8_P12ihipStream_tbDpT10_ENKUlT_T0_E_clISt17integral_constantIbLb1EES19_EEDaS14_S15_EUlS14_E_NS1_11comp_targetILNS1_3genE9ELNS1_11target_archE1100ELNS1_3gpuE3ELNS1_3repE0EEENS1_30default_config_static_selectorELNS0_4arch9wavefront6targetE1EEEvT1_
		.amdhsa_group_segment_fixed_size 0
		.amdhsa_private_segment_fixed_size 0
		.amdhsa_kernarg_size 144
		.amdhsa_user_sgpr_count 6
		.amdhsa_user_sgpr_private_segment_buffer 1
		.amdhsa_user_sgpr_dispatch_ptr 0
		.amdhsa_user_sgpr_queue_ptr 0
		.amdhsa_user_sgpr_kernarg_segment_ptr 1
		.amdhsa_user_sgpr_dispatch_id 0
		.amdhsa_user_sgpr_flat_scratch_init 0
		.amdhsa_user_sgpr_kernarg_preload_length 0
		.amdhsa_user_sgpr_kernarg_preload_offset 0
		.amdhsa_user_sgpr_private_segment_size 0
		.amdhsa_uses_dynamic_stack 0
		.amdhsa_system_sgpr_private_segment_wavefront_offset 0
		.amdhsa_system_sgpr_workgroup_id_x 1
		.amdhsa_system_sgpr_workgroup_id_y 0
		.amdhsa_system_sgpr_workgroup_id_z 0
		.amdhsa_system_sgpr_workgroup_info 0
		.amdhsa_system_vgpr_workitem_id 0
		.amdhsa_next_free_vgpr 1
		.amdhsa_next_free_sgpr 0
		.amdhsa_accum_offset 4
		.amdhsa_reserve_vcc 0
		.amdhsa_reserve_flat_scratch 0
		.amdhsa_float_round_mode_32 0
		.amdhsa_float_round_mode_16_64 0
		.amdhsa_float_denorm_mode_32 3
		.amdhsa_float_denorm_mode_16_64 3
		.amdhsa_dx10_clamp 1
		.amdhsa_ieee_mode 1
		.amdhsa_fp16_overflow 0
		.amdhsa_tg_split 0
		.amdhsa_exception_fp_ieee_invalid_op 0
		.amdhsa_exception_fp_denorm_src 0
		.amdhsa_exception_fp_ieee_div_zero 0
		.amdhsa_exception_fp_ieee_overflow 0
		.amdhsa_exception_fp_ieee_underflow 0
		.amdhsa_exception_fp_ieee_inexact 0
		.amdhsa_exception_int_div_zero 0
	.end_amdhsa_kernel
	.section	.text._ZN7rocprim17ROCPRIM_400000_NS6detail17trampoline_kernelINS0_14default_configENS1_25partition_config_selectorILNS1_17partition_subalgoE1EsNS0_10empty_typeEbEEZZNS1_14partition_implILS5_1ELb0ES3_jN6thrust23THRUST_200600_302600_NS6detail15normal_iteratorINSA_10device_ptrIsEEEEPS6_NSA_18transform_iteratorI7is_evenIsESF_NSA_11use_defaultESK_EENS0_5tupleIJSF_SF_EEENSM_IJSG_SG_EEES6_PlJS6_EEE10hipError_tPvRmT3_T4_T5_T6_T7_T9_mT8_P12ihipStream_tbDpT10_ENKUlT_T0_E_clISt17integral_constantIbLb1EES19_EEDaS14_S15_EUlS14_E_NS1_11comp_targetILNS1_3genE9ELNS1_11target_archE1100ELNS1_3gpuE3ELNS1_3repE0EEENS1_30default_config_static_selectorELNS0_4arch9wavefront6targetE1EEEvT1_,"axG",@progbits,_ZN7rocprim17ROCPRIM_400000_NS6detail17trampoline_kernelINS0_14default_configENS1_25partition_config_selectorILNS1_17partition_subalgoE1EsNS0_10empty_typeEbEEZZNS1_14partition_implILS5_1ELb0ES3_jN6thrust23THRUST_200600_302600_NS6detail15normal_iteratorINSA_10device_ptrIsEEEEPS6_NSA_18transform_iteratorI7is_evenIsESF_NSA_11use_defaultESK_EENS0_5tupleIJSF_SF_EEENSM_IJSG_SG_EEES6_PlJS6_EEE10hipError_tPvRmT3_T4_T5_T6_T7_T9_mT8_P12ihipStream_tbDpT10_ENKUlT_T0_E_clISt17integral_constantIbLb1EES19_EEDaS14_S15_EUlS14_E_NS1_11comp_targetILNS1_3genE9ELNS1_11target_archE1100ELNS1_3gpuE3ELNS1_3repE0EEENS1_30default_config_static_selectorELNS0_4arch9wavefront6targetE1EEEvT1_,comdat
.Lfunc_end463:
	.size	_ZN7rocprim17ROCPRIM_400000_NS6detail17trampoline_kernelINS0_14default_configENS1_25partition_config_selectorILNS1_17partition_subalgoE1EsNS0_10empty_typeEbEEZZNS1_14partition_implILS5_1ELb0ES3_jN6thrust23THRUST_200600_302600_NS6detail15normal_iteratorINSA_10device_ptrIsEEEEPS6_NSA_18transform_iteratorI7is_evenIsESF_NSA_11use_defaultESK_EENS0_5tupleIJSF_SF_EEENSM_IJSG_SG_EEES6_PlJS6_EEE10hipError_tPvRmT3_T4_T5_T6_T7_T9_mT8_P12ihipStream_tbDpT10_ENKUlT_T0_E_clISt17integral_constantIbLb1EES19_EEDaS14_S15_EUlS14_E_NS1_11comp_targetILNS1_3genE9ELNS1_11target_archE1100ELNS1_3gpuE3ELNS1_3repE0EEENS1_30default_config_static_selectorELNS0_4arch9wavefront6targetE1EEEvT1_, .Lfunc_end463-_ZN7rocprim17ROCPRIM_400000_NS6detail17trampoline_kernelINS0_14default_configENS1_25partition_config_selectorILNS1_17partition_subalgoE1EsNS0_10empty_typeEbEEZZNS1_14partition_implILS5_1ELb0ES3_jN6thrust23THRUST_200600_302600_NS6detail15normal_iteratorINSA_10device_ptrIsEEEEPS6_NSA_18transform_iteratorI7is_evenIsESF_NSA_11use_defaultESK_EENS0_5tupleIJSF_SF_EEENSM_IJSG_SG_EEES6_PlJS6_EEE10hipError_tPvRmT3_T4_T5_T6_T7_T9_mT8_P12ihipStream_tbDpT10_ENKUlT_T0_E_clISt17integral_constantIbLb1EES19_EEDaS14_S15_EUlS14_E_NS1_11comp_targetILNS1_3genE9ELNS1_11target_archE1100ELNS1_3gpuE3ELNS1_3repE0EEENS1_30default_config_static_selectorELNS0_4arch9wavefront6targetE1EEEvT1_
                                        ; -- End function
	.section	.AMDGPU.csdata,"",@progbits
; Kernel info:
; codeLenInByte = 0
; NumSgprs: 4
; NumVgprs: 0
; NumAgprs: 0
; TotalNumVgprs: 0
; ScratchSize: 0
; MemoryBound: 0
; FloatMode: 240
; IeeeMode: 1
; LDSByteSize: 0 bytes/workgroup (compile time only)
; SGPRBlocks: 0
; VGPRBlocks: 0
; NumSGPRsForWavesPerEU: 4
; NumVGPRsForWavesPerEU: 1
; AccumOffset: 4
; Occupancy: 8
; WaveLimiterHint : 0
; COMPUTE_PGM_RSRC2:SCRATCH_EN: 0
; COMPUTE_PGM_RSRC2:USER_SGPR: 6
; COMPUTE_PGM_RSRC2:TRAP_HANDLER: 0
; COMPUTE_PGM_RSRC2:TGID_X_EN: 1
; COMPUTE_PGM_RSRC2:TGID_Y_EN: 0
; COMPUTE_PGM_RSRC2:TGID_Z_EN: 0
; COMPUTE_PGM_RSRC2:TIDIG_COMP_CNT: 0
; COMPUTE_PGM_RSRC3_GFX90A:ACCUM_OFFSET: 0
; COMPUTE_PGM_RSRC3_GFX90A:TG_SPLIT: 0
	.section	.text._ZN7rocprim17ROCPRIM_400000_NS6detail17trampoline_kernelINS0_14default_configENS1_25partition_config_selectorILNS1_17partition_subalgoE1EsNS0_10empty_typeEbEEZZNS1_14partition_implILS5_1ELb0ES3_jN6thrust23THRUST_200600_302600_NS6detail15normal_iteratorINSA_10device_ptrIsEEEEPS6_NSA_18transform_iteratorI7is_evenIsESF_NSA_11use_defaultESK_EENS0_5tupleIJSF_SF_EEENSM_IJSG_SG_EEES6_PlJS6_EEE10hipError_tPvRmT3_T4_T5_T6_T7_T9_mT8_P12ihipStream_tbDpT10_ENKUlT_T0_E_clISt17integral_constantIbLb1EES19_EEDaS14_S15_EUlS14_E_NS1_11comp_targetILNS1_3genE8ELNS1_11target_archE1030ELNS1_3gpuE2ELNS1_3repE0EEENS1_30default_config_static_selectorELNS0_4arch9wavefront6targetE1EEEvT1_,"axG",@progbits,_ZN7rocprim17ROCPRIM_400000_NS6detail17trampoline_kernelINS0_14default_configENS1_25partition_config_selectorILNS1_17partition_subalgoE1EsNS0_10empty_typeEbEEZZNS1_14partition_implILS5_1ELb0ES3_jN6thrust23THRUST_200600_302600_NS6detail15normal_iteratorINSA_10device_ptrIsEEEEPS6_NSA_18transform_iteratorI7is_evenIsESF_NSA_11use_defaultESK_EENS0_5tupleIJSF_SF_EEENSM_IJSG_SG_EEES6_PlJS6_EEE10hipError_tPvRmT3_T4_T5_T6_T7_T9_mT8_P12ihipStream_tbDpT10_ENKUlT_T0_E_clISt17integral_constantIbLb1EES19_EEDaS14_S15_EUlS14_E_NS1_11comp_targetILNS1_3genE8ELNS1_11target_archE1030ELNS1_3gpuE2ELNS1_3repE0EEENS1_30default_config_static_selectorELNS0_4arch9wavefront6targetE1EEEvT1_,comdat
	.protected	_ZN7rocprim17ROCPRIM_400000_NS6detail17trampoline_kernelINS0_14default_configENS1_25partition_config_selectorILNS1_17partition_subalgoE1EsNS0_10empty_typeEbEEZZNS1_14partition_implILS5_1ELb0ES3_jN6thrust23THRUST_200600_302600_NS6detail15normal_iteratorINSA_10device_ptrIsEEEEPS6_NSA_18transform_iteratorI7is_evenIsESF_NSA_11use_defaultESK_EENS0_5tupleIJSF_SF_EEENSM_IJSG_SG_EEES6_PlJS6_EEE10hipError_tPvRmT3_T4_T5_T6_T7_T9_mT8_P12ihipStream_tbDpT10_ENKUlT_T0_E_clISt17integral_constantIbLb1EES19_EEDaS14_S15_EUlS14_E_NS1_11comp_targetILNS1_3genE8ELNS1_11target_archE1030ELNS1_3gpuE2ELNS1_3repE0EEENS1_30default_config_static_selectorELNS0_4arch9wavefront6targetE1EEEvT1_ ; -- Begin function _ZN7rocprim17ROCPRIM_400000_NS6detail17trampoline_kernelINS0_14default_configENS1_25partition_config_selectorILNS1_17partition_subalgoE1EsNS0_10empty_typeEbEEZZNS1_14partition_implILS5_1ELb0ES3_jN6thrust23THRUST_200600_302600_NS6detail15normal_iteratorINSA_10device_ptrIsEEEEPS6_NSA_18transform_iteratorI7is_evenIsESF_NSA_11use_defaultESK_EENS0_5tupleIJSF_SF_EEENSM_IJSG_SG_EEES6_PlJS6_EEE10hipError_tPvRmT3_T4_T5_T6_T7_T9_mT8_P12ihipStream_tbDpT10_ENKUlT_T0_E_clISt17integral_constantIbLb1EES19_EEDaS14_S15_EUlS14_E_NS1_11comp_targetILNS1_3genE8ELNS1_11target_archE1030ELNS1_3gpuE2ELNS1_3repE0EEENS1_30default_config_static_selectorELNS0_4arch9wavefront6targetE1EEEvT1_
	.globl	_ZN7rocprim17ROCPRIM_400000_NS6detail17trampoline_kernelINS0_14default_configENS1_25partition_config_selectorILNS1_17partition_subalgoE1EsNS0_10empty_typeEbEEZZNS1_14partition_implILS5_1ELb0ES3_jN6thrust23THRUST_200600_302600_NS6detail15normal_iteratorINSA_10device_ptrIsEEEEPS6_NSA_18transform_iteratorI7is_evenIsESF_NSA_11use_defaultESK_EENS0_5tupleIJSF_SF_EEENSM_IJSG_SG_EEES6_PlJS6_EEE10hipError_tPvRmT3_T4_T5_T6_T7_T9_mT8_P12ihipStream_tbDpT10_ENKUlT_T0_E_clISt17integral_constantIbLb1EES19_EEDaS14_S15_EUlS14_E_NS1_11comp_targetILNS1_3genE8ELNS1_11target_archE1030ELNS1_3gpuE2ELNS1_3repE0EEENS1_30default_config_static_selectorELNS0_4arch9wavefront6targetE1EEEvT1_
	.p2align	8
	.type	_ZN7rocprim17ROCPRIM_400000_NS6detail17trampoline_kernelINS0_14default_configENS1_25partition_config_selectorILNS1_17partition_subalgoE1EsNS0_10empty_typeEbEEZZNS1_14partition_implILS5_1ELb0ES3_jN6thrust23THRUST_200600_302600_NS6detail15normal_iteratorINSA_10device_ptrIsEEEEPS6_NSA_18transform_iteratorI7is_evenIsESF_NSA_11use_defaultESK_EENS0_5tupleIJSF_SF_EEENSM_IJSG_SG_EEES6_PlJS6_EEE10hipError_tPvRmT3_T4_T5_T6_T7_T9_mT8_P12ihipStream_tbDpT10_ENKUlT_T0_E_clISt17integral_constantIbLb1EES19_EEDaS14_S15_EUlS14_E_NS1_11comp_targetILNS1_3genE8ELNS1_11target_archE1030ELNS1_3gpuE2ELNS1_3repE0EEENS1_30default_config_static_selectorELNS0_4arch9wavefront6targetE1EEEvT1_,@function
_ZN7rocprim17ROCPRIM_400000_NS6detail17trampoline_kernelINS0_14default_configENS1_25partition_config_selectorILNS1_17partition_subalgoE1EsNS0_10empty_typeEbEEZZNS1_14partition_implILS5_1ELb0ES3_jN6thrust23THRUST_200600_302600_NS6detail15normal_iteratorINSA_10device_ptrIsEEEEPS6_NSA_18transform_iteratorI7is_evenIsESF_NSA_11use_defaultESK_EENS0_5tupleIJSF_SF_EEENSM_IJSG_SG_EEES6_PlJS6_EEE10hipError_tPvRmT3_T4_T5_T6_T7_T9_mT8_P12ihipStream_tbDpT10_ENKUlT_T0_E_clISt17integral_constantIbLb1EES19_EEDaS14_S15_EUlS14_E_NS1_11comp_targetILNS1_3genE8ELNS1_11target_archE1030ELNS1_3gpuE2ELNS1_3repE0EEENS1_30default_config_static_selectorELNS0_4arch9wavefront6targetE1EEEvT1_: ; @_ZN7rocprim17ROCPRIM_400000_NS6detail17trampoline_kernelINS0_14default_configENS1_25partition_config_selectorILNS1_17partition_subalgoE1EsNS0_10empty_typeEbEEZZNS1_14partition_implILS5_1ELb0ES3_jN6thrust23THRUST_200600_302600_NS6detail15normal_iteratorINSA_10device_ptrIsEEEEPS6_NSA_18transform_iteratorI7is_evenIsESF_NSA_11use_defaultESK_EENS0_5tupleIJSF_SF_EEENSM_IJSG_SG_EEES6_PlJS6_EEE10hipError_tPvRmT3_T4_T5_T6_T7_T9_mT8_P12ihipStream_tbDpT10_ENKUlT_T0_E_clISt17integral_constantIbLb1EES19_EEDaS14_S15_EUlS14_E_NS1_11comp_targetILNS1_3genE8ELNS1_11target_archE1030ELNS1_3gpuE2ELNS1_3repE0EEENS1_30default_config_static_selectorELNS0_4arch9wavefront6targetE1EEEvT1_
; %bb.0:
	.section	.rodata,"a",@progbits
	.p2align	6, 0x0
	.amdhsa_kernel _ZN7rocprim17ROCPRIM_400000_NS6detail17trampoline_kernelINS0_14default_configENS1_25partition_config_selectorILNS1_17partition_subalgoE1EsNS0_10empty_typeEbEEZZNS1_14partition_implILS5_1ELb0ES3_jN6thrust23THRUST_200600_302600_NS6detail15normal_iteratorINSA_10device_ptrIsEEEEPS6_NSA_18transform_iteratorI7is_evenIsESF_NSA_11use_defaultESK_EENS0_5tupleIJSF_SF_EEENSM_IJSG_SG_EEES6_PlJS6_EEE10hipError_tPvRmT3_T4_T5_T6_T7_T9_mT8_P12ihipStream_tbDpT10_ENKUlT_T0_E_clISt17integral_constantIbLb1EES19_EEDaS14_S15_EUlS14_E_NS1_11comp_targetILNS1_3genE8ELNS1_11target_archE1030ELNS1_3gpuE2ELNS1_3repE0EEENS1_30default_config_static_selectorELNS0_4arch9wavefront6targetE1EEEvT1_
		.amdhsa_group_segment_fixed_size 0
		.amdhsa_private_segment_fixed_size 0
		.amdhsa_kernarg_size 144
		.amdhsa_user_sgpr_count 6
		.amdhsa_user_sgpr_private_segment_buffer 1
		.amdhsa_user_sgpr_dispatch_ptr 0
		.amdhsa_user_sgpr_queue_ptr 0
		.amdhsa_user_sgpr_kernarg_segment_ptr 1
		.amdhsa_user_sgpr_dispatch_id 0
		.amdhsa_user_sgpr_flat_scratch_init 0
		.amdhsa_user_sgpr_kernarg_preload_length 0
		.amdhsa_user_sgpr_kernarg_preload_offset 0
		.amdhsa_user_sgpr_private_segment_size 0
		.amdhsa_uses_dynamic_stack 0
		.amdhsa_system_sgpr_private_segment_wavefront_offset 0
		.amdhsa_system_sgpr_workgroup_id_x 1
		.amdhsa_system_sgpr_workgroup_id_y 0
		.amdhsa_system_sgpr_workgroup_id_z 0
		.amdhsa_system_sgpr_workgroup_info 0
		.amdhsa_system_vgpr_workitem_id 0
		.amdhsa_next_free_vgpr 1
		.amdhsa_next_free_sgpr 0
		.amdhsa_accum_offset 4
		.amdhsa_reserve_vcc 0
		.amdhsa_reserve_flat_scratch 0
		.amdhsa_float_round_mode_32 0
		.amdhsa_float_round_mode_16_64 0
		.amdhsa_float_denorm_mode_32 3
		.amdhsa_float_denorm_mode_16_64 3
		.amdhsa_dx10_clamp 1
		.amdhsa_ieee_mode 1
		.amdhsa_fp16_overflow 0
		.amdhsa_tg_split 0
		.amdhsa_exception_fp_ieee_invalid_op 0
		.amdhsa_exception_fp_denorm_src 0
		.amdhsa_exception_fp_ieee_div_zero 0
		.amdhsa_exception_fp_ieee_overflow 0
		.amdhsa_exception_fp_ieee_underflow 0
		.amdhsa_exception_fp_ieee_inexact 0
		.amdhsa_exception_int_div_zero 0
	.end_amdhsa_kernel
	.section	.text._ZN7rocprim17ROCPRIM_400000_NS6detail17trampoline_kernelINS0_14default_configENS1_25partition_config_selectorILNS1_17partition_subalgoE1EsNS0_10empty_typeEbEEZZNS1_14partition_implILS5_1ELb0ES3_jN6thrust23THRUST_200600_302600_NS6detail15normal_iteratorINSA_10device_ptrIsEEEEPS6_NSA_18transform_iteratorI7is_evenIsESF_NSA_11use_defaultESK_EENS0_5tupleIJSF_SF_EEENSM_IJSG_SG_EEES6_PlJS6_EEE10hipError_tPvRmT3_T4_T5_T6_T7_T9_mT8_P12ihipStream_tbDpT10_ENKUlT_T0_E_clISt17integral_constantIbLb1EES19_EEDaS14_S15_EUlS14_E_NS1_11comp_targetILNS1_3genE8ELNS1_11target_archE1030ELNS1_3gpuE2ELNS1_3repE0EEENS1_30default_config_static_selectorELNS0_4arch9wavefront6targetE1EEEvT1_,"axG",@progbits,_ZN7rocprim17ROCPRIM_400000_NS6detail17trampoline_kernelINS0_14default_configENS1_25partition_config_selectorILNS1_17partition_subalgoE1EsNS0_10empty_typeEbEEZZNS1_14partition_implILS5_1ELb0ES3_jN6thrust23THRUST_200600_302600_NS6detail15normal_iteratorINSA_10device_ptrIsEEEEPS6_NSA_18transform_iteratorI7is_evenIsESF_NSA_11use_defaultESK_EENS0_5tupleIJSF_SF_EEENSM_IJSG_SG_EEES6_PlJS6_EEE10hipError_tPvRmT3_T4_T5_T6_T7_T9_mT8_P12ihipStream_tbDpT10_ENKUlT_T0_E_clISt17integral_constantIbLb1EES19_EEDaS14_S15_EUlS14_E_NS1_11comp_targetILNS1_3genE8ELNS1_11target_archE1030ELNS1_3gpuE2ELNS1_3repE0EEENS1_30default_config_static_selectorELNS0_4arch9wavefront6targetE1EEEvT1_,comdat
.Lfunc_end464:
	.size	_ZN7rocprim17ROCPRIM_400000_NS6detail17trampoline_kernelINS0_14default_configENS1_25partition_config_selectorILNS1_17partition_subalgoE1EsNS0_10empty_typeEbEEZZNS1_14partition_implILS5_1ELb0ES3_jN6thrust23THRUST_200600_302600_NS6detail15normal_iteratorINSA_10device_ptrIsEEEEPS6_NSA_18transform_iteratorI7is_evenIsESF_NSA_11use_defaultESK_EENS0_5tupleIJSF_SF_EEENSM_IJSG_SG_EEES6_PlJS6_EEE10hipError_tPvRmT3_T4_T5_T6_T7_T9_mT8_P12ihipStream_tbDpT10_ENKUlT_T0_E_clISt17integral_constantIbLb1EES19_EEDaS14_S15_EUlS14_E_NS1_11comp_targetILNS1_3genE8ELNS1_11target_archE1030ELNS1_3gpuE2ELNS1_3repE0EEENS1_30default_config_static_selectorELNS0_4arch9wavefront6targetE1EEEvT1_, .Lfunc_end464-_ZN7rocprim17ROCPRIM_400000_NS6detail17trampoline_kernelINS0_14default_configENS1_25partition_config_selectorILNS1_17partition_subalgoE1EsNS0_10empty_typeEbEEZZNS1_14partition_implILS5_1ELb0ES3_jN6thrust23THRUST_200600_302600_NS6detail15normal_iteratorINSA_10device_ptrIsEEEEPS6_NSA_18transform_iteratorI7is_evenIsESF_NSA_11use_defaultESK_EENS0_5tupleIJSF_SF_EEENSM_IJSG_SG_EEES6_PlJS6_EEE10hipError_tPvRmT3_T4_T5_T6_T7_T9_mT8_P12ihipStream_tbDpT10_ENKUlT_T0_E_clISt17integral_constantIbLb1EES19_EEDaS14_S15_EUlS14_E_NS1_11comp_targetILNS1_3genE8ELNS1_11target_archE1030ELNS1_3gpuE2ELNS1_3repE0EEENS1_30default_config_static_selectorELNS0_4arch9wavefront6targetE1EEEvT1_
                                        ; -- End function
	.section	.AMDGPU.csdata,"",@progbits
; Kernel info:
; codeLenInByte = 0
; NumSgprs: 4
; NumVgprs: 0
; NumAgprs: 0
; TotalNumVgprs: 0
; ScratchSize: 0
; MemoryBound: 0
; FloatMode: 240
; IeeeMode: 1
; LDSByteSize: 0 bytes/workgroup (compile time only)
; SGPRBlocks: 0
; VGPRBlocks: 0
; NumSGPRsForWavesPerEU: 4
; NumVGPRsForWavesPerEU: 1
; AccumOffset: 4
; Occupancy: 8
; WaveLimiterHint : 0
; COMPUTE_PGM_RSRC2:SCRATCH_EN: 0
; COMPUTE_PGM_RSRC2:USER_SGPR: 6
; COMPUTE_PGM_RSRC2:TRAP_HANDLER: 0
; COMPUTE_PGM_RSRC2:TGID_X_EN: 1
; COMPUTE_PGM_RSRC2:TGID_Y_EN: 0
; COMPUTE_PGM_RSRC2:TGID_Z_EN: 0
; COMPUTE_PGM_RSRC2:TIDIG_COMP_CNT: 0
; COMPUTE_PGM_RSRC3_GFX90A:ACCUM_OFFSET: 0
; COMPUTE_PGM_RSRC3_GFX90A:TG_SPLIT: 0
	.section	.text._ZN7rocprim17ROCPRIM_400000_NS6detail17trampoline_kernelINS0_14default_configENS1_25partition_config_selectorILNS1_17partition_subalgoE1EsNS0_10empty_typeEbEEZZNS1_14partition_implILS5_1ELb0ES3_jN6thrust23THRUST_200600_302600_NS6detail15normal_iteratorINSA_10device_ptrIsEEEEPS6_NSA_18transform_iteratorI7is_evenIsESF_NSA_11use_defaultESK_EENS0_5tupleIJSF_SF_EEENSM_IJSG_SG_EEES6_PlJS6_EEE10hipError_tPvRmT3_T4_T5_T6_T7_T9_mT8_P12ihipStream_tbDpT10_ENKUlT_T0_E_clISt17integral_constantIbLb1EES18_IbLb0EEEEDaS14_S15_EUlS14_E_NS1_11comp_targetILNS1_3genE0ELNS1_11target_archE4294967295ELNS1_3gpuE0ELNS1_3repE0EEENS1_30default_config_static_selectorELNS0_4arch9wavefront6targetE1EEEvT1_,"axG",@progbits,_ZN7rocprim17ROCPRIM_400000_NS6detail17trampoline_kernelINS0_14default_configENS1_25partition_config_selectorILNS1_17partition_subalgoE1EsNS0_10empty_typeEbEEZZNS1_14partition_implILS5_1ELb0ES3_jN6thrust23THRUST_200600_302600_NS6detail15normal_iteratorINSA_10device_ptrIsEEEEPS6_NSA_18transform_iteratorI7is_evenIsESF_NSA_11use_defaultESK_EENS0_5tupleIJSF_SF_EEENSM_IJSG_SG_EEES6_PlJS6_EEE10hipError_tPvRmT3_T4_T5_T6_T7_T9_mT8_P12ihipStream_tbDpT10_ENKUlT_T0_E_clISt17integral_constantIbLb1EES18_IbLb0EEEEDaS14_S15_EUlS14_E_NS1_11comp_targetILNS1_3genE0ELNS1_11target_archE4294967295ELNS1_3gpuE0ELNS1_3repE0EEENS1_30default_config_static_selectorELNS0_4arch9wavefront6targetE1EEEvT1_,comdat
	.protected	_ZN7rocprim17ROCPRIM_400000_NS6detail17trampoline_kernelINS0_14default_configENS1_25partition_config_selectorILNS1_17partition_subalgoE1EsNS0_10empty_typeEbEEZZNS1_14partition_implILS5_1ELb0ES3_jN6thrust23THRUST_200600_302600_NS6detail15normal_iteratorINSA_10device_ptrIsEEEEPS6_NSA_18transform_iteratorI7is_evenIsESF_NSA_11use_defaultESK_EENS0_5tupleIJSF_SF_EEENSM_IJSG_SG_EEES6_PlJS6_EEE10hipError_tPvRmT3_T4_T5_T6_T7_T9_mT8_P12ihipStream_tbDpT10_ENKUlT_T0_E_clISt17integral_constantIbLb1EES18_IbLb0EEEEDaS14_S15_EUlS14_E_NS1_11comp_targetILNS1_3genE0ELNS1_11target_archE4294967295ELNS1_3gpuE0ELNS1_3repE0EEENS1_30default_config_static_selectorELNS0_4arch9wavefront6targetE1EEEvT1_ ; -- Begin function _ZN7rocprim17ROCPRIM_400000_NS6detail17trampoline_kernelINS0_14default_configENS1_25partition_config_selectorILNS1_17partition_subalgoE1EsNS0_10empty_typeEbEEZZNS1_14partition_implILS5_1ELb0ES3_jN6thrust23THRUST_200600_302600_NS6detail15normal_iteratorINSA_10device_ptrIsEEEEPS6_NSA_18transform_iteratorI7is_evenIsESF_NSA_11use_defaultESK_EENS0_5tupleIJSF_SF_EEENSM_IJSG_SG_EEES6_PlJS6_EEE10hipError_tPvRmT3_T4_T5_T6_T7_T9_mT8_P12ihipStream_tbDpT10_ENKUlT_T0_E_clISt17integral_constantIbLb1EES18_IbLb0EEEEDaS14_S15_EUlS14_E_NS1_11comp_targetILNS1_3genE0ELNS1_11target_archE4294967295ELNS1_3gpuE0ELNS1_3repE0EEENS1_30default_config_static_selectorELNS0_4arch9wavefront6targetE1EEEvT1_
	.globl	_ZN7rocprim17ROCPRIM_400000_NS6detail17trampoline_kernelINS0_14default_configENS1_25partition_config_selectorILNS1_17partition_subalgoE1EsNS0_10empty_typeEbEEZZNS1_14partition_implILS5_1ELb0ES3_jN6thrust23THRUST_200600_302600_NS6detail15normal_iteratorINSA_10device_ptrIsEEEEPS6_NSA_18transform_iteratorI7is_evenIsESF_NSA_11use_defaultESK_EENS0_5tupleIJSF_SF_EEENSM_IJSG_SG_EEES6_PlJS6_EEE10hipError_tPvRmT3_T4_T5_T6_T7_T9_mT8_P12ihipStream_tbDpT10_ENKUlT_T0_E_clISt17integral_constantIbLb1EES18_IbLb0EEEEDaS14_S15_EUlS14_E_NS1_11comp_targetILNS1_3genE0ELNS1_11target_archE4294967295ELNS1_3gpuE0ELNS1_3repE0EEENS1_30default_config_static_selectorELNS0_4arch9wavefront6targetE1EEEvT1_
	.p2align	8
	.type	_ZN7rocprim17ROCPRIM_400000_NS6detail17trampoline_kernelINS0_14default_configENS1_25partition_config_selectorILNS1_17partition_subalgoE1EsNS0_10empty_typeEbEEZZNS1_14partition_implILS5_1ELb0ES3_jN6thrust23THRUST_200600_302600_NS6detail15normal_iteratorINSA_10device_ptrIsEEEEPS6_NSA_18transform_iteratorI7is_evenIsESF_NSA_11use_defaultESK_EENS0_5tupleIJSF_SF_EEENSM_IJSG_SG_EEES6_PlJS6_EEE10hipError_tPvRmT3_T4_T5_T6_T7_T9_mT8_P12ihipStream_tbDpT10_ENKUlT_T0_E_clISt17integral_constantIbLb1EES18_IbLb0EEEEDaS14_S15_EUlS14_E_NS1_11comp_targetILNS1_3genE0ELNS1_11target_archE4294967295ELNS1_3gpuE0ELNS1_3repE0EEENS1_30default_config_static_selectorELNS0_4arch9wavefront6targetE1EEEvT1_,@function
_ZN7rocprim17ROCPRIM_400000_NS6detail17trampoline_kernelINS0_14default_configENS1_25partition_config_selectorILNS1_17partition_subalgoE1EsNS0_10empty_typeEbEEZZNS1_14partition_implILS5_1ELb0ES3_jN6thrust23THRUST_200600_302600_NS6detail15normal_iteratorINSA_10device_ptrIsEEEEPS6_NSA_18transform_iteratorI7is_evenIsESF_NSA_11use_defaultESK_EENS0_5tupleIJSF_SF_EEENSM_IJSG_SG_EEES6_PlJS6_EEE10hipError_tPvRmT3_T4_T5_T6_T7_T9_mT8_P12ihipStream_tbDpT10_ENKUlT_T0_E_clISt17integral_constantIbLb1EES18_IbLb0EEEEDaS14_S15_EUlS14_E_NS1_11comp_targetILNS1_3genE0ELNS1_11target_archE4294967295ELNS1_3gpuE0ELNS1_3repE0EEENS1_30default_config_static_selectorELNS0_4arch9wavefront6targetE1EEEvT1_: ; @_ZN7rocprim17ROCPRIM_400000_NS6detail17trampoline_kernelINS0_14default_configENS1_25partition_config_selectorILNS1_17partition_subalgoE1EsNS0_10empty_typeEbEEZZNS1_14partition_implILS5_1ELb0ES3_jN6thrust23THRUST_200600_302600_NS6detail15normal_iteratorINSA_10device_ptrIsEEEEPS6_NSA_18transform_iteratorI7is_evenIsESF_NSA_11use_defaultESK_EENS0_5tupleIJSF_SF_EEENSM_IJSG_SG_EEES6_PlJS6_EEE10hipError_tPvRmT3_T4_T5_T6_T7_T9_mT8_P12ihipStream_tbDpT10_ENKUlT_T0_E_clISt17integral_constantIbLb1EES18_IbLb0EEEEDaS14_S15_EUlS14_E_NS1_11comp_targetILNS1_3genE0ELNS1_11target_archE4294967295ELNS1_3gpuE0ELNS1_3repE0EEENS1_30default_config_static_selectorELNS0_4arch9wavefront6targetE1EEEvT1_
; %bb.0:
	.section	.rodata,"a",@progbits
	.p2align	6, 0x0
	.amdhsa_kernel _ZN7rocprim17ROCPRIM_400000_NS6detail17trampoline_kernelINS0_14default_configENS1_25partition_config_selectorILNS1_17partition_subalgoE1EsNS0_10empty_typeEbEEZZNS1_14partition_implILS5_1ELb0ES3_jN6thrust23THRUST_200600_302600_NS6detail15normal_iteratorINSA_10device_ptrIsEEEEPS6_NSA_18transform_iteratorI7is_evenIsESF_NSA_11use_defaultESK_EENS0_5tupleIJSF_SF_EEENSM_IJSG_SG_EEES6_PlJS6_EEE10hipError_tPvRmT3_T4_T5_T6_T7_T9_mT8_P12ihipStream_tbDpT10_ENKUlT_T0_E_clISt17integral_constantIbLb1EES18_IbLb0EEEEDaS14_S15_EUlS14_E_NS1_11comp_targetILNS1_3genE0ELNS1_11target_archE4294967295ELNS1_3gpuE0ELNS1_3repE0EEENS1_30default_config_static_selectorELNS0_4arch9wavefront6targetE1EEEvT1_
		.amdhsa_group_segment_fixed_size 0
		.amdhsa_private_segment_fixed_size 0
		.amdhsa_kernarg_size 128
		.amdhsa_user_sgpr_count 6
		.amdhsa_user_sgpr_private_segment_buffer 1
		.amdhsa_user_sgpr_dispatch_ptr 0
		.amdhsa_user_sgpr_queue_ptr 0
		.amdhsa_user_sgpr_kernarg_segment_ptr 1
		.amdhsa_user_sgpr_dispatch_id 0
		.amdhsa_user_sgpr_flat_scratch_init 0
		.amdhsa_user_sgpr_kernarg_preload_length 0
		.amdhsa_user_sgpr_kernarg_preload_offset 0
		.amdhsa_user_sgpr_private_segment_size 0
		.amdhsa_uses_dynamic_stack 0
		.amdhsa_system_sgpr_private_segment_wavefront_offset 0
		.amdhsa_system_sgpr_workgroup_id_x 1
		.amdhsa_system_sgpr_workgroup_id_y 0
		.amdhsa_system_sgpr_workgroup_id_z 0
		.amdhsa_system_sgpr_workgroup_info 0
		.amdhsa_system_vgpr_workitem_id 0
		.amdhsa_next_free_vgpr 1
		.amdhsa_next_free_sgpr 0
		.amdhsa_accum_offset 4
		.amdhsa_reserve_vcc 0
		.amdhsa_reserve_flat_scratch 0
		.amdhsa_float_round_mode_32 0
		.amdhsa_float_round_mode_16_64 0
		.amdhsa_float_denorm_mode_32 3
		.amdhsa_float_denorm_mode_16_64 3
		.amdhsa_dx10_clamp 1
		.amdhsa_ieee_mode 1
		.amdhsa_fp16_overflow 0
		.amdhsa_tg_split 0
		.amdhsa_exception_fp_ieee_invalid_op 0
		.amdhsa_exception_fp_denorm_src 0
		.amdhsa_exception_fp_ieee_div_zero 0
		.amdhsa_exception_fp_ieee_overflow 0
		.amdhsa_exception_fp_ieee_underflow 0
		.amdhsa_exception_fp_ieee_inexact 0
		.amdhsa_exception_int_div_zero 0
	.end_amdhsa_kernel
	.section	.text._ZN7rocprim17ROCPRIM_400000_NS6detail17trampoline_kernelINS0_14default_configENS1_25partition_config_selectorILNS1_17partition_subalgoE1EsNS0_10empty_typeEbEEZZNS1_14partition_implILS5_1ELb0ES3_jN6thrust23THRUST_200600_302600_NS6detail15normal_iteratorINSA_10device_ptrIsEEEEPS6_NSA_18transform_iteratorI7is_evenIsESF_NSA_11use_defaultESK_EENS0_5tupleIJSF_SF_EEENSM_IJSG_SG_EEES6_PlJS6_EEE10hipError_tPvRmT3_T4_T5_T6_T7_T9_mT8_P12ihipStream_tbDpT10_ENKUlT_T0_E_clISt17integral_constantIbLb1EES18_IbLb0EEEEDaS14_S15_EUlS14_E_NS1_11comp_targetILNS1_3genE0ELNS1_11target_archE4294967295ELNS1_3gpuE0ELNS1_3repE0EEENS1_30default_config_static_selectorELNS0_4arch9wavefront6targetE1EEEvT1_,"axG",@progbits,_ZN7rocprim17ROCPRIM_400000_NS6detail17trampoline_kernelINS0_14default_configENS1_25partition_config_selectorILNS1_17partition_subalgoE1EsNS0_10empty_typeEbEEZZNS1_14partition_implILS5_1ELb0ES3_jN6thrust23THRUST_200600_302600_NS6detail15normal_iteratorINSA_10device_ptrIsEEEEPS6_NSA_18transform_iteratorI7is_evenIsESF_NSA_11use_defaultESK_EENS0_5tupleIJSF_SF_EEENSM_IJSG_SG_EEES6_PlJS6_EEE10hipError_tPvRmT3_T4_T5_T6_T7_T9_mT8_P12ihipStream_tbDpT10_ENKUlT_T0_E_clISt17integral_constantIbLb1EES18_IbLb0EEEEDaS14_S15_EUlS14_E_NS1_11comp_targetILNS1_3genE0ELNS1_11target_archE4294967295ELNS1_3gpuE0ELNS1_3repE0EEENS1_30default_config_static_selectorELNS0_4arch9wavefront6targetE1EEEvT1_,comdat
.Lfunc_end465:
	.size	_ZN7rocprim17ROCPRIM_400000_NS6detail17trampoline_kernelINS0_14default_configENS1_25partition_config_selectorILNS1_17partition_subalgoE1EsNS0_10empty_typeEbEEZZNS1_14partition_implILS5_1ELb0ES3_jN6thrust23THRUST_200600_302600_NS6detail15normal_iteratorINSA_10device_ptrIsEEEEPS6_NSA_18transform_iteratorI7is_evenIsESF_NSA_11use_defaultESK_EENS0_5tupleIJSF_SF_EEENSM_IJSG_SG_EEES6_PlJS6_EEE10hipError_tPvRmT3_T4_T5_T6_T7_T9_mT8_P12ihipStream_tbDpT10_ENKUlT_T0_E_clISt17integral_constantIbLb1EES18_IbLb0EEEEDaS14_S15_EUlS14_E_NS1_11comp_targetILNS1_3genE0ELNS1_11target_archE4294967295ELNS1_3gpuE0ELNS1_3repE0EEENS1_30default_config_static_selectorELNS0_4arch9wavefront6targetE1EEEvT1_, .Lfunc_end465-_ZN7rocprim17ROCPRIM_400000_NS6detail17trampoline_kernelINS0_14default_configENS1_25partition_config_selectorILNS1_17partition_subalgoE1EsNS0_10empty_typeEbEEZZNS1_14partition_implILS5_1ELb0ES3_jN6thrust23THRUST_200600_302600_NS6detail15normal_iteratorINSA_10device_ptrIsEEEEPS6_NSA_18transform_iteratorI7is_evenIsESF_NSA_11use_defaultESK_EENS0_5tupleIJSF_SF_EEENSM_IJSG_SG_EEES6_PlJS6_EEE10hipError_tPvRmT3_T4_T5_T6_T7_T9_mT8_P12ihipStream_tbDpT10_ENKUlT_T0_E_clISt17integral_constantIbLb1EES18_IbLb0EEEEDaS14_S15_EUlS14_E_NS1_11comp_targetILNS1_3genE0ELNS1_11target_archE4294967295ELNS1_3gpuE0ELNS1_3repE0EEENS1_30default_config_static_selectorELNS0_4arch9wavefront6targetE1EEEvT1_
                                        ; -- End function
	.section	.AMDGPU.csdata,"",@progbits
; Kernel info:
; codeLenInByte = 0
; NumSgprs: 4
; NumVgprs: 0
; NumAgprs: 0
; TotalNumVgprs: 0
; ScratchSize: 0
; MemoryBound: 0
; FloatMode: 240
; IeeeMode: 1
; LDSByteSize: 0 bytes/workgroup (compile time only)
; SGPRBlocks: 0
; VGPRBlocks: 0
; NumSGPRsForWavesPerEU: 4
; NumVGPRsForWavesPerEU: 1
; AccumOffset: 4
; Occupancy: 8
; WaveLimiterHint : 0
; COMPUTE_PGM_RSRC2:SCRATCH_EN: 0
; COMPUTE_PGM_RSRC2:USER_SGPR: 6
; COMPUTE_PGM_RSRC2:TRAP_HANDLER: 0
; COMPUTE_PGM_RSRC2:TGID_X_EN: 1
; COMPUTE_PGM_RSRC2:TGID_Y_EN: 0
; COMPUTE_PGM_RSRC2:TGID_Z_EN: 0
; COMPUTE_PGM_RSRC2:TIDIG_COMP_CNT: 0
; COMPUTE_PGM_RSRC3_GFX90A:ACCUM_OFFSET: 0
; COMPUTE_PGM_RSRC3_GFX90A:TG_SPLIT: 0
	.section	.text._ZN7rocprim17ROCPRIM_400000_NS6detail17trampoline_kernelINS0_14default_configENS1_25partition_config_selectorILNS1_17partition_subalgoE1EsNS0_10empty_typeEbEEZZNS1_14partition_implILS5_1ELb0ES3_jN6thrust23THRUST_200600_302600_NS6detail15normal_iteratorINSA_10device_ptrIsEEEEPS6_NSA_18transform_iteratorI7is_evenIsESF_NSA_11use_defaultESK_EENS0_5tupleIJSF_SF_EEENSM_IJSG_SG_EEES6_PlJS6_EEE10hipError_tPvRmT3_T4_T5_T6_T7_T9_mT8_P12ihipStream_tbDpT10_ENKUlT_T0_E_clISt17integral_constantIbLb1EES18_IbLb0EEEEDaS14_S15_EUlS14_E_NS1_11comp_targetILNS1_3genE5ELNS1_11target_archE942ELNS1_3gpuE9ELNS1_3repE0EEENS1_30default_config_static_selectorELNS0_4arch9wavefront6targetE1EEEvT1_,"axG",@progbits,_ZN7rocprim17ROCPRIM_400000_NS6detail17trampoline_kernelINS0_14default_configENS1_25partition_config_selectorILNS1_17partition_subalgoE1EsNS0_10empty_typeEbEEZZNS1_14partition_implILS5_1ELb0ES3_jN6thrust23THRUST_200600_302600_NS6detail15normal_iteratorINSA_10device_ptrIsEEEEPS6_NSA_18transform_iteratorI7is_evenIsESF_NSA_11use_defaultESK_EENS0_5tupleIJSF_SF_EEENSM_IJSG_SG_EEES6_PlJS6_EEE10hipError_tPvRmT3_T4_T5_T6_T7_T9_mT8_P12ihipStream_tbDpT10_ENKUlT_T0_E_clISt17integral_constantIbLb1EES18_IbLb0EEEEDaS14_S15_EUlS14_E_NS1_11comp_targetILNS1_3genE5ELNS1_11target_archE942ELNS1_3gpuE9ELNS1_3repE0EEENS1_30default_config_static_selectorELNS0_4arch9wavefront6targetE1EEEvT1_,comdat
	.protected	_ZN7rocprim17ROCPRIM_400000_NS6detail17trampoline_kernelINS0_14default_configENS1_25partition_config_selectorILNS1_17partition_subalgoE1EsNS0_10empty_typeEbEEZZNS1_14partition_implILS5_1ELb0ES3_jN6thrust23THRUST_200600_302600_NS6detail15normal_iteratorINSA_10device_ptrIsEEEEPS6_NSA_18transform_iteratorI7is_evenIsESF_NSA_11use_defaultESK_EENS0_5tupleIJSF_SF_EEENSM_IJSG_SG_EEES6_PlJS6_EEE10hipError_tPvRmT3_T4_T5_T6_T7_T9_mT8_P12ihipStream_tbDpT10_ENKUlT_T0_E_clISt17integral_constantIbLb1EES18_IbLb0EEEEDaS14_S15_EUlS14_E_NS1_11comp_targetILNS1_3genE5ELNS1_11target_archE942ELNS1_3gpuE9ELNS1_3repE0EEENS1_30default_config_static_selectorELNS0_4arch9wavefront6targetE1EEEvT1_ ; -- Begin function _ZN7rocprim17ROCPRIM_400000_NS6detail17trampoline_kernelINS0_14default_configENS1_25partition_config_selectorILNS1_17partition_subalgoE1EsNS0_10empty_typeEbEEZZNS1_14partition_implILS5_1ELb0ES3_jN6thrust23THRUST_200600_302600_NS6detail15normal_iteratorINSA_10device_ptrIsEEEEPS6_NSA_18transform_iteratorI7is_evenIsESF_NSA_11use_defaultESK_EENS0_5tupleIJSF_SF_EEENSM_IJSG_SG_EEES6_PlJS6_EEE10hipError_tPvRmT3_T4_T5_T6_T7_T9_mT8_P12ihipStream_tbDpT10_ENKUlT_T0_E_clISt17integral_constantIbLb1EES18_IbLb0EEEEDaS14_S15_EUlS14_E_NS1_11comp_targetILNS1_3genE5ELNS1_11target_archE942ELNS1_3gpuE9ELNS1_3repE0EEENS1_30default_config_static_selectorELNS0_4arch9wavefront6targetE1EEEvT1_
	.globl	_ZN7rocprim17ROCPRIM_400000_NS6detail17trampoline_kernelINS0_14default_configENS1_25partition_config_selectorILNS1_17partition_subalgoE1EsNS0_10empty_typeEbEEZZNS1_14partition_implILS5_1ELb0ES3_jN6thrust23THRUST_200600_302600_NS6detail15normal_iteratorINSA_10device_ptrIsEEEEPS6_NSA_18transform_iteratorI7is_evenIsESF_NSA_11use_defaultESK_EENS0_5tupleIJSF_SF_EEENSM_IJSG_SG_EEES6_PlJS6_EEE10hipError_tPvRmT3_T4_T5_T6_T7_T9_mT8_P12ihipStream_tbDpT10_ENKUlT_T0_E_clISt17integral_constantIbLb1EES18_IbLb0EEEEDaS14_S15_EUlS14_E_NS1_11comp_targetILNS1_3genE5ELNS1_11target_archE942ELNS1_3gpuE9ELNS1_3repE0EEENS1_30default_config_static_selectorELNS0_4arch9wavefront6targetE1EEEvT1_
	.p2align	8
	.type	_ZN7rocprim17ROCPRIM_400000_NS6detail17trampoline_kernelINS0_14default_configENS1_25partition_config_selectorILNS1_17partition_subalgoE1EsNS0_10empty_typeEbEEZZNS1_14partition_implILS5_1ELb0ES3_jN6thrust23THRUST_200600_302600_NS6detail15normal_iteratorINSA_10device_ptrIsEEEEPS6_NSA_18transform_iteratorI7is_evenIsESF_NSA_11use_defaultESK_EENS0_5tupleIJSF_SF_EEENSM_IJSG_SG_EEES6_PlJS6_EEE10hipError_tPvRmT3_T4_T5_T6_T7_T9_mT8_P12ihipStream_tbDpT10_ENKUlT_T0_E_clISt17integral_constantIbLb1EES18_IbLb0EEEEDaS14_S15_EUlS14_E_NS1_11comp_targetILNS1_3genE5ELNS1_11target_archE942ELNS1_3gpuE9ELNS1_3repE0EEENS1_30default_config_static_selectorELNS0_4arch9wavefront6targetE1EEEvT1_,@function
_ZN7rocprim17ROCPRIM_400000_NS6detail17trampoline_kernelINS0_14default_configENS1_25partition_config_selectorILNS1_17partition_subalgoE1EsNS0_10empty_typeEbEEZZNS1_14partition_implILS5_1ELb0ES3_jN6thrust23THRUST_200600_302600_NS6detail15normal_iteratorINSA_10device_ptrIsEEEEPS6_NSA_18transform_iteratorI7is_evenIsESF_NSA_11use_defaultESK_EENS0_5tupleIJSF_SF_EEENSM_IJSG_SG_EEES6_PlJS6_EEE10hipError_tPvRmT3_T4_T5_T6_T7_T9_mT8_P12ihipStream_tbDpT10_ENKUlT_T0_E_clISt17integral_constantIbLb1EES18_IbLb0EEEEDaS14_S15_EUlS14_E_NS1_11comp_targetILNS1_3genE5ELNS1_11target_archE942ELNS1_3gpuE9ELNS1_3repE0EEENS1_30default_config_static_selectorELNS0_4arch9wavefront6targetE1EEEvT1_: ; @_ZN7rocprim17ROCPRIM_400000_NS6detail17trampoline_kernelINS0_14default_configENS1_25partition_config_selectorILNS1_17partition_subalgoE1EsNS0_10empty_typeEbEEZZNS1_14partition_implILS5_1ELb0ES3_jN6thrust23THRUST_200600_302600_NS6detail15normal_iteratorINSA_10device_ptrIsEEEEPS6_NSA_18transform_iteratorI7is_evenIsESF_NSA_11use_defaultESK_EENS0_5tupleIJSF_SF_EEENSM_IJSG_SG_EEES6_PlJS6_EEE10hipError_tPvRmT3_T4_T5_T6_T7_T9_mT8_P12ihipStream_tbDpT10_ENKUlT_T0_E_clISt17integral_constantIbLb1EES18_IbLb0EEEEDaS14_S15_EUlS14_E_NS1_11comp_targetILNS1_3genE5ELNS1_11target_archE942ELNS1_3gpuE9ELNS1_3repE0EEENS1_30default_config_static_selectorELNS0_4arch9wavefront6targetE1EEEvT1_
; %bb.0:
	.section	.rodata,"a",@progbits
	.p2align	6, 0x0
	.amdhsa_kernel _ZN7rocprim17ROCPRIM_400000_NS6detail17trampoline_kernelINS0_14default_configENS1_25partition_config_selectorILNS1_17partition_subalgoE1EsNS0_10empty_typeEbEEZZNS1_14partition_implILS5_1ELb0ES3_jN6thrust23THRUST_200600_302600_NS6detail15normal_iteratorINSA_10device_ptrIsEEEEPS6_NSA_18transform_iteratorI7is_evenIsESF_NSA_11use_defaultESK_EENS0_5tupleIJSF_SF_EEENSM_IJSG_SG_EEES6_PlJS6_EEE10hipError_tPvRmT3_T4_T5_T6_T7_T9_mT8_P12ihipStream_tbDpT10_ENKUlT_T0_E_clISt17integral_constantIbLb1EES18_IbLb0EEEEDaS14_S15_EUlS14_E_NS1_11comp_targetILNS1_3genE5ELNS1_11target_archE942ELNS1_3gpuE9ELNS1_3repE0EEENS1_30default_config_static_selectorELNS0_4arch9wavefront6targetE1EEEvT1_
		.amdhsa_group_segment_fixed_size 0
		.amdhsa_private_segment_fixed_size 0
		.amdhsa_kernarg_size 128
		.amdhsa_user_sgpr_count 6
		.amdhsa_user_sgpr_private_segment_buffer 1
		.amdhsa_user_sgpr_dispatch_ptr 0
		.amdhsa_user_sgpr_queue_ptr 0
		.amdhsa_user_sgpr_kernarg_segment_ptr 1
		.amdhsa_user_sgpr_dispatch_id 0
		.amdhsa_user_sgpr_flat_scratch_init 0
		.amdhsa_user_sgpr_kernarg_preload_length 0
		.amdhsa_user_sgpr_kernarg_preload_offset 0
		.amdhsa_user_sgpr_private_segment_size 0
		.amdhsa_uses_dynamic_stack 0
		.amdhsa_system_sgpr_private_segment_wavefront_offset 0
		.amdhsa_system_sgpr_workgroup_id_x 1
		.amdhsa_system_sgpr_workgroup_id_y 0
		.amdhsa_system_sgpr_workgroup_id_z 0
		.amdhsa_system_sgpr_workgroup_info 0
		.amdhsa_system_vgpr_workitem_id 0
		.amdhsa_next_free_vgpr 1
		.amdhsa_next_free_sgpr 0
		.amdhsa_accum_offset 4
		.amdhsa_reserve_vcc 0
		.amdhsa_reserve_flat_scratch 0
		.amdhsa_float_round_mode_32 0
		.amdhsa_float_round_mode_16_64 0
		.amdhsa_float_denorm_mode_32 3
		.amdhsa_float_denorm_mode_16_64 3
		.amdhsa_dx10_clamp 1
		.amdhsa_ieee_mode 1
		.amdhsa_fp16_overflow 0
		.amdhsa_tg_split 0
		.amdhsa_exception_fp_ieee_invalid_op 0
		.amdhsa_exception_fp_denorm_src 0
		.amdhsa_exception_fp_ieee_div_zero 0
		.amdhsa_exception_fp_ieee_overflow 0
		.amdhsa_exception_fp_ieee_underflow 0
		.amdhsa_exception_fp_ieee_inexact 0
		.amdhsa_exception_int_div_zero 0
	.end_amdhsa_kernel
	.section	.text._ZN7rocprim17ROCPRIM_400000_NS6detail17trampoline_kernelINS0_14default_configENS1_25partition_config_selectorILNS1_17partition_subalgoE1EsNS0_10empty_typeEbEEZZNS1_14partition_implILS5_1ELb0ES3_jN6thrust23THRUST_200600_302600_NS6detail15normal_iteratorINSA_10device_ptrIsEEEEPS6_NSA_18transform_iteratorI7is_evenIsESF_NSA_11use_defaultESK_EENS0_5tupleIJSF_SF_EEENSM_IJSG_SG_EEES6_PlJS6_EEE10hipError_tPvRmT3_T4_T5_T6_T7_T9_mT8_P12ihipStream_tbDpT10_ENKUlT_T0_E_clISt17integral_constantIbLb1EES18_IbLb0EEEEDaS14_S15_EUlS14_E_NS1_11comp_targetILNS1_3genE5ELNS1_11target_archE942ELNS1_3gpuE9ELNS1_3repE0EEENS1_30default_config_static_selectorELNS0_4arch9wavefront6targetE1EEEvT1_,"axG",@progbits,_ZN7rocprim17ROCPRIM_400000_NS6detail17trampoline_kernelINS0_14default_configENS1_25partition_config_selectorILNS1_17partition_subalgoE1EsNS0_10empty_typeEbEEZZNS1_14partition_implILS5_1ELb0ES3_jN6thrust23THRUST_200600_302600_NS6detail15normal_iteratorINSA_10device_ptrIsEEEEPS6_NSA_18transform_iteratorI7is_evenIsESF_NSA_11use_defaultESK_EENS0_5tupleIJSF_SF_EEENSM_IJSG_SG_EEES6_PlJS6_EEE10hipError_tPvRmT3_T4_T5_T6_T7_T9_mT8_P12ihipStream_tbDpT10_ENKUlT_T0_E_clISt17integral_constantIbLb1EES18_IbLb0EEEEDaS14_S15_EUlS14_E_NS1_11comp_targetILNS1_3genE5ELNS1_11target_archE942ELNS1_3gpuE9ELNS1_3repE0EEENS1_30default_config_static_selectorELNS0_4arch9wavefront6targetE1EEEvT1_,comdat
.Lfunc_end466:
	.size	_ZN7rocprim17ROCPRIM_400000_NS6detail17trampoline_kernelINS0_14default_configENS1_25partition_config_selectorILNS1_17partition_subalgoE1EsNS0_10empty_typeEbEEZZNS1_14partition_implILS5_1ELb0ES3_jN6thrust23THRUST_200600_302600_NS6detail15normal_iteratorINSA_10device_ptrIsEEEEPS6_NSA_18transform_iteratorI7is_evenIsESF_NSA_11use_defaultESK_EENS0_5tupleIJSF_SF_EEENSM_IJSG_SG_EEES6_PlJS6_EEE10hipError_tPvRmT3_T4_T5_T6_T7_T9_mT8_P12ihipStream_tbDpT10_ENKUlT_T0_E_clISt17integral_constantIbLb1EES18_IbLb0EEEEDaS14_S15_EUlS14_E_NS1_11comp_targetILNS1_3genE5ELNS1_11target_archE942ELNS1_3gpuE9ELNS1_3repE0EEENS1_30default_config_static_selectorELNS0_4arch9wavefront6targetE1EEEvT1_, .Lfunc_end466-_ZN7rocprim17ROCPRIM_400000_NS6detail17trampoline_kernelINS0_14default_configENS1_25partition_config_selectorILNS1_17partition_subalgoE1EsNS0_10empty_typeEbEEZZNS1_14partition_implILS5_1ELb0ES3_jN6thrust23THRUST_200600_302600_NS6detail15normal_iteratorINSA_10device_ptrIsEEEEPS6_NSA_18transform_iteratorI7is_evenIsESF_NSA_11use_defaultESK_EENS0_5tupleIJSF_SF_EEENSM_IJSG_SG_EEES6_PlJS6_EEE10hipError_tPvRmT3_T4_T5_T6_T7_T9_mT8_P12ihipStream_tbDpT10_ENKUlT_T0_E_clISt17integral_constantIbLb1EES18_IbLb0EEEEDaS14_S15_EUlS14_E_NS1_11comp_targetILNS1_3genE5ELNS1_11target_archE942ELNS1_3gpuE9ELNS1_3repE0EEENS1_30default_config_static_selectorELNS0_4arch9wavefront6targetE1EEEvT1_
                                        ; -- End function
	.section	.AMDGPU.csdata,"",@progbits
; Kernel info:
; codeLenInByte = 0
; NumSgprs: 4
; NumVgprs: 0
; NumAgprs: 0
; TotalNumVgprs: 0
; ScratchSize: 0
; MemoryBound: 0
; FloatMode: 240
; IeeeMode: 1
; LDSByteSize: 0 bytes/workgroup (compile time only)
; SGPRBlocks: 0
; VGPRBlocks: 0
; NumSGPRsForWavesPerEU: 4
; NumVGPRsForWavesPerEU: 1
; AccumOffset: 4
; Occupancy: 8
; WaveLimiterHint : 0
; COMPUTE_PGM_RSRC2:SCRATCH_EN: 0
; COMPUTE_PGM_RSRC2:USER_SGPR: 6
; COMPUTE_PGM_RSRC2:TRAP_HANDLER: 0
; COMPUTE_PGM_RSRC2:TGID_X_EN: 1
; COMPUTE_PGM_RSRC2:TGID_Y_EN: 0
; COMPUTE_PGM_RSRC2:TGID_Z_EN: 0
; COMPUTE_PGM_RSRC2:TIDIG_COMP_CNT: 0
; COMPUTE_PGM_RSRC3_GFX90A:ACCUM_OFFSET: 0
; COMPUTE_PGM_RSRC3_GFX90A:TG_SPLIT: 0
	.section	.text._ZN7rocprim17ROCPRIM_400000_NS6detail17trampoline_kernelINS0_14default_configENS1_25partition_config_selectorILNS1_17partition_subalgoE1EsNS0_10empty_typeEbEEZZNS1_14partition_implILS5_1ELb0ES3_jN6thrust23THRUST_200600_302600_NS6detail15normal_iteratorINSA_10device_ptrIsEEEEPS6_NSA_18transform_iteratorI7is_evenIsESF_NSA_11use_defaultESK_EENS0_5tupleIJSF_SF_EEENSM_IJSG_SG_EEES6_PlJS6_EEE10hipError_tPvRmT3_T4_T5_T6_T7_T9_mT8_P12ihipStream_tbDpT10_ENKUlT_T0_E_clISt17integral_constantIbLb1EES18_IbLb0EEEEDaS14_S15_EUlS14_E_NS1_11comp_targetILNS1_3genE4ELNS1_11target_archE910ELNS1_3gpuE8ELNS1_3repE0EEENS1_30default_config_static_selectorELNS0_4arch9wavefront6targetE1EEEvT1_,"axG",@progbits,_ZN7rocprim17ROCPRIM_400000_NS6detail17trampoline_kernelINS0_14default_configENS1_25partition_config_selectorILNS1_17partition_subalgoE1EsNS0_10empty_typeEbEEZZNS1_14partition_implILS5_1ELb0ES3_jN6thrust23THRUST_200600_302600_NS6detail15normal_iteratorINSA_10device_ptrIsEEEEPS6_NSA_18transform_iteratorI7is_evenIsESF_NSA_11use_defaultESK_EENS0_5tupleIJSF_SF_EEENSM_IJSG_SG_EEES6_PlJS6_EEE10hipError_tPvRmT3_T4_T5_T6_T7_T9_mT8_P12ihipStream_tbDpT10_ENKUlT_T0_E_clISt17integral_constantIbLb1EES18_IbLb0EEEEDaS14_S15_EUlS14_E_NS1_11comp_targetILNS1_3genE4ELNS1_11target_archE910ELNS1_3gpuE8ELNS1_3repE0EEENS1_30default_config_static_selectorELNS0_4arch9wavefront6targetE1EEEvT1_,comdat
	.protected	_ZN7rocprim17ROCPRIM_400000_NS6detail17trampoline_kernelINS0_14default_configENS1_25partition_config_selectorILNS1_17partition_subalgoE1EsNS0_10empty_typeEbEEZZNS1_14partition_implILS5_1ELb0ES3_jN6thrust23THRUST_200600_302600_NS6detail15normal_iteratorINSA_10device_ptrIsEEEEPS6_NSA_18transform_iteratorI7is_evenIsESF_NSA_11use_defaultESK_EENS0_5tupleIJSF_SF_EEENSM_IJSG_SG_EEES6_PlJS6_EEE10hipError_tPvRmT3_T4_T5_T6_T7_T9_mT8_P12ihipStream_tbDpT10_ENKUlT_T0_E_clISt17integral_constantIbLb1EES18_IbLb0EEEEDaS14_S15_EUlS14_E_NS1_11comp_targetILNS1_3genE4ELNS1_11target_archE910ELNS1_3gpuE8ELNS1_3repE0EEENS1_30default_config_static_selectorELNS0_4arch9wavefront6targetE1EEEvT1_ ; -- Begin function _ZN7rocprim17ROCPRIM_400000_NS6detail17trampoline_kernelINS0_14default_configENS1_25partition_config_selectorILNS1_17partition_subalgoE1EsNS0_10empty_typeEbEEZZNS1_14partition_implILS5_1ELb0ES3_jN6thrust23THRUST_200600_302600_NS6detail15normal_iteratorINSA_10device_ptrIsEEEEPS6_NSA_18transform_iteratorI7is_evenIsESF_NSA_11use_defaultESK_EENS0_5tupleIJSF_SF_EEENSM_IJSG_SG_EEES6_PlJS6_EEE10hipError_tPvRmT3_T4_T5_T6_T7_T9_mT8_P12ihipStream_tbDpT10_ENKUlT_T0_E_clISt17integral_constantIbLb1EES18_IbLb0EEEEDaS14_S15_EUlS14_E_NS1_11comp_targetILNS1_3genE4ELNS1_11target_archE910ELNS1_3gpuE8ELNS1_3repE0EEENS1_30default_config_static_selectorELNS0_4arch9wavefront6targetE1EEEvT1_
	.globl	_ZN7rocprim17ROCPRIM_400000_NS6detail17trampoline_kernelINS0_14default_configENS1_25partition_config_selectorILNS1_17partition_subalgoE1EsNS0_10empty_typeEbEEZZNS1_14partition_implILS5_1ELb0ES3_jN6thrust23THRUST_200600_302600_NS6detail15normal_iteratorINSA_10device_ptrIsEEEEPS6_NSA_18transform_iteratorI7is_evenIsESF_NSA_11use_defaultESK_EENS0_5tupleIJSF_SF_EEENSM_IJSG_SG_EEES6_PlJS6_EEE10hipError_tPvRmT3_T4_T5_T6_T7_T9_mT8_P12ihipStream_tbDpT10_ENKUlT_T0_E_clISt17integral_constantIbLb1EES18_IbLb0EEEEDaS14_S15_EUlS14_E_NS1_11comp_targetILNS1_3genE4ELNS1_11target_archE910ELNS1_3gpuE8ELNS1_3repE0EEENS1_30default_config_static_selectorELNS0_4arch9wavefront6targetE1EEEvT1_
	.p2align	8
	.type	_ZN7rocprim17ROCPRIM_400000_NS6detail17trampoline_kernelINS0_14default_configENS1_25partition_config_selectorILNS1_17partition_subalgoE1EsNS0_10empty_typeEbEEZZNS1_14partition_implILS5_1ELb0ES3_jN6thrust23THRUST_200600_302600_NS6detail15normal_iteratorINSA_10device_ptrIsEEEEPS6_NSA_18transform_iteratorI7is_evenIsESF_NSA_11use_defaultESK_EENS0_5tupleIJSF_SF_EEENSM_IJSG_SG_EEES6_PlJS6_EEE10hipError_tPvRmT3_T4_T5_T6_T7_T9_mT8_P12ihipStream_tbDpT10_ENKUlT_T0_E_clISt17integral_constantIbLb1EES18_IbLb0EEEEDaS14_S15_EUlS14_E_NS1_11comp_targetILNS1_3genE4ELNS1_11target_archE910ELNS1_3gpuE8ELNS1_3repE0EEENS1_30default_config_static_selectorELNS0_4arch9wavefront6targetE1EEEvT1_,@function
_ZN7rocprim17ROCPRIM_400000_NS6detail17trampoline_kernelINS0_14default_configENS1_25partition_config_selectorILNS1_17partition_subalgoE1EsNS0_10empty_typeEbEEZZNS1_14partition_implILS5_1ELb0ES3_jN6thrust23THRUST_200600_302600_NS6detail15normal_iteratorINSA_10device_ptrIsEEEEPS6_NSA_18transform_iteratorI7is_evenIsESF_NSA_11use_defaultESK_EENS0_5tupleIJSF_SF_EEENSM_IJSG_SG_EEES6_PlJS6_EEE10hipError_tPvRmT3_T4_T5_T6_T7_T9_mT8_P12ihipStream_tbDpT10_ENKUlT_T0_E_clISt17integral_constantIbLb1EES18_IbLb0EEEEDaS14_S15_EUlS14_E_NS1_11comp_targetILNS1_3genE4ELNS1_11target_archE910ELNS1_3gpuE8ELNS1_3repE0EEENS1_30default_config_static_selectorELNS0_4arch9wavefront6targetE1EEEvT1_: ; @_ZN7rocprim17ROCPRIM_400000_NS6detail17trampoline_kernelINS0_14default_configENS1_25partition_config_selectorILNS1_17partition_subalgoE1EsNS0_10empty_typeEbEEZZNS1_14partition_implILS5_1ELb0ES3_jN6thrust23THRUST_200600_302600_NS6detail15normal_iteratorINSA_10device_ptrIsEEEEPS6_NSA_18transform_iteratorI7is_evenIsESF_NSA_11use_defaultESK_EENS0_5tupleIJSF_SF_EEENSM_IJSG_SG_EEES6_PlJS6_EEE10hipError_tPvRmT3_T4_T5_T6_T7_T9_mT8_P12ihipStream_tbDpT10_ENKUlT_T0_E_clISt17integral_constantIbLb1EES18_IbLb0EEEEDaS14_S15_EUlS14_E_NS1_11comp_targetILNS1_3genE4ELNS1_11target_archE910ELNS1_3gpuE8ELNS1_3repE0EEENS1_30default_config_static_selectorELNS0_4arch9wavefront6targetE1EEEvT1_
; %bb.0:
	s_load_dwordx2 s[0:1], s[4:5], 0x60
	s_load_dwordx4 s[24:27], s[4:5], 0x8
	s_load_dwordx2 s[2:3], s[4:5], 0x20
	s_load_dwordx4 s[20:23], s[4:5], 0x50
	s_mul_i32 s10, s6, 0x1400
	s_waitcnt lgkmcnt(0)
	v_mov_b32_e32 v3, s1
	s_load_dword s1, s[4:5], 0x78
	s_lshl_b64 s[8:9], s[26:27], 1
	s_add_u32 s7, s24, s8
	s_addc_u32 s12, s25, s9
	v_mov_b32_e32 v2, s0
	s_waitcnt lgkmcnt(0)
	s_add_i32 s13, s1, -1
	s_mulk_i32 s1, 0x1400
	s_add_i32 s11, s1, s26
	s_sub_i32 s33, s0, s11
	s_addk_i32 s33, 0x1400
	s_add_u32 s0, s26, s1
	s_addc_u32 s1, s27, 0
	s_cmp_eq_u32 s6, s13
	s_load_dwordx2 s[30:31], s[22:23], 0x0
	s_cselect_b64 s[22:23], -1, 0
	s_cmp_lg_u32 s6, s13
	s_mov_b32 s11, 0
	v_cmp_lt_u64_e32 vcc, s[0:1], v[2:3]
	s_cselect_b64 s[0:1], -1, 0
	s_or_b64 s[24:25], s[0:1], vcc
	s_lshl_b64 s[28:29], s[10:11], 1
	s_add_u32 s7, s7, s28
	s_addc_u32 s12, s12, s29
	s_mov_b64 s[0:1], -1
	s_and_b64 vcc, exec, s[24:25]
	v_lshlrev_b32_e32 v1, 1, v0
	s_cbranch_vccz .LBB467_2
; %bb.1:
	v_mov_b32_e32 v3, s12
	v_add_co_u32_e32 v2, vcc, s7, v1
	v_addc_co_u32_e32 v3, vcc, 0, v3, vcc
	v_add_co_u32_e32 v4, vcc, 0x1000, v2
	v_addc_co_u32_e32 v5, vcc, 0, v3, vcc
	flat_load_ushort v6, v[2:3]
	flat_load_ushort v7, v[2:3] offset:512
	flat_load_ushort v8, v[2:3] offset:1024
	;; [unrolled: 1-line block ×7, first 2 shown]
	v_add_co_u32_e32 v2, vcc, 0x2000, v2
	v_addc_co_u32_e32 v3, vcc, 0, v3, vcc
	flat_load_ushort v14, v[4:5]
	flat_load_ushort v15, v[4:5] offset:512
	flat_load_ushort v16, v[4:5] offset:1024
	;; [unrolled: 1-line block ×7, first 2 shown]
	s_nop 0
	flat_load_ushort v4, v[2:3]
	flat_load_ushort v5, v[2:3] offset:512
	flat_load_ushort v22, v[2:3] offset:1024
	;; [unrolled: 1-line block ×3, first 2 shown]
	s_mov_b64 s[0:1], 0
	s_waitcnt vmcnt(0) lgkmcnt(0)
	ds_write_b16 v1, v6
	ds_write_b16 v1, v7 offset:512
	ds_write_b16 v1, v8 offset:1024
	;; [unrolled: 1-line block ×19, first 2 shown]
	s_waitcnt lgkmcnt(0)
	s_barrier
.LBB467_2:
	s_andn2_b64 vcc, exec, s[0:1]
	v_cmp_gt_u32_e64 s[0:1], s33, v0
	s_cbranch_vccnz .LBB467_44
; %bb.3:
                                        ; implicit-def: $vgpr2
	s_and_saveexec_b64 s[10:11], s[0:1]
	s_cbranch_execz .LBB467_5
; %bb.4:
	v_mov_b32_e32 v3, s12
	v_add_co_u32_e32 v2, vcc, s7, v1
	v_addc_co_u32_e32 v3, vcc, 0, v3, vcc
	flat_load_ushort v2, v[2:3]
.LBB467_5:
	s_or_b64 exec, exec, s[10:11]
	v_or_b32_e32 v3, 0x100, v0
	v_cmp_gt_u32_e32 vcc, s33, v3
                                        ; implicit-def: $vgpr3
	s_and_saveexec_b64 s[0:1], vcc
	s_cbranch_execz .LBB467_7
; %bb.6:
	v_mov_b32_e32 v3, s12
	v_add_co_u32_e32 v4, vcc, s7, v1
	v_addc_co_u32_e32 v5, vcc, 0, v3, vcc
	flat_load_ushort v3, v[4:5] offset:512
.LBB467_7:
	s_or_b64 exec, exec, s[0:1]
	v_or_b32_e32 v4, 0x200, v0
	v_cmp_gt_u32_e32 vcc, s33, v4
                                        ; implicit-def: $vgpr4
	s_and_saveexec_b64 s[0:1], vcc
	s_cbranch_execz .LBB467_9
; %bb.8:
	v_mov_b32_e32 v5, s12
	v_add_co_u32_e32 v4, vcc, s7, v1
	v_addc_co_u32_e32 v5, vcc, 0, v5, vcc
	flat_load_ushort v4, v[4:5] offset:1024
.LBB467_9:
	s_or_b64 exec, exec, s[0:1]
	v_or_b32_e32 v5, 0x300, v0
	v_cmp_gt_u32_e32 vcc, s33, v5
                                        ; implicit-def: $vgpr5
	s_and_saveexec_b64 s[0:1], vcc
	s_cbranch_execz .LBB467_11
; %bb.10:
	v_mov_b32_e32 v5, s12
	v_add_co_u32_e32 v6, vcc, s7, v1
	v_addc_co_u32_e32 v7, vcc, 0, v5, vcc
	flat_load_ushort v5, v[6:7] offset:1536
.LBB467_11:
	s_or_b64 exec, exec, s[0:1]
	v_or_b32_e32 v6, 0x400, v0
	v_cmp_gt_u32_e32 vcc, s33, v6
                                        ; implicit-def: $vgpr6
	s_and_saveexec_b64 s[0:1], vcc
	s_cbranch_execz .LBB467_13
; %bb.12:
	v_mov_b32_e32 v7, s12
	v_add_co_u32_e32 v6, vcc, s7, v1
	v_addc_co_u32_e32 v7, vcc, 0, v7, vcc
	flat_load_ushort v6, v[6:7] offset:2048
.LBB467_13:
	s_or_b64 exec, exec, s[0:1]
	v_or_b32_e32 v7, 0x500, v0
	v_cmp_gt_u32_e32 vcc, s33, v7
                                        ; implicit-def: $vgpr7
	s_and_saveexec_b64 s[0:1], vcc
	s_cbranch_execz .LBB467_15
; %bb.14:
	v_mov_b32_e32 v7, s12
	v_add_co_u32_e32 v8, vcc, s7, v1
	v_addc_co_u32_e32 v9, vcc, 0, v7, vcc
	flat_load_ushort v7, v[8:9] offset:2560
.LBB467_15:
	s_or_b64 exec, exec, s[0:1]
	v_or_b32_e32 v8, 0x600, v0
	v_cmp_gt_u32_e32 vcc, s33, v8
                                        ; implicit-def: $vgpr8
	s_and_saveexec_b64 s[0:1], vcc
	s_cbranch_execz .LBB467_17
; %bb.16:
	v_mov_b32_e32 v9, s12
	v_add_co_u32_e32 v8, vcc, s7, v1
	v_addc_co_u32_e32 v9, vcc, 0, v9, vcc
	flat_load_ushort v8, v[8:9] offset:3072
.LBB467_17:
	s_or_b64 exec, exec, s[0:1]
	v_or_b32_e32 v9, 0x700, v0
	v_cmp_gt_u32_e32 vcc, s33, v9
                                        ; implicit-def: $vgpr9
	s_and_saveexec_b64 s[0:1], vcc
	s_cbranch_execz .LBB467_19
; %bb.18:
	v_mov_b32_e32 v9, s12
	v_add_co_u32_e32 v10, vcc, s7, v1
	v_addc_co_u32_e32 v11, vcc, 0, v9, vcc
	flat_load_ushort v9, v[10:11] offset:3584
.LBB467_19:
	s_or_b64 exec, exec, s[0:1]
	v_or_b32_e32 v11, 0x800, v0
	v_cmp_gt_u32_e32 vcc, s33, v11
                                        ; implicit-def: $vgpr10
	s_and_saveexec_b64 s[0:1], vcc
	s_cbranch_execz .LBB467_21
; %bb.20:
	v_lshlrev_b32_e32 v10, 1, v11
	v_mov_b32_e32 v11, s12
	v_add_co_u32_e32 v10, vcc, s7, v10
	v_addc_co_u32_e32 v11, vcc, 0, v11, vcc
	flat_load_ushort v10, v[10:11]
.LBB467_21:
	s_or_b64 exec, exec, s[0:1]
	v_or_b32_e32 v12, 0x900, v0
	v_cmp_gt_u32_e32 vcc, s33, v12
                                        ; implicit-def: $vgpr11
	s_and_saveexec_b64 s[0:1], vcc
	s_cbranch_execz .LBB467_23
; %bb.22:
	v_lshlrev_b32_e32 v11, 1, v12
	v_mov_b32_e32 v13, s12
	v_add_co_u32_e32 v12, vcc, s7, v11
	v_addc_co_u32_e32 v13, vcc, 0, v13, vcc
	flat_load_ushort v11, v[12:13]
.LBB467_23:
	s_or_b64 exec, exec, s[0:1]
	v_or_b32_e32 v13, 0xa00, v0
	v_cmp_gt_u32_e32 vcc, s33, v13
                                        ; implicit-def: $vgpr12
	s_and_saveexec_b64 s[0:1], vcc
	s_cbranch_execz .LBB467_25
; %bb.24:
	v_lshlrev_b32_e32 v12, 1, v13
	v_mov_b32_e32 v13, s12
	v_add_co_u32_e32 v12, vcc, s7, v12
	v_addc_co_u32_e32 v13, vcc, 0, v13, vcc
	flat_load_ushort v12, v[12:13]
.LBB467_25:
	s_or_b64 exec, exec, s[0:1]
	v_or_b32_e32 v14, 0xb00, v0
	v_cmp_gt_u32_e32 vcc, s33, v14
                                        ; implicit-def: $vgpr13
	s_and_saveexec_b64 s[0:1], vcc
	s_cbranch_execz .LBB467_27
; %bb.26:
	v_lshlrev_b32_e32 v13, 1, v14
	v_mov_b32_e32 v15, s12
	v_add_co_u32_e32 v14, vcc, s7, v13
	v_addc_co_u32_e32 v15, vcc, 0, v15, vcc
	flat_load_ushort v13, v[14:15]
.LBB467_27:
	s_or_b64 exec, exec, s[0:1]
	v_or_b32_e32 v15, 0xc00, v0
	v_cmp_gt_u32_e32 vcc, s33, v15
                                        ; implicit-def: $vgpr14
	s_and_saveexec_b64 s[0:1], vcc
	s_cbranch_execz .LBB467_29
; %bb.28:
	v_lshlrev_b32_e32 v14, 1, v15
	v_mov_b32_e32 v15, s12
	v_add_co_u32_e32 v14, vcc, s7, v14
	v_addc_co_u32_e32 v15, vcc, 0, v15, vcc
	flat_load_ushort v14, v[14:15]
.LBB467_29:
	s_or_b64 exec, exec, s[0:1]
	v_or_b32_e32 v16, 0xd00, v0
	v_cmp_gt_u32_e32 vcc, s33, v16
                                        ; implicit-def: $vgpr15
	s_and_saveexec_b64 s[0:1], vcc
	s_cbranch_execz .LBB467_31
; %bb.30:
	v_lshlrev_b32_e32 v15, 1, v16
	v_mov_b32_e32 v17, s12
	v_add_co_u32_e32 v16, vcc, s7, v15
	v_addc_co_u32_e32 v17, vcc, 0, v17, vcc
	flat_load_ushort v15, v[16:17]
.LBB467_31:
	s_or_b64 exec, exec, s[0:1]
	v_or_b32_e32 v17, 0xe00, v0
	v_cmp_gt_u32_e32 vcc, s33, v17
                                        ; implicit-def: $vgpr16
	s_and_saveexec_b64 s[0:1], vcc
	s_cbranch_execz .LBB467_33
; %bb.32:
	v_lshlrev_b32_e32 v16, 1, v17
	v_mov_b32_e32 v17, s12
	v_add_co_u32_e32 v16, vcc, s7, v16
	v_addc_co_u32_e32 v17, vcc, 0, v17, vcc
	flat_load_ushort v16, v[16:17]
.LBB467_33:
	s_or_b64 exec, exec, s[0:1]
	v_or_b32_e32 v18, 0xf00, v0
	v_cmp_gt_u32_e32 vcc, s33, v18
                                        ; implicit-def: $vgpr17
	s_and_saveexec_b64 s[0:1], vcc
	s_cbranch_execz .LBB467_35
; %bb.34:
	v_lshlrev_b32_e32 v17, 1, v18
	v_mov_b32_e32 v19, s12
	v_add_co_u32_e32 v18, vcc, s7, v17
	v_addc_co_u32_e32 v19, vcc, 0, v19, vcc
	flat_load_ushort v17, v[18:19]
.LBB467_35:
	s_or_b64 exec, exec, s[0:1]
	v_or_b32_e32 v19, 0x1000, v0
	v_cmp_gt_u32_e32 vcc, s33, v19
                                        ; implicit-def: $vgpr18
	s_and_saveexec_b64 s[0:1], vcc
	s_cbranch_execz .LBB467_37
; %bb.36:
	v_lshlrev_b32_e32 v18, 1, v19
	v_mov_b32_e32 v19, s12
	v_add_co_u32_e32 v18, vcc, s7, v18
	v_addc_co_u32_e32 v19, vcc, 0, v19, vcc
	flat_load_ushort v18, v[18:19]
.LBB467_37:
	s_or_b64 exec, exec, s[0:1]
	v_or_b32_e32 v20, 0x1100, v0
	v_cmp_gt_u32_e32 vcc, s33, v20
                                        ; implicit-def: $vgpr19
	s_and_saveexec_b64 s[0:1], vcc
	s_cbranch_execz .LBB467_39
; %bb.38:
	v_lshlrev_b32_e32 v19, 1, v20
	v_mov_b32_e32 v21, s12
	v_add_co_u32_e32 v20, vcc, s7, v19
	v_addc_co_u32_e32 v21, vcc, 0, v21, vcc
	flat_load_ushort v19, v[20:21]
.LBB467_39:
	s_or_b64 exec, exec, s[0:1]
	v_or_b32_e32 v21, 0x1200, v0
	v_cmp_gt_u32_e32 vcc, s33, v21
                                        ; implicit-def: $vgpr20
	s_and_saveexec_b64 s[0:1], vcc
	s_cbranch_execz .LBB467_41
; %bb.40:
	v_lshlrev_b32_e32 v20, 1, v21
	v_mov_b32_e32 v21, s12
	v_add_co_u32_e32 v20, vcc, s7, v20
	v_addc_co_u32_e32 v21, vcc, 0, v21, vcc
	flat_load_ushort v20, v[20:21]
.LBB467_41:
	s_or_b64 exec, exec, s[0:1]
	v_or_b32_e32 v22, 0x1300, v0
	v_cmp_gt_u32_e32 vcc, s33, v22
                                        ; implicit-def: $vgpr21
	s_and_saveexec_b64 s[0:1], vcc
	s_cbranch_execz .LBB467_43
; %bb.42:
	v_lshlrev_b32_e32 v21, 1, v22
	v_mov_b32_e32 v23, s12
	v_add_co_u32_e32 v22, vcc, s7, v21
	v_addc_co_u32_e32 v23, vcc, 0, v23, vcc
	flat_load_ushort v21, v[22:23]
.LBB467_43:
	s_or_b64 exec, exec, s[0:1]
	s_waitcnt vmcnt(0) lgkmcnt(0)
	ds_write_b16 v1, v2
	ds_write_b16 v1, v3 offset:512
	ds_write_b16 v1, v4 offset:1024
	;; [unrolled: 1-line block ×19, first 2 shown]
	s_waitcnt lgkmcnt(0)
	s_barrier
.LBB467_44:
	v_mul_u32_u24_e32 v26, 20, v0
	v_lshlrev_b32_e32 v6, 1, v26
	s_waitcnt lgkmcnt(0)
	ds_read_b64 v[10:11], v6 offset:32
	ds_read2_b64 v[2:5], v6 offset0:2 offset1:3
	ds_read2_b64 v[6:9], v6 offset1:1
	s_add_u32 s0, s2, s8
	s_addc_u32 s1, s3, s9
	s_add_u32 s0, s0, s28
	s_addc_u32 s1, s1, s29
	s_mov_b64 s[2:3], -1
	s_and_b64 vcc, exec, s[24:25]
	s_waitcnt lgkmcnt(0)
	s_barrier
	s_cbranch_vccz .LBB467_46
; %bb.45:
	v_mov_b32_e32 v12, s1
	v_add_co_u32_e32 v14, vcc, s0, v1
	s_movk_i32 s2, 0x1000
	v_addc_co_u32_e32 v15, vcc, 0, v12, vcc
	v_add_co_u32_e32 v12, vcc, s2, v14
	s_movk_i32 s3, 0x2000
	v_addc_co_u32_e32 v13, vcc, 0, v15, vcc
	global_load_ubyte v16, v1, s[0:1]
	global_load_ubyte v17, v1, s[0:1] offset:512
	global_load_ubyte v18, v1, s[0:1] offset:1024
	global_load_ubyte v19, v1, s[0:1] offset:1536
	global_load_ubyte v20, v1, s[0:1] offset:2048
	global_load_ubyte v21, v1, s[0:1] offset:2560
	global_load_ubyte v22, v1, s[0:1] offset:3072
	global_load_ubyte v23, v1, s[0:1] offset:3584
	v_add_co_u32_e32 v14, vcc, s3, v14
	v_addc_co_u32_e32 v15, vcc, 0, v15, vcc
	global_load_ubyte v24, v[14:15], off offset:-4096
	global_load_ubyte v25, v[12:13], off offset:512
	global_load_ubyte v27, v[12:13], off offset:1024
	;; [unrolled: 1-line block ×7, first 2 shown]
	global_load_ubyte v33, v[14:15], off
	global_load_ubyte v34, v[14:15], off offset:512
	global_load_ubyte v35, v[14:15], off offset:1024
	;; [unrolled: 1-line block ×3, first 2 shown]
	s_mov_b64 s[2:3], 0
	s_waitcnt vmcnt(19)
	v_xor_b32_e32 v12, -1, v16
	s_waitcnt vmcnt(18)
	v_xor_b32_e32 v13, -1, v17
	;; [unrolled: 2-line block ×8, first 2 shown]
	v_and_b32_e32 v12, 1, v12
	v_and_b32_e32 v13, 1, v13
	;; [unrolled: 1-line block ×8, first 2 shown]
	ds_write_b8 v0, v12
	ds_write_b8 v0, v13 offset:256
	ds_write_b8 v0, v14 offset:512
	;; [unrolled: 1-line block ×7, first 2 shown]
	s_waitcnt vmcnt(11)
	v_xor_b32_e32 v12, -1, v24
	s_waitcnt vmcnt(10)
	v_xor_b32_e32 v13, -1, v25
	;; [unrolled: 2-line block ×12, first 2 shown]
	v_and_b32_e32 v12, 1, v12
	v_and_b32_e32 v13, 1, v13
	;; [unrolled: 1-line block ×12, first 2 shown]
	ds_write_b8 v0, v12 offset:2048
	ds_write_b8 v0, v13 offset:2304
	;; [unrolled: 1-line block ×12, first 2 shown]
	s_waitcnt lgkmcnt(0)
	s_barrier
.LBB467_46:
	s_load_dwordx2 s[34:35], s[4:5], 0x70
	s_andn2_b64 vcc, exec, s[2:3]
	s_cbranch_vccnz .LBB467_88
; %bb.47:
	v_cmp_gt_u32_e32 vcc, s33, v0
	v_mov_b32_e32 v12, 0
	v_mov_b32_e32 v13, 0
	s_and_saveexec_b64 s[2:3], vcc
	s_cbranch_execz .LBB467_49
; %bb.48:
	global_load_ubyte v13, v1, s[0:1]
	s_waitcnt vmcnt(0)
	v_xor_b32_e32 v13, -1, v13
	v_and_b32_e32 v13, 1, v13
.LBB467_49:
	s_or_b64 exec, exec, s[2:3]
	v_or_b32_e32 v14, 0x100, v0
	v_cmp_gt_u32_e32 vcc, s33, v14
	s_and_saveexec_b64 s[2:3], vcc
	s_cbranch_execz .LBB467_51
; %bb.50:
	global_load_ubyte v12, v1, s[0:1] offset:512
	s_waitcnt vmcnt(0)
	v_xor_b32_e32 v12, -1, v12
	v_and_b32_e32 v12, 1, v12
.LBB467_51:
	s_or_b64 exec, exec, s[2:3]
	v_or_b32_e32 v14, 0x200, v0
	v_cmp_gt_u32_e32 vcc, s33, v14
	v_mov_b32_e32 v14, 0
	v_mov_b32_e32 v15, 0
	s_and_saveexec_b64 s[2:3], vcc
	s_cbranch_execz .LBB467_53
; %bb.52:
	global_load_ubyte v15, v1, s[0:1] offset:1024
	s_waitcnt vmcnt(0)
	v_xor_b32_e32 v15, -1, v15
	v_and_b32_e32 v15, 1, v15
.LBB467_53:
	s_or_b64 exec, exec, s[2:3]
	v_or_b32_e32 v16, 0x300, v0
	v_cmp_gt_u32_e32 vcc, s33, v16
	s_and_saveexec_b64 s[2:3], vcc
	s_cbranch_execz .LBB467_55
; %bb.54:
	global_load_ubyte v14, v1, s[0:1] offset:1536
	s_waitcnt vmcnt(0)
	v_xor_b32_e32 v14, -1, v14
	v_and_b32_e32 v14, 1, v14
.LBB467_55:
	s_or_b64 exec, exec, s[2:3]
	v_or_b32_e32 v16, 0x400, v0
	v_cmp_gt_u32_e32 vcc, s33, v16
	v_mov_b32_e32 v16, 0
	v_mov_b32_e32 v17, 0
	s_and_saveexec_b64 s[2:3], vcc
	s_cbranch_execz .LBB467_57
; %bb.56:
	global_load_ubyte v17, v1, s[0:1] offset:2048
	s_waitcnt vmcnt(0)
	v_xor_b32_e32 v17, -1, v17
	v_and_b32_e32 v17, 1, v17
.LBB467_57:
	;; [unrolled: 24-line block ×3, first 2 shown]
	s_or_b64 exec, exec, s[2:3]
	v_or_b32_e32 v20, 0x700, v0
	v_cmp_gt_u32_e32 vcc, s33, v20
	s_and_saveexec_b64 s[2:3], vcc
	s_cbranch_execz .LBB467_63
; %bb.62:
	global_load_ubyte v18, v1, s[0:1] offset:3584
	s_waitcnt vmcnt(0)
	v_xor_b32_e32 v18, -1, v18
	v_and_b32_e32 v18, 1, v18
.LBB467_63:
	s_or_b64 exec, exec, s[2:3]
	v_or_b32_e32 v22, 0x800, v0
	v_cmp_gt_u32_e32 vcc, s33, v22
	v_mov_b32_e32 v20, 0
	v_mov_b32_e32 v21, 0
	s_and_saveexec_b64 s[2:3], vcc
	s_cbranch_execz .LBB467_65
; %bb.64:
	v_lshlrev_b32_e32 v21, 1, v22
	global_load_ubyte v21, v21, s[0:1]
	s_waitcnt vmcnt(0)
	v_xor_b32_e32 v21, -1, v21
	v_and_b32_e32 v21, 1, v21
.LBB467_65:
	s_or_b64 exec, exec, s[2:3]
	v_or_b32_e32 v22, 0x900, v0
	v_cmp_gt_u32_e32 vcc, s33, v22
	s_and_saveexec_b64 s[2:3], vcc
	s_cbranch_execz .LBB467_67
; %bb.66:
	v_lshlrev_b32_e32 v20, 1, v22
	global_load_ubyte v20, v20, s[0:1]
	s_waitcnt vmcnt(0)
	v_xor_b32_e32 v20, -1, v20
	v_and_b32_e32 v20, 1, v20
.LBB467_67:
	s_or_b64 exec, exec, s[2:3]
	v_or_b32_e32 v24, 0xa00, v0
	v_cmp_gt_u32_e32 vcc, s33, v24
	v_mov_b32_e32 v22, 0
	v_mov_b32_e32 v23, 0
	s_and_saveexec_b64 s[2:3], vcc
	s_cbranch_execz .LBB467_69
; %bb.68:
	v_lshlrev_b32_e32 v23, 1, v24
	global_load_ubyte v23, v23, s[0:1]
	s_waitcnt vmcnt(0)
	v_xor_b32_e32 v23, -1, v23
	v_and_b32_e32 v23, 1, v23
.LBB467_69:
	s_or_b64 exec, exec, s[2:3]
	v_or_b32_e32 v24, 0xb00, v0
	v_cmp_gt_u32_e32 vcc, s33, v24
	s_and_saveexec_b64 s[2:3], vcc
	s_cbranch_execz .LBB467_71
; %bb.70:
	v_lshlrev_b32_e32 v22, 1, v24
	global_load_ubyte v22, v22, s[0:1]
	s_waitcnt vmcnt(0)
	v_xor_b32_e32 v22, -1, v22
	v_and_b32_e32 v22, 1, v22
.LBB467_71:
	;; [unrolled: 26-line block ×6, first 2 shown]
	s_or_b64 exec, exec, s[2:3]
	ds_write_b8 v0, v13
	ds_write_b8 v0, v12 offset:256
	ds_write_b8 v0, v15 offset:512
	;; [unrolled: 1-line block ×19, first 2 shown]
	s_waitcnt lgkmcnt(0)
	s_barrier
.LBB467_88:
	s_waitcnt lgkmcnt(0)
	ds_read2_b32 v[16:17], v26 offset1:1
	ds_read2_b32 v[14:15], v26 offset0:2 offset1:3
	ds_read_b32 v28, v26 offset:16
	s_cmp_lg_u32 s6, 0
	v_lshrrev_b32_e32 v47, 6, v0
	s_waitcnt lgkmcnt(2)
	v_lshrrev_b32_e32 v33, 24, v16
	v_bfe_u32 v45, v16, 16, 8
	v_add_u32_sdwa v12, v16, v16 dst_sel:DWORD dst_unused:UNUSED_PAD src0_sel:BYTE_1 src1_sel:BYTE_0
	v_and_b32_e32 v42, 0xff, v17
	v_bfe_u32 v43, v17, 8, 8
	v_add3_u32 v12, v12, v45, v33
	v_lshrrev_b32_e32 v32, 24, v17
	v_bfe_u32 v44, v17, 16, 8
	v_add3_u32 v12, v12, v42, v43
	s_waitcnt lgkmcnt(1)
	v_and_b32_e32 v39, 0xff, v14
	v_bfe_u32 v40, v14, 8, 8
	v_add3_u32 v12, v12, v44, v32
	v_lshrrev_b32_e32 v31, 24, v14
	v_bfe_u32 v41, v14, 16, 8
	v_add3_u32 v12, v12, v39, v40
	v_and_b32_e32 v36, 0xff, v15
	v_bfe_u32 v37, v15, 8, 8
	v_add3_u32 v12, v12, v41, v31
	v_lshrrev_b32_e32 v30, 24, v15
	v_bfe_u32 v38, v15, 16, 8
	v_add3_u32 v12, v12, v36, v37
	s_waitcnt lgkmcnt(0)
	v_and_b32_e32 v34, 0xff, v28
	v_bfe_u32 v35, v28, 8, 8
	v_add3_u32 v12, v12, v38, v30
	v_lshrrev_b32_e32 v27, 24, v28
	v_bfe_u32 v29, v28, 16, 8
	v_add3_u32 v12, v12, v34, v35
	v_add3_u32 v48, v12, v29, v27
	v_mbcnt_lo_u32_b32 v12, -1, 0
	v_mbcnt_hi_u32_b32 v46, -1, v12
	v_and_b32_e32 v12, 15, v46
	v_cmp_eq_u32_e64 s[14:15], 0, v12
	v_cmp_lt_u32_e64 s[12:13], 1, v12
	v_cmp_lt_u32_e64 s[10:11], 3, v12
	;; [unrolled: 1-line block ×3, first 2 shown]
	v_and_b32_e32 v12, 16, v46
	v_cmp_eq_u32_e64 s[18:19], 0, v12
	v_or_b32_e32 v12, 63, v0
	v_cmp_lt_u32_e64 s[0:1], 31, v46
	v_cmp_eq_u32_e64 s[2:3], v12, v0
	s_barrier
	s_cbranch_scc0 .LBB467_119
; %bb.89:
	v_mov_b32_dpp v12, v48 row_shr:1 row_mask:0xf bank_mask:0xf
	v_cndmask_b32_e64 v12, v12, 0, s[14:15]
	v_add_u32_e32 v12, v12, v48
	s_nop 1
	v_mov_b32_dpp v13, v12 row_shr:2 row_mask:0xf bank_mask:0xf
	v_cndmask_b32_e64 v13, 0, v13, s[12:13]
	v_add_u32_e32 v12, v12, v13
	s_nop 1
	;; [unrolled: 4-line block ×4, first 2 shown]
	v_mov_b32_dpp v13, v12 row_bcast:15 row_mask:0xf bank_mask:0xf
	v_cndmask_b32_e64 v13, v13, 0, s[18:19]
	v_add_u32_e32 v12, v12, v13
	s_nop 1
	v_mov_b32_dpp v13, v12 row_bcast:31 row_mask:0xf bank_mask:0xf
	v_cndmask_b32_e64 v13, 0, v13, s[0:1]
	v_add_u32_e32 v12, v12, v13
	s_and_saveexec_b64 s[16:17], s[2:3]
	s_cbranch_execz .LBB467_91
; %bb.90:
	v_lshlrev_b32_e32 v13, 2, v47
	ds_write_b32 v13, v12
.LBB467_91:
	s_or_b64 exec, exec, s[16:17]
	v_cmp_gt_u32_e32 vcc, 4, v0
	s_waitcnt lgkmcnt(0)
	s_barrier
	s_and_saveexec_b64 s[16:17], vcc
	s_cbranch_execz .LBB467_93
; %bb.92:
	v_lshlrev_b32_e32 v13, 2, v0
	ds_read_b32 v18, v13
	v_and_b32_e32 v19, 3, v46
	v_cmp_ne_u32_e32 vcc, 0, v19
	s_waitcnt lgkmcnt(0)
	v_mov_b32_dpp v20, v18 row_shr:1 row_mask:0xf bank_mask:0xf
	v_cndmask_b32_e32 v20, 0, v20, vcc
	v_add_u32_e32 v18, v20, v18
	v_cmp_lt_u32_e32 vcc, 1, v19
	s_nop 0
	v_mov_b32_dpp v20, v18 row_shr:2 row_mask:0xf bank_mask:0xf
	v_cndmask_b32_e32 v19, 0, v20, vcc
	v_add_u32_e32 v18, v18, v19
	ds_write_b32 v13, v18
.LBB467_93:
	s_or_b64 exec, exec, s[16:17]
	v_cmp_gt_u32_e32 vcc, 64, v0
	v_cmp_lt_u32_e64 s[16:17], 63, v0
	s_waitcnt lgkmcnt(0)
	s_barrier
	s_waitcnt lgkmcnt(0)
                                        ; implicit-def: $vgpr49
	s_and_saveexec_b64 s[36:37], s[16:17]
	s_cbranch_execz .LBB467_95
; %bb.94:
	v_lshl_add_u32 v13, v47, 2, -4
	ds_read_b32 v49, v13
	s_waitcnt lgkmcnt(0)
	v_add_u32_e32 v12, v49, v12
.LBB467_95:
	s_or_b64 exec, exec, s[36:37]
	v_add_u32_e32 v13, -1, v46
	v_and_b32_e32 v18, 64, v46
	v_cmp_lt_i32_e64 s[16:17], v13, v18
	v_cndmask_b32_e64 v13, v13, v46, s[16:17]
	v_lshlrev_b32_e32 v13, 2, v13
	ds_bpermute_b32 v50, v13, v12
	v_cmp_eq_u32_e64 s[16:17], 0, v46
	s_and_saveexec_b64 s[36:37], vcc
	s_cbranch_execz .LBB467_118
; %bb.96:
	v_mov_b32_e32 v25, 0
	ds_read_b32 v12, v25 offset:12
	s_and_saveexec_b64 s[38:39], s[16:17]
	s_cbranch_execz .LBB467_98
; %bb.97:
	s_add_i32 s40, s6, 64
	s_mov_b32 s41, 0
	s_lshl_b64 s[40:41], s[40:41], 3
	s_add_u32 s40, s34, s40
	v_mov_b32_e32 v13, 1
	s_addc_u32 s41, s35, s41
	s_waitcnt lgkmcnt(0)
	global_store_dwordx2 v25, v[12:13], s[40:41]
.LBB467_98:
	s_or_b64 exec, exec, s[38:39]
	v_xad_u32 v18, v46, -1, s6
	v_add_u32_e32 v24, 64, v18
	v_lshlrev_b64 v[20:21], 3, v[24:25]
	v_mov_b32_e32 v13, s35
	v_add_co_u32_e32 v20, vcc, s34, v20
	v_addc_co_u32_e32 v21, vcc, v13, v21, vcc
	global_load_dwordx2 v[22:23], v[20:21], off glc
	s_waitcnt vmcnt(0)
	v_cmp_eq_u16_sdwa s[40:41], v23, v25 src0_sel:BYTE_0 src1_sel:DWORD
	s_and_saveexec_b64 s[38:39], s[40:41]
	s_cbranch_execz .LBB467_104
; %bb.99:
	s_mov_b32 s7, 1
	s_mov_b64 s[40:41], 0
	v_mov_b32_e32 v13, 0
.LBB467_100:                            ; =>This Loop Header: Depth=1
                                        ;     Child Loop BB467_101 Depth 2
	s_max_u32 s42, s7, 1
.LBB467_101:                            ;   Parent Loop BB467_100 Depth=1
                                        ; =>  This Inner Loop Header: Depth=2
	s_add_i32 s42, s42, -1
	s_cmp_eq_u32 s42, 0
	s_sleep 1
	s_cbranch_scc0 .LBB467_101
; %bb.102:                              ;   in Loop: Header=BB467_100 Depth=1
	global_load_dwordx2 v[22:23], v[20:21], off glc
	s_cmp_lt_u32 s7, 32
	s_cselect_b64 s[42:43], -1, 0
	s_cmp_lg_u64 s[42:43], 0
	s_addc_u32 s7, s7, 0
	s_waitcnt vmcnt(0)
	v_cmp_ne_u16_sdwa s[42:43], v23, v13 src0_sel:BYTE_0 src1_sel:DWORD
	s_or_b64 s[40:41], s[42:43], s[40:41]
	s_andn2_b64 exec, exec, s[40:41]
	s_cbranch_execnz .LBB467_100
; %bb.103:
	s_or_b64 exec, exec, s[40:41]
.LBB467_104:
	s_or_b64 exec, exec, s[38:39]
	v_and_b32_e32 v52, 63, v46
	v_mov_b32_e32 v51, 2
	v_cmp_ne_u32_e32 vcc, 63, v52
	v_cmp_eq_u16_sdwa s[38:39], v23, v51 src0_sel:BYTE_0 src1_sel:DWORD
	v_lshlrev_b64 v[20:21], v46, -1
	v_addc_co_u32_e32 v24, vcc, 0, v46, vcc
	v_and_b32_e32 v13, s39, v21
	v_lshlrev_b32_e32 v53, 2, v24
	v_or_b32_e32 v13, 0x80000000, v13
	ds_bpermute_b32 v24, v53, v22
	v_and_b32_e32 v19, s38, v20
	v_ffbl_b32_e32 v13, v13
	v_add_u32_e32 v13, 32, v13
	v_ffbl_b32_e32 v19, v19
	v_min_u32_e32 v13, v19, v13
	v_cmp_lt_u32_e32 vcc, v52, v13
	s_waitcnt lgkmcnt(0)
	v_cndmask_b32_e32 v19, 0, v24, vcc
	v_cmp_gt_u32_e32 vcc, 62, v52
	v_add_u32_e32 v19, v19, v22
	v_cndmask_b32_e64 v22, 0, 1, vcc
	v_lshlrev_b32_e32 v22, 1, v22
	v_add_lshl_u32 v54, v22, v46, 2
	ds_bpermute_b32 v22, v54, v19
	v_add_u32_e32 v55, 2, v52
	v_cmp_le_u32_e32 vcc, v55, v13
	v_add_u32_e32 v57, 4, v52
	v_add_u32_e32 v59, 8, v52
	s_waitcnt lgkmcnt(0)
	v_cndmask_b32_e32 v22, 0, v22, vcc
	v_cmp_gt_u32_e32 vcc, 60, v52
	v_add_u32_e32 v19, v19, v22
	v_cndmask_b32_e64 v22, 0, 1, vcc
	v_lshlrev_b32_e32 v22, 2, v22
	v_add_lshl_u32 v56, v22, v46, 2
	ds_bpermute_b32 v22, v56, v19
	v_cmp_le_u32_e32 vcc, v57, v13
	v_add_u32_e32 v61, 16, v52
	v_add_u32_e32 v63, 32, v52
	s_waitcnt lgkmcnt(0)
	v_cndmask_b32_e32 v22, 0, v22, vcc
	v_cmp_gt_u32_e32 vcc, 56, v52
	v_add_u32_e32 v19, v19, v22
	v_cndmask_b32_e64 v22, 0, 1, vcc
	v_lshlrev_b32_e32 v22, 3, v22
	v_add_lshl_u32 v58, v22, v46, 2
	ds_bpermute_b32 v22, v58, v19
	v_cmp_le_u32_e32 vcc, v59, v13
	s_waitcnt lgkmcnt(0)
	v_cndmask_b32_e32 v22, 0, v22, vcc
	v_cmp_gt_u32_e32 vcc, 48, v52
	v_add_u32_e32 v19, v19, v22
	v_cndmask_b32_e64 v22, 0, 1, vcc
	v_lshlrev_b32_e32 v22, 4, v22
	v_add_lshl_u32 v60, v22, v46, 2
	ds_bpermute_b32 v22, v60, v19
	v_cmp_le_u32_e32 vcc, v61, v13
	;; [unrolled: 9-line block ×3, first 2 shown]
	s_waitcnt lgkmcnt(0)
	v_cndmask_b32_e32 v13, 0, v22, vcc
	v_add_u32_e32 v22, v19, v13
	v_mov_b32_e32 v19, 0
	s_branch .LBB467_106
.LBB467_105:                            ;   in Loop: Header=BB467_106 Depth=1
	s_or_b64 exec, exec, s[38:39]
	v_cmp_eq_u16_sdwa s[38:39], v23, v51 src0_sel:BYTE_0 src1_sel:DWORD
	v_and_b32_e32 v24, s39, v21
	v_or_b32_e32 v24, 0x80000000, v24
	ds_bpermute_b32 v64, v53, v22
	v_and_b32_e32 v25, s38, v20
	v_ffbl_b32_e32 v24, v24
	v_add_u32_e32 v24, 32, v24
	v_ffbl_b32_e32 v25, v25
	v_min_u32_e32 v24, v25, v24
	v_cmp_lt_u32_e32 vcc, v52, v24
	s_waitcnt lgkmcnt(0)
	v_cndmask_b32_e32 v25, 0, v64, vcc
	v_add_u32_e32 v22, v25, v22
	ds_bpermute_b32 v25, v54, v22
	v_cmp_le_u32_e32 vcc, v55, v24
	v_subrev_u32_e32 v18, 64, v18
	s_waitcnt lgkmcnt(0)
	v_cndmask_b32_e32 v25, 0, v25, vcc
	v_add_u32_e32 v22, v22, v25
	ds_bpermute_b32 v25, v56, v22
	v_cmp_le_u32_e32 vcc, v57, v24
	s_waitcnt lgkmcnt(0)
	v_cndmask_b32_e32 v25, 0, v25, vcc
	v_add_u32_e32 v22, v22, v25
	ds_bpermute_b32 v25, v58, v22
	v_cmp_le_u32_e32 vcc, v59, v24
	;; [unrolled: 5-line block ×4, first 2 shown]
	s_waitcnt lgkmcnt(0)
	v_cndmask_b32_e32 v24, 0, v25, vcc
	v_add3_u32 v22, v24, v13, v22
.LBB467_106:                            ; =>This Loop Header: Depth=1
                                        ;     Child Loop BB467_109 Depth 2
                                        ;       Child Loop BB467_110 Depth 3
	v_cmp_ne_u16_sdwa s[38:39], v23, v51 src0_sel:BYTE_0 src1_sel:DWORD
	v_cndmask_b32_e64 v13, 0, 1, s[38:39]
	;;#ASMSTART
	;;#ASMEND
	v_cmp_ne_u32_e32 vcc, 0, v13
	s_cmp_lg_u64 vcc, exec
	v_mov_b32_e32 v13, v22
	s_cbranch_scc1 .LBB467_113
; %bb.107:                              ;   in Loop: Header=BB467_106 Depth=1
	v_lshlrev_b64 v[22:23], 3, v[18:19]
	v_mov_b32_e32 v25, s35
	v_add_co_u32_e32 v24, vcc, s34, v22
	v_addc_co_u32_e32 v25, vcc, v25, v23, vcc
	global_load_dwordx2 v[22:23], v[24:25], off glc
	s_waitcnt vmcnt(0)
	v_cmp_eq_u16_sdwa s[40:41], v23, v19 src0_sel:BYTE_0 src1_sel:DWORD
	s_and_saveexec_b64 s[38:39], s[40:41]
	s_cbranch_execz .LBB467_105
; %bb.108:                              ;   in Loop: Header=BB467_106 Depth=1
	s_mov_b32 s7, 1
	s_mov_b64 s[40:41], 0
.LBB467_109:                            ;   Parent Loop BB467_106 Depth=1
                                        ; =>  This Loop Header: Depth=2
                                        ;       Child Loop BB467_110 Depth 3
	s_max_u32 s42, s7, 1
.LBB467_110:                            ;   Parent Loop BB467_106 Depth=1
                                        ;     Parent Loop BB467_109 Depth=2
                                        ; =>    This Inner Loop Header: Depth=3
	s_add_i32 s42, s42, -1
	s_cmp_eq_u32 s42, 0
	s_sleep 1
	s_cbranch_scc0 .LBB467_110
; %bb.111:                              ;   in Loop: Header=BB467_109 Depth=2
	global_load_dwordx2 v[22:23], v[24:25], off glc
	s_cmp_lt_u32 s7, 32
	s_cselect_b64 s[42:43], -1, 0
	s_cmp_lg_u64 s[42:43], 0
	s_addc_u32 s7, s7, 0
	s_waitcnt vmcnt(0)
	v_cmp_ne_u16_sdwa s[42:43], v23, v19 src0_sel:BYTE_0 src1_sel:DWORD
	s_or_b64 s[40:41], s[42:43], s[40:41]
	s_andn2_b64 exec, exec, s[40:41]
	s_cbranch_execnz .LBB467_109
; %bb.112:                              ;   in Loop: Header=BB467_106 Depth=1
	s_or_b64 exec, exec, s[40:41]
	s_branch .LBB467_105
.LBB467_113:                            ;   in Loop: Header=BB467_106 Depth=1
                                        ; implicit-def: $vgpr22
                                        ; implicit-def: $vgpr23
	s_cbranch_execz .LBB467_106
; %bb.114:
	s_and_saveexec_b64 s[38:39], s[16:17]
	s_cbranch_execz .LBB467_116
; %bb.115:
	s_add_i32 s6, s6, 64
	s_mov_b32 s7, 0
	s_lshl_b64 s[6:7], s[6:7], 3
	s_add_u32 s6, s34, s6
	v_add_u32_e32 v18, v13, v12
	v_mov_b32_e32 v19, 2
	s_addc_u32 s7, s35, s7
	v_mov_b32_e32 v20, 0
	global_store_dwordx2 v20, v[18:19], s[6:7]
	ds_write_b64 v20, v[12:13] offset:10240
.LBB467_116:
	s_or_b64 exec, exec, s[38:39]
	v_cmp_eq_u32_e32 vcc, 0, v0
	s_and_b64 exec, exec, vcc
	s_cbranch_execz .LBB467_118
; %bb.117:
	v_mov_b32_e32 v12, 0
	ds_write_b32 v12, v13 offset:12
.LBB467_118:
	s_or_b64 exec, exec, s[36:37]
	v_mov_b32_e32 v12, 0
	s_waitcnt lgkmcnt(0)
	s_barrier
	ds_read_b32 v19, v12 offset:12
	s_waitcnt lgkmcnt(0)
	s_barrier
	ds_read_b64 v[12:13], v12 offset:10240
	v_cndmask_b32_e64 v18, v50, v49, s[16:17]
	v_cmp_ne_u32_e32 vcc, 0, v0
	v_cndmask_b32_e32 v18, 0, v18, vcc
	v_add_u32_e32 v22, v19, v18
	s_branch .LBB467_129
.LBB467_119:
                                        ; implicit-def: $vgpr13
                                        ; implicit-def: $vgpr22
	s_cbranch_execz .LBB467_129
; %bb.120:
	s_waitcnt lgkmcnt(0)
	v_mov_b32_dpp v12, v48 row_shr:1 row_mask:0xf bank_mask:0xf
	v_cndmask_b32_e64 v12, v12, 0, s[14:15]
	v_add_u32_e32 v12, v12, v48
	s_nop 1
	v_mov_b32_dpp v13, v12 row_shr:2 row_mask:0xf bank_mask:0xf
	v_cndmask_b32_e64 v13, 0, v13, s[12:13]
	v_add_u32_e32 v12, v12, v13
	s_nop 1
	;; [unrolled: 4-line block ×4, first 2 shown]
	v_mov_b32_dpp v13, v12 row_bcast:15 row_mask:0xf bank_mask:0xf
	v_cndmask_b32_e64 v13, v13, 0, s[18:19]
	v_add_u32_e32 v12, v12, v13
	s_nop 1
	v_mov_b32_dpp v13, v12 row_bcast:31 row_mask:0xf bank_mask:0xf
	v_cndmask_b32_e64 v13, 0, v13, s[0:1]
	v_add_u32_e32 v12, v12, v13
	s_and_saveexec_b64 s[0:1], s[2:3]
	s_cbranch_execz .LBB467_122
; %bb.121:
	v_lshlrev_b32_e32 v13, 2, v47
	ds_write_b32 v13, v12
.LBB467_122:
	s_or_b64 exec, exec, s[0:1]
	v_cmp_gt_u32_e32 vcc, 4, v0
	s_waitcnt lgkmcnt(0)
	s_barrier
	s_and_saveexec_b64 s[0:1], vcc
	s_cbranch_execz .LBB467_124
; %bb.123:
	v_lshlrev_b32_e32 v13, 2, v0
	ds_read_b32 v18, v13
	v_and_b32_e32 v19, 3, v46
	v_cmp_ne_u32_e32 vcc, 0, v19
	s_waitcnt lgkmcnt(0)
	v_mov_b32_dpp v20, v18 row_shr:1 row_mask:0xf bank_mask:0xf
	v_cndmask_b32_e32 v20, 0, v20, vcc
	v_add_u32_e32 v18, v20, v18
	v_cmp_lt_u32_e32 vcc, 1, v19
	s_nop 0
	v_mov_b32_dpp v20, v18 row_shr:2 row_mask:0xf bank_mask:0xf
	v_cndmask_b32_e32 v19, 0, v20, vcc
	v_add_u32_e32 v18, v18, v19
	ds_write_b32 v13, v18
.LBB467_124:
	s_or_b64 exec, exec, s[0:1]
	v_cmp_lt_u32_e32 vcc, 63, v0
	v_mov_b32_e32 v13, 0
	v_mov_b32_e32 v18, 0
	s_waitcnt lgkmcnt(0)
	s_barrier
	s_and_saveexec_b64 s[0:1], vcc
	s_cbranch_execz .LBB467_126
; %bb.125:
	v_lshl_add_u32 v18, v47, 2, -4
	ds_read_b32 v18, v18
.LBB467_126:
	s_or_b64 exec, exec, s[0:1]
	v_add_u32_e32 v19, -1, v46
	v_and_b32_e32 v20, 64, v46
	v_cmp_lt_i32_e32 vcc, v19, v20
	v_cndmask_b32_e32 v19, v19, v46, vcc
	s_waitcnt lgkmcnt(0)
	v_add_u32_e32 v12, v18, v12
	v_lshlrev_b32_e32 v19, 2, v19
	ds_bpermute_b32 v19, v19, v12
	ds_read_b32 v12, v13 offset:12
	v_cmp_eq_u32_e32 vcc, 0, v0
	s_and_saveexec_b64 s[0:1], vcc
	s_cbranch_execz .LBB467_128
; %bb.127:
	v_mov_b32_e32 v20, 0
	v_mov_b32_e32 v13, 2
	s_waitcnt lgkmcnt(0)
	global_store_dwordx2 v20, v[12:13], s[34:35] offset:512
.LBB467_128:
	s_or_b64 exec, exec, s[0:1]
	v_cmp_eq_u32_e64 s[0:1], 0, v46
	s_waitcnt lgkmcnt(1)
	v_cndmask_b32_e64 v18, v19, v18, s[0:1]
	v_mov_b32_e32 v13, 0
	v_cndmask_b32_e64 v22, v18, 0, vcc
	s_waitcnt lgkmcnt(0)
	s_barrier
.LBB467_129:
	v_add_u32_sdwa v24, v22, v16 dst_sel:DWORD dst_unused:UNUSED_PAD src0_sel:DWORD src1_sel:BYTE_0
	s_waitcnt lgkmcnt(0)
	v_add_u32_e32 v26, v12, v26
	v_sub_u32_e32 v22, v22, v13
	v_and_b32_e32 v51, 1, v16
	v_sub_u32_e32 v50, v26, v22
	v_cmp_eq_u32_e32 vcc, 1, v51
	v_cndmask_b32_e32 v22, v50, v22, vcc
	v_lshlrev_b32_e32 v22, 1, v22
	v_lshrrev_b32_e32 v23, 8, v16
	ds_write_b16 v22, v6
	v_sub_u32_e32 v22, v24, v13
	v_add_u32_sdwa v25, v24, v16 dst_sel:DWORD dst_unused:UNUSED_PAD src0_sel:DWORD src1_sel:BYTE_1
	v_sub_u32_e32 v24, v26, v22
	v_and_b32_e32 v23, 1, v23
	v_add_u32_e32 v24, 1, v24
	v_cmp_eq_u32_e32 vcc, 1, v23
	v_cndmask_b32_e32 v22, v24, v22, vcc
	v_lshlrev_b32_e32 v22, 1, v22
	ds_write_b16_d16_hi v22, v6
	v_sub_u32_e32 v6, v25, v13
	v_mov_b32_e32 v23, 1
	v_sub_u32_e32 v22, v26, v6
	v_and_b32_sdwa v16, v23, v16 dst_sel:DWORD dst_unused:UNUSED_PAD src0_sel:DWORD src1_sel:WORD_1
	v_add_u32_e32 v22, 2, v22
	v_cmp_eq_u32_e32 vcc, 1, v16
	v_cndmask_b32_e32 v6, v22, v6, vcc
	v_add_u32_e32 v45, v25, v45
	v_lshlrev_b32_e32 v6, 1, v6
	ds_write_b16 v6, v7
	v_sub_u32_e32 v6, v45, v13
	v_sub_u32_e32 v16, v26, v6
	v_and_b32_e32 v22, 1, v33
	v_add_u32_e32 v16, 3, v16
	v_cmp_eq_u32_e32 vcc, 1, v22
	v_cndmask_b32_e32 v6, v16, v6, vcc
	v_add_u32_e32 v46, v45, v33
	v_lshlrev_b32_e32 v6, 1, v6
	ds_write_b16_d16_hi v6, v7
	v_sub_u32_e32 v6, v46, v13
	v_sub_u32_e32 v7, v26, v6
	v_and_b32_e32 v16, 1, v17
	v_add_u32_e32 v7, 4, v7
	v_cmp_eq_u32_e32 vcc, 1, v16
	v_cndmask_b32_e32 v6, v7, v6, vcc
	v_add_u32_e32 v42, v46, v42
	v_lshlrev_b32_e32 v6, 1, v6
	v_lshrrev_b32_e32 v21, 8, v17
	ds_write_b16 v6, v8
	v_sub_u32_e32 v6, v42, v13
	v_sub_u32_e32 v7, v26, v6
	v_and_b32_e32 v16, 1, v21
	v_add_u32_e32 v7, 5, v7
	v_cmp_eq_u32_e32 vcc, 1, v16
	v_cndmask_b32_e32 v6, v7, v6, vcc
	v_add_u32_e32 v43, v42, v43
	v_lshlrev_b32_e32 v6, 1, v6
	ds_write_b16_d16_hi v6, v8
	v_sub_u32_e32 v6, v43, v13
	v_sub_u32_e32 v7, v26, v6
	v_and_b32_sdwa v8, v23, v17 dst_sel:DWORD dst_unused:UNUSED_PAD src0_sel:DWORD src1_sel:WORD_1
	v_add_u32_e32 v7, 6, v7
	v_cmp_eq_u32_e32 vcc, 1, v8
	v_cndmask_b32_e32 v6, v7, v6, vcc
	v_add_u32_e32 v44, v43, v44
	v_lshlrev_b32_e32 v6, 1, v6
	ds_write_b16 v6, v9
	v_sub_u32_e32 v6, v44, v13
	v_sub_u32_e32 v7, v26, v6
	v_and_b32_e32 v8, 1, v32
	v_add_u32_e32 v7, 7, v7
	v_cmp_eq_u32_e32 vcc, 1, v8
	v_cndmask_b32_e32 v6, v7, v6, vcc
	v_add_u32_e32 v47, v44, v32
	v_lshlrev_b32_e32 v6, 1, v6
	ds_write_b16_d16_hi v6, v9
	v_sub_u32_e32 v6, v47, v13
	v_sub_u32_e32 v7, v26, v6
	v_and_b32_e32 v8, 1, v14
	v_add_u32_e32 v7, 8, v7
	v_cmp_eq_u32_e32 vcc, 1, v8
	v_cndmask_b32_e32 v6, v7, v6, vcc
	v_add_u32_e32 v39, v47, v39
	v_lshlrev_b32_e32 v6, 1, v6
	v_lshrrev_b32_e32 v20, 8, v14
	ds_write_b16 v6, v2
	v_sub_u32_e32 v6, v39, v13
	v_sub_u32_e32 v7, v26, v6
	v_and_b32_e32 v8, 1, v20
	v_add_u32_e32 v7, 9, v7
	v_cmp_eq_u32_e32 vcc, 1, v8
	v_cndmask_b32_e32 v6, v7, v6, vcc
	v_add_u32_e32 v40, v39, v40
	v_lshlrev_b32_e32 v6, 1, v6
	ds_write_b16_d16_hi v6, v2
	v_sub_u32_e32 v2, v40, v13
	;; [unrolled: 37-line block ×4, first 2 shown]
	v_sub_u32_e32 v3, v26, v2
	v_and_b32_sdwa v4, v23, v28 dst_sel:DWORD dst_unused:UNUSED_PAD src0_sel:DWORD src1_sel:WORD_1
	v_add_u32_e32 v3, 18, v3
	v_cmp_eq_u32_e32 vcc, 1, v4
	v_cndmask_b32_e32 v2, v3, v2, vcc
	v_lshlrev_b32_e32 v2, 1, v2
	ds_write_b16 v2, v11
	v_sub_u32_e32 v2, v29, v13
	v_add_u32_e32 v2, v35, v2
	v_sub_u32_e32 v3, v26, v2
	v_and_b32_e32 v4, 1, v27
	v_add_u32_e32 v3, 19, v3
	v_cmp_eq_u32_e32 vcc, 1, v4
	v_cndmask_b32_e32 v2, v3, v2, vcc
	v_lshlrev_b32_e32 v2, 1, v2
	ds_write_b16_d16_hi v2, v11
	v_mov_b32_e32 v2, s31
	v_add_co_u32_e32 v48, vcc, s30, v13
	s_waitcnt lgkmcnt(0)
	s_barrier
	ds_read_u16 v47, v1
	ds_read_u16 v46, v1 offset:512
	ds_read_u16 v44, v1 offset:1024
	;; [unrolled: 1-line block ×15, first 2 shown]
	v_addc_co_u32_e32 v49, vcc, 0, v2, vcc
	s_load_dwordx4 s[0:3], s[4:5], 0x30
	v_add_co_u32_e32 v2, vcc, v48, v12
	v_addc_co_u32_e32 v3, vcc, 0, v49, vcc
	v_mov_b32_e32 v9, s27
	v_sub_co_u32_e32 v8, vcc, s26, v2
	ds_read_u16 v16, v1 offset:8192
	ds_read_u16 v11, v1 offset:8704
	;; [unrolled: 1-line block ×4, first 2 shown]
	v_subb_co_u32_e32 v9, vcc, v9, v3, vcc
	v_lshlrev_b64 v[8:9], 1, v[8:9]
	s_waitcnt lgkmcnt(0)
	v_mov_b32_e32 v13, s3
	v_add_co_u32_e32 v8, vcc, s2, v8
	v_addc_co_u32_e32 v9, vcc, v13, v9, vcc
	v_mov_b32_e32 v13, s29
	v_add_co_u32_e32 v8, vcc, s28, v8
	v_lshlrev_b64 v[48:49], 1, v[48:49]
	v_addc_co_u32_e32 v9, vcc, v9, v13, vcc
	v_mov_b32_e32 v14, s1
	v_add_co_u32_e64 v13, s[0:1], s0, v48
	v_or_b32_e32 v45, 0x100, v0
	v_or_b32_e32 v43, 0x200, v0
	;; [unrolled: 1-line block ×19, first 2 shown]
	s_andn2_b64 vcc, exec, s[24:25]
	v_addc_co_u32_e64 v14, s[0:1], v14, v49, s[0:1]
	s_cbranch_vccnz .LBB467_131
; %bb.130:
	v_cmp_lt_u32_e32 vcc, v0, v12
	v_cndmask_b32_e32 v48, v8, v13, vcc
	v_cndmask_b32_e32 v49, v9, v14, vcc
	v_add_co_u32_e32 v48, vcc, v48, v1
	v_addc_co_u32_e32 v49, vcc, 0, v49, vcc
	v_cmp_lt_u32_e32 vcc, v45, v12
	global_store_short v[48:49], v47, off
	v_cndmask_b32_e32 v48, v8, v13, vcc
	v_cndmask_b32_e32 v49, v9, v14, vcc
	v_add_co_u32_e32 v48, vcc, v48, v1
	v_addc_co_u32_e32 v49, vcc, 0, v49, vcc
	v_cmp_lt_u32_e32 vcc, v43, v12
	global_store_short v[48:49], v46, off offset:512
	v_cndmask_b32_e32 v48, v8, v13, vcc
	v_cndmask_b32_e32 v49, v9, v14, vcc
	v_add_co_u32_e32 v48, vcc, v48, v1
	v_addc_co_u32_e32 v49, vcc, 0, v49, vcc
	v_cmp_lt_u32_e32 vcc, v41, v12
	global_store_short v[48:49], v44, off offset:1024
	;; [unrolled: 6-line block ×7, first 2 shown]
	v_cndmask_b32_e32 v48, v8, v13, vcc
	v_lshlrev_b32_e32 v50, 1, v31
	v_cndmask_b32_e32 v49, v9, v14, vcc
	v_add_co_u32_e32 v48, vcc, v48, v50
	v_addc_co_u32_e32 v49, vcc, 0, v49, vcc
	v_cmp_lt_u32_e32 vcc, v29, v12
	global_store_short v[48:49], v32, off
	v_cndmask_b32_e32 v48, v8, v13, vcc
	v_lshlrev_b32_e32 v50, 1, v29
	v_cndmask_b32_e32 v49, v9, v14, vcc
	v_add_co_u32_e32 v48, vcc, v48, v50
	v_addc_co_u32_e32 v49, vcc, 0, v49, vcc
	v_cmp_lt_u32_e32 vcc, v27, v12
	global_store_short v[48:49], v30, off
	;; [unrolled: 7-line block ×10, first 2 shown]
	v_cndmask_b32_e32 v48, v8, v13, vcc
	v_lshlrev_b32_e32 v50, 1, v7
	v_cndmask_b32_e32 v49, v9, v14, vcc
	v_add_co_u32_e32 v48, vcc, v48, v50
	v_addc_co_u32_e32 v49, vcc, 0, v49, vcc
	s_mov_b64 s[0:1], -1
	global_store_short v[48:49], v6, off
	s_cbranch_execz .LBB467_132
	s_branch .LBB467_153
.LBB467_131:
	s_mov_b64 s[0:1], 0
.LBB467_132:
	v_cmp_gt_u32_e32 vcc, s33, v0
	s_and_saveexec_b64 s[0:1], vcc
	s_cbranch_execnz .LBB467_158
; %bb.133:
	s_or_b64 exec, exec, s[0:1]
	v_cmp_gt_u32_e32 vcc, s33, v45
	s_and_saveexec_b64 s[0:1], vcc
	s_cbranch_execnz .LBB467_159
.LBB467_134:
	s_or_b64 exec, exec, s[0:1]
	v_cmp_gt_u32_e32 vcc, s33, v43
	s_and_saveexec_b64 s[0:1], vcc
	s_cbranch_execnz .LBB467_160
.LBB467_135:
	s_or_b64 exec, exec, s[0:1]
	v_cmp_gt_u32_e32 vcc, s33, v41
	s_and_saveexec_b64 s[0:1], vcc
	s_cbranch_execnz .LBB467_161
.LBB467_136:
	s_or_b64 exec, exec, s[0:1]
	v_cmp_gt_u32_e32 vcc, s33, v39
	s_and_saveexec_b64 s[0:1], vcc
	s_cbranch_execnz .LBB467_162
.LBB467_137:
	s_or_b64 exec, exec, s[0:1]
	v_cmp_gt_u32_e32 vcc, s33, v37
	s_and_saveexec_b64 s[0:1], vcc
	s_cbranch_execnz .LBB467_163
.LBB467_138:
	s_or_b64 exec, exec, s[0:1]
	v_cmp_gt_u32_e32 vcc, s33, v35
	s_and_saveexec_b64 s[0:1], vcc
	s_cbranch_execnz .LBB467_164
.LBB467_139:
	s_or_b64 exec, exec, s[0:1]
	v_cmp_gt_u32_e32 vcc, s33, v33
	s_and_saveexec_b64 s[0:1], vcc
	s_cbranch_execnz .LBB467_165
.LBB467_140:
	s_or_b64 exec, exec, s[0:1]
	v_cmp_gt_u32_e32 vcc, s33, v31
	s_and_saveexec_b64 s[0:1], vcc
	s_cbranch_execnz .LBB467_166
.LBB467_141:
	s_or_b64 exec, exec, s[0:1]
	v_cmp_gt_u32_e32 vcc, s33, v29
	s_and_saveexec_b64 s[0:1], vcc
	s_cbranch_execnz .LBB467_167
.LBB467_142:
	s_or_b64 exec, exec, s[0:1]
	v_cmp_gt_u32_e32 vcc, s33, v27
	s_and_saveexec_b64 s[0:1], vcc
	s_cbranch_execnz .LBB467_168
.LBB467_143:
	s_or_b64 exec, exec, s[0:1]
	v_cmp_gt_u32_e32 vcc, s33, v25
	s_and_saveexec_b64 s[0:1], vcc
	s_cbranch_execnz .LBB467_169
.LBB467_144:
	s_or_b64 exec, exec, s[0:1]
	v_cmp_gt_u32_e32 vcc, s33, v23
	s_and_saveexec_b64 s[0:1], vcc
	s_cbranch_execnz .LBB467_170
.LBB467_145:
	s_or_b64 exec, exec, s[0:1]
	v_cmp_gt_u32_e32 vcc, s33, v21
	s_and_saveexec_b64 s[0:1], vcc
	s_cbranch_execnz .LBB467_171
.LBB467_146:
	s_or_b64 exec, exec, s[0:1]
	v_cmp_gt_u32_e32 vcc, s33, v19
	s_and_saveexec_b64 s[0:1], vcc
	s_cbranch_execnz .LBB467_172
.LBB467_147:
	s_or_b64 exec, exec, s[0:1]
	v_cmp_gt_u32_e32 vcc, s33, v17
	s_and_saveexec_b64 s[0:1], vcc
	s_cbranch_execnz .LBB467_173
.LBB467_148:
	s_or_b64 exec, exec, s[0:1]
	v_cmp_gt_u32_e32 vcc, s33, v15
	s_and_saveexec_b64 s[0:1], vcc
	s_cbranch_execnz .LBB467_174
.LBB467_149:
	s_or_b64 exec, exec, s[0:1]
	v_cmp_gt_u32_e32 vcc, s33, v10
	s_and_saveexec_b64 s[0:1], vcc
	s_cbranch_execnz .LBB467_175
.LBB467_150:
	s_or_b64 exec, exec, s[0:1]
	v_cmp_gt_u32_e32 vcc, s33, v7
	s_and_saveexec_b64 s[0:1], vcc
	s_cbranch_execz .LBB467_152
.LBB467_151:
	v_cmp_lt_u32_e32 vcc, v7, v12
	v_cndmask_b32_e32 v10, v8, v13, vcc
	v_lshlrev_b32_e32 v7, 1, v7
	v_cndmask_b32_e32 v1, v9, v14, vcc
	v_add_co_u32_e32 v10, vcc, v10, v7
	v_addc_co_u32_e32 v11, vcc, 0, v1, vcc
	global_store_short v[10:11], v6, off
.LBB467_152:
	s_or_b64 exec, exec, s[0:1]
	v_cmp_gt_u32_e64 s[0:1], s33, v5
.LBB467_153:
	s_and_saveexec_b64 s[2:3], s[0:1]
	s_cbranch_execz .LBB467_155
; %bb.154:
	v_cmp_lt_u32_e32 vcc, v5, v12
	v_cndmask_b32_e32 v6, v8, v13, vcc
	v_lshlrev_b32_e32 v5, 1, v5
	v_cndmask_b32_e32 v1, v9, v14, vcc
	v_add_co_u32_e32 v6, vcc, v6, v5
	v_addc_co_u32_e32 v7, vcc, 0, v1, vcc
	global_store_short v[6:7], v4, off
.LBB467_155:
	s_or_b64 exec, exec, s[2:3]
	v_cmp_eq_u32_e32 vcc, 0, v0
	s_and_b64 s[0:1], vcc, s[22:23]
	s_and_saveexec_b64 s[2:3], s[0:1]
	s_cbranch_execz .LBB467_157
; %bb.156:
	v_mov_b32_e32 v0, 0
	global_store_dwordx2 v0, v[2:3], s[20:21]
.LBB467_157:
	s_endpgm
.LBB467_158:
	v_cmp_lt_u32_e32 vcc, v0, v12
	v_cndmask_b32_e32 v48, v8, v13, vcc
	v_cndmask_b32_e32 v49, v9, v14, vcc
	v_add_co_u32_e32 v48, vcc, v48, v1
	v_addc_co_u32_e32 v49, vcc, 0, v49, vcc
	global_store_short v[48:49], v47, off
	s_or_b64 exec, exec, s[0:1]
	v_cmp_gt_u32_e32 vcc, s33, v45
	s_and_saveexec_b64 s[0:1], vcc
	s_cbranch_execz .LBB467_134
.LBB467_159:
	v_cmp_lt_u32_e32 vcc, v45, v12
	v_cndmask_b32_e32 v47, v8, v13, vcc
	v_cndmask_b32_e32 v45, v9, v14, vcc
	v_add_co_u32_e32 v48, vcc, v47, v1
	v_addc_co_u32_e32 v49, vcc, 0, v45, vcc
	global_store_short v[48:49], v46, off offset:512
	s_or_b64 exec, exec, s[0:1]
	v_cmp_gt_u32_e32 vcc, s33, v43
	s_and_saveexec_b64 s[0:1], vcc
	s_cbranch_execz .LBB467_135
.LBB467_160:
	v_cmp_lt_u32_e32 vcc, v43, v12
	v_cndmask_b32_e32 v45, v8, v13, vcc
	v_cndmask_b32_e32 v43, v9, v14, vcc
	v_add_co_u32_e32 v46, vcc, v45, v1
	v_addc_co_u32_e32 v47, vcc, 0, v43, vcc
	global_store_short v[46:47], v44, off offset:1024
	s_or_b64 exec, exec, s[0:1]
	v_cmp_gt_u32_e32 vcc, s33, v41
	s_and_saveexec_b64 s[0:1], vcc
	s_cbranch_execz .LBB467_136
.LBB467_161:
	v_cmp_lt_u32_e32 vcc, v41, v12
	v_cndmask_b32_e32 v43, v8, v13, vcc
	v_cndmask_b32_e32 v41, v9, v14, vcc
	v_add_co_u32_e32 v44, vcc, v43, v1
	v_addc_co_u32_e32 v45, vcc, 0, v41, vcc
	global_store_short v[44:45], v42, off offset:1536
	s_or_b64 exec, exec, s[0:1]
	v_cmp_gt_u32_e32 vcc, s33, v39
	s_and_saveexec_b64 s[0:1], vcc
	s_cbranch_execz .LBB467_137
.LBB467_162:
	v_cmp_lt_u32_e32 vcc, v39, v12
	v_cndmask_b32_e32 v41, v8, v13, vcc
	v_cndmask_b32_e32 v39, v9, v14, vcc
	v_add_co_u32_e32 v42, vcc, v41, v1
	v_addc_co_u32_e32 v43, vcc, 0, v39, vcc
	global_store_short v[42:43], v40, off offset:2048
	s_or_b64 exec, exec, s[0:1]
	v_cmp_gt_u32_e32 vcc, s33, v37
	s_and_saveexec_b64 s[0:1], vcc
	s_cbranch_execz .LBB467_138
.LBB467_163:
	v_cmp_lt_u32_e32 vcc, v37, v12
	v_cndmask_b32_e32 v39, v8, v13, vcc
	v_cndmask_b32_e32 v37, v9, v14, vcc
	v_add_co_u32_e32 v40, vcc, v39, v1
	v_addc_co_u32_e32 v41, vcc, 0, v37, vcc
	global_store_short v[40:41], v38, off offset:2560
	s_or_b64 exec, exec, s[0:1]
	v_cmp_gt_u32_e32 vcc, s33, v35
	s_and_saveexec_b64 s[0:1], vcc
	s_cbranch_execz .LBB467_139
.LBB467_164:
	v_cmp_lt_u32_e32 vcc, v35, v12
	v_cndmask_b32_e32 v37, v8, v13, vcc
	v_cndmask_b32_e32 v35, v9, v14, vcc
	v_add_co_u32_e32 v38, vcc, v37, v1
	v_addc_co_u32_e32 v39, vcc, 0, v35, vcc
	global_store_short v[38:39], v36, off offset:3072
	s_or_b64 exec, exec, s[0:1]
	v_cmp_gt_u32_e32 vcc, s33, v33
	s_and_saveexec_b64 s[0:1], vcc
	s_cbranch_execz .LBB467_140
.LBB467_165:
	v_cmp_lt_u32_e32 vcc, v33, v12
	v_cndmask_b32_e32 v35, v8, v13, vcc
	v_cndmask_b32_e32 v33, v9, v14, vcc
	v_add_co_u32_e32 v36, vcc, v35, v1
	v_addc_co_u32_e32 v37, vcc, 0, v33, vcc
	global_store_short v[36:37], v34, off offset:3584
	s_or_b64 exec, exec, s[0:1]
	v_cmp_gt_u32_e32 vcc, s33, v31
	s_and_saveexec_b64 s[0:1], vcc
	s_cbranch_execz .LBB467_141
.LBB467_166:
	v_cmp_lt_u32_e32 vcc, v31, v12
	v_cndmask_b32_e32 v33, v8, v13, vcc
	v_lshlrev_b32_e32 v31, 1, v31
	v_cndmask_b32_e32 v1, v9, v14, vcc
	v_add_co_u32_e32 v34, vcc, v33, v31
	v_addc_co_u32_e32 v35, vcc, 0, v1, vcc
	global_store_short v[34:35], v32, off
	s_or_b64 exec, exec, s[0:1]
	v_cmp_gt_u32_e32 vcc, s33, v29
	s_and_saveexec_b64 s[0:1], vcc
	s_cbranch_execz .LBB467_142
.LBB467_167:
	v_cmp_lt_u32_e32 vcc, v29, v12
	v_cndmask_b32_e32 v31, v8, v13, vcc
	v_lshlrev_b32_e32 v29, 1, v29
	v_cndmask_b32_e32 v1, v9, v14, vcc
	v_add_co_u32_e32 v32, vcc, v31, v29
	v_addc_co_u32_e32 v33, vcc, 0, v1, vcc
	global_store_short v[32:33], v30, off
	s_or_b64 exec, exec, s[0:1]
	v_cmp_gt_u32_e32 vcc, s33, v27
	s_and_saveexec_b64 s[0:1], vcc
	s_cbranch_execz .LBB467_143
.LBB467_168:
	v_cmp_lt_u32_e32 vcc, v27, v12
	v_cndmask_b32_e32 v29, v8, v13, vcc
	v_lshlrev_b32_e32 v27, 1, v27
	v_cndmask_b32_e32 v1, v9, v14, vcc
	v_add_co_u32_e32 v30, vcc, v29, v27
	v_addc_co_u32_e32 v31, vcc, 0, v1, vcc
	global_store_short v[30:31], v28, off
	s_or_b64 exec, exec, s[0:1]
	v_cmp_gt_u32_e32 vcc, s33, v25
	s_and_saveexec_b64 s[0:1], vcc
	s_cbranch_execz .LBB467_144
.LBB467_169:
	v_cmp_lt_u32_e32 vcc, v25, v12
	v_cndmask_b32_e32 v27, v8, v13, vcc
	v_lshlrev_b32_e32 v25, 1, v25
	v_cndmask_b32_e32 v1, v9, v14, vcc
	v_add_co_u32_e32 v28, vcc, v27, v25
	v_addc_co_u32_e32 v29, vcc, 0, v1, vcc
	global_store_short v[28:29], v26, off
	s_or_b64 exec, exec, s[0:1]
	v_cmp_gt_u32_e32 vcc, s33, v23
	s_and_saveexec_b64 s[0:1], vcc
	s_cbranch_execz .LBB467_145
.LBB467_170:
	v_cmp_lt_u32_e32 vcc, v23, v12
	v_cndmask_b32_e32 v25, v8, v13, vcc
	v_lshlrev_b32_e32 v23, 1, v23
	v_cndmask_b32_e32 v1, v9, v14, vcc
	v_add_co_u32_e32 v26, vcc, v25, v23
	v_addc_co_u32_e32 v27, vcc, 0, v1, vcc
	global_store_short v[26:27], v24, off
	s_or_b64 exec, exec, s[0:1]
	v_cmp_gt_u32_e32 vcc, s33, v21
	s_and_saveexec_b64 s[0:1], vcc
	s_cbranch_execz .LBB467_146
.LBB467_171:
	v_cmp_lt_u32_e32 vcc, v21, v12
	v_cndmask_b32_e32 v23, v8, v13, vcc
	v_lshlrev_b32_e32 v21, 1, v21
	v_cndmask_b32_e32 v1, v9, v14, vcc
	v_add_co_u32_e32 v24, vcc, v23, v21
	v_addc_co_u32_e32 v25, vcc, 0, v1, vcc
	global_store_short v[24:25], v22, off
	s_or_b64 exec, exec, s[0:1]
	v_cmp_gt_u32_e32 vcc, s33, v19
	s_and_saveexec_b64 s[0:1], vcc
	s_cbranch_execz .LBB467_147
.LBB467_172:
	v_cmp_lt_u32_e32 vcc, v19, v12
	v_cndmask_b32_e32 v21, v8, v13, vcc
	v_lshlrev_b32_e32 v19, 1, v19
	v_cndmask_b32_e32 v1, v9, v14, vcc
	v_add_co_u32_e32 v22, vcc, v21, v19
	v_addc_co_u32_e32 v23, vcc, 0, v1, vcc
	global_store_short v[22:23], v20, off
	s_or_b64 exec, exec, s[0:1]
	v_cmp_gt_u32_e32 vcc, s33, v17
	s_and_saveexec_b64 s[0:1], vcc
	s_cbranch_execz .LBB467_148
.LBB467_173:
	v_cmp_lt_u32_e32 vcc, v17, v12
	v_cndmask_b32_e32 v19, v8, v13, vcc
	v_lshlrev_b32_e32 v17, 1, v17
	v_cndmask_b32_e32 v1, v9, v14, vcc
	v_add_co_u32_e32 v20, vcc, v19, v17
	v_addc_co_u32_e32 v21, vcc, 0, v1, vcc
	global_store_short v[20:21], v18, off
	s_or_b64 exec, exec, s[0:1]
	v_cmp_gt_u32_e32 vcc, s33, v15
	s_and_saveexec_b64 s[0:1], vcc
	s_cbranch_execz .LBB467_149
.LBB467_174:
	v_cmp_lt_u32_e32 vcc, v15, v12
	v_cndmask_b32_e32 v17, v8, v13, vcc
	v_lshlrev_b32_e32 v15, 1, v15
	v_cndmask_b32_e32 v1, v9, v14, vcc
	v_add_co_u32_e32 v18, vcc, v17, v15
	v_addc_co_u32_e32 v19, vcc, 0, v1, vcc
	global_store_short v[18:19], v16, off
	s_or_b64 exec, exec, s[0:1]
	v_cmp_gt_u32_e32 vcc, s33, v10
	s_and_saveexec_b64 s[0:1], vcc
	s_cbranch_execz .LBB467_150
.LBB467_175:
	v_cmp_lt_u32_e32 vcc, v10, v12
	v_cndmask_b32_e32 v15, v8, v13, vcc
	v_lshlrev_b32_e32 v10, 1, v10
	v_cndmask_b32_e32 v1, v9, v14, vcc
	v_add_co_u32_e32 v16, vcc, v15, v10
	v_addc_co_u32_e32 v17, vcc, 0, v1, vcc
	global_store_short v[16:17], v11, off
	s_or_b64 exec, exec, s[0:1]
	v_cmp_gt_u32_e32 vcc, s33, v7
	s_and_saveexec_b64 s[0:1], vcc
	s_cbranch_execnz .LBB467_151
	s_branch .LBB467_152
	.section	.rodata,"a",@progbits
	.p2align	6, 0x0
	.amdhsa_kernel _ZN7rocprim17ROCPRIM_400000_NS6detail17trampoline_kernelINS0_14default_configENS1_25partition_config_selectorILNS1_17partition_subalgoE1EsNS0_10empty_typeEbEEZZNS1_14partition_implILS5_1ELb0ES3_jN6thrust23THRUST_200600_302600_NS6detail15normal_iteratorINSA_10device_ptrIsEEEEPS6_NSA_18transform_iteratorI7is_evenIsESF_NSA_11use_defaultESK_EENS0_5tupleIJSF_SF_EEENSM_IJSG_SG_EEES6_PlJS6_EEE10hipError_tPvRmT3_T4_T5_T6_T7_T9_mT8_P12ihipStream_tbDpT10_ENKUlT_T0_E_clISt17integral_constantIbLb1EES18_IbLb0EEEEDaS14_S15_EUlS14_E_NS1_11comp_targetILNS1_3genE4ELNS1_11target_archE910ELNS1_3gpuE8ELNS1_3repE0EEENS1_30default_config_static_selectorELNS0_4arch9wavefront6targetE1EEEvT1_
		.amdhsa_group_segment_fixed_size 10248
		.amdhsa_private_segment_fixed_size 0
		.amdhsa_kernarg_size 128
		.amdhsa_user_sgpr_count 6
		.amdhsa_user_sgpr_private_segment_buffer 1
		.amdhsa_user_sgpr_dispatch_ptr 0
		.amdhsa_user_sgpr_queue_ptr 0
		.amdhsa_user_sgpr_kernarg_segment_ptr 1
		.amdhsa_user_sgpr_dispatch_id 0
		.amdhsa_user_sgpr_flat_scratch_init 0
		.amdhsa_user_sgpr_kernarg_preload_length 0
		.amdhsa_user_sgpr_kernarg_preload_offset 0
		.amdhsa_user_sgpr_private_segment_size 0
		.amdhsa_uses_dynamic_stack 0
		.amdhsa_system_sgpr_private_segment_wavefront_offset 0
		.amdhsa_system_sgpr_workgroup_id_x 1
		.amdhsa_system_sgpr_workgroup_id_y 0
		.amdhsa_system_sgpr_workgroup_id_z 0
		.amdhsa_system_sgpr_workgroup_info 0
		.amdhsa_system_vgpr_workitem_id 0
		.amdhsa_next_free_vgpr 65
		.amdhsa_next_free_sgpr 44
		.amdhsa_accum_offset 68
		.amdhsa_reserve_vcc 1
		.amdhsa_reserve_flat_scratch 0
		.amdhsa_float_round_mode_32 0
		.amdhsa_float_round_mode_16_64 0
		.amdhsa_float_denorm_mode_32 3
		.amdhsa_float_denorm_mode_16_64 3
		.amdhsa_dx10_clamp 1
		.amdhsa_ieee_mode 1
		.amdhsa_fp16_overflow 0
		.amdhsa_tg_split 0
		.amdhsa_exception_fp_ieee_invalid_op 0
		.amdhsa_exception_fp_denorm_src 0
		.amdhsa_exception_fp_ieee_div_zero 0
		.amdhsa_exception_fp_ieee_overflow 0
		.amdhsa_exception_fp_ieee_underflow 0
		.amdhsa_exception_fp_ieee_inexact 0
		.amdhsa_exception_int_div_zero 0
	.end_amdhsa_kernel
	.section	.text._ZN7rocprim17ROCPRIM_400000_NS6detail17trampoline_kernelINS0_14default_configENS1_25partition_config_selectorILNS1_17partition_subalgoE1EsNS0_10empty_typeEbEEZZNS1_14partition_implILS5_1ELb0ES3_jN6thrust23THRUST_200600_302600_NS6detail15normal_iteratorINSA_10device_ptrIsEEEEPS6_NSA_18transform_iteratorI7is_evenIsESF_NSA_11use_defaultESK_EENS0_5tupleIJSF_SF_EEENSM_IJSG_SG_EEES6_PlJS6_EEE10hipError_tPvRmT3_T4_T5_T6_T7_T9_mT8_P12ihipStream_tbDpT10_ENKUlT_T0_E_clISt17integral_constantIbLb1EES18_IbLb0EEEEDaS14_S15_EUlS14_E_NS1_11comp_targetILNS1_3genE4ELNS1_11target_archE910ELNS1_3gpuE8ELNS1_3repE0EEENS1_30default_config_static_selectorELNS0_4arch9wavefront6targetE1EEEvT1_,"axG",@progbits,_ZN7rocprim17ROCPRIM_400000_NS6detail17trampoline_kernelINS0_14default_configENS1_25partition_config_selectorILNS1_17partition_subalgoE1EsNS0_10empty_typeEbEEZZNS1_14partition_implILS5_1ELb0ES3_jN6thrust23THRUST_200600_302600_NS6detail15normal_iteratorINSA_10device_ptrIsEEEEPS6_NSA_18transform_iteratorI7is_evenIsESF_NSA_11use_defaultESK_EENS0_5tupleIJSF_SF_EEENSM_IJSG_SG_EEES6_PlJS6_EEE10hipError_tPvRmT3_T4_T5_T6_T7_T9_mT8_P12ihipStream_tbDpT10_ENKUlT_T0_E_clISt17integral_constantIbLb1EES18_IbLb0EEEEDaS14_S15_EUlS14_E_NS1_11comp_targetILNS1_3genE4ELNS1_11target_archE910ELNS1_3gpuE8ELNS1_3repE0EEENS1_30default_config_static_selectorELNS0_4arch9wavefront6targetE1EEEvT1_,comdat
.Lfunc_end467:
	.size	_ZN7rocprim17ROCPRIM_400000_NS6detail17trampoline_kernelINS0_14default_configENS1_25partition_config_selectorILNS1_17partition_subalgoE1EsNS0_10empty_typeEbEEZZNS1_14partition_implILS5_1ELb0ES3_jN6thrust23THRUST_200600_302600_NS6detail15normal_iteratorINSA_10device_ptrIsEEEEPS6_NSA_18transform_iteratorI7is_evenIsESF_NSA_11use_defaultESK_EENS0_5tupleIJSF_SF_EEENSM_IJSG_SG_EEES6_PlJS6_EEE10hipError_tPvRmT3_T4_T5_T6_T7_T9_mT8_P12ihipStream_tbDpT10_ENKUlT_T0_E_clISt17integral_constantIbLb1EES18_IbLb0EEEEDaS14_S15_EUlS14_E_NS1_11comp_targetILNS1_3genE4ELNS1_11target_archE910ELNS1_3gpuE8ELNS1_3repE0EEENS1_30default_config_static_selectorELNS0_4arch9wavefront6targetE1EEEvT1_, .Lfunc_end467-_ZN7rocprim17ROCPRIM_400000_NS6detail17trampoline_kernelINS0_14default_configENS1_25partition_config_selectorILNS1_17partition_subalgoE1EsNS0_10empty_typeEbEEZZNS1_14partition_implILS5_1ELb0ES3_jN6thrust23THRUST_200600_302600_NS6detail15normal_iteratorINSA_10device_ptrIsEEEEPS6_NSA_18transform_iteratorI7is_evenIsESF_NSA_11use_defaultESK_EENS0_5tupleIJSF_SF_EEENSM_IJSG_SG_EEES6_PlJS6_EEE10hipError_tPvRmT3_T4_T5_T6_T7_T9_mT8_P12ihipStream_tbDpT10_ENKUlT_T0_E_clISt17integral_constantIbLb1EES18_IbLb0EEEEDaS14_S15_EUlS14_E_NS1_11comp_targetILNS1_3genE4ELNS1_11target_archE910ELNS1_3gpuE8ELNS1_3repE0EEENS1_30default_config_static_selectorELNS0_4arch9wavefront6targetE1EEEvT1_
                                        ; -- End function
	.section	.AMDGPU.csdata,"",@progbits
; Kernel info:
; codeLenInByte = 8876
; NumSgprs: 48
; NumVgprs: 65
; NumAgprs: 0
; TotalNumVgprs: 65
; ScratchSize: 0
; MemoryBound: 0
; FloatMode: 240
; IeeeMode: 1
; LDSByteSize: 10248 bytes/workgroup (compile time only)
; SGPRBlocks: 5
; VGPRBlocks: 8
; NumSGPRsForWavesPerEU: 48
; NumVGPRsForWavesPerEU: 65
; AccumOffset: 68
; Occupancy: 6
; WaveLimiterHint : 1
; COMPUTE_PGM_RSRC2:SCRATCH_EN: 0
; COMPUTE_PGM_RSRC2:USER_SGPR: 6
; COMPUTE_PGM_RSRC2:TRAP_HANDLER: 0
; COMPUTE_PGM_RSRC2:TGID_X_EN: 1
; COMPUTE_PGM_RSRC2:TGID_Y_EN: 0
; COMPUTE_PGM_RSRC2:TGID_Z_EN: 0
; COMPUTE_PGM_RSRC2:TIDIG_COMP_CNT: 0
; COMPUTE_PGM_RSRC3_GFX90A:ACCUM_OFFSET: 16
; COMPUTE_PGM_RSRC3_GFX90A:TG_SPLIT: 0
	.section	.text._ZN7rocprim17ROCPRIM_400000_NS6detail17trampoline_kernelINS0_14default_configENS1_25partition_config_selectorILNS1_17partition_subalgoE1EsNS0_10empty_typeEbEEZZNS1_14partition_implILS5_1ELb0ES3_jN6thrust23THRUST_200600_302600_NS6detail15normal_iteratorINSA_10device_ptrIsEEEEPS6_NSA_18transform_iteratorI7is_evenIsESF_NSA_11use_defaultESK_EENS0_5tupleIJSF_SF_EEENSM_IJSG_SG_EEES6_PlJS6_EEE10hipError_tPvRmT3_T4_T5_T6_T7_T9_mT8_P12ihipStream_tbDpT10_ENKUlT_T0_E_clISt17integral_constantIbLb1EES18_IbLb0EEEEDaS14_S15_EUlS14_E_NS1_11comp_targetILNS1_3genE3ELNS1_11target_archE908ELNS1_3gpuE7ELNS1_3repE0EEENS1_30default_config_static_selectorELNS0_4arch9wavefront6targetE1EEEvT1_,"axG",@progbits,_ZN7rocprim17ROCPRIM_400000_NS6detail17trampoline_kernelINS0_14default_configENS1_25partition_config_selectorILNS1_17partition_subalgoE1EsNS0_10empty_typeEbEEZZNS1_14partition_implILS5_1ELb0ES3_jN6thrust23THRUST_200600_302600_NS6detail15normal_iteratorINSA_10device_ptrIsEEEEPS6_NSA_18transform_iteratorI7is_evenIsESF_NSA_11use_defaultESK_EENS0_5tupleIJSF_SF_EEENSM_IJSG_SG_EEES6_PlJS6_EEE10hipError_tPvRmT3_T4_T5_T6_T7_T9_mT8_P12ihipStream_tbDpT10_ENKUlT_T0_E_clISt17integral_constantIbLb1EES18_IbLb0EEEEDaS14_S15_EUlS14_E_NS1_11comp_targetILNS1_3genE3ELNS1_11target_archE908ELNS1_3gpuE7ELNS1_3repE0EEENS1_30default_config_static_selectorELNS0_4arch9wavefront6targetE1EEEvT1_,comdat
	.protected	_ZN7rocprim17ROCPRIM_400000_NS6detail17trampoline_kernelINS0_14default_configENS1_25partition_config_selectorILNS1_17partition_subalgoE1EsNS0_10empty_typeEbEEZZNS1_14partition_implILS5_1ELb0ES3_jN6thrust23THRUST_200600_302600_NS6detail15normal_iteratorINSA_10device_ptrIsEEEEPS6_NSA_18transform_iteratorI7is_evenIsESF_NSA_11use_defaultESK_EENS0_5tupleIJSF_SF_EEENSM_IJSG_SG_EEES6_PlJS6_EEE10hipError_tPvRmT3_T4_T5_T6_T7_T9_mT8_P12ihipStream_tbDpT10_ENKUlT_T0_E_clISt17integral_constantIbLb1EES18_IbLb0EEEEDaS14_S15_EUlS14_E_NS1_11comp_targetILNS1_3genE3ELNS1_11target_archE908ELNS1_3gpuE7ELNS1_3repE0EEENS1_30default_config_static_selectorELNS0_4arch9wavefront6targetE1EEEvT1_ ; -- Begin function _ZN7rocprim17ROCPRIM_400000_NS6detail17trampoline_kernelINS0_14default_configENS1_25partition_config_selectorILNS1_17partition_subalgoE1EsNS0_10empty_typeEbEEZZNS1_14partition_implILS5_1ELb0ES3_jN6thrust23THRUST_200600_302600_NS6detail15normal_iteratorINSA_10device_ptrIsEEEEPS6_NSA_18transform_iteratorI7is_evenIsESF_NSA_11use_defaultESK_EENS0_5tupleIJSF_SF_EEENSM_IJSG_SG_EEES6_PlJS6_EEE10hipError_tPvRmT3_T4_T5_T6_T7_T9_mT8_P12ihipStream_tbDpT10_ENKUlT_T0_E_clISt17integral_constantIbLb1EES18_IbLb0EEEEDaS14_S15_EUlS14_E_NS1_11comp_targetILNS1_3genE3ELNS1_11target_archE908ELNS1_3gpuE7ELNS1_3repE0EEENS1_30default_config_static_selectorELNS0_4arch9wavefront6targetE1EEEvT1_
	.globl	_ZN7rocprim17ROCPRIM_400000_NS6detail17trampoline_kernelINS0_14default_configENS1_25partition_config_selectorILNS1_17partition_subalgoE1EsNS0_10empty_typeEbEEZZNS1_14partition_implILS5_1ELb0ES3_jN6thrust23THRUST_200600_302600_NS6detail15normal_iteratorINSA_10device_ptrIsEEEEPS6_NSA_18transform_iteratorI7is_evenIsESF_NSA_11use_defaultESK_EENS0_5tupleIJSF_SF_EEENSM_IJSG_SG_EEES6_PlJS6_EEE10hipError_tPvRmT3_T4_T5_T6_T7_T9_mT8_P12ihipStream_tbDpT10_ENKUlT_T0_E_clISt17integral_constantIbLb1EES18_IbLb0EEEEDaS14_S15_EUlS14_E_NS1_11comp_targetILNS1_3genE3ELNS1_11target_archE908ELNS1_3gpuE7ELNS1_3repE0EEENS1_30default_config_static_selectorELNS0_4arch9wavefront6targetE1EEEvT1_
	.p2align	8
	.type	_ZN7rocprim17ROCPRIM_400000_NS6detail17trampoline_kernelINS0_14default_configENS1_25partition_config_selectorILNS1_17partition_subalgoE1EsNS0_10empty_typeEbEEZZNS1_14partition_implILS5_1ELb0ES3_jN6thrust23THRUST_200600_302600_NS6detail15normal_iteratorINSA_10device_ptrIsEEEEPS6_NSA_18transform_iteratorI7is_evenIsESF_NSA_11use_defaultESK_EENS0_5tupleIJSF_SF_EEENSM_IJSG_SG_EEES6_PlJS6_EEE10hipError_tPvRmT3_T4_T5_T6_T7_T9_mT8_P12ihipStream_tbDpT10_ENKUlT_T0_E_clISt17integral_constantIbLb1EES18_IbLb0EEEEDaS14_S15_EUlS14_E_NS1_11comp_targetILNS1_3genE3ELNS1_11target_archE908ELNS1_3gpuE7ELNS1_3repE0EEENS1_30default_config_static_selectorELNS0_4arch9wavefront6targetE1EEEvT1_,@function
_ZN7rocprim17ROCPRIM_400000_NS6detail17trampoline_kernelINS0_14default_configENS1_25partition_config_selectorILNS1_17partition_subalgoE1EsNS0_10empty_typeEbEEZZNS1_14partition_implILS5_1ELb0ES3_jN6thrust23THRUST_200600_302600_NS6detail15normal_iteratorINSA_10device_ptrIsEEEEPS6_NSA_18transform_iteratorI7is_evenIsESF_NSA_11use_defaultESK_EENS0_5tupleIJSF_SF_EEENSM_IJSG_SG_EEES6_PlJS6_EEE10hipError_tPvRmT3_T4_T5_T6_T7_T9_mT8_P12ihipStream_tbDpT10_ENKUlT_T0_E_clISt17integral_constantIbLb1EES18_IbLb0EEEEDaS14_S15_EUlS14_E_NS1_11comp_targetILNS1_3genE3ELNS1_11target_archE908ELNS1_3gpuE7ELNS1_3repE0EEENS1_30default_config_static_selectorELNS0_4arch9wavefront6targetE1EEEvT1_: ; @_ZN7rocprim17ROCPRIM_400000_NS6detail17trampoline_kernelINS0_14default_configENS1_25partition_config_selectorILNS1_17partition_subalgoE1EsNS0_10empty_typeEbEEZZNS1_14partition_implILS5_1ELb0ES3_jN6thrust23THRUST_200600_302600_NS6detail15normal_iteratorINSA_10device_ptrIsEEEEPS6_NSA_18transform_iteratorI7is_evenIsESF_NSA_11use_defaultESK_EENS0_5tupleIJSF_SF_EEENSM_IJSG_SG_EEES6_PlJS6_EEE10hipError_tPvRmT3_T4_T5_T6_T7_T9_mT8_P12ihipStream_tbDpT10_ENKUlT_T0_E_clISt17integral_constantIbLb1EES18_IbLb0EEEEDaS14_S15_EUlS14_E_NS1_11comp_targetILNS1_3genE3ELNS1_11target_archE908ELNS1_3gpuE7ELNS1_3repE0EEENS1_30default_config_static_selectorELNS0_4arch9wavefront6targetE1EEEvT1_
; %bb.0:
	.section	.rodata,"a",@progbits
	.p2align	6, 0x0
	.amdhsa_kernel _ZN7rocprim17ROCPRIM_400000_NS6detail17trampoline_kernelINS0_14default_configENS1_25partition_config_selectorILNS1_17partition_subalgoE1EsNS0_10empty_typeEbEEZZNS1_14partition_implILS5_1ELb0ES3_jN6thrust23THRUST_200600_302600_NS6detail15normal_iteratorINSA_10device_ptrIsEEEEPS6_NSA_18transform_iteratorI7is_evenIsESF_NSA_11use_defaultESK_EENS0_5tupleIJSF_SF_EEENSM_IJSG_SG_EEES6_PlJS6_EEE10hipError_tPvRmT3_T4_T5_T6_T7_T9_mT8_P12ihipStream_tbDpT10_ENKUlT_T0_E_clISt17integral_constantIbLb1EES18_IbLb0EEEEDaS14_S15_EUlS14_E_NS1_11comp_targetILNS1_3genE3ELNS1_11target_archE908ELNS1_3gpuE7ELNS1_3repE0EEENS1_30default_config_static_selectorELNS0_4arch9wavefront6targetE1EEEvT1_
		.amdhsa_group_segment_fixed_size 0
		.amdhsa_private_segment_fixed_size 0
		.amdhsa_kernarg_size 128
		.amdhsa_user_sgpr_count 6
		.amdhsa_user_sgpr_private_segment_buffer 1
		.amdhsa_user_sgpr_dispatch_ptr 0
		.amdhsa_user_sgpr_queue_ptr 0
		.amdhsa_user_sgpr_kernarg_segment_ptr 1
		.amdhsa_user_sgpr_dispatch_id 0
		.amdhsa_user_sgpr_flat_scratch_init 0
		.amdhsa_user_sgpr_kernarg_preload_length 0
		.amdhsa_user_sgpr_kernarg_preload_offset 0
		.amdhsa_user_sgpr_private_segment_size 0
		.amdhsa_uses_dynamic_stack 0
		.amdhsa_system_sgpr_private_segment_wavefront_offset 0
		.amdhsa_system_sgpr_workgroup_id_x 1
		.amdhsa_system_sgpr_workgroup_id_y 0
		.amdhsa_system_sgpr_workgroup_id_z 0
		.amdhsa_system_sgpr_workgroup_info 0
		.amdhsa_system_vgpr_workitem_id 0
		.amdhsa_next_free_vgpr 1
		.amdhsa_next_free_sgpr 0
		.amdhsa_accum_offset 4
		.amdhsa_reserve_vcc 0
		.amdhsa_reserve_flat_scratch 0
		.amdhsa_float_round_mode_32 0
		.amdhsa_float_round_mode_16_64 0
		.amdhsa_float_denorm_mode_32 3
		.amdhsa_float_denorm_mode_16_64 3
		.amdhsa_dx10_clamp 1
		.amdhsa_ieee_mode 1
		.amdhsa_fp16_overflow 0
		.amdhsa_tg_split 0
		.amdhsa_exception_fp_ieee_invalid_op 0
		.amdhsa_exception_fp_denorm_src 0
		.amdhsa_exception_fp_ieee_div_zero 0
		.amdhsa_exception_fp_ieee_overflow 0
		.amdhsa_exception_fp_ieee_underflow 0
		.amdhsa_exception_fp_ieee_inexact 0
		.amdhsa_exception_int_div_zero 0
	.end_amdhsa_kernel
	.section	.text._ZN7rocprim17ROCPRIM_400000_NS6detail17trampoline_kernelINS0_14default_configENS1_25partition_config_selectorILNS1_17partition_subalgoE1EsNS0_10empty_typeEbEEZZNS1_14partition_implILS5_1ELb0ES3_jN6thrust23THRUST_200600_302600_NS6detail15normal_iteratorINSA_10device_ptrIsEEEEPS6_NSA_18transform_iteratorI7is_evenIsESF_NSA_11use_defaultESK_EENS0_5tupleIJSF_SF_EEENSM_IJSG_SG_EEES6_PlJS6_EEE10hipError_tPvRmT3_T4_T5_T6_T7_T9_mT8_P12ihipStream_tbDpT10_ENKUlT_T0_E_clISt17integral_constantIbLb1EES18_IbLb0EEEEDaS14_S15_EUlS14_E_NS1_11comp_targetILNS1_3genE3ELNS1_11target_archE908ELNS1_3gpuE7ELNS1_3repE0EEENS1_30default_config_static_selectorELNS0_4arch9wavefront6targetE1EEEvT1_,"axG",@progbits,_ZN7rocprim17ROCPRIM_400000_NS6detail17trampoline_kernelINS0_14default_configENS1_25partition_config_selectorILNS1_17partition_subalgoE1EsNS0_10empty_typeEbEEZZNS1_14partition_implILS5_1ELb0ES3_jN6thrust23THRUST_200600_302600_NS6detail15normal_iteratorINSA_10device_ptrIsEEEEPS6_NSA_18transform_iteratorI7is_evenIsESF_NSA_11use_defaultESK_EENS0_5tupleIJSF_SF_EEENSM_IJSG_SG_EEES6_PlJS6_EEE10hipError_tPvRmT3_T4_T5_T6_T7_T9_mT8_P12ihipStream_tbDpT10_ENKUlT_T0_E_clISt17integral_constantIbLb1EES18_IbLb0EEEEDaS14_S15_EUlS14_E_NS1_11comp_targetILNS1_3genE3ELNS1_11target_archE908ELNS1_3gpuE7ELNS1_3repE0EEENS1_30default_config_static_selectorELNS0_4arch9wavefront6targetE1EEEvT1_,comdat
.Lfunc_end468:
	.size	_ZN7rocprim17ROCPRIM_400000_NS6detail17trampoline_kernelINS0_14default_configENS1_25partition_config_selectorILNS1_17partition_subalgoE1EsNS0_10empty_typeEbEEZZNS1_14partition_implILS5_1ELb0ES3_jN6thrust23THRUST_200600_302600_NS6detail15normal_iteratorINSA_10device_ptrIsEEEEPS6_NSA_18transform_iteratorI7is_evenIsESF_NSA_11use_defaultESK_EENS0_5tupleIJSF_SF_EEENSM_IJSG_SG_EEES6_PlJS6_EEE10hipError_tPvRmT3_T4_T5_T6_T7_T9_mT8_P12ihipStream_tbDpT10_ENKUlT_T0_E_clISt17integral_constantIbLb1EES18_IbLb0EEEEDaS14_S15_EUlS14_E_NS1_11comp_targetILNS1_3genE3ELNS1_11target_archE908ELNS1_3gpuE7ELNS1_3repE0EEENS1_30default_config_static_selectorELNS0_4arch9wavefront6targetE1EEEvT1_, .Lfunc_end468-_ZN7rocprim17ROCPRIM_400000_NS6detail17trampoline_kernelINS0_14default_configENS1_25partition_config_selectorILNS1_17partition_subalgoE1EsNS0_10empty_typeEbEEZZNS1_14partition_implILS5_1ELb0ES3_jN6thrust23THRUST_200600_302600_NS6detail15normal_iteratorINSA_10device_ptrIsEEEEPS6_NSA_18transform_iteratorI7is_evenIsESF_NSA_11use_defaultESK_EENS0_5tupleIJSF_SF_EEENSM_IJSG_SG_EEES6_PlJS6_EEE10hipError_tPvRmT3_T4_T5_T6_T7_T9_mT8_P12ihipStream_tbDpT10_ENKUlT_T0_E_clISt17integral_constantIbLb1EES18_IbLb0EEEEDaS14_S15_EUlS14_E_NS1_11comp_targetILNS1_3genE3ELNS1_11target_archE908ELNS1_3gpuE7ELNS1_3repE0EEENS1_30default_config_static_selectorELNS0_4arch9wavefront6targetE1EEEvT1_
                                        ; -- End function
	.section	.AMDGPU.csdata,"",@progbits
; Kernel info:
; codeLenInByte = 0
; NumSgprs: 4
; NumVgprs: 0
; NumAgprs: 0
; TotalNumVgprs: 0
; ScratchSize: 0
; MemoryBound: 0
; FloatMode: 240
; IeeeMode: 1
; LDSByteSize: 0 bytes/workgroup (compile time only)
; SGPRBlocks: 0
; VGPRBlocks: 0
; NumSGPRsForWavesPerEU: 4
; NumVGPRsForWavesPerEU: 1
; AccumOffset: 4
; Occupancy: 8
; WaveLimiterHint : 0
; COMPUTE_PGM_RSRC2:SCRATCH_EN: 0
; COMPUTE_PGM_RSRC2:USER_SGPR: 6
; COMPUTE_PGM_RSRC2:TRAP_HANDLER: 0
; COMPUTE_PGM_RSRC2:TGID_X_EN: 1
; COMPUTE_PGM_RSRC2:TGID_Y_EN: 0
; COMPUTE_PGM_RSRC2:TGID_Z_EN: 0
; COMPUTE_PGM_RSRC2:TIDIG_COMP_CNT: 0
; COMPUTE_PGM_RSRC3_GFX90A:ACCUM_OFFSET: 0
; COMPUTE_PGM_RSRC3_GFX90A:TG_SPLIT: 0
	.section	.text._ZN7rocprim17ROCPRIM_400000_NS6detail17trampoline_kernelINS0_14default_configENS1_25partition_config_selectorILNS1_17partition_subalgoE1EsNS0_10empty_typeEbEEZZNS1_14partition_implILS5_1ELb0ES3_jN6thrust23THRUST_200600_302600_NS6detail15normal_iteratorINSA_10device_ptrIsEEEEPS6_NSA_18transform_iteratorI7is_evenIsESF_NSA_11use_defaultESK_EENS0_5tupleIJSF_SF_EEENSM_IJSG_SG_EEES6_PlJS6_EEE10hipError_tPvRmT3_T4_T5_T6_T7_T9_mT8_P12ihipStream_tbDpT10_ENKUlT_T0_E_clISt17integral_constantIbLb1EES18_IbLb0EEEEDaS14_S15_EUlS14_E_NS1_11comp_targetILNS1_3genE2ELNS1_11target_archE906ELNS1_3gpuE6ELNS1_3repE0EEENS1_30default_config_static_selectorELNS0_4arch9wavefront6targetE1EEEvT1_,"axG",@progbits,_ZN7rocprim17ROCPRIM_400000_NS6detail17trampoline_kernelINS0_14default_configENS1_25partition_config_selectorILNS1_17partition_subalgoE1EsNS0_10empty_typeEbEEZZNS1_14partition_implILS5_1ELb0ES3_jN6thrust23THRUST_200600_302600_NS6detail15normal_iteratorINSA_10device_ptrIsEEEEPS6_NSA_18transform_iteratorI7is_evenIsESF_NSA_11use_defaultESK_EENS0_5tupleIJSF_SF_EEENSM_IJSG_SG_EEES6_PlJS6_EEE10hipError_tPvRmT3_T4_T5_T6_T7_T9_mT8_P12ihipStream_tbDpT10_ENKUlT_T0_E_clISt17integral_constantIbLb1EES18_IbLb0EEEEDaS14_S15_EUlS14_E_NS1_11comp_targetILNS1_3genE2ELNS1_11target_archE906ELNS1_3gpuE6ELNS1_3repE0EEENS1_30default_config_static_selectorELNS0_4arch9wavefront6targetE1EEEvT1_,comdat
	.protected	_ZN7rocprim17ROCPRIM_400000_NS6detail17trampoline_kernelINS0_14default_configENS1_25partition_config_selectorILNS1_17partition_subalgoE1EsNS0_10empty_typeEbEEZZNS1_14partition_implILS5_1ELb0ES3_jN6thrust23THRUST_200600_302600_NS6detail15normal_iteratorINSA_10device_ptrIsEEEEPS6_NSA_18transform_iteratorI7is_evenIsESF_NSA_11use_defaultESK_EENS0_5tupleIJSF_SF_EEENSM_IJSG_SG_EEES6_PlJS6_EEE10hipError_tPvRmT3_T4_T5_T6_T7_T9_mT8_P12ihipStream_tbDpT10_ENKUlT_T0_E_clISt17integral_constantIbLb1EES18_IbLb0EEEEDaS14_S15_EUlS14_E_NS1_11comp_targetILNS1_3genE2ELNS1_11target_archE906ELNS1_3gpuE6ELNS1_3repE0EEENS1_30default_config_static_selectorELNS0_4arch9wavefront6targetE1EEEvT1_ ; -- Begin function _ZN7rocprim17ROCPRIM_400000_NS6detail17trampoline_kernelINS0_14default_configENS1_25partition_config_selectorILNS1_17partition_subalgoE1EsNS0_10empty_typeEbEEZZNS1_14partition_implILS5_1ELb0ES3_jN6thrust23THRUST_200600_302600_NS6detail15normal_iteratorINSA_10device_ptrIsEEEEPS6_NSA_18transform_iteratorI7is_evenIsESF_NSA_11use_defaultESK_EENS0_5tupleIJSF_SF_EEENSM_IJSG_SG_EEES6_PlJS6_EEE10hipError_tPvRmT3_T4_T5_T6_T7_T9_mT8_P12ihipStream_tbDpT10_ENKUlT_T0_E_clISt17integral_constantIbLb1EES18_IbLb0EEEEDaS14_S15_EUlS14_E_NS1_11comp_targetILNS1_3genE2ELNS1_11target_archE906ELNS1_3gpuE6ELNS1_3repE0EEENS1_30default_config_static_selectorELNS0_4arch9wavefront6targetE1EEEvT1_
	.globl	_ZN7rocprim17ROCPRIM_400000_NS6detail17trampoline_kernelINS0_14default_configENS1_25partition_config_selectorILNS1_17partition_subalgoE1EsNS0_10empty_typeEbEEZZNS1_14partition_implILS5_1ELb0ES3_jN6thrust23THRUST_200600_302600_NS6detail15normal_iteratorINSA_10device_ptrIsEEEEPS6_NSA_18transform_iteratorI7is_evenIsESF_NSA_11use_defaultESK_EENS0_5tupleIJSF_SF_EEENSM_IJSG_SG_EEES6_PlJS6_EEE10hipError_tPvRmT3_T4_T5_T6_T7_T9_mT8_P12ihipStream_tbDpT10_ENKUlT_T0_E_clISt17integral_constantIbLb1EES18_IbLb0EEEEDaS14_S15_EUlS14_E_NS1_11comp_targetILNS1_3genE2ELNS1_11target_archE906ELNS1_3gpuE6ELNS1_3repE0EEENS1_30default_config_static_selectorELNS0_4arch9wavefront6targetE1EEEvT1_
	.p2align	8
	.type	_ZN7rocprim17ROCPRIM_400000_NS6detail17trampoline_kernelINS0_14default_configENS1_25partition_config_selectorILNS1_17partition_subalgoE1EsNS0_10empty_typeEbEEZZNS1_14partition_implILS5_1ELb0ES3_jN6thrust23THRUST_200600_302600_NS6detail15normal_iteratorINSA_10device_ptrIsEEEEPS6_NSA_18transform_iteratorI7is_evenIsESF_NSA_11use_defaultESK_EENS0_5tupleIJSF_SF_EEENSM_IJSG_SG_EEES6_PlJS6_EEE10hipError_tPvRmT3_T4_T5_T6_T7_T9_mT8_P12ihipStream_tbDpT10_ENKUlT_T0_E_clISt17integral_constantIbLb1EES18_IbLb0EEEEDaS14_S15_EUlS14_E_NS1_11comp_targetILNS1_3genE2ELNS1_11target_archE906ELNS1_3gpuE6ELNS1_3repE0EEENS1_30default_config_static_selectorELNS0_4arch9wavefront6targetE1EEEvT1_,@function
_ZN7rocprim17ROCPRIM_400000_NS6detail17trampoline_kernelINS0_14default_configENS1_25partition_config_selectorILNS1_17partition_subalgoE1EsNS0_10empty_typeEbEEZZNS1_14partition_implILS5_1ELb0ES3_jN6thrust23THRUST_200600_302600_NS6detail15normal_iteratorINSA_10device_ptrIsEEEEPS6_NSA_18transform_iteratorI7is_evenIsESF_NSA_11use_defaultESK_EENS0_5tupleIJSF_SF_EEENSM_IJSG_SG_EEES6_PlJS6_EEE10hipError_tPvRmT3_T4_T5_T6_T7_T9_mT8_P12ihipStream_tbDpT10_ENKUlT_T0_E_clISt17integral_constantIbLb1EES18_IbLb0EEEEDaS14_S15_EUlS14_E_NS1_11comp_targetILNS1_3genE2ELNS1_11target_archE906ELNS1_3gpuE6ELNS1_3repE0EEENS1_30default_config_static_selectorELNS0_4arch9wavefront6targetE1EEEvT1_: ; @_ZN7rocprim17ROCPRIM_400000_NS6detail17trampoline_kernelINS0_14default_configENS1_25partition_config_selectorILNS1_17partition_subalgoE1EsNS0_10empty_typeEbEEZZNS1_14partition_implILS5_1ELb0ES3_jN6thrust23THRUST_200600_302600_NS6detail15normal_iteratorINSA_10device_ptrIsEEEEPS6_NSA_18transform_iteratorI7is_evenIsESF_NSA_11use_defaultESK_EENS0_5tupleIJSF_SF_EEENSM_IJSG_SG_EEES6_PlJS6_EEE10hipError_tPvRmT3_T4_T5_T6_T7_T9_mT8_P12ihipStream_tbDpT10_ENKUlT_T0_E_clISt17integral_constantIbLb1EES18_IbLb0EEEEDaS14_S15_EUlS14_E_NS1_11comp_targetILNS1_3genE2ELNS1_11target_archE906ELNS1_3gpuE6ELNS1_3repE0EEENS1_30default_config_static_selectorELNS0_4arch9wavefront6targetE1EEEvT1_
; %bb.0:
	.section	.rodata,"a",@progbits
	.p2align	6, 0x0
	.amdhsa_kernel _ZN7rocprim17ROCPRIM_400000_NS6detail17trampoline_kernelINS0_14default_configENS1_25partition_config_selectorILNS1_17partition_subalgoE1EsNS0_10empty_typeEbEEZZNS1_14partition_implILS5_1ELb0ES3_jN6thrust23THRUST_200600_302600_NS6detail15normal_iteratorINSA_10device_ptrIsEEEEPS6_NSA_18transform_iteratorI7is_evenIsESF_NSA_11use_defaultESK_EENS0_5tupleIJSF_SF_EEENSM_IJSG_SG_EEES6_PlJS6_EEE10hipError_tPvRmT3_T4_T5_T6_T7_T9_mT8_P12ihipStream_tbDpT10_ENKUlT_T0_E_clISt17integral_constantIbLb1EES18_IbLb0EEEEDaS14_S15_EUlS14_E_NS1_11comp_targetILNS1_3genE2ELNS1_11target_archE906ELNS1_3gpuE6ELNS1_3repE0EEENS1_30default_config_static_selectorELNS0_4arch9wavefront6targetE1EEEvT1_
		.amdhsa_group_segment_fixed_size 0
		.amdhsa_private_segment_fixed_size 0
		.amdhsa_kernarg_size 128
		.amdhsa_user_sgpr_count 6
		.amdhsa_user_sgpr_private_segment_buffer 1
		.amdhsa_user_sgpr_dispatch_ptr 0
		.amdhsa_user_sgpr_queue_ptr 0
		.amdhsa_user_sgpr_kernarg_segment_ptr 1
		.amdhsa_user_sgpr_dispatch_id 0
		.amdhsa_user_sgpr_flat_scratch_init 0
		.amdhsa_user_sgpr_kernarg_preload_length 0
		.amdhsa_user_sgpr_kernarg_preload_offset 0
		.amdhsa_user_sgpr_private_segment_size 0
		.amdhsa_uses_dynamic_stack 0
		.amdhsa_system_sgpr_private_segment_wavefront_offset 0
		.amdhsa_system_sgpr_workgroup_id_x 1
		.amdhsa_system_sgpr_workgroup_id_y 0
		.amdhsa_system_sgpr_workgroup_id_z 0
		.amdhsa_system_sgpr_workgroup_info 0
		.amdhsa_system_vgpr_workitem_id 0
		.amdhsa_next_free_vgpr 1
		.amdhsa_next_free_sgpr 0
		.amdhsa_accum_offset 4
		.amdhsa_reserve_vcc 0
		.amdhsa_reserve_flat_scratch 0
		.amdhsa_float_round_mode_32 0
		.amdhsa_float_round_mode_16_64 0
		.amdhsa_float_denorm_mode_32 3
		.amdhsa_float_denorm_mode_16_64 3
		.amdhsa_dx10_clamp 1
		.amdhsa_ieee_mode 1
		.amdhsa_fp16_overflow 0
		.amdhsa_tg_split 0
		.amdhsa_exception_fp_ieee_invalid_op 0
		.amdhsa_exception_fp_denorm_src 0
		.amdhsa_exception_fp_ieee_div_zero 0
		.amdhsa_exception_fp_ieee_overflow 0
		.amdhsa_exception_fp_ieee_underflow 0
		.amdhsa_exception_fp_ieee_inexact 0
		.amdhsa_exception_int_div_zero 0
	.end_amdhsa_kernel
	.section	.text._ZN7rocprim17ROCPRIM_400000_NS6detail17trampoline_kernelINS0_14default_configENS1_25partition_config_selectorILNS1_17partition_subalgoE1EsNS0_10empty_typeEbEEZZNS1_14partition_implILS5_1ELb0ES3_jN6thrust23THRUST_200600_302600_NS6detail15normal_iteratorINSA_10device_ptrIsEEEEPS6_NSA_18transform_iteratorI7is_evenIsESF_NSA_11use_defaultESK_EENS0_5tupleIJSF_SF_EEENSM_IJSG_SG_EEES6_PlJS6_EEE10hipError_tPvRmT3_T4_T5_T6_T7_T9_mT8_P12ihipStream_tbDpT10_ENKUlT_T0_E_clISt17integral_constantIbLb1EES18_IbLb0EEEEDaS14_S15_EUlS14_E_NS1_11comp_targetILNS1_3genE2ELNS1_11target_archE906ELNS1_3gpuE6ELNS1_3repE0EEENS1_30default_config_static_selectorELNS0_4arch9wavefront6targetE1EEEvT1_,"axG",@progbits,_ZN7rocprim17ROCPRIM_400000_NS6detail17trampoline_kernelINS0_14default_configENS1_25partition_config_selectorILNS1_17partition_subalgoE1EsNS0_10empty_typeEbEEZZNS1_14partition_implILS5_1ELb0ES3_jN6thrust23THRUST_200600_302600_NS6detail15normal_iteratorINSA_10device_ptrIsEEEEPS6_NSA_18transform_iteratorI7is_evenIsESF_NSA_11use_defaultESK_EENS0_5tupleIJSF_SF_EEENSM_IJSG_SG_EEES6_PlJS6_EEE10hipError_tPvRmT3_T4_T5_T6_T7_T9_mT8_P12ihipStream_tbDpT10_ENKUlT_T0_E_clISt17integral_constantIbLb1EES18_IbLb0EEEEDaS14_S15_EUlS14_E_NS1_11comp_targetILNS1_3genE2ELNS1_11target_archE906ELNS1_3gpuE6ELNS1_3repE0EEENS1_30default_config_static_selectorELNS0_4arch9wavefront6targetE1EEEvT1_,comdat
.Lfunc_end469:
	.size	_ZN7rocprim17ROCPRIM_400000_NS6detail17trampoline_kernelINS0_14default_configENS1_25partition_config_selectorILNS1_17partition_subalgoE1EsNS0_10empty_typeEbEEZZNS1_14partition_implILS5_1ELb0ES3_jN6thrust23THRUST_200600_302600_NS6detail15normal_iteratorINSA_10device_ptrIsEEEEPS6_NSA_18transform_iteratorI7is_evenIsESF_NSA_11use_defaultESK_EENS0_5tupleIJSF_SF_EEENSM_IJSG_SG_EEES6_PlJS6_EEE10hipError_tPvRmT3_T4_T5_T6_T7_T9_mT8_P12ihipStream_tbDpT10_ENKUlT_T0_E_clISt17integral_constantIbLb1EES18_IbLb0EEEEDaS14_S15_EUlS14_E_NS1_11comp_targetILNS1_3genE2ELNS1_11target_archE906ELNS1_3gpuE6ELNS1_3repE0EEENS1_30default_config_static_selectorELNS0_4arch9wavefront6targetE1EEEvT1_, .Lfunc_end469-_ZN7rocprim17ROCPRIM_400000_NS6detail17trampoline_kernelINS0_14default_configENS1_25partition_config_selectorILNS1_17partition_subalgoE1EsNS0_10empty_typeEbEEZZNS1_14partition_implILS5_1ELb0ES3_jN6thrust23THRUST_200600_302600_NS6detail15normal_iteratorINSA_10device_ptrIsEEEEPS6_NSA_18transform_iteratorI7is_evenIsESF_NSA_11use_defaultESK_EENS0_5tupleIJSF_SF_EEENSM_IJSG_SG_EEES6_PlJS6_EEE10hipError_tPvRmT3_T4_T5_T6_T7_T9_mT8_P12ihipStream_tbDpT10_ENKUlT_T0_E_clISt17integral_constantIbLb1EES18_IbLb0EEEEDaS14_S15_EUlS14_E_NS1_11comp_targetILNS1_3genE2ELNS1_11target_archE906ELNS1_3gpuE6ELNS1_3repE0EEENS1_30default_config_static_selectorELNS0_4arch9wavefront6targetE1EEEvT1_
                                        ; -- End function
	.section	.AMDGPU.csdata,"",@progbits
; Kernel info:
; codeLenInByte = 0
; NumSgprs: 4
; NumVgprs: 0
; NumAgprs: 0
; TotalNumVgprs: 0
; ScratchSize: 0
; MemoryBound: 0
; FloatMode: 240
; IeeeMode: 1
; LDSByteSize: 0 bytes/workgroup (compile time only)
; SGPRBlocks: 0
; VGPRBlocks: 0
; NumSGPRsForWavesPerEU: 4
; NumVGPRsForWavesPerEU: 1
; AccumOffset: 4
; Occupancy: 8
; WaveLimiterHint : 0
; COMPUTE_PGM_RSRC2:SCRATCH_EN: 0
; COMPUTE_PGM_RSRC2:USER_SGPR: 6
; COMPUTE_PGM_RSRC2:TRAP_HANDLER: 0
; COMPUTE_PGM_RSRC2:TGID_X_EN: 1
; COMPUTE_PGM_RSRC2:TGID_Y_EN: 0
; COMPUTE_PGM_RSRC2:TGID_Z_EN: 0
; COMPUTE_PGM_RSRC2:TIDIG_COMP_CNT: 0
; COMPUTE_PGM_RSRC3_GFX90A:ACCUM_OFFSET: 0
; COMPUTE_PGM_RSRC3_GFX90A:TG_SPLIT: 0
	.section	.text._ZN7rocprim17ROCPRIM_400000_NS6detail17trampoline_kernelINS0_14default_configENS1_25partition_config_selectorILNS1_17partition_subalgoE1EsNS0_10empty_typeEbEEZZNS1_14partition_implILS5_1ELb0ES3_jN6thrust23THRUST_200600_302600_NS6detail15normal_iteratorINSA_10device_ptrIsEEEEPS6_NSA_18transform_iteratorI7is_evenIsESF_NSA_11use_defaultESK_EENS0_5tupleIJSF_SF_EEENSM_IJSG_SG_EEES6_PlJS6_EEE10hipError_tPvRmT3_T4_T5_T6_T7_T9_mT8_P12ihipStream_tbDpT10_ENKUlT_T0_E_clISt17integral_constantIbLb1EES18_IbLb0EEEEDaS14_S15_EUlS14_E_NS1_11comp_targetILNS1_3genE10ELNS1_11target_archE1200ELNS1_3gpuE4ELNS1_3repE0EEENS1_30default_config_static_selectorELNS0_4arch9wavefront6targetE1EEEvT1_,"axG",@progbits,_ZN7rocprim17ROCPRIM_400000_NS6detail17trampoline_kernelINS0_14default_configENS1_25partition_config_selectorILNS1_17partition_subalgoE1EsNS0_10empty_typeEbEEZZNS1_14partition_implILS5_1ELb0ES3_jN6thrust23THRUST_200600_302600_NS6detail15normal_iteratorINSA_10device_ptrIsEEEEPS6_NSA_18transform_iteratorI7is_evenIsESF_NSA_11use_defaultESK_EENS0_5tupleIJSF_SF_EEENSM_IJSG_SG_EEES6_PlJS6_EEE10hipError_tPvRmT3_T4_T5_T6_T7_T9_mT8_P12ihipStream_tbDpT10_ENKUlT_T0_E_clISt17integral_constantIbLb1EES18_IbLb0EEEEDaS14_S15_EUlS14_E_NS1_11comp_targetILNS1_3genE10ELNS1_11target_archE1200ELNS1_3gpuE4ELNS1_3repE0EEENS1_30default_config_static_selectorELNS0_4arch9wavefront6targetE1EEEvT1_,comdat
	.protected	_ZN7rocprim17ROCPRIM_400000_NS6detail17trampoline_kernelINS0_14default_configENS1_25partition_config_selectorILNS1_17partition_subalgoE1EsNS0_10empty_typeEbEEZZNS1_14partition_implILS5_1ELb0ES3_jN6thrust23THRUST_200600_302600_NS6detail15normal_iteratorINSA_10device_ptrIsEEEEPS6_NSA_18transform_iteratorI7is_evenIsESF_NSA_11use_defaultESK_EENS0_5tupleIJSF_SF_EEENSM_IJSG_SG_EEES6_PlJS6_EEE10hipError_tPvRmT3_T4_T5_T6_T7_T9_mT8_P12ihipStream_tbDpT10_ENKUlT_T0_E_clISt17integral_constantIbLb1EES18_IbLb0EEEEDaS14_S15_EUlS14_E_NS1_11comp_targetILNS1_3genE10ELNS1_11target_archE1200ELNS1_3gpuE4ELNS1_3repE0EEENS1_30default_config_static_selectorELNS0_4arch9wavefront6targetE1EEEvT1_ ; -- Begin function _ZN7rocprim17ROCPRIM_400000_NS6detail17trampoline_kernelINS0_14default_configENS1_25partition_config_selectorILNS1_17partition_subalgoE1EsNS0_10empty_typeEbEEZZNS1_14partition_implILS5_1ELb0ES3_jN6thrust23THRUST_200600_302600_NS6detail15normal_iteratorINSA_10device_ptrIsEEEEPS6_NSA_18transform_iteratorI7is_evenIsESF_NSA_11use_defaultESK_EENS0_5tupleIJSF_SF_EEENSM_IJSG_SG_EEES6_PlJS6_EEE10hipError_tPvRmT3_T4_T5_T6_T7_T9_mT8_P12ihipStream_tbDpT10_ENKUlT_T0_E_clISt17integral_constantIbLb1EES18_IbLb0EEEEDaS14_S15_EUlS14_E_NS1_11comp_targetILNS1_3genE10ELNS1_11target_archE1200ELNS1_3gpuE4ELNS1_3repE0EEENS1_30default_config_static_selectorELNS0_4arch9wavefront6targetE1EEEvT1_
	.globl	_ZN7rocprim17ROCPRIM_400000_NS6detail17trampoline_kernelINS0_14default_configENS1_25partition_config_selectorILNS1_17partition_subalgoE1EsNS0_10empty_typeEbEEZZNS1_14partition_implILS5_1ELb0ES3_jN6thrust23THRUST_200600_302600_NS6detail15normal_iteratorINSA_10device_ptrIsEEEEPS6_NSA_18transform_iteratorI7is_evenIsESF_NSA_11use_defaultESK_EENS0_5tupleIJSF_SF_EEENSM_IJSG_SG_EEES6_PlJS6_EEE10hipError_tPvRmT3_T4_T5_T6_T7_T9_mT8_P12ihipStream_tbDpT10_ENKUlT_T0_E_clISt17integral_constantIbLb1EES18_IbLb0EEEEDaS14_S15_EUlS14_E_NS1_11comp_targetILNS1_3genE10ELNS1_11target_archE1200ELNS1_3gpuE4ELNS1_3repE0EEENS1_30default_config_static_selectorELNS0_4arch9wavefront6targetE1EEEvT1_
	.p2align	8
	.type	_ZN7rocprim17ROCPRIM_400000_NS6detail17trampoline_kernelINS0_14default_configENS1_25partition_config_selectorILNS1_17partition_subalgoE1EsNS0_10empty_typeEbEEZZNS1_14partition_implILS5_1ELb0ES3_jN6thrust23THRUST_200600_302600_NS6detail15normal_iteratorINSA_10device_ptrIsEEEEPS6_NSA_18transform_iteratorI7is_evenIsESF_NSA_11use_defaultESK_EENS0_5tupleIJSF_SF_EEENSM_IJSG_SG_EEES6_PlJS6_EEE10hipError_tPvRmT3_T4_T5_T6_T7_T9_mT8_P12ihipStream_tbDpT10_ENKUlT_T0_E_clISt17integral_constantIbLb1EES18_IbLb0EEEEDaS14_S15_EUlS14_E_NS1_11comp_targetILNS1_3genE10ELNS1_11target_archE1200ELNS1_3gpuE4ELNS1_3repE0EEENS1_30default_config_static_selectorELNS0_4arch9wavefront6targetE1EEEvT1_,@function
_ZN7rocprim17ROCPRIM_400000_NS6detail17trampoline_kernelINS0_14default_configENS1_25partition_config_selectorILNS1_17partition_subalgoE1EsNS0_10empty_typeEbEEZZNS1_14partition_implILS5_1ELb0ES3_jN6thrust23THRUST_200600_302600_NS6detail15normal_iteratorINSA_10device_ptrIsEEEEPS6_NSA_18transform_iteratorI7is_evenIsESF_NSA_11use_defaultESK_EENS0_5tupleIJSF_SF_EEENSM_IJSG_SG_EEES6_PlJS6_EEE10hipError_tPvRmT3_T4_T5_T6_T7_T9_mT8_P12ihipStream_tbDpT10_ENKUlT_T0_E_clISt17integral_constantIbLb1EES18_IbLb0EEEEDaS14_S15_EUlS14_E_NS1_11comp_targetILNS1_3genE10ELNS1_11target_archE1200ELNS1_3gpuE4ELNS1_3repE0EEENS1_30default_config_static_selectorELNS0_4arch9wavefront6targetE1EEEvT1_: ; @_ZN7rocprim17ROCPRIM_400000_NS6detail17trampoline_kernelINS0_14default_configENS1_25partition_config_selectorILNS1_17partition_subalgoE1EsNS0_10empty_typeEbEEZZNS1_14partition_implILS5_1ELb0ES3_jN6thrust23THRUST_200600_302600_NS6detail15normal_iteratorINSA_10device_ptrIsEEEEPS6_NSA_18transform_iteratorI7is_evenIsESF_NSA_11use_defaultESK_EENS0_5tupleIJSF_SF_EEENSM_IJSG_SG_EEES6_PlJS6_EEE10hipError_tPvRmT3_T4_T5_T6_T7_T9_mT8_P12ihipStream_tbDpT10_ENKUlT_T0_E_clISt17integral_constantIbLb1EES18_IbLb0EEEEDaS14_S15_EUlS14_E_NS1_11comp_targetILNS1_3genE10ELNS1_11target_archE1200ELNS1_3gpuE4ELNS1_3repE0EEENS1_30default_config_static_selectorELNS0_4arch9wavefront6targetE1EEEvT1_
; %bb.0:
	.section	.rodata,"a",@progbits
	.p2align	6, 0x0
	.amdhsa_kernel _ZN7rocprim17ROCPRIM_400000_NS6detail17trampoline_kernelINS0_14default_configENS1_25partition_config_selectorILNS1_17partition_subalgoE1EsNS0_10empty_typeEbEEZZNS1_14partition_implILS5_1ELb0ES3_jN6thrust23THRUST_200600_302600_NS6detail15normal_iteratorINSA_10device_ptrIsEEEEPS6_NSA_18transform_iteratorI7is_evenIsESF_NSA_11use_defaultESK_EENS0_5tupleIJSF_SF_EEENSM_IJSG_SG_EEES6_PlJS6_EEE10hipError_tPvRmT3_T4_T5_T6_T7_T9_mT8_P12ihipStream_tbDpT10_ENKUlT_T0_E_clISt17integral_constantIbLb1EES18_IbLb0EEEEDaS14_S15_EUlS14_E_NS1_11comp_targetILNS1_3genE10ELNS1_11target_archE1200ELNS1_3gpuE4ELNS1_3repE0EEENS1_30default_config_static_selectorELNS0_4arch9wavefront6targetE1EEEvT1_
		.amdhsa_group_segment_fixed_size 0
		.amdhsa_private_segment_fixed_size 0
		.amdhsa_kernarg_size 128
		.amdhsa_user_sgpr_count 6
		.amdhsa_user_sgpr_private_segment_buffer 1
		.amdhsa_user_sgpr_dispatch_ptr 0
		.amdhsa_user_sgpr_queue_ptr 0
		.amdhsa_user_sgpr_kernarg_segment_ptr 1
		.amdhsa_user_sgpr_dispatch_id 0
		.amdhsa_user_sgpr_flat_scratch_init 0
		.amdhsa_user_sgpr_kernarg_preload_length 0
		.amdhsa_user_sgpr_kernarg_preload_offset 0
		.amdhsa_user_sgpr_private_segment_size 0
		.amdhsa_uses_dynamic_stack 0
		.amdhsa_system_sgpr_private_segment_wavefront_offset 0
		.amdhsa_system_sgpr_workgroup_id_x 1
		.amdhsa_system_sgpr_workgroup_id_y 0
		.amdhsa_system_sgpr_workgroup_id_z 0
		.amdhsa_system_sgpr_workgroup_info 0
		.amdhsa_system_vgpr_workitem_id 0
		.amdhsa_next_free_vgpr 1
		.amdhsa_next_free_sgpr 0
		.amdhsa_accum_offset 4
		.amdhsa_reserve_vcc 0
		.amdhsa_reserve_flat_scratch 0
		.amdhsa_float_round_mode_32 0
		.amdhsa_float_round_mode_16_64 0
		.amdhsa_float_denorm_mode_32 3
		.amdhsa_float_denorm_mode_16_64 3
		.amdhsa_dx10_clamp 1
		.amdhsa_ieee_mode 1
		.amdhsa_fp16_overflow 0
		.amdhsa_tg_split 0
		.amdhsa_exception_fp_ieee_invalid_op 0
		.amdhsa_exception_fp_denorm_src 0
		.amdhsa_exception_fp_ieee_div_zero 0
		.amdhsa_exception_fp_ieee_overflow 0
		.amdhsa_exception_fp_ieee_underflow 0
		.amdhsa_exception_fp_ieee_inexact 0
		.amdhsa_exception_int_div_zero 0
	.end_amdhsa_kernel
	.section	.text._ZN7rocprim17ROCPRIM_400000_NS6detail17trampoline_kernelINS0_14default_configENS1_25partition_config_selectorILNS1_17partition_subalgoE1EsNS0_10empty_typeEbEEZZNS1_14partition_implILS5_1ELb0ES3_jN6thrust23THRUST_200600_302600_NS6detail15normal_iteratorINSA_10device_ptrIsEEEEPS6_NSA_18transform_iteratorI7is_evenIsESF_NSA_11use_defaultESK_EENS0_5tupleIJSF_SF_EEENSM_IJSG_SG_EEES6_PlJS6_EEE10hipError_tPvRmT3_T4_T5_T6_T7_T9_mT8_P12ihipStream_tbDpT10_ENKUlT_T0_E_clISt17integral_constantIbLb1EES18_IbLb0EEEEDaS14_S15_EUlS14_E_NS1_11comp_targetILNS1_3genE10ELNS1_11target_archE1200ELNS1_3gpuE4ELNS1_3repE0EEENS1_30default_config_static_selectorELNS0_4arch9wavefront6targetE1EEEvT1_,"axG",@progbits,_ZN7rocprim17ROCPRIM_400000_NS6detail17trampoline_kernelINS0_14default_configENS1_25partition_config_selectorILNS1_17partition_subalgoE1EsNS0_10empty_typeEbEEZZNS1_14partition_implILS5_1ELb0ES3_jN6thrust23THRUST_200600_302600_NS6detail15normal_iteratorINSA_10device_ptrIsEEEEPS6_NSA_18transform_iteratorI7is_evenIsESF_NSA_11use_defaultESK_EENS0_5tupleIJSF_SF_EEENSM_IJSG_SG_EEES6_PlJS6_EEE10hipError_tPvRmT3_T4_T5_T6_T7_T9_mT8_P12ihipStream_tbDpT10_ENKUlT_T0_E_clISt17integral_constantIbLb1EES18_IbLb0EEEEDaS14_S15_EUlS14_E_NS1_11comp_targetILNS1_3genE10ELNS1_11target_archE1200ELNS1_3gpuE4ELNS1_3repE0EEENS1_30default_config_static_selectorELNS0_4arch9wavefront6targetE1EEEvT1_,comdat
.Lfunc_end470:
	.size	_ZN7rocprim17ROCPRIM_400000_NS6detail17trampoline_kernelINS0_14default_configENS1_25partition_config_selectorILNS1_17partition_subalgoE1EsNS0_10empty_typeEbEEZZNS1_14partition_implILS5_1ELb0ES3_jN6thrust23THRUST_200600_302600_NS6detail15normal_iteratorINSA_10device_ptrIsEEEEPS6_NSA_18transform_iteratorI7is_evenIsESF_NSA_11use_defaultESK_EENS0_5tupleIJSF_SF_EEENSM_IJSG_SG_EEES6_PlJS6_EEE10hipError_tPvRmT3_T4_T5_T6_T7_T9_mT8_P12ihipStream_tbDpT10_ENKUlT_T0_E_clISt17integral_constantIbLb1EES18_IbLb0EEEEDaS14_S15_EUlS14_E_NS1_11comp_targetILNS1_3genE10ELNS1_11target_archE1200ELNS1_3gpuE4ELNS1_3repE0EEENS1_30default_config_static_selectorELNS0_4arch9wavefront6targetE1EEEvT1_, .Lfunc_end470-_ZN7rocprim17ROCPRIM_400000_NS6detail17trampoline_kernelINS0_14default_configENS1_25partition_config_selectorILNS1_17partition_subalgoE1EsNS0_10empty_typeEbEEZZNS1_14partition_implILS5_1ELb0ES3_jN6thrust23THRUST_200600_302600_NS6detail15normal_iteratorINSA_10device_ptrIsEEEEPS6_NSA_18transform_iteratorI7is_evenIsESF_NSA_11use_defaultESK_EENS0_5tupleIJSF_SF_EEENSM_IJSG_SG_EEES6_PlJS6_EEE10hipError_tPvRmT3_T4_T5_T6_T7_T9_mT8_P12ihipStream_tbDpT10_ENKUlT_T0_E_clISt17integral_constantIbLb1EES18_IbLb0EEEEDaS14_S15_EUlS14_E_NS1_11comp_targetILNS1_3genE10ELNS1_11target_archE1200ELNS1_3gpuE4ELNS1_3repE0EEENS1_30default_config_static_selectorELNS0_4arch9wavefront6targetE1EEEvT1_
                                        ; -- End function
	.section	.AMDGPU.csdata,"",@progbits
; Kernel info:
; codeLenInByte = 0
; NumSgprs: 4
; NumVgprs: 0
; NumAgprs: 0
; TotalNumVgprs: 0
; ScratchSize: 0
; MemoryBound: 0
; FloatMode: 240
; IeeeMode: 1
; LDSByteSize: 0 bytes/workgroup (compile time only)
; SGPRBlocks: 0
; VGPRBlocks: 0
; NumSGPRsForWavesPerEU: 4
; NumVGPRsForWavesPerEU: 1
; AccumOffset: 4
; Occupancy: 8
; WaveLimiterHint : 0
; COMPUTE_PGM_RSRC2:SCRATCH_EN: 0
; COMPUTE_PGM_RSRC2:USER_SGPR: 6
; COMPUTE_PGM_RSRC2:TRAP_HANDLER: 0
; COMPUTE_PGM_RSRC2:TGID_X_EN: 1
; COMPUTE_PGM_RSRC2:TGID_Y_EN: 0
; COMPUTE_PGM_RSRC2:TGID_Z_EN: 0
; COMPUTE_PGM_RSRC2:TIDIG_COMP_CNT: 0
; COMPUTE_PGM_RSRC3_GFX90A:ACCUM_OFFSET: 0
; COMPUTE_PGM_RSRC3_GFX90A:TG_SPLIT: 0
	.section	.text._ZN7rocprim17ROCPRIM_400000_NS6detail17trampoline_kernelINS0_14default_configENS1_25partition_config_selectorILNS1_17partition_subalgoE1EsNS0_10empty_typeEbEEZZNS1_14partition_implILS5_1ELb0ES3_jN6thrust23THRUST_200600_302600_NS6detail15normal_iteratorINSA_10device_ptrIsEEEEPS6_NSA_18transform_iteratorI7is_evenIsESF_NSA_11use_defaultESK_EENS0_5tupleIJSF_SF_EEENSM_IJSG_SG_EEES6_PlJS6_EEE10hipError_tPvRmT3_T4_T5_T6_T7_T9_mT8_P12ihipStream_tbDpT10_ENKUlT_T0_E_clISt17integral_constantIbLb1EES18_IbLb0EEEEDaS14_S15_EUlS14_E_NS1_11comp_targetILNS1_3genE9ELNS1_11target_archE1100ELNS1_3gpuE3ELNS1_3repE0EEENS1_30default_config_static_selectorELNS0_4arch9wavefront6targetE1EEEvT1_,"axG",@progbits,_ZN7rocprim17ROCPRIM_400000_NS6detail17trampoline_kernelINS0_14default_configENS1_25partition_config_selectorILNS1_17partition_subalgoE1EsNS0_10empty_typeEbEEZZNS1_14partition_implILS5_1ELb0ES3_jN6thrust23THRUST_200600_302600_NS6detail15normal_iteratorINSA_10device_ptrIsEEEEPS6_NSA_18transform_iteratorI7is_evenIsESF_NSA_11use_defaultESK_EENS0_5tupleIJSF_SF_EEENSM_IJSG_SG_EEES6_PlJS6_EEE10hipError_tPvRmT3_T4_T5_T6_T7_T9_mT8_P12ihipStream_tbDpT10_ENKUlT_T0_E_clISt17integral_constantIbLb1EES18_IbLb0EEEEDaS14_S15_EUlS14_E_NS1_11comp_targetILNS1_3genE9ELNS1_11target_archE1100ELNS1_3gpuE3ELNS1_3repE0EEENS1_30default_config_static_selectorELNS0_4arch9wavefront6targetE1EEEvT1_,comdat
	.protected	_ZN7rocprim17ROCPRIM_400000_NS6detail17trampoline_kernelINS0_14default_configENS1_25partition_config_selectorILNS1_17partition_subalgoE1EsNS0_10empty_typeEbEEZZNS1_14partition_implILS5_1ELb0ES3_jN6thrust23THRUST_200600_302600_NS6detail15normal_iteratorINSA_10device_ptrIsEEEEPS6_NSA_18transform_iteratorI7is_evenIsESF_NSA_11use_defaultESK_EENS0_5tupleIJSF_SF_EEENSM_IJSG_SG_EEES6_PlJS6_EEE10hipError_tPvRmT3_T4_T5_T6_T7_T9_mT8_P12ihipStream_tbDpT10_ENKUlT_T0_E_clISt17integral_constantIbLb1EES18_IbLb0EEEEDaS14_S15_EUlS14_E_NS1_11comp_targetILNS1_3genE9ELNS1_11target_archE1100ELNS1_3gpuE3ELNS1_3repE0EEENS1_30default_config_static_selectorELNS0_4arch9wavefront6targetE1EEEvT1_ ; -- Begin function _ZN7rocprim17ROCPRIM_400000_NS6detail17trampoline_kernelINS0_14default_configENS1_25partition_config_selectorILNS1_17partition_subalgoE1EsNS0_10empty_typeEbEEZZNS1_14partition_implILS5_1ELb0ES3_jN6thrust23THRUST_200600_302600_NS6detail15normal_iteratorINSA_10device_ptrIsEEEEPS6_NSA_18transform_iteratorI7is_evenIsESF_NSA_11use_defaultESK_EENS0_5tupleIJSF_SF_EEENSM_IJSG_SG_EEES6_PlJS6_EEE10hipError_tPvRmT3_T4_T5_T6_T7_T9_mT8_P12ihipStream_tbDpT10_ENKUlT_T0_E_clISt17integral_constantIbLb1EES18_IbLb0EEEEDaS14_S15_EUlS14_E_NS1_11comp_targetILNS1_3genE9ELNS1_11target_archE1100ELNS1_3gpuE3ELNS1_3repE0EEENS1_30default_config_static_selectorELNS0_4arch9wavefront6targetE1EEEvT1_
	.globl	_ZN7rocprim17ROCPRIM_400000_NS6detail17trampoline_kernelINS0_14default_configENS1_25partition_config_selectorILNS1_17partition_subalgoE1EsNS0_10empty_typeEbEEZZNS1_14partition_implILS5_1ELb0ES3_jN6thrust23THRUST_200600_302600_NS6detail15normal_iteratorINSA_10device_ptrIsEEEEPS6_NSA_18transform_iteratorI7is_evenIsESF_NSA_11use_defaultESK_EENS0_5tupleIJSF_SF_EEENSM_IJSG_SG_EEES6_PlJS6_EEE10hipError_tPvRmT3_T4_T5_T6_T7_T9_mT8_P12ihipStream_tbDpT10_ENKUlT_T0_E_clISt17integral_constantIbLb1EES18_IbLb0EEEEDaS14_S15_EUlS14_E_NS1_11comp_targetILNS1_3genE9ELNS1_11target_archE1100ELNS1_3gpuE3ELNS1_3repE0EEENS1_30default_config_static_selectorELNS0_4arch9wavefront6targetE1EEEvT1_
	.p2align	8
	.type	_ZN7rocprim17ROCPRIM_400000_NS6detail17trampoline_kernelINS0_14default_configENS1_25partition_config_selectorILNS1_17partition_subalgoE1EsNS0_10empty_typeEbEEZZNS1_14partition_implILS5_1ELb0ES3_jN6thrust23THRUST_200600_302600_NS6detail15normal_iteratorINSA_10device_ptrIsEEEEPS6_NSA_18transform_iteratorI7is_evenIsESF_NSA_11use_defaultESK_EENS0_5tupleIJSF_SF_EEENSM_IJSG_SG_EEES6_PlJS6_EEE10hipError_tPvRmT3_T4_T5_T6_T7_T9_mT8_P12ihipStream_tbDpT10_ENKUlT_T0_E_clISt17integral_constantIbLb1EES18_IbLb0EEEEDaS14_S15_EUlS14_E_NS1_11comp_targetILNS1_3genE9ELNS1_11target_archE1100ELNS1_3gpuE3ELNS1_3repE0EEENS1_30default_config_static_selectorELNS0_4arch9wavefront6targetE1EEEvT1_,@function
_ZN7rocprim17ROCPRIM_400000_NS6detail17trampoline_kernelINS0_14default_configENS1_25partition_config_selectorILNS1_17partition_subalgoE1EsNS0_10empty_typeEbEEZZNS1_14partition_implILS5_1ELb0ES3_jN6thrust23THRUST_200600_302600_NS6detail15normal_iteratorINSA_10device_ptrIsEEEEPS6_NSA_18transform_iteratorI7is_evenIsESF_NSA_11use_defaultESK_EENS0_5tupleIJSF_SF_EEENSM_IJSG_SG_EEES6_PlJS6_EEE10hipError_tPvRmT3_T4_T5_T6_T7_T9_mT8_P12ihipStream_tbDpT10_ENKUlT_T0_E_clISt17integral_constantIbLb1EES18_IbLb0EEEEDaS14_S15_EUlS14_E_NS1_11comp_targetILNS1_3genE9ELNS1_11target_archE1100ELNS1_3gpuE3ELNS1_3repE0EEENS1_30default_config_static_selectorELNS0_4arch9wavefront6targetE1EEEvT1_: ; @_ZN7rocprim17ROCPRIM_400000_NS6detail17trampoline_kernelINS0_14default_configENS1_25partition_config_selectorILNS1_17partition_subalgoE1EsNS0_10empty_typeEbEEZZNS1_14partition_implILS5_1ELb0ES3_jN6thrust23THRUST_200600_302600_NS6detail15normal_iteratorINSA_10device_ptrIsEEEEPS6_NSA_18transform_iteratorI7is_evenIsESF_NSA_11use_defaultESK_EENS0_5tupleIJSF_SF_EEENSM_IJSG_SG_EEES6_PlJS6_EEE10hipError_tPvRmT3_T4_T5_T6_T7_T9_mT8_P12ihipStream_tbDpT10_ENKUlT_T0_E_clISt17integral_constantIbLb1EES18_IbLb0EEEEDaS14_S15_EUlS14_E_NS1_11comp_targetILNS1_3genE9ELNS1_11target_archE1100ELNS1_3gpuE3ELNS1_3repE0EEENS1_30default_config_static_selectorELNS0_4arch9wavefront6targetE1EEEvT1_
; %bb.0:
	.section	.rodata,"a",@progbits
	.p2align	6, 0x0
	.amdhsa_kernel _ZN7rocprim17ROCPRIM_400000_NS6detail17trampoline_kernelINS0_14default_configENS1_25partition_config_selectorILNS1_17partition_subalgoE1EsNS0_10empty_typeEbEEZZNS1_14partition_implILS5_1ELb0ES3_jN6thrust23THRUST_200600_302600_NS6detail15normal_iteratorINSA_10device_ptrIsEEEEPS6_NSA_18transform_iteratorI7is_evenIsESF_NSA_11use_defaultESK_EENS0_5tupleIJSF_SF_EEENSM_IJSG_SG_EEES6_PlJS6_EEE10hipError_tPvRmT3_T4_T5_T6_T7_T9_mT8_P12ihipStream_tbDpT10_ENKUlT_T0_E_clISt17integral_constantIbLb1EES18_IbLb0EEEEDaS14_S15_EUlS14_E_NS1_11comp_targetILNS1_3genE9ELNS1_11target_archE1100ELNS1_3gpuE3ELNS1_3repE0EEENS1_30default_config_static_selectorELNS0_4arch9wavefront6targetE1EEEvT1_
		.amdhsa_group_segment_fixed_size 0
		.amdhsa_private_segment_fixed_size 0
		.amdhsa_kernarg_size 128
		.amdhsa_user_sgpr_count 6
		.amdhsa_user_sgpr_private_segment_buffer 1
		.amdhsa_user_sgpr_dispatch_ptr 0
		.amdhsa_user_sgpr_queue_ptr 0
		.amdhsa_user_sgpr_kernarg_segment_ptr 1
		.amdhsa_user_sgpr_dispatch_id 0
		.amdhsa_user_sgpr_flat_scratch_init 0
		.amdhsa_user_sgpr_kernarg_preload_length 0
		.amdhsa_user_sgpr_kernarg_preload_offset 0
		.amdhsa_user_sgpr_private_segment_size 0
		.amdhsa_uses_dynamic_stack 0
		.amdhsa_system_sgpr_private_segment_wavefront_offset 0
		.amdhsa_system_sgpr_workgroup_id_x 1
		.amdhsa_system_sgpr_workgroup_id_y 0
		.amdhsa_system_sgpr_workgroup_id_z 0
		.amdhsa_system_sgpr_workgroup_info 0
		.amdhsa_system_vgpr_workitem_id 0
		.amdhsa_next_free_vgpr 1
		.amdhsa_next_free_sgpr 0
		.amdhsa_accum_offset 4
		.amdhsa_reserve_vcc 0
		.amdhsa_reserve_flat_scratch 0
		.amdhsa_float_round_mode_32 0
		.amdhsa_float_round_mode_16_64 0
		.amdhsa_float_denorm_mode_32 3
		.amdhsa_float_denorm_mode_16_64 3
		.amdhsa_dx10_clamp 1
		.amdhsa_ieee_mode 1
		.amdhsa_fp16_overflow 0
		.amdhsa_tg_split 0
		.amdhsa_exception_fp_ieee_invalid_op 0
		.amdhsa_exception_fp_denorm_src 0
		.amdhsa_exception_fp_ieee_div_zero 0
		.amdhsa_exception_fp_ieee_overflow 0
		.amdhsa_exception_fp_ieee_underflow 0
		.amdhsa_exception_fp_ieee_inexact 0
		.amdhsa_exception_int_div_zero 0
	.end_amdhsa_kernel
	.section	.text._ZN7rocprim17ROCPRIM_400000_NS6detail17trampoline_kernelINS0_14default_configENS1_25partition_config_selectorILNS1_17partition_subalgoE1EsNS0_10empty_typeEbEEZZNS1_14partition_implILS5_1ELb0ES3_jN6thrust23THRUST_200600_302600_NS6detail15normal_iteratorINSA_10device_ptrIsEEEEPS6_NSA_18transform_iteratorI7is_evenIsESF_NSA_11use_defaultESK_EENS0_5tupleIJSF_SF_EEENSM_IJSG_SG_EEES6_PlJS6_EEE10hipError_tPvRmT3_T4_T5_T6_T7_T9_mT8_P12ihipStream_tbDpT10_ENKUlT_T0_E_clISt17integral_constantIbLb1EES18_IbLb0EEEEDaS14_S15_EUlS14_E_NS1_11comp_targetILNS1_3genE9ELNS1_11target_archE1100ELNS1_3gpuE3ELNS1_3repE0EEENS1_30default_config_static_selectorELNS0_4arch9wavefront6targetE1EEEvT1_,"axG",@progbits,_ZN7rocprim17ROCPRIM_400000_NS6detail17trampoline_kernelINS0_14default_configENS1_25partition_config_selectorILNS1_17partition_subalgoE1EsNS0_10empty_typeEbEEZZNS1_14partition_implILS5_1ELb0ES3_jN6thrust23THRUST_200600_302600_NS6detail15normal_iteratorINSA_10device_ptrIsEEEEPS6_NSA_18transform_iteratorI7is_evenIsESF_NSA_11use_defaultESK_EENS0_5tupleIJSF_SF_EEENSM_IJSG_SG_EEES6_PlJS6_EEE10hipError_tPvRmT3_T4_T5_T6_T7_T9_mT8_P12ihipStream_tbDpT10_ENKUlT_T0_E_clISt17integral_constantIbLb1EES18_IbLb0EEEEDaS14_S15_EUlS14_E_NS1_11comp_targetILNS1_3genE9ELNS1_11target_archE1100ELNS1_3gpuE3ELNS1_3repE0EEENS1_30default_config_static_selectorELNS0_4arch9wavefront6targetE1EEEvT1_,comdat
.Lfunc_end471:
	.size	_ZN7rocprim17ROCPRIM_400000_NS6detail17trampoline_kernelINS0_14default_configENS1_25partition_config_selectorILNS1_17partition_subalgoE1EsNS0_10empty_typeEbEEZZNS1_14partition_implILS5_1ELb0ES3_jN6thrust23THRUST_200600_302600_NS6detail15normal_iteratorINSA_10device_ptrIsEEEEPS6_NSA_18transform_iteratorI7is_evenIsESF_NSA_11use_defaultESK_EENS0_5tupleIJSF_SF_EEENSM_IJSG_SG_EEES6_PlJS6_EEE10hipError_tPvRmT3_T4_T5_T6_T7_T9_mT8_P12ihipStream_tbDpT10_ENKUlT_T0_E_clISt17integral_constantIbLb1EES18_IbLb0EEEEDaS14_S15_EUlS14_E_NS1_11comp_targetILNS1_3genE9ELNS1_11target_archE1100ELNS1_3gpuE3ELNS1_3repE0EEENS1_30default_config_static_selectorELNS0_4arch9wavefront6targetE1EEEvT1_, .Lfunc_end471-_ZN7rocprim17ROCPRIM_400000_NS6detail17trampoline_kernelINS0_14default_configENS1_25partition_config_selectorILNS1_17partition_subalgoE1EsNS0_10empty_typeEbEEZZNS1_14partition_implILS5_1ELb0ES3_jN6thrust23THRUST_200600_302600_NS6detail15normal_iteratorINSA_10device_ptrIsEEEEPS6_NSA_18transform_iteratorI7is_evenIsESF_NSA_11use_defaultESK_EENS0_5tupleIJSF_SF_EEENSM_IJSG_SG_EEES6_PlJS6_EEE10hipError_tPvRmT3_T4_T5_T6_T7_T9_mT8_P12ihipStream_tbDpT10_ENKUlT_T0_E_clISt17integral_constantIbLb1EES18_IbLb0EEEEDaS14_S15_EUlS14_E_NS1_11comp_targetILNS1_3genE9ELNS1_11target_archE1100ELNS1_3gpuE3ELNS1_3repE0EEENS1_30default_config_static_selectorELNS0_4arch9wavefront6targetE1EEEvT1_
                                        ; -- End function
	.section	.AMDGPU.csdata,"",@progbits
; Kernel info:
; codeLenInByte = 0
; NumSgprs: 4
; NumVgprs: 0
; NumAgprs: 0
; TotalNumVgprs: 0
; ScratchSize: 0
; MemoryBound: 0
; FloatMode: 240
; IeeeMode: 1
; LDSByteSize: 0 bytes/workgroup (compile time only)
; SGPRBlocks: 0
; VGPRBlocks: 0
; NumSGPRsForWavesPerEU: 4
; NumVGPRsForWavesPerEU: 1
; AccumOffset: 4
; Occupancy: 8
; WaveLimiterHint : 0
; COMPUTE_PGM_RSRC2:SCRATCH_EN: 0
; COMPUTE_PGM_RSRC2:USER_SGPR: 6
; COMPUTE_PGM_RSRC2:TRAP_HANDLER: 0
; COMPUTE_PGM_RSRC2:TGID_X_EN: 1
; COMPUTE_PGM_RSRC2:TGID_Y_EN: 0
; COMPUTE_PGM_RSRC2:TGID_Z_EN: 0
; COMPUTE_PGM_RSRC2:TIDIG_COMP_CNT: 0
; COMPUTE_PGM_RSRC3_GFX90A:ACCUM_OFFSET: 0
; COMPUTE_PGM_RSRC3_GFX90A:TG_SPLIT: 0
	.section	.text._ZN7rocprim17ROCPRIM_400000_NS6detail17trampoline_kernelINS0_14default_configENS1_25partition_config_selectorILNS1_17partition_subalgoE1EsNS0_10empty_typeEbEEZZNS1_14partition_implILS5_1ELb0ES3_jN6thrust23THRUST_200600_302600_NS6detail15normal_iteratorINSA_10device_ptrIsEEEEPS6_NSA_18transform_iteratorI7is_evenIsESF_NSA_11use_defaultESK_EENS0_5tupleIJSF_SF_EEENSM_IJSG_SG_EEES6_PlJS6_EEE10hipError_tPvRmT3_T4_T5_T6_T7_T9_mT8_P12ihipStream_tbDpT10_ENKUlT_T0_E_clISt17integral_constantIbLb1EES18_IbLb0EEEEDaS14_S15_EUlS14_E_NS1_11comp_targetILNS1_3genE8ELNS1_11target_archE1030ELNS1_3gpuE2ELNS1_3repE0EEENS1_30default_config_static_selectorELNS0_4arch9wavefront6targetE1EEEvT1_,"axG",@progbits,_ZN7rocprim17ROCPRIM_400000_NS6detail17trampoline_kernelINS0_14default_configENS1_25partition_config_selectorILNS1_17partition_subalgoE1EsNS0_10empty_typeEbEEZZNS1_14partition_implILS5_1ELb0ES3_jN6thrust23THRUST_200600_302600_NS6detail15normal_iteratorINSA_10device_ptrIsEEEEPS6_NSA_18transform_iteratorI7is_evenIsESF_NSA_11use_defaultESK_EENS0_5tupleIJSF_SF_EEENSM_IJSG_SG_EEES6_PlJS6_EEE10hipError_tPvRmT3_T4_T5_T6_T7_T9_mT8_P12ihipStream_tbDpT10_ENKUlT_T0_E_clISt17integral_constantIbLb1EES18_IbLb0EEEEDaS14_S15_EUlS14_E_NS1_11comp_targetILNS1_3genE8ELNS1_11target_archE1030ELNS1_3gpuE2ELNS1_3repE0EEENS1_30default_config_static_selectorELNS0_4arch9wavefront6targetE1EEEvT1_,comdat
	.protected	_ZN7rocprim17ROCPRIM_400000_NS6detail17trampoline_kernelINS0_14default_configENS1_25partition_config_selectorILNS1_17partition_subalgoE1EsNS0_10empty_typeEbEEZZNS1_14partition_implILS5_1ELb0ES3_jN6thrust23THRUST_200600_302600_NS6detail15normal_iteratorINSA_10device_ptrIsEEEEPS6_NSA_18transform_iteratorI7is_evenIsESF_NSA_11use_defaultESK_EENS0_5tupleIJSF_SF_EEENSM_IJSG_SG_EEES6_PlJS6_EEE10hipError_tPvRmT3_T4_T5_T6_T7_T9_mT8_P12ihipStream_tbDpT10_ENKUlT_T0_E_clISt17integral_constantIbLb1EES18_IbLb0EEEEDaS14_S15_EUlS14_E_NS1_11comp_targetILNS1_3genE8ELNS1_11target_archE1030ELNS1_3gpuE2ELNS1_3repE0EEENS1_30default_config_static_selectorELNS0_4arch9wavefront6targetE1EEEvT1_ ; -- Begin function _ZN7rocprim17ROCPRIM_400000_NS6detail17trampoline_kernelINS0_14default_configENS1_25partition_config_selectorILNS1_17partition_subalgoE1EsNS0_10empty_typeEbEEZZNS1_14partition_implILS5_1ELb0ES3_jN6thrust23THRUST_200600_302600_NS6detail15normal_iteratorINSA_10device_ptrIsEEEEPS6_NSA_18transform_iteratorI7is_evenIsESF_NSA_11use_defaultESK_EENS0_5tupleIJSF_SF_EEENSM_IJSG_SG_EEES6_PlJS6_EEE10hipError_tPvRmT3_T4_T5_T6_T7_T9_mT8_P12ihipStream_tbDpT10_ENKUlT_T0_E_clISt17integral_constantIbLb1EES18_IbLb0EEEEDaS14_S15_EUlS14_E_NS1_11comp_targetILNS1_3genE8ELNS1_11target_archE1030ELNS1_3gpuE2ELNS1_3repE0EEENS1_30default_config_static_selectorELNS0_4arch9wavefront6targetE1EEEvT1_
	.globl	_ZN7rocprim17ROCPRIM_400000_NS6detail17trampoline_kernelINS0_14default_configENS1_25partition_config_selectorILNS1_17partition_subalgoE1EsNS0_10empty_typeEbEEZZNS1_14partition_implILS5_1ELb0ES3_jN6thrust23THRUST_200600_302600_NS6detail15normal_iteratorINSA_10device_ptrIsEEEEPS6_NSA_18transform_iteratorI7is_evenIsESF_NSA_11use_defaultESK_EENS0_5tupleIJSF_SF_EEENSM_IJSG_SG_EEES6_PlJS6_EEE10hipError_tPvRmT3_T4_T5_T6_T7_T9_mT8_P12ihipStream_tbDpT10_ENKUlT_T0_E_clISt17integral_constantIbLb1EES18_IbLb0EEEEDaS14_S15_EUlS14_E_NS1_11comp_targetILNS1_3genE8ELNS1_11target_archE1030ELNS1_3gpuE2ELNS1_3repE0EEENS1_30default_config_static_selectorELNS0_4arch9wavefront6targetE1EEEvT1_
	.p2align	8
	.type	_ZN7rocprim17ROCPRIM_400000_NS6detail17trampoline_kernelINS0_14default_configENS1_25partition_config_selectorILNS1_17partition_subalgoE1EsNS0_10empty_typeEbEEZZNS1_14partition_implILS5_1ELb0ES3_jN6thrust23THRUST_200600_302600_NS6detail15normal_iteratorINSA_10device_ptrIsEEEEPS6_NSA_18transform_iteratorI7is_evenIsESF_NSA_11use_defaultESK_EENS0_5tupleIJSF_SF_EEENSM_IJSG_SG_EEES6_PlJS6_EEE10hipError_tPvRmT3_T4_T5_T6_T7_T9_mT8_P12ihipStream_tbDpT10_ENKUlT_T0_E_clISt17integral_constantIbLb1EES18_IbLb0EEEEDaS14_S15_EUlS14_E_NS1_11comp_targetILNS1_3genE8ELNS1_11target_archE1030ELNS1_3gpuE2ELNS1_3repE0EEENS1_30default_config_static_selectorELNS0_4arch9wavefront6targetE1EEEvT1_,@function
_ZN7rocprim17ROCPRIM_400000_NS6detail17trampoline_kernelINS0_14default_configENS1_25partition_config_selectorILNS1_17partition_subalgoE1EsNS0_10empty_typeEbEEZZNS1_14partition_implILS5_1ELb0ES3_jN6thrust23THRUST_200600_302600_NS6detail15normal_iteratorINSA_10device_ptrIsEEEEPS6_NSA_18transform_iteratorI7is_evenIsESF_NSA_11use_defaultESK_EENS0_5tupleIJSF_SF_EEENSM_IJSG_SG_EEES6_PlJS6_EEE10hipError_tPvRmT3_T4_T5_T6_T7_T9_mT8_P12ihipStream_tbDpT10_ENKUlT_T0_E_clISt17integral_constantIbLb1EES18_IbLb0EEEEDaS14_S15_EUlS14_E_NS1_11comp_targetILNS1_3genE8ELNS1_11target_archE1030ELNS1_3gpuE2ELNS1_3repE0EEENS1_30default_config_static_selectorELNS0_4arch9wavefront6targetE1EEEvT1_: ; @_ZN7rocprim17ROCPRIM_400000_NS6detail17trampoline_kernelINS0_14default_configENS1_25partition_config_selectorILNS1_17partition_subalgoE1EsNS0_10empty_typeEbEEZZNS1_14partition_implILS5_1ELb0ES3_jN6thrust23THRUST_200600_302600_NS6detail15normal_iteratorINSA_10device_ptrIsEEEEPS6_NSA_18transform_iteratorI7is_evenIsESF_NSA_11use_defaultESK_EENS0_5tupleIJSF_SF_EEENSM_IJSG_SG_EEES6_PlJS6_EEE10hipError_tPvRmT3_T4_T5_T6_T7_T9_mT8_P12ihipStream_tbDpT10_ENKUlT_T0_E_clISt17integral_constantIbLb1EES18_IbLb0EEEEDaS14_S15_EUlS14_E_NS1_11comp_targetILNS1_3genE8ELNS1_11target_archE1030ELNS1_3gpuE2ELNS1_3repE0EEENS1_30default_config_static_selectorELNS0_4arch9wavefront6targetE1EEEvT1_
; %bb.0:
	.section	.rodata,"a",@progbits
	.p2align	6, 0x0
	.amdhsa_kernel _ZN7rocprim17ROCPRIM_400000_NS6detail17trampoline_kernelINS0_14default_configENS1_25partition_config_selectorILNS1_17partition_subalgoE1EsNS0_10empty_typeEbEEZZNS1_14partition_implILS5_1ELb0ES3_jN6thrust23THRUST_200600_302600_NS6detail15normal_iteratorINSA_10device_ptrIsEEEEPS6_NSA_18transform_iteratorI7is_evenIsESF_NSA_11use_defaultESK_EENS0_5tupleIJSF_SF_EEENSM_IJSG_SG_EEES6_PlJS6_EEE10hipError_tPvRmT3_T4_T5_T6_T7_T9_mT8_P12ihipStream_tbDpT10_ENKUlT_T0_E_clISt17integral_constantIbLb1EES18_IbLb0EEEEDaS14_S15_EUlS14_E_NS1_11comp_targetILNS1_3genE8ELNS1_11target_archE1030ELNS1_3gpuE2ELNS1_3repE0EEENS1_30default_config_static_selectorELNS0_4arch9wavefront6targetE1EEEvT1_
		.amdhsa_group_segment_fixed_size 0
		.amdhsa_private_segment_fixed_size 0
		.amdhsa_kernarg_size 128
		.amdhsa_user_sgpr_count 6
		.amdhsa_user_sgpr_private_segment_buffer 1
		.amdhsa_user_sgpr_dispatch_ptr 0
		.amdhsa_user_sgpr_queue_ptr 0
		.amdhsa_user_sgpr_kernarg_segment_ptr 1
		.amdhsa_user_sgpr_dispatch_id 0
		.amdhsa_user_sgpr_flat_scratch_init 0
		.amdhsa_user_sgpr_kernarg_preload_length 0
		.amdhsa_user_sgpr_kernarg_preload_offset 0
		.amdhsa_user_sgpr_private_segment_size 0
		.amdhsa_uses_dynamic_stack 0
		.amdhsa_system_sgpr_private_segment_wavefront_offset 0
		.amdhsa_system_sgpr_workgroup_id_x 1
		.amdhsa_system_sgpr_workgroup_id_y 0
		.amdhsa_system_sgpr_workgroup_id_z 0
		.amdhsa_system_sgpr_workgroup_info 0
		.amdhsa_system_vgpr_workitem_id 0
		.amdhsa_next_free_vgpr 1
		.amdhsa_next_free_sgpr 0
		.amdhsa_accum_offset 4
		.amdhsa_reserve_vcc 0
		.amdhsa_reserve_flat_scratch 0
		.amdhsa_float_round_mode_32 0
		.amdhsa_float_round_mode_16_64 0
		.amdhsa_float_denorm_mode_32 3
		.amdhsa_float_denorm_mode_16_64 3
		.amdhsa_dx10_clamp 1
		.amdhsa_ieee_mode 1
		.amdhsa_fp16_overflow 0
		.amdhsa_tg_split 0
		.amdhsa_exception_fp_ieee_invalid_op 0
		.amdhsa_exception_fp_denorm_src 0
		.amdhsa_exception_fp_ieee_div_zero 0
		.amdhsa_exception_fp_ieee_overflow 0
		.amdhsa_exception_fp_ieee_underflow 0
		.amdhsa_exception_fp_ieee_inexact 0
		.amdhsa_exception_int_div_zero 0
	.end_amdhsa_kernel
	.section	.text._ZN7rocprim17ROCPRIM_400000_NS6detail17trampoline_kernelINS0_14default_configENS1_25partition_config_selectorILNS1_17partition_subalgoE1EsNS0_10empty_typeEbEEZZNS1_14partition_implILS5_1ELb0ES3_jN6thrust23THRUST_200600_302600_NS6detail15normal_iteratorINSA_10device_ptrIsEEEEPS6_NSA_18transform_iteratorI7is_evenIsESF_NSA_11use_defaultESK_EENS0_5tupleIJSF_SF_EEENSM_IJSG_SG_EEES6_PlJS6_EEE10hipError_tPvRmT3_T4_T5_T6_T7_T9_mT8_P12ihipStream_tbDpT10_ENKUlT_T0_E_clISt17integral_constantIbLb1EES18_IbLb0EEEEDaS14_S15_EUlS14_E_NS1_11comp_targetILNS1_3genE8ELNS1_11target_archE1030ELNS1_3gpuE2ELNS1_3repE0EEENS1_30default_config_static_selectorELNS0_4arch9wavefront6targetE1EEEvT1_,"axG",@progbits,_ZN7rocprim17ROCPRIM_400000_NS6detail17trampoline_kernelINS0_14default_configENS1_25partition_config_selectorILNS1_17partition_subalgoE1EsNS0_10empty_typeEbEEZZNS1_14partition_implILS5_1ELb0ES3_jN6thrust23THRUST_200600_302600_NS6detail15normal_iteratorINSA_10device_ptrIsEEEEPS6_NSA_18transform_iteratorI7is_evenIsESF_NSA_11use_defaultESK_EENS0_5tupleIJSF_SF_EEENSM_IJSG_SG_EEES6_PlJS6_EEE10hipError_tPvRmT3_T4_T5_T6_T7_T9_mT8_P12ihipStream_tbDpT10_ENKUlT_T0_E_clISt17integral_constantIbLb1EES18_IbLb0EEEEDaS14_S15_EUlS14_E_NS1_11comp_targetILNS1_3genE8ELNS1_11target_archE1030ELNS1_3gpuE2ELNS1_3repE0EEENS1_30default_config_static_selectorELNS0_4arch9wavefront6targetE1EEEvT1_,comdat
.Lfunc_end472:
	.size	_ZN7rocprim17ROCPRIM_400000_NS6detail17trampoline_kernelINS0_14default_configENS1_25partition_config_selectorILNS1_17partition_subalgoE1EsNS0_10empty_typeEbEEZZNS1_14partition_implILS5_1ELb0ES3_jN6thrust23THRUST_200600_302600_NS6detail15normal_iteratorINSA_10device_ptrIsEEEEPS6_NSA_18transform_iteratorI7is_evenIsESF_NSA_11use_defaultESK_EENS0_5tupleIJSF_SF_EEENSM_IJSG_SG_EEES6_PlJS6_EEE10hipError_tPvRmT3_T4_T5_T6_T7_T9_mT8_P12ihipStream_tbDpT10_ENKUlT_T0_E_clISt17integral_constantIbLb1EES18_IbLb0EEEEDaS14_S15_EUlS14_E_NS1_11comp_targetILNS1_3genE8ELNS1_11target_archE1030ELNS1_3gpuE2ELNS1_3repE0EEENS1_30default_config_static_selectorELNS0_4arch9wavefront6targetE1EEEvT1_, .Lfunc_end472-_ZN7rocprim17ROCPRIM_400000_NS6detail17trampoline_kernelINS0_14default_configENS1_25partition_config_selectorILNS1_17partition_subalgoE1EsNS0_10empty_typeEbEEZZNS1_14partition_implILS5_1ELb0ES3_jN6thrust23THRUST_200600_302600_NS6detail15normal_iteratorINSA_10device_ptrIsEEEEPS6_NSA_18transform_iteratorI7is_evenIsESF_NSA_11use_defaultESK_EENS0_5tupleIJSF_SF_EEENSM_IJSG_SG_EEES6_PlJS6_EEE10hipError_tPvRmT3_T4_T5_T6_T7_T9_mT8_P12ihipStream_tbDpT10_ENKUlT_T0_E_clISt17integral_constantIbLb1EES18_IbLb0EEEEDaS14_S15_EUlS14_E_NS1_11comp_targetILNS1_3genE8ELNS1_11target_archE1030ELNS1_3gpuE2ELNS1_3repE0EEENS1_30default_config_static_selectorELNS0_4arch9wavefront6targetE1EEEvT1_
                                        ; -- End function
	.section	.AMDGPU.csdata,"",@progbits
; Kernel info:
; codeLenInByte = 0
; NumSgprs: 4
; NumVgprs: 0
; NumAgprs: 0
; TotalNumVgprs: 0
; ScratchSize: 0
; MemoryBound: 0
; FloatMode: 240
; IeeeMode: 1
; LDSByteSize: 0 bytes/workgroup (compile time only)
; SGPRBlocks: 0
; VGPRBlocks: 0
; NumSGPRsForWavesPerEU: 4
; NumVGPRsForWavesPerEU: 1
; AccumOffset: 4
; Occupancy: 8
; WaveLimiterHint : 0
; COMPUTE_PGM_RSRC2:SCRATCH_EN: 0
; COMPUTE_PGM_RSRC2:USER_SGPR: 6
; COMPUTE_PGM_RSRC2:TRAP_HANDLER: 0
; COMPUTE_PGM_RSRC2:TGID_X_EN: 1
; COMPUTE_PGM_RSRC2:TGID_Y_EN: 0
; COMPUTE_PGM_RSRC2:TGID_Z_EN: 0
; COMPUTE_PGM_RSRC2:TIDIG_COMP_CNT: 0
; COMPUTE_PGM_RSRC3_GFX90A:ACCUM_OFFSET: 0
; COMPUTE_PGM_RSRC3_GFX90A:TG_SPLIT: 0
	.section	.text._ZN7rocprim17ROCPRIM_400000_NS6detail17trampoline_kernelINS0_14default_configENS1_25partition_config_selectorILNS1_17partition_subalgoE1EsNS0_10empty_typeEbEEZZNS1_14partition_implILS5_1ELb0ES3_jN6thrust23THRUST_200600_302600_NS6detail15normal_iteratorINSA_10device_ptrIsEEEEPS6_NSA_18transform_iteratorI7is_evenIsESF_NSA_11use_defaultESK_EENS0_5tupleIJSF_SF_EEENSM_IJSG_SG_EEES6_PlJS6_EEE10hipError_tPvRmT3_T4_T5_T6_T7_T9_mT8_P12ihipStream_tbDpT10_ENKUlT_T0_E_clISt17integral_constantIbLb0EES18_IbLb1EEEEDaS14_S15_EUlS14_E_NS1_11comp_targetILNS1_3genE0ELNS1_11target_archE4294967295ELNS1_3gpuE0ELNS1_3repE0EEENS1_30default_config_static_selectorELNS0_4arch9wavefront6targetE1EEEvT1_,"axG",@progbits,_ZN7rocprim17ROCPRIM_400000_NS6detail17trampoline_kernelINS0_14default_configENS1_25partition_config_selectorILNS1_17partition_subalgoE1EsNS0_10empty_typeEbEEZZNS1_14partition_implILS5_1ELb0ES3_jN6thrust23THRUST_200600_302600_NS6detail15normal_iteratorINSA_10device_ptrIsEEEEPS6_NSA_18transform_iteratorI7is_evenIsESF_NSA_11use_defaultESK_EENS0_5tupleIJSF_SF_EEENSM_IJSG_SG_EEES6_PlJS6_EEE10hipError_tPvRmT3_T4_T5_T6_T7_T9_mT8_P12ihipStream_tbDpT10_ENKUlT_T0_E_clISt17integral_constantIbLb0EES18_IbLb1EEEEDaS14_S15_EUlS14_E_NS1_11comp_targetILNS1_3genE0ELNS1_11target_archE4294967295ELNS1_3gpuE0ELNS1_3repE0EEENS1_30default_config_static_selectorELNS0_4arch9wavefront6targetE1EEEvT1_,comdat
	.protected	_ZN7rocprim17ROCPRIM_400000_NS6detail17trampoline_kernelINS0_14default_configENS1_25partition_config_selectorILNS1_17partition_subalgoE1EsNS0_10empty_typeEbEEZZNS1_14partition_implILS5_1ELb0ES3_jN6thrust23THRUST_200600_302600_NS6detail15normal_iteratorINSA_10device_ptrIsEEEEPS6_NSA_18transform_iteratorI7is_evenIsESF_NSA_11use_defaultESK_EENS0_5tupleIJSF_SF_EEENSM_IJSG_SG_EEES6_PlJS6_EEE10hipError_tPvRmT3_T4_T5_T6_T7_T9_mT8_P12ihipStream_tbDpT10_ENKUlT_T0_E_clISt17integral_constantIbLb0EES18_IbLb1EEEEDaS14_S15_EUlS14_E_NS1_11comp_targetILNS1_3genE0ELNS1_11target_archE4294967295ELNS1_3gpuE0ELNS1_3repE0EEENS1_30default_config_static_selectorELNS0_4arch9wavefront6targetE1EEEvT1_ ; -- Begin function _ZN7rocprim17ROCPRIM_400000_NS6detail17trampoline_kernelINS0_14default_configENS1_25partition_config_selectorILNS1_17partition_subalgoE1EsNS0_10empty_typeEbEEZZNS1_14partition_implILS5_1ELb0ES3_jN6thrust23THRUST_200600_302600_NS6detail15normal_iteratorINSA_10device_ptrIsEEEEPS6_NSA_18transform_iteratorI7is_evenIsESF_NSA_11use_defaultESK_EENS0_5tupleIJSF_SF_EEENSM_IJSG_SG_EEES6_PlJS6_EEE10hipError_tPvRmT3_T4_T5_T6_T7_T9_mT8_P12ihipStream_tbDpT10_ENKUlT_T0_E_clISt17integral_constantIbLb0EES18_IbLb1EEEEDaS14_S15_EUlS14_E_NS1_11comp_targetILNS1_3genE0ELNS1_11target_archE4294967295ELNS1_3gpuE0ELNS1_3repE0EEENS1_30default_config_static_selectorELNS0_4arch9wavefront6targetE1EEEvT1_
	.globl	_ZN7rocprim17ROCPRIM_400000_NS6detail17trampoline_kernelINS0_14default_configENS1_25partition_config_selectorILNS1_17partition_subalgoE1EsNS0_10empty_typeEbEEZZNS1_14partition_implILS5_1ELb0ES3_jN6thrust23THRUST_200600_302600_NS6detail15normal_iteratorINSA_10device_ptrIsEEEEPS6_NSA_18transform_iteratorI7is_evenIsESF_NSA_11use_defaultESK_EENS0_5tupleIJSF_SF_EEENSM_IJSG_SG_EEES6_PlJS6_EEE10hipError_tPvRmT3_T4_T5_T6_T7_T9_mT8_P12ihipStream_tbDpT10_ENKUlT_T0_E_clISt17integral_constantIbLb0EES18_IbLb1EEEEDaS14_S15_EUlS14_E_NS1_11comp_targetILNS1_3genE0ELNS1_11target_archE4294967295ELNS1_3gpuE0ELNS1_3repE0EEENS1_30default_config_static_selectorELNS0_4arch9wavefront6targetE1EEEvT1_
	.p2align	8
	.type	_ZN7rocprim17ROCPRIM_400000_NS6detail17trampoline_kernelINS0_14default_configENS1_25partition_config_selectorILNS1_17partition_subalgoE1EsNS0_10empty_typeEbEEZZNS1_14partition_implILS5_1ELb0ES3_jN6thrust23THRUST_200600_302600_NS6detail15normal_iteratorINSA_10device_ptrIsEEEEPS6_NSA_18transform_iteratorI7is_evenIsESF_NSA_11use_defaultESK_EENS0_5tupleIJSF_SF_EEENSM_IJSG_SG_EEES6_PlJS6_EEE10hipError_tPvRmT3_T4_T5_T6_T7_T9_mT8_P12ihipStream_tbDpT10_ENKUlT_T0_E_clISt17integral_constantIbLb0EES18_IbLb1EEEEDaS14_S15_EUlS14_E_NS1_11comp_targetILNS1_3genE0ELNS1_11target_archE4294967295ELNS1_3gpuE0ELNS1_3repE0EEENS1_30default_config_static_selectorELNS0_4arch9wavefront6targetE1EEEvT1_,@function
_ZN7rocprim17ROCPRIM_400000_NS6detail17trampoline_kernelINS0_14default_configENS1_25partition_config_selectorILNS1_17partition_subalgoE1EsNS0_10empty_typeEbEEZZNS1_14partition_implILS5_1ELb0ES3_jN6thrust23THRUST_200600_302600_NS6detail15normal_iteratorINSA_10device_ptrIsEEEEPS6_NSA_18transform_iteratorI7is_evenIsESF_NSA_11use_defaultESK_EENS0_5tupleIJSF_SF_EEENSM_IJSG_SG_EEES6_PlJS6_EEE10hipError_tPvRmT3_T4_T5_T6_T7_T9_mT8_P12ihipStream_tbDpT10_ENKUlT_T0_E_clISt17integral_constantIbLb0EES18_IbLb1EEEEDaS14_S15_EUlS14_E_NS1_11comp_targetILNS1_3genE0ELNS1_11target_archE4294967295ELNS1_3gpuE0ELNS1_3repE0EEENS1_30default_config_static_selectorELNS0_4arch9wavefront6targetE1EEEvT1_: ; @_ZN7rocprim17ROCPRIM_400000_NS6detail17trampoline_kernelINS0_14default_configENS1_25partition_config_selectorILNS1_17partition_subalgoE1EsNS0_10empty_typeEbEEZZNS1_14partition_implILS5_1ELb0ES3_jN6thrust23THRUST_200600_302600_NS6detail15normal_iteratorINSA_10device_ptrIsEEEEPS6_NSA_18transform_iteratorI7is_evenIsESF_NSA_11use_defaultESK_EENS0_5tupleIJSF_SF_EEENSM_IJSG_SG_EEES6_PlJS6_EEE10hipError_tPvRmT3_T4_T5_T6_T7_T9_mT8_P12ihipStream_tbDpT10_ENKUlT_T0_E_clISt17integral_constantIbLb0EES18_IbLb1EEEEDaS14_S15_EUlS14_E_NS1_11comp_targetILNS1_3genE0ELNS1_11target_archE4294967295ELNS1_3gpuE0ELNS1_3repE0EEENS1_30default_config_static_selectorELNS0_4arch9wavefront6targetE1EEEvT1_
; %bb.0:
	.section	.rodata,"a",@progbits
	.p2align	6, 0x0
	.amdhsa_kernel _ZN7rocprim17ROCPRIM_400000_NS6detail17trampoline_kernelINS0_14default_configENS1_25partition_config_selectorILNS1_17partition_subalgoE1EsNS0_10empty_typeEbEEZZNS1_14partition_implILS5_1ELb0ES3_jN6thrust23THRUST_200600_302600_NS6detail15normal_iteratorINSA_10device_ptrIsEEEEPS6_NSA_18transform_iteratorI7is_evenIsESF_NSA_11use_defaultESK_EENS0_5tupleIJSF_SF_EEENSM_IJSG_SG_EEES6_PlJS6_EEE10hipError_tPvRmT3_T4_T5_T6_T7_T9_mT8_P12ihipStream_tbDpT10_ENKUlT_T0_E_clISt17integral_constantIbLb0EES18_IbLb1EEEEDaS14_S15_EUlS14_E_NS1_11comp_targetILNS1_3genE0ELNS1_11target_archE4294967295ELNS1_3gpuE0ELNS1_3repE0EEENS1_30default_config_static_selectorELNS0_4arch9wavefront6targetE1EEEvT1_
		.amdhsa_group_segment_fixed_size 0
		.amdhsa_private_segment_fixed_size 0
		.amdhsa_kernarg_size 144
		.amdhsa_user_sgpr_count 6
		.amdhsa_user_sgpr_private_segment_buffer 1
		.amdhsa_user_sgpr_dispatch_ptr 0
		.amdhsa_user_sgpr_queue_ptr 0
		.amdhsa_user_sgpr_kernarg_segment_ptr 1
		.amdhsa_user_sgpr_dispatch_id 0
		.amdhsa_user_sgpr_flat_scratch_init 0
		.amdhsa_user_sgpr_kernarg_preload_length 0
		.amdhsa_user_sgpr_kernarg_preload_offset 0
		.amdhsa_user_sgpr_private_segment_size 0
		.amdhsa_uses_dynamic_stack 0
		.amdhsa_system_sgpr_private_segment_wavefront_offset 0
		.amdhsa_system_sgpr_workgroup_id_x 1
		.amdhsa_system_sgpr_workgroup_id_y 0
		.amdhsa_system_sgpr_workgroup_id_z 0
		.amdhsa_system_sgpr_workgroup_info 0
		.amdhsa_system_vgpr_workitem_id 0
		.amdhsa_next_free_vgpr 1
		.amdhsa_next_free_sgpr 0
		.amdhsa_accum_offset 4
		.amdhsa_reserve_vcc 0
		.amdhsa_reserve_flat_scratch 0
		.amdhsa_float_round_mode_32 0
		.amdhsa_float_round_mode_16_64 0
		.amdhsa_float_denorm_mode_32 3
		.amdhsa_float_denorm_mode_16_64 3
		.amdhsa_dx10_clamp 1
		.amdhsa_ieee_mode 1
		.amdhsa_fp16_overflow 0
		.amdhsa_tg_split 0
		.amdhsa_exception_fp_ieee_invalid_op 0
		.amdhsa_exception_fp_denorm_src 0
		.amdhsa_exception_fp_ieee_div_zero 0
		.amdhsa_exception_fp_ieee_overflow 0
		.amdhsa_exception_fp_ieee_underflow 0
		.amdhsa_exception_fp_ieee_inexact 0
		.amdhsa_exception_int_div_zero 0
	.end_amdhsa_kernel
	.section	.text._ZN7rocprim17ROCPRIM_400000_NS6detail17trampoline_kernelINS0_14default_configENS1_25partition_config_selectorILNS1_17partition_subalgoE1EsNS0_10empty_typeEbEEZZNS1_14partition_implILS5_1ELb0ES3_jN6thrust23THRUST_200600_302600_NS6detail15normal_iteratorINSA_10device_ptrIsEEEEPS6_NSA_18transform_iteratorI7is_evenIsESF_NSA_11use_defaultESK_EENS0_5tupleIJSF_SF_EEENSM_IJSG_SG_EEES6_PlJS6_EEE10hipError_tPvRmT3_T4_T5_T6_T7_T9_mT8_P12ihipStream_tbDpT10_ENKUlT_T0_E_clISt17integral_constantIbLb0EES18_IbLb1EEEEDaS14_S15_EUlS14_E_NS1_11comp_targetILNS1_3genE0ELNS1_11target_archE4294967295ELNS1_3gpuE0ELNS1_3repE0EEENS1_30default_config_static_selectorELNS0_4arch9wavefront6targetE1EEEvT1_,"axG",@progbits,_ZN7rocprim17ROCPRIM_400000_NS6detail17trampoline_kernelINS0_14default_configENS1_25partition_config_selectorILNS1_17partition_subalgoE1EsNS0_10empty_typeEbEEZZNS1_14partition_implILS5_1ELb0ES3_jN6thrust23THRUST_200600_302600_NS6detail15normal_iteratorINSA_10device_ptrIsEEEEPS6_NSA_18transform_iteratorI7is_evenIsESF_NSA_11use_defaultESK_EENS0_5tupleIJSF_SF_EEENSM_IJSG_SG_EEES6_PlJS6_EEE10hipError_tPvRmT3_T4_T5_T6_T7_T9_mT8_P12ihipStream_tbDpT10_ENKUlT_T0_E_clISt17integral_constantIbLb0EES18_IbLb1EEEEDaS14_S15_EUlS14_E_NS1_11comp_targetILNS1_3genE0ELNS1_11target_archE4294967295ELNS1_3gpuE0ELNS1_3repE0EEENS1_30default_config_static_selectorELNS0_4arch9wavefront6targetE1EEEvT1_,comdat
.Lfunc_end473:
	.size	_ZN7rocprim17ROCPRIM_400000_NS6detail17trampoline_kernelINS0_14default_configENS1_25partition_config_selectorILNS1_17partition_subalgoE1EsNS0_10empty_typeEbEEZZNS1_14partition_implILS5_1ELb0ES3_jN6thrust23THRUST_200600_302600_NS6detail15normal_iteratorINSA_10device_ptrIsEEEEPS6_NSA_18transform_iteratorI7is_evenIsESF_NSA_11use_defaultESK_EENS0_5tupleIJSF_SF_EEENSM_IJSG_SG_EEES6_PlJS6_EEE10hipError_tPvRmT3_T4_T5_T6_T7_T9_mT8_P12ihipStream_tbDpT10_ENKUlT_T0_E_clISt17integral_constantIbLb0EES18_IbLb1EEEEDaS14_S15_EUlS14_E_NS1_11comp_targetILNS1_3genE0ELNS1_11target_archE4294967295ELNS1_3gpuE0ELNS1_3repE0EEENS1_30default_config_static_selectorELNS0_4arch9wavefront6targetE1EEEvT1_, .Lfunc_end473-_ZN7rocprim17ROCPRIM_400000_NS6detail17trampoline_kernelINS0_14default_configENS1_25partition_config_selectorILNS1_17partition_subalgoE1EsNS0_10empty_typeEbEEZZNS1_14partition_implILS5_1ELb0ES3_jN6thrust23THRUST_200600_302600_NS6detail15normal_iteratorINSA_10device_ptrIsEEEEPS6_NSA_18transform_iteratorI7is_evenIsESF_NSA_11use_defaultESK_EENS0_5tupleIJSF_SF_EEENSM_IJSG_SG_EEES6_PlJS6_EEE10hipError_tPvRmT3_T4_T5_T6_T7_T9_mT8_P12ihipStream_tbDpT10_ENKUlT_T0_E_clISt17integral_constantIbLb0EES18_IbLb1EEEEDaS14_S15_EUlS14_E_NS1_11comp_targetILNS1_3genE0ELNS1_11target_archE4294967295ELNS1_3gpuE0ELNS1_3repE0EEENS1_30default_config_static_selectorELNS0_4arch9wavefront6targetE1EEEvT1_
                                        ; -- End function
	.section	.AMDGPU.csdata,"",@progbits
; Kernel info:
; codeLenInByte = 0
; NumSgprs: 4
; NumVgprs: 0
; NumAgprs: 0
; TotalNumVgprs: 0
; ScratchSize: 0
; MemoryBound: 0
; FloatMode: 240
; IeeeMode: 1
; LDSByteSize: 0 bytes/workgroup (compile time only)
; SGPRBlocks: 0
; VGPRBlocks: 0
; NumSGPRsForWavesPerEU: 4
; NumVGPRsForWavesPerEU: 1
; AccumOffset: 4
; Occupancy: 8
; WaveLimiterHint : 0
; COMPUTE_PGM_RSRC2:SCRATCH_EN: 0
; COMPUTE_PGM_RSRC2:USER_SGPR: 6
; COMPUTE_PGM_RSRC2:TRAP_HANDLER: 0
; COMPUTE_PGM_RSRC2:TGID_X_EN: 1
; COMPUTE_PGM_RSRC2:TGID_Y_EN: 0
; COMPUTE_PGM_RSRC2:TGID_Z_EN: 0
; COMPUTE_PGM_RSRC2:TIDIG_COMP_CNT: 0
; COMPUTE_PGM_RSRC3_GFX90A:ACCUM_OFFSET: 0
; COMPUTE_PGM_RSRC3_GFX90A:TG_SPLIT: 0
	.section	.text._ZN7rocprim17ROCPRIM_400000_NS6detail17trampoline_kernelINS0_14default_configENS1_25partition_config_selectorILNS1_17partition_subalgoE1EsNS0_10empty_typeEbEEZZNS1_14partition_implILS5_1ELb0ES3_jN6thrust23THRUST_200600_302600_NS6detail15normal_iteratorINSA_10device_ptrIsEEEEPS6_NSA_18transform_iteratorI7is_evenIsESF_NSA_11use_defaultESK_EENS0_5tupleIJSF_SF_EEENSM_IJSG_SG_EEES6_PlJS6_EEE10hipError_tPvRmT3_T4_T5_T6_T7_T9_mT8_P12ihipStream_tbDpT10_ENKUlT_T0_E_clISt17integral_constantIbLb0EES18_IbLb1EEEEDaS14_S15_EUlS14_E_NS1_11comp_targetILNS1_3genE5ELNS1_11target_archE942ELNS1_3gpuE9ELNS1_3repE0EEENS1_30default_config_static_selectorELNS0_4arch9wavefront6targetE1EEEvT1_,"axG",@progbits,_ZN7rocprim17ROCPRIM_400000_NS6detail17trampoline_kernelINS0_14default_configENS1_25partition_config_selectorILNS1_17partition_subalgoE1EsNS0_10empty_typeEbEEZZNS1_14partition_implILS5_1ELb0ES3_jN6thrust23THRUST_200600_302600_NS6detail15normal_iteratorINSA_10device_ptrIsEEEEPS6_NSA_18transform_iteratorI7is_evenIsESF_NSA_11use_defaultESK_EENS0_5tupleIJSF_SF_EEENSM_IJSG_SG_EEES6_PlJS6_EEE10hipError_tPvRmT3_T4_T5_T6_T7_T9_mT8_P12ihipStream_tbDpT10_ENKUlT_T0_E_clISt17integral_constantIbLb0EES18_IbLb1EEEEDaS14_S15_EUlS14_E_NS1_11comp_targetILNS1_3genE5ELNS1_11target_archE942ELNS1_3gpuE9ELNS1_3repE0EEENS1_30default_config_static_selectorELNS0_4arch9wavefront6targetE1EEEvT1_,comdat
	.protected	_ZN7rocprim17ROCPRIM_400000_NS6detail17trampoline_kernelINS0_14default_configENS1_25partition_config_selectorILNS1_17partition_subalgoE1EsNS0_10empty_typeEbEEZZNS1_14partition_implILS5_1ELb0ES3_jN6thrust23THRUST_200600_302600_NS6detail15normal_iteratorINSA_10device_ptrIsEEEEPS6_NSA_18transform_iteratorI7is_evenIsESF_NSA_11use_defaultESK_EENS0_5tupleIJSF_SF_EEENSM_IJSG_SG_EEES6_PlJS6_EEE10hipError_tPvRmT3_T4_T5_T6_T7_T9_mT8_P12ihipStream_tbDpT10_ENKUlT_T0_E_clISt17integral_constantIbLb0EES18_IbLb1EEEEDaS14_S15_EUlS14_E_NS1_11comp_targetILNS1_3genE5ELNS1_11target_archE942ELNS1_3gpuE9ELNS1_3repE0EEENS1_30default_config_static_selectorELNS0_4arch9wavefront6targetE1EEEvT1_ ; -- Begin function _ZN7rocprim17ROCPRIM_400000_NS6detail17trampoline_kernelINS0_14default_configENS1_25partition_config_selectorILNS1_17partition_subalgoE1EsNS0_10empty_typeEbEEZZNS1_14partition_implILS5_1ELb0ES3_jN6thrust23THRUST_200600_302600_NS6detail15normal_iteratorINSA_10device_ptrIsEEEEPS6_NSA_18transform_iteratorI7is_evenIsESF_NSA_11use_defaultESK_EENS0_5tupleIJSF_SF_EEENSM_IJSG_SG_EEES6_PlJS6_EEE10hipError_tPvRmT3_T4_T5_T6_T7_T9_mT8_P12ihipStream_tbDpT10_ENKUlT_T0_E_clISt17integral_constantIbLb0EES18_IbLb1EEEEDaS14_S15_EUlS14_E_NS1_11comp_targetILNS1_3genE5ELNS1_11target_archE942ELNS1_3gpuE9ELNS1_3repE0EEENS1_30default_config_static_selectorELNS0_4arch9wavefront6targetE1EEEvT1_
	.globl	_ZN7rocprim17ROCPRIM_400000_NS6detail17trampoline_kernelINS0_14default_configENS1_25partition_config_selectorILNS1_17partition_subalgoE1EsNS0_10empty_typeEbEEZZNS1_14partition_implILS5_1ELb0ES3_jN6thrust23THRUST_200600_302600_NS6detail15normal_iteratorINSA_10device_ptrIsEEEEPS6_NSA_18transform_iteratorI7is_evenIsESF_NSA_11use_defaultESK_EENS0_5tupleIJSF_SF_EEENSM_IJSG_SG_EEES6_PlJS6_EEE10hipError_tPvRmT3_T4_T5_T6_T7_T9_mT8_P12ihipStream_tbDpT10_ENKUlT_T0_E_clISt17integral_constantIbLb0EES18_IbLb1EEEEDaS14_S15_EUlS14_E_NS1_11comp_targetILNS1_3genE5ELNS1_11target_archE942ELNS1_3gpuE9ELNS1_3repE0EEENS1_30default_config_static_selectorELNS0_4arch9wavefront6targetE1EEEvT1_
	.p2align	8
	.type	_ZN7rocprim17ROCPRIM_400000_NS6detail17trampoline_kernelINS0_14default_configENS1_25partition_config_selectorILNS1_17partition_subalgoE1EsNS0_10empty_typeEbEEZZNS1_14partition_implILS5_1ELb0ES3_jN6thrust23THRUST_200600_302600_NS6detail15normal_iteratorINSA_10device_ptrIsEEEEPS6_NSA_18transform_iteratorI7is_evenIsESF_NSA_11use_defaultESK_EENS0_5tupleIJSF_SF_EEENSM_IJSG_SG_EEES6_PlJS6_EEE10hipError_tPvRmT3_T4_T5_T6_T7_T9_mT8_P12ihipStream_tbDpT10_ENKUlT_T0_E_clISt17integral_constantIbLb0EES18_IbLb1EEEEDaS14_S15_EUlS14_E_NS1_11comp_targetILNS1_3genE5ELNS1_11target_archE942ELNS1_3gpuE9ELNS1_3repE0EEENS1_30default_config_static_selectorELNS0_4arch9wavefront6targetE1EEEvT1_,@function
_ZN7rocprim17ROCPRIM_400000_NS6detail17trampoline_kernelINS0_14default_configENS1_25partition_config_selectorILNS1_17partition_subalgoE1EsNS0_10empty_typeEbEEZZNS1_14partition_implILS5_1ELb0ES3_jN6thrust23THRUST_200600_302600_NS6detail15normal_iteratorINSA_10device_ptrIsEEEEPS6_NSA_18transform_iteratorI7is_evenIsESF_NSA_11use_defaultESK_EENS0_5tupleIJSF_SF_EEENSM_IJSG_SG_EEES6_PlJS6_EEE10hipError_tPvRmT3_T4_T5_T6_T7_T9_mT8_P12ihipStream_tbDpT10_ENKUlT_T0_E_clISt17integral_constantIbLb0EES18_IbLb1EEEEDaS14_S15_EUlS14_E_NS1_11comp_targetILNS1_3genE5ELNS1_11target_archE942ELNS1_3gpuE9ELNS1_3repE0EEENS1_30default_config_static_selectorELNS0_4arch9wavefront6targetE1EEEvT1_: ; @_ZN7rocprim17ROCPRIM_400000_NS6detail17trampoline_kernelINS0_14default_configENS1_25partition_config_selectorILNS1_17partition_subalgoE1EsNS0_10empty_typeEbEEZZNS1_14partition_implILS5_1ELb0ES3_jN6thrust23THRUST_200600_302600_NS6detail15normal_iteratorINSA_10device_ptrIsEEEEPS6_NSA_18transform_iteratorI7is_evenIsESF_NSA_11use_defaultESK_EENS0_5tupleIJSF_SF_EEENSM_IJSG_SG_EEES6_PlJS6_EEE10hipError_tPvRmT3_T4_T5_T6_T7_T9_mT8_P12ihipStream_tbDpT10_ENKUlT_T0_E_clISt17integral_constantIbLb0EES18_IbLb1EEEEDaS14_S15_EUlS14_E_NS1_11comp_targetILNS1_3genE5ELNS1_11target_archE942ELNS1_3gpuE9ELNS1_3repE0EEENS1_30default_config_static_selectorELNS0_4arch9wavefront6targetE1EEEvT1_
; %bb.0:
	.section	.rodata,"a",@progbits
	.p2align	6, 0x0
	.amdhsa_kernel _ZN7rocprim17ROCPRIM_400000_NS6detail17trampoline_kernelINS0_14default_configENS1_25partition_config_selectorILNS1_17partition_subalgoE1EsNS0_10empty_typeEbEEZZNS1_14partition_implILS5_1ELb0ES3_jN6thrust23THRUST_200600_302600_NS6detail15normal_iteratorINSA_10device_ptrIsEEEEPS6_NSA_18transform_iteratorI7is_evenIsESF_NSA_11use_defaultESK_EENS0_5tupleIJSF_SF_EEENSM_IJSG_SG_EEES6_PlJS6_EEE10hipError_tPvRmT3_T4_T5_T6_T7_T9_mT8_P12ihipStream_tbDpT10_ENKUlT_T0_E_clISt17integral_constantIbLb0EES18_IbLb1EEEEDaS14_S15_EUlS14_E_NS1_11comp_targetILNS1_3genE5ELNS1_11target_archE942ELNS1_3gpuE9ELNS1_3repE0EEENS1_30default_config_static_selectorELNS0_4arch9wavefront6targetE1EEEvT1_
		.amdhsa_group_segment_fixed_size 0
		.amdhsa_private_segment_fixed_size 0
		.amdhsa_kernarg_size 144
		.amdhsa_user_sgpr_count 6
		.amdhsa_user_sgpr_private_segment_buffer 1
		.amdhsa_user_sgpr_dispatch_ptr 0
		.amdhsa_user_sgpr_queue_ptr 0
		.amdhsa_user_sgpr_kernarg_segment_ptr 1
		.amdhsa_user_sgpr_dispatch_id 0
		.amdhsa_user_sgpr_flat_scratch_init 0
		.amdhsa_user_sgpr_kernarg_preload_length 0
		.amdhsa_user_sgpr_kernarg_preload_offset 0
		.amdhsa_user_sgpr_private_segment_size 0
		.amdhsa_uses_dynamic_stack 0
		.amdhsa_system_sgpr_private_segment_wavefront_offset 0
		.amdhsa_system_sgpr_workgroup_id_x 1
		.amdhsa_system_sgpr_workgroup_id_y 0
		.amdhsa_system_sgpr_workgroup_id_z 0
		.amdhsa_system_sgpr_workgroup_info 0
		.amdhsa_system_vgpr_workitem_id 0
		.amdhsa_next_free_vgpr 1
		.amdhsa_next_free_sgpr 0
		.amdhsa_accum_offset 4
		.amdhsa_reserve_vcc 0
		.amdhsa_reserve_flat_scratch 0
		.amdhsa_float_round_mode_32 0
		.amdhsa_float_round_mode_16_64 0
		.amdhsa_float_denorm_mode_32 3
		.amdhsa_float_denorm_mode_16_64 3
		.amdhsa_dx10_clamp 1
		.amdhsa_ieee_mode 1
		.amdhsa_fp16_overflow 0
		.amdhsa_tg_split 0
		.amdhsa_exception_fp_ieee_invalid_op 0
		.amdhsa_exception_fp_denorm_src 0
		.amdhsa_exception_fp_ieee_div_zero 0
		.amdhsa_exception_fp_ieee_overflow 0
		.amdhsa_exception_fp_ieee_underflow 0
		.amdhsa_exception_fp_ieee_inexact 0
		.amdhsa_exception_int_div_zero 0
	.end_amdhsa_kernel
	.section	.text._ZN7rocprim17ROCPRIM_400000_NS6detail17trampoline_kernelINS0_14default_configENS1_25partition_config_selectorILNS1_17partition_subalgoE1EsNS0_10empty_typeEbEEZZNS1_14partition_implILS5_1ELb0ES3_jN6thrust23THRUST_200600_302600_NS6detail15normal_iteratorINSA_10device_ptrIsEEEEPS6_NSA_18transform_iteratorI7is_evenIsESF_NSA_11use_defaultESK_EENS0_5tupleIJSF_SF_EEENSM_IJSG_SG_EEES6_PlJS6_EEE10hipError_tPvRmT3_T4_T5_T6_T7_T9_mT8_P12ihipStream_tbDpT10_ENKUlT_T0_E_clISt17integral_constantIbLb0EES18_IbLb1EEEEDaS14_S15_EUlS14_E_NS1_11comp_targetILNS1_3genE5ELNS1_11target_archE942ELNS1_3gpuE9ELNS1_3repE0EEENS1_30default_config_static_selectorELNS0_4arch9wavefront6targetE1EEEvT1_,"axG",@progbits,_ZN7rocprim17ROCPRIM_400000_NS6detail17trampoline_kernelINS0_14default_configENS1_25partition_config_selectorILNS1_17partition_subalgoE1EsNS0_10empty_typeEbEEZZNS1_14partition_implILS5_1ELb0ES3_jN6thrust23THRUST_200600_302600_NS6detail15normal_iteratorINSA_10device_ptrIsEEEEPS6_NSA_18transform_iteratorI7is_evenIsESF_NSA_11use_defaultESK_EENS0_5tupleIJSF_SF_EEENSM_IJSG_SG_EEES6_PlJS6_EEE10hipError_tPvRmT3_T4_T5_T6_T7_T9_mT8_P12ihipStream_tbDpT10_ENKUlT_T0_E_clISt17integral_constantIbLb0EES18_IbLb1EEEEDaS14_S15_EUlS14_E_NS1_11comp_targetILNS1_3genE5ELNS1_11target_archE942ELNS1_3gpuE9ELNS1_3repE0EEENS1_30default_config_static_selectorELNS0_4arch9wavefront6targetE1EEEvT1_,comdat
.Lfunc_end474:
	.size	_ZN7rocprim17ROCPRIM_400000_NS6detail17trampoline_kernelINS0_14default_configENS1_25partition_config_selectorILNS1_17partition_subalgoE1EsNS0_10empty_typeEbEEZZNS1_14partition_implILS5_1ELb0ES3_jN6thrust23THRUST_200600_302600_NS6detail15normal_iteratorINSA_10device_ptrIsEEEEPS6_NSA_18transform_iteratorI7is_evenIsESF_NSA_11use_defaultESK_EENS0_5tupleIJSF_SF_EEENSM_IJSG_SG_EEES6_PlJS6_EEE10hipError_tPvRmT3_T4_T5_T6_T7_T9_mT8_P12ihipStream_tbDpT10_ENKUlT_T0_E_clISt17integral_constantIbLb0EES18_IbLb1EEEEDaS14_S15_EUlS14_E_NS1_11comp_targetILNS1_3genE5ELNS1_11target_archE942ELNS1_3gpuE9ELNS1_3repE0EEENS1_30default_config_static_selectorELNS0_4arch9wavefront6targetE1EEEvT1_, .Lfunc_end474-_ZN7rocprim17ROCPRIM_400000_NS6detail17trampoline_kernelINS0_14default_configENS1_25partition_config_selectorILNS1_17partition_subalgoE1EsNS0_10empty_typeEbEEZZNS1_14partition_implILS5_1ELb0ES3_jN6thrust23THRUST_200600_302600_NS6detail15normal_iteratorINSA_10device_ptrIsEEEEPS6_NSA_18transform_iteratorI7is_evenIsESF_NSA_11use_defaultESK_EENS0_5tupleIJSF_SF_EEENSM_IJSG_SG_EEES6_PlJS6_EEE10hipError_tPvRmT3_T4_T5_T6_T7_T9_mT8_P12ihipStream_tbDpT10_ENKUlT_T0_E_clISt17integral_constantIbLb0EES18_IbLb1EEEEDaS14_S15_EUlS14_E_NS1_11comp_targetILNS1_3genE5ELNS1_11target_archE942ELNS1_3gpuE9ELNS1_3repE0EEENS1_30default_config_static_selectorELNS0_4arch9wavefront6targetE1EEEvT1_
                                        ; -- End function
	.section	.AMDGPU.csdata,"",@progbits
; Kernel info:
; codeLenInByte = 0
; NumSgprs: 4
; NumVgprs: 0
; NumAgprs: 0
; TotalNumVgprs: 0
; ScratchSize: 0
; MemoryBound: 0
; FloatMode: 240
; IeeeMode: 1
; LDSByteSize: 0 bytes/workgroup (compile time only)
; SGPRBlocks: 0
; VGPRBlocks: 0
; NumSGPRsForWavesPerEU: 4
; NumVGPRsForWavesPerEU: 1
; AccumOffset: 4
; Occupancy: 8
; WaveLimiterHint : 0
; COMPUTE_PGM_RSRC2:SCRATCH_EN: 0
; COMPUTE_PGM_RSRC2:USER_SGPR: 6
; COMPUTE_PGM_RSRC2:TRAP_HANDLER: 0
; COMPUTE_PGM_RSRC2:TGID_X_EN: 1
; COMPUTE_PGM_RSRC2:TGID_Y_EN: 0
; COMPUTE_PGM_RSRC2:TGID_Z_EN: 0
; COMPUTE_PGM_RSRC2:TIDIG_COMP_CNT: 0
; COMPUTE_PGM_RSRC3_GFX90A:ACCUM_OFFSET: 0
; COMPUTE_PGM_RSRC3_GFX90A:TG_SPLIT: 0
	.section	.text._ZN7rocprim17ROCPRIM_400000_NS6detail17trampoline_kernelINS0_14default_configENS1_25partition_config_selectorILNS1_17partition_subalgoE1EsNS0_10empty_typeEbEEZZNS1_14partition_implILS5_1ELb0ES3_jN6thrust23THRUST_200600_302600_NS6detail15normal_iteratorINSA_10device_ptrIsEEEEPS6_NSA_18transform_iteratorI7is_evenIsESF_NSA_11use_defaultESK_EENS0_5tupleIJSF_SF_EEENSM_IJSG_SG_EEES6_PlJS6_EEE10hipError_tPvRmT3_T4_T5_T6_T7_T9_mT8_P12ihipStream_tbDpT10_ENKUlT_T0_E_clISt17integral_constantIbLb0EES18_IbLb1EEEEDaS14_S15_EUlS14_E_NS1_11comp_targetILNS1_3genE4ELNS1_11target_archE910ELNS1_3gpuE8ELNS1_3repE0EEENS1_30default_config_static_selectorELNS0_4arch9wavefront6targetE1EEEvT1_,"axG",@progbits,_ZN7rocprim17ROCPRIM_400000_NS6detail17trampoline_kernelINS0_14default_configENS1_25partition_config_selectorILNS1_17partition_subalgoE1EsNS0_10empty_typeEbEEZZNS1_14partition_implILS5_1ELb0ES3_jN6thrust23THRUST_200600_302600_NS6detail15normal_iteratorINSA_10device_ptrIsEEEEPS6_NSA_18transform_iteratorI7is_evenIsESF_NSA_11use_defaultESK_EENS0_5tupleIJSF_SF_EEENSM_IJSG_SG_EEES6_PlJS6_EEE10hipError_tPvRmT3_T4_T5_T6_T7_T9_mT8_P12ihipStream_tbDpT10_ENKUlT_T0_E_clISt17integral_constantIbLb0EES18_IbLb1EEEEDaS14_S15_EUlS14_E_NS1_11comp_targetILNS1_3genE4ELNS1_11target_archE910ELNS1_3gpuE8ELNS1_3repE0EEENS1_30default_config_static_selectorELNS0_4arch9wavefront6targetE1EEEvT1_,comdat
	.protected	_ZN7rocprim17ROCPRIM_400000_NS6detail17trampoline_kernelINS0_14default_configENS1_25partition_config_selectorILNS1_17partition_subalgoE1EsNS0_10empty_typeEbEEZZNS1_14partition_implILS5_1ELb0ES3_jN6thrust23THRUST_200600_302600_NS6detail15normal_iteratorINSA_10device_ptrIsEEEEPS6_NSA_18transform_iteratorI7is_evenIsESF_NSA_11use_defaultESK_EENS0_5tupleIJSF_SF_EEENSM_IJSG_SG_EEES6_PlJS6_EEE10hipError_tPvRmT3_T4_T5_T6_T7_T9_mT8_P12ihipStream_tbDpT10_ENKUlT_T0_E_clISt17integral_constantIbLb0EES18_IbLb1EEEEDaS14_S15_EUlS14_E_NS1_11comp_targetILNS1_3genE4ELNS1_11target_archE910ELNS1_3gpuE8ELNS1_3repE0EEENS1_30default_config_static_selectorELNS0_4arch9wavefront6targetE1EEEvT1_ ; -- Begin function _ZN7rocprim17ROCPRIM_400000_NS6detail17trampoline_kernelINS0_14default_configENS1_25partition_config_selectorILNS1_17partition_subalgoE1EsNS0_10empty_typeEbEEZZNS1_14partition_implILS5_1ELb0ES3_jN6thrust23THRUST_200600_302600_NS6detail15normal_iteratorINSA_10device_ptrIsEEEEPS6_NSA_18transform_iteratorI7is_evenIsESF_NSA_11use_defaultESK_EENS0_5tupleIJSF_SF_EEENSM_IJSG_SG_EEES6_PlJS6_EEE10hipError_tPvRmT3_T4_T5_T6_T7_T9_mT8_P12ihipStream_tbDpT10_ENKUlT_T0_E_clISt17integral_constantIbLb0EES18_IbLb1EEEEDaS14_S15_EUlS14_E_NS1_11comp_targetILNS1_3genE4ELNS1_11target_archE910ELNS1_3gpuE8ELNS1_3repE0EEENS1_30default_config_static_selectorELNS0_4arch9wavefront6targetE1EEEvT1_
	.globl	_ZN7rocprim17ROCPRIM_400000_NS6detail17trampoline_kernelINS0_14default_configENS1_25partition_config_selectorILNS1_17partition_subalgoE1EsNS0_10empty_typeEbEEZZNS1_14partition_implILS5_1ELb0ES3_jN6thrust23THRUST_200600_302600_NS6detail15normal_iteratorINSA_10device_ptrIsEEEEPS6_NSA_18transform_iteratorI7is_evenIsESF_NSA_11use_defaultESK_EENS0_5tupleIJSF_SF_EEENSM_IJSG_SG_EEES6_PlJS6_EEE10hipError_tPvRmT3_T4_T5_T6_T7_T9_mT8_P12ihipStream_tbDpT10_ENKUlT_T0_E_clISt17integral_constantIbLb0EES18_IbLb1EEEEDaS14_S15_EUlS14_E_NS1_11comp_targetILNS1_3genE4ELNS1_11target_archE910ELNS1_3gpuE8ELNS1_3repE0EEENS1_30default_config_static_selectorELNS0_4arch9wavefront6targetE1EEEvT1_
	.p2align	8
	.type	_ZN7rocprim17ROCPRIM_400000_NS6detail17trampoline_kernelINS0_14default_configENS1_25partition_config_selectorILNS1_17partition_subalgoE1EsNS0_10empty_typeEbEEZZNS1_14partition_implILS5_1ELb0ES3_jN6thrust23THRUST_200600_302600_NS6detail15normal_iteratorINSA_10device_ptrIsEEEEPS6_NSA_18transform_iteratorI7is_evenIsESF_NSA_11use_defaultESK_EENS0_5tupleIJSF_SF_EEENSM_IJSG_SG_EEES6_PlJS6_EEE10hipError_tPvRmT3_T4_T5_T6_T7_T9_mT8_P12ihipStream_tbDpT10_ENKUlT_T0_E_clISt17integral_constantIbLb0EES18_IbLb1EEEEDaS14_S15_EUlS14_E_NS1_11comp_targetILNS1_3genE4ELNS1_11target_archE910ELNS1_3gpuE8ELNS1_3repE0EEENS1_30default_config_static_selectorELNS0_4arch9wavefront6targetE1EEEvT1_,@function
_ZN7rocprim17ROCPRIM_400000_NS6detail17trampoline_kernelINS0_14default_configENS1_25partition_config_selectorILNS1_17partition_subalgoE1EsNS0_10empty_typeEbEEZZNS1_14partition_implILS5_1ELb0ES3_jN6thrust23THRUST_200600_302600_NS6detail15normal_iteratorINSA_10device_ptrIsEEEEPS6_NSA_18transform_iteratorI7is_evenIsESF_NSA_11use_defaultESK_EENS0_5tupleIJSF_SF_EEENSM_IJSG_SG_EEES6_PlJS6_EEE10hipError_tPvRmT3_T4_T5_T6_T7_T9_mT8_P12ihipStream_tbDpT10_ENKUlT_T0_E_clISt17integral_constantIbLb0EES18_IbLb1EEEEDaS14_S15_EUlS14_E_NS1_11comp_targetILNS1_3genE4ELNS1_11target_archE910ELNS1_3gpuE8ELNS1_3repE0EEENS1_30default_config_static_selectorELNS0_4arch9wavefront6targetE1EEEvT1_: ; @_ZN7rocprim17ROCPRIM_400000_NS6detail17trampoline_kernelINS0_14default_configENS1_25partition_config_selectorILNS1_17partition_subalgoE1EsNS0_10empty_typeEbEEZZNS1_14partition_implILS5_1ELb0ES3_jN6thrust23THRUST_200600_302600_NS6detail15normal_iteratorINSA_10device_ptrIsEEEEPS6_NSA_18transform_iteratorI7is_evenIsESF_NSA_11use_defaultESK_EENS0_5tupleIJSF_SF_EEENSM_IJSG_SG_EEES6_PlJS6_EEE10hipError_tPvRmT3_T4_T5_T6_T7_T9_mT8_P12ihipStream_tbDpT10_ENKUlT_T0_E_clISt17integral_constantIbLb0EES18_IbLb1EEEEDaS14_S15_EUlS14_E_NS1_11comp_targetILNS1_3genE4ELNS1_11target_archE910ELNS1_3gpuE8ELNS1_3repE0EEENS1_30default_config_static_selectorELNS0_4arch9wavefront6targetE1EEEvT1_
; %bb.0:
	s_load_dwordx2 s[6:7], s[4:5], 0x20
	s_load_dwordx4 s[20:23], s[4:5], 0x50
	s_load_dwordx2 s[2:3], s[4:5], 0x60
	s_load_dwordx2 s[30:31], s[4:5], 0x70
	v_cmp_eq_u32_e64 s[0:1], 0, v0
	s_and_saveexec_b64 s[8:9], s[0:1]
	s_cbranch_execz .LBB475_4
; %bb.1:
	s_mov_b64 s[12:13], exec
	v_mbcnt_lo_u32_b32 v1, s12, 0
	v_mbcnt_hi_u32_b32 v1, s13, v1
	v_cmp_eq_u32_e32 vcc, 0, v1
                                        ; implicit-def: $vgpr2
	s_and_saveexec_b64 s[10:11], vcc
	s_cbranch_execz .LBB475_3
; %bb.2:
	s_load_dwordx2 s[14:15], s[4:5], 0x80
	s_bcnt1_i32_b64 s12, s[12:13]
	v_mov_b32_e32 v2, 0
	v_mov_b32_e32 v3, s12
	s_waitcnt lgkmcnt(0)
	global_atomic_add v2, v2, v3, s[14:15] glc
.LBB475_3:
	s_or_b64 exec, exec, s[10:11]
	s_waitcnt vmcnt(0)
	v_readfirstlane_b32 s10, v2
	v_add_u32_e32 v1, s10, v1
	v_mov_b32_e32 v2, 0
	ds_write_b32 v2, v1
.LBB475_4:
	s_or_b64 exec, exec, s[8:9]
	v_mov_b32_e32 v3, 0
	s_load_dwordx4 s[16:19], s[4:5], 0x8
	s_load_dwordx4 s[24:27], s[4:5], 0x30
	s_load_dword s8, s[4:5], 0x78
	s_waitcnt lgkmcnt(0)
	s_barrier
	ds_read_b32 v1, v3
	s_waitcnt lgkmcnt(0)
	s_barrier
	global_load_dwordx2 v[10:11], v3, s[22:23]
	v_mov_b32_e32 v5, s3
	s_lshl_b64 s[4:5], s[18:19], 1
	s_movk_i32 s3, 0x1400
	s_add_u32 s9, s16, s4
	v_mul_lo_u32 v2, v1, s3
	s_mul_i32 s3, s8, 0x1400
	s_addc_u32 s10, s17, s5
	s_add_i32 s11, s8, -1
	s_add_i32 s8, s3, s18
	s_sub_i32 s33, s2, s8
	s_addk_i32 s33, 0x1400
	v_mov_b32_e32 v4, s2
	s_add_u32 s2, s18, s3
	v_readfirstlane_b32 s40, v1
	s_addc_u32 s3, s19, 0
	s_cmp_eq_u32 s40, s11
	s_cselect_b64 s[22:23], -1, 0
	s_cmp_lg_u32 s40, s11
	v_cmp_lt_u64_e32 vcc, s[2:3], v[4:5]
	s_cselect_b64 s[2:3], -1, 0
	v_lshlrev_b64 v[12:13], 1, v[2:3]
	s_or_b64 s[28:29], vcc, s[2:3]
	v_mov_b32_e32 v2, s10
	v_add_co_u32_e32 v1, vcc, s9, v12
	v_addc_co_u32_e32 v2, vcc, v2, v13, vcc
	s_mov_b64 s[2:3], -1
	s_and_b64 vcc, exec, s[28:29]
	v_lshlrev_b32_e32 v30, 1, v0
	s_cbranch_vccz .LBB475_6
; %bb.5:
	v_add_co_u32_e32 v4, vcc, v1, v30
	v_addc_co_u32_e32 v5, vcc, 0, v2, vcc
	v_add_co_u32_e32 v6, vcc, 0x1000, v4
	v_addc_co_u32_e32 v7, vcc, 0, v5, vcc
	flat_load_ushort v3, v[4:5]
	flat_load_ushort v8, v[4:5] offset:512
	flat_load_ushort v9, v[4:5] offset:1024
	;; [unrolled: 1-line block ×7, first 2 shown]
	v_add_co_u32_e32 v4, vcc, 0x2000, v4
	v_addc_co_u32_e32 v5, vcc, 0, v5, vcc
	flat_load_ushort v19, v[6:7]
	flat_load_ushort v20, v[6:7] offset:512
	flat_load_ushort v21, v[6:7] offset:1024
	;; [unrolled: 1-line block ×7, first 2 shown]
	s_nop 0
	flat_load_ushort v6, v[4:5]
	flat_load_ushort v7, v[4:5] offset:512
	flat_load_ushort v27, v[4:5] offset:1024
	;; [unrolled: 1-line block ×3, first 2 shown]
	s_mov_b64 s[2:3], 0
	s_waitcnt vmcnt(0) lgkmcnt(0)
	ds_write_b16 v30, v3
	ds_write_b16 v30, v8 offset:512
	ds_write_b16 v30, v9 offset:1024
	;; [unrolled: 1-line block ×19, first 2 shown]
	s_waitcnt lgkmcnt(0)
	s_barrier
.LBB475_6:
	s_andn2_b64 vcc, exec, s[2:3]
	v_cmp_gt_u32_e64 s[2:3], s33, v0
	s_cbranch_vccnz .LBB475_48
; %bb.7:
                                        ; implicit-def: $vgpr3
	s_and_saveexec_b64 s[8:9], s[2:3]
	s_cbranch_execz .LBB475_9
; %bb.8:
	v_add_co_u32_e32 v4, vcc, v1, v30
	v_addc_co_u32_e32 v5, vcc, 0, v2, vcc
	flat_load_ushort v3, v[4:5]
.LBB475_9:
	s_or_b64 exec, exec, s[8:9]
	v_or_b32_e32 v4, 0x100, v0
	v_cmp_gt_u32_e32 vcc, s33, v4
                                        ; implicit-def: $vgpr4
	s_and_saveexec_b64 s[2:3], vcc
	s_cbranch_execz .LBB475_11
; %bb.10:
	v_add_co_u32_e32 v4, vcc, v1, v30
	v_addc_co_u32_e32 v5, vcc, 0, v2, vcc
	flat_load_ushort v4, v[4:5] offset:512
.LBB475_11:
	s_or_b64 exec, exec, s[2:3]
	v_or_b32_e32 v5, 0x200, v0
	v_cmp_gt_u32_e32 vcc, s33, v5
                                        ; implicit-def: $vgpr5
	s_and_saveexec_b64 s[2:3], vcc
	s_cbranch_execz .LBB475_13
; %bb.12:
	v_add_co_u32_e32 v6, vcc, v1, v30
	v_addc_co_u32_e32 v7, vcc, 0, v2, vcc
	flat_load_ushort v5, v[6:7] offset:1024
.LBB475_13:
	s_or_b64 exec, exec, s[2:3]
	v_or_b32_e32 v6, 0x300, v0
	v_cmp_gt_u32_e32 vcc, s33, v6
                                        ; implicit-def: $vgpr6
	s_and_saveexec_b64 s[2:3], vcc
	s_cbranch_execz .LBB475_15
; %bb.14:
	v_add_co_u32_e32 v6, vcc, v1, v30
	v_addc_co_u32_e32 v7, vcc, 0, v2, vcc
	flat_load_ushort v6, v[6:7] offset:1536
.LBB475_15:
	s_or_b64 exec, exec, s[2:3]
	v_or_b32_e32 v7, 0x400, v0
	v_cmp_gt_u32_e32 vcc, s33, v7
                                        ; implicit-def: $vgpr7
	s_and_saveexec_b64 s[2:3], vcc
	s_cbranch_execz .LBB475_17
; %bb.16:
	v_add_co_u32_e32 v8, vcc, v1, v30
	v_addc_co_u32_e32 v9, vcc, 0, v2, vcc
	flat_load_ushort v7, v[8:9] offset:2048
.LBB475_17:
	s_or_b64 exec, exec, s[2:3]
	v_or_b32_e32 v8, 0x500, v0
	v_cmp_gt_u32_e32 vcc, s33, v8
                                        ; implicit-def: $vgpr8
	s_and_saveexec_b64 s[2:3], vcc
	s_cbranch_execz .LBB475_19
; %bb.18:
	v_add_co_u32_e32 v8, vcc, v1, v30
	v_addc_co_u32_e32 v9, vcc, 0, v2, vcc
	flat_load_ushort v8, v[8:9] offset:2560
.LBB475_19:
	s_or_b64 exec, exec, s[2:3]
	v_or_b32_e32 v9, 0x600, v0
	v_cmp_gt_u32_e32 vcc, s33, v9
                                        ; implicit-def: $vgpr9
	s_and_saveexec_b64 s[2:3], vcc
	s_cbranch_execz .LBB475_21
; %bb.20:
	v_add_co_u32_e32 v14, vcc, v1, v30
	v_addc_co_u32_e32 v15, vcc, 0, v2, vcc
	flat_load_ushort v9, v[14:15] offset:3072
.LBB475_21:
	s_or_b64 exec, exec, s[2:3]
	v_or_b32_e32 v14, 0x700, v0
	v_cmp_gt_u32_e32 vcc, s33, v14
                                        ; implicit-def: $vgpr14
	s_and_saveexec_b64 s[2:3], vcc
	s_cbranch_execz .LBB475_23
; %bb.22:
	v_add_co_u32_e32 v14, vcc, v1, v30
	v_addc_co_u32_e32 v15, vcc, 0, v2, vcc
	flat_load_ushort v14, v[14:15] offset:3584
.LBB475_23:
	s_or_b64 exec, exec, s[2:3]
	v_or_b32_e32 v16, 0x800, v0
	v_cmp_gt_u32_e32 vcc, s33, v16
                                        ; implicit-def: $vgpr15
	s_and_saveexec_b64 s[2:3], vcc
	s_cbranch_execz .LBB475_25
; %bb.24:
	v_lshlrev_b32_e32 v15, 1, v16
	v_add_co_u32_e32 v16, vcc, v1, v15
	v_addc_co_u32_e32 v17, vcc, 0, v2, vcc
	flat_load_ushort v15, v[16:17]
.LBB475_25:
	s_or_b64 exec, exec, s[2:3]
	v_or_b32_e32 v17, 0x900, v0
	v_cmp_gt_u32_e32 vcc, s33, v17
                                        ; implicit-def: $vgpr16
	s_and_saveexec_b64 s[2:3], vcc
	s_cbranch_execz .LBB475_27
; %bb.26:
	v_lshlrev_b32_e32 v16, 1, v17
	v_add_co_u32_e32 v16, vcc, v1, v16
	v_addc_co_u32_e32 v17, vcc, 0, v2, vcc
	flat_load_ushort v16, v[16:17]
.LBB475_27:
	s_or_b64 exec, exec, s[2:3]
	v_or_b32_e32 v18, 0xa00, v0
	v_cmp_gt_u32_e32 vcc, s33, v18
                                        ; implicit-def: $vgpr17
	s_and_saveexec_b64 s[2:3], vcc
	s_cbranch_execz .LBB475_29
; %bb.28:
	v_lshlrev_b32_e32 v17, 1, v18
	v_add_co_u32_e32 v18, vcc, v1, v17
	v_addc_co_u32_e32 v19, vcc, 0, v2, vcc
	flat_load_ushort v17, v[18:19]
.LBB475_29:
	s_or_b64 exec, exec, s[2:3]
	v_or_b32_e32 v19, 0xb00, v0
	v_cmp_gt_u32_e32 vcc, s33, v19
                                        ; implicit-def: $vgpr18
	s_and_saveexec_b64 s[2:3], vcc
	s_cbranch_execz .LBB475_31
; %bb.30:
	v_lshlrev_b32_e32 v18, 1, v19
	v_add_co_u32_e32 v18, vcc, v1, v18
	v_addc_co_u32_e32 v19, vcc, 0, v2, vcc
	flat_load_ushort v18, v[18:19]
.LBB475_31:
	s_or_b64 exec, exec, s[2:3]
	v_or_b32_e32 v20, 0xc00, v0
	v_cmp_gt_u32_e32 vcc, s33, v20
                                        ; implicit-def: $vgpr19
	s_and_saveexec_b64 s[2:3], vcc
	s_cbranch_execz .LBB475_33
; %bb.32:
	v_lshlrev_b32_e32 v19, 1, v20
	v_add_co_u32_e32 v20, vcc, v1, v19
	v_addc_co_u32_e32 v21, vcc, 0, v2, vcc
	flat_load_ushort v19, v[20:21]
.LBB475_33:
	s_or_b64 exec, exec, s[2:3]
	v_or_b32_e32 v21, 0xd00, v0
	v_cmp_gt_u32_e32 vcc, s33, v21
                                        ; implicit-def: $vgpr20
	s_and_saveexec_b64 s[2:3], vcc
	s_cbranch_execz .LBB475_35
; %bb.34:
	v_lshlrev_b32_e32 v20, 1, v21
	v_add_co_u32_e32 v20, vcc, v1, v20
	v_addc_co_u32_e32 v21, vcc, 0, v2, vcc
	flat_load_ushort v20, v[20:21]
.LBB475_35:
	s_or_b64 exec, exec, s[2:3]
	v_or_b32_e32 v22, 0xe00, v0
	v_cmp_gt_u32_e32 vcc, s33, v22
                                        ; implicit-def: $vgpr21
	s_and_saveexec_b64 s[2:3], vcc
	s_cbranch_execz .LBB475_37
; %bb.36:
	v_lshlrev_b32_e32 v21, 1, v22
	v_add_co_u32_e32 v22, vcc, v1, v21
	v_addc_co_u32_e32 v23, vcc, 0, v2, vcc
	flat_load_ushort v21, v[22:23]
.LBB475_37:
	s_or_b64 exec, exec, s[2:3]
	v_or_b32_e32 v23, 0xf00, v0
	v_cmp_gt_u32_e32 vcc, s33, v23
                                        ; implicit-def: $vgpr22
	s_and_saveexec_b64 s[2:3], vcc
	s_cbranch_execz .LBB475_39
; %bb.38:
	v_lshlrev_b32_e32 v22, 1, v23
	v_add_co_u32_e32 v22, vcc, v1, v22
	v_addc_co_u32_e32 v23, vcc, 0, v2, vcc
	flat_load_ushort v22, v[22:23]
.LBB475_39:
	s_or_b64 exec, exec, s[2:3]
	v_or_b32_e32 v24, 0x1000, v0
	v_cmp_gt_u32_e32 vcc, s33, v24
                                        ; implicit-def: $vgpr23
	s_and_saveexec_b64 s[2:3], vcc
	s_cbranch_execz .LBB475_41
; %bb.40:
	v_lshlrev_b32_e32 v23, 1, v24
	v_add_co_u32_e32 v24, vcc, v1, v23
	v_addc_co_u32_e32 v25, vcc, 0, v2, vcc
	flat_load_ushort v23, v[24:25]
.LBB475_41:
	s_or_b64 exec, exec, s[2:3]
	v_or_b32_e32 v25, 0x1100, v0
	v_cmp_gt_u32_e32 vcc, s33, v25
                                        ; implicit-def: $vgpr24
	s_and_saveexec_b64 s[2:3], vcc
	s_cbranch_execz .LBB475_43
; %bb.42:
	v_lshlrev_b32_e32 v24, 1, v25
	v_add_co_u32_e32 v24, vcc, v1, v24
	v_addc_co_u32_e32 v25, vcc, 0, v2, vcc
	flat_load_ushort v24, v[24:25]
.LBB475_43:
	s_or_b64 exec, exec, s[2:3]
	v_or_b32_e32 v26, 0x1200, v0
	v_cmp_gt_u32_e32 vcc, s33, v26
                                        ; implicit-def: $vgpr25
	s_and_saveexec_b64 s[2:3], vcc
	s_cbranch_execz .LBB475_45
; %bb.44:
	v_lshlrev_b32_e32 v25, 1, v26
	v_add_co_u32_e32 v26, vcc, v1, v25
	v_addc_co_u32_e32 v27, vcc, 0, v2, vcc
	flat_load_ushort v25, v[26:27]
.LBB475_45:
	s_or_b64 exec, exec, s[2:3]
	v_or_b32_e32 v27, 0x1300, v0
	v_cmp_gt_u32_e32 vcc, s33, v27
                                        ; implicit-def: $vgpr26
	s_and_saveexec_b64 s[2:3], vcc
	s_cbranch_execz .LBB475_47
; %bb.46:
	v_lshlrev_b32_e32 v26, 1, v27
	v_add_co_u32_e32 v26, vcc, v1, v26
	v_addc_co_u32_e32 v27, vcc, 0, v2, vcc
	flat_load_ushort v26, v[26:27]
.LBB475_47:
	s_or_b64 exec, exec, s[2:3]
	s_waitcnt vmcnt(0) lgkmcnt(0)
	ds_write_b16 v30, v3
	ds_write_b16 v30, v4 offset:512
	ds_write_b16 v30, v5 offset:1024
	;; [unrolled: 1-line block ×19, first 2 shown]
	s_waitcnt lgkmcnt(0)
	s_barrier
.LBB475_48:
	v_mul_u32_u24_e32 v31, 20, v0
	v_lshlrev_b32_e32 v1, 1, v31
	ds_read_b64 v[14:15], v1 offset:32
	ds_read2_b64 v[2:5], v1 offset0:2 offset1:3
	ds_read2_b64 v[6:9], v1 offset1:1
	s_add_u32 s2, s6, s4
	s_addc_u32 s3, s7, s5
	v_mov_b32_e32 v1, s3
	v_add_co_u32_e32 v16, vcc, s2, v12
	v_addc_co_u32_e32 v1, vcc, v1, v13, vcc
	s_mov_b64 s[2:3], -1
	s_and_b64 vcc, exec, s[28:29]
	s_waitcnt lgkmcnt(0)
	s_barrier
	s_cbranch_vccz .LBB475_50
; %bb.49:
	v_add_co_u32_e32 v17, vcc, v16, v30
	v_readfirstlane_b32 s2, v16
	v_readfirstlane_b32 s3, v1
	v_addc_co_u32_e32 v21, vcc, 0, v1, vcc
	s_nop 3
	global_load_ubyte v22, v30, s[2:3]
	global_load_ubyte v23, v30, s[2:3] offset:512
	global_load_ubyte v24, v30, s[2:3] offset:1024
	;; [unrolled: 1-line block ×7, first 2 shown]
	s_movk_i32 s2, 0x1000
	v_add_co_u32_e32 v18, vcc, s2, v17
	v_addc_co_u32_e32 v19, vcc, 0, v21, vcc
	s_movk_i32 s2, 0x2000
	v_add_co_u32_e32 v20, vcc, s2, v17
	v_addc_co_u32_e32 v21, vcc, 0, v21, vcc
	global_load_ubyte v17, v[20:21], off offset:-4096
	global_load_ubyte v32, v[18:19], off offset:512
	global_load_ubyte v33, v[18:19], off offset:1024
	;; [unrolled: 1-line block ×7, first 2 shown]
	global_load_ubyte v39, v[20:21], off
	global_load_ubyte v40, v[20:21], off offset:512
	global_load_ubyte v41, v[20:21], off offset:1024
	;; [unrolled: 1-line block ×3, first 2 shown]
	s_mov_b64 s[2:3], 0
	s_waitcnt vmcnt(19)
	v_xor_b32_e32 v18, -1, v22
	s_waitcnt vmcnt(18)
	v_xor_b32_e32 v19, -1, v23
	;; [unrolled: 2-line block ×8, first 2 shown]
	v_and_b32_e32 v18, 1, v18
	s_waitcnt vmcnt(11)
	v_xor_b32_e32 v17, -1, v17
	s_waitcnt vmcnt(10)
	v_xor_b32_e32 v26, -1, v32
	;; [unrolled: 2-line block ×12, first 2 shown]
	v_and_b32_e32 v19, 1, v19
	v_and_b32_e32 v20, 1, v20
	;; [unrolled: 1-line block ×19, first 2 shown]
	ds_write_b8 v0, v18
	ds_write_b8 v0, v19 offset:256
	ds_write_b8 v0, v20 offset:512
	;; [unrolled: 1-line block ×19, first 2 shown]
	s_waitcnt lgkmcnt(0)
	s_barrier
.LBB475_50:
	s_andn2_b64 vcc, exec, s[2:3]
	s_cbranch_vccnz .LBB475_92
; %bb.51:
	v_cmp_gt_u32_e32 vcc, s33, v0
	v_mov_b32_e32 v17, 0
	v_mov_b32_e32 v18, 0
	s_and_saveexec_b64 s[2:3], vcc
	s_cbranch_execz .LBB475_53
; %bb.52:
	v_readfirstlane_b32 s4, v16
	v_readfirstlane_b32 s5, v1
	s_nop 4
	global_load_ubyte v18, v30, s[4:5]
	s_waitcnt vmcnt(0)
	v_xor_b32_e32 v18, -1, v18
	v_and_b32_e32 v18, 1, v18
.LBB475_53:
	s_or_b64 exec, exec, s[2:3]
	v_or_b32_e32 v19, 0x100, v0
	v_cmp_gt_u32_e32 vcc, s33, v19
	s_and_saveexec_b64 s[2:3], vcc
	s_cbranch_execz .LBB475_55
; %bb.54:
	v_readfirstlane_b32 s4, v16
	v_readfirstlane_b32 s5, v1
	s_nop 4
	global_load_ubyte v17, v30, s[4:5] offset:512
	s_waitcnt vmcnt(0)
	v_xor_b32_e32 v17, -1, v17
	v_and_b32_e32 v17, 1, v17
.LBB475_55:
	s_or_b64 exec, exec, s[2:3]
	v_or_b32_e32 v19, 0x200, v0
	v_cmp_gt_u32_e32 vcc, s33, v19
	v_mov_b32_e32 v19, 0
	v_mov_b32_e32 v20, 0
	s_and_saveexec_b64 s[2:3], vcc
	s_cbranch_execz .LBB475_57
; %bb.56:
	v_readfirstlane_b32 s4, v16
	v_readfirstlane_b32 s5, v1
	s_nop 4
	global_load_ubyte v20, v30, s[4:5] offset:1024
	s_waitcnt vmcnt(0)
	v_xor_b32_e32 v20, -1, v20
	v_and_b32_e32 v20, 1, v20
.LBB475_57:
	s_or_b64 exec, exec, s[2:3]
	v_or_b32_e32 v21, 0x300, v0
	v_cmp_gt_u32_e32 vcc, s33, v21
	s_and_saveexec_b64 s[2:3], vcc
	s_cbranch_execz .LBB475_59
; %bb.58:
	v_readfirstlane_b32 s4, v16
	v_readfirstlane_b32 s5, v1
	s_nop 4
	global_load_ubyte v19, v30, s[4:5] offset:1536
	s_waitcnt vmcnt(0)
	v_xor_b32_e32 v19, -1, v19
	v_and_b32_e32 v19, 1, v19
.LBB475_59:
	s_or_b64 exec, exec, s[2:3]
	v_or_b32_e32 v21, 0x400, v0
	v_cmp_gt_u32_e32 vcc, s33, v21
	v_mov_b32_e32 v21, 0
	v_mov_b32_e32 v22, 0
	s_and_saveexec_b64 s[2:3], vcc
	s_cbranch_execz .LBB475_61
; %bb.60:
	v_readfirstlane_b32 s4, v16
	v_readfirstlane_b32 s5, v1
	s_nop 4
	global_load_ubyte v22, v30, s[4:5] offset:2048
	s_waitcnt vmcnt(0)
	v_xor_b32_e32 v22, -1, v22
	v_and_b32_e32 v22, 1, v22
.LBB475_61:
	;; [unrolled: 30-line block ×3, first 2 shown]
	s_or_b64 exec, exec, s[2:3]
	v_or_b32_e32 v25, 0x700, v0
	v_cmp_gt_u32_e32 vcc, s33, v25
	s_and_saveexec_b64 s[2:3], vcc
	s_cbranch_execz .LBB475_67
; %bb.66:
	v_readfirstlane_b32 s4, v16
	v_readfirstlane_b32 s5, v1
	s_nop 4
	global_load_ubyte v23, v30, s[4:5] offset:3584
	s_waitcnt vmcnt(0)
	v_xor_b32_e32 v23, -1, v23
	v_and_b32_e32 v23, 1, v23
.LBB475_67:
	s_or_b64 exec, exec, s[2:3]
	v_or_b32_e32 v27, 0x800, v0
	v_cmp_gt_u32_e32 vcc, s33, v27
	v_mov_b32_e32 v25, 0
	v_mov_b32_e32 v26, 0
	s_and_saveexec_b64 s[2:3], vcc
	s_cbranch_execz .LBB475_69
; %bb.68:
	v_lshlrev_b32_e32 v26, 1, v27
	v_readfirstlane_b32 s4, v16
	v_readfirstlane_b32 s5, v1
	s_nop 4
	global_load_ubyte v26, v26, s[4:5]
	s_waitcnt vmcnt(0)
	v_xor_b32_e32 v26, -1, v26
	v_and_b32_e32 v26, 1, v26
.LBB475_69:
	s_or_b64 exec, exec, s[2:3]
	v_or_b32_e32 v27, 0x900, v0
	v_cmp_gt_u32_e32 vcc, s33, v27
	s_and_saveexec_b64 s[2:3], vcc
	s_cbranch_execz .LBB475_71
; %bb.70:
	v_lshlrev_b32_e32 v25, 1, v27
	v_readfirstlane_b32 s4, v16
	v_readfirstlane_b32 s5, v1
	s_nop 4
	global_load_ubyte v25, v25, s[4:5]
	s_waitcnt vmcnt(0)
	v_xor_b32_e32 v25, -1, v25
	v_and_b32_e32 v25, 1, v25
.LBB475_71:
	s_or_b64 exec, exec, s[2:3]
	v_or_b32_e32 v29, 0xa00, v0
	v_cmp_gt_u32_e32 vcc, s33, v29
	v_mov_b32_e32 v27, 0
	v_mov_b32_e32 v28, 0
	s_and_saveexec_b64 s[2:3], vcc
	s_cbranch_execz .LBB475_73
; %bb.72:
	v_lshlrev_b32_e32 v28, 1, v29
	v_readfirstlane_b32 s4, v16
	v_readfirstlane_b32 s5, v1
	s_nop 4
	global_load_ubyte v28, v28, s[4:5]
	s_waitcnt vmcnt(0)
	v_xor_b32_e32 v28, -1, v28
	v_and_b32_e32 v28, 1, v28
.LBB475_73:
	s_or_b64 exec, exec, s[2:3]
	v_or_b32_e32 v29, 0xb00, v0
	v_cmp_gt_u32_e32 vcc, s33, v29
	s_and_saveexec_b64 s[2:3], vcc
	s_cbranch_execz .LBB475_75
; %bb.74:
	v_lshlrev_b32_e32 v27, 1, v29
	v_readfirstlane_b32 s4, v16
	v_readfirstlane_b32 s5, v1
	s_nop 4
	global_load_ubyte v27, v27, s[4:5]
	s_waitcnt vmcnt(0)
	v_xor_b32_e32 v27, -1, v27
	v_and_b32_e32 v27, 1, v27
.LBB475_75:
	;; [unrolled: 32-line block ×6, first 2 shown]
	s_or_b64 exec, exec, s[2:3]
	ds_write_b8 v0, v18
	ds_write_b8 v0, v17 offset:256
	ds_write_b8 v0, v20 offset:512
	;; [unrolled: 1-line block ×19, first 2 shown]
	s_waitcnt lgkmcnt(0)
	s_barrier
.LBB475_92:
	ds_read2_b32 v[20:21], v31 offset1:1
	ds_read2_b32 v[18:19], v31 offset0:2 offset1:3
	ds_read_b32 v32, v31 offset:16
	s_cmp_lg_u32 s40, 0
	v_lshrrev_b32_e32 v51, 6, v0
	s_waitcnt lgkmcnt(2)
	v_lshrrev_b32_e32 v37, 24, v20
	v_bfe_u32 v49, v20, 16, 8
	v_add_u32_sdwa v16, v20, v20 dst_sel:DWORD dst_unused:UNUSED_PAD src0_sel:BYTE_1 src1_sel:BYTE_0
	v_and_b32_e32 v46, 0xff, v21
	v_bfe_u32 v47, v21, 8, 8
	v_add3_u32 v16, v16, v49, v37
	v_lshrrev_b32_e32 v36, 24, v21
	v_bfe_u32 v48, v21, 16, 8
	v_add3_u32 v16, v16, v46, v47
	s_waitcnt lgkmcnt(1)
	v_and_b32_e32 v43, 0xff, v18
	v_bfe_u32 v44, v18, 8, 8
	v_add3_u32 v16, v16, v48, v36
	v_lshrrev_b32_e32 v35, 24, v18
	v_bfe_u32 v45, v18, 16, 8
	v_add3_u32 v16, v16, v43, v44
	v_and_b32_e32 v40, 0xff, v19
	v_bfe_u32 v41, v19, 8, 8
	v_add3_u32 v16, v16, v45, v35
	v_lshrrev_b32_e32 v34, 24, v19
	v_bfe_u32 v42, v19, 16, 8
	v_add3_u32 v16, v16, v40, v41
	s_waitcnt lgkmcnt(0)
	v_and_b32_e32 v38, 0xff, v32
	v_bfe_u32 v39, v32, 8, 8
	v_add3_u32 v16, v16, v42, v34
	v_lshrrev_b32_e32 v1, 24, v32
	v_bfe_u32 v33, v32, 16, 8
	v_add3_u32 v16, v16, v38, v39
	v_add3_u32 v52, v16, v33, v1
	v_mbcnt_lo_u32_b32 v16, -1, 0
	v_mbcnt_hi_u32_b32 v50, -1, v16
	v_and_b32_e32 v16, 15, v50
	v_cmp_eq_u32_e64 s[14:15], 0, v16
	v_cmp_lt_u32_e64 s[12:13], 1, v16
	v_cmp_lt_u32_e64 s[10:11], 3, v16
	v_cmp_lt_u32_e64 s[8:9], 7, v16
	v_and_b32_e32 v16, 16, v50
	v_cmp_eq_u32_e64 s[6:7], 0, v16
	v_or_b32_e32 v16, 63, v0
	v_cmp_lt_u32_e64 s[2:3], 31, v50
	v_cmp_eq_u32_e64 s[4:5], v16, v0
	s_barrier
	s_cbranch_scc0 .LBB475_119
; %bb.93:
	v_mov_b32_dpp v16, v52 row_shr:1 row_mask:0xf bank_mask:0xf
	v_cndmask_b32_e64 v16, v16, 0, s[14:15]
	v_add_u32_e32 v16, v16, v52
	s_nop 1
	v_mov_b32_dpp v17, v16 row_shr:2 row_mask:0xf bank_mask:0xf
	v_cndmask_b32_e64 v17, 0, v17, s[12:13]
	v_add_u32_e32 v16, v16, v17
	s_nop 1
	;; [unrolled: 4-line block ×4, first 2 shown]
	v_mov_b32_dpp v17, v16 row_bcast:15 row_mask:0xf bank_mask:0xf
	v_cndmask_b32_e64 v17, v17, 0, s[6:7]
	v_add_u32_e32 v16, v16, v17
	s_nop 1
	v_mov_b32_dpp v17, v16 row_bcast:31 row_mask:0xf bank_mask:0xf
	v_cndmask_b32_e64 v17, 0, v17, s[2:3]
	v_add_u32_e32 v16, v16, v17
	s_and_saveexec_b64 s[16:17], s[4:5]
	s_cbranch_execz .LBB475_95
; %bb.94:
	v_lshlrev_b32_e32 v17, 2, v51
	ds_write_b32 v17, v16
.LBB475_95:
	s_or_b64 exec, exec, s[16:17]
	v_cmp_gt_u32_e32 vcc, 4, v0
	s_waitcnt lgkmcnt(0)
	s_barrier
	s_and_saveexec_b64 s[16:17], vcc
	s_cbranch_execz .LBB475_97
; %bb.96:
	v_lshlrev_b32_e32 v17, 2, v0
	ds_read_b32 v22, v17
	v_and_b32_e32 v23, 3, v50
	v_cmp_ne_u32_e32 vcc, 0, v23
	s_waitcnt lgkmcnt(0)
	v_mov_b32_dpp v24, v22 row_shr:1 row_mask:0xf bank_mask:0xf
	v_cndmask_b32_e32 v24, 0, v24, vcc
	v_add_u32_e32 v22, v24, v22
	v_cmp_lt_u32_e32 vcc, 1, v23
	s_nop 0
	v_mov_b32_dpp v24, v22 row_shr:2 row_mask:0xf bank_mask:0xf
	v_cndmask_b32_e32 v23, 0, v24, vcc
	v_add_u32_e32 v22, v22, v23
	ds_write_b32 v17, v22
.LBB475_97:
	s_or_b64 exec, exec, s[16:17]
	v_cmp_gt_u32_e32 vcc, 64, v0
	v_cmp_lt_u32_e64 s[16:17], 63, v0
	s_waitcnt lgkmcnt(0)
	s_barrier
	s_waitcnt lgkmcnt(0)
                                        ; implicit-def: $vgpr53
	s_and_saveexec_b64 s[34:35], s[16:17]
	s_cbranch_execz .LBB475_99
; %bb.98:
	v_lshl_add_u32 v17, v51, 2, -4
	ds_read_b32 v53, v17
	s_waitcnt lgkmcnt(0)
	v_add_u32_e32 v16, v53, v16
.LBB475_99:
	s_or_b64 exec, exec, s[34:35]
	v_add_u32_e32 v17, -1, v50
	v_and_b32_e32 v22, 64, v50
	v_cmp_lt_i32_e64 s[16:17], v17, v22
	v_cndmask_b32_e64 v17, v17, v50, s[16:17]
	v_lshlrev_b32_e32 v17, 2, v17
	ds_bpermute_b32 v54, v17, v16
	v_cmp_eq_u32_e64 s[16:17], 0, v50
	s_and_saveexec_b64 s[34:35], vcc
	s_cbranch_execz .LBB475_118
; %bb.100:
	v_mov_b32_e32 v27, 0
	ds_read_b32 v16, v27 offset:12
	s_and_saveexec_b64 s[36:37], s[16:17]
	s_cbranch_execz .LBB475_102
; %bb.101:
	s_add_i32 s38, s40, 64
	s_mov_b32 s39, 0
	s_lshl_b64 s[38:39], s[38:39], 3
	s_add_u32 s38, s30, s38
	v_mov_b32_e32 v17, 1
	s_addc_u32 s39, s31, s39
	s_waitcnt lgkmcnt(0)
	global_store_dwordx2 v27, v[16:17], s[38:39]
.LBB475_102:
	s_or_b64 exec, exec, s[36:37]
	v_xad_u32 v22, v50, -1, s40
	v_add_u32_e32 v26, 64, v22
	v_lshlrev_b64 v[24:25], 3, v[26:27]
	v_mov_b32_e32 v17, s31
	v_add_co_u32_e32 v28, vcc, s30, v24
	v_addc_co_u32_e32 v29, vcc, v17, v25, vcc
	global_load_dwordx2 v[24:25], v[28:29], off glc
	s_waitcnt vmcnt(0)
	v_cmp_eq_u16_sdwa s[38:39], v25, v27 src0_sel:BYTE_0 src1_sel:DWORD
	s_and_saveexec_b64 s[36:37], s[38:39]
	s_cbranch_execz .LBB475_106
; %bb.103:
	s_mov_b64 s[38:39], 0
	v_mov_b32_e32 v17, 0
.LBB475_104:                            ; =>This Inner Loop Header: Depth=1
	global_load_dwordx2 v[24:25], v[28:29], off glc
	s_waitcnt vmcnt(0)
	v_cmp_ne_u16_sdwa s[42:43], v25, v17 src0_sel:BYTE_0 src1_sel:DWORD
	s_or_b64 s[38:39], s[42:43], s[38:39]
	s_andn2_b64 exec, exec, s[38:39]
	s_cbranch_execnz .LBB475_104
; %bb.105:
	s_or_b64 exec, exec, s[38:39]
.LBB475_106:
	s_or_b64 exec, exec, s[36:37]
	v_and_b32_e32 v56, 63, v50
	v_mov_b32_e32 v55, 2
	v_cmp_ne_u32_e32 vcc, 63, v56
	v_cmp_eq_u16_sdwa s[36:37], v25, v55 src0_sel:BYTE_0 src1_sel:DWORD
	v_lshlrev_b64 v[26:27], v50, -1
	v_addc_co_u32_e32 v28, vcc, 0, v50, vcc
	v_and_b32_e32 v17, s37, v27
	v_lshlrev_b32_e32 v57, 2, v28
	v_or_b32_e32 v17, 0x80000000, v17
	ds_bpermute_b32 v28, v57, v24
	v_and_b32_e32 v23, s36, v26
	v_ffbl_b32_e32 v17, v17
	v_add_u32_e32 v17, 32, v17
	v_ffbl_b32_e32 v23, v23
	v_min_u32_e32 v17, v23, v17
	v_cmp_lt_u32_e32 vcc, v56, v17
	s_waitcnt lgkmcnt(0)
	v_cndmask_b32_e32 v23, 0, v28, vcc
	v_cmp_gt_u32_e32 vcc, 62, v56
	v_add_u32_e32 v23, v23, v24
	v_cndmask_b32_e64 v24, 0, 1, vcc
	v_lshlrev_b32_e32 v24, 1, v24
	v_add_lshl_u32 v58, v24, v50, 2
	ds_bpermute_b32 v24, v58, v23
	v_add_u32_e32 v59, 2, v56
	v_cmp_le_u32_e32 vcc, v59, v17
	v_add_u32_e32 v61, 4, v56
	v_add_u32_e32 v63, 8, v56
	s_waitcnt lgkmcnt(0)
	v_cndmask_b32_e32 v24, 0, v24, vcc
	v_cmp_gt_u32_e32 vcc, 60, v56
	v_add_u32_e32 v23, v23, v24
	v_cndmask_b32_e64 v24, 0, 1, vcc
	v_lshlrev_b32_e32 v24, 2, v24
	v_add_lshl_u32 v60, v24, v50, 2
	ds_bpermute_b32 v24, v60, v23
	v_cmp_le_u32_e32 vcc, v61, v17
	v_add_u32_e32 v65, 16, v56
	v_add_u32_e32 v67, 32, v56
	s_waitcnt lgkmcnt(0)
	v_cndmask_b32_e32 v24, 0, v24, vcc
	v_cmp_gt_u32_e32 vcc, 56, v56
	v_add_u32_e32 v23, v23, v24
	v_cndmask_b32_e64 v24, 0, 1, vcc
	v_lshlrev_b32_e32 v24, 3, v24
	v_add_lshl_u32 v62, v24, v50, 2
	ds_bpermute_b32 v24, v62, v23
	v_cmp_le_u32_e32 vcc, v63, v17
	s_waitcnt lgkmcnt(0)
	v_cndmask_b32_e32 v24, 0, v24, vcc
	v_cmp_gt_u32_e32 vcc, 48, v56
	v_add_u32_e32 v23, v23, v24
	v_cndmask_b32_e64 v24, 0, 1, vcc
	v_lshlrev_b32_e32 v24, 4, v24
	v_add_lshl_u32 v64, v24, v50, 2
	ds_bpermute_b32 v24, v64, v23
	v_cmp_le_u32_e32 vcc, v65, v17
	;; [unrolled: 9-line block ×3, first 2 shown]
	s_waitcnt lgkmcnt(0)
	v_cndmask_b32_e32 v17, 0, v24, vcc
	v_add_u32_e32 v24, v23, v17
	v_mov_b32_e32 v23, 0
	s_branch .LBB475_108
.LBB475_107:                            ;   in Loop: Header=BB475_108 Depth=1
	s_or_b64 exec, exec, s[36:37]
	v_cmp_eq_u16_sdwa s[36:37], v25, v55 src0_sel:BYTE_0 src1_sel:DWORD
	v_and_b32_e32 v28, s37, v27
	v_or_b32_e32 v28, 0x80000000, v28
	ds_bpermute_b32 v68, v57, v24
	v_and_b32_e32 v29, s36, v26
	v_ffbl_b32_e32 v28, v28
	v_add_u32_e32 v28, 32, v28
	v_ffbl_b32_e32 v29, v29
	v_min_u32_e32 v28, v29, v28
	v_cmp_lt_u32_e32 vcc, v56, v28
	s_waitcnt lgkmcnt(0)
	v_cndmask_b32_e32 v29, 0, v68, vcc
	v_add_u32_e32 v24, v29, v24
	ds_bpermute_b32 v29, v58, v24
	v_cmp_le_u32_e32 vcc, v59, v28
	v_subrev_u32_e32 v22, 64, v22
	s_waitcnt lgkmcnt(0)
	v_cndmask_b32_e32 v29, 0, v29, vcc
	v_add_u32_e32 v24, v24, v29
	ds_bpermute_b32 v29, v60, v24
	v_cmp_le_u32_e32 vcc, v61, v28
	s_waitcnt lgkmcnt(0)
	v_cndmask_b32_e32 v29, 0, v29, vcc
	v_add_u32_e32 v24, v24, v29
	ds_bpermute_b32 v29, v62, v24
	v_cmp_le_u32_e32 vcc, v63, v28
	s_waitcnt lgkmcnt(0)
	v_cndmask_b32_e32 v29, 0, v29, vcc
	v_add_u32_e32 v24, v24, v29
	ds_bpermute_b32 v29, v64, v24
	v_cmp_le_u32_e32 vcc, v65, v28
	s_waitcnt lgkmcnt(0)
	v_cndmask_b32_e32 v29, 0, v29, vcc
	v_add_u32_e32 v24, v24, v29
	ds_bpermute_b32 v29, v66, v24
	v_cmp_le_u32_e32 vcc, v67, v28
	s_waitcnt lgkmcnt(0)
	v_cndmask_b32_e32 v28, 0, v29, vcc
	v_add3_u32 v24, v28, v17, v24
.LBB475_108:                            ; =>This Loop Header: Depth=1
                                        ;     Child Loop BB475_111 Depth 2
	v_cmp_ne_u16_sdwa s[36:37], v25, v55 src0_sel:BYTE_0 src1_sel:DWORD
	v_cndmask_b32_e64 v17, 0, 1, s[36:37]
	;;#ASMSTART
	;;#ASMEND
	v_cmp_ne_u32_e32 vcc, 0, v17
	s_cmp_lg_u64 vcc, exec
	v_mov_b32_e32 v17, v24
	s_cbranch_scc1 .LBB475_113
; %bb.109:                              ;   in Loop: Header=BB475_108 Depth=1
	v_lshlrev_b64 v[24:25], 3, v[22:23]
	v_mov_b32_e32 v29, s31
	v_add_co_u32_e32 v28, vcc, s30, v24
	v_addc_co_u32_e32 v29, vcc, v29, v25, vcc
	global_load_dwordx2 v[24:25], v[28:29], off glc
	s_waitcnt vmcnt(0)
	v_cmp_eq_u16_sdwa s[38:39], v25, v23 src0_sel:BYTE_0 src1_sel:DWORD
	s_and_saveexec_b64 s[36:37], s[38:39]
	s_cbranch_execz .LBB475_107
; %bb.110:                              ;   in Loop: Header=BB475_108 Depth=1
	s_mov_b64 s[38:39], 0
.LBB475_111:                            ;   Parent Loop BB475_108 Depth=1
                                        ; =>  This Inner Loop Header: Depth=2
	global_load_dwordx2 v[24:25], v[28:29], off glc
	s_waitcnt vmcnt(0)
	v_cmp_ne_u16_sdwa s[42:43], v25, v23 src0_sel:BYTE_0 src1_sel:DWORD
	s_or_b64 s[38:39], s[42:43], s[38:39]
	s_andn2_b64 exec, exec, s[38:39]
	s_cbranch_execnz .LBB475_111
; %bb.112:                              ;   in Loop: Header=BB475_108 Depth=1
	s_or_b64 exec, exec, s[38:39]
	s_branch .LBB475_107
.LBB475_113:                            ;   in Loop: Header=BB475_108 Depth=1
                                        ; implicit-def: $vgpr24
                                        ; implicit-def: $vgpr25
	s_cbranch_execz .LBB475_108
; %bb.114:
	s_and_saveexec_b64 s[36:37], s[16:17]
	s_cbranch_execz .LBB475_116
; %bb.115:
	s_add_i32 s38, s40, 64
	s_mov_b32 s39, 0
	s_lshl_b64 s[38:39], s[38:39], 3
	s_add_u32 s38, s30, s38
	v_add_u32_e32 v22, v17, v16
	v_mov_b32_e32 v23, 2
	s_addc_u32 s39, s31, s39
	v_mov_b32_e32 v24, 0
	global_store_dwordx2 v24, v[22:23], s[38:39]
	ds_write_b64 v24, v[16:17] offset:10240
.LBB475_116:
	s_or_b64 exec, exec, s[36:37]
	s_and_b64 exec, exec, s[0:1]
	s_cbranch_execz .LBB475_118
; %bb.117:
	v_mov_b32_e32 v16, 0
	ds_write_b32 v16, v17 offset:12
.LBB475_118:
	s_or_b64 exec, exec, s[34:35]
	v_mov_b32_e32 v16, 0
	s_waitcnt lgkmcnt(0)
	s_barrier
	ds_read_b32 v22, v16 offset:12
	s_waitcnt lgkmcnt(0)
	s_barrier
	ds_read_b64 v[16:17], v16 offset:10240
	v_cndmask_b32_e64 v23, v54, v53, s[16:17]
	v_cndmask_b32_e64 v23, v23, 0, s[0:1]
	v_add_u32_e32 v26, v22, v23
	s_branch .LBB475_129
.LBB475_119:
                                        ; implicit-def: $vgpr17
                                        ; implicit-def: $vgpr26
	s_cbranch_execz .LBB475_129
; %bb.120:
	s_waitcnt lgkmcnt(0)
	v_mov_b32_dpp v16, v52 row_shr:1 row_mask:0xf bank_mask:0xf
	v_cndmask_b32_e64 v16, v16, 0, s[14:15]
	v_add_u32_e32 v16, v16, v52
	s_nop 1
	v_mov_b32_dpp v17, v16 row_shr:2 row_mask:0xf bank_mask:0xf
	v_cndmask_b32_e64 v17, 0, v17, s[12:13]
	v_add_u32_e32 v16, v16, v17
	s_nop 1
	v_mov_b32_dpp v17, v16 row_shr:4 row_mask:0xf bank_mask:0xf
	v_cndmask_b32_e64 v17, 0, v17, s[10:11]
	v_add_u32_e32 v16, v16, v17
	s_nop 1
	v_mov_b32_dpp v17, v16 row_shr:8 row_mask:0xf bank_mask:0xf
	v_cndmask_b32_e64 v17, 0, v17, s[8:9]
	v_add_u32_e32 v16, v16, v17
	s_nop 1
	v_mov_b32_dpp v17, v16 row_bcast:15 row_mask:0xf bank_mask:0xf
	v_cndmask_b32_e64 v17, v17, 0, s[6:7]
	v_add_u32_e32 v16, v16, v17
	s_nop 1
	v_mov_b32_dpp v17, v16 row_bcast:31 row_mask:0xf bank_mask:0xf
	v_cndmask_b32_e64 v17, 0, v17, s[2:3]
	v_add_u32_e32 v16, v16, v17
	s_and_saveexec_b64 s[2:3], s[4:5]
	s_cbranch_execz .LBB475_122
; %bb.121:
	v_lshlrev_b32_e32 v17, 2, v51
	ds_write_b32 v17, v16
.LBB475_122:
	s_or_b64 exec, exec, s[2:3]
	v_cmp_gt_u32_e32 vcc, 4, v0
	s_waitcnt lgkmcnt(0)
	s_barrier
	s_and_saveexec_b64 s[2:3], vcc
	s_cbranch_execz .LBB475_124
; %bb.123:
	v_lshlrev_b32_e32 v17, 2, v0
	ds_read_b32 v22, v17
	v_and_b32_e32 v23, 3, v50
	v_cmp_ne_u32_e32 vcc, 0, v23
	s_waitcnt lgkmcnt(0)
	v_mov_b32_dpp v24, v22 row_shr:1 row_mask:0xf bank_mask:0xf
	v_cndmask_b32_e32 v24, 0, v24, vcc
	v_add_u32_e32 v22, v24, v22
	v_cmp_lt_u32_e32 vcc, 1, v23
	s_nop 0
	v_mov_b32_dpp v24, v22 row_shr:2 row_mask:0xf bank_mask:0xf
	v_cndmask_b32_e32 v23, 0, v24, vcc
	v_add_u32_e32 v22, v22, v23
	ds_write_b32 v17, v22
.LBB475_124:
	s_or_b64 exec, exec, s[2:3]
	v_cmp_lt_u32_e32 vcc, 63, v0
	v_mov_b32_e32 v17, 0
	v_mov_b32_e32 v22, 0
	s_waitcnt lgkmcnt(0)
	s_barrier
	s_and_saveexec_b64 s[2:3], vcc
	s_cbranch_execz .LBB475_126
; %bb.125:
	v_lshl_add_u32 v22, v51, 2, -4
	ds_read_b32 v22, v22
.LBB475_126:
	s_or_b64 exec, exec, s[2:3]
	v_add_u32_e32 v23, -1, v50
	v_and_b32_e32 v24, 64, v50
	v_cmp_lt_i32_e32 vcc, v23, v24
	v_cndmask_b32_e32 v23, v23, v50, vcc
	s_waitcnt lgkmcnt(0)
	v_add_u32_e32 v16, v22, v16
	v_lshlrev_b32_e32 v23, 2, v23
	ds_bpermute_b32 v23, v23, v16
	ds_read_b32 v16, v17 offset:12
	s_and_saveexec_b64 s[2:3], s[0:1]
	s_cbranch_execz .LBB475_128
; %bb.127:
	v_mov_b32_e32 v24, 0
	v_mov_b32_e32 v17, 2
	s_waitcnt lgkmcnt(0)
	global_store_dwordx2 v24, v[16:17], s[30:31] offset:512
.LBB475_128:
	s_or_b64 exec, exec, s[2:3]
	v_cmp_eq_u32_e32 vcc, 0, v50
	s_waitcnt lgkmcnt(1)
	v_cndmask_b32_e32 v22, v23, v22, vcc
	v_mov_b32_e32 v17, 0
	v_cndmask_b32_e64 v26, v22, 0, s[0:1]
	s_waitcnt lgkmcnt(0)
	s_barrier
.LBB475_129:
	v_add_u32_sdwa v28, v26, v20 dst_sel:DWORD dst_unused:UNUSED_PAD src0_sel:DWORD src1_sel:BYTE_0
	s_waitcnt lgkmcnt(0)
	v_add_u32_e32 v31, v16, v31
	v_sub_u32_e32 v26, v26, v17
	v_and_b32_e32 v55, 1, v20
	v_sub_u32_e32 v54, v31, v26
	v_cmp_eq_u32_e32 vcc, 1, v55
	v_cndmask_b32_e32 v26, v54, v26, vcc
	v_lshlrev_b32_e32 v26, 1, v26
	v_lshrrev_b32_e32 v27, 8, v20
	ds_write_b16 v26, v6
	v_sub_u32_e32 v26, v28, v17
	v_add_u32_sdwa v29, v28, v20 dst_sel:DWORD dst_unused:UNUSED_PAD src0_sel:DWORD src1_sel:BYTE_1
	v_sub_u32_e32 v28, v31, v26
	v_and_b32_e32 v27, 1, v27
	v_add_u32_e32 v28, 1, v28
	v_cmp_eq_u32_e32 vcc, 1, v27
	v_cndmask_b32_e32 v26, v28, v26, vcc
	v_lshlrev_b32_e32 v26, 1, v26
	ds_write_b16_d16_hi v26, v6
	v_sub_u32_e32 v6, v29, v17
	v_mov_b32_e32 v27, 1
	v_sub_u32_e32 v26, v31, v6
	v_and_b32_sdwa v20, v27, v20 dst_sel:DWORD dst_unused:UNUSED_PAD src0_sel:DWORD src1_sel:WORD_1
	v_add_u32_e32 v26, 2, v26
	v_cmp_eq_u32_e32 vcc, 1, v20
	v_cndmask_b32_e32 v6, v26, v6, vcc
	v_add_u32_e32 v49, v29, v49
	v_lshlrev_b32_e32 v6, 1, v6
	ds_write_b16 v6, v7
	v_sub_u32_e32 v6, v49, v17
	v_sub_u32_e32 v20, v31, v6
	v_and_b32_e32 v26, 1, v37
	v_add_u32_e32 v20, 3, v20
	v_cmp_eq_u32_e32 vcc, 1, v26
	v_cndmask_b32_e32 v6, v20, v6, vcc
	v_add_u32_e32 v50, v49, v37
	v_lshlrev_b32_e32 v6, 1, v6
	ds_write_b16_d16_hi v6, v7
	v_sub_u32_e32 v6, v50, v17
	v_sub_u32_e32 v7, v31, v6
	v_and_b32_e32 v20, 1, v21
	v_add_u32_e32 v7, 4, v7
	v_cmp_eq_u32_e32 vcc, 1, v20
	v_cndmask_b32_e32 v6, v7, v6, vcc
	v_add_u32_e32 v46, v50, v46
	v_lshlrev_b32_e32 v6, 1, v6
	v_lshrrev_b32_e32 v25, 8, v21
	ds_write_b16 v6, v8
	v_sub_u32_e32 v6, v46, v17
	v_sub_u32_e32 v7, v31, v6
	v_and_b32_e32 v20, 1, v25
	v_add_u32_e32 v7, 5, v7
	v_cmp_eq_u32_e32 vcc, 1, v20
	v_cndmask_b32_e32 v6, v7, v6, vcc
	v_add_u32_e32 v47, v46, v47
	v_lshlrev_b32_e32 v6, 1, v6
	ds_write_b16_d16_hi v6, v8
	v_sub_u32_e32 v6, v47, v17
	v_sub_u32_e32 v7, v31, v6
	v_and_b32_sdwa v8, v27, v21 dst_sel:DWORD dst_unused:UNUSED_PAD src0_sel:DWORD src1_sel:WORD_1
	v_add_u32_e32 v7, 6, v7
	v_cmp_eq_u32_e32 vcc, 1, v8
	v_cndmask_b32_e32 v6, v7, v6, vcc
	v_add_u32_e32 v48, v47, v48
	v_lshlrev_b32_e32 v6, 1, v6
	ds_write_b16 v6, v9
	v_sub_u32_e32 v6, v48, v17
	v_sub_u32_e32 v7, v31, v6
	v_and_b32_e32 v8, 1, v36
	v_add_u32_e32 v7, 7, v7
	v_cmp_eq_u32_e32 vcc, 1, v8
	v_cndmask_b32_e32 v6, v7, v6, vcc
	v_add_u32_e32 v51, v48, v36
	v_lshlrev_b32_e32 v6, 1, v6
	ds_write_b16_d16_hi v6, v9
	v_sub_u32_e32 v6, v51, v17
	v_sub_u32_e32 v7, v31, v6
	v_and_b32_e32 v8, 1, v18
	v_add_u32_e32 v7, 8, v7
	v_cmp_eq_u32_e32 vcc, 1, v8
	v_cndmask_b32_e32 v6, v7, v6, vcc
	v_add_u32_e32 v43, v51, v43
	v_lshlrev_b32_e32 v6, 1, v6
	v_lshrrev_b32_e32 v24, 8, v18
	ds_write_b16 v6, v2
	v_sub_u32_e32 v6, v43, v17
	v_sub_u32_e32 v7, v31, v6
	v_and_b32_e32 v8, 1, v24
	v_add_u32_e32 v7, 9, v7
	v_cmp_eq_u32_e32 vcc, 1, v8
	v_cndmask_b32_e32 v6, v7, v6, vcc
	v_add_u32_e32 v44, v43, v44
	v_lshlrev_b32_e32 v6, 1, v6
	ds_write_b16_d16_hi v6, v2
	v_sub_u32_e32 v2, v44, v17
	;; [unrolled: 37-line block ×4, first 2 shown]
	v_sub_u32_e32 v3, v31, v2
	v_and_b32_sdwa v4, v27, v32 dst_sel:DWORD dst_unused:UNUSED_PAD src0_sel:DWORD src1_sel:WORD_1
	v_add_u32_e32 v3, 18, v3
	v_cmp_eq_u32_e32 vcc, 1, v4
	v_cndmask_b32_e32 v2, v3, v2, vcc
	v_lshlrev_b32_e32 v2, 1, v2
	ds_write_b16 v2, v15
	v_sub_u32_e32 v2, v33, v17
	v_add_u32_e32 v2, v39, v2
	v_sub_u32_e32 v3, v31, v2
	v_and_b32_e32 v1, 1, v1
	v_add_u32_e32 v3, 19, v3
	v_cmp_eq_u32_e32 vcc, 1, v1
	v_cndmask_b32_e32 v1, v3, v2, vcc
	v_lshlrev_b32_e32 v1, 1, v1
	s_waitcnt vmcnt(0)
	v_add_co_u32_e32 v10, vcc, v10, v17
	ds_write_b16_d16_hi v1, v15
	s_waitcnt lgkmcnt(0)
	s_barrier
	ds_read_u16 v51, v30
	ds_read_u16 v50, v30 offset:512
	ds_read_u16 v48, v30 offset:1024
	;; [unrolled: 1-line block ×15, first 2 shown]
	v_addc_co_u32_e32 v11, vcc, 0, v11, vcc
	v_add_co_u32_e32 v2, vcc, v10, v16
	v_addc_co_u32_e32 v3, vcc, 0, v11, vcc
	v_mov_b32_e32 v7, s19
	v_sub_co_u32_e32 v8, vcc, s18, v2
	ds_read_u16 v19, v30 offset:8192
	ds_read_u16 v15, v30 offset:8704
	;; [unrolled: 1-line block ×4, first 2 shown]
	v_subb_co_u32_e32 v9, vcc, v7, v3, vcc
	v_lshlrev_b64 v[8:9], 1, v[8:9]
	v_mov_b32_e32 v7, s27
	v_add_co_u32_e32 v8, vcc, s26, v8
	v_addc_co_u32_e32 v9, vcc, v7, v9, vcc
	v_add_co_u32_e32 v7, vcc, v8, v12
	v_lshlrev_b64 v[10:11], 1, v[10:11]
	v_addc_co_u32_e32 v8, vcc, v9, v13, vcc
	v_mov_b32_e32 v12, s25
	v_add_co_u32_e64 v9, s[2:3], s24, v10
	v_or_b32_e32 v49, 0x100, v0
	v_or_b32_e32 v47, 0x200, v0
	v_or_b32_e32 v45, 0x300, v0
	v_or_b32_e32 v43, 0x400, v0
	v_or_b32_e32 v41, 0x500, v0
	v_or_b32_e32 v39, 0x600, v0
	v_or_b32_e32 v37, 0x700, v0
	v_or_b32_e32 v35, 0x800, v0
	v_or_b32_e32 v33, 0x900, v0
	v_or_b32_e32 v31, 0xa00, v0
	v_or_b32_e32 v28, 0xb00, v0
	v_or_b32_e32 v26, 0xc00, v0
	v_or_b32_e32 v24, 0xd00, v0
	v_or_b32_e32 v22, 0xe00, v0
	v_or_b32_e32 v20, 0xf00, v0
	v_or_b32_e32 v18, 0x1000, v0
	v_or_b32_e32 v14, 0x1100, v0
	v_or_b32_e32 v6, 0x1200, v0
	v_or_b32_e32 v4, 0x1300, v0
	s_andn2_b64 vcc, exec, s[28:29]
	v_addc_co_u32_e64 v10, s[2:3], v12, v11, s[2:3]
	s_cbranch_vccnz .LBB475_131
; %bb.130:
	v_cmp_lt_u32_e32 vcc, v0, v16
	v_cndmask_b32_e32 v12, v7, v9, vcc
	v_cndmask_b32_e32 v11, v8, v10, vcc
	v_add_co_u32_e32 v12, vcc, v12, v30
	v_addc_co_u32_e32 v13, vcc, 0, v11, vcc
	v_cmp_lt_u32_e32 vcc, v49, v16
	s_waitcnt lgkmcnt(14)
	global_store_short v[12:13], v51, off
	v_cndmask_b32_e32 v12, v7, v9, vcc
	v_cndmask_b32_e32 v11, v8, v10, vcc
	v_add_co_u32_e32 v12, vcc, v12, v30
	v_addc_co_u32_e32 v13, vcc, 0, v11, vcc
	v_cmp_lt_u32_e32 vcc, v47, v16
	global_store_short v[12:13], v50, off offset:512
	v_cndmask_b32_e32 v12, v7, v9, vcc
	v_cndmask_b32_e32 v11, v8, v10, vcc
	v_add_co_u32_e32 v12, vcc, v12, v30
	v_addc_co_u32_e32 v13, vcc, 0, v11, vcc
	v_cmp_lt_u32_e32 vcc, v45, v16
	global_store_short v[12:13], v48, off offset:1024
	;; [unrolled: 6-line block ×5, first 2 shown]
	v_cndmask_b32_e32 v12, v7, v9, vcc
	v_cndmask_b32_e32 v11, v8, v10, vcc
	v_add_co_u32_e32 v12, vcc, v12, v30
	v_addc_co_u32_e32 v13, vcc, 0, v11, vcc
	v_cmp_lt_u32_e32 vcc, v37, v16
	s_waitcnt lgkmcnt(13)
	global_store_short v[12:13], v40, off offset:3072
	v_cndmask_b32_e32 v12, v7, v9, vcc
	v_cndmask_b32_e32 v11, v8, v10, vcc
	v_add_co_u32_e32 v12, vcc, v12, v30
	v_addc_co_u32_e32 v13, vcc, 0, v11, vcc
	v_cmp_lt_u32_e32 vcc, v35, v16
	s_waitcnt lgkmcnt(12)
	global_store_short v[12:13], v38, off offset:3584
	v_cndmask_b32_e32 v12, v7, v9, vcc
	v_lshlrev_b32_e32 v13, 1, v35
	v_cndmask_b32_e32 v11, v8, v10, vcc
	v_add_co_u32_e32 v12, vcc, v12, v13
	v_addc_co_u32_e32 v13, vcc, 0, v11, vcc
	v_cmp_lt_u32_e32 vcc, v33, v16
	s_waitcnt lgkmcnt(11)
	global_store_short v[12:13], v36, off
	v_cndmask_b32_e32 v12, v7, v9, vcc
	v_lshlrev_b32_e32 v13, 1, v33
	v_cndmask_b32_e32 v11, v8, v10, vcc
	v_add_co_u32_e32 v12, vcc, v12, v13
	v_addc_co_u32_e32 v13, vcc, 0, v11, vcc
	v_cmp_lt_u32_e32 vcc, v31, v16
	s_waitcnt lgkmcnt(10)
	global_store_short v[12:13], v34, off
	;; [unrolled: 8-line block ×10, first 2 shown]
	v_cndmask_b32_e32 v12, v7, v9, vcc
	v_lshlrev_b32_e32 v13, 1, v6
	v_cndmask_b32_e32 v11, v8, v10, vcc
	v_add_co_u32_e32 v12, vcc, v12, v13
	v_addc_co_u32_e32 v13, vcc, 0, v11, vcc
	s_mov_b64 s[2:3], -1
	s_waitcnt lgkmcnt(1)
	global_store_short v[12:13], v5, off
	s_cbranch_execz .LBB475_132
	s_branch .LBB475_153
.LBB475_131:
	s_mov_b64 s[2:3], 0
.LBB475_132:
	v_cmp_gt_u32_e32 vcc, s33, v0
	s_and_saveexec_b64 s[2:3], vcc
	s_cbranch_execnz .LBB475_158
; %bb.133:
	s_or_b64 exec, exec, s[2:3]
	v_cmp_gt_u32_e32 vcc, s33, v49
	s_and_saveexec_b64 s[2:3], vcc
	s_cbranch_execnz .LBB475_159
.LBB475_134:
	s_or_b64 exec, exec, s[2:3]
	v_cmp_gt_u32_e32 vcc, s33, v47
	s_and_saveexec_b64 s[2:3], vcc
	s_cbranch_execnz .LBB475_160
.LBB475_135:
	s_or_b64 exec, exec, s[2:3]
	v_cmp_gt_u32_e32 vcc, s33, v45
	s_and_saveexec_b64 s[2:3], vcc
	s_cbranch_execnz .LBB475_161
.LBB475_136:
	s_or_b64 exec, exec, s[2:3]
	v_cmp_gt_u32_e32 vcc, s33, v43
	s_and_saveexec_b64 s[2:3], vcc
	s_cbranch_execnz .LBB475_162
.LBB475_137:
	s_or_b64 exec, exec, s[2:3]
	v_cmp_gt_u32_e32 vcc, s33, v41
	s_and_saveexec_b64 s[2:3], vcc
	s_cbranch_execnz .LBB475_163
.LBB475_138:
	s_or_b64 exec, exec, s[2:3]
	v_cmp_gt_u32_e32 vcc, s33, v39
	s_and_saveexec_b64 s[2:3], vcc
	s_cbranch_execnz .LBB475_164
.LBB475_139:
	s_or_b64 exec, exec, s[2:3]
	v_cmp_gt_u32_e32 vcc, s33, v37
	s_and_saveexec_b64 s[2:3], vcc
	s_cbranch_execnz .LBB475_165
.LBB475_140:
	s_or_b64 exec, exec, s[2:3]
	v_cmp_gt_u32_e32 vcc, s33, v35
	s_and_saveexec_b64 s[2:3], vcc
	s_cbranch_execnz .LBB475_166
.LBB475_141:
	s_or_b64 exec, exec, s[2:3]
	v_cmp_gt_u32_e32 vcc, s33, v33
	s_and_saveexec_b64 s[2:3], vcc
	s_cbranch_execnz .LBB475_167
.LBB475_142:
	s_or_b64 exec, exec, s[2:3]
	v_cmp_gt_u32_e32 vcc, s33, v31
	s_and_saveexec_b64 s[2:3], vcc
	s_cbranch_execnz .LBB475_168
.LBB475_143:
	s_or_b64 exec, exec, s[2:3]
	v_cmp_gt_u32_e32 vcc, s33, v28
	s_and_saveexec_b64 s[2:3], vcc
	s_cbranch_execnz .LBB475_169
.LBB475_144:
	s_or_b64 exec, exec, s[2:3]
	v_cmp_gt_u32_e32 vcc, s33, v26
	s_and_saveexec_b64 s[2:3], vcc
	s_cbranch_execnz .LBB475_170
.LBB475_145:
	s_or_b64 exec, exec, s[2:3]
	v_cmp_gt_u32_e32 vcc, s33, v24
	s_and_saveexec_b64 s[2:3], vcc
	s_cbranch_execnz .LBB475_171
.LBB475_146:
	s_or_b64 exec, exec, s[2:3]
	v_cmp_gt_u32_e32 vcc, s33, v22
	s_and_saveexec_b64 s[2:3], vcc
	s_cbranch_execnz .LBB475_172
.LBB475_147:
	s_or_b64 exec, exec, s[2:3]
	v_cmp_gt_u32_e32 vcc, s33, v20
	s_and_saveexec_b64 s[2:3], vcc
	s_cbranch_execnz .LBB475_173
.LBB475_148:
	s_or_b64 exec, exec, s[2:3]
	v_cmp_gt_u32_e32 vcc, s33, v18
	s_and_saveexec_b64 s[2:3], vcc
	s_cbranch_execnz .LBB475_174
.LBB475_149:
	s_or_b64 exec, exec, s[2:3]
	v_cmp_gt_u32_e32 vcc, s33, v14
	s_and_saveexec_b64 s[2:3], vcc
	s_cbranch_execnz .LBB475_175
.LBB475_150:
	s_or_b64 exec, exec, s[2:3]
	v_cmp_gt_u32_e32 vcc, s33, v6
	s_and_saveexec_b64 s[2:3], vcc
	s_cbranch_execz .LBB475_152
.LBB475_151:
	v_cmp_lt_u32_e32 vcc, v6, v16
	v_cndmask_b32_e32 v11, v7, v9, vcc
	v_lshlrev_b32_e32 v6, 1, v6
	v_cndmask_b32_e32 v0, v8, v10, vcc
	v_add_co_u32_e32 v12, vcc, v11, v6
	v_addc_co_u32_e32 v13, vcc, 0, v0, vcc
	s_waitcnt lgkmcnt(1)
	global_store_short v[12:13], v5, off
.LBB475_152:
	s_or_b64 exec, exec, s[2:3]
	v_cmp_gt_u32_e64 s[2:3], s33, v4
.LBB475_153:
	s_and_saveexec_b64 s[4:5], s[2:3]
	s_cbranch_execnz .LBB475_156
; %bb.154:
	s_or_b64 exec, exec, s[4:5]
	s_and_b64 s[0:1], s[0:1], s[22:23]
	s_and_saveexec_b64 s[2:3], s[0:1]
	s_cbranch_execnz .LBB475_157
.LBB475_155:
	s_endpgm
.LBB475_156:
	v_cmp_lt_u32_e32 vcc, v4, v16
	s_waitcnt lgkmcnt(1)
	v_cndmask_b32_e32 v5, v7, v9, vcc
	v_lshlrev_b32_e32 v4, 1, v4
	v_cndmask_b32_e32 v0, v8, v10, vcc
	v_add_co_u32_e32 v4, vcc, v5, v4
	v_addc_co_u32_e32 v5, vcc, 0, v0, vcc
	s_waitcnt lgkmcnt(0)
	global_store_short v[4:5], v1, off
	s_or_b64 exec, exec, s[4:5]
	s_and_b64 s[0:1], s[0:1], s[22:23]
	s_and_saveexec_b64 s[2:3], s[0:1]
	s_cbranch_execz .LBB475_155
.LBB475_157:
	v_mov_b32_e32 v0, 0
	global_store_dwordx2 v0, v[2:3], s[20:21]
	s_endpgm
.LBB475_158:
	v_cmp_lt_u32_e32 vcc, v0, v16
	v_cndmask_b32_e32 v11, v7, v9, vcc
	v_cndmask_b32_e32 v0, v8, v10, vcc
	v_add_co_u32_e32 v12, vcc, v11, v30
	v_addc_co_u32_e32 v13, vcc, 0, v0, vcc
	s_waitcnt lgkmcnt(14)
	global_store_short v[12:13], v51, off
	s_or_b64 exec, exec, s[2:3]
	v_cmp_gt_u32_e32 vcc, s33, v49
	s_and_saveexec_b64 s[2:3], vcc
	s_cbranch_execz .LBB475_134
.LBB475_159:
	v_cmp_lt_u32_e32 vcc, v49, v16
	v_cndmask_b32_e32 v11, v7, v9, vcc
	v_cndmask_b32_e32 v0, v8, v10, vcc
	v_add_co_u32_e32 v12, vcc, v11, v30
	v_addc_co_u32_e32 v13, vcc, 0, v0, vcc
	s_waitcnt lgkmcnt(14)
	global_store_short v[12:13], v50, off offset:512
	s_or_b64 exec, exec, s[2:3]
	v_cmp_gt_u32_e32 vcc, s33, v47
	s_and_saveexec_b64 s[2:3], vcc
	s_cbranch_execz .LBB475_135
.LBB475_160:
	v_cmp_lt_u32_e32 vcc, v47, v16
	v_cndmask_b32_e32 v11, v7, v9, vcc
	v_cndmask_b32_e32 v0, v8, v10, vcc
	v_add_co_u32_e32 v12, vcc, v11, v30
	v_addc_co_u32_e32 v13, vcc, 0, v0, vcc
	s_waitcnt lgkmcnt(14)
	global_store_short v[12:13], v48, off offset:1024
	s_or_b64 exec, exec, s[2:3]
	v_cmp_gt_u32_e32 vcc, s33, v45
	s_and_saveexec_b64 s[2:3], vcc
	s_cbranch_execz .LBB475_136
.LBB475_161:
	v_cmp_lt_u32_e32 vcc, v45, v16
	v_cndmask_b32_e32 v11, v7, v9, vcc
	v_cndmask_b32_e32 v0, v8, v10, vcc
	v_add_co_u32_e32 v12, vcc, v11, v30
	v_addc_co_u32_e32 v13, vcc, 0, v0, vcc
	s_waitcnt lgkmcnt(14)
	global_store_short v[12:13], v46, off offset:1536
	s_or_b64 exec, exec, s[2:3]
	v_cmp_gt_u32_e32 vcc, s33, v43
	s_and_saveexec_b64 s[2:3], vcc
	s_cbranch_execz .LBB475_137
.LBB475_162:
	v_cmp_lt_u32_e32 vcc, v43, v16
	v_cndmask_b32_e32 v11, v7, v9, vcc
	v_cndmask_b32_e32 v0, v8, v10, vcc
	v_add_co_u32_e32 v12, vcc, v11, v30
	v_addc_co_u32_e32 v13, vcc, 0, v0, vcc
	s_waitcnt lgkmcnt(14)
	global_store_short v[12:13], v44, off offset:2048
	s_or_b64 exec, exec, s[2:3]
	v_cmp_gt_u32_e32 vcc, s33, v41
	s_and_saveexec_b64 s[2:3], vcc
	s_cbranch_execz .LBB475_138
.LBB475_163:
	v_cmp_lt_u32_e32 vcc, v41, v16
	v_cndmask_b32_e32 v11, v7, v9, vcc
	v_cndmask_b32_e32 v0, v8, v10, vcc
	v_add_co_u32_e32 v12, vcc, v11, v30
	v_addc_co_u32_e32 v13, vcc, 0, v0, vcc
	s_waitcnt lgkmcnt(14)
	global_store_short v[12:13], v42, off offset:2560
	s_or_b64 exec, exec, s[2:3]
	v_cmp_gt_u32_e32 vcc, s33, v39
	s_and_saveexec_b64 s[2:3], vcc
	s_cbranch_execz .LBB475_139
.LBB475_164:
	v_cmp_lt_u32_e32 vcc, v39, v16
	v_cndmask_b32_e32 v11, v7, v9, vcc
	v_cndmask_b32_e32 v0, v8, v10, vcc
	v_add_co_u32_e32 v12, vcc, v11, v30
	v_addc_co_u32_e32 v13, vcc, 0, v0, vcc
	s_waitcnt lgkmcnt(13)
	global_store_short v[12:13], v40, off offset:3072
	s_or_b64 exec, exec, s[2:3]
	v_cmp_gt_u32_e32 vcc, s33, v37
	s_and_saveexec_b64 s[2:3], vcc
	s_cbranch_execz .LBB475_140
.LBB475_165:
	v_cmp_lt_u32_e32 vcc, v37, v16
	v_cndmask_b32_e32 v11, v7, v9, vcc
	v_cndmask_b32_e32 v0, v8, v10, vcc
	v_add_co_u32_e32 v12, vcc, v11, v30
	v_addc_co_u32_e32 v13, vcc, 0, v0, vcc
	s_waitcnt lgkmcnt(12)
	global_store_short v[12:13], v38, off offset:3584
	s_or_b64 exec, exec, s[2:3]
	v_cmp_gt_u32_e32 vcc, s33, v35
	s_and_saveexec_b64 s[2:3], vcc
	s_cbranch_execz .LBB475_141
.LBB475_166:
	v_cmp_lt_u32_e32 vcc, v35, v16
	v_cndmask_b32_e32 v11, v7, v9, vcc
	v_lshlrev_b32_e32 v12, 1, v35
	v_cndmask_b32_e32 v0, v8, v10, vcc
	v_add_co_u32_e32 v12, vcc, v11, v12
	v_addc_co_u32_e32 v13, vcc, 0, v0, vcc
	s_waitcnt lgkmcnt(11)
	global_store_short v[12:13], v36, off
	s_or_b64 exec, exec, s[2:3]
	v_cmp_gt_u32_e32 vcc, s33, v33
	s_and_saveexec_b64 s[2:3], vcc
	s_cbranch_execz .LBB475_142
.LBB475_167:
	v_cmp_lt_u32_e32 vcc, v33, v16
	v_cndmask_b32_e32 v11, v7, v9, vcc
	v_lshlrev_b32_e32 v12, 1, v33
	v_cndmask_b32_e32 v0, v8, v10, vcc
	v_add_co_u32_e32 v12, vcc, v11, v12
	v_addc_co_u32_e32 v13, vcc, 0, v0, vcc
	s_waitcnt lgkmcnt(10)
	global_store_short v[12:13], v34, off
	s_or_b64 exec, exec, s[2:3]
	v_cmp_gt_u32_e32 vcc, s33, v31
	s_and_saveexec_b64 s[2:3], vcc
	s_cbranch_execz .LBB475_143
.LBB475_168:
	v_cmp_lt_u32_e32 vcc, v31, v16
	v_cndmask_b32_e32 v11, v7, v9, vcc
	v_lshlrev_b32_e32 v12, 1, v31
	v_cndmask_b32_e32 v0, v8, v10, vcc
	v_add_co_u32_e32 v12, vcc, v11, v12
	v_addc_co_u32_e32 v13, vcc, 0, v0, vcc
	s_waitcnt lgkmcnt(9)
	global_store_short v[12:13], v32, off
	s_or_b64 exec, exec, s[2:3]
	v_cmp_gt_u32_e32 vcc, s33, v28
	s_and_saveexec_b64 s[2:3], vcc
	s_cbranch_execz .LBB475_144
.LBB475_169:
	v_cmp_lt_u32_e32 vcc, v28, v16
	v_cndmask_b32_e32 v11, v7, v9, vcc
	v_lshlrev_b32_e32 v12, 1, v28
	v_cndmask_b32_e32 v0, v8, v10, vcc
	v_add_co_u32_e32 v12, vcc, v11, v12
	v_addc_co_u32_e32 v13, vcc, 0, v0, vcc
	s_waitcnt lgkmcnt(8)
	global_store_short v[12:13], v29, off
	s_or_b64 exec, exec, s[2:3]
	v_cmp_gt_u32_e32 vcc, s33, v26
	s_and_saveexec_b64 s[2:3], vcc
	s_cbranch_execz .LBB475_145
.LBB475_170:
	v_cmp_lt_u32_e32 vcc, v26, v16
	v_cndmask_b32_e32 v11, v7, v9, vcc
	v_lshlrev_b32_e32 v12, 1, v26
	v_cndmask_b32_e32 v0, v8, v10, vcc
	v_add_co_u32_e32 v12, vcc, v11, v12
	v_addc_co_u32_e32 v13, vcc, 0, v0, vcc
	s_waitcnt lgkmcnt(7)
	global_store_short v[12:13], v27, off
	s_or_b64 exec, exec, s[2:3]
	v_cmp_gt_u32_e32 vcc, s33, v24
	s_and_saveexec_b64 s[2:3], vcc
	s_cbranch_execz .LBB475_146
.LBB475_171:
	v_cmp_lt_u32_e32 vcc, v24, v16
	v_cndmask_b32_e32 v11, v7, v9, vcc
	v_lshlrev_b32_e32 v12, 1, v24
	v_cndmask_b32_e32 v0, v8, v10, vcc
	v_add_co_u32_e32 v12, vcc, v11, v12
	v_addc_co_u32_e32 v13, vcc, 0, v0, vcc
	s_waitcnt lgkmcnt(6)
	global_store_short v[12:13], v25, off
	s_or_b64 exec, exec, s[2:3]
	v_cmp_gt_u32_e32 vcc, s33, v22
	s_and_saveexec_b64 s[2:3], vcc
	s_cbranch_execz .LBB475_147
.LBB475_172:
	v_cmp_lt_u32_e32 vcc, v22, v16
	v_cndmask_b32_e32 v11, v7, v9, vcc
	v_lshlrev_b32_e32 v12, 1, v22
	v_cndmask_b32_e32 v0, v8, v10, vcc
	v_add_co_u32_e32 v12, vcc, v11, v12
	v_addc_co_u32_e32 v13, vcc, 0, v0, vcc
	s_waitcnt lgkmcnt(5)
	global_store_short v[12:13], v23, off
	s_or_b64 exec, exec, s[2:3]
	v_cmp_gt_u32_e32 vcc, s33, v20
	s_and_saveexec_b64 s[2:3], vcc
	s_cbranch_execz .LBB475_148
.LBB475_173:
	v_cmp_lt_u32_e32 vcc, v20, v16
	v_cndmask_b32_e32 v11, v7, v9, vcc
	v_lshlrev_b32_e32 v12, 1, v20
	v_cndmask_b32_e32 v0, v8, v10, vcc
	v_add_co_u32_e32 v12, vcc, v11, v12
	v_addc_co_u32_e32 v13, vcc, 0, v0, vcc
	s_waitcnt lgkmcnt(4)
	global_store_short v[12:13], v21, off
	s_or_b64 exec, exec, s[2:3]
	v_cmp_gt_u32_e32 vcc, s33, v18
	s_and_saveexec_b64 s[2:3], vcc
	s_cbranch_execz .LBB475_149
.LBB475_174:
	v_cmp_lt_u32_e32 vcc, v18, v16
	v_cndmask_b32_e32 v11, v7, v9, vcc
	v_lshlrev_b32_e32 v12, 1, v18
	v_cndmask_b32_e32 v0, v8, v10, vcc
	v_add_co_u32_e32 v12, vcc, v11, v12
	v_addc_co_u32_e32 v13, vcc, 0, v0, vcc
	s_waitcnt lgkmcnt(3)
	global_store_short v[12:13], v19, off
	s_or_b64 exec, exec, s[2:3]
	v_cmp_gt_u32_e32 vcc, s33, v14
	s_and_saveexec_b64 s[2:3], vcc
	s_cbranch_execz .LBB475_150
.LBB475_175:
	v_cmp_lt_u32_e32 vcc, v14, v16
	v_cndmask_b32_e32 v11, v7, v9, vcc
	v_lshlrev_b32_e32 v12, 1, v14
	v_cndmask_b32_e32 v0, v8, v10, vcc
	v_add_co_u32_e32 v12, vcc, v11, v12
	v_addc_co_u32_e32 v13, vcc, 0, v0, vcc
	s_waitcnt lgkmcnt(2)
	global_store_short v[12:13], v15, off
	s_or_b64 exec, exec, s[2:3]
	v_cmp_gt_u32_e32 vcc, s33, v6
	s_and_saveexec_b64 s[2:3], vcc
	s_cbranch_execnz .LBB475_151
	s_branch .LBB475_152
	.section	.rodata,"a",@progbits
	.p2align	6, 0x0
	.amdhsa_kernel _ZN7rocprim17ROCPRIM_400000_NS6detail17trampoline_kernelINS0_14default_configENS1_25partition_config_selectorILNS1_17partition_subalgoE1EsNS0_10empty_typeEbEEZZNS1_14partition_implILS5_1ELb0ES3_jN6thrust23THRUST_200600_302600_NS6detail15normal_iteratorINSA_10device_ptrIsEEEEPS6_NSA_18transform_iteratorI7is_evenIsESF_NSA_11use_defaultESK_EENS0_5tupleIJSF_SF_EEENSM_IJSG_SG_EEES6_PlJS6_EEE10hipError_tPvRmT3_T4_T5_T6_T7_T9_mT8_P12ihipStream_tbDpT10_ENKUlT_T0_E_clISt17integral_constantIbLb0EES18_IbLb1EEEEDaS14_S15_EUlS14_E_NS1_11comp_targetILNS1_3genE4ELNS1_11target_archE910ELNS1_3gpuE8ELNS1_3repE0EEENS1_30default_config_static_selectorELNS0_4arch9wavefront6targetE1EEEvT1_
		.amdhsa_group_segment_fixed_size 10248
		.amdhsa_private_segment_fixed_size 0
		.amdhsa_kernarg_size 144
		.amdhsa_user_sgpr_count 6
		.amdhsa_user_sgpr_private_segment_buffer 1
		.amdhsa_user_sgpr_dispatch_ptr 0
		.amdhsa_user_sgpr_queue_ptr 0
		.amdhsa_user_sgpr_kernarg_segment_ptr 1
		.amdhsa_user_sgpr_dispatch_id 0
		.amdhsa_user_sgpr_flat_scratch_init 0
		.amdhsa_user_sgpr_kernarg_preload_length 0
		.amdhsa_user_sgpr_kernarg_preload_offset 0
		.amdhsa_user_sgpr_private_segment_size 0
		.amdhsa_uses_dynamic_stack 0
		.amdhsa_system_sgpr_private_segment_wavefront_offset 0
		.amdhsa_system_sgpr_workgroup_id_x 1
		.amdhsa_system_sgpr_workgroup_id_y 0
		.amdhsa_system_sgpr_workgroup_id_z 0
		.amdhsa_system_sgpr_workgroup_info 0
		.amdhsa_system_vgpr_workitem_id 0
		.amdhsa_next_free_vgpr 69
		.amdhsa_next_free_sgpr 44
		.amdhsa_accum_offset 72
		.amdhsa_reserve_vcc 1
		.amdhsa_reserve_flat_scratch 0
		.amdhsa_float_round_mode_32 0
		.amdhsa_float_round_mode_16_64 0
		.amdhsa_float_denorm_mode_32 3
		.amdhsa_float_denorm_mode_16_64 3
		.amdhsa_dx10_clamp 1
		.amdhsa_ieee_mode 1
		.amdhsa_fp16_overflow 0
		.amdhsa_tg_split 0
		.amdhsa_exception_fp_ieee_invalid_op 0
		.amdhsa_exception_fp_denorm_src 0
		.amdhsa_exception_fp_ieee_div_zero 0
		.amdhsa_exception_fp_ieee_overflow 0
		.amdhsa_exception_fp_ieee_underflow 0
		.amdhsa_exception_fp_ieee_inexact 0
		.amdhsa_exception_int_div_zero 0
	.end_amdhsa_kernel
	.section	.text._ZN7rocprim17ROCPRIM_400000_NS6detail17trampoline_kernelINS0_14default_configENS1_25partition_config_selectorILNS1_17partition_subalgoE1EsNS0_10empty_typeEbEEZZNS1_14partition_implILS5_1ELb0ES3_jN6thrust23THRUST_200600_302600_NS6detail15normal_iteratorINSA_10device_ptrIsEEEEPS6_NSA_18transform_iteratorI7is_evenIsESF_NSA_11use_defaultESK_EENS0_5tupleIJSF_SF_EEENSM_IJSG_SG_EEES6_PlJS6_EEE10hipError_tPvRmT3_T4_T5_T6_T7_T9_mT8_P12ihipStream_tbDpT10_ENKUlT_T0_E_clISt17integral_constantIbLb0EES18_IbLb1EEEEDaS14_S15_EUlS14_E_NS1_11comp_targetILNS1_3genE4ELNS1_11target_archE910ELNS1_3gpuE8ELNS1_3repE0EEENS1_30default_config_static_selectorELNS0_4arch9wavefront6targetE1EEEvT1_,"axG",@progbits,_ZN7rocprim17ROCPRIM_400000_NS6detail17trampoline_kernelINS0_14default_configENS1_25partition_config_selectorILNS1_17partition_subalgoE1EsNS0_10empty_typeEbEEZZNS1_14partition_implILS5_1ELb0ES3_jN6thrust23THRUST_200600_302600_NS6detail15normal_iteratorINSA_10device_ptrIsEEEEPS6_NSA_18transform_iteratorI7is_evenIsESF_NSA_11use_defaultESK_EENS0_5tupleIJSF_SF_EEENSM_IJSG_SG_EEES6_PlJS6_EEE10hipError_tPvRmT3_T4_T5_T6_T7_T9_mT8_P12ihipStream_tbDpT10_ENKUlT_T0_E_clISt17integral_constantIbLb0EES18_IbLb1EEEEDaS14_S15_EUlS14_E_NS1_11comp_targetILNS1_3genE4ELNS1_11target_archE910ELNS1_3gpuE8ELNS1_3repE0EEENS1_30default_config_static_selectorELNS0_4arch9wavefront6targetE1EEEvT1_,comdat
.Lfunc_end475:
	.size	_ZN7rocprim17ROCPRIM_400000_NS6detail17trampoline_kernelINS0_14default_configENS1_25partition_config_selectorILNS1_17partition_subalgoE1EsNS0_10empty_typeEbEEZZNS1_14partition_implILS5_1ELb0ES3_jN6thrust23THRUST_200600_302600_NS6detail15normal_iteratorINSA_10device_ptrIsEEEEPS6_NSA_18transform_iteratorI7is_evenIsESF_NSA_11use_defaultESK_EENS0_5tupleIJSF_SF_EEENSM_IJSG_SG_EEES6_PlJS6_EEE10hipError_tPvRmT3_T4_T5_T6_T7_T9_mT8_P12ihipStream_tbDpT10_ENKUlT_T0_E_clISt17integral_constantIbLb0EES18_IbLb1EEEEDaS14_S15_EUlS14_E_NS1_11comp_targetILNS1_3genE4ELNS1_11target_archE910ELNS1_3gpuE8ELNS1_3repE0EEENS1_30default_config_static_selectorELNS0_4arch9wavefront6targetE1EEEvT1_, .Lfunc_end475-_ZN7rocprim17ROCPRIM_400000_NS6detail17trampoline_kernelINS0_14default_configENS1_25partition_config_selectorILNS1_17partition_subalgoE1EsNS0_10empty_typeEbEEZZNS1_14partition_implILS5_1ELb0ES3_jN6thrust23THRUST_200600_302600_NS6detail15normal_iteratorINSA_10device_ptrIsEEEEPS6_NSA_18transform_iteratorI7is_evenIsESF_NSA_11use_defaultESK_EENS0_5tupleIJSF_SF_EEENSM_IJSG_SG_EEES6_PlJS6_EEE10hipError_tPvRmT3_T4_T5_T6_T7_T9_mT8_P12ihipStream_tbDpT10_ENKUlT_T0_E_clISt17integral_constantIbLb0EES18_IbLb1EEEEDaS14_S15_EUlS14_E_NS1_11comp_targetILNS1_3genE4ELNS1_11target_archE910ELNS1_3gpuE8ELNS1_3repE0EEENS1_30default_config_static_selectorELNS0_4arch9wavefront6targetE1EEEvT1_
                                        ; -- End function
	.section	.AMDGPU.csdata,"",@progbits
; Kernel info:
; codeLenInByte = 9236
; NumSgprs: 48
; NumVgprs: 69
; NumAgprs: 0
; TotalNumVgprs: 69
; ScratchSize: 0
; MemoryBound: 0
; FloatMode: 240
; IeeeMode: 1
; LDSByteSize: 10248 bytes/workgroup (compile time only)
; SGPRBlocks: 5
; VGPRBlocks: 8
; NumSGPRsForWavesPerEU: 48
; NumVGPRsForWavesPerEU: 69
; AccumOffset: 72
; Occupancy: 6
; WaveLimiterHint : 1
; COMPUTE_PGM_RSRC2:SCRATCH_EN: 0
; COMPUTE_PGM_RSRC2:USER_SGPR: 6
; COMPUTE_PGM_RSRC2:TRAP_HANDLER: 0
; COMPUTE_PGM_RSRC2:TGID_X_EN: 1
; COMPUTE_PGM_RSRC2:TGID_Y_EN: 0
; COMPUTE_PGM_RSRC2:TGID_Z_EN: 0
; COMPUTE_PGM_RSRC2:TIDIG_COMP_CNT: 0
; COMPUTE_PGM_RSRC3_GFX90A:ACCUM_OFFSET: 17
; COMPUTE_PGM_RSRC3_GFX90A:TG_SPLIT: 0
	.section	.text._ZN7rocprim17ROCPRIM_400000_NS6detail17trampoline_kernelINS0_14default_configENS1_25partition_config_selectorILNS1_17partition_subalgoE1EsNS0_10empty_typeEbEEZZNS1_14partition_implILS5_1ELb0ES3_jN6thrust23THRUST_200600_302600_NS6detail15normal_iteratorINSA_10device_ptrIsEEEEPS6_NSA_18transform_iteratorI7is_evenIsESF_NSA_11use_defaultESK_EENS0_5tupleIJSF_SF_EEENSM_IJSG_SG_EEES6_PlJS6_EEE10hipError_tPvRmT3_T4_T5_T6_T7_T9_mT8_P12ihipStream_tbDpT10_ENKUlT_T0_E_clISt17integral_constantIbLb0EES18_IbLb1EEEEDaS14_S15_EUlS14_E_NS1_11comp_targetILNS1_3genE3ELNS1_11target_archE908ELNS1_3gpuE7ELNS1_3repE0EEENS1_30default_config_static_selectorELNS0_4arch9wavefront6targetE1EEEvT1_,"axG",@progbits,_ZN7rocprim17ROCPRIM_400000_NS6detail17trampoline_kernelINS0_14default_configENS1_25partition_config_selectorILNS1_17partition_subalgoE1EsNS0_10empty_typeEbEEZZNS1_14partition_implILS5_1ELb0ES3_jN6thrust23THRUST_200600_302600_NS6detail15normal_iteratorINSA_10device_ptrIsEEEEPS6_NSA_18transform_iteratorI7is_evenIsESF_NSA_11use_defaultESK_EENS0_5tupleIJSF_SF_EEENSM_IJSG_SG_EEES6_PlJS6_EEE10hipError_tPvRmT3_T4_T5_T6_T7_T9_mT8_P12ihipStream_tbDpT10_ENKUlT_T0_E_clISt17integral_constantIbLb0EES18_IbLb1EEEEDaS14_S15_EUlS14_E_NS1_11comp_targetILNS1_3genE3ELNS1_11target_archE908ELNS1_3gpuE7ELNS1_3repE0EEENS1_30default_config_static_selectorELNS0_4arch9wavefront6targetE1EEEvT1_,comdat
	.protected	_ZN7rocprim17ROCPRIM_400000_NS6detail17trampoline_kernelINS0_14default_configENS1_25partition_config_selectorILNS1_17partition_subalgoE1EsNS0_10empty_typeEbEEZZNS1_14partition_implILS5_1ELb0ES3_jN6thrust23THRUST_200600_302600_NS6detail15normal_iteratorINSA_10device_ptrIsEEEEPS6_NSA_18transform_iteratorI7is_evenIsESF_NSA_11use_defaultESK_EENS0_5tupleIJSF_SF_EEENSM_IJSG_SG_EEES6_PlJS6_EEE10hipError_tPvRmT3_T4_T5_T6_T7_T9_mT8_P12ihipStream_tbDpT10_ENKUlT_T0_E_clISt17integral_constantIbLb0EES18_IbLb1EEEEDaS14_S15_EUlS14_E_NS1_11comp_targetILNS1_3genE3ELNS1_11target_archE908ELNS1_3gpuE7ELNS1_3repE0EEENS1_30default_config_static_selectorELNS0_4arch9wavefront6targetE1EEEvT1_ ; -- Begin function _ZN7rocprim17ROCPRIM_400000_NS6detail17trampoline_kernelINS0_14default_configENS1_25partition_config_selectorILNS1_17partition_subalgoE1EsNS0_10empty_typeEbEEZZNS1_14partition_implILS5_1ELb0ES3_jN6thrust23THRUST_200600_302600_NS6detail15normal_iteratorINSA_10device_ptrIsEEEEPS6_NSA_18transform_iteratorI7is_evenIsESF_NSA_11use_defaultESK_EENS0_5tupleIJSF_SF_EEENSM_IJSG_SG_EEES6_PlJS6_EEE10hipError_tPvRmT3_T4_T5_T6_T7_T9_mT8_P12ihipStream_tbDpT10_ENKUlT_T0_E_clISt17integral_constantIbLb0EES18_IbLb1EEEEDaS14_S15_EUlS14_E_NS1_11comp_targetILNS1_3genE3ELNS1_11target_archE908ELNS1_3gpuE7ELNS1_3repE0EEENS1_30default_config_static_selectorELNS0_4arch9wavefront6targetE1EEEvT1_
	.globl	_ZN7rocprim17ROCPRIM_400000_NS6detail17trampoline_kernelINS0_14default_configENS1_25partition_config_selectorILNS1_17partition_subalgoE1EsNS0_10empty_typeEbEEZZNS1_14partition_implILS5_1ELb0ES3_jN6thrust23THRUST_200600_302600_NS6detail15normal_iteratorINSA_10device_ptrIsEEEEPS6_NSA_18transform_iteratorI7is_evenIsESF_NSA_11use_defaultESK_EENS0_5tupleIJSF_SF_EEENSM_IJSG_SG_EEES6_PlJS6_EEE10hipError_tPvRmT3_T4_T5_T6_T7_T9_mT8_P12ihipStream_tbDpT10_ENKUlT_T0_E_clISt17integral_constantIbLb0EES18_IbLb1EEEEDaS14_S15_EUlS14_E_NS1_11comp_targetILNS1_3genE3ELNS1_11target_archE908ELNS1_3gpuE7ELNS1_3repE0EEENS1_30default_config_static_selectorELNS0_4arch9wavefront6targetE1EEEvT1_
	.p2align	8
	.type	_ZN7rocprim17ROCPRIM_400000_NS6detail17trampoline_kernelINS0_14default_configENS1_25partition_config_selectorILNS1_17partition_subalgoE1EsNS0_10empty_typeEbEEZZNS1_14partition_implILS5_1ELb0ES3_jN6thrust23THRUST_200600_302600_NS6detail15normal_iteratorINSA_10device_ptrIsEEEEPS6_NSA_18transform_iteratorI7is_evenIsESF_NSA_11use_defaultESK_EENS0_5tupleIJSF_SF_EEENSM_IJSG_SG_EEES6_PlJS6_EEE10hipError_tPvRmT3_T4_T5_T6_T7_T9_mT8_P12ihipStream_tbDpT10_ENKUlT_T0_E_clISt17integral_constantIbLb0EES18_IbLb1EEEEDaS14_S15_EUlS14_E_NS1_11comp_targetILNS1_3genE3ELNS1_11target_archE908ELNS1_3gpuE7ELNS1_3repE0EEENS1_30default_config_static_selectorELNS0_4arch9wavefront6targetE1EEEvT1_,@function
_ZN7rocprim17ROCPRIM_400000_NS6detail17trampoline_kernelINS0_14default_configENS1_25partition_config_selectorILNS1_17partition_subalgoE1EsNS0_10empty_typeEbEEZZNS1_14partition_implILS5_1ELb0ES3_jN6thrust23THRUST_200600_302600_NS6detail15normal_iteratorINSA_10device_ptrIsEEEEPS6_NSA_18transform_iteratorI7is_evenIsESF_NSA_11use_defaultESK_EENS0_5tupleIJSF_SF_EEENSM_IJSG_SG_EEES6_PlJS6_EEE10hipError_tPvRmT3_T4_T5_T6_T7_T9_mT8_P12ihipStream_tbDpT10_ENKUlT_T0_E_clISt17integral_constantIbLb0EES18_IbLb1EEEEDaS14_S15_EUlS14_E_NS1_11comp_targetILNS1_3genE3ELNS1_11target_archE908ELNS1_3gpuE7ELNS1_3repE0EEENS1_30default_config_static_selectorELNS0_4arch9wavefront6targetE1EEEvT1_: ; @_ZN7rocprim17ROCPRIM_400000_NS6detail17trampoline_kernelINS0_14default_configENS1_25partition_config_selectorILNS1_17partition_subalgoE1EsNS0_10empty_typeEbEEZZNS1_14partition_implILS5_1ELb0ES3_jN6thrust23THRUST_200600_302600_NS6detail15normal_iteratorINSA_10device_ptrIsEEEEPS6_NSA_18transform_iteratorI7is_evenIsESF_NSA_11use_defaultESK_EENS0_5tupleIJSF_SF_EEENSM_IJSG_SG_EEES6_PlJS6_EEE10hipError_tPvRmT3_T4_T5_T6_T7_T9_mT8_P12ihipStream_tbDpT10_ENKUlT_T0_E_clISt17integral_constantIbLb0EES18_IbLb1EEEEDaS14_S15_EUlS14_E_NS1_11comp_targetILNS1_3genE3ELNS1_11target_archE908ELNS1_3gpuE7ELNS1_3repE0EEENS1_30default_config_static_selectorELNS0_4arch9wavefront6targetE1EEEvT1_
; %bb.0:
	.section	.rodata,"a",@progbits
	.p2align	6, 0x0
	.amdhsa_kernel _ZN7rocprim17ROCPRIM_400000_NS6detail17trampoline_kernelINS0_14default_configENS1_25partition_config_selectorILNS1_17partition_subalgoE1EsNS0_10empty_typeEbEEZZNS1_14partition_implILS5_1ELb0ES3_jN6thrust23THRUST_200600_302600_NS6detail15normal_iteratorINSA_10device_ptrIsEEEEPS6_NSA_18transform_iteratorI7is_evenIsESF_NSA_11use_defaultESK_EENS0_5tupleIJSF_SF_EEENSM_IJSG_SG_EEES6_PlJS6_EEE10hipError_tPvRmT3_T4_T5_T6_T7_T9_mT8_P12ihipStream_tbDpT10_ENKUlT_T0_E_clISt17integral_constantIbLb0EES18_IbLb1EEEEDaS14_S15_EUlS14_E_NS1_11comp_targetILNS1_3genE3ELNS1_11target_archE908ELNS1_3gpuE7ELNS1_3repE0EEENS1_30default_config_static_selectorELNS0_4arch9wavefront6targetE1EEEvT1_
		.amdhsa_group_segment_fixed_size 0
		.amdhsa_private_segment_fixed_size 0
		.amdhsa_kernarg_size 144
		.amdhsa_user_sgpr_count 6
		.amdhsa_user_sgpr_private_segment_buffer 1
		.amdhsa_user_sgpr_dispatch_ptr 0
		.amdhsa_user_sgpr_queue_ptr 0
		.amdhsa_user_sgpr_kernarg_segment_ptr 1
		.amdhsa_user_sgpr_dispatch_id 0
		.amdhsa_user_sgpr_flat_scratch_init 0
		.amdhsa_user_sgpr_kernarg_preload_length 0
		.amdhsa_user_sgpr_kernarg_preload_offset 0
		.amdhsa_user_sgpr_private_segment_size 0
		.amdhsa_uses_dynamic_stack 0
		.amdhsa_system_sgpr_private_segment_wavefront_offset 0
		.amdhsa_system_sgpr_workgroup_id_x 1
		.amdhsa_system_sgpr_workgroup_id_y 0
		.amdhsa_system_sgpr_workgroup_id_z 0
		.amdhsa_system_sgpr_workgroup_info 0
		.amdhsa_system_vgpr_workitem_id 0
		.amdhsa_next_free_vgpr 1
		.amdhsa_next_free_sgpr 0
		.amdhsa_accum_offset 4
		.amdhsa_reserve_vcc 0
		.amdhsa_reserve_flat_scratch 0
		.amdhsa_float_round_mode_32 0
		.amdhsa_float_round_mode_16_64 0
		.amdhsa_float_denorm_mode_32 3
		.amdhsa_float_denorm_mode_16_64 3
		.amdhsa_dx10_clamp 1
		.amdhsa_ieee_mode 1
		.amdhsa_fp16_overflow 0
		.amdhsa_tg_split 0
		.amdhsa_exception_fp_ieee_invalid_op 0
		.amdhsa_exception_fp_denorm_src 0
		.amdhsa_exception_fp_ieee_div_zero 0
		.amdhsa_exception_fp_ieee_overflow 0
		.amdhsa_exception_fp_ieee_underflow 0
		.amdhsa_exception_fp_ieee_inexact 0
		.amdhsa_exception_int_div_zero 0
	.end_amdhsa_kernel
	.section	.text._ZN7rocprim17ROCPRIM_400000_NS6detail17trampoline_kernelINS0_14default_configENS1_25partition_config_selectorILNS1_17partition_subalgoE1EsNS0_10empty_typeEbEEZZNS1_14partition_implILS5_1ELb0ES3_jN6thrust23THRUST_200600_302600_NS6detail15normal_iteratorINSA_10device_ptrIsEEEEPS6_NSA_18transform_iteratorI7is_evenIsESF_NSA_11use_defaultESK_EENS0_5tupleIJSF_SF_EEENSM_IJSG_SG_EEES6_PlJS6_EEE10hipError_tPvRmT3_T4_T5_T6_T7_T9_mT8_P12ihipStream_tbDpT10_ENKUlT_T0_E_clISt17integral_constantIbLb0EES18_IbLb1EEEEDaS14_S15_EUlS14_E_NS1_11comp_targetILNS1_3genE3ELNS1_11target_archE908ELNS1_3gpuE7ELNS1_3repE0EEENS1_30default_config_static_selectorELNS0_4arch9wavefront6targetE1EEEvT1_,"axG",@progbits,_ZN7rocprim17ROCPRIM_400000_NS6detail17trampoline_kernelINS0_14default_configENS1_25partition_config_selectorILNS1_17partition_subalgoE1EsNS0_10empty_typeEbEEZZNS1_14partition_implILS5_1ELb0ES3_jN6thrust23THRUST_200600_302600_NS6detail15normal_iteratorINSA_10device_ptrIsEEEEPS6_NSA_18transform_iteratorI7is_evenIsESF_NSA_11use_defaultESK_EENS0_5tupleIJSF_SF_EEENSM_IJSG_SG_EEES6_PlJS6_EEE10hipError_tPvRmT3_T4_T5_T6_T7_T9_mT8_P12ihipStream_tbDpT10_ENKUlT_T0_E_clISt17integral_constantIbLb0EES18_IbLb1EEEEDaS14_S15_EUlS14_E_NS1_11comp_targetILNS1_3genE3ELNS1_11target_archE908ELNS1_3gpuE7ELNS1_3repE0EEENS1_30default_config_static_selectorELNS0_4arch9wavefront6targetE1EEEvT1_,comdat
.Lfunc_end476:
	.size	_ZN7rocprim17ROCPRIM_400000_NS6detail17trampoline_kernelINS0_14default_configENS1_25partition_config_selectorILNS1_17partition_subalgoE1EsNS0_10empty_typeEbEEZZNS1_14partition_implILS5_1ELb0ES3_jN6thrust23THRUST_200600_302600_NS6detail15normal_iteratorINSA_10device_ptrIsEEEEPS6_NSA_18transform_iteratorI7is_evenIsESF_NSA_11use_defaultESK_EENS0_5tupleIJSF_SF_EEENSM_IJSG_SG_EEES6_PlJS6_EEE10hipError_tPvRmT3_T4_T5_T6_T7_T9_mT8_P12ihipStream_tbDpT10_ENKUlT_T0_E_clISt17integral_constantIbLb0EES18_IbLb1EEEEDaS14_S15_EUlS14_E_NS1_11comp_targetILNS1_3genE3ELNS1_11target_archE908ELNS1_3gpuE7ELNS1_3repE0EEENS1_30default_config_static_selectorELNS0_4arch9wavefront6targetE1EEEvT1_, .Lfunc_end476-_ZN7rocprim17ROCPRIM_400000_NS6detail17trampoline_kernelINS0_14default_configENS1_25partition_config_selectorILNS1_17partition_subalgoE1EsNS0_10empty_typeEbEEZZNS1_14partition_implILS5_1ELb0ES3_jN6thrust23THRUST_200600_302600_NS6detail15normal_iteratorINSA_10device_ptrIsEEEEPS6_NSA_18transform_iteratorI7is_evenIsESF_NSA_11use_defaultESK_EENS0_5tupleIJSF_SF_EEENSM_IJSG_SG_EEES6_PlJS6_EEE10hipError_tPvRmT3_T4_T5_T6_T7_T9_mT8_P12ihipStream_tbDpT10_ENKUlT_T0_E_clISt17integral_constantIbLb0EES18_IbLb1EEEEDaS14_S15_EUlS14_E_NS1_11comp_targetILNS1_3genE3ELNS1_11target_archE908ELNS1_3gpuE7ELNS1_3repE0EEENS1_30default_config_static_selectorELNS0_4arch9wavefront6targetE1EEEvT1_
                                        ; -- End function
	.section	.AMDGPU.csdata,"",@progbits
; Kernel info:
; codeLenInByte = 0
; NumSgprs: 4
; NumVgprs: 0
; NumAgprs: 0
; TotalNumVgprs: 0
; ScratchSize: 0
; MemoryBound: 0
; FloatMode: 240
; IeeeMode: 1
; LDSByteSize: 0 bytes/workgroup (compile time only)
; SGPRBlocks: 0
; VGPRBlocks: 0
; NumSGPRsForWavesPerEU: 4
; NumVGPRsForWavesPerEU: 1
; AccumOffset: 4
; Occupancy: 8
; WaveLimiterHint : 0
; COMPUTE_PGM_RSRC2:SCRATCH_EN: 0
; COMPUTE_PGM_RSRC2:USER_SGPR: 6
; COMPUTE_PGM_RSRC2:TRAP_HANDLER: 0
; COMPUTE_PGM_RSRC2:TGID_X_EN: 1
; COMPUTE_PGM_RSRC2:TGID_Y_EN: 0
; COMPUTE_PGM_RSRC2:TGID_Z_EN: 0
; COMPUTE_PGM_RSRC2:TIDIG_COMP_CNT: 0
; COMPUTE_PGM_RSRC3_GFX90A:ACCUM_OFFSET: 0
; COMPUTE_PGM_RSRC3_GFX90A:TG_SPLIT: 0
	.section	.text._ZN7rocprim17ROCPRIM_400000_NS6detail17trampoline_kernelINS0_14default_configENS1_25partition_config_selectorILNS1_17partition_subalgoE1EsNS0_10empty_typeEbEEZZNS1_14partition_implILS5_1ELb0ES3_jN6thrust23THRUST_200600_302600_NS6detail15normal_iteratorINSA_10device_ptrIsEEEEPS6_NSA_18transform_iteratorI7is_evenIsESF_NSA_11use_defaultESK_EENS0_5tupleIJSF_SF_EEENSM_IJSG_SG_EEES6_PlJS6_EEE10hipError_tPvRmT3_T4_T5_T6_T7_T9_mT8_P12ihipStream_tbDpT10_ENKUlT_T0_E_clISt17integral_constantIbLb0EES18_IbLb1EEEEDaS14_S15_EUlS14_E_NS1_11comp_targetILNS1_3genE2ELNS1_11target_archE906ELNS1_3gpuE6ELNS1_3repE0EEENS1_30default_config_static_selectorELNS0_4arch9wavefront6targetE1EEEvT1_,"axG",@progbits,_ZN7rocprim17ROCPRIM_400000_NS6detail17trampoline_kernelINS0_14default_configENS1_25partition_config_selectorILNS1_17partition_subalgoE1EsNS0_10empty_typeEbEEZZNS1_14partition_implILS5_1ELb0ES3_jN6thrust23THRUST_200600_302600_NS6detail15normal_iteratorINSA_10device_ptrIsEEEEPS6_NSA_18transform_iteratorI7is_evenIsESF_NSA_11use_defaultESK_EENS0_5tupleIJSF_SF_EEENSM_IJSG_SG_EEES6_PlJS6_EEE10hipError_tPvRmT3_T4_T5_T6_T7_T9_mT8_P12ihipStream_tbDpT10_ENKUlT_T0_E_clISt17integral_constantIbLb0EES18_IbLb1EEEEDaS14_S15_EUlS14_E_NS1_11comp_targetILNS1_3genE2ELNS1_11target_archE906ELNS1_3gpuE6ELNS1_3repE0EEENS1_30default_config_static_selectorELNS0_4arch9wavefront6targetE1EEEvT1_,comdat
	.protected	_ZN7rocprim17ROCPRIM_400000_NS6detail17trampoline_kernelINS0_14default_configENS1_25partition_config_selectorILNS1_17partition_subalgoE1EsNS0_10empty_typeEbEEZZNS1_14partition_implILS5_1ELb0ES3_jN6thrust23THRUST_200600_302600_NS6detail15normal_iteratorINSA_10device_ptrIsEEEEPS6_NSA_18transform_iteratorI7is_evenIsESF_NSA_11use_defaultESK_EENS0_5tupleIJSF_SF_EEENSM_IJSG_SG_EEES6_PlJS6_EEE10hipError_tPvRmT3_T4_T5_T6_T7_T9_mT8_P12ihipStream_tbDpT10_ENKUlT_T0_E_clISt17integral_constantIbLb0EES18_IbLb1EEEEDaS14_S15_EUlS14_E_NS1_11comp_targetILNS1_3genE2ELNS1_11target_archE906ELNS1_3gpuE6ELNS1_3repE0EEENS1_30default_config_static_selectorELNS0_4arch9wavefront6targetE1EEEvT1_ ; -- Begin function _ZN7rocprim17ROCPRIM_400000_NS6detail17trampoline_kernelINS0_14default_configENS1_25partition_config_selectorILNS1_17partition_subalgoE1EsNS0_10empty_typeEbEEZZNS1_14partition_implILS5_1ELb0ES3_jN6thrust23THRUST_200600_302600_NS6detail15normal_iteratorINSA_10device_ptrIsEEEEPS6_NSA_18transform_iteratorI7is_evenIsESF_NSA_11use_defaultESK_EENS0_5tupleIJSF_SF_EEENSM_IJSG_SG_EEES6_PlJS6_EEE10hipError_tPvRmT3_T4_T5_T6_T7_T9_mT8_P12ihipStream_tbDpT10_ENKUlT_T0_E_clISt17integral_constantIbLb0EES18_IbLb1EEEEDaS14_S15_EUlS14_E_NS1_11comp_targetILNS1_3genE2ELNS1_11target_archE906ELNS1_3gpuE6ELNS1_3repE0EEENS1_30default_config_static_selectorELNS0_4arch9wavefront6targetE1EEEvT1_
	.globl	_ZN7rocprim17ROCPRIM_400000_NS6detail17trampoline_kernelINS0_14default_configENS1_25partition_config_selectorILNS1_17partition_subalgoE1EsNS0_10empty_typeEbEEZZNS1_14partition_implILS5_1ELb0ES3_jN6thrust23THRUST_200600_302600_NS6detail15normal_iteratorINSA_10device_ptrIsEEEEPS6_NSA_18transform_iteratorI7is_evenIsESF_NSA_11use_defaultESK_EENS0_5tupleIJSF_SF_EEENSM_IJSG_SG_EEES6_PlJS6_EEE10hipError_tPvRmT3_T4_T5_T6_T7_T9_mT8_P12ihipStream_tbDpT10_ENKUlT_T0_E_clISt17integral_constantIbLb0EES18_IbLb1EEEEDaS14_S15_EUlS14_E_NS1_11comp_targetILNS1_3genE2ELNS1_11target_archE906ELNS1_3gpuE6ELNS1_3repE0EEENS1_30default_config_static_selectorELNS0_4arch9wavefront6targetE1EEEvT1_
	.p2align	8
	.type	_ZN7rocprim17ROCPRIM_400000_NS6detail17trampoline_kernelINS0_14default_configENS1_25partition_config_selectorILNS1_17partition_subalgoE1EsNS0_10empty_typeEbEEZZNS1_14partition_implILS5_1ELb0ES3_jN6thrust23THRUST_200600_302600_NS6detail15normal_iteratorINSA_10device_ptrIsEEEEPS6_NSA_18transform_iteratorI7is_evenIsESF_NSA_11use_defaultESK_EENS0_5tupleIJSF_SF_EEENSM_IJSG_SG_EEES6_PlJS6_EEE10hipError_tPvRmT3_T4_T5_T6_T7_T9_mT8_P12ihipStream_tbDpT10_ENKUlT_T0_E_clISt17integral_constantIbLb0EES18_IbLb1EEEEDaS14_S15_EUlS14_E_NS1_11comp_targetILNS1_3genE2ELNS1_11target_archE906ELNS1_3gpuE6ELNS1_3repE0EEENS1_30default_config_static_selectorELNS0_4arch9wavefront6targetE1EEEvT1_,@function
_ZN7rocprim17ROCPRIM_400000_NS6detail17trampoline_kernelINS0_14default_configENS1_25partition_config_selectorILNS1_17partition_subalgoE1EsNS0_10empty_typeEbEEZZNS1_14partition_implILS5_1ELb0ES3_jN6thrust23THRUST_200600_302600_NS6detail15normal_iteratorINSA_10device_ptrIsEEEEPS6_NSA_18transform_iteratorI7is_evenIsESF_NSA_11use_defaultESK_EENS0_5tupleIJSF_SF_EEENSM_IJSG_SG_EEES6_PlJS6_EEE10hipError_tPvRmT3_T4_T5_T6_T7_T9_mT8_P12ihipStream_tbDpT10_ENKUlT_T0_E_clISt17integral_constantIbLb0EES18_IbLb1EEEEDaS14_S15_EUlS14_E_NS1_11comp_targetILNS1_3genE2ELNS1_11target_archE906ELNS1_3gpuE6ELNS1_3repE0EEENS1_30default_config_static_selectorELNS0_4arch9wavefront6targetE1EEEvT1_: ; @_ZN7rocprim17ROCPRIM_400000_NS6detail17trampoline_kernelINS0_14default_configENS1_25partition_config_selectorILNS1_17partition_subalgoE1EsNS0_10empty_typeEbEEZZNS1_14partition_implILS5_1ELb0ES3_jN6thrust23THRUST_200600_302600_NS6detail15normal_iteratorINSA_10device_ptrIsEEEEPS6_NSA_18transform_iteratorI7is_evenIsESF_NSA_11use_defaultESK_EENS0_5tupleIJSF_SF_EEENSM_IJSG_SG_EEES6_PlJS6_EEE10hipError_tPvRmT3_T4_T5_T6_T7_T9_mT8_P12ihipStream_tbDpT10_ENKUlT_T0_E_clISt17integral_constantIbLb0EES18_IbLb1EEEEDaS14_S15_EUlS14_E_NS1_11comp_targetILNS1_3genE2ELNS1_11target_archE906ELNS1_3gpuE6ELNS1_3repE0EEENS1_30default_config_static_selectorELNS0_4arch9wavefront6targetE1EEEvT1_
; %bb.0:
	.section	.rodata,"a",@progbits
	.p2align	6, 0x0
	.amdhsa_kernel _ZN7rocprim17ROCPRIM_400000_NS6detail17trampoline_kernelINS0_14default_configENS1_25partition_config_selectorILNS1_17partition_subalgoE1EsNS0_10empty_typeEbEEZZNS1_14partition_implILS5_1ELb0ES3_jN6thrust23THRUST_200600_302600_NS6detail15normal_iteratorINSA_10device_ptrIsEEEEPS6_NSA_18transform_iteratorI7is_evenIsESF_NSA_11use_defaultESK_EENS0_5tupleIJSF_SF_EEENSM_IJSG_SG_EEES6_PlJS6_EEE10hipError_tPvRmT3_T4_T5_T6_T7_T9_mT8_P12ihipStream_tbDpT10_ENKUlT_T0_E_clISt17integral_constantIbLb0EES18_IbLb1EEEEDaS14_S15_EUlS14_E_NS1_11comp_targetILNS1_3genE2ELNS1_11target_archE906ELNS1_3gpuE6ELNS1_3repE0EEENS1_30default_config_static_selectorELNS0_4arch9wavefront6targetE1EEEvT1_
		.amdhsa_group_segment_fixed_size 0
		.amdhsa_private_segment_fixed_size 0
		.amdhsa_kernarg_size 144
		.amdhsa_user_sgpr_count 6
		.amdhsa_user_sgpr_private_segment_buffer 1
		.amdhsa_user_sgpr_dispatch_ptr 0
		.amdhsa_user_sgpr_queue_ptr 0
		.amdhsa_user_sgpr_kernarg_segment_ptr 1
		.amdhsa_user_sgpr_dispatch_id 0
		.amdhsa_user_sgpr_flat_scratch_init 0
		.amdhsa_user_sgpr_kernarg_preload_length 0
		.amdhsa_user_sgpr_kernarg_preload_offset 0
		.amdhsa_user_sgpr_private_segment_size 0
		.amdhsa_uses_dynamic_stack 0
		.amdhsa_system_sgpr_private_segment_wavefront_offset 0
		.amdhsa_system_sgpr_workgroup_id_x 1
		.amdhsa_system_sgpr_workgroup_id_y 0
		.amdhsa_system_sgpr_workgroup_id_z 0
		.amdhsa_system_sgpr_workgroup_info 0
		.amdhsa_system_vgpr_workitem_id 0
		.amdhsa_next_free_vgpr 1
		.amdhsa_next_free_sgpr 0
		.amdhsa_accum_offset 4
		.amdhsa_reserve_vcc 0
		.amdhsa_reserve_flat_scratch 0
		.amdhsa_float_round_mode_32 0
		.amdhsa_float_round_mode_16_64 0
		.amdhsa_float_denorm_mode_32 3
		.amdhsa_float_denorm_mode_16_64 3
		.amdhsa_dx10_clamp 1
		.amdhsa_ieee_mode 1
		.amdhsa_fp16_overflow 0
		.amdhsa_tg_split 0
		.amdhsa_exception_fp_ieee_invalid_op 0
		.amdhsa_exception_fp_denorm_src 0
		.amdhsa_exception_fp_ieee_div_zero 0
		.amdhsa_exception_fp_ieee_overflow 0
		.amdhsa_exception_fp_ieee_underflow 0
		.amdhsa_exception_fp_ieee_inexact 0
		.amdhsa_exception_int_div_zero 0
	.end_amdhsa_kernel
	.section	.text._ZN7rocprim17ROCPRIM_400000_NS6detail17trampoline_kernelINS0_14default_configENS1_25partition_config_selectorILNS1_17partition_subalgoE1EsNS0_10empty_typeEbEEZZNS1_14partition_implILS5_1ELb0ES3_jN6thrust23THRUST_200600_302600_NS6detail15normal_iteratorINSA_10device_ptrIsEEEEPS6_NSA_18transform_iteratorI7is_evenIsESF_NSA_11use_defaultESK_EENS0_5tupleIJSF_SF_EEENSM_IJSG_SG_EEES6_PlJS6_EEE10hipError_tPvRmT3_T4_T5_T6_T7_T9_mT8_P12ihipStream_tbDpT10_ENKUlT_T0_E_clISt17integral_constantIbLb0EES18_IbLb1EEEEDaS14_S15_EUlS14_E_NS1_11comp_targetILNS1_3genE2ELNS1_11target_archE906ELNS1_3gpuE6ELNS1_3repE0EEENS1_30default_config_static_selectorELNS0_4arch9wavefront6targetE1EEEvT1_,"axG",@progbits,_ZN7rocprim17ROCPRIM_400000_NS6detail17trampoline_kernelINS0_14default_configENS1_25partition_config_selectorILNS1_17partition_subalgoE1EsNS0_10empty_typeEbEEZZNS1_14partition_implILS5_1ELb0ES3_jN6thrust23THRUST_200600_302600_NS6detail15normal_iteratorINSA_10device_ptrIsEEEEPS6_NSA_18transform_iteratorI7is_evenIsESF_NSA_11use_defaultESK_EENS0_5tupleIJSF_SF_EEENSM_IJSG_SG_EEES6_PlJS6_EEE10hipError_tPvRmT3_T4_T5_T6_T7_T9_mT8_P12ihipStream_tbDpT10_ENKUlT_T0_E_clISt17integral_constantIbLb0EES18_IbLb1EEEEDaS14_S15_EUlS14_E_NS1_11comp_targetILNS1_3genE2ELNS1_11target_archE906ELNS1_3gpuE6ELNS1_3repE0EEENS1_30default_config_static_selectorELNS0_4arch9wavefront6targetE1EEEvT1_,comdat
.Lfunc_end477:
	.size	_ZN7rocprim17ROCPRIM_400000_NS6detail17trampoline_kernelINS0_14default_configENS1_25partition_config_selectorILNS1_17partition_subalgoE1EsNS0_10empty_typeEbEEZZNS1_14partition_implILS5_1ELb0ES3_jN6thrust23THRUST_200600_302600_NS6detail15normal_iteratorINSA_10device_ptrIsEEEEPS6_NSA_18transform_iteratorI7is_evenIsESF_NSA_11use_defaultESK_EENS0_5tupleIJSF_SF_EEENSM_IJSG_SG_EEES6_PlJS6_EEE10hipError_tPvRmT3_T4_T5_T6_T7_T9_mT8_P12ihipStream_tbDpT10_ENKUlT_T0_E_clISt17integral_constantIbLb0EES18_IbLb1EEEEDaS14_S15_EUlS14_E_NS1_11comp_targetILNS1_3genE2ELNS1_11target_archE906ELNS1_3gpuE6ELNS1_3repE0EEENS1_30default_config_static_selectorELNS0_4arch9wavefront6targetE1EEEvT1_, .Lfunc_end477-_ZN7rocprim17ROCPRIM_400000_NS6detail17trampoline_kernelINS0_14default_configENS1_25partition_config_selectorILNS1_17partition_subalgoE1EsNS0_10empty_typeEbEEZZNS1_14partition_implILS5_1ELb0ES3_jN6thrust23THRUST_200600_302600_NS6detail15normal_iteratorINSA_10device_ptrIsEEEEPS6_NSA_18transform_iteratorI7is_evenIsESF_NSA_11use_defaultESK_EENS0_5tupleIJSF_SF_EEENSM_IJSG_SG_EEES6_PlJS6_EEE10hipError_tPvRmT3_T4_T5_T6_T7_T9_mT8_P12ihipStream_tbDpT10_ENKUlT_T0_E_clISt17integral_constantIbLb0EES18_IbLb1EEEEDaS14_S15_EUlS14_E_NS1_11comp_targetILNS1_3genE2ELNS1_11target_archE906ELNS1_3gpuE6ELNS1_3repE0EEENS1_30default_config_static_selectorELNS0_4arch9wavefront6targetE1EEEvT1_
                                        ; -- End function
	.section	.AMDGPU.csdata,"",@progbits
; Kernel info:
; codeLenInByte = 0
; NumSgprs: 4
; NumVgprs: 0
; NumAgprs: 0
; TotalNumVgprs: 0
; ScratchSize: 0
; MemoryBound: 0
; FloatMode: 240
; IeeeMode: 1
; LDSByteSize: 0 bytes/workgroup (compile time only)
; SGPRBlocks: 0
; VGPRBlocks: 0
; NumSGPRsForWavesPerEU: 4
; NumVGPRsForWavesPerEU: 1
; AccumOffset: 4
; Occupancy: 8
; WaveLimiterHint : 0
; COMPUTE_PGM_RSRC2:SCRATCH_EN: 0
; COMPUTE_PGM_RSRC2:USER_SGPR: 6
; COMPUTE_PGM_RSRC2:TRAP_HANDLER: 0
; COMPUTE_PGM_RSRC2:TGID_X_EN: 1
; COMPUTE_PGM_RSRC2:TGID_Y_EN: 0
; COMPUTE_PGM_RSRC2:TGID_Z_EN: 0
; COMPUTE_PGM_RSRC2:TIDIG_COMP_CNT: 0
; COMPUTE_PGM_RSRC3_GFX90A:ACCUM_OFFSET: 0
; COMPUTE_PGM_RSRC3_GFX90A:TG_SPLIT: 0
	.section	.text._ZN7rocprim17ROCPRIM_400000_NS6detail17trampoline_kernelINS0_14default_configENS1_25partition_config_selectorILNS1_17partition_subalgoE1EsNS0_10empty_typeEbEEZZNS1_14partition_implILS5_1ELb0ES3_jN6thrust23THRUST_200600_302600_NS6detail15normal_iteratorINSA_10device_ptrIsEEEEPS6_NSA_18transform_iteratorI7is_evenIsESF_NSA_11use_defaultESK_EENS0_5tupleIJSF_SF_EEENSM_IJSG_SG_EEES6_PlJS6_EEE10hipError_tPvRmT3_T4_T5_T6_T7_T9_mT8_P12ihipStream_tbDpT10_ENKUlT_T0_E_clISt17integral_constantIbLb0EES18_IbLb1EEEEDaS14_S15_EUlS14_E_NS1_11comp_targetILNS1_3genE10ELNS1_11target_archE1200ELNS1_3gpuE4ELNS1_3repE0EEENS1_30default_config_static_selectorELNS0_4arch9wavefront6targetE1EEEvT1_,"axG",@progbits,_ZN7rocprim17ROCPRIM_400000_NS6detail17trampoline_kernelINS0_14default_configENS1_25partition_config_selectorILNS1_17partition_subalgoE1EsNS0_10empty_typeEbEEZZNS1_14partition_implILS5_1ELb0ES3_jN6thrust23THRUST_200600_302600_NS6detail15normal_iteratorINSA_10device_ptrIsEEEEPS6_NSA_18transform_iteratorI7is_evenIsESF_NSA_11use_defaultESK_EENS0_5tupleIJSF_SF_EEENSM_IJSG_SG_EEES6_PlJS6_EEE10hipError_tPvRmT3_T4_T5_T6_T7_T9_mT8_P12ihipStream_tbDpT10_ENKUlT_T0_E_clISt17integral_constantIbLb0EES18_IbLb1EEEEDaS14_S15_EUlS14_E_NS1_11comp_targetILNS1_3genE10ELNS1_11target_archE1200ELNS1_3gpuE4ELNS1_3repE0EEENS1_30default_config_static_selectorELNS0_4arch9wavefront6targetE1EEEvT1_,comdat
	.protected	_ZN7rocprim17ROCPRIM_400000_NS6detail17trampoline_kernelINS0_14default_configENS1_25partition_config_selectorILNS1_17partition_subalgoE1EsNS0_10empty_typeEbEEZZNS1_14partition_implILS5_1ELb0ES3_jN6thrust23THRUST_200600_302600_NS6detail15normal_iteratorINSA_10device_ptrIsEEEEPS6_NSA_18transform_iteratorI7is_evenIsESF_NSA_11use_defaultESK_EENS0_5tupleIJSF_SF_EEENSM_IJSG_SG_EEES6_PlJS6_EEE10hipError_tPvRmT3_T4_T5_T6_T7_T9_mT8_P12ihipStream_tbDpT10_ENKUlT_T0_E_clISt17integral_constantIbLb0EES18_IbLb1EEEEDaS14_S15_EUlS14_E_NS1_11comp_targetILNS1_3genE10ELNS1_11target_archE1200ELNS1_3gpuE4ELNS1_3repE0EEENS1_30default_config_static_selectorELNS0_4arch9wavefront6targetE1EEEvT1_ ; -- Begin function _ZN7rocprim17ROCPRIM_400000_NS6detail17trampoline_kernelINS0_14default_configENS1_25partition_config_selectorILNS1_17partition_subalgoE1EsNS0_10empty_typeEbEEZZNS1_14partition_implILS5_1ELb0ES3_jN6thrust23THRUST_200600_302600_NS6detail15normal_iteratorINSA_10device_ptrIsEEEEPS6_NSA_18transform_iteratorI7is_evenIsESF_NSA_11use_defaultESK_EENS0_5tupleIJSF_SF_EEENSM_IJSG_SG_EEES6_PlJS6_EEE10hipError_tPvRmT3_T4_T5_T6_T7_T9_mT8_P12ihipStream_tbDpT10_ENKUlT_T0_E_clISt17integral_constantIbLb0EES18_IbLb1EEEEDaS14_S15_EUlS14_E_NS1_11comp_targetILNS1_3genE10ELNS1_11target_archE1200ELNS1_3gpuE4ELNS1_3repE0EEENS1_30default_config_static_selectorELNS0_4arch9wavefront6targetE1EEEvT1_
	.globl	_ZN7rocprim17ROCPRIM_400000_NS6detail17trampoline_kernelINS0_14default_configENS1_25partition_config_selectorILNS1_17partition_subalgoE1EsNS0_10empty_typeEbEEZZNS1_14partition_implILS5_1ELb0ES3_jN6thrust23THRUST_200600_302600_NS6detail15normal_iteratorINSA_10device_ptrIsEEEEPS6_NSA_18transform_iteratorI7is_evenIsESF_NSA_11use_defaultESK_EENS0_5tupleIJSF_SF_EEENSM_IJSG_SG_EEES6_PlJS6_EEE10hipError_tPvRmT3_T4_T5_T6_T7_T9_mT8_P12ihipStream_tbDpT10_ENKUlT_T0_E_clISt17integral_constantIbLb0EES18_IbLb1EEEEDaS14_S15_EUlS14_E_NS1_11comp_targetILNS1_3genE10ELNS1_11target_archE1200ELNS1_3gpuE4ELNS1_3repE0EEENS1_30default_config_static_selectorELNS0_4arch9wavefront6targetE1EEEvT1_
	.p2align	8
	.type	_ZN7rocprim17ROCPRIM_400000_NS6detail17trampoline_kernelINS0_14default_configENS1_25partition_config_selectorILNS1_17partition_subalgoE1EsNS0_10empty_typeEbEEZZNS1_14partition_implILS5_1ELb0ES3_jN6thrust23THRUST_200600_302600_NS6detail15normal_iteratorINSA_10device_ptrIsEEEEPS6_NSA_18transform_iteratorI7is_evenIsESF_NSA_11use_defaultESK_EENS0_5tupleIJSF_SF_EEENSM_IJSG_SG_EEES6_PlJS6_EEE10hipError_tPvRmT3_T4_T5_T6_T7_T9_mT8_P12ihipStream_tbDpT10_ENKUlT_T0_E_clISt17integral_constantIbLb0EES18_IbLb1EEEEDaS14_S15_EUlS14_E_NS1_11comp_targetILNS1_3genE10ELNS1_11target_archE1200ELNS1_3gpuE4ELNS1_3repE0EEENS1_30default_config_static_selectorELNS0_4arch9wavefront6targetE1EEEvT1_,@function
_ZN7rocprim17ROCPRIM_400000_NS6detail17trampoline_kernelINS0_14default_configENS1_25partition_config_selectorILNS1_17partition_subalgoE1EsNS0_10empty_typeEbEEZZNS1_14partition_implILS5_1ELb0ES3_jN6thrust23THRUST_200600_302600_NS6detail15normal_iteratorINSA_10device_ptrIsEEEEPS6_NSA_18transform_iteratorI7is_evenIsESF_NSA_11use_defaultESK_EENS0_5tupleIJSF_SF_EEENSM_IJSG_SG_EEES6_PlJS6_EEE10hipError_tPvRmT3_T4_T5_T6_T7_T9_mT8_P12ihipStream_tbDpT10_ENKUlT_T0_E_clISt17integral_constantIbLb0EES18_IbLb1EEEEDaS14_S15_EUlS14_E_NS1_11comp_targetILNS1_3genE10ELNS1_11target_archE1200ELNS1_3gpuE4ELNS1_3repE0EEENS1_30default_config_static_selectorELNS0_4arch9wavefront6targetE1EEEvT1_: ; @_ZN7rocprim17ROCPRIM_400000_NS6detail17trampoline_kernelINS0_14default_configENS1_25partition_config_selectorILNS1_17partition_subalgoE1EsNS0_10empty_typeEbEEZZNS1_14partition_implILS5_1ELb0ES3_jN6thrust23THRUST_200600_302600_NS6detail15normal_iteratorINSA_10device_ptrIsEEEEPS6_NSA_18transform_iteratorI7is_evenIsESF_NSA_11use_defaultESK_EENS0_5tupleIJSF_SF_EEENSM_IJSG_SG_EEES6_PlJS6_EEE10hipError_tPvRmT3_T4_T5_T6_T7_T9_mT8_P12ihipStream_tbDpT10_ENKUlT_T0_E_clISt17integral_constantIbLb0EES18_IbLb1EEEEDaS14_S15_EUlS14_E_NS1_11comp_targetILNS1_3genE10ELNS1_11target_archE1200ELNS1_3gpuE4ELNS1_3repE0EEENS1_30default_config_static_selectorELNS0_4arch9wavefront6targetE1EEEvT1_
; %bb.0:
	.section	.rodata,"a",@progbits
	.p2align	6, 0x0
	.amdhsa_kernel _ZN7rocprim17ROCPRIM_400000_NS6detail17trampoline_kernelINS0_14default_configENS1_25partition_config_selectorILNS1_17partition_subalgoE1EsNS0_10empty_typeEbEEZZNS1_14partition_implILS5_1ELb0ES3_jN6thrust23THRUST_200600_302600_NS6detail15normal_iteratorINSA_10device_ptrIsEEEEPS6_NSA_18transform_iteratorI7is_evenIsESF_NSA_11use_defaultESK_EENS0_5tupleIJSF_SF_EEENSM_IJSG_SG_EEES6_PlJS6_EEE10hipError_tPvRmT3_T4_T5_T6_T7_T9_mT8_P12ihipStream_tbDpT10_ENKUlT_T0_E_clISt17integral_constantIbLb0EES18_IbLb1EEEEDaS14_S15_EUlS14_E_NS1_11comp_targetILNS1_3genE10ELNS1_11target_archE1200ELNS1_3gpuE4ELNS1_3repE0EEENS1_30default_config_static_selectorELNS0_4arch9wavefront6targetE1EEEvT1_
		.amdhsa_group_segment_fixed_size 0
		.amdhsa_private_segment_fixed_size 0
		.amdhsa_kernarg_size 144
		.amdhsa_user_sgpr_count 6
		.amdhsa_user_sgpr_private_segment_buffer 1
		.amdhsa_user_sgpr_dispatch_ptr 0
		.amdhsa_user_sgpr_queue_ptr 0
		.amdhsa_user_sgpr_kernarg_segment_ptr 1
		.amdhsa_user_sgpr_dispatch_id 0
		.amdhsa_user_sgpr_flat_scratch_init 0
		.amdhsa_user_sgpr_kernarg_preload_length 0
		.amdhsa_user_sgpr_kernarg_preload_offset 0
		.amdhsa_user_sgpr_private_segment_size 0
		.amdhsa_uses_dynamic_stack 0
		.amdhsa_system_sgpr_private_segment_wavefront_offset 0
		.amdhsa_system_sgpr_workgroup_id_x 1
		.amdhsa_system_sgpr_workgroup_id_y 0
		.amdhsa_system_sgpr_workgroup_id_z 0
		.amdhsa_system_sgpr_workgroup_info 0
		.amdhsa_system_vgpr_workitem_id 0
		.amdhsa_next_free_vgpr 1
		.amdhsa_next_free_sgpr 0
		.amdhsa_accum_offset 4
		.amdhsa_reserve_vcc 0
		.amdhsa_reserve_flat_scratch 0
		.amdhsa_float_round_mode_32 0
		.amdhsa_float_round_mode_16_64 0
		.amdhsa_float_denorm_mode_32 3
		.amdhsa_float_denorm_mode_16_64 3
		.amdhsa_dx10_clamp 1
		.amdhsa_ieee_mode 1
		.amdhsa_fp16_overflow 0
		.amdhsa_tg_split 0
		.amdhsa_exception_fp_ieee_invalid_op 0
		.amdhsa_exception_fp_denorm_src 0
		.amdhsa_exception_fp_ieee_div_zero 0
		.amdhsa_exception_fp_ieee_overflow 0
		.amdhsa_exception_fp_ieee_underflow 0
		.amdhsa_exception_fp_ieee_inexact 0
		.amdhsa_exception_int_div_zero 0
	.end_amdhsa_kernel
	.section	.text._ZN7rocprim17ROCPRIM_400000_NS6detail17trampoline_kernelINS0_14default_configENS1_25partition_config_selectorILNS1_17partition_subalgoE1EsNS0_10empty_typeEbEEZZNS1_14partition_implILS5_1ELb0ES3_jN6thrust23THRUST_200600_302600_NS6detail15normal_iteratorINSA_10device_ptrIsEEEEPS6_NSA_18transform_iteratorI7is_evenIsESF_NSA_11use_defaultESK_EENS0_5tupleIJSF_SF_EEENSM_IJSG_SG_EEES6_PlJS6_EEE10hipError_tPvRmT3_T4_T5_T6_T7_T9_mT8_P12ihipStream_tbDpT10_ENKUlT_T0_E_clISt17integral_constantIbLb0EES18_IbLb1EEEEDaS14_S15_EUlS14_E_NS1_11comp_targetILNS1_3genE10ELNS1_11target_archE1200ELNS1_3gpuE4ELNS1_3repE0EEENS1_30default_config_static_selectorELNS0_4arch9wavefront6targetE1EEEvT1_,"axG",@progbits,_ZN7rocprim17ROCPRIM_400000_NS6detail17trampoline_kernelINS0_14default_configENS1_25partition_config_selectorILNS1_17partition_subalgoE1EsNS0_10empty_typeEbEEZZNS1_14partition_implILS5_1ELb0ES3_jN6thrust23THRUST_200600_302600_NS6detail15normal_iteratorINSA_10device_ptrIsEEEEPS6_NSA_18transform_iteratorI7is_evenIsESF_NSA_11use_defaultESK_EENS0_5tupleIJSF_SF_EEENSM_IJSG_SG_EEES6_PlJS6_EEE10hipError_tPvRmT3_T4_T5_T6_T7_T9_mT8_P12ihipStream_tbDpT10_ENKUlT_T0_E_clISt17integral_constantIbLb0EES18_IbLb1EEEEDaS14_S15_EUlS14_E_NS1_11comp_targetILNS1_3genE10ELNS1_11target_archE1200ELNS1_3gpuE4ELNS1_3repE0EEENS1_30default_config_static_selectorELNS0_4arch9wavefront6targetE1EEEvT1_,comdat
.Lfunc_end478:
	.size	_ZN7rocprim17ROCPRIM_400000_NS6detail17trampoline_kernelINS0_14default_configENS1_25partition_config_selectorILNS1_17partition_subalgoE1EsNS0_10empty_typeEbEEZZNS1_14partition_implILS5_1ELb0ES3_jN6thrust23THRUST_200600_302600_NS6detail15normal_iteratorINSA_10device_ptrIsEEEEPS6_NSA_18transform_iteratorI7is_evenIsESF_NSA_11use_defaultESK_EENS0_5tupleIJSF_SF_EEENSM_IJSG_SG_EEES6_PlJS6_EEE10hipError_tPvRmT3_T4_T5_T6_T7_T9_mT8_P12ihipStream_tbDpT10_ENKUlT_T0_E_clISt17integral_constantIbLb0EES18_IbLb1EEEEDaS14_S15_EUlS14_E_NS1_11comp_targetILNS1_3genE10ELNS1_11target_archE1200ELNS1_3gpuE4ELNS1_3repE0EEENS1_30default_config_static_selectorELNS0_4arch9wavefront6targetE1EEEvT1_, .Lfunc_end478-_ZN7rocprim17ROCPRIM_400000_NS6detail17trampoline_kernelINS0_14default_configENS1_25partition_config_selectorILNS1_17partition_subalgoE1EsNS0_10empty_typeEbEEZZNS1_14partition_implILS5_1ELb0ES3_jN6thrust23THRUST_200600_302600_NS6detail15normal_iteratorINSA_10device_ptrIsEEEEPS6_NSA_18transform_iteratorI7is_evenIsESF_NSA_11use_defaultESK_EENS0_5tupleIJSF_SF_EEENSM_IJSG_SG_EEES6_PlJS6_EEE10hipError_tPvRmT3_T4_T5_T6_T7_T9_mT8_P12ihipStream_tbDpT10_ENKUlT_T0_E_clISt17integral_constantIbLb0EES18_IbLb1EEEEDaS14_S15_EUlS14_E_NS1_11comp_targetILNS1_3genE10ELNS1_11target_archE1200ELNS1_3gpuE4ELNS1_3repE0EEENS1_30default_config_static_selectorELNS0_4arch9wavefront6targetE1EEEvT1_
                                        ; -- End function
	.section	.AMDGPU.csdata,"",@progbits
; Kernel info:
; codeLenInByte = 0
; NumSgprs: 4
; NumVgprs: 0
; NumAgprs: 0
; TotalNumVgprs: 0
; ScratchSize: 0
; MemoryBound: 0
; FloatMode: 240
; IeeeMode: 1
; LDSByteSize: 0 bytes/workgroup (compile time only)
; SGPRBlocks: 0
; VGPRBlocks: 0
; NumSGPRsForWavesPerEU: 4
; NumVGPRsForWavesPerEU: 1
; AccumOffset: 4
; Occupancy: 8
; WaveLimiterHint : 0
; COMPUTE_PGM_RSRC2:SCRATCH_EN: 0
; COMPUTE_PGM_RSRC2:USER_SGPR: 6
; COMPUTE_PGM_RSRC2:TRAP_HANDLER: 0
; COMPUTE_PGM_RSRC2:TGID_X_EN: 1
; COMPUTE_PGM_RSRC2:TGID_Y_EN: 0
; COMPUTE_PGM_RSRC2:TGID_Z_EN: 0
; COMPUTE_PGM_RSRC2:TIDIG_COMP_CNT: 0
; COMPUTE_PGM_RSRC3_GFX90A:ACCUM_OFFSET: 0
; COMPUTE_PGM_RSRC3_GFX90A:TG_SPLIT: 0
	.section	.text._ZN7rocprim17ROCPRIM_400000_NS6detail17trampoline_kernelINS0_14default_configENS1_25partition_config_selectorILNS1_17partition_subalgoE1EsNS0_10empty_typeEbEEZZNS1_14partition_implILS5_1ELb0ES3_jN6thrust23THRUST_200600_302600_NS6detail15normal_iteratorINSA_10device_ptrIsEEEEPS6_NSA_18transform_iteratorI7is_evenIsESF_NSA_11use_defaultESK_EENS0_5tupleIJSF_SF_EEENSM_IJSG_SG_EEES6_PlJS6_EEE10hipError_tPvRmT3_T4_T5_T6_T7_T9_mT8_P12ihipStream_tbDpT10_ENKUlT_T0_E_clISt17integral_constantIbLb0EES18_IbLb1EEEEDaS14_S15_EUlS14_E_NS1_11comp_targetILNS1_3genE9ELNS1_11target_archE1100ELNS1_3gpuE3ELNS1_3repE0EEENS1_30default_config_static_selectorELNS0_4arch9wavefront6targetE1EEEvT1_,"axG",@progbits,_ZN7rocprim17ROCPRIM_400000_NS6detail17trampoline_kernelINS0_14default_configENS1_25partition_config_selectorILNS1_17partition_subalgoE1EsNS0_10empty_typeEbEEZZNS1_14partition_implILS5_1ELb0ES3_jN6thrust23THRUST_200600_302600_NS6detail15normal_iteratorINSA_10device_ptrIsEEEEPS6_NSA_18transform_iteratorI7is_evenIsESF_NSA_11use_defaultESK_EENS0_5tupleIJSF_SF_EEENSM_IJSG_SG_EEES6_PlJS6_EEE10hipError_tPvRmT3_T4_T5_T6_T7_T9_mT8_P12ihipStream_tbDpT10_ENKUlT_T0_E_clISt17integral_constantIbLb0EES18_IbLb1EEEEDaS14_S15_EUlS14_E_NS1_11comp_targetILNS1_3genE9ELNS1_11target_archE1100ELNS1_3gpuE3ELNS1_3repE0EEENS1_30default_config_static_selectorELNS0_4arch9wavefront6targetE1EEEvT1_,comdat
	.protected	_ZN7rocprim17ROCPRIM_400000_NS6detail17trampoline_kernelINS0_14default_configENS1_25partition_config_selectorILNS1_17partition_subalgoE1EsNS0_10empty_typeEbEEZZNS1_14partition_implILS5_1ELb0ES3_jN6thrust23THRUST_200600_302600_NS6detail15normal_iteratorINSA_10device_ptrIsEEEEPS6_NSA_18transform_iteratorI7is_evenIsESF_NSA_11use_defaultESK_EENS0_5tupleIJSF_SF_EEENSM_IJSG_SG_EEES6_PlJS6_EEE10hipError_tPvRmT3_T4_T5_T6_T7_T9_mT8_P12ihipStream_tbDpT10_ENKUlT_T0_E_clISt17integral_constantIbLb0EES18_IbLb1EEEEDaS14_S15_EUlS14_E_NS1_11comp_targetILNS1_3genE9ELNS1_11target_archE1100ELNS1_3gpuE3ELNS1_3repE0EEENS1_30default_config_static_selectorELNS0_4arch9wavefront6targetE1EEEvT1_ ; -- Begin function _ZN7rocprim17ROCPRIM_400000_NS6detail17trampoline_kernelINS0_14default_configENS1_25partition_config_selectorILNS1_17partition_subalgoE1EsNS0_10empty_typeEbEEZZNS1_14partition_implILS5_1ELb0ES3_jN6thrust23THRUST_200600_302600_NS6detail15normal_iteratorINSA_10device_ptrIsEEEEPS6_NSA_18transform_iteratorI7is_evenIsESF_NSA_11use_defaultESK_EENS0_5tupleIJSF_SF_EEENSM_IJSG_SG_EEES6_PlJS6_EEE10hipError_tPvRmT3_T4_T5_T6_T7_T9_mT8_P12ihipStream_tbDpT10_ENKUlT_T0_E_clISt17integral_constantIbLb0EES18_IbLb1EEEEDaS14_S15_EUlS14_E_NS1_11comp_targetILNS1_3genE9ELNS1_11target_archE1100ELNS1_3gpuE3ELNS1_3repE0EEENS1_30default_config_static_selectorELNS0_4arch9wavefront6targetE1EEEvT1_
	.globl	_ZN7rocprim17ROCPRIM_400000_NS6detail17trampoline_kernelINS0_14default_configENS1_25partition_config_selectorILNS1_17partition_subalgoE1EsNS0_10empty_typeEbEEZZNS1_14partition_implILS5_1ELb0ES3_jN6thrust23THRUST_200600_302600_NS6detail15normal_iteratorINSA_10device_ptrIsEEEEPS6_NSA_18transform_iteratorI7is_evenIsESF_NSA_11use_defaultESK_EENS0_5tupleIJSF_SF_EEENSM_IJSG_SG_EEES6_PlJS6_EEE10hipError_tPvRmT3_T4_T5_T6_T7_T9_mT8_P12ihipStream_tbDpT10_ENKUlT_T0_E_clISt17integral_constantIbLb0EES18_IbLb1EEEEDaS14_S15_EUlS14_E_NS1_11comp_targetILNS1_3genE9ELNS1_11target_archE1100ELNS1_3gpuE3ELNS1_3repE0EEENS1_30default_config_static_selectorELNS0_4arch9wavefront6targetE1EEEvT1_
	.p2align	8
	.type	_ZN7rocprim17ROCPRIM_400000_NS6detail17trampoline_kernelINS0_14default_configENS1_25partition_config_selectorILNS1_17partition_subalgoE1EsNS0_10empty_typeEbEEZZNS1_14partition_implILS5_1ELb0ES3_jN6thrust23THRUST_200600_302600_NS6detail15normal_iteratorINSA_10device_ptrIsEEEEPS6_NSA_18transform_iteratorI7is_evenIsESF_NSA_11use_defaultESK_EENS0_5tupleIJSF_SF_EEENSM_IJSG_SG_EEES6_PlJS6_EEE10hipError_tPvRmT3_T4_T5_T6_T7_T9_mT8_P12ihipStream_tbDpT10_ENKUlT_T0_E_clISt17integral_constantIbLb0EES18_IbLb1EEEEDaS14_S15_EUlS14_E_NS1_11comp_targetILNS1_3genE9ELNS1_11target_archE1100ELNS1_3gpuE3ELNS1_3repE0EEENS1_30default_config_static_selectorELNS0_4arch9wavefront6targetE1EEEvT1_,@function
_ZN7rocprim17ROCPRIM_400000_NS6detail17trampoline_kernelINS0_14default_configENS1_25partition_config_selectorILNS1_17partition_subalgoE1EsNS0_10empty_typeEbEEZZNS1_14partition_implILS5_1ELb0ES3_jN6thrust23THRUST_200600_302600_NS6detail15normal_iteratorINSA_10device_ptrIsEEEEPS6_NSA_18transform_iteratorI7is_evenIsESF_NSA_11use_defaultESK_EENS0_5tupleIJSF_SF_EEENSM_IJSG_SG_EEES6_PlJS6_EEE10hipError_tPvRmT3_T4_T5_T6_T7_T9_mT8_P12ihipStream_tbDpT10_ENKUlT_T0_E_clISt17integral_constantIbLb0EES18_IbLb1EEEEDaS14_S15_EUlS14_E_NS1_11comp_targetILNS1_3genE9ELNS1_11target_archE1100ELNS1_3gpuE3ELNS1_3repE0EEENS1_30default_config_static_selectorELNS0_4arch9wavefront6targetE1EEEvT1_: ; @_ZN7rocprim17ROCPRIM_400000_NS6detail17trampoline_kernelINS0_14default_configENS1_25partition_config_selectorILNS1_17partition_subalgoE1EsNS0_10empty_typeEbEEZZNS1_14partition_implILS5_1ELb0ES3_jN6thrust23THRUST_200600_302600_NS6detail15normal_iteratorINSA_10device_ptrIsEEEEPS6_NSA_18transform_iteratorI7is_evenIsESF_NSA_11use_defaultESK_EENS0_5tupleIJSF_SF_EEENSM_IJSG_SG_EEES6_PlJS6_EEE10hipError_tPvRmT3_T4_T5_T6_T7_T9_mT8_P12ihipStream_tbDpT10_ENKUlT_T0_E_clISt17integral_constantIbLb0EES18_IbLb1EEEEDaS14_S15_EUlS14_E_NS1_11comp_targetILNS1_3genE9ELNS1_11target_archE1100ELNS1_3gpuE3ELNS1_3repE0EEENS1_30default_config_static_selectorELNS0_4arch9wavefront6targetE1EEEvT1_
; %bb.0:
	.section	.rodata,"a",@progbits
	.p2align	6, 0x0
	.amdhsa_kernel _ZN7rocprim17ROCPRIM_400000_NS6detail17trampoline_kernelINS0_14default_configENS1_25partition_config_selectorILNS1_17partition_subalgoE1EsNS0_10empty_typeEbEEZZNS1_14partition_implILS5_1ELb0ES3_jN6thrust23THRUST_200600_302600_NS6detail15normal_iteratorINSA_10device_ptrIsEEEEPS6_NSA_18transform_iteratorI7is_evenIsESF_NSA_11use_defaultESK_EENS0_5tupleIJSF_SF_EEENSM_IJSG_SG_EEES6_PlJS6_EEE10hipError_tPvRmT3_T4_T5_T6_T7_T9_mT8_P12ihipStream_tbDpT10_ENKUlT_T0_E_clISt17integral_constantIbLb0EES18_IbLb1EEEEDaS14_S15_EUlS14_E_NS1_11comp_targetILNS1_3genE9ELNS1_11target_archE1100ELNS1_3gpuE3ELNS1_3repE0EEENS1_30default_config_static_selectorELNS0_4arch9wavefront6targetE1EEEvT1_
		.amdhsa_group_segment_fixed_size 0
		.amdhsa_private_segment_fixed_size 0
		.amdhsa_kernarg_size 144
		.amdhsa_user_sgpr_count 6
		.amdhsa_user_sgpr_private_segment_buffer 1
		.amdhsa_user_sgpr_dispatch_ptr 0
		.amdhsa_user_sgpr_queue_ptr 0
		.amdhsa_user_sgpr_kernarg_segment_ptr 1
		.amdhsa_user_sgpr_dispatch_id 0
		.amdhsa_user_sgpr_flat_scratch_init 0
		.amdhsa_user_sgpr_kernarg_preload_length 0
		.amdhsa_user_sgpr_kernarg_preload_offset 0
		.amdhsa_user_sgpr_private_segment_size 0
		.amdhsa_uses_dynamic_stack 0
		.amdhsa_system_sgpr_private_segment_wavefront_offset 0
		.amdhsa_system_sgpr_workgroup_id_x 1
		.amdhsa_system_sgpr_workgroup_id_y 0
		.amdhsa_system_sgpr_workgroup_id_z 0
		.amdhsa_system_sgpr_workgroup_info 0
		.amdhsa_system_vgpr_workitem_id 0
		.amdhsa_next_free_vgpr 1
		.amdhsa_next_free_sgpr 0
		.amdhsa_accum_offset 4
		.amdhsa_reserve_vcc 0
		.amdhsa_reserve_flat_scratch 0
		.amdhsa_float_round_mode_32 0
		.amdhsa_float_round_mode_16_64 0
		.amdhsa_float_denorm_mode_32 3
		.amdhsa_float_denorm_mode_16_64 3
		.amdhsa_dx10_clamp 1
		.amdhsa_ieee_mode 1
		.amdhsa_fp16_overflow 0
		.amdhsa_tg_split 0
		.amdhsa_exception_fp_ieee_invalid_op 0
		.amdhsa_exception_fp_denorm_src 0
		.amdhsa_exception_fp_ieee_div_zero 0
		.amdhsa_exception_fp_ieee_overflow 0
		.amdhsa_exception_fp_ieee_underflow 0
		.amdhsa_exception_fp_ieee_inexact 0
		.amdhsa_exception_int_div_zero 0
	.end_amdhsa_kernel
	.section	.text._ZN7rocprim17ROCPRIM_400000_NS6detail17trampoline_kernelINS0_14default_configENS1_25partition_config_selectorILNS1_17partition_subalgoE1EsNS0_10empty_typeEbEEZZNS1_14partition_implILS5_1ELb0ES3_jN6thrust23THRUST_200600_302600_NS6detail15normal_iteratorINSA_10device_ptrIsEEEEPS6_NSA_18transform_iteratorI7is_evenIsESF_NSA_11use_defaultESK_EENS0_5tupleIJSF_SF_EEENSM_IJSG_SG_EEES6_PlJS6_EEE10hipError_tPvRmT3_T4_T5_T6_T7_T9_mT8_P12ihipStream_tbDpT10_ENKUlT_T0_E_clISt17integral_constantIbLb0EES18_IbLb1EEEEDaS14_S15_EUlS14_E_NS1_11comp_targetILNS1_3genE9ELNS1_11target_archE1100ELNS1_3gpuE3ELNS1_3repE0EEENS1_30default_config_static_selectorELNS0_4arch9wavefront6targetE1EEEvT1_,"axG",@progbits,_ZN7rocprim17ROCPRIM_400000_NS6detail17trampoline_kernelINS0_14default_configENS1_25partition_config_selectorILNS1_17partition_subalgoE1EsNS0_10empty_typeEbEEZZNS1_14partition_implILS5_1ELb0ES3_jN6thrust23THRUST_200600_302600_NS6detail15normal_iteratorINSA_10device_ptrIsEEEEPS6_NSA_18transform_iteratorI7is_evenIsESF_NSA_11use_defaultESK_EENS0_5tupleIJSF_SF_EEENSM_IJSG_SG_EEES6_PlJS6_EEE10hipError_tPvRmT3_T4_T5_T6_T7_T9_mT8_P12ihipStream_tbDpT10_ENKUlT_T0_E_clISt17integral_constantIbLb0EES18_IbLb1EEEEDaS14_S15_EUlS14_E_NS1_11comp_targetILNS1_3genE9ELNS1_11target_archE1100ELNS1_3gpuE3ELNS1_3repE0EEENS1_30default_config_static_selectorELNS0_4arch9wavefront6targetE1EEEvT1_,comdat
.Lfunc_end479:
	.size	_ZN7rocprim17ROCPRIM_400000_NS6detail17trampoline_kernelINS0_14default_configENS1_25partition_config_selectorILNS1_17partition_subalgoE1EsNS0_10empty_typeEbEEZZNS1_14partition_implILS5_1ELb0ES3_jN6thrust23THRUST_200600_302600_NS6detail15normal_iteratorINSA_10device_ptrIsEEEEPS6_NSA_18transform_iteratorI7is_evenIsESF_NSA_11use_defaultESK_EENS0_5tupleIJSF_SF_EEENSM_IJSG_SG_EEES6_PlJS6_EEE10hipError_tPvRmT3_T4_T5_T6_T7_T9_mT8_P12ihipStream_tbDpT10_ENKUlT_T0_E_clISt17integral_constantIbLb0EES18_IbLb1EEEEDaS14_S15_EUlS14_E_NS1_11comp_targetILNS1_3genE9ELNS1_11target_archE1100ELNS1_3gpuE3ELNS1_3repE0EEENS1_30default_config_static_selectorELNS0_4arch9wavefront6targetE1EEEvT1_, .Lfunc_end479-_ZN7rocprim17ROCPRIM_400000_NS6detail17trampoline_kernelINS0_14default_configENS1_25partition_config_selectorILNS1_17partition_subalgoE1EsNS0_10empty_typeEbEEZZNS1_14partition_implILS5_1ELb0ES3_jN6thrust23THRUST_200600_302600_NS6detail15normal_iteratorINSA_10device_ptrIsEEEEPS6_NSA_18transform_iteratorI7is_evenIsESF_NSA_11use_defaultESK_EENS0_5tupleIJSF_SF_EEENSM_IJSG_SG_EEES6_PlJS6_EEE10hipError_tPvRmT3_T4_T5_T6_T7_T9_mT8_P12ihipStream_tbDpT10_ENKUlT_T0_E_clISt17integral_constantIbLb0EES18_IbLb1EEEEDaS14_S15_EUlS14_E_NS1_11comp_targetILNS1_3genE9ELNS1_11target_archE1100ELNS1_3gpuE3ELNS1_3repE0EEENS1_30default_config_static_selectorELNS0_4arch9wavefront6targetE1EEEvT1_
                                        ; -- End function
	.section	.AMDGPU.csdata,"",@progbits
; Kernel info:
; codeLenInByte = 0
; NumSgprs: 4
; NumVgprs: 0
; NumAgprs: 0
; TotalNumVgprs: 0
; ScratchSize: 0
; MemoryBound: 0
; FloatMode: 240
; IeeeMode: 1
; LDSByteSize: 0 bytes/workgroup (compile time only)
; SGPRBlocks: 0
; VGPRBlocks: 0
; NumSGPRsForWavesPerEU: 4
; NumVGPRsForWavesPerEU: 1
; AccumOffset: 4
; Occupancy: 8
; WaveLimiterHint : 0
; COMPUTE_PGM_RSRC2:SCRATCH_EN: 0
; COMPUTE_PGM_RSRC2:USER_SGPR: 6
; COMPUTE_PGM_RSRC2:TRAP_HANDLER: 0
; COMPUTE_PGM_RSRC2:TGID_X_EN: 1
; COMPUTE_PGM_RSRC2:TGID_Y_EN: 0
; COMPUTE_PGM_RSRC2:TGID_Z_EN: 0
; COMPUTE_PGM_RSRC2:TIDIG_COMP_CNT: 0
; COMPUTE_PGM_RSRC3_GFX90A:ACCUM_OFFSET: 0
; COMPUTE_PGM_RSRC3_GFX90A:TG_SPLIT: 0
	.section	.text._ZN7rocprim17ROCPRIM_400000_NS6detail17trampoline_kernelINS0_14default_configENS1_25partition_config_selectorILNS1_17partition_subalgoE1EsNS0_10empty_typeEbEEZZNS1_14partition_implILS5_1ELb0ES3_jN6thrust23THRUST_200600_302600_NS6detail15normal_iteratorINSA_10device_ptrIsEEEEPS6_NSA_18transform_iteratorI7is_evenIsESF_NSA_11use_defaultESK_EENS0_5tupleIJSF_SF_EEENSM_IJSG_SG_EEES6_PlJS6_EEE10hipError_tPvRmT3_T4_T5_T6_T7_T9_mT8_P12ihipStream_tbDpT10_ENKUlT_T0_E_clISt17integral_constantIbLb0EES18_IbLb1EEEEDaS14_S15_EUlS14_E_NS1_11comp_targetILNS1_3genE8ELNS1_11target_archE1030ELNS1_3gpuE2ELNS1_3repE0EEENS1_30default_config_static_selectorELNS0_4arch9wavefront6targetE1EEEvT1_,"axG",@progbits,_ZN7rocprim17ROCPRIM_400000_NS6detail17trampoline_kernelINS0_14default_configENS1_25partition_config_selectorILNS1_17partition_subalgoE1EsNS0_10empty_typeEbEEZZNS1_14partition_implILS5_1ELb0ES3_jN6thrust23THRUST_200600_302600_NS6detail15normal_iteratorINSA_10device_ptrIsEEEEPS6_NSA_18transform_iteratorI7is_evenIsESF_NSA_11use_defaultESK_EENS0_5tupleIJSF_SF_EEENSM_IJSG_SG_EEES6_PlJS6_EEE10hipError_tPvRmT3_T4_T5_T6_T7_T9_mT8_P12ihipStream_tbDpT10_ENKUlT_T0_E_clISt17integral_constantIbLb0EES18_IbLb1EEEEDaS14_S15_EUlS14_E_NS1_11comp_targetILNS1_3genE8ELNS1_11target_archE1030ELNS1_3gpuE2ELNS1_3repE0EEENS1_30default_config_static_selectorELNS0_4arch9wavefront6targetE1EEEvT1_,comdat
	.protected	_ZN7rocprim17ROCPRIM_400000_NS6detail17trampoline_kernelINS0_14default_configENS1_25partition_config_selectorILNS1_17partition_subalgoE1EsNS0_10empty_typeEbEEZZNS1_14partition_implILS5_1ELb0ES3_jN6thrust23THRUST_200600_302600_NS6detail15normal_iteratorINSA_10device_ptrIsEEEEPS6_NSA_18transform_iteratorI7is_evenIsESF_NSA_11use_defaultESK_EENS0_5tupleIJSF_SF_EEENSM_IJSG_SG_EEES6_PlJS6_EEE10hipError_tPvRmT3_T4_T5_T6_T7_T9_mT8_P12ihipStream_tbDpT10_ENKUlT_T0_E_clISt17integral_constantIbLb0EES18_IbLb1EEEEDaS14_S15_EUlS14_E_NS1_11comp_targetILNS1_3genE8ELNS1_11target_archE1030ELNS1_3gpuE2ELNS1_3repE0EEENS1_30default_config_static_selectorELNS0_4arch9wavefront6targetE1EEEvT1_ ; -- Begin function _ZN7rocprim17ROCPRIM_400000_NS6detail17trampoline_kernelINS0_14default_configENS1_25partition_config_selectorILNS1_17partition_subalgoE1EsNS0_10empty_typeEbEEZZNS1_14partition_implILS5_1ELb0ES3_jN6thrust23THRUST_200600_302600_NS6detail15normal_iteratorINSA_10device_ptrIsEEEEPS6_NSA_18transform_iteratorI7is_evenIsESF_NSA_11use_defaultESK_EENS0_5tupleIJSF_SF_EEENSM_IJSG_SG_EEES6_PlJS6_EEE10hipError_tPvRmT3_T4_T5_T6_T7_T9_mT8_P12ihipStream_tbDpT10_ENKUlT_T0_E_clISt17integral_constantIbLb0EES18_IbLb1EEEEDaS14_S15_EUlS14_E_NS1_11comp_targetILNS1_3genE8ELNS1_11target_archE1030ELNS1_3gpuE2ELNS1_3repE0EEENS1_30default_config_static_selectorELNS0_4arch9wavefront6targetE1EEEvT1_
	.globl	_ZN7rocprim17ROCPRIM_400000_NS6detail17trampoline_kernelINS0_14default_configENS1_25partition_config_selectorILNS1_17partition_subalgoE1EsNS0_10empty_typeEbEEZZNS1_14partition_implILS5_1ELb0ES3_jN6thrust23THRUST_200600_302600_NS6detail15normal_iteratorINSA_10device_ptrIsEEEEPS6_NSA_18transform_iteratorI7is_evenIsESF_NSA_11use_defaultESK_EENS0_5tupleIJSF_SF_EEENSM_IJSG_SG_EEES6_PlJS6_EEE10hipError_tPvRmT3_T4_T5_T6_T7_T9_mT8_P12ihipStream_tbDpT10_ENKUlT_T0_E_clISt17integral_constantIbLb0EES18_IbLb1EEEEDaS14_S15_EUlS14_E_NS1_11comp_targetILNS1_3genE8ELNS1_11target_archE1030ELNS1_3gpuE2ELNS1_3repE0EEENS1_30default_config_static_selectorELNS0_4arch9wavefront6targetE1EEEvT1_
	.p2align	8
	.type	_ZN7rocprim17ROCPRIM_400000_NS6detail17trampoline_kernelINS0_14default_configENS1_25partition_config_selectorILNS1_17partition_subalgoE1EsNS0_10empty_typeEbEEZZNS1_14partition_implILS5_1ELb0ES3_jN6thrust23THRUST_200600_302600_NS6detail15normal_iteratorINSA_10device_ptrIsEEEEPS6_NSA_18transform_iteratorI7is_evenIsESF_NSA_11use_defaultESK_EENS0_5tupleIJSF_SF_EEENSM_IJSG_SG_EEES6_PlJS6_EEE10hipError_tPvRmT3_T4_T5_T6_T7_T9_mT8_P12ihipStream_tbDpT10_ENKUlT_T0_E_clISt17integral_constantIbLb0EES18_IbLb1EEEEDaS14_S15_EUlS14_E_NS1_11comp_targetILNS1_3genE8ELNS1_11target_archE1030ELNS1_3gpuE2ELNS1_3repE0EEENS1_30default_config_static_selectorELNS0_4arch9wavefront6targetE1EEEvT1_,@function
_ZN7rocprim17ROCPRIM_400000_NS6detail17trampoline_kernelINS0_14default_configENS1_25partition_config_selectorILNS1_17partition_subalgoE1EsNS0_10empty_typeEbEEZZNS1_14partition_implILS5_1ELb0ES3_jN6thrust23THRUST_200600_302600_NS6detail15normal_iteratorINSA_10device_ptrIsEEEEPS6_NSA_18transform_iteratorI7is_evenIsESF_NSA_11use_defaultESK_EENS0_5tupleIJSF_SF_EEENSM_IJSG_SG_EEES6_PlJS6_EEE10hipError_tPvRmT3_T4_T5_T6_T7_T9_mT8_P12ihipStream_tbDpT10_ENKUlT_T0_E_clISt17integral_constantIbLb0EES18_IbLb1EEEEDaS14_S15_EUlS14_E_NS1_11comp_targetILNS1_3genE8ELNS1_11target_archE1030ELNS1_3gpuE2ELNS1_3repE0EEENS1_30default_config_static_selectorELNS0_4arch9wavefront6targetE1EEEvT1_: ; @_ZN7rocprim17ROCPRIM_400000_NS6detail17trampoline_kernelINS0_14default_configENS1_25partition_config_selectorILNS1_17partition_subalgoE1EsNS0_10empty_typeEbEEZZNS1_14partition_implILS5_1ELb0ES3_jN6thrust23THRUST_200600_302600_NS6detail15normal_iteratorINSA_10device_ptrIsEEEEPS6_NSA_18transform_iteratorI7is_evenIsESF_NSA_11use_defaultESK_EENS0_5tupleIJSF_SF_EEENSM_IJSG_SG_EEES6_PlJS6_EEE10hipError_tPvRmT3_T4_T5_T6_T7_T9_mT8_P12ihipStream_tbDpT10_ENKUlT_T0_E_clISt17integral_constantIbLb0EES18_IbLb1EEEEDaS14_S15_EUlS14_E_NS1_11comp_targetILNS1_3genE8ELNS1_11target_archE1030ELNS1_3gpuE2ELNS1_3repE0EEENS1_30default_config_static_selectorELNS0_4arch9wavefront6targetE1EEEvT1_
; %bb.0:
	.section	.rodata,"a",@progbits
	.p2align	6, 0x0
	.amdhsa_kernel _ZN7rocprim17ROCPRIM_400000_NS6detail17trampoline_kernelINS0_14default_configENS1_25partition_config_selectorILNS1_17partition_subalgoE1EsNS0_10empty_typeEbEEZZNS1_14partition_implILS5_1ELb0ES3_jN6thrust23THRUST_200600_302600_NS6detail15normal_iteratorINSA_10device_ptrIsEEEEPS6_NSA_18transform_iteratorI7is_evenIsESF_NSA_11use_defaultESK_EENS0_5tupleIJSF_SF_EEENSM_IJSG_SG_EEES6_PlJS6_EEE10hipError_tPvRmT3_T4_T5_T6_T7_T9_mT8_P12ihipStream_tbDpT10_ENKUlT_T0_E_clISt17integral_constantIbLb0EES18_IbLb1EEEEDaS14_S15_EUlS14_E_NS1_11comp_targetILNS1_3genE8ELNS1_11target_archE1030ELNS1_3gpuE2ELNS1_3repE0EEENS1_30default_config_static_selectorELNS0_4arch9wavefront6targetE1EEEvT1_
		.amdhsa_group_segment_fixed_size 0
		.amdhsa_private_segment_fixed_size 0
		.amdhsa_kernarg_size 144
		.amdhsa_user_sgpr_count 6
		.amdhsa_user_sgpr_private_segment_buffer 1
		.amdhsa_user_sgpr_dispatch_ptr 0
		.amdhsa_user_sgpr_queue_ptr 0
		.amdhsa_user_sgpr_kernarg_segment_ptr 1
		.amdhsa_user_sgpr_dispatch_id 0
		.amdhsa_user_sgpr_flat_scratch_init 0
		.amdhsa_user_sgpr_kernarg_preload_length 0
		.amdhsa_user_sgpr_kernarg_preload_offset 0
		.amdhsa_user_sgpr_private_segment_size 0
		.amdhsa_uses_dynamic_stack 0
		.amdhsa_system_sgpr_private_segment_wavefront_offset 0
		.amdhsa_system_sgpr_workgroup_id_x 1
		.amdhsa_system_sgpr_workgroup_id_y 0
		.amdhsa_system_sgpr_workgroup_id_z 0
		.amdhsa_system_sgpr_workgroup_info 0
		.amdhsa_system_vgpr_workitem_id 0
		.amdhsa_next_free_vgpr 1
		.amdhsa_next_free_sgpr 0
		.amdhsa_accum_offset 4
		.amdhsa_reserve_vcc 0
		.amdhsa_reserve_flat_scratch 0
		.amdhsa_float_round_mode_32 0
		.amdhsa_float_round_mode_16_64 0
		.amdhsa_float_denorm_mode_32 3
		.amdhsa_float_denorm_mode_16_64 3
		.amdhsa_dx10_clamp 1
		.amdhsa_ieee_mode 1
		.amdhsa_fp16_overflow 0
		.amdhsa_tg_split 0
		.amdhsa_exception_fp_ieee_invalid_op 0
		.amdhsa_exception_fp_denorm_src 0
		.amdhsa_exception_fp_ieee_div_zero 0
		.amdhsa_exception_fp_ieee_overflow 0
		.amdhsa_exception_fp_ieee_underflow 0
		.amdhsa_exception_fp_ieee_inexact 0
		.amdhsa_exception_int_div_zero 0
	.end_amdhsa_kernel
	.section	.text._ZN7rocprim17ROCPRIM_400000_NS6detail17trampoline_kernelINS0_14default_configENS1_25partition_config_selectorILNS1_17partition_subalgoE1EsNS0_10empty_typeEbEEZZNS1_14partition_implILS5_1ELb0ES3_jN6thrust23THRUST_200600_302600_NS6detail15normal_iteratorINSA_10device_ptrIsEEEEPS6_NSA_18transform_iteratorI7is_evenIsESF_NSA_11use_defaultESK_EENS0_5tupleIJSF_SF_EEENSM_IJSG_SG_EEES6_PlJS6_EEE10hipError_tPvRmT3_T4_T5_T6_T7_T9_mT8_P12ihipStream_tbDpT10_ENKUlT_T0_E_clISt17integral_constantIbLb0EES18_IbLb1EEEEDaS14_S15_EUlS14_E_NS1_11comp_targetILNS1_3genE8ELNS1_11target_archE1030ELNS1_3gpuE2ELNS1_3repE0EEENS1_30default_config_static_selectorELNS0_4arch9wavefront6targetE1EEEvT1_,"axG",@progbits,_ZN7rocprim17ROCPRIM_400000_NS6detail17trampoline_kernelINS0_14default_configENS1_25partition_config_selectorILNS1_17partition_subalgoE1EsNS0_10empty_typeEbEEZZNS1_14partition_implILS5_1ELb0ES3_jN6thrust23THRUST_200600_302600_NS6detail15normal_iteratorINSA_10device_ptrIsEEEEPS6_NSA_18transform_iteratorI7is_evenIsESF_NSA_11use_defaultESK_EENS0_5tupleIJSF_SF_EEENSM_IJSG_SG_EEES6_PlJS6_EEE10hipError_tPvRmT3_T4_T5_T6_T7_T9_mT8_P12ihipStream_tbDpT10_ENKUlT_T0_E_clISt17integral_constantIbLb0EES18_IbLb1EEEEDaS14_S15_EUlS14_E_NS1_11comp_targetILNS1_3genE8ELNS1_11target_archE1030ELNS1_3gpuE2ELNS1_3repE0EEENS1_30default_config_static_selectorELNS0_4arch9wavefront6targetE1EEEvT1_,comdat
.Lfunc_end480:
	.size	_ZN7rocprim17ROCPRIM_400000_NS6detail17trampoline_kernelINS0_14default_configENS1_25partition_config_selectorILNS1_17partition_subalgoE1EsNS0_10empty_typeEbEEZZNS1_14partition_implILS5_1ELb0ES3_jN6thrust23THRUST_200600_302600_NS6detail15normal_iteratorINSA_10device_ptrIsEEEEPS6_NSA_18transform_iteratorI7is_evenIsESF_NSA_11use_defaultESK_EENS0_5tupleIJSF_SF_EEENSM_IJSG_SG_EEES6_PlJS6_EEE10hipError_tPvRmT3_T4_T5_T6_T7_T9_mT8_P12ihipStream_tbDpT10_ENKUlT_T0_E_clISt17integral_constantIbLb0EES18_IbLb1EEEEDaS14_S15_EUlS14_E_NS1_11comp_targetILNS1_3genE8ELNS1_11target_archE1030ELNS1_3gpuE2ELNS1_3repE0EEENS1_30default_config_static_selectorELNS0_4arch9wavefront6targetE1EEEvT1_, .Lfunc_end480-_ZN7rocprim17ROCPRIM_400000_NS6detail17trampoline_kernelINS0_14default_configENS1_25partition_config_selectorILNS1_17partition_subalgoE1EsNS0_10empty_typeEbEEZZNS1_14partition_implILS5_1ELb0ES3_jN6thrust23THRUST_200600_302600_NS6detail15normal_iteratorINSA_10device_ptrIsEEEEPS6_NSA_18transform_iteratorI7is_evenIsESF_NSA_11use_defaultESK_EENS0_5tupleIJSF_SF_EEENSM_IJSG_SG_EEES6_PlJS6_EEE10hipError_tPvRmT3_T4_T5_T6_T7_T9_mT8_P12ihipStream_tbDpT10_ENKUlT_T0_E_clISt17integral_constantIbLb0EES18_IbLb1EEEEDaS14_S15_EUlS14_E_NS1_11comp_targetILNS1_3genE8ELNS1_11target_archE1030ELNS1_3gpuE2ELNS1_3repE0EEENS1_30default_config_static_selectorELNS0_4arch9wavefront6targetE1EEEvT1_
                                        ; -- End function
	.section	.AMDGPU.csdata,"",@progbits
; Kernel info:
; codeLenInByte = 0
; NumSgprs: 4
; NumVgprs: 0
; NumAgprs: 0
; TotalNumVgprs: 0
; ScratchSize: 0
; MemoryBound: 0
; FloatMode: 240
; IeeeMode: 1
; LDSByteSize: 0 bytes/workgroup (compile time only)
; SGPRBlocks: 0
; VGPRBlocks: 0
; NumSGPRsForWavesPerEU: 4
; NumVGPRsForWavesPerEU: 1
; AccumOffset: 4
; Occupancy: 8
; WaveLimiterHint : 0
; COMPUTE_PGM_RSRC2:SCRATCH_EN: 0
; COMPUTE_PGM_RSRC2:USER_SGPR: 6
; COMPUTE_PGM_RSRC2:TRAP_HANDLER: 0
; COMPUTE_PGM_RSRC2:TGID_X_EN: 1
; COMPUTE_PGM_RSRC2:TGID_Y_EN: 0
; COMPUTE_PGM_RSRC2:TGID_Z_EN: 0
; COMPUTE_PGM_RSRC2:TIDIG_COMP_CNT: 0
; COMPUTE_PGM_RSRC3_GFX90A:ACCUM_OFFSET: 0
; COMPUTE_PGM_RSRC3_GFX90A:TG_SPLIT: 0
	.section	.text._ZN7rocprim17ROCPRIM_400000_NS6detail17trampoline_kernelINS0_14default_configENS1_25partition_config_selectorILNS1_17partition_subalgoE2ExNS0_10empty_typeEbEEZZNS1_14partition_implILS5_2ELb0ES3_jN6thrust23THRUST_200600_302600_NS6detail15normal_iteratorINSA_7pointerIxNSA_11hip_rocprim3tagENSA_11use_defaultESG_EEEEPS6_NSA_18transform_iteratorINSA_8identityIxEENSC_INSA_10device_ptrIxEEEESG_SG_EENS0_5tupleIJPxSJ_EEENSR_IJSJ_SJ_EEES6_PlJS6_EEE10hipError_tPvRmT3_T4_T5_T6_T7_T9_mT8_P12ihipStream_tbDpT10_ENKUlT_T0_E_clISt17integral_constantIbLb0EES1F_EEDaS1A_S1B_EUlS1A_E_NS1_11comp_targetILNS1_3genE0ELNS1_11target_archE4294967295ELNS1_3gpuE0ELNS1_3repE0EEENS1_30default_config_static_selectorELNS0_4arch9wavefront6targetE1EEEvT1_,"axG",@progbits,_ZN7rocprim17ROCPRIM_400000_NS6detail17trampoline_kernelINS0_14default_configENS1_25partition_config_selectorILNS1_17partition_subalgoE2ExNS0_10empty_typeEbEEZZNS1_14partition_implILS5_2ELb0ES3_jN6thrust23THRUST_200600_302600_NS6detail15normal_iteratorINSA_7pointerIxNSA_11hip_rocprim3tagENSA_11use_defaultESG_EEEEPS6_NSA_18transform_iteratorINSA_8identityIxEENSC_INSA_10device_ptrIxEEEESG_SG_EENS0_5tupleIJPxSJ_EEENSR_IJSJ_SJ_EEES6_PlJS6_EEE10hipError_tPvRmT3_T4_T5_T6_T7_T9_mT8_P12ihipStream_tbDpT10_ENKUlT_T0_E_clISt17integral_constantIbLb0EES1F_EEDaS1A_S1B_EUlS1A_E_NS1_11comp_targetILNS1_3genE0ELNS1_11target_archE4294967295ELNS1_3gpuE0ELNS1_3repE0EEENS1_30default_config_static_selectorELNS0_4arch9wavefront6targetE1EEEvT1_,comdat
	.protected	_ZN7rocprim17ROCPRIM_400000_NS6detail17trampoline_kernelINS0_14default_configENS1_25partition_config_selectorILNS1_17partition_subalgoE2ExNS0_10empty_typeEbEEZZNS1_14partition_implILS5_2ELb0ES3_jN6thrust23THRUST_200600_302600_NS6detail15normal_iteratorINSA_7pointerIxNSA_11hip_rocprim3tagENSA_11use_defaultESG_EEEEPS6_NSA_18transform_iteratorINSA_8identityIxEENSC_INSA_10device_ptrIxEEEESG_SG_EENS0_5tupleIJPxSJ_EEENSR_IJSJ_SJ_EEES6_PlJS6_EEE10hipError_tPvRmT3_T4_T5_T6_T7_T9_mT8_P12ihipStream_tbDpT10_ENKUlT_T0_E_clISt17integral_constantIbLb0EES1F_EEDaS1A_S1B_EUlS1A_E_NS1_11comp_targetILNS1_3genE0ELNS1_11target_archE4294967295ELNS1_3gpuE0ELNS1_3repE0EEENS1_30default_config_static_selectorELNS0_4arch9wavefront6targetE1EEEvT1_ ; -- Begin function _ZN7rocprim17ROCPRIM_400000_NS6detail17trampoline_kernelINS0_14default_configENS1_25partition_config_selectorILNS1_17partition_subalgoE2ExNS0_10empty_typeEbEEZZNS1_14partition_implILS5_2ELb0ES3_jN6thrust23THRUST_200600_302600_NS6detail15normal_iteratorINSA_7pointerIxNSA_11hip_rocprim3tagENSA_11use_defaultESG_EEEEPS6_NSA_18transform_iteratorINSA_8identityIxEENSC_INSA_10device_ptrIxEEEESG_SG_EENS0_5tupleIJPxSJ_EEENSR_IJSJ_SJ_EEES6_PlJS6_EEE10hipError_tPvRmT3_T4_T5_T6_T7_T9_mT8_P12ihipStream_tbDpT10_ENKUlT_T0_E_clISt17integral_constantIbLb0EES1F_EEDaS1A_S1B_EUlS1A_E_NS1_11comp_targetILNS1_3genE0ELNS1_11target_archE4294967295ELNS1_3gpuE0ELNS1_3repE0EEENS1_30default_config_static_selectorELNS0_4arch9wavefront6targetE1EEEvT1_
	.globl	_ZN7rocprim17ROCPRIM_400000_NS6detail17trampoline_kernelINS0_14default_configENS1_25partition_config_selectorILNS1_17partition_subalgoE2ExNS0_10empty_typeEbEEZZNS1_14partition_implILS5_2ELb0ES3_jN6thrust23THRUST_200600_302600_NS6detail15normal_iteratorINSA_7pointerIxNSA_11hip_rocprim3tagENSA_11use_defaultESG_EEEEPS6_NSA_18transform_iteratorINSA_8identityIxEENSC_INSA_10device_ptrIxEEEESG_SG_EENS0_5tupleIJPxSJ_EEENSR_IJSJ_SJ_EEES6_PlJS6_EEE10hipError_tPvRmT3_T4_T5_T6_T7_T9_mT8_P12ihipStream_tbDpT10_ENKUlT_T0_E_clISt17integral_constantIbLb0EES1F_EEDaS1A_S1B_EUlS1A_E_NS1_11comp_targetILNS1_3genE0ELNS1_11target_archE4294967295ELNS1_3gpuE0ELNS1_3repE0EEENS1_30default_config_static_selectorELNS0_4arch9wavefront6targetE1EEEvT1_
	.p2align	8
	.type	_ZN7rocprim17ROCPRIM_400000_NS6detail17trampoline_kernelINS0_14default_configENS1_25partition_config_selectorILNS1_17partition_subalgoE2ExNS0_10empty_typeEbEEZZNS1_14partition_implILS5_2ELb0ES3_jN6thrust23THRUST_200600_302600_NS6detail15normal_iteratorINSA_7pointerIxNSA_11hip_rocprim3tagENSA_11use_defaultESG_EEEEPS6_NSA_18transform_iteratorINSA_8identityIxEENSC_INSA_10device_ptrIxEEEESG_SG_EENS0_5tupleIJPxSJ_EEENSR_IJSJ_SJ_EEES6_PlJS6_EEE10hipError_tPvRmT3_T4_T5_T6_T7_T9_mT8_P12ihipStream_tbDpT10_ENKUlT_T0_E_clISt17integral_constantIbLb0EES1F_EEDaS1A_S1B_EUlS1A_E_NS1_11comp_targetILNS1_3genE0ELNS1_11target_archE4294967295ELNS1_3gpuE0ELNS1_3repE0EEENS1_30default_config_static_selectorELNS0_4arch9wavefront6targetE1EEEvT1_,@function
_ZN7rocprim17ROCPRIM_400000_NS6detail17trampoline_kernelINS0_14default_configENS1_25partition_config_selectorILNS1_17partition_subalgoE2ExNS0_10empty_typeEbEEZZNS1_14partition_implILS5_2ELb0ES3_jN6thrust23THRUST_200600_302600_NS6detail15normal_iteratorINSA_7pointerIxNSA_11hip_rocprim3tagENSA_11use_defaultESG_EEEEPS6_NSA_18transform_iteratorINSA_8identityIxEENSC_INSA_10device_ptrIxEEEESG_SG_EENS0_5tupleIJPxSJ_EEENSR_IJSJ_SJ_EEES6_PlJS6_EEE10hipError_tPvRmT3_T4_T5_T6_T7_T9_mT8_P12ihipStream_tbDpT10_ENKUlT_T0_E_clISt17integral_constantIbLb0EES1F_EEDaS1A_S1B_EUlS1A_E_NS1_11comp_targetILNS1_3genE0ELNS1_11target_archE4294967295ELNS1_3gpuE0ELNS1_3repE0EEENS1_30default_config_static_selectorELNS0_4arch9wavefront6targetE1EEEvT1_: ; @_ZN7rocprim17ROCPRIM_400000_NS6detail17trampoline_kernelINS0_14default_configENS1_25partition_config_selectorILNS1_17partition_subalgoE2ExNS0_10empty_typeEbEEZZNS1_14partition_implILS5_2ELb0ES3_jN6thrust23THRUST_200600_302600_NS6detail15normal_iteratorINSA_7pointerIxNSA_11hip_rocprim3tagENSA_11use_defaultESG_EEEEPS6_NSA_18transform_iteratorINSA_8identityIxEENSC_INSA_10device_ptrIxEEEESG_SG_EENS0_5tupleIJPxSJ_EEENSR_IJSJ_SJ_EEES6_PlJS6_EEE10hipError_tPvRmT3_T4_T5_T6_T7_T9_mT8_P12ihipStream_tbDpT10_ENKUlT_T0_E_clISt17integral_constantIbLb0EES1F_EEDaS1A_S1B_EUlS1A_E_NS1_11comp_targetILNS1_3genE0ELNS1_11target_archE4294967295ELNS1_3gpuE0ELNS1_3repE0EEENS1_30default_config_static_selectorELNS0_4arch9wavefront6targetE1EEEvT1_
; %bb.0:
	.section	.rodata,"a",@progbits
	.p2align	6, 0x0
	.amdhsa_kernel _ZN7rocprim17ROCPRIM_400000_NS6detail17trampoline_kernelINS0_14default_configENS1_25partition_config_selectorILNS1_17partition_subalgoE2ExNS0_10empty_typeEbEEZZNS1_14partition_implILS5_2ELb0ES3_jN6thrust23THRUST_200600_302600_NS6detail15normal_iteratorINSA_7pointerIxNSA_11hip_rocprim3tagENSA_11use_defaultESG_EEEEPS6_NSA_18transform_iteratorINSA_8identityIxEENSC_INSA_10device_ptrIxEEEESG_SG_EENS0_5tupleIJPxSJ_EEENSR_IJSJ_SJ_EEES6_PlJS6_EEE10hipError_tPvRmT3_T4_T5_T6_T7_T9_mT8_P12ihipStream_tbDpT10_ENKUlT_T0_E_clISt17integral_constantIbLb0EES1F_EEDaS1A_S1B_EUlS1A_E_NS1_11comp_targetILNS1_3genE0ELNS1_11target_archE4294967295ELNS1_3gpuE0ELNS1_3repE0EEENS1_30default_config_static_selectorELNS0_4arch9wavefront6targetE1EEEvT1_
		.amdhsa_group_segment_fixed_size 0
		.amdhsa_private_segment_fixed_size 0
		.amdhsa_kernarg_size 128
		.amdhsa_user_sgpr_count 6
		.amdhsa_user_sgpr_private_segment_buffer 1
		.amdhsa_user_sgpr_dispatch_ptr 0
		.amdhsa_user_sgpr_queue_ptr 0
		.amdhsa_user_sgpr_kernarg_segment_ptr 1
		.amdhsa_user_sgpr_dispatch_id 0
		.amdhsa_user_sgpr_flat_scratch_init 0
		.amdhsa_user_sgpr_kernarg_preload_length 0
		.amdhsa_user_sgpr_kernarg_preload_offset 0
		.amdhsa_user_sgpr_private_segment_size 0
		.amdhsa_uses_dynamic_stack 0
		.amdhsa_system_sgpr_private_segment_wavefront_offset 0
		.amdhsa_system_sgpr_workgroup_id_x 1
		.amdhsa_system_sgpr_workgroup_id_y 0
		.amdhsa_system_sgpr_workgroup_id_z 0
		.amdhsa_system_sgpr_workgroup_info 0
		.amdhsa_system_vgpr_workitem_id 0
		.amdhsa_next_free_vgpr 1
		.amdhsa_next_free_sgpr 0
		.amdhsa_accum_offset 4
		.amdhsa_reserve_vcc 0
		.amdhsa_reserve_flat_scratch 0
		.amdhsa_float_round_mode_32 0
		.amdhsa_float_round_mode_16_64 0
		.amdhsa_float_denorm_mode_32 3
		.amdhsa_float_denorm_mode_16_64 3
		.amdhsa_dx10_clamp 1
		.amdhsa_ieee_mode 1
		.amdhsa_fp16_overflow 0
		.amdhsa_tg_split 0
		.amdhsa_exception_fp_ieee_invalid_op 0
		.amdhsa_exception_fp_denorm_src 0
		.amdhsa_exception_fp_ieee_div_zero 0
		.amdhsa_exception_fp_ieee_overflow 0
		.amdhsa_exception_fp_ieee_underflow 0
		.amdhsa_exception_fp_ieee_inexact 0
		.amdhsa_exception_int_div_zero 0
	.end_amdhsa_kernel
	.section	.text._ZN7rocprim17ROCPRIM_400000_NS6detail17trampoline_kernelINS0_14default_configENS1_25partition_config_selectorILNS1_17partition_subalgoE2ExNS0_10empty_typeEbEEZZNS1_14partition_implILS5_2ELb0ES3_jN6thrust23THRUST_200600_302600_NS6detail15normal_iteratorINSA_7pointerIxNSA_11hip_rocprim3tagENSA_11use_defaultESG_EEEEPS6_NSA_18transform_iteratorINSA_8identityIxEENSC_INSA_10device_ptrIxEEEESG_SG_EENS0_5tupleIJPxSJ_EEENSR_IJSJ_SJ_EEES6_PlJS6_EEE10hipError_tPvRmT3_T4_T5_T6_T7_T9_mT8_P12ihipStream_tbDpT10_ENKUlT_T0_E_clISt17integral_constantIbLb0EES1F_EEDaS1A_S1B_EUlS1A_E_NS1_11comp_targetILNS1_3genE0ELNS1_11target_archE4294967295ELNS1_3gpuE0ELNS1_3repE0EEENS1_30default_config_static_selectorELNS0_4arch9wavefront6targetE1EEEvT1_,"axG",@progbits,_ZN7rocprim17ROCPRIM_400000_NS6detail17trampoline_kernelINS0_14default_configENS1_25partition_config_selectorILNS1_17partition_subalgoE2ExNS0_10empty_typeEbEEZZNS1_14partition_implILS5_2ELb0ES3_jN6thrust23THRUST_200600_302600_NS6detail15normal_iteratorINSA_7pointerIxNSA_11hip_rocprim3tagENSA_11use_defaultESG_EEEEPS6_NSA_18transform_iteratorINSA_8identityIxEENSC_INSA_10device_ptrIxEEEESG_SG_EENS0_5tupleIJPxSJ_EEENSR_IJSJ_SJ_EEES6_PlJS6_EEE10hipError_tPvRmT3_T4_T5_T6_T7_T9_mT8_P12ihipStream_tbDpT10_ENKUlT_T0_E_clISt17integral_constantIbLb0EES1F_EEDaS1A_S1B_EUlS1A_E_NS1_11comp_targetILNS1_3genE0ELNS1_11target_archE4294967295ELNS1_3gpuE0ELNS1_3repE0EEENS1_30default_config_static_selectorELNS0_4arch9wavefront6targetE1EEEvT1_,comdat
.Lfunc_end481:
	.size	_ZN7rocprim17ROCPRIM_400000_NS6detail17trampoline_kernelINS0_14default_configENS1_25partition_config_selectorILNS1_17partition_subalgoE2ExNS0_10empty_typeEbEEZZNS1_14partition_implILS5_2ELb0ES3_jN6thrust23THRUST_200600_302600_NS6detail15normal_iteratorINSA_7pointerIxNSA_11hip_rocprim3tagENSA_11use_defaultESG_EEEEPS6_NSA_18transform_iteratorINSA_8identityIxEENSC_INSA_10device_ptrIxEEEESG_SG_EENS0_5tupleIJPxSJ_EEENSR_IJSJ_SJ_EEES6_PlJS6_EEE10hipError_tPvRmT3_T4_T5_T6_T7_T9_mT8_P12ihipStream_tbDpT10_ENKUlT_T0_E_clISt17integral_constantIbLb0EES1F_EEDaS1A_S1B_EUlS1A_E_NS1_11comp_targetILNS1_3genE0ELNS1_11target_archE4294967295ELNS1_3gpuE0ELNS1_3repE0EEENS1_30default_config_static_selectorELNS0_4arch9wavefront6targetE1EEEvT1_, .Lfunc_end481-_ZN7rocprim17ROCPRIM_400000_NS6detail17trampoline_kernelINS0_14default_configENS1_25partition_config_selectorILNS1_17partition_subalgoE2ExNS0_10empty_typeEbEEZZNS1_14partition_implILS5_2ELb0ES3_jN6thrust23THRUST_200600_302600_NS6detail15normal_iteratorINSA_7pointerIxNSA_11hip_rocprim3tagENSA_11use_defaultESG_EEEEPS6_NSA_18transform_iteratorINSA_8identityIxEENSC_INSA_10device_ptrIxEEEESG_SG_EENS0_5tupleIJPxSJ_EEENSR_IJSJ_SJ_EEES6_PlJS6_EEE10hipError_tPvRmT3_T4_T5_T6_T7_T9_mT8_P12ihipStream_tbDpT10_ENKUlT_T0_E_clISt17integral_constantIbLb0EES1F_EEDaS1A_S1B_EUlS1A_E_NS1_11comp_targetILNS1_3genE0ELNS1_11target_archE4294967295ELNS1_3gpuE0ELNS1_3repE0EEENS1_30default_config_static_selectorELNS0_4arch9wavefront6targetE1EEEvT1_
                                        ; -- End function
	.section	.AMDGPU.csdata,"",@progbits
; Kernel info:
; codeLenInByte = 0
; NumSgprs: 4
; NumVgprs: 0
; NumAgprs: 0
; TotalNumVgprs: 0
; ScratchSize: 0
; MemoryBound: 0
; FloatMode: 240
; IeeeMode: 1
; LDSByteSize: 0 bytes/workgroup (compile time only)
; SGPRBlocks: 0
; VGPRBlocks: 0
; NumSGPRsForWavesPerEU: 4
; NumVGPRsForWavesPerEU: 1
; AccumOffset: 4
; Occupancy: 8
; WaveLimiterHint : 0
; COMPUTE_PGM_RSRC2:SCRATCH_EN: 0
; COMPUTE_PGM_RSRC2:USER_SGPR: 6
; COMPUTE_PGM_RSRC2:TRAP_HANDLER: 0
; COMPUTE_PGM_RSRC2:TGID_X_EN: 1
; COMPUTE_PGM_RSRC2:TGID_Y_EN: 0
; COMPUTE_PGM_RSRC2:TGID_Z_EN: 0
; COMPUTE_PGM_RSRC2:TIDIG_COMP_CNT: 0
; COMPUTE_PGM_RSRC3_GFX90A:ACCUM_OFFSET: 0
; COMPUTE_PGM_RSRC3_GFX90A:TG_SPLIT: 0
	.section	.text._ZN7rocprim17ROCPRIM_400000_NS6detail17trampoline_kernelINS0_14default_configENS1_25partition_config_selectorILNS1_17partition_subalgoE2ExNS0_10empty_typeEbEEZZNS1_14partition_implILS5_2ELb0ES3_jN6thrust23THRUST_200600_302600_NS6detail15normal_iteratorINSA_7pointerIxNSA_11hip_rocprim3tagENSA_11use_defaultESG_EEEEPS6_NSA_18transform_iteratorINSA_8identityIxEENSC_INSA_10device_ptrIxEEEESG_SG_EENS0_5tupleIJPxSJ_EEENSR_IJSJ_SJ_EEES6_PlJS6_EEE10hipError_tPvRmT3_T4_T5_T6_T7_T9_mT8_P12ihipStream_tbDpT10_ENKUlT_T0_E_clISt17integral_constantIbLb0EES1F_EEDaS1A_S1B_EUlS1A_E_NS1_11comp_targetILNS1_3genE5ELNS1_11target_archE942ELNS1_3gpuE9ELNS1_3repE0EEENS1_30default_config_static_selectorELNS0_4arch9wavefront6targetE1EEEvT1_,"axG",@progbits,_ZN7rocprim17ROCPRIM_400000_NS6detail17trampoline_kernelINS0_14default_configENS1_25partition_config_selectorILNS1_17partition_subalgoE2ExNS0_10empty_typeEbEEZZNS1_14partition_implILS5_2ELb0ES3_jN6thrust23THRUST_200600_302600_NS6detail15normal_iteratorINSA_7pointerIxNSA_11hip_rocprim3tagENSA_11use_defaultESG_EEEEPS6_NSA_18transform_iteratorINSA_8identityIxEENSC_INSA_10device_ptrIxEEEESG_SG_EENS0_5tupleIJPxSJ_EEENSR_IJSJ_SJ_EEES6_PlJS6_EEE10hipError_tPvRmT3_T4_T5_T6_T7_T9_mT8_P12ihipStream_tbDpT10_ENKUlT_T0_E_clISt17integral_constantIbLb0EES1F_EEDaS1A_S1B_EUlS1A_E_NS1_11comp_targetILNS1_3genE5ELNS1_11target_archE942ELNS1_3gpuE9ELNS1_3repE0EEENS1_30default_config_static_selectorELNS0_4arch9wavefront6targetE1EEEvT1_,comdat
	.protected	_ZN7rocprim17ROCPRIM_400000_NS6detail17trampoline_kernelINS0_14default_configENS1_25partition_config_selectorILNS1_17partition_subalgoE2ExNS0_10empty_typeEbEEZZNS1_14partition_implILS5_2ELb0ES3_jN6thrust23THRUST_200600_302600_NS6detail15normal_iteratorINSA_7pointerIxNSA_11hip_rocprim3tagENSA_11use_defaultESG_EEEEPS6_NSA_18transform_iteratorINSA_8identityIxEENSC_INSA_10device_ptrIxEEEESG_SG_EENS0_5tupleIJPxSJ_EEENSR_IJSJ_SJ_EEES6_PlJS6_EEE10hipError_tPvRmT3_T4_T5_T6_T7_T9_mT8_P12ihipStream_tbDpT10_ENKUlT_T0_E_clISt17integral_constantIbLb0EES1F_EEDaS1A_S1B_EUlS1A_E_NS1_11comp_targetILNS1_3genE5ELNS1_11target_archE942ELNS1_3gpuE9ELNS1_3repE0EEENS1_30default_config_static_selectorELNS0_4arch9wavefront6targetE1EEEvT1_ ; -- Begin function _ZN7rocprim17ROCPRIM_400000_NS6detail17trampoline_kernelINS0_14default_configENS1_25partition_config_selectorILNS1_17partition_subalgoE2ExNS0_10empty_typeEbEEZZNS1_14partition_implILS5_2ELb0ES3_jN6thrust23THRUST_200600_302600_NS6detail15normal_iteratorINSA_7pointerIxNSA_11hip_rocprim3tagENSA_11use_defaultESG_EEEEPS6_NSA_18transform_iteratorINSA_8identityIxEENSC_INSA_10device_ptrIxEEEESG_SG_EENS0_5tupleIJPxSJ_EEENSR_IJSJ_SJ_EEES6_PlJS6_EEE10hipError_tPvRmT3_T4_T5_T6_T7_T9_mT8_P12ihipStream_tbDpT10_ENKUlT_T0_E_clISt17integral_constantIbLb0EES1F_EEDaS1A_S1B_EUlS1A_E_NS1_11comp_targetILNS1_3genE5ELNS1_11target_archE942ELNS1_3gpuE9ELNS1_3repE0EEENS1_30default_config_static_selectorELNS0_4arch9wavefront6targetE1EEEvT1_
	.globl	_ZN7rocprim17ROCPRIM_400000_NS6detail17trampoline_kernelINS0_14default_configENS1_25partition_config_selectorILNS1_17partition_subalgoE2ExNS0_10empty_typeEbEEZZNS1_14partition_implILS5_2ELb0ES3_jN6thrust23THRUST_200600_302600_NS6detail15normal_iteratorINSA_7pointerIxNSA_11hip_rocprim3tagENSA_11use_defaultESG_EEEEPS6_NSA_18transform_iteratorINSA_8identityIxEENSC_INSA_10device_ptrIxEEEESG_SG_EENS0_5tupleIJPxSJ_EEENSR_IJSJ_SJ_EEES6_PlJS6_EEE10hipError_tPvRmT3_T4_T5_T6_T7_T9_mT8_P12ihipStream_tbDpT10_ENKUlT_T0_E_clISt17integral_constantIbLb0EES1F_EEDaS1A_S1B_EUlS1A_E_NS1_11comp_targetILNS1_3genE5ELNS1_11target_archE942ELNS1_3gpuE9ELNS1_3repE0EEENS1_30default_config_static_selectorELNS0_4arch9wavefront6targetE1EEEvT1_
	.p2align	8
	.type	_ZN7rocprim17ROCPRIM_400000_NS6detail17trampoline_kernelINS0_14default_configENS1_25partition_config_selectorILNS1_17partition_subalgoE2ExNS0_10empty_typeEbEEZZNS1_14partition_implILS5_2ELb0ES3_jN6thrust23THRUST_200600_302600_NS6detail15normal_iteratorINSA_7pointerIxNSA_11hip_rocprim3tagENSA_11use_defaultESG_EEEEPS6_NSA_18transform_iteratorINSA_8identityIxEENSC_INSA_10device_ptrIxEEEESG_SG_EENS0_5tupleIJPxSJ_EEENSR_IJSJ_SJ_EEES6_PlJS6_EEE10hipError_tPvRmT3_T4_T5_T6_T7_T9_mT8_P12ihipStream_tbDpT10_ENKUlT_T0_E_clISt17integral_constantIbLb0EES1F_EEDaS1A_S1B_EUlS1A_E_NS1_11comp_targetILNS1_3genE5ELNS1_11target_archE942ELNS1_3gpuE9ELNS1_3repE0EEENS1_30default_config_static_selectorELNS0_4arch9wavefront6targetE1EEEvT1_,@function
_ZN7rocprim17ROCPRIM_400000_NS6detail17trampoline_kernelINS0_14default_configENS1_25partition_config_selectorILNS1_17partition_subalgoE2ExNS0_10empty_typeEbEEZZNS1_14partition_implILS5_2ELb0ES3_jN6thrust23THRUST_200600_302600_NS6detail15normal_iteratorINSA_7pointerIxNSA_11hip_rocprim3tagENSA_11use_defaultESG_EEEEPS6_NSA_18transform_iteratorINSA_8identityIxEENSC_INSA_10device_ptrIxEEEESG_SG_EENS0_5tupleIJPxSJ_EEENSR_IJSJ_SJ_EEES6_PlJS6_EEE10hipError_tPvRmT3_T4_T5_T6_T7_T9_mT8_P12ihipStream_tbDpT10_ENKUlT_T0_E_clISt17integral_constantIbLb0EES1F_EEDaS1A_S1B_EUlS1A_E_NS1_11comp_targetILNS1_3genE5ELNS1_11target_archE942ELNS1_3gpuE9ELNS1_3repE0EEENS1_30default_config_static_selectorELNS0_4arch9wavefront6targetE1EEEvT1_: ; @_ZN7rocprim17ROCPRIM_400000_NS6detail17trampoline_kernelINS0_14default_configENS1_25partition_config_selectorILNS1_17partition_subalgoE2ExNS0_10empty_typeEbEEZZNS1_14partition_implILS5_2ELb0ES3_jN6thrust23THRUST_200600_302600_NS6detail15normal_iteratorINSA_7pointerIxNSA_11hip_rocprim3tagENSA_11use_defaultESG_EEEEPS6_NSA_18transform_iteratorINSA_8identityIxEENSC_INSA_10device_ptrIxEEEESG_SG_EENS0_5tupleIJPxSJ_EEENSR_IJSJ_SJ_EEES6_PlJS6_EEE10hipError_tPvRmT3_T4_T5_T6_T7_T9_mT8_P12ihipStream_tbDpT10_ENKUlT_T0_E_clISt17integral_constantIbLb0EES1F_EEDaS1A_S1B_EUlS1A_E_NS1_11comp_targetILNS1_3genE5ELNS1_11target_archE942ELNS1_3gpuE9ELNS1_3repE0EEENS1_30default_config_static_selectorELNS0_4arch9wavefront6targetE1EEEvT1_
; %bb.0:
	.section	.rodata,"a",@progbits
	.p2align	6, 0x0
	.amdhsa_kernel _ZN7rocprim17ROCPRIM_400000_NS6detail17trampoline_kernelINS0_14default_configENS1_25partition_config_selectorILNS1_17partition_subalgoE2ExNS0_10empty_typeEbEEZZNS1_14partition_implILS5_2ELb0ES3_jN6thrust23THRUST_200600_302600_NS6detail15normal_iteratorINSA_7pointerIxNSA_11hip_rocprim3tagENSA_11use_defaultESG_EEEEPS6_NSA_18transform_iteratorINSA_8identityIxEENSC_INSA_10device_ptrIxEEEESG_SG_EENS0_5tupleIJPxSJ_EEENSR_IJSJ_SJ_EEES6_PlJS6_EEE10hipError_tPvRmT3_T4_T5_T6_T7_T9_mT8_P12ihipStream_tbDpT10_ENKUlT_T0_E_clISt17integral_constantIbLb0EES1F_EEDaS1A_S1B_EUlS1A_E_NS1_11comp_targetILNS1_3genE5ELNS1_11target_archE942ELNS1_3gpuE9ELNS1_3repE0EEENS1_30default_config_static_selectorELNS0_4arch9wavefront6targetE1EEEvT1_
		.amdhsa_group_segment_fixed_size 0
		.amdhsa_private_segment_fixed_size 0
		.amdhsa_kernarg_size 128
		.amdhsa_user_sgpr_count 6
		.amdhsa_user_sgpr_private_segment_buffer 1
		.amdhsa_user_sgpr_dispatch_ptr 0
		.amdhsa_user_sgpr_queue_ptr 0
		.amdhsa_user_sgpr_kernarg_segment_ptr 1
		.amdhsa_user_sgpr_dispatch_id 0
		.amdhsa_user_sgpr_flat_scratch_init 0
		.amdhsa_user_sgpr_kernarg_preload_length 0
		.amdhsa_user_sgpr_kernarg_preload_offset 0
		.amdhsa_user_sgpr_private_segment_size 0
		.amdhsa_uses_dynamic_stack 0
		.amdhsa_system_sgpr_private_segment_wavefront_offset 0
		.amdhsa_system_sgpr_workgroup_id_x 1
		.amdhsa_system_sgpr_workgroup_id_y 0
		.amdhsa_system_sgpr_workgroup_id_z 0
		.amdhsa_system_sgpr_workgroup_info 0
		.amdhsa_system_vgpr_workitem_id 0
		.amdhsa_next_free_vgpr 1
		.amdhsa_next_free_sgpr 0
		.amdhsa_accum_offset 4
		.amdhsa_reserve_vcc 0
		.amdhsa_reserve_flat_scratch 0
		.amdhsa_float_round_mode_32 0
		.amdhsa_float_round_mode_16_64 0
		.amdhsa_float_denorm_mode_32 3
		.amdhsa_float_denorm_mode_16_64 3
		.amdhsa_dx10_clamp 1
		.amdhsa_ieee_mode 1
		.amdhsa_fp16_overflow 0
		.amdhsa_tg_split 0
		.amdhsa_exception_fp_ieee_invalid_op 0
		.amdhsa_exception_fp_denorm_src 0
		.amdhsa_exception_fp_ieee_div_zero 0
		.amdhsa_exception_fp_ieee_overflow 0
		.amdhsa_exception_fp_ieee_underflow 0
		.amdhsa_exception_fp_ieee_inexact 0
		.amdhsa_exception_int_div_zero 0
	.end_amdhsa_kernel
	.section	.text._ZN7rocprim17ROCPRIM_400000_NS6detail17trampoline_kernelINS0_14default_configENS1_25partition_config_selectorILNS1_17partition_subalgoE2ExNS0_10empty_typeEbEEZZNS1_14partition_implILS5_2ELb0ES3_jN6thrust23THRUST_200600_302600_NS6detail15normal_iteratorINSA_7pointerIxNSA_11hip_rocprim3tagENSA_11use_defaultESG_EEEEPS6_NSA_18transform_iteratorINSA_8identityIxEENSC_INSA_10device_ptrIxEEEESG_SG_EENS0_5tupleIJPxSJ_EEENSR_IJSJ_SJ_EEES6_PlJS6_EEE10hipError_tPvRmT3_T4_T5_T6_T7_T9_mT8_P12ihipStream_tbDpT10_ENKUlT_T0_E_clISt17integral_constantIbLb0EES1F_EEDaS1A_S1B_EUlS1A_E_NS1_11comp_targetILNS1_3genE5ELNS1_11target_archE942ELNS1_3gpuE9ELNS1_3repE0EEENS1_30default_config_static_selectorELNS0_4arch9wavefront6targetE1EEEvT1_,"axG",@progbits,_ZN7rocprim17ROCPRIM_400000_NS6detail17trampoline_kernelINS0_14default_configENS1_25partition_config_selectorILNS1_17partition_subalgoE2ExNS0_10empty_typeEbEEZZNS1_14partition_implILS5_2ELb0ES3_jN6thrust23THRUST_200600_302600_NS6detail15normal_iteratorINSA_7pointerIxNSA_11hip_rocprim3tagENSA_11use_defaultESG_EEEEPS6_NSA_18transform_iteratorINSA_8identityIxEENSC_INSA_10device_ptrIxEEEESG_SG_EENS0_5tupleIJPxSJ_EEENSR_IJSJ_SJ_EEES6_PlJS6_EEE10hipError_tPvRmT3_T4_T5_T6_T7_T9_mT8_P12ihipStream_tbDpT10_ENKUlT_T0_E_clISt17integral_constantIbLb0EES1F_EEDaS1A_S1B_EUlS1A_E_NS1_11comp_targetILNS1_3genE5ELNS1_11target_archE942ELNS1_3gpuE9ELNS1_3repE0EEENS1_30default_config_static_selectorELNS0_4arch9wavefront6targetE1EEEvT1_,comdat
.Lfunc_end482:
	.size	_ZN7rocprim17ROCPRIM_400000_NS6detail17trampoline_kernelINS0_14default_configENS1_25partition_config_selectorILNS1_17partition_subalgoE2ExNS0_10empty_typeEbEEZZNS1_14partition_implILS5_2ELb0ES3_jN6thrust23THRUST_200600_302600_NS6detail15normal_iteratorINSA_7pointerIxNSA_11hip_rocprim3tagENSA_11use_defaultESG_EEEEPS6_NSA_18transform_iteratorINSA_8identityIxEENSC_INSA_10device_ptrIxEEEESG_SG_EENS0_5tupleIJPxSJ_EEENSR_IJSJ_SJ_EEES6_PlJS6_EEE10hipError_tPvRmT3_T4_T5_T6_T7_T9_mT8_P12ihipStream_tbDpT10_ENKUlT_T0_E_clISt17integral_constantIbLb0EES1F_EEDaS1A_S1B_EUlS1A_E_NS1_11comp_targetILNS1_3genE5ELNS1_11target_archE942ELNS1_3gpuE9ELNS1_3repE0EEENS1_30default_config_static_selectorELNS0_4arch9wavefront6targetE1EEEvT1_, .Lfunc_end482-_ZN7rocprim17ROCPRIM_400000_NS6detail17trampoline_kernelINS0_14default_configENS1_25partition_config_selectorILNS1_17partition_subalgoE2ExNS0_10empty_typeEbEEZZNS1_14partition_implILS5_2ELb0ES3_jN6thrust23THRUST_200600_302600_NS6detail15normal_iteratorINSA_7pointerIxNSA_11hip_rocprim3tagENSA_11use_defaultESG_EEEEPS6_NSA_18transform_iteratorINSA_8identityIxEENSC_INSA_10device_ptrIxEEEESG_SG_EENS0_5tupleIJPxSJ_EEENSR_IJSJ_SJ_EEES6_PlJS6_EEE10hipError_tPvRmT3_T4_T5_T6_T7_T9_mT8_P12ihipStream_tbDpT10_ENKUlT_T0_E_clISt17integral_constantIbLb0EES1F_EEDaS1A_S1B_EUlS1A_E_NS1_11comp_targetILNS1_3genE5ELNS1_11target_archE942ELNS1_3gpuE9ELNS1_3repE0EEENS1_30default_config_static_selectorELNS0_4arch9wavefront6targetE1EEEvT1_
                                        ; -- End function
	.section	.AMDGPU.csdata,"",@progbits
; Kernel info:
; codeLenInByte = 0
; NumSgprs: 4
; NumVgprs: 0
; NumAgprs: 0
; TotalNumVgprs: 0
; ScratchSize: 0
; MemoryBound: 0
; FloatMode: 240
; IeeeMode: 1
; LDSByteSize: 0 bytes/workgroup (compile time only)
; SGPRBlocks: 0
; VGPRBlocks: 0
; NumSGPRsForWavesPerEU: 4
; NumVGPRsForWavesPerEU: 1
; AccumOffset: 4
; Occupancy: 8
; WaveLimiterHint : 0
; COMPUTE_PGM_RSRC2:SCRATCH_EN: 0
; COMPUTE_PGM_RSRC2:USER_SGPR: 6
; COMPUTE_PGM_RSRC2:TRAP_HANDLER: 0
; COMPUTE_PGM_RSRC2:TGID_X_EN: 1
; COMPUTE_PGM_RSRC2:TGID_Y_EN: 0
; COMPUTE_PGM_RSRC2:TGID_Z_EN: 0
; COMPUTE_PGM_RSRC2:TIDIG_COMP_CNT: 0
; COMPUTE_PGM_RSRC3_GFX90A:ACCUM_OFFSET: 0
; COMPUTE_PGM_RSRC3_GFX90A:TG_SPLIT: 0
	.section	.text._ZN7rocprim17ROCPRIM_400000_NS6detail17trampoline_kernelINS0_14default_configENS1_25partition_config_selectorILNS1_17partition_subalgoE2ExNS0_10empty_typeEbEEZZNS1_14partition_implILS5_2ELb0ES3_jN6thrust23THRUST_200600_302600_NS6detail15normal_iteratorINSA_7pointerIxNSA_11hip_rocprim3tagENSA_11use_defaultESG_EEEEPS6_NSA_18transform_iteratorINSA_8identityIxEENSC_INSA_10device_ptrIxEEEESG_SG_EENS0_5tupleIJPxSJ_EEENSR_IJSJ_SJ_EEES6_PlJS6_EEE10hipError_tPvRmT3_T4_T5_T6_T7_T9_mT8_P12ihipStream_tbDpT10_ENKUlT_T0_E_clISt17integral_constantIbLb0EES1F_EEDaS1A_S1B_EUlS1A_E_NS1_11comp_targetILNS1_3genE4ELNS1_11target_archE910ELNS1_3gpuE8ELNS1_3repE0EEENS1_30default_config_static_selectorELNS0_4arch9wavefront6targetE1EEEvT1_,"axG",@progbits,_ZN7rocprim17ROCPRIM_400000_NS6detail17trampoline_kernelINS0_14default_configENS1_25partition_config_selectorILNS1_17partition_subalgoE2ExNS0_10empty_typeEbEEZZNS1_14partition_implILS5_2ELb0ES3_jN6thrust23THRUST_200600_302600_NS6detail15normal_iteratorINSA_7pointerIxNSA_11hip_rocprim3tagENSA_11use_defaultESG_EEEEPS6_NSA_18transform_iteratorINSA_8identityIxEENSC_INSA_10device_ptrIxEEEESG_SG_EENS0_5tupleIJPxSJ_EEENSR_IJSJ_SJ_EEES6_PlJS6_EEE10hipError_tPvRmT3_T4_T5_T6_T7_T9_mT8_P12ihipStream_tbDpT10_ENKUlT_T0_E_clISt17integral_constantIbLb0EES1F_EEDaS1A_S1B_EUlS1A_E_NS1_11comp_targetILNS1_3genE4ELNS1_11target_archE910ELNS1_3gpuE8ELNS1_3repE0EEENS1_30default_config_static_selectorELNS0_4arch9wavefront6targetE1EEEvT1_,comdat
	.protected	_ZN7rocprim17ROCPRIM_400000_NS6detail17trampoline_kernelINS0_14default_configENS1_25partition_config_selectorILNS1_17partition_subalgoE2ExNS0_10empty_typeEbEEZZNS1_14partition_implILS5_2ELb0ES3_jN6thrust23THRUST_200600_302600_NS6detail15normal_iteratorINSA_7pointerIxNSA_11hip_rocprim3tagENSA_11use_defaultESG_EEEEPS6_NSA_18transform_iteratorINSA_8identityIxEENSC_INSA_10device_ptrIxEEEESG_SG_EENS0_5tupleIJPxSJ_EEENSR_IJSJ_SJ_EEES6_PlJS6_EEE10hipError_tPvRmT3_T4_T5_T6_T7_T9_mT8_P12ihipStream_tbDpT10_ENKUlT_T0_E_clISt17integral_constantIbLb0EES1F_EEDaS1A_S1B_EUlS1A_E_NS1_11comp_targetILNS1_3genE4ELNS1_11target_archE910ELNS1_3gpuE8ELNS1_3repE0EEENS1_30default_config_static_selectorELNS0_4arch9wavefront6targetE1EEEvT1_ ; -- Begin function _ZN7rocprim17ROCPRIM_400000_NS6detail17trampoline_kernelINS0_14default_configENS1_25partition_config_selectorILNS1_17partition_subalgoE2ExNS0_10empty_typeEbEEZZNS1_14partition_implILS5_2ELb0ES3_jN6thrust23THRUST_200600_302600_NS6detail15normal_iteratorINSA_7pointerIxNSA_11hip_rocprim3tagENSA_11use_defaultESG_EEEEPS6_NSA_18transform_iteratorINSA_8identityIxEENSC_INSA_10device_ptrIxEEEESG_SG_EENS0_5tupleIJPxSJ_EEENSR_IJSJ_SJ_EEES6_PlJS6_EEE10hipError_tPvRmT3_T4_T5_T6_T7_T9_mT8_P12ihipStream_tbDpT10_ENKUlT_T0_E_clISt17integral_constantIbLb0EES1F_EEDaS1A_S1B_EUlS1A_E_NS1_11comp_targetILNS1_3genE4ELNS1_11target_archE910ELNS1_3gpuE8ELNS1_3repE0EEENS1_30default_config_static_selectorELNS0_4arch9wavefront6targetE1EEEvT1_
	.globl	_ZN7rocprim17ROCPRIM_400000_NS6detail17trampoline_kernelINS0_14default_configENS1_25partition_config_selectorILNS1_17partition_subalgoE2ExNS0_10empty_typeEbEEZZNS1_14partition_implILS5_2ELb0ES3_jN6thrust23THRUST_200600_302600_NS6detail15normal_iteratorINSA_7pointerIxNSA_11hip_rocprim3tagENSA_11use_defaultESG_EEEEPS6_NSA_18transform_iteratorINSA_8identityIxEENSC_INSA_10device_ptrIxEEEESG_SG_EENS0_5tupleIJPxSJ_EEENSR_IJSJ_SJ_EEES6_PlJS6_EEE10hipError_tPvRmT3_T4_T5_T6_T7_T9_mT8_P12ihipStream_tbDpT10_ENKUlT_T0_E_clISt17integral_constantIbLb0EES1F_EEDaS1A_S1B_EUlS1A_E_NS1_11comp_targetILNS1_3genE4ELNS1_11target_archE910ELNS1_3gpuE8ELNS1_3repE0EEENS1_30default_config_static_selectorELNS0_4arch9wavefront6targetE1EEEvT1_
	.p2align	8
	.type	_ZN7rocprim17ROCPRIM_400000_NS6detail17trampoline_kernelINS0_14default_configENS1_25partition_config_selectorILNS1_17partition_subalgoE2ExNS0_10empty_typeEbEEZZNS1_14partition_implILS5_2ELb0ES3_jN6thrust23THRUST_200600_302600_NS6detail15normal_iteratorINSA_7pointerIxNSA_11hip_rocprim3tagENSA_11use_defaultESG_EEEEPS6_NSA_18transform_iteratorINSA_8identityIxEENSC_INSA_10device_ptrIxEEEESG_SG_EENS0_5tupleIJPxSJ_EEENSR_IJSJ_SJ_EEES6_PlJS6_EEE10hipError_tPvRmT3_T4_T5_T6_T7_T9_mT8_P12ihipStream_tbDpT10_ENKUlT_T0_E_clISt17integral_constantIbLb0EES1F_EEDaS1A_S1B_EUlS1A_E_NS1_11comp_targetILNS1_3genE4ELNS1_11target_archE910ELNS1_3gpuE8ELNS1_3repE0EEENS1_30default_config_static_selectorELNS0_4arch9wavefront6targetE1EEEvT1_,@function
_ZN7rocprim17ROCPRIM_400000_NS6detail17trampoline_kernelINS0_14default_configENS1_25partition_config_selectorILNS1_17partition_subalgoE2ExNS0_10empty_typeEbEEZZNS1_14partition_implILS5_2ELb0ES3_jN6thrust23THRUST_200600_302600_NS6detail15normal_iteratorINSA_7pointerIxNSA_11hip_rocprim3tagENSA_11use_defaultESG_EEEEPS6_NSA_18transform_iteratorINSA_8identityIxEENSC_INSA_10device_ptrIxEEEESG_SG_EENS0_5tupleIJPxSJ_EEENSR_IJSJ_SJ_EEES6_PlJS6_EEE10hipError_tPvRmT3_T4_T5_T6_T7_T9_mT8_P12ihipStream_tbDpT10_ENKUlT_T0_E_clISt17integral_constantIbLb0EES1F_EEDaS1A_S1B_EUlS1A_E_NS1_11comp_targetILNS1_3genE4ELNS1_11target_archE910ELNS1_3gpuE8ELNS1_3repE0EEENS1_30default_config_static_selectorELNS0_4arch9wavefront6targetE1EEEvT1_: ; @_ZN7rocprim17ROCPRIM_400000_NS6detail17trampoline_kernelINS0_14default_configENS1_25partition_config_selectorILNS1_17partition_subalgoE2ExNS0_10empty_typeEbEEZZNS1_14partition_implILS5_2ELb0ES3_jN6thrust23THRUST_200600_302600_NS6detail15normal_iteratorINSA_7pointerIxNSA_11hip_rocprim3tagENSA_11use_defaultESG_EEEEPS6_NSA_18transform_iteratorINSA_8identityIxEENSC_INSA_10device_ptrIxEEEESG_SG_EENS0_5tupleIJPxSJ_EEENSR_IJSJ_SJ_EEES6_PlJS6_EEE10hipError_tPvRmT3_T4_T5_T6_T7_T9_mT8_P12ihipStream_tbDpT10_ENKUlT_T0_E_clISt17integral_constantIbLb0EES1F_EEDaS1A_S1B_EUlS1A_E_NS1_11comp_targetILNS1_3genE4ELNS1_11target_archE910ELNS1_3gpuE8ELNS1_3repE0EEENS1_30default_config_static_selectorELNS0_4arch9wavefront6targetE1EEEvT1_
; %bb.0:
	s_load_dwordx4 s[24:27], s[4:5], 0x8
	s_load_dwordx2 s[2:3], s[4:5], 0x20
	s_load_dwordx2 s[28:29], s[4:5], 0x60
	s_load_dwordx4 s[20:23], s[4:5], 0x50
	s_load_dword s0, s[4:5], 0x78
	s_waitcnt lgkmcnt(0)
	s_lshl_b64 s[8:9], s[26:27], 3
	s_add_u32 s7, s24, s8
	s_addc_u32 s12, s25, s9
	s_load_dwordx2 s[30:31], s[22:23], 0x0
	s_add_i32 s10, s0, -1
	s_mulk_i32 s0, 0x300
	s_add_i32 s1, s0, s26
	s_sub_i32 s33, s28, s1
	s_addk_i32 s33, 0x300
	s_add_u32 s0, s26, s0
	s_addc_u32 s1, s27, 0
	s_cmp_eq_u32 s6, s10
	v_pk_mov_b32 v[2:3], s[28:29], s[28:29] op_sel:[0,1]
	s_cselect_b64 s[22:23], -1, 0
	s_cmp_lg_u32 s6, s10
	s_mul_i32 s24, s6, 0x300
	s_mov_b32 s25, 0
	v_cmp_lt_u64_e32 vcc, s[0:1], v[2:3]
	s_cselect_b64 s[0:1], -1, 0
	s_or_b64 s[34:35], s[0:1], vcc
	s_lshl_b64 s[10:11], s[24:25], 3
	s_add_u32 s7, s7, s10
	s_addc_u32 s14, s12, s11
	s_mov_b64 s[0:1], -1
	s_and_b64 vcc, exec, s[34:35]
	v_lshlrev_b32_e32 v1, 3, v0
	v_lshrrev_b32_e32 v10, 2, v0
	s_cbranch_vccz .LBB483_2
; %bb.1:
	v_mov_b32_e32 v3, s14
	v_add_co_u32_e32 v2, vcc, s7, v1
	v_addc_co_u32_e32 v3, vcc, 0, v3, vcc
	v_add_co_u32_e32 v4, vcc, 0x1000, v2
	v_addc_co_u32_e32 v5, vcc, 0, v3, vcc
	flat_load_dwordx2 v[6:7], v[2:3]
	flat_load_dwordx2 v[8:9], v[2:3] offset:1536
	flat_load_dwordx2 v[12:13], v[2:3] offset:3072
	;; [unrolled: 1-line block ×3, first 2 shown]
	v_add_u32_e32 v3, 0xc0, v0
	v_add_u32_e32 v4, 0x180, v0
	;; [unrolled: 1-line block ×3, first 2 shown]
	v_and_b32_e32 v2, 56, v10
	v_lshrrev_b32_e32 v3, 2, v3
	v_lshrrev_b32_e32 v4, 2, v4
	v_lshrrev_b32_e32 v5, 2, v5
	v_add_u32_e32 v2, v2, v1
	v_and_b32_e32 v3, 0x78, v3
	v_and_b32_e32 v4, 0xf8, v4
	;; [unrolled: 1-line block ×3, first 2 shown]
	v_add_u32_e32 v3, v3, v1
	v_add_u32_e32 v4, v4, v1
	;; [unrolled: 1-line block ×3, first 2 shown]
	s_mov_b64 s[0:1], 0
	s_waitcnt vmcnt(0) lgkmcnt(0)
	ds_write_b64 v2, v[6:7]
	ds_write_b64 v3, v[8:9] offset:1536
	ds_write_b64 v4, v[12:13] offset:3072
	;; [unrolled: 1-line block ×3, first 2 shown]
	s_waitcnt lgkmcnt(0)
	s_barrier
.LBB483_2:
	s_andn2_b64 vcc, exec, s[0:1]
	v_cmp_gt_u32_e64 s[0:1], s33, v0
	s_cbranch_vccnz .LBB483_12
; %bb.3:
                                        ; implicit-def: $vgpr2_vgpr3_vgpr4_vgpr5_vgpr6_vgpr7_vgpr8_vgpr9
	s_and_saveexec_b64 s[12:13], s[0:1]
	s_cbranch_execz .LBB483_5
; %bb.4:
	v_mov_b32_e32 v3, s14
	v_add_co_u32_e32 v2, vcc, s7, v1
	v_addc_co_u32_e32 v3, vcc, 0, v3, vcc
	flat_load_dwordx2 v[2:3], v[2:3]
.LBB483_5:
	s_or_b64 exec, exec, s[12:13]
	v_add_u32_e32 v11, 0xc0, v0
	v_cmp_gt_u32_e32 vcc, s33, v11
	s_and_saveexec_b64 s[0:1], vcc
	s_cbranch_execz .LBB483_7
; %bb.6:
	v_mov_b32_e32 v5, s14
	v_add_co_u32_e32 v4, vcc, s7, v1
	v_addc_co_u32_e32 v5, vcc, 0, v5, vcc
	flat_load_dwordx2 v[4:5], v[4:5] offset:1536
.LBB483_7:
	s_or_b64 exec, exec, s[0:1]
	v_add_u32_e32 v12, 0x180, v0
	v_cmp_gt_u32_e32 vcc, s33, v12
	s_and_saveexec_b64 s[0:1], vcc
	s_cbranch_execz .LBB483_9
; %bb.8:
	v_mov_b32_e32 v7, s14
	v_add_co_u32_e32 v6, vcc, s7, v1
	v_addc_co_u32_e32 v7, vcc, 0, v7, vcc
	flat_load_dwordx2 v[6:7], v[6:7] offset:3072
.LBB483_9:
	s_or_b64 exec, exec, s[0:1]
	v_add_u32_e32 v13, 0x240, v0
	v_cmp_gt_u32_e32 vcc, s33, v13
	s_and_saveexec_b64 s[0:1], vcc
	s_cbranch_execz .LBB483_11
; %bb.10:
	v_lshlrev_b32_e32 v8, 3, v13
	v_mov_b32_e32 v9, s14
	v_add_co_u32_e32 v8, vcc, s7, v8
	v_addc_co_u32_e32 v9, vcc, 0, v9, vcc
	flat_load_dwordx2 v[8:9], v[8:9]
.LBB483_11:
	s_or_b64 exec, exec, s[0:1]
	v_and_b32_e32 v10, 56, v10
	v_add_u32_e32 v10, v10, v1
	s_waitcnt vmcnt(0) lgkmcnt(0)
	ds_write_b64 v10, v[2:3]
	v_lshrrev_b32_e32 v2, 2, v11
	v_and_b32_e32 v2, 0x78, v2
	v_add_u32_e32 v2, v2, v1
	ds_write_b64 v2, v[4:5] offset:1536
	v_lshrrev_b32_e32 v2, 2, v12
	v_and_b32_e32 v2, 0xf8, v2
	v_add_u32_e32 v2, v2, v1
	ds_write_b64 v2, v[6:7] offset:3072
	;; [unrolled: 4-line block ×3, first 2 shown]
	s_waitcnt lgkmcnt(0)
	s_barrier
.LBB483_12:
	v_lshlrev_b32_e32 v20, 2, v0
	v_lshrrev_b32_e32 v10, 3, v0
	v_add_lshl_u32 v2, v10, v20, 3
	s_waitcnt lgkmcnt(0)
	ds_read2_b64 v[6:9], v2 offset1:1
	ds_read2_b64 v[2:5], v2 offset0:2 offset1:3
	s_add_u32 s0, s2, s8
	s_addc_u32 s1, s3, s9
	s_add_u32 s0, s0, s10
	s_addc_u32 s1, s1, s11
	s_mov_b64 s[2:3], -1
	s_and_b64 vcc, exec, s[34:35]
	v_lshrrev_b32_e32 v11, 5, v0
	s_waitcnt lgkmcnt(0)
	s_barrier
	s_cbranch_vccz .LBB483_14
; %bb.13:
	v_mov_b32_e32 v14, s1
	v_add_co_u32_e32 v18, vcc, s0, v1
	global_load_dwordx2 v[12:13], v1, s[0:1]
	v_addc_co_u32_e32 v19, vcc, 0, v14, vcc
	v_add_co_u32_e32 v18, vcc, 0x1000, v18
	global_load_dwordx2 v[14:15], v1, s[0:1] offset:1536
	global_load_dwordx2 v[16:17], v1, s[0:1] offset:3072
	v_addc_co_u32_e32 v19, vcc, 0, v19, vcc
	global_load_dwordx2 v[18:19], v[18:19], off offset:512
	v_add_u32_e32 v22, 0xc0, v0
	v_add_u32_e32 v23, 0x180, v0
	;; [unrolled: 1-line block ×3, first 2 shown]
	v_and_b32_e32 v21, 4, v11
	v_lshrrev_b32_e32 v22, 5, v22
	v_lshrrev_b32_e32 v23, 5, v23
	;; [unrolled: 1-line block ×3, first 2 shown]
	v_add_u32_e32 v21, v21, v0
	v_and_b32_e32 v22, 12, v22
	v_and_b32_e32 v23, 28, v23
	v_and_b32_e32 v24, 28, v24
	v_add_u32_e32 v22, v22, v0
	v_add_u32_e32 v23, v23, v0
	;; [unrolled: 1-line block ×3, first 2 shown]
	s_mov_b64 s[2:3], 0
	s_waitcnt vmcnt(3)
	v_cmp_ne_u64_e32 vcc, 0, v[12:13]
	v_cndmask_b32_e64 v12, 0, 1, vcc
	s_waitcnt vmcnt(2)
	v_cmp_ne_u64_e32 vcc, 0, v[14:15]
	v_cndmask_b32_e64 v13, 0, 1, vcc
	;; [unrolled: 3-line block ×3, first 2 shown]
	s_waitcnt vmcnt(0)
	v_cmp_ne_u64_e32 vcc, 0, v[18:19]
	ds_write_b8 v21, v12
	ds_write_b8 v22, v13 offset:192
	ds_write_b8 v23, v14 offset:384
	v_cndmask_b32_e64 v12, 0, 1, vcc
	ds_write_b8 v24, v12 offset:576
	s_waitcnt lgkmcnt(0)
	s_barrier
.LBB483_14:
	s_load_dwordx2 s[36:37], s[4:5], 0x70
	s_andn2_b64 vcc, exec, s[2:3]
	s_cbranch_vccnz .LBB483_24
; %bb.15:
	v_cmp_gt_u32_e32 vcc, s33, v0
	v_mov_b32_e32 v12, 0
	v_mov_b32_e32 v13, 0
	s_and_saveexec_b64 s[2:3], vcc
	s_cbranch_execz .LBB483_17
; %bb.16:
	global_load_dwordx2 v[14:15], v1, s[0:1]
	s_waitcnt vmcnt(0)
	v_cmp_ne_u64_e32 vcc, 0, v[14:15]
	v_cndmask_b32_e64 v13, 0, 1, vcc
.LBB483_17:
	s_or_b64 exec, exec, s[2:3]
	v_add_u32_e32 v14, 0xc0, v0
	v_cmp_gt_u32_e32 vcc, s33, v14
	s_and_saveexec_b64 s[2:3], vcc
	s_cbranch_execz .LBB483_19
; %bb.18:
	global_load_dwordx2 v[16:17], v1, s[0:1] offset:1536
	s_waitcnt vmcnt(0)
	v_cmp_ne_u64_e32 vcc, 0, v[16:17]
	v_cndmask_b32_e64 v12, 0, 1, vcc
.LBB483_19:
	s_or_b64 exec, exec, s[2:3]
	v_add_u32_e32 v16, 0x180, v0
	v_cmp_gt_u32_e32 vcc, s33, v16
	v_mov_b32_e32 v15, 0
	v_mov_b32_e32 v17, 0
	s_and_saveexec_b64 s[2:3], vcc
	s_cbranch_execz .LBB483_21
; %bb.20:
	global_load_dwordx2 v[18:19], v1, s[0:1] offset:3072
	s_waitcnt vmcnt(0)
	v_cmp_ne_u64_e32 vcc, 0, v[18:19]
	v_cndmask_b32_e64 v17, 0, 1, vcc
.LBB483_21:
	s_or_b64 exec, exec, s[2:3]
	v_add_u32_e32 v18, 0x240, v0
	v_cmp_gt_u32_e32 vcc, s33, v18
	s_and_saveexec_b64 s[2:3], vcc
	s_cbranch_execz .LBB483_23
; %bb.22:
	v_lshlrev_b32_e32 v15, 3, v18
	global_load_dwordx2 v[22:23], v15, s[0:1]
	s_waitcnt vmcnt(0)
	v_cmp_ne_u64_e32 vcc, 0, v[22:23]
	v_cndmask_b32_e64 v15, 0, 1, vcc
.LBB483_23:
	s_or_b64 exec, exec, s[2:3]
	v_and_b32_e32 v11, 4, v11
	v_add_u32_e32 v11, v11, v0
	ds_write_b8 v11, v13
	v_lshrrev_b32_e32 v11, 5, v14
	v_and_b32_e32 v11, 12, v11
	v_add_u32_e32 v11, v11, v0
	ds_write_b8 v11, v12 offset:192
	v_lshrrev_b32_e32 v11, 5, v16
	v_and_b32_e32 v11, 28, v11
	v_add_u32_e32 v11, v11, v0
	ds_write_b8 v11, v17 offset:384
	;; [unrolled: 4-line block ×3, first 2 shown]
	s_waitcnt lgkmcnt(0)
	s_barrier
.LBB483_24:
	v_and_b32_e32 v10, 28, v10
	v_add_u32_e32 v10, v10, v20
	s_waitcnt lgkmcnt(0)
	ds_read_b32 v22, v10
	s_cmp_lg_u32 s6, 0
	v_lshrrev_b32_e32 v25, 6, v0
	s_waitcnt lgkmcnt(0)
	s_barrier
	v_lshrrev_b32_e32 v21, 24, v22
	v_bfe_u32 v23, v22, 16, 8
	v_add_u32_sdwa v10, v22, v22 dst_sel:DWORD dst_unused:UNUSED_PAD src0_sel:BYTE_1 src1_sel:BYTE_0
	v_add3_u32 v26, v10, v23, v21
	v_mbcnt_lo_u32_b32 v10, -1, 0
	v_mbcnt_hi_u32_b32 v24, -1, v10
	v_and_b32_e32 v10, 15, v24
	v_cmp_eq_u32_e64 s[14:15], 0, v10
	v_cmp_lt_u32_e64 s[12:13], 1, v10
	v_cmp_lt_u32_e64 s[10:11], 3, v10
	v_cmp_lt_u32_e64 s[8:9], 7, v10
	v_and_b32_e32 v10, 16, v24
	v_cmp_eq_u32_e64 s[2:3], 0, v10
	v_and_b32_e32 v10, 0xc0, v0
	v_min_u32_e32 v10, 0x80, v10
	v_or_b32_e32 v10, 63, v10
	v_cmp_lt_u32_e64 s[0:1], 31, v24
	v_cmp_eq_u32_e64 s[18:19], v10, v0
	s_cbranch_scc0 .LBB483_51
; %bb.25:
	v_mov_b32_dpp v10, v26 row_shr:1 row_mask:0xf bank_mask:0xf
	v_cndmask_b32_e64 v10, v10, 0, s[14:15]
	v_add_u32_e32 v10, v10, v26
	s_nop 1
	v_mov_b32_dpp v11, v10 row_shr:2 row_mask:0xf bank_mask:0xf
	v_cndmask_b32_e64 v11, 0, v11, s[12:13]
	v_add_u32_e32 v10, v10, v11
	s_nop 1
	;; [unrolled: 4-line block ×4, first 2 shown]
	v_mov_b32_dpp v11, v10 row_bcast:15 row_mask:0xf bank_mask:0xf
	v_cndmask_b32_e64 v11, v11, 0, s[2:3]
	v_add_u32_e32 v10, v10, v11
	s_nop 1
	v_mov_b32_dpp v11, v10 row_bcast:31 row_mask:0xf bank_mask:0xf
	v_cndmask_b32_e64 v11, 0, v11, s[0:1]
	v_add_u32_e32 v10, v10, v11
	s_and_saveexec_b64 s[16:17], s[18:19]
	s_cbranch_execz .LBB483_27
; %bb.26:
	v_lshlrev_b32_e32 v11, 2, v25
	ds_write_b32 v11, v10
.LBB483_27:
	s_or_b64 exec, exec, s[16:17]
	v_cmp_gt_u32_e32 vcc, 3, v0
	s_waitcnt lgkmcnt(0)
	s_barrier
	s_and_saveexec_b64 s[16:17], vcc
	s_cbranch_execz .LBB483_29
; %bb.28:
	ds_read_b32 v11, v20
	v_and_b32_e32 v12, 3, v24
	v_cmp_ne_u32_e32 vcc, 0, v12
	s_waitcnt lgkmcnt(0)
	v_mov_b32_dpp v13, v11 row_shr:1 row_mask:0xf bank_mask:0xf
	v_cndmask_b32_e32 v13, 0, v13, vcc
	v_add_u32_e32 v11, v13, v11
	v_cmp_lt_u32_e32 vcc, 1, v12
	s_nop 0
	v_mov_b32_dpp v13, v11 row_shr:2 row_mask:0xf bank_mask:0xf
	v_cndmask_b32_e32 v12, 0, v13, vcc
	v_add_u32_e32 v11, v11, v12
	ds_write_b32 v20, v11
.LBB483_29:
	s_or_b64 exec, exec, s[16:17]
	v_cmp_gt_u32_e32 vcc, 64, v0
	v_cmp_lt_u32_e64 s[16:17], 63, v0
	s_waitcnt lgkmcnt(0)
	s_barrier
	s_waitcnt lgkmcnt(0)
                                        ; implicit-def: $vgpr27
	s_and_saveexec_b64 s[38:39], s[16:17]
	s_cbranch_execz .LBB483_31
; %bb.30:
	v_lshl_add_u32 v11, v25, 2, -4
	ds_read_b32 v27, v11
	s_waitcnt lgkmcnt(0)
	v_add_u32_e32 v10, v27, v10
.LBB483_31:
	s_or_b64 exec, exec, s[38:39]
	v_add_u32_e32 v11, -1, v24
	v_and_b32_e32 v12, 64, v24
	v_cmp_lt_i32_e64 s[16:17], v11, v12
	v_cndmask_b32_e64 v11, v11, v24, s[16:17]
	v_lshlrev_b32_e32 v11, 2, v11
	ds_bpermute_b32 v28, v11, v10
	v_cmp_eq_u32_e64 s[16:17], 0, v24
	s_and_saveexec_b64 s[38:39], vcc
	s_cbranch_execz .LBB483_50
; %bb.32:
	v_mov_b32_e32 v17, 0
	ds_read_b32 v10, v17 offset:8
	s_and_saveexec_b64 s[40:41], s[16:17]
	s_cbranch_execz .LBB483_34
; %bb.33:
	s_add_i32 s42, s6, 64
	s_mov_b32 s43, 0
	s_lshl_b64 s[42:43], s[42:43], 3
	s_add_u32 s42, s36, s42
	v_mov_b32_e32 v11, 1
	s_addc_u32 s43, s37, s43
	s_waitcnt lgkmcnt(0)
	global_store_dwordx2 v17, v[10:11], s[42:43]
.LBB483_34:
	s_or_b64 exec, exec, s[40:41]
	v_xad_u32 v12, v24, -1, s6
	v_add_u32_e32 v16, 64, v12
	v_lshlrev_b64 v[14:15], 3, v[16:17]
	v_mov_b32_e32 v11, s37
	v_add_co_u32_e32 v18, vcc, s36, v14
	v_addc_co_u32_e32 v19, vcc, v11, v15, vcc
	global_load_dwordx2 v[14:15], v[18:19], off glc
	s_waitcnt vmcnt(0)
	v_cmp_eq_u16_sdwa s[42:43], v15, v17 src0_sel:BYTE_0 src1_sel:DWORD
	s_and_saveexec_b64 s[40:41], s[42:43]
	s_cbranch_execz .LBB483_38
; %bb.35:
	s_mov_b64 s[42:43], 0
	v_mov_b32_e32 v11, 0
.LBB483_36:                             ; =>This Inner Loop Header: Depth=1
	global_load_dwordx2 v[14:15], v[18:19], off glc
	s_waitcnt vmcnt(0)
	v_cmp_ne_u16_sdwa s[44:45], v15, v11 src0_sel:BYTE_0 src1_sel:DWORD
	s_or_b64 s[42:43], s[44:45], s[42:43]
	s_andn2_b64 exec, exec, s[42:43]
	s_cbranch_execnz .LBB483_36
; %bb.37:
	s_or_b64 exec, exec, s[42:43]
.LBB483_38:
	s_or_b64 exec, exec, s[40:41]
	v_and_b32_e32 v30, 63, v24
	v_mov_b32_e32 v29, 2
	v_cmp_ne_u32_e32 vcc, 63, v30
	v_cmp_eq_u16_sdwa s[40:41], v15, v29 src0_sel:BYTE_0 src1_sel:DWORD
	v_lshlrev_b64 v[16:17], v24, -1
	v_addc_co_u32_e32 v18, vcc, 0, v24, vcc
	v_and_b32_e32 v11, s41, v17
	v_lshlrev_b32_e32 v31, 2, v18
	v_or_b32_e32 v11, 0x80000000, v11
	ds_bpermute_b32 v18, v31, v14
	v_and_b32_e32 v13, s40, v16
	v_ffbl_b32_e32 v11, v11
	v_add_u32_e32 v11, 32, v11
	v_ffbl_b32_e32 v13, v13
	v_min_u32_e32 v11, v13, v11
	v_cmp_lt_u32_e32 vcc, v30, v11
	s_waitcnt lgkmcnt(0)
	v_cndmask_b32_e32 v13, 0, v18, vcc
	v_cmp_gt_u32_e32 vcc, 62, v30
	v_add_u32_e32 v13, v13, v14
	v_cndmask_b32_e64 v14, 0, 1, vcc
	v_lshlrev_b32_e32 v14, 1, v14
	v_add_lshl_u32 v32, v14, v24, 2
	ds_bpermute_b32 v14, v32, v13
	v_add_u32_e32 v33, 2, v30
	v_cmp_le_u32_e32 vcc, v33, v11
	v_add_u32_e32 v35, 4, v30
	v_add_u32_e32 v37, 8, v30
	s_waitcnt lgkmcnt(0)
	v_cndmask_b32_e32 v14, 0, v14, vcc
	v_cmp_gt_u32_e32 vcc, 60, v30
	v_add_u32_e32 v13, v13, v14
	v_cndmask_b32_e64 v14, 0, 1, vcc
	v_lshlrev_b32_e32 v14, 2, v14
	v_add_lshl_u32 v34, v14, v24, 2
	ds_bpermute_b32 v14, v34, v13
	v_cmp_le_u32_e32 vcc, v35, v11
	v_add_u32_e32 v39, 16, v30
	v_add_u32_e32 v41, 32, v30
	s_waitcnt lgkmcnt(0)
	v_cndmask_b32_e32 v14, 0, v14, vcc
	v_cmp_gt_u32_e32 vcc, 56, v30
	v_add_u32_e32 v13, v13, v14
	v_cndmask_b32_e64 v14, 0, 1, vcc
	v_lshlrev_b32_e32 v14, 3, v14
	v_add_lshl_u32 v36, v14, v24, 2
	ds_bpermute_b32 v14, v36, v13
	v_cmp_le_u32_e32 vcc, v37, v11
	s_waitcnt lgkmcnt(0)
	v_cndmask_b32_e32 v14, 0, v14, vcc
	v_cmp_gt_u32_e32 vcc, 48, v30
	v_add_u32_e32 v13, v13, v14
	v_cndmask_b32_e64 v14, 0, 1, vcc
	v_lshlrev_b32_e32 v14, 4, v14
	v_add_lshl_u32 v38, v14, v24, 2
	ds_bpermute_b32 v14, v38, v13
	v_cmp_le_u32_e32 vcc, v39, v11
	;; [unrolled: 9-line block ×3, first 2 shown]
	s_waitcnt lgkmcnt(0)
	v_cndmask_b32_e32 v11, 0, v14, vcc
	v_add_u32_e32 v14, v13, v11
	v_mov_b32_e32 v13, 0
	s_branch .LBB483_40
.LBB483_39:                             ;   in Loop: Header=BB483_40 Depth=1
	s_or_b64 exec, exec, s[40:41]
	v_cmp_eq_u16_sdwa s[40:41], v15, v29 src0_sel:BYTE_0 src1_sel:DWORD
	v_and_b32_e32 v18, s41, v17
	v_or_b32_e32 v18, 0x80000000, v18
	ds_bpermute_b32 v42, v31, v14
	v_and_b32_e32 v19, s40, v16
	v_ffbl_b32_e32 v18, v18
	v_add_u32_e32 v18, 32, v18
	v_ffbl_b32_e32 v19, v19
	v_min_u32_e32 v18, v19, v18
	v_cmp_lt_u32_e32 vcc, v30, v18
	s_waitcnt lgkmcnt(0)
	v_cndmask_b32_e32 v19, 0, v42, vcc
	v_add_u32_e32 v14, v19, v14
	ds_bpermute_b32 v19, v32, v14
	v_cmp_le_u32_e32 vcc, v33, v18
	v_subrev_u32_e32 v12, 64, v12
	s_waitcnt lgkmcnt(0)
	v_cndmask_b32_e32 v19, 0, v19, vcc
	v_add_u32_e32 v14, v14, v19
	ds_bpermute_b32 v19, v34, v14
	v_cmp_le_u32_e32 vcc, v35, v18
	s_waitcnt lgkmcnt(0)
	v_cndmask_b32_e32 v19, 0, v19, vcc
	v_add_u32_e32 v14, v14, v19
	ds_bpermute_b32 v19, v36, v14
	v_cmp_le_u32_e32 vcc, v37, v18
	;; [unrolled: 5-line block ×4, first 2 shown]
	s_waitcnt lgkmcnt(0)
	v_cndmask_b32_e32 v18, 0, v19, vcc
	v_add3_u32 v14, v18, v11, v14
.LBB483_40:                             ; =>This Loop Header: Depth=1
                                        ;     Child Loop BB483_43 Depth 2
	v_cmp_ne_u16_sdwa s[40:41], v15, v29 src0_sel:BYTE_0 src1_sel:DWORD
	v_cndmask_b32_e64 v11, 0, 1, s[40:41]
	;;#ASMSTART
	;;#ASMEND
	v_cmp_ne_u32_e32 vcc, 0, v11
	s_cmp_lg_u64 vcc, exec
	v_mov_b32_e32 v11, v14
	s_cbranch_scc1 .LBB483_45
; %bb.41:                               ;   in Loop: Header=BB483_40 Depth=1
	v_lshlrev_b64 v[14:15], 3, v[12:13]
	v_mov_b32_e32 v19, s37
	v_add_co_u32_e32 v18, vcc, s36, v14
	v_addc_co_u32_e32 v19, vcc, v19, v15, vcc
	global_load_dwordx2 v[14:15], v[18:19], off glc
	s_waitcnt vmcnt(0)
	v_cmp_eq_u16_sdwa s[42:43], v15, v13 src0_sel:BYTE_0 src1_sel:DWORD
	s_and_saveexec_b64 s[40:41], s[42:43]
	s_cbranch_execz .LBB483_39
; %bb.42:                               ;   in Loop: Header=BB483_40 Depth=1
	s_mov_b64 s[42:43], 0
.LBB483_43:                             ;   Parent Loop BB483_40 Depth=1
                                        ; =>  This Inner Loop Header: Depth=2
	global_load_dwordx2 v[14:15], v[18:19], off glc
	s_waitcnt vmcnt(0)
	v_cmp_ne_u16_sdwa s[44:45], v15, v13 src0_sel:BYTE_0 src1_sel:DWORD
	s_or_b64 s[42:43], s[44:45], s[42:43]
	s_andn2_b64 exec, exec, s[42:43]
	s_cbranch_execnz .LBB483_43
; %bb.44:                               ;   in Loop: Header=BB483_40 Depth=1
	s_or_b64 exec, exec, s[42:43]
	s_branch .LBB483_39
.LBB483_45:                             ;   in Loop: Header=BB483_40 Depth=1
                                        ; implicit-def: $vgpr14
                                        ; implicit-def: $vgpr15
	s_cbranch_execz .LBB483_40
; %bb.46:
	s_and_saveexec_b64 s[40:41], s[16:17]
	s_cbranch_execz .LBB483_48
; %bb.47:
	s_add_i32 s6, s6, 64
	s_mov_b32 s7, 0
	s_lshl_b64 s[6:7], s[6:7], 3
	s_add_u32 s6, s36, s6
	v_add_u32_e32 v12, v11, v10
	v_mov_b32_e32 v13, 2
	s_addc_u32 s7, s37, s7
	v_mov_b32_e32 v14, 0
	global_store_dwordx2 v14, v[12:13], s[6:7]
	ds_write_b64 v14, v[10:11] offset:6336
.LBB483_48:
	s_or_b64 exec, exec, s[40:41]
	v_cmp_eq_u32_e32 vcc, 0, v0
	s_and_b64 exec, exec, vcc
	s_cbranch_execz .LBB483_50
; %bb.49:
	v_mov_b32_e32 v10, 0
	ds_write_b32 v10, v11 offset:8
.LBB483_50:
	s_or_b64 exec, exec, s[38:39]
	v_mov_b32_e32 v10, 0
	s_waitcnt lgkmcnt(0)
	s_barrier
	ds_read_b32 v11, v10 offset:8
	v_cndmask_b32_e64 v12, v28, v27, s[16:17]
	v_cmp_ne_u32_e32 vcc, 0, v0
	v_cndmask_b32_e32 v12, 0, v12, vcc
	s_waitcnt lgkmcnt(0)
	v_add_u32_e32 v14, v11, v12
	s_barrier
	ds_read_b64 v[10:11], v10 offset:6336
	v_add_u32_sdwa v15, v14, v22 dst_sel:DWORD dst_unused:UNUSED_PAD src0_sel:DWORD src1_sel:BYTE_0
	v_add_u32_sdwa v13, v15, v22 dst_sel:DWORD dst_unused:UNUSED_PAD src0_sel:DWORD src1_sel:BYTE_1
	v_add_u32_e32 v12, v13, v23
	s_load_dwordx2 s[4:5], s[4:5], 0x30
	s_branch .LBB483_61
.LBB483_51:
                                        ; implicit-def: $vgpr11
                                        ; implicit-def: $vgpr12
                                        ; implicit-def: $vgpr13
                                        ; implicit-def: $vgpr15
                                        ; implicit-def: $vgpr14
	s_load_dwordx2 s[4:5], s[4:5], 0x30
	s_cbranch_execz .LBB483_61
; %bb.52:
	s_waitcnt lgkmcnt(0)
	v_mov_b32_dpp v10, v26 row_shr:1 row_mask:0xf bank_mask:0xf
	v_cndmask_b32_e64 v10, v10, 0, s[14:15]
	v_add_u32_e32 v10, v10, v26
	s_nop 1
	v_mov_b32_dpp v11, v10 row_shr:2 row_mask:0xf bank_mask:0xf
	v_cndmask_b32_e64 v11, 0, v11, s[12:13]
	v_add_u32_e32 v10, v10, v11
	s_nop 1
	;; [unrolled: 4-line block ×4, first 2 shown]
	v_mov_b32_dpp v11, v10 row_bcast:15 row_mask:0xf bank_mask:0xf
	v_cndmask_b32_e64 v11, v11, 0, s[2:3]
	v_add_u32_e32 v10, v10, v11
	s_nop 1
	v_mov_b32_dpp v11, v10 row_bcast:31 row_mask:0xf bank_mask:0xf
	v_cndmask_b32_e64 v11, 0, v11, s[0:1]
	v_add_u32_e32 v10, v10, v11
	s_and_saveexec_b64 s[0:1], s[18:19]
	s_cbranch_execz .LBB483_54
; %bb.53:
	v_lshlrev_b32_e32 v11, 2, v25
	ds_write_b32 v11, v10
.LBB483_54:
	s_or_b64 exec, exec, s[0:1]
	v_cmp_gt_u32_e32 vcc, 3, v0
	s_waitcnt lgkmcnt(0)
	s_barrier
	s_and_saveexec_b64 s[0:1], vcc
	s_cbranch_execz .LBB483_56
; %bb.55:
	ds_read_b32 v11, v20
	v_and_b32_e32 v12, 3, v24
	v_cmp_ne_u32_e32 vcc, 0, v12
	s_waitcnt lgkmcnt(0)
	v_mov_b32_dpp v13, v11 row_shr:1 row_mask:0xf bank_mask:0xf
	v_cndmask_b32_e32 v13, 0, v13, vcc
	v_add_u32_e32 v11, v13, v11
	v_cmp_lt_u32_e32 vcc, 1, v12
	s_nop 0
	v_mov_b32_dpp v13, v11 row_shr:2 row_mask:0xf bank_mask:0xf
	v_cndmask_b32_e32 v12, 0, v13, vcc
	v_add_u32_e32 v11, v11, v12
	ds_write_b32 v20, v11
.LBB483_56:
	s_or_b64 exec, exec, s[0:1]
	v_cmp_lt_u32_e32 vcc, 63, v0
	v_mov_b32_e32 v11, 0
	v_mov_b32_e32 v12, 0
	s_waitcnt lgkmcnt(0)
	s_barrier
	s_and_saveexec_b64 s[0:1], vcc
	s_cbranch_execz .LBB483_58
; %bb.57:
	v_lshl_add_u32 v12, v25, 2, -4
	ds_read_b32 v12, v12
.LBB483_58:
	s_or_b64 exec, exec, s[0:1]
	v_add_u32_e32 v13, -1, v24
	v_and_b32_e32 v14, 64, v24
	v_cmp_lt_i32_e32 vcc, v13, v14
	v_cndmask_b32_e32 v13, v13, v24, vcc
	s_waitcnt lgkmcnt(0)
	v_add_u32_e32 v10, v12, v10
	v_lshlrev_b32_e32 v13, 2, v13
	ds_bpermute_b32 v13, v13, v10
	ds_read_b32 v10, v11 offset:8
	v_cmp_eq_u32_e32 vcc, 0, v0
	s_and_saveexec_b64 s[0:1], vcc
	s_cbranch_execz .LBB483_60
; %bb.59:
	v_mov_b32_e32 v14, 0
	v_mov_b32_e32 v11, 2
	s_waitcnt lgkmcnt(0)
	global_store_dwordx2 v14, v[10:11], s[36:37] offset:512
.LBB483_60:
	s_or_b64 exec, exec, s[0:1]
	v_cmp_eq_u32_e64 s[0:1], 0, v24
	s_waitcnt lgkmcnt(1)
	v_cndmask_b32_e64 v12, v13, v12, s[0:1]
	v_cndmask_b32_e64 v14, v12, 0, vcc
	v_add_u32_sdwa v15, v14, v22 dst_sel:DWORD dst_unused:UNUSED_PAD src0_sel:DWORD src1_sel:BYTE_0
	v_add_u32_sdwa v13, v15, v22 dst_sel:DWORD dst_unused:UNUSED_PAD src0_sel:DWORD src1_sel:BYTE_1
	v_mov_b32_e32 v11, 0
	v_add_u32_e32 v12, v13, v23
	s_waitcnt lgkmcnt(0)
	s_barrier
.LBB483_61:
	s_waitcnt lgkmcnt(0)
	v_add_u32_e32 v17, v10, v20
	v_sub_u32_e32 v14, v14, v11
	v_and_b32_e32 v19, 1, v22
	v_sub_u32_e32 v18, v17, v14
	v_cmp_eq_u32_e32 vcc, 1, v19
	v_cndmask_b32_e32 v14, v18, v14, vcc
	v_lshlrev_b32_e32 v14, 3, v14
	v_lshrrev_b32_e32 v16, 8, v22
	ds_write_b64 v14, v[6:7]
	v_sub_u32_e32 v6, v15, v11
	v_sub_u32_e32 v7, v17, v6
	v_and_b32_e32 v14, 1, v16
	v_add_u32_e32 v7, 1, v7
	v_cmp_eq_u32_e32 vcc, 1, v14
	v_cndmask_b32_e32 v6, v7, v6, vcc
	v_lshlrev_b32_e32 v6, 3, v6
	ds_write_b64 v6, v[8:9]
	v_sub_u32_e32 v6, v13, v11
	v_mov_b32_e32 v8, 1
	v_sub_u32_e32 v7, v17, v6
	v_and_b32_sdwa v8, v8, v22 dst_sel:DWORD dst_unused:UNUSED_PAD src0_sel:DWORD src1_sel:WORD_1
	v_add_u32_e32 v7, 2, v7
	v_cmp_eq_u32_e32 vcc, 1, v8
	v_cndmask_b32_e32 v6, v7, v6, vcc
	v_lshlrev_b32_e32 v6, 3, v6
	ds_write_b64 v6, v[2:3]
	v_sub_u32_e32 v2, v12, v11
	v_sub_u32_e32 v3, v17, v2
	v_and_b32_e32 v6, 1, v21
	v_add_u32_e32 v3, 3, v3
	v_cmp_eq_u32_e32 vcc, 1, v6
	v_cndmask_b32_e32 v2, v3, v2, vcc
	s_add_u32 s0, s26, s24
	v_lshlrev_b32_e32 v2, 3, v2
	s_addc_u32 s1, s27, 0
	ds_write_b64 v2, v[4:5]
	s_waitcnt lgkmcnt(0)
	s_barrier
	ds_read2st64_b64 v[6:9], v1 offset1:3
	ds_read2st64_b64 v[2:5], v1 offset0:6 offset1:9
	v_mov_b32_e32 v12, s31
	v_add_co_u32_e32 v1, vcc, s30, v11
	s_sub_u32 s0, s28, s0
	v_addc_co_u32_e32 v11, vcc, 0, v12, vcc
	s_subb_u32 s1, s29, s1
	v_mov_b32_e32 v12, s1
	v_add_co_u32_e32 v13, vcc, s0, v10
	v_addc_co_u32_e32 v12, vcc, 0, v12, vcc
	v_add_co_u32_e64 v15, s[0:1], v13, v1
	v_add_u32_e32 v18, 0xc0, v0
	v_add_u32_e32 v17, 0x180, v0
	;; [unrolled: 1-line block ×3, first 2 shown]
	s_andn2_b64 vcc, exec, s[34:35]
	v_addc_co_u32_e64 v16, s[0:1], v12, v11, s[0:1]
	s_cbranch_vccnz .LBB483_79
; %bb.62:
	v_cmp_ge_u32_e32 vcc, v0, v10
                                        ; implicit-def: $vgpr12_vgpr13
	s_and_saveexec_b64 s[0:1], vcc
	s_xor_b64 s[0:1], exec, s[0:1]
; %bb.63:
	v_not_b32_e32 v12, v0
	v_ashrrev_i32_e32 v13, 31, v12
	v_add_co_u32_e32 v12, vcc, v15, v12
	v_addc_co_u32_e32 v13, vcc, v16, v13, vcc
; %bb.64:
	s_andn2_saveexec_b64 s[0:1], s[0:1]
; %bb.65:
	v_add_co_u32_e32 v12, vcc, v1, v0
	v_addc_co_u32_e32 v13, vcc, 0, v11, vcc
; %bb.66:
	s_or_b64 exec, exec, s[0:1]
	v_lshlrev_b64 v[12:13], 3, v[12:13]
	v_mov_b32_e32 v19, s5
	v_add_co_u32_e32 v12, vcc, s4, v12
	v_addc_co_u32_e32 v13, vcc, v19, v13, vcc
	v_cmp_ge_u32_e32 vcc, v18, v10
	s_waitcnt lgkmcnt(1)
	global_store_dwordx2 v[12:13], v[6:7], off
                                        ; implicit-def: $vgpr12_vgpr13
	s_and_saveexec_b64 s[0:1], vcc
	s_xor_b64 s[0:1], exec, s[0:1]
; %bb.67:
	v_sub_u32_e32 v12, 0xffffff3f, v0
	v_ashrrev_i32_e32 v13, 31, v12
	v_add_co_u32_e32 v12, vcc, v15, v12
	v_addc_co_u32_e32 v13, vcc, v16, v13, vcc
; %bb.68:
	s_andn2_saveexec_b64 s[0:1], s[0:1]
; %bb.69:
	v_add_co_u32_e32 v12, vcc, v1, v18
	v_addc_co_u32_e32 v13, vcc, 0, v11, vcc
; %bb.70:
	s_or_b64 exec, exec, s[0:1]
	v_lshlrev_b64 v[12:13], 3, v[12:13]
	v_mov_b32_e32 v19, s5
	v_add_co_u32_e32 v12, vcc, s4, v12
	v_addc_co_u32_e32 v13, vcc, v19, v13, vcc
	v_cmp_ge_u32_e32 vcc, v17, v10
	global_store_dwordx2 v[12:13], v[8:9], off
                                        ; implicit-def: $vgpr12_vgpr13
	s_and_saveexec_b64 s[0:1], vcc
	s_xor_b64 s[0:1], exec, s[0:1]
; %bb.71:
	v_sub_u32_e32 v12, 0xfffffe7f, v0
	v_ashrrev_i32_e32 v13, 31, v12
	v_add_co_u32_e32 v12, vcc, v15, v12
	v_addc_co_u32_e32 v13, vcc, v16, v13, vcc
; %bb.72:
	s_andn2_saveexec_b64 s[0:1], s[0:1]
; %bb.73:
	v_add_co_u32_e32 v12, vcc, v1, v17
	v_addc_co_u32_e32 v13, vcc, 0, v11, vcc
; %bb.74:
	s_or_b64 exec, exec, s[0:1]
	v_lshlrev_b64 v[12:13], 3, v[12:13]
	v_mov_b32_e32 v19, s5
	v_add_co_u32_e32 v12, vcc, s4, v12
	v_addc_co_u32_e32 v13, vcc, v19, v13, vcc
	v_cmp_ge_u32_e32 vcc, v14, v10
	s_waitcnt lgkmcnt(0)
	global_store_dwordx2 v[12:13], v[2:3], off
                                        ; implicit-def: $vgpr12_vgpr13
	s_and_saveexec_b64 s[0:1], vcc
	s_xor_b64 s[0:1], exec, s[0:1]
; %bb.75:
	v_sub_u32_e32 v12, 0xfffffdbf, v0
	v_ashrrev_i32_e32 v13, 31, v12
	v_add_co_u32_e32 v12, vcc, v15, v12
	v_addc_co_u32_e32 v13, vcc, v16, v13, vcc
; %bb.76:
	s_andn2_saveexec_b64 s[0:1], s[0:1]
; %bb.77:
	v_add_co_u32_e32 v12, vcc, v1, v14
	v_addc_co_u32_e32 v13, vcc, 0, v11, vcc
; %bb.78:
	s_or_b64 exec, exec, s[0:1]
	s_mov_b64 s[0:1], -1
	s_branch .LBB483_105
.LBB483_79:
	s_mov_b64 s[0:1], 0
                                        ; implicit-def: $vgpr12_vgpr13
	s_cbranch_execz .LBB483_105
; %bb.80:
	v_cmp_gt_u32_e32 vcc, s33, v0
	s_and_saveexec_b64 s[2:3], vcc
	s_cbranch_execz .LBB483_88
; %bb.81:
	v_cmp_ge_u32_e32 vcc, v0, v10
                                        ; implicit-def: $vgpr12_vgpr13
	s_and_saveexec_b64 s[6:7], vcc
	s_xor_b64 s[6:7], exec, s[6:7]
; %bb.82:
	v_not_b32_e32 v12, v0
	v_ashrrev_i32_e32 v13, 31, v12
	v_add_co_u32_e32 v12, vcc, v15, v12
	v_addc_co_u32_e32 v13, vcc, v16, v13, vcc
; %bb.83:
	s_andn2_saveexec_b64 s[6:7], s[6:7]
; %bb.84:
	v_add_co_u32_e32 v12, vcc, v1, v0
	v_addc_co_u32_e32 v13, vcc, 0, v11, vcc
; %bb.85:
	s_or_b64 exec, exec, s[6:7]
	v_lshlrev_b64 v[12:13], 3, v[12:13]
	v_mov_b32_e32 v19, s5
	v_add_co_u32_e32 v12, vcc, s4, v12
	v_addc_co_u32_e32 v13, vcc, v19, v13, vcc
	s_waitcnt lgkmcnt(1)
	global_store_dwordx2 v[12:13], v[6:7], off
	s_or_b64 exec, exec, s[2:3]
	v_cmp_gt_u32_e32 vcc, s33, v18
	s_and_saveexec_b64 s[2:3], vcc
	s_cbranch_execnz .LBB483_89
.LBB483_86:
	s_or_b64 exec, exec, s[2:3]
	v_cmp_gt_u32_e32 vcc, s33, v17
	s_and_saveexec_b64 s[2:3], vcc
	s_cbranch_execnz .LBB483_94
.LBB483_87:
	s_or_b64 exec, exec, s[2:3]
	v_cmp_gt_u32_e32 vcc, s33, v14
                                        ; implicit-def: $vgpr12_vgpr13
	s_and_saveexec_b64 s[2:3], vcc
	s_cbranch_execz .LBB483_104
	s_branch .LBB483_99
.LBB483_88:
	s_or_b64 exec, exec, s[2:3]
	v_cmp_gt_u32_e32 vcc, s33, v18
	s_and_saveexec_b64 s[2:3], vcc
	s_cbranch_execz .LBB483_86
.LBB483_89:
	v_cmp_ge_u32_e32 vcc, v18, v10
                                        ; implicit-def: $vgpr6_vgpr7
	s_and_saveexec_b64 s[6:7], vcc
	s_xor_b64 s[6:7], exec, s[6:7]
	s_cbranch_execz .LBB483_91
; %bb.90:
	s_waitcnt lgkmcnt(1)
	v_sub_u32_e32 v6, 0xffffff3f, v0
	v_ashrrev_i32_e32 v7, 31, v6
	v_add_co_u32_e32 v6, vcc, v15, v6
	v_addc_co_u32_e32 v7, vcc, v16, v7, vcc
                                        ; implicit-def: $vgpr18
.LBB483_91:
	s_andn2_saveexec_b64 s[6:7], s[6:7]
	s_cbranch_execz .LBB483_93
; %bb.92:
	s_waitcnt lgkmcnt(1)
	v_add_co_u32_e32 v6, vcc, v1, v18
	v_addc_co_u32_e32 v7, vcc, 0, v11, vcc
.LBB483_93:
	s_or_b64 exec, exec, s[6:7]
	s_waitcnt lgkmcnt(1)
	v_lshlrev_b64 v[6:7], 3, v[6:7]
	v_mov_b32_e32 v12, s5
	v_add_co_u32_e32 v6, vcc, s4, v6
	v_addc_co_u32_e32 v7, vcc, v12, v7, vcc
	global_store_dwordx2 v[6:7], v[8:9], off
	s_or_b64 exec, exec, s[2:3]
	v_cmp_gt_u32_e32 vcc, s33, v17
	s_and_saveexec_b64 s[2:3], vcc
	s_cbranch_execz .LBB483_87
.LBB483_94:
	v_cmp_ge_u32_e32 vcc, v17, v10
                                        ; implicit-def: $vgpr6_vgpr7
	s_and_saveexec_b64 s[6:7], vcc
	s_xor_b64 s[6:7], exec, s[6:7]
	s_cbranch_execz .LBB483_96
; %bb.95:
	s_waitcnt lgkmcnt(1)
	v_sub_u32_e32 v6, 0xfffffe7f, v0
	v_ashrrev_i32_e32 v7, 31, v6
	v_add_co_u32_e32 v6, vcc, v15, v6
	v_addc_co_u32_e32 v7, vcc, v16, v7, vcc
                                        ; implicit-def: $vgpr17
.LBB483_96:
	s_andn2_saveexec_b64 s[6:7], s[6:7]
	s_cbranch_execz .LBB483_98
; %bb.97:
	s_waitcnt lgkmcnt(1)
	v_add_co_u32_e32 v6, vcc, v1, v17
	v_addc_co_u32_e32 v7, vcc, 0, v11, vcc
.LBB483_98:
	s_or_b64 exec, exec, s[6:7]
	s_waitcnt lgkmcnt(1)
	v_lshlrev_b64 v[6:7], 3, v[6:7]
	v_mov_b32_e32 v8, s5
	v_add_co_u32_e32 v6, vcc, s4, v6
	v_addc_co_u32_e32 v7, vcc, v8, v7, vcc
	s_waitcnt lgkmcnt(0)
	global_store_dwordx2 v[6:7], v[2:3], off
	s_or_b64 exec, exec, s[2:3]
	v_cmp_gt_u32_e32 vcc, s33, v14
                                        ; implicit-def: $vgpr12_vgpr13
	s_and_saveexec_b64 s[2:3], vcc
	s_cbranch_execz .LBB483_104
.LBB483_99:
	v_cmp_ge_u32_e32 vcc, v14, v10
                                        ; implicit-def: $vgpr12_vgpr13
	s_and_saveexec_b64 s[6:7], vcc
	s_xor_b64 s[6:7], exec, s[6:7]
	s_cbranch_execz .LBB483_101
; %bb.100:
	s_waitcnt lgkmcnt(0)
	v_sub_u32_e32 v2, 0xfffffdbf, v0
	v_ashrrev_i32_e32 v3, 31, v2
	v_add_co_u32_e32 v12, vcc, v15, v2
	v_addc_co_u32_e32 v13, vcc, v16, v3, vcc
                                        ; implicit-def: $vgpr14
.LBB483_101:
	s_andn2_saveexec_b64 s[6:7], s[6:7]
; %bb.102:
	v_add_co_u32_e32 v12, vcc, v1, v14
	v_addc_co_u32_e32 v13, vcc, 0, v11, vcc
; %bb.103:
	s_or_b64 exec, exec, s[6:7]
	s_or_b64 s[0:1], s[0:1], exec
.LBB483_104:
	s_or_b64 exec, exec, s[2:3]
.LBB483_105:
	s_and_saveexec_b64 s[2:3], s[0:1]
	s_cbranch_execz .LBB483_107
; %bb.106:
	s_waitcnt lgkmcnt(0)
	v_lshlrev_b64 v[2:3], 3, v[12:13]
	v_mov_b32_e32 v6, s5
	v_add_co_u32_e32 v2, vcc, s4, v2
	v_addc_co_u32_e32 v3, vcc, v6, v3, vcc
	global_store_dwordx2 v[2:3], v[4:5], off
.LBB483_107:
	s_or_b64 exec, exec, s[2:3]
	v_cmp_eq_u32_e32 vcc, 0, v0
	s_and_b64 s[0:1], vcc, s[22:23]
	s_and_saveexec_b64 s[2:3], s[0:1]
	s_cbranch_execz .LBB483_109
; %bb.108:
	v_add_co_u32_e32 v0, vcc, v1, v10
	s_waitcnt lgkmcnt(0)
	v_mov_b32_e32 v2, 0
	v_addc_co_u32_e32 v1, vcc, 0, v11, vcc
	global_store_dwordx2 v2, v[0:1], s[20:21]
.LBB483_109:
	s_endpgm
	.section	.rodata,"a",@progbits
	.p2align	6, 0x0
	.amdhsa_kernel _ZN7rocprim17ROCPRIM_400000_NS6detail17trampoline_kernelINS0_14default_configENS1_25partition_config_selectorILNS1_17partition_subalgoE2ExNS0_10empty_typeEbEEZZNS1_14partition_implILS5_2ELb0ES3_jN6thrust23THRUST_200600_302600_NS6detail15normal_iteratorINSA_7pointerIxNSA_11hip_rocprim3tagENSA_11use_defaultESG_EEEEPS6_NSA_18transform_iteratorINSA_8identityIxEENSC_INSA_10device_ptrIxEEEESG_SG_EENS0_5tupleIJPxSJ_EEENSR_IJSJ_SJ_EEES6_PlJS6_EEE10hipError_tPvRmT3_T4_T5_T6_T7_T9_mT8_P12ihipStream_tbDpT10_ENKUlT_T0_E_clISt17integral_constantIbLb0EES1F_EEDaS1A_S1B_EUlS1A_E_NS1_11comp_targetILNS1_3genE4ELNS1_11target_archE910ELNS1_3gpuE8ELNS1_3repE0EEENS1_30default_config_static_selectorELNS0_4arch9wavefront6targetE1EEEvT1_
		.amdhsa_group_segment_fixed_size 6344
		.amdhsa_private_segment_fixed_size 0
		.amdhsa_kernarg_size 128
		.amdhsa_user_sgpr_count 6
		.amdhsa_user_sgpr_private_segment_buffer 1
		.amdhsa_user_sgpr_dispatch_ptr 0
		.amdhsa_user_sgpr_queue_ptr 0
		.amdhsa_user_sgpr_kernarg_segment_ptr 1
		.amdhsa_user_sgpr_dispatch_id 0
		.amdhsa_user_sgpr_flat_scratch_init 0
		.amdhsa_user_sgpr_kernarg_preload_length 0
		.amdhsa_user_sgpr_kernarg_preload_offset 0
		.amdhsa_user_sgpr_private_segment_size 0
		.amdhsa_uses_dynamic_stack 0
		.amdhsa_system_sgpr_private_segment_wavefront_offset 0
		.amdhsa_system_sgpr_workgroup_id_x 1
		.amdhsa_system_sgpr_workgroup_id_y 0
		.amdhsa_system_sgpr_workgroup_id_z 0
		.amdhsa_system_sgpr_workgroup_info 0
		.amdhsa_system_vgpr_workitem_id 0
		.amdhsa_next_free_vgpr 43
		.amdhsa_next_free_sgpr 46
		.amdhsa_accum_offset 44
		.amdhsa_reserve_vcc 1
		.amdhsa_reserve_flat_scratch 0
		.amdhsa_float_round_mode_32 0
		.amdhsa_float_round_mode_16_64 0
		.amdhsa_float_denorm_mode_32 3
		.amdhsa_float_denorm_mode_16_64 3
		.amdhsa_dx10_clamp 1
		.amdhsa_ieee_mode 1
		.amdhsa_fp16_overflow 0
		.amdhsa_tg_split 0
		.amdhsa_exception_fp_ieee_invalid_op 0
		.amdhsa_exception_fp_denorm_src 0
		.amdhsa_exception_fp_ieee_div_zero 0
		.amdhsa_exception_fp_ieee_overflow 0
		.amdhsa_exception_fp_ieee_underflow 0
		.amdhsa_exception_fp_ieee_inexact 0
		.amdhsa_exception_int_div_zero 0
	.end_amdhsa_kernel
	.section	.text._ZN7rocprim17ROCPRIM_400000_NS6detail17trampoline_kernelINS0_14default_configENS1_25partition_config_selectorILNS1_17partition_subalgoE2ExNS0_10empty_typeEbEEZZNS1_14partition_implILS5_2ELb0ES3_jN6thrust23THRUST_200600_302600_NS6detail15normal_iteratorINSA_7pointerIxNSA_11hip_rocprim3tagENSA_11use_defaultESG_EEEEPS6_NSA_18transform_iteratorINSA_8identityIxEENSC_INSA_10device_ptrIxEEEESG_SG_EENS0_5tupleIJPxSJ_EEENSR_IJSJ_SJ_EEES6_PlJS6_EEE10hipError_tPvRmT3_T4_T5_T6_T7_T9_mT8_P12ihipStream_tbDpT10_ENKUlT_T0_E_clISt17integral_constantIbLb0EES1F_EEDaS1A_S1B_EUlS1A_E_NS1_11comp_targetILNS1_3genE4ELNS1_11target_archE910ELNS1_3gpuE8ELNS1_3repE0EEENS1_30default_config_static_selectorELNS0_4arch9wavefront6targetE1EEEvT1_,"axG",@progbits,_ZN7rocprim17ROCPRIM_400000_NS6detail17trampoline_kernelINS0_14default_configENS1_25partition_config_selectorILNS1_17partition_subalgoE2ExNS0_10empty_typeEbEEZZNS1_14partition_implILS5_2ELb0ES3_jN6thrust23THRUST_200600_302600_NS6detail15normal_iteratorINSA_7pointerIxNSA_11hip_rocprim3tagENSA_11use_defaultESG_EEEEPS6_NSA_18transform_iteratorINSA_8identityIxEENSC_INSA_10device_ptrIxEEEESG_SG_EENS0_5tupleIJPxSJ_EEENSR_IJSJ_SJ_EEES6_PlJS6_EEE10hipError_tPvRmT3_T4_T5_T6_T7_T9_mT8_P12ihipStream_tbDpT10_ENKUlT_T0_E_clISt17integral_constantIbLb0EES1F_EEDaS1A_S1B_EUlS1A_E_NS1_11comp_targetILNS1_3genE4ELNS1_11target_archE910ELNS1_3gpuE8ELNS1_3repE0EEENS1_30default_config_static_selectorELNS0_4arch9wavefront6targetE1EEEvT1_,comdat
.Lfunc_end483:
	.size	_ZN7rocprim17ROCPRIM_400000_NS6detail17trampoline_kernelINS0_14default_configENS1_25partition_config_selectorILNS1_17partition_subalgoE2ExNS0_10empty_typeEbEEZZNS1_14partition_implILS5_2ELb0ES3_jN6thrust23THRUST_200600_302600_NS6detail15normal_iteratorINSA_7pointerIxNSA_11hip_rocprim3tagENSA_11use_defaultESG_EEEEPS6_NSA_18transform_iteratorINSA_8identityIxEENSC_INSA_10device_ptrIxEEEESG_SG_EENS0_5tupleIJPxSJ_EEENSR_IJSJ_SJ_EEES6_PlJS6_EEE10hipError_tPvRmT3_T4_T5_T6_T7_T9_mT8_P12ihipStream_tbDpT10_ENKUlT_T0_E_clISt17integral_constantIbLb0EES1F_EEDaS1A_S1B_EUlS1A_E_NS1_11comp_targetILNS1_3genE4ELNS1_11target_archE910ELNS1_3gpuE8ELNS1_3repE0EEENS1_30default_config_static_selectorELNS0_4arch9wavefront6targetE1EEEvT1_, .Lfunc_end483-_ZN7rocprim17ROCPRIM_400000_NS6detail17trampoline_kernelINS0_14default_configENS1_25partition_config_selectorILNS1_17partition_subalgoE2ExNS0_10empty_typeEbEEZZNS1_14partition_implILS5_2ELb0ES3_jN6thrust23THRUST_200600_302600_NS6detail15normal_iteratorINSA_7pointerIxNSA_11hip_rocprim3tagENSA_11use_defaultESG_EEEEPS6_NSA_18transform_iteratorINSA_8identityIxEENSC_INSA_10device_ptrIxEEEESG_SG_EENS0_5tupleIJPxSJ_EEENSR_IJSJ_SJ_EEES6_PlJS6_EEE10hipError_tPvRmT3_T4_T5_T6_T7_T9_mT8_P12ihipStream_tbDpT10_ENKUlT_T0_E_clISt17integral_constantIbLb0EES1F_EEDaS1A_S1B_EUlS1A_E_NS1_11comp_targetILNS1_3genE4ELNS1_11target_archE910ELNS1_3gpuE8ELNS1_3repE0EEENS1_30default_config_static_selectorELNS0_4arch9wavefront6targetE1EEEvT1_
                                        ; -- End function
	.section	.AMDGPU.csdata,"",@progbits
; Kernel info:
; codeLenInByte = 4376
; NumSgprs: 50
; NumVgprs: 43
; NumAgprs: 0
; TotalNumVgprs: 43
; ScratchSize: 0
; MemoryBound: 0
; FloatMode: 240
; IeeeMode: 1
; LDSByteSize: 6344 bytes/workgroup (compile time only)
; SGPRBlocks: 6
; VGPRBlocks: 5
; NumSGPRsForWavesPerEU: 50
; NumVGPRsForWavesPerEU: 43
; AccumOffset: 44
; Occupancy: 8
; WaveLimiterHint : 1
; COMPUTE_PGM_RSRC2:SCRATCH_EN: 0
; COMPUTE_PGM_RSRC2:USER_SGPR: 6
; COMPUTE_PGM_RSRC2:TRAP_HANDLER: 0
; COMPUTE_PGM_RSRC2:TGID_X_EN: 1
; COMPUTE_PGM_RSRC2:TGID_Y_EN: 0
; COMPUTE_PGM_RSRC2:TGID_Z_EN: 0
; COMPUTE_PGM_RSRC2:TIDIG_COMP_CNT: 0
; COMPUTE_PGM_RSRC3_GFX90A:ACCUM_OFFSET: 10
; COMPUTE_PGM_RSRC3_GFX90A:TG_SPLIT: 0
	.section	.text._ZN7rocprim17ROCPRIM_400000_NS6detail17trampoline_kernelINS0_14default_configENS1_25partition_config_selectorILNS1_17partition_subalgoE2ExNS0_10empty_typeEbEEZZNS1_14partition_implILS5_2ELb0ES3_jN6thrust23THRUST_200600_302600_NS6detail15normal_iteratorINSA_7pointerIxNSA_11hip_rocprim3tagENSA_11use_defaultESG_EEEEPS6_NSA_18transform_iteratorINSA_8identityIxEENSC_INSA_10device_ptrIxEEEESG_SG_EENS0_5tupleIJPxSJ_EEENSR_IJSJ_SJ_EEES6_PlJS6_EEE10hipError_tPvRmT3_T4_T5_T6_T7_T9_mT8_P12ihipStream_tbDpT10_ENKUlT_T0_E_clISt17integral_constantIbLb0EES1F_EEDaS1A_S1B_EUlS1A_E_NS1_11comp_targetILNS1_3genE3ELNS1_11target_archE908ELNS1_3gpuE7ELNS1_3repE0EEENS1_30default_config_static_selectorELNS0_4arch9wavefront6targetE1EEEvT1_,"axG",@progbits,_ZN7rocprim17ROCPRIM_400000_NS6detail17trampoline_kernelINS0_14default_configENS1_25partition_config_selectorILNS1_17partition_subalgoE2ExNS0_10empty_typeEbEEZZNS1_14partition_implILS5_2ELb0ES3_jN6thrust23THRUST_200600_302600_NS6detail15normal_iteratorINSA_7pointerIxNSA_11hip_rocprim3tagENSA_11use_defaultESG_EEEEPS6_NSA_18transform_iteratorINSA_8identityIxEENSC_INSA_10device_ptrIxEEEESG_SG_EENS0_5tupleIJPxSJ_EEENSR_IJSJ_SJ_EEES6_PlJS6_EEE10hipError_tPvRmT3_T4_T5_T6_T7_T9_mT8_P12ihipStream_tbDpT10_ENKUlT_T0_E_clISt17integral_constantIbLb0EES1F_EEDaS1A_S1B_EUlS1A_E_NS1_11comp_targetILNS1_3genE3ELNS1_11target_archE908ELNS1_3gpuE7ELNS1_3repE0EEENS1_30default_config_static_selectorELNS0_4arch9wavefront6targetE1EEEvT1_,comdat
	.protected	_ZN7rocprim17ROCPRIM_400000_NS6detail17trampoline_kernelINS0_14default_configENS1_25partition_config_selectorILNS1_17partition_subalgoE2ExNS0_10empty_typeEbEEZZNS1_14partition_implILS5_2ELb0ES3_jN6thrust23THRUST_200600_302600_NS6detail15normal_iteratorINSA_7pointerIxNSA_11hip_rocprim3tagENSA_11use_defaultESG_EEEEPS6_NSA_18transform_iteratorINSA_8identityIxEENSC_INSA_10device_ptrIxEEEESG_SG_EENS0_5tupleIJPxSJ_EEENSR_IJSJ_SJ_EEES6_PlJS6_EEE10hipError_tPvRmT3_T4_T5_T6_T7_T9_mT8_P12ihipStream_tbDpT10_ENKUlT_T0_E_clISt17integral_constantIbLb0EES1F_EEDaS1A_S1B_EUlS1A_E_NS1_11comp_targetILNS1_3genE3ELNS1_11target_archE908ELNS1_3gpuE7ELNS1_3repE0EEENS1_30default_config_static_selectorELNS0_4arch9wavefront6targetE1EEEvT1_ ; -- Begin function _ZN7rocprim17ROCPRIM_400000_NS6detail17trampoline_kernelINS0_14default_configENS1_25partition_config_selectorILNS1_17partition_subalgoE2ExNS0_10empty_typeEbEEZZNS1_14partition_implILS5_2ELb0ES3_jN6thrust23THRUST_200600_302600_NS6detail15normal_iteratorINSA_7pointerIxNSA_11hip_rocprim3tagENSA_11use_defaultESG_EEEEPS6_NSA_18transform_iteratorINSA_8identityIxEENSC_INSA_10device_ptrIxEEEESG_SG_EENS0_5tupleIJPxSJ_EEENSR_IJSJ_SJ_EEES6_PlJS6_EEE10hipError_tPvRmT3_T4_T5_T6_T7_T9_mT8_P12ihipStream_tbDpT10_ENKUlT_T0_E_clISt17integral_constantIbLb0EES1F_EEDaS1A_S1B_EUlS1A_E_NS1_11comp_targetILNS1_3genE3ELNS1_11target_archE908ELNS1_3gpuE7ELNS1_3repE0EEENS1_30default_config_static_selectorELNS0_4arch9wavefront6targetE1EEEvT1_
	.globl	_ZN7rocprim17ROCPRIM_400000_NS6detail17trampoline_kernelINS0_14default_configENS1_25partition_config_selectorILNS1_17partition_subalgoE2ExNS0_10empty_typeEbEEZZNS1_14partition_implILS5_2ELb0ES3_jN6thrust23THRUST_200600_302600_NS6detail15normal_iteratorINSA_7pointerIxNSA_11hip_rocprim3tagENSA_11use_defaultESG_EEEEPS6_NSA_18transform_iteratorINSA_8identityIxEENSC_INSA_10device_ptrIxEEEESG_SG_EENS0_5tupleIJPxSJ_EEENSR_IJSJ_SJ_EEES6_PlJS6_EEE10hipError_tPvRmT3_T4_T5_T6_T7_T9_mT8_P12ihipStream_tbDpT10_ENKUlT_T0_E_clISt17integral_constantIbLb0EES1F_EEDaS1A_S1B_EUlS1A_E_NS1_11comp_targetILNS1_3genE3ELNS1_11target_archE908ELNS1_3gpuE7ELNS1_3repE0EEENS1_30default_config_static_selectorELNS0_4arch9wavefront6targetE1EEEvT1_
	.p2align	8
	.type	_ZN7rocprim17ROCPRIM_400000_NS6detail17trampoline_kernelINS0_14default_configENS1_25partition_config_selectorILNS1_17partition_subalgoE2ExNS0_10empty_typeEbEEZZNS1_14partition_implILS5_2ELb0ES3_jN6thrust23THRUST_200600_302600_NS6detail15normal_iteratorINSA_7pointerIxNSA_11hip_rocprim3tagENSA_11use_defaultESG_EEEEPS6_NSA_18transform_iteratorINSA_8identityIxEENSC_INSA_10device_ptrIxEEEESG_SG_EENS0_5tupleIJPxSJ_EEENSR_IJSJ_SJ_EEES6_PlJS6_EEE10hipError_tPvRmT3_T4_T5_T6_T7_T9_mT8_P12ihipStream_tbDpT10_ENKUlT_T0_E_clISt17integral_constantIbLb0EES1F_EEDaS1A_S1B_EUlS1A_E_NS1_11comp_targetILNS1_3genE3ELNS1_11target_archE908ELNS1_3gpuE7ELNS1_3repE0EEENS1_30default_config_static_selectorELNS0_4arch9wavefront6targetE1EEEvT1_,@function
_ZN7rocprim17ROCPRIM_400000_NS6detail17trampoline_kernelINS0_14default_configENS1_25partition_config_selectorILNS1_17partition_subalgoE2ExNS0_10empty_typeEbEEZZNS1_14partition_implILS5_2ELb0ES3_jN6thrust23THRUST_200600_302600_NS6detail15normal_iteratorINSA_7pointerIxNSA_11hip_rocprim3tagENSA_11use_defaultESG_EEEEPS6_NSA_18transform_iteratorINSA_8identityIxEENSC_INSA_10device_ptrIxEEEESG_SG_EENS0_5tupleIJPxSJ_EEENSR_IJSJ_SJ_EEES6_PlJS6_EEE10hipError_tPvRmT3_T4_T5_T6_T7_T9_mT8_P12ihipStream_tbDpT10_ENKUlT_T0_E_clISt17integral_constantIbLb0EES1F_EEDaS1A_S1B_EUlS1A_E_NS1_11comp_targetILNS1_3genE3ELNS1_11target_archE908ELNS1_3gpuE7ELNS1_3repE0EEENS1_30default_config_static_selectorELNS0_4arch9wavefront6targetE1EEEvT1_: ; @_ZN7rocprim17ROCPRIM_400000_NS6detail17trampoline_kernelINS0_14default_configENS1_25partition_config_selectorILNS1_17partition_subalgoE2ExNS0_10empty_typeEbEEZZNS1_14partition_implILS5_2ELb0ES3_jN6thrust23THRUST_200600_302600_NS6detail15normal_iteratorINSA_7pointerIxNSA_11hip_rocprim3tagENSA_11use_defaultESG_EEEEPS6_NSA_18transform_iteratorINSA_8identityIxEENSC_INSA_10device_ptrIxEEEESG_SG_EENS0_5tupleIJPxSJ_EEENSR_IJSJ_SJ_EEES6_PlJS6_EEE10hipError_tPvRmT3_T4_T5_T6_T7_T9_mT8_P12ihipStream_tbDpT10_ENKUlT_T0_E_clISt17integral_constantIbLb0EES1F_EEDaS1A_S1B_EUlS1A_E_NS1_11comp_targetILNS1_3genE3ELNS1_11target_archE908ELNS1_3gpuE7ELNS1_3repE0EEENS1_30default_config_static_selectorELNS0_4arch9wavefront6targetE1EEEvT1_
; %bb.0:
	.section	.rodata,"a",@progbits
	.p2align	6, 0x0
	.amdhsa_kernel _ZN7rocprim17ROCPRIM_400000_NS6detail17trampoline_kernelINS0_14default_configENS1_25partition_config_selectorILNS1_17partition_subalgoE2ExNS0_10empty_typeEbEEZZNS1_14partition_implILS5_2ELb0ES3_jN6thrust23THRUST_200600_302600_NS6detail15normal_iteratorINSA_7pointerIxNSA_11hip_rocprim3tagENSA_11use_defaultESG_EEEEPS6_NSA_18transform_iteratorINSA_8identityIxEENSC_INSA_10device_ptrIxEEEESG_SG_EENS0_5tupleIJPxSJ_EEENSR_IJSJ_SJ_EEES6_PlJS6_EEE10hipError_tPvRmT3_T4_T5_T6_T7_T9_mT8_P12ihipStream_tbDpT10_ENKUlT_T0_E_clISt17integral_constantIbLb0EES1F_EEDaS1A_S1B_EUlS1A_E_NS1_11comp_targetILNS1_3genE3ELNS1_11target_archE908ELNS1_3gpuE7ELNS1_3repE0EEENS1_30default_config_static_selectorELNS0_4arch9wavefront6targetE1EEEvT1_
		.amdhsa_group_segment_fixed_size 0
		.amdhsa_private_segment_fixed_size 0
		.amdhsa_kernarg_size 128
		.amdhsa_user_sgpr_count 6
		.amdhsa_user_sgpr_private_segment_buffer 1
		.amdhsa_user_sgpr_dispatch_ptr 0
		.amdhsa_user_sgpr_queue_ptr 0
		.amdhsa_user_sgpr_kernarg_segment_ptr 1
		.amdhsa_user_sgpr_dispatch_id 0
		.amdhsa_user_sgpr_flat_scratch_init 0
		.amdhsa_user_sgpr_kernarg_preload_length 0
		.amdhsa_user_sgpr_kernarg_preload_offset 0
		.amdhsa_user_sgpr_private_segment_size 0
		.amdhsa_uses_dynamic_stack 0
		.amdhsa_system_sgpr_private_segment_wavefront_offset 0
		.amdhsa_system_sgpr_workgroup_id_x 1
		.amdhsa_system_sgpr_workgroup_id_y 0
		.amdhsa_system_sgpr_workgroup_id_z 0
		.amdhsa_system_sgpr_workgroup_info 0
		.amdhsa_system_vgpr_workitem_id 0
		.amdhsa_next_free_vgpr 1
		.amdhsa_next_free_sgpr 0
		.amdhsa_accum_offset 4
		.amdhsa_reserve_vcc 0
		.amdhsa_reserve_flat_scratch 0
		.amdhsa_float_round_mode_32 0
		.amdhsa_float_round_mode_16_64 0
		.amdhsa_float_denorm_mode_32 3
		.amdhsa_float_denorm_mode_16_64 3
		.amdhsa_dx10_clamp 1
		.amdhsa_ieee_mode 1
		.amdhsa_fp16_overflow 0
		.amdhsa_tg_split 0
		.amdhsa_exception_fp_ieee_invalid_op 0
		.amdhsa_exception_fp_denorm_src 0
		.amdhsa_exception_fp_ieee_div_zero 0
		.amdhsa_exception_fp_ieee_overflow 0
		.amdhsa_exception_fp_ieee_underflow 0
		.amdhsa_exception_fp_ieee_inexact 0
		.amdhsa_exception_int_div_zero 0
	.end_amdhsa_kernel
	.section	.text._ZN7rocprim17ROCPRIM_400000_NS6detail17trampoline_kernelINS0_14default_configENS1_25partition_config_selectorILNS1_17partition_subalgoE2ExNS0_10empty_typeEbEEZZNS1_14partition_implILS5_2ELb0ES3_jN6thrust23THRUST_200600_302600_NS6detail15normal_iteratorINSA_7pointerIxNSA_11hip_rocprim3tagENSA_11use_defaultESG_EEEEPS6_NSA_18transform_iteratorINSA_8identityIxEENSC_INSA_10device_ptrIxEEEESG_SG_EENS0_5tupleIJPxSJ_EEENSR_IJSJ_SJ_EEES6_PlJS6_EEE10hipError_tPvRmT3_T4_T5_T6_T7_T9_mT8_P12ihipStream_tbDpT10_ENKUlT_T0_E_clISt17integral_constantIbLb0EES1F_EEDaS1A_S1B_EUlS1A_E_NS1_11comp_targetILNS1_3genE3ELNS1_11target_archE908ELNS1_3gpuE7ELNS1_3repE0EEENS1_30default_config_static_selectorELNS0_4arch9wavefront6targetE1EEEvT1_,"axG",@progbits,_ZN7rocprim17ROCPRIM_400000_NS6detail17trampoline_kernelINS0_14default_configENS1_25partition_config_selectorILNS1_17partition_subalgoE2ExNS0_10empty_typeEbEEZZNS1_14partition_implILS5_2ELb0ES3_jN6thrust23THRUST_200600_302600_NS6detail15normal_iteratorINSA_7pointerIxNSA_11hip_rocprim3tagENSA_11use_defaultESG_EEEEPS6_NSA_18transform_iteratorINSA_8identityIxEENSC_INSA_10device_ptrIxEEEESG_SG_EENS0_5tupleIJPxSJ_EEENSR_IJSJ_SJ_EEES6_PlJS6_EEE10hipError_tPvRmT3_T4_T5_T6_T7_T9_mT8_P12ihipStream_tbDpT10_ENKUlT_T0_E_clISt17integral_constantIbLb0EES1F_EEDaS1A_S1B_EUlS1A_E_NS1_11comp_targetILNS1_3genE3ELNS1_11target_archE908ELNS1_3gpuE7ELNS1_3repE0EEENS1_30default_config_static_selectorELNS0_4arch9wavefront6targetE1EEEvT1_,comdat
.Lfunc_end484:
	.size	_ZN7rocprim17ROCPRIM_400000_NS6detail17trampoline_kernelINS0_14default_configENS1_25partition_config_selectorILNS1_17partition_subalgoE2ExNS0_10empty_typeEbEEZZNS1_14partition_implILS5_2ELb0ES3_jN6thrust23THRUST_200600_302600_NS6detail15normal_iteratorINSA_7pointerIxNSA_11hip_rocprim3tagENSA_11use_defaultESG_EEEEPS6_NSA_18transform_iteratorINSA_8identityIxEENSC_INSA_10device_ptrIxEEEESG_SG_EENS0_5tupleIJPxSJ_EEENSR_IJSJ_SJ_EEES6_PlJS6_EEE10hipError_tPvRmT3_T4_T5_T6_T7_T9_mT8_P12ihipStream_tbDpT10_ENKUlT_T0_E_clISt17integral_constantIbLb0EES1F_EEDaS1A_S1B_EUlS1A_E_NS1_11comp_targetILNS1_3genE3ELNS1_11target_archE908ELNS1_3gpuE7ELNS1_3repE0EEENS1_30default_config_static_selectorELNS0_4arch9wavefront6targetE1EEEvT1_, .Lfunc_end484-_ZN7rocprim17ROCPRIM_400000_NS6detail17trampoline_kernelINS0_14default_configENS1_25partition_config_selectorILNS1_17partition_subalgoE2ExNS0_10empty_typeEbEEZZNS1_14partition_implILS5_2ELb0ES3_jN6thrust23THRUST_200600_302600_NS6detail15normal_iteratorINSA_7pointerIxNSA_11hip_rocprim3tagENSA_11use_defaultESG_EEEEPS6_NSA_18transform_iteratorINSA_8identityIxEENSC_INSA_10device_ptrIxEEEESG_SG_EENS0_5tupleIJPxSJ_EEENSR_IJSJ_SJ_EEES6_PlJS6_EEE10hipError_tPvRmT3_T4_T5_T6_T7_T9_mT8_P12ihipStream_tbDpT10_ENKUlT_T0_E_clISt17integral_constantIbLb0EES1F_EEDaS1A_S1B_EUlS1A_E_NS1_11comp_targetILNS1_3genE3ELNS1_11target_archE908ELNS1_3gpuE7ELNS1_3repE0EEENS1_30default_config_static_selectorELNS0_4arch9wavefront6targetE1EEEvT1_
                                        ; -- End function
	.section	.AMDGPU.csdata,"",@progbits
; Kernel info:
; codeLenInByte = 0
; NumSgprs: 4
; NumVgprs: 0
; NumAgprs: 0
; TotalNumVgprs: 0
; ScratchSize: 0
; MemoryBound: 0
; FloatMode: 240
; IeeeMode: 1
; LDSByteSize: 0 bytes/workgroup (compile time only)
; SGPRBlocks: 0
; VGPRBlocks: 0
; NumSGPRsForWavesPerEU: 4
; NumVGPRsForWavesPerEU: 1
; AccumOffset: 4
; Occupancy: 8
; WaveLimiterHint : 0
; COMPUTE_PGM_RSRC2:SCRATCH_EN: 0
; COMPUTE_PGM_RSRC2:USER_SGPR: 6
; COMPUTE_PGM_RSRC2:TRAP_HANDLER: 0
; COMPUTE_PGM_RSRC2:TGID_X_EN: 1
; COMPUTE_PGM_RSRC2:TGID_Y_EN: 0
; COMPUTE_PGM_RSRC2:TGID_Z_EN: 0
; COMPUTE_PGM_RSRC2:TIDIG_COMP_CNT: 0
; COMPUTE_PGM_RSRC3_GFX90A:ACCUM_OFFSET: 0
; COMPUTE_PGM_RSRC3_GFX90A:TG_SPLIT: 0
	.section	.text._ZN7rocprim17ROCPRIM_400000_NS6detail17trampoline_kernelINS0_14default_configENS1_25partition_config_selectorILNS1_17partition_subalgoE2ExNS0_10empty_typeEbEEZZNS1_14partition_implILS5_2ELb0ES3_jN6thrust23THRUST_200600_302600_NS6detail15normal_iteratorINSA_7pointerIxNSA_11hip_rocprim3tagENSA_11use_defaultESG_EEEEPS6_NSA_18transform_iteratorINSA_8identityIxEENSC_INSA_10device_ptrIxEEEESG_SG_EENS0_5tupleIJPxSJ_EEENSR_IJSJ_SJ_EEES6_PlJS6_EEE10hipError_tPvRmT3_T4_T5_T6_T7_T9_mT8_P12ihipStream_tbDpT10_ENKUlT_T0_E_clISt17integral_constantIbLb0EES1F_EEDaS1A_S1B_EUlS1A_E_NS1_11comp_targetILNS1_3genE2ELNS1_11target_archE906ELNS1_3gpuE6ELNS1_3repE0EEENS1_30default_config_static_selectorELNS0_4arch9wavefront6targetE1EEEvT1_,"axG",@progbits,_ZN7rocprim17ROCPRIM_400000_NS6detail17trampoline_kernelINS0_14default_configENS1_25partition_config_selectorILNS1_17partition_subalgoE2ExNS0_10empty_typeEbEEZZNS1_14partition_implILS5_2ELb0ES3_jN6thrust23THRUST_200600_302600_NS6detail15normal_iteratorINSA_7pointerIxNSA_11hip_rocprim3tagENSA_11use_defaultESG_EEEEPS6_NSA_18transform_iteratorINSA_8identityIxEENSC_INSA_10device_ptrIxEEEESG_SG_EENS0_5tupleIJPxSJ_EEENSR_IJSJ_SJ_EEES6_PlJS6_EEE10hipError_tPvRmT3_T4_T5_T6_T7_T9_mT8_P12ihipStream_tbDpT10_ENKUlT_T0_E_clISt17integral_constantIbLb0EES1F_EEDaS1A_S1B_EUlS1A_E_NS1_11comp_targetILNS1_3genE2ELNS1_11target_archE906ELNS1_3gpuE6ELNS1_3repE0EEENS1_30default_config_static_selectorELNS0_4arch9wavefront6targetE1EEEvT1_,comdat
	.protected	_ZN7rocprim17ROCPRIM_400000_NS6detail17trampoline_kernelINS0_14default_configENS1_25partition_config_selectorILNS1_17partition_subalgoE2ExNS0_10empty_typeEbEEZZNS1_14partition_implILS5_2ELb0ES3_jN6thrust23THRUST_200600_302600_NS6detail15normal_iteratorINSA_7pointerIxNSA_11hip_rocprim3tagENSA_11use_defaultESG_EEEEPS6_NSA_18transform_iteratorINSA_8identityIxEENSC_INSA_10device_ptrIxEEEESG_SG_EENS0_5tupleIJPxSJ_EEENSR_IJSJ_SJ_EEES6_PlJS6_EEE10hipError_tPvRmT3_T4_T5_T6_T7_T9_mT8_P12ihipStream_tbDpT10_ENKUlT_T0_E_clISt17integral_constantIbLb0EES1F_EEDaS1A_S1B_EUlS1A_E_NS1_11comp_targetILNS1_3genE2ELNS1_11target_archE906ELNS1_3gpuE6ELNS1_3repE0EEENS1_30default_config_static_selectorELNS0_4arch9wavefront6targetE1EEEvT1_ ; -- Begin function _ZN7rocprim17ROCPRIM_400000_NS6detail17trampoline_kernelINS0_14default_configENS1_25partition_config_selectorILNS1_17partition_subalgoE2ExNS0_10empty_typeEbEEZZNS1_14partition_implILS5_2ELb0ES3_jN6thrust23THRUST_200600_302600_NS6detail15normal_iteratorINSA_7pointerIxNSA_11hip_rocprim3tagENSA_11use_defaultESG_EEEEPS6_NSA_18transform_iteratorINSA_8identityIxEENSC_INSA_10device_ptrIxEEEESG_SG_EENS0_5tupleIJPxSJ_EEENSR_IJSJ_SJ_EEES6_PlJS6_EEE10hipError_tPvRmT3_T4_T5_T6_T7_T9_mT8_P12ihipStream_tbDpT10_ENKUlT_T0_E_clISt17integral_constantIbLb0EES1F_EEDaS1A_S1B_EUlS1A_E_NS1_11comp_targetILNS1_3genE2ELNS1_11target_archE906ELNS1_3gpuE6ELNS1_3repE0EEENS1_30default_config_static_selectorELNS0_4arch9wavefront6targetE1EEEvT1_
	.globl	_ZN7rocprim17ROCPRIM_400000_NS6detail17trampoline_kernelINS0_14default_configENS1_25partition_config_selectorILNS1_17partition_subalgoE2ExNS0_10empty_typeEbEEZZNS1_14partition_implILS5_2ELb0ES3_jN6thrust23THRUST_200600_302600_NS6detail15normal_iteratorINSA_7pointerIxNSA_11hip_rocprim3tagENSA_11use_defaultESG_EEEEPS6_NSA_18transform_iteratorINSA_8identityIxEENSC_INSA_10device_ptrIxEEEESG_SG_EENS0_5tupleIJPxSJ_EEENSR_IJSJ_SJ_EEES6_PlJS6_EEE10hipError_tPvRmT3_T4_T5_T6_T7_T9_mT8_P12ihipStream_tbDpT10_ENKUlT_T0_E_clISt17integral_constantIbLb0EES1F_EEDaS1A_S1B_EUlS1A_E_NS1_11comp_targetILNS1_3genE2ELNS1_11target_archE906ELNS1_3gpuE6ELNS1_3repE0EEENS1_30default_config_static_selectorELNS0_4arch9wavefront6targetE1EEEvT1_
	.p2align	8
	.type	_ZN7rocprim17ROCPRIM_400000_NS6detail17trampoline_kernelINS0_14default_configENS1_25partition_config_selectorILNS1_17partition_subalgoE2ExNS0_10empty_typeEbEEZZNS1_14partition_implILS5_2ELb0ES3_jN6thrust23THRUST_200600_302600_NS6detail15normal_iteratorINSA_7pointerIxNSA_11hip_rocprim3tagENSA_11use_defaultESG_EEEEPS6_NSA_18transform_iteratorINSA_8identityIxEENSC_INSA_10device_ptrIxEEEESG_SG_EENS0_5tupleIJPxSJ_EEENSR_IJSJ_SJ_EEES6_PlJS6_EEE10hipError_tPvRmT3_T4_T5_T6_T7_T9_mT8_P12ihipStream_tbDpT10_ENKUlT_T0_E_clISt17integral_constantIbLb0EES1F_EEDaS1A_S1B_EUlS1A_E_NS1_11comp_targetILNS1_3genE2ELNS1_11target_archE906ELNS1_3gpuE6ELNS1_3repE0EEENS1_30default_config_static_selectorELNS0_4arch9wavefront6targetE1EEEvT1_,@function
_ZN7rocprim17ROCPRIM_400000_NS6detail17trampoline_kernelINS0_14default_configENS1_25partition_config_selectorILNS1_17partition_subalgoE2ExNS0_10empty_typeEbEEZZNS1_14partition_implILS5_2ELb0ES3_jN6thrust23THRUST_200600_302600_NS6detail15normal_iteratorINSA_7pointerIxNSA_11hip_rocprim3tagENSA_11use_defaultESG_EEEEPS6_NSA_18transform_iteratorINSA_8identityIxEENSC_INSA_10device_ptrIxEEEESG_SG_EENS0_5tupleIJPxSJ_EEENSR_IJSJ_SJ_EEES6_PlJS6_EEE10hipError_tPvRmT3_T4_T5_T6_T7_T9_mT8_P12ihipStream_tbDpT10_ENKUlT_T0_E_clISt17integral_constantIbLb0EES1F_EEDaS1A_S1B_EUlS1A_E_NS1_11comp_targetILNS1_3genE2ELNS1_11target_archE906ELNS1_3gpuE6ELNS1_3repE0EEENS1_30default_config_static_selectorELNS0_4arch9wavefront6targetE1EEEvT1_: ; @_ZN7rocprim17ROCPRIM_400000_NS6detail17trampoline_kernelINS0_14default_configENS1_25partition_config_selectorILNS1_17partition_subalgoE2ExNS0_10empty_typeEbEEZZNS1_14partition_implILS5_2ELb0ES3_jN6thrust23THRUST_200600_302600_NS6detail15normal_iteratorINSA_7pointerIxNSA_11hip_rocprim3tagENSA_11use_defaultESG_EEEEPS6_NSA_18transform_iteratorINSA_8identityIxEENSC_INSA_10device_ptrIxEEEESG_SG_EENS0_5tupleIJPxSJ_EEENSR_IJSJ_SJ_EEES6_PlJS6_EEE10hipError_tPvRmT3_T4_T5_T6_T7_T9_mT8_P12ihipStream_tbDpT10_ENKUlT_T0_E_clISt17integral_constantIbLb0EES1F_EEDaS1A_S1B_EUlS1A_E_NS1_11comp_targetILNS1_3genE2ELNS1_11target_archE906ELNS1_3gpuE6ELNS1_3repE0EEENS1_30default_config_static_selectorELNS0_4arch9wavefront6targetE1EEEvT1_
; %bb.0:
	.section	.rodata,"a",@progbits
	.p2align	6, 0x0
	.amdhsa_kernel _ZN7rocprim17ROCPRIM_400000_NS6detail17trampoline_kernelINS0_14default_configENS1_25partition_config_selectorILNS1_17partition_subalgoE2ExNS0_10empty_typeEbEEZZNS1_14partition_implILS5_2ELb0ES3_jN6thrust23THRUST_200600_302600_NS6detail15normal_iteratorINSA_7pointerIxNSA_11hip_rocprim3tagENSA_11use_defaultESG_EEEEPS6_NSA_18transform_iteratorINSA_8identityIxEENSC_INSA_10device_ptrIxEEEESG_SG_EENS0_5tupleIJPxSJ_EEENSR_IJSJ_SJ_EEES6_PlJS6_EEE10hipError_tPvRmT3_T4_T5_T6_T7_T9_mT8_P12ihipStream_tbDpT10_ENKUlT_T0_E_clISt17integral_constantIbLb0EES1F_EEDaS1A_S1B_EUlS1A_E_NS1_11comp_targetILNS1_3genE2ELNS1_11target_archE906ELNS1_3gpuE6ELNS1_3repE0EEENS1_30default_config_static_selectorELNS0_4arch9wavefront6targetE1EEEvT1_
		.amdhsa_group_segment_fixed_size 0
		.amdhsa_private_segment_fixed_size 0
		.amdhsa_kernarg_size 128
		.amdhsa_user_sgpr_count 6
		.amdhsa_user_sgpr_private_segment_buffer 1
		.amdhsa_user_sgpr_dispatch_ptr 0
		.amdhsa_user_sgpr_queue_ptr 0
		.amdhsa_user_sgpr_kernarg_segment_ptr 1
		.amdhsa_user_sgpr_dispatch_id 0
		.amdhsa_user_sgpr_flat_scratch_init 0
		.amdhsa_user_sgpr_kernarg_preload_length 0
		.amdhsa_user_sgpr_kernarg_preload_offset 0
		.amdhsa_user_sgpr_private_segment_size 0
		.amdhsa_uses_dynamic_stack 0
		.amdhsa_system_sgpr_private_segment_wavefront_offset 0
		.amdhsa_system_sgpr_workgroup_id_x 1
		.amdhsa_system_sgpr_workgroup_id_y 0
		.amdhsa_system_sgpr_workgroup_id_z 0
		.amdhsa_system_sgpr_workgroup_info 0
		.amdhsa_system_vgpr_workitem_id 0
		.amdhsa_next_free_vgpr 1
		.amdhsa_next_free_sgpr 0
		.amdhsa_accum_offset 4
		.amdhsa_reserve_vcc 0
		.amdhsa_reserve_flat_scratch 0
		.amdhsa_float_round_mode_32 0
		.amdhsa_float_round_mode_16_64 0
		.amdhsa_float_denorm_mode_32 3
		.amdhsa_float_denorm_mode_16_64 3
		.amdhsa_dx10_clamp 1
		.amdhsa_ieee_mode 1
		.amdhsa_fp16_overflow 0
		.amdhsa_tg_split 0
		.amdhsa_exception_fp_ieee_invalid_op 0
		.amdhsa_exception_fp_denorm_src 0
		.amdhsa_exception_fp_ieee_div_zero 0
		.amdhsa_exception_fp_ieee_overflow 0
		.amdhsa_exception_fp_ieee_underflow 0
		.amdhsa_exception_fp_ieee_inexact 0
		.amdhsa_exception_int_div_zero 0
	.end_amdhsa_kernel
	.section	.text._ZN7rocprim17ROCPRIM_400000_NS6detail17trampoline_kernelINS0_14default_configENS1_25partition_config_selectorILNS1_17partition_subalgoE2ExNS0_10empty_typeEbEEZZNS1_14partition_implILS5_2ELb0ES3_jN6thrust23THRUST_200600_302600_NS6detail15normal_iteratorINSA_7pointerIxNSA_11hip_rocprim3tagENSA_11use_defaultESG_EEEEPS6_NSA_18transform_iteratorINSA_8identityIxEENSC_INSA_10device_ptrIxEEEESG_SG_EENS0_5tupleIJPxSJ_EEENSR_IJSJ_SJ_EEES6_PlJS6_EEE10hipError_tPvRmT3_T4_T5_T6_T7_T9_mT8_P12ihipStream_tbDpT10_ENKUlT_T0_E_clISt17integral_constantIbLb0EES1F_EEDaS1A_S1B_EUlS1A_E_NS1_11comp_targetILNS1_3genE2ELNS1_11target_archE906ELNS1_3gpuE6ELNS1_3repE0EEENS1_30default_config_static_selectorELNS0_4arch9wavefront6targetE1EEEvT1_,"axG",@progbits,_ZN7rocprim17ROCPRIM_400000_NS6detail17trampoline_kernelINS0_14default_configENS1_25partition_config_selectorILNS1_17partition_subalgoE2ExNS0_10empty_typeEbEEZZNS1_14partition_implILS5_2ELb0ES3_jN6thrust23THRUST_200600_302600_NS6detail15normal_iteratorINSA_7pointerIxNSA_11hip_rocprim3tagENSA_11use_defaultESG_EEEEPS6_NSA_18transform_iteratorINSA_8identityIxEENSC_INSA_10device_ptrIxEEEESG_SG_EENS0_5tupleIJPxSJ_EEENSR_IJSJ_SJ_EEES6_PlJS6_EEE10hipError_tPvRmT3_T4_T5_T6_T7_T9_mT8_P12ihipStream_tbDpT10_ENKUlT_T0_E_clISt17integral_constantIbLb0EES1F_EEDaS1A_S1B_EUlS1A_E_NS1_11comp_targetILNS1_3genE2ELNS1_11target_archE906ELNS1_3gpuE6ELNS1_3repE0EEENS1_30default_config_static_selectorELNS0_4arch9wavefront6targetE1EEEvT1_,comdat
.Lfunc_end485:
	.size	_ZN7rocprim17ROCPRIM_400000_NS6detail17trampoline_kernelINS0_14default_configENS1_25partition_config_selectorILNS1_17partition_subalgoE2ExNS0_10empty_typeEbEEZZNS1_14partition_implILS5_2ELb0ES3_jN6thrust23THRUST_200600_302600_NS6detail15normal_iteratorINSA_7pointerIxNSA_11hip_rocprim3tagENSA_11use_defaultESG_EEEEPS6_NSA_18transform_iteratorINSA_8identityIxEENSC_INSA_10device_ptrIxEEEESG_SG_EENS0_5tupleIJPxSJ_EEENSR_IJSJ_SJ_EEES6_PlJS6_EEE10hipError_tPvRmT3_T4_T5_T6_T7_T9_mT8_P12ihipStream_tbDpT10_ENKUlT_T0_E_clISt17integral_constantIbLb0EES1F_EEDaS1A_S1B_EUlS1A_E_NS1_11comp_targetILNS1_3genE2ELNS1_11target_archE906ELNS1_3gpuE6ELNS1_3repE0EEENS1_30default_config_static_selectorELNS0_4arch9wavefront6targetE1EEEvT1_, .Lfunc_end485-_ZN7rocprim17ROCPRIM_400000_NS6detail17trampoline_kernelINS0_14default_configENS1_25partition_config_selectorILNS1_17partition_subalgoE2ExNS0_10empty_typeEbEEZZNS1_14partition_implILS5_2ELb0ES3_jN6thrust23THRUST_200600_302600_NS6detail15normal_iteratorINSA_7pointerIxNSA_11hip_rocprim3tagENSA_11use_defaultESG_EEEEPS6_NSA_18transform_iteratorINSA_8identityIxEENSC_INSA_10device_ptrIxEEEESG_SG_EENS0_5tupleIJPxSJ_EEENSR_IJSJ_SJ_EEES6_PlJS6_EEE10hipError_tPvRmT3_T4_T5_T6_T7_T9_mT8_P12ihipStream_tbDpT10_ENKUlT_T0_E_clISt17integral_constantIbLb0EES1F_EEDaS1A_S1B_EUlS1A_E_NS1_11comp_targetILNS1_3genE2ELNS1_11target_archE906ELNS1_3gpuE6ELNS1_3repE0EEENS1_30default_config_static_selectorELNS0_4arch9wavefront6targetE1EEEvT1_
                                        ; -- End function
	.section	.AMDGPU.csdata,"",@progbits
; Kernel info:
; codeLenInByte = 0
; NumSgprs: 4
; NumVgprs: 0
; NumAgprs: 0
; TotalNumVgprs: 0
; ScratchSize: 0
; MemoryBound: 0
; FloatMode: 240
; IeeeMode: 1
; LDSByteSize: 0 bytes/workgroup (compile time only)
; SGPRBlocks: 0
; VGPRBlocks: 0
; NumSGPRsForWavesPerEU: 4
; NumVGPRsForWavesPerEU: 1
; AccumOffset: 4
; Occupancy: 8
; WaveLimiterHint : 0
; COMPUTE_PGM_RSRC2:SCRATCH_EN: 0
; COMPUTE_PGM_RSRC2:USER_SGPR: 6
; COMPUTE_PGM_RSRC2:TRAP_HANDLER: 0
; COMPUTE_PGM_RSRC2:TGID_X_EN: 1
; COMPUTE_PGM_RSRC2:TGID_Y_EN: 0
; COMPUTE_PGM_RSRC2:TGID_Z_EN: 0
; COMPUTE_PGM_RSRC2:TIDIG_COMP_CNT: 0
; COMPUTE_PGM_RSRC3_GFX90A:ACCUM_OFFSET: 0
; COMPUTE_PGM_RSRC3_GFX90A:TG_SPLIT: 0
	.section	.text._ZN7rocprim17ROCPRIM_400000_NS6detail17trampoline_kernelINS0_14default_configENS1_25partition_config_selectorILNS1_17partition_subalgoE2ExNS0_10empty_typeEbEEZZNS1_14partition_implILS5_2ELb0ES3_jN6thrust23THRUST_200600_302600_NS6detail15normal_iteratorINSA_7pointerIxNSA_11hip_rocprim3tagENSA_11use_defaultESG_EEEEPS6_NSA_18transform_iteratorINSA_8identityIxEENSC_INSA_10device_ptrIxEEEESG_SG_EENS0_5tupleIJPxSJ_EEENSR_IJSJ_SJ_EEES6_PlJS6_EEE10hipError_tPvRmT3_T4_T5_T6_T7_T9_mT8_P12ihipStream_tbDpT10_ENKUlT_T0_E_clISt17integral_constantIbLb0EES1F_EEDaS1A_S1B_EUlS1A_E_NS1_11comp_targetILNS1_3genE10ELNS1_11target_archE1200ELNS1_3gpuE4ELNS1_3repE0EEENS1_30default_config_static_selectorELNS0_4arch9wavefront6targetE1EEEvT1_,"axG",@progbits,_ZN7rocprim17ROCPRIM_400000_NS6detail17trampoline_kernelINS0_14default_configENS1_25partition_config_selectorILNS1_17partition_subalgoE2ExNS0_10empty_typeEbEEZZNS1_14partition_implILS5_2ELb0ES3_jN6thrust23THRUST_200600_302600_NS6detail15normal_iteratorINSA_7pointerIxNSA_11hip_rocprim3tagENSA_11use_defaultESG_EEEEPS6_NSA_18transform_iteratorINSA_8identityIxEENSC_INSA_10device_ptrIxEEEESG_SG_EENS0_5tupleIJPxSJ_EEENSR_IJSJ_SJ_EEES6_PlJS6_EEE10hipError_tPvRmT3_T4_T5_T6_T7_T9_mT8_P12ihipStream_tbDpT10_ENKUlT_T0_E_clISt17integral_constantIbLb0EES1F_EEDaS1A_S1B_EUlS1A_E_NS1_11comp_targetILNS1_3genE10ELNS1_11target_archE1200ELNS1_3gpuE4ELNS1_3repE0EEENS1_30default_config_static_selectorELNS0_4arch9wavefront6targetE1EEEvT1_,comdat
	.protected	_ZN7rocprim17ROCPRIM_400000_NS6detail17trampoline_kernelINS0_14default_configENS1_25partition_config_selectorILNS1_17partition_subalgoE2ExNS0_10empty_typeEbEEZZNS1_14partition_implILS5_2ELb0ES3_jN6thrust23THRUST_200600_302600_NS6detail15normal_iteratorINSA_7pointerIxNSA_11hip_rocprim3tagENSA_11use_defaultESG_EEEEPS6_NSA_18transform_iteratorINSA_8identityIxEENSC_INSA_10device_ptrIxEEEESG_SG_EENS0_5tupleIJPxSJ_EEENSR_IJSJ_SJ_EEES6_PlJS6_EEE10hipError_tPvRmT3_T4_T5_T6_T7_T9_mT8_P12ihipStream_tbDpT10_ENKUlT_T0_E_clISt17integral_constantIbLb0EES1F_EEDaS1A_S1B_EUlS1A_E_NS1_11comp_targetILNS1_3genE10ELNS1_11target_archE1200ELNS1_3gpuE4ELNS1_3repE0EEENS1_30default_config_static_selectorELNS0_4arch9wavefront6targetE1EEEvT1_ ; -- Begin function _ZN7rocprim17ROCPRIM_400000_NS6detail17trampoline_kernelINS0_14default_configENS1_25partition_config_selectorILNS1_17partition_subalgoE2ExNS0_10empty_typeEbEEZZNS1_14partition_implILS5_2ELb0ES3_jN6thrust23THRUST_200600_302600_NS6detail15normal_iteratorINSA_7pointerIxNSA_11hip_rocprim3tagENSA_11use_defaultESG_EEEEPS6_NSA_18transform_iteratorINSA_8identityIxEENSC_INSA_10device_ptrIxEEEESG_SG_EENS0_5tupleIJPxSJ_EEENSR_IJSJ_SJ_EEES6_PlJS6_EEE10hipError_tPvRmT3_T4_T5_T6_T7_T9_mT8_P12ihipStream_tbDpT10_ENKUlT_T0_E_clISt17integral_constantIbLb0EES1F_EEDaS1A_S1B_EUlS1A_E_NS1_11comp_targetILNS1_3genE10ELNS1_11target_archE1200ELNS1_3gpuE4ELNS1_3repE0EEENS1_30default_config_static_selectorELNS0_4arch9wavefront6targetE1EEEvT1_
	.globl	_ZN7rocprim17ROCPRIM_400000_NS6detail17trampoline_kernelINS0_14default_configENS1_25partition_config_selectorILNS1_17partition_subalgoE2ExNS0_10empty_typeEbEEZZNS1_14partition_implILS5_2ELb0ES3_jN6thrust23THRUST_200600_302600_NS6detail15normal_iteratorINSA_7pointerIxNSA_11hip_rocprim3tagENSA_11use_defaultESG_EEEEPS6_NSA_18transform_iteratorINSA_8identityIxEENSC_INSA_10device_ptrIxEEEESG_SG_EENS0_5tupleIJPxSJ_EEENSR_IJSJ_SJ_EEES6_PlJS6_EEE10hipError_tPvRmT3_T4_T5_T6_T7_T9_mT8_P12ihipStream_tbDpT10_ENKUlT_T0_E_clISt17integral_constantIbLb0EES1F_EEDaS1A_S1B_EUlS1A_E_NS1_11comp_targetILNS1_3genE10ELNS1_11target_archE1200ELNS1_3gpuE4ELNS1_3repE0EEENS1_30default_config_static_selectorELNS0_4arch9wavefront6targetE1EEEvT1_
	.p2align	8
	.type	_ZN7rocprim17ROCPRIM_400000_NS6detail17trampoline_kernelINS0_14default_configENS1_25partition_config_selectorILNS1_17partition_subalgoE2ExNS0_10empty_typeEbEEZZNS1_14partition_implILS5_2ELb0ES3_jN6thrust23THRUST_200600_302600_NS6detail15normal_iteratorINSA_7pointerIxNSA_11hip_rocprim3tagENSA_11use_defaultESG_EEEEPS6_NSA_18transform_iteratorINSA_8identityIxEENSC_INSA_10device_ptrIxEEEESG_SG_EENS0_5tupleIJPxSJ_EEENSR_IJSJ_SJ_EEES6_PlJS6_EEE10hipError_tPvRmT3_T4_T5_T6_T7_T9_mT8_P12ihipStream_tbDpT10_ENKUlT_T0_E_clISt17integral_constantIbLb0EES1F_EEDaS1A_S1B_EUlS1A_E_NS1_11comp_targetILNS1_3genE10ELNS1_11target_archE1200ELNS1_3gpuE4ELNS1_3repE0EEENS1_30default_config_static_selectorELNS0_4arch9wavefront6targetE1EEEvT1_,@function
_ZN7rocprim17ROCPRIM_400000_NS6detail17trampoline_kernelINS0_14default_configENS1_25partition_config_selectorILNS1_17partition_subalgoE2ExNS0_10empty_typeEbEEZZNS1_14partition_implILS5_2ELb0ES3_jN6thrust23THRUST_200600_302600_NS6detail15normal_iteratorINSA_7pointerIxNSA_11hip_rocprim3tagENSA_11use_defaultESG_EEEEPS6_NSA_18transform_iteratorINSA_8identityIxEENSC_INSA_10device_ptrIxEEEESG_SG_EENS0_5tupleIJPxSJ_EEENSR_IJSJ_SJ_EEES6_PlJS6_EEE10hipError_tPvRmT3_T4_T5_T6_T7_T9_mT8_P12ihipStream_tbDpT10_ENKUlT_T0_E_clISt17integral_constantIbLb0EES1F_EEDaS1A_S1B_EUlS1A_E_NS1_11comp_targetILNS1_3genE10ELNS1_11target_archE1200ELNS1_3gpuE4ELNS1_3repE0EEENS1_30default_config_static_selectorELNS0_4arch9wavefront6targetE1EEEvT1_: ; @_ZN7rocprim17ROCPRIM_400000_NS6detail17trampoline_kernelINS0_14default_configENS1_25partition_config_selectorILNS1_17partition_subalgoE2ExNS0_10empty_typeEbEEZZNS1_14partition_implILS5_2ELb0ES3_jN6thrust23THRUST_200600_302600_NS6detail15normal_iteratorINSA_7pointerIxNSA_11hip_rocprim3tagENSA_11use_defaultESG_EEEEPS6_NSA_18transform_iteratorINSA_8identityIxEENSC_INSA_10device_ptrIxEEEESG_SG_EENS0_5tupleIJPxSJ_EEENSR_IJSJ_SJ_EEES6_PlJS6_EEE10hipError_tPvRmT3_T4_T5_T6_T7_T9_mT8_P12ihipStream_tbDpT10_ENKUlT_T0_E_clISt17integral_constantIbLb0EES1F_EEDaS1A_S1B_EUlS1A_E_NS1_11comp_targetILNS1_3genE10ELNS1_11target_archE1200ELNS1_3gpuE4ELNS1_3repE0EEENS1_30default_config_static_selectorELNS0_4arch9wavefront6targetE1EEEvT1_
; %bb.0:
	.section	.rodata,"a",@progbits
	.p2align	6, 0x0
	.amdhsa_kernel _ZN7rocprim17ROCPRIM_400000_NS6detail17trampoline_kernelINS0_14default_configENS1_25partition_config_selectorILNS1_17partition_subalgoE2ExNS0_10empty_typeEbEEZZNS1_14partition_implILS5_2ELb0ES3_jN6thrust23THRUST_200600_302600_NS6detail15normal_iteratorINSA_7pointerIxNSA_11hip_rocprim3tagENSA_11use_defaultESG_EEEEPS6_NSA_18transform_iteratorINSA_8identityIxEENSC_INSA_10device_ptrIxEEEESG_SG_EENS0_5tupleIJPxSJ_EEENSR_IJSJ_SJ_EEES6_PlJS6_EEE10hipError_tPvRmT3_T4_T5_T6_T7_T9_mT8_P12ihipStream_tbDpT10_ENKUlT_T0_E_clISt17integral_constantIbLb0EES1F_EEDaS1A_S1B_EUlS1A_E_NS1_11comp_targetILNS1_3genE10ELNS1_11target_archE1200ELNS1_3gpuE4ELNS1_3repE0EEENS1_30default_config_static_selectorELNS0_4arch9wavefront6targetE1EEEvT1_
		.amdhsa_group_segment_fixed_size 0
		.amdhsa_private_segment_fixed_size 0
		.amdhsa_kernarg_size 128
		.amdhsa_user_sgpr_count 6
		.amdhsa_user_sgpr_private_segment_buffer 1
		.amdhsa_user_sgpr_dispatch_ptr 0
		.amdhsa_user_sgpr_queue_ptr 0
		.amdhsa_user_sgpr_kernarg_segment_ptr 1
		.amdhsa_user_sgpr_dispatch_id 0
		.amdhsa_user_sgpr_flat_scratch_init 0
		.amdhsa_user_sgpr_kernarg_preload_length 0
		.amdhsa_user_sgpr_kernarg_preload_offset 0
		.amdhsa_user_sgpr_private_segment_size 0
		.amdhsa_uses_dynamic_stack 0
		.amdhsa_system_sgpr_private_segment_wavefront_offset 0
		.amdhsa_system_sgpr_workgroup_id_x 1
		.amdhsa_system_sgpr_workgroup_id_y 0
		.amdhsa_system_sgpr_workgroup_id_z 0
		.amdhsa_system_sgpr_workgroup_info 0
		.amdhsa_system_vgpr_workitem_id 0
		.amdhsa_next_free_vgpr 1
		.amdhsa_next_free_sgpr 0
		.amdhsa_accum_offset 4
		.amdhsa_reserve_vcc 0
		.amdhsa_reserve_flat_scratch 0
		.amdhsa_float_round_mode_32 0
		.amdhsa_float_round_mode_16_64 0
		.amdhsa_float_denorm_mode_32 3
		.amdhsa_float_denorm_mode_16_64 3
		.amdhsa_dx10_clamp 1
		.amdhsa_ieee_mode 1
		.amdhsa_fp16_overflow 0
		.amdhsa_tg_split 0
		.amdhsa_exception_fp_ieee_invalid_op 0
		.amdhsa_exception_fp_denorm_src 0
		.amdhsa_exception_fp_ieee_div_zero 0
		.amdhsa_exception_fp_ieee_overflow 0
		.amdhsa_exception_fp_ieee_underflow 0
		.amdhsa_exception_fp_ieee_inexact 0
		.amdhsa_exception_int_div_zero 0
	.end_amdhsa_kernel
	.section	.text._ZN7rocprim17ROCPRIM_400000_NS6detail17trampoline_kernelINS0_14default_configENS1_25partition_config_selectorILNS1_17partition_subalgoE2ExNS0_10empty_typeEbEEZZNS1_14partition_implILS5_2ELb0ES3_jN6thrust23THRUST_200600_302600_NS6detail15normal_iteratorINSA_7pointerIxNSA_11hip_rocprim3tagENSA_11use_defaultESG_EEEEPS6_NSA_18transform_iteratorINSA_8identityIxEENSC_INSA_10device_ptrIxEEEESG_SG_EENS0_5tupleIJPxSJ_EEENSR_IJSJ_SJ_EEES6_PlJS6_EEE10hipError_tPvRmT3_T4_T5_T6_T7_T9_mT8_P12ihipStream_tbDpT10_ENKUlT_T0_E_clISt17integral_constantIbLb0EES1F_EEDaS1A_S1B_EUlS1A_E_NS1_11comp_targetILNS1_3genE10ELNS1_11target_archE1200ELNS1_3gpuE4ELNS1_3repE0EEENS1_30default_config_static_selectorELNS0_4arch9wavefront6targetE1EEEvT1_,"axG",@progbits,_ZN7rocprim17ROCPRIM_400000_NS6detail17trampoline_kernelINS0_14default_configENS1_25partition_config_selectorILNS1_17partition_subalgoE2ExNS0_10empty_typeEbEEZZNS1_14partition_implILS5_2ELb0ES3_jN6thrust23THRUST_200600_302600_NS6detail15normal_iteratorINSA_7pointerIxNSA_11hip_rocprim3tagENSA_11use_defaultESG_EEEEPS6_NSA_18transform_iteratorINSA_8identityIxEENSC_INSA_10device_ptrIxEEEESG_SG_EENS0_5tupleIJPxSJ_EEENSR_IJSJ_SJ_EEES6_PlJS6_EEE10hipError_tPvRmT3_T4_T5_T6_T7_T9_mT8_P12ihipStream_tbDpT10_ENKUlT_T0_E_clISt17integral_constantIbLb0EES1F_EEDaS1A_S1B_EUlS1A_E_NS1_11comp_targetILNS1_3genE10ELNS1_11target_archE1200ELNS1_3gpuE4ELNS1_3repE0EEENS1_30default_config_static_selectorELNS0_4arch9wavefront6targetE1EEEvT1_,comdat
.Lfunc_end486:
	.size	_ZN7rocprim17ROCPRIM_400000_NS6detail17trampoline_kernelINS0_14default_configENS1_25partition_config_selectorILNS1_17partition_subalgoE2ExNS0_10empty_typeEbEEZZNS1_14partition_implILS5_2ELb0ES3_jN6thrust23THRUST_200600_302600_NS6detail15normal_iteratorINSA_7pointerIxNSA_11hip_rocprim3tagENSA_11use_defaultESG_EEEEPS6_NSA_18transform_iteratorINSA_8identityIxEENSC_INSA_10device_ptrIxEEEESG_SG_EENS0_5tupleIJPxSJ_EEENSR_IJSJ_SJ_EEES6_PlJS6_EEE10hipError_tPvRmT3_T4_T5_T6_T7_T9_mT8_P12ihipStream_tbDpT10_ENKUlT_T0_E_clISt17integral_constantIbLb0EES1F_EEDaS1A_S1B_EUlS1A_E_NS1_11comp_targetILNS1_3genE10ELNS1_11target_archE1200ELNS1_3gpuE4ELNS1_3repE0EEENS1_30default_config_static_selectorELNS0_4arch9wavefront6targetE1EEEvT1_, .Lfunc_end486-_ZN7rocprim17ROCPRIM_400000_NS6detail17trampoline_kernelINS0_14default_configENS1_25partition_config_selectorILNS1_17partition_subalgoE2ExNS0_10empty_typeEbEEZZNS1_14partition_implILS5_2ELb0ES3_jN6thrust23THRUST_200600_302600_NS6detail15normal_iteratorINSA_7pointerIxNSA_11hip_rocprim3tagENSA_11use_defaultESG_EEEEPS6_NSA_18transform_iteratorINSA_8identityIxEENSC_INSA_10device_ptrIxEEEESG_SG_EENS0_5tupleIJPxSJ_EEENSR_IJSJ_SJ_EEES6_PlJS6_EEE10hipError_tPvRmT3_T4_T5_T6_T7_T9_mT8_P12ihipStream_tbDpT10_ENKUlT_T0_E_clISt17integral_constantIbLb0EES1F_EEDaS1A_S1B_EUlS1A_E_NS1_11comp_targetILNS1_3genE10ELNS1_11target_archE1200ELNS1_3gpuE4ELNS1_3repE0EEENS1_30default_config_static_selectorELNS0_4arch9wavefront6targetE1EEEvT1_
                                        ; -- End function
	.section	.AMDGPU.csdata,"",@progbits
; Kernel info:
; codeLenInByte = 0
; NumSgprs: 4
; NumVgprs: 0
; NumAgprs: 0
; TotalNumVgprs: 0
; ScratchSize: 0
; MemoryBound: 0
; FloatMode: 240
; IeeeMode: 1
; LDSByteSize: 0 bytes/workgroup (compile time only)
; SGPRBlocks: 0
; VGPRBlocks: 0
; NumSGPRsForWavesPerEU: 4
; NumVGPRsForWavesPerEU: 1
; AccumOffset: 4
; Occupancy: 8
; WaveLimiterHint : 0
; COMPUTE_PGM_RSRC2:SCRATCH_EN: 0
; COMPUTE_PGM_RSRC2:USER_SGPR: 6
; COMPUTE_PGM_RSRC2:TRAP_HANDLER: 0
; COMPUTE_PGM_RSRC2:TGID_X_EN: 1
; COMPUTE_PGM_RSRC2:TGID_Y_EN: 0
; COMPUTE_PGM_RSRC2:TGID_Z_EN: 0
; COMPUTE_PGM_RSRC2:TIDIG_COMP_CNT: 0
; COMPUTE_PGM_RSRC3_GFX90A:ACCUM_OFFSET: 0
; COMPUTE_PGM_RSRC3_GFX90A:TG_SPLIT: 0
	.section	.text._ZN7rocprim17ROCPRIM_400000_NS6detail17trampoline_kernelINS0_14default_configENS1_25partition_config_selectorILNS1_17partition_subalgoE2ExNS0_10empty_typeEbEEZZNS1_14partition_implILS5_2ELb0ES3_jN6thrust23THRUST_200600_302600_NS6detail15normal_iteratorINSA_7pointerIxNSA_11hip_rocprim3tagENSA_11use_defaultESG_EEEEPS6_NSA_18transform_iteratorINSA_8identityIxEENSC_INSA_10device_ptrIxEEEESG_SG_EENS0_5tupleIJPxSJ_EEENSR_IJSJ_SJ_EEES6_PlJS6_EEE10hipError_tPvRmT3_T4_T5_T6_T7_T9_mT8_P12ihipStream_tbDpT10_ENKUlT_T0_E_clISt17integral_constantIbLb0EES1F_EEDaS1A_S1B_EUlS1A_E_NS1_11comp_targetILNS1_3genE9ELNS1_11target_archE1100ELNS1_3gpuE3ELNS1_3repE0EEENS1_30default_config_static_selectorELNS0_4arch9wavefront6targetE1EEEvT1_,"axG",@progbits,_ZN7rocprim17ROCPRIM_400000_NS6detail17trampoline_kernelINS0_14default_configENS1_25partition_config_selectorILNS1_17partition_subalgoE2ExNS0_10empty_typeEbEEZZNS1_14partition_implILS5_2ELb0ES3_jN6thrust23THRUST_200600_302600_NS6detail15normal_iteratorINSA_7pointerIxNSA_11hip_rocprim3tagENSA_11use_defaultESG_EEEEPS6_NSA_18transform_iteratorINSA_8identityIxEENSC_INSA_10device_ptrIxEEEESG_SG_EENS0_5tupleIJPxSJ_EEENSR_IJSJ_SJ_EEES6_PlJS6_EEE10hipError_tPvRmT3_T4_T5_T6_T7_T9_mT8_P12ihipStream_tbDpT10_ENKUlT_T0_E_clISt17integral_constantIbLb0EES1F_EEDaS1A_S1B_EUlS1A_E_NS1_11comp_targetILNS1_3genE9ELNS1_11target_archE1100ELNS1_3gpuE3ELNS1_3repE0EEENS1_30default_config_static_selectorELNS0_4arch9wavefront6targetE1EEEvT1_,comdat
	.protected	_ZN7rocprim17ROCPRIM_400000_NS6detail17trampoline_kernelINS0_14default_configENS1_25partition_config_selectorILNS1_17partition_subalgoE2ExNS0_10empty_typeEbEEZZNS1_14partition_implILS5_2ELb0ES3_jN6thrust23THRUST_200600_302600_NS6detail15normal_iteratorINSA_7pointerIxNSA_11hip_rocprim3tagENSA_11use_defaultESG_EEEEPS6_NSA_18transform_iteratorINSA_8identityIxEENSC_INSA_10device_ptrIxEEEESG_SG_EENS0_5tupleIJPxSJ_EEENSR_IJSJ_SJ_EEES6_PlJS6_EEE10hipError_tPvRmT3_T4_T5_T6_T7_T9_mT8_P12ihipStream_tbDpT10_ENKUlT_T0_E_clISt17integral_constantIbLb0EES1F_EEDaS1A_S1B_EUlS1A_E_NS1_11comp_targetILNS1_3genE9ELNS1_11target_archE1100ELNS1_3gpuE3ELNS1_3repE0EEENS1_30default_config_static_selectorELNS0_4arch9wavefront6targetE1EEEvT1_ ; -- Begin function _ZN7rocprim17ROCPRIM_400000_NS6detail17trampoline_kernelINS0_14default_configENS1_25partition_config_selectorILNS1_17partition_subalgoE2ExNS0_10empty_typeEbEEZZNS1_14partition_implILS5_2ELb0ES3_jN6thrust23THRUST_200600_302600_NS6detail15normal_iteratorINSA_7pointerIxNSA_11hip_rocprim3tagENSA_11use_defaultESG_EEEEPS6_NSA_18transform_iteratorINSA_8identityIxEENSC_INSA_10device_ptrIxEEEESG_SG_EENS0_5tupleIJPxSJ_EEENSR_IJSJ_SJ_EEES6_PlJS6_EEE10hipError_tPvRmT3_T4_T5_T6_T7_T9_mT8_P12ihipStream_tbDpT10_ENKUlT_T0_E_clISt17integral_constantIbLb0EES1F_EEDaS1A_S1B_EUlS1A_E_NS1_11comp_targetILNS1_3genE9ELNS1_11target_archE1100ELNS1_3gpuE3ELNS1_3repE0EEENS1_30default_config_static_selectorELNS0_4arch9wavefront6targetE1EEEvT1_
	.globl	_ZN7rocprim17ROCPRIM_400000_NS6detail17trampoline_kernelINS0_14default_configENS1_25partition_config_selectorILNS1_17partition_subalgoE2ExNS0_10empty_typeEbEEZZNS1_14partition_implILS5_2ELb0ES3_jN6thrust23THRUST_200600_302600_NS6detail15normal_iteratorINSA_7pointerIxNSA_11hip_rocprim3tagENSA_11use_defaultESG_EEEEPS6_NSA_18transform_iteratorINSA_8identityIxEENSC_INSA_10device_ptrIxEEEESG_SG_EENS0_5tupleIJPxSJ_EEENSR_IJSJ_SJ_EEES6_PlJS6_EEE10hipError_tPvRmT3_T4_T5_T6_T7_T9_mT8_P12ihipStream_tbDpT10_ENKUlT_T0_E_clISt17integral_constantIbLb0EES1F_EEDaS1A_S1B_EUlS1A_E_NS1_11comp_targetILNS1_3genE9ELNS1_11target_archE1100ELNS1_3gpuE3ELNS1_3repE0EEENS1_30default_config_static_selectorELNS0_4arch9wavefront6targetE1EEEvT1_
	.p2align	8
	.type	_ZN7rocprim17ROCPRIM_400000_NS6detail17trampoline_kernelINS0_14default_configENS1_25partition_config_selectorILNS1_17partition_subalgoE2ExNS0_10empty_typeEbEEZZNS1_14partition_implILS5_2ELb0ES3_jN6thrust23THRUST_200600_302600_NS6detail15normal_iteratorINSA_7pointerIxNSA_11hip_rocprim3tagENSA_11use_defaultESG_EEEEPS6_NSA_18transform_iteratorINSA_8identityIxEENSC_INSA_10device_ptrIxEEEESG_SG_EENS0_5tupleIJPxSJ_EEENSR_IJSJ_SJ_EEES6_PlJS6_EEE10hipError_tPvRmT3_T4_T5_T6_T7_T9_mT8_P12ihipStream_tbDpT10_ENKUlT_T0_E_clISt17integral_constantIbLb0EES1F_EEDaS1A_S1B_EUlS1A_E_NS1_11comp_targetILNS1_3genE9ELNS1_11target_archE1100ELNS1_3gpuE3ELNS1_3repE0EEENS1_30default_config_static_selectorELNS0_4arch9wavefront6targetE1EEEvT1_,@function
_ZN7rocprim17ROCPRIM_400000_NS6detail17trampoline_kernelINS0_14default_configENS1_25partition_config_selectorILNS1_17partition_subalgoE2ExNS0_10empty_typeEbEEZZNS1_14partition_implILS5_2ELb0ES3_jN6thrust23THRUST_200600_302600_NS6detail15normal_iteratorINSA_7pointerIxNSA_11hip_rocprim3tagENSA_11use_defaultESG_EEEEPS6_NSA_18transform_iteratorINSA_8identityIxEENSC_INSA_10device_ptrIxEEEESG_SG_EENS0_5tupleIJPxSJ_EEENSR_IJSJ_SJ_EEES6_PlJS6_EEE10hipError_tPvRmT3_T4_T5_T6_T7_T9_mT8_P12ihipStream_tbDpT10_ENKUlT_T0_E_clISt17integral_constantIbLb0EES1F_EEDaS1A_S1B_EUlS1A_E_NS1_11comp_targetILNS1_3genE9ELNS1_11target_archE1100ELNS1_3gpuE3ELNS1_3repE0EEENS1_30default_config_static_selectorELNS0_4arch9wavefront6targetE1EEEvT1_: ; @_ZN7rocprim17ROCPRIM_400000_NS6detail17trampoline_kernelINS0_14default_configENS1_25partition_config_selectorILNS1_17partition_subalgoE2ExNS0_10empty_typeEbEEZZNS1_14partition_implILS5_2ELb0ES3_jN6thrust23THRUST_200600_302600_NS6detail15normal_iteratorINSA_7pointerIxNSA_11hip_rocprim3tagENSA_11use_defaultESG_EEEEPS6_NSA_18transform_iteratorINSA_8identityIxEENSC_INSA_10device_ptrIxEEEESG_SG_EENS0_5tupleIJPxSJ_EEENSR_IJSJ_SJ_EEES6_PlJS6_EEE10hipError_tPvRmT3_T4_T5_T6_T7_T9_mT8_P12ihipStream_tbDpT10_ENKUlT_T0_E_clISt17integral_constantIbLb0EES1F_EEDaS1A_S1B_EUlS1A_E_NS1_11comp_targetILNS1_3genE9ELNS1_11target_archE1100ELNS1_3gpuE3ELNS1_3repE0EEENS1_30default_config_static_selectorELNS0_4arch9wavefront6targetE1EEEvT1_
; %bb.0:
	.section	.rodata,"a",@progbits
	.p2align	6, 0x0
	.amdhsa_kernel _ZN7rocprim17ROCPRIM_400000_NS6detail17trampoline_kernelINS0_14default_configENS1_25partition_config_selectorILNS1_17partition_subalgoE2ExNS0_10empty_typeEbEEZZNS1_14partition_implILS5_2ELb0ES3_jN6thrust23THRUST_200600_302600_NS6detail15normal_iteratorINSA_7pointerIxNSA_11hip_rocprim3tagENSA_11use_defaultESG_EEEEPS6_NSA_18transform_iteratorINSA_8identityIxEENSC_INSA_10device_ptrIxEEEESG_SG_EENS0_5tupleIJPxSJ_EEENSR_IJSJ_SJ_EEES6_PlJS6_EEE10hipError_tPvRmT3_T4_T5_T6_T7_T9_mT8_P12ihipStream_tbDpT10_ENKUlT_T0_E_clISt17integral_constantIbLb0EES1F_EEDaS1A_S1B_EUlS1A_E_NS1_11comp_targetILNS1_3genE9ELNS1_11target_archE1100ELNS1_3gpuE3ELNS1_3repE0EEENS1_30default_config_static_selectorELNS0_4arch9wavefront6targetE1EEEvT1_
		.amdhsa_group_segment_fixed_size 0
		.amdhsa_private_segment_fixed_size 0
		.amdhsa_kernarg_size 128
		.amdhsa_user_sgpr_count 6
		.amdhsa_user_sgpr_private_segment_buffer 1
		.amdhsa_user_sgpr_dispatch_ptr 0
		.amdhsa_user_sgpr_queue_ptr 0
		.amdhsa_user_sgpr_kernarg_segment_ptr 1
		.amdhsa_user_sgpr_dispatch_id 0
		.amdhsa_user_sgpr_flat_scratch_init 0
		.amdhsa_user_sgpr_kernarg_preload_length 0
		.amdhsa_user_sgpr_kernarg_preload_offset 0
		.amdhsa_user_sgpr_private_segment_size 0
		.amdhsa_uses_dynamic_stack 0
		.amdhsa_system_sgpr_private_segment_wavefront_offset 0
		.amdhsa_system_sgpr_workgroup_id_x 1
		.amdhsa_system_sgpr_workgroup_id_y 0
		.amdhsa_system_sgpr_workgroup_id_z 0
		.amdhsa_system_sgpr_workgroup_info 0
		.amdhsa_system_vgpr_workitem_id 0
		.amdhsa_next_free_vgpr 1
		.amdhsa_next_free_sgpr 0
		.amdhsa_accum_offset 4
		.amdhsa_reserve_vcc 0
		.amdhsa_reserve_flat_scratch 0
		.amdhsa_float_round_mode_32 0
		.amdhsa_float_round_mode_16_64 0
		.amdhsa_float_denorm_mode_32 3
		.amdhsa_float_denorm_mode_16_64 3
		.amdhsa_dx10_clamp 1
		.amdhsa_ieee_mode 1
		.amdhsa_fp16_overflow 0
		.amdhsa_tg_split 0
		.amdhsa_exception_fp_ieee_invalid_op 0
		.amdhsa_exception_fp_denorm_src 0
		.amdhsa_exception_fp_ieee_div_zero 0
		.amdhsa_exception_fp_ieee_overflow 0
		.amdhsa_exception_fp_ieee_underflow 0
		.amdhsa_exception_fp_ieee_inexact 0
		.amdhsa_exception_int_div_zero 0
	.end_amdhsa_kernel
	.section	.text._ZN7rocprim17ROCPRIM_400000_NS6detail17trampoline_kernelINS0_14default_configENS1_25partition_config_selectorILNS1_17partition_subalgoE2ExNS0_10empty_typeEbEEZZNS1_14partition_implILS5_2ELb0ES3_jN6thrust23THRUST_200600_302600_NS6detail15normal_iteratorINSA_7pointerIxNSA_11hip_rocprim3tagENSA_11use_defaultESG_EEEEPS6_NSA_18transform_iteratorINSA_8identityIxEENSC_INSA_10device_ptrIxEEEESG_SG_EENS0_5tupleIJPxSJ_EEENSR_IJSJ_SJ_EEES6_PlJS6_EEE10hipError_tPvRmT3_T4_T5_T6_T7_T9_mT8_P12ihipStream_tbDpT10_ENKUlT_T0_E_clISt17integral_constantIbLb0EES1F_EEDaS1A_S1B_EUlS1A_E_NS1_11comp_targetILNS1_3genE9ELNS1_11target_archE1100ELNS1_3gpuE3ELNS1_3repE0EEENS1_30default_config_static_selectorELNS0_4arch9wavefront6targetE1EEEvT1_,"axG",@progbits,_ZN7rocprim17ROCPRIM_400000_NS6detail17trampoline_kernelINS0_14default_configENS1_25partition_config_selectorILNS1_17partition_subalgoE2ExNS0_10empty_typeEbEEZZNS1_14partition_implILS5_2ELb0ES3_jN6thrust23THRUST_200600_302600_NS6detail15normal_iteratorINSA_7pointerIxNSA_11hip_rocprim3tagENSA_11use_defaultESG_EEEEPS6_NSA_18transform_iteratorINSA_8identityIxEENSC_INSA_10device_ptrIxEEEESG_SG_EENS0_5tupleIJPxSJ_EEENSR_IJSJ_SJ_EEES6_PlJS6_EEE10hipError_tPvRmT3_T4_T5_T6_T7_T9_mT8_P12ihipStream_tbDpT10_ENKUlT_T0_E_clISt17integral_constantIbLb0EES1F_EEDaS1A_S1B_EUlS1A_E_NS1_11comp_targetILNS1_3genE9ELNS1_11target_archE1100ELNS1_3gpuE3ELNS1_3repE0EEENS1_30default_config_static_selectorELNS0_4arch9wavefront6targetE1EEEvT1_,comdat
.Lfunc_end487:
	.size	_ZN7rocprim17ROCPRIM_400000_NS6detail17trampoline_kernelINS0_14default_configENS1_25partition_config_selectorILNS1_17partition_subalgoE2ExNS0_10empty_typeEbEEZZNS1_14partition_implILS5_2ELb0ES3_jN6thrust23THRUST_200600_302600_NS6detail15normal_iteratorINSA_7pointerIxNSA_11hip_rocprim3tagENSA_11use_defaultESG_EEEEPS6_NSA_18transform_iteratorINSA_8identityIxEENSC_INSA_10device_ptrIxEEEESG_SG_EENS0_5tupleIJPxSJ_EEENSR_IJSJ_SJ_EEES6_PlJS6_EEE10hipError_tPvRmT3_T4_T5_T6_T7_T9_mT8_P12ihipStream_tbDpT10_ENKUlT_T0_E_clISt17integral_constantIbLb0EES1F_EEDaS1A_S1B_EUlS1A_E_NS1_11comp_targetILNS1_3genE9ELNS1_11target_archE1100ELNS1_3gpuE3ELNS1_3repE0EEENS1_30default_config_static_selectorELNS0_4arch9wavefront6targetE1EEEvT1_, .Lfunc_end487-_ZN7rocprim17ROCPRIM_400000_NS6detail17trampoline_kernelINS0_14default_configENS1_25partition_config_selectorILNS1_17partition_subalgoE2ExNS0_10empty_typeEbEEZZNS1_14partition_implILS5_2ELb0ES3_jN6thrust23THRUST_200600_302600_NS6detail15normal_iteratorINSA_7pointerIxNSA_11hip_rocprim3tagENSA_11use_defaultESG_EEEEPS6_NSA_18transform_iteratorINSA_8identityIxEENSC_INSA_10device_ptrIxEEEESG_SG_EENS0_5tupleIJPxSJ_EEENSR_IJSJ_SJ_EEES6_PlJS6_EEE10hipError_tPvRmT3_T4_T5_T6_T7_T9_mT8_P12ihipStream_tbDpT10_ENKUlT_T0_E_clISt17integral_constantIbLb0EES1F_EEDaS1A_S1B_EUlS1A_E_NS1_11comp_targetILNS1_3genE9ELNS1_11target_archE1100ELNS1_3gpuE3ELNS1_3repE0EEENS1_30default_config_static_selectorELNS0_4arch9wavefront6targetE1EEEvT1_
                                        ; -- End function
	.section	.AMDGPU.csdata,"",@progbits
; Kernel info:
; codeLenInByte = 0
; NumSgprs: 4
; NumVgprs: 0
; NumAgprs: 0
; TotalNumVgprs: 0
; ScratchSize: 0
; MemoryBound: 0
; FloatMode: 240
; IeeeMode: 1
; LDSByteSize: 0 bytes/workgroup (compile time only)
; SGPRBlocks: 0
; VGPRBlocks: 0
; NumSGPRsForWavesPerEU: 4
; NumVGPRsForWavesPerEU: 1
; AccumOffset: 4
; Occupancy: 8
; WaveLimiterHint : 0
; COMPUTE_PGM_RSRC2:SCRATCH_EN: 0
; COMPUTE_PGM_RSRC2:USER_SGPR: 6
; COMPUTE_PGM_RSRC2:TRAP_HANDLER: 0
; COMPUTE_PGM_RSRC2:TGID_X_EN: 1
; COMPUTE_PGM_RSRC2:TGID_Y_EN: 0
; COMPUTE_PGM_RSRC2:TGID_Z_EN: 0
; COMPUTE_PGM_RSRC2:TIDIG_COMP_CNT: 0
; COMPUTE_PGM_RSRC3_GFX90A:ACCUM_OFFSET: 0
; COMPUTE_PGM_RSRC3_GFX90A:TG_SPLIT: 0
	.section	.text._ZN7rocprim17ROCPRIM_400000_NS6detail17trampoline_kernelINS0_14default_configENS1_25partition_config_selectorILNS1_17partition_subalgoE2ExNS0_10empty_typeEbEEZZNS1_14partition_implILS5_2ELb0ES3_jN6thrust23THRUST_200600_302600_NS6detail15normal_iteratorINSA_7pointerIxNSA_11hip_rocprim3tagENSA_11use_defaultESG_EEEEPS6_NSA_18transform_iteratorINSA_8identityIxEENSC_INSA_10device_ptrIxEEEESG_SG_EENS0_5tupleIJPxSJ_EEENSR_IJSJ_SJ_EEES6_PlJS6_EEE10hipError_tPvRmT3_T4_T5_T6_T7_T9_mT8_P12ihipStream_tbDpT10_ENKUlT_T0_E_clISt17integral_constantIbLb0EES1F_EEDaS1A_S1B_EUlS1A_E_NS1_11comp_targetILNS1_3genE8ELNS1_11target_archE1030ELNS1_3gpuE2ELNS1_3repE0EEENS1_30default_config_static_selectorELNS0_4arch9wavefront6targetE1EEEvT1_,"axG",@progbits,_ZN7rocprim17ROCPRIM_400000_NS6detail17trampoline_kernelINS0_14default_configENS1_25partition_config_selectorILNS1_17partition_subalgoE2ExNS0_10empty_typeEbEEZZNS1_14partition_implILS5_2ELb0ES3_jN6thrust23THRUST_200600_302600_NS6detail15normal_iteratorINSA_7pointerIxNSA_11hip_rocprim3tagENSA_11use_defaultESG_EEEEPS6_NSA_18transform_iteratorINSA_8identityIxEENSC_INSA_10device_ptrIxEEEESG_SG_EENS0_5tupleIJPxSJ_EEENSR_IJSJ_SJ_EEES6_PlJS6_EEE10hipError_tPvRmT3_T4_T5_T6_T7_T9_mT8_P12ihipStream_tbDpT10_ENKUlT_T0_E_clISt17integral_constantIbLb0EES1F_EEDaS1A_S1B_EUlS1A_E_NS1_11comp_targetILNS1_3genE8ELNS1_11target_archE1030ELNS1_3gpuE2ELNS1_3repE0EEENS1_30default_config_static_selectorELNS0_4arch9wavefront6targetE1EEEvT1_,comdat
	.protected	_ZN7rocprim17ROCPRIM_400000_NS6detail17trampoline_kernelINS0_14default_configENS1_25partition_config_selectorILNS1_17partition_subalgoE2ExNS0_10empty_typeEbEEZZNS1_14partition_implILS5_2ELb0ES3_jN6thrust23THRUST_200600_302600_NS6detail15normal_iteratorINSA_7pointerIxNSA_11hip_rocprim3tagENSA_11use_defaultESG_EEEEPS6_NSA_18transform_iteratorINSA_8identityIxEENSC_INSA_10device_ptrIxEEEESG_SG_EENS0_5tupleIJPxSJ_EEENSR_IJSJ_SJ_EEES6_PlJS6_EEE10hipError_tPvRmT3_T4_T5_T6_T7_T9_mT8_P12ihipStream_tbDpT10_ENKUlT_T0_E_clISt17integral_constantIbLb0EES1F_EEDaS1A_S1B_EUlS1A_E_NS1_11comp_targetILNS1_3genE8ELNS1_11target_archE1030ELNS1_3gpuE2ELNS1_3repE0EEENS1_30default_config_static_selectorELNS0_4arch9wavefront6targetE1EEEvT1_ ; -- Begin function _ZN7rocprim17ROCPRIM_400000_NS6detail17trampoline_kernelINS0_14default_configENS1_25partition_config_selectorILNS1_17partition_subalgoE2ExNS0_10empty_typeEbEEZZNS1_14partition_implILS5_2ELb0ES3_jN6thrust23THRUST_200600_302600_NS6detail15normal_iteratorINSA_7pointerIxNSA_11hip_rocprim3tagENSA_11use_defaultESG_EEEEPS6_NSA_18transform_iteratorINSA_8identityIxEENSC_INSA_10device_ptrIxEEEESG_SG_EENS0_5tupleIJPxSJ_EEENSR_IJSJ_SJ_EEES6_PlJS6_EEE10hipError_tPvRmT3_T4_T5_T6_T7_T9_mT8_P12ihipStream_tbDpT10_ENKUlT_T0_E_clISt17integral_constantIbLb0EES1F_EEDaS1A_S1B_EUlS1A_E_NS1_11comp_targetILNS1_3genE8ELNS1_11target_archE1030ELNS1_3gpuE2ELNS1_3repE0EEENS1_30default_config_static_selectorELNS0_4arch9wavefront6targetE1EEEvT1_
	.globl	_ZN7rocprim17ROCPRIM_400000_NS6detail17trampoline_kernelINS0_14default_configENS1_25partition_config_selectorILNS1_17partition_subalgoE2ExNS0_10empty_typeEbEEZZNS1_14partition_implILS5_2ELb0ES3_jN6thrust23THRUST_200600_302600_NS6detail15normal_iteratorINSA_7pointerIxNSA_11hip_rocprim3tagENSA_11use_defaultESG_EEEEPS6_NSA_18transform_iteratorINSA_8identityIxEENSC_INSA_10device_ptrIxEEEESG_SG_EENS0_5tupleIJPxSJ_EEENSR_IJSJ_SJ_EEES6_PlJS6_EEE10hipError_tPvRmT3_T4_T5_T6_T7_T9_mT8_P12ihipStream_tbDpT10_ENKUlT_T0_E_clISt17integral_constantIbLb0EES1F_EEDaS1A_S1B_EUlS1A_E_NS1_11comp_targetILNS1_3genE8ELNS1_11target_archE1030ELNS1_3gpuE2ELNS1_3repE0EEENS1_30default_config_static_selectorELNS0_4arch9wavefront6targetE1EEEvT1_
	.p2align	8
	.type	_ZN7rocprim17ROCPRIM_400000_NS6detail17trampoline_kernelINS0_14default_configENS1_25partition_config_selectorILNS1_17partition_subalgoE2ExNS0_10empty_typeEbEEZZNS1_14partition_implILS5_2ELb0ES3_jN6thrust23THRUST_200600_302600_NS6detail15normal_iteratorINSA_7pointerIxNSA_11hip_rocprim3tagENSA_11use_defaultESG_EEEEPS6_NSA_18transform_iteratorINSA_8identityIxEENSC_INSA_10device_ptrIxEEEESG_SG_EENS0_5tupleIJPxSJ_EEENSR_IJSJ_SJ_EEES6_PlJS6_EEE10hipError_tPvRmT3_T4_T5_T6_T7_T9_mT8_P12ihipStream_tbDpT10_ENKUlT_T0_E_clISt17integral_constantIbLb0EES1F_EEDaS1A_S1B_EUlS1A_E_NS1_11comp_targetILNS1_3genE8ELNS1_11target_archE1030ELNS1_3gpuE2ELNS1_3repE0EEENS1_30default_config_static_selectorELNS0_4arch9wavefront6targetE1EEEvT1_,@function
_ZN7rocprim17ROCPRIM_400000_NS6detail17trampoline_kernelINS0_14default_configENS1_25partition_config_selectorILNS1_17partition_subalgoE2ExNS0_10empty_typeEbEEZZNS1_14partition_implILS5_2ELb0ES3_jN6thrust23THRUST_200600_302600_NS6detail15normal_iteratorINSA_7pointerIxNSA_11hip_rocprim3tagENSA_11use_defaultESG_EEEEPS6_NSA_18transform_iteratorINSA_8identityIxEENSC_INSA_10device_ptrIxEEEESG_SG_EENS0_5tupleIJPxSJ_EEENSR_IJSJ_SJ_EEES6_PlJS6_EEE10hipError_tPvRmT3_T4_T5_T6_T7_T9_mT8_P12ihipStream_tbDpT10_ENKUlT_T0_E_clISt17integral_constantIbLb0EES1F_EEDaS1A_S1B_EUlS1A_E_NS1_11comp_targetILNS1_3genE8ELNS1_11target_archE1030ELNS1_3gpuE2ELNS1_3repE0EEENS1_30default_config_static_selectorELNS0_4arch9wavefront6targetE1EEEvT1_: ; @_ZN7rocprim17ROCPRIM_400000_NS6detail17trampoline_kernelINS0_14default_configENS1_25partition_config_selectorILNS1_17partition_subalgoE2ExNS0_10empty_typeEbEEZZNS1_14partition_implILS5_2ELb0ES3_jN6thrust23THRUST_200600_302600_NS6detail15normal_iteratorINSA_7pointerIxNSA_11hip_rocprim3tagENSA_11use_defaultESG_EEEEPS6_NSA_18transform_iteratorINSA_8identityIxEENSC_INSA_10device_ptrIxEEEESG_SG_EENS0_5tupleIJPxSJ_EEENSR_IJSJ_SJ_EEES6_PlJS6_EEE10hipError_tPvRmT3_T4_T5_T6_T7_T9_mT8_P12ihipStream_tbDpT10_ENKUlT_T0_E_clISt17integral_constantIbLb0EES1F_EEDaS1A_S1B_EUlS1A_E_NS1_11comp_targetILNS1_3genE8ELNS1_11target_archE1030ELNS1_3gpuE2ELNS1_3repE0EEENS1_30default_config_static_selectorELNS0_4arch9wavefront6targetE1EEEvT1_
; %bb.0:
	.section	.rodata,"a",@progbits
	.p2align	6, 0x0
	.amdhsa_kernel _ZN7rocprim17ROCPRIM_400000_NS6detail17trampoline_kernelINS0_14default_configENS1_25partition_config_selectorILNS1_17partition_subalgoE2ExNS0_10empty_typeEbEEZZNS1_14partition_implILS5_2ELb0ES3_jN6thrust23THRUST_200600_302600_NS6detail15normal_iteratorINSA_7pointerIxNSA_11hip_rocprim3tagENSA_11use_defaultESG_EEEEPS6_NSA_18transform_iteratorINSA_8identityIxEENSC_INSA_10device_ptrIxEEEESG_SG_EENS0_5tupleIJPxSJ_EEENSR_IJSJ_SJ_EEES6_PlJS6_EEE10hipError_tPvRmT3_T4_T5_T6_T7_T9_mT8_P12ihipStream_tbDpT10_ENKUlT_T0_E_clISt17integral_constantIbLb0EES1F_EEDaS1A_S1B_EUlS1A_E_NS1_11comp_targetILNS1_3genE8ELNS1_11target_archE1030ELNS1_3gpuE2ELNS1_3repE0EEENS1_30default_config_static_selectorELNS0_4arch9wavefront6targetE1EEEvT1_
		.amdhsa_group_segment_fixed_size 0
		.amdhsa_private_segment_fixed_size 0
		.amdhsa_kernarg_size 128
		.amdhsa_user_sgpr_count 6
		.amdhsa_user_sgpr_private_segment_buffer 1
		.amdhsa_user_sgpr_dispatch_ptr 0
		.amdhsa_user_sgpr_queue_ptr 0
		.amdhsa_user_sgpr_kernarg_segment_ptr 1
		.amdhsa_user_sgpr_dispatch_id 0
		.amdhsa_user_sgpr_flat_scratch_init 0
		.amdhsa_user_sgpr_kernarg_preload_length 0
		.amdhsa_user_sgpr_kernarg_preload_offset 0
		.amdhsa_user_sgpr_private_segment_size 0
		.amdhsa_uses_dynamic_stack 0
		.amdhsa_system_sgpr_private_segment_wavefront_offset 0
		.amdhsa_system_sgpr_workgroup_id_x 1
		.amdhsa_system_sgpr_workgroup_id_y 0
		.amdhsa_system_sgpr_workgroup_id_z 0
		.amdhsa_system_sgpr_workgroup_info 0
		.amdhsa_system_vgpr_workitem_id 0
		.amdhsa_next_free_vgpr 1
		.amdhsa_next_free_sgpr 0
		.amdhsa_accum_offset 4
		.amdhsa_reserve_vcc 0
		.amdhsa_reserve_flat_scratch 0
		.amdhsa_float_round_mode_32 0
		.amdhsa_float_round_mode_16_64 0
		.amdhsa_float_denorm_mode_32 3
		.amdhsa_float_denorm_mode_16_64 3
		.amdhsa_dx10_clamp 1
		.amdhsa_ieee_mode 1
		.amdhsa_fp16_overflow 0
		.amdhsa_tg_split 0
		.amdhsa_exception_fp_ieee_invalid_op 0
		.amdhsa_exception_fp_denorm_src 0
		.amdhsa_exception_fp_ieee_div_zero 0
		.amdhsa_exception_fp_ieee_overflow 0
		.amdhsa_exception_fp_ieee_underflow 0
		.amdhsa_exception_fp_ieee_inexact 0
		.amdhsa_exception_int_div_zero 0
	.end_amdhsa_kernel
	.section	.text._ZN7rocprim17ROCPRIM_400000_NS6detail17trampoline_kernelINS0_14default_configENS1_25partition_config_selectorILNS1_17partition_subalgoE2ExNS0_10empty_typeEbEEZZNS1_14partition_implILS5_2ELb0ES3_jN6thrust23THRUST_200600_302600_NS6detail15normal_iteratorINSA_7pointerIxNSA_11hip_rocprim3tagENSA_11use_defaultESG_EEEEPS6_NSA_18transform_iteratorINSA_8identityIxEENSC_INSA_10device_ptrIxEEEESG_SG_EENS0_5tupleIJPxSJ_EEENSR_IJSJ_SJ_EEES6_PlJS6_EEE10hipError_tPvRmT3_T4_T5_T6_T7_T9_mT8_P12ihipStream_tbDpT10_ENKUlT_T0_E_clISt17integral_constantIbLb0EES1F_EEDaS1A_S1B_EUlS1A_E_NS1_11comp_targetILNS1_3genE8ELNS1_11target_archE1030ELNS1_3gpuE2ELNS1_3repE0EEENS1_30default_config_static_selectorELNS0_4arch9wavefront6targetE1EEEvT1_,"axG",@progbits,_ZN7rocprim17ROCPRIM_400000_NS6detail17trampoline_kernelINS0_14default_configENS1_25partition_config_selectorILNS1_17partition_subalgoE2ExNS0_10empty_typeEbEEZZNS1_14partition_implILS5_2ELb0ES3_jN6thrust23THRUST_200600_302600_NS6detail15normal_iteratorINSA_7pointerIxNSA_11hip_rocprim3tagENSA_11use_defaultESG_EEEEPS6_NSA_18transform_iteratorINSA_8identityIxEENSC_INSA_10device_ptrIxEEEESG_SG_EENS0_5tupleIJPxSJ_EEENSR_IJSJ_SJ_EEES6_PlJS6_EEE10hipError_tPvRmT3_T4_T5_T6_T7_T9_mT8_P12ihipStream_tbDpT10_ENKUlT_T0_E_clISt17integral_constantIbLb0EES1F_EEDaS1A_S1B_EUlS1A_E_NS1_11comp_targetILNS1_3genE8ELNS1_11target_archE1030ELNS1_3gpuE2ELNS1_3repE0EEENS1_30default_config_static_selectorELNS0_4arch9wavefront6targetE1EEEvT1_,comdat
.Lfunc_end488:
	.size	_ZN7rocprim17ROCPRIM_400000_NS6detail17trampoline_kernelINS0_14default_configENS1_25partition_config_selectorILNS1_17partition_subalgoE2ExNS0_10empty_typeEbEEZZNS1_14partition_implILS5_2ELb0ES3_jN6thrust23THRUST_200600_302600_NS6detail15normal_iteratorINSA_7pointerIxNSA_11hip_rocprim3tagENSA_11use_defaultESG_EEEEPS6_NSA_18transform_iteratorINSA_8identityIxEENSC_INSA_10device_ptrIxEEEESG_SG_EENS0_5tupleIJPxSJ_EEENSR_IJSJ_SJ_EEES6_PlJS6_EEE10hipError_tPvRmT3_T4_T5_T6_T7_T9_mT8_P12ihipStream_tbDpT10_ENKUlT_T0_E_clISt17integral_constantIbLb0EES1F_EEDaS1A_S1B_EUlS1A_E_NS1_11comp_targetILNS1_3genE8ELNS1_11target_archE1030ELNS1_3gpuE2ELNS1_3repE0EEENS1_30default_config_static_selectorELNS0_4arch9wavefront6targetE1EEEvT1_, .Lfunc_end488-_ZN7rocprim17ROCPRIM_400000_NS6detail17trampoline_kernelINS0_14default_configENS1_25partition_config_selectorILNS1_17partition_subalgoE2ExNS0_10empty_typeEbEEZZNS1_14partition_implILS5_2ELb0ES3_jN6thrust23THRUST_200600_302600_NS6detail15normal_iteratorINSA_7pointerIxNSA_11hip_rocprim3tagENSA_11use_defaultESG_EEEEPS6_NSA_18transform_iteratorINSA_8identityIxEENSC_INSA_10device_ptrIxEEEESG_SG_EENS0_5tupleIJPxSJ_EEENSR_IJSJ_SJ_EEES6_PlJS6_EEE10hipError_tPvRmT3_T4_T5_T6_T7_T9_mT8_P12ihipStream_tbDpT10_ENKUlT_T0_E_clISt17integral_constantIbLb0EES1F_EEDaS1A_S1B_EUlS1A_E_NS1_11comp_targetILNS1_3genE8ELNS1_11target_archE1030ELNS1_3gpuE2ELNS1_3repE0EEENS1_30default_config_static_selectorELNS0_4arch9wavefront6targetE1EEEvT1_
                                        ; -- End function
	.section	.AMDGPU.csdata,"",@progbits
; Kernel info:
; codeLenInByte = 0
; NumSgprs: 4
; NumVgprs: 0
; NumAgprs: 0
; TotalNumVgprs: 0
; ScratchSize: 0
; MemoryBound: 0
; FloatMode: 240
; IeeeMode: 1
; LDSByteSize: 0 bytes/workgroup (compile time only)
; SGPRBlocks: 0
; VGPRBlocks: 0
; NumSGPRsForWavesPerEU: 4
; NumVGPRsForWavesPerEU: 1
; AccumOffset: 4
; Occupancy: 8
; WaveLimiterHint : 0
; COMPUTE_PGM_RSRC2:SCRATCH_EN: 0
; COMPUTE_PGM_RSRC2:USER_SGPR: 6
; COMPUTE_PGM_RSRC2:TRAP_HANDLER: 0
; COMPUTE_PGM_RSRC2:TGID_X_EN: 1
; COMPUTE_PGM_RSRC2:TGID_Y_EN: 0
; COMPUTE_PGM_RSRC2:TGID_Z_EN: 0
; COMPUTE_PGM_RSRC2:TIDIG_COMP_CNT: 0
; COMPUTE_PGM_RSRC3_GFX90A:ACCUM_OFFSET: 0
; COMPUTE_PGM_RSRC3_GFX90A:TG_SPLIT: 0
	.section	.text._ZN7rocprim17ROCPRIM_400000_NS6detail17trampoline_kernelINS0_14default_configENS1_25partition_config_selectorILNS1_17partition_subalgoE2ExNS0_10empty_typeEbEEZZNS1_14partition_implILS5_2ELb0ES3_jN6thrust23THRUST_200600_302600_NS6detail15normal_iteratorINSA_7pointerIxNSA_11hip_rocprim3tagENSA_11use_defaultESG_EEEEPS6_NSA_18transform_iteratorINSA_8identityIxEENSC_INSA_10device_ptrIxEEEESG_SG_EENS0_5tupleIJPxSJ_EEENSR_IJSJ_SJ_EEES6_PlJS6_EEE10hipError_tPvRmT3_T4_T5_T6_T7_T9_mT8_P12ihipStream_tbDpT10_ENKUlT_T0_E_clISt17integral_constantIbLb1EES1F_EEDaS1A_S1B_EUlS1A_E_NS1_11comp_targetILNS1_3genE0ELNS1_11target_archE4294967295ELNS1_3gpuE0ELNS1_3repE0EEENS1_30default_config_static_selectorELNS0_4arch9wavefront6targetE1EEEvT1_,"axG",@progbits,_ZN7rocprim17ROCPRIM_400000_NS6detail17trampoline_kernelINS0_14default_configENS1_25partition_config_selectorILNS1_17partition_subalgoE2ExNS0_10empty_typeEbEEZZNS1_14partition_implILS5_2ELb0ES3_jN6thrust23THRUST_200600_302600_NS6detail15normal_iteratorINSA_7pointerIxNSA_11hip_rocprim3tagENSA_11use_defaultESG_EEEEPS6_NSA_18transform_iteratorINSA_8identityIxEENSC_INSA_10device_ptrIxEEEESG_SG_EENS0_5tupleIJPxSJ_EEENSR_IJSJ_SJ_EEES6_PlJS6_EEE10hipError_tPvRmT3_T4_T5_T6_T7_T9_mT8_P12ihipStream_tbDpT10_ENKUlT_T0_E_clISt17integral_constantIbLb1EES1F_EEDaS1A_S1B_EUlS1A_E_NS1_11comp_targetILNS1_3genE0ELNS1_11target_archE4294967295ELNS1_3gpuE0ELNS1_3repE0EEENS1_30default_config_static_selectorELNS0_4arch9wavefront6targetE1EEEvT1_,comdat
	.protected	_ZN7rocprim17ROCPRIM_400000_NS6detail17trampoline_kernelINS0_14default_configENS1_25partition_config_selectorILNS1_17partition_subalgoE2ExNS0_10empty_typeEbEEZZNS1_14partition_implILS5_2ELb0ES3_jN6thrust23THRUST_200600_302600_NS6detail15normal_iteratorINSA_7pointerIxNSA_11hip_rocprim3tagENSA_11use_defaultESG_EEEEPS6_NSA_18transform_iteratorINSA_8identityIxEENSC_INSA_10device_ptrIxEEEESG_SG_EENS0_5tupleIJPxSJ_EEENSR_IJSJ_SJ_EEES6_PlJS6_EEE10hipError_tPvRmT3_T4_T5_T6_T7_T9_mT8_P12ihipStream_tbDpT10_ENKUlT_T0_E_clISt17integral_constantIbLb1EES1F_EEDaS1A_S1B_EUlS1A_E_NS1_11comp_targetILNS1_3genE0ELNS1_11target_archE4294967295ELNS1_3gpuE0ELNS1_3repE0EEENS1_30default_config_static_selectorELNS0_4arch9wavefront6targetE1EEEvT1_ ; -- Begin function _ZN7rocprim17ROCPRIM_400000_NS6detail17trampoline_kernelINS0_14default_configENS1_25partition_config_selectorILNS1_17partition_subalgoE2ExNS0_10empty_typeEbEEZZNS1_14partition_implILS5_2ELb0ES3_jN6thrust23THRUST_200600_302600_NS6detail15normal_iteratorINSA_7pointerIxNSA_11hip_rocprim3tagENSA_11use_defaultESG_EEEEPS6_NSA_18transform_iteratorINSA_8identityIxEENSC_INSA_10device_ptrIxEEEESG_SG_EENS0_5tupleIJPxSJ_EEENSR_IJSJ_SJ_EEES6_PlJS6_EEE10hipError_tPvRmT3_T4_T5_T6_T7_T9_mT8_P12ihipStream_tbDpT10_ENKUlT_T0_E_clISt17integral_constantIbLb1EES1F_EEDaS1A_S1B_EUlS1A_E_NS1_11comp_targetILNS1_3genE0ELNS1_11target_archE4294967295ELNS1_3gpuE0ELNS1_3repE0EEENS1_30default_config_static_selectorELNS0_4arch9wavefront6targetE1EEEvT1_
	.globl	_ZN7rocprim17ROCPRIM_400000_NS6detail17trampoline_kernelINS0_14default_configENS1_25partition_config_selectorILNS1_17partition_subalgoE2ExNS0_10empty_typeEbEEZZNS1_14partition_implILS5_2ELb0ES3_jN6thrust23THRUST_200600_302600_NS6detail15normal_iteratorINSA_7pointerIxNSA_11hip_rocprim3tagENSA_11use_defaultESG_EEEEPS6_NSA_18transform_iteratorINSA_8identityIxEENSC_INSA_10device_ptrIxEEEESG_SG_EENS0_5tupleIJPxSJ_EEENSR_IJSJ_SJ_EEES6_PlJS6_EEE10hipError_tPvRmT3_T4_T5_T6_T7_T9_mT8_P12ihipStream_tbDpT10_ENKUlT_T0_E_clISt17integral_constantIbLb1EES1F_EEDaS1A_S1B_EUlS1A_E_NS1_11comp_targetILNS1_3genE0ELNS1_11target_archE4294967295ELNS1_3gpuE0ELNS1_3repE0EEENS1_30default_config_static_selectorELNS0_4arch9wavefront6targetE1EEEvT1_
	.p2align	8
	.type	_ZN7rocprim17ROCPRIM_400000_NS6detail17trampoline_kernelINS0_14default_configENS1_25partition_config_selectorILNS1_17partition_subalgoE2ExNS0_10empty_typeEbEEZZNS1_14partition_implILS5_2ELb0ES3_jN6thrust23THRUST_200600_302600_NS6detail15normal_iteratorINSA_7pointerIxNSA_11hip_rocprim3tagENSA_11use_defaultESG_EEEEPS6_NSA_18transform_iteratorINSA_8identityIxEENSC_INSA_10device_ptrIxEEEESG_SG_EENS0_5tupleIJPxSJ_EEENSR_IJSJ_SJ_EEES6_PlJS6_EEE10hipError_tPvRmT3_T4_T5_T6_T7_T9_mT8_P12ihipStream_tbDpT10_ENKUlT_T0_E_clISt17integral_constantIbLb1EES1F_EEDaS1A_S1B_EUlS1A_E_NS1_11comp_targetILNS1_3genE0ELNS1_11target_archE4294967295ELNS1_3gpuE0ELNS1_3repE0EEENS1_30default_config_static_selectorELNS0_4arch9wavefront6targetE1EEEvT1_,@function
_ZN7rocprim17ROCPRIM_400000_NS6detail17trampoline_kernelINS0_14default_configENS1_25partition_config_selectorILNS1_17partition_subalgoE2ExNS0_10empty_typeEbEEZZNS1_14partition_implILS5_2ELb0ES3_jN6thrust23THRUST_200600_302600_NS6detail15normal_iteratorINSA_7pointerIxNSA_11hip_rocprim3tagENSA_11use_defaultESG_EEEEPS6_NSA_18transform_iteratorINSA_8identityIxEENSC_INSA_10device_ptrIxEEEESG_SG_EENS0_5tupleIJPxSJ_EEENSR_IJSJ_SJ_EEES6_PlJS6_EEE10hipError_tPvRmT3_T4_T5_T6_T7_T9_mT8_P12ihipStream_tbDpT10_ENKUlT_T0_E_clISt17integral_constantIbLb1EES1F_EEDaS1A_S1B_EUlS1A_E_NS1_11comp_targetILNS1_3genE0ELNS1_11target_archE4294967295ELNS1_3gpuE0ELNS1_3repE0EEENS1_30default_config_static_selectorELNS0_4arch9wavefront6targetE1EEEvT1_: ; @_ZN7rocprim17ROCPRIM_400000_NS6detail17trampoline_kernelINS0_14default_configENS1_25partition_config_selectorILNS1_17partition_subalgoE2ExNS0_10empty_typeEbEEZZNS1_14partition_implILS5_2ELb0ES3_jN6thrust23THRUST_200600_302600_NS6detail15normal_iteratorINSA_7pointerIxNSA_11hip_rocprim3tagENSA_11use_defaultESG_EEEEPS6_NSA_18transform_iteratorINSA_8identityIxEENSC_INSA_10device_ptrIxEEEESG_SG_EENS0_5tupleIJPxSJ_EEENSR_IJSJ_SJ_EEES6_PlJS6_EEE10hipError_tPvRmT3_T4_T5_T6_T7_T9_mT8_P12ihipStream_tbDpT10_ENKUlT_T0_E_clISt17integral_constantIbLb1EES1F_EEDaS1A_S1B_EUlS1A_E_NS1_11comp_targetILNS1_3genE0ELNS1_11target_archE4294967295ELNS1_3gpuE0ELNS1_3repE0EEENS1_30default_config_static_selectorELNS0_4arch9wavefront6targetE1EEEvT1_
; %bb.0:
	.section	.rodata,"a",@progbits
	.p2align	6, 0x0
	.amdhsa_kernel _ZN7rocprim17ROCPRIM_400000_NS6detail17trampoline_kernelINS0_14default_configENS1_25partition_config_selectorILNS1_17partition_subalgoE2ExNS0_10empty_typeEbEEZZNS1_14partition_implILS5_2ELb0ES3_jN6thrust23THRUST_200600_302600_NS6detail15normal_iteratorINSA_7pointerIxNSA_11hip_rocprim3tagENSA_11use_defaultESG_EEEEPS6_NSA_18transform_iteratorINSA_8identityIxEENSC_INSA_10device_ptrIxEEEESG_SG_EENS0_5tupleIJPxSJ_EEENSR_IJSJ_SJ_EEES6_PlJS6_EEE10hipError_tPvRmT3_T4_T5_T6_T7_T9_mT8_P12ihipStream_tbDpT10_ENKUlT_T0_E_clISt17integral_constantIbLb1EES1F_EEDaS1A_S1B_EUlS1A_E_NS1_11comp_targetILNS1_3genE0ELNS1_11target_archE4294967295ELNS1_3gpuE0ELNS1_3repE0EEENS1_30default_config_static_selectorELNS0_4arch9wavefront6targetE1EEEvT1_
		.amdhsa_group_segment_fixed_size 0
		.amdhsa_private_segment_fixed_size 0
		.amdhsa_kernarg_size 144
		.amdhsa_user_sgpr_count 6
		.amdhsa_user_sgpr_private_segment_buffer 1
		.amdhsa_user_sgpr_dispatch_ptr 0
		.amdhsa_user_sgpr_queue_ptr 0
		.amdhsa_user_sgpr_kernarg_segment_ptr 1
		.amdhsa_user_sgpr_dispatch_id 0
		.amdhsa_user_sgpr_flat_scratch_init 0
		.amdhsa_user_sgpr_kernarg_preload_length 0
		.amdhsa_user_sgpr_kernarg_preload_offset 0
		.amdhsa_user_sgpr_private_segment_size 0
		.amdhsa_uses_dynamic_stack 0
		.amdhsa_system_sgpr_private_segment_wavefront_offset 0
		.amdhsa_system_sgpr_workgroup_id_x 1
		.amdhsa_system_sgpr_workgroup_id_y 0
		.amdhsa_system_sgpr_workgroup_id_z 0
		.amdhsa_system_sgpr_workgroup_info 0
		.amdhsa_system_vgpr_workitem_id 0
		.amdhsa_next_free_vgpr 1
		.amdhsa_next_free_sgpr 0
		.amdhsa_accum_offset 4
		.amdhsa_reserve_vcc 0
		.amdhsa_reserve_flat_scratch 0
		.amdhsa_float_round_mode_32 0
		.amdhsa_float_round_mode_16_64 0
		.amdhsa_float_denorm_mode_32 3
		.amdhsa_float_denorm_mode_16_64 3
		.amdhsa_dx10_clamp 1
		.amdhsa_ieee_mode 1
		.amdhsa_fp16_overflow 0
		.amdhsa_tg_split 0
		.amdhsa_exception_fp_ieee_invalid_op 0
		.amdhsa_exception_fp_denorm_src 0
		.amdhsa_exception_fp_ieee_div_zero 0
		.amdhsa_exception_fp_ieee_overflow 0
		.amdhsa_exception_fp_ieee_underflow 0
		.amdhsa_exception_fp_ieee_inexact 0
		.amdhsa_exception_int_div_zero 0
	.end_amdhsa_kernel
	.section	.text._ZN7rocprim17ROCPRIM_400000_NS6detail17trampoline_kernelINS0_14default_configENS1_25partition_config_selectorILNS1_17partition_subalgoE2ExNS0_10empty_typeEbEEZZNS1_14partition_implILS5_2ELb0ES3_jN6thrust23THRUST_200600_302600_NS6detail15normal_iteratorINSA_7pointerIxNSA_11hip_rocprim3tagENSA_11use_defaultESG_EEEEPS6_NSA_18transform_iteratorINSA_8identityIxEENSC_INSA_10device_ptrIxEEEESG_SG_EENS0_5tupleIJPxSJ_EEENSR_IJSJ_SJ_EEES6_PlJS6_EEE10hipError_tPvRmT3_T4_T5_T6_T7_T9_mT8_P12ihipStream_tbDpT10_ENKUlT_T0_E_clISt17integral_constantIbLb1EES1F_EEDaS1A_S1B_EUlS1A_E_NS1_11comp_targetILNS1_3genE0ELNS1_11target_archE4294967295ELNS1_3gpuE0ELNS1_3repE0EEENS1_30default_config_static_selectorELNS0_4arch9wavefront6targetE1EEEvT1_,"axG",@progbits,_ZN7rocprim17ROCPRIM_400000_NS6detail17trampoline_kernelINS0_14default_configENS1_25partition_config_selectorILNS1_17partition_subalgoE2ExNS0_10empty_typeEbEEZZNS1_14partition_implILS5_2ELb0ES3_jN6thrust23THRUST_200600_302600_NS6detail15normal_iteratorINSA_7pointerIxNSA_11hip_rocprim3tagENSA_11use_defaultESG_EEEEPS6_NSA_18transform_iteratorINSA_8identityIxEENSC_INSA_10device_ptrIxEEEESG_SG_EENS0_5tupleIJPxSJ_EEENSR_IJSJ_SJ_EEES6_PlJS6_EEE10hipError_tPvRmT3_T4_T5_T6_T7_T9_mT8_P12ihipStream_tbDpT10_ENKUlT_T0_E_clISt17integral_constantIbLb1EES1F_EEDaS1A_S1B_EUlS1A_E_NS1_11comp_targetILNS1_3genE0ELNS1_11target_archE4294967295ELNS1_3gpuE0ELNS1_3repE0EEENS1_30default_config_static_selectorELNS0_4arch9wavefront6targetE1EEEvT1_,comdat
.Lfunc_end489:
	.size	_ZN7rocprim17ROCPRIM_400000_NS6detail17trampoline_kernelINS0_14default_configENS1_25partition_config_selectorILNS1_17partition_subalgoE2ExNS0_10empty_typeEbEEZZNS1_14partition_implILS5_2ELb0ES3_jN6thrust23THRUST_200600_302600_NS6detail15normal_iteratorINSA_7pointerIxNSA_11hip_rocprim3tagENSA_11use_defaultESG_EEEEPS6_NSA_18transform_iteratorINSA_8identityIxEENSC_INSA_10device_ptrIxEEEESG_SG_EENS0_5tupleIJPxSJ_EEENSR_IJSJ_SJ_EEES6_PlJS6_EEE10hipError_tPvRmT3_T4_T5_T6_T7_T9_mT8_P12ihipStream_tbDpT10_ENKUlT_T0_E_clISt17integral_constantIbLb1EES1F_EEDaS1A_S1B_EUlS1A_E_NS1_11comp_targetILNS1_3genE0ELNS1_11target_archE4294967295ELNS1_3gpuE0ELNS1_3repE0EEENS1_30default_config_static_selectorELNS0_4arch9wavefront6targetE1EEEvT1_, .Lfunc_end489-_ZN7rocprim17ROCPRIM_400000_NS6detail17trampoline_kernelINS0_14default_configENS1_25partition_config_selectorILNS1_17partition_subalgoE2ExNS0_10empty_typeEbEEZZNS1_14partition_implILS5_2ELb0ES3_jN6thrust23THRUST_200600_302600_NS6detail15normal_iteratorINSA_7pointerIxNSA_11hip_rocprim3tagENSA_11use_defaultESG_EEEEPS6_NSA_18transform_iteratorINSA_8identityIxEENSC_INSA_10device_ptrIxEEEESG_SG_EENS0_5tupleIJPxSJ_EEENSR_IJSJ_SJ_EEES6_PlJS6_EEE10hipError_tPvRmT3_T4_T5_T6_T7_T9_mT8_P12ihipStream_tbDpT10_ENKUlT_T0_E_clISt17integral_constantIbLb1EES1F_EEDaS1A_S1B_EUlS1A_E_NS1_11comp_targetILNS1_3genE0ELNS1_11target_archE4294967295ELNS1_3gpuE0ELNS1_3repE0EEENS1_30default_config_static_selectorELNS0_4arch9wavefront6targetE1EEEvT1_
                                        ; -- End function
	.section	.AMDGPU.csdata,"",@progbits
; Kernel info:
; codeLenInByte = 0
; NumSgprs: 4
; NumVgprs: 0
; NumAgprs: 0
; TotalNumVgprs: 0
; ScratchSize: 0
; MemoryBound: 0
; FloatMode: 240
; IeeeMode: 1
; LDSByteSize: 0 bytes/workgroup (compile time only)
; SGPRBlocks: 0
; VGPRBlocks: 0
; NumSGPRsForWavesPerEU: 4
; NumVGPRsForWavesPerEU: 1
; AccumOffset: 4
; Occupancy: 8
; WaveLimiterHint : 0
; COMPUTE_PGM_RSRC2:SCRATCH_EN: 0
; COMPUTE_PGM_RSRC2:USER_SGPR: 6
; COMPUTE_PGM_RSRC2:TRAP_HANDLER: 0
; COMPUTE_PGM_RSRC2:TGID_X_EN: 1
; COMPUTE_PGM_RSRC2:TGID_Y_EN: 0
; COMPUTE_PGM_RSRC2:TGID_Z_EN: 0
; COMPUTE_PGM_RSRC2:TIDIG_COMP_CNT: 0
; COMPUTE_PGM_RSRC3_GFX90A:ACCUM_OFFSET: 0
; COMPUTE_PGM_RSRC3_GFX90A:TG_SPLIT: 0
	.section	.text._ZN7rocprim17ROCPRIM_400000_NS6detail17trampoline_kernelINS0_14default_configENS1_25partition_config_selectorILNS1_17partition_subalgoE2ExNS0_10empty_typeEbEEZZNS1_14partition_implILS5_2ELb0ES3_jN6thrust23THRUST_200600_302600_NS6detail15normal_iteratorINSA_7pointerIxNSA_11hip_rocprim3tagENSA_11use_defaultESG_EEEEPS6_NSA_18transform_iteratorINSA_8identityIxEENSC_INSA_10device_ptrIxEEEESG_SG_EENS0_5tupleIJPxSJ_EEENSR_IJSJ_SJ_EEES6_PlJS6_EEE10hipError_tPvRmT3_T4_T5_T6_T7_T9_mT8_P12ihipStream_tbDpT10_ENKUlT_T0_E_clISt17integral_constantIbLb1EES1F_EEDaS1A_S1B_EUlS1A_E_NS1_11comp_targetILNS1_3genE5ELNS1_11target_archE942ELNS1_3gpuE9ELNS1_3repE0EEENS1_30default_config_static_selectorELNS0_4arch9wavefront6targetE1EEEvT1_,"axG",@progbits,_ZN7rocprim17ROCPRIM_400000_NS6detail17trampoline_kernelINS0_14default_configENS1_25partition_config_selectorILNS1_17partition_subalgoE2ExNS0_10empty_typeEbEEZZNS1_14partition_implILS5_2ELb0ES3_jN6thrust23THRUST_200600_302600_NS6detail15normal_iteratorINSA_7pointerIxNSA_11hip_rocprim3tagENSA_11use_defaultESG_EEEEPS6_NSA_18transform_iteratorINSA_8identityIxEENSC_INSA_10device_ptrIxEEEESG_SG_EENS0_5tupleIJPxSJ_EEENSR_IJSJ_SJ_EEES6_PlJS6_EEE10hipError_tPvRmT3_T4_T5_T6_T7_T9_mT8_P12ihipStream_tbDpT10_ENKUlT_T0_E_clISt17integral_constantIbLb1EES1F_EEDaS1A_S1B_EUlS1A_E_NS1_11comp_targetILNS1_3genE5ELNS1_11target_archE942ELNS1_3gpuE9ELNS1_3repE0EEENS1_30default_config_static_selectorELNS0_4arch9wavefront6targetE1EEEvT1_,comdat
	.protected	_ZN7rocprim17ROCPRIM_400000_NS6detail17trampoline_kernelINS0_14default_configENS1_25partition_config_selectorILNS1_17partition_subalgoE2ExNS0_10empty_typeEbEEZZNS1_14partition_implILS5_2ELb0ES3_jN6thrust23THRUST_200600_302600_NS6detail15normal_iteratorINSA_7pointerIxNSA_11hip_rocprim3tagENSA_11use_defaultESG_EEEEPS6_NSA_18transform_iteratorINSA_8identityIxEENSC_INSA_10device_ptrIxEEEESG_SG_EENS0_5tupleIJPxSJ_EEENSR_IJSJ_SJ_EEES6_PlJS6_EEE10hipError_tPvRmT3_T4_T5_T6_T7_T9_mT8_P12ihipStream_tbDpT10_ENKUlT_T0_E_clISt17integral_constantIbLb1EES1F_EEDaS1A_S1B_EUlS1A_E_NS1_11comp_targetILNS1_3genE5ELNS1_11target_archE942ELNS1_3gpuE9ELNS1_3repE0EEENS1_30default_config_static_selectorELNS0_4arch9wavefront6targetE1EEEvT1_ ; -- Begin function _ZN7rocprim17ROCPRIM_400000_NS6detail17trampoline_kernelINS0_14default_configENS1_25partition_config_selectorILNS1_17partition_subalgoE2ExNS0_10empty_typeEbEEZZNS1_14partition_implILS5_2ELb0ES3_jN6thrust23THRUST_200600_302600_NS6detail15normal_iteratorINSA_7pointerIxNSA_11hip_rocprim3tagENSA_11use_defaultESG_EEEEPS6_NSA_18transform_iteratorINSA_8identityIxEENSC_INSA_10device_ptrIxEEEESG_SG_EENS0_5tupleIJPxSJ_EEENSR_IJSJ_SJ_EEES6_PlJS6_EEE10hipError_tPvRmT3_T4_T5_T6_T7_T9_mT8_P12ihipStream_tbDpT10_ENKUlT_T0_E_clISt17integral_constantIbLb1EES1F_EEDaS1A_S1B_EUlS1A_E_NS1_11comp_targetILNS1_3genE5ELNS1_11target_archE942ELNS1_3gpuE9ELNS1_3repE0EEENS1_30default_config_static_selectorELNS0_4arch9wavefront6targetE1EEEvT1_
	.globl	_ZN7rocprim17ROCPRIM_400000_NS6detail17trampoline_kernelINS0_14default_configENS1_25partition_config_selectorILNS1_17partition_subalgoE2ExNS0_10empty_typeEbEEZZNS1_14partition_implILS5_2ELb0ES3_jN6thrust23THRUST_200600_302600_NS6detail15normal_iteratorINSA_7pointerIxNSA_11hip_rocprim3tagENSA_11use_defaultESG_EEEEPS6_NSA_18transform_iteratorINSA_8identityIxEENSC_INSA_10device_ptrIxEEEESG_SG_EENS0_5tupleIJPxSJ_EEENSR_IJSJ_SJ_EEES6_PlJS6_EEE10hipError_tPvRmT3_T4_T5_T6_T7_T9_mT8_P12ihipStream_tbDpT10_ENKUlT_T0_E_clISt17integral_constantIbLb1EES1F_EEDaS1A_S1B_EUlS1A_E_NS1_11comp_targetILNS1_3genE5ELNS1_11target_archE942ELNS1_3gpuE9ELNS1_3repE0EEENS1_30default_config_static_selectorELNS0_4arch9wavefront6targetE1EEEvT1_
	.p2align	8
	.type	_ZN7rocprim17ROCPRIM_400000_NS6detail17trampoline_kernelINS0_14default_configENS1_25partition_config_selectorILNS1_17partition_subalgoE2ExNS0_10empty_typeEbEEZZNS1_14partition_implILS5_2ELb0ES3_jN6thrust23THRUST_200600_302600_NS6detail15normal_iteratorINSA_7pointerIxNSA_11hip_rocprim3tagENSA_11use_defaultESG_EEEEPS6_NSA_18transform_iteratorINSA_8identityIxEENSC_INSA_10device_ptrIxEEEESG_SG_EENS0_5tupleIJPxSJ_EEENSR_IJSJ_SJ_EEES6_PlJS6_EEE10hipError_tPvRmT3_T4_T5_T6_T7_T9_mT8_P12ihipStream_tbDpT10_ENKUlT_T0_E_clISt17integral_constantIbLb1EES1F_EEDaS1A_S1B_EUlS1A_E_NS1_11comp_targetILNS1_3genE5ELNS1_11target_archE942ELNS1_3gpuE9ELNS1_3repE0EEENS1_30default_config_static_selectorELNS0_4arch9wavefront6targetE1EEEvT1_,@function
_ZN7rocprim17ROCPRIM_400000_NS6detail17trampoline_kernelINS0_14default_configENS1_25partition_config_selectorILNS1_17partition_subalgoE2ExNS0_10empty_typeEbEEZZNS1_14partition_implILS5_2ELb0ES3_jN6thrust23THRUST_200600_302600_NS6detail15normal_iteratorINSA_7pointerIxNSA_11hip_rocprim3tagENSA_11use_defaultESG_EEEEPS6_NSA_18transform_iteratorINSA_8identityIxEENSC_INSA_10device_ptrIxEEEESG_SG_EENS0_5tupleIJPxSJ_EEENSR_IJSJ_SJ_EEES6_PlJS6_EEE10hipError_tPvRmT3_T4_T5_T6_T7_T9_mT8_P12ihipStream_tbDpT10_ENKUlT_T0_E_clISt17integral_constantIbLb1EES1F_EEDaS1A_S1B_EUlS1A_E_NS1_11comp_targetILNS1_3genE5ELNS1_11target_archE942ELNS1_3gpuE9ELNS1_3repE0EEENS1_30default_config_static_selectorELNS0_4arch9wavefront6targetE1EEEvT1_: ; @_ZN7rocprim17ROCPRIM_400000_NS6detail17trampoline_kernelINS0_14default_configENS1_25partition_config_selectorILNS1_17partition_subalgoE2ExNS0_10empty_typeEbEEZZNS1_14partition_implILS5_2ELb0ES3_jN6thrust23THRUST_200600_302600_NS6detail15normal_iteratorINSA_7pointerIxNSA_11hip_rocprim3tagENSA_11use_defaultESG_EEEEPS6_NSA_18transform_iteratorINSA_8identityIxEENSC_INSA_10device_ptrIxEEEESG_SG_EENS0_5tupleIJPxSJ_EEENSR_IJSJ_SJ_EEES6_PlJS6_EEE10hipError_tPvRmT3_T4_T5_T6_T7_T9_mT8_P12ihipStream_tbDpT10_ENKUlT_T0_E_clISt17integral_constantIbLb1EES1F_EEDaS1A_S1B_EUlS1A_E_NS1_11comp_targetILNS1_3genE5ELNS1_11target_archE942ELNS1_3gpuE9ELNS1_3repE0EEENS1_30default_config_static_selectorELNS0_4arch9wavefront6targetE1EEEvT1_
; %bb.0:
	.section	.rodata,"a",@progbits
	.p2align	6, 0x0
	.amdhsa_kernel _ZN7rocprim17ROCPRIM_400000_NS6detail17trampoline_kernelINS0_14default_configENS1_25partition_config_selectorILNS1_17partition_subalgoE2ExNS0_10empty_typeEbEEZZNS1_14partition_implILS5_2ELb0ES3_jN6thrust23THRUST_200600_302600_NS6detail15normal_iteratorINSA_7pointerIxNSA_11hip_rocprim3tagENSA_11use_defaultESG_EEEEPS6_NSA_18transform_iteratorINSA_8identityIxEENSC_INSA_10device_ptrIxEEEESG_SG_EENS0_5tupleIJPxSJ_EEENSR_IJSJ_SJ_EEES6_PlJS6_EEE10hipError_tPvRmT3_T4_T5_T6_T7_T9_mT8_P12ihipStream_tbDpT10_ENKUlT_T0_E_clISt17integral_constantIbLb1EES1F_EEDaS1A_S1B_EUlS1A_E_NS1_11comp_targetILNS1_3genE5ELNS1_11target_archE942ELNS1_3gpuE9ELNS1_3repE0EEENS1_30default_config_static_selectorELNS0_4arch9wavefront6targetE1EEEvT1_
		.amdhsa_group_segment_fixed_size 0
		.amdhsa_private_segment_fixed_size 0
		.amdhsa_kernarg_size 144
		.amdhsa_user_sgpr_count 6
		.amdhsa_user_sgpr_private_segment_buffer 1
		.amdhsa_user_sgpr_dispatch_ptr 0
		.amdhsa_user_sgpr_queue_ptr 0
		.amdhsa_user_sgpr_kernarg_segment_ptr 1
		.amdhsa_user_sgpr_dispatch_id 0
		.amdhsa_user_sgpr_flat_scratch_init 0
		.amdhsa_user_sgpr_kernarg_preload_length 0
		.amdhsa_user_sgpr_kernarg_preload_offset 0
		.amdhsa_user_sgpr_private_segment_size 0
		.amdhsa_uses_dynamic_stack 0
		.amdhsa_system_sgpr_private_segment_wavefront_offset 0
		.amdhsa_system_sgpr_workgroup_id_x 1
		.amdhsa_system_sgpr_workgroup_id_y 0
		.amdhsa_system_sgpr_workgroup_id_z 0
		.amdhsa_system_sgpr_workgroup_info 0
		.amdhsa_system_vgpr_workitem_id 0
		.amdhsa_next_free_vgpr 1
		.amdhsa_next_free_sgpr 0
		.amdhsa_accum_offset 4
		.amdhsa_reserve_vcc 0
		.amdhsa_reserve_flat_scratch 0
		.amdhsa_float_round_mode_32 0
		.amdhsa_float_round_mode_16_64 0
		.amdhsa_float_denorm_mode_32 3
		.amdhsa_float_denorm_mode_16_64 3
		.amdhsa_dx10_clamp 1
		.amdhsa_ieee_mode 1
		.amdhsa_fp16_overflow 0
		.amdhsa_tg_split 0
		.amdhsa_exception_fp_ieee_invalid_op 0
		.amdhsa_exception_fp_denorm_src 0
		.amdhsa_exception_fp_ieee_div_zero 0
		.amdhsa_exception_fp_ieee_overflow 0
		.amdhsa_exception_fp_ieee_underflow 0
		.amdhsa_exception_fp_ieee_inexact 0
		.amdhsa_exception_int_div_zero 0
	.end_amdhsa_kernel
	.section	.text._ZN7rocprim17ROCPRIM_400000_NS6detail17trampoline_kernelINS0_14default_configENS1_25partition_config_selectorILNS1_17partition_subalgoE2ExNS0_10empty_typeEbEEZZNS1_14partition_implILS5_2ELb0ES3_jN6thrust23THRUST_200600_302600_NS6detail15normal_iteratorINSA_7pointerIxNSA_11hip_rocprim3tagENSA_11use_defaultESG_EEEEPS6_NSA_18transform_iteratorINSA_8identityIxEENSC_INSA_10device_ptrIxEEEESG_SG_EENS0_5tupleIJPxSJ_EEENSR_IJSJ_SJ_EEES6_PlJS6_EEE10hipError_tPvRmT3_T4_T5_T6_T7_T9_mT8_P12ihipStream_tbDpT10_ENKUlT_T0_E_clISt17integral_constantIbLb1EES1F_EEDaS1A_S1B_EUlS1A_E_NS1_11comp_targetILNS1_3genE5ELNS1_11target_archE942ELNS1_3gpuE9ELNS1_3repE0EEENS1_30default_config_static_selectorELNS0_4arch9wavefront6targetE1EEEvT1_,"axG",@progbits,_ZN7rocprim17ROCPRIM_400000_NS6detail17trampoline_kernelINS0_14default_configENS1_25partition_config_selectorILNS1_17partition_subalgoE2ExNS0_10empty_typeEbEEZZNS1_14partition_implILS5_2ELb0ES3_jN6thrust23THRUST_200600_302600_NS6detail15normal_iteratorINSA_7pointerIxNSA_11hip_rocprim3tagENSA_11use_defaultESG_EEEEPS6_NSA_18transform_iteratorINSA_8identityIxEENSC_INSA_10device_ptrIxEEEESG_SG_EENS0_5tupleIJPxSJ_EEENSR_IJSJ_SJ_EEES6_PlJS6_EEE10hipError_tPvRmT3_T4_T5_T6_T7_T9_mT8_P12ihipStream_tbDpT10_ENKUlT_T0_E_clISt17integral_constantIbLb1EES1F_EEDaS1A_S1B_EUlS1A_E_NS1_11comp_targetILNS1_3genE5ELNS1_11target_archE942ELNS1_3gpuE9ELNS1_3repE0EEENS1_30default_config_static_selectorELNS0_4arch9wavefront6targetE1EEEvT1_,comdat
.Lfunc_end490:
	.size	_ZN7rocprim17ROCPRIM_400000_NS6detail17trampoline_kernelINS0_14default_configENS1_25partition_config_selectorILNS1_17partition_subalgoE2ExNS0_10empty_typeEbEEZZNS1_14partition_implILS5_2ELb0ES3_jN6thrust23THRUST_200600_302600_NS6detail15normal_iteratorINSA_7pointerIxNSA_11hip_rocprim3tagENSA_11use_defaultESG_EEEEPS6_NSA_18transform_iteratorINSA_8identityIxEENSC_INSA_10device_ptrIxEEEESG_SG_EENS0_5tupleIJPxSJ_EEENSR_IJSJ_SJ_EEES6_PlJS6_EEE10hipError_tPvRmT3_T4_T5_T6_T7_T9_mT8_P12ihipStream_tbDpT10_ENKUlT_T0_E_clISt17integral_constantIbLb1EES1F_EEDaS1A_S1B_EUlS1A_E_NS1_11comp_targetILNS1_3genE5ELNS1_11target_archE942ELNS1_3gpuE9ELNS1_3repE0EEENS1_30default_config_static_selectorELNS0_4arch9wavefront6targetE1EEEvT1_, .Lfunc_end490-_ZN7rocprim17ROCPRIM_400000_NS6detail17trampoline_kernelINS0_14default_configENS1_25partition_config_selectorILNS1_17partition_subalgoE2ExNS0_10empty_typeEbEEZZNS1_14partition_implILS5_2ELb0ES3_jN6thrust23THRUST_200600_302600_NS6detail15normal_iteratorINSA_7pointerIxNSA_11hip_rocprim3tagENSA_11use_defaultESG_EEEEPS6_NSA_18transform_iteratorINSA_8identityIxEENSC_INSA_10device_ptrIxEEEESG_SG_EENS0_5tupleIJPxSJ_EEENSR_IJSJ_SJ_EEES6_PlJS6_EEE10hipError_tPvRmT3_T4_T5_T6_T7_T9_mT8_P12ihipStream_tbDpT10_ENKUlT_T0_E_clISt17integral_constantIbLb1EES1F_EEDaS1A_S1B_EUlS1A_E_NS1_11comp_targetILNS1_3genE5ELNS1_11target_archE942ELNS1_3gpuE9ELNS1_3repE0EEENS1_30default_config_static_selectorELNS0_4arch9wavefront6targetE1EEEvT1_
                                        ; -- End function
	.section	.AMDGPU.csdata,"",@progbits
; Kernel info:
; codeLenInByte = 0
; NumSgprs: 4
; NumVgprs: 0
; NumAgprs: 0
; TotalNumVgprs: 0
; ScratchSize: 0
; MemoryBound: 0
; FloatMode: 240
; IeeeMode: 1
; LDSByteSize: 0 bytes/workgroup (compile time only)
; SGPRBlocks: 0
; VGPRBlocks: 0
; NumSGPRsForWavesPerEU: 4
; NumVGPRsForWavesPerEU: 1
; AccumOffset: 4
; Occupancy: 8
; WaveLimiterHint : 0
; COMPUTE_PGM_RSRC2:SCRATCH_EN: 0
; COMPUTE_PGM_RSRC2:USER_SGPR: 6
; COMPUTE_PGM_RSRC2:TRAP_HANDLER: 0
; COMPUTE_PGM_RSRC2:TGID_X_EN: 1
; COMPUTE_PGM_RSRC2:TGID_Y_EN: 0
; COMPUTE_PGM_RSRC2:TGID_Z_EN: 0
; COMPUTE_PGM_RSRC2:TIDIG_COMP_CNT: 0
; COMPUTE_PGM_RSRC3_GFX90A:ACCUM_OFFSET: 0
; COMPUTE_PGM_RSRC3_GFX90A:TG_SPLIT: 0
	.section	.text._ZN7rocprim17ROCPRIM_400000_NS6detail17trampoline_kernelINS0_14default_configENS1_25partition_config_selectorILNS1_17partition_subalgoE2ExNS0_10empty_typeEbEEZZNS1_14partition_implILS5_2ELb0ES3_jN6thrust23THRUST_200600_302600_NS6detail15normal_iteratorINSA_7pointerIxNSA_11hip_rocprim3tagENSA_11use_defaultESG_EEEEPS6_NSA_18transform_iteratorINSA_8identityIxEENSC_INSA_10device_ptrIxEEEESG_SG_EENS0_5tupleIJPxSJ_EEENSR_IJSJ_SJ_EEES6_PlJS6_EEE10hipError_tPvRmT3_T4_T5_T6_T7_T9_mT8_P12ihipStream_tbDpT10_ENKUlT_T0_E_clISt17integral_constantIbLb1EES1F_EEDaS1A_S1B_EUlS1A_E_NS1_11comp_targetILNS1_3genE4ELNS1_11target_archE910ELNS1_3gpuE8ELNS1_3repE0EEENS1_30default_config_static_selectorELNS0_4arch9wavefront6targetE1EEEvT1_,"axG",@progbits,_ZN7rocprim17ROCPRIM_400000_NS6detail17trampoline_kernelINS0_14default_configENS1_25partition_config_selectorILNS1_17partition_subalgoE2ExNS0_10empty_typeEbEEZZNS1_14partition_implILS5_2ELb0ES3_jN6thrust23THRUST_200600_302600_NS6detail15normal_iteratorINSA_7pointerIxNSA_11hip_rocprim3tagENSA_11use_defaultESG_EEEEPS6_NSA_18transform_iteratorINSA_8identityIxEENSC_INSA_10device_ptrIxEEEESG_SG_EENS0_5tupleIJPxSJ_EEENSR_IJSJ_SJ_EEES6_PlJS6_EEE10hipError_tPvRmT3_T4_T5_T6_T7_T9_mT8_P12ihipStream_tbDpT10_ENKUlT_T0_E_clISt17integral_constantIbLb1EES1F_EEDaS1A_S1B_EUlS1A_E_NS1_11comp_targetILNS1_3genE4ELNS1_11target_archE910ELNS1_3gpuE8ELNS1_3repE0EEENS1_30default_config_static_selectorELNS0_4arch9wavefront6targetE1EEEvT1_,comdat
	.protected	_ZN7rocprim17ROCPRIM_400000_NS6detail17trampoline_kernelINS0_14default_configENS1_25partition_config_selectorILNS1_17partition_subalgoE2ExNS0_10empty_typeEbEEZZNS1_14partition_implILS5_2ELb0ES3_jN6thrust23THRUST_200600_302600_NS6detail15normal_iteratorINSA_7pointerIxNSA_11hip_rocprim3tagENSA_11use_defaultESG_EEEEPS6_NSA_18transform_iteratorINSA_8identityIxEENSC_INSA_10device_ptrIxEEEESG_SG_EENS0_5tupleIJPxSJ_EEENSR_IJSJ_SJ_EEES6_PlJS6_EEE10hipError_tPvRmT3_T4_T5_T6_T7_T9_mT8_P12ihipStream_tbDpT10_ENKUlT_T0_E_clISt17integral_constantIbLb1EES1F_EEDaS1A_S1B_EUlS1A_E_NS1_11comp_targetILNS1_3genE4ELNS1_11target_archE910ELNS1_3gpuE8ELNS1_3repE0EEENS1_30default_config_static_selectorELNS0_4arch9wavefront6targetE1EEEvT1_ ; -- Begin function _ZN7rocprim17ROCPRIM_400000_NS6detail17trampoline_kernelINS0_14default_configENS1_25partition_config_selectorILNS1_17partition_subalgoE2ExNS0_10empty_typeEbEEZZNS1_14partition_implILS5_2ELb0ES3_jN6thrust23THRUST_200600_302600_NS6detail15normal_iteratorINSA_7pointerIxNSA_11hip_rocprim3tagENSA_11use_defaultESG_EEEEPS6_NSA_18transform_iteratorINSA_8identityIxEENSC_INSA_10device_ptrIxEEEESG_SG_EENS0_5tupleIJPxSJ_EEENSR_IJSJ_SJ_EEES6_PlJS6_EEE10hipError_tPvRmT3_T4_T5_T6_T7_T9_mT8_P12ihipStream_tbDpT10_ENKUlT_T0_E_clISt17integral_constantIbLb1EES1F_EEDaS1A_S1B_EUlS1A_E_NS1_11comp_targetILNS1_3genE4ELNS1_11target_archE910ELNS1_3gpuE8ELNS1_3repE0EEENS1_30default_config_static_selectorELNS0_4arch9wavefront6targetE1EEEvT1_
	.globl	_ZN7rocprim17ROCPRIM_400000_NS6detail17trampoline_kernelINS0_14default_configENS1_25partition_config_selectorILNS1_17partition_subalgoE2ExNS0_10empty_typeEbEEZZNS1_14partition_implILS5_2ELb0ES3_jN6thrust23THRUST_200600_302600_NS6detail15normal_iteratorINSA_7pointerIxNSA_11hip_rocprim3tagENSA_11use_defaultESG_EEEEPS6_NSA_18transform_iteratorINSA_8identityIxEENSC_INSA_10device_ptrIxEEEESG_SG_EENS0_5tupleIJPxSJ_EEENSR_IJSJ_SJ_EEES6_PlJS6_EEE10hipError_tPvRmT3_T4_T5_T6_T7_T9_mT8_P12ihipStream_tbDpT10_ENKUlT_T0_E_clISt17integral_constantIbLb1EES1F_EEDaS1A_S1B_EUlS1A_E_NS1_11comp_targetILNS1_3genE4ELNS1_11target_archE910ELNS1_3gpuE8ELNS1_3repE0EEENS1_30default_config_static_selectorELNS0_4arch9wavefront6targetE1EEEvT1_
	.p2align	8
	.type	_ZN7rocprim17ROCPRIM_400000_NS6detail17trampoline_kernelINS0_14default_configENS1_25partition_config_selectorILNS1_17partition_subalgoE2ExNS0_10empty_typeEbEEZZNS1_14partition_implILS5_2ELb0ES3_jN6thrust23THRUST_200600_302600_NS6detail15normal_iteratorINSA_7pointerIxNSA_11hip_rocprim3tagENSA_11use_defaultESG_EEEEPS6_NSA_18transform_iteratorINSA_8identityIxEENSC_INSA_10device_ptrIxEEEESG_SG_EENS0_5tupleIJPxSJ_EEENSR_IJSJ_SJ_EEES6_PlJS6_EEE10hipError_tPvRmT3_T4_T5_T6_T7_T9_mT8_P12ihipStream_tbDpT10_ENKUlT_T0_E_clISt17integral_constantIbLb1EES1F_EEDaS1A_S1B_EUlS1A_E_NS1_11comp_targetILNS1_3genE4ELNS1_11target_archE910ELNS1_3gpuE8ELNS1_3repE0EEENS1_30default_config_static_selectorELNS0_4arch9wavefront6targetE1EEEvT1_,@function
_ZN7rocprim17ROCPRIM_400000_NS6detail17trampoline_kernelINS0_14default_configENS1_25partition_config_selectorILNS1_17partition_subalgoE2ExNS0_10empty_typeEbEEZZNS1_14partition_implILS5_2ELb0ES3_jN6thrust23THRUST_200600_302600_NS6detail15normal_iteratorINSA_7pointerIxNSA_11hip_rocprim3tagENSA_11use_defaultESG_EEEEPS6_NSA_18transform_iteratorINSA_8identityIxEENSC_INSA_10device_ptrIxEEEESG_SG_EENS0_5tupleIJPxSJ_EEENSR_IJSJ_SJ_EEES6_PlJS6_EEE10hipError_tPvRmT3_T4_T5_T6_T7_T9_mT8_P12ihipStream_tbDpT10_ENKUlT_T0_E_clISt17integral_constantIbLb1EES1F_EEDaS1A_S1B_EUlS1A_E_NS1_11comp_targetILNS1_3genE4ELNS1_11target_archE910ELNS1_3gpuE8ELNS1_3repE0EEENS1_30default_config_static_selectorELNS0_4arch9wavefront6targetE1EEEvT1_: ; @_ZN7rocprim17ROCPRIM_400000_NS6detail17trampoline_kernelINS0_14default_configENS1_25partition_config_selectorILNS1_17partition_subalgoE2ExNS0_10empty_typeEbEEZZNS1_14partition_implILS5_2ELb0ES3_jN6thrust23THRUST_200600_302600_NS6detail15normal_iteratorINSA_7pointerIxNSA_11hip_rocprim3tagENSA_11use_defaultESG_EEEEPS6_NSA_18transform_iteratorINSA_8identityIxEENSC_INSA_10device_ptrIxEEEESG_SG_EENS0_5tupleIJPxSJ_EEENSR_IJSJ_SJ_EEES6_PlJS6_EEE10hipError_tPvRmT3_T4_T5_T6_T7_T9_mT8_P12ihipStream_tbDpT10_ENKUlT_T0_E_clISt17integral_constantIbLb1EES1F_EEDaS1A_S1B_EUlS1A_E_NS1_11comp_targetILNS1_3genE4ELNS1_11target_archE910ELNS1_3gpuE8ELNS1_3repE0EEENS1_30default_config_static_selectorELNS0_4arch9wavefront6targetE1EEEvT1_
; %bb.0:
	s_load_dwordx2 s[6:7], s[4:5], 0x20
	s_load_dwordx2 s[24:25], s[4:5], 0x30
	;; [unrolled: 1-line block ×3, first 2 shown]
	s_load_dwordx4 s[20:23], s[4:5], 0x50
	s_load_dwordx2 s[34:35], s[4:5], 0x70
	v_cmp_eq_u32_e64 s[0:1], 0, v0
	s_and_saveexec_b64 s[2:3], s[0:1]
	s_cbranch_execz .LBB491_4
; %bb.1:
	s_mov_b64 s[10:11], exec
	v_mbcnt_lo_u32_b32 v1, s10, 0
	v_mbcnt_hi_u32_b32 v1, s11, v1
	v_cmp_eq_u32_e32 vcc, 0, v1
                                        ; implicit-def: $vgpr2
	s_and_saveexec_b64 s[8:9], vcc
	s_cbranch_execz .LBB491_3
; %bb.2:
	s_load_dwordx2 s[12:13], s[4:5], 0x80
	s_bcnt1_i32_b64 s10, s[10:11]
	v_mov_b32_e32 v2, 0
	v_mov_b32_e32 v3, s10
	s_waitcnt lgkmcnt(0)
	global_atomic_add v2, v2, v3, s[12:13] glc
.LBB491_3:
	s_or_b64 exec, exec, s[8:9]
	s_waitcnt vmcnt(0)
	v_readfirstlane_b32 s8, v2
	v_add_u32_e32 v1, s8, v1
	v_mov_b32_e32 v2, 0
	ds_write_b32 v2, v1
.LBB491_4:
	s_or_b64 exec, exec, s[2:3]
	v_mov_b32_e32 v1, 0
	s_load_dwordx4 s[16:19], s[4:5], 0x8
	s_load_dword s2, s[4:5], 0x78
	s_waitcnt lgkmcnt(0)
	s_barrier
	ds_read_b32 v2, v1
	s_waitcnt lgkmcnt(0)
	s_barrier
	global_load_dwordx2 v[10:11], v1, s[22:23]
	s_lshl_b64 s[4:5], s[18:19], 3
	s_add_u32 s10, s16, s4
	s_addc_u32 s11, s17, s5
	s_add_i32 s8, s2, -1
	s_mulk_i32 s2, 0x300
	s_add_i32 s3, s2, s18
	s_sub_i32 s33, s26, s3
	s_addk_i32 s33, 0x300
	s_add_u32 s2, s18, s2
	v_readfirstlane_b32 s42, v2
	s_addc_u32 s3, s19, 0
	s_cmp_eq_u32 s42, s8
	v_pk_mov_b32 v[2:3], s[26:27], s[26:27] op_sel:[0,1]
	s_cselect_b64 s[22:23], -1, 0
	s_cmp_lg_u32 s42, s8
	s_mul_i32 s28, s42, 0x300
	s_mov_b32 s29, 0
	v_cmp_lt_u64_e32 vcc, s[2:3], v[2:3]
	s_cselect_b64 s[2:3], -1, 0
	s_or_b64 s[30:31], vcc, s[2:3]
	s_lshl_b64 s[8:9], s[28:29], 3
	s_add_u32 s12, s10, s8
	s_addc_u32 s13, s11, s9
	s_mov_b64 s[2:3], -1
	s_and_b64 vcc, exec, s[30:31]
	v_lshlrev_b32_e32 v1, 3, v0
	v_lshrrev_b32_e32 v12, 2, v0
	s_cbranch_vccz .LBB491_6
; %bb.5:
	v_mov_b32_e32 v3, s13
	v_add_co_u32_e32 v2, vcc, s12, v1
	v_addc_co_u32_e32 v3, vcc, 0, v3, vcc
	v_add_co_u32_e32 v4, vcc, 0x1000, v2
	v_addc_co_u32_e32 v5, vcc, 0, v3, vcc
	flat_load_dwordx2 v[6:7], v[2:3]
	flat_load_dwordx2 v[8:9], v[2:3] offset:1536
	flat_load_dwordx2 v[14:15], v[2:3] offset:3072
	;; [unrolled: 1-line block ×3, first 2 shown]
	v_add_u32_e32 v3, 0xc0, v0
	v_add_u32_e32 v4, 0x180, v0
	;; [unrolled: 1-line block ×3, first 2 shown]
	v_and_b32_e32 v2, 56, v12
	v_lshrrev_b32_e32 v3, 2, v3
	v_lshrrev_b32_e32 v4, 2, v4
	;; [unrolled: 1-line block ×3, first 2 shown]
	v_add_u32_e32 v2, v2, v1
	v_and_b32_e32 v3, 0x78, v3
	v_and_b32_e32 v4, 0xf8, v4
	;; [unrolled: 1-line block ×3, first 2 shown]
	v_add_u32_e32 v3, v3, v1
	v_add_u32_e32 v4, v4, v1
	;; [unrolled: 1-line block ×3, first 2 shown]
	s_mov_b64 s[2:3], 0
	s_waitcnt vmcnt(0) lgkmcnt(0)
	ds_write_b64 v2, v[6:7]
	ds_write_b64 v3, v[8:9] offset:1536
	ds_write_b64 v4, v[14:15] offset:3072
	;; [unrolled: 1-line block ×3, first 2 shown]
	s_waitcnt lgkmcnt(0)
	s_barrier
.LBB491_6:
	s_andn2_b64 vcc, exec, s[2:3]
	v_cmp_gt_u32_e64 s[2:3], s33, v0
	s_cbranch_vccnz .LBB491_16
; %bb.7:
                                        ; implicit-def: $vgpr2_vgpr3_vgpr4_vgpr5_vgpr6_vgpr7_vgpr8_vgpr9
	s_and_saveexec_b64 s[10:11], s[2:3]
	s_cbranch_execz .LBB491_9
; %bb.8:
	v_mov_b32_e32 v3, s13
	v_add_co_u32_e32 v2, vcc, s12, v1
	v_addc_co_u32_e32 v3, vcc, 0, v3, vcc
	flat_load_dwordx2 v[2:3], v[2:3]
.LBB491_9:
	s_or_b64 exec, exec, s[10:11]
	v_add_u32_e32 v13, 0xc0, v0
	v_cmp_gt_u32_e32 vcc, s33, v13
	s_and_saveexec_b64 s[2:3], vcc
	s_cbranch_execz .LBB491_11
; %bb.10:
	v_mov_b32_e32 v5, s13
	v_add_co_u32_e32 v4, vcc, s12, v1
	v_addc_co_u32_e32 v5, vcc, 0, v5, vcc
	flat_load_dwordx2 v[4:5], v[4:5] offset:1536
.LBB491_11:
	s_or_b64 exec, exec, s[2:3]
	v_add_u32_e32 v14, 0x180, v0
	v_cmp_gt_u32_e32 vcc, s33, v14
	s_and_saveexec_b64 s[2:3], vcc
	s_cbranch_execz .LBB491_13
; %bb.12:
	v_mov_b32_e32 v7, s13
	v_add_co_u32_e32 v6, vcc, s12, v1
	v_addc_co_u32_e32 v7, vcc, 0, v7, vcc
	flat_load_dwordx2 v[6:7], v[6:7] offset:3072
.LBB491_13:
	s_or_b64 exec, exec, s[2:3]
	v_add_u32_e32 v15, 0x240, v0
	v_cmp_gt_u32_e32 vcc, s33, v15
	s_and_saveexec_b64 s[2:3], vcc
	s_cbranch_execz .LBB491_15
; %bb.14:
	v_lshlrev_b32_e32 v8, 3, v15
	v_mov_b32_e32 v9, s13
	v_add_co_u32_e32 v8, vcc, s12, v8
	v_addc_co_u32_e32 v9, vcc, 0, v9, vcc
	flat_load_dwordx2 v[8:9], v[8:9]
.LBB491_15:
	s_or_b64 exec, exec, s[2:3]
	v_and_b32_e32 v12, 56, v12
	v_add_u32_e32 v12, v12, v1
	s_waitcnt vmcnt(0) lgkmcnt(0)
	ds_write_b64 v12, v[2:3]
	v_lshrrev_b32_e32 v2, 2, v13
	v_and_b32_e32 v2, 0x78, v2
	v_add_u32_e32 v2, v2, v1
	ds_write_b64 v2, v[4:5] offset:1536
	v_lshrrev_b32_e32 v2, 2, v14
	v_and_b32_e32 v2, 0xf8, v2
	v_add_u32_e32 v2, v2, v1
	ds_write_b64 v2, v[6:7] offset:3072
	;; [unrolled: 4-line block ×3, first 2 shown]
	s_waitcnt lgkmcnt(0)
	s_barrier
.LBB491_16:
	v_lshlrev_b32_e32 v22, 2, v0
	v_lshrrev_b32_e32 v12, 3, v0
	v_add_lshl_u32 v2, v12, v22, 3
	ds_read2_b64 v[6:9], v2 offset1:1
	ds_read2_b64 v[2:5], v2 offset0:2 offset1:3
	s_add_u32 s2, s6, s4
	s_addc_u32 s3, s7, s5
	s_add_u32 s2, s2, s8
	s_addc_u32 s3, s3, s9
	s_mov_b64 s[4:5], -1
	s_and_b64 vcc, exec, s[30:31]
	v_lshrrev_b32_e32 v13, 5, v0
	s_waitcnt lgkmcnt(0)
	s_barrier
	s_cbranch_vccz .LBB491_18
; %bb.17:
	v_mov_b32_e32 v16, s3
	v_add_co_u32_e32 v20, vcc, s2, v1
	global_load_dwordx2 v[14:15], v1, s[2:3]
	v_addc_co_u32_e32 v21, vcc, 0, v16, vcc
	v_add_co_u32_e32 v20, vcc, 0x1000, v20
	global_load_dwordx2 v[16:17], v1, s[2:3] offset:1536
	global_load_dwordx2 v[18:19], v1, s[2:3] offset:3072
	v_addc_co_u32_e32 v21, vcc, 0, v21, vcc
	global_load_dwordx2 v[20:21], v[20:21], off offset:512
	v_add_u32_e32 v24, 0xc0, v0
	v_add_u32_e32 v25, 0x180, v0
	;; [unrolled: 1-line block ×3, first 2 shown]
	v_and_b32_e32 v23, 4, v13
	v_lshrrev_b32_e32 v24, 5, v24
	v_lshrrev_b32_e32 v25, 5, v25
	;; [unrolled: 1-line block ×3, first 2 shown]
	v_add_u32_e32 v23, v23, v0
	v_and_b32_e32 v24, 12, v24
	v_and_b32_e32 v25, 28, v25
	;; [unrolled: 1-line block ×3, first 2 shown]
	v_add_u32_e32 v24, v24, v0
	v_add_u32_e32 v25, v25, v0
	;; [unrolled: 1-line block ×3, first 2 shown]
	s_mov_b64 s[4:5], 0
	s_waitcnt vmcnt(3)
	v_cmp_ne_u64_e32 vcc, 0, v[14:15]
	v_cndmask_b32_e64 v14, 0, 1, vcc
	s_waitcnt vmcnt(2)
	v_cmp_ne_u64_e32 vcc, 0, v[16:17]
	v_cndmask_b32_e64 v15, 0, 1, vcc
	;; [unrolled: 3-line block ×3, first 2 shown]
	s_waitcnt vmcnt(0)
	v_cmp_ne_u64_e32 vcc, 0, v[20:21]
	ds_write_b8 v23, v14
	ds_write_b8 v24, v15 offset:192
	ds_write_b8 v25, v16 offset:384
	v_cndmask_b32_e64 v14, 0, 1, vcc
	ds_write_b8 v26, v14 offset:576
	s_waitcnt lgkmcnt(0)
	s_barrier
.LBB491_18:
	s_andn2_b64 vcc, exec, s[4:5]
	s_cbranch_vccnz .LBB491_28
; %bb.19:
	v_cmp_gt_u32_e32 vcc, s33, v0
	v_mov_b32_e32 v14, 0
	v_mov_b32_e32 v15, 0
	s_and_saveexec_b64 s[4:5], vcc
	s_cbranch_execz .LBB491_21
; %bb.20:
	global_load_dwordx2 v[16:17], v1, s[2:3]
	s_waitcnt vmcnt(0)
	v_cmp_ne_u64_e32 vcc, 0, v[16:17]
	v_cndmask_b32_e64 v15, 0, 1, vcc
.LBB491_21:
	s_or_b64 exec, exec, s[4:5]
	v_add_u32_e32 v16, 0xc0, v0
	v_cmp_gt_u32_e32 vcc, s33, v16
	s_and_saveexec_b64 s[4:5], vcc
	s_cbranch_execz .LBB491_23
; %bb.22:
	global_load_dwordx2 v[18:19], v1, s[2:3] offset:1536
	s_waitcnt vmcnt(0)
	v_cmp_ne_u64_e32 vcc, 0, v[18:19]
	v_cndmask_b32_e64 v14, 0, 1, vcc
.LBB491_23:
	s_or_b64 exec, exec, s[4:5]
	v_add_u32_e32 v18, 0x180, v0
	v_cmp_gt_u32_e32 vcc, s33, v18
	v_mov_b32_e32 v17, 0
	v_mov_b32_e32 v19, 0
	s_and_saveexec_b64 s[4:5], vcc
	s_cbranch_execz .LBB491_25
; %bb.24:
	global_load_dwordx2 v[20:21], v1, s[2:3] offset:3072
	s_waitcnt vmcnt(0)
	v_cmp_ne_u64_e32 vcc, 0, v[20:21]
	v_cndmask_b32_e64 v19, 0, 1, vcc
.LBB491_25:
	s_or_b64 exec, exec, s[4:5]
	v_add_u32_e32 v20, 0x240, v0
	v_cmp_gt_u32_e32 vcc, s33, v20
	s_and_saveexec_b64 s[4:5], vcc
	s_cbranch_execz .LBB491_27
; %bb.26:
	v_lshlrev_b32_e32 v17, 3, v20
	global_load_dwordx2 v[24:25], v17, s[2:3]
	s_waitcnt vmcnt(0)
	v_cmp_ne_u64_e32 vcc, 0, v[24:25]
	v_cndmask_b32_e64 v17, 0, 1, vcc
.LBB491_27:
	s_or_b64 exec, exec, s[4:5]
	v_and_b32_e32 v13, 4, v13
	v_add_u32_e32 v13, v13, v0
	ds_write_b8 v13, v15
	v_lshrrev_b32_e32 v13, 5, v16
	v_and_b32_e32 v13, 12, v13
	v_add_u32_e32 v13, v13, v0
	ds_write_b8 v13, v14 offset:192
	v_lshrrev_b32_e32 v13, 5, v18
	v_and_b32_e32 v13, 28, v13
	v_add_u32_e32 v13, v13, v0
	ds_write_b8 v13, v19 offset:384
	;; [unrolled: 4-line block ×3, first 2 shown]
	s_waitcnt lgkmcnt(0)
	s_barrier
.LBB491_28:
	v_and_b32_e32 v12, 28, v12
	v_add_u32_e32 v12, v12, v22
	ds_read_b32 v24, v12
	s_cmp_lg_u32 s42, 0
	v_lshrrev_b32_e32 v27, 6, v0
	s_waitcnt lgkmcnt(0)
	s_barrier
	v_lshrrev_b32_e32 v23, 24, v24
	v_bfe_u32 v25, v24, 16, 8
	v_add_u32_sdwa v12, v24, v24 dst_sel:DWORD dst_unused:UNUSED_PAD src0_sel:BYTE_1 src1_sel:BYTE_0
	v_add3_u32 v28, v12, v25, v23
	v_mbcnt_lo_u32_b32 v12, -1, 0
	v_mbcnt_hi_u32_b32 v26, -1, v12
	v_and_b32_e32 v12, 15, v26
	v_cmp_eq_u32_e64 s[14:15], 0, v12
	v_cmp_lt_u32_e64 s[12:13], 1, v12
	v_cmp_lt_u32_e64 s[10:11], 3, v12
	;; [unrolled: 1-line block ×3, first 2 shown]
	v_and_b32_e32 v12, 16, v26
	v_cmp_eq_u32_e64 s[4:5], 0, v12
	v_and_b32_e32 v12, 0xc0, v0
	v_min_u32_e32 v12, 0x80, v12
	v_or_b32_e32 v12, 63, v12
	v_cmp_lt_u32_e64 s[2:3], 31, v26
	v_cmp_eq_u32_e64 s[6:7], v12, v0
	s_cbranch_scc0 .LBB491_59
; %bb.29:
	v_mov_b32_dpp v12, v28 row_shr:1 row_mask:0xf bank_mask:0xf
	v_cndmask_b32_e64 v12, v12, 0, s[14:15]
	v_add_u32_e32 v12, v12, v28
	s_nop 1
	v_mov_b32_dpp v13, v12 row_shr:2 row_mask:0xf bank_mask:0xf
	v_cndmask_b32_e64 v13, 0, v13, s[12:13]
	v_add_u32_e32 v12, v12, v13
	s_nop 1
	;; [unrolled: 4-line block ×4, first 2 shown]
	v_mov_b32_dpp v13, v12 row_bcast:15 row_mask:0xf bank_mask:0xf
	v_cndmask_b32_e64 v13, v13, 0, s[4:5]
	v_add_u32_e32 v12, v12, v13
	s_nop 1
	v_mov_b32_dpp v13, v12 row_bcast:31 row_mask:0xf bank_mask:0xf
	v_cndmask_b32_e64 v13, 0, v13, s[2:3]
	v_add_u32_e32 v12, v12, v13
	s_and_saveexec_b64 s[16:17], s[6:7]
	s_cbranch_execz .LBB491_31
; %bb.30:
	v_lshlrev_b32_e32 v13, 2, v27
	ds_write_b32 v13, v12
.LBB491_31:
	s_or_b64 exec, exec, s[16:17]
	v_cmp_gt_u32_e32 vcc, 3, v0
	s_waitcnt lgkmcnt(0)
	s_barrier
	s_and_saveexec_b64 s[16:17], vcc
	s_cbranch_execz .LBB491_33
; %bb.32:
	ds_read_b32 v13, v22
	v_and_b32_e32 v14, 3, v26
	v_cmp_ne_u32_e32 vcc, 0, v14
	s_waitcnt lgkmcnt(0)
	v_mov_b32_dpp v15, v13 row_shr:1 row_mask:0xf bank_mask:0xf
	v_cndmask_b32_e32 v15, 0, v15, vcc
	v_add_u32_e32 v13, v15, v13
	v_cmp_lt_u32_e32 vcc, 1, v14
	s_nop 0
	v_mov_b32_dpp v15, v13 row_shr:2 row_mask:0xf bank_mask:0xf
	v_cndmask_b32_e32 v14, 0, v15, vcc
	v_add_u32_e32 v13, v13, v14
	ds_write_b32 v22, v13
.LBB491_33:
	s_or_b64 exec, exec, s[16:17]
	v_cmp_gt_u32_e32 vcc, 64, v0
	v_cmp_lt_u32_e64 s[16:17], 63, v0
	s_waitcnt lgkmcnt(0)
	s_barrier
	s_waitcnt lgkmcnt(0)
                                        ; implicit-def: $vgpr29
	s_and_saveexec_b64 s[36:37], s[16:17]
	s_cbranch_execz .LBB491_35
; %bb.34:
	v_lshl_add_u32 v13, v27, 2, -4
	ds_read_b32 v29, v13
	s_waitcnt lgkmcnt(0)
	v_add_u32_e32 v12, v29, v12
.LBB491_35:
	s_or_b64 exec, exec, s[36:37]
	v_add_u32_e32 v13, -1, v26
	v_and_b32_e32 v14, 64, v26
	v_cmp_lt_i32_e64 s[16:17], v13, v14
	v_cndmask_b32_e64 v13, v13, v26, s[16:17]
	v_lshlrev_b32_e32 v13, 2, v13
	ds_bpermute_b32 v30, v13, v12
	v_cmp_eq_u32_e64 s[16:17], 0, v26
	s_and_saveexec_b64 s[36:37], vcc
	s_cbranch_execz .LBB491_58
; %bb.36:
	v_mov_b32_e32 v21, 0
	ds_read_b32 v12, v21 offset:8
	s_and_saveexec_b64 s[38:39], s[16:17]
	s_cbranch_execz .LBB491_38
; %bb.37:
	s_add_i32 s40, s42, 64
	s_mov_b32 s41, 0
	s_lshl_b64 s[40:41], s[40:41], 3
	s_add_u32 s40, s34, s40
	v_mov_b32_e32 v13, 1
	s_addc_u32 s41, s35, s41
	s_waitcnt lgkmcnt(0)
	global_store_dwordx2 v21, v[12:13], s[40:41]
.LBB491_38:
	s_or_b64 exec, exec, s[38:39]
	v_xad_u32 v14, v26, -1, s42
	v_add_u32_e32 v20, 64, v14
	v_lshlrev_b64 v[16:17], 3, v[20:21]
	v_mov_b32_e32 v13, s35
	v_add_co_u32_e32 v16, vcc, s34, v16
	v_addc_co_u32_e32 v17, vcc, v13, v17, vcc
	global_load_dwordx2 v[18:19], v[16:17], off glc
	s_waitcnt vmcnt(0)
	v_cmp_eq_u16_sdwa s[40:41], v19, v21 src0_sel:BYTE_0 src1_sel:DWORD
	s_and_saveexec_b64 s[38:39], s[40:41]
	s_cbranch_execz .LBB491_44
; %bb.39:
	s_mov_b32 s29, 1
	s_mov_b64 s[40:41], 0
	v_mov_b32_e32 v13, 0
.LBB491_40:                             ; =>This Loop Header: Depth=1
                                        ;     Child Loop BB491_41 Depth 2
	s_max_u32 s43, s29, 1
.LBB491_41:                             ;   Parent Loop BB491_40 Depth=1
                                        ; =>  This Inner Loop Header: Depth=2
	s_add_i32 s43, s43, -1
	s_cmp_eq_u32 s43, 0
	s_sleep 1
	s_cbranch_scc0 .LBB491_41
; %bb.42:                               ;   in Loop: Header=BB491_40 Depth=1
	global_load_dwordx2 v[18:19], v[16:17], off glc
	s_cmp_lt_u32 s29, 32
	s_cselect_b64 s[44:45], -1, 0
	s_cmp_lg_u64 s[44:45], 0
	s_addc_u32 s29, s29, 0
	s_waitcnt vmcnt(0)
	v_cmp_ne_u16_sdwa s[44:45], v19, v13 src0_sel:BYTE_0 src1_sel:DWORD
	s_or_b64 s[40:41], s[44:45], s[40:41]
	s_andn2_b64 exec, exec, s[40:41]
	s_cbranch_execnz .LBB491_40
; %bb.43:
	s_or_b64 exec, exec, s[40:41]
.LBB491_44:
	s_or_b64 exec, exec, s[38:39]
	v_and_b32_e32 v32, 63, v26
	v_mov_b32_e32 v31, 2
	v_cmp_ne_u32_e32 vcc, 63, v32
	v_cmp_eq_u16_sdwa s[38:39], v19, v31 src0_sel:BYTE_0 src1_sel:DWORD
	v_lshlrev_b64 v[16:17], v26, -1
	v_addc_co_u32_e32 v20, vcc, 0, v26, vcc
	v_and_b32_e32 v13, s39, v17
	v_lshlrev_b32_e32 v33, 2, v20
	v_or_b32_e32 v13, 0x80000000, v13
	ds_bpermute_b32 v20, v33, v18
	v_and_b32_e32 v15, s38, v16
	v_ffbl_b32_e32 v13, v13
	v_add_u32_e32 v13, 32, v13
	v_ffbl_b32_e32 v15, v15
	v_min_u32_e32 v13, v15, v13
	v_cmp_lt_u32_e32 vcc, v32, v13
	s_waitcnt lgkmcnt(0)
	v_cndmask_b32_e32 v15, 0, v20, vcc
	v_cmp_gt_u32_e32 vcc, 62, v32
	v_add_u32_e32 v15, v15, v18
	v_cndmask_b32_e64 v18, 0, 1, vcc
	v_lshlrev_b32_e32 v18, 1, v18
	v_add_lshl_u32 v34, v18, v26, 2
	ds_bpermute_b32 v18, v34, v15
	v_add_u32_e32 v35, 2, v32
	v_cmp_le_u32_e32 vcc, v35, v13
	v_add_u32_e32 v37, 4, v32
	v_add_u32_e32 v39, 8, v32
	s_waitcnt lgkmcnt(0)
	v_cndmask_b32_e32 v18, 0, v18, vcc
	v_cmp_gt_u32_e32 vcc, 60, v32
	v_add_u32_e32 v15, v15, v18
	v_cndmask_b32_e64 v18, 0, 1, vcc
	v_lshlrev_b32_e32 v18, 2, v18
	v_add_lshl_u32 v36, v18, v26, 2
	ds_bpermute_b32 v18, v36, v15
	v_cmp_le_u32_e32 vcc, v37, v13
	v_add_u32_e32 v41, 16, v32
	v_add_u32_e32 v43, 32, v32
	s_waitcnt lgkmcnt(0)
	v_cndmask_b32_e32 v18, 0, v18, vcc
	v_cmp_gt_u32_e32 vcc, 56, v32
	v_add_u32_e32 v15, v15, v18
	v_cndmask_b32_e64 v18, 0, 1, vcc
	v_lshlrev_b32_e32 v18, 3, v18
	v_add_lshl_u32 v38, v18, v26, 2
	ds_bpermute_b32 v18, v38, v15
	v_cmp_le_u32_e32 vcc, v39, v13
	s_waitcnt lgkmcnt(0)
	v_cndmask_b32_e32 v18, 0, v18, vcc
	v_cmp_gt_u32_e32 vcc, 48, v32
	v_add_u32_e32 v15, v15, v18
	v_cndmask_b32_e64 v18, 0, 1, vcc
	v_lshlrev_b32_e32 v18, 4, v18
	v_add_lshl_u32 v40, v18, v26, 2
	ds_bpermute_b32 v18, v40, v15
	v_cmp_le_u32_e32 vcc, v41, v13
	;; [unrolled: 9-line block ×3, first 2 shown]
	s_waitcnt lgkmcnt(0)
	v_cndmask_b32_e32 v13, 0, v18, vcc
	v_add_u32_e32 v18, v15, v13
	v_mov_b32_e32 v15, 0
	s_branch .LBB491_46
.LBB491_45:                             ;   in Loop: Header=BB491_46 Depth=1
	s_or_b64 exec, exec, s[38:39]
	v_cmp_eq_u16_sdwa s[38:39], v19, v31 src0_sel:BYTE_0 src1_sel:DWORD
	v_and_b32_e32 v20, s39, v17
	v_or_b32_e32 v20, 0x80000000, v20
	ds_bpermute_b32 v44, v33, v18
	v_and_b32_e32 v21, s38, v16
	v_ffbl_b32_e32 v20, v20
	v_add_u32_e32 v20, 32, v20
	v_ffbl_b32_e32 v21, v21
	v_min_u32_e32 v20, v21, v20
	v_cmp_lt_u32_e32 vcc, v32, v20
	s_waitcnt lgkmcnt(0)
	v_cndmask_b32_e32 v21, 0, v44, vcc
	v_add_u32_e32 v18, v21, v18
	ds_bpermute_b32 v21, v34, v18
	v_cmp_le_u32_e32 vcc, v35, v20
	v_subrev_u32_e32 v14, 64, v14
	s_waitcnt lgkmcnt(0)
	v_cndmask_b32_e32 v21, 0, v21, vcc
	v_add_u32_e32 v18, v18, v21
	ds_bpermute_b32 v21, v36, v18
	v_cmp_le_u32_e32 vcc, v37, v20
	s_waitcnt lgkmcnt(0)
	v_cndmask_b32_e32 v21, 0, v21, vcc
	v_add_u32_e32 v18, v18, v21
	ds_bpermute_b32 v21, v38, v18
	v_cmp_le_u32_e32 vcc, v39, v20
	;; [unrolled: 5-line block ×4, first 2 shown]
	s_waitcnt lgkmcnt(0)
	v_cndmask_b32_e32 v20, 0, v21, vcc
	v_add3_u32 v18, v20, v13, v18
.LBB491_46:                             ; =>This Loop Header: Depth=1
                                        ;     Child Loop BB491_49 Depth 2
                                        ;       Child Loop BB491_50 Depth 3
	v_cmp_ne_u16_sdwa s[38:39], v19, v31 src0_sel:BYTE_0 src1_sel:DWORD
	v_cndmask_b32_e64 v13, 0, 1, s[38:39]
	;;#ASMSTART
	;;#ASMEND
	v_cmp_ne_u32_e32 vcc, 0, v13
	s_cmp_lg_u64 vcc, exec
	v_mov_b32_e32 v13, v18
	s_cbranch_scc1 .LBB491_53
; %bb.47:                               ;   in Loop: Header=BB491_46 Depth=1
	v_lshlrev_b64 v[18:19], 3, v[14:15]
	v_mov_b32_e32 v21, s35
	v_add_co_u32_e32 v20, vcc, s34, v18
	v_addc_co_u32_e32 v21, vcc, v21, v19, vcc
	global_load_dwordx2 v[18:19], v[20:21], off glc
	s_waitcnt vmcnt(0)
	v_cmp_eq_u16_sdwa s[40:41], v19, v15 src0_sel:BYTE_0 src1_sel:DWORD
	s_and_saveexec_b64 s[38:39], s[40:41]
	s_cbranch_execz .LBB491_45
; %bb.48:                               ;   in Loop: Header=BB491_46 Depth=1
	s_mov_b32 s29, 1
	s_mov_b64 s[40:41], 0
.LBB491_49:                             ;   Parent Loop BB491_46 Depth=1
                                        ; =>  This Loop Header: Depth=2
                                        ;       Child Loop BB491_50 Depth 3
	s_max_u32 s43, s29, 1
.LBB491_50:                             ;   Parent Loop BB491_46 Depth=1
                                        ;     Parent Loop BB491_49 Depth=2
                                        ; =>    This Inner Loop Header: Depth=3
	s_add_i32 s43, s43, -1
	s_cmp_eq_u32 s43, 0
	s_sleep 1
	s_cbranch_scc0 .LBB491_50
; %bb.51:                               ;   in Loop: Header=BB491_49 Depth=2
	global_load_dwordx2 v[18:19], v[20:21], off glc
	s_cmp_lt_u32 s29, 32
	s_cselect_b64 s[44:45], -1, 0
	s_cmp_lg_u64 s[44:45], 0
	s_addc_u32 s29, s29, 0
	s_waitcnt vmcnt(0)
	v_cmp_ne_u16_sdwa s[44:45], v19, v15 src0_sel:BYTE_0 src1_sel:DWORD
	s_or_b64 s[40:41], s[44:45], s[40:41]
	s_andn2_b64 exec, exec, s[40:41]
	s_cbranch_execnz .LBB491_49
; %bb.52:                               ;   in Loop: Header=BB491_46 Depth=1
	s_or_b64 exec, exec, s[40:41]
	s_branch .LBB491_45
.LBB491_53:                             ;   in Loop: Header=BB491_46 Depth=1
                                        ; implicit-def: $vgpr18
                                        ; implicit-def: $vgpr19
	s_cbranch_execz .LBB491_46
; %bb.54:
	s_and_saveexec_b64 s[38:39], s[16:17]
	s_cbranch_execz .LBB491_56
; %bb.55:
	s_add_i32 s40, s42, 64
	s_mov_b32 s41, 0
	s_lshl_b64 s[40:41], s[40:41], 3
	s_add_u32 s40, s34, s40
	v_add_u32_e32 v14, v13, v12
	v_mov_b32_e32 v15, 2
	s_addc_u32 s41, s35, s41
	v_mov_b32_e32 v16, 0
	global_store_dwordx2 v16, v[14:15], s[40:41]
	ds_write_b64 v16, v[12:13] offset:6336
.LBB491_56:
	s_or_b64 exec, exec, s[38:39]
	s_and_b64 exec, exec, s[0:1]
	s_cbranch_execz .LBB491_58
; %bb.57:
	v_mov_b32_e32 v12, 0
	ds_write_b32 v12, v13 offset:8
.LBB491_58:
	s_or_b64 exec, exec, s[36:37]
	v_mov_b32_e32 v12, 0
	s_waitcnt lgkmcnt(0)
	s_barrier
	ds_read_b32 v13, v12 offset:8
	v_cndmask_b32_e64 v14, v30, v29, s[16:17]
	v_cndmask_b32_e64 v14, v14, 0, s[0:1]
	s_waitcnt lgkmcnt(0)
	s_barrier
	v_add_u32_e32 v16, v13, v14
	ds_read_b64 v[12:13], v12 offset:6336
	v_add_u32_sdwa v17, v16, v24 dst_sel:DWORD dst_unused:UNUSED_PAD src0_sel:DWORD src1_sel:BYTE_0
	v_add_u32_sdwa v15, v17, v24 dst_sel:DWORD dst_unused:UNUSED_PAD src0_sel:DWORD src1_sel:BYTE_1
	v_add_u32_e32 v14, v15, v25
	s_branch .LBB491_69
.LBB491_59:
                                        ; implicit-def: $vgpr13
                                        ; implicit-def: $vgpr14
                                        ; implicit-def: $vgpr15
                                        ; implicit-def: $vgpr17
                                        ; implicit-def: $vgpr16
	s_cbranch_execz .LBB491_69
; %bb.60:
	s_waitcnt lgkmcnt(0)
	v_mov_b32_dpp v12, v28 row_shr:1 row_mask:0xf bank_mask:0xf
	v_cndmask_b32_e64 v12, v12, 0, s[14:15]
	v_add_u32_e32 v12, v12, v28
	s_nop 1
	v_mov_b32_dpp v13, v12 row_shr:2 row_mask:0xf bank_mask:0xf
	v_cndmask_b32_e64 v13, 0, v13, s[12:13]
	v_add_u32_e32 v12, v12, v13
	s_nop 1
	;; [unrolled: 4-line block ×4, first 2 shown]
	v_mov_b32_dpp v13, v12 row_bcast:15 row_mask:0xf bank_mask:0xf
	v_cndmask_b32_e64 v13, v13, 0, s[4:5]
	v_add_u32_e32 v12, v12, v13
	s_nop 1
	v_mov_b32_dpp v13, v12 row_bcast:31 row_mask:0xf bank_mask:0xf
	v_cndmask_b32_e64 v13, 0, v13, s[2:3]
	v_add_u32_e32 v12, v12, v13
	s_and_saveexec_b64 s[2:3], s[6:7]
	s_cbranch_execz .LBB491_62
; %bb.61:
	v_lshlrev_b32_e32 v13, 2, v27
	ds_write_b32 v13, v12
.LBB491_62:
	s_or_b64 exec, exec, s[2:3]
	v_cmp_gt_u32_e32 vcc, 3, v0
	s_waitcnt lgkmcnt(0)
	s_barrier
	s_and_saveexec_b64 s[2:3], vcc
	s_cbranch_execz .LBB491_64
; %bb.63:
	ds_read_b32 v13, v22
	v_and_b32_e32 v14, 3, v26
	v_cmp_ne_u32_e32 vcc, 0, v14
	s_waitcnt lgkmcnt(0)
	v_mov_b32_dpp v15, v13 row_shr:1 row_mask:0xf bank_mask:0xf
	v_cndmask_b32_e32 v15, 0, v15, vcc
	v_add_u32_e32 v13, v15, v13
	v_cmp_lt_u32_e32 vcc, 1, v14
	s_nop 0
	v_mov_b32_dpp v15, v13 row_shr:2 row_mask:0xf bank_mask:0xf
	v_cndmask_b32_e32 v14, 0, v15, vcc
	v_add_u32_e32 v13, v13, v14
	ds_write_b32 v22, v13
.LBB491_64:
	s_or_b64 exec, exec, s[2:3]
	v_cmp_lt_u32_e32 vcc, 63, v0
	v_mov_b32_e32 v13, 0
	v_mov_b32_e32 v14, 0
	s_waitcnt lgkmcnt(0)
	s_barrier
	s_and_saveexec_b64 s[2:3], vcc
	s_cbranch_execz .LBB491_66
; %bb.65:
	v_lshl_add_u32 v14, v27, 2, -4
	ds_read_b32 v14, v14
.LBB491_66:
	s_or_b64 exec, exec, s[2:3]
	v_add_u32_e32 v15, -1, v26
	v_and_b32_e32 v16, 64, v26
	v_cmp_lt_i32_e32 vcc, v15, v16
	v_cndmask_b32_e32 v15, v15, v26, vcc
	s_waitcnt lgkmcnt(0)
	v_add_u32_e32 v12, v14, v12
	v_lshlrev_b32_e32 v15, 2, v15
	ds_bpermute_b32 v15, v15, v12
	ds_read_b32 v12, v13 offset:8
	s_and_saveexec_b64 s[2:3], s[0:1]
	s_cbranch_execz .LBB491_68
; %bb.67:
	v_mov_b32_e32 v16, 0
	v_mov_b32_e32 v13, 2
	s_waitcnt lgkmcnt(0)
	global_store_dwordx2 v16, v[12:13], s[34:35] offset:512
.LBB491_68:
	s_or_b64 exec, exec, s[2:3]
	v_cmp_eq_u32_e32 vcc, 0, v26
	s_waitcnt lgkmcnt(1)
	v_cndmask_b32_e32 v14, v15, v14, vcc
	v_cndmask_b32_e64 v16, v14, 0, s[0:1]
	v_add_u32_sdwa v17, v16, v24 dst_sel:DWORD dst_unused:UNUSED_PAD src0_sel:DWORD src1_sel:BYTE_0
	v_add_u32_sdwa v15, v17, v24 dst_sel:DWORD dst_unused:UNUSED_PAD src0_sel:DWORD src1_sel:BYTE_1
	v_mov_b32_e32 v13, 0
	v_add_u32_e32 v14, v15, v25
	s_waitcnt lgkmcnt(0)
	s_barrier
.LBB491_69:
	s_waitcnt lgkmcnt(0)
	v_add_u32_e32 v19, v12, v22
	v_sub_u32_e32 v16, v16, v13
	v_and_b32_e32 v21, 1, v24
	v_sub_u32_e32 v20, v19, v16
	v_cmp_eq_u32_e32 vcc, 1, v21
	v_cndmask_b32_e32 v16, v20, v16, vcc
	v_lshlrev_b32_e32 v16, 3, v16
	v_lshrrev_b32_e32 v18, 8, v24
	ds_write_b64 v16, v[6:7]
	v_sub_u32_e32 v6, v17, v13
	v_sub_u32_e32 v7, v19, v6
	v_and_b32_e32 v16, 1, v18
	v_add_u32_e32 v7, 1, v7
	v_cmp_eq_u32_e32 vcc, 1, v16
	v_cndmask_b32_e32 v6, v7, v6, vcc
	v_lshlrev_b32_e32 v6, 3, v6
	ds_write_b64 v6, v[8:9]
	v_sub_u32_e32 v6, v15, v13
	v_mov_b32_e32 v8, 1
	v_sub_u32_e32 v7, v19, v6
	v_and_b32_sdwa v8, v8, v24 dst_sel:DWORD dst_unused:UNUSED_PAD src0_sel:DWORD src1_sel:WORD_1
	v_add_u32_e32 v7, 2, v7
	v_cmp_eq_u32_e32 vcc, 1, v8
	v_cndmask_b32_e32 v6, v7, v6, vcc
	v_lshlrev_b32_e32 v6, 3, v6
	ds_write_b64 v6, v[2:3]
	v_sub_u32_e32 v2, v14, v13
	v_sub_u32_e32 v3, v19, v2
	v_and_b32_e32 v6, 1, v23
	v_add_u32_e32 v3, 3, v3
	v_cmp_eq_u32_e32 vcc, 1, v6
	v_cndmask_b32_e32 v2, v3, v2, vcc
	s_add_u32 s2, s18, s28
	v_lshlrev_b32_e32 v2, 3, v2
	s_addc_u32 s3, s19, 0
	ds_write_b64 v2, v[4:5]
	s_waitcnt lgkmcnt(0)
	s_barrier
	ds_read2st64_b64 v[6:9], v1 offset1:3
	ds_read2st64_b64 v[2:5], v1 offset0:6 offset1:9
	s_waitcnt vmcnt(0)
	v_add_co_u32_e32 v1, vcc, v10, v13
	s_sub_u32 s2, s26, s2
	v_addc_co_u32_e32 v13, vcc, 0, v11, vcc
	s_subb_u32 s3, s27, s3
	v_mov_b32_e32 v10, s3
	v_add_co_u32_e32 v11, vcc, s2, v12
	v_addc_co_u32_e32 v10, vcc, 0, v10, vcc
	v_add_co_u32_e64 v15, s[2:3], v11, v1
	v_add_u32_e32 v18, 0xc0, v0
	v_add_u32_e32 v17, 0x180, v0
	;; [unrolled: 1-line block ×3, first 2 shown]
	s_andn2_b64 vcc, exec, s[30:31]
	v_addc_co_u32_e64 v16, s[2:3], v10, v13, s[2:3]
	s_cbranch_vccnz .LBB491_90
; %bb.70:
	v_cmp_ge_u32_e32 vcc, v0, v12
                                        ; implicit-def: $vgpr10_vgpr11
	s_and_saveexec_b64 s[2:3], vcc
	s_xor_b64 s[2:3], exec, s[2:3]
; %bb.71:
	v_not_b32_e32 v10, v0
	v_ashrrev_i32_e32 v11, 31, v10
	v_add_co_u32_e32 v10, vcc, v15, v10
	v_addc_co_u32_e32 v11, vcc, v16, v11, vcc
; %bb.72:
	s_andn2_saveexec_b64 s[2:3], s[2:3]
; %bb.73:
	v_add_co_u32_e32 v10, vcc, v1, v0
	v_addc_co_u32_e32 v11, vcc, 0, v13, vcc
; %bb.74:
	s_or_b64 exec, exec, s[2:3]
	v_lshlrev_b64 v[10:11], 3, v[10:11]
	v_mov_b32_e32 v19, s25
	v_add_co_u32_e32 v10, vcc, s24, v10
	v_addc_co_u32_e32 v11, vcc, v19, v11, vcc
	v_cmp_ge_u32_e32 vcc, v18, v12
	s_waitcnt lgkmcnt(1)
	global_store_dwordx2 v[10:11], v[6:7], off
                                        ; implicit-def: $vgpr10_vgpr11
	s_and_saveexec_b64 s[2:3], vcc
	s_xor_b64 s[2:3], exec, s[2:3]
; %bb.75:
	v_sub_u32_e32 v10, 0xffffff3f, v0
	v_ashrrev_i32_e32 v11, 31, v10
	v_add_co_u32_e32 v10, vcc, v15, v10
	v_addc_co_u32_e32 v11, vcc, v16, v11, vcc
; %bb.76:
	s_andn2_saveexec_b64 s[2:3], s[2:3]
; %bb.77:
	v_add_co_u32_e32 v10, vcc, v1, v18
	v_addc_co_u32_e32 v11, vcc, 0, v13, vcc
; %bb.78:
	s_or_b64 exec, exec, s[2:3]
	v_lshlrev_b64 v[10:11], 3, v[10:11]
	v_mov_b32_e32 v19, s25
	v_add_co_u32_e32 v10, vcc, s24, v10
	v_addc_co_u32_e32 v11, vcc, v19, v11, vcc
	v_cmp_ge_u32_e32 vcc, v17, v12
	global_store_dwordx2 v[10:11], v[8:9], off
                                        ; implicit-def: $vgpr10_vgpr11
	s_and_saveexec_b64 s[2:3], vcc
	s_xor_b64 s[2:3], exec, s[2:3]
; %bb.79:
	v_sub_u32_e32 v10, 0xfffffe7f, v0
	v_ashrrev_i32_e32 v11, 31, v10
	v_add_co_u32_e32 v10, vcc, v15, v10
	v_addc_co_u32_e32 v11, vcc, v16, v11, vcc
; %bb.80:
	s_andn2_saveexec_b64 s[2:3], s[2:3]
; %bb.81:
	v_add_co_u32_e32 v10, vcc, v1, v17
	v_addc_co_u32_e32 v11, vcc, 0, v13, vcc
; %bb.82:
	s_or_b64 exec, exec, s[2:3]
	v_lshlrev_b64 v[10:11], 3, v[10:11]
	v_mov_b32_e32 v19, s25
	v_add_co_u32_e32 v10, vcc, s24, v10
	v_addc_co_u32_e32 v11, vcc, v19, v11, vcc
	v_cmp_ge_u32_e32 vcc, v14, v12
	s_waitcnt lgkmcnt(0)
	global_store_dwordx2 v[10:11], v[2:3], off
                                        ; implicit-def: $vgpr10_vgpr11
	s_and_saveexec_b64 s[2:3], vcc
	s_xor_b64 s[2:3], exec, s[2:3]
; %bb.83:
	v_sub_u32_e32 v10, 0xfffffdbf, v0
	v_ashrrev_i32_e32 v11, 31, v10
	v_add_co_u32_e32 v10, vcc, v15, v10
	v_addc_co_u32_e32 v11, vcc, v16, v11, vcc
; %bb.84:
	s_andn2_saveexec_b64 s[2:3], s[2:3]
; %bb.85:
	v_add_co_u32_e32 v10, vcc, v1, v14
	v_addc_co_u32_e32 v11, vcc, 0, v13, vcc
; %bb.86:
	s_or_b64 exec, exec, s[2:3]
	s_mov_b64 s[2:3], -1
.LBB491_87:
	s_and_saveexec_b64 s[4:5], s[2:3]
	s_cbranch_execz .LBB491_100
.LBB491_88:
	s_waitcnt lgkmcnt(0)
	v_lshlrev_b64 v[2:3], 3, v[10:11]
	v_mov_b32_e32 v0, s25
	v_add_co_u32_e32 v2, vcc, s24, v2
	v_addc_co_u32_e32 v3, vcc, v0, v3, vcc
	global_store_dwordx2 v[2:3], v[4:5], off
	s_or_b64 exec, exec, s[4:5]
	s_and_b64 s[0:1], s[0:1], s[22:23]
	s_and_saveexec_b64 s[2:3], s[0:1]
	s_cbranch_execnz .LBB491_101
.LBB491_89:
	s_endpgm
.LBB491_90:
	s_mov_b64 s[2:3], 0
                                        ; implicit-def: $vgpr10_vgpr11
	s_cbranch_execz .LBB491_87
; %bb.91:
	v_cmp_gt_u32_e32 vcc, s33, v0
	s_and_saveexec_b64 s[4:5], vcc
	s_cbranch_execz .LBB491_102
; %bb.92:
	v_cmp_ge_u32_e32 vcc, v0, v12
                                        ; implicit-def: $vgpr10_vgpr11
	s_and_saveexec_b64 s[6:7], vcc
	s_xor_b64 s[6:7], exec, s[6:7]
; %bb.93:
	v_not_b32_e32 v10, v0
	v_ashrrev_i32_e32 v11, 31, v10
	v_add_co_u32_e32 v10, vcc, v15, v10
	v_addc_co_u32_e32 v11, vcc, v16, v11, vcc
; %bb.94:
	s_andn2_saveexec_b64 s[6:7], s[6:7]
; %bb.95:
	v_add_co_u32_e32 v10, vcc, v1, v0
	v_addc_co_u32_e32 v11, vcc, 0, v13, vcc
; %bb.96:
	s_or_b64 exec, exec, s[6:7]
	v_lshlrev_b64 v[10:11], 3, v[10:11]
	v_mov_b32_e32 v19, s25
	v_add_co_u32_e32 v10, vcc, s24, v10
	v_addc_co_u32_e32 v11, vcc, v19, v11, vcc
	s_waitcnt lgkmcnt(1)
	global_store_dwordx2 v[10:11], v[6:7], off
	s_or_b64 exec, exec, s[4:5]
	v_cmp_gt_u32_e32 vcc, s33, v18
	s_and_saveexec_b64 s[4:5], vcc
	s_cbranch_execnz .LBB491_103
.LBB491_97:
	s_or_b64 exec, exec, s[4:5]
	v_cmp_gt_u32_e32 vcc, s33, v17
	s_and_saveexec_b64 s[4:5], vcc
	s_cbranch_execnz .LBB491_108
.LBB491_98:
	s_or_b64 exec, exec, s[4:5]
	v_cmp_gt_u32_e32 vcc, s33, v14
                                        ; implicit-def: $vgpr10_vgpr11
	s_and_saveexec_b64 s[4:5], vcc
	s_cbranch_execnz .LBB491_113
.LBB491_99:
	s_or_b64 exec, exec, s[4:5]
	s_and_saveexec_b64 s[4:5], s[2:3]
	s_cbranch_execnz .LBB491_88
.LBB491_100:
	s_or_b64 exec, exec, s[4:5]
	s_and_b64 s[0:1], s[0:1], s[22:23]
	s_and_saveexec_b64 s[2:3], s[0:1]
	s_cbranch_execz .LBB491_89
.LBB491_101:
	v_add_co_u32_e32 v0, vcc, v1, v12
	s_waitcnt lgkmcnt(0)
	v_mov_b32_e32 v2, 0
	v_addc_co_u32_e32 v1, vcc, 0, v13, vcc
	global_store_dwordx2 v2, v[0:1], s[20:21]
	s_endpgm
.LBB491_102:
	s_or_b64 exec, exec, s[4:5]
	v_cmp_gt_u32_e32 vcc, s33, v18
	s_and_saveexec_b64 s[4:5], vcc
	s_cbranch_execz .LBB491_97
.LBB491_103:
	v_cmp_ge_u32_e32 vcc, v18, v12
                                        ; implicit-def: $vgpr6_vgpr7
	s_and_saveexec_b64 s[6:7], vcc
	s_xor_b64 s[6:7], exec, s[6:7]
	s_cbranch_execz .LBB491_105
; %bb.104:
	s_waitcnt lgkmcnt(1)
	v_sub_u32_e32 v6, 0xffffff3f, v0
	v_ashrrev_i32_e32 v7, 31, v6
	v_add_co_u32_e32 v6, vcc, v15, v6
	v_addc_co_u32_e32 v7, vcc, v16, v7, vcc
                                        ; implicit-def: $vgpr18
.LBB491_105:
	s_andn2_saveexec_b64 s[6:7], s[6:7]
	s_cbranch_execz .LBB491_107
; %bb.106:
	s_waitcnt lgkmcnt(1)
	v_add_co_u32_e32 v6, vcc, v1, v18
	v_addc_co_u32_e32 v7, vcc, 0, v13, vcc
.LBB491_107:
	s_or_b64 exec, exec, s[6:7]
	s_waitcnt lgkmcnt(1)
	v_lshlrev_b64 v[6:7], 3, v[6:7]
	v_mov_b32_e32 v10, s25
	v_add_co_u32_e32 v6, vcc, s24, v6
	v_addc_co_u32_e32 v7, vcc, v10, v7, vcc
	global_store_dwordx2 v[6:7], v[8:9], off
	s_or_b64 exec, exec, s[4:5]
	v_cmp_gt_u32_e32 vcc, s33, v17
	s_and_saveexec_b64 s[4:5], vcc
	s_cbranch_execz .LBB491_98
.LBB491_108:
	v_cmp_ge_u32_e32 vcc, v17, v12
                                        ; implicit-def: $vgpr6_vgpr7
	s_and_saveexec_b64 s[6:7], vcc
	s_xor_b64 s[6:7], exec, s[6:7]
	s_cbranch_execz .LBB491_110
; %bb.109:
	s_waitcnt lgkmcnt(1)
	v_sub_u32_e32 v6, 0xfffffe7f, v0
	v_ashrrev_i32_e32 v7, 31, v6
	v_add_co_u32_e32 v6, vcc, v15, v6
	v_addc_co_u32_e32 v7, vcc, v16, v7, vcc
                                        ; implicit-def: $vgpr17
.LBB491_110:
	s_andn2_saveexec_b64 s[6:7], s[6:7]
	s_cbranch_execz .LBB491_112
; %bb.111:
	s_waitcnt lgkmcnt(1)
	v_add_co_u32_e32 v6, vcc, v1, v17
	v_addc_co_u32_e32 v7, vcc, 0, v13, vcc
.LBB491_112:
	s_or_b64 exec, exec, s[6:7]
	s_waitcnt lgkmcnt(1)
	v_lshlrev_b64 v[6:7], 3, v[6:7]
	v_mov_b32_e32 v8, s25
	v_add_co_u32_e32 v6, vcc, s24, v6
	v_addc_co_u32_e32 v7, vcc, v8, v7, vcc
	s_waitcnt lgkmcnt(0)
	global_store_dwordx2 v[6:7], v[2:3], off
	s_or_b64 exec, exec, s[4:5]
	v_cmp_gt_u32_e32 vcc, s33, v14
                                        ; implicit-def: $vgpr10_vgpr11
	s_and_saveexec_b64 s[4:5], vcc
	s_cbranch_execz .LBB491_99
.LBB491_113:
	v_cmp_ge_u32_e32 vcc, v14, v12
                                        ; implicit-def: $vgpr10_vgpr11
	s_and_saveexec_b64 s[6:7], vcc
	s_xor_b64 s[6:7], exec, s[6:7]
	s_cbranch_execz .LBB491_115
; %bb.114:
	v_sub_u32_e32 v0, 0xfffffdbf, v0
	s_waitcnt lgkmcnt(0)
	v_ashrrev_i32_e32 v2, 31, v0
	v_add_co_u32_e32 v10, vcc, v15, v0
	v_addc_co_u32_e32 v11, vcc, v16, v2, vcc
                                        ; implicit-def: $vgpr14
.LBB491_115:
	s_andn2_saveexec_b64 s[6:7], s[6:7]
; %bb.116:
	v_add_co_u32_e32 v10, vcc, v1, v14
	v_addc_co_u32_e32 v11, vcc, 0, v13, vcc
; %bb.117:
	s_or_b64 exec, exec, s[6:7]
	s_or_b64 s[2:3], s[2:3], exec
	s_or_b64 exec, exec, s[4:5]
	s_and_saveexec_b64 s[4:5], s[2:3]
	s_cbranch_execnz .LBB491_88
	s_branch .LBB491_100
	.section	.rodata,"a",@progbits
	.p2align	6, 0x0
	.amdhsa_kernel _ZN7rocprim17ROCPRIM_400000_NS6detail17trampoline_kernelINS0_14default_configENS1_25partition_config_selectorILNS1_17partition_subalgoE2ExNS0_10empty_typeEbEEZZNS1_14partition_implILS5_2ELb0ES3_jN6thrust23THRUST_200600_302600_NS6detail15normal_iteratorINSA_7pointerIxNSA_11hip_rocprim3tagENSA_11use_defaultESG_EEEEPS6_NSA_18transform_iteratorINSA_8identityIxEENSC_INSA_10device_ptrIxEEEESG_SG_EENS0_5tupleIJPxSJ_EEENSR_IJSJ_SJ_EEES6_PlJS6_EEE10hipError_tPvRmT3_T4_T5_T6_T7_T9_mT8_P12ihipStream_tbDpT10_ENKUlT_T0_E_clISt17integral_constantIbLb1EES1F_EEDaS1A_S1B_EUlS1A_E_NS1_11comp_targetILNS1_3genE4ELNS1_11target_archE910ELNS1_3gpuE8ELNS1_3repE0EEENS1_30default_config_static_selectorELNS0_4arch9wavefront6targetE1EEEvT1_
		.amdhsa_group_segment_fixed_size 6344
		.amdhsa_private_segment_fixed_size 0
		.amdhsa_kernarg_size 144
		.amdhsa_user_sgpr_count 6
		.amdhsa_user_sgpr_private_segment_buffer 1
		.amdhsa_user_sgpr_dispatch_ptr 0
		.amdhsa_user_sgpr_queue_ptr 0
		.amdhsa_user_sgpr_kernarg_segment_ptr 1
		.amdhsa_user_sgpr_dispatch_id 0
		.amdhsa_user_sgpr_flat_scratch_init 0
		.amdhsa_user_sgpr_kernarg_preload_length 0
		.amdhsa_user_sgpr_kernarg_preload_offset 0
		.amdhsa_user_sgpr_private_segment_size 0
		.amdhsa_uses_dynamic_stack 0
		.amdhsa_system_sgpr_private_segment_wavefront_offset 0
		.amdhsa_system_sgpr_workgroup_id_x 1
		.amdhsa_system_sgpr_workgroup_id_y 0
		.amdhsa_system_sgpr_workgroup_id_z 0
		.amdhsa_system_sgpr_workgroup_info 0
		.amdhsa_system_vgpr_workitem_id 0
		.amdhsa_next_free_vgpr 45
		.amdhsa_next_free_sgpr 46
		.amdhsa_accum_offset 48
		.amdhsa_reserve_vcc 1
		.amdhsa_reserve_flat_scratch 0
		.amdhsa_float_round_mode_32 0
		.amdhsa_float_round_mode_16_64 0
		.amdhsa_float_denorm_mode_32 3
		.amdhsa_float_denorm_mode_16_64 3
		.amdhsa_dx10_clamp 1
		.amdhsa_ieee_mode 1
		.amdhsa_fp16_overflow 0
		.amdhsa_tg_split 0
		.amdhsa_exception_fp_ieee_invalid_op 0
		.amdhsa_exception_fp_denorm_src 0
		.amdhsa_exception_fp_ieee_div_zero 0
		.amdhsa_exception_fp_ieee_overflow 0
		.amdhsa_exception_fp_ieee_underflow 0
		.amdhsa_exception_fp_ieee_inexact 0
		.amdhsa_exception_int_div_zero 0
	.end_amdhsa_kernel
	.section	.text._ZN7rocprim17ROCPRIM_400000_NS6detail17trampoline_kernelINS0_14default_configENS1_25partition_config_selectorILNS1_17partition_subalgoE2ExNS0_10empty_typeEbEEZZNS1_14partition_implILS5_2ELb0ES3_jN6thrust23THRUST_200600_302600_NS6detail15normal_iteratorINSA_7pointerIxNSA_11hip_rocprim3tagENSA_11use_defaultESG_EEEEPS6_NSA_18transform_iteratorINSA_8identityIxEENSC_INSA_10device_ptrIxEEEESG_SG_EENS0_5tupleIJPxSJ_EEENSR_IJSJ_SJ_EEES6_PlJS6_EEE10hipError_tPvRmT3_T4_T5_T6_T7_T9_mT8_P12ihipStream_tbDpT10_ENKUlT_T0_E_clISt17integral_constantIbLb1EES1F_EEDaS1A_S1B_EUlS1A_E_NS1_11comp_targetILNS1_3genE4ELNS1_11target_archE910ELNS1_3gpuE8ELNS1_3repE0EEENS1_30default_config_static_selectorELNS0_4arch9wavefront6targetE1EEEvT1_,"axG",@progbits,_ZN7rocprim17ROCPRIM_400000_NS6detail17trampoline_kernelINS0_14default_configENS1_25partition_config_selectorILNS1_17partition_subalgoE2ExNS0_10empty_typeEbEEZZNS1_14partition_implILS5_2ELb0ES3_jN6thrust23THRUST_200600_302600_NS6detail15normal_iteratorINSA_7pointerIxNSA_11hip_rocprim3tagENSA_11use_defaultESG_EEEEPS6_NSA_18transform_iteratorINSA_8identityIxEENSC_INSA_10device_ptrIxEEEESG_SG_EENS0_5tupleIJPxSJ_EEENSR_IJSJ_SJ_EEES6_PlJS6_EEE10hipError_tPvRmT3_T4_T5_T6_T7_T9_mT8_P12ihipStream_tbDpT10_ENKUlT_T0_E_clISt17integral_constantIbLb1EES1F_EEDaS1A_S1B_EUlS1A_E_NS1_11comp_targetILNS1_3genE4ELNS1_11target_archE910ELNS1_3gpuE8ELNS1_3repE0EEENS1_30default_config_static_selectorELNS0_4arch9wavefront6targetE1EEEvT1_,comdat
.Lfunc_end491:
	.size	_ZN7rocprim17ROCPRIM_400000_NS6detail17trampoline_kernelINS0_14default_configENS1_25partition_config_selectorILNS1_17partition_subalgoE2ExNS0_10empty_typeEbEEZZNS1_14partition_implILS5_2ELb0ES3_jN6thrust23THRUST_200600_302600_NS6detail15normal_iteratorINSA_7pointerIxNSA_11hip_rocprim3tagENSA_11use_defaultESG_EEEEPS6_NSA_18transform_iteratorINSA_8identityIxEENSC_INSA_10device_ptrIxEEEESG_SG_EENS0_5tupleIJPxSJ_EEENSR_IJSJ_SJ_EEES6_PlJS6_EEE10hipError_tPvRmT3_T4_T5_T6_T7_T9_mT8_P12ihipStream_tbDpT10_ENKUlT_T0_E_clISt17integral_constantIbLb1EES1F_EEDaS1A_S1B_EUlS1A_E_NS1_11comp_targetILNS1_3genE4ELNS1_11target_archE910ELNS1_3gpuE8ELNS1_3repE0EEENS1_30default_config_static_selectorELNS0_4arch9wavefront6targetE1EEEvT1_, .Lfunc_end491-_ZN7rocprim17ROCPRIM_400000_NS6detail17trampoline_kernelINS0_14default_configENS1_25partition_config_selectorILNS1_17partition_subalgoE2ExNS0_10empty_typeEbEEZZNS1_14partition_implILS5_2ELb0ES3_jN6thrust23THRUST_200600_302600_NS6detail15normal_iteratorINSA_7pointerIxNSA_11hip_rocprim3tagENSA_11use_defaultESG_EEEEPS6_NSA_18transform_iteratorINSA_8identityIxEENSC_INSA_10device_ptrIxEEEESG_SG_EENS0_5tupleIJPxSJ_EEENSR_IJSJ_SJ_EEES6_PlJS6_EEE10hipError_tPvRmT3_T4_T5_T6_T7_T9_mT8_P12ihipStream_tbDpT10_ENKUlT_T0_E_clISt17integral_constantIbLb1EES1F_EEDaS1A_S1B_EUlS1A_E_NS1_11comp_targetILNS1_3genE4ELNS1_11target_archE910ELNS1_3gpuE8ELNS1_3repE0EEENS1_30default_config_static_selectorELNS0_4arch9wavefront6targetE1EEEvT1_
                                        ; -- End function
	.section	.AMDGPU.csdata,"",@progbits
; Kernel info:
; codeLenInByte = 4596
; NumSgprs: 50
; NumVgprs: 45
; NumAgprs: 0
; TotalNumVgprs: 45
; ScratchSize: 0
; MemoryBound: 0
; FloatMode: 240
; IeeeMode: 1
; LDSByteSize: 6344 bytes/workgroup (compile time only)
; SGPRBlocks: 6
; VGPRBlocks: 5
; NumSGPRsForWavesPerEU: 50
; NumVGPRsForWavesPerEU: 45
; AccumOffset: 48
; Occupancy: 8
; WaveLimiterHint : 1
; COMPUTE_PGM_RSRC2:SCRATCH_EN: 0
; COMPUTE_PGM_RSRC2:USER_SGPR: 6
; COMPUTE_PGM_RSRC2:TRAP_HANDLER: 0
; COMPUTE_PGM_RSRC2:TGID_X_EN: 1
; COMPUTE_PGM_RSRC2:TGID_Y_EN: 0
; COMPUTE_PGM_RSRC2:TGID_Z_EN: 0
; COMPUTE_PGM_RSRC2:TIDIG_COMP_CNT: 0
; COMPUTE_PGM_RSRC3_GFX90A:ACCUM_OFFSET: 11
; COMPUTE_PGM_RSRC3_GFX90A:TG_SPLIT: 0
	.section	.text._ZN7rocprim17ROCPRIM_400000_NS6detail17trampoline_kernelINS0_14default_configENS1_25partition_config_selectorILNS1_17partition_subalgoE2ExNS0_10empty_typeEbEEZZNS1_14partition_implILS5_2ELb0ES3_jN6thrust23THRUST_200600_302600_NS6detail15normal_iteratorINSA_7pointerIxNSA_11hip_rocprim3tagENSA_11use_defaultESG_EEEEPS6_NSA_18transform_iteratorINSA_8identityIxEENSC_INSA_10device_ptrIxEEEESG_SG_EENS0_5tupleIJPxSJ_EEENSR_IJSJ_SJ_EEES6_PlJS6_EEE10hipError_tPvRmT3_T4_T5_T6_T7_T9_mT8_P12ihipStream_tbDpT10_ENKUlT_T0_E_clISt17integral_constantIbLb1EES1F_EEDaS1A_S1B_EUlS1A_E_NS1_11comp_targetILNS1_3genE3ELNS1_11target_archE908ELNS1_3gpuE7ELNS1_3repE0EEENS1_30default_config_static_selectorELNS0_4arch9wavefront6targetE1EEEvT1_,"axG",@progbits,_ZN7rocprim17ROCPRIM_400000_NS6detail17trampoline_kernelINS0_14default_configENS1_25partition_config_selectorILNS1_17partition_subalgoE2ExNS0_10empty_typeEbEEZZNS1_14partition_implILS5_2ELb0ES3_jN6thrust23THRUST_200600_302600_NS6detail15normal_iteratorINSA_7pointerIxNSA_11hip_rocprim3tagENSA_11use_defaultESG_EEEEPS6_NSA_18transform_iteratorINSA_8identityIxEENSC_INSA_10device_ptrIxEEEESG_SG_EENS0_5tupleIJPxSJ_EEENSR_IJSJ_SJ_EEES6_PlJS6_EEE10hipError_tPvRmT3_T4_T5_T6_T7_T9_mT8_P12ihipStream_tbDpT10_ENKUlT_T0_E_clISt17integral_constantIbLb1EES1F_EEDaS1A_S1B_EUlS1A_E_NS1_11comp_targetILNS1_3genE3ELNS1_11target_archE908ELNS1_3gpuE7ELNS1_3repE0EEENS1_30default_config_static_selectorELNS0_4arch9wavefront6targetE1EEEvT1_,comdat
	.protected	_ZN7rocprim17ROCPRIM_400000_NS6detail17trampoline_kernelINS0_14default_configENS1_25partition_config_selectorILNS1_17partition_subalgoE2ExNS0_10empty_typeEbEEZZNS1_14partition_implILS5_2ELb0ES3_jN6thrust23THRUST_200600_302600_NS6detail15normal_iteratorINSA_7pointerIxNSA_11hip_rocprim3tagENSA_11use_defaultESG_EEEEPS6_NSA_18transform_iteratorINSA_8identityIxEENSC_INSA_10device_ptrIxEEEESG_SG_EENS0_5tupleIJPxSJ_EEENSR_IJSJ_SJ_EEES6_PlJS6_EEE10hipError_tPvRmT3_T4_T5_T6_T7_T9_mT8_P12ihipStream_tbDpT10_ENKUlT_T0_E_clISt17integral_constantIbLb1EES1F_EEDaS1A_S1B_EUlS1A_E_NS1_11comp_targetILNS1_3genE3ELNS1_11target_archE908ELNS1_3gpuE7ELNS1_3repE0EEENS1_30default_config_static_selectorELNS0_4arch9wavefront6targetE1EEEvT1_ ; -- Begin function _ZN7rocprim17ROCPRIM_400000_NS6detail17trampoline_kernelINS0_14default_configENS1_25partition_config_selectorILNS1_17partition_subalgoE2ExNS0_10empty_typeEbEEZZNS1_14partition_implILS5_2ELb0ES3_jN6thrust23THRUST_200600_302600_NS6detail15normal_iteratorINSA_7pointerIxNSA_11hip_rocprim3tagENSA_11use_defaultESG_EEEEPS6_NSA_18transform_iteratorINSA_8identityIxEENSC_INSA_10device_ptrIxEEEESG_SG_EENS0_5tupleIJPxSJ_EEENSR_IJSJ_SJ_EEES6_PlJS6_EEE10hipError_tPvRmT3_T4_T5_T6_T7_T9_mT8_P12ihipStream_tbDpT10_ENKUlT_T0_E_clISt17integral_constantIbLb1EES1F_EEDaS1A_S1B_EUlS1A_E_NS1_11comp_targetILNS1_3genE3ELNS1_11target_archE908ELNS1_3gpuE7ELNS1_3repE0EEENS1_30default_config_static_selectorELNS0_4arch9wavefront6targetE1EEEvT1_
	.globl	_ZN7rocprim17ROCPRIM_400000_NS6detail17trampoline_kernelINS0_14default_configENS1_25partition_config_selectorILNS1_17partition_subalgoE2ExNS0_10empty_typeEbEEZZNS1_14partition_implILS5_2ELb0ES3_jN6thrust23THRUST_200600_302600_NS6detail15normal_iteratorINSA_7pointerIxNSA_11hip_rocprim3tagENSA_11use_defaultESG_EEEEPS6_NSA_18transform_iteratorINSA_8identityIxEENSC_INSA_10device_ptrIxEEEESG_SG_EENS0_5tupleIJPxSJ_EEENSR_IJSJ_SJ_EEES6_PlJS6_EEE10hipError_tPvRmT3_T4_T5_T6_T7_T9_mT8_P12ihipStream_tbDpT10_ENKUlT_T0_E_clISt17integral_constantIbLb1EES1F_EEDaS1A_S1B_EUlS1A_E_NS1_11comp_targetILNS1_3genE3ELNS1_11target_archE908ELNS1_3gpuE7ELNS1_3repE0EEENS1_30default_config_static_selectorELNS0_4arch9wavefront6targetE1EEEvT1_
	.p2align	8
	.type	_ZN7rocprim17ROCPRIM_400000_NS6detail17trampoline_kernelINS0_14default_configENS1_25partition_config_selectorILNS1_17partition_subalgoE2ExNS0_10empty_typeEbEEZZNS1_14partition_implILS5_2ELb0ES3_jN6thrust23THRUST_200600_302600_NS6detail15normal_iteratorINSA_7pointerIxNSA_11hip_rocprim3tagENSA_11use_defaultESG_EEEEPS6_NSA_18transform_iteratorINSA_8identityIxEENSC_INSA_10device_ptrIxEEEESG_SG_EENS0_5tupleIJPxSJ_EEENSR_IJSJ_SJ_EEES6_PlJS6_EEE10hipError_tPvRmT3_T4_T5_T6_T7_T9_mT8_P12ihipStream_tbDpT10_ENKUlT_T0_E_clISt17integral_constantIbLb1EES1F_EEDaS1A_S1B_EUlS1A_E_NS1_11comp_targetILNS1_3genE3ELNS1_11target_archE908ELNS1_3gpuE7ELNS1_3repE0EEENS1_30default_config_static_selectorELNS0_4arch9wavefront6targetE1EEEvT1_,@function
_ZN7rocprim17ROCPRIM_400000_NS6detail17trampoline_kernelINS0_14default_configENS1_25partition_config_selectorILNS1_17partition_subalgoE2ExNS0_10empty_typeEbEEZZNS1_14partition_implILS5_2ELb0ES3_jN6thrust23THRUST_200600_302600_NS6detail15normal_iteratorINSA_7pointerIxNSA_11hip_rocprim3tagENSA_11use_defaultESG_EEEEPS6_NSA_18transform_iteratorINSA_8identityIxEENSC_INSA_10device_ptrIxEEEESG_SG_EENS0_5tupleIJPxSJ_EEENSR_IJSJ_SJ_EEES6_PlJS6_EEE10hipError_tPvRmT3_T4_T5_T6_T7_T9_mT8_P12ihipStream_tbDpT10_ENKUlT_T0_E_clISt17integral_constantIbLb1EES1F_EEDaS1A_S1B_EUlS1A_E_NS1_11comp_targetILNS1_3genE3ELNS1_11target_archE908ELNS1_3gpuE7ELNS1_3repE0EEENS1_30default_config_static_selectorELNS0_4arch9wavefront6targetE1EEEvT1_: ; @_ZN7rocprim17ROCPRIM_400000_NS6detail17trampoline_kernelINS0_14default_configENS1_25partition_config_selectorILNS1_17partition_subalgoE2ExNS0_10empty_typeEbEEZZNS1_14partition_implILS5_2ELb0ES3_jN6thrust23THRUST_200600_302600_NS6detail15normal_iteratorINSA_7pointerIxNSA_11hip_rocprim3tagENSA_11use_defaultESG_EEEEPS6_NSA_18transform_iteratorINSA_8identityIxEENSC_INSA_10device_ptrIxEEEESG_SG_EENS0_5tupleIJPxSJ_EEENSR_IJSJ_SJ_EEES6_PlJS6_EEE10hipError_tPvRmT3_T4_T5_T6_T7_T9_mT8_P12ihipStream_tbDpT10_ENKUlT_T0_E_clISt17integral_constantIbLb1EES1F_EEDaS1A_S1B_EUlS1A_E_NS1_11comp_targetILNS1_3genE3ELNS1_11target_archE908ELNS1_3gpuE7ELNS1_3repE0EEENS1_30default_config_static_selectorELNS0_4arch9wavefront6targetE1EEEvT1_
; %bb.0:
	.section	.rodata,"a",@progbits
	.p2align	6, 0x0
	.amdhsa_kernel _ZN7rocprim17ROCPRIM_400000_NS6detail17trampoline_kernelINS0_14default_configENS1_25partition_config_selectorILNS1_17partition_subalgoE2ExNS0_10empty_typeEbEEZZNS1_14partition_implILS5_2ELb0ES3_jN6thrust23THRUST_200600_302600_NS6detail15normal_iteratorINSA_7pointerIxNSA_11hip_rocprim3tagENSA_11use_defaultESG_EEEEPS6_NSA_18transform_iteratorINSA_8identityIxEENSC_INSA_10device_ptrIxEEEESG_SG_EENS0_5tupleIJPxSJ_EEENSR_IJSJ_SJ_EEES6_PlJS6_EEE10hipError_tPvRmT3_T4_T5_T6_T7_T9_mT8_P12ihipStream_tbDpT10_ENKUlT_T0_E_clISt17integral_constantIbLb1EES1F_EEDaS1A_S1B_EUlS1A_E_NS1_11comp_targetILNS1_3genE3ELNS1_11target_archE908ELNS1_3gpuE7ELNS1_3repE0EEENS1_30default_config_static_selectorELNS0_4arch9wavefront6targetE1EEEvT1_
		.amdhsa_group_segment_fixed_size 0
		.amdhsa_private_segment_fixed_size 0
		.amdhsa_kernarg_size 144
		.amdhsa_user_sgpr_count 6
		.amdhsa_user_sgpr_private_segment_buffer 1
		.amdhsa_user_sgpr_dispatch_ptr 0
		.amdhsa_user_sgpr_queue_ptr 0
		.amdhsa_user_sgpr_kernarg_segment_ptr 1
		.amdhsa_user_sgpr_dispatch_id 0
		.amdhsa_user_sgpr_flat_scratch_init 0
		.amdhsa_user_sgpr_kernarg_preload_length 0
		.amdhsa_user_sgpr_kernarg_preload_offset 0
		.amdhsa_user_sgpr_private_segment_size 0
		.amdhsa_uses_dynamic_stack 0
		.amdhsa_system_sgpr_private_segment_wavefront_offset 0
		.amdhsa_system_sgpr_workgroup_id_x 1
		.amdhsa_system_sgpr_workgroup_id_y 0
		.amdhsa_system_sgpr_workgroup_id_z 0
		.amdhsa_system_sgpr_workgroup_info 0
		.amdhsa_system_vgpr_workitem_id 0
		.amdhsa_next_free_vgpr 1
		.amdhsa_next_free_sgpr 0
		.amdhsa_accum_offset 4
		.amdhsa_reserve_vcc 0
		.amdhsa_reserve_flat_scratch 0
		.amdhsa_float_round_mode_32 0
		.amdhsa_float_round_mode_16_64 0
		.amdhsa_float_denorm_mode_32 3
		.amdhsa_float_denorm_mode_16_64 3
		.amdhsa_dx10_clamp 1
		.amdhsa_ieee_mode 1
		.amdhsa_fp16_overflow 0
		.amdhsa_tg_split 0
		.amdhsa_exception_fp_ieee_invalid_op 0
		.amdhsa_exception_fp_denorm_src 0
		.amdhsa_exception_fp_ieee_div_zero 0
		.amdhsa_exception_fp_ieee_overflow 0
		.amdhsa_exception_fp_ieee_underflow 0
		.amdhsa_exception_fp_ieee_inexact 0
		.amdhsa_exception_int_div_zero 0
	.end_amdhsa_kernel
	.section	.text._ZN7rocprim17ROCPRIM_400000_NS6detail17trampoline_kernelINS0_14default_configENS1_25partition_config_selectorILNS1_17partition_subalgoE2ExNS0_10empty_typeEbEEZZNS1_14partition_implILS5_2ELb0ES3_jN6thrust23THRUST_200600_302600_NS6detail15normal_iteratorINSA_7pointerIxNSA_11hip_rocprim3tagENSA_11use_defaultESG_EEEEPS6_NSA_18transform_iteratorINSA_8identityIxEENSC_INSA_10device_ptrIxEEEESG_SG_EENS0_5tupleIJPxSJ_EEENSR_IJSJ_SJ_EEES6_PlJS6_EEE10hipError_tPvRmT3_T4_T5_T6_T7_T9_mT8_P12ihipStream_tbDpT10_ENKUlT_T0_E_clISt17integral_constantIbLb1EES1F_EEDaS1A_S1B_EUlS1A_E_NS1_11comp_targetILNS1_3genE3ELNS1_11target_archE908ELNS1_3gpuE7ELNS1_3repE0EEENS1_30default_config_static_selectorELNS0_4arch9wavefront6targetE1EEEvT1_,"axG",@progbits,_ZN7rocprim17ROCPRIM_400000_NS6detail17trampoline_kernelINS0_14default_configENS1_25partition_config_selectorILNS1_17partition_subalgoE2ExNS0_10empty_typeEbEEZZNS1_14partition_implILS5_2ELb0ES3_jN6thrust23THRUST_200600_302600_NS6detail15normal_iteratorINSA_7pointerIxNSA_11hip_rocprim3tagENSA_11use_defaultESG_EEEEPS6_NSA_18transform_iteratorINSA_8identityIxEENSC_INSA_10device_ptrIxEEEESG_SG_EENS0_5tupleIJPxSJ_EEENSR_IJSJ_SJ_EEES6_PlJS6_EEE10hipError_tPvRmT3_T4_T5_T6_T7_T9_mT8_P12ihipStream_tbDpT10_ENKUlT_T0_E_clISt17integral_constantIbLb1EES1F_EEDaS1A_S1B_EUlS1A_E_NS1_11comp_targetILNS1_3genE3ELNS1_11target_archE908ELNS1_3gpuE7ELNS1_3repE0EEENS1_30default_config_static_selectorELNS0_4arch9wavefront6targetE1EEEvT1_,comdat
.Lfunc_end492:
	.size	_ZN7rocprim17ROCPRIM_400000_NS6detail17trampoline_kernelINS0_14default_configENS1_25partition_config_selectorILNS1_17partition_subalgoE2ExNS0_10empty_typeEbEEZZNS1_14partition_implILS5_2ELb0ES3_jN6thrust23THRUST_200600_302600_NS6detail15normal_iteratorINSA_7pointerIxNSA_11hip_rocprim3tagENSA_11use_defaultESG_EEEEPS6_NSA_18transform_iteratorINSA_8identityIxEENSC_INSA_10device_ptrIxEEEESG_SG_EENS0_5tupleIJPxSJ_EEENSR_IJSJ_SJ_EEES6_PlJS6_EEE10hipError_tPvRmT3_T4_T5_T6_T7_T9_mT8_P12ihipStream_tbDpT10_ENKUlT_T0_E_clISt17integral_constantIbLb1EES1F_EEDaS1A_S1B_EUlS1A_E_NS1_11comp_targetILNS1_3genE3ELNS1_11target_archE908ELNS1_3gpuE7ELNS1_3repE0EEENS1_30default_config_static_selectorELNS0_4arch9wavefront6targetE1EEEvT1_, .Lfunc_end492-_ZN7rocprim17ROCPRIM_400000_NS6detail17trampoline_kernelINS0_14default_configENS1_25partition_config_selectorILNS1_17partition_subalgoE2ExNS0_10empty_typeEbEEZZNS1_14partition_implILS5_2ELb0ES3_jN6thrust23THRUST_200600_302600_NS6detail15normal_iteratorINSA_7pointerIxNSA_11hip_rocprim3tagENSA_11use_defaultESG_EEEEPS6_NSA_18transform_iteratorINSA_8identityIxEENSC_INSA_10device_ptrIxEEEESG_SG_EENS0_5tupleIJPxSJ_EEENSR_IJSJ_SJ_EEES6_PlJS6_EEE10hipError_tPvRmT3_T4_T5_T6_T7_T9_mT8_P12ihipStream_tbDpT10_ENKUlT_T0_E_clISt17integral_constantIbLb1EES1F_EEDaS1A_S1B_EUlS1A_E_NS1_11comp_targetILNS1_3genE3ELNS1_11target_archE908ELNS1_3gpuE7ELNS1_3repE0EEENS1_30default_config_static_selectorELNS0_4arch9wavefront6targetE1EEEvT1_
                                        ; -- End function
	.section	.AMDGPU.csdata,"",@progbits
; Kernel info:
; codeLenInByte = 0
; NumSgprs: 4
; NumVgprs: 0
; NumAgprs: 0
; TotalNumVgprs: 0
; ScratchSize: 0
; MemoryBound: 0
; FloatMode: 240
; IeeeMode: 1
; LDSByteSize: 0 bytes/workgroup (compile time only)
; SGPRBlocks: 0
; VGPRBlocks: 0
; NumSGPRsForWavesPerEU: 4
; NumVGPRsForWavesPerEU: 1
; AccumOffset: 4
; Occupancy: 8
; WaveLimiterHint : 0
; COMPUTE_PGM_RSRC2:SCRATCH_EN: 0
; COMPUTE_PGM_RSRC2:USER_SGPR: 6
; COMPUTE_PGM_RSRC2:TRAP_HANDLER: 0
; COMPUTE_PGM_RSRC2:TGID_X_EN: 1
; COMPUTE_PGM_RSRC2:TGID_Y_EN: 0
; COMPUTE_PGM_RSRC2:TGID_Z_EN: 0
; COMPUTE_PGM_RSRC2:TIDIG_COMP_CNT: 0
; COMPUTE_PGM_RSRC3_GFX90A:ACCUM_OFFSET: 0
; COMPUTE_PGM_RSRC3_GFX90A:TG_SPLIT: 0
	.section	.text._ZN7rocprim17ROCPRIM_400000_NS6detail17trampoline_kernelINS0_14default_configENS1_25partition_config_selectorILNS1_17partition_subalgoE2ExNS0_10empty_typeEbEEZZNS1_14partition_implILS5_2ELb0ES3_jN6thrust23THRUST_200600_302600_NS6detail15normal_iteratorINSA_7pointerIxNSA_11hip_rocprim3tagENSA_11use_defaultESG_EEEEPS6_NSA_18transform_iteratorINSA_8identityIxEENSC_INSA_10device_ptrIxEEEESG_SG_EENS0_5tupleIJPxSJ_EEENSR_IJSJ_SJ_EEES6_PlJS6_EEE10hipError_tPvRmT3_T4_T5_T6_T7_T9_mT8_P12ihipStream_tbDpT10_ENKUlT_T0_E_clISt17integral_constantIbLb1EES1F_EEDaS1A_S1B_EUlS1A_E_NS1_11comp_targetILNS1_3genE2ELNS1_11target_archE906ELNS1_3gpuE6ELNS1_3repE0EEENS1_30default_config_static_selectorELNS0_4arch9wavefront6targetE1EEEvT1_,"axG",@progbits,_ZN7rocprim17ROCPRIM_400000_NS6detail17trampoline_kernelINS0_14default_configENS1_25partition_config_selectorILNS1_17partition_subalgoE2ExNS0_10empty_typeEbEEZZNS1_14partition_implILS5_2ELb0ES3_jN6thrust23THRUST_200600_302600_NS6detail15normal_iteratorINSA_7pointerIxNSA_11hip_rocprim3tagENSA_11use_defaultESG_EEEEPS6_NSA_18transform_iteratorINSA_8identityIxEENSC_INSA_10device_ptrIxEEEESG_SG_EENS0_5tupleIJPxSJ_EEENSR_IJSJ_SJ_EEES6_PlJS6_EEE10hipError_tPvRmT3_T4_T5_T6_T7_T9_mT8_P12ihipStream_tbDpT10_ENKUlT_T0_E_clISt17integral_constantIbLb1EES1F_EEDaS1A_S1B_EUlS1A_E_NS1_11comp_targetILNS1_3genE2ELNS1_11target_archE906ELNS1_3gpuE6ELNS1_3repE0EEENS1_30default_config_static_selectorELNS0_4arch9wavefront6targetE1EEEvT1_,comdat
	.protected	_ZN7rocprim17ROCPRIM_400000_NS6detail17trampoline_kernelINS0_14default_configENS1_25partition_config_selectorILNS1_17partition_subalgoE2ExNS0_10empty_typeEbEEZZNS1_14partition_implILS5_2ELb0ES3_jN6thrust23THRUST_200600_302600_NS6detail15normal_iteratorINSA_7pointerIxNSA_11hip_rocprim3tagENSA_11use_defaultESG_EEEEPS6_NSA_18transform_iteratorINSA_8identityIxEENSC_INSA_10device_ptrIxEEEESG_SG_EENS0_5tupleIJPxSJ_EEENSR_IJSJ_SJ_EEES6_PlJS6_EEE10hipError_tPvRmT3_T4_T5_T6_T7_T9_mT8_P12ihipStream_tbDpT10_ENKUlT_T0_E_clISt17integral_constantIbLb1EES1F_EEDaS1A_S1B_EUlS1A_E_NS1_11comp_targetILNS1_3genE2ELNS1_11target_archE906ELNS1_3gpuE6ELNS1_3repE0EEENS1_30default_config_static_selectorELNS0_4arch9wavefront6targetE1EEEvT1_ ; -- Begin function _ZN7rocprim17ROCPRIM_400000_NS6detail17trampoline_kernelINS0_14default_configENS1_25partition_config_selectorILNS1_17partition_subalgoE2ExNS0_10empty_typeEbEEZZNS1_14partition_implILS5_2ELb0ES3_jN6thrust23THRUST_200600_302600_NS6detail15normal_iteratorINSA_7pointerIxNSA_11hip_rocprim3tagENSA_11use_defaultESG_EEEEPS6_NSA_18transform_iteratorINSA_8identityIxEENSC_INSA_10device_ptrIxEEEESG_SG_EENS0_5tupleIJPxSJ_EEENSR_IJSJ_SJ_EEES6_PlJS6_EEE10hipError_tPvRmT3_T4_T5_T6_T7_T9_mT8_P12ihipStream_tbDpT10_ENKUlT_T0_E_clISt17integral_constantIbLb1EES1F_EEDaS1A_S1B_EUlS1A_E_NS1_11comp_targetILNS1_3genE2ELNS1_11target_archE906ELNS1_3gpuE6ELNS1_3repE0EEENS1_30default_config_static_selectorELNS0_4arch9wavefront6targetE1EEEvT1_
	.globl	_ZN7rocprim17ROCPRIM_400000_NS6detail17trampoline_kernelINS0_14default_configENS1_25partition_config_selectorILNS1_17partition_subalgoE2ExNS0_10empty_typeEbEEZZNS1_14partition_implILS5_2ELb0ES3_jN6thrust23THRUST_200600_302600_NS6detail15normal_iteratorINSA_7pointerIxNSA_11hip_rocprim3tagENSA_11use_defaultESG_EEEEPS6_NSA_18transform_iteratorINSA_8identityIxEENSC_INSA_10device_ptrIxEEEESG_SG_EENS0_5tupleIJPxSJ_EEENSR_IJSJ_SJ_EEES6_PlJS6_EEE10hipError_tPvRmT3_T4_T5_T6_T7_T9_mT8_P12ihipStream_tbDpT10_ENKUlT_T0_E_clISt17integral_constantIbLb1EES1F_EEDaS1A_S1B_EUlS1A_E_NS1_11comp_targetILNS1_3genE2ELNS1_11target_archE906ELNS1_3gpuE6ELNS1_3repE0EEENS1_30default_config_static_selectorELNS0_4arch9wavefront6targetE1EEEvT1_
	.p2align	8
	.type	_ZN7rocprim17ROCPRIM_400000_NS6detail17trampoline_kernelINS0_14default_configENS1_25partition_config_selectorILNS1_17partition_subalgoE2ExNS0_10empty_typeEbEEZZNS1_14partition_implILS5_2ELb0ES3_jN6thrust23THRUST_200600_302600_NS6detail15normal_iteratorINSA_7pointerIxNSA_11hip_rocprim3tagENSA_11use_defaultESG_EEEEPS6_NSA_18transform_iteratorINSA_8identityIxEENSC_INSA_10device_ptrIxEEEESG_SG_EENS0_5tupleIJPxSJ_EEENSR_IJSJ_SJ_EEES6_PlJS6_EEE10hipError_tPvRmT3_T4_T5_T6_T7_T9_mT8_P12ihipStream_tbDpT10_ENKUlT_T0_E_clISt17integral_constantIbLb1EES1F_EEDaS1A_S1B_EUlS1A_E_NS1_11comp_targetILNS1_3genE2ELNS1_11target_archE906ELNS1_3gpuE6ELNS1_3repE0EEENS1_30default_config_static_selectorELNS0_4arch9wavefront6targetE1EEEvT1_,@function
_ZN7rocprim17ROCPRIM_400000_NS6detail17trampoline_kernelINS0_14default_configENS1_25partition_config_selectorILNS1_17partition_subalgoE2ExNS0_10empty_typeEbEEZZNS1_14partition_implILS5_2ELb0ES3_jN6thrust23THRUST_200600_302600_NS6detail15normal_iteratorINSA_7pointerIxNSA_11hip_rocprim3tagENSA_11use_defaultESG_EEEEPS6_NSA_18transform_iteratorINSA_8identityIxEENSC_INSA_10device_ptrIxEEEESG_SG_EENS0_5tupleIJPxSJ_EEENSR_IJSJ_SJ_EEES6_PlJS6_EEE10hipError_tPvRmT3_T4_T5_T6_T7_T9_mT8_P12ihipStream_tbDpT10_ENKUlT_T0_E_clISt17integral_constantIbLb1EES1F_EEDaS1A_S1B_EUlS1A_E_NS1_11comp_targetILNS1_3genE2ELNS1_11target_archE906ELNS1_3gpuE6ELNS1_3repE0EEENS1_30default_config_static_selectorELNS0_4arch9wavefront6targetE1EEEvT1_: ; @_ZN7rocprim17ROCPRIM_400000_NS6detail17trampoline_kernelINS0_14default_configENS1_25partition_config_selectorILNS1_17partition_subalgoE2ExNS0_10empty_typeEbEEZZNS1_14partition_implILS5_2ELb0ES3_jN6thrust23THRUST_200600_302600_NS6detail15normal_iteratorINSA_7pointerIxNSA_11hip_rocprim3tagENSA_11use_defaultESG_EEEEPS6_NSA_18transform_iteratorINSA_8identityIxEENSC_INSA_10device_ptrIxEEEESG_SG_EENS0_5tupleIJPxSJ_EEENSR_IJSJ_SJ_EEES6_PlJS6_EEE10hipError_tPvRmT3_T4_T5_T6_T7_T9_mT8_P12ihipStream_tbDpT10_ENKUlT_T0_E_clISt17integral_constantIbLb1EES1F_EEDaS1A_S1B_EUlS1A_E_NS1_11comp_targetILNS1_3genE2ELNS1_11target_archE906ELNS1_3gpuE6ELNS1_3repE0EEENS1_30default_config_static_selectorELNS0_4arch9wavefront6targetE1EEEvT1_
; %bb.0:
	.section	.rodata,"a",@progbits
	.p2align	6, 0x0
	.amdhsa_kernel _ZN7rocprim17ROCPRIM_400000_NS6detail17trampoline_kernelINS0_14default_configENS1_25partition_config_selectorILNS1_17partition_subalgoE2ExNS0_10empty_typeEbEEZZNS1_14partition_implILS5_2ELb0ES3_jN6thrust23THRUST_200600_302600_NS6detail15normal_iteratorINSA_7pointerIxNSA_11hip_rocprim3tagENSA_11use_defaultESG_EEEEPS6_NSA_18transform_iteratorINSA_8identityIxEENSC_INSA_10device_ptrIxEEEESG_SG_EENS0_5tupleIJPxSJ_EEENSR_IJSJ_SJ_EEES6_PlJS6_EEE10hipError_tPvRmT3_T4_T5_T6_T7_T9_mT8_P12ihipStream_tbDpT10_ENKUlT_T0_E_clISt17integral_constantIbLb1EES1F_EEDaS1A_S1B_EUlS1A_E_NS1_11comp_targetILNS1_3genE2ELNS1_11target_archE906ELNS1_3gpuE6ELNS1_3repE0EEENS1_30default_config_static_selectorELNS0_4arch9wavefront6targetE1EEEvT1_
		.amdhsa_group_segment_fixed_size 0
		.amdhsa_private_segment_fixed_size 0
		.amdhsa_kernarg_size 144
		.amdhsa_user_sgpr_count 6
		.amdhsa_user_sgpr_private_segment_buffer 1
		.amdhsa_user_sgpr_dispatch_ptr 0
		.amdhsa_user_sgpr_queue_ptr 0
		.amdhsa_user_sgpr_kernarg_segment_ptr 1
		.amdhsa_user_sgpr_dispatch_id 0
		.amdhsa_user_sgpr_flat_scratch_init 0
		.amdhsa_user_sgpr_kernarg_preload_length 0
		.amdhsa_user_sgpr_kernarg_preload_offset 0
		.amdhsa_user_sgpr_private_segment_size 0
		.amdhsa_uses_dynamic_stack 0
		.amdhsa_system_sgpr_private_segment_wavefront_offset 0
		.amdhsa_system_sgpr_workgroup_id_x 1
		.amdhsa_system_sgpr_workgroup_id_y 0
		.amdhsa_system_sgpr_workgroup_id_z 0
		.amdhsa_system_sgpr_workgroup_info 0
		.amdhsa_system_vgpr_workitem_id 0
		.amdhsa_next_free_vgpr 1
		.amdhsa_next_free_sgpr 0
		.amdhsa_accum_offset 4
		.amdhsa_reserve_vcc 0
		.amdhsa_reserve_flat_scratch 0
		.amdhsa_float_round_mode_32 0
		.amdhsa_float_round_mode_16_64 0
		.amdhsa_float_denorm_mode_32 3
		.amdhsa_float_denorm_mode_16_64 3
		.amdhsa_dx10_clamp 1
		.amdhsa_ieee_mode 1
		.amdhsa_fp16_overflow 0
		.amdhsa_tg_split 0
		.amdhsa_exception_fp_ieee_invalid_op 0
		.amdhsa_exception_fp_denorm_src 0
		.amdhsa_exception_fp_ieee_div_zero 0
		.amdhsa_exception_fp_ieee_overflow 0
		.amdhsa_exception_fp_ieee_underflow 0
		.amdhsa_exception_fp_ieee_inexact 0
		.amdhsa_exception_int_div_zero 0
	.end_amdhsa_kernel
	.section	.text._ZN7rocprim17ROCPRIM_400000_NS6detail17trampoline_kernelINS0_14default_configENS1_25partition_config_selectorILNS1_17partition_subalgoE2ExNS0_10empty_typeEbEEZZNS1_14partition_implILS5_2ELb0ES3_jN6thrust23THRUST_200600_302600_NS6detail15normal_iteratorINSA_7pointerIxNSA_11hip_rocprim3tagENSA_11use_defaultESG_EEEEPS6_NSA_18transform_iteratorINSA_8identityIxEENSC_INSA_10device_ptrIxEEEESG_SG_EENS0_5tupleIJPxSJ_EEENSR_IJSJ_SJ_EEES6_PlJS6_EEE10hipError_tPvRmT3_T4_T5_T6_T7_T9_mT8_P12ihipStream_tbDpT10_ENKUlT_T0_E_clISt17integral_constantIbLb1EES1F_EEDaS1A_S1B_EUlS1A_E_NS1_11comp_targetILNS1_3genE2ELNS1_11target_archE906ELNS1_3gpuE6ELNS1_3repE0EEENS1_30default_config_static_selectorELNS0_4arch9wavefront6targetE1EEEvT1_,"axG",@progbits,_ZN7rocprim17ROCPRIM_400000_NS6detail17trampoline_kernelINS0_14default_configENS1_25partition_config_selectorILNS1_17partition_subalgoE2ExNS0_10empty_typeEbEEZZNS1_14partition_implILS5_2ELb0ES3_jN6thrust23THRUST_200600_302600_NS6detail15normal_iteratorINSA_7pointerIxNSA_11hip_rocprim3tagENSA_11use_defaultESG_EEEEPS6_NSA_18transform_iteratorINSA_8identityIxEENSC_INSA_10device_ptrIxEEEESG_SG_EENS0_5tupleIJPxSJ_EEENSR_IJSJ_SJ_EEES6_PlJS6_EEE10hipError_tPvRmT3_T4_T5_T6_T7_T9_mT8_P12ihipStream_tbDpT10_ENKUlT_T0_E_clISt17integral_constantIbLb1EES1F_EEDaS1A_S1B_EUlS1A_E_NS1_11comp_targetILNS1_3genE2ELNS1_11target_archE906ELNS1_3gpuE6ELNS1_3repE0EEENS1_30default_config_static_selectorELNS0_4arch9wavefront6targetE1EEEvT1_,comdat
.Lfunc_end493:
	.size	_ZN7rocprim17ROCPRIM_400000_NS6detail17trampoline_kernelINS0_14default_configENS1_25partition_config_selectorILNS1_17partition_subalgoE2ExNS0_10empty_typeEbEEZZNS1_14partition_implILS5_2ELb0ES3_jN6thrust23THRUST_200600_302600_NS6detail15normal_iteratorINSA_7pointerIxNSA_11hip_rocprim3tagENSA_11use_defaultESG_EEEEPS6_NSA_18transform_iteratorINSA_8identityIxEENSC_INSA_10device_ptrIxEEEESG_SG_EENS0_5tupleIJPxSJ_EEENSR_IJSJ_SJ_EEES6_PlJS6_EEE10hipError_tPvRmT3_T4_T5_T6_T7_T9_mT8_P12ihipStream_tbDpT10_ENKUlT_T0_E_clISt17integral_constantIbLb1EES1F_EEDaS1A_S1B_EUlS1A_E_NS1_11comp_targetILNS1_3genE2ELNS1_11target_archE906ELNS1_3gpuE6ELNS1_3repE0EEENS1_30default_config_static_selectorELNS0_4arch9wavefront6targetE1EEEvT1_, .Lfunc_end493-_ZN7rocprim17ROCPRIM_400000_NS6detail17trampoline_kernelINS0_14default_configENS1_25partition_config_selectorILNS1_17partition_subalgoE2ExNS0_10empty_typeEbEEZZNS1_14partition_implILS5_2ELb0ES3_jN6thrust23THRUST_200600_302600_NS6detail15normal_iteratorINSA_7pointerIxNSA_11hip_rocprim3tagENSA_11use_defaultESG_EEEEPS6_NSA_18transform_iteratorINSA_8identityIxEENSC_INSA_10device_ptrIxEEEESG_SG_EENS0_5tupleIJPxSJ_EEENSR_IJSJ_SJ_EEES6_PlJS6_EEE10hipError_tPvRmT3_T4_T5_T6_T7_T9_mT8_P12ihipStream_tbDpT10_ENKUlT_T0_E_clISt17integral_constantIbLb1EES1F_EEDaS1A_S1B_EUlS1A_E_NS1_11comp_targetILNS1_3genE2ELNS1_11target_archE906ELNS1_3gpuE6ELNS1_3repE0EEENS1_30default_config_static_selectorELNS0_4arch9wavefront6targetE1EEEvT1_
                                        ; -- End function
	.section	.AMDGPU.csdata,"",@progbits
; Kernel info:
; codeLenInByte = 0
; NumSgprs: 4
; NumVgprs: 0
; NumAgprs: 0
; TotalNumVgprs: 0
; ScratchSize: 0
; MemoryBound: 0
; FloatMode: 240
; IeeeMode: 1
; LDSByteSize: 0 bytes/workgroup (compile time only)
; SGPRBlocks: 0
; VGPRBlocks: 0
; NumSGPRsForWavesPerEU: 4
; NumVGPRsForWavesPerEU: 1
; AccumOffset: 4
; Occupancy: 8
; WaveLimiterHint : 0
; COMPUTE_PGM_RSRC2:SCRATCH_EN: 0
; COMPUTE_PGM_RSRC2:USER_SGPR: 6
; COMPUTE_PGM_RSRC2:TRAP_HANDLER: 0
; COMPUTE_PGM_RSRC2:TGID_X_EN: 1
; COMPUTE_PGM_RSRC2:TGID_Y_EN: 0
; COMPUTE_PGM_RSRC2:TGID_Z_EN: 0
; COMPUTE_PGM_RSRC2:TIDIG_COMP_CNT: 0
; COMPUTE_PGM_RSRC3_GFX90A:ACCUM_OFFSET: 0
; COMPUTE_PGM_RSRC3_GFX90A:TG_SPLIT: 0
	.section	.text._ZN7rocprim17ROCPRIM_400000_NS6detail17trampoline_kernelINS0_14default_configENS1_25partition_config_selectorILNS1_17partition_subalgoE2ExNS0_10empty_typeEbEEZZNS1_14partition_implILS5_2ELb0ES3_jN6thrust23THRUST_200600_302600_NS6detail15normal_iteratorINSA_7pointerIxNSA_11hip_rocprim3tagENSA_11use_defaultESG_EEEEPS6_NSA_18transform_iteratorINSA_8identityIxEENSC_INSA_10device_ptrIxEEEESG_SG_EENS0_5tupleIJPxSJ_EEENSR_IJSJ_SJ_EEES6_PlJS6_EEE10hipError_tPvRmT3_T4_T5_T6_T7_T9_mT8_P12ihipStream_tbDpT10_ENKUlT_T0_E_clISt17integral_constantIbLb1EES1F_EEDaS1A_S1B_EUlS1A_E_NS1_11comp_targetILNS1_3genE10ELNS1_11target_archE1200ELNS1_3gpuE4ELNS1_3repE0EEENS1_30default_config_static_selectorELNS0_4arch9wavefront6targetE1EEEvT1_,"axG",@progbits,_ZN7rocprim17ROCPRIM_400000_NS6detail17trampoline_kernelINS0_14default_configENS1_25partition_config_selectorILNS1_17partition_subalgoE2ExNS0_10empty_typeEbEEZZNS1_14partition_implILS5_2ELb0ES3_jN6thrust23THRUST_200600_302600_NS6detail15normal_iteratorINSA_7pointerIxNSA_11hip_rocprim3tagENSA_11use_defaultESG_EEEEPS6_NSA_18transform_iteratorINSA_8identityIxEENSC_INSA_10device_ptrIxEEEESG_SG_EENS0_5tupleIJPxSJ_EEENSR_IJSJ_SJ_EEES6_PlJS6_EEE10hipError_tPvRmT3_T4_T5_T6_T7_T9_mT8_P12ihipStream_tbDpT10_ENKUlT_T0_E_clISt17integral_constantIbLb1EES1F_EEDaS1A_S1B_EUlS1A_E_NS1_11comp_targetILNS1_3genE10ELNS1_11target_archE1200ELNS1_3gpuE4ELNS1_3repE0EEENS1_30default_config_static_selectorELNS0_4arch9wavefront6targetE1EEEvT1_,comdat
	.protected	_ZN7rocprim17ROCPRIM_400000_NS6detail17trampoline_kernelINS0_14default_configENS1_25partition_config_selectorILNS1_17partition_subalgoE2ExNS0_10empty_typeEbEEZZNS1_14partition_implILS5_2ELb0ES3_jN6thrust23THRUST_200600_302600_NS6detail15normal_iteratorINSA_7pointerIxNSA_11hip_rocprim3tagENSA_11use_defaultESG_EEEEPS6_NSA_18transform_iteratorINSA_8identityIxEENSC_INSA_10device_ptrIxEEEESG_SG_EENS0_5tupleIJPxSJ_EEENSR_IJSJ_SJ_EEES6_PlJS6_EEE10hipError_tPvRmT3_T4_T5_T6_T7_T9_mT8_P12ihipStream_tbDpT10_ENKUlT_T0_E_clISt17integral_constantIbLb1EES1F_EEDaS1A_S1B_EUlS1A_E_NS1_11comp_targetILNS1_3genE10ELNS1_11target_archE1200ELNS1_3gpuE4ELNS1_3repE0EEENS1_30default_config_static_selectorELNS0_4arch9wavefront6targetE1EEEvT1_ ; -- Begin function _ZN7rocprim17ROCPRIM_400000_NS6detail17trampoline_kernelINS0_14default_configENS1_25partition_config_selectorILNS1_17partition_subalgoE2ExNS0_10empty_typeEbEEZZNS1_14partition_implILS5_2ELb0ES3_jN6thrust23THRUST_200600_302600_NS6detail15normal_iteratorINSA_7pointerIxNSA_11hip_rocprim3tagENSA_11use_defaultESG_EEEEPS6_NSA_18transform_iteratorINSA_8identityIxEENSC_INSA_10device_ptrIxEEEESG_SG_EENS0_5tupleIJPxSJ_EEENSR_IJSJ_SJ_EEES6_PlJS6_EEE10hipError_tPvRmT3_T4_T5_T6_T7_T9_mT8_P12ihipStream_tbDpT10_ENKUlT_T0_E_clISt17integral_constantIbLb1EES1F_EEDaS1A_S1B_EUlS1A_E_NS1_11comp_targetILNS1_3genE10ELNS1_11target_archE1200ELNS1_3gpuE4ELNS1_3repE0EEENS1_30default_config_static_selectorELNS0_4arch9wavefront6targetE1EEEvT1_
	.globl	_ZN7rocprim17ROCPRIM_400000_NS6detail17trampoline_kernelINS0_14default_configENS1_25partition_config_selectorILNS1_17partition_subalgoE2ExNS0_10empty_typeEbEEZZNS1_14partition_implILS5_2ELb0ES3_jN6thrust23THRUST_200600_302600_NS6detail15normal_iteratorINSA_7pointerIxNSA_11hip_rocprim3tagENSA_11use_defaultESG_EEEEPS6_NSA_18transform_iteratorINSA_8identityIxEENSC_INSA_10device_ptrIxEEEESG_SG_EENS0_5tupleIJPxSJ_EEENSR_IJSJ_SJ_EEES6_PlJS6_EEE10hipError_tPvRmT3_T4_T5_T6_T7_T9_mT8_P12ihipStream_tbDpT10_ENKUlT_T0_E_clISt17integral_constantIbLb1EES1F_EEDaS1A_S1B_EUlS1A_E_NS1_11comp_targetILNS1_3genE10ELNS1_11target_archE1200ELNS1_3gpuE4ELNS1_3repE0EEENS1_30default_config_static_selectorELNS0_4arch9wavefront6targetE1EEEvT1_
	.p2align	8
	.type	_ZN7rocprim17ROCPRIM_400000_NS6detail17trampoline_kernelINS0_14default_configENS1_25partition_config_selectorILNS1_17partition_subalgoE2ExNS0_10empty_typeEbEEZZNS1_14partition_implILS5_2ELb0ES3_jN6thrust23THRUST_200600_302600_NS6detail15normal_iteratorINSA_7pointerIxNSA_11hip_rocprim3tagENSA_11use_defaultESG_EEEEPS6_NSA_18transform_iteratorINSA_8identityIxEENSC_INSA_10device_ptrIxEEEESG_SG_EENS0_5tupleIJPxSJ_EEENSR_IJSJ_SJ_EEES6_PlJS6_EEE10hipError_tPvRmT3_T4_T5_T6_T7_T9_mT8_P12ihipStream_tbDpT10_ENKUlT_T0_E_clISt17integral_constantIbLb1EES1F_EEDaS1A_S1B_EUlS1A_E_NS1_11comp_targetILNS1_3genE10ELNS1_11target_archE1200ELNS1_3gpuE4ELNS1_3repE0EEENS1_30default_config_static_selectorELNS0_4arch9wavefront6targetE1EEEvT1_,@function
_ZN7rocprim17ROCPRIM_400000_NS6detail17trampoline_kernelINS0_14default_configENS1_25partition_config_selectorILNS1_17partition_subalgoE2ExNS0_10empty_typeEbEEZZNS1_14partition_implILS5_2ELb0ES3_jN6thrust23THRUST_200600_302600_NS6detail15normal_iteratorINSA_7pointerIxNSA_11hip_rocprim3tagENSA_11use_defaultESG_EEEEPS6_NSA_18transform_iteratorINSA_8identityIxEENSC_INSA_10device_ptrIxEEEESG_SG_EENS0_5tupleIJPxSJ_EEENSR_IJSJ_SJ_EEES6_PlJS6_EEE10hipError_tPvRmT3_T4_T5_T6_T7_T9_mT8_P12ihipStream_tbDpT10_ENKUlT_T0_E_clISt17integral_constantIbLb1EES1F_EEDaS1A_S1B_EUlS1A_E_NS1_11comp_targetILNS1_3genE10ELNS1_11target_archE1200ELNS1_3gpuE4ELNS1_3repE0EEENS1_30default_config_static_selectorELNS0_4arch9wavefront6targetE1EEEvT1_: ; @_ZN7rocprim17ROCPRIM_400000_NS6detail17trampoline_kernelINS0_14default_configENS1_25partition_config_selectorILNS1_17partition_subalgoE2ExNS0_10empty_typeEbEEZZNS1_14partition_implILS5_2ELb0ES3_jN6thrust23THRUST_200600_302600_NS6detail15normal_iteratorINSA_7pointerIxNSA_11hip_rocprim3tagENSA_11use_defaultESG_EEEEPS6_NSA_18transform_iteratorINSA_8identityIxEENSC_INSA_10device_ptrIxEEEESG_SG_EENS0_5tupleIJPxSJ_EEENSR_IJSJ_SJ_EEES6_PlJS6_EEE10hipError_tPvRmT3_T4_T5_T6_T7_T9_mT8_P12ihipStream_tbDpT10_ENKUlT_T0_E_clISt17integral_constantIbLb1EES1F_EEDaS1A_S1B_EUlS1A_E_NS1_11comp_targetILNS1_3genE10ELNS1_11target_archE1200ELNS1_3gpuE4ELNS1_3repE0EEENS1_30default_config_static_selectorELNS0_4arch9wavefront6targetE1EEEvT1_
; %bb.0:
	.section	.rodata,"a",@progbits
	.p2align	6, 0x0
	.amdhsa_kernel _ZN7rocprim17ROCPRIM_400000_NS6detail17trampoline_kernelINS0_14default_configENS1_25partition_config_selectorILNS1_17partition_subalgoE2ExNS0_10empty_typeEbEEZZNS1_14partition_implILS5_2ELb0ES3_jN6thrust23THRUST_200600_302600_NS6detail15normal_iteratorINSA_7pointerIxNSA_11hip_rocprim3tagENSA_11use_defaultESG_EEEEPS6_NSA_18transform_iteratorINSA_8identityIxEENSC_INSA_10device_ptrIxEEEESG_SG_EENS0_5tupleIJPxSJ_EEENSR_IJSJ_SJ_EEES6_PlJS6_EEE10hipError_tPvRmT3_T4_T5_T6_T7_T9_mT8_P12ihipStream_tbDpT10_ENKUlT_T0_E_clISt17integral_constantIbLb1EES1F_EEDaS1A_S1B_EUlS1A_E_NS1_11comp_targetILNS1_3genE10ELNS1_11target_archE1200ELNS1_3gpuE4ELNS1_3repE0EEENS1_30default_config_static_selectorELNS0_4arch9wavefront6targetE1EEEvT1_
		.amdhsa_group_segment_fixed_size 0
		.amdhsa_private_segment_fixed_size 0
		.amdhsa_kernarg_size 144
		.amdhsa_user_sgpr_count 6
		.amdhsa_user_sgpr_private_segment_buffer 1
		.amdhsa_user_sgpr_dispatch_ptr 0
		.amdhsa_user_sgpr_queue_ptr 0
		.amdhsa_user_sgpr_kernarg_segment_ptr 1
		.amdhsa_user_sgpr_dispatch_id 0
		.amdhsa_user_sgpr_flat_scratch_init 0
		.amdhsa_user_sgpr_kernarg_preload_length 0
		.amdhsa_user_sgpr_kernarg_preload_offset 0
		.amdhsa_user_sgpr_private_segment_size 0
		.amdhsa_uses_dynamic_stack 0
		.amdhsa_system_sgpr_private_segment_wavefront_offset 0
		.amdhsa_system_sgpr_workgroup_id_x 1
		.amdhsa_system_sgpr_workgroup_id_y 0
		.amdhsa_system_sgpr_workgroup_id_z 0
		.amdhsa_system_sgpr_workgroup_info 0
		.amdhsa_system_vgpr_workitem_id 0
		.amdhsa_next_free_vgpr 1
		.amdhsa_next_free_sgpr 0
		.amdhsa_accum_offset 4
		.amdhsa_reserve_vcc 0
		.amdhsa_reserve_flat_scratch 0
		.amdhsa_float_round_mode_32 0
		.amdhsa_float_round_mode_16_64 0
		.amdhsa_float_denorm_mode_32 3
		.amdhsa_float_denorm_mode_16_64 3
		.amdhsa_dx10_clamp 1
		.amdhsa_ieee_mode 1
		.amdhsa_fp16_overflow 0
		.amdhsa_tg_split 0
		.amdhsa_exception_fp_ieee_invalid_op 0
		.amdhsa_exception_fp_denorm_src 0
		.amdhsa_exception_fp_ieee_div_zero 0
		.amdhsa_exception_fp_ieee_overflow 0
		.amdhsa_exception_fp_ieee_underflow 0
		.amdhsa_exception_fp_ieee_inexact 0
		.amdhsa_exception_int_div_zero 0
	.end_amdhsa_kernel
	.section	.text._ZN7rocprim17ROCPRIM_400000_NS6detail17trampoline_kernelINS0_14default_configENS1_25partition_config_selectorILNS1_17partition_subalgoE2ExNS0_10empty_typeEbEEZZNS1_14partition_implILS5_2ELb0ES3_jN6thrust23THRUST_200600_302600_NS6detail15normal_iteratorINSA_7pointerIxNSA_11hip_rocprim3tagENSA_11use_defaultESG_EEEEPS6_NSA_18transform_iteratorINSA_8identityIxEENSC_INSA_10device_ptrIxEEEESG_SG_EENS0_5tupleIJPxSJ_EEENSR_IJSJ_SJ_EEES6_PlJS6_EEE10hipError_tPvRmT3_T4_T5_T6_T7_T9_mT8_P12ihipStream_tbDpT10_ENKUlT_T0_E_clISt17integral_constantIbLb1EES1F_EEDaS1A_S1B_EUlS1A_E_NS1_11comp_targetILNS1_3genE10ELNS1_11target_archE1200ELNS1_3gpuE4ELNS1_3repE0EEENS1_30default_config_static_selectorELNS0_4arch9wavefront6targetE1EEEvT1_,"axG",@progbits,_ZN7rocprim17ROCPRIM_400000_NS6detail17trampoline_kernelINS0_14default_configENS1_25partition_config_selectorILNS1_17partition_subalgoE2ExNS0_10empty_typeEbEEZZNS1_14partition_implILS5_2ELb0ES3_jN6thrust23THRUST_200600_302600_NS6detail15normal_iteratorINSA_7pointerIxNSA_11hip_rocprim3tagENSA_11use_defaultESG_EEEEPS6_NSA_18transform_iteratorINSA_8identityIxEENSC_INSA_10device_ptrIxEEEESG_SG_EENS0_5tupleIJPxSJ_EEENSR_IJSJ_SJ_EEES6_PlJS6_EEE10hipError_tPvRmT3_T4_T5_T6_T7_T9_mT8_P12ihipStream_tbDpT10_ENKUlT_T0_E_clISt17integral_constantIbLb1EES1F_EEDaS1A_S1B_EUlS1A_E_NS1_11comp_targetILNS1_3genE10ELNS1_11target_archE1200ELNS1_3gpuE4ELNS1_3repE0EEENS1_30default_config_static_selectorELNS0_4arch9wavefront6targetE1EEEvT1_,comdat
.Lfunc_end494:
	.size	_ZN7rocprim17ROCPRIM_400000_NS6detail17trampoline_kernelINS0_14default_configENS1_25partition_config_selectorILNS1_17partition_subalgoE2ExNS0_10empty_typeEbEEZZNS1_14partition_implILS5_2ELb0ES3_jN6thrust23THRUST_200600_302600_NS6detail15normal_iteratorINSA_7pointerIxNSA_11hip_rocprim3tagENSA_11use_defaultESG_EEEEPS6_NSA_18transform_iteratorINSA_8identityIxEENSC_INSA_10device_ptrIxEEEESG_SG_EENS0_5tupleIJPxSJ_EEENSR_IJSJ_SJ_EEES6_PlJS6_EEE10hipError_tPvRmT3_T4_T5_T6_T7_T9_mT8_P12ihipStream_tbDpT10_ENKUlT_T0_E_clISt17integral_constantIbLb1EES1F_EEDaS1A_S1B_EUlS1A_E_NS1_11comp_targetILNS1_3genE10ELNS1_11target_archE1200ELNS1_3gpuE4ELNS1_3repE0EEENS1_30default_config_static_selectorELNS0_4arch9wavefront6targetE1EEEvT1_, .Lfunc_end494-_ZN7rocprim17ROCPRIM_400000_NS6detail17trampoline_kernelINS0_14default_configENS1_25partition_config_selectorILNS1_17partition_subalgoE2ExNS0_10empty_typeEbEEZZNS1_14partition_implILS5_2ELb0ES3_jN6thrust23THRUST_200600_302600_NS6detail15normal_iteratorINSA_7pointerIxNSA_11hip_rocprim3tagENSA_11use_defaultESG_EEEEPS6_NSA_18transform_iteratorINSA_8identityIxEENSC_INSA_10device_ptrIxEEEESG_SG_EENS0_5tupleIJPxSJ_EEENSR_IJSJ_SJ_EEES6_PlJS6_EEE10hipError_tPvRmT3_T4_T5_T6_T7_T9_mT8_P12ihipStream_tbDpT10_ENKUlT_T0_E_clISt17integral_constantIbLb1EES1F_EEDaS1A_S1B_EUlS1A_E_NS1_11comp_targetILNS1_3genE10ELNS1_11target_archE1200ELNS1_3gpuE4ELNS1_3repE0EEENS1_30default_config_static_selectorELNS0_4arch9wavefront6targetE1EEEvT1_
                                        ; -- End function
	.section	.AMDGPU.csdata,"",@progbits
; Kernel info:
; codeLenInByte = 0
; NumSgprs: 4
; NumVgprs: 0
; NumAgprs: 0
; TotalNumVgprs: 0
; ScratchSize: 0
; MemoryBound: 0
; FloatMode: 240
; IeeeMode: 1
; LDSByteSize: 0 bytes/workgroup (compile time only)
; SGPRBlocks: 0
; VGPRBlocks: 0
; NumSGPRsForWavesPerEU: 4
; NumVGPRsForWavesPerEU: 1
; AccumOffset: 4
; Occupancy: 8
; WaveLimiterHint : 0
; COMPUTE_PGM_RSRC2:SCRATCH_EN: 0
; COMPUTE_PGM_RSRC2:USER_SGPR: 6
; COMPUTE_PGM_RSRC2:TRAP_HANDLER: 0
; COMPUTE_PGM_RSRC2:TGID_X_EN: 1
; COMPUTE_PGM_RSRC2:TGID_Y_EN: 0
; COMPUTE_PGM_RSRC2:TGID_Z_EN: 0
; COMPUTE_PGM_RSRC2:TIDIG_COMP_CNT: 0
; COMPUTE_PGM_RSRC3_GFX90A:ACCUM_OFFSET: 0
; COMPUTE_PGM_RSRC3_GFX90A:TG_SPLIT: 0
	.section	.text._ZN7rocprim17ROCPRIM_400000_NS6detail17trampoline_kernelINS0_14default_configENS1_25partition_config_selectorILNS1_17partition_subalgoE2ExNS0_10empty_typeEbEEZZNS1_14partition_implILS5_2ELb0ES3_jN6thrust23THRUST_200600_302600_NS6detail15normal_iteratorINSA_7pointerIxNSA_11hip_rocprim3tagENSA_11use_defaultESG_EEEEPS6_NSA_18transform_iteratorINSA_8identityIxEENSC_INSA_10device_ptrIxEEEESG_SG_EENS0_5tupleIJPxSJ_EEENSR_IJSJ_SJ_EEES6_PlJS6_EEE10hipError_tPvRmT3_T4_T5_T6_T7_T9_mT8_P12ihipStream_tbDpT10_ENKUlT_T0_E_clISt17integral_constantIbLb1EES1F_EEDaS1A_S1B_EUlS1A_E_NS1_11comp_targetILNS1_3genE9ELNS1_11target_archE1100ELNS1_3gpuE3ELNS1_3repE0EEENS1_30default_config_static_selectorELNS0_4arch9wavefront6targetE1EEEvT1_,"axG",@progbits,_ZN7rocprim17ROCPRIM_400000_NS6detail17trampoline_kernelINS0_14default_configENS1_25partition_config_selectorILNS1_17partition_subalgoE2ExNS0_10empty_typeEbEEZZNS1_14partition_implILS5_2ELb0ES3_jN6thrust23THRUST_200600_302600_NS6detail15normal_iteratorINSA_7pointerIxNSA_11hip_rocprim3tagENSA_11use_defaultESG_EEEEPS6_NSA_18transform_iteratorINSA_8identityIxEENSC_INSA_10device_ptrIxEEEESG_SG_EENS0_5tupleIJPxSJ_EEENSR_IJSJ_SJ_EEES6_PlJS6_EEE10hipError_tPvRmT3_T4_T5_T6_T7_T9_mT8_P12ihipStream_tbDpT10_ENKUlT_T0_E_clISt17integral_constantIbLb1EES1F_EEDaS1A_S1B_EUlS1A_E_NS1_11comp_targetILNS1_3genE9ELNS1_11target_archE1100ELNS1_3gpuE3ELNS1_3repE0EEENS1_30default_config_static_selectorELNS0_4arch9wavefront6targetE1EEEvT1_,comdat
	.protected	_ZN7rocprim17ROCPRIM_400000_NS6detail17trampoline_kernelINS0_14default_configENS1_25partition_config_selectorILNS1_17partition_subalgoE2ExNS0_10empty_typeEbEEZZNS1_14partition_implILS5_2ELb0ES3_jN6thrust23THRUST_200600_302600_NS6detail15normal_iteratorINSA_7pointerIxNSA_11hip_rocprim3tagENSA_11use_defaultESG_EEEEPS6_NSA_18transform_iteratorINSA_8identityIxEENSC_INSA_10device_ptrIxEEEESG_SG_EENS0_5tupleIJPxSJ_EEENSR_IJSJ_SJ_EEES6_PlJS6_EEE10hipError_tPvRmT3_T4_T5_T6_T7_T9_mT8_P12ihipStream_tbDpT10_ENKUlT_T0_E_clISt17integral_constantIbLb1EES1F_EEDaS1A_S1B_EUlS1A_E_NS1_11comp_targetILNS1_3genE9ELNS1_11target_archE1100ELNS1_3gpuE3ELNS1_3repE0EEENS1_30default_config_static_selectorELNS0_4arch9wavefront6targetE1EEEvT1_ ; -- Begin function _ZN7rocprim17ROCPRIM_400000_NS6detail17trampoline_kernelINS0_14default_configENS1_25partition_config_selectorILNS1_17partition_subalgoE2ExNS0_10empty_typeEbEEZZNS1_14partition_implILS5_2ELb0ES3_jN6thrust23THRUST_200600_302600_NS6detail15normal_iteratorINSA_7pointerIxNSA_11hip_rocprim3tagENSA_11use_defaultESG_EEEEPS6_NSA_18transform_iteratorINSA_8identityIxEENSC_INSA_10device_ptrIxEEEESG_SG_EENS0_5tupleIJPxSJ_EEENSR_IJSJ_SJ_EEES6_PlJS6_EEE10hipError_tPvRmT3_T4_T5_T6_T7_T9_mT8_P12ihipStream_tbDpT10_ENKUlT_T0_E_clISt17integral_constantIbLb1EES1F_EEDaS1A_S1B_EUlS1A_E_NS1_11comp_targetILNS1_3genE9ELNS1_11target_archE1100ELNS1_3gpuE3ELNS1_3repE0EEENS1_30default_config_static_selectorELNS0_4arch9wavefront6targetE1EEEvT1_
	.globl	_ZN7rocprim17ROCPRIM_400000_NS6detail17trampoline_kernelINS0_14default_configENS1_25partition_config_selectorILNS1_17partition_subalgoE2ExNS0_10empty_typeEbEEZZNS1_14partition_implILS5_2ELb0ES3_jN6thrust23THRUST_200600_302600_NS6detail15normal_iteratorINSA_7pointerIxNSA_11hip_rocprim3tagENSA_11use_defaultESG_EEEEPS6_NSA_18transform_iteratorINSA_8identityIxEENSC_INSA_10device_ptrIxEEEESG_SG_EENS0_5tupleIJPxSJ_EEENSR_IJSJ_SJ_EEES6_PlJS6_EEE10hipError_tPvRmT3_T4_T5_T6_T7_T9_mT8_P12ihipStream_tbDpT10_ENKUlT_T0_E_clISt17integral_constantIbLb1EES1F_EEDaS1A_S1B_EUlS1A_E_NS1_11comp_targetILNS1_3genE9ELNS1_11target_archE1100ELNS1_3gpuE3ELNS1_3repE0EEENS1_30default_config_static_selectorELNS0_4arch9wavefront6targetE1EEEvT1_
	.p2align	8
	.type	_ZN7rocprim17ROCPRIM_400000_NS6detail17trampoline_kernelINS0_14default_configENS1_25partition_config_selectorILNS1_17partition_subalgoE2ExNS0_10empty_typeEbEEZZNS1_14partition_implILS5_2ELb0ES3_jN6thrust23THRUST_200600_302600_NS6detail15normal_iteratorINSA_7pointerIxNSA_11hip_rocprim3tagENSA_11use_defaultESG_EEEEPS6_NSA_18transform_iteratorINSA_8identityIxEENSC_INSA_10device_ptrIxEEEESG_SG_EENS0_5tupleIJPxSJ_EEENSR_IJSJ_SJ_EEES6_PlJS6_EEE10hipError_tPvRmT3_T4_T5_T6_T7_T9_mT8_P12ihipStream_tbDpT10_ENKUlT_T0_E_clISt17integral_constantIbLb1EES1F_EEDaS1A_S1B_EUlS1A_E_NS1_11comp_targetILNS1_3genE9ELNS1_11target_archE1100ELNS1_3gpuE3ELNS1_3repE0EEENS1_30default_config_static_selectorELNS0_4arch9wavefront6targetE1EEEvT1_,@function
_ZN7rocprim17ROCPRIM_400000_NS6detail17trampoline_kernelINS0_14default_configENS1_25partition_config_selectorILNS1_17partition_subalgoE2ExNS0_10empty_typeEbEEZZNS1_14partition_implILS5_2ELb0ES3_jN6thrust23THRUST_200600_302600_NS6detail15normal_iteratorINSA_7pointerIxNSA_11hip_rocprim3tagENSA_11use_defaultESG_EEEEPS6_NSA_18transform_iteratorINSA_8identityIxEENSC_INSA_10device_ptrIxEEEESG_SG_EENS0_5tupleIJPxSJ_EEENSR_IJSJ_SJ_EEES6_PlJS6_EEE10hipError_tPvRmT3_T4_T5_T6_T7_T9_mT8_P12ihipStream_tbDpT10_ENKUlT_T0_E_clISt17integral_constantIbLb1EES1F_EEDaS1A_S1B_EUlS1A_E_NS1_11comp_targetILNS1_3genE9ELNS1_11target_archE1100ELNS1_3gpuE3ELNS1_3repE0EEENS1_30default_config_static_selectorELNS0_4arch9wavefront6targetE1EEEvT1_: ; @_ZN7rocprim17ROCPRIM_400000_NS6detail17trampoline_kernelINS0_14default_configENS1_25partition_config_selectorILNS1_17partition_subalgoE2ExNS0_10empty_typeEbEEZZNS1_14partition_implILS5_2ELb0ES3_jN6thrust23THRUST_200600_302600_NS6detail15normal_iteratorINSA_7pointerIxNSA_11hip_rocprim3tagENSA_11use_defaultESG_EEEEPS6_NSA_18transform_iteratorINSA_8identityIxEENSC_INSA_10device_ptrIxEEEESG_SG_EENS0_5tupleIJPxSJ_EEENSR_IJSJ_SJ_EEES6_PlJS6_EEE10hipError_tPvRmT3_T4_T5_T6_T7_T9_mT8_P12ihipStream_tbDpT10_ENKUlT_T0_E_clISt17integral_constantIbLb1EES1F_EEDaS1A_S1B_EUlS1A_E_NS1_11comp_targetILNS1_3genE9ELNS1_11target_archE1100ELNS1_3gpuE3ELNS1_3repE0EEENS1_30default_config_static_selectorELNS0_4arch9wavefront6targetE1EEEvT1_
; %bb.0:
	.section	.rodata,"a",@progbits
	.p2align	6, 0x0
	.amdhsa_kernel _ZN7rocprim17ROCPRIM_400000_NS6detail17trampoline_kernelINS0_14default_configENS1_25partition_config_selectorILNS1_17partition_subalgoE2ExNS0_10empty_typeEbEEZZNS1_14partition_implILS5_2ELb0ES3_jN6thrust23THRUST_200600_302600_NS6detail15normal_iteratorINSA_7pointerIxNSA_11hip_rocprim3tagENSA_11use_defaultESG_EEEEPS6_NSA_18transform_iteratorINSA_8identityIxEENSC_INSA_10device_ptrIxEEEESG_SG_EENS0_5tupleIJPxSJ_EEENSR_IJSJ_SJ_EEES6_PlJS6_EEE10hipError_tPvRmT3_T4_T5_T6_T7_T9_mT8_P12ihipStream_tbDpT10_ENKUlT_T0_E_clISt17integral_constantIbLb1EES1F_EEDaS1A_S1B_EUlS1A_E_NS1_11comp_targetILNS1_3genE9ELNS1_11target_archE1100ELNS1_3gpuE3ELNS1_3repE0EEENS1_30default_config_static_selectorELNS0_4arch9wavefront6targetE1EEEvT1_
		.amdhsa_group_segment_fixed_size 0
		.amdhsa_private_segment_fixed_size 0
		.amdhsa_kernarg_size 144
		.amdhsa_user_sgpr_count 6
		.amdhsa_user_sgpr_private_segment_buffer 1
		.amdhsa_user_sgpr_dispatch_ptr 0
		.amdhsa_user_sgpr_queue_ptr 0
		.amdhsa_user_sgpr_kernarg_segment_ptr 1
		.amdhsa_user_sgpr_dispatch_id 0
		.amdhsa_user_sgpr_flat_scratch_init 0
		.amdhsa_user_sgpr_kernarg_preload_length 0
		.amdhsa_user_sgpr_kernarg_preload_offset 0
		.amdhsa_user_sgpr_private_segment_size 0
		.amdhsa_uses_dynamic_stack 0
		.amdhsa_system_sgpr_private_segment_wavefront_offset 0
		.amdhsa_system_sgpr_workgroup_id_x 1
		.amdhsa_system_sgpr_workgroup_id_y 0
		.amdhsa_system_sgpr_workgroup_id_z 0
		.amdhsa_system_sgpr_workgroup_info 0
		.amdhsa_system_vgpr_workitem_id 0
		.amdhsa_next_free_vgpr 1
		.amdhsa_next_free_sgpr 0
		.amdhsa_accum_offset 4
		.amdhsa_reserve_vcc 0
		.amdhsa_reserve_flat_scratch 0
		.amdhsa_float_round_mode_32 0
		.amdhsa_float_round_mode_16_64 0
		.amdhsa_float_denorm_mode_32 3
		.amdhsa_float_denorm_mode_16_64 3
		.amdhsa_dx10_clamp 1
		.amdhsa_ieee_mode 1
		.amdhsa_fp16_overflow 0
		.amdhsa_tg_split 0
		.amdhsa_exception_fp_ieee_invalid_op 0
		.amdhsa_exception_fp_denorm_src 0
		.amdhsa_exception_fp_ieee_div_zero 0
		.amdhsa_exception_fp_ieee_overflow 0
		.amdhsa_exception_fp_ieee_underflow 0
		.amdhsa_exception_fp_ieee_inexact 0
		.amdhsa_exception_int_div_zero 0
	.end_amdhsa_kernel
	.section	.text._ZN7rocprim17ROCPRIM_400000_NS6detail17trampoline_kernelINS0_14default_configENS1_25partition_config_selectorILNS1_17partition_subalgoE2ExNS0_10empty_typeEbEEZZNS1_14partition_implILS5_2ELb0ES3_jN6thrust23THRUST_200600_302600_NS6detail15normal_iteratorINSA_7pointerIxNSA_11hip_rocprim3tagENSA_11use_defaultESG_EEEEPS6_NSA_18transform_iteratorINSA_8identityIxEENSC_INSA_10device_ptrIxEEEESG_SG_EENS0_5tupleIJPxSJ_EEENSR_IJSJ_SJ_EEES6_PlJS6_EEE10hipError_tPvRmT3_T4_T5_T6_T7_T9_mT8_P12ihipStream_tbDpT10_ENKUlT_T0_E_clISt17integral_constantIbLb1EES1F_EEDaS1A_S1B_EUlS1A_E_NS1_11comp_targetILNS1_3genE9ELNS1_11target_archE1100ELNS1_3gpuE3ELNS1_3repE0EEENS1_30default_config_static_selectorELNS0_4arch9wavefront6targetE1EEEvT1_,"axG",@progbits,_ZN7rocprim17ROCPRIM_400000_NS6detail17trampoline_kernelINS0_14default_configENS1_25partition_config_selectorILNS1_17partition_subalgoE2ExNS0_10empty_typeEbEEZZNS1_14partition_implILS5_2ELb0ES3_jN6thrust23THRUST_200600_302600_NS6detail15normal_iteratorINSA_7pointerIxNSA_11hip_rocprim3tagENSA_11use_defaultESG_EEEEPS6_NSA_18transform_iteratorINSA_8identityIxEENSC_INSA_10device_ptrIxEEEESG_SG_EENS0_5tupleIJPxSJ_EEENSR_IJSJ_SJ_EEES6_PlJS6_EEE10hipError_tPvRmT3_T4_T5_T6_T7_T9_mT8_P12ihipStream_tbDpT10_ENKUlT_T0_E_clISt17integral_constantIbLb1EES1F_EEDaS1A_S1B_EUlS1A_E_NS1_11comp_targetILNS1_3genE9ELNS1_11target_archE1100ELNS1_3gpuE3ELNS1_3repE0EEENS1_30default_config_static_selectorELNS0_4arch9wavefront6targetE1EEEvT1_,comdat
.Lfunc_end495:
	.size	_ZN7rocprim17ROCPRIM_400000_NS6detail17trampoline_kernelINS0_14default_configENS1_25partition_config_selectorILNS1_17partition_subalgoE2ExNS0_10empty_typeEbEEZZNS1_14partition_implILS5_2ELb0ES3_jN6thrust23THRUST_200600_302600_NS6detail15normal_iteratorINSA_7pointerIxNSA_11hip_rocprim3tagENSA_11use_defaultESG_EEEEPS6_NSA_18transform_iteratorINSA_8identityIxEENSC_INSA_10device_ptrIxEEEESG_SG_EENS0_5tupleIJPxSJ_EEENSR_IJSJ_SJ_EEES6_PlJS6_EEE10hipError_tPvRmT3_T4_T5_T6_T7_T9_mT8_P12ihipStream_tbDpT10_ENKUlT_T0_E_clISt17integral_constantIbLb1EES1F_EEDaS1A_S1B_EUlS1A_E_NS1_11comp_targetILNS1_3genE9ELNS1_11target_archE1100ELNS1_3gpuE3ELNS1_3repE0EEENS1_30default_config_static_selectorELNS0_4arch9wavefront6targetE1EEEvT1_, .Lfunc_end495-_ZN7rocprim17ROCPRIM_400000_NS6detail17trampoline_kernelINS0_14default_configENS1_25partition_config_selectorILNS1_17partition_subalgoE2ExNS0_10empty_typeEbEEZZNS1_14partition_implILS5_2ELb0ES3_jN6thrust23THRUST_200600_302600_NS6detail15normal_iteratorINSA_7pointerIxNSA_11hip_rocprim3tagENSA_11use_defaultESG_EEEEPS6_NSA_18transform_iteratorINSA_8identityIxEENSC_INSA_10device_ptrIxEEEESG_SG_EENS0_5tupleIJPxSJ_EEENSR_IJSJ_SJ_EEES6_PlJS6_EEE10hipError_tPvRmT3_T4_T5_T6_T7_T9_mT8_P12ihipStream_tbDpT10_ENKUlT_T0_E_clISt17integral_constantIbLb1EES1F_EEDaS1A_S1B_EUlS1A_E_NS1_11comp_targetILNS1_3genE9ELNS1_11target_archE1100ELNS1_3gpuE3ELNS1_3repE0EEENS1_30default_config_static_selectorELNS0_4arch9wavefront6targetE1EEEvT1_
                                        ; -- End function
	.section	.AMDGPU.csdata,"",@progbits
; Kernel info:
; codeLenInByte = 0
; NumSgprs: 4
; NumVgprs: 0
; NumAgprs: 0
; TotalNumVgprs: 0
; ScratchSize: 0
; MemoryBound: 0
; FloatMode: 240
; IeeeMode: 1
; LDSByteSize: 0 bytes/workgroup (compile time only)
; SGPRBlocks: 0
; VGPRBlocks: 0
; NumSGPRsForWavesPerEU: 4
; NumVGPRsForWavesPerEU: 1
; AccumOffset: 4
; Occupancy: 8
; WaveLimiterHint : 0
; COMPUTE_PGM_RSRC2:SCRATCH_EN: 0
; COMPUTE_PGM_RSRC2:USER_SGPR: 6
; COMPUTE_PGM_RSRC2:TRAP_HANDLER: 0
; COMPUTE_PGM_RSRC2:TGID_X_EN: 1
; COMPUTE_PGM_RSRC2:TGID_Y_EN: 0
; COMPUTE_PGM_RSRC2:TGID_Z_EN: 0
; COMPUTE_PGM_RSRC2:TIDIG_COMP_CNT: 0
; COMPUTE_PGM_RSRC3_GFX90A:ACCUM_OFFSET: 0
; COMPUTE_PGM_RSRC3_GFX90A:TG_SPLIT: 0
	.section	.text._ZN7rocprim17ROCPRIM_400000_NS6detail17trampoline_kernelINS0_14default_configENS1_25partition_config_selectorILNS1_17partition_subalgoE2ExNS0_10empty_typeEbEEZZNS1_14partition_implILS5_2ELb0ES3_jN6thrust23THRUST_200600_302600_NS6detail15normal_iteratorINSA_7pointerIxNSA_11hip_rocprim3tagENSA_11use_defaultESG_EEEEPS6_NSA_18transform_iteratorINSA_8identityIxEENSC_INSA_10device_ptrIxEEEESG_SG_EENS0_5tupleIJPxSJ_EEENSR_IJSJ_SJ_EEES6_PlJS6_EEE10hipError_tPvRmT3_T4_T5_T6_T7_T9_mT8_P12ihipStream_tbDpT10_ENKUlT_T0_E_clISt17integral_constantIbLb1EES1F_EEDaS1A_S1B_EUlS1A_E_NS1_11comp_targetILNS1_3genE8ELNS1_11target_archE1030ELNS1_3gpuE2ELNS1_3repE0EEENS1_30default_config_static_selectorELNS0_4arch9wavefront6targetE1EEEvT1_,"axG",@progbits,_ZN7rocprim17ROCPRIM_400000_NS6detail17trampoline_kernelINS0_14default_configENS1_25partition_config_selectorILNS1_17partition_subalgoE2ExNS0_10empty_typeEbEEZZNS1_14partition_implILS5_2ELb0ES3_jN6thrust23THRUST_200600_302600_NS6detail15normal_iteratorINSA_7pointerIxNSA_11hip_rocprim3tagENSA_11use_defaultESG_EEEEPS6_NSA_18transform_iteratorINSA_8identityIxEENSC_INSA_10device_ptrIxEEEESG_SG_EENS0_5tupleIJPxSJ_EEENSR_IJSJ_SJ_EEES6_PlJS6_EEE10hipError_tPvRmT3_T4_T5_T6_T7_T9_mT8_P12ihipStream_tbDpT10_ENKUlT_T0_E_clISt17integral_constantIbLb1EES1F_EEDaS1A_S1B_EUlS1A_E_NS1_11comp_targetILNS1_3genE8ELNS1_11target_archE1030ELNS1_3gpuE2ELNS1_3repE0EEENS1_30default_config_static_selectorELNS0_4arch9wavefront6targetE1EEEvT1_,comdat
	.protected	_ZN7rocprim17ROCPRIM_400000_NS6detail17trampoline_kernelINS0_14default_configENS1_25partition_config_selectorILNS1_17partition_subalgoE2ExNS0_10empty_typeEbEEZZNS1_14partition_implILS5_2ELb0ES3_jN6thrust23THRUST_200600_302600_NS6detail15normal_iteratorINSA_7pointerIxNSA_11hip_rocprim3tagENSA_11use_defaultESG_EEEEPS6_NSA_18transform_iteratorINSA_8identityIxEENSC_INSA_10device_ptrIxEEEESG_SG_EENS0_5tupleIJPxSJ_EEENSR_IJSJ_SJ_EEES6_PlJS6_EEE10hipError_tPvRmT3_T4_T5_T6_T7_T9_mT8_P12ihipStream_tbDpT10_ENKUlT_T0_E_clISt17integral_constantIbLb1EES1F_EEDaS1A_S1B_EUlS1A_E_NS1_11comp_targetILNS1_3genE8ELNS1_11target_archE1030ELNS1_3gpuE2ELNS1_3repE0EEENS1_30default_config_static_selectorELNS0_4arch9wavefront6targetE1EEEvT1_ ; -- Begin function _ZN7rocprim17ROCPRIM_400000_NS6detail17trampoline_kernelINS0_14default_configENS1_25partition_config_selectorILNS1_17partition_subalgoE2ExNS0_10empty_typeEbEEZZNS1_14partition_implILS5_2ELb0ES3_jN6thrust23THRUST_200600_302600_NS6detail15normal_iteratorINSA_7pointerIxNSA_11hip_rocprim3tagENSA_11use_defaultESG_EEEEPS6_NSA_18transform_iteratorINSA_8identityIxEENSC_INSA_10device_ptrIxEEEESG_SG_EENS0_5tupleIJPxSJ_EEENSR_IJSJ_SJ_EEES6_PlJS6_EEE10hipError_tPvRmT3_T4_T5_T6_T7_T9_mT8_P12ihipStream_tbDpT10_ENKUlT_T0_E_clISt17integral_constantIbLb1EES1F_EEDaS1A_S1B_EUlS1A_E_NS1_11comp_targetILNS1_3genE8ELNS1_11target_archE1030ELNS1_3gpuE2ELNS1_3repE0EEENS1_30default_config_static_selectorELNS0_4arch9wavefront6targetE1EEEvT1_
	.globl	_ZN7rocprim17ROCPRIM_400000_NS6detail17trampoline_kernelINS0_14default_configENS1_25partition_config_selectorILNS1_17partition_subalgoE2ExNS0_10empty_typeEbEEZZNS1_14partition_implILS5_2ELb0ES3_jN6thrust23THRUST_200600_302600_NS6detail15normal_iteratorINSA_7pointerIxNSA_11hip_rocprim3tagENSA_11use_defaultESG_EEEEPS6_NSA_18transform_iteratorINSA_8identityIxEENSC_INSA_10device_ptrIxEEEESG_SG_EENS0_5tupleIJPxSJ_EEENSR_IJSJ_SJ_EEES6_PlJS6_EEE10hipError_tPvRmT3_T4_T5_T6_T7_T9_mT8_P12ihipStream_tbDpT10_ENKUlT_T0_E_clISt17integral_constantIbLb1EES1F_EEDaS1A_S1B_EUlS1A_E_NS1_11comp_targetILNS1_3genE8ELNS1_11target_archE1030ELNS1_3gpuE2ELNS1_3repE0EEENS1_30default_config_static_selectorELNS0_4arch9wavefront6targetE1EEEvT1_
	.p2align	8
	.type	_ZN7rocprim17ROCPRIM_400000_NS6detail17trampoline_kernelINS0_14default_configENS1_25partition_config_selectorILNS1_17partition_subalgoE2ExNS0_10empty_typeEbEEZZNS1_14partition_implILS5_2ELb0ES3_jN6thrust23THRUST_200600_302600_NS6detail15normal_iteratorINSA_7pointerIxNSA_11hip_rocprim3tagENSA_11use_defaultESG_EEEEPS6_NSA_18transform_iteratorINSA_8identityIxEENSC_INSA_10device_ptrIxEEEESG_SG_EENS0_5tupleIJPxSJ_EEENSR_IJSJ_SJ_EEES6_PlJS6_EEE10hipError_tPvRmT3_T4_T5_T6_T7_T9_mT8_P12ihipStream_tbDpT10_ENKUlT_T0_E_clISt17integral_constantIbLb1EES1F_EEDaS1A_S1B_EUlS1A_E_NS1_11comp_targetILNS1_3genE8ELNS1_11target_archE1030ELNS1_3gpuE2ELNS1_3repE0EEENS1_30default_config_static_selectorELNS0_4arch9wavefront6targetE1EEEvT1_,@function
_ZN7rocprim17ROCPRIM_400000_NS6detail17trampoline_kernelINS0_14default_configENS1_25partition_config_selectorILNS1_17partition_subalgoE2ExNS0_10empty_typeEbEEZZNS1_14partition_implILS5_2ELb0ES3_jN6thrust23THRUST_200600_302600_NS6detail15normal_iteratorINSA_7pointerIxNSA_11hip_rocprim3tagENSA_11use_defaultESG_EEEEPS6_NSA_18transform_iteratorINSA_8identityIxEENSC_INSA_10device_ptrIxEEEESG_SG_EENS0_5tupleIJPxSJ_EEENSR_IJSJ_SJ_EEES6_PlJS6_EEE10hipError_tPvRmT3_T4_T5_T6_T7_T9_mT8_P12ihipStream_tbDpT10_ENKUlT_T0_E_clISt17integral_constantIbLb1EES1F_EEDaS1A_S1B_EUlS1A_E_NS1_11comp_targetILNS1_3genE8ELNS1_11target_archE1030ELNS1_3gpuE2ELNS1_3repE0EEENS1_30default_config_static_selectorELNS0_4arch9wavefront6targetE1EEEvT1_: ; @_ZN7rocprim17ROCPRIM_400000_NS6detail17trampoline_kernelINS0_14default_configENS1_25partition_config_selectorILNS1_17partition_subalgoE2ExNS0_10empty_typeEbEEZZNS1_14partition_implILS5_2ELb0ES3_jN6thrust23THRUST_200600_302600_NS6detail15normal_iteratorINSA_7pointerIxNSA_11hip_rocprim3tagENSA_11use_defaultESG_EEEEPS6_NSA_18transform_iteratorINSA_8identityIxEENSC_INSA_10device_ptrIxEEEESG_SG_EENS0_5tupleIJPxSJ_EEENSR_IJSJ_SJ_EEES6_PlJS6_EEE10hipError_tPvRmT3_T4_T5_T6_T7_T9_mT8_P12ihipStream_tbDpT10_ENKUlT_T0_E_clISt17integral_constantIbLb1EES1F_EEDaS1A_S1B_EUlS1A_E_NS1_11comp_targetILNS1_3genE8ELNS1_11target_archE1030ELNS1_3gpuE2ELNS1_3repE0EEENS1_30default_config_static_selectorELNS0_4arch9wavefront6targetE1EEEvT1_
; %bb.0:
	.section	.rodata,"a",@progbits
	.p2align	6, 0x0
	.amdhsa_kernel _ZN7rocprim17ROCPRIM_400000_NS6detail17trampoline_kernelINS0_14default_configENS1_25partition_config_selectorILNS1_17partition_subalgoE2ExNS0_10empty_typeEbEEZZNS1_14partition_implILS5_2ELb0ES3_jN6thrust23THRUST_200600_302600_NS6detail15normal_iteratorINSA_7pointerIxNSA_11hip_rocprim3tagENSA_11use_defaultESG_EEEEPS6_NSA_18transform_iteratorINSA_8identityIxEENSC_INSA_10device_ptrIxEEEESG_SG_EENS0_5tupleIJPxSJ_EEENSR_IJSJ_SJ_EEES6_PlJS6_EEE10hipError_tPvRmT3_T4_T5_T6_T7_T9_mT8_P12ihipStream_tbDpT10_ENKUlT_T0_E_clISt17integral_constantIbLb1EES1F_EEDaS1A_S1B_EUlS1A_E_NS1_11comp_targetILNS1_3genE8ELNS1_11target_archE1030ELNS1_3gpuE2ELNS1_3repE0EEENS1_30default_config_static_selectorELNS0_4arch9wavefront6targetE1EEEvT1_
		.amdhsa_group_segment_fixed_size 0
		.amdhsa_private_segment_fixed_size 0
		.amdhsa_kernarg_size 144
		.amdhsa_user_sgpr_count 6
		.amdhsa_user_sgpr_private_segment_buffer 1
		.amdhsa_user_sgpr_dispatch_ptr 0
		.amdhsa_user_sgpr_queue_ptr 0
		.amdhsa_user_sgpr_kernarg_segment_ptr 1
		.amdhsa_user_sgpr_dispatch_id 0
		.amdhsa_user_sgpr_flat_scratch_init 0
		.amdhsa_user_sgpr_kernarg_preload_length 0
		.amdhsa_user_sgpr_kernarg_preload_offset 0
		.amdhsa_user_sgpr_private_segment_size 0
		.amdhsa_uses_dynamic_stack 0
		.amdhsa_system_sgpr_private_segment_wavefront_offset 0
		.amdhsa_system_sgpr_workgroup_id_x 1
		.amdhsa_system_sgpr_workgroup_id_y 0
		.amdhsa_system_sgpr_workgroup_id_z 0
		.amdhsa_system_sgpr_workgroup_info 0
		.amdhsa_system_vgpr_workitem_id 0
		.amdhsa_next_free_vgpr 1
		.amdhsa_next_free_sgpr 0
		.amdhsa_accum_offset 4
		.amdhsa_reserve_vcc 0
		.amdhsa_reserve_flat_scratch 0
		.amdhsa_float_round_mode_32 0
		.amdhsa_float_round_mode_16_64 0
		.amdhsa_float_denorm_mode_32 3
		.amdhsa_float_denorm_mode_16_64 3
		.amdhsa_dx10_clamp 1
		.amdhsa_ieee_mode 1
		.amdhsa_fp16_overflow 0
		.amdhsa_tg_split 0
		.amdhsa_exception_fp_ieee_invalid_op 0
		.amdhsa_exception_fp_denorm_src 0
		.amdhsa_exception_fp_ieee_div_zero 0
		.amdhsa_exception_fp_ieee_overflow 0
		.amdhsa_exception_fp_ieee_underflow 0
		.amdhsa_exception_fp_ieee_inexact 0
		.amdhsa_exception_int_div_zero 0
	.end_amdhsa_kernel
	.section	.text._ZN7rocprim17ROCPRIM_400000_NS6detail17trampoline_kernelINS0_14default_configENS1_25partition_config_selectorILNS1_17partition_subalgoE2ExNS0_10empty_typeEbEEZZNS1_14partition_implILS5_2ELb0ES3_jN6thrust23THRUST_200600_302600_NS6detail15normal_iteratorINSA_7pointerIxNSA_11hip_rocprim3tagENSA_11use_defaultESG_EEEEPS6_NSA_18transform_iteratorINSA_8identityIxEENSC_INSA_10device_ptrIxEEEESG_SG_EENS0_5tupleIJPxSJ_EEENSR_IJSJ_SJ_EEES6_PlJS6_EEE10hipError_tPvRmT3_T4_T5_T6_T7_T9_mT8_P12ihipStream_tbDpT10_ENKUlT_T0_E_clISt17integral_constantIbLb1EES1F_EEDaS1A_S1B_EUlS1A_E_NS1_11comp_targetILNS1_3genE8ELNS1_11target_archE1030ELNS1_3gpuE2ELNS1_3repE0EEENS1_30default_config_static_selectorELNS0_4arch9wavefront6targetE1EEEvT1_,"axG",@progbits,_ZN7rocprim17ROCPRIM_400000_NS6detail17trampoline_kernelINS0_14default_configENS1_25partition_config_selectorILNS1_17partition_subalgoE2ExNS0_10empty_typeEbEEZZNS1_14partition_implILS5_2ELb0ES3_jN6thrust23THRUST_200600_302600_NS6detail15normal_iteratorINSA_7pointerIxNSA_11hip_rocprim3tagENSA_11use_defaultESG_EEEEPS6_NSA_18transform_iteratorINSA_8identityIxEENSC_INSA_10device_ptrIxEEEESG_SG_EENS0_5tupleIJPxSJ_EEENSR_IJSJ_SJ_EEES6_PlJS6_EEE10hipError_tPvRmT3_T4_T5_T6_T7_T9_mT8_P12ihipStream_tbDpT10_ENKUlT_T0_E_clISt17integral_constantIbLb1EES1F_EEDaS1A_S1B_EUlS1A_E_NS1_11comp_targetILNS1_3genE8ELNS1_11target_archE1030ELNS1_3gpuE2ELNS1_3repE0EEENS1_30default_config_static_selectorELNS0_4arch9wavefront6targetE1EEEvT1_,comdat
.Lfunc_end496:
	.size	_ZN7rocprim17ROCPRIM_400000_NS6detail17trampoline_kernelINS0_14default_configENS1_25partition_config_selectorILNS1_17partition_subalgoE2ExNS0_10empty_typeEbEEZZNS1_14partition_implILS5_2ELb0ES3_jN6thrust23THRUST_200600_302600_NS6detail15normal_iteratorINSA_7pointerIxNSA_11hip_rocprim3tagENSA_11use_defaultESG_EEEEPS6_NSA_18transform_iteratorINSA_8identityIxEENSC_INSA_10device_ptrIxEEEESG_SG_EENS0_5tupleIJPxSJ_EEENSR_IJSJ_SJ_EEES6_PlJS6_EEE10hipError_tPvRmT3_T4_T5_T6_T7_T9_mT8_P12ihipStream_tbDpT10_ENKUlT_T0_E_clISt17integral_constantIbLb1EES1F_EEDaS1A_S1B_EUlS1A_E_NS1_11comp_targetILNS1_3genE8ELNS1_11target_archE1030ELNS1_3gpuE2ELNS1_3repE0EEENS1_30default_config_static_selectorELNS0_4arch9wavefront6targetE1EEEvT1_, .Lfunc_end496-_ZN7rocprim17ROCPRIM_400000_NS6detail17trampoline_kernelINS0_14default_configENS1_25partition_config_selectorILNS1_17partition_subalgoE2ExNS0_10empty_typeEbEEZZNS1_14partition_implILS5_2ELb0ES3_jN6thrust23THRUST_200600_302600_NS6detail15normal_iteratorINSA_7pointerIxNSA_11hip_rocprim3tagENSA_11use_defaultESG_EEEEPS6_NSA_18transform_iteratorINSA_8identityIxEENSC_INSA_10device_ptrIxEEEESG_SG_EENS0_5tupleIJPxSJ_EEENSR_IJSJ_SJ_EEES6_PlJS6_EEE10hipError_tPvRmT3_T4_T5_T6_T7_T9_mT8_P12ihipStream_tbDpT10_ENKUlT_T0_E_clISt17integral_constantIbLb1EES1F_EEDaS1A_S1B_EUlS1A_E_NS1_11comp_targetILNS1_3genE8ELNS1_11target_archE1030ELNS1_3gpuE2ELNS1_3repE0EEENS1_30default_config_static_selectorELNS0_4arch9wavefront6targetE1EEEvT1_
                                        ; -- End function
	.section	.AMDGPU.csdata,"",@progbits
; Kernel info:
; codeLenInByte = 0
; NumSgprs: 4
; NumVgprs: 0
; NumAgprs: 0
; TotalNumVgprs: 0
; ScratchSize: 0
; MemoryBound: 0
; FloatMode: 240
; IeeeMode: 1
; LDSByteSize: 0 bytes/workgroup (compile time only)
; SGPRBlocks: 0
; VGPRBlocks: 0
; NumSGPRsForWavesPerEU: 4
; NumVGPRsForWavesPerEU: 1
; AccumOffset: 4
; Occupancy: 8
; WaveLimiterHint : 0
; COMPUTE_PGM_RSRC2:SCRATCH_EN: 0
; COMPUTE_PGM_RSRC2:USER_SGPR: 6
; COMPUTE_PGM_RSRC2:TRAP_HANDLER: 0
; COMPUTE_PGM_RSRC2:TGID_X_EN: 1
; COMPUTE_PGM_RSRC2:TGID_Y_EN: 0
; COMPUTE_PGM_RSRC2:TGID_Z_EN: 0
; COMPUTE_PGM_RSRC2:TIDIG_COMP_CNT: 0
; COMPUTE_PGM_RSRC3_GFX90A:ACCUM_OFFSET: 0
; COMPUTE_PGM_RSRC3_GFX90A:TG_SPLIT: 0
	.section	.text._ZN7rocprim17ROCPRIM_400000_NS6detail17trampoline_kernelINS0_14default_configENS1_25partition_config_selectorILNS1_17partition_subalgoE2ExNS0_10empty_typeEbEEZZNS1_14partition_implILS5_2ELb0ES3_jN6thrust23THRUST_200600_302600_NS6detail15normal_iteratorINSA_7pointerIxNSA_11hip_rocprim3tagENSA_11use_defaultESG_EEEEPS6_NSA_18transform_iteratorINSA_8identityIxEENSC_INSA_10device_ptrIxEEEESG_SG_EENS0_5tupleIJPxSJ_EEENSR_IJSJ_SJ_EEES6_PlJS6_EEE10hipError_tPvRmT3_T4_T5_T6_T7_T9_mT8_P12ihipStream_tbDpT10_ENKUlT_T0_E_clISt17integral_constantIbLb1EES1E_IbLb0EEEEDaS1A_S1B_EUlS1A_E_NS1_11comp_targetILNS1_3genE0ELNS1_11target_archE4294967295ELNS1_3gpuE0ELNS1_3repE0EEENS1_30default_config_static_selectorELNS0_4arch9wavefront6targetE1EEEvT1_,"axG",@progbits,_ZN7rocprim17ROCPRIM_400000_NS6detail17trampoline_kernelINS0_14default_configENS1_25partition_config_selectorILNS1_17partition_subalgoE2ExNS0_10empty_typeEbEEZZNS1_14partition_implILS5_2ELb0ES3_jN6thrust23THRUST_200600_302600_NS6detail15normal_iteratorINSA_7pointerIxNSA_11hip_rocprim3tagENSA_11use_defaultESG_EEEEPS6_NSA_18transform_iteratorINSA_8identityIxEENSC_INSA_10device_ptrIxEEEESG_SG_EENS0_5tupleIJPxSJ_EEENSR_IJSJ_SJ_EEES6_PlJS6_EEE10hipError_tPvRmT3_T4_T5_T6_T7_T9_mT8_P12ihipStream_tbDpT10_ENKUlT_T0_E_clISt17integral_constantIbLb1EES1E_IbLb0EEEEDaS1A_S1B_EUlS1A_E_NS1_11comp_targetILNS1_3genE0ELNS1_11target_archE4294967295ELNS1_3gpuE0ELNS1_3repE0EEENS1_30default_config_static_selectorELNS0_4arch9wavefront6targetE1EEEvT1_,comdat
	.protected	_ZN7rocprim17ROCPRIM_400000_NS6detail17trampoline_kernelINS0_14default_configENS1_25partition_config_selectorILNS1_17partition_subalgoE2ExNS0_10empty_typeEbEEZZNS1_14partition_implILS5_2ELb0ES3_jN6thrust23THRUST_200600_302600_NS6detail15normal_iteratorINSA_7pointerIxNSA_11hip_rocprim3tagENSA_11use_defaultESG_EEEEPS6_NSA_18transform_iteratorINSA_8identityIxEENSC_INSA_10device_ptrIxEEEESG_SG_EENS0_5tupleIJPxSJ_EEENSR_IJSJ_SJ_EEES6_PlJS6_EEE10hipError_tPvRmT3_T4_T5_T6_T7_T9_mT8_P12ihipStream_tbDpT10_ENKUlT_T0_E_clISt17integral_constantIbLb1EES1E_IbLb0EEEEDaS1A_S1B_EUlS1A_E_NS1_11comp_targetILNS1_3genE0ELNS1_11target_archE4294967295ELNS1_3gpuE0ELNS1_3repE0EEENS1_30default_config_static_selectorELNS0_4arch9wavefront6targetE1EEEvT1_ ; -- Begin function _ZN7rocprim17ROCPRIM_400000_NS6detail17trampoline_kernelINS0_14default_configENS1_25partition_config_selectorILNS1_17partition_subalgoE2ExNS0_10empty_typeEbEEZZNS1_14partition_implILS5_2ELb0ES3_jN6thrust23THRUST_200600_302600_NS6detail15normal_iteratorINSA_7pointerIxNSA_11hip_rocprim3tagENSA_11use_defaultESG_EEEEPS6_NSA_18transform_iteratorINSA_8identityIxEENSC_INSA_10device_ptrIxEEEESG_SG_EENS0_5tupleIJPxSJ_EEENSR_IJSJ_SJ_EEES6_PlJS6_EEE10hipError_tPvRmT3_T4_T5_T6_T7_T9_mT8_P12ihipStream_tbDpT10_ENKUlT_T0_E_clISt17integral_constantIbLb1EES1E_IbLb0EEEEDaS1A_S1B_EUlS1A_E_NS1_11comp_targetILNS1_3genE0ELNS1_11target_archE4294967295ELNS1_3gpuE0ELNS1_3repE0EEENS1_30default_config_static_selectorELNS0_4arch9wavefront6targetE1EEEvT1_
	.globl	_ZN7rocprim17ROCPRIM_400000_NS6detail17trampoline_kernelINS0_14default_configENS1_25partition_config_selectorILNS1_17partition_subalgoE2ExNS0_10empty_typeEbEEZZNS1_14partition_implILS5_2ELb0ES3_jN6thrust23THRUST_200600_302600_NS6detail15normal_iteratorINSA_7pointerIxNSA_11hip_rocprim3tagENSA_11use_defaultESG_EEEEPS6_NSA_18transform_iteratorINSA_8identityIxEENSC_INSA_10device_ptrIxEEEESG_SG_EENS0_5tupleIJPxSJ_EEENSR_IJSJ_SJ_EEES6_PlJS6_EEE10hipError_tPvRmT3_T4_T5_T6_T7_T9_mT8_P12ihipStream_tbDpT10_ENKUlT_T0_E_clISt17integral_constantIbLb1EES1E_IbLb0EEEEDaS1A_S1B_EUlS1A_E_NS1_11comp_targetILNS1_3genE0ELNS1_11target_archE4294967295ELNS1_3gpuE0ELNS1_3repE0EEENS1_30default_config_static_selectorELNS0_4arch9wavefront6targetE1EEEvT1_
	.p2align	8
	.type	_ZN7rocprim17ROCPRIM_400000_NS6detail17trampoline_kernelINS0_14default_configENS1_25partition_config_selectorILNS1_17partition_subalgoE2ExNS0_10empty_typeEbEEZZNS1_14partition_implILS5_2ELb0ES3_jN6thrust23THRUST_200600_302600_NS6detail15normal_iteratorINSA_7pointerIxNSA_11hip_rocprim3tagENSA_11use_defaultESG_EEEEPS6_NSA_18transform_iteratorINSA_8identityIxEENSC_INSA_10device_ptrIxEEEESG_SG_EENS0_5tupleIJPxSJ_EEENSR_IJSJ_SJ_EEES6_PlJS6_EEE10hipError_tPvRmT3_T4_T5_T6_T7_T9_mT8_P12ihipStream_tbDpT10_ENKUlT_T0_E_clISt17integral_constantIbLb1EES1E_IbLb0EEEEDaS1A_S1B_EUlS1A_E_NS1_11comp_targetILNS1_3genE0ELNS1_11target_archE4294967295ELNS1_3gpuE0ELNS1_3repE0EEENS1_30default_config_static_selectorELNS0_4arch9wavefront6targetE1EEEvT1_,@function
_ZN7rocprim17ROCPRIM_400000_NS6detail17trampoline_kernelINS0_14default_configENS1_25partition_config_selectorILNS1_17partition_subalgoE2ExNS0_10empty_typeEbEEZZNS1_14partition_implILS5_2ELb0ES3_jN6thrust23THRUST_200600_302600_NS6detail15normal_iteratorINSA_7pointerIxNSA_11hip_rocprim3tagENSA_11use_defaultESG_EEEEPS6_NSA_18transform_iteratorINSA_8identityIxEENSC_INSA_10device_ptrIxEEEESG_SG_EENS0_5tupleIJPxSJ_EEENSR_IJSJ_SJ_EEES6_PlJS6_EEE10hipError_tPvRmT3_T4_T5_T6_T7_T9_mT8_P12ihipStream_tbDpT10_ENKUlT_T0_E_clISt17integral_constantIbLb1EES1E_IbLb0EEEEDaS1A_S1B_EUlS1A_E_NS1_11comp_targetILNS1_3genE0ELNS1_11target_archE4294967295ELNS1_3gpuE0ELNS1_3repE0EEENS1_30default_config_static_selectorELNS0_4arch9wavefront6targetE1EEEvT1_: ; @_ZN7rocprim17ROCPRIM_400000_NS6detail17trampoline_kernelINS0_14default_configENS1_25partition_config_selectorILNS1_17partition_subalgoE2ExNS0_10empty_typeEbEEZZNS1_14partition_implILS5_2ELb0ES3_jN6thrust23THRUST_200600_302600_NS6detail15normal_iteratorINSA_7pointerIxNSA_11hip_rocprim3tagENSA_11use_defaultESG_EEEEPS6_NSA_18transform_iteratorINSA_8identityIxEENSC_INSA_10device_ptrIxEEEESG_SG_EENS0_5tupleIJPxSJ_EEENSR_IJSJ_SJ_EEES6_PlJS6_EEE10hipError_tPvRmT3_T4_T5_T6_T7_T9_mT8_P12ihipStream_tbDpT10_ENKUlT_T0_E_clISt17integral_constantIbLb1EES1E_IbLb0EEEEDaS1A_S1B_EUlS1A_E_NS1_11comp_targetILNS1_3genE0ELNS1_11target_archE4294967295ELNS1_3gpuE0ELNS1_3repE0EEENS1_30default_config_static_selectorELNS0_4arch9wavefront6targetE1EEEvT1_
; %bb.0:
	.section	.rodata,"a",@progbits
	.p2align	6, 0x0
	.amdhsa_kernel _ZN7rocprim17ROCPRIM_400000_NS6detail17trampoline_kernelINS0_14default_configENS1_25partition_config_selectorILNS1_17partition_subalgoE2ExNS0_10empty_typeEbEEZZNS1_14partition_implILS5_2ELb0ES3_jN6thrust23THRUST_200600_302600_NS6detail15normal_iteratorINSA_7pointerIxNSA_11hip_rocprim3tagENSA_11use_defaultESG_EEEEPS6_NSA_18transform_iteratorINSA_8identityIxEENSC_INSA_10device_ptrIxEEEESG_SG_EENS0_5tupleIJPxSJ_EEENSR_IJSJ_SJ_EEES6_PlJS6_EEE10hipError_tPvRmT3_T4_T5_T6_T7_T9_mT8_P12ihipStream_tbDpT10_ENKUlT_T0_E_clISt17integral_constantIbLb1EES1E_IbLb0EEEEDaS1A_S1B_EUlS1A_E_NS1_11comp_targetILNS1_3genE0ELNS1_11target_archE4294967295ELNS1_3gpuE0ELNS1_3repE0EEENS1_30default_config_static_selectorELNS0_4arch9wavefront6targetE1EEEvT1_
		.amdhsa_group_segment_fixed_size 0
		.amdhsa_private_segment_fixed_size 0
		.amdhsa_kernarg_size 128
		.amdhsa_user_sgpr_count 6
		.amdhsa_user_sgpr_private_segment_buffer 1
		.amdhsa_user_sgpr_dispatch_ptr 0
		.amdhsa_user_sgpr_queue_ptr 0
		.amdhsa_user_sgpr_kernarg_segment_ptr 1
		.amdhsa_user_sgpr_dispatch_id 0
		.amdhsa_user_sgpr_flat_scratch_init 0
		.amdhsa_user_sgpr_kernarg_preload_length 0
		.amdhsa_user_sgpr_kernarg_preload_offset 0
		.amdhsa_user_sgpr_private_segment_size 0
		.amdhsa_uses_dynamic_stack 0
		.amdhsa_system_sgpr_private_segment_wavefront_offset 0
		.amdhsa_system_sgpr_workgroup_id_x 1
		.amdhsa_system_sgpr_workgroup_id_y 0
		.amdhsa_system_sgpr_workgroup_id_z 0
		.amdhsa_system_sgpr_workgroup_info 0
		.amdhsa_system_vgpr_workitem_id 0
		.amdhsa_next_free_vgpr 1
		.amdhsa_next_free_sgpr 0
		.amdhsa_accum_offset 4
		.amdhsa_reserve_vcc 0
		.amdhsa_reserve_flat_scratch 0
		.amdhsa_float_round_mode_32 0
		.amdhsa_float_round_mode_16_64 0
		.amdhsa_float_denorm_mode_32 3
		.amdhsa_float_denorm_mode_16_64 3
		.amdhsa_dx10_clamp 1
		.amdhsa_ieee_mode 1
		.amdhsa_fp16_overflow 0
		.amdhsa_tg_split 0
		.amdhsa_exception_fp_ieee_invalid_op 0
		.amdhsa_exception_fp_denorm_src 0
		.amdhsa_exception_fp_ieee_div_zero 0
		.amdhsa_exception_fp_ieee_overflow 0
		.amdhsa_exception_fp_ieee_underflow 0
		.amdhsa_exception_fp_ieee_inexact 0
		.amdhsa_exception_int_div_zero 0
	.end_amdhsa_kernel
	.section	.text._ZN7rocprim17ROCPRIM_400000_NS6detail17trampoline_kernelINS0_14default_configENS1_25partition_config_selectorILNS1_17partition_subalgoE2ExNS0_10empty_typeEbEEZZNS1_14partition_implILS5_2ELb0ES3_jN6thrust23THRUST_200600_302600_NS6detail15normal_iteratorINSA_7pointerIxNSA_11hip_rocprim3tagENSA_11use_defaultESG_EEEEPS6_NSA_18transform_iteratorINSA_8identityIxEENSC_INSA_10device_ptrIxEEEESG_SG_EENS0_5tupleIJPxSJ_EEENSR_IJSJ_SJ_EEES6_PlJS6_EEE10hipError_tPvRmT3_T4_T5_T6_T7_T9_mT8_P12ihipStream_tbDpT10_ENKUlT_T0_E_clISt17integral_constantIbLb1EES1E_IbLb0EEEEDaS1A_S1B_EUlS1A_E_NS1_11comp_targetILNS1_3genE0ELNS1_11target_archE4294967295ELNS1_3gpuE0ELNS1_3repE0EEENS1_30default_config_static_selectorELNS0_4arch9wavefront6targetE1EEEvT1_,"axG",@progbits,_ZN7rocprim17ROCPRIM_400000_NS6detail17trampoline_kernelINS0_14default_configENS1_25partition_config_selectorILNS1_17partition_subalgoE2ExNS0_10empty_typeEbEEZZNS1_14partition_implILS5_2ELb0ES3_jN6thrust23THRUST_200600_302600_NS6detail15normal_iteratorINSA_7pointerIxNSA_11hip_rocprim3tagENSA_11use_defaultESG_EEEEPS6_NSA_18transform_iteratorINSA_8identityIxEENSC_INSA_10device_ptrIxEEEESG_SG_EENS0_5tupleIJPxSJ_EEENSR_IJSJ_SJ_EEES6_PlJS6_EEE10hipError_tPvRmT3_T4_T5_T6_T7_T9_mT8_P12ihipStream_tbDpT10_ENKUlT_T0_E_clISt17integral_constantIbLb1EES1E_IbLb0EEEEDaS1A_S1B_EUlS1A_E_NS1_11comp_targetILNS1_3genE0ELNS1_11target_archE4294967295ELNS1_3gpuE0ELNS1_3repE0EEENS1_30default_config_static_selectorELNS0_4arch9wavefront6targetE1EEEvT1_,comdat
.Lfunc_end497:
	.size	_ZN7rocprim17ROCPRIM_400000_NS6detail17trampoline_kernelINS0_14default_configENS1_25partition_config_selectorILNS1_17partition_subalgoE2ExNS0_10empty_typeEbEEZZNS1_14partition_implILS5_2ELb0ES3_jN6thrust23THRUST_200600_302600_NS6detail15normal_iteratorINSA_7pointerIxNSA_11hip_rocprim3tagENSA_11use_defaultESG_EEEEPS6_NSA_18transform_iteratorINSA_8identityIxEENSC_INSA_10device_ptrIxEEEESG_SG_EENS0_5tupleIJPxSJ_EEENSR_IJSJ_SJ_EEES6_PlJS6_EEE10hipError_tPvRmT3_T4_T5_T6_T7_T9_mT8_P12ihipStream_tbDpT10_ENKUlT_T0_E_clISt17integral_constantIbLb1EES1E_IbLb0EEEEDaS1A_S1B_EUlS1A_E_NS1_11comp_targetILNS1_3genE0ELNS1_11target_archE4294967295ELNS1_3gpuE0ELNS1_3repE0EEENS1_30default_config_static_selectorELNS0_4arch9wavefront6targetE1EEEvT1_, .Lfunc_end497-_ZN7rocprim17ROCPRIM_400000_NS6detail17trampoline_kernelINS0_14default_configENS1_25partition_config_selectorILNS1_17partition_subalgoE2ExNS0_10empty_typeEbEEZZNS1_14partition_implILS5_2ELb0ES3_jN6thrust23THRUST_200600_302600_NS6detail15normal_iteratorINSA_7pointerIxNSA_11hip_rocprim3tagENSA_11use_defaultESG_EEEEPS6_NSA_18transform_iteratorINSA_8identityIxEENSC_INSA_10device_ptrIxEEEESG_SG_EENS0_5tupleIJPxSJ_EEENSR_IJSJ_SJ_EEES6_PlJS6_EEE10hipError_tPvRmT3_T4_T5_T6_T7_T9_mT8_P12ihipStream_tbDpT10_ENKUlT_T0_E_clISt17integral_constantIbLb1EES1E_IbLb0EEEEDaS1A_S1B_EUlS1A_E_NS1_11comp_targetILNS1_3genE0ELNS1_11target_archE4294967295ELNS1_3gpuE0ELNS1_3repE0EEENS1_30default_config_static_selectorELNS0_4arch9wavefront6targetE1EEEvT1_
                                        ; -- End function
	.section	.AMDGPU.csdata,"",@progbits
; Kernel info:
; codeLenInByte = 0
; NumSgprs: 4
; NumVgprs: 0
; NumAgprs: 0
; TotalNumVgprs: 0
; ScratchSize: 0
; MemoryBound: 0
; FloatMode: 240
; IeeeMode: 1
; LDSByteSize: 0 bytes/workgroup (compile time only)
; SGPRBlocks: 0
; VGPRBlocks: 0
; NumSGPRsForWavesPerEU: 4
; NumVGPRsForWavesPerEU: 1
; AccumOffset: 4
; Occupancy: 8
; WaveLimiterHint : 0
; COMPUTE_PGM_RSRC2:SCRATCH_EN: 0
; COMPUTE_PGM_RSRC2:USER_SGPR: 6
; COMPUTE_PGM_RSRC2:TRAP_HANDLER: 0
; COMPUTE_PGM_RSRC2:TGID_X_EN: 1
; COMPUTE_PGM_RSRC2:TGID_Y_EN: 0
; COMPUTE_PGM_RSRC2:TGID_Z_EN: 0
; COMPUTE_PGM_RSRC2:TIDIG_COMP_CNT: 0
; COMPUTE_PGM_RSRC3_GFX90A:ACCUM_OFFSET: 0
; COMPUTE_PGM_RSRC3_GFX90A:TG_SPLIT: 0
	.section	.text._ZN7rocprim17ROCPRIM_400000_NS6detail17trampoline_kernelINS0_14default_configENS1_25partition_config_selectorILNS1_17partition_subalgoE2ExNS0_10empty_typeEbEEZZNS1_14partition_implILS5_2ELb0ES3_jN6thrust23THRUST_200600_302600_NS6detail15normal_iteratorINSA_7pointerIxNSA_11hip_rocprim3tagENSA_11use_defaultESG_EEEEPS6_NSA_18transform_iteratorINSA_8identityIxEENSC_INSA_10device_ptrIxEEEESG_SG_EENS0_5tupleIJPxSJ_EEENSR_IJSJ_SJ_EEES6_PlJS6_EEE10hipError_tPvRmT3_T4_T5_T6_T7_T9_mT8_P12ihipStream_tbDpT10_ENKUlT_T0_E_clISt17integral_constantIbLb1EES1E_IbLb0EEEEDaS1A_S1B_EUlS1A_E_NS1_11comp_targetILNS1_3genE5ELNS1_11target_archE942ELNS1_3gpuE9ELNS1_3repE0EEENS1_30default_config_static_selectorELNS0_4arch9wavefront6targetE1EEEvT1_,"axG",@progbits,_ZN7rocprim17ROCPRIM_400000_NS6detail17trampoline_kernelINS0_14default_configENS1_25partition_config_selectorILNS1_17partition_subalgoE2ExNS0_10empty_typeEbEEZZNS1_14partition_implILS5_2ELb0ES3_jN6thrust23THRUST_200600_302600_NS6detail15normal_iteratorINSA_7pointerIxNSA_11hip_rocprim3tagENSA_11use_defaultESG_EEEEPS6_NSA_18transform_iteratorINSA_8identityIxEENSC_INSA_10device_ptrIxEEEESG_SG_EENS0_5tupleIJPxSJ_EEENSR_IJSJ_SJ_EEES6_PlJS6_EEE10hipError_tPvRmT3_T4_T5_T6_T7_T9_mT8_P12ihipStream_tbDpT10_ENKUlT_T0_E_clISt17integral_constantIbLb1EES1E_IbLb0EEEEDaS1A_S1B_EUlS1A_E_NS1_11comp_targetILNS1_3genE5ELNS1_11target_archE942ELNS1_3gpuE9ELNS1_3repE0EEENS1_30default_config_static_selectorELNS0_4arch9wavefront6targetE1EEEvT1_,comdat
	.protected	_ZN7rocprim17ROCPRIM_400000_NS6detail17trampoline_kernelINS0_14default_configENS1_25partition_config_selectorILNS1_17partition_subalgoE2ExNS0_10empty_typeEbEEZZNS1_14partition_implILS5_2ELb0ES3_jN6thrust23THRUST_200600_302600_NS6detail15normal_iteratorINSA_7pointerIxNSA_11hip_rocprim3tagENSA_11use_defaultESG_EEEEPS6_NSA_18transform_iteratorINSA_8identityIxEENSC_INSA_10device_ptrIxEEEESG_SG_EENS0_5tupleIJPxSJ_EEENSR_IJSJ_SJ_EEES6_PlJS6_EEE10hipError_tPvRmT3_T4_T5_T6_T7_T9_mT8_P12ihipStream_tbDpT10_ENKUlT_T0_E_clISt17integral_constantIbLb1EES1E_IbLb0EEEEDaS1A_S1B_EUlS1A_E_NS1_11comp_targetILNS1_3genE5ELNS1_11target_archE942ELNS1_3gpuE9ELNS1_3repE0EEENS1_30default_config_static_selectorELNS0_4arch9wavefront6targetE1EEEvT1_ ; -- Begin function _ZN7rocprim17ROCPRIM_400000_NS6detail17trampoline_kernelINS0_14default_configENS1_25partition_config_selectorILNS1_17partition_subalgoE2ExNS0_10empty_typeEbEEZZNS1_14partition_implILS5_2ELb0ES3_jN6thrust23THRUST_200600_302600_NS6detail15normal_iteratorINSA_7pointerIxNSA_11hip_rocprim3tagENSA_11use_defaultESG_EEEEPS6_NSA_18transform_iteratorINSA_8identityIxEENSC_INSA_10device_ptrIxEEEESG_SG_EENS0_5tupleIJPxSJ_EEENSR_IJSJ_SJ_EEES6_PlJS6_EEE10hipError_tPvRmT3_T4_T5_T6_T7_T9_mT8_P12ihipStream_tbDpT10_ENKUlT_T0_E_clISt17integral_constantIbLb1EES1E_IbLb0EEEEDaS1A_S1B_EUlS1A_E_NS1_11comp_targetILNS1_3genE5ELNS1_11target_archE942ELNS1_3gpuE9ELNS1_3repE0EEENS1_30default_config_static_selectorELNS0_4arch9wavefront6targetE1EEEvT1_
	.globl	_ZN7rocprim17ROCPRIM_400000_NS6detail17trampoline_kernelINS0_14default_configENS1_25partition_config_selectorILNS1_17partition_subalgoE2ExNS0_10empty_typeEbEEZZNS1_14partition_implILS5_2ELb0ES3_jN6thrust23THRUST_200600_302600_NS6detail15normal_iteratorINSA_7pointerIxNSA_11hip_rocprim3tagENSA_11use_defaultESG_EEEEPS6_NSA_18transform_iteratorINSA_8identityIxEENSC_INSA_10device_ptrIxEEEESG_SG_EENS0_5tupleIJPxSJ_EEENSR_IJSJ_SJ_EEES6_PlJS6_EEE10hipError_tPvRmT3_T4_T5_T6_T7_T9_mT8_P12ihipStream_tbDpT10_ENKUlT_T0_E_clISt17integral_constantIbLb1EES1E_IbLb0EEEEDaS1A_S1B_EUlS1A_E_NS1_11comp_targetILNS1_3genE5ELNS1_11target_archE942ELNS1_3gpuE9ELNS1_3repE0EEENS1_30default_config_static_selectorELNS0_4arch9wavefront6targetE1EEEvT1_
	.p2align	8
	.type	_ZN7rocprim17ROCPRIM_400000_NS6detail17trampoline_kernelINS0_14default_configENS1_25partition_config_selectorILNS1_17partition_subalgoE2ExNS0_10empty_typeEbEEZZNS1_14partition_implILS5_2ELb0ES3_jN6thrust23THRUST_200600_302600_NS6detail15normal_iteratorINSA_7pointerIxNSA_11hip_rocprim3tagENSA_11use_defaultESG_EEEEPS6_NSA_18transform_iteratorINSA_8identityIxEENSC_INSA_10device_ptrIxEEEESG_SG_EENS0_5tupleIJPxSJ_EEENSR_IJSJ_SJ_EEES6_PlJS6_EEE10hipError_tPvRmT3_T4_T5_T6_T7_T9_mT8_P12ihipStream_tbDpT10_ENKUlT_T0_E_clISt17integral_constantIbLb1EES1E_IbLb0EEEEDaS1A_S1B_EUlS1A_E_NS1_11comp_targetILNS1_3genE5ELNS1_11target_archE942ELNS1_3gpuE9ELNS1_3repE0EEENS1_30default_config_static_selectorELNS0_4arch9wavefront6targetE1EEEvT1_,@function
_ZN7rocprim17ROCPRIM_400000_NS6detail17trampoline_kernelINS0_14default_configENS1_25partition_config_selectorILNS1_17partition_subalgoE2ExNS0_10empty_typeEbEEZZNS1_14partition_implILS5_2ELb0ES3_jN6thrust23THRUST_200600_302600_NS6detail15normal_iteratorINSA_7pointerIxNSA_11hip_rocprim3tagENSA_11use_defaultESG_EEEEPS6_NSA_18transform_iteratorINSA_8identityIxEENSC_INSA_10device_ptrIxEEEESG_SG_EENS0_5tupleIJPxSJ_EEENSR_IJSJ_SJ_EEES6_PlJS6_EEE10hipError_tPvRmT3_T4_T5_T6_T7_T9_mT8_P12ihipStream_tbDpT10_ENKUlT_T0_E_clISt17integral_constantIbLb1EES1E_IbLb0EEEEDaS1A_S1B_EUlS1A_E_NS1_11comp_targetILNS1_3genE5ELNS1_11target_archE942ELNS1_3gpuE9ELNS1_3repE0EEENS1_30default_config_static_selectorELNS0_4arch9wavefront6targetE1EEEvT1_: ; @_ZN7rocprim17ROCPRIM_400000_NS6detail17trampoline_kernelINS0_14default_configENS1_25partition_config_selectorILNS1_17partition_subalgoE2ExNS0_10empty_typeEbEEZZNS1_14partition_implILS5_2ELb0ES3_jN6thrust23THRUST_200600_302600_NS6detail15normal_iteratorINSA_7pointerIxNSA_11hip_rocprim3tagENSA_11use_defaultESG_EEEEPS6_NSA_18transform_iteratorINSA_8identityIxEENSC_INSA_10device_ptrIxEEEESG_SG_EENS0_5tupleIJPxSJ_EEENSR_IJSJ_SJ_EEES6_PlJS6_EEE10hipError_tPvRmT3_T4_T5_T6_T7_T9_mT8_P12ihipStream_tbDpT10_ENKUlT_T0_E_clISt17integral_constantIbLb1EES1E_IbLb0EEEEDaS1A_S1B_EUlS1A_E_NS1_11comp_targetILNS1_3genE5ELNS1_11target_archE942ELNS1_3gpuE9ELNS1_3repE0EEENS1_30default_config_static_selectorELNS0_4arch9wavefront6targetE1EEEvT1_
; %bb.0:
	.section	.rodata,"a",@progbits
	.p2align	6, 0x0
	.amdhsa_kernel _ZN7rocprim17ROCPRIM_400000_NS6detail17trampoline_kernelINS0_14default_configENS1_25partition_config_selectorILNS1_17partition_subalgoE2ExNS0_10empty_typeEbEEZZNS1_14partition_implILS5_2ELb0ES3_jN6thrust23THRUST_200600_302600_NS6detail15normal_iteratorINSA_7pointerIxNSA_11hip_rocprim3tagENSA_11use_defaultESG_EEEEPS6_NSA_18transform_iteratorINSA_8identityIxEENSC_INSA_10device_ptrIxEEEESG_SG_EENS0_5tupleIJPxSJ_EEENSR_IJSJ_SJ_EEES6_PlJS6_EEE10hipError_tPvRmT3_T4_T5_T6_T7_T9_mT8_P12ihipStream_tbDpT10_ENKUlT_T0_E_clISt17integral_constantIbLb1EES1E_IbLb0EEEEDaS1A_S1B_EUlS1A_E_NS1_11comp_targetILNS1_3genE5ELNS1_11target_archE942ELNS1_3gpuE9ELNS1_3repE0EEENS1_30default_config_static_selectorELNS0_4arch9wavefront6targetE1EEEvT1_
		.amdhsa_group_segment_fixed_size 0
		.amdhsa_private_segment_fixed_size 0
		.amdhsa_kernarg_size 128
		.amdhsa_user_sgpr_count 6
		.amdhsa_user_sgpr_private_segment_buffer 1
		.amdhsa_user_sgpr_dispatch_ptr 0
		.amdhsa_user_sgpr_queue_ptr 0
		.amdhsa_user_sgpr_kernarg_segment_ptr 1
		.amdhsa_user_sgpr_dispatch_id 0
		.amdhsa_user_sgpr_flat_scratch_init 0
		.amdhsa_user_sgpr_kernarg_preload_length 0
		.amdhsa_user_sgpr_kernarg_preload_offset 0
		.amdhsa_user_sgpr_private_segment_size 0
		.amdhsa_uses_dynamic_stack 0
		.amdhsa_system_sgpr_private_segment_wavefront_offset 0
		.amdhsa_system_sgpr_workgroup_id_x 1
		.amdhsa_system_sgpr_workgroup_id_y 0
		.amdhsa_system_sgpr_workgroup_id_z 0
		.amdhsa_system_sgpr_workgroup_info 0
		.amdhsa_system_vgpr_workitem_id 0
		.amdhsa_next_free_vgpr 1
		.amdhsa_next_free_sgpr 0
		.amdhsa_accum_offset 4
		.amdhsa_reserve_vcc 0
		.amdhsa_reserve_flat_scratch 0
		.amdhsa_float_round_mode_32 0
		.amdhsa_float_round_mode_16_64 0
		.amdhsa_float_denorm_mode_32 3
		.amdhsa_float_denorm_mode_16_64 3
		.amdhsa_dx10_clamp 1
		.amdhsa_ieee_mode 1
		.amdhsa_fp16_overflow 0
		.amdhsa_tg_split 0
		.amdhsa_exception_fp_ieee_invalid_op 0
		.amdhsa_exception_fp_denorm_src 0
		.amdhsa_exception_fp_ieee_div_zero 0
		.amdhsa_exception_fp_ieee_overflow 0
		.amdhsa_exception_fp_ieee_underflow 0
		.amdhsa_exception_fp_ieee_inexact 0
		.amdhsa_exception_int_div_zero 0
	.end_amdhsa_kernel
	.section	.text._ZN7rocprim17ROCPRIM_400000_NS6detail17trampoline_kernelINS0_14default_configENS1_25partition_config_selectorILNS1_17partition_subalgoE2ExNS0_10empty_typeEbEEZZNS1_14partition_implILS5_2ELb0ES3_jN6thrust23THRUST_200600_302600_NS6detail15normal_iteratorINSA_7pointerIxNSA_11hip_rocprim3tagENSA_11use_defaultESG_EEEEPS6_NSA_18transform_iteratorINSA_8identityIxEENSC_INSA_10device_ptrIxEEEESG_SG_EENS0_5tupleIJPxSJ_EEENSR_IJSJ_SJ_EEES6_PlJS6_EEE10hipError_tPvRmT3_T4_T5_T6_T7_T9_mT8_P12ihipStream_tbDpT10_ENKUlT_T0_E_clISt17integral_constantIbLb1EES1E_IbLb0EEEEDaS1A_S1B_EUlS1A_E_NS1_11comp_targetILNS1_3genE5ELNS1_11target_archE942ELNS1_3gpuE9ELNS1_3repE0EEENS1_30default_config_static_selectorELNS0_4arch9wavefront6targetE1EEEvT1_,"axG",@progbits,_ZN7rocprim17ROCPRIM_400000_NS6detail17trampoline_kernelINS0_14default_configENS1_25partition_config_selectorILNS1_17partition_subalgoE2ExNS0_10empty_typeEbEEZZNS1_14partition_implILS5_2ELb0ES3_jN6thrust23THRUST_200600_302600_NS6detail15normal_iteratorINSA_7pointerIxNSA_11hip_rocprim3tagENSA_11use_defaultESG_EEEEPS6_NSA_18transform_iteratorINSA_8identityIxEENSC_INSA_10device_ptrIxEEEESG_SG_EENS0_5tupleIJPxSJ_EEENSR_IJSJ_SJ_EEES6_PlJS6_EEE10hipError_tPvRmT3_T4_T5_T6_T7_T9_mT8_P12ihipStream_tbDpT10_ENKUlT_T0_E_clISt17integral_constantIbLb1EES1E_IbLb0EEEEDaS1A_S1B_EUlS1A_E_NS1_11comp_targetILNS1_3genE5ELNS1_11target_archE942ELNS1_3gpuE9ELNS1_3repE0EEENS1_30default_config_static_selectorELNS0_4arch9wavefront6targetE1EEEvT1_,comdat
.Lfunc_end498:
	.size	_ZN7rocprim17ROCPRIM_400000_NS6detail17trampoline_kernelINS0_14default_configENS1_25partition_config_selectorILNS1_17partition_subalgoE2ExNS0_10empty_typeEbEEZZNS1_14partition_implILS5_2ELb0ES3_jN6thrust23THRUST_200600_302600_NS6detail15normal_iteratorINSA_7pointerIxNSA_11hip_rocprim3tagENSA_11use_defaultESG_EEEEPS6_NSA_18transform_iteratorINSA_8identityIxEENSC_INSA_10device_ptrIxEEEESG_SG_EENS0_5tupleIJPxSJ_EEENSR_IJSJ_SJ_EEES6_PlJS6_EEE10hipError_tPvRmT3_T4_T5_T6_T7_T9_mT8_P12ihipStream_tbDpT10_ENKUlT_T0_E_clISt17integral_constantIbLb1EES1E_IbLb0EEEEDaS1A_S1B_EUlS1A_E_NS1_11comp_targetILNS1_3genE5ELNS1_11target_archE942ELNS1_3gpuE9ELNS1_3repE0EEENS1_30default_config_static_selectorELNS0_4arch9wavefront6targetE1EEEvT1_, .Lfunc_end498-_ZN7rocprim17ROCPRIM_400000_NS6detail17trampoline_kernelINS0_14default_configENS1_25partition_config_selectorILNS1_17partition_subalgoE2ExNS0_10empty_typeEbEEZZNS1_14partition_implILS5_2ELb0ES3_jN6thrust23THRUST_200600_302600_NS6detail15normal_iteratorINSA_7pointerIxNSA_11hip_rocprim3tagENSA_11use_defaultESG_EEEEPS6_NSA_18transform_iteratorINSA_8identityIxEENSC_INSA_10device_ptrIxEEEESG_SG_EENS0_5tupleIJPxSJ_EEENSR_IJSJ_SJ_EEES6_PlJS6_EEE10hipError_tPvRmT3_T4_T5_T6_T7_T9_mT8_P12ihipStream_tbDpT10_ENKUlT_T0_E_clISt17integral_constantIbLb1EES1E_IbLb0EEEEDaS1A_S1B_EUlS1A_E_NS1_11comp_targetILNS1_3genE5ELNS1_11target_archE942ELNS1_3gpuE9ELNS1_3repE0EEENS1_30default_config_static_selectorELNS0_4arch9wavefront6targetE1EEEvT1_
                                        ; -- End function
	.section	.AMDGPU.csdata,"",@progbits
; Kernel info:
; codeLenInByte = 0
; NumSgprs: 4
; NumVgprs: 0
; NumAgprs: 0
; TotalNumVgprs: 0
; ScratchSize: 0
; MemoryBound: 0
; FloatMode: 240
; IeeeMode: 1
; LDSByteSize: 0 bytes/workgroup (compile time only)
; SGPRBlocks: 0
; VGPRBlocks: 0
; NumSGPRsForWavesPerEU: 4
; NumVGPRsForWavesPerEU: 1
; AccumOffset: 4
; Occupancy: 8
; WaveLimiterHint : 0
; COMPUTE_PGM_RSRC2:SCRATCH_EN: 0
; COMPUTE_PGM_RSRC2:USER_SGPR: 6
; COMPUTE_PGM_RSRC2:TRAP_HANDLER: 0
; COMPUTE_PGM_RSRC2:TGID_X_EN: 1
; COMPUTE_PGM_RSRC2:TGID_Y_EN: 0
; COMPUTE_PGM_RSRC2:TGID_Z_EN: 0
; COMPUTE_PGM_RSRC2:TIDIG_COMP_CNT: 0
; COMPUTE_PGM_RSRC3_GFX90A:ACCUM_OFFSET: 0
; COMPUTE_PGM_RSRC3_GFX90A:TG_SPLIT: 0
	.section	.text._ZN7rocprim17ROCPRIM_400000_NS6detail17trampoline_kernelINS0_14default_configENS1_25partition_config_selectorILNS1_17partition_subalgoE2ExNS0_10empty_typeEbEEZZNS1_14partition_implILS5_2ELb0ES3_jN6thrust23THRUST_200600_302600_NS6detail15normal_iteratorINSA_7pointerIxNSA_11hip_rocprim3tagENSA_11use_defaultESG_EEEEPS6_NSA_18transform_iteratorINSA_8identityIxEENSC_INSA_10device_ptrIxEEEESG_SG_EENS0_5tupleIJPxSJ_EEENSR_IJSJ_SJ_EEES6_PlJS6_EEE10hipError_tPvRmT3_T4_T5_T6_T7_T9_mT8_P12ihipStream_tbDpT10_ENKUlT_T0_E_clISt17integral_constantIbLb1EES1E_IbLb0EEEEDaS1A_S1B_EUlS1A_E_NS1_11comp_targetILNS1_3genE4ELNS1_11target_archE910ELNS1_3gpuE8ELNS1_3repE0EEENS1_30default_config_static_selectorELNS0_4arch9wavefront6targetE1EEEvT1_,"axG",@progbits,_ZN7rocprim17ROCPRIM_400000_NS6detail17trampoline_kernelINS0_14default_configENS1_25partition_config_selectorILNS1_17partition_subalgoE2ExNS0_10empty_typeEbEEZZNS1_14partition_implILS5_2ELb0ES3_jN6thrust23THRUST_200600_302600_NS6detail15normal_iteratorINSA_7pointerIxNSA_11hip_rocprim3tagENSA_11use_defaultESG_EEEEPS6_NSA_18transform_iteratorINSA_8identityIxEENSC_INSA_10device_ptrIxEEEESG_SG_EENS0_5tupleIJPxSJ_EEENSR_IJSJ_SJ_EEES6_PlJS6_EEE10hipError_tPvRmT3_T4_T5_T6_T7_T9_mT8_P12ihipStream_tbDpT10_ENKUlT_T0_E_clISt17integral_constantIbLb1EES1E_IbLb0EEEEDaS1A_S1B_EUlS1A_E_NS1_11comp_targetILNS1_3genE4ELNS1_11target_archE910ELNS1_3gpuE8ELNS1_3repE0EEENS1_30default_config_static_selectorELNS0_4arch9wavefront6targetE1EEEvT1_,comdat
	.protected	_ZN7rocprim17ROCPRIM_400000_NS6detail17trampoline_kernelINS0_14default_configENS1_25partition_config_selectorILNS1_17partition_subalgoE2ExNS0_10empty_typeEbEEZZNS1_14partition_implILS5_2ELb0ES3_jN6thrust23THRUST_200600_302600_NS6detail15normal_iteratorINSA_7pointerIxNSA_11hip_rocprim3tagENSA_11use_defaultESG_EEEEPS6_NSA_18transform_iteratorINSA_8identityIxEENSC_INSA_10device_ptrIxEEEESG_SG_EENS0_5tupleIJPxSJ_EEENSR_IJSJ_SJ_EEES6_PlJS6_EEE10hipError_tPvRmT3_T4_T5_T6_T7_T9_mT8_P12ihipStream_tbDpT10_ENKUlT_T0_E_clISt17integral_constantIbLb1EES1E_IbLb0EEEEDaS1A_S1B_EUlS1A_E_NS1_11comp_targetILNS1_3genE4ELNS1_11target_archE910ELNS1_3gpuE8ELNS1_3repE0EEENS1_30default_config_static_selectorELNS0_4arch9wavefront6targetE1EEEvT1_ ; -- Begin function _ZN7rocprim17ROCPRIM_400000_NS6detail17trampoline_kernelINS0_14default_configENS1_25partition_config_selectorILNS1_17partition_subalgoE2ExNS0_10empty_typeEbEEZZNS1_14partition_implILS5_2ELb0ES3_jN6thrust23THRUST_200600_302600_NS6detail15normal_iteratorINSA_7pointerIxNSA_11hip_rocprim3tagENSA_11use_defaultESG_EEEEPS6_NSA_18transform_iteratorINSA_8identityIxEENSC_INSA_10device_ptrIxEEEESG_SG_EENS0_5tupleIJPxSJ_EEENSR_IJSJ_SJ_EEES6_PlJS6_EEE10hipError_tPvRmT3_T4_T5_T6_T7_T9_mT8_P12ihipStream_tbDpT10_ENKUlT_T0_E_clISt17integral_constantIbLb1EES1E_IbLb0EEEEDaS1A_S1B_EUlS1A_E_NS1_11comp_targetILNS1_3genE4ELNS1_11target_archE910ELNS1_3gpuE8ELNS1_3repE0EEENS1_30default_config_static_selectorELNS0_4arch9wavefront6targetE1EEEvT1_
	.globl	_ZN7rocprim17ROCPRIM_400000_NS6detail17trampoline_kernelINS0_14default_configENS1_25partition_config_selectorILNS1_17partition_subalgoE2ExNS0_10empty_typeEbEEZZNS1_14partition_implILS5_2ELb0ES3_jN6thrust23THRUST_200600_302600_NS6detail15normal_iteratorINSA_7pointerIxNSA_11hip_rocprim3tagENSA_11use_defaultESG_EEEEPS6_NSA_18transform_iteratorINSA_8identityIxEENSC_INSA_10device_ptrIxEEEESG_SG_EENS0_5tupleIJPxSJ_EEENSR_IJSJ_SJ_EEES6_PlJS6_EEE10hipError_tPvRmT3_T4_T5_T6_T7_T9_mT8_P12ihipStream_tbDpT10_ENKUlT_T0_E_clISt17integral_constantIbLb1EES1E_IbLb0EEEEDaS1A_S1B_EUlS1A_E_NS1_11comp_targetILNS1_3genE4ELNS1_11target_archE910ELNS1_3gpuE8ELNS1_3repE0EEENS1_30default_config_static_selectorELNS0_4arch9wavefront6targetE1EEEvT1_
	.p2align	8
	.type	_ZN7rocprim17ROCPRIM_400000_NS6detail17trampoline_kernelINS0_14default_configENS1_25partition_config_selectorILNS1_17partition_subalgoE2ExNS0_10empty_typeEbEEZZNS1_14partition_implILS5_2ELb0ES3_jN6thrust23THRUST_200600_302600_NS6detail15normal_iteratorINSA_7pointerIxNSA_11hip_rocprim3tagENSA_11use_defaultESG_EEEEPS6_NSA_18transform_iteratorINSA_8identityIxEENSC_INSA_10device_ptrIxEEEESG_SG_EENS0_5tupleIJPxSJ_EEENSR_IJSJ_SJ_EEES6_PlJS6_EEE10hipError_tPvRmT3_T4_T5_T6_T7_T9_mT8_P12ihipStream_tbDpT10_ENKUlT_T0_E_clISt17integral_constantIbLb1EES1E_IbLb0EEEEDaS1A_S1B_EUlS1A_E_NS1_11comp_targetILNS1_3genE4ELNS1_11target_archE910ELNS1_3gpuE8ELNS1_3repE0EEENS1_30default_config_static_selectorELNS0_4arch9wavefront6targetE1EEEvT1_,@function
_ZN7rocprim17ROCPRIM_400000_NS6detail17trampoline_kernelINS0_14default_configENS1_25partition_config_selectorILNS1_17partition_subalgoE2ExNS0_10empty_typeEbEEZZNS1_14partition_implILS5_2ELb0ES3_jN6thrust23THRUST_200600_302600_NS6detail15normal_iteratorINSA_7pointerIxNSA_11hip_rocprim3tagENSA_11use_defaultESG_EEEEPS6_NSA_18transform_iteratorINSA_8identityIxEENSC_INSA_10device_ptrIxEEEESG_SG_EENS0_5tupleIJPxSJ_EEENSR_IJSJ_SJ_EEES6_PlJS6_EEE10hipError_tPvRmT3_T4_T5_T6_T7_T9_mT8_P12ihipStream_tbDpT10_ENKUlT_T0_E_clISt17integral_constantIbLb1EES1E_IbLb0EEEEDaS1A_S1B_EUlS1A_E_NS1_11comp_targetILNS1_3genE4ELNS1_11target_archE910ELNS1_3gpuE8ELNS1_3repE0EEENS1_30default_config_static_selectorELNS0_4arch9wavefront6targetE1EEEvT1_: ; @_ZN7rocprim17ROCPRIM_400000_NS6detail17trampoline_kernelINS0_14default_configENS1_25partition_config_selectorILNS1_17partition_subalgoE2ExNS0_10empty_typeEbEEZZNS1_14partition_implILS5_2ELb0ES3_jN6thrust23THRUST_200600_302600_NS6detail15normal_iteratorINSA_7pointerIxNSA_11hip_rocprim3tagENSA_11use_defaultESG_EEEEPS6_NSA_18transform_iteratorINSA_8identityIxEENSC_INSA_10device_ptrIxEEEESG_SG_EENS0_5tupleIJPxSJ_EEENSR_IJSJ_SJ_EEES6_PlJS6_EEE10hipError_tPvRmT3_T4_T5_T6_T7_T9_mT8_P12ihipStream_tbDpT10_ENKUlT_T0_E_clISt17integral_constantIbLb1EES1E_IbLb0EEEEDaS1A_S1B_EUlS1A_E_NS1_11comp_targetILNS1_3genE4ELNS1_11target_archE910ELNS1_3gpuE8ELNS1_3repE0EEENS1_30default_config_static_selectorELNS0_4arch9wavefront6targetE1EEEvT1_
; %bb.0:
	s_load_dwordx4 s[24:27], s[4:5], 0x8
	s_load_dwordx2 s[2:3], s[4:5], 0x20
	s_load_dwordx2 s[28:29], s[4:5], 0x60
	s_load_dwordx4 s[20:23], s[4:5], 0x50
	s_load_dword s0, s[4:5], 0x78
	s_waitcnt lgkmcnt(0)
	s_lshl_b64 s[8:9], s[26:27], 3
	s_add_u32 s7, s24, s8
	s_addc_u32 s12, s25, s9
	s_load_dwordx2 s[30:31], s[22:23], 0x0
	s_add_i32 s10, s0, -1
	s_mulk_i32 s0, 0x300
	s_add_i32 s1, s0, s26
	s_sub_i32 s33, s28, s1
	s_addk_i32 s33, 0x300
	s_add_u32 s0, s26, s0
	s_addc_u32 s1, s27, 0
	s_cmp_eq_u32 s6, s10
	v_pk_mov_b32 v[2:3], s[28:29], s[28:29] op_sel:[0,1]
	s_cselect_b64 s[22:23], -1, 0
	s_cmp_lg_u32 s6, s10
	s_mul_i32 s24, s6, 0x300
	s_mov_b32 s25, 0
	v_cmp_lt_u64_e32 vcc, s[0:1], v[2:3]
	s_cselect_b64 s[0:1], -1, 0
	s_or_b64 s[34:35], s[0:1], vcc
	s_lshl_b64 s[10:11], s[24:25], 3
	s_add_u32 s7, s7, s10
	s_addc_u32 s14, s12, s11
	s_mov_b64 s[0:1], -1
	s_and_b64 vcc, exec, s[34:35]
	v_lshlrev_b32_e32 v1, 3, v0
	v_lshrrev_b32_e32 v10, 2, v0
	s_cbranch_vccz .LBB499_2
; %bb.1:
	v_mov_b32_e32 v3, s14
	v_add_co_u32_e32 v2, vcc, s7, v1
	v_addc_co_u32_e32 v3, vcc, 0, v3, vcc
	v_add_co_u32_e32 v4, vcc, 0x1000, v2
	v_addc_co_u32_e32 v5, vcc, 0, v3, vcc
	flat_load_dwordx2 v[6:7], v[2:3]
	flat_load_dwordx2 v[8:9], v[2:3] offset:1536
	flat_load_dwordx2 v[12:13], v[2:3] offset:3072
	;; [unrolled: 1-line block ×3, first 2 shown]
	v_add_u32_e32 v3, 0xc0, v0
	v_add_u32_e32 v4, 0x180, v0
	;; [unrolled: 1-line block ×3, first 2 shown]
	v_and_b32_e32 v2, 56, v10
	v_lshrrev_b32_e32 v3, 2, v3
	v_lshrrev_b32_e32 v4, 2, v4
	;; [unrolled: 1-line block ×3, first 2 shown]
	v_add_u32_e32 v2, v2, v1
	v_and_b32_e32 v3, 0x78, v3
	v_and_b32_e32 v4, 0xf8, v4
	v_and_b32_e32 v5, 0xf8, v5
	v_add_u32_e32 v3, v3, v1
	v_add_u32_e32 v4, v4, v1
	;; [unrolled: 1-line block ×3, first 2 shown]
	s_mov_b64 s[0:1], 0
	s_waitcnt vmcnt(0) lgkmcnt(0)
	ds_write_b64 v2, v[6:7]
	ds_write_b64 v3, v[8:9] offset:1536
	ds_write_b64 v4, v[12:13] offset:3072
	;; [unrolled: 1-line block ×3, first 2 shown]
	s_waitcnt lgkmcnt(0)
	s_barrier
.LBB499_2:
	s_andn2_b64 vcc, exec, s[0:1]
	v_cmp_gt_u32_e64 s[0:1], s33, v0
	s_cbranch_vccnz .LBB499_12
; %bb.3:
                                        ; implicit-def: $vgpr2_vgpr3_vgpr4_vgpr5_vgpr6_vgpr7_vgpr8_vgpr9
	s_and_saveexec_b64 s[12:13], s[0:1]
	s_cbranch_execz .LBB499_5
; %bb.4:
	v_mov_b32_e32 v3, s14
	v_add_co_u32_e32 v2, vcc, s7, v1
	v_addc_co_u32_e32 v3, vcc, 0, v3, vcc
	flat_load_dwordx2 v[2:3], v[2:3]
.LBB499_5:
	s_or_b64 exec, exec, s[12:13]
	v_add_u32_e32 v11, 0xc0, v0
	v_cmp_gt_u32_e32 vcc, s33, v11
	s_and_saveexec_b64 s[0:1], vcc
	s_cbranch_execz .LBB499_7
; %bb.6:
	v_mov_b32_e32 v5, s14
	v_add_co_u32_e32 v4, vcc, s7, v1
	v_addc_co_u32_e32 v5, vcc, 0, v5, vcc
	flat_load_dwordx2 v[4:5], v[4:5] offset:1536
.LBB499_7:
	s_or_b64 exec, exec, s[0:1]
	v_add_u32_e32 v12, 0x180, v0
	v_cmp_gt_u32_e32 vcc, s33, v12
	s_and_saveexec_b64 s[0:1], vcc
	s_cbranch_execz .LBB499_9
; %bb.8:
	v_mov_b32_e32 v7, s14
	v_add_co_u32_e32 v6, vcc, s7, v1
	v_addc_co_u32_e32 v7, vcc, 0, v7, vcc
	flat_load_dwordx2 v[6:7], v[6:7] offset:3072
.LBB499_9:
	s_or_b64 exec, exec, s[0:1]
	v_add_u32_e32 v13, 0x240, v0
	v_cmp_gt_u32_e32 vcc, s33, v13
	s_and_saveexec_b64 s[0:1], vcc
	s_cbranch_execz .LBB499_11
; %bb.10:
	v_lshlrev_b32_e32 v8, 3, v13
	v_mov_b32_e32 v9, s14
	v_add_co_u32_e32 v8, vcc, s7, v8
	v_addc_co_u32_e32 v9, vcc, 0, v9, vcc
	flat_load_dwordx2 v[8:9], v[8:9]
.LBB499_11:
	s_or_b64 exec, exec, s[0:1]
	v_and_b32_e32 v10, 56, v10
	v_add_u32_e32 v10, v10, v1
	s_waitcnt vmcnt(0) lgkmcnt(0)
	ds_write_b64 v10, v[2:3]
	v_lshrrev_b32_e32 v2, 2, v11
	v_and_b32_e32 v2, 0x78, v2
	v_add_u32_e32 v2, v2, v1
	ds_write_b64 v2, v[4:5] offset:1536
	v_lshrrev_b32_e32 v2, 2, v12
	v_and_b32_e32 v2, 0xf8, v2
	v_add_u32_e32 v2, v2, v1
	ds_write_b64 v2, v[6:7] offset:3072
	;; [unrolled: 4-line block ×3, first 2 shown]
	s_waitcnt lgkmcnt(0)
	s_barrier
.LBB499_12:
	v_lshlrev_b32_e32 v20, 2, v0
	v_lshrrev_b32_e32 v10, 3, v0
	v_add_lshl_u32 v2, v10, v20, 3
	s_waitcnt lgkmcnt(0)
	ds_read2_b64 v[6:9], v2 offset1:1
	ds_read2_b64 v[2:5], v2 offset0:2 offset1:3
	s_add_u32 s0, s2, s8
	s_addc_u32 s1, s3, s9
	s_add_u32 s0, s0, s10
	s_addc_u32 s1, s1, s11
	s_mov_b64 s[2:3], -1
	s_and_b64 vcc, exec, s[34:35]
	v_lshrrev_b32_e32 v11, 5, v0
	s_waitcnt lgkmcnt(0)
	s_barrier
	s_cbranch_vccz .LBB499_14
; %bb.13:
	v_mov_b32_e32 v14, s1
	v_add_co_u32_e32 v18, vcc, s0, v1
	global_load_dwordx2 v[12:13], v1, s[0:1]
	v_addc_co_u32_e32 v19, vcc, 0, v14, vcc
	v_add_co_u32_e32 v18, vcc, 0x1000, v18
	global_load_dwordx2 v[14:15], v1, s[0:1] offset:1536
	global_load_dwordx2 v[16:17], v1, s[0:1] offset:3072
	v_addc_co_u32_e32 v19, vcc, 0, v19, vcc
	global_load_dwordx2 v[18:19], v[18:19], off offset:512
	v_add_u32_e32 v22, 0xc0, v0
	v_add_u32_e32 v23, 0x180, v0
	;; [unrolled: 1-line block ×3, first 2 shown]
	v_and_b32_e32 v21, 4, v11
	v_lshrrev_b32_e32 v22, 5, v22
	v_lshrrev_b32_e32 v23, 5, v23
	;; [unrolled: 1-line block ×3, first 2 shown]
	v_add_u32_e32 v21, v21, v0
	v_and_b32_e32 v22, 12, v22
	v_and_b32_e32 v23, 28, v23
	;; [unrolled: 1-line block ×3, first 2 shown]
	v_add_u32_e32 v22, v22, v0
	v_add_u32_e32 v23, v23, v0
	;; [unrolled: 1-line block ×3, first 2 shown]
	s_mov_b64 s[2:3], 0
	s_waitcnt vmcnt(3)
	v_cmp_ne_u64_e32 vcc, 0, v[12:13]
	v_cndmask_b32_e64 v12, 0, 1, vcc
	s_waitcnt vmcnt(2)
	v_cmp_ne_u64_e32 vcc, 0, v[14:15]
	v_cndmask_b32_e64 v13, 0, 1, vcc
	;; [unrolled: 3-line block ×3, first 2 shown]
	s_waitcnt vmcnt(0)
	v_cmp_ne_u64_e32 vcc, 0, v[18:19]
	ds_write_b8 v21, v12
	ds_write_b8 v22, v13 offset:192
	ds_write_b8 v23, v14 offset:384
	v_cndmask_b32_e64 v12, 0, 1, vcc
	ds_write_b8 v24, v12 offset:576
	s_waitcnt lgkmcnt(0)
	s_barrier
.LBB499_14:
	s_load_dwordx2 s[36:37], s[4:5], 0x70
	s_andn2_b64 vcc, exec, s[2:3]
	s_cbranch_vccnz .LBB499_24
; %bb.15:
	v_cmp_gt_u32_e32 vcc, s33, v0
	v_mov_b32_e32 v12, 0
	v_mov_b32_e32 v13, 0
	s_and_saveexec_b64 s[2:3], vcc
	s_cbranch_execz .LBB499_17
; %bb.16:
	global_load_dwordx2 v[14:15], v1, s[0:1]
	s_waitcnt vmcnt(0)
	v_cmp_ne_u64_e32 vcc, 0, v[14:15]
	v_cndmask_b32_e64 v13, 0, 1, vcc
.LBB499_17:
	s_or_b64 exec, exec, s[2:3]
	v_add_u32_e32 v14, 0xc0, v0
	v_cmp_gt_u32_e32 vcc, s33, v14
	s_and_saveexec_b64 s[2:3], vcc
	s_cbranch_execz .LBB499_19
; %bb.18:
	global_load_dwordx2 v[16:17], v1, s[0:1] offset:1536
	s_waitcnt vmcnt(0)
	v_cmp_ne_u64_e32 vcc, 0, v[16:17]
	v_cndmask_b32_e64 v12, 0, 1, vcc
.LBB499_19:
	s_or_b64 exec, exec, s[2:3]
	v_add_u32_e32 v16, 0x180, v0
	v_cmp_gt_u32_e32 vcc, s33, v16
	v_mov_b32_e32 v15, 0
	v_mov_b32_e32 v17, 0
	s_and_saveexec_b64 s[2:3], vcc
	s_cbranch_execz .LBB499_21
; %bb.20:
	global_load_dwordx2 v[18:19], v1, s[0:1] offset:3072
	s_waitcnt vmcnt(0)
	v_cmp_ne_u64_e32 vcc, 0, v[18:19]
	v_cndmask_b32_e64 v17, 0, 1, vcc
.LBB499_21:
	s_or_b64 exec, exec, s[2:3]
	v_add_u32_e32 v18, 0x240, v0
	v_cmp_gt_u32_e32 vcc, s33, v18
	s_and_saveexec_b64 s[2:3], vcc
	s_cbranch_execz .LBB499_23
; %bb.22:
	v_lshlrev_b32_e32 v15, 3, v18
	global_load_dwordx2 v[22:23], v15, s[0:1]
	s_waitcnt vmcnt(0)
	v_cmp_ne_u64_e32 vcc, 0, v[22:23]
	v_cndmask_b32_e64 v15, 0, 1, vcc
.LBB499_23:
	s_or_b64 exec, exec, s[2:3]
	v_and_b32_e32 v11, 4, v11
	v_add_u32_e32 v11, v11, v0
	ds_write_b8 v11, v13
	v_lshrrev_b32_e32 v11, 5, v14
	v_and_b32_e32 v11, 12, v11
	v_add_u32_e32 v11, v11, v0
	ds_write_b8 v11, v12 offset:192
	v_lshrrev_b32_e32 v11, 5, v16
	v_and_b32_e32 v11, 28, v11
	v_add_u32_e32 v11, v11, v0
	ds_write_b8 v11, v17 offset:384
	;; [unrolled: 4-line block ×3, first 2 shown]
	s_waitcnt lgkmcnt(0)
	s_barrier
.LBB499_24:
	v_and_b32_e32 v10, 28, v10
	v_add_u32_e32 v10, v10, v20
	s_waitcnt lgkmcnt(0)
	ds_read_b32 v22, v10
	s_cmp_lg_u32 s6, 0
	v_lshrrev_b32_e32 v25, 6, v0
	s_waitcnt lgkmcnt(0)
	s_barrier
	v_lshrrev_b32_e32 v21, 24, v22
	v_bfe_u32 v23, v22, 16, 8
	v_add_u32_sdwa v10, v22, v22 dst_sel:DWORD dst_unused:UNUSED_PAD src0_sel:BYTE_1 src1_sel:BYTE_0
	v_add3_u32 v26, v10, v23, v21
	v_mbcnt_lo_u32_b32 v10, -1, 0
	v_mbcnt_hi_u32_b32 v24, -1, v10
	v_and_b32_e32 v10, 15, v24
	v_cmp_eq_u32_e64 s[14:15], 0, v10
	v_cmp_lt_u32_e64 s[12:13], 1, v10
	v_cmp_lt_u32_e64 s[10:11], 3, v10
	;; [unrolled: 1-line block ×3, first 2 shown]
	v_and_b32_e32 v10, 16, v24
	v_cmp_eq_u32_e64 s[2:3], 0, v10
	v_and_b32_e32 v10, 0xc0, v0
	v_min_u32_e32 v10, 0x80, v10
	v_or_b32_e32 v10, 63, v10
	v_cmp_lt_u32_e64 s[0:1], 31, v24
	v_cmp_eq_u32_e64 s[18:19], v10, v0
	s_cbranch_scc0 .LBB499_55
; %bb.25:
	v_mov_b32_dpp v10, v26 row_shr:1 row_mask:0xf bank_mask:0xf
	v_cndmask_b32_e64 v10, v10, 0, s[14:15]
	v_add_u32_e32 v10, v10, v26
	s_nop 1
	v_mov_b32_dpp v11, v10 row_shr:2 row_mask:0xf bank_mask:0xf
	v_cndmask_b32_e64 v11, 0, v11, s[12:13]
	v_add_u32_e32 v10, v10, v11
	s_nop 1
	;; [unrolled: 4-line block ×4, first 2 shown]
	v_mov_b32_dpp v11, v10 row_bcast:15 row_mask:0xf bank_mask:0xf
	v_cndmask_b32_e64 v11, v11, 0, s[2:3]
	v_add_u32_e32 v10, v10, v11
	s_nop 1
	v_mov_b32_dpp v11, v10 row_bcast:31 row_mask:0xf bank_mask:0xf
	v_cndmask_b32_e64 v11, 0, v11, s[0:1]
	v_add_u32_e32 v10, v10, v11
	s_and_saveexec_b64 s[16:17], s[18:19]
	s_cbranch_execz .LBB499_27
; %bb.26:
	v_lshlrev_b32_e32 v11, 2, v25
	ds_write_b32 v11, v10
.LBB499_27:
	s_or_b64 exec, exec, s[16:17]
	v_cmp_gt_u32_e32 vcc, 3, v0
	s_waitcnt lgkmcnt(0)
	s_barrier
	s_and_saveexec_b64 s[16:17], vcc
	s_cbranch_execz .LBB499_29
; %bb.28:
	ds_read_b32 v11, v20
	v_and_b32_e32 v12, 3, v24
	v_cmp_ne_u32_e32 vcc, 0, v12
	s_waitcnt lgkmcnt(0)
	v_mov_b32_dpp v13, v11 row_shr:1 row_mask:0xf bank_mask:0xf
	v_cndmask_b32_e32 v13, 0, v13, vcc
	v_add_u32_e32 v11, v13, v11
	v_cmp_lt_u32_e32 vcc, 1, v12
	s_nop 0
	v_mov_b32_dpp v13, v11 row_shr:2 row_mask:0xf bank_mask:0xf
	v_cndmask_b32_e32 v12, 0, v13, vcc
	v_add_u32_e32 v11, v11, v12
	ds_write_b32 v20, v11
.LBB499_29:
	s_or_b64 exec, exec, s[16:17]
	v_cmp_gt_u32_e32 vcc, 64, v0
	v_cmp_lt_u32_e64 s[16:17], 63, v0
	s_waitcnt lgkmcnt(0)
	s_barrier
	s_waitcnt lgkmcnt(0)
                                        ; implicit-def: $vgpr27
	s_and_saveexec_b64 s[38:39], s[16:17]
	s_cbranch_execz .LBB499_31
; %bb.30:
	v_lshl_add_u32 v11, v25, 2, -4
	ds_read_b32 v27, v11
	s_waitcnt lgkmcnt(0)
	v_add_u32_e32 v10, v27, v10
.LBB499_31:
	s_or_b64 exec, exec, s[38:39]
	v_add_u32_e32 v11, -1, v24
	v_and_b32_e32 v12, 64, v24
	v_cmp_lt_i32_e64 s[16:17], v11, v12
	v_cndmask_b32_e64 v11, v11, v24, s[16:17]
	v_lshlrev_b32_e32 v11, 2, v11
	ds_bpermute_b32 v28, v11, v10
	v_cmp_eq_u32_e64 s[16:17], 0, v24
	s_and_saveexec_b64 s[38:39], vcc
	s_cbranch_execz .LBB499_54
; %bb.32:
	v_mov_b32_e32 v19, 0
	ds_read_b32 v10, v19 offset:8
	s_and_saveexec_b64 s[40:41], s[16:17]
	s_cbranch_execz .LBB499_34
; %bb.33:
	s_add_i32 s42, s6, 64
	s_mov_b32 s43, 0
	s_lshl_b64 s[42:43], s[42:43], 3
	s_add_u32 s42, s36, s42
	v_mov_b32_e32 v11, 1
	s_addc_u32 s43, s37, s43
	s_waitcnt lgkmcnt(0)
	global_store_dwordx2 v19, v[10:11], s[42:43]
.LBB499_34:
	s_or_b64 exec, exec, s[40:41]
	v_xad_u32 v12, v24, -1, s6
	v_add_u32_e32 v18, 64, v12
	v_lshlrev_b64 v[14:15], 3, v[18:19]
	v_mov_b32_e32 v11, s37
	v_add_co_u32_e32 v14, vcc, s36, v14
	v_addc_co_u32_e32 v15, vcc, v11, v15, vcc
	global_load_dwordx2 v[16:17], v[14:15], off glc
	s_waitcnt vmcnt(0)
	v_cmp_eq_u16_sdwa s[42:43], v17, v19 src0_sel:BYTE_0 src1_sel:DWORD
	s_and_saveexec_b64 s[40:41], s[42:43]
	s_cbranch_execz .LBB499_40
; %bb.35:
	s_mov_b32 s7, 1
	s_mov_b64 s[42:43], 0
	v_mov_b32_e32 v11, 0
.LBB499_36:                             ; =>This Loop Header: Depth=1
                                        ;     Child Loop BB499_37 Depth 2
	s_max_u32 s25, s7, 1
.LBB499_37:                             ;   Parent Loop BB499_36 Depth=1
                                        ; =>  This Inner Loop Header: Depth=2
	s_add_i32 s25, s25, -1
	s_cmp_eq_u32 s25, 0
	s_sleep 1
	s_cbranch_scc0 .LBB499_37
; %bb.38:                               ;   in Loop: Header=BB499_36 Depth=1
	global_load_dwordx2 v[16:17], v[14:15], off glc
	s_cmp_lt_u32 s7, 32
	s_cselect_b64 s[44:45], -1, 0
	s_cmp_lg_u64 s[44:45], 0
	s_addc_u32 s7, s7, 0
	s_waitcnt vmcnt(0)
	v_cmp_ne_u16_sdwa s[44:45], v17, v11 src0_sel:BYTE_0 src1_sel:DWORD
	s_or_b64 s[42:43], s[44:45], s[42:43]
	s_andn2_b64 exec, exec, s[42:43]
	s_cbranch_execnz .LBB499_36
; %bb.39:
	s_or_b64 exec, exec, s[42:43]
.LBB499_40:
	s_or_b64 exec, exec, s[40:41]
	v_and_b32_e32 v30, 63, v24
	v_mov_b32_e32 v29, 2
	v_cmp_ne_u32_e32 vcc, 63, v30
	v_cmp_eq_u16_sdwa s[40:41], v17, v29 src0_sel:BYTE_0 src1_sel:DWORD
	v_lshlrev_b64 v[14:15], v24, -1
	v_addc_co_u32_e32 v18, vcc, 0, v24, vcc
	v_and_b32_e32 v11, s41, v15
	v_lshlrev_b32_e32 v31, 2, v18
	v_or_b32_e32 v11, 0x80000000, v11
	ds_bpermute_b32 v18, v31, v16
	v_and_b32_e32 v13, s40, v14
	v_ffbl_b32_e32 v11, v11
	v_add_u32_e32 v11, 32, v11
	v_ffbl_b32_e32 v13, v13
	v_min_u32_e32 v11, v13, v11
	v_cmp_lt_u32_e32 vcc, v30, v11
	s_waitcnt lgkmcnt(0)
	v_cndmask_b32_e32 v13, 0, v18, vcc
	v_cmp_gt_u32_e32 vcc, 62, v30
	v_add_u32_e32 v13, v13, v16
	v_cndmask_b32_e64 v16, 0, 1, vcc
	v_lshlrev_b32_e32 v16, 1, v16
	v_add_lshl_u32 v32, v16, v24, 2
	ds_bpermute_b32 v16, v32, v13
	v_add_u32_e32 v33, 2, v30
	v_cmp_le_u32_e32 vcc, v33, v11
	v_add_u32_e32 v35, 4, v30
	v_add_u32_e32 v37, 8, v30
	s_waitcnt lgkmcnt(0)
	v_cndmask_b32_e32 v16, 0, v16, vcc
	v_cmp_gt_u32_e32 vcc, 60, v30
	v_add_u32_e32 v13, v13, v16
	v_cndmask_b32_e64 v16, 0, 1, vcc
	v_lshlrev_b32_e32 v16, 2, v16
	v_add_lshl_u32 v34, v16, v24, 2
	ds_bpermute_b32 v16, v34, v13
	v_cmp_le_u32_e32 vcc, v35, v11
	v_add_u32_e32 v39, 16, v30
	v_add_u32_e32 v41, 32, v30
	s_waitcnt lgkmcnt(0)
	v_cndmask_b32_e32 v16, 0, v16, vcc
	v_cmp_gt_u32_e32 vcc, 56, v30
	v_add_u32_e32 v13, v13, v16
	v_cndmask_b32_e64 v16, 0, 1, vcc
	v_lshlrev_b32_e32 v16, 3, v16
	v_add_lshl_u32 v36, v16, v24, 2
	ds_bpermute_b32 v16, v36, v13
	v_cmp_le_u32_e32 vcc, v37, v11
	s_waitcnt lgkmcnt(0)
	v_cndmask_b32_e32 v16, 0, v16, vcc
	v_cmp_gt_u32_e32 vcc, 48, v30
	v_add_u32_e32 v13, v13, v16
	v_cndmask_b32_e64 v16, 0, 1, vcc
	v_lshlrev_b32_e32 v16, 4, v16
	v_add_lshl_u32 v38, v16, v24, 2
	ds_bpermute_b32 v16, v38, v13
	v_cmp_le_u32_e32 vcc, v39, v11
	;; [unrolled: 9-line block ×3, first 2 shown]
	s_waitcnt lgkmcnt(0)
	v_cndmask_b32_e32 v11, 0, v16, vcc
	v_add_u32_e32 v16, v13, v11
	v_mov_b32_e32 v13, 0
	s_branch .LBB499_42
.LBB499_41:                             ;   in Loop: Header=BB499_42 Depth=1
	s_or_b64 exec, exec, s[40:41]
	v_cmp_eq_u16_sdwa s[40:41], v17, v29 src0_sel:BYTE_0 src1_sel:DWORD
	v_and_b32_e32 v18, s41, v15
	v_or_b32_e32 v18, 0x80000000, v18
	ds_bpermute_b32 v42, v31, v16
	v_and_b32_e32 v19, s40, v14
	v_ffbl_b32_e32 v18, v18
	v_add_u32_e32 v18, 32, v18
	v_ffbl_b32_e32 v19, v19
	v_min_u32_e32 v18, v19, v18
	v_cmp_lt_u32_e32 vcc, v30, v18
	s_waitcnt lgkmcnt(0)
	v_cndmask_b32_e32 v19, 0, v42, vcc
	v_add_u32_e32 v16, v19, v16
	ds_bpermute_b32 v19, v32, v16
	v_cmp_le_u32_e32 vcc, v33, v18
	v_subrev_u32_e32 v12, 64, v12
	s_waitcnt lgkmcnt(0)
	v_cndmask_b32_e32 v19, 0, v19, vcc
	v_add_u32_e32 v16, v16, v19
	ds_bpermute_b32 v19, v34, v16
	v_cmp_le_u32_e32 vcc, v35, v18
	s_waitcnt lgkmcnt(0)
	v_cndmask_b32_e32 v19, 0, v19, vcc
	v_add_u32_e32 v16, v16, v19
	ds_bpermute_b32 v19, v36, v16
	v_cmp_le_u32_e32 vcc, v37, v18
	;; [unrolled: 5-line block ×4, first 2 shown]
	s_waitcnt lgkmcnt(0)
	v_cndmask_b32_e32 v18, 0, v19, vcc
	v_add3_u32 v16, v18, v11, v16
.LBB499_42:                             ; =>This Loop Header: Depth=1
                                        ;     Child Loop BB499_45 Depth 2
                                        ;       Child Loop BB499_46 Depth 3
	v_cmp_ne_u16_sdwa s[40:41], v17, v29 src0_sel:BYTE_0 src1_sel:DWORD
	v_cndmask_b32_e64 v11, 0, 1, s[40:41]
	;;#ASMSTART
	;;#ASMEND
	v_cmp_ne_u32_e32 vcc, 0, v11
	s_cmp_lg_u64 vcc, exec
	v_mov_b32_e32 v11, v16
	s_cbranch_scc1 .LBB499_49
; %bb.43:                               ;   in Loop: Header=BB499_42 Depth=1
	v_lshlrev_b64 v[16:17], 3, v[12:13]
	v_mov_b32_e32 v19, s37
	v_add_co_u32_e32 v18, vcc, s36, v16
	v_addc_co_u32_e32 v19, vcc, v19, v17, vcc
	global_load_dwordx2 v[16:17], v[18:19], off glc
	s_waitcnt vmcnt(0)
	v_cmp_eq_u16_sdwa s[42:43], v17, v13 src0_sel:BYTE_0 src1_sel:DWORD
	s_and_saveexec_b64 s[40:41], s[42:43]
	s_cbranch_execz .LBB499_41
; %bb.44:                               ;   in Loop: Header=BB499_42 Depth=1
	s_mov_b32 s7, 1
	s_mov_b64 s[42:43], 0
.LBB499_45:                             ;   Parent Loop BB499_42 Depth=1
                                        ; =>  This Loop Header: Depth=2
                                        ;       Child Loop BB499_46 Depth 3
	s_max_u32 s25, s7, 1
.LBB499_46:                             ;   Parent Loop BB499_42 Depth=1
                                        ;     Parent Loop BB499_45 Depth=2
                                        ; =>    This Inner Loop Header: Depth=3
	s_add_i32 s25, s25, -1
	s_cmp_eq_u32 s25, 0
	s_sleep 1
	s_cbranch_scc0 .LBB499_46
; %bb.47:                               ;   in Loop: Header=BB499_45 Depth=2
	global_load_dwordx2 v[16:17], v[18:19], off glc
	s_cmp_lt_u32 s7, 32
	s_cselect_b64 s[44:45], -1, 0
	s_cmp_lg_u64 s[44:45], 0
	s_addc_u32 s7, s7, 0
	s_waitcnt vmcnt(0)
	v_cmp_ne_u16_sdwa s[44:45], v17, v13 src0_sel:BYTE_0 src1_sel:DWORD
	s_or_b64 s[42:43], s[44:45], s[42:43]
	s_andn2_b64 exec, exec, s[42:43]
	s_cbranch_execnz .LBB499_45
; %bb.48:                               ;   in Loop: Header=BB499_42 Depth=1
	s_or_b64 exec, exec, s[42:43]
	s_branch .LBB499_41
.LBB499_49:                             ;   in Loop: Header=BB499_42 Depth=1
                                        ; implicit-def: $vgpr16
                                        ; implicit-def: $vgpr17
	s_cbranch_execz .LBB499_42
; %bb.50:
	s_and_saveexec_b64 s[40:41], s[16:17]
	s_cbranch_execz .LBB499_52
; %bb.51:
	s_add_i32 s6, s6, 64
	s_mov_b32 s7, 0
	s_lshl_b64 s[6:7], s[6:7], 3
	s_add_u32 s6, s36, s6
	v_add_u32_e32 v12, v11, v10
	v_mov_b32_e32 v13, 2
	s_addc_u32 s7, s37, s7
	v_mov_b32_e32 v14, 0
	global_store_dwordx2 v14, v[12:13], s[6:7]
	ds_write_b64 v14, v[10:11] offset:6336
.LBB499_52:
	s_or_b64 exec, exec, s[40:41]
	v_cmp_eq_u32_e32 vcc, 0, v0
	s_and_b64 exec, exec, vcc
	s_cbranch_execz .LBB499_54
; %bb.53:
	v_mov_b32_e32 v10, 0
	ds_write_b32 v10, v11 offset:8
.LBB499_54:
	s_or_b64 exec, exec, s[38:39]
	v_mov_b32_e32 v10, 0
	s_waitcnt lgkmcnt(0)
	s_barrier
	ds_read_b32 v11, v10 offset:8
	v_cndmask_b32_e64 v12, v28, v27, s[16:17]
	v_cmp_ne_u32_e32 vcc, 0, v0
	v_cndmask_b32_e32 v12, 0, v12, vcc
	s_waitcnt lgkmcnt(0)
	v_add_u32_e32 v14, v11, v12
	s_barrier
	ds_read_b64 v[10:11], v10 offset:6336
	v_add_u32_sdwa v15, v14, v22 dst_sel:DWORD dst_unused:UNUSED_PAD src0_sel:DWORD src1_sel:BYTE_0
	v_add_u32_sdwa v13, v15, v22 dst_sel:DWORD dst_unused:UNUSED_PAD src0_sel:DWORD src1_sel:BYTE_1
	v_add_u32_e32 v12, v13, v23
	s_load_dwordx2 s[4:5], s[4:5], 0x30
	s_branch .LBB499_65
.LBB499_55:
                                        ; implicit-def: $vgpr11
                                        ; implicit-def: $vgpr12
                                        ; implicit-def: $vgpr13
                                        ; implicit-def: $vgpr15
                                        ; implicit-def: $vgpr14
	s_load_dwordx2 s[4:5], s[4:5], 0x30
	s_cbranch_execz .LBB499_65
; %bb.56:
	s_waitcnt lgkmcnt(0)
	v_mov_b32_dpp v10, v26 row_shr:1 row_mask:0xf bank_mask:0xf
	v_cndmask_b32_e64 v10, v10, 0, s[14:15]
	v_add_u32_e32 v10, v10, v26
	s_nop 1
	v_mov_b32_dpp v11, v10 row_shr:2 row_mask:0xf bank_mask:0xf
	v_cndmask_b32_e64 v11, 0, v11, s[12:13]
	v_add_u32_e32 v10, v10, v11
	s_nop 1
	;; [unrolled: 4-line block ×4, first 2 shown]
	v_mov_b32_dpp v11, v10 row_bcast:15 row_mask:0xf bank_mask:0xf
	v_cndmask_b32_e64 v11, v11, 0, s[2:3]
	v_add_u32_e32 v10, v10, v11
	s_nop 1
	v_mov_b32_dpp v11, v10 row_bcast:31 row_mask:0xf bank_mask:0xf
	v_cndmask_b32_e64 v11, 0, v11, s[0:1]
	v_add_u32_e32 v10, v10, v11
	s_and_saveexec_b64 s[0:1], s[18:19]
	s_cbranch_execz .LBB499_58
; %bb.57:
	v_lshlrev_b32_e32 v11, 2, v25
	ds_write_b32 v11, v10
.LBB499_58:
	s_or_b64 exec, exec, s[0:1]
	v_cmp_gt_u32_e32 vcc, 3, v0
	s_waitcnt lgkmcnt(0)
	s_barrier
	s_and_saveexec_b64 s[0:1], vcc
	s_cbranch_execz .LBB499_60
; %bb.59:
	ds_read_b32 v11, v20
	v_and_b32_e32 v12, 3, v24
	v_cmp_ne_u32_e32 vcc, 0, v12
	s_waitcnt lgkmcnt(0)
	v_mov_b32_dpp v13, v11 row_shr:1 row_mask:0xf bank_mask:0xf
	v_cndmask_b32_e32 v13, 0, v13, vcc
	v_add_u32_e32 v11, v13, v11
	v_cmp_lt_u32_e32 vcc, 1, v12
	s_nop 0
	v_mov_b32_dpp v13, v11 row_shr:2 row_mask:0xf bank_mask:0xf
	v_cndmask_b32_e32 v12, 0, v13, vcc
	v_add_u32_e32 v11, v11, v12
	ds_write_b32 v20, v11
.LBB499_60:
	s_or_b64 exec, exec, s[0:1]
	v_cmp_lt_u32_e32 vcc, 63, v0
	v_mov_b32_e32 v11, 0
	v_mov_b32_e32 v12, 0
	s_waitcnt lgkmcnt(0)
	s_barrier
	s_and_saveexec_b64 s[0:1], vcc
	s_cbranch_execz .LBB499_62
; %bb.61:
	v_lshl_add_u32 v12, v25, 2, -4
	ds_read_b32 v12, v12
.LBB499_62:
	s_or_b64 exec, exec, s[0:1]
	v_add_u32_e32 v13, -1, v24
	v_and_b32_e32 v14, 64, v24
	v_cmp_lt_i32_e32 vcc, v13, v14
	v_cndmask_b32_e32 v13, v13, v24, vcc
	s_waitcnt lgkmcnt(0)
	v_add_u32_e32 v10, v12, v10
	v_lshlrev_b32_e32 v13, 2, v13
	ds_bpermute_b32 v13, v13, v10
	ds_read_b32 v10, v11 offset:8
	v_cmp_eq_u32_e32 vcc, 0, v0
	s_and_saveexec_b64 s[0:1], vcc
	s_cbranch_execz .LBB499_64
; %bb.63:
	v_mov_b32_e32 v14, 0
	v_mov_b32_e32 v11, 2
	s_waitcnt lgkmcnt(0)
	global_store_dwordx2 v14, v[10:11], s[36:37] offset:512
.LBB499_64:
	s_or_b64 exec, exec, s[0:1]
	v_cmp_eq_u32_e64 s[0:1], 0, v24
	s_waitcnt lgkmcnt(1)
	v_cndmask_b32_e64 v12, v13, v12, s[0:1]
	v_cndmask_b32_e64 v14, v12, 0, vcc
	v_add_u32_sdwa v15, v14, v22 dst_sel:DWORD dst_unused:UNUSED_PAD src0_sel:DWORD src1_sel:BYTE_0
	v_add_u32_sdwa v13, v15, v22 dst_sel:DWORD dst_unused:UNUSED_PAD src0_sel:DWORD src1_sel:BYTE_1
	v_mov_b32_e32 v11, 0
	v_add_u32_e32 v12, v13, v23
	s_waitcnt lgkmcnt(0)
	s_barrier
.LBB499_65:
	s_waitcnt lgkmcnt(0)
	v_add_u32_e32 v17, v10, v20
	v_sub_u32_e32 v14, v14, v11
	v_and_b32_e32 v19, 1, v22
	v_sub_u32_e32 v18, v17, v14
	v_cmp_eq_u32_e32 vcc, 1, v19
	v_cndmask_b32_e32 v14, v18, v14, vcc
	v_lshlrev_b32_e32 v14, 3, v14
	v_lshrrev_b32_e32 v16, 8, v22
	ds_write_b64 v14, v[6:7]
	v_sub_u32_e32 v6, v15, v11
	v_sub_u32_e32 v7, v17, v6
	v_and_b32_e32 v14, 1, v16
	v_add_u32_e32 v7, 1, v7
	v_cmp_eq_u32_e32 vcc, 1, v14
	v_cndmask_b32_e32 v6, v7, v6, vcc
	v_lshlrev_b32_e32 v6, 3, v6
	ds_write_b64 v6, v[8:9]
	v_sub_u32_e32 v6, v13, v11
	v_mov_b32_e32 v8, 1
	v_sub_u32_e32 v7, v17, v6
	v_and_b32_sdwa v8, v8, v22 dst_sel:DWORD dst_unused:UNUSED_PAD src0_sel:DWORD src1_sel:WORD_1
	v_add_u32_e32 v7, 2, v7
	v_cmp_eq_u32_e32 vcc, 1, v8
	v_cndmask_b32_e32 v6, v7, v6, vcc
	v_lshlrev_b32_e32 v6, 3, v6
	ds_write_b64 v6, v[2:3]
	v_sub_u32_e32 v2, v12, v11
	v_sub_u32_e32 v3, v17, v2
	v_and_b32_e32 v6, 1, v21
	v_add_u32_e32 v3, 3, v3
	v_cmp_eq_u32_e32 vcc, 1, v6
	v_cndmask_b32_e32 v2, v3, v2, vcc
	s_add_u32 s0, s26, s24
	v_lshlrev_b32_e32 v2, 3, v2
	s_addc_u32 s1, s27, 0
	ds_write_b64 v2, v[4:5]
	s_waitcnt lgkmcnt(0)
	s_barrier
	ds_read2st64_b64 v[6:9], v1 offset1:3
	ds_read2st64_b64 v[2:5], v1 offset0:6 offset1:9
	v_mov_b32_e32 v12, s31
	v_add_co_u32_e32 v1, vcc, s30, v11
	s_sub_u32 s0, s28, s0
	v_addc_co_u32_e32 v11, vcc, 0, v12, vcc
	s_subb_u32 s1, s29, s1
	v_mov_b32_e32 v12, s1
	v_add_co_u32_e32 v13, vcc, s0, v10
	v_addc_co_u32_e32 v12, vcc, 0, v12, vcc
	v_add_co_u32_e64 v15, s[0:1], v13, v1
	v_add_u32_e32 v18, 0xc0, v0
	v_add_u32_e32 v17, 0x180, v0
	;; [unrolled: 1-line block ×3, first 2 shown]
	s_andn2_b64 vcc, exec, s[34:35]
	v_addc_co_u32_e64 v16, s[0:1], v12, v11, s[0:1]
	s_cbranch_vccnz .LBB499_83
; %bb.66:
	v_cmp_ge_u32_e32 vcc, v0, v10
                                        ; implicit-def: $vgpr12_vgpr13
	s_and_saveexec_b64 s[0:1], vcc
	s_xor_b64 s[0:1], exec, s[0:1]
; %bb.67:
	v_not_b32_e32 v12, v0
	v_ashrrev_i32_e32 v13, 31, v12
	v_add_co_u32_e32 v12, vcc, v15, v12
	v_addc_co_u32_e32 v13, vcc, v16, v13, vcc
; %bb.68:
	s_andn2_saveexec_b64 s[0:1], s[0:1]
; %bb.69:
	v_add_co_u32_e32 v12, vcc, v1, v0
	v_addc_co_u32_e32 v13, vcc, 0, v11, vcc
; %bb.70:
	s_or_b64 exec, exec, s[0:1]
	v_lshlrev_b64 v[12:13], 3, v[12:13]
	v_mov_b32_e32 v19, s5
	v_add_co_u32_e32 v12, vcc, s4, v12
	v_addc_co_u32_e32 v13, vcc, v19, v13, vcc
	v_cmp_ge_u32_e32 vcc, v18, v10
	s_waitcnt lgkmcnt(1)
	global_store_dwordx2 v[12:13], v[6:7], off
                                        ; implicit-def: $vgpr12_vgpr13
	s_and_saveexec_b64 s[0:1], vcc
	s_xor_b64 s[0:1], exec, s[0:1]
; %bb.71:
	v_sub_u32_e32 v12, 0xffffff3f, v0
	v_ashrrev_i32_e32 v13, 31, v12
	v_add_co_u32_e32 v12, vcc, v15, v12
	v_addc_co_u32_e32 v13, vcc, v16, v13, vcc
; %bb.72:
	s_andn2_saveexec_b64 s[0:1], s[0:1]
; %bb.73:
	v_add_co_u32_e32 v12, vcc, v1, v18
	v_addc_co_u32_e32 v13, vcc, 0, v11, vcc
; %bb.74:
	s_or_b64 exec, exec, s[0:1]
	v_lshlrev_b64 v[12:13], 3, v[12:13]
	v_mov_b32_e32 v19, s5
	v_add_co_u32_e32 v12, vcc, s4, v12
	v_addc_co_u32_e32 v13, vcc, v19, v13, vcc
	v_cmp_ge_u32_e32 vcc, v17, v10
	global_store_dwordx2 v[12:13], v[8:9], off
                                        ; implicit-def: $vgpr12_vgpr13
	s_and_saveexec_b64 s[0:1], vcc
	s_xor_b64 s[0:1], exec, s[0:1]
; %bb.75:
	v_sub_u32_e32 v12, 0xfffffe7f, v0
	v_ashrrev_i32_e32 v13, 31, v12
	v_add_co_u32_e32 v12, vcc, v15, v12
	v_addc_co_u32_e32 v13, vcc, v16, v13, vcc
; %bb.76:
	s_andn2_saveexec_b64 s[0:1], s[0:1]
; %bb.77:
	v_add_co_u32_e32 v12, vcc, v1, v17
	v_addc_co_u32_e32 v13, vcc, 0, v11, vcc
; %bb.78:
	s_or_b64 exec, exec, s[0:1]
	v_lshlrev_b64 v[12:13], 3, v[12:13]
	v_mov_b32_e32 v19, s5
	v_add_co_u32_e32 v12, vcc, s4, v12
	v_addc_co_u32_e32 v13, vcc, v19, v13, vcc
	v_cmp_ge_u32_e32 vcc, v14, v10
	s_waitcnt lgkmcnt(0)
	global_store_dwordx2 v[12:13], v[2:3], off
                                        ; implicit-def: $vgpr12_vgpr13
	s_and_saveexec_b64 s[0:1], vcc
	s_xor_b64 s[0:1], exec, s[0:1]
; %bb.79:
	v_sub_u32_e32 v12, 0xfffffdbf, v0
	v_ashrrev_i32_e32 v13, 31, v12
	v_add_co_u32_e32 v12, vcc, v15, v12
	v_addc_co_u32_e32 v13, vcc, v16, v13, vcc
; %bb.80:
	s_andn2_saveexec_b64 s[0:1], s[0:1]
; %bb.81:
	v_add_co_u32_e32 v12, vcc, v1, v14
	v_addc_co_u32_e32 v13, vcc, 0, v11, vcc
; %bb.82:
	s_or_b64 exec, exec, s[0:1]
	s_mov_b64 s[0:1], -1
	s_branch .LBB499_109
.LBB499_83:
	s_mov_b64 s[0:1], 0
                                        ; implicit-def: $vgpr12_vgpr13
	s_cbranch_execz .LBB499_109
; %bb.84:
	v_cmp_gt_u32_e32 vcc, s33, v0
	s_and_saveexec_b64 s[2:3], vcc
	s_cbranch_execz .LBB499_92
; %bb.85:
	v_cmp_ge_u32_e32 vcc, v0, v10
                                        ; implicit-def: $vgpr12_vgpr13
	s_and_saveexec_b64 s[6:7], vcc
	s_xor_b64 s[6:7], exec, s[6:7]
; %bb.86:
	v_not_b32_e32 v12, v0
	v_ashrrev_i32_e32 v13, 31, v12
	v_add_co_u32_e32 v12, vcc, v15, v12
	v_addc_co_u32_e32 v13, vcc, v16, v13, vcc
; %bb.87:
	s_andn2_saveexec_b64 s[6:7], s[6:7]
; %bb.88:
	v_add_co_u32_e32 v12, vcc, v1, v0
	v_addc_co_u32_e32 v13, vcc, 0, v11, vcc
; %bb.89:
	s_or_b64 exec, exec, s[6:7]
	v_lshlrev_b64 v[12:13], 3, v[12:13]
	v_mov_b32_e32 v19, s5
	v_add_co_u32_e32 v12, vcc, s4, v12
	v_addc_co_u32_e32 v13, vcc, v19, v13, vcc
	s_waitcnt lgkmcnt(1)
	global_store_dwordx2 v[12:13], v[6:7], off
	s_or_b64 exec, exec, s[2:3]
	v_cmp_gt_u32_e32 vcc, s33, v18
	s_and_saveexec_b64 s[2:3], vcc
	s_cbranch_execnz .LBB499_93
.LBB499_90:
	s_or_b64 exec, exec, s[2:3]
	v_cmp_gt_u32_e32 vcc, s33, v17
	s_and_saveexec_b64 s[2:3], vcc
	s_cbranch_execnz .LBB499_98
.LBB499_91:
	s_or_b64 exec, exec, s[2:3]
	v_cmp_gt_u32_e32 vcc, s33, v14
                                        ; implicit-def: $vgpr12_vgpr13
	s_and_saveexec_b64 s[2:3], vcc
	s_cbranch_execz .LBB499_108
	s_branch .LBB499_103
.LBB499_92:
	s_or_b64 exec, exec, s[2:3]
	v_cmp_gt_u32_e32 vcc, s33, v18
	s_and_saveexec_b64 s[2:3], vcc
	s_cbranch_execz .LBB499_90
.LBB499_93:
	v_cmp_ge_u32_e32 vcc, v18, v10
                                        ; implicit-def: $vgpr6_vgpr7
	s_and_saveexec_b64 s[6:7], vcc
	s_xor_b64 s[6:7], exec, s[6:7]
	s_cbranch_execz .LBB499_95
; %bb.94:
	s_waitcnt lgkmcnt(1)
	v_sub_u32_e32 v6, 0xffffff3f, v0
	v_ashrrev_i32_e32 v7, 31, v6
	v_add_co_u32_e32 v6, vcc, v15, v6
	v_addc_co_u32_e32 v7, vcc, v16, v7, vcc
                                        ; implicit-def: $vgpr18
.LBB499_95:
	s_andn2_saveexec_b64 s[6:7], s[6:7]
	s_cbranch_execz .LBB499_97
; %bb.96:
	s_waitcnt lgkmcnt(1)
	v_add_co_u32_e32 v6, vcc, v1, v18
	v_addc_co_u32_e32 v7, vcc, 0, v11, vcc
.LBB499_97:
	s_or_b64 exec, exec, s[6:7]
	s_waitcnt lgkmcnt(1)
	v_lshlrev_b64 v[6:7], 3, v[6:7]
	v_mov_b32_e32 v12, s5
	v_add_co_u32_e32 v6, vcc, s4, v6
	v_addc_co_u32_e32 v7, vcc, v12, v7, vcc
	global_store_dwordx2 v[6:7], v[8:9], off
	s_or_b64 exec, exec, s[2:3]
	v_cmp_gt_u32_e32 vcc, s33, v17
	s_and_saveexec_b64 s[2:3], vcc
	s_cbranch_execz .LBB499_91
.LBB499_98:
	v_cmp_ge_u32_e32 vcc, v17, v10
                                        ; implicit-def: $vgpr6_vgpr7
	s_and_saveexec_b64 s[6:7], vcc
	s_xor_b64 s[6:7], exec, s[6:7]
	s_cbranch_execz .LBB499_100
; %bb.99:
	s_waitcnt lgkmcnt(1)
	v_sub_u32_e32 v6, 0xfffffe7f, v0
	v_ashrrev_i32_e32 v7, 31, v6
	v_add_co_u32_e32 v6, vcc, v15, v6
	v_addc_co_u32_e32 v7, vcc, v16, v7, vcc
                                        ; implicit-def: $vgpr17
.LBB499_100:
	s_andn2_saveexec_b64 s[6:7], s[6:7]
	s_cbranch_execz .LBB499_102
; %bb.101:
	s_waitcnt lgkmcnt(1)
	v_add_co_u32_e32 v6, vcc, v1, v17
	v_addc_co_u32_e32 v7, vcc, 0, v11, vcc
.LBB499_102:
	s_or_b64 exec, exec, s[6:7]
	s_waitcnt lgkmcnt(1)
	v_lshlrev_b64 v[6:7], 3, v[6:7]
	v_mov_b32_e32 v8, s5
	v_add_co_u32_e32 v6, vcc, s4, v6
	v_addc_co_u32_e32 v7, vcc, v8, v7, vcc
	s_waitcnt lgkmcnt(0)
	global_store_dwordx2 v[6:7], v[2:3], off
	s_or_b64 exec, exec, s[2:3]
	v_cmp_gt_u32_e32 vcc, s33, v14
                                        ; implicit-def: $vgpr12_vgpr13
	s_and_saveexec_b64 s[2:3], vcc
	s_cbranch_execz .LBB499_108
.LBB499_103:
	v_cmp_ge_u32_e32 vcc, v14, v10
                                        ; implicit-def: $vgpr12_vgpr13
	s_and_saveexec_b64 s[6:7], vcc
	s_xor_b64 s[6:7], exec, s[6:7]
	s_cbranch_execz .LBB499_105
; %bb.104:
	s_waitcnt lgkmcnt(0)
	v_sub_u32_e32 v2, 0xfffffdbf, v0
	v_ashrrev_i32_e32 v3, 31, v2
	v_add_co_u32_e32 v12, vcc, v15, v2
	v_addc_co_u32_e32 v13, vcc, v16, v3, vcc
                                        ; implicit-def: $vgpr14
.LBB499_105:
	s_andn2_saveexec_b64 s[6:7], s[6:7]
; %bb.106:
	v_add_co_u32_e32 v12, vcc, v1, v14
	v_addc_co_u32_e32 v13, vcc, 0, v11, vcc
; %bb.107:
	s_or_b64 exec, exec, s[6:7]
	s_or_b64 s[0:1], s[0:1], exec
.LBB499_108:
	s_or_b64 exec, exec, s[2:3]
.LBB499_109:
	s_and_saveexec_b64 s[2:3], s[0:1]
	s_cbranch_execz .LBB499_111
; %bb.110:
	s_waitcnt lgkmcnt(0)
	v_lshlrev_b64 v[2:3], 3, v[12:13]
	v_mov_b32_e32 v6, s5
	v_add_co_u32_e32 v2, vcc, s4, v2
	v_addc_co_u32_e32 v3, vcc, v6, v3, vcc
	global_store_dwordx2 v[2:3], v[4:5], off
.LBB499_111:
	s_or_b64 exec, exec, s[2:3]
	v_cmp_eq_u32_e32 vcc, 0, v0
	s_and_b64 s[0:1], vcc, s[22:23]
	s_and_saveexec_b64 s[2:3], s[0:1]
	s_cbranch_execz .LBB499_113
; %bb.112:
	v_add_co_u32_e32 v0, vcc, v1, v10
	s_waitcnt lgkmcnt(0)
	v_mov_b32_e32 v2, 0
	v_addc_co_u32_e32 v1, vcc, 0, v11, vcc
	global_store_dwordx2 v2, v[0:1], s[20:21]
.LBB499_113:
	s_endpgm
	.section	.rodata,"a",@progbits
	.p2align	6, 0x0
	.amdhsa_kernel _ZN7rocprim17ROCPRIM_400000_NS6detail17trampoline_kernelINS0_14default_configENS1_25partition_config_selectorILNS1_17partition_subalgoE2ExNS0_10empty_typeEbEEZZNS1_14partition_implILS5_2ELb0ES3_jN6thrust23THRUST_200600_302600_NS6detail15normal_iteratorINSA_7pointerIxNSA_11hip_rocprim3tagENSA_11use_defaultESG_EEEEPS6_NSA_18transform_iteratorINSA_8identityIxEENSC_INSA_10device_ptrIxEEEESG_SG_EENS0_5tupleIJPxSJ_EEENSR_IJSJ_SJ_EEES6_PlJS6_EEE10hipError_tPvRmT3_T4_T5_T6_T7_T9_mT8_P12ihipStream_tbDpT10_ENKUlT_T0_E_clISt17integral_constantIbLb1EES1E_IbLb0EEEEDaS1A_S1B_EUlS1A_E_NS1_11comp_targetILNS1_3genE4ELNS1_11target_archE910ELNS1_3gpuE8ELNS1_3repE0EEENS1_30default_config_static_selectorELNS0_4arch9wavefront6targetE1EEEvT1_
		.amdhsa_group_segment_fixed_size 6344
		.amdhsa_private_segment_fixed_size 0
		.amdhsa_kernarg_size 128
		.amdhsa_user_sgpr_count 6
		.amdhsa_user_sgpr_private_segment_buffer 1
		.amdhsa_user_sgpr_dispatch_ptr 0
		.amdhsa_user_sgpr_queue_ptr 0
		.amdhsa_user_sgpr_kernarg_segment_ptr 1
		.amdhsa_user_sgpr_dispatch_id 0
		.amdhsa_user_sgpr_flat_scratch_init 0
		.amdhsa_user_sgpr_kernarg_preload_length 0
		.amdhsa_user_sgpr_kernarg_preload_offset 0
		.amdhsa_user_sgpr_private_segment_size 0
		.amdhsa_uses_dynamic_stack 0
		.amdhsa_system_sgpr_private_segment_wavefront_offset 0
		.amdhsa_system_sgpr_workgroup_id_x 1
		.amdhsa_system_sgpr_workgroup_id_y 0
		.amdhsa_system_sgpr_workgroup_id_z 0
		.amdhsa_system_sgpr_workgroup_info 0
		.amdhsa_system_vgpr_workitem_id 0
		.amdhsa_next_free_vgpr 43
		.amdhsa_next_free_sgpr 46
		.amdhsa_accum_offset 44
		.amdhsa_reserve_vcc 1
		.amdhsa_reserve_flat_scratch 0
		.amdhsa_float_round_mode_32 0
		.amdhsa_float_round_mode_16_64 0
		.amdhsa_float_denorm_mode_32 3
		.amdhsa_float_denorm_mode_16_64 3
		.amdhsa_dx10_clamp 1
		.amdhsa_ieee_mode 1
		.amdhsa_fp16_overflow 0
		.amdhsa_tg_split 0
		.amdhsa_exception_fp_ieee_invalid_op 0
		.amdhsa_exception_fp_denorm_src 0
		.amdhsa_exception_fp_ieee_div_zero 0
		.amdhsa_exception_fp_ieee_overflow 0
		.amdhsa_exception_fp_ieee_underflow 0
		.amdhsa_exception_fp_ieee_inexact 0
		.amdhsa_exception_int_div_zero 0
	.end_amdhsa_kernel
	.section	.text._ZN7rocprim17ROCPRIM_400000_NS6detail17trampoline_kernelINS0_14default_configENS1_25partition_config_selectorILNS1_17partition_subalgoE2ExNS0_10empty_typeEbEEZZNS1_14partition_implILS5_2ELb0ES3_jN6thrust23THRUST_200600_302600_NS6detail15normal_iteratorINSA_7pointerIxNSA_11hip_rocprim3tagENSA_11use_defaultESG_EEEEPS6_NSA_18transform_iteratorINSA_8identityIxEENSC_INSA_10device_ptrIxEEEESG_SG_EENS0_5tupleIJPxSJ_EEENSR_IJSJ_SJ_EEES6_PlJS6_EEE10hipError_tPvRmT3_T4_T5_T6_T7_T9_mT8_P12ihipStream_tbDpT10_ENKUlT_T0_E_clISt17integral_constantIbLb1EES1E_IbLb0EEEEDaS1A_S1B_EUlS1A_E_NS1_11comp_targetILNS1_3genE4ELNS1_11target_archE910ELNS1_3gpuE8ELNS1_3repE0EEENS1_30default_config_static_selectorELNS0_4arch9wavefront6targetE1EEEvT1_,"axG",@progbits,_ZN7rocprim17ROCPRIM_400000_NS6detail17trampoline_kernelINS0_14default_configENS1_25partition_config_selectorILNS1_17partition_subalgoE2ExNS0_10empty_typeEbEEZZNS1_14partition_implILS5_2ELb0ES3_jN6thrust23THRUST_200600_302600_NS6detail15normal_iteratorINSA_7pointerIxNSA_11hip_rocprim3tagENSA_11use_defaultESG_EEEEPS6_NSA_18transform_iteratorINSA_8identityIxEENSC_INSA_10device_ptrIxEEEESG_SG_EENS0_5tupleIJPxSJ_EEENSR_IJSJ_SJ_EEES6_PlJS6_EEE10hipError_tPvRmT3_T4_T5_T6_T7_T9_mT8_P12ihipStream_tbDpT10_ENKUlT_T0_E_clISt17integral_constantIbLb1EES1E_IbLb0EEEEDaS1A_S1B_EUlS1A_E_NS1_11comp_targetILNS1_3genE4ELNS1_11target_archE910ELNS1_3gpuE8ELNS1_3repE0EEENS1_30default_config_static_selectorELNS0_4arch9wavefront6targetE1EEEvT1_,comdat
.Lfunc_end499:
	.size	_ZN7rocprim17ROCPRIM_400000_NS6detail17trampoline_kernelINS0_14default_configENS1_25partition_config_selectorILNS1_17partition_subalgoE2ExNS0_10empty_typeEbEEZZNS1_14partition_implILS5_2ELb0ES3_jN6thrust23THRUST_200600_302600_NS6detail15normal_iteratorINSA_7pointerIxNSA_11hip_rocprim3tagENSA_11use_defaultESG_EEEEPS6_NSA_18transform_iteratorINSA_8identityIxEENSC_INSA_10device_ptrIxEEEESG_SG_EENS0_5tupleIJPxSJ_EEENSR_IJSJ_SJ_EEES6_PlJS6_EEE10hipError_tPvRmT3_T4_T5_T6_T7_T9_mT8_P12ihipStream_tbDpT10_ENKUlT_T0_E_clISt17integral_constantIbLb1EES1E_IbLb0EEEEDaS1A_S1B_EUlS1A_E_NS1_11comp_targetILNS1_3genE4ELNS1_11target_archE910ELNS1_3gpuE8ELNS1_3repE0EEENS1_30default_config_static_selectorELNS0_4arch9wavefront6targetE1EEEvT1_, .Lfunc_end499-_ZN7rocprim17ROCPRIM_400000_NS6detail17trampoline_kernelINS0_14default_configENS1_25partition_config_selectorILNS1_17partition_subalgoE2ExNS0_10empty_typeEbEEZZNS1_14partition_implILS5_2ELb0ES3_jN6thrust23THRUST_200600_302600_NS6detail15normal_iteratorINSA_7pointerIxNSA_11hip_rocprim3tagENSA_11use_defaultESG_EEEEPS6_NSA_18transform_iteratorINSA_8identityIxEENSC_INSA_10device_ptrIxEEEESG_SG_EENS0_5tupleIJPxSJ_EEENSR_IJSJ_SJ_EEES6_PlJS6_EEE10hipError_tPvRmT3_T4_T5_T6_T7_T9_mT8_P12ihipStream_tbDpT10_ENKUlT_T0_E_clISt17integral_constantIbLb1EES1E_IbLb0EEEEDaS1A_S1B_EUlS1A_E_NS1_11comp_targetILNS1_3genE4ELNS1_11target_archE910ELNS1_3gpuE8ELNS1_3repE0EEENS1_30default_config_static_selectorELNS0_4arch9wavefront6targetE1EEEvT1_
                                        ; -- End function
	.section	.AMDGPU.csdata,"",@progbits
; Kernel info:
; codeLenInByte = 4456
; NumSgprs: 50
; NumVgprs: 43
; NumAgprs: 0
; TotalNumVgprs: 43
; ScratchSize: 0
; MemoryBound: 0
; FloatMode: 240
; IeeeMode: 1
; LDSByteSize: 6344 bytes/workgroup (compile time only)
; SGPRBlocks: 6
; VGPRBlocks: 5
; NumSGPRsForWavesPerEU: 50
; NumVGPRsForWavesPerEU: 43
; AccumOffset: 44
; Occupancy: 8
; WaveLimiterHint : 1
; COMPUTE_PGM_RSRC2:SCRATCH_EN: 0
; COMPUTE_PGM_RSRC2:USER_SGPR: 6
; COMPUTE_PGM_RSRC2:TRAP_HANDLER: 0
; COMPUTE_PGM_RSRC2:TGID_X_EN: 1
; COMPUTE_PGM_RSRC2:TGID_Y_EN: 0
; COMPUTE_PGM_RSRC2:TGID_Z_EN: 0
; COMPUTE_PGM_RSRC2:TIDIG_COMP_CNT: 0
; COMPUTE_PGM_RSRC3_GFX90A:ACCUM_OFFSET: 10
; COMPUTE_PGM_RSRC3_GFX90A:TG_SPLIT: 0
	.section	.text._ZN7rocprim17ROCPRIM_400000_NS6detail17trampoline_kernelINS0_14default_configENS1_25partition_config_selectorILNS1_17partition_subalgoE2ExNS0_10empty_typeEbEEZZNS1_14partition_implILS5_2ELb0ES3_jN6thrust23THRUST_200600_302600_NS6detail15normal_iteratorINSA_7pointerIxNSA_11hip_rocprim3tagENSA_11use_defaultESG_EEEEPS6_NSA_18transform_iteratorINSA_8identityIxEENSC_INSA_10device_ptrIxEEEESG_SG_EENS0_5tupleIJPxSJ_EEENSR_IJSJ_SJ_EEES6_PlJS6_EEE10hipError_tPvRmT3_T4_T5_T6_T7_T9_mT8_P12ihipStream_tbDpT10_ENKUlT_T0_E_clISt17integral_constantIbLb1EES1E_IbLb0EEEEDaS1A_S1B_EUlS1A_E_NS1_11comp_targetILNS1_3genE3ELNS1_11target_archE908ELNS1_3gpuE7ELNS1_3repE0EEENS1_30default_config_static_selectorELNS0_4arch9wavefront6targetE1EEEvT1_,"axG",@progbits,_ZN7rocprim17ROCPRIM_400000_NS6detail17trampoline_kernelINS0_14default_configENS1_25partition_config_selectorILNS1_17partition_subalgoE2ExNS0_10empty_typeEbEEZZNS1_14partition_implILS5_2ELb0ES3_jN6thrust23THRUST_200600_302600_NS6detail15normal_iteratorINSA_7pointerIxNSA_11hip_rocprim3tagENSA_11use_defaultESG_EEEEPS6_NSA_18transform_iteratorINSA_8identityIxEENSC_INSA_10device_ptrIxEEEESG_SG_EENS0_5tupleIJPxSJ_EEENSR_IJSJ_SJ_EEES6_PlJS6_EEE10hipError_tPvRmT3_T4_T5_T6_T7_T9_mT8_P12ihipStream_tbDpT10_ENKUlT_T0_E_clISt17integral_constantIbLb1EES1E_IbLb0EEEEDaS1A_S1B_EUlS1A_E_NS1_11comp_targetILNS1_3genE3ELNS1_11target_archE908ELNS1_3gpuE7ELNS1_3repE0EEENS1_30default_config_static_selectorELNS0_4arch9wavefront6targetE1EEEvT1_,comdat
	.protected	_ZN7rocprim17ROCPRIM_400000_NS6detail17trampoline_kernelINS0_14default_configENS1_25partition_config_selectorILNS1_17partition_subalgoE2ExNS0_10empty_typeEbEEZZNS1_14partition_implILS5_2ELb0ES3_jN6thrust23THRUST_200600_302600_NS6detail15normal_iteratorINSA_7pointerIxNSA_11hip_rocprim3tagENSA_11use_defaultESG_EEEEPS6_NSA_18transform_iteratorINSA_8identityIxEENSC_INSA_10device_ptrIxEEEESG_SG_EENS0_5tupleIJPxSJ_EEENSR_IJSJ_SJ_EEES6_PlJS6_EEE10hipError_tPvRmT3_T4_T5_T6_T7_T9_mT8_P12ihipStream_tbDpT10_ENKUlT_T0_E_clISt17integral_constantIbLb1EES1E_IbLb0EEEEDaS1A_S1B_EUlS1A_E_NS1_11comp_targetILNS1_3genE3ELNS1_11target_archE908ELNS1_3gpuE7ELNS1_3repE0EEENS1_30default_config_static_selectorELNS0_4arch9wavefront6targetE1EEEvT1_ ; -- Begin function _ZN7rocprim17ROCPRIM_400000_NS6detail17trampoline_kernelINS0_14default_configENS1_25partition_config_selectorILNS1_17partition_subalgoE2ExNS0_10empty_typeEbEEZZNS1_14partition_implILS5_2ELb0ES3_jN6thrust23THRUST_200600_302600_NS6detail15normal_iteratorINSA_7pointerIxNSA_11hip_rocprim3tagENSA_11use_defaultESG_EEEEPS6_NSA_18transform_iteratorINSA_8identityIxEENSC_INSA_10device_ptrIxEEEESG_SG_EENS0_5tupleIJPxSJ_EEENSR_IJSJ_SJ_EEES6_PlJS6_EEE10hipError_tPvRmT3_T4_T5_T6_T7_T9_mT8_P12ihipStream_tbDpT10_ENKUlT_T0_E_clISt17integral_constantIbLb1EES1E_IbLb0EEEEDaS1A_S1B_EUlS1A_E_NS1_11comp_targetILNS1_3genE3ELNS1_11target_archE908ELNS1_3gpuE7ELNS1_3repE0EEENS1_30default_config_static_selectorELNS0_4arch9wavefront6targetE1EEEvT1_
	.globl	_ZN7rocprim17ROCPRIM_400000_NS6detail17trampoline_kernelINS0_14default_configENS1_25partition_config_selectorILNS1_17partition_subalgoE2ExNS0_10empty_typeEbEEZZNS1_14partition_implILS5_2ELb0ES3_jN6thrust23THRUST_200600_302600_NS6detail15normal_iteratorINSA_7pointerIxNSA_11hip_rocprim3tagENSA_11use_defaultESG_EEEEPS6_NSA_18transform_iteratorINSA_8identityIxEENSC_INSA_10device_ptrIxEEEESG_SG_EENS0_5tupleIJPxSJ_EEENSR_IJSJ_SJ_EEES6_PlJS6_EEE10hipError_tPvRmT3_T4_T5_T6_T7_T9_mT8_P12ihipStream_tbDpT10_ENKUlT_T0_E_clISt17integral_constantIbLb1EES1E_IbLb0EEEEDaS1A_S1B_EUlS1A_E_NS1_11comp_targetILNS1_3genE3ELNS1_11target_archE908ELNS1_3gpuE7ELNS1_3repE0EEENS1_30default_config_static_selectorELNS0_4arch9wavefront6targetE1EEEvT1_
	.p2align	8
	.type	_ZN7rocprim17ROCPRIM_400000_NS6detail17trampoline_kernelINS0_14default_configENS1_25partition_config_selectorILNS1_17partition_subalgoE2ExNS0_10empty_typeEbEEZZNS1_14partition_implILS5_2ELb0ES3_jN6thrust23THRUST_200600_302600_NS6detail15normal_iteratorINSA_7pointerIxNSA_11hip_rocprim3tagENSA_11use_defaultESG_EEEEPS6_NSA_18transform_iteratorINSA_8identityIxEENSC_INSA_10device_ptrIxEEEESG_SG_EENS0_5tupleIJPxSJ_EEENSR_IJSJ_SJ_EEES6_PlJS6_EEE10hipError_tPvRmT3_T4_T5_T6_T7_T9_mT8_P12ihipStream_tbDpT10_ENKUlT_T0_E_clISt17integral_constantIbLb1EES1E_IbLb0EEEEDaS1A_S1B_EUlS1A_E_NS1_11comp_targetILNS1_3genE3ELNS1_11target_archE908ELNS1_3gpuE7ELNS1_3repE0EEENS1_30default_config_static_selectorELNS0_4arch9wavefront6targetE1EEEvT1_,@function
_ZN7rocprim17ROCPRIM_400000_NS6detail17trampoline_kernelINS0_14default_configENS1_25partition_config_selectorILNS1_17partition_subalgoE2ExNS0_10empty_typeEbEEZZNS1_14partition_implILS5_2ELb0ES3_jN6thrust23THRUST_200600_302600_NS6detail15normal_iteratorINSA_7pointerIxNSA_11hip_rocprim3tagENSA_11use_defaultESG_EEEEPS6_NSA_18transform_iteratorINSA_8identityIxEENSC_INSA_10device_ptrIxEEEESG_SG_EENS0_5tupleIJPxSJ_EEENSR_IJSJ_SJ_EEES6_PlJS6_EEE10hipError_tPvRmT3_T4_T5_T6_T7_T9_mT8_P12ihipStream_tbDpT10_ENKUlT_T0_E_clISt17integral_constantIbLb1EES1E_IbLb0EEEEDaS1A_S1B_EUlS1A_E_NS1_11comp_targetILNS1_3genE3ELNS1_11target_archE908ELNS1_3gpuE7ELNS1_3repE0EEENS1_30default_config_static_selectorELNS0_4arch9wavefront6targetE1EEEvT1_: ; @_ZN7rocprim17ROCPRIM_400000_NS6detail17trampoline_kernelINS0_14default_configENS1_25partition_config_selectorILNS1_17partition_subalgoE2ExNS0_10empty_typeEbEEZZNS1_14partition_implILS5_2ELb0ES3_jN6thrust23THRUST_200600_302600_NS6detail15normal_iteratorINSA_7pointerIxNSA_11hip_rocprim3tagENSA_11use_defaultESG_EEEEPS6_NSA_18transform_iteratorINSA_8identityIxEENSC_INSA_10device_ptrIxEEEESG_SG_EENS0_5tupleIJPxSJ_EEENSR_IJSJ_SJ_EEES6_PlJS6_EEE10hipError_tPvRmT3_T4_T5_T6_T7_T9_mT8_P12ihipStream_tbDpT10_ENKUlT_T0_E_clISt17integral_constantIbLb1EES1E_IbLb0EEEEDaS1A_S1B_EUlS1A_E_NS1_11comp_targetILNS1_3genE3ELNS1_11target_archE908ELNS1_3gpuE7ELNS1_3repE0EEENS1_30default_config_static_selectorELNS0_4arch9wavefront6targetE1EEEvT1_
; %bb.0:
	.section	.rodata,"a",@progbits
	.p2align	6, 0x0
	.amdhsa_kernel _ZN7rocprim17ROCPRIM_400000_NS6detail17trampoline_kernelINS0_14default_configENS1_25partition_config_selectorILNS1_17partition_subalgoE2ExNS0_10empty_typeEbEEZZNS1_14partition_implILS5_2ELb0ES3_jN6thrust23THRUST_200600_302600_NS6detail15normal_iteratorINSA_7pointerIxNSA_11hip_rocprim3tagENSA_11use_defaultESG_EEEEPS6_NSA_18transform_iteratorINSA_8identityIxEENSC_INSA_10device_ptrIxEEEESG_SG_EENS0_5tupleIJPxSJ_EEENSR_IJSJ_SJ_EEES6_PlJS6_EEE10hipError_tPvRmT3_T4_T5_T6_T7_T9_mT8_P12ihipStream_tbDpT10_ENKUlT_T0_E_clISt17integral_constantIbLb1EES1E_IbLb0EEEEDaS1A_S1B_EUlS1A_E_NS1_11comp_targetILNS1_3genE3ELNS1_11target_archE908ELNS1_3gpuE7ELNS1_3repE0EEENS1_30default_config_static_selectorELNS0_4arch9wavefront6targetE1EEEvT1_
		.amdhsa_group_segment_fixed_size 0
		.amdhsa_private_segment_fixed_size 0
		.amdhsa_kernarg_size 128
		.amdhsa_user_sgpr_count 6
		.amdhsa_user_sgpr_private_segment_buffer 1
		.amdhsa_user_sgpr_dispatch_ptr 0
		.amdhsa_user_sgpr_queue_ptr 0
		.amdhsa_user_sgpr_kernarg_segment_ptr 1
		.amdhsa_user_sgpr_dispatch_id 0
		.amdhsa_user_sgpr_flat_scratch_init 0
		.amdhsa_user_sgpr_kernarg_preload_length 0
		.amdhsa_user_sgpr_kernarg_preload_offset 0
		.amdhsa_user_sgpr_private_segment_size 0
		.amdhsa_uses_dynamic_stack 0
		.amdhsa_system_sgpr_private_segment_wavefront_offset 0
		.amdhsa_system_sgpr_workgroup_id_x 1
		.amdhsa_system_sgpr_workgroup_id_y 0
		.amdhsa_system_sgpr_workgroup_id_z 0
		.amdhsa_system_sgpr_workgroup_info 0
		.amdhsa_system_vgpr_workitem_id 0
		.amdhsa_next_free_vgpr 1
		.amdhsa_next_free_sgpr 0
		.amdhsa_accum_offset 4
		.amdhsa_reserve_vcc 0
		.amdhsa_reserve_flat_scratch 0
		.amdhsa_float_round_mode_32 0
		.amdhsa_float_round_mode_16_64 0
		.amdhsa_float_denorm_mode_32 3
		.amdhsa_float_denorm_mode_16_64 3
		.amdhsa_dx10_clamp 1
		.amdhsa_ieee_mode 1
		.amdhsa_fp16_overflow 0
		.amdhsa_tg_split 0
		.amdhsa_exception_fp_ieee_invalid_op 0
		.amdhsa_exception_fp_denorm_src 0
		.amdhsa_exception_fp_ieee_div_zero 0
		.amdhsa_exception_fp_ieee_overflow 0
		.amdhsa_exception_fp_ieee_underflow 0
		.amdhsa_exception_fp_ieee_inexact 0
		.amdhsa_exception_int_div_zero 0
	.end_amdhsa_kernel
	.section	.text._ZN7rocprim17ROCPRIM_400000_NS6detail17trampoline_kernelINS0_14default_configENS1_25partition_config_selectorILNS1_17partition_subalgoE2ExNS0_10empty_typeEbEEZZNS1_14partition_implILS5_2ELb0ES3_jN6thrust23THRUST_200600_302600_NS6detail15normal_iteratorINSA_7pointerIxNSA_11hip_rocprim3tagENSA_11use_defaultESG_EEEEPS6_NSA_18transform_iteratorINSA_8identityIxEENSC_INSA_10device_ptrIxEEEESG_SG_EENS0_5tupleIJPxSJ_EEENSR_IJSJ_SJ_EEES6_PlJS6_EEE10hipError_tPvRmT3_T4_T5_T6_T7_T9_mT8_P12ihipStream_tbDpT10_ENKUlT_T0_E_clISt17integral_constantIbLb1EES1E_IbLb0EEEEDaS1A_S1B_EUlS1A_E_NS1_11comp_targetILNS1_3genE3ELNS1_11target_archE908ELNS1_3gpuE7ELNS1_3repE0EEENS1_30default_config_static_selectorELNS0_4arch9wavefront6targetE1EEEvT1_,"axG",@progbits,_ZN7rocprim17ROCPRIM_400000_NS6detail17trampoline_kernelINS0_14default_configENS1_25partition_config_selectorILNS1_17partition_subalgoE2ExNS0_10empty_typeEbEEZZNS1_14partition_implILS5_2ELb0ES3_jN6thrust23THRUST_200600_302600_NS6detail15normal_iteratorINSA_7pointerIxNSA_11hip_rocprim3tagENSA_11use_defaultESG_EEEEPS6_NSA_18transform_iteratorINSA_8identityIxEENSC_INSA_10device_ptrIxEEEESG_SG_EENS0_5tupleIJPxSJ_EEENSR_IJSJ_SJ_EEES6_PlJS6_EEE10hipError_tPvRmT3_T4_T5_T6_T7_T9_mT8_P12ihipStream_tbDpT10_ENKUlT_T0_E_clISt17integral_constantIbLb1EES1E_IbLb0EEEEDaS1A_S1B_EUlS1A_E_NS1_11comp_targetILNS1_3genE3ELNS1_11target_archE908ELNS1_3gpuE7ELNS1_3repE0EEENS1_30default_config_static_selectorELNS0_4arch9wavefront6targetE1EEEvT1_,comdat
.Lfunc_end500:
	.size	_ZN7rocprim17ROCPRIM_400000_NS6detail17trampoline_kernelINS0_14default_configENS1_25partition_config_selectorILNS1_17partition_subalgoE2ExNS0_10empty_typeEbEEZZNS1_14partition_implILS5_2ELb0ES3_jN6thrust23THRUST_200600_302600_NS6detail15normal_iteratorINSA_7pointerIxNSA_11hip_rocprim3tagENSA_11use_defaultESG_EEEEPS6_NSA_18transform_iteratorINSA_8identityIxEENSC_INSA_10device_ptrIxEEEESG_SG_EENS0_5tupleIJPxSJ_EEENSR_IJSJ_SJ_EEES6_PlJS6_EEE10hipError_tPvRmT3_T4_T5_T6_T7_T9_mT8_P12ihipStream_tbDpT10_ENKUlT_T0_E_clISt17integral_constantIbLb1EES1E_IbLb0EEEEDaS1A_S1B_EUlS1A_E_NS1_11comp_targetILNS1_3genE3ELNS1_11target_archE908ELNS1_3gpuE7ELNS1_3repE0EEENS1_30default_config_static_selectorELNS0_4arch9wavefront6targetE1EEEvT1_, .Lfunc_end500-_ZN7rocprim17ROCPRIM_400000_NS6detail17trampoline_kernelINS0_14default_configENS1_25partition_config_selectorILNS1_17partition_subalgoE2ExNS0_10empty_typeEbEEZZNS1_14partition_implILS5_2ELb0ES3_jN6thrust23THRUST_200600_302600_NS6detail15normal_iteratorINSA_7pointerIxNSA_11hip_rocprim3tagENSA_11use_defaultESG_EEEEPS6_NSA_18transform_iteratorINSA_8identityIxEENSC_INSA_10device_ptrIxEEEESG_SG_EENS0_5tupleIJPxSJ_EEENSR_IJSJ_SJ_EEES6_PlJS6_EEE10hipError_tPvRmT3_T4_T5_T6_T7_T9_mT8_P12ihipStream_tbDpT10_ENKUlT_T0_E_clISt17integral_constantIbLb1EES1E_IbLb0EEEEDaS1A_S1B_EUlS1A_E_NS1_11comp_targetILNS1_3genE3ELNS1_11target_archE908ELNS1_3gpuE7ELNS1_3repE0EEENS1_30default_config_static_selectorELNS0_4arch9wavefront6targetE1EEEvT1_
                                        ; -- End function
	.section	.AMDGPU.csdata,"",@progbits
; Kernel info:
; codeLenInByte = 0
; NumSgprs: 4
; NumVgprs: 0
; NumAgprs: 0
; TotalNumVgprs: 0
; ScratchSize: 0
; MemoryBound: 0
; FloatMode: 240
; IeeeMode: 1
; LDSByteSize: 0 bytes/workgroup (compile time only)
; SGPRBlocks: 0
; VGPRBlocks: 0
; NumSGPRsForWavesPerEU: 4
; NumVGPRsForWavesPerEU: 1
; AccumOffset: 4
; Occupancy: 8
; WaveLimiterHint : 0
; COMPUTE_PGM_RSRC2:SCRATCH_EN: 0
; COMPUTE_PGM_RSRC2:USER_SGPR: 6
; COMPUTE_PGM_RSRC2:TRAP_HANDLER: 0
; COMPUTE_PGM_RSRC2:TGID_X_EN: 1
; COMPUTE_PGM_RSRC2:TGID_Y_EN: 0
; COMPUTE_PGM_RSRC2:TGID_Z_EN: 0
; COMPUTE_PGM_RSRC2:TIDIG_COMP_CNT: 0
; COMPUTE_PGM_RSRC3_GFX90A:ACCUM_OFFSET: 0
; COMPUTE_PGM_RSRC3_GFX90A:TG_SPLIT: 0
	.section	.text._ZN7rocprim17ROCPRIM_400000_NS6detail17trampoline_kernelINS0_14default_configENS1_25partition_config_selectorILNS1_17partition_subalgoE2ExNS0_10empty_typeEbEEZZNS1_14partition_implILS5_2ELb0ES3_jN6thrust23THRUST_200600_302600_NS6detail15normal_iteratorINSA_7pointerIxNSA_11hip_rocprim3tagENSA_11use_defaultESG_EEEEPS6_NSA_18transform_iteratorINSA_8identityIxEENSC_INSA_10device_ptrIxEEEESG_SG_EENS0_5tupleIJPxSJ_EEENSR_IJSJ_SJ_EEES6_PlJS6_EEE10hipError_tPvRmT3_T4_T5_T6_T7_T9_mT8_P12ihipStream_tbDpT10_ENKUlT_T0_E_clISt17integral_constantIbLb1EES1E_IbLb0EEEEDaS1A_S1B_EUlS1A_E_NS1_11comp_targetILNS1_3genE2ELNS1_11target_archE906ELNS1_3gpuE6ELNS1_3repE0EEENS1_30default_config_static_selectorELNS0_4arch9wavefront6targetE1EEEvT1_,"axG",@progbits,_ZN7rocprim17ROCPRIM_400000_NS6detail17trampoline_kernelINS0_14default_configENS1_25partition_config_selectorILNS1_17partition_subalgoE2ExNS0_10empty_typeEbEEZZNS1_14partition_implILS5_2ELb0ES3_jN6thrust23THRUST_200600_302600_NS6detail15normal_iteratorINSA_7pointerIxNSA_11hip_rocprim3tagENSA_11use_defaultESG_EEEEPS6_NSA_18transform_iteratorINSA_8identityIxEENSC_INSA_10device_ptrIxEEEESG_SG_EENS0_5tupleIJPxSJ_EEENSR_IJSJ_SJ_EEES6_PlJS6_EEE10hipError_tPvRmT3_T4_T5_T6_T7_T9_mT8_P12ihipStream_tbDpT10_ENKUlT_T0_E_clISt17integral_constantIbLb1EES1E_IbLb0EEEEDaS1A_S1B_EUlS1A_E_NS1_11comp_targetILNS1_3genE2ELNS1_11target_archE906ELNS1_3gpuE6ELNS1_3repE0EEENS1_30default_config_static_selectorELNS0_4arch9wavefront6targetE1EEEvT1_,comdat
	.protected	_ZN7rocprim17ROCPRIM_400000_NS6detail17trampoline_kernelINS0_14default_configENS1_25partition_config_selectorILNS1_17partition_subalgoE2ExNS0_10empty_typeEbEEZZNS1_14partition_implILS5_2ELb0ES3_jN6thrust23THRUST_200600_302600_NS6detail15normal_iteratorINSA_7pointerIxNSA_11hip_rocprim3tagENSA_11use_defaultESG_EEEEPS6_NSA_18transform_iteratorINSA_8identityIxEENSC_INSA_10device_ptrIxEEEESG_SG_EENS0_5tupleIJPxSJ_EEENSR_IJSJ_SJ_EEES6_PlJS6_EEE10hipError_tPvRmT3_T4_T5_T6_T7_T9_mT8_P12ihipStream_tbDpT10_ENKUlT_T0_E_clISt17integral_constantIbLb1EES1E_IbLb0EEEEDaS1A_S1B_EUlS1A_E_NS1_11comp_targetILNS1_3genE2ELNS1_11target_archE906ELNS1_3gpuE6ELNS1_3repE0EEENS1_30default_config_static_selectorELNS0_4arch9wavefront6targetE1EEEvT1_ ; -- Begin function _ZN7rocprim17ROCPRIM_400000_NS6detail17trampoline_kernelINS0_14default_configENS1_25partition_config_selectorILNS1_17partition_subalgoE2ExNS0_10empty_typeEbEEZZNS1_14partition_implILS5_2ELb0ES3_jN6thrust23THRUST_200600_302600_NS6detail15normal_iteratorINSA_7pointerIxNSA_11hip_rocprim3tagENSA_11use_defaultESG_EEEEPS6_NSA_18transform_iteratorINSA_8identityIxEENSC_INSA_10device_ptrIxEEEESG_SG_EENS0_5tupleIJPxSJ_EEENSR_IJSJ_SJ_EEES6_PlJS6_EEE10hipError_tPvRmT3_T4_T5_T6_T7_T9_mT8_P12ihipStream_tbDpT10_ENKUlT_T0_E_clISt17integral_constantIbLb1EES1E_IbLb0EEEEDaS1A_S1B_EUlS1A_E_NS1_11comp_targetILNS1_3genE2ELNS1_11target_archE906ELNS1_3gpuE6ELNS1_3repE0EEENS1_30default_config_static_selectorELNS0_4arch9wavefront6targetE1EEEvT1_
	.globl	_ZN7rocprim17ROCPRIM_400000_NS6detail17trampoline_kernelINS0_14default_configENS1_25partition_config_selectorILNS1_17partition_subalgoE2ExNS0_10empty_typeEbEEZZNS1_14partition_implILS5_2ELb0ES3_jN6thrust23THRUST_200600_302600_NS6detail15normal_iteratorINSA_7pointerIxNSA_11hip_rocprim3tagENSA_11use_defaultESG_EEEEPS6_NSA_18transform_iteratorINSA_8identityIxEENSC_INSA_10device_ptrIxEEEESG_SG_EENS0_5tupleIJPxSJ_EEENSR_IJSJ_SJ_EEES6_PlJS6_EEE10hipError_tPvRmT3_T4_T5_T6_T7_T9_mT8_P12ihipStream_tbDpT10_ENKUlT_T0_E_clISt17integral_constantIbLb1EES1E_IbLb0EEEEDaS1A_S1B_EUlS1A_E_NS1_11comp_targetILNS1_3genE2ELNS1_11target_archE906ELNS1_3gpuE6ELNS1_3repE0EEENS1_30default_config_static_selectorELNS0_4arch9wavefront6targetE1EEEvT1_
	.p2align	8
	.type	_ZN7rocprim17ROCPRIM_400000_NS6detail17trampoline_kernelINS0_14default_configENS1_25partition_config_selectorILNS1_17partition_subalgoE2ExNS0_10empty_typeEbEEZZNS1_14partition_implILS5_2ELb0ES3_jN6thrust23THRUST_200600_302600_NS6detail15normal_iteratorINSA_7pointerIxNSA_11hip_rocprim3tagENSA_11use_defaultESG_EEEEPS6_NSA_18transform_iteratorINSA_8identityIxEENSC_INSA_10device_ptrIxEEEESG_SG_EENS0_5tupleIJPxSJ_EEENSR_IJSJ_SJ_EEES6_PlJS6_EEE10hipError_tPvRmT3_T4_T5_T6_T7_T9_mT8_P12ihipStream_tbDpT10_ENKUlT_T0_E_clISt17integral_constantIbLb1EES1E_IbLb0EEEEDaS1A_S1B_EUlS1A_E_NS1_11comp_targetILNS1_3genE2ELNS1_11target_archE906ELNS1_3gpuE6ELNS1_3repE0EEENS1_30default_config_static_selectorELNS0_4arch9wavefront6targetE1EEEvT1_,@function
_ZN7rocprim17ROCPRIM_400000_NS6detail17trampoline_kernelINS0_14default_configENS1_25partition_config_selectorILNS1_17partition_subalgoE2ExNS0_10empty_typeEbEEZZNS1_14partition_implILS5_2ELb0ES3_jN6thrust23THRUST_200600_302600_NS6detail15normal_iteratorINSA_7pointerIxNSA_11hip_rocprim3tagENSA_11use_defaultESG_EEEEPS6_NSA_18transform_iteratorINSA_8identityIxEENSC_INSA_10device_ptrIxEEEESG_SG_EENS0_5tupleIJPxSJ_EEENSR_IJSJ_SJ_EEES6_PlJS6_EEE10hipError_tPvRmT3_T4_T5_T6_T7_T9_mT8_P12ihipStream_tbDpT10_ENKUlT_T0_E_clISt17integral_constantIbLb1EES1E_IbLb0EEEEDaS1A_S1B_EUlS1A_E_NS1_11comp_targetILNS1_3genE2ELNS1_11target_archE906ELNS1_3gpuE6ELNS1_3repE0EEENS1_30default_config_static_selectorELNS0_4arch9wavefront6targetE1EEEvT1_: ; @_ZN7rocprim17ROCPRIM_400000_NS6detail17trampoline_kernelINS0_14default_configENS1_25partition_config_selectorILNS1_17partition_subalgoE2ExNS0_10empty_typeEbEEZZNS1_14partition_implILS5_2ELb0ES3_jN6thrust23THRUST_200600_302600_NS6detail15normal_iteratorINSA_7pointerIxNSA_11hip_rocprim3tagENSA_11use_defaultESG_EEEEPS6_NSA_18transform_iteratorINSA_8identityIxEENSC_INSA_10device_ptrIxEEEESG_SG_EENS0_5tupleIJPxSJ_EEENSR_IJSJ_SJ_EEES6_PlJS6_EEE10hipError_tPvRmT3_T4_T5_T6_T7_T9_mT8_P12ihipStream_tbDpT10_ENKUlT_T0_E_clISt17integral_constantIbLb1EES1E_IbLb0EEEEDaS1A_S1B_EUlS1A_E_NS1_11comp_targetILNS1_3genE2ELNS1_11target_archE906ELNS1_3gpuE6ELNS1_3repE0EEENS1_30default_config_static_selectorELNS0_4arch9wavefront6targetE1EEEvT1_
; %bb.0:
	.section	.rodata,"a",@progbits
	.p2align	6, 0x0
	.amdhsa_kernel _ZN7rocprim17ROCPRIM_400000_NS6detail17trampoline_kernelINS0_14default_configENS1_25partition_config_selectorILNS1_17partition_subalgoE2ExNS0_10empty_typeEbEEZZNS1_14partition_implILS5_2ELb0ES3_jN6thrust23THRUST_200600_302600_NS6detail15normal_iteratorINSA_7pointerIxNSA_11hip_rocprim3tagENSA_11use_defaultESG_EEEEPS6_NSA_18transform_iteratorINSA_8identityIxEENSC_INSA_10device_ptrIxEEEESG_SG_EENS0_5tupleIJPxSJ_EEENSR_IJSJ_SJ_EEES6_PlJS6_EEE10hipError_tPvRmT3_T4_T5_T6_T7_T9_mT8_P12ihipStream_tbDpT10_ENKUlT_T0_E_clISt17integral_constantIbLb1EES1E_IbLb0EEEEDaS1A_S1B_EUlS1A_E_NS1_11comp_targetILNS1_3genE2ELNS1_11target_archE906ELNS1_3gpuE6ELNS1_3repE0EEENS1_30default_config_static_selectorELNS0_4arch9wavefront6targetE1EEEvT1_
		.amdhsa_group_segment_fixed_size 0
		.amdhsa_private_segment_fixed_size 0
		.amdhsa_kernarg_size 128
		.amdhsa_user_sgpr_count 6
		.amdhsa_user_sgpr_private_segment_buffer 1
		.amdhsa_user_sgpr_dispatch_ptr 0
		.amdhsa_user_sgpr_queue_ptr 0
		.amdhsa_user_sgpr_kernarg_segment_ptr 1
		.amdhsa_user_sgpr_dispatch_id 0
		.amdhsa_user_sgpr_flat_scratch_init 0
		.amdhsa_user_sgpr_kernarg_preload_length 0
		.amdhsa_user_sgpr_kernarg_preload_offset 0
		.amdhsa_user_sgpr_private_segment_size 0
		.amdhsa_uses_dynamic_stack 0
		.amdhsa_system_sgpr_private_segment_wavefront_offset 0
		.amdhsa_system_sgpr_workgroup_id_x 1
		.amdhsa_system_sgpr_workgroup_id_y 0
		.amdhsa_system_sgpr_workgroup_id_z 0
		.amdhsa_system_sgpr_workgroup_info 0
		.amdhsa_system_vgpr_workitem_id 0
		.amdhsa_next_free_vgpr 1
		.amdhsa_next_free_sgpr 0
		.amdhsa_accum_offset 4
		.amdhsa_reserve_vcc 0
		.amdhsa_reserve_flat_scratch 0
		.amdhsa_float_round_mode_32 0
		.amdhsa_float_round_mode_16_64 0
		.amdhsa_float_denorm_mode_32 3
		.amdhsa_float_denorm_mode_16_64 3
		.amdhsa_dx10_clamp 1
		.amdhsa_ieee_mode 1
		.amdhsa_fp16_overflow 0
		.amdhsa_tg_split 0
		.amdhsa_exception_fp_ieee_invalid_op 0
		.amdhsa_exception_fp_denorm_src 0
		.amdhsa_exception_fp_ieee_div_zero 0
		.amdhsa_exception_fp_ieee_overflow 0
		.amdhsa_exception_fp_ieee_underflow 0
		.amdhsa_exception_fp_ieee_inexact 0
		.amdhsa_exception_int_div_zero 0
	.end_amdhsa_kernel
	.section	.text._ZN7rocprim17ROCPRIM_400000_NS6detail17trampoline_kernelINS0_14default_configENS1_25partition_config_selectorILNS1_17partition_subalgoE2ExNS0_10empty_typeEbEEZZNS1_14partition_implILS5_2ELb0ES3_jN6thrust23THRUST_200600_302600_NS6detail15normal_iteratorINSA_7pointerIxNSA_11hip_rocprim3tagENSA_11use_defaultESG_EEEEPS6_NSA_18transform_iteratorINSA_8identityIxEENSC_INSA_10device_ptrIxEEEESG_SG_EENS0_5tupleIJPxSJ_EEENSR_IJSJ_SJ_EEES6_PlJS6_EEE10hipError_tPvRmT3_T4_T5_T6_T7_T9_mT8_P12ihipStream_tbDpT10_ENKUlT_T0_E_clISt17integral_constantIbLb1EES1E_IbLb0EEEEDaS1A_S1B_EUlS1A_E_NS1_11comp_targetILNS1_3genE2ELNS1_11target_archE906ELNS1_3gpuE6ELNS1_3repE0EEENS1_30default_config_static_selectorELNS0_4arch9wavefront6targetE1EEEvT1_,"axG",@progbits,_ZN7rocprim17ROCPRIM_400000_NS6detail17trampoline_kernelINS0_14default_configENS1_25partition_config_selectorILNS1_17partition_subalgoE2ExNS0_10empty_typeEbEEZZNS1_14partition_implILS5_2ELb0ES3_jN6thrust23THRUST_200600_302600_NS6detail15normal_iteratorINSA_7pointerIxNSA_11hip_rocprim3tagENSA_11use_defaultESG_EEEEPS6_NSA_18transform_iteratorINSA_8identityIxEENSC_INSA_10device_ptrIxEEEESG_SG_EENS0_5tupleIJPxSJ_EEENSR_IJSJ_SJ_EEES6_PlJS6_EEE10hipError_tPvRmT3_T4_T5_T6_T7_T9_mT8_P12ihipStream_tbDpT10_ENKUlT_T0_E_clISt17integral_constantIbLb1EES1E_IbLb0EEEEDaS1A_S1B_EUlS1A_E_NS1_11comp_targetILNS1_3genE2ELNS1_11target_archE906ELNS1_3gpuE6ELNS1_3repE0EEENS1_30default_config_static_selectorELNS0_4arch9wavefront6targetE1EEEvT1_,comdat
.Lfunc_end501:
	.size	_ZN7rocprim17ROCPRIM_400000_NS6detail17trampoline_kernelINS0_14default_configENS1_25partition_config_selectorILNS1_17partition_subalgoE2ExNS0_10empty_typeEbEEZZNS1_14partition_implILS5_2ELb0ES3_jN6thrust23THRUST_200600_302600_NS6detail15normal_iteratorINSA_7pointerIxNSA_11hip_rocprim3tagENSA_11use_defaultESG_EEEEPS6_NSA_18transform_iteratorINSA_8identityIxEENSC_INSA_10device_ptrIxEEEESG_SG_EENS0_5tupleIJPxSJ_EEENSR_IJSJ_SJ_EEES6_PlJS6_EEE10hipError_tPvRmT3_T4_T5_T6_T7_T9_mT8_P12ihipStream_tbDpT10_ENKUlT_T0_E_clISt17integral_constantIbLb1EES1E_IbLb0EEEEDaS1A_S1B_EUlS1A_E_NS1_11comp_targetILNS1_3genE2ELNS1_11target_archE906ELNS1_3gpuE6ELNS1_3repE0EEENS1_30default_config_static_selectorELNS0_4arch9wavefront6targetE1EEEvT1_, .Lfunc_end501-_ZN7rocprim17ROCPRIM_400000_NS6detail17trampoline_kernelINS0_14default_configENS1_25partition_config_selectorILNS1_17partition_subalgoE2ExNS0_10empty_typeEbEEZZNS1_14partition_implILS5_2ELb0ES3_jN6thrust23THRUST_200600_302600_NS6detail15normal_iteratorINSA_7pointerIxNSA_11hip_rocprim3tagENSA_11use_defaultESG_EEEEPS6_NSA_18transform_iteratorINSA_8identityIxEENSC_INSA_10device_ptrIxEEEESG_SG_EENS0_5tupleIJPxSJ_EEENSR_IJSJ_SJ_EEES6_PlJS6_EEE10hipError_tPvRmT3_T4_T5_T6_T7_T9_mT8_P12ihipStream_tbDpT10_ENKUlT_T0_E_clISt17integral_constantIbLb1EES1E_IbLb0EEEEDaS1A_S1B_EUlS1A_E_NS1_11comp_targetILNS1_3genE2ELNS1_11target_archE906ELNS1_3gpuE6ELNS1_3repE0EEENS1_30default_config_static_selectorELNS0_4arch9wavefront6targetE1EEEvT1_
                                        ; -- End function
	.section	.AMDGPU.csdata,"",@progbits
; Kernel info:
; codeLenInByte = 0
; NumSgprs: 4
; NumVgprs: 0
; NumAgprs: 0
; TotalNumVgprs: 0
; ScratchSize: 0
; MemoryBound: 0
; FloatMode: 240
; IeeeMode: 1
; LDSByteSize: 0 bytes/workgroup (compile time only)
; SGPRBlocks: 0
; VGPRBlocks: 0
; NumSGPRsForWavesPerEU: 4
; NumVGPRsForWavesPerEU: 1
; AccumOffset: 4
; Occupancy: 8
; WaveLimiterHint : 0
; COMPUTE_PGM_RSRC2:SCRATCH_EN: 0
; COMPUTE_PGM_RSRC2:USER_SGPR: 6
; COMPUTE_PGM_RSRC2:TRAP_HANDLER: 0
; COMPUTE_PGM_RSRC2:TGID_X_EN: 1
; COMPUTE_PGM_RSRC2:TGID_Y_EN: 0
; COMPUTE_PGM_RSRC2:TGID_Z_EN: 0
; COMPUTE_PGM_RSRC2:TIDIG_COMP_CNT: 0
; COMPUTE_PGM_RSRC3_GFX90A:ACCUM_OFFSET: 0
; COMPUTE_PGM_RSRC3_GFX90A:TG_SPLIT: 0
	.section	.text._ZN7rocprim17ROCPRIM_400000_NS6detail17trampoline_kernelINS0_14default_configENS1_25partition_config_selectorILNS1_17partition_subalgoE2ExNS0_10empty_typeEbEEZZNS1_14partition_implILS5_2ELb0ES3_jN6thrust23THRUST_200600_302600_NS6detail15normal_iteratorINSA_7pointerIxNSA_11hip_rocprim3tagENSA_11use_defaultESG_EEEEPS6_NSA_18transform_iteratorINSA_8identityIxEENSC_INSA_10device_ptrIxEEEESG_SG_EENS0_5tupleIJPxSJ_EEENSR_IJSJ_SJ_EEES6_PlJS6_EEE10hipError_tPvRmT3_T4_T5_T6_T7_T9_mT8_P12ihipStream_tbDpT10_ENKUlT_T0_E_clISt17integral_constantIbLb1EES1E_IbLb0EEEEDaS1A_S1B_EUlS1A_E_NS1_11comp_targetILNS1_3genE10ELNS1_11target_archE1200ELNS1_3gpuE4ELNS1_3repE0EEENS1_30default_config_static_selectorELNS0_4arch9wavefront6targetE1EEEvT1_,"axG",@progbits,_ZN7rocprim17ROCPRIM_400000_NS6detail17trampoline_kernelINS0_14default_configENS1_25partition_config_selectorILNS1_17partition_subalgoE2ExNS0_10empty_typeEbEEZZNS1_14partition_implILS5_2ELb0ES3_jN6thrust23THRUST_200600_302600_NS6detail15normal_iteratorINSA_7pointerIxNSA_11hip_rocprim3tagENSA_11use_defaultESG_EEEEPS6_NSA_18transform_iteratorINSA_8identityIxEENSC_INSA_10device_ptrIxEEEESG_SG_EENS0_5tupleIJPxSJ_EEENSR_IJSJ_SJ_EEES6_PlJS6_EEE10hipError_tPvRmT3_T4_T5_T6_T7_T9_mT8_P12ihipStream_tbDpT10_ENKUlT_T0_E_clISt17integral_constantIbLb1EES1E_IbLb0EEEEDaS1A_S1B_EUlS1A_E_NS1_11comp_targetILNS1_3genE10ELNS1_11target_archE1200ELNS1_3gpuE4ELNS1_3repE0EEENS1_30default_config_static_selectorELNS0_4arch9wavefront6targetE1EEEvT1_,comdat
	.protected	_ZN7rocprim17ROCPRIM_400000_NS6detail17trampoline_kernelINS0_14default_configENS1_25partition_config_selectorILNS1_17partition_subalgoE2ExNS0_10empty_typeEbEEZZNS1_14partition_implILS5_2ELb0ES3_jN6thrust23THRUST_200600_302600_NS6detail15normal_iteratorINSA_7pointerIxNSA_11hip_rocprim3tagENSA_11use_defaultESG_EEEEPS6_NSA_18transform_iteratorINSA_8identityIxEENSC_INSA_10device_ptrIxEEEESG_SG_EENS0_5tupleIJPxSJ_EEENSR_IJSJ_SJ_EEES6_PlJS6_EEE10hipError_tPvRmT3_T4_T5_T6_T7_T9_mT8_P12ihipStream_tbDpT10_ENKUlT_T0_E_clISt17integral_constantIbLb1EES1E_IbLb0EEEEDaS1A_S1B_EUlS1A_E_NS1_11comp_targetILNS1_3genE10ELNS1_11target_archE1200ELNS1_3gpuE4ELNS1_3repE0EEENS1_30default_config_static_selectorELNS0_4arch9wavefront6targetE1EEEvT1_ ; -- Begin function _ZN7rocprim17ROCPRIM_400000_NS6detail17trampoline_kernelINS0_14default_configENS1_25partition_config_selectorILNS1_17partition_subalgoE2ExNS0_10empty_typeEbEEZZNS1_14partition_implILS5_2ELb0ES3_jN6thrust23THRUST_200600_302600_NS6detail15normal_iteratorINSA_7pointerIxNSA_11hip_rocprim3tagENSA_11use_defaultESG_EEEEPS6_NSA_18transform_iteratorINSA_8identityIxEENSC_INSA_10device_ptrIxEEEESG_SG_EENS0_5tupleIJPxSJ_EEENSR_IJSJ_SJ_EEES6_PlJS6_EEE10hipError_tPvRmT3_T4_T5_T6_T7_T9_mT8_P12ihipStream_tbDpT10_ENKUlT_T0_E_clISt17integral_constantIbLb1EES1E_IbLb0EEEEDaS1A_S1B_EUlS1A_E_NS1_11comp_targetILNS1_3genE10ELNS1_11target_archE1200ELNS1_3gpuE4ELNS1_3repE0EEENS1_30default_config_static_selectorELNS0_4arch9wavefront6targetE1EEEvT1_
	.globl	_ZN7rocprim17ROCPRIM_400000_NS6detail17trampoline_kernelINS0_14default_configENS1_25partition_config_selectorILNS1_17partition_subalgoE2ExNS0_10empty_typeEbEEZZNS1_14partition_implILS5_2ELb0ES3_jN6thrust23THRUST_200600_302600_NS6detail15normal_iteratorINSA_7pointerIxNSA_11hip_rocprim3tagENSA_11use_defaultESG_EEEEPS6_NSA_18transform_iteratorINSA_8identityIxEENSC_INSA_10device_ptrIxEEEESG_SG_EENS0_5tupleIJPxSJ_EEENSR_IJSJ_SJ_EEES6_PlJS6_EEE10hipError_tPvRmT3_T4_T5_T6_T7_T9_mT8_P12ihipStream_tbDpT10_ENKUlT_T0_E_clISt17integral_constantIbLb1EES1E_IbLb0EEEEDaS1A_S1B_EUlS1A_E_NS1_11comp_targetILNS1_3genE10ELNS1_11target_archE1200ELNS1_3gpuE4ELNS1_3repE0EEENS1_30default_config_static_selectorELNS0_4arch9wavefront6targetE1EEEvT1_
	.p2align	8
	.type	_ZN7rocprim17ROCPRIM_400000_NS6detail17trampoline_kernelINS0_14default_configENS1_25partition_config_selectorILNS1_17partition_subalgoE2ExNS0_10empty_typeEbEEZZNS1_14partition_implILS5_2ELb0ES3_jN6thrust23THRUST_200600_302600_NS6detail15normal_iteratorINSA_7pointerIxNSA_11hip_rocprim3tagENSA_11use_defaultESG_EEEEPS6_NSA_18transform_iteratorINSA_8identityIxEENSC_INSA_10device_ptrIxEEEESG_SG_EENS0_5tupleIJPxSJ_EEENSR_IJSJ_SJ_EEES6_PlJS6_EEE10hipError_tPvRmT3_T4_T5_T6_T7_T9_mT8_P12ihipStream_tbDpT10_ENKUlT_T0_E_clISt17integral_constantIbLb1EES1E_IbLb0EEEEDaS1A_S1B_EUlS1A_E_NS1_11comp_targetILNS1_3genE10ELNS1_11target_archE1200ELNS1_3gpuE4ELNS1_3repE0EEENS1_30default_config_static_selectorELNS0_4arch9wavefront6targetE1EEEvT1_,@function
_ZN7rocprim17ROCPRIM_400000_NS6detail17trampoline_kernelINS0_14default_configENS1_25partition_config_selectorILNS1_17partition_subalgoE2ExNS0_10empty_typeEbEEZZNS1_14partition_implILS5_2ELb0ES3_jN6thrust23THRUST_200600_302600_NS6detail15normal_iteratorINSA_7pointerIxNSA_11hip_rocprim3tagENSA_11use_defaultESG_EEEEPS6_NSA_18transform_iteratorINSA_8identityIxEENSC_INSA_10device_ptrIxEEEESG_SG_EENS0_5tupleIJPxSJ_EEENSR_IJSJ_SJ_EEES6_PlJS6_EEE10hipError_tPvRmT3_T4_T5_T6_T7_T9_mT8_P12ihipStream_tbDpT10_ENKUlT_T0_E_clISt17integral_constantIbLb1EES1E_IbLb0EEEEDaS1A_S1B_EUlS1A_E_NS1_11comp_targetILNS1_3genE10ELNS1_11target_archE1200ELNS1_3gpuE4ELNS1_3repE0EEENS1_30default_config_static_selectorELNS0_4arch9wavefront6targetE1EEEvT1_: ; @_ZN7rocprim17ROCPRIM_400000_NS6detail17trampoline_kernelINS0_14default_configENS1_25partition_config_selectorILNS1_17partition_subalgoE2ExNS0_10empty_typeEbEEZZNS1_14partition_implILS5_2ELb0ES3_jN6thrust23THRUST_200600_302600_NS6detail15normal_iteratorINSA_7pointerIxNSA_11hip_rocprim3tagENSA_11use_defaultESG_EEEEPS6_NSA_18transform_iteratorINSA_8identityIxEENSC_INSA_10device_ptrIxEEEESG_SG_EENS0_5tupleIJPxSJ_EEENSR_IJSJ_SJ_EEES6_PlJS6_EEE10hipError_tPvRmT3_T4_T5_T6_T7_T9_mT8_P12ihipStream_tbDpT10_ENKUlT_T0_E_clISt17integral_constantIbLb1EES1E_IbLb0EEEEDaS1A_S1B_EUlS1A_E_NS1_11comp_targetILNS1_3genE10ELNS1_11target_archE1200ELNS1_3gpuE4ELNS1_3repE0EEENS1_30default_config_static_selectorELNS0_4arch9wavefront6targetE1EEEvT1_
; %bb.0:
	.section	.rodata,"a",@progbits
	.p2align	6, 0x0
	.amdhsa_kernel _ZN7rocprim17ROCPRIM_400000_NS6detail17trampoline_kernelINS0_14default_configENS1_25partition_config_selectorILNS1_17partition_subalgoE2ExNS0_10empty_typeEbEEZZNS1_14partition_implILS5_2ELb0ES3_jN6thrust23THRUST_200600_302600_NS6detail15normal_iteratorINSA_7pointerIxNSA_11hip_rocprim3tagENSA_11use_defaultESG_EEEEPS6_NSA_18transform_iteratorINSA_8identityIxEENSC_INSA_10device_ptrIxEEEESG_SG_EENS0_5tupleIJPxSJ_EEENSR_IJSJ_SJ_EEES6_PlJS6_EEE10hipError_tPvRmT3_T4_T5_T6_T7_T9_mT8_P12ihipStream_tbDpT10_ENKUlT_T0_E_clISt17integral_constantIbLb1EES1E_IbLb0EEEEDaS1A_S1B_EUlS1A_E_NS1_11comp_targetILNS1_3genE10ELNS1_11target_archE1200ELNS1_3gpuE4ELNS1_3repE0EEENS1_30default_config_static_selectorELNS0_4arch9wavefront6targetE1EEEvT1_
		.amdhsa_group_segment_fixed_size 0
		.amdhsa_private_segment_fixed_size 0
		.amdhsa_kernarg_size 128
		.amdhsa_user_sgpr_count 6
		.amdhsa_user_sgpr_private_segment_buffer 1
		.amdhsa_user_sgpr_dispatch_ptr 0
		.amdhsa_user_sgpr_queue_ptr 0
		.amdhsa_user_sgpr_kernarg_segment_ptr 1
		.amdhsa_user_sgpr_dispatch_id 0
		.amdhsa_user_sgpr_flat_scratch_init 0
		.amdhsa_user_sgpr_kernarg_preload_length 0
		.amdhsa_user_sgpr_kernarg_preload_offset 0
		.amdhsa_user_sgpr_private_segment_size 0
		.amdhsa_uses_dynamic_stack 0
		.amdhsa_system_sgpr_private_segment_wavefront_offset 0
		.amdhsa_system_sgpr_workgroup_id_x 1
		.amdhsa_system_sgpr_workgroup_id_y 0
		.amdhsa_system_sgpr_workgroup_id_z 0
		.amdhsa_system_sgpr_workgroup_info 0
		.amdhsa_system_vgpr_workitem_id 0
		.amdhsa_next_free_vgpr 1
		.amdhsa_next_free_sgpr 0
		.amdhsa_accum_offset 4
		.amdhsa_reserve_vcc 0
		.amdhsa_reserve_flat_scratch 0
		.amdhsa_float_round_mode_32 0
		.amdhsa_float_round_mode_16_64 0
		.amdhsa_float_denorm_mode_32 3
		.amdhsa_float_denorm_mode_16_64 3
		.amdhsa_dx10_clamp 1
		.amdhsa_ieee_mode 1
		.amdhsa_fp16_overflow 0
		.amdhsa_tg_split 0
		.amdhsa_exception_fp_ieee_invalid_op 0
		.amdhsa_exception_fp_denorm_src 0
		.amdhsa_exception_fp_ieee_div_zero 0
		.amdhsa_exception_fp_ieee_overflow 0
		.amdhsa_exception_fp_ieee_underflow 0
		.amdhsa_exception_fp_ieee_inexact 0
		.amdhsa_exception_int_div_zero 0
	.end_amdhsa_kernel
	.section	.text._ZN7rocprim17ROCPRIM_400000_NS6detail17trampoline_kernelINS0_14default_configENS1_25partition_config_selectorILNS1_17partition_subalgoE2ExNS0_10empty_typeEbEEZZNS1_14partition_implILS5_2ELb0ES3_jN6thrust23THRUST_200600_302600_NS6detail15normal_iteratorINSA_7pointerIxNSA_11hip_rocprim3tagENSA_11use_defaultESG_EEEEPS6_NSA_18transform_iteratorINSA_8identityIxEENSC_INSA_10device_ptrIxEEEESG_SG_EENS0_5tupleIJPxSJ_EEENSR_IJSJ_SJ_EEES6_PlJS6_EEE10hipError_tPvRmT3_T4_T5_T6_T7_T9_mT8_P12ihipStream_tbDpT10_ENKUlT_T0_E_clISt17integral_constantIbLb1EES1E_IbLb0EEEEDaS1A_S1B_EUlS1A_E_NS1_11comp_targetILNS1_3genE10ELNS1_11target_archE1200ELNS1_3gpuE4ELNS1_3repE0EEENS1_30default_config_static_selectorELNS0_4arch9wavefront6targetE1EEEvT1_,"axG",@progbits,_ZN7rocprim17ROCPRIM_400000_NS6detail17trampoline_kernelINS0_14default_configENS1_25partition_config_selectorILNS1_17partition_subalgoE2ExNS0_10empty_typeEbEEZZNS1_14partition_implILS5_2ELb0ES3_jN6thrust23THRUST_200600_302600_NS6detail15normal_iteratorINSA_7pointerIxNSA_11hip_rocprim3tagENSA_11use_defaultESG_EEEEPS6_NSA_18transform_iteratorINSA_8identityIxEENSC_INSA_10device_ptrIxEEEESG_SG_EENS0_5tupleIJPxSJ_EEENSR_IJSJ_SJ_EEES6_PlJS6_EEE10hipError_tPvRmT3_T4_T5_T6_T7_T9_mT8_P12ihipStream_tbDpT10_ENKUlT_T0_E_clISt17integral_constantIbLb1EES1E_IbLb0EEEEDaS1A_S1B_EUlS1A_E_NS1_11comp_targetILNS1_3genE10ELNS1_11target_archE1200ELNS1_3gpuE4ELNS1_3repE0EEENS1_30default_config_static_selectorELNS0_4arch9wavefront6targetE1EEEvT1_,comdat
.Lfunc_end502:
	.size	_ZN7rocprim17ROCPRIM_400000_NS6detail17trampoline_kernelINS0_14default_configENS1_25partition_config_selectorILNS1_17partition_subalgoE2ExNS0_10empty_typeEbEEZZNS1_14partition_implILS5_2ELb0ES3_jN6thrust23THRUST_200600_302600_NS6detail15normal_iteratorINSA_7pointerIxNSA_11hip_rocprim3tagENSA_11use_defaultESG_EEEEPS6_NSA_18transform_iteratorINSA_8identityIxEENSC_INSA_10device_ptrIxEEEESG_SG_EENS0_5tupleIJPxSJ_EEENSR_IJSJ_SJ_EEES6_PlJS6_EEE10hipError_tPvRmT3_T4_T5_T6_T7_T9_mT8_P12ihipStream_tbDpT10_ENKUlT_T0_E_clISt17integral_constantIbLb1EES1E_IbLb0EEEEDaS1A_S1B_EUlS1A_E_NS1_11comp_targetILNS1_3genE10ELNS1_11target_archE1200ELNS1_3gpuE4ELNS1_3repE0EEENS1_30default_config_static_selectorELNS0_4arch9wavefront6targetE1EEEvT1_, .Lfunc_end502-_ZN7rocprim17ROCPRIM_400000_NS6detail17trampoline_kernelINS0_14default_configENS1_25partition_config_selectorILNS1_17partition_subalgoE2ExNS0_10empty_typeEbEEZZNS1_14partition_implILS5_2ELb0ES3_jN6thrust23THRUST_200600_302600_NS6detail15normal_iteratorINSA_7pointerIxNSA_11hip_rocprim3tagENSA_11use_defaultESG_EEEEPS6_NSA_18transform_iteratorINSA_8identityIxEENSC_INSA_10device_ptrIxEEEESG_SG_EENS0_5tupleIJPxSJ_EEENSR_IJSJ_SJ_EEES6_PlJS6_EEE10hipError_tPvRmT3_T4_T5_T6_T7_T9_mT8_P12ihipStream_tbDpT10_ENKUlT_T0_E_clISt17integral_constantIbLb1EES1E_IbLb0EEEEDaS1A_S1B_EUlS1A_E_NS1_11comp_targetILNS1_3genE10ELNS1_11target_archE1200ELNS1_3gpuE4ELNS1_3repE0EEENS1_30default_config_static_selectorELNS0_4arch9wavefront6targetE1EEEvT1_
                                        ; -- End function
	.section	.AMDGPU.csdata,"",@progbits
; Kernel info:
; codeLenInByte = 0
; NumSgprs: 4
; NumVgprs: 0
; NumAgprs: 0
; TotalNumVgprs: 0
; ScratchSize: 0
; MemoryBound: 0
; FloatMode: 240
; IeeeMode: 1
; LDSByteSize: 0 bytes/workgroup (compile time only)
; SGPRBlocks: 0
; VGPRBlocks: 0
; NumSGPRsForWavesPerEU: 4
; NumVGPRsForWavesPerEU: 1
; AccumOffset: 4
; Occupancy: 8
; WaveLimiterHint : 0
; COMPUTE_PGM_RSRC2:SCRATCH_EN: 0
; COMPUTE_PGM_RSRC2:USER_SGPR: 6
; COMPUTE_PGM_RSRC2:TRAP_HANDLER: 0
; COMPUTE_PGM_RSRC2:TGID_X_EN: 1
; COMPUTE_PGM_RSRC2:TGID_Y_EN: 0
; COMPUTE_PGM_RSRC2:TGID_Z_EN: 0
; COMPUTE_PGM_RSRC2:TIDIG_COMP_CNT: 0
; COMPUTE_PGM_RSRC3_GFX90A:ACCUM_OFFSET: 0
; COMPUTE_PGM_RSRC3_GFX90A:TG_SPLIT: 0
	.section	.text._ZN7rocprim17ROCPRIM_400000_NS6detail17trampoline_kernelINS0_14default_configENS1_25partition_config_selectorILNS1_17partition_subalgoE2ExNS0_10empty_typeEbEEZZNS1_14partition_implILS5_2ELb0ES3_jN6thrust23THRUST_200600_302600_NS6detail15normal_iteratorINSA_7pointerIxNSA_11hip_rocprim3tagENSA_11use_defaultESG_EEEEPS6_NSA_18transform_iteratorINSA_8identityIxEENSC_INSA_10device_ptrIxEEEESG_SG_EENS0_5tupleIJPxSJ_EEENSR_IJSJ_SJ_EEES6_PlJS6_EEE10hipError_tPvRmT3_T4_T5_T6_T7_T9_mT8_P12ihipStream_tbDpT10_ENKUlT_T0_E_clISt17integral_constantIbLb1EES1E_IbLb0EEEEDaS1A_S1B_EUlS1A_E_NS1_11comp_targetILNS1_3genE9ELNS1_11target_archE1100ELNS1_3gpuE3ELNS1_3repE0EEENS1_30default_config_static_selectorELNS0_4arch9wavefront6targetE1EEEvT1_,"axG",@progbits,_ZN7rocprim17ROCPRIM_400000_NS6detail17trampoline_kernelINS0_14default_configENS1_25partition_config_selectorILNS1_17partition_subalgoE2ExNS0_10empty_typeEbEEZZNS1_14partition_implILS5_2ELb0ES3_jN6thrust23THRUST_200600_302600_NS6detail15normal_iteratorINSA_7pointerIxNSA_11hip_rocprim3tagENSA_11use_defaultESG_EEEEPS6_NSA_18transform_iteratorINSA_8identityIxEENSC_INSA_10device_ptrIxEEEESG_SG_EENS0_5tupleIJPxSJ_EEENSR_IJSJ_SJ_EEES6_PlJS6_EEE10hipError_tPvRmT3_T4_T5_T6_T7_T9_mT8_P12ihipStream_tbDpT10_ENKUlT_T0_E_clISt17integral_constantIbLb1EES1E_IbLb0EEEEDaS1A_S1B_EUlS1A_E_NS1_11comp_targetILNS1_3genE9ELNS1_11target_archE1100ELNS1_3gpuE3ELNS1_3repE0EEENS1_30default_config_static_selectorELNS0_4arch9wavefront6targetE1EEEvT1_,comdat
	.protected	_ZN7rocprim17ROCPRIM_400000_NS6detail17trampoline_kernelINS0_14default_configENS1_25partition_config_selectorILNS1_17partition_subalgoE2ExNS0_10empty_typeEbEEZZNS1_14partition_implILS5_2ELb0ES3_jN6thrust23THRUST_200600_302600_NS6detail15normal_iteratorINSA_7pointerIxNSA_11hip_rocprim3tagENSA_11use_defaultESG_EEEEPS6_NSA_18transform_iteratorINSA_8identityIxEENSC_INSA_10device_ptrIxEEEESG_SG_EENS0_5tupleIJPxSJ_EEENSR_IJSJ_SJ_EEES6_PlJS6_EEE10hipError_tPvRmT3_T4_T5_T6_T7_T9_mT8_P12ihipStream_tbDpT10_ENKUlT_T0_E_clISt17integral_constantIbLb1EES1E_IbLb0EEEEDaS1A_S1B_EUlS1A_E_NS1_11comp_targetILNS1_3genE9ELNS1_11target_archE1100ELNS1_3gpuE3ELNS1_3repE0EEENS1_30default_config_static_selectorELNS0_4arch9wavefront6targetE1EEEvT1_ ; -- Begin function _ZN7rocprim17ROCPRIM_400000_NS6detail17trampoline_kernelINS0_14default_configENS1_25partition_config_selectorILNS1_17partition_subalgoE2ExNS0_10empty_typeEbEEZZNS1_14partition_implILS5_2ELb0ES3_jN6thrust23THRUST_200600_302600_NS6detail15normal_iteratorINSA_7pointerIxNSA_11hip_rocprim3tagENSA_11use_defaultESG_EEEEPS6_NSA_18transform_iteratorINSA_8identityIxEENSC_INSA_10device_ptrIxEEEESG_SG_EENS0_5tupleIJPxSJ_EEENSR_IJSJ_SJ_EEES6_PlJS6_EEE10hipError_tPvRmT3_T4_T5_T6_T7_T9_mT8_P12ihipStream_tbDpT10_ENKUlT_T0_E_clISt17integral_constantIbLb1EES1E_IbLb0EEEEDaS1A_S1B_EUlS1A_E_NS1_11comp_targetILNS1_3genE9ELNS1_11target_archE1100ELNS1_3gpuE3ELNS1_3repE0EEENS1_30default_config_static_selectorELNS0_4arch9wavefront6targetE1EEEvT1_
	.globl	_ZN7rocprim17ROCPRIM_400000_NS6detail17trampoline_kernelINS0_14default_configENS1_25partition_config_selectorILNS1_17partition_subalgoE2ExNS0_10empty_typeEbEEZZNS1_14partition_implILS5_2ELb0ES3_jN6thrust23THRUST_200600_302600_NS6detail15normal_iteratorINSA_7pointerIxNSA_11hip_rocprim3tagENSA_11use_defaultESG_EEEEPS6_NSA_18transform_iteratorINSA_8identityIxEENSC_INSA_10device_ptrIxEEEESG_SG_EENS0_5tupleIJPxSJ_EEENSR_IJSJ_SJ_EEES6_PlJS6_EEE10hipError_tPvRmT3_T4_T5_T6_T7_T9_mT8_P12ihipStream_tbDpT10_ENKUlT_T0_E_clISt17integral_constantIbLb1EES1E_IbLb0EEEEDaS1A_S1B_EUlS1A_E_NS1_11comp_targetILNS1_3genE9ELNS1_11target_archE1100ELNS1_3gpuE3ELNS1_3repE0EEENS1_30default_config_static_selectorELNS0_4arch9wavefront6targetE1EEEvT1_
	.p2align	8
	.type	_ZN7rocprim17ROCPRIM_400000_NS6detail17trampoline_kernelINS0_14default_configENS1_25partition_config_selectorILNS1_17partition_subalgoE2ExNS0_10empty_typeEbEEZZNS1_14partition_implILS5_2ELb0ES3_jN6thrust23THRUST_200600_302600_NS6detail15normal_iteratorINSA_7pointerIxNSA_11hip_rocprim3tagENSA_11use_defaultESG_EEEEPS6_NSA_18transform_iteratorINSA_8identityIxEENSC_INSA_10device_ptrIxEEEESG_SG_EENS0_5tupleIJPxSJ_EEENSR_IJSJ_SJ_EEES6_PlJS6_EEE10hipError_tPvRmT3_T4_T5_T6_T7_T9_mT8_P12ihipStream_tbDpT10_ENKUlT_T0_E_clISt17integral_constantIbLb1EES1E_IbLb0EEEEDaS1A_S1B_EUlS1A_E_NS1_11comp_targetILNS1_3genE9ELNS1_11target_archE1100ELNS1_3gpuE3ELNS1_3repE0EEENS1_30default_config_static_selectorELNS0_4arch9wavefront6targetE1EEEvT1_,@function
_ZN7rocprim17ROCPRIM_400000_NS6detail17trampoline_kernelINS0_14default_configENS1_25partition_config_selectorILNS1_17partition_subalgoE2ExNS0_10empty_typeEbEEZZNS1_14partition_implILS5_2ELb0ES3_jN6thrust23THRUST_200600_302600_NS6detail15normal_iteratorINSA_7pointerIxNSA_11hip_rocprim3tagENSA_11use_defaultESG_EEEEPS6_NSA_18transform_iteratorINSA_8identityIxEENSC_INSA_10device_ptrIxEEEESG_SG_EENS0_5tupleIJPxSJ_EEENSR_IJSJ_SJ_EEES6_PlJS6_EEE10hipError_tPvRmT3_T4_T5_T6_T7_T9_mT8_P12ihipStream_tbDpT10_ENKUlT_T0_E_clISt17integral_constantIbLb1EES1E_IbLb0EEEEDaS1A_S1B_EUlS1A_E_NS1_11comp_targetILNS1_3genE9ELNS1_11target_archE1100ELNS1_3gpuE3ELNS1_3repE0EEENS1_30default_config_static_selectorELNS0_4arch9wavefront6targetE1EEEvT1_: ; @_ZN7rocprim17ROCPRIM_400000_NS6detail17trampoline_kernelINS0_14default_configENS1_25partition_config_selectorILNS1_17partition_subalgoE2ExNS0_10empty_typeEbEEZZNS1_14partition_implILS5_2ELb0ES3_jN6thrust23THRUST_200600_302600_NS6detail15normal_iteratorINSA_7pointerIxNSA_11hip_rocprim3tagENSA_11use_defaultESG_EEEEPS6_NSA_18transform_iteratorINSA_8identityIxEENSC_INSA_10device_ptrIxEEEESG_SG_EENS0_5tupleIJPxSJ_EEENSR_IJSJ_SJ_EEES6_PlJS6_EEE10hipError_tPvRmT3_T4_T5_T6_T7_T9_mT8_P12ihipStream_tbDpT10_ENKUlT_T0_E_clISt17integral_constantIbLb1EES1E_IbLb0EEEEDaS1A_S1B_EUlS1A_E_NS1_11comp_targetILNS1_3genE9ELNS1_11target_archE1100ELNS1_3gpuE3ELNS1_3repE0EEENS1_30default_config_static_selectorELNS0_4arch9wavefront6targetE1EEEvT1_
; %bb.0:
	.section	.rodata,"a",@progbits
	.p2align	6, 0x0
	.amdhsa_kernel _ZN7rocprim17ROCPRIM_400000_NS6detail17trampoline_kernelINS0_14default_configENS1_25partition_config_selectorILNS1_17partition_subalgoE2ExNS0_10empty_typeEbEEZZNS1_14partition_implILS5_2ELb0ES3_jN6thrust23THRUST_200600_302600_NS6detail15normal_iteratorINSA_7pointerIxNSA_11hip_rocprim3tagENSA_11use_defaultESG_EEEEPS6_NSA_18transform_iteratorINSA_8identityIxEENSC_INSA_10device_ptrIxEEEESG_SG_EENS0_5tupleIJPxSJ_EEENSR_IJSJ_SJ_EEES6_PlJS6_EEE10hipError_tPvRmT3_T4_T5_T6_T7_T9_mT8_P12ihipStream_tbDpT10_ENKUlT_T0_E_clISt17integral_constantIbLb1EES1E_IbLb0EEEEDaS1A_S1B_EUlS1A_E_NS1_11comp_targetILNS1_3genE9ELNS1_11target_archE1100ELNS1_3gpuE3ELNS1_3repE0EEENS1_30default_config_static_selectorELNS0_4arch9wavefront6targetE1EEEvT1_
		.amdhsa_group_segment_fixed_size 0
		.amdhsa_private_segment_fixed_size 0
		.amdhsa_kernarg_size 128
		.amdhsa_user_sgpr_count 6
		.amdhsa_user_sgpr_private_segment_buffer 1
		.amdhsa_user_sgpr_dispatch_ptr 0
		.amdhsa_user_sgpr_queue_ptr 0
		.amdhsa_user_sgpr_kernarg_segment_ptr 1
		.amdhsa_user_sgpr_dispatch_id 0
		.amdhsa_user_sgpr_flat_scratch_init 0
		.amdhsa_user_sgpr_kernarg_preload_length 0
		.amdhsa_user_sgpr_kernarg_preload_offset 0
		.amdhsa_user_sgpr_private_segment_size 0
		.amdhsa_uses_dynamic_stack 0
		.amdhsa_system_sgpr_private_segment_wavefront_offset 0
		.amdhsa_system_sgpr_workgroup_id_x 1
		.amdhsa_system_sgpr_workgroup_id_y 0
		.amdhsa_system_sgpr_workgroup_id_z 0
		.amdhsa_system_sgpr_workgroup_info 0
		.amdhsa_system_vgpr_workitem_id 0
		.amdhsa_next_free_vgpr 1
		.amdhsa_next_free_sgpr 0
		.amdhsa_accum_offset 4
		.amdhsa_reserve_vcc 0
		.amdhsa_reserve_flat_scratch 0
		.amdhsa_float_round_mode_32 0
		.amdhsa_float_round_mode_16_64 0
		.amdhsa_float_denorm_mode_32 3
		.amdhsa_float_denorm_mode_16_64 3
		.amdhsa_dx10_clamp 1
		.amdhsa_ieee_mode 1
		.amdhsa_fp16_overflow 0
		.amdhsa_tg_split 0
		.amdhsa_exception_fp_ieee_invalid_op 0
		.amdhsa_exception_fp_denorm_src 0
		.amdhsa_exception_fp_ieee_div_zero 0
		.amdhsa_exception_fp_ieee_overflow 0
		.amdhsa_exception_fp_ieee_underflow 0
		.amdhsa_exception_fp_ieee_inexact 0
		.amdhsa_exception_int_div_zero 0
	.end_amdhsa_kernel
	.section	.text._ZN7rocprim17ROCPRIM_400000_NS6detail17trampoline_kernelINS0_14default_configENS1_25partition_config_selectorILNS1_17partition_subalgoE2ExNS0_10empty_typeEbEEZZNS1_14partition_implILS5_2ELb0ES3_jN6thrust23THRUST_200600_302600_NS6detail15normal_iteratorINSA_7pointerIxNSA_11hip_rocprim3tagENSA_11use_defaultESG_EEEEPS6_NSA_18transform_iteratorINSA_8identityIxEENSC_INSA_10device_ptrIxEEEESG_SG_EENS0_5tupleIJPxSJ_EEENSR_IJSJ_SJ_EEES6_PlJS6_EEE10hipError_tPvRmT3_T4_T5_T6_T7_T9_mT8_P12ihipStream_tbDpT10_ENKUlT_T0_E_clISt17integral_constantIbLb1EES1E_IbLb0EEEEDaS1A_S1B_EUlS1A_E_NS1_11comp_targetILNS1_3genE9ELNS1_11target_archE1100ELNS1_3gpuE3ELNS1_3repE0EEENS1_30default_config_static_selectorELNS0_4arch9wavefront6targetE1EEEvT1_,"axG",@progbits,_ZN7rocprim17ROCPRIM_400000_NS6detail17trampoline_kernelINS0_14default_configENS1_25partition_config_selectorILNS1_17partition_subalgoE2ExNS0_10empty_typeEbEEZZNS1_14partition_implILS5_2ELb0ES3_jN6thrust23THRUST_200600_302600_NS6detail15normal_iteratorINSA_7pointerIxNSA_11hip_rocprim3tagENSA_11use_defaultESG_EEEEPS6_NSA_18transform_iteratorINSA_8identityIxEENSC_INSA_10device_ptrIxEEEESG_SG_EENS0_5tupleIJPxSJ_EEENSR_IJSJ_SJ_EEES6_PlJS6_EEE10hipError_tPvRmT3_T4_T5_T6_T7_T9_mT8_P12ihipStream_tbDpT10_ENKUlT_T0_E_clISt17integral_constantIbLb1EES1E_IbLb0EEEEDaS1A_S1B_EUlS1A_E_NS1_11comp_targetILNS1_3genE9ELNS1_11target_archE1100ELNS1_3gpuE3ELNS1_3repE0EEENS1_30default_config_static_selectorELNS0_4arch9wavefront6targetE1EEEvT1_,comdat
.Lfunc_end503:
	.size	_ZN7rocprim17ROCPRIM_400000_NS6detail17trampoline_kernelINS0_14default_configENS1_25partition_config_selectorILNS1_17partition_subalgoE2ExNS0_10empty_typeEbEEZZNS1_14partition_implILS5_2ELb0ES3_jN6thrust23THRUST_200600_302600_NS6detail15normal_iteratorINSA_7pointerIxNSA_11hip_rocprim3tagENSA_11use_defaultESG_EEEEPS6_NSA_18transform_iteratorINSA_8identityIxEENSC_INSA_10device_ptrIxEEEESG_SG_EENS0_5tupleIJPxSJ_EEENSR_IJSJ_SJ_EEES6_PlJS6_EEE10hipError_tPvRmT3_T4_T5_T6_T7_T9_mT8_P12ihipStream_tbDpT10_ENKUlT_T0_E_clISt17integral_constantIbLb1EES1E_IbLb0EEEEDaS1A_S1B_EUlS1A_E_NS1_11comp_targetILNS1_3genE9ELNS1_11target_archE1100ELNS1_3gpuE3ELNS1_3repE0EEENS1_30default_config_static_selectorELNS0_4arch9wavefront6targetE1EEEvT1_, .Lfunc_end503-_ZN7rocprim17ROCPRIM_400000_NS6detail17trampoline_kernelINS0_14default_configENS1_25partition_config_selectorILNS1_17partition_subalgoE2ExNS0_10empty_typeEbEEZZNS1_14partition_implILS5_2ELb0ES3_jN6thrust23THRUST_200600_302600_NS6detail15normal_iteratorINSA_7pointerIxNSA_11hip_rocprim3tagENSA_11use_defaultESG_EEEEPS6_NSA_18transform_iteratorINSA_8identityIxEENSC_INSA_10device_ptrIxEEEESG_SG_EENS0_5tupleIJPxSJ_EEENSR_IJSJ_SJ_EEES6_PlJS6_EEE10hipError_tPvRmT3_T4_T5_T6_T7_T9_mT8_P12ihipStream_tbDpT10_ENKUlT_T0_E_clISt17integral_constantIbLb1EES1E_IbLb0EEEEDaS1A_S1B_EUlS1A_E_NS1_11comp_targetILNS1_3genE9ELNS1_11target_archE1100ELNS1_3gpuE3ELNS1_3repE0EEENS1_30default_config_static_selectorELNS0_4arch9wavefront6targetE1EEEvT1_
                                        ; -- End function
	.section	.AMDGPU.csdata,"",@progbits
; Kernel info:
; codeLenInByte = 0
; NumSgprs: 4
; NumVgprs: 0
; NumAgprs: 0
; TotalNumVgprs: 0
; ScratchSize: 0
; MemoryBound: 0
; FloatMode: 240
; IeeeMode: 1
; LDSByteSize: 0 bytes/workgroup (compile time only)
; SGPRBlocks: 0
; VGPRBlocks: 0
; NumSGPRsForWavesPerEU: 4
; NumVGPRsForWavesPerEU: 1
; AccumOffset: 4
; Occupancy: 8
; WaveLimiterHint : 0
; COMPUTE_PGM_RSRC2:SCRATCH_EN: 0
; COMPUTE_PGM_RSRC2:USER_SGPR: 6
; COMPUTE_PGM_RSRC2:TRAP_HANDLER: 0
; COMPUTE_PGM_RSRC2:TGID_X_EN: 1
; COMPUTE_PGM_RSRC2:TGID_Y_EN: 0
; COMPUTE_PGM_RSRC2:TGID_Z_EN: 0
; COMPUTE_PGM_RSRC2:TIDIG_COMP_CNT: 0
; COMPUTE_PGM_RSRC3_GFX90A:ACCUM_OFFSET: 0
; COMPUTE_PGM_RSRC3_GFX90A:TG_SPLIT: 0
	.section	.text._ZN7rocprim17ROCPRIM_400000_NS6detail17trampoline_kernelINS0_14default_configENS1_25partition_config_selectorILNS1_17partition_subalgoE2ExNS0_10empty_typeEbEEZZNS1_14partition_implILS5_2ELb0ES3_jN6thrust23THRUST_200600_302600_NS6detail15normal_iteratorINSA_7pointerIxNSA_11hip_rocprim3tagENSA_11use_defaultESG_EEEEPS6_NSA_18transform_iteratorINSA_8identityIxEENSC_INSA_10device_ptrIxEEEESG_SG_EENS0_5tupleIJPxSJ_EEENSR_IJSJ_SJ_EEES6_PlJS6_EEE10hipError_tPvRmT3_T4_T5_T6_T7_T9_mT8_P12ihipStream_tbDpT10_ENKUlT_T0_E_clISt17integral_constantIbLb1EES1E_IbLb0EEEEDaS1A_S1B_EUlS1A_E_NS1_11comp_targetILNS1_3genE8ELNS1_11target_archE1030ELNS1_3gpuE2ELNS1_3repE0EEENS1_30default_config_static_selectorELNS0_4arch9wavefront6targetE1EEEvT1_,"axG",@progbits,_ZN7rocprim17ROCPRIM_400000_NS6detail17trampoline_kernelINS0_14default_configENS1_25partition_config_selectorILNS1_17partition_subalgoE2ExNS0_10empty_typeEbEEZZNS1_14partition_implILS5_2ELb0ES3_jN6thrust23THRUST_200600_302600_NS6detail15normal_iteratorINSA_7pointerIxNSA_11hip_rocprim3tagENSA_11use_defaultESG_EEEEPS6_NSA_18transform_iteratorINSA_8identityIxEENSC_INSA_10device_ptrIxEEEESG_SG_EENS0_5tupleIJPxSJ_EEENSR_IJSJ_SJ_EEES6_PlJS6_EEE10hipError_tPvRmT3_T4_T5_T6_T7_T9_mT8_P12ihipStream_tbDpT10_ENKUlT_T0_E_clISt17integral_constantIbLb1EES1E_IbLb0EEEEDaS1A_S1B_EUlS1A_E_NS1_11comp_targetILNS1_3genE8ELNS1_11target_archE1030ELNS1_3gpuE2ELNS1_3repE0EEENS1_30default_config_static_selectorELNS0_4arch9wavefront6targetE1EEEvT1_,comdat
	.protected	_ZN7rocprim17ROCPRIM_400000_NS6detail17trampoline_kernelINS0_14default_configENS1_25partition_config_selectorILNS1_17partition_subalgoE2ExNS0_10empty_typeEbEEZZNS1_14partition_implILS5_2ELb0ES3_jN6thrust23THRUST_200600_302600_NS6detail15normal_iteratorINSA_7pointerIxNSA_11hip_rocprim3tagENSA_11use_defaultESG_EEEEPS6_NSA_18transform_iteratorINSA_8identityIxEENSC_INSA_10device_ptrIxEEEESG_SG_EENS0_5tupleIJPxSJ_EEENSR_IJSJ_SJ_EEES6_PlJS6_EEE10hipError_tPvRmT3_T4_T5_T6_T7_T9_mT8_P12ihipStream_tbDpT10_ENKUlT_T0_E_clISt17integral_constantIbLb1EES1E_IbLb0EEEEDaS1A_S1B_EUlS1A_E_NS1_11comp_targetILNS1_3genE8ELNS1_11target_archE1030ELNS1_3gpuE2ELNS1_3repE0EEENS1_30default_config_static_selectorELNS0_4arch9wavefront6targetE1EEEvT1_ ; -- Begin function _ZN7rocprim17ROCPRIM_400000_NS6detail17trampoline_kernelINS0_14default_configENS1_25partition_config_selectorILNS1_17partition_subalgoE2ExNS0_10empty_typeEbEEZZNS1_14partition_implILS5_2ELb0ES3_jN6thrust23THRUST_200600_302600_NS6detail15normal_iteratorINSA_7pointerIxNSA_11hip_rocprim3tagENSA_11use_defaultESG_EEEEPS6_NSA_18transform_iteratorINSA_8identityIxEENSC_INSA_10device_ptrIxEEEESG_SG_EENS0_5tupleIJPxSJ_EEENSR_IJSJ_SJ_EEES6_PlJS6_EEE10hipError_tPvRmT3_T4_T5_T6_T7_T9_mT8_P12ihipStream_tbDpT10_ENKUlT_T0_E_clISt17integral_constantIbLb1EES1E_IbLb0EEEEDaS1A_S1B_EUlS1A_E_NS1_11comp_targetILNS1_3genE8ELNS1_11target_archE1030ELNS1_3gpuE2ELNS1_3repE0EEENS1_30default_config_static_selectorELNS0_4arch9wavefront6targetE1EEEvT1_
	.globl	_ZN7rocprim17ROCPRIM_400000_NS6detail17trampoline_kernelINS0_14default_configENS1_25partition_config_selectorILNS1_17partition_subalgoE2ExNS0_10empty_typeEbEEZZNS1_14partition_implILS5_2ELb0ES3_jN6thrust23THRUST_200600_302600_NS6detail15normal_iteratorINSA_7pointerIxNSA_11hip_rocprim3tagENSA_11use_defaultESG_EEEEPS6_NSA_18transform_iteratorINSA_8identityIxEENSC_INSA_10device_ptrIxEEEESG_SG_EENS0_5tupleIJPxSJ_EEENSR_IJSJ_SJ_EEES6_PlJS6_EEE10hipError_tPvRmT3_T4_T5_T6_T7_T9_mT8_P12ihipStream_tbDpT10_ENKUlT_T0_E_clISt17integral_constantIbLb1EES1E_IbLb0EEEEDaS1A_S1B_EUlS1A_E_NS1_11comp_targetILNS1_3genE8ELNS1_11target_archE1030ELNS1_3gpuE2ELNS1_3repE0EEENS1_30default_config_static_selectorELNS0_4arch9wavefront6targetE1EEEvT1_
	.p2align	8
	.type	_ZN7rocprim17ROCPRIM_400000_NS6detail17trampoline_kernelINS0_14default_configENS1_25partition_config_selectorILNS1_17partition_subalgoE2ExNS0_10empty_typeEbEEZZNS1_14partition_implILS5_2ELb0ES3_jN6thrust23THRUST_200600_302600_NS6detail15normal_iteratorINSA_7pointerIxNSA_11hip_rocprim3tagENSA_11use_defaultESG_EEEEPS6_NSA_18transform_iteratorINSA_8identityIxEENSC_INSA_10device_ptrIxEEEESG_SG_EENS0_5tupleIJPxSJ_EEENSR_IJSJ_SJ_EEES6_PlJS6_EEE10hipError_tPvRmT3_T4_T5_T6_T7_T9_mT8_P12ihipStream_tbDpT10_ENKUlT_T0_E_clISt17integral_constantIbLb1EES1E_IbLb0EEEEDaS1A_S1B_EUlS1A_E_NS1_11comp_targetILNS1_3genE8ELNS1_11target_archE1030ELNS1_3gpuE2ELNS1_3repE0EEENS1_30default_config_static_selectorELNS0_4arch9wavefront6targetE1EEEvT1_,@function
_ZN7rocprim17ROCPRIM_400000_NS6detail17trampoline_kernelINS0_14default_configENS1_25partition_config_selectorILNS1_17partition_subalgoE2ExNS0_10empty_typeEbEEZZNS1_14partition_implILS5_2ELb0ES3_jN6thrust23THRUST_200600_302600_NS6detail15normal_iteratorINSA_7pointerIxNSA_11hip_rocprim3tagENSA_11use_defaultESG_EEEEPS6_NSA_18transform_iteratorINSA_8identityIxEENSC_INSA_10device_ptrIxEEEESG_SG_EENS0_5tupleIJPxSJ_EEENSR_IJSJ_SJ_EEES6_PlJS6_EEE10hipError_tPvRmT3_T4_T5_T6_T7_T9_mT8_P12ihipStream_tbDpT10_ENKUlT_T0_E_clISt17integral_constantIbLb1EES1E_IbLb0EEEEDaS1A_S1B_EUlS1A_E_NS1_11comp_targetILNS1_3genE8ELNS1_11target_archE1030ELNS1_3gpuE2ELNS1_3repE0EEENS1_30default_config_static_selectorELNS0_4arch9wavefront6targetE1EEEvT1_: ; @_ZN7rocprim17ROCPRIM_400000_NS6detail17trampoline_kernelINS0_14default_configENS1_25partition_config_selectorILNS1_17partition_subalgoE2ExNS0_10empty_typeEbEEZZNS1_14partition_implILS5_2ELb0ES3_jN6thrust23THRUST_200600_302600_NS6detail15normal_iteratorINSA_7pointerIxNSA_11hip_rocprim3tagENSA_11use_defaultESG_EEEEPS6_NSA_18transform_iteratorINSA_8identityIxEENSC_INSA_10device_ptrIxEEEESG_SG_EENS0_5tupleIJPxSJ_EEENSR_IJSJ_SJ_EEES6_PlJS6_EEE10hipError_tPvRmT3_T4_T5_T6_T7_T9_mT8_P12ihipStream_tbDpT10_ENKUlT_T0_E_clISt17integral_constantIbLb1EES1E_IbLb0EEEEDaS1A_S1B_EUlS1A_E_NS1_11comp_targetILNS1_3genE8ELNS1_11target_archE1030ELNS1_3gpuE2ELNS1_3repE0EEENS1_30default_config_static_selectorELNS0_4arch9wavefront6targetE1EEEvT1_
; %bb.0:
	.section	.rodata,"a",@progbits
	.p2align	6, 0x0
	.amdhsa_kernel _ZN7rocprim17ROCPRIM_400000_NS6detail17trampoline_kernelINS0_14default_configENS1_25partition_config_selectorILNS1_17partition_subalgoE2ExNS0_10empty_typeEbEEZZNS1_14partition_implILS5_2ELb0ES3_jN6thrust23THRUST_200600_302600_NS6detail15normal_iteratorINSA_7pointerIxNSA_11hip_rocprim3tagENSA_11use_defaultESG_EEEEPS6_NSA_18transform_iteratorINSA_8identityIxEENSC_INSA_10device_ptrIxEEEESG_SG_EENS0_5tupleIJPxSJ_EEENSR_IJSJ_SJ_EEES6_PlJS6_EEE10hipError_tPvRmT3_T4_T5_T6_T7_T9_mT8_P12ihipStream_tbDpT10_ENKUlT_T0_E_clISt17integral_constantIbLb1EES1E_IbLb0EEEEDaS1A_S1B_EUlS1A_E_NS1_11comp_targetILNS1_3genE8ELNS1_11target_archE1030ELNS1_3gpuE2ELNS1_3repE0EEENS1_30default_config_static_selectorELNS0_4arch9wavefront6targetE1EEEvT1_
		.amdhsa_group_segment_fixed_size 0
		.amdhsa_private_segment_fixed_size 0
		.amdhsa_kernarg_size 128
		.amdhsa_user_sgpr_count 6
		.amdhsa_user_sgpr_private_segment_buffer 1
		.amdhsa_user_sgpr_dispatch_ptr 0
		.amdhsa_user_sgpr_queue_ptr 0
		.amdhsa_user_sgpr_kernarg_segment_ptr 1
		.amdhsa_user_sgpr_dispatch_id 0
		.amdhsa_user_sgpr_flat_scratch_init 0
		.amdhsa_user_sgpr_kernarg_preload_length 0
		.amdhsa_user_sgpr_kernarg_preload_offset 0
		.amdhsa_user_sgpr_private_segment_size 0
		.amdhsa_uses_dynamic_stack 0
		.amdhsa_system_sgpr_private_segment_wavefront_offset 0
		.amdhsa_system_sgpr_workgroup_id_x 1
		.amdhsa_system_sgpr_workgroup_id_y 0
		.amdhsa_system_sgpr_workgroup_id_z 0
		.amdhsa_system_sgpr_workgroup_info 0
		.amdhsa_system_vgpr_workitem_id 0
		.amdhsa_next_free_vgpr 1
		.amdhsa_next_free_sgpr 0
		.amdhsa_accum_offset 4
		.amdhsa_reserve_vcc 0
		.amdhsa_reserve_flat_scratch 0
		.amdhsa_float_round_mode_32 0
		.amdhsa_float_round_mode_16_64 0
		.amdhsa_float_denorm_mode_32 3
		.amdhsa_float_denorm_mode_16_64 3
		.amdhsa_dx10_clamp 1
		.amdhsa_ieee_mode 1
		.amdhsa_fp16_overflow 0
		.amdhsa_tg_split 0
		.amdhsa_exception_fp_ieee_invalid_op 0
		.amdhsa_exception_fp_denorm_src 0
		.amdhsa_exception_fp_ieee_div_zero 0
		.amdhsa_exception_fp_ieee_overflow 0
		.amdhsa_exception_fp_ieee_underflow 0
		.amdhsa_exception_fp_ieee_inexact 0
		.amdhsa_exception_int_div_zero 0
	.end_amdhsa_kernel
	.section	.text._ZN7rocprim17ROCPRIM_400000_NS6detail17trampoline_kernelINS0_14default_configENS1_25partition_config_selectorILNS1_17partition_subalgoE2ExNS0_10empty_typeEbEEZZNS1_14partition_implILS5_2ELb0ES3_jN6thrust23THRUST_200600_302600_NS6detail15normal_iteratorINSA_7pointerIxNSA_11hip_rocprim3tagENSA_11use_defaultESG_EEEEPS6_NSA_18transform_iteratorINSA_8identityIxEENSC_INSA_10device_ptrIxEEEESG_SG_EENS0_5tupleIJPxSJ_EEENSR_IJSJ_SJ_EEES6_PlJS6_EEE10hipError_tPvRmT3_T4_T5_T6_T7_T9_mT8_P12ihipStream_tbDpT10_ENKUlT_T0_E_clISt17integral_constantIbLb1EES1E_IbLb0EEEEDaS1A_S1B_EUlS1A_E_NS1_11comp_targetILNS1_3genE8ELNS1_11target_archE1030ELNS1_3gpuE2ELNS1_3repE0EEENS1_30default_config_static_selectorELNS0_4arch9wavefront6targetE1EEEvT1_,"axG",@progbits,_ZN7rocprim17ROCPRIM_400000_NS6detail17trampoline_kernelINS0_14default_configENS1_25partition_config_selectorILNS1_17partition_subalgoE2ExNS0_10empty_typeEbEEZZNS1_14partition_implILS5_2ELb0ES3_jN6thrust23THRUST_200600_302600_NS6detail15normal_iteratorINSA_7pointerIxNSA_11hip_rocprim3tagENSA_11use_defaultESG_EEEEPS6_NSA_18transform_iteratorINSA_8identityIxEENSC_INSA_10device_ptrIxEEEESG_SG_EENS0_5tupleIJPxSJ_EEENSR_IJSJ_SJ_EEES6_PlJS6_EEE10hipError_tPvRmT3_T4_T5_T6_T7_T9_mT8_P12ihipStream_tbDpT10_ENKUlT_T0_E_clISt17integral_constantIbLb1EES1E_IbLb0EEEEDaS1A_S1B_EUlS1A_E_NS1_11comp_targetILNS1_3genE8ELNS1_11target_archE1030ELNS1_3gpuE2ELNS1_3repE0EEENS1_30default_config_static_selectorELNS0_4arch9wavefront6targetE1EEEvT1_,comdat
.Lfunc_end504:
	.size	_ZN7rocprim17ROCPRIM_400000_NS6detail17trampoline_kernelINS0_14default_configENS1_25partition_config_selectorILNS1_17partition_subalgoE2ExNS0_10empty_typeEbEEZZNS1_14partition_implILS5_2ELb0ES3_jN6thrust23THRUST_200600_302600_NS6detail15normal_iteratorINSA_7pointerIxNSA_11hip_rocprim3tagENSA_11use_defaultESG_EEEEPS6_NSA_18transform_iteratorINSA_8identityIxEENSC_INSA_10device_ptrIxEEEESG_SG_EENS0_5tupleIJPxSJ_EEENSR_IJSJ_SJ_EEES6_PlJS6_EEE10hipError_tPvRmT3_T4_T5_T6_T7_T9_mT8_P12ihipStream_tbDpT10_ENKUlT_T0_E_clISt17integral_constantIbLb1EES1E_IbLb0EEEEDaS1A_S1B_EUlS1A_E_NS1_11comp_targetILNS1_3genE8ELNS1_11target_archE1030ELNS1_3gpuE2ELNS1_3repE0EEENS1_30default_config_static_selectorELNS0_4arch9wavefront6targetE1EEEvT1_, .Lfunc_end504-_ZN7rocprim17ROCPRIM_400000_NS6detail17trampoline_kernelINS0_14default_configENS1_25partition_config_selectorILNS1_17partition_subalgoE2ExNS0_10empty_typeEbEEZZNS1_14partition_implILS5_2ELb0ES3_jN6thrust23THRUST_200600_302600_NS6detail15normal_iteratorINSA_7pointerIxNSA_11hip_rocprim3tagENSA_11use_defaultESG_EEEEPS6_NSA_18transform_iteratorINSA_8identityIxEENSC_INSA_10device_ptrIxEEEESG_SG_EENS0_5tupleIJPxSJ_EEENSR_IJSJ_SJ_EEES6_PlJS6_EEE10hipError_tPvRmT3_T4_T5_T6_T7_T9_mT8_P12ihipStream_tbDpT10_ENKUlT_T0_E_clISt17integral_constantIbLb1EES1E_IbLb0EEEEDaS1A_S1B_EUlS1A_E_NS1_11comp_targetILNS1_3genE8ELNS1_11target_archE1030ELNS1_3gpuE2ELNS1_3repE0EEENS1_30default_config_static_selectorELNS0_4arch9wavefront6targetE1EEEvT1_
                                        ; -- End function
	.section	.AMDGPU.csdata,"",@progbits
; Kernel info:
; codeLenInByte = 0
; NumSgprs: 4
; NumVgprs: 0
; NumAgprs: 0
; TotalNumVgprs: 0
; ScratchSize: 0
; MemoryBound: 0
; FloatMode: 240
; IeeeMode: 1
; LDSByteSize: 0 bytes/workgroup (compile time only)
; SGPRBlocks: 0
; VGPRBlocks: 0
; NumSGPRsForWavesPerEU: 4
; NumVGPRsForWavesPerEU: 1
; AccumOffset: 4
; Occupancy: 8
; WaveLimiterHint : 0
; COMPUTE_PGM_RSRC2:SCRATCH_EN: 0
; COMPUTE_PGM_RSRC2:USER_SGPR: 6
; COMPUTE_PGM_RSRC2:TRAP_HANDLER: 0
; COMPUTE_PGM_RSRC2:TGID_X_EN: 1
; COMPUTE_PGM_RSRC2:TGID_Y_EN: 0
; COMPUTE_PGM_RSRC2:TGID_Z_EN: 0
; COMPUTE_PGM_RSRC2:TIDIG_COMP_CNT: 0
; COMPUTE_PGM_RSRC3_GFX90A:ACCUM_OFFSET: 0
; COMPUTE_PGM_RSRC3_GFX90A:TG_SPLIT: 0
	.section	.text._ZN7rocprim17ROCPRIM_400000_NS6detail17trampoline_kernelINS0_14default_configENS1_25partition_config_selectorILNS1_17partition_subalgoE2ExNS0_10empty_typeEbEEZZNS1_14partition_implILS5_2ELb0ES3_jN6thrust23THRUST_200600_302600_NS6detail15normal_iteratorINSA_7pointerIxNSA_11hip_rocprim3tagENSA_11use_defaultESG_EEEEPS6_NSA_18transform_iteratorINSA_8identityIxEENSC_INSA_10device_ptrIxEEEESG_SG_EENS0_5tupleIJPxSJ_EEENSR_IJSJ_SJ_EEES6_PlJS6_EEE10hipError_tPvRmT3_T4_T5_T6_T7_T9_mT8_P12ihipStream_tbDpT10_ENKUlT_T0_E_clISt17integral_constantIbLb0EES1E_IbLb1EEEEDaS1A_S1B_EUlS1A_E_NS1_11comp_targetILNS1_3genE0ELNS1_11target_archE4294967295ELNS1_3gpuE0ELNS1_3repE0EEENS1_30default_config_static_selectorELNS0_4arch9wavefront6targetE1EEEvT1_,"axG",@progbits,_ZN7rocprim17ROCPRIM_400000_NS6detail17trampoline_kernelINS0_14default_configENS1_25partition_config_selectorILNS1_17partition_subalgoE2ExNS0_10empty_typeEbEEZZNS1_14partition_implILS5_2ELb0ES3_jN6thrust23THRUST_200600_302600_NS6detail15normal_iteratorINSA_7pointerIxNSA_11hip_rocprim3tagENSA_11use_defaultESG_EEEEPS6_NSA_18transform_iteratorINSA_8identityIxEENSC_INSA_10device_ptrIxEEEESG_SG_EENS0_5tupleIJPxSJ_EEENSR_IJSJ_SJ_EEES6_PlJS6_EEE10hipError_tPvRmT3_T4_T5_T6_T7_T9_mT8_P12ihipStream_tbDpT10_ENKUlT_T0_E_clISt17integral_constantIbLb0EES1E_IbLb1EEEEDaS1A_S1B_EUlS1A_E_NS1_11comp_targetILNS1_3genE0ELNS1_11target_archE4294967295ELNS1_3gpuE0ELNS1_3repE0EEENS1_30default_config_static_selectorELNS0_4arch9wavefront6targetE1EEEvT1_,comdat
	.protected	_ZN7rocprim17ROCPRIM_400000_NS6detail17trampoline_kernelINS0_14default_configENS1_25partition_config_selectorILNS1_17partition_subalgoE2ExNS0_10empty_typeEbEEZZNS1_14partition_implILS5_2ELb0ES3_jN6thrust23THRUST_200600_302600_NS6detail15normal_iteratorINSA_7pointerIxNSA_11hip_rocprim3tagENSA_11use_defaultESG_EEEEPS6_NSA_18transform_iteratorINSA_8identityIxEENSC_INSA_10device_ptrIxEEEESG_SG_EENS0_5tupleIJPxSJ_EEENSR_IJSJ_SJ_EEES6_PlJS6_EEE10hipError_tPvRmT3_T4_T5_T6_T7_T9_mT8_P12ihipStream_tbDpT10_ENKUlT_T0_E_clISt17integral_constantIbLb0EES1E_IbLb1EEEEDaS1A_S1B_EUlS1A_E_NS1_11comp_targetILNS1_3genE0ELNS1_11target_archE4294967295ELNS1_3gpuE0ELNS1_3repE0EEENS1_30default_config_static_selectorELNS0_4arch9wavefront6targetE1EEEvT1_ ; -- Begin function _ZN7rocprim17ROCPRIM_400000_NS6detail17trampoline_kernelINS0_14default_configENS1_25partition_config_selectorILNS1_17partition_subalgoE2ExNS0_10empty_typeEbEEZZNS1_14partition_implILS5_2ELb0ES3_jN6thrust23THRUST_200600_302600_NS6detail15normal_iteratorINSA_7pointerIxNSA_11hip_rocprim3tagENSA_11use_defaultESG_EEEEPS6_NSA_18transform_iteratorINSA_8identityIxEENSC_INSA_10device_ptrIxEEEESG_SG_EENS0_5tupleIJPxSJ_EEENSR_IJSJ_SJ_EEES6_PlJS6_EEE10hipError_tPvRmT3_T4_T5_T6_T7_T9_mT8_P12ihipStream_tbDpT10_ENKUlT_T0_E_clISt17integral_constantIbLb0EES1E_IbLb1EEEEDaS1A_S1B_EUlS1A_E_NS1_11comp_targetILNS1_3genE0ELNS1_11target_archE4294967295ELNS1_3gpuE0ELNS1_3repE0EEENS1_30default_config_static_selectorELNS0_4arch9wavefront6targetE1EEEvT1_
	.globl	_ZN7rocprim17ROCPRIM_400000_NS6detail17trampoline_kernelINS0_14default_configENS1_25partition_config_selectorILNS1_17partition_subalgoE2ExNS0_10empty_typeEbEEZZNS1_14partition_implILS5_2ELb0ES3_jN6thrust23THRUST_200600_302600_NS6detail15normal_iteratorINSA_7pointerIxNSA_11hip_rocprim3tagENSA_11use_defaultESG_EEEEPS6_NSA_18transform_iteratorINSA_8identityIxEENSC_INSA_10device_ptrIxEEEESG_SG_EENS0_5tupleIJPxSJ_EEENSR_IJSJ_SJ_EEES6_PlJS6_EEE10hipError_tPvRmT3_T4_T5_T6_T7_T9_mT8_P12ihipStream_tbDpT10_ENKUlT_T0_E_clISt17integral_constantIbLb0EES1E_IbLb1EEEEDaS1A_S1B_EUlS1A_E_NS1_11comp_targetILNS1_3genE0ELNS1_11target_archE4294967295ELNS1_3gpuE0ELNS1_3repE0EEENS1_30default_config_static_selectorELNS0_4arch9wavefront6targetE1EEEvT1_
	.p2align	8
	.type	_ZN7rocprim17ROCPRIM_400000_NS6detail17trampoline_kernelINS0_14default_configENS1_25partition_config_selectorILNS1_17partition_subalgoE2ExNS0_10empty_typeEbEEZZNS1_14partition_implILS5_2ELb0ES3_jN6thrust23THRUST_200600_302600_NS6detail15normal_iteratorINSA_7pointerIxNSA_11hip_rocprim3tagENSA_11use_defaultESG_EEEEPS6_NSA_18transform_iteratorINSA_8identityIxEENSC_INSA_10device_ptrIxEEEESG_SG_EENS0_5tupleIJPxSJ_EEENSR_IJSJ_SJ_EEES6_PlJS6_EEE10hipError_tPvRmT3_T4_T5_T6_T7_T9_mT8_P12ihipStream_tbDpT10_ENKUlT_T0_E_clISt17integral_constantIbLb0EES1E_IbLb1EEEEDaS1A_S1B_EUlS1A_E_NS1_11comp_targetILNS1_3genE0ELNS1_11target_archE4294967295ELNS1_3gpuE0ELNS1_3repE0EEENS1_30default_config_static_selectorELNS0_4arch9wavefront6targetE1EEEvT1_,@function
_ZN7rocprim17ROCPRIM_400000_NS6detail17trampoline_kernelINS0_14default_configENS1_25partition_config_selectorILNS1_17partition_subalgoE2ExNS0_10empty_typeEbEEZZNS1_14partition_implILS5_2ELb0ES3_jN6thrust23THRUST_200600_302600_NS6detail15normal_iteratorINSA_7pointerIxNSA_11hip_rocprim3tagENSA_11use_defaultESG_EEEEPS6_NSA_18transform_iteratorINSA_8identityIxEENSC_INSA_10device_ptrIxEEEESG_SG_EENS0_5tupleIJPxSJ_EEENSR_IJSJ_SJ_EEES6_PlJS6_EEE10hipError_tPvRmT3_T4_T5_T6_T7_T9_mT8_P12ihipStream_tbDpT10_ENKUlT_T0_E_clISt17integral_constantIbLb0EES1E_IbLb1EEEEDaS1A_S1B_EUlS1A_E_NS1_11comp_targetILNS1_3genE0ELNS1_11target_archE4294967295ELNS1_3gpuE0ELNS1_3repE0EEENS1_30default_config_static_selectorELNS0_4arch9wavefront6targetE1EEEvT1_: ; @_ZN7rocprim17ROCPRIM_400000_NS6detail17trampoline_kernelINS0_14default_configENS1_25partition_config_selectorILNS1_17partition_subalgoE2ExNS0_10empty_typeEbEEZZNS1_14partition_implILS5_2ELb0ES3_jN6thrust23THRUST_200600_302600_NS6detail15normal_iteratorINSA_7pointerIxNSA_11hip_rocprim3tagENSA_11use_defaultESG_EEEEPS6_NSA_18transform_iteratorINSA_8identityIxEENSC_INSA_10device_ptrIxEEEESG_SG_EENS0_5tupleIJPxSJ_EEENSR_IJSJ_SJ_EEES6_PlJS6_EEE10hipError_tPvRmT3_T4_T5_T6_T7_T9_mT8_P12ihipStream_tbDpT10_ENKUlT_T0_E_clISt17integral_constantIbLb0EES1E_IbLb1EEEEDaS1A_S1B_EUlS1A_E_NS1_11comp_targetILNS1_3genE0ELNS1_11target_archE4294967295ELNS1_3gpuE0ELNS1_3repE0EEENS1_30default_config_static_selectorELNS0_4arch9wavefront6targetE1EEEvT1_
; %bb.0:
	.section	.rodata,"a",@progbits
	.p2align	6, 0x0
	.amdhsa_kernel _ZN7rocprim17ROCPRIM_400000_NS6detail17trampoline_kernelINS0_14default_configENS1_25partition_config_selectorILNS1_17partition_subalgoE2ExNS0_10empty_typeEbEEZZNS1_14partition_implILS5_2ELb0ES3_jN6thrust23THRUST_200600_302600_NS6detail15normal_iteratorINSA_7pointerIxNSA_11hip_rocprim3tagENSA_11use_defaultESG_EEEEPS6_NSA_18transform_iteratorINSA_8identityIxEENSC_INSA_10device_ptrIxEEEESG_SG_EENS0_5tupleIJPxSJ_EEENSR_IJSJ_SJ_EEES6_PlJS6_EEE10hipError_tPvRmT3_T4_T5_T6_T7_T9_mT8_P12ihipStream_tbDpT10_ENKUlT_T0_E_clISt17integral_constantIbLb0EES1E_IbLb1EEEEDaS1A_S1B_EUlS1A_E_NS1_11comp_targetILNS1_3genE0ELNS1_11target_archE4294967295ELNS1_3gpuE0ELNS1_3repE0EEENS1_30default_config_static_selectorELNS0_4arch9wavefront6targetE1EEEvT1_
		.amdhsa_group_segment_fixed_size 0
		.amdhsa_private_segment_fixed_size 0
		.amdhsa_kernarg_size 144
		.amdhsa_user_sgpr_count 6
		.amdhsa_user_sgpr_private_segment_buffer 1
		.amdhsa_user_sgpr_dispatch_ptr 0
		.amdhsa_user_sgpr_queue_ptr 0
		.amdhsa_user_sgpr_kernarg_segment_ptr 1
		.amdhsa_user_sgpr_dispatch_id 0
		.amdhsa_user_sgpr_flat_scratch_init 0
		.amdhsa_user_sgpr_kernarg_preload_length 0
		.amdhsa_user_sgpr_kernarg_preload_offset 0
		.amdhsa_user_sgpr_private_segment_size 0
		.amdhsa_uses_dynamic_stack 0
		.amdhsa_system_sgpr_private_segment_wavefront_offset 0
		.amdhsa_system_sgpr_workgroup_id_x 1
		.amdhsa_system_sgpr_workgroup_id_y 0
		.amdhsa_system_sgpr_workgroup_id_z 0
		.amdhsa_system_sgpr_workgroup_info 0
		.amdhsa_system_vgpr_workitem_id 0
		.amdhsa_next_free_vgpr 1
		.amdhsa_next_free_sgpr 0
		.amdhsa_accum_offset 4
		.amdhsa_reserve_vcc 0
		.amdhsa_reserve_flat_scratch 0
		.amdhsa_float_round_mode_32 0
		.amdhsa_float_round_mode_16_64 0
		.amdhsa_float_denorm_mode_32 3
		.amdhsa_float_denorm_mode_16_64 3
		.amdhsa_dx10_clamp 1
		.amdhsa_ieee_mode 1
		.amdhsa_fp16_overflow 0
		.amdhsa_tg_split 0
		.amdhsa_exception_fp_ieee_invalid_op 0
		.amdhsa_exception_fp_denorm_src 0
		.amdhsa_exception_fp_ieee_div_zero 0
		.amdhsa_exception_fp_ieee_overflow 0
		.amdhsa_exception_fp_ieee_underflow 0
		.amdhsa_exception_fp_ieee_inexact 0
		.amdhsa_exception_int_div_zero 0
	.end_amdhsa_kernel
	.section	.text._ZN7rocprim17ROCPRIM_400000_NS6detail17trampoline_kernelINS0_14default_configENS1_25partition_config_selectorILNS1_17partition_subalgoE2ExNS0_10empty_typeEbEEZZNS1_14partition_implILS5_2ELb0ES3_jN6thrust23THRUST_200600_302600_NS6detail15normal_iteratorINSA_7pointerIxNSA_11hip_rocprim3tagENSA_11use_defaultESG_EEEEPS6_NSA_18transform_iteratorINSA_8identityIxEENSC_INSA_10device_ptrIxEEEESG_SG_EENS0_5tupleIJPxSJ_EEENSR_IJSJ_SJ_EEES6_PlJS6_EEE10hipError_tPvRmT3_T4_T5_T6_T7_T9_mT8_P12ihipStream_tbDpT10_ENKUlT_T0_E_clISt17integral_constantIbLb0EES1E_IbLb1EEEEDaS1A_S1B_EUlS1A_E_NS1_11comp_targetILNS1_3genE0ELNS1_11target_archE4294967295ELNS1_3gpuE0ELNS1_3repE0EEENS1_30default_config_static_selectorELNS0_4arch9wavefront6targetE1EEEvT1_,"axG",@progbits,_ZN7rocprim17ROCPRIM_400000_NS6detail17trampoline_kernelINS0_14default_configENS1_25partition_config_selectorILNS1_17partition_subalgoE2ExNS0_10empty_typeEbEEZZNS1_14partition_implILS5_2ELb0ES3_jN6thrust23THRUST_200600_302600_NS6detail15normal_iteratorINSA_7pointerIxNSA_11hip_rocprim3tagENSA_11use_defaultESG_EEEEPS6_NSA_18transform_iteratorINSA_8identityIxEENSC_INSA_10device_ptrIxEEEESG_SG_EENS0_5tupleIJPxSJ_EEENSR_IJSJ_SJ_EEES6_PlJS6_EEE10hipError_tPvRmT3_T4_T5_T6_T7_T9_mT8_P12ihipStream_tbDpT10_ENKUlT_T0_E_clISt17integral_constantIbLb0EES1E_IbLb1EEEEDaS1A_S1B_EUlS1A_E_NS1_11comp_targetILNS1_3genE0ELNS1_11target_archE4294967295ELNS1_3gpuE0ELNS1_3repE0EEENS1_30default_config_static_selectorELNS0_4arch9wavefront6targetE1EEEvT1_,comdat
.Lfunc_end505:
	.size	_ZN7rocprim17ROCPRIM_400000_NS6detail17trampoline_kernelINS0_14default_configENS1_25partition_config_selectorILNS1_17partition_subalgoE2ExNS0_10empty_typeEbEEZZNS1_14partition_implILS5_2ELb0ES3_jN6thrust23THRUST_200600_302600_NS6detail15normal_iteratorINSA_7pointerIxNSA_11hip_rocprim3tagENSA_11use_defaultESG_EEEEPS6_NSA_18transform_iteratorINSA_8identityIxEENSC_INSA_10device_ptrIxEEEESG_SG_EENS0_5tupleIJPxSJ_EEENSR_IJSJ_SJ_EEES6_PlJS6_EEE10hipError_tPvRmT3_T4_T5_T6_T7_T9_mT8_P12ihipStream_tbDpT10_ENKUlT_T0_E_clISt17integral_constantIbLb0EES1E_IbLb1EEEEDaS1A_S1B_EUlS1A_E_NS1_11comp_targetILNS1_3genE0ELNS1_11target_archE4294967295ELNS1_3gpuE0ELNS1_3repE0EEENS1_30default_config_static_selectorELNS0_4arch9wavefront6targetE1EEEvT1_, .Lfunc_end505-_ZN7rocprim17ROCPRIM_400000_NS6detail17trampoline_kernelINS0_14default_configENS1_25partition_config_selectorILNS1_17partition_subalgoE2ExNS0_10empty_typeEbEEZZNS1_14partition_implILS5_2ELb0ES3_jN6thrust23THRUST_200600_302600_NS6detail15normal_iteratorINSA_7pointerIxNSA_11hip_rocprim3tagENSA_11use_defaultESG_EEEEPS6_NSA_18transform_iteratorINSA_8identityIxEENSC_INSA_10device_ptrIxEEEESG_SG_EENS0_5tupleIJPxSJ_EEENSR_IJSJ_SJ_EEES6_PlJS6_EEE10hipError_tPvRmT3_T4_T5_T6_T7_T9_mT8_P12ihipStream_tbDpT10_ENKUlT_T0_E_clISt17integral_constantIbLb0EES1E_IbLb1EEEEDaS1A_S1B_EUlS1A_E_NS1_11comp_targetILNS1_3genE0ELNS1_11target_archE4294967295ELNS1_3gpuE0ELNS1_3repE0EEENS1_30default_config_static_selectorELNS0_4arch9wavefront6targetE1EEEvT1_
                                        ; -- End function
	.section	.AMDGPU.csdata,"",@progbits
; Kernel info:
; codeLenInByte = 0
; NumSgprs: 4
; NumVgprs: 0
; NumAgprs: 0
; TotalNumVgprs: 0
; ScratchSize: 0
; MemoryBound: 0
; FloatMode: 240
; IeeeMode: 1
; LDSByteSize: 0 bytes/workgroup (compile time only)
; SGPRBlocks: 0
; VGPRBlocks: 0
; NumSGPRsForWavesPerEU: 4
; NumVGPRsForWavesPerEU: 1
; AccumOffset: 4
; Occupancy: 8
; WaveLimiterHint : 0
; COMPUTE_PGM_RSRC2:SCRATCH_EN: 0
; COMPUTE_PGM_RSRC2:USER_SGPR: 6
; COMPUTE_PGM_RSRC2:TRAP_HANDLER: 0
; COMPUTE_PGM_RSRC2:TGID_X_EN: 1
; COMPUTE_PGM_RSRC2:TGID_Y_EN: 0
; COMPUTE_PGM_RSRC2:TGID_Z_EN: 0
; COMPUTE_PGM_RSRC2:TIDIG_COMP_CNT: 0
; COMPUTE_PGM_RSRC3_GFX90A:ACCUM_OFFSET: 0
; COMPUTE_PGM_RSRC3_GFX90A:TG_SPLIT: 0
	.section	.text._ZN7rocprim17ROCPRIM_400000_NS6detail17trampoline_kernelINS0_14default_configENS1_25partition_config_selectorILNS1_17partition_subalgoE2ExNS0_10empty_typeEbEEZZNS1_14partition_implILS5_2ELb0ES3_jN6thrust23THRUST_200600_302600_NS6detail15normal_iteratorINSA_7pointerIxNSA_11hip_rocprim3tagENSA_11use_defaultESG_EEEEPS6_NSA_18transform_iteratorINSA_8identityIxEENSC_INSA_10device_ptrIxEEEESG_SG_EENS0_5tupleIJPxSJ_EEENSR_IJSJ_SJ_EEES6_PlJS6_EEE10hipError_tPvRmT3_T4_T5_T6_T7_T9_mT8_P12ihipStream_tbDpT10_ENKUlT_T0_E_clISt17integral_constantIbLb0EES1E_IbLb1EEEEDaS1A_S1B_EUlS1A_E_NS1_11comp_targetILNS1_3genE5ELNS1_11target_archE942ELNS1_3gpuE9ELNS1_3repE0EEENS1_30default_config_static_selectorELNS0_4arch9wavefront6targetE1EEEvT1_,"axG",@progbits,_ZN7rocprim17ROCPRIM_400000_NS6detail17trampoline_kernelINS0_14default_configENS1_25partition_config_selectorILNS1_17partition_subalgoE2ExNS0_10empty_typeEbEEZZNS1_14partition_implILS5_2ELb0ES3_jN6thrust23THRUST_200600_302600_NS6detail15normal_iteratorINSA_7pointerIxNSA_11hip_rocprim3tagENSA_11use_defaultESG_EEEEPS6_NSA_18transform_iteratorINSA_8identityIxEENSC_INSA_10device_ptrIxEEEESG_SG_EENS0_5tupleIJPxSJ_EEENSR_IJSJ_SJ_EEES6_PlJS6_EEE10hipError_tPvRmT3_T4_T5_T6_T7_T9_mT8_P12ihipStream_tbDpT10_ENKUlT_T0_E_clISt17integral_constantIbLb0EES1E_IbLb1EEEEDaS1A_S1B_EUlS1A_E_NS1_11comp_targetILNS1_3genE5ELNS1_11target_archE942ELNS1_3gpuE9ELNS1_3repE0EEENS1_30default_config_static_selectorELNS0_4arch9wavefront6targetE1EEEvT1_,comdat
	.protected	_ZN7rocprim17ROCPRIM_400000_NS6detail17trampoline_kernelINS0_14default_configENS1_25partition_config_selectorILNS1_17partition_subalgoE2ExNS0_10empty_typeEbEEZZNS1_14partition_implILS5_2ELb0ES3_jN6thrust23THRUST_200600_302600_NS6detail15normal_iteratorINSA_7pointerIxNSA_11hip_rocprim3tagENSA_11use_defaultESG_EEEEPS6_NSA_18transform_iteratorINSA_8identityIxEENSC_INSA_10device_ptrIxEEEESG_SG_EENS0_5tupleIJPxSJ_EEENSR_IJSJ_SJ_EEES6_PlJS6_EEE10hipError_tPvRmT3_T4_T5_T6_T7_T9_mT8_P12ihipStream_tbDpT10_ENKUlT_T0_E_clISt17integral_constantIbLb0EES1E_IbLb1EEEEDaS1A_S1B_EUlS1A_E_NS1_11comp_targetILNS1_3genE5ELNS1_11target_archE942ELNS1_3gpuE9ELNS1_3repE0EEENS1_30default_config_static_selectorELNS0_4arch9wavefront6targetE1EEEvT1_ ; -- Begin function _ZN7rocprim17ROCPRIM_400000_NS6detail17trampoline_kernelINS0_14default_configENS1_25partition_config_selectorILNS1_17partition_subalgoE2ExNS0_10empty_typeEbEEZZNS1_14partition_implILS5_2ELb0ES3_jN6thrust23THRUST_200600_302600_NS6detail15normal_iteratorINSA_7pointerIxNSA_11hip_rocprim3tagENSA_11use_defaultESG_EEEEPS6_NSA_18transform_iteratorINSA_8identityIxEENSC_INSA_10device_ptrIxEEEESG_SG_EENS0_5tupleIJPxSJ_EEENSR_IJSJ_SJ_EEES6_PlJS6_EEE10hipError_tPvRmT3_T4_T5_T6_T7_T9_mT8_P12ihipStream_tbDpT10_ENKUlT_T0_E_clISt17integral_constantIbLb0EES1E_IbLb1EEEEDaS1A_S1B_EUlS1A_E_NS1_11comp_targetILNS1_3genE5ELNS1_11target_archE942ELNS1_3gpuE9ELNS1_3repE0EEENS1_30default_config_static_selectorELNS0_4arch9wavefront6targetE1EEEvT1_
	.globl	_ZN7rocprim17ROCPRIM_400000_NS6detail17trampoline_kernelINS0_14default_configENS1_25partition_config_selectorILNS1_17partition_subalgoE2ExNS0_10empty_typeEbEEZZNS1_14partition_implILS5_2ELb0ES3_jN6thrust23THRUST_200600_302600_NS6detail15normal_iteratorINSA_7pointerIxNSA_11hip_rocprim3tagENSA_11use_defaultESG_EEEEPS6_NSA_18transform_iteratorINSA_8identityIxEENSC_INSA_10device_ptrIxEEEESG_SG_EENS0_5tupleIJPxSJ_EEENSR_IJSJ_SJ_EEES6_PlJS6_EEE10hipError_tPvRmT3_T4_T5_T6_T7_T9_mT8_P12ihipStream_tbDpT10_ENKUlT_T0_E_clISt17integral_constantIbLb0EES1E_IbLb1EEEEDaS1A_S1B_EUlS1A_E_NS1_11comp_targetILNS1_3genE5ELNS1_11target_archE942ELNS1_3gpuE9ELNS1_3repE0EEENS1_30default_config_static_selectorELNS0_4arch9wavefront6targetE1EEEvT1_
	.p2align	8
	.type	_ZN7rocprim17ROCPRIM_400000_NS6detail17trampoline_kernelINS0_14default_configENS1_25partition_config_selectorILNS1_17partition_subalgoE2ExNS0_10empty_typeEbEEZZNS1_14partition_implILS5_2ELb0ES3_jN6thrust23THRUST_200600_302600_NS6detail15normal_iteratorINSA_7pointerIxNSA_11hip_rocprim3tagENSA_11use_defaultESG_EEEEPS6_NSA_18transform_iteratorINSA_8identityIxEENSC_INSA_10device_ptrIxEEEESG_SG_EENS0_5tupleIJPxSJ_EEENSR_IJSJ_SJ_EEES6_PlJS6_EEE10hipError_tPvRmT3_T4_T5_T6_T7_T9_mT8_P12ihipStream_tbDpT10_ENKUlT_T0_E_clISt17integral_constantIbLb0EES1E_IbLb1EEEEDaS1A_S1B_EUlS1A_E_NS1_11comp_targetILNS1_3genE5ELNS1_11target_archE942ELNS1_3gpuE9ELNS1_3repE0EEENS1_30default_config_static_selectorELNS0_4arch9wavefront6targetE1EEEvT1_,@function
_ZN7rocprim17ROCPRIM_400000_NS6detail17trampoline_kernelINS0_14default_configENS1_25partition_config_selectorILNS1_17partition_subalgoE2ExNS0_10empty_typeEbEEZZNS1_14partition_implILS5_2ELb0ES3_jN6thrust23THRUST_200600_302600_NS6detail15normal_iteratorINSA_7pointerIxNSA_11hip_rocprim3tagENSA_11use_defaultESG_EEEEPS6_NSA_18transform_iteratorINSA_8identityIxEENSC_INSA_10device_ptrIxEEEESG_SG_EENS0_5tupleIJPxSJ_EEENSR_IJSJ_SJ_EEES6_PlJS6_EEE10hipError_tPvRmT3_T4_T5_T6_T7_T9_mT8_P12ihipStream_tbDpT10_ENKUlT_T0_E_clISt17integral_constantIbLb0EES1E_IbLb1EEEEDaS1A_S1B_EUlS1A_E_NS1_11comp_targetILNS1_3genE5ELNS1_11target_archE942ELNS1_3gpuE9ELNS1_3repE0EEENS1_30default_config_static_selectorELNS0_4arch9wavefront6targetE1EEEvT1_: ; @_ZN7rocprim17ROCPRIM_400000_NS6detail17trampoline_kernelINS0_14default_configENS1_25partition_config_selectorILNS1_17partition_subalgoE2ExNS0_10empty_typeEbEEZZNS1_14partition_implILS5_2ELb0ES3_jN6thrust23THRUST_200600_302600_NS6detail15normal_iteratorINSA_7pointerIxNSA_11hip_rocprim3tagENSA_11use_defaultESG_EEEEPS6_NSA_18transform_iteratorINSA_8identityIxEENSC_INSA_10device_ptrIxEEEESG_SG_EENS0_5tupleIJPxSJ_EEENSR_IJSJ_SJ_EEES6_PlJS6_EEE10hipError_tPvRmT3_T4_T5_T6_T7_T9_mT8_P12ihipStream_tbDpT10_ENKUlT_T0_E_clISt17integral_constantIbLb0EES1E_IbLb1EEEEDaS1A_S1B_EUlS1A_E_NS1_11comp_targetILNS1_3genE5ELNS1_11target_archE942ELNS1_3gpuE9ELNS1_3repE0EEENS1_30default_config_static_selectorELNS0_4arch9wavefront6targetE1EEEvT1_
; %bb.0:
	.section	.rodata,"a",@progbits
	.p2align	6, 0x0
	.amdhsa_kernel _ZN7rocprim17ROCPRIM_400000_NS6detail17trampoline_kernelINS0_14default_configENS1_25partition_config_selectorILNS1_17partition_subalgoE2ExNS0_10empty_typeEbEEZZNS1_14partition_implILS5_2ELb0ES3_jN6thrust23THRUST_200600_302600_NS6detail15normal_iteratorINSA_7pointerIxNSA_11hip_rocprim3tagENSA_11use_defaultESG_EEEEPS6_NSA_18transform_iteratorINSA_8identityIxEENSC_INSA_10device_ptrIxEEEESG_SG_EENS0_5tupleIJPxSJ_EEENSR_IJSJ_SJ_EEES6_PlJS6_EEE10hipError_tPvRmT3_T4_T5_T6_T7_T9_mT8_P12ihipStream_tbDpT10_ENKUlT_T0_E_clISt17integral_constantIbLb0EES1E_IbLb1EEEEDaS1A_S1B_EUlS1A_E_NS1_11comp_targetILNS1_3genE5ELNS1_11target_archE942ELNS1_3gpuE9ELNS1_3repE0EEENS1_30default_config_static_selectorELNS0_4arch9wavefront6targetE1EEEvT1_
		.amdhsa_group_segment_fixed_size 0
		.amdhsa_private_segment_fixed_size 0
		.amdhsa_kernarg_size 144
		.amdhsa_user_sgpr_count 6
		.amdhsa_user_sgpr_private_segment_buffer 1
		.amdhsa_user_sgpr_dispatch_ptr 0
		.amdhsa_user_sgpr_queue_ptr 0
		.amdhsa_user_sgpr_kernarg_segment_ptr 1
		.amdhsa_user_sgpr_dispatch_id 0
		.amdhsa_user_sgpr_flat_scratch_init 0
		.amdhsa_user_sgpr_kernarg_preload_length 0
		.amdhsa_user_sgpr_kernarg_preload_offset 0
		.amdhsa_user_sgpr_private_segment_size 0
		.amdhsa_uses_dynamic_stack 0
		.amdhsa_system_sgpr_private_segment_wavefront_offset 0
		.amdhsa_system_sgpr_workgroup_id_x 1
		.amdhsa_system_sgpr_workgroup_id_y 0
		.amdhsa_system_sgpr_workgroup_id_z 0
		.amdhsa_system_sgpr_workgroup_info 0
		.amdhsa_system_vgpr_workitem_id 0
		.amdhsa_next_free_vgpr 1
		.amdhsa_next_free_sgpr 0
		.amdhsa_accum_offset 4
		.amdhsa_reserve_vcc 0
		.amdhsa_reserve_flat_scratch 0
		.amdhsa_float_round_mode_32 0
		.amdhsa_float_round_mode_16_64 0
		.amdhsa_float_denorm_mode_32 3
		.amdhsa_float_denorm_mode_16_64 3
		.amdhsa_dx10_clamp 1
		.amdhsa_ieee_mode 1
		.amdhsa_fp16_overflow 0
		.amdhsa_tg_split 0
		.amdhsa_exception_fp_ieee_invalid_op 0
		.amdhsa_exception_fp_denorm_src 0
		.amdhsa_exception_fp_ieee_div_zero 0
		.amdhsa_exception_fp_ieee_overflow 0
		.amdhsa_exception_fp_ieee_underflow 0
		.amdhsa_exception_fp_ieee_inexact 0
		.amdhsa_exception_int_div_zero 0
	.end_amdhsa_kernel
	.section	.text._ZN7rocprim17ROCPRIM_400000_NS6detail17trampoline_kernelINS0_14default_configENS1_25partition_config_selectorILNS1_17partition_subalgoE2ExNS0_10empty_typeEbEEZZNS1_14partition_implILS5_2ELb0ES3_jN6thrust23THRUST_200600_302600_NS6detail15normal_iteratorINSA_7pointerIxNSA_11hip_rocprim3tagENSA_11use_defaultESG_EEEEPS6_NSA_18transform_iteratorINSA_8identityIxEENSC_INSA_10device_ptrIxEEEESG_SG_EENS0_5tupleIJPxSJ_EEENSR_IJSJ_SJ_EEES6_PlJS6_EEE10hipError_tPvRmT3_T4_T5_T6_T7_T9_mT8_P12ihipStream_tbDpT10_ENKUlT_T0_E_clISt17integral_constantIbLb0EES1E_IbLb1EEEEDaS1A_S1B_EUlS1A_E_NS1_11comp_targetILNS1_3genE5ELNS1_11target_archE942ELNS1_3gpuE9ELNS1_3repE0EEENS1_30default_config_static_selectorELNS0_4arch9wavefront6targetE1EEEvT1_,"axG",@progbits,_ZN7rocprim17ROCPRIM_400000_NS6detail17trampoline_kernelINS0_14default_configENS1_25partition_config_selectorILNS1_17partition_subalgoE2ExNS0_10empty_typeEbEEZZNS1_14partition_implILS5_2ELb0ES3_jN6thrust23THRUST_200600_302600_NS6detail15normal_iteratorINSA_7pointerIxNSA_11hip_rocprim3tagENSA_11use_defaultESG_EEEEPS6_NSA_18transform_iteratorINSA_8identityIxEENSC_INSA_10device_ptrIxEEEESG_SG_EENS0_5tupleIJPxSJ_EEENSR_IJSJ_SJ_EEES6_PlJS6_EEE10hipError_tPvRmT3_T4_T5_T6_T7_T9_mT8_P12ihipStream_tbDpT10_ENKUlT_T0_E_clISt17integral_constantIbLb0EES1E_IbLb1EEEEDaS1A_S1B_EUlS1A_E_NS1_11comp_targetILNS1_3genE5ELNS1_11target_archE942ELNS1_3gpuE9ELNS1_3repE0EEENS1_30default_config_static_selectorELNS0_4arch9wavefront6targetE1EEEvT1_,comdat
.Lfunc_end506:
	.size	_ZN7rocprim17ROCPRIM_400000_NS6detail17trampoline_kernelINS0_14default_configENS1_25partition_config_selectorILNS1_17partition_subalgoE2ExNS0_10empty_typeEbEEZZNS1_14partition_implILS5_2ELb0ES3_jN6thrust23THRUST_200600_302600_NS6detail15normal_iteratorINSA_7pointerIxNSA_11hip_rocprim3tagENSA_11use_defaultESG_EEEEPS6_NSA_18transform_iteratorINSA_8identityIxEENSC_INSA_10device_ptrIxEEEESG_SG_EENS0_5tupleIJPxSJ_EEENSR_IJSJ_SJ_EEES6_PlJS6_EEE10hipError_tPvRmT3_T4_T5_T6_T7_T9_mT8_P12ihipStream_tbDpT10_ENKUlT_T0_E_clISt17integral_constantIbLb0EES1E_IbLb1EEEEDaS1A_S1B_EUlS1A_E_NS1_11comp_targetILNS1_3genE5ELNS1_11target_archE942ELNS1_3gpuE9ELNS1_3repE0EEENS1_30default_config_static_selectorELNS0_4arch9wavefront6targetE1EEEvT1_, .Lfunc_end506-_ZN7rocprim17ROCPRIM_400000_NS6detail17trampoline_kernelINS0_14default_configENS1_25partition_config_selectorILNS1_17partition_subalgoE2ExNS0_10empty_typeEbEEZZNS1_14partition_implILS5_2ELb0ES3_jN6thrust23THRUST_200600_302600_NS6detail15normal_iteratorINSA_7pointerIxNSA_11hip_rocprim3tagENSA_11use_defaultESG_EEEEPS6_NSA_18transform_iteratorINSA_8identityIxEENSC_INSA_10device_ptrIxEEEESG_SG_EENS0_5tupleIJPxSJ_EEENSR_IJSJ_SJ_EEES6_PlJS6_EEE10hipError_tPvRmT3_T4_T5_T6_T7_T9_mT8_P12ihipStream_tbDpT10_ENKUlT_T0_E_clISt17integral_constantIbLb0EES1E_IbLb1EEEEDaS1A_S1B_EUlS1A_E_NS1_11comp_targetILNS1_3genE5ELNS1_11target_archE942ELNS1_3gpuE9ELNS1_3repE0EEENS1_30default_config_static_selectorELNS0_4arch9wavefront6targetE1EEEvT1_
                                        ; -- End function
	.section	.AMDGPU.csdata,"",@progbits
; Kernel info:
; codeLenInByte = 0
; NumSgprs: 4
; NumVgprs: 0
; NumAgprs: 0
; TotalNumVgprs: 0
; ScratchSize: 0
; MemoryBound: 0
; FloatMode: 240
; IeeeMode: 1
; LDSByteSize: 0 bytes/workgroup (compile time only)
; SGPRBlocks: 0
; VGPRBlocks: 0
; NumSGPRsForWavesPerEU: 4
; NumVGPRsForWavesPerEU: 1
; AccumOffset: 4
; Occupancy: 8
; WaveLimiterHint : 0
; COMPUTE_PGM_RSRC2:SCRATCH_EN: 0
; COMPUTE_PGM_RSRC2:USER_SGPR: 6
; COMPUTE_PGM_RSRC2:TRAP_HANDLER: 0
; COMPUTE_PGM_RSRC2:TGID_X_EN: 1
; COMPUTE_PGM_RSRC2:TGID_Y_EN: 0
; COMPUTE_PGM_RSRC2:TGID_Z_EN: 0
; COMPUTE_PGM_RSRC2:TIDIG_COMP_CNT: 0
; COMPUTE_PGM_RSRC3_GFX90A:ACCUM_OFFSET: 0
; COMPUTE_PGM_RSRC3_GFX90A:TG_SPLIT: 0
	.section	.text._ZN7rocprim17ROCPRIM_400000_NS6detail17trampoline_kernelINS0_14default_configENS1_25partition_config_selectorILNS1_17partition_subalgoE2ExNS0_10empty_typeEbEEZZNS1_14partition_implILS5_2ELb0ES3_jN6thrust23THRUST_200600_302600_NS6detail15normal_iteratorINSA_7pointerIxNSA_11hip_rocprim3tagENSA_11use_defaultESG_EEEEPS6_NSA_18transform_iteratorINSA_8identityIxEENSC_INSA_10device_ptrIxEEEESG_SG_EENS0_5tupleIJPxSJ_EEENSR_IJSJ_SJ_EEES6_PlJS6_EEE10hipError_tPvRmT3_T4_T5_T6_T7_T9_mT8_P12ihipStream_tbDpT10_ENKUlT_T0_E_clISt17integral_constantIbLb0EES1E_IbLb1EEEEDaS1A_S1B_EUlS1A_E_NS1_11comp_targetILNS1_3genE4ELNS1_11target_archE910ELNS1_3gpuE8ELNS1_3repE0EEENS1_30default_config_static_selectorELNS0_4arch9wavefront6targetE1EEEvT1_,"axG",@progbits,_ZN7rocprim17ROCPRIM_400000_NS6detail17trampoline_kernelINS0_14default_configENS1_25partition_config_selectorILNS1_17partition_subalgoE2ExNS0_10empty_typeEbEEZZNS1_14partition_implILS5_2ELb0ES3_jN6thrust23THRUST_200600_302600_NS6detail15normal_iteratorINSA_7pointerIxNSA_11hip_rocprim3tagENSA_11use_defaultESG_EEEEPS6_NSA_18transform_iteratorINSA_8identityIxEENSC_INSA_10device_ptrIxEEEESG_SG_EENS0_5tupleIJPxSJ_EEENSR_IJSJ_SJ_EEES6_PlJS6_EEE10hipError_tPvRmT3_T4_T5_T6_T7_T9_mT8_P12ihipStream_tbDpT10_ENKUlT_T0_E_clISt17integral_constantIbLb0EES1E_IbLb1EEEEDaS1A_S1B_EUlS1A_E_NS1_11comp_targetILNS1_3genE4ELNS1_11target_archE910ELNS1_3gpuE8ELNS1_3repE0EEENS1_30default_config_static_selectorELNS0_4arch9wavefront6targetE1EEEvT1_,comdat
	.protected	_ZN7rocprim17ROCPRIM_400000_NS6detail17trampoline_kernelINS0_14default_configENS1_25partition_config_selectorILNS1_17partition_subalgoE2ExNS0_10empty_typeEbEEZZNS1_14partition_implILS5_2ELb0ES3_jN6thrust23THRUST_200600_302600_NS6detail15normal_iteratorINSA_7pointerIxNSA_11hip_rocprim3tagENSA_11use_defaultESG_EEEEPS6_NSA_18transform_iteratorINSA_8identityIxEENSC_INSA_10device_ptrIxEEEESG_SG_EENS0_5tupleIJPxSJ_EEENSR_IJSJ_SJ_EEES6_PlJS6_EEE10hipError_tPvRmT3_T4_T5_T6_T7_T9_mT8_P12ihipStream_tbDpT10_ENKUlT_T0_E_clISt17integral_constantIbLb0EES1E_IbLb1EEEEDaS1A_S1B_EUlS1A_E_NS1_11comp_targetILNS1_3genE4ELNS1_11target_archE910ELNS1_3gpuE8ELNS1_3repE0EEENS1_30default_config_static_selectorELNS0_4arch9wavefront6targetE1EEEvT1_ ; -- Begin function _ZN7rocprim17ROCPRIM_400000_NS6detail17trampoline_kernelINS0_14default_configENS1_25partition_config_selectorILNS1_17partition_subalgoE2ExNS0_10empty_typeEbEEZZNS1_14partition_implILS5_2ELb0ES3_jN6thrust23THRUST_200600_302600_NS6detail15normal_iteratorINSA_7pointerIxNSA_11hip_rocprim3tagENSA_11use_defaultESG_EEEEPS6_NSA_18transform_iteratorINSA_8identityIxEENSC_INSA_10device_ptrIxEEEESG_SG_EENS0_5tupleIJPxSJ_EEENSR_IJSJ_SJ_EEES6_PlJS6_EEE10hipError_tPvRmT3_T4_T5_T6_T7_T9_mT8_P12ihipStream_tbDpT10_ENKUlT_T0_E_clISt17integral_constantIbLb0EES1E_IbLb1EEEEDaS1A_S1B_EUlS1A_E_NS1_11comp_targetILNS1_3genE4ELNS1_11target_archE910ELNS1_3gpuE8ELNS1_3repE0EEENS1_30default_config_static_selectorELNS0_4arch9wavefront6targetE1EEEvT1_
	.globl	_ZN7rocprim17ROCPRIM_400000_NS6detail17trampoline_kernelINS0_14default_configENS1_25partition_config_selectorILNS1_17partition_subalgoE2ExNS0_10empty_typeEbEEZZNS1_14partition_implILS5_2ELb0ES3_jN6thrust23THRUST_200600_302600_NS6detail15normal_iteratorINSA_7pointerIxNSA_11hip_rocprim3tagENSA_11use_defaultESG_EEEEPS6_NSA_18transform_iteratorINSA_8identityIxEENSC_INSA_10device_ptrIxEEEESG_SG_EENS0_5tupleIJPxSJ_EEENSR_IJSJ_SJ_EEES6_PlJS6_EEE10hipError_tPvRmT3_T4_T5_T6_T7_T9_mT8_P12ihipStream_tbDpT10_ENKUlT_T0_E_clISt17integral_constantIbLb0EES1E_IbLb1EEEEDaS1A_S1B_EUlS1A_E_NS1_11comp_targetILNS1_3genE4ELNS1_11target_archE910ELNS1_3gpuE8ELNS1_3repE0EEENS1_30default_config_static_selectorELNS0_4arch9wavefront6targetE1EEEvT1_
	.p2align	8
	.type	_ZN7rocprim17ROCPRIM_400000_NS6detail17trampoline_kernelINS0_14default_configENS1_25partition_config_selectorILNS1_17partition_subalgoE2ExNS0_10empty_typeEbEEZZNS1_14partition_implILS5_2ELb0ES3_jN6thrust23THRUST_200600_302600_NS6detail15normal_iteratorINSA_7pointerIxNSA_11hip_rocprim3tagENSA_11use_defaultESG_EEEEPS6_NSA_18transform_iteratorINSA_8identityIxEENSC_INSA_10device_ptrIxEEEESG_SG_EENS0_5tupleIJPxSJ_EEENSR_IJSJ_SJ_EEES6_PlJS6_EEE10hipError_tPvRmT3_T4_T5_T6_T7_T9_mT8_P12ihipStream_tbDpT10_ENKUlT_T0_E_clISt17integral_constantIbLb0EES1E_IbLb1EEEEDaS1A_S1B_EUlS1A_E_NS1_11comp_targetILNS1_3genE4ELNS1_11target_archE910ELNS1_3gpuE8ELNS1_3repE0EEENS1_30default_config_static_selectorELNS0_4arch9wavefront6targetE1EEEvT1_,@function
_ZN7rocprim17ROCPRIM_400000_NS6detail17trampoline_kernelINS0_14default_configENS1_25partition_config_selectorILNS1_17partition_subalgoE2ExNS0_10empty_typeEbEEZZNS1_14partition_implILS5_2ELb0ES3_jN6thrust23THRUST_200600_302600_NS6detail15normal_iteratorINSA_7pointerIxNSA_11hip_rocprim3tagENSA_11use_defaultESG_EEEEPS6_NSA_18transform_iteratorINSA_8identityIxEENSC_INSA_10device_ptrIxEEEESG_SG_EENS0_5tupleIJPxSJ_EEENSR_IJSJ_SJ_EEES6_PlJS6_EEE10hipError_tPvRmT3_T4_T5_T6_T7_T9_mT8_P12ihipStream_tbDpT10_ENKUlT_T0_E_clISt17integral_constantIbLb0EES1E_IbLb1EEEEDaS1A_S1B_EUlS1A_E_NS1_11comp_targetILNS1_3genE4ELNS1_11target_archE910ELNS1_3gpuE8ELNS1_3repE0EEENS1_30default_config_static_selectorELNS0_4arch9wavefront6targetE1EEEvT1_: ; @_ZN7rocprim17ROCPRIM_400000_NS6detail17trampoline_kernelINS0_14default_configENS1_25partition_config_selectorILNS1_17partition_subalgoE2ExNS0_10empty_typeEbEEZZNS1_14partition_implILS5_2ELb0ES3_jN6thrust23THRUST_200600_302600_NS6detail15normal_iteratorINSA_7pointerIxNSA_11hip_rocprim3tagENSA_11use_defaultESG_EEEEPS6_NSA_18transform_iteratorINSA_8identityIxEENSC_INSA_10device_ptrIxEEEESG_SG_EENS0_5tupleIJPxSJ_EEENSR_IJSJ_SJ_EEES6_PlJS6_EEE10hipError_tPvRmT3_T4_T5_T6_T7_T9_mT8_P12ihipStream_tbDpT10_ENKUlT_T0_E_clISt17integral_constantIbLb0EES1E_IbLb1EEEEDaS1A_S1B_EUlS1A_E_NS1_11comp_targetILNS1_3genE4ELNS1_11target_archE910ELNS1_3gpuE8ELNS1_3repE0EEENS1_30default_config_static_selectorELNS0_4arch9wavefront6targetE1EEEvT1_
; %bb.0:
	s_load_dwordx2 s[6:7], s[4:5], 0x20
	s_load_dwordx2 s[24:25], s[4:5], 0x30
	;; [unrolled: 1-line block ×3, first 2 shown]
	s_load_dwordx4 s[20:23], s[4:5], 0x50
	s_load_dwordx2 s[34:35], s[4:5], 0x70
	v_cmp_eq_u32_e64 s[0:1], 0, v0
	s_and_saveexec_b64 s[2:3], s[0:1]
	s_cbranch_execz .LBB507_4
; %bb.1:
	s_mov_b64 s[10:11], exec
	v_mbcnt_lo_u32_b32 v1, s10, 0
	v_mbcnt_hi_u32_b32 v1, s11, v1
	v_cmp_eq_u32_e32 vcc, 0, v1
                                        ; implicit-def: $vgpr2
	s_and_saveexec_b64 s[8:9], vcc
	s_cbranch_execz .LBB507_3
; %bb.2:
	s_load_dwordx2 s[12:13], s[4:5], 0x80
	s_bcnt1_i32_b64 s10, s[10:11]
	v_mov_b32_e32 v2, 0
	v_mov_b32_e32 v3, s10
	s_waitcnt lgkmcnt(0)
	global_atomic_add v2, v2, v3, s[12:13] glc
.LBB507_3:
	s_or_b64 exec, exec, s[8:9]
	s_waitcnt vmcnt(0)
	v_readfirstlane_b32 s8, v2
	v_add_u32_e32 v1, s8, v1
	v_mov_b32_e32 v2, 0
	ds_write_b32 v2, v1
.LBB507_4:
	s_or_b64 exec, exec, s[2:3]
	v_mov_b32_e32 v1, 0
	s_load_dwordx4 s[16:19], s[4:5], 0x8
	s_load_dword s2, s[4:5], 0x78
	s_waitcnt lgkmcnt(0)
	s_barrier
	ds_read_b32 v2, v1
	s_waitcnt lgkmcnt(0)
	s_barrier
	global_load_dwordx2 v[10:11], v1, s[22:23]
	s_lshl_b64 s[4:5], s[18:19], 3
	s_add_u32 s10, s16, s4
	s_addc_u32 s11, s17, s5
	s_add_i32 s8, s2, -1
	s_mulk_i32 s2, 0x300
	s_add_i32 s3, s2, s18
	s_sub_i32 s33, s26, s3
	s_addk_i32 s33, 0x300
	s_add_u32 s2, s18, s2
	v_readfirstlane_b32 s42, v2
	s_addc_u32 s3, s19, 0
	s_cmp_eq_u32 s42, s8
	v_pk_mov_b32 v[2:3], s[26:27], s[26:27] op_sel:[0,1]
	s_cselect_b64 s[22:23], -1, 0
	s_cmp_lg_u32 s42, s8
	s_mul_i32 s28, s42, 0x300
	s_mov_b32 s29, 0
	v_cmp_lt_u64_e32 vcc, s[2:3], v[2:3]
	s_cselect_b64 s[2:3], -1, 0
	s_or_b64 s[30:31], vcc, s[2:3]
	s_lshl_b64 s[8:9], s[28:29], 3
	s_add_u32 s12, s10, s8
	s_addc_u32 s13, s11, s9
	s_mov_b64 s[2:3], -1
	s_and_b64 vcc, exec, s[30:31]
	v_lshlrev_b32_e32 v1, 3, v0
	v_lshrrev_b32_e32 v12, 2, v0
	s_cbranch_vccz .LBB507_6
; %bb.5:
	v_mov_b32_e32 v3, s13
	v_add_co_u32_e32 v2, vcc, s12, v1
	v_addc_co_u32_e32 v3, vcc, 0, v3, vcc
	v_add_co_u32_e32 v4, vcc, 0x1000, v2
	v_addc_co_u32_e32 v5, vcc, 0, v3, vcc
	flat_load_dwordx2 v[6:7], v[2:3]
	flat_load_dwordx2 v[8:9], v[2:3] offset:1536
	flat_load_dwordx2 v[14:15], v[2:3] offset:3072
	;; [unrolled: 1-line block ×3, first 2 shown]
	v_add_u32_e32 v3, 0xc0, v0
	v_add_u32_e32 v4, 0x180, v0
	;; [unrolled: 1-line block ×3, first 2 shown]
	v_and_b32_e32 v2, 56, v12
	v_lshrrev_b32_e32 v3, 2, v3
	v_lshrrev_b32_e32 v4, 2, v4
	;; [unrolled: 1-line block ×3, first 2 shown]
	v_add_u32_e32 v2, v2, v1
	v_and_b32_e32 v3, 0x78, v3
	v_and_b32_e32 v4, 0xf8, v4
	;; [unrolled: 1-line block ×3, first 2 shown]
	v_add_u32_e32 v3, v3, v1
	v_add_u32_e32 v4, v4, v1
	;; [unrolled: 1-line block ×3, first 2 shown]
	s_mov_b64 s[2:3], 0
	s_waitcnt vmcnt(0) lgkmcnt(0)
	ds_write_b64 v2, v[6:7]
	ds_write_b64 v3, v[8:9] offset:1536
	ds_write_b64 v4, v[14:15] offset:3072
	;; [unrolled: 1-line block ×3, first 2 shown]
	s_waitcnt lgkmcnt(0)
	s_barrier
.LBB507_6:
	s_andn2_b64 vcc, exec, s[2:3]
	v_cmp_gt_u32_e64 s[2:3], s33, v0
	s_cbranch_vccnz .LBB507_16
; %bb.7:
                                        ; implicit-def: $vgpr2_vgpr3_vgpr4_vgpr5_vgpr6_vgpr7_vgpr8_vgpr9
	s_and_saveexec_b64 s[10:11], s[2:3]
	s_cbranch_execz .LBB507_9
; %bb.8:
	v_mov_b32_e32 v3, s13
	v_add_co_u32_e32 v2, vcc, s12, v1
	v_addc_co_u32_e32 v3, vcc, 0, v3, vcc
	flat_load_dwordx2 v[2:3], v[2:3]
.LBB507_9:
	s_or_b64 exec, exec, s[10:11]
	v_add_u32_e32 v13, 0xc0, v0
	v_cmp_gt_u32_e32 vcc, s33, v13
	s_and_saveexec_b64 s[2:3], vcc
	s_cbranch_execz .LBB507_11
; %bb.10:
	v_mov_b32_e32 v5, s13
	v_add_co_u32_e32 v4, vcc, s12, v1
	v_addc_co_u32_e32 v5, vcc, 0, v5, vcc
	flat_load_dwordx2 v[4:5], v[4:5] offset:1536
.LBB507_11:
	s_or_b64 exec, exec, s[2:3]
	v_add_u32_e32 v14, 0x180, v0
	v_cmp_gt_u32_e32 vcc, s33, v14
	s_and_saveexec_b64 s[2:3], vcc
	s_cbranch_execz .LBB507_13
; %bb.12:
	v_mov_b32_e32 v7, s13
	v_add_co_u32_e32 v6, vcc, s12, v1
	v_addc_co_u32_e32 v7, vcc, 0, v7, vcc
	flat_load_dwordx2 v[6:7], v[6:7] offset:3072
.LBB507_13:
	s_or_b64 exec, exec, s[2:3]
	v_add_u32_e32 v15, 0x240, v0
	v_cmp_gt_u32_e32 vcc, s33, v15
	s_and_saveexec_b64 s[2:3], vcc
	s_cbranch_execz .LBB507_15
; %bb.14:
	v_lshlrev_b32_e32 v8, 3, v15
	v_mov_b32_e32 v9, s13
	v_add_co_u32_e32 v8, vcc, s12, v8
	v_addc_co_u32_e32 v9, vcc, 0, v9, vcc
	flat_load_dwordx2 v[8:9], v[8:9]
.LBB507_15:
	s_or_b64 exec, exec, s[2:3]
	v_and_b32_e32 v12, 56, v12
	v_add_u32_e32 v12, v12, v1
	s_waitcnt vmcnt(0) lgkmcnt(0)
	ds_write_b64 v12, v[2:3]
	v_lshrrev_b32_e32 v2, 2, v13
	v_and_b32_e32 v2, 0x78, v2
	v_add_u32_e32 v2, v2, v1
	ds_write_b64 v2, v[4:5] offset:1536
	v_lshrrev_b32_e32 v2, 2, v14
	v_and_b32_e32 v2, 0xf8, v2
	v_add_u32_e32 v2, v2, v1
	ds_write_b64 v2, v[6:7] offset:3072
	;; [unrolled: 4-line block ×3, first 2 shown]
	s_waitcnt lgkmcnt(0)
	s_barrier
.LBB507_16:
	v_lshlrev_b32_e32 v22, 2, v0
	v_lshrrev_b32_e32 v12, 3, v0
	v_add_lshl_u32 v2, v12, v22, 3
	ds_read2_b64 v[6:9], v2 offset1:1
	ds_read2_b64 v[2:5], v2 offset0:2 offset1:3
	s_add_u32 s2, s6, s4
	s_addc_u32 s3, s7, s5
	s_add_u32 s2, s2, s8
	s_addc_u32 s3, s3, s9
	s_mov_b64 s[4:5], -1
	s_and_b64 vcc, exec, s[30:31]
	v_lshrrev_b32_e32 v13, 5, v0
	s_waitcnt lgkmcnt(0)
	s_barrier
	s_cbranch_vccz .LBB507_18
; %bb.17:
	v_mov_b32_e32 v16, s3
	v_add_co_u32_e32 v20, vcc, s2, v1
	global_load_dwordx2 v[14:15], v1, s[2:3]
	v_addc_co_u32_e32 v21, vcc, 0, v16, vcc
	v_add_co_u32_e32 v20, vcc, 0x1000, v20
	global_load_dwordx2 v[16:17], v1, s[2:3] offset:1536
	global_load_dwordx2 v[18:19], v1, s[2:3] offset:3072
	v_addc_co_u32_e32 v21, vcc, 0, v21, vcc
	global_load_dwordx2 v[20:21], v[20:21], off offset:512
	v_add_u32_e32 v24, 0xc0, v0
	v_add_u32_e32 v25, 0x180, v0
	;; [unrolled: 1-line block ×3, first 2 shown]
	v_and_b32_e32 v23, 4, v13
	v_lshrrev_b32_e32 v24, 5, v24
	v_lshrrev_b32_e32 v25, 5, v25
	;; [unrolled: 1-line block ×3, first 2 shown]
	v_add_u32_e32 v23, v23, v0
	v_and_b32_e32 v24, 12, v24
	v_and_b32_e32 v25, 28, v25
	v_and_b32_e32 v26, 28, v26
	v_add_u32_e32 v24, v24, v0
	v_add_u32_e32 v25, v25, v0
	;; [unrolled: 1-line block ×3, first 2 shown]
	s_mov_b64 s[4:5], 0
	s_waitcnt vmcnt(3)
	v_cmp_ne_u64_e32 vcc, 0, v[14:15]
	v_cndmask_b32_e64 v14, 0, 1, vcc
	s_waitcnt vmcnt(2)
	v_cmp_ne_u64_e32 vcc, 0, v[16:17]
	v_cndmask_b32_e64 v15, 0, 1, vcc
	;; [unrolled: 3-line block ×3, first 2 shown]
	s_waitcnt vmcnt(0)
	v_cmp_ne_u64_e32 vcc, 0, v[20:21]
	ds_write_b8 v23, v14
	ds_write_b8 v24, v15 offset:192
	ds_write_b8 v25, v16 offset:384
	v_cndmask_b32_e64 v14, 0, 1, vcc
	ds_write_b8 v26, v14 offset:576
	s_waitcnt lgkmcnt(0)
	s_barrier
.LBB507_18:
	s_andn2_b64 vcc, exec, s[4:5]
	s_cbranch_vccnz .LBB507_28
; %bb.19:
	v_cmp_gt_u32_e32 vcc, s33, v0
	v_mov_b32_e32 v14, 0
	v_mov_b32_e32 v15, 0
	s_and_saveexec_b64 s[4:5], vcc
	s_cbranch_execz .LBB507_21
; %bb.20:
	global_load_dwordx2 v[16:17], v1, s[2:3]
	s_waitcnt vmcnt(0)
	v_cmp_ne_u64_e32 vcc, 0, v[16:17]
	v_cndmask_b32_e64 v15, 0, 1, vcc
.LBB507_21:
	s_or_b64 exec, exec, s[4:5]
	v_add_u32_e32 v16, 0xc0, v0
	v_cmp_gt_u32_e32 vcc, s33, v16
	s_and_saveexec_b64 s[4:5], vcc
	s_cbranch_execz .LBB507_23
; %bb.22:
	global_load_dwordx2 v[18:19], v1, s[2:3] offset:1536
	s_waitcnt vmcnt(0)
	v_cmp_ne_u64_e32 vcc, 0, v[18:19]
	v_cndmask_b32_e64 v14, 0, 1, vcc
.LBB507_23:
	s_or_b64 exec, exec, s[4:5]
	v_add_u32_e32 v18, 0x180, v0
	v_cmp_gt_u32_e32 vcc, s33, v18
	v_mov_b32_e32 v17, 0
	v_mov_b32_e32 v19, 0
	s_and_saveexec_b64 s[4:5], vcc
	s_cbranch_execz .LBB507_25
; %bb.24:
	global_load_dwordx2 v[20:21], v1, s[2:3] offset:3072
	s_waitcnt vmcnt(0)
	v_cmp_ne_u64_e32 vcc, 0, v[20:21]
	v_cndmask_b32_e64 v19, 0, 1, vcc
.LBB507_25:
	s_or_b64 exec, exec, s[4:5]
	v_add_u32_e32 v20, 0x240, v0
	v_cmp_gt_u32_e32 vcc, s33, v20
	s_and_saveexec_b64 s[4:5], vcc
	s_cbranch_execz .LBB507_27
; %bb.26:
	v_lshlrev_b32_e32 v17, 3, v20
	global_load_dwordx2 v[24:25], v17, s[2:3]
	s_waitcnt vmcnt(0)
	v_cmp_ne_u64_e32 vcc, 0, v[24:25]
	v_cndmask_b32_e64 v17, 0, 1, vcc
.LBB507_27:
	s_or_b64 exec, exec, s[4:5]
	v_and_b32_e32 v13, 4, v13
	v_add_u32_e32 v13, v13, v0
	ds_write_b8 v13, v15
	v_lshrrev_b32_e32 v13, 5, v16
	v_and_b32_e32 v13, 12, v13
	v_add_u32_e32 v13, v13, v0
	ds_write_b8 v13, v14 offset:192
	v_lshrrev_b32_e32 v13, 5, v18
	v_and_b32_e32 v13, 28, v13
	v_add_u32_e32 v13, v13, v0
	ds_write_b8 v13, v19 offset:384
	;; [unrolled: 4-line block ×3, first 2 shown]
	s_waitcnt lgkmcnt(0)
	s_barrier
.LBB507_28:
	v_and_b32_e32 v12, 28, v12
	v_add_u32_e32 v12, v12, v22
	ds_read_b32 v24, v12
	s_cmp_lg_u32 s42, 0
	v_lshrrev_b32_e32 v27, 6, v0
	s_waitcnt lgkmcnt(0)
	s_barrier
	v_lshrrev_b32_e32 v23, 24, v24
	v_bfe_u32 v25, v24, 16, 8
	v_add_u32_sdwa v12, v24, v24 dst_sel:DWORD dst_unused:UNUSED_PAD src0_sel:BYTE_1 src1_sel:BYTE_0
	v_add3_u32 v28, v12, v25, v23
	v_mbcnt_lo_u32_b32 v12, -1, 0
	v_mbcnt_hi_u32_b32 v26, -1, v12
	v_and_b32_e32 v12, 15, v26
	v_cmp_eq_u32_e64 s[14:15], 0, v12
	v_cmp_lt_u32_e64 s[12:13], 1, v12
	v_cmp_lt_u32_e64 s[10:11], 3, v12
	;; [unrolled: 1-line block ×3, first 2 shown]
	v_and_b32_e32 v12, 16, v26
	v_cmp_eq_u32_e64 s[4:5], 0, v12
	v_and_b32_e32 v12, 0xc0, v0
	v_min_u32_e32 v12, 0x80, v12
	v_or_b32_e32 v12, 63, v12
	v_cmp_lt_u32_e64 s[2:3], 31, v26
	v_cmp_eq_u32_e64 s[6:7], v12, v0
	s_cbranch_scc0 .LBB507_55
; %bb.29:
	v_mov_b32_dpp v12, v28 row_shr:1 row_mask:0xf bank_mask:0xf
	v_cndmask_b32_e64 v12, v12, 0, s[14:15]
	v_add_u32_e32 v12, v12, v28
	s_nop 1
	v_mov_b32_dpp v13, v12 row_shr:2 row_mask:0xf bank_mask:0xf
	v_cndmask_b32_e64 v13, 0, v13, s[12:13]
	v_add_u32_e32 v12, v12, v13
	s_nop 1
	;; [unrolled: 4-line block ×4, first 2 shown]
	v_mov_b32_dpp v13, v12 row_bcast:15 row_mask:0xf bank_mask:0xf
	v_cndmask_b32_e64 v13, v13, 0, s[4:5]
	v_add_u32_e32 v12, v12, v13
	s_nop 1
	v_mov_b32_dpp v13, v12 row_bcast:31 row_mask:0xf bank_mask:0xf
	v_cndmask_b32_e64 v13, 0, v13, s[2:3]
	v_add_u32_e32 v12, v12, v13
	s_and_saveexec_b64 s[16:17], s[6:7]
	s_cbranch_execz .LBB507_31
; %bb.30:
	v_lshlrev_b32_e32 v13, 2, v27
	ds_write_b32 v13, v12
.LBB507_31:
	s_or_b64 exec, exec, s[16:17]
	v_cmp_gt_u32_e32 vcc, 3, v0
	s_waitcnt lgkmcnt(0)
	s_barrier
	s_and_saveexec_b64 s[16:17], vcc
	s_cbranch_execz .LBB507_33
; %bb.32:
	ds_read_b32 v13, v22
	v_and_b32_e32 v14, 3, v26
	v_cmp_ne_u32_e32 vcc, 0, v14
	s_waitcnt lgkmcnt(0)
	v_mov_b32_dpp v15, v13 row_shr:1 row_mask:0xf bank_mask:0xf
	v_cndmask_b32_e32 v15, 0, v15, vcc
	v_add_u32_e32 v13, v15, v13
	v_cmp_lt_u32_e32 vcc, 1, v14
	s_nop 0
	v_mov_b32_dpp v15, v13 row_shr:2 row_mask:0xf bank_mask:0xf
	v_cndmask_b32_e32 v14, 0, v15, vcc
	v_add_u32_e32 v13, v13, v14
	ds_write_b32 v22, v13
.LBB507_33:
	s_or_b64 exec, exec, s[16:17]
	v_cmp_gt_u32_e32 vcc, 64, v0
	v_cmp_lt_u32_e64 s[16:17], 63, v0
	s_waitcnt lgkmcnt(0)
	s_barrier
	s_waitcnt lgkmcnt(0)
                                        ; implicit-def: $vgpr29
	s_and_saveexec_b64 s[36:37], s[16:17]
	s_cbranch_execz .LBB507_35
; %bb.34:
	v_lshl_add_u32 v13, v27, 2, -4
	ds_read_b32 v29, v13
	s_waitcnt lgkmcnt(0)
	v_add_u32_e32 v12, v29, v12
.LBB507_35:
	s_or_b64 exec, exec, s[36:37]
	v_add_u32_e32 v13, -1, v26
	v_and_b32_e32 v14, 64, v26
	v_cmp_lt_i32_e64 s[16:17], v13, v14
	v_cndmask_b32_e64 v13, v13, v26, s[16:17]
	v_lshlrev_b32_e32 v13, 2, v13
	ds_bpermute_b32 v30, v13, v12
	v_cmp_eq_u32_e64 s[16:17], 0, v26
	s_and_saveexec_b64 s[36:37], vcc
	s_cbranch_execz .LBB507_54
; %bb.36:
	v_mov_b32_e32 v19, 0
	ds_read_b32 v12, v19 offset:8
	s_and_saveexec_b64 s[38:39], s[16:17]
	s_cbranch_execz .LBB507_38
; %bb.37:
	s_add_i32 s40, s42, 64
	s_mov_b32 s41, 0
	s_lshl_b64 s[40:41], s[40:41], 3
	s_add_u32 s40, s34, s40
	v_mov_b32_e32 v13, 1
	s_addc_u32 s41, s35, s41
	s_waitcnt lgkmcnt(0)
	global_store_dwordx2 v19, v[12:13], s[40:41]
.LBB507_38:
	s_or_b64 exec, exec, s[38:39]
	v_xad_u32 v14, v26, -1, s42
	v_add_u32_e32 v18, 64, v14
	v_lshlrev_b64 v[16:17], 3, v[18:19]
	v_mov_b32_e32 v13, s35
	v_add_co_u32_e32 v20, vcc, s34, v16
	v_addc_co_u32_e32 v21, vcc, v13, v17, vcc
	global_load_dwordx2 v[16:17], v[20:21], off glc
	s_waitcnt vmcnt(0)
	v_cmp_eq_u16_sdwa s[40:41], v17, v19 src0_sel:BYTE_0 src1_sel:DWORD
	s_and_saveexec_b64 s[38:39], s[40:41]
	s_cbranch_execz .LBB507_42
; %bb.39:
	s_mov_b64 s[40:41], 0
	v_mov_b32_e32 v13, 0
.LBB507_40:                             ; =>This Inner Loop Header: Depth=1
	global_load_dwordx2 v[16:17], v[20:21], off glc
	s_waitcnt vmcnt(0)
	v_cmp_ne_u16_sdwa s[44:45], v17, v13 src0_sel:BYTE_0 src1_sel:DWORD
	s_or_b64 s[40:41], s[44:45], s[40:41]
	s_andn2_b64 exec, exec, s[40:41]
	s_cbranch_execnz .LBB507_40
; %bb.41:
	s_or_b64 exec, exec, s[40:41]
.LBB507_42:
	s_or_b64 exec, exec, s[38:39]
	v_and_b32_e32 v32, 63, v26
	v_mov_b32_e32 v31, 2
	v_cmp_ne_u32_e32 vcc, 63, v32
	v_cmp_eq_u16_sdwa s[38:39], v17, v31 src0_sel:BYTE_0 src1_sel:DWORD
	v_lshlrev_b64 v[18:19], v26, -1
	v_addc_co_u32_e32 v20, vcc, 0, v26, vcc
	v_and_b32_e32 v13, s39, v19
	v_lshlrev_b32_e32 v33, 2, v20
	v_or_b32_e32 v13, 0x80000000, v13
	ds_bpermute_b32 v20, v33, v16
	v_and_b32_e32 v15, s38, v18
	v_ffbl_b32_e32 v13, v13
	v_add_u32_e32 v13, 32, v13
	v_ffbl_b32_e32 v15, v15
	v_min_u32_e32 v13, v15, v13
	v_cmp_lt_u32_e32 vcc, v32, v13
	s_waitcnt lgkmcnt(0)
	v_cndmask_b32_e32 v15, 0, v20, vcc
	v_cmp_gt_u32_e32 vcc, 62, v32
	v_add_u32_e32 v15, v15, v16
	v_cndmask_b32_e64 v16, 0, 1, vcc
	v_lshlrev_b32_e32 v16, 1, v16
	v_add_lshl_u32 v34, v16, v26, 2
	ds_bpermute_b32 v16, v34, v15
	v_add_u32_e32 v35, 2, v32
	v_cmp_le_u32_e32 vcc, v35, v13
	v_add_u32_e32 v37, 4, v32
	v_add_u32_e32 v39, 8, v32
	s_waitcnt lgkmcnt(0)
	v_cndmask_b32_e32 v16, 0, v16, vcc
	v_cmp_gt_u32_e32 vcc, 60, v32
	v_add_u32_e32 v15, v15, v16
	v_cndmask_b32_e64 v16, 0, 1, vcc
	v_lshlrev_b32_e32 v16, 2, v16
	v_add_lshl_u32 v36, v16, v26, 2
	ds_bpermute_b32 v16, v36, v15
	v_cmp_le_u32_e32 vcc, v37, v13
	v_add_u32_e32 v41, 16, v32
	v_add_u32_e32 v43, 32, v32
	s_waitcnt lgkmcnt(0)
	v_cndmask_b32_e32 v16, 0, v16, vcc
	v_cmp_gt_u32_e32 vcc, 56, v32
	v_add_u32_e32 v15, v15, v16
	v_cndmask_b32_e64 v16, 0, 1, vcc
	v_lshlrev_b32_e32 v16, 3, v16
	v_add_lshl_u32 v38, v16, v26, 2
	ds_bpermute_b32 v16, v38, v15
	v_cmp_le_u32_e32 vcc, v39, v13
	s_waitcnt lgkmcnt(0)
	v_cndmask_b32_e32 v16, 0, v16, vcc
	v_cmp_gt_u32_e32 vcc, 48, v32
	v_add_u32_e32 v15, v15, v16
	v_cndmask_b32_e64 v16, 0, 1, vcc
	v_lshlrev_b32_e32 v16, 4, v16
	v_add_lshl_u32 v40, v16, v26, 2
	ds_bpermute_b32 v16, v40, v15
	v_cmp_le_u32_e32 vcc, v41, v13
	;; [unrolled: 9-line block ×3, first 2 shown]
	s_waitcnt lgkmcnt(0)
	v_cndmask_b32_e32 v13, 0, v16, vcc
	v_add_u32_e32 v16, v15, v13
	v_mov_b32_e32 v15, 0
	s_branch .LBB507_44
.LBB507_43:                             ;   in Loop: Header=BB507_44 Depth=1
	s_or_b64 exec, exec, s[38:39]
	v_cmp_eq_u16_sdwa s[38:39], v17, v31 src0_sel:BYTE_0 src1_sel:DWORD
	v_and_b32_e32 v20, s39, v19
	v_or_b32_e32 v20, 0x80000000, v20
	ds_bpermute_b32 v44, v33, v16
	v_and_b32_e32 v21, s38, v18
	v_ffbl_b32_e32 v20, v20
	v_add_u32_e32 v20, 32, v20
	v_ffbl_b32_e32 v21, v21
	v_min_u32_e32 v20, v21, v20
	v_cmp_lt_u32_e32 vcc, v32, v20
	s_waitcnt lgkmcnt(0)
	v_cndmask_b32_e32 v21, 0, v44, vcc
	v_add_u32_e32 v16, v21, v16
	ds_bpermute_b32 v21, v34, v16
	v_cmp_le_u32_e32 vcc, v35, v20
	v_subrev_u32_e32 v14, 64, v14
	s_waitcnt lgkmcnt(0)
	v_cndmask_b32_e32 v21, 0, v21, vcc
	v_add_u32_e32 v16, v16, v21
	ds_bpermute_b32 v21, v36, v16
	v_cmp_le_u32_e32 vcc, v37, v20
	s_waitcnt lgkmcnt(0)
	v_cndmask_b32_e32 v21, 0, v21, vcc
	v_add_u32_e32 v16, v16, v21
	ds_bpermute_b32 v21, v38, v16
	v_cmp_le_u32_e32 vcc, v39, v20
	;; [unrolled: 5-line block ×4, first 2 shown]
	s_waitcnt lgkmcnt(0)
	v_cndmask_b32_e32 v20, 0, v21, vcc
	v_add3_u32 v16, v20, v13, v16
.LBB507_44:                             ; =>This Loop Header: Depth=1
                                        ;     Child Loop BB507_47 Depth 2
	v_cmp_ne_u16_sdwa s[38:39], v17, v31 src0_sel:BYTE_0 src1_sel:DWORD
	v_cndmask_b32_e64 v13, 0, 1, s[38:39]
	;;#ASMSTART
	;;#ASMEND
	v_cmp_ne_u32_e32 vcc, 0, v13
	s_cmp_lg_u64 vcc, exec
	v_mov_b32_e32 v13, v16
	s_cbranch_scc1 .LBB507_49
; %bb.45:                               ;   in Loop: Header=BB507_44 Depth=1
	v_lshlrev_b64 v[16:17], 3, v[14:15]
	v_mov_b32_e32 v21, s35
	v_add_co_u32_e32 v20, vcc, s34, v16
	v_addc_co_u32_e32 v21, vcc, v21, v17, vcc
	global_load_dwordx2 v[16:17], v[20:21], off glc
	s_waitcnt vmcnt(0)
	v_cmp_eq_u16_sdwa s[40:41], v17, v15 src0_sel:BYTE_0 src1_sel:DWORD
	s_and_saveexec_b64 s[38:39], s[40:41]
	s_cbranch_execz .LBB507_43
; %bb.46:                               ;   in Loop: Header=BB507_44 Depth=1
	s_mov_b64 s[40:41], 0
.LBB507_47:                             ;   Parent Loop BB507_44 Depth=1
                                        ; =>  This Inner Loop Header: Depth=2
	global_load_dwordx2 v[16:17], v[20:21], off glc
	s_waitcnt vmcnt(0)
	v_cmp_ne_u16_sdwa s[44:45], v17, v15 src0_sel:BYTE_0 src1_sel:DWORD
	s_or_b64 s[40:41], s[44:45], s[40:41]
	s_andn2_b64 exec, exec, s[40:41]
	s_cbranch_execnz .LBB507_47
; %bb.48:                               ;   in Loop: Header=BB507_44 Depth=1
	s_or_b64 exec, exec, s[40:41]
	s_branch .LBB507_43
.LBB507_49:                             ;   in Loop: Header=BB507_44 Depth=1
                                        ; implicit-def: $vgpr16
                                        ; implicit-def: $vgpr17
	s_cbranch_execz .LBB507_44
; %bb.50:
	s_and_saveexec_b64 s[38:39], s[16:17]
	s_cbranch_execz .LBB507_52
; %bb.51:
	s_add_i32 s40, s42, 64
	s_mov_b32 s41, 0
	s_lshl_b64 s[40:41], s[40:41], 3
	s_add_u32 s40, s34, s40
	v_add_u32_e32 v14, v13, v12
	v_mov_b32_e32 v15, 2
	s_addc_u32 s41, s35, s41
	v_mov_b32_e32 v16, 0
	global_store_dwordx2 v16, v[14:15], s[40:41]
	ds_write_b64 v16, v[12:13] offset:6336
.LBB507_52:
	s_or_b64 exec, exec, s[38:39]
	s_and_b64 exec, exec, s[0:1]
	s_cbranch_execz .LBB507_54
; %bb.53:
	v_mov_b32_e32 v12, 0
	ds_write_b32 v12, v13 offset:8
.LBB507_54:
	s_or_b64 exec, exec, s[36:37]
	v_mov_b32_e32 v12, 0
	s_waitcnt lgkmcnt(0)
	s_barrier
	ds_read_b32 v13, v12 offset:8
	v_cndmask_b32_e64 v14, v30, v29, s[16:17]
	v_cndmask_b32_e64 v14, v14, 0, s[0:1]
	s_waitcnt lgkmcnt(0)
	s_barrier
	v_add_u32_e32 v16, v13, v14
	ds_read_b64 v[12:13], v12 offset:6336
	v_add_u32_sdwa v17, v16, v24 dst_sel:DWORD dst_unused:UNUSED_PAD src0_sel:DWORD src1_sel:BYTE_0
	v_add_u32_sdwa v15, v17, v24 dst_sel:DWORD dst_unused:UNUSED_PAD src0_sel:DWORD src1_sel:BYTE_1
	v_add_u32_e32 v14, v15, v25
	s_branch .LBB507_65
.LBB507_55:
                                        ; implicit-def: $vgpr13
                                        ; implicit-def: $vgpr14
                                        ; implicit-def: $vgpr15
                                        ; implicit-def: $vgpr17
                                        ; implicit-def: $vgpr16
	s_cbranch_execz .LBB507_65
; %bb.56:
	s_waitcnt lgkmcnt(0)
	v_mov_b32_dpp v12, v28 row_shr:1 row_mask:0xf bank_mask:0xf
	v_cndmask_b32_e64 v12, v12, 0, s[14:15]
	v_add_u32_e32 v12, v12, v28
	s_nop 1
	v_mov_b32_dpp v13, v12 row_shr:2 row_mask:0xf bank_mask:0xf
	v_cndmask_b32_e64 v13, 0, v13, s[12:13]
	v_add_u32_e32 v12, v12, v13
	s_nop 1
	v_mov_b32_dpp v13, v12 row_shr:4 row_mask:0xf bank_mask:0xf
	v_cndmask_b32_e64 v13, 0, v13, s[10:11]
	v_add_u32_e32 v12, v12, v13
	s_nop 1
	v_mov_b32_dpp v13, v12 row_shr:8 row_mask:0xf bank_mask:0xf
	v_cndmask_b32_e64 v13, 0, v13, s[8:9]
	v_add_u32_e32 v12, v12, v13
	s_nop 1
	v_mov_b32_dpp v13, v12 row_bcast:15 row_mask:0xf bank_mask:0xf
	v_cndmask_b32_e64 v13, v13, 0, s[4:5]
	v_add_u32_e32 v12, v12, v13
	s_nop 1
	v_mov_b32_dpp v13, v12 row_bcast:31 row_mask:0xf bank_mask:0xf
	v_cndmask_b32_e64 v13, 0, v13, s[2:3]
	v_add_u32_e32 v12, v12, v13
	s_and_saveexec_b64 s[2:3], s[6:7]
	s_cbranch_execz .LBB507_58
; %bb.57:
	v_lshlrev_b32_e32 v13, 2, v27
	ds_write_b32 v13, v12
.LBB507_58:
	s_or_b64 exec, exec, s[2:3]
	v_cmp_gt_u32_e32 vcc, 3, v0
	s_waitcnt lgkmcnt(0)
	s_barrier
	s_and_saveexec_b64 s[2:3], vcc
	s_cbranch_execz .LBB507_60
; %bb.59:
	ds_read_b32 v13, v22
	v_and_b32_e32 v14, 3, v26
	v_cmp_ne_u32_e32 vcc, 0, v14
	s_waitcnt lgkmcnt(0)
	v_mov_b32_dpp v15, v13 row_shr:1 row_mask:0xf bank_mask:0xf
	v_cndmask_b32_e32 v15, 0, v15, vcc
	v_add_u32_e32 v13, v15, v13
	v_cmp_lt_u32_e32 vcc, 1, v14
	s_nop 0
	v_mov_b32_dpp v15, v13 row_shr:2 row_mask:0xf bank_mask:0xf
	v_cndmask_b32_e32 v14, 0, v15, vcc
	v_add_u32_e32 v13, v13, v14
	ds_write_b32 v22, v13
.LBB507_60:
	s_or_b64 exec, exec, s[2:3]
	v_cmp_lt_u32_e32 vcc, 63, v0
	v_mov_b32_e32 v13, 0
	v_mov_b32_e32 v14, 0
	s_waitcnt lgkmcnt(0)
	s_barrier
	s_and_saveexec_b64 s[2:3], vcc
	s_cbranch_execz .LBB507_62
; %bb.61:
	v_lshl_add_u32 v14, v27, 2, -4
	ds_read_b32 v14, v14
.LBB507_62:
	s_or_b64 exec, exec, s[2:3]
	v_add_u32_e32 v15, -1, v26
	v_and_b32_e32 v16, 64, v26
	v_cmp_lt_i32_e32 vcc, v15, v16
	v_cndmask_b32_e32 v15, v15, v26, vcc
	s_waitcnt lgkmcnt(0)
	v_add_u32_e32 v12, v14, v12
	v_lshlrev_b32_e32 v15, 2, v15
	ds_bpermute_b32 v15, v15, v12
	ds_read_b32 v12, v13 offset:8
	s_and_saveexec_b64 s[2:3], s[0:1]
	s_cbranch_execz .LBB507_64
; %bb.63:
	v_mov_b32_e32 v16, 0
	v_mov_b32_e32 v13, 2
	s_waitcnt lgkmcnt(0)
	global_store_dwordx2 v16, v[12:13], s[34:35] offset:512
.LBB507_64:
	s_or_b64 exec, exec, s[2:3]
	v_cmp_eq_u32_e32 vcc, 0, v26
	s_waitcnt lgkmcnt(1)
	v_cndmask_b32_e32 v14, v15, v14, vcc
	v_cndmask_b32_e64 v16, v14, 0, s[0:1]
	v_add_u32_sdwa v17, v16, v24 dst_sel:DWORD dst_unused:UNUSED_PAD src0_sel:DWORD src1_sel:BYTE_0
	v_add_u32_sdwa v15, v17, v24 dst_sel:DWORD dst_unused:UNUSED_PAD src0_sel:DWORD src1_sel:BYTE_1
	v_mov_b32_e32 v13, 0
	v_add_u32_e32 v14, v15, v25
	s_waitcnt lgkmcnt(0)
	s_barrier
.LBB507_65:
	s_waitcnt lgkmcnt(0)
	v_add_u32_e32 v19, v12, v22
	v_sub_u32_e32 v16, v16, v13
	v_and_b32_e32 v21, 1, v24
	v_sub_u32_e32 v20, v19, v16
	v_cmp_eq_u32_e32 vcc, 1, v21
	v_cndmask_b32_e32 v16, v20, v16, vcc
	v_lshlrev_b32_e32 v16, 3, v16
	v_lshrrev_b32_e32 v18, 8, v24
	ds_write_b64 v16, v[6:7]
	v_sub_u32_e32 v6, v17, v13
	v_sub_u32_e32 v7, v19, v6
	v_and_b32_e32 v16, 1, v18
	v_add_u32_e32 v7, 1, v7
	v_cmp_eq_u32_e32 vcc, 1, v16
	v_cndmask_b32_e32 v6, v7, v6, vcc
	v_lshlrev_b32_e32 v6, 3, v6
	ds_write_b64 v6, v[8:9]
	v_sub_u32_e32 v6, v15, v13
	v_mov_b32_e32 v8, 1
	v_sub_u32_e32 v7, v19, v6
	v_and_b32_sdwa v8, v8, v24 dst_sel:DWORD dst_unused:UNUSED_PAD src0_sel:DWORD src1_sel:WORD_1
	v_add_u32_e32 v7, 2, v7
	v_cmp_eq_u32_e32 vcc, 1, v8
	v_cndmask_b32_e32 v6, v7, v6, vcc
	v_lshlrev_b32_e32 v6, 3, v6
	ds_write_b64 v6, v[2:3]
	v_sub_u32_e32 v2, v14, v13
	v_sub_u32_e32 v3, v19, v2
	v_and_b32_e32 v6, 1, v23
	v_add_u32_e32 v3, 3, v3
	v_cmp_eq_u32_e32 vcc, 1, v6
	v_cndmask_b32_e32 v2, v3, v2, vcc
	s_add_u32 s2, s18, s28
	v_lshlrev_b32_e32 v2, 3, v2
	s_addc_u32 s3, s19, 0
	ds_write_b64 v2, v[4:5]
	s_waitcnt lgkmcnt(0)
	s_barrier
	ds_read2st64_b64 v[6:9], v1 offset1:3
	ds_read2st64_b64 v[2:5], v1 offset0:6 offset1:9
	s_waitcnt vmcnt(0)
	v_add_co_u32_e32 v1, vcc, v10, v13
	s_sub_u32 s2, s26, s2
	v_addc_co_u32_e32 v13, vcc, 0, v11, vcc
	s_subb_u32 s3, s27, s3
	v_mov_b32_e32 v10, s3
	v_add_co_u32_e32 v11, vcc, s2, v12
	v_addc_co_u32_e32 v10, vcc, 0, v10, vcc
	v_add_co_u32_e64 v15, s[2:3], v11, v1
	v_add_u32_e32 v18, 0xc0, v0
	v_add_u32_e32 v17, 0x180, v0
	;; [unrolled: 1-line block ×3, first 2 shown]
	s_andn2_b64 vcc, exec, s[30:31]
	v_addc_co_u32_e64 v16, s[2:3], v10, v13, s[2:3]
	s_cbranch_vccnz .LBB507_86
; %bb.66:
	v_cmp_ge_u32_e32 vcc, v0, v12
                                        ; implicit-def: $vgpr10_vgpr11
	s_and_saveexec_b64 s[2:3], vcc
	s_xor_b64 s[2:3], exec, s[2:3]
; %bb.67:
	v_not_b32_e32 v10, v0
	v_ashrrev_i32_e32 v11, 31, v10
	v_add_co_u32_e32 v10, vcc, v15, v10
	v_addc_co_u32_e32 v11, vcc, v16, v11, vcc
; %bb.68:
	s_andn2_saveexec_b64 s[2:3], s[2:3]
; %bb.69:
	v_add_co_u32_e32 v10, vcc, v1, v0
	v_addc_co_u32_e32 v11, vcc, 0, v13, vcc
; %bb.70:
	s_or_b64 exec, exec, s[2:3]
	v_lshlrev_b64 v[10:11], 3, v[10:11]
	v_mov_b32_e32 v19, s25
	v_add_co_u32_e32 v10, vcc, s24, v10
	v_addc_co_u32_e32 v11, vcc, v19, v11, vcc
	v_cmp_ge_u32_e32 vcc, v18, v12
	s_waitcnt lgkmcnt(1)
	global_store_dwordx2 v[10:11], v[6:7], off
                                        ; implicit-def: $vgpr10_vgpr11
	s_and_saveexec_b64 s[2:3], vcc
	s_xor_b64 s[2:3], exec, s[2:3]
; %bb.71:
	v_sub_u32_e32 v10, 0xffffff3f, v0
	v_ashrrev_i32_e32 v11, 31, v10
	v_add_co_u32_e32 v10, vcc, v15, v10
	v_addc_co_u32_e32 v11, vcc, v16, v11, vcc
; %bb.72:
	s_andn2_saveexec_b64 s[2:3], s[2:3]
; %bb.73:
	v_add_co_u32_e32 v10, vcc, v1, v18
	v_addc_co_u32_e32 v11, vcc, 0, v13, vcc
; %bb.74:
	s_or_b64 exec, exec, s[2:3]
	v_lshlrev_b64 v[10:11], 3, v[10:11]
	v_mov_b32_e32 v19, s25
	v_add_co_u32_e32 v10, vcc, s24, v10
	v_addc_co_u32_e32 v11, vcc, v19, v11, vcc
	v_cmp_ge_u32_e32 vcc, v17, v12
	global_store_dwordx2 v[10:11], v[8:9], off
                                        ; implicit-def: $vgpr10_vgpr11
	s_and_saveexec_b64 s[2:3], vcc
	s_xor_b64 s[2:3], exec, s[2:3]
; %bb.75:
	v_sub_u32_e32 v10, 0xfffffe7f, v0
	v_ashrrev_i32_e32 v11, 31, v10
	v_add_co_u32_e32 v10, vcc, v15, v10
	v_addc_co_u32_e32 v11, vcc, v16, v11, vcc
; %bb.76:
	s_andn2_saveexec_b64 s[2:3], s[2:3]
; %bb.77:
	v_add_co_u32_e32 v10, vcc, v1, v17
	v_addc_co_u32_e32 v11, vcc, 0, v13, vcc
; %bb.78:
	s_or_b64 exec, exec, s[2:3]
	v_lshlrev_b64 v[10:11], 3, v[10:11]
	v_mov_b32_e32 v19, s25
	v_add_co_u32_e32 v10, vcc, s24, v10
	v_addc_co_u32_e32 v11, vcc, v19, v11, vcc
	v_cmp_ge_u32_e32 vcc, v14, v12
	s_waitcnt lgkmcnt(0)
	global_store_dwordx2 v[10:11], v[2:3], off
                                        ; implicit-def: $vgpr10_vgpr11
	s_and_saveexec_b64 s[2:3], vcc
	s_xor_b64 s[2:3], exec, s[2:3]
; %bb.79:
	v_sub_u32_e32 v10, 0xfffffdbf, v0
	v_ashrrev_i32_e32 v11, 31, v10
	v_add_co_u32_e32 v10, vcc, v15, v10
	v_addc_co_u32_e32 v11, vcc, v16, v11, vcc
; %bb.80:
	s_andn2_saveexec_b64 s[2:3], s[2:3]
; %bb.81:
	v_add_co_u32_e32 v10, vcc, v1, v14
	v_addc_co_u32_e32 v11, vcc, 0, v13, vcc
; %bb.82:
	s_or_b64 exec, exec, s[2:3]
	s_mov_b64 s[2:3], -1
.LBB507_83:
	s_and_saveexec_b64 s[4:5], s[2:3]
	s_cbranch_execz .LBB507_96
.LBB507_84:
	s_waitcnt lgkmcnt(0)
	v_lshlrev_b64 v[2:3], 3, v[10:11]
	v_mov_b32_e32 v0, s25
	v_add_co_u32_e32 v2, vcc, s24, v2
	v_addc_co_u32_e32 v3, vcc, v0, v3, vcc
	global_store_dwordx2 v[2:3], v[4:5], off
	s_or_b64 exec, exec, s[4:5]
	s_and_b64 s[0:1], s[0:1], s[22:23]
	s_and_saveexec_b64 s[2:3], s[0:1]
	s_cbranch_execnz .LBB507_97
.LBB507_85:
	s_endpgm
.LBB507_86:
	s_mov_b64 s[2:3], 0
                                        ; implicit-def: $vgpr10_vgpr11
	s_cbranch_execz .LBB507_83
; %bb.87:
	v_cmp_gt_u32_e32 vcc, s33, v0
	s_and_saveexec_b64 s[4:5], vcc
	s_cbranch_execz .LBB507_98
; %bb.88:
	v_cmp_ge_u32_e32 vcc, v0, v12
                                        ; implicit-def: $vgpr10_vgpr11
	s_and_saveexec_b64 s[6:7], vcc
	s_xor_b64 s[6:7], exec, s[6:7]
; %bb.89:
	v_not_b32_e32 v10, v0
	v_ashrrev_i32_e32 v11, 31, v10
	v_add_co_u32_e32 v10, vcc, v15, v10
	v_addc_co_u32_e32 v11, vcc, v16, v11, vcc
; %bb.90:
	s_andn2_saveexec_b64 s[6:7], s[6:7]
; %bb.91:
	v_add_co_u32_e32 v10, vcc, v1, v0
	v_addc_co_u32_e32 v11, vcc, 0, v13, vcc
; %bb.92:
	s_or_b64 exec, exec, s[6:7]
	v_lshlrev_b64 v[10:11], 3, v[10:11]
	v_mov_b32_e32 v19, s25
	v_add_co_u32_e32 v10, vcc, s24, v10
	v_addc_co_u32_e32 v11, vcc, v19, v11, vcc
	s_waitcnt lgkmcnt(1)
	global_store_dwordx2 v[10:11], v[6:7], off
	s_or_b64 exec, exec, s[4:5]
	v_cmp_gt_u32_e32 vcc, s33, v18
	s_and_saveexec_b64 s[4:5], vcc
	s_cbranch_execnz .LBB507_99
.LBB507_93:
	s_or_b64 exec, exec, s[4:5]
	v_cmp_gt_u32_e32 vcc, s33, v17
	s_and_saveexec_b64 s[4:5], vcc
	s_cbranch_execnz .LBB507_104
.LBB507_94:
	s_or_b64 exec, exec, s[4:5]
	v_cmp_gt_u32_e32 vcc, s33, v14
                                        ; implicit-def: $vgpr10_vgpr11
	s_and_saveexec_b64 s[4:5], vcc
	s_cbranch_execnz .LBB507_109
.LBB507_95:
	s_or_b64 exec, exec, s[4:5]
	s_and_saveexec_b64 s[4:5], s[2:3]
	s_cbranch_execnz .LBB507_84
.LBB507_96:
	s_or_b64 exec, exec, s[4:5]
	s_and_b64 s[0:1], s[0:1], s[22:23]
	s_and_saveexec_b64 s[2:3], s[0:1]
	s_cbranch_execz .LBB507_85
.LBB507_97:
	v_add_co_u32_e32 v0, vcc, v1, v12
	s_waitcnt lgkmcnt(0)
	v_mov_b32_e32 v2, 0
	v_addc_co_u32_e32 v1, vcc, 0, v13, vcc
	global_store_dwordx2 v2, v[0:1], s[20:21]
	s_endpgm
.LBB507_98:
	s_or_b64 exec, exec, s[4:5]
	v_cmp_gt_u32_e32 vcc, s33, v18
	s_and_saveexec_b64 s[4:5], vcc
	s_cbranch_execz .LBB507_93
.LBB507_99:
	v_cmp_ge_u32_e32 vcc, v18, v12
                                        ; implicit-def: $vgpr6_vgpr7
	s_and_saveexec_b64 s[6:7], vcc
	s_xor_b64 s[6:7], exec, s[6:7]
	s_cbranch_execz .LBB507_101
; %bb.100:
	s_waitcnt lgkmcnt(1)
	v_sub_u32_e32 v6, 0xffffff3f, v0
	v_ashrrev_i32_e32 v7, 31, v6
	v_add_co_u32_e32 v6, vcc, v15, v6
	v_addc_co_u32_e32 v7, vcc, v16, v7, vcc
                                        ; implicit-def: $vgpr18
.LBB507_101:
	s_andn2_saveexec_b64 s[6:7], s[6:7]
	s_cbranch_execz .LBB507_103
; %bb.102:
	s_waitcnt lgkmcnt(1)
	v_add_co_u32_e32 v6, vcc, v1, v18
	v_addc_co_u32_e32 v7, vcc, 0, v13, vcc
.LBB507_103:
	s_or_b64 exec, exec, s[6:7]
	s_waitcnt lgkmcnt(1)
	v_lshlrev_b64 v[6:7], 3, v[6:7]
	v_mov_b32_e32 v10, s25
	v_add_co_u32_e32 v6, vcc, s24, v6
	v_addc_co_u32_e32 v7, vcc, v10, v7, vcc
	global_store_dwordx2 v[6:7], v[8:9], off
	s_or_b64 exec, exec, s[4:5]
	v_cmp_gt_u32_e32 vcc, s33, v17
	s_and_saveexec_b64 s[4:5], vcc
	s_cbranch_execz .LBB507_94
.LBB507_104:
	v_cmp_ge_u32_e32 vcc, v17, v12
                                        ; implicit-def: $vgpr6_vgpr7
	s_and_saveexec_b64 s[6:7], vcc
	s_xor_b64 s[6:7], exec, s[6:7]
	s_cbranch_execz .LBB507_106
; %bb.105:
	s_waitcnt lgkmcnt(1)
	v_sub_u32_e32 v6, 0xfffffe7f, v0
	v_ashrrev_i32_e32 v7, 31, v6
	v_add_co_u32_e32 v6, vcc, v15, v6
	v_addc_co_u32_e32 v7, vcc, v16, v7, vcc
                                        ; implicit-def: $vgpr17
.LBB507_106:
	s_andn2_saveexec_b64 s[6:7], s[6:7]
	s_cbranch_execz .LBB507_108
; %bb.107:
	s_waitcnt lgkmcnt(1)
	v_add_co_u32_e32 v6, vcc, v1, v17
	v_addc_co_u32_e32 v7, vcc, 0, v13, vcc
.LBB507_108:
	s_or_b64 exec, exec, s[6:7]
	s_waitcnt lgkmcnt(1)
	v_lshlrev_b64 v[6:7], 3, v[6:7]
	v_mov_b32_e32 v8, s25
	v_add_co_u32_e32 v6, vcc, s24, v6
	v_addc_co_u32_e32 v7, vcc, v8, v7, vcc
	s_waitcnt lgkmcnt(0)
	global_store_dwordx2 v[6:7], v[2:3], off
	s_or_b64 exec, exec, s[4:5]
	v_cmp_gt_u32_e32 vcc, s33, v14
                                        ; implicit-def: $vgpr10_vgpr11
	s_and_saveexec_b64 s[4:5], vcc
	s_cbranch_execz .LBB507_95
.LBB507_109:
	v_cmp_ge_u32_e32 vcc, v14, v12
                                        ; implicit-def: $vgpr10_vgpr11
	s_and_saveexec_b64 s[6:7], vcc
	s_xor_b64 s[6:7], exec, s[6:7]
	s_cbranch_execz .LBB507_111
; %bb.110:
	v_sub_u32_e32 v0, 0xfffffdbf, v0
	s_waitcnt lgkmcnt(0)
	v_ashrrev_i32_e32 v2, 31, v0
	v_add_co_u32_e32 v10, vcc, v15, v0
	v_addc_co_u32_e32 v11, vcc, v16, v2, vcc
                                        ; implicit-def: $vgpr14
.LBB507_111:
	s_andn2_saveexec_b64 s[6:7], s[6:7]
; %bb.112:
	v_add_co_u32_e32 v10, vcc, v1, v14
	v_addc_co_u32_e32 v11, vcc, 0, v13, vcc
; %bb.113:
	s_or_b64 exec, exec, s[6:7]
	s_or_b64 s[2:3], s[2:3], exec
	s_or_b64 exec, exec, s[4:5]
	s_and_saveexec_b64 s[4:5], s[2:3]
	s_cbranch_execnz .LBB507_84
	s_branch .LBB507_96
	.section	.rodata,"a",@progbits
	.p2align	6, 0x0
	.amdhsa_kernel _ZN7rocprim17ROCPRIM_400000_NS6detail17trampoline_kernelINS0_14default_configENS1_25partition_config_selectorILNS1_17partition_subalgoE2ExNS0_10empty_typeEbEEZZNS1_14partition_implILS5_2ELb0ES3_jN6thrust23THRUST_200600_302600_NS6detail15normal_iteratorINSA_7pointerIxNSA_11hip_rocprim3tagENSA_11use_defaultESG_EEEEPS6_NSA_18transform_iteratorINSA_8identityIxEENSC_INSA_10device_ptrIxEEEESG_SG_EENS0_5tupleIJPxSJ_EEENSR_IJSJ_SJ_EEES6_PlJS6_EEE10hipError_tPvRmT3_T4_T5_T6_T7_T9_mT8_P12ihipStream_tbDpT10_ENKUlT_T0_E_clISt17integral_constantIbLb0EES1E_IbLb1EEEEDaS1A_S1B_EUlS1A_E_NS1_11comp_targetILNS1_3genE4ELNS1_11target_archE910ELNS1_3gpuE8ELNS1_3repE0EEENS1_30default_config_static_selectorELNS0_4arch9wavefront6targetE1EEEvT1_
		.amdhsa_group_segment_fixed_size 6344
		.amdhsa_private_segment_fixed_size 0
		.amdhsa_kernarg_size 144
		.amdhsa_user_sgpr_count 6
		.amdhsa_user_sgpr_private_segment_buffer 1
		.amdhsa_user_sgpr_dispatch_ptr 0
		.amdhsa_user_sgpr_queue_ptr 0
		.amdhsa_user_sgpr_kernarg_segment_ptr 1
		.amdhsa_user_sgpr_dispatch_id 0
		.amdhsa_user_sgpr_flat_scratch_init 0
		.amdhsa_user_sgpr_kernarg_preload_length 0
		.amdhsa_user_sgpr_kernarg_preload_offset 0
		.amdhsa_user_sgpr_private_segment_size 0
		.amdhsa_uses_dynamic_stack 0
		.amdhsa_system_sgpr_private_segment_wavefront_offset 0
		.amdhsa_system_sgpr_workgroup_id_x 1
		.amdhsa_system_sgpr_workgroup_id_y 0
		.amdhsa_system_sgpr_workgroup_id_z 0
		.amdhsa_system_sgpr_workgroup_info 0
		.amdhsa_system_vgpr_workitem_id 0
		.amdhsa_next_free_vgpr 45
		.amdhsa_next_free_sgpr 46
		.amdhsa_accum_offset 48
		.amdhsa_reserve_vcc 1
		.amdhsa_reserve_flat_scratch 0
		.amdhsa_float_round_mode_32 0
		.amdhsa_float_round_mode_16_64 0
		.amdhsa_float_denorm_mode_32 3
		.amdhsa_float_denorm_mode_16_64 3
		.amdhsa_dx10_clamp 1
		.amdhsa_ieee_mode 1
		.amdhsa_fp16_overflow 0
		.amdhsa_tg_split 0
		.amdhsa_exception_fp_ieee_invalid_op 0
		.amdhsa_exception_fp_denorm_src 0
		.amdhsa_exception_fp_ieee_div_zero 0
		.amdhsa_exception_fp_ieee_overflow 0
		.amdhsa_exception_fp_ieee_underflow 0
		.amdhsa_exception_fp_ieee_inexact 0
		.amdhsa_exception_int_div_zero 0
	.end_amdhsa_kernel
	.section	.text._ZN7rocprim17ROCPRIM_400000_NS6detail17trampoline_kernelINS0_14default_configENS1_25partition_config_selectorILNS1_17partition_subalgoE2ExNS0_10empty_typeEbEEZZNS1_14partition_implILS5_2ELb0ES3_jN6thrust23THRUST_200600_302600_NS6detail15normal_iteratorINSA_7pointerIxNSA_11hip_rocprim3tagENSA_11use_defaultESG_EEEEPS6_NSA_18transform_iteratorINSA_8identityIxEENSC_INSA_10device_ptrIxEEEESG_SG_EENS0_5tupleIJPxSJ_EEENSR_IJSJ_SJ_EEES6_PlJS6_EEE10hipError_tPvRmT3_T4_T5_T6_T7_T9_mT8_P12ihipStream_tbDpT10_ENKUlT_T0_E_clISt17integral_constantIbLb0EES1E_IbLb1EEEEDaS1A_S1B_EUlS1A_E_NS1_11comp_targetILNS1_3genE4ELNS1_11target_archE910ELNS1_3gpuE8ELNS1_3repE0EEENS1_30default_config_static_selectorELNS0_4arch9wavefront6targetE1EEEvT1_,"axG",@progbits,_ZN7rocprim17ROCPRIM_400000_NS6detail17trampoline_kernelINS0_14default_configENS1_25partition_config_selectorILNS1_17partition_subalgoE2ExNS0_10empty_typeEbEEZZNS1_14partition_implILS5_2ELb0ES3_jN6thrust23THRUST_200600_302600_NS6detail15normal_iteratorINSA_7pointerIxNSA_11hip_rocprim3tagENSA_11use_defaultESG_EEEEPS6_NSA_18transform_iteratorINSA_8identityIxEENSC_INSA_10device_ptrIxEEEESG_SG_EENS0_5tupleIJPxSJ_EEENSR_IJSJ_SJ_EEES6_PlJS6_EEE10hipError_tPvRmT3_T4_T5_T6_T7_T9_mT8_P12ihipStream_tbDpT10_ENKUlT_T0_E_clISt17integral_constantIbLb0EES1E_IbLb1EEEEDaS1A_S1B_EUlS1A_E_NS1_11comp_targetILNS1_3genE4ELNS1_11target_archE910ELNS1_3gpuE8ELNS1_3repE0EEENS1_30default_config_static_selectorELNS0_4arch9wavefront6targetE1EEEvT1_,comdat
.Lfunc_end507:
	.size	_ZN7rocprim17ROCPRIM_400000_NS6detail17trampoline_kernelINS0_14default_configENS1_25partition_config_selectorILNS1_17partition_subalgoE2ExNS0_10empty_typeEbEEZZNS1_14partition_implILS5_2ELb0ES3_jN6thrust23THRUST_200600_302600_NS6detail15normal_iteratorINSA_7pointerIxNSA_11hip_rocprim3tagENSA_11use_defaultESG_EEEEPS6_NSA_18transform_iteratorINSA_8identityIxEENSC_INSA_10device_ptrIxEEEESG_SG_EENS0_5tupleIJPxSJ_EEENSR_IJSJ_SJ_EEES6_PlJS6_EEE10hipError_tPvRmT3_T4_T5_T6_T7_T9_mT8_P12ihipStream_tbDpT10_ENKUlT_T0_E_clISt17integral_constantIbLb0EES1E_IbLb1EEEEDaS1A_S1B_EUlS1A_E_NS1_11comp_targetILNS1_3genE4ELNS1_11target_archE910ELNS1_3gpuE8ELNS1_3repE0EEENS1_30default_config_static_selectorELNS0_4arch9wavefront6targetE1EEEvT1_, .Lfunc_end507-_ZN7rocprim17ROCPRIM_400000_NS6detail17trampoline_kernelINS0_14default_configENS1_25partition_config_selectorILNS1_17partition_subalgoE2ExNS0_10empty_typeEbEEZZNS1_14partition_implILS5_2ELb0ES3_jN6thrust23THRUST_200600_302600_NS6detail15normal_iteratorINSA_7pointerIxNSA_11hip_rocprim3tagENSA_11use_defaultESG_EEEEPS6_NSA_18transform_iteratorINSA_8identityIxEENSC_INSA_10device_ptrIxEEEESG_SG_EENS0_5tupleIJPxSJ_EEENSR_IJSJ_SJ_EEES6_PlJS6_EEE10hipError_tPvRmT3_T4_T5_T6_T7_T9_mT8_P12ihipStream_tbDpT10_ENKUlT_T0_E_clISt17integral_constantIbLb0EES1E_IbLb1EEEEDaS1A_S1B_EUlS1A_E_NS1_11comp_targetILNS1_3genE4ELNS1_11target_archE910ELNS1_3gpuE8ELNS1_3repE0EEENS1_30default_config_static_selectorELNS0_4arch9wavefront6targetE1EEEvT1_
                                        ; -- End function
	.section	.AMDGPU.csdata,"",@progbits
; Kernel info:
; codeLenInByte = 4516
; NumSgprs: 50
; NumVgprs: 45
; NumAgprs: 0
; TotalNumVgprs: 45
; ScratchSize: 0
; MemoryBound: 0
; FloatMode: 240
; IeeeMode: 1
; LDSByteSize: 6344 bytes/workgroup (compile time only)
; SGPRBlocks: 6
; VGPRBlocks: 5
; NumSGPRsForWavesPerEU: 50
; NumVGPRsForWavesPerEU: 45
; AccumOffset: 48
; Occupancy: 8
; WaveLimiterHint : 1
; COMPUTE_PGM_RSRC2:SCRATCH_EN: 0
; COMPUTE_PGM_RSRC2:USER_SGPR: 6
; COMPUTE_PGM_RSRC2:TRAP_HANDLER: 0
; COMPUTE_PGM_RSRC2:TGID_X_EN: 1
; COMPUTE_PGM_RSRC2:TGID_Y_EN: 0
; COMPUTE_PGM_RSRC2:TGID_Z_EN: 0
; COMPUTE_PGM_RSRC2:TIDIG_COMP_CNT: 0
; COMPUTE_PGM_RSRC3_GFX90A:ACCUM_OFFSET: 11
; COMPUTE_PGM_RSRC3_GFX90A:TG_SPLIT: 0
	.section	.text._ZN7rocprim17ROCPRIM_400000_NS6detail17trampoline_kernelINS0_14default_configENS1_25partition_config_selectorILNS1_17partition_subalgoE2ExNS0_10empty_typeEbEEZZNS1_14partition_implILS5_2ELb0ES3_jN6thrust23THRUST_200600_302600_NS6detail15normal_iteratorINSA_7pointerIxNSA_11hip_rocprim3tagENSA_11use_defaultESG_EEEEPS6_NSA_18transform_iteratorINSA_8identityIxEENSC_INSA_10device_ptrIxEEEESG_SG_EENS0_5tupleIJPxSJ_EEENSR_IJSJ_SJ_EEES6_PlJS6_EEE10hipError_tPvRmT3_T4_T5_T6_T7_T9_mT8_P12ihipStream_tbDpT10_ENKUlT_T0_E_clISt17integral_constantIbLb0EES1E_IbLb1EEEEDaS1A_S1B_EUlS1A_E_NS1_11comp_targetILNS1_3genE3ELNS1_11target_archE908ELNS1_3gpuE7ELNS1_3repE0EEENS1_30default_config_static_selectorELNS0_4arch9wavefront6targetE1EEEvT1_,"axG",@progbits,_ZN7rocprim17ROCPRIM_400000_NS6detail17trampoline_kernelINS0_14default_configENS1_25partition_config_selectorILNS1_17partition_subalgoE2ExNS0_10empty_typeEbEEZZNS1_14partition_implILS5_2ELb0ES3_jN6thrust23THRUST_200600_302600_NS6detail15normal_iteratorINSA_7pointerIxNSA_11hip_rocprim3tagENSA_11use_defaultESG_EEEEPS6_NSA_18transform_iteratorINSA_8identityIxEENSC_INSA_10device_ptrIxEEEESG_SG_EENS0_5tupleIJPxSJ_EEENSR_IJSJ_SJ_EEES6_PlJS6_EEE10hipError_tPvRmT3_T4_T5_T6_T7_T9_mT8_P12ihipStream_tbDpT10_ENKUlT_T0_E_clISt17integral_constantIbLb0EES1E_IbLb1EEEEDaS1A_S1B_EUlS1A_E_NS1_11comp_targetILNS1_3genE3ELNS1_11target_archE908ELNS1_3gpuE7ELNS1_3repE0EEENS1_30default_config_static_selectorELNS0_4arch9wavefront6targetE1EEEvT1_,comdat
	.protected	_ZN7rocprim17ROCPRIM_400000_NS6detail17trampoline_kernelINS0_14default_configENS1_25partition_config_selectorILNS1_17partition_subalgoE2ExNS0_10empty_typeEbEEZZNS1_14partition_implILS5_2ELb0ES3_jN6thrust23THRUST_200600_302600_NS6detail15normal_iteratorINSA_7pointerIxNSA_11hip_rocprim3tagENSA_11use_defaultESG_EEEEPS6_NSA_18transform_iteratorINSA_8identityIxEENSC_INSA_10device_ptrIxEEEESG_SG_EENS0_5tupleIJPxSJ_EEENSR_IJSJ_SJ_EEES6_PlJS6_EEE10hipError_tPvRmT3_T4_T5_T6_T7_T9_mT8_P12ihipStream_tbDpT10_ENKUlT_T0_E_clISt17integral_constantIbLb0EES1E_IbLb1EEEEDaS1A_S1B_EUlS1A_E_NS1_11comp_targetILNS1_3genE3ELNS1_11target_archE908ELNS1_3gpuE7ELNS1_3repE0EEENS1_30default_config_static_selectorELNS0_4arch9wavefront6targetE1EEEvT1_ ; -- Begin function _ZN7rocprim17ROCPRIM_400000_NS6detail17trampoline_kernelINS0_14default_configENS1_25partition_config_selectorILNS1_17partition_subalgoE2ExNS0_10empty_typeEbEEZZNS1_14partition_implILS5_2ELb0ES3_jN6thrust23THRUST_200600_302600_NS6detail15normal_iteratorINSA_7pointerIxNSA_11hip_rocprim3tagENSA_11use_defaultESG_EEEEPS6_NSA_18transform_iteratorINSA_8identityIxEENSC_INSA_10device_ptrIxEEEESG_SG_EENS0_5tupleIJPxSJ_EEENSR_IJSJ_SJ_EEES6_PlJS6_EEE10hipError_tPvRmT3_T4_T5_T6_T7_T9_mT8_P12ihipStream_tbDpT10_ENKUlT_T0_E_clISt17integral_constantIbLb0EES1E_IbLb1EEEEDaS1A_S1B_EUlS1A_E_NS1_11comp_targetILNS1_3genE3ELNS1_11target_archE908ELNS1_3gpuE7ELNS1_3repE0EEENS1_30default_config_static_selectorELNS0_4arch9wavefront6targetE1EEEvT1_
	.globl	_ZN7rocprim17ROCPRIM_400000_NS6detail17trampoline_kernelINS0_14default_configENS1_25partition_config_selectorILNS1_17partition_subalgoE2ExNS0_10empty_typeEbEEZZNS1_14partition_implILS5_2ELb0ES3_jN6thrust23THRUST_200600_302600_NS6detail15normal_iteratorINSA_7pointerIxNSA_11hip_rocprim3tagENSA_11use_defaultESG_EEEEPS6_NSA_18transform_iteratorINSA_8identityIxEENSC_INSA_10device_ptrIxEEEESG_SG_EENS0_5tupleIJPxSJ_EEENSR_IJSJ_SJ_EEES6_PlJS6_EEE10hipError_tPvRmT3_T4_T5_T6_T7_T9_mT8_P12ihipStream_tbDpT10_ENKUlT_T0_E_clISt17integral_constantIbLb0EES1E_IbLb1EEEEDaS1A_S1B_EUlS1A_E_NS1_11comp_targetILNS1_3genE3ELNS1_11target_archE908ELNS1_3gpuE7ELNS1_3repE0EEENS1_30default_config_static_selectorELNS0_4arch9wavefront6targetE1EEEvT1_
	.p2align	8
	.type	_ZN7rocprim17ROCPRIM_400000_NS6detail17trampoline_kernelINS0_14default_configENS1_25partition_config_selectorILNS1_17partition_subalgoE2ExNS0_10empty_typeEbEEZZNS1_14partition_implILS5_2ELb0ES3_jN6thrust23THRUST_200600_302600_NS6detail15normal_iteratorINSA_7pointerIxNSA_11hip_rocprim3tagENSA_11use_defaultESG_EEEEPS6_NSA_18transform_iteratorINSA_8identityIxEENSC_INSA_10device_ptrIxEEEESG_SG_EENS0_5tupleIJPxSJ_EEENSR_IJSJ_SJ_EEES6_PlJS6_EEE10hipError_tPvRmT3_T4_T5_T6_T7_T9_mT8_P12ihipStream_tbDpT10_ENKUlT_T0_E_clISt17integral_constantIbLb0EES1E_IbLb1EEEEDaS1A_S1B_EUlS1A_E_NS1_11comp_targetILNS1_3genE3ELNS1_11target_archE908ELNS1_3gpuE7ELNS1_3repE0EEENS1_30default_config_static_selectorELNS0_4arch9wavefront6targetE1EEEvT1_,@function
_ZN7rocprim17ROCPRIM_400000_NS6detail17trampoline_kernelINS0_14default_configENS1_25partition_config_selectorILNS1_17partition_subalgoE2ExNS0_10empty_typeEbEEZZNS1_14partition_implILS5_2ELb0ES3_jN6thrust23THRUST_200600_302600_NS6detail15normal_iteratorINSA_7pointerIxNSA_11hip_rocprim3tagENSA_11use_defaultESG_EEEEPS6_NSA_18transform_iteratorINSA_8identityIxEENSC_INSA_10device_ptrIxEEEESG_SG_EENS0_5tupleIJPxSJ_EEENSR_IJSJ_SJ_EEES6_PlJS6_EEE10hipError_tPvRmT3_T4_T5_T6_T7_T9_mT8_P12ihipStream_tbDpT10_ENKUlT_T0_E_clISt17integral_constantIbLb0EES1E_IbLb1EEEEDaS1A_S1B_EUlS1A_E_NS1_11comp_targetILNS1_3genE3ELNS1_11target_archE908ELNS1_3gpuE7ELNS1_3repE0EEENS1_30default_config_static_selectorELNS0_4arch9wavefront6targetE1EEEvT1_: ; @_ZN7rocprim17ROCPRIM_400000_NS6detail17trampoline_kernelINS0_14default_configENS1_25partition_config_selectorILNS1_17partition_subalgoE2ExNS0_10empty_typeEbEEZZNS1_14partition_implILS5_2ELb0ES3_jN6thrust23THRUST_200600_302600_NS6detail15normal_iteratorINSA_7pointerIxNSA_11hip_rocprim3tagENSA_11use_defaultESG_EEEEPS6_NSA_18transform_iteratorINSA_8identityIxEENSC_INSA_10device_ptrIxEEEESG_SG_EENS0_5tupleIJPxSJ_EEENSR_IJSJ_SJ_EEES6_PlJS6_EEE10hipError_tPvRmT3_T4_T5_T6_T7_T9_mT8_P12ihipStream_tbDpT10_ENKUlT_T0_E_clISt17integral_constantIbLb0EES1E_IbLb1EEEEDaS1A_S1B_EUlS1A_E_NS1_11comp_targetILNS1_3genE3ELNS1_11target_archE908ELNS1_3gpuE7ELNS1_3repE0EEENS1_30default_config_static_selectorELNS0_4arch9wavefront6targetE1EEEvT1_
; %bb.0:
	.section	.rodata,"a",@progbits
	.p2align	6, 0x0
	.amdhsa_kernel _ZN7rocprim17ROCPRIM_400000_NS6detail17trampoline_kernelINS0_14default_configENS1_25partition_config_selectorILNS1_17partition_subalgoE2ExNS0_10empty_typeEbEEZZNS1_14partition_implILS5_2ELb0ES3_jN6thrust23THRUST_200600_302600_NS6detail15normal_iteratorINSA_7pointerIxNSA_11hip_rocprim3tagENSA_11use_defaultESG_EEEEPS6_NSA_18transform_iteratorINSA_8identityIxEENSC_INSA_10device_ptrIxEEEESG_SG_EENS0_5tupleIJPxSJ_EEENSR_IJSJ_SJ_EEES6_PlJS6_EEE10hipError_tPvRmT3_T4_T5_T6_T7_T9_mT8_P12ihipStream_tbDpT10_ENKUlT_T0_E_clISt17integral_constantIbLb0EES1E_IbLb1EEEEDaS1A_S1B_EUlS1A_E_NS1_11comp_targetILNS1_3genE3ELNS1_11target_archE908ELNS1_3gpuE7ELNS1_3repE0EEENS1_30default_config_static_selectorELNS0_4arch9wavefront6targetE1EEEvT1_
		.amdhsa_group_segment_fixed_size 0
		.amdhsa_private_segment_fixed_size 0
		.amdhsa_kernarg_size 144
		.amdhsa_user_sgpr_count 6
		.amdhsa_user_sgpr_private_segment_buffer 1
		.amdhsa_user_sgpr_dispatch_ptr 0
		.amdhsa_user_sgpr_queue_ptr 0
		.amdhsa_user_sgpr_kernarg_segment_ptr 1
		.amdhsa_user_sgpr_dispatch_id 0
		.amdhsa_user_sgpr_flat_scratch_init 0
		.amdhsa_user_sgpr_kernarg_preload_length 0
		.amdhsa_user_sgpr_kernarg_preload_offset 0
		.amdhsa_user_sgpr_private_segment_size 0
		.amdhsa_uses_dynamic_stack 0
		.amdhsa_system_sgpr_private_segment_wavefront_offset 0
		.amdhsa_system_sgpr_workgroup_id_x 1
		.amdhsa_system_sgpr_workgroup_id_y 0
		.amdhsa_system_sgpr_workgroup_id_z 0
		.amdhsa_system_sgpr_workgroup_info 0
		.amdhsa_system_vgpr_workitem_id 0
		.amdhsa_next_free_vgpr 1
		.amdhsa_next_free_sgpr 0
		.amdhsa_accum_offset 4
		.amdhsa_reserve_vcc 0
		.amdhsa_reserve_flat_scratch 0
		.amdhsa_float_round_mode_32 0
		.amdhsa_float_round_mode_16_64 0
		.amdhsa_float_denorm_mode_32 3
		.amdhsa_float_denorm_mode_16_64 3
		.amdhsa_dx10_clamp 1
		.amdhsa_ieee_mode 1
		.amdhsa_fp16_overflow 0
		.amdhsa_tg_split 0
		.amdhsa_exception_fp_ieee_invalid_op 0
		.amdhsa_exception_fp_denorm_src 0
		.amdhsa_exception_fp_ieee_div_zero 0
		.amdhsa_exception_fp_ieee_overflow 0
		.amdhsa_exception_fp_ieee_underflow 0
		.amdhsa_exception_fp_ieee_inexact 0
		.amdhsa_exception_int_div_zero 0
	.end_amdhsa_kernel
	.section	.text._ZN7rocprim17ROCPRIM_400000_NS6detail17trampoline_kernelINS0_14default_configENS1_25partition_config_selectorILNS1_17partition_subalgoE2ExNS0_10empty_typeEbEEZZNS1_14partition_implILS5_2ELb0ES3_jN6thrust23THRUST_200600_302600_NS6detail15normal_iteratorINSA_7pointerIxNSA_11hip_rocprim3tagENSA_11use_defaultESG_EEEEPS6_NSA_18transform_iteratorINSA_8identityIxEENSC_INSA_10device_ptrIxEEEESG_SG_EENS0_5tupleIJPxSJ_EEENSR_IJSJ_SJ_EEES6_PlJS6_EEE10hipError_tPvRmT3_T4_T5_T6_T7_T9_mT8_P12ihipStream_tbDpT10_ENKUlT_T0_E_clISt17integral_constantIbLb0EES1E_IbLb1EEEEDaS1A_S1B_EUlS1A_E_NS1_11comp_targetILNS1_3genE3ELNS1_11target_archE908ELNS1_3gpuE7ELNS1_3repE0EEENS1_30default_config_static_selectorELNS0_4arch9wavefront6targetE1EEEvT1_,"axG",@progbits,_ZN7rocprim17ROCPRIM_400000_NS6detail17trampoline_kernelINS0_14default_configENS1_25partition_config_selectorILNS1_17partition_subalgoE2ExNS0_10empty_typeEbEEZZNS1_14partition_implILS5_2ELb0ES3_jN6thrust23THRUST_200600_302600_NS6detail15normal_iteratorINSA_7pointerIxNSA_11hip_rocprim3tagENSA_11use_defaultESG_EEEEPS6_NSA_18transform_iteratorINSA_8identityIxEENSC_INSA_10device_ptrIxEEEESG_SG_EENS0_5tupleIJPxSJ_EEENSR_IJSJ_SJ_EEES6_PlJS6_EEE10hipError_tPvRmT3_T4_T5_T6_T7_T9_mT8_P12ihipStream_tbDpT10_ENKUlT_T0_E_clISt17integral_constantIbLb0EES1E_IbLb1EEEEDaS1A_S1B_EUlS1A_E_NS1_11comp_targetILNS1_3genE3ELNS1_11target_archE908ELNS1_3gpuE7ELNS1_3repE0EEENS1_30default_config_static_selectorELNS0_4arch9wavefront6targetE1EEEvT1_,comdat
.Lfunc_end508:
	.size	_ZN7rocprim17ROCPRIM_400000_NS6detail17trampoline_kernelINS0_14default_configENS1_25partition_config_selectorILNS1_17partition_subalgoE2ExNS0_10empty_typeEbEEZZNS1_14partition_implILS5_2ELb0ES3_jN6thrust23THRUST_200600_302600_NS6detail15normal_iteratorINSA_7pointerIxNSA_11hip_rocprim3tagENSA_11use_defaultESG_EEEEPS6_NSA_18transform_iteratorINSA_8identityIxEENSC_INSA_10device_ptrIxEEEESG_SG_EENS0_5tupleIJPxSJ_EEENSR_IJSJ_SJ_EEES6_PlJS6_EEE10hipError_tPvRmT3_T4_T5_T6_T7_T9_mT8_P12ihipStream_tbDpT10_ENKUlT_T0_E_clISt17integral_constantIbLb0EES1E_IbLb1EEEEDaS1A_S1B_EUlS1A_E_NS1_11comp_targetILNS1_3genE3ELNS1_11target_archE908ELNS1_3gpuE7ELNS1_3repE0EEENS1_30default_config_static_selectorELNS0_4arch9wavefront6targetE1EEEvT1_, .Lfunc_end508-_ZN7rocprim17ROCPRIM_400000_NS6detail17trampoline_kernelINS0_14default_configENS1_25partition_config_selectorILNS1_17partition_subalgoE2ExNS0_10empty_typeEbEEZZNS1_14partition_implILS5_2ELb0ES3_jN6thrust23THRUST_200600_302600_NS6detail15normal_iteratorINSA_7pointerIxNSA_11hip_rocprim3tagENSA_11use_defaultESG_EEEEPS6_NSA_18transform_iteratorINSA_8identityIxEENSC_INSA_10device_ptrIxEEEESG_SG_EENS0_5tupleIJPxSJ_EEENSR_IJSJ_SJ_EEES6_PlJS6_EEE10hipError_tPvRmT3_T4_T5_T6_T7_T9_mT8_P12ihipStream_tbDpT10_ENKUlT_T0_E_clISt17integral_constantIbLb0EES1E_IbLb1EEEEDaS1A_S1B_EUlS1A_E_NS1_11comp_targetILNS1_3genE3ELNS1_11target_archE908ELNS1_3gpuE7ELNS1_3repE0EEENS1_30default_config_static_selectorELNS0_4arch9wavefront6targetE1EEEvT1_
                                        ; -- End function
	.section	.AMDGPU.csdata,"",@progbits
; Kernel info:
; codeLenInByte = 0
; NumSgprs: 4
; NumVgprs: 0
; NumAgprs: 0
; TotalNumVgprs: 0
; ScratchSize: 0
; MemoryBound: 0
; FloatMode: 240
; IeeeMode: 1
; LDSByteSize: 0 bytes/workgroup (compile time only)
; SGPRBlocks: 0
; VGPRBlocks: 0
; NumSGPRsForWavesPerEU: 4
; NumVGPRsForWavesPerEU: 1
; AccumOffset: 4
; Occupancy: 8
; WaveLimiterHint : 0
; COMPUTE_PGM_RSRC2:SCRATCH_EN: 0
; COMPUTE_PGM_RSRC2:USER_SGPR: 6
; COMPUTE_PGM_RSRC2:TRAP_HANDLER: 0
; COMPUTE_PGM_RSRC2:TGID_X_EN: 1
; COMPUTE_PGM_RSRC2:TGID_Y_EN: 0
; COMPUTE_PGM_RSRC2:TGID_Z_EN: 0
; COMPUTE_PGM_RSRC2:TIDIG_COMP_CNT: 0
; COMPUTE_PGM_RSRC3_GFX90A:ACCUM_OFFSET: 0
; COMPUTE_PGM_RSRC3_GFX90A:TG_SPLIT: 0
	.section	.text._ZN7rocprim17ROCPRIM_400000_NS6detail17trampoline_kernelINS0_14default_configENS1_25partition_config_selectorILNS1_17partition_subalgoE2ExNS0_10empty_typeEbEEZZNS1_14partition_implILS5_2ELb0ES3_jN6thrust23THRUST_200600_302600_NS6detail15normal_iteratorINSA_7pointerIxNSA_11hip_rocprim3tagENSA_11use_defaultESG_EEEEPS6_NSA_18transform_iteratorINSA_8identityIxEENSC_INSA_10device_ptrIxEEEESG_SG_EENS0_5tupleIJPxSJ_EEENSR_IJSJ_SJ_EEES6_PlJS6_EEE10hipError_tPvRmT3_T4_T5_T6_T7_T9_mT8_P12ihipStream_tbDpT10_ENKUlT_T0_E_clISt17integral_constantIbLb0EES1E_IbLb1EEEEDaS1A_S1B_EUlS1A_E_NS1_11comp_targetILNS1_3genE2ELNS1_11target_archE906ELNS1_3gpuE6ELNS1_3repE0EEENS1_30default_config_static_selectorELNS0_4arch9wavefront6targetE1EEEvT1_,"axG",@progbits,_ZN7rocprim17ROCPRIM_400000_NS6detail17trampoline_kernelINS0_14default_configENS1_25partition_config_selectorILNS1_17partition_subalgoE2ExNS0_10empty_typeEbEEZZNS1_14partition_implILS5_2ELb0ES3_jN6thrust23THRUST_200600_302600_NS6detail15normal_iteratorINSA_7pointerIxNSA_11hip_rocprim3tagENSA_11use_defaultESG_EEEEPS6_NSA_18transform_iteratorINSA_8identityIxEENSC_INSA_10device_ptrIxEEEESG_SG_EENS0_5tupleIJPxSJ_EEENSR_IJSJ_SJ_EEES6_PlJS6_EEE10hipError_tPvRmT3_T4_T5_T6_T7_T9_mT8_P12ihipStream_tbDpT10_ENKUlT_T0_E_clISt17integral_constantIbLb0EES1E_IbLb1EEEEDaS1A_S1B_EUlS1A_E_NS1_11comp_targetILNS1_3genE2ELNS1_11target_archE906ELNS1_3gpuE6ELNS1_3repE0EEENS1_30default_config_static_selectorELNS0_4arch9wavefront6targetE1EEEvT1_,comdat
	.protected	_ZN7rocprim17ROCPRIM_400000_NS6detail17trampoline_kernelINS0_14default_configENS1_25partition_config_selectorILNS1_17partition_subalgoE2ExNS0_10empty_typeEbEEZZNS1_14partition_implILS5_2ELb0ES3_jN6thrust23THRUST_200600_302600_NS6detail15normal_iteratorINSA_7pointerIxNSA_11hip_rocprim3tagENSA_11use_defaultESG_EEEEPS6_NSA_18transform_iteratorINSA_8identityIxEENSC_INSA_10device_ptrIxEEEESG_SG_EENS0_5tupleIJPxSJ_EEENSR_IJSJ_SJ_EEES6_PlJS6_EEE10hipError_tPvRmT3_T4_T5_T6_T7_T9_mT8_P12ihipStream_tbDpT10_ENKUlT_T0_E_clISt17integral_constantIbLb0EES1E_IbLb1EEEEDaS1A_S1B_EUlS1A_E_NS1_11comp_targetILNS1_3genE2ELNS1_11target_archE906ELNS1_3gpuE6ELNS1_3repE0EEENS1_30default_config_static_selectorELNS0_4arch9wavefront6targetE1EEEvT1_ ; -- Begin function _ZN7rocprim17ROCPRIM_400000_NS6detail17trampoline_kernelINS0_14default_configENS1_25partition_config_selectorILNS1_17partition_subalgoE2ExNS0_10empty_typeEbEEZZNS1_14partition_implILS5_2ELb0ES3_jN6thrust23THRUST_200600_302600_NS6detail15normal_iteratorINSA_7pointerIxNSA_11hip_rocprim3tagENSA_11use_defaultESG_EEEEPS6_NSA_18transform_iteratorINSA_8identityIxEENSC_INSA_10device_ptrIxEEEESG_SG_EENS0_5tupleIJPxSJ_EEENSR_IJSJ_SJ_EEES6_PlJS6_EEE10hipError_tPvRmT3_T4_T5_T6_T7_T9_mT8_P12ihipStream_tbDpT10_ENKUlT_T0_E_clISt17integral_constantIbLb0EES1E_IbLb1EEEEDaS1A_S1B_EUlS1A_E_NS1_11comp_targetILNS1_3genE2ELNS1_11target_archE906ELNS1_3gpuE6ELNS1_3repE0EEENS1_30default_config_static_selectorELNS0_4arch9wavefront6targetE1EEEvT1_
	.globl	_ZN7rocprim17ROCPRIM_400000_NS6detail17trampoline_kernelINS0_14default_configENS1_25partition_config_selectorILNS1_17partition_subalgoE2ExNS0_10empty_typeEbEEZZNS1_14partition_implILS5_2ELb0ES3_jN6thrust23THRUST_200600_302600_NS6detail15normal_iteratorINSA_7pointerIxNSA_11hip_rocprim3tagENSA_11use_defaultESG_EEEEPS6_NSA_18transform_iteratorINSA_8identityIxEENSC_INSA_10device_ptrIxEEEESG_SG_EENS0_5tupleIJPxSJ_EEENSR_IJSJ_SJ_EEES6_PlJS6_EEE10hipError_tPvRmT3_T4_T5_T6_T7_T9_mT8_P12ihipStream_tbDpT10_ENKUlT_T0_E_clISt17integral_constantIbLb0EES1E_IbLb1EEEEDaS1A_S1B_EUlS1A_E_NS1_11comp_targetILNS1_3genE2ELNS1_11target_archE906ELNS1_3gpuE6ELNS1_3repE0EEENS1_30default_config_static_selectorELNS0_4arch9wavefront6targetE1EEEvT1_
	.p2align	8
	.type	_ZN7rocprim17ROCPRIM_400000_NS6detail17trampoline_kernelINS0_14default_configENS1_25partition_config_selectorILNS1_17partition_subalgoE2ExNS0_10empty_typeEbEEZZNS1_14partition_implILS5_2ELb0ES3_jN6thrust23THRUST_200600_302600_NS6detail15normal_iteratorINSA_7pointerIxNSA_11hip_rocprim3tagENSA_11use_defaultESG_EEEEPS6_NSA_18transform_iteratorINSA_8identityIxEENSC_INSA_10device_ptrIxEEEESG_SG_EENS0_5tupleIJPxSJ_EEENSR_IJSJ_SJ_EEES6_PlJS6_EEE10hipError_tPvRmT3_T4_T5_T6_T7_T9_mT8_P12ihipStream_tbDpT10_ENKUlT_T0_E_clISt17integral_constantIbLb0EES1E_IbLb1EEEEDaS1A_S1B_EUlS1A_E_NS1_11comp_targetILNS1_3genE2ELNS1_11target_archE906ELNS1_3gpuE6ELNS1_3repE0EEENS1_30default_config_static_selectorELNS0_4arch9wavefront6targetE1EEEvT1_,@function
_ZN7rocprim17ROCPRIM_400000_NS6detail17trampoline_kernelINS0_14default_configENS1_25partition_config_selectorILNS1_17partition_subalgoE2ExNS0_10empty_typeEbEEZZNS1_14partition_implILS5_2ELb0ES3_jN6thrust23THRUST_200600_302600_NS6detail15normal_iteratorINSA_7pointerIxNSA_11hip_rocprim3tagENSA_11use_defaultESG_EEEEPS6_NSA_18transform_iteratorINSA_8identityIxEENSC_INSA_10device_ptrIxEEEESG_SG_EENS0_5tupleIJPxSJ_EEENSR_IJSJ_SJ_EEES6_PlJS6_EEE10hipError_tPvRmT3_T4_T5_T6_T7_T9_mT8_P12ihipStream_tbDpT10_ENKUlT_T0_E_clISt17integral_constantIbLb0EES1E_IbLb1EEEEDaS1A_S1B_EUlS1A_E_NS1_11comp_targetILNS1_3genE2ELNS1_11target_archE906ELNS1_3gpuE6ELNS1_3repE0EEENS1_30default_config_static_selectorELNS0_4arch9wavefront6targetE1EEEvT1_: ; @_ZN7rocprim17ROCPRIM_400000_NS6detail17trampoline_kernelINS0_14default_configENS1_25partition_config_selectorILNS1_17partition_subalgoE2ExNS0_10empty_typeEbEEZZNS1_14partition_implILS5_2ELb0ES3_jN6thrust23THRUST_200600_302600_NS6detail15normal_iteratorINSA_7pointerIxNSA_11hip_rocprim3tagENSA_11use_defaultESG_EEEEPS6_NSA_18transform_iteratorINSA_8identityIxEENSC_INSA_10device_ptrIxEEEESG_SG_EENS0_5tupleIJPxSJ_EEENSR_IJSJ_SJ_EEES6_PlJS6_EEE10hipError_tPvRmT3_T4_T5_T6_T7_T9_mT8_P12ihipStream_tbDpT10_ENKUlT_T0_E_clISt17integral_constantIbLb0EES1E_IbLb1EEEEDaS1A_S1B_EUlS1A_E_NS1_11comp_targetILNS1_3genE2ELNS1_11target_archE906ELNS1_3gpuE6ELNS1_3repE0EEENS1_30default_config_static_selectorELNS0_4arch9wavefront6targetE1EEEvT1_
; %bb.0:
	.section	.rodata,"a",@progbits
	.p2align	6, 0x0
	.amdhsa_kernel _ZN7rocprim17ROCPRIM_400000_NS6detail17trampoline_kernelINS0_14default_configENS1_25partition_config_selectorILNS1_17partition_subalgoE2ExNS0_10empty_typeEbEEZZNS1_14partition_implILS5_2ELb0ES3_jN6thrust23THRUST_200600_302600_NS6detail15normal_iteratorINSA_7pointerIxNSA_11hip_rocprim3tagENSA_11use_defaultESG_EEEEPS6_NSA_18transform_iteratorINSA_8identityIxEENSC_INSA_10device_ptrIxEEEESG_SG_EENS0_5tupleIJPxSJ_EEENSR_IJSJ_SJ_EEES6_PlJS6_EEE10hipError_tPvRmT3_T4_T5_T6_T7_T9_mT8_P12ihipStream_tbDpT10_ENKUlT_T0_E_clISt17integral_constantIbLb0EES1E_IbLb1EEEEDaS1A_S1B_EUlS1A_E_NS1_11comp_targetILNS1_3genE2ELNS1_11target_archE906ELNS1_3gpuE6ELNS1_3repE0EEENS1_30default_config_static_selectorELNS0_4arch9wavefront6targetE1EEEvT1_
		.amdhsa_group_segment_fixed_size 0
		.amdhsa_private_segment_fixed_size 0
		.amdhsa_kernarg_size 144
		.amdhsa_user_sgpr_count 6
		.amdhsa_user_sgpr_private_segment_buffer 1
		.amdhsa_user_sgpr_dispatch_ptr 0
		.amdhsa_user_sgpr_queue_ptr 0
		.amdhsa_user_sgpr_kernarg_segment_ptr 1
		.amdhsa_user_sgpr_dispatch_id 0
		.amdhsa_user_sgpr_flat_scratch_init 0
		.amdhsa_user_sgpr_kernarg_preload_length 0
		.amdhsa_user_sgpr_kernarg_preload_offset 0
		.amdhsa_user_sgpr_private_segment_size 0
		.amdhsa_uses_dynamic_stack 0
		.amdhsa_system_sgpr_private_segment_wavefront_offset 0
		.amdhsa_system_sgpr_workgroup_id_x 1
		.amdhsa_system_sgpr_workgroup_id_y 0
		.amdhsa_system_sgpr_workgroup_id_z 0
		.amdhsa_system_sgpr_workgroup_info 0
		.amdhsa_system_vgpr_workitem_id 0
		.amdhsa_next_free_vgpr 1
		.amdhsa_next_free_sgpr 0
		.amdhsa_accum_offset 4
		.amdhsa_reserve_vcc 0
		.amdhsa_reserve_flat_scratch 0
		.amdhsa_float_round_mode_32 0
		.amdhsa_float_round_mode_16_64 0
		.amdhsa_float_denorm_mode_32 3
		.amdhsa_float_denorm_mode_16_64 3
		.amdhsa_dx10_clamp 1
		.amdhsa_ieee_mode 1
		.amdhsa_fp16_overflow 0
		.amdhsa_tg_split 0
		.amdhsa_exception_fp_ieee_invalid_op 0
		.amdhsa_exception_fp_denorm_src 0
		.amdhsa_exception_fp_ieee_div_zero 0
		.amdhsa_exception_fp_ieee_overflow 0
		.amdhsa_exception_fp_ieee_underflow 0
		.amdhsa_exception_fp_ieee_inexact 0
		.amdhsa_exception_int_div_zero 0
	.end_amdhsa_kernel
	.section	.text._ZN7rocprim17ROCPRIM_400000_NS6detail17trampoline_kernelINS0_14default_configENS1_25partition_config_selectorILNS1_17partition_subalgoE2ExNS0_10empty_typeEbEEZZNS1_14partition_implILS5_2ELb0ES3_jN6thrust23THRUST_200600_302600_NS6detail15normal_iteratorINSA_7pointerIxNSA_11hip_rocprim3tagENSA_11use_defaultESG_EEEEPS6_NSA_18transform_iteratorINSA_8identityIxEENSC_INSA_10device_ptrIxEEEESG_SG_EENS0_5tupleIJPxSJ_EEENSR_IJSJ_SJ_EEES6_PlJS6_EEE10hipError_tPvRmT3_T4_T5_T6_T7_T9_mT8_P12ihipStream_tbDpT10_ENKUlT_T0_E_clISt17integral_constantIbLb0EES1E_IbLb1EEEEDaS1A_S1B_EUlS1A_E_NS1_11comp_targetILNS1_3genE2ELNS1_11target_archE906ELNS1_3gpuE6ELNS1_3repE0EEENS1_30default_config_static_selectorELNS0_4arch9wavefront6targetE1EEEvT1_,"axG",@progbits,_ZN7rocprim17ROCPRIM_400000_NS6detail17trampoline_kernelINS0_14default_configENS1_25partition_config_selectorILNS1_17partition_subalgoE2ExNS0_10empty_typeEbEEZZNS1_14partition_implILS5_2ELb0ES3_jN6thrust23THRUST_200600_302600_NS6detail15normal_iteratorINSA_7pointerIxNSA_11hip_rocprim3tagENSA_11use_defaultESG_EEEEPS6_NSA_18transform_iteratorINSA_8identityIxEENSC_INSA_10device_ptrIxEEEESG_SG_EENS0_5tupleIJPxSJ_EEENSR_IJSJ_SJ_EEES6_PlJS6_EEE10hipError_tPvRmT3_T4_T5_T6_T7_T9_mT8_P12ihipStream_tbDpT10_ENKUlT_T0_E_clISt17integral_constantIbLb0EES1E_IbLb1EEEEDaS1A_S1B_EUlS1A_E_NS1_11comp_targetILNS1_3genE2ELNS1_11target_archE906ELNS1_3gpuE6ELNS1_3repE0EEENS1_30default_config_static_selectorELNS0_4arch9wavefront6targetE1EEEvT1_,comdat
.Lfunc_end509:
	.size	_ZN7rocprim17ROCPRIM_400000_NS6detail17trampoline_kernelINS0_14default_configENS1_25partition_config_selectorILNS1_17partition_subalgoE2ExNS0_10empty_typeEbEEZZNS1_14partition_implILS5_2ELb0ES3_jN6thrust23THRUST_200600_302600_NS6detail15normal_iteratorINSA_7pointerIxNSA_11hip_rocprim3tagENSA_11use_defaultESG_EEEEPS6_NSA_18transform_iteratorINSA_8identityIxEENSC_INSA_10device_ptrIxEEEESG_SG_EENS0_5tupleIJPxSJ_EEENSR_IJSJ_SJ_EEES6_PlJS6_EEE10hipError_tPvRmT3_T4_T5_T6_T7_T9_mT8_P12ihipStream_tbDpT10_ENKUlT_T0_E_clISt17integral_constantIbLb0EES1E_IbLb1EEEEDaS1A_S1B_EUlS1A_E_NS1_11comp_targetILNS1_3genE2ELNS1_11target_archE906ELNS1_3gpuE6ELNS1_3repE0EEENS1_30default_config_static_selectorELNS0_4arch9wavefront6targetE1EEEvT1_, .Lfunc_end509-_ZN7rocprim17ROCPRIM_400000_NS6detail17trampoline_kernelINS0_14default_configENS1_25partition_config_selectorILNS1_17partition_subalgoE2ExNS0_10empty_typeEbEEZZNS1_14partition_implILS5_2ELb0ES3_jN6thrust23THRUST_200600_302600_NS6detail15normal_iteratorINSA_7pointerIxNSA_11hip_rocprim3tagENSA_11use_defaultESG_EEEEPS6_NSA_18transform_iteratorINSA_8identityIxEENSC_INSA_10device_ptrIxEEEESG_SG_EENS0_5tupleIJPxSJ_EEENSR_IJSJ_SJ_EEES6_PlJS6_EEE10hipError_tPvRmT3_T4_T5_T6_T7_T9_mT8_P12ihipStream_tbDpT10_ENKUlT_T0_E_clISt17integral_constantIbLb0EES1E_IbLb1EEEEDaS1A_S1B_EUlS1A_E_NS1_11comp_targetILNS1_3genE2ELNS1_11target_archE906ELNS1_3gpuE6ELNS1_3repE0EEENS1_30default_config_static_selectorELNS0_4arch9wavefront6targetE1EEEvT1_
                                        ; -- End function
	.section	.AMDGPU.csdata,"",@progbits
; Kernel info:
; codeLenInByte = 0
; NumSgprs: 4
; NumVgprs: 0
; NumAgprs: 0
; TotalNumVgprs: 0
; ScratchSize: 0
; MemoryBound: 0
; FloatMode: 240
; IeeeMode: 1
; LDSByteSize: 0 bytes/workgroup (compile time only)
; SGPRBlocks: 0
; VGPRBlocks: 0
; NumSGPRsForWavesPerEU: 4
; NumVGPRsForWavesPerEU: 1
; AccumOffset: 4
; Occupancy: 8
; WaveLimiterHint : 0
; COMPUTE_PGM_RSRC2:SCRATCH_EN: 0
; COMPUTE_PGM_RSRC2:USER_SGPR: 6
; COMPUTE_PGM_RSRC2:TRAP_HANDLER: 0
; COMPUTE_PGM_RSRC2:TGID_X_EN: 1
; COMPUTE_PGM_RSRC2:TGID_Y_EN: 0
; COMPUTE_PGM_RSRC2:TGID_Z_EN: 0
; COMPUTE_PGM_RSRC2:TIDIG_COMP_CNT: 0
; COMPUTE_PGM_RSRC3_GFX90A:ACCUM_OFFSET: 0
; COMPUTE_PGM_RSRC3_GFX90A:TG_SPLIT: 0
	.section	.text._ZN7rocprim17ROCPRIM_400000_NS6detail17trampoline_kernelINS0_14default_configENS1_25partition_config_selectorILNS1_17partition_subalgoE2ExNS0_10empty_typeEbEEZZNS1_14partition_implILS5_2ELb0ES3_jN6thrust23THRUST_200600_302600_NS6detail15normal_iteratorINSA_7pointerIxNSA_11hip_rocprim3tagENSA_11use_defaultESG_EEEEPS6_NSA_18transform_iteratorINSA_8identityIxEENSC_INSA_10device_ptrIxEEEESG_SG_EENS0_5tupleIJPxSJ_EEENSR_IJSJ_SJ_EEES6_PlJS6_EEE10hipError_tPvRmT3_T4_T5_T6_T7_T9_mT8_P12ihipStream_tbDpT10_ENKUlT_T0_E_clISt17integral_constantIbLb0EES1E_IbLb1EEEEDaS1A_S1B_EUlS1A_E_NS1_11comp_targetILNS1_3genE10ELNS1_11target_archE1200ELNS1_3gpuE4ELNS1_3repE0EEENS1_30default_config_static_selectorELNS0_4arch9wavefront6targetE1EEEvT1_,"axG",@progbits,_ZN7rocprim17ROCPRIM_400000_NS6detail17trampoline_kernelINS0_14default_configENS1_25partition_config_selectorILNS1_17partition_subalgoE2ExNS0_10empty_typeEbEEZZNS1_14partition_implILS5_2ELb0ES3_jN6thrust23THRUST_200600_302600_NS6detail15normal_iteratorINSA_7pointerIxNSA_11hip_rocprim3tagENSA_11use_defaultESG_EEEEPS6_NSA_18transform_iteratorINSA_8identityIxEENSC_INSA_10device_ptrIxEEEESG_SG_EENS0_5tupleIJPxSJ_EEENSR_IJSJ_SJ_EEES6_PlJS6_EEE10hipError_tPvRmT3_T4_T5_T6_T7_T9_mT8_P12ihipStream_tbDpT10_ENKUlT_T0_E_clISt17integral_constantIbLb0EES1E_IbLb1EEEEDaS1A_S1B_EUlS1A_E_NS1_11comp_targetILNS1_3genE10ELNS1_11target_archE1200ELNS1_3gpuE4ELNS1_3repE0EEENS1_30default_config_static_selectorELNS0_4arch9wavefront6targetE1EEEvT1_,comdat
	.protected	_ZN7rocprim17ROCPRIM_400000_NS6detail17trampoline_kernelINS0_14default_configENS1_25partition_config_selectorILNS1_17partition_subalgoE2ExNS0_10empty_typeEbEEZZNS1_14partition_implILS5_2ELb0ES3_jN6thrust23THRUST_200600_302600_NS6detail15normal_iteratorINSA_7pointerIxNSA_11hip_rocprim3tagENSA_11use_defaultESG_EEEEPS6_NSA_18transform_iteratorINSA_8identityIxEENSC_INSA_10device_ptrIxEEEESG_SG_EENS0_5tupleIJPxSJ_EEENSR_IJSJ_SJ_EEES6_PlJS6_EEE10hipError_tPvRmT3_T4_T5_T6_T7_T9_mT8_P12ihipStream_tbDpT10_ENKUlT_T0_E_clISt17integral_constantIbLb0EES1E_IbLb1EEEEDaS1A_S1B_EUlS1A_E_NS1_11comp_targetILNS1_3genE10ELNS1_11target_archE1200ELNS1_3gpuE4ELNS1_3repE0EEENS1_30default_config_static_selectorELNS0_4arch9wavefront6targetE1EEEvT1_ ; -- Begin function _ZN7rocprim17ROCPRIM_400000_NS6detail17trampoline_kernelINS0_14default_configENS1_25partition_config_selectorILNS1_17partition_subalgoE2ExNS0_10empty_typeEbEEZZNS1_14partition_implILS5_2ELb0ES3_jN6thrust23THRUST_200600_302600_NS6detail15normal_iteratorINSA_7pointerIxNSA_11hip_rocprim3tagENSA_11use_defaultESG_EEEEPS6_NSA_18transform_iteratorINSA_8identityIxEENSC_INSA_10device_ptrIxEEEESG_SG_EENS0_5tupleIJPxSJ_EEENSR_IJSJ_SJ_EEES6_PlJS6_EEE10hipError_tPvRmT3_T4_T5_T6_T7_T9_mT8_P12ihipStream_tbDpT10_ENKUlT_T0_E_clISt17integral_constantIbLb0EES1E_IbLb1EEEEDaS1A_S1B_EUlS1A_E_NS1_11comp_targetILNS1_3genE10ELNS1_11target_archE1200ELNS1_3gpuE4ELNS1_3repE0EEENS1_30default_config_static_selectorELNS0_4arch9wavefront6targetE1EEEvT1_
	.globl	_ZN7rocprim17ROCPRIM_400000_NS6detail17trampoline_kernelINS0_14default_configENS1_25partition_config_selectorILNS1_17partition_subalgoE2ExNS0_10empty_typeEbEEZZNS1_14partition_implILS5_2ELb0ES3_jN6thrust23THRUST_200600_302600_NS6detail15normal_iteratorINSA_7pointerIxNSA_11hip_rocprim3tagENSA_11use_defaultESG_EEEEPS6_NSA_18transform_iteratorINSA_8identityIxEENSC_INSA_10device_ptrIxEEEESG_SG_EENS0_5tupleIJPxSJ_EEENSR_IJSJ_SJ_EEES6_PlJS6_EEE10hipError_tPvRmT3_T4_T5_T6_T7_T9_mT8_P12ihipStream_tbDpT10_ENKUlT_T0_E_clISt17integral_constantIbLb0EES1E_IbLb1EEEEDaS1A_S1B_EUlS1A_E_NS1_11comp_targetILNS1_3genE10ELNS1_11target_archE1200ELNS1_3gpuE4ELNS1_3repE0EEENS1_30default_config_static_selectorELNS0_4arch9wavefront6targetE1EEEvT1_
	.p2align	8
	.type	_ZN7rocprim17ROCPRIM_400000_NS6detail17trampoline_kernelINS0_14default_configENS1_25partition_config_selectorILNS1_17partition_subalgoE2ExNS0_10empty_typeEbEEZZNS1_14partition_implILS5_2ELb0ES3_jN6thrust23THRUST_200600_302600_NS6detail15normal_iteratorINSA_7pointerIxNSA_11hip_rocprim3tagENSA_11use_defaultESG_EEEEPS6_NSA_18transform_iteratorINSA_8identityIxEENSC_INSA_10device_ptrIxEEEESG_SG_EENS0_5tupleIJPxSJ_EEENSR_IJSJ_SJ_EEES6_PlJS6_EEE10hipError_tPvRmT3_T4_T5_T6_T7_T9_mT8_P12ihipStream_tbDpT10_ENKUlT_T0_E_clISt17integral_constantIbLb0EES1E_IbLb1EEEEDaS1A_S1B_EUlS1A_E_NS1_11comp_targetILNS1_3genE10ELNS1_11target_archE1200ELNS1_3gpuE4ELNS1_3repE0EEENS1_30default_config_static_selectorELNS0_4arch9wavefront6targetE1EEEvT1_,@function
_ZN7rocprim17ROCPRIM_400000_NS6detail17trampoline_kernelINS0_14default_configENS1_25partition_config_selectorILNS1_17partition_subalgoE2ExNS0_10empty_typeEbEEZZNS1_14partition_implILS5_2ELb0ES3_jN6thrust23THRUST_200600_302600_NS6detail15normal_iteratorINSA_7pointerIxNSA_11hip_rocprim3tagENSA_11use_defaultESG_EEEEPS6_NSA_18transform_iteratorINSA_8identityIxEENSC_INSA_10device_ptrIxEEEESG_SG_EENS0_5tupleIJPxSJ_EEENSR_IJSJ_SJ_EEES6_PlJS6_EEE10hipError_tPvRmT3_T4_T5_T6_T7_T9_mT8_P12ihipStream_tbDpT10_ENKUlT_T0_E_clISt17integral_constantIbLb0EES1E_IbLb1EEEEDaS1A_S1B_EUlS1A_E_NS1_11comp_targetILNS1_3genE10ELNS1_11target_archE1200ELNS1_3gpuE4ELNS1_3repE0EEENS1_30default_config_static_selectorELNS0_4arch9wavefront6targetE1EEEvT1_: ; @_ZN7rocprim17ROCPRIM_400000_NS6detail17trampoline_kernelINS0_14default_configENS1_25partition_config_selectorILNS1_17partition_subalgoE2ExNS0_10empty_typeEbEEZZNS1_14partition_implILS5_2ELb0ES3_jN6thrust23THRUST_200600_302600_NS6detail15normal_iteratorINSA_7pointerIxNSA_11hip_rocprim3tagENSA_11use_defaultESG_EEEEPS6_NSA_18transform_iteratorINSA_8identityIxEENSC_INSA_10device_ptrIxEEEESG_SG_EENS0_5tupleIJPxSJ_EEENSR_IJSJ_SJ_EEES6_PlJS6_EEE10hipError_tPvRmT3_T4_T5_T6_T7_T9_mT8_P12ihipStream_tbDpT10_ENKUlT_T0_E_clISt17integral_constantIbLb0EES1E_IbLb1EEEEDaS1A_S1B_EUlS1A_E_NS1_11comp_targetILNS1_3genE10ELNS1_11target_archE1200ELNS1_3gpuE4ELNS1_3repE0EEENS1_30default_config_static_selectorELNS0_4arch9wavefront6targetE1EEEvT1_
; %bb.0:
	.section	.rodata,"a",@progbits
	.p2align	6, 0x0
	.amdhsa_kernel _ZN7rocprim17ROCPRIM_400000_NS6detail17trampoline_kernelINS0_14default_configENS1_25partition_config_selectorILNS1_17partition_subalgoE2ExNS0_10empty_typeEbEEZZNS1_14partition_implILS5_2ELb0ES3_jN6thrust23THRUST_200600_302600_NS6detail15normal_iteratorINSA_7pointerIxNSA_11hip_rocprim3tagENSA_11use_defaultESG_EEEEPS6_NSA_18transform_iteratorINSA_8identityIxEENSC_INSA_10device_ptrIxEEEESG_SG_EENS0_5tupleIJPxSJ_EEENSR_IJSJ_SJ_EEES6_PlJS6_EEE10hipError_tPvRmT3_T4_T5_T6_T7_T9_mT8_P12ihipStream_tbDpT10_ENKUlT_T0_E_clISt17integral_constantIbLb0EES1E_IbLb1EEEEDaS1A_S1B_EUlS1A_E_NS1_11comp_targetILNS1_3genE10ELNS1_11target_archE1200ELNS1_3gpuE4ELNS1_3repE0EEENS1_30default_config_static_selectorELNS0_4arch9wavefront6targetE1EEEvT1_
		.amdhsa_group_segment_fixed_size 0
		.amdhsa_private_segment_fixed_size 0
		.amdhsa_kernarg_size 144
		.amdhsa_user_sgpr_count 6
		.amdhsa_user_sgpr_private_segment_buffer 1
		.amdhsa_user_sgpr_dispatch_ptr 0
		.amdhsa_user_sgpr_queue_ptr 0
		.amdhsa_user_sgpr_kernarg_segment_ptr 1
		.amdhsa_user_sgpr_dispatch_id 0
		.amdhsa_user_sgpr_flat_scratch_init 0
		.amdhsa_user_sgpr_kernarg_preload_length 0
		.amdhsa_user_sgpr_kernarg_preload_offset 0
		.amdhsa_user_sgpr_private_segment_size 0
		.amdhsa_uses_dynamic_stack 0
		.amdhsa_system_sgpr_private_segment_wavefront_offset 0
		.amdhsa_system_sgpr_workgroup_id_x 1
		.amdhsa_system_sgpr_workgroup_id_y 0
		.amdhsa_system_sgpr_workgroup_id_z 0
		.amdhsa_system_sgpr_workgroup_info 0
		.amdhsa_system_vgpr_workitem_id 0
		.amdhsa_next_free_vgpr 1
		.amdhsa_next_free_sgpr 0
		.amdhsa_accum_offset 4
		.amdhsa_reserve_vcc 0
		.amdhsa_reserve_flat_scratch 0
		.amdhsa_float_round_mode_32 0
		.amdhsa_float_round_mode_16_64 0
		.amdhsa_float_denorm_mode_32 3
		.amdhsa_float_denorm_mode_16_64 3
		.amdhsa_dx10_clamp 1
		.amdhsa_ieee_mode 1
		.amdhsa_fp16_overflow 0
		.amdhsa_tg_split 0
		.amdhsa_exception_fp_ieee_invalid_op 0
		.amdhsa_exception_fp_denorm_src 0
		.amdhsa_exception_fp_ieee_div_zero 0
		.amdhsa_exception_fp_ieee_overflow 0
		.amdhsa_exception_fp_ieee_underflow 0
		.amdhsa_exception_fp_ieee_inexact 0
		.amdhsa_exception_int_div_zero 0
	.end_amdhsa_kernel
	.section	.text._ZN7rocprim17ROCPRIM_400000_NS6detail17trampoline_kernelINS0_14default_configENS1_25partition_config_selectorILNS1_17partition_subalgoE2ExNS0_10empty_typeEbEEZZNS1_14partition_implILS5_2ELb0ES3_jN6thrust23THRUST_200600_302600_NS6detail15normal_iteratorINSA_7pointerIxNSA_11hip_rocprim3tagENSA_11use_defaultESG_EEEEPS6_NSA_18transform_iteratorINSA_8identityIxEENSC_INSA_10device_ptrIxEEEESG_SG_EENS0_5tupleIJPxSJ_EEENSR_IJSJ_SJ_EEES6_PlJS6_EEE10hipError_tPvRmT3_T4_T5_T6_T7_T9_mT8_P12ihipStream_tbDpT10_ENKUlT_T0_E_clISt17integral_constantIbLb0EES1E_IbLb1EEEEDaS1A_S1B_EUlS1A_E_NS1_11comp_targetILNS1_3genE10ELNS1_11target_archE1200ELNS1_3gpuE4ELNS1_3repE0EEENS1_30default_config_static_selectorELNS0_4arch9wavefront6targetE1EEEvT1_,"axG",@progbits,_ZN7rocprim17ROCPRIM_400000_NS6detail17trampoline_kernelINS0_14default_configENS1_25partition_config_selectorILNS1_17partition_subalgoE2ExNS0_10empty_typeEbEEZZNS1_14partition_implILS5_2ELb0ES3_jN6thrust23THRUST_200600_302600_NS6detail15normal_iteratorINSA_7pointerIxNSA_11hip_rocprim3tagENSA_11use_defaultESG_EEEEPS6_NSA_18transform_iteratorINSA_8identityIxEENSC_INSA_10device_ptrIxEEEESG_SG_EENS0_5tupleIJPxSJ_EEENSR_IJSJ_SJ_EEES6_PlJS6_EEE10hipError_tPvRmT3_T4_T5_T6_T7_T9_mT8_P12ihipStream_tbDpT10_ENKUlT_T0_E_clISt17integral_constantIbLb0EES1E_IbLb1EEEEDaS1A_S1B_EUlS1A_E_NS1_11comp_targetILNS1_3genE10ELNS1_11target_archE1200ELNS1_3gpuE4ELNS1_3repE0EEENS1_30default_config_static_selectorELNS0_4arch9wavefront6targetE1EEEvT1_,comdat
.Lfunc_end510:
	.size	_ZN7rocprim17ROCPRIM_400000_NS6detail17trampoline_kernelINS0_14default_configENS1_25partition_config_selectorILNS1_17partition_subalgoE2ExNS0_10empty_typeEbEEZZNS1_14partition_implILS5_2ELb0ES3_jN6thrust23THRUST_200600_302600_NS6detail15normal_iteratorINSA_7pointerIxNSA_11hip_rocprim3tagENSA_11use_defaultESG_EEEEPS6_NSA_18transform_iteratorINSA_8identityIxEENSC_INSA_10device_ptrIxEEEESG_SG_EENS0_5tupleIJPxSJ_EEENSR_IJSJ_SJ_EEES6_PlJS6_EEE10hipError_tPvRmT3_T4_T5_T6_T7_T9_mT8_P12ihipStream_tbDpT10_ENKUlT_T0_E_clISt17integral_constantIbLb0EES1E_IbLb1EEEEDaS1A_S1B_EUlS1A_E_NS1_11comp_targetILNS1_3genE10ELNS1_11target_archE1200ELNS1_3gpuE4ELNS1_3repE0EEENS1_30default_config_static_selectorELNS0_4arch9wavefront6targetE1EEEvT1_, .Lfunc_end510-_ZN7rocprim17ROCPRIM_400000_NS6detail17trampoline_kernelINS0_14default_configENS1_25partition_config_selectorILNS1_17partition_subalgoE2ExNS0_10empty_typeEbEEZZNS1_14partition_implILS5_2ELb0ES3_jN6thrust23THRUST_200600_302600_NS6detail15normal_iteratorINSA_7pointerIxNSA_11hip_rocprim3tagENSA_11use_defaultESG_EEEEPS6_NSA_18transform_iteratorINSA_8identityIxEENSC_INSA_10device_ptrIxEEEESG_SG_EENS0_5tupleIJPxSJ_EEENSR_IJSJ_SJ_EEES6_PlJS6_EEE10hipError_tPvRmT3_T4_T5_T6_T7_T9_mT8_P12ihipStream_tbDpT10_ENKUlT_T0_E_clISt17integral_constantIbLb0EES1E_IbLb1EEEEDaS1A_S1B_EUlS1A_E_NS1_11comp_targetILNS1_3genE10ELNS1_11target_archE1200ELNS1_3gpuE4ELNS1_3repE0EEENS1_30default_config_static_selectorELNS0_4arch9wavefront6targetE1EEEvT1_
                                        ; -- End function
	.section	.AMDGPU.csdata,"",@progbits
; Kernel info:
; codeLenInByte = 0
; NumSgprs: 4
; NumVgprs: 0
; NumAgprs: 0
; TotalNumVgprs: 0
; ScratchSize: 0
; MemoryBound: 0
; FloatMode: 240
; IeeeMode: 1
; LDSByteSize: 0 bytes/workgroup (compile time only)
; SGPRBlocks: 0
; VGPRBlocks: 0
; NumSGPRsForWavesPerEU: 4
; NumVGPRsForWavesPerEU: 1
; AccumOffset: 4
; Occupancy: 8
; WaveLimiterHint : 0
; COMPUTE_PGM_RSRC2:SCRATCH_EN: 0
; COMPUTE_PGM_RSRC2:USER_SGPR: 6
; COMPUTE_PGM_RSRC2:TRAP_HANDLER: 0
; COMPUTE_PGM_RSRC2:TGID_X_EN: 1
; COMPUTE_PGM_RSRC2:TGID_Y_EN: 0
; COMPUTE_PGM_RSRC2:TGID_Z_EN: 0
; COMPUTE_PGM_RSRC2:TIDIG_COMP_CNT: 0
; COMPUTE_PGM_RSRC3_GFX90A:ACCUM_OFFSET: 0
; COMPUTE_PGM_RSRC3_GFX90A:TG_SPLIT: 0
	.section	.text._ZN7rocprim17ROCPRIM_400000_NS6detail17trampoline_kernelINS0_14default_configENS1_25partition_config_selectorILNS1_17partition_subalgoE2ExNS0_10empty_typeEbEEZZNS1_14partition_implILS5_2ELb0ES3_jN6thrust23THRUST_200600_302600_NS6detail15normal_iteratorINSA_7pointerIxNSA_11hip_rocprim3tagENSA_11use_defaultESG_EEEEPS6_NSA_18transform_iteratorINSA_8identityIxEENSC_INSA_10device_ptrIxEEEESG_SG_EENS0_5tupleIJPxSJ_EEENSR_IJSJ_SJ_EEES6_PlJS6_EEE10hipError_tPvRmT3_T4_T5_T6_T7_T9_mT8_P12ihipStream_tbDpT10_ENKUlT_T0_E_clISt17integral_constantIbLb0EES1E_IbLb1EEEEDaS1A_S1B_EUlS1A_E_NS1_11comp_targetILNS1_3genE9ELNS1_11target_archE1100ELNS1_3gpuE3ELNS1_3repE0EEENS1_30default_config_static_selectorELNS0_4arch9wavefront6targetE1EEEvT1_,"axG",@progbits,_ZN7rocprim17ROCPRIM_400000_NS6detail17trampoline_kernelINS0_14default_configENS1_25partition_config_selectorILNS1_17partition_subalgoE2ExNS0_10empty_typeEbEEZZNS1_14partition_implILS5_2ELb0ES3_jN6thrust23THRUST_200600_302600_NS6detail15normal_iteratorINSA_7pointerIxNSA_11hip_rocprim3tagENSA_11use_defaultESG_EEEEPS6_NSA_18transform_iteratorINSA_8identityIxEENSC_INSA_10device_ptrIxEEEESG_SG_EENS0_5tupleIJPxSJ_EEENSR_IJSJ_SJ_EEES6_PlJS6_EEE10hipError_tPvRmT3_T4_T5_T6_T7_T9_mT8_P12ihipStream_tbDpT10_ENKUlT_T0_E_clISt17integral_constantIbLb0EES1E_IbLb1EEEEDaS1A_S1B_EUlS1A_E_NS1_11comp_targetILNS1_3genE9ELNS1_11target_archE1100ELNS1_3gpuE3ELNS1_3repE0EEENS1_30default_config_static_selectorELNS0_4arch9wavefront6targetE1EEEvT1_,comdat
	.protected	_ZN7rocprim17ROCPRIM_400000_NS6detail17trampoline_kernelINS0_14default_configENS1_25partition_config_selectorILNS1_17partition_subalgoE2ExNS0_10empty_typeEbEEZZNS1_14partition_implILS5_2ELb0ES3_jN6thrust23THRUST_200600_302600_NS6detail15normal_iteratorINSA_7pointerIxNSA_11hip_rocprim3tagENSA_11use_defaultESG_EEEEPS6_NSA_18transform_iteratorINSA_8identityIxEENSC_INSA_10device_ptrIxEEEESG_SG_EENS0_5tupleIJPxSJ_EEENSR_IJSJ_SJ_EEES6_PlJS6_EEE10hipError_tPvRmT3_T4_T5_T6_T7_T9_mT8_P12ihipStream_tbDpT10_ENKUlT_T0_E_clISt17integral_constantIbLb0EES1E_IbLb1EEEEDaS1A_S1B_EUlS1A_E_NS1_11comp_targetILNS1_3genE9ELNS1_11target_archE1100ELNS1_3gpuE3ELNS1_3repE0EEENS1_30default_config_static_selectorELNS0_4arch9wavefront6targetE1EEEvT1_ ; -- Begin function _ZN7rocprim17ROCPRIM_400000_NS6detail17trampoline_kernelINS0_14default_configENS1_25partition_config_selectorILNS1_17partition_subalgoE2ExNS0_10empty_typeEbEEZZNS1_14partition_implILS5_2ELb0ES3_jN6thrust23THRUST_200600_302600_NS6detail15normal_iteratorINSA_7pointerIxNSA_11hip_rocprim3tagENSA_11use_defaultESG_EEEEPS6_NSA_18transform_iteratorINSA_8identityIxEENSC_INSA_10device_ptrIxEEEESG_SG_EENS0_5tupleIJPxSJ_EEENSR_IJSJ_SJ_EEES6_PlJS6_EEE10hipError_tPvRmT3_T4_T5_T6_T7_T9_mT8_P12ihipStream_tbDpT10_ENKUlT_T0_E_clISt17integral_constantIbLb0EES1E_IbLb1EEEEDaS1A_S1B_EUlS1A_E_NS1_11comp_targetILNS1_3genE9ELNS1_11target_archE1100ELNS1_3gpuE3ELNS1_3repE0EEENS1_30default_config_static_selectorELNS0_4arch9wavefront6targetE1EEEvT1_
	.globl	_ZN7rocprim17ROCPRIM_400000_NS6detail17trampoline_kernelINS0_14default_configENS1_25partition_config_selectorILNS1_17partition_subalgoE2ExNS0_10empty_typeEbEEZZNS1_14partition_implILS5_2ELb0ES3_jN6thrust23THRUST_200600_302600_NS6detail15normal_iteratorINSA_7pointerIxNSA_11hip_rocprim3tagENSA_11use_defaultESG_EEEEPS6_NSA_18transform_iteratorINSA_8identityIxEENSC_INSA_10device_ptrIxEEEESG_SG_EENS0_5tupleIJPxSJ_EEENSR_IJSJ_SJ_EEES6_PlJS6_EEE10hipError_tPvRmT3_T4_T5_T6_T7_T9_mT8_P12ihipStream_tbDpT10_ENKUlT_T0_E_clISt17integral_constantIbLb0EES1E_IbLb1EEEEDaS1A_S1B_EUlS1A_E_NS1_11comp_targetILNS1_3genE9ELNS1_11target_archE1100ELNS1_3gpuE3ELNS1_3repE0EEENS1_30default_config_static_selectorELNS0_4arch9wavefront6targetE1EEEvT1_
	.p2align	8
	.type	_ZN7rocprim17ROCPRIM_400000_NS6detail17trampoline_kernelINS0_14default_configENS1_25partition_config_selectorILNS1_17partition_subalgoE2ExNS0_10empty_typeEbEEZZNS1_14partition_implILS5_2ELb0ES3_jN6thrust23THRUST_200600_302600_NS6detail15normal_iteratorINSA_7pointerIxNSA_11hip_rocprim3tagENSA_11use_defaultESG_EEEEPS6_NSA_18transform_iteratorINSA_8identityIxEENSC_INSA_10device_ptrIxEEEESG_SG_EENS0_5tupleIJPxSJ_EEENSR_IJSJ_SJ_EEES6_PlJS6_EEE10hipError_tPvRmT3_T4_T5_T6_T7_T9_mT8_P12ihipStream_tbDpT10_ENKUlT_T0_E_clISt17integral_constantIbLb0EES1E_IbLb1EEEEDaS1A_S1B_EUlS1A_E_NS1_11comp_targetILNS1_3genE9ELNS1_11target_archE1100ELNS1_3gpuE3ELNS1_3repE0EEENS1_30default_config_static_selectorELNS0_4arch9wavefront6targetE1EEEvT1_,@function
_ZN7rocprim17ROCPRIM_400000_NS6detail17trampoline_kernelINS0_14default_configENS1_25partition_config_selectorILNS1_17partition_subalgoE2ExNS0_10empty_typeEbEEZZNS1_14partition_implILS5_2ELb0ES3_jN6thrust23THRUST_200600_302600_NS6detail15normal_iteratorINSA_7pointerIxNSA_11hip_rocprim3tagENSA_11use_defaultESG_EEEEPS6_NSA_18transform_iteratorINSA_8identityIxEENSC_INSA_10device_ptrIxEEEESG_SG_EENS0_5tupleIJPxSJ_EEENSR_IJSJ_SJ_EEES6_PlJS6_EEE10hipError_tPvRmT3_T4_T5_T6_T7_T9_mT8_P12ihipStream_tbDpT10_ENKUlT_T0_E_clISt17integral_constantIbLb0EES1E_IbLb1EEEEDaS1A_S1B_EUlS1A_E_NS1_11comp_targetILNS1_3genE9ELNS1_11target_archE1100ELNS1_3gpuE3ELNS1_3repE0EEENS1_30default_config_static_selectorELNS0_4arch9wavefront6targetE1EEEvT1_: ; @_ZN7rocprim17ROCPRIM_400000_NS6detail17trampoline_kernelINS0_14default_configENS1_25partition_config_selectorILNS1_17partition_subalgoE2ExNS0_10empty_typeEbEEZZNS1_14partition_implILS5_2ELb0ES3_jN6thrust23THRUST_200600_302600_NS6detail15normal_iteratorINSA_7pointerIxNSA_11hip_rocprim3tagENSA_11use_defaultESG_EEEEPS6_NSA_18transform_iteratorINSA_8identityIxEENSC_INSA_10device_ptrIxEEEESG_SG_EENS0_5tupleIJPxSJ_EEENSR_IJSJ_SJ_EEES6_PlJS6_EEE10hipError_tPvRmT3_T4_T5_T6_T7_T9_mT8_P12ihipStream_tbDpT10_ENKUlT_T0_E_clISt17integral_constantIbLb0EES1E_IbLb1EEEEDaS1A_S1B_EUlS1A_E_NS1_11comp_targetILNS1_3genE9ELNS1_11target_archE1100ELNS1_3gpuE3ELNS1_3repE0EEENS1_30default_config_static_selectorELNS0_4arch9wavefront6targetE1EEEvT1_
; %bb.0:
	.section	.rodata,"a",@progbits
	.p2align	6, 0x0
	.amdhsa_kernel _ZN7rocprim17ROCPRIM_400000_NS6detail17trampoline_kernelINS0_14default_configENS1_25partition_config_selectorILNS1_17partition_subalgoE2ExNS0_10empty_typeEbEEZZNS1_14partition_implILS5_2ELb0ES3_jN6thrust23THRUST_200600_302600_NS6detail15normal_iteratorINSA_7pointerIxNSA_11hip_rocprim3tagENSA_11use_defaultESG_EEEEPS6_NSA_18transform_iteratorINSA_8identityIxEENSC_INSA_10device_ptrIxEEEESG_SG_EENS0_5tupleIJPxSJ_EEENSR_IJSJ_SJ_EEES6_PlJS6_EEE10hipError_tPvRmT3_T4_T5_T6_T7_T9_mT8_P12ihipStream_tbDpT10_ENKUlT_T0_E_clISt17integral_constantIbLb0EES1E_IbLb1EEEEDaS1A_S1B_EUlS1A_E_NS1_11comp_targetILNS1_3genE9ELNS1_11target_archE1100ELNS1_3gpuE3ELNS1_3repE0EEENS1_30default_config_static_selectorELNS0_4arch9wavefront6targetE1EEEvT1_
		.amdhsa_group_segment_fixed_size 0
		.amdhsa_private_segment_fixed_size 0
		.amdhsa_kernarg_size 144
		.amdhsa_user_sgpr_count 6
		.amdhsa_user_sgpr_private_segment_buffer 1
		.amdhsa_user_sgpr_dispatch_ptr 0
		.amdhsa_user_sgpr_queue_ptr 0
		.amdhsa_user_sgpr_kernarg_segment_ptr 1
		.amdhsa_user_sgpr_dispatch_id 0
		.amdhsa_user_sgpr_flat_scratch_init 0
		.amdhsa_user_sgpr_kernarg_preload_length 0
		.amdhsa_user_sgpr_kernarg_preload_offset 0
		.amdhsa_user_sgpr_private_segment_size 0
		.amdhsa_uses_dynamic_stack 0
		.amdhsa_system_sgpr_private_segment_wavefront_offset 0
		.amdhsa_system_sgpr_workgroup_id_x 1
		.amdhsa_system_sgpr_workgroup_id_y 0
		.amdhsa_system_sgpr_workgroup_id_z 0
		.amdhsa_system_sgpr_workgroup_info 0
		.amdhsa_system_vgpr_workitem_id 0
		.amdhsa_next_free_vgpr 1
		.amdhsa_next_free_sgpr 0
		.amdhsa_accum_offset 4
		.amdhsa_reserve_vcc 0
		.amdhsa_reserve_flat_scratch 0
		.amdhsa_float_round_mode_32 0
		.amdhsa_float_round_mode_16_64 0
		.amdhsa_float_denorm_mode_32 3
		.amdhsa_float_denorm_mode_16_64 3
		.amdhsa_dx10_clamp 1
		.amdhsa_ieee_mode 1
		.amdhsa_fp16_overflow 0
		.amdhsa_tg_split 0
		.amdhsa_exception_fp_ieee_invalid_op 0
		.amdhsa_exception_fp_denorm_src 0
		.amdhsa_exception_fp_ieee_div_zero 0
		.amdhsa_exception_fp_ieee_overflow 0
		.amdhsa_exception_fp_ieee_underflow 0
		.amdhsa_exception_fp_ieee_inexact 0
		.amdhsa_exception_int_div_zero 0
	.end_amdhsa_kernel
	.section	.text._ZN7rocprim17ROCPRIM_400000_NS6detail17trampoline_kernelINS0_14default_configENS1_25partition_config_selectorILNS1_17partition_subalgoE2ExNS0_10empty_typeEbEEZZNS1_14partition_implILS5_2ELb0ES3_jN6thrust23THRUST_200600_302600_NS6detail15normal_iteratorINSA_7pointerIxNSA_11hip_rocprim3tagENSA_11use_defaultESG_EEEEPS6_NSA_18transform_iteratorINSA_8identityIxEENSC_INSA_10device_ptrIxEEEESG_SG_EENS0_5tupleIJPxSJ_EEENSR_IJSJ_SJ_EEES6_PlJS6_EEE10hipError_tPvRmT3_T4_T5_T6_T7_T9_mT8_P12ihipStream_tbDpT10_ENKUlT_T0_E_clISt17integral_constantIbLb0EES1E_IbLb1EEEEDaS1A_S1B_EUlS1A_E_NS1_11comp_targetILNS1_3genE9ELNS1_11target_archE1100ELNS1_3gpuE3ELNS1_3repE0EEENS1_30default_config_static_selectorELNS0_4arch9wavefront6targetE1EEEvT1_,"axG",@progbits,_ZN7rocprim17ROCPRIM_400000_NS6detail17trampoline_kernelINS0_14default_configENS1_25partition_config_selectorILNS1_17partition_subalgoE2ExNS0_10empty_typeEbEEZZNS1_14partition_implILS5_2ELb0ES3_jN6thrust23THRUST_200600_302600_NS6detail15normal_iteratorINSA_7pointerIxNSA_11hip_rocprim3tagENSA_11use_defaultESG_EEEEPS6_NSA_18transform_iteratorINSA_8identityIxEENSC_INSA_10device_ptrIxEEEESG_SG_EENS0_5tupleIJPxSJ_EEENSR_IJSJ_SJ_EEES6_PlJS6_EEE10hipError_tPvRmT3_T4_T5_T6_T7_T9_mT8_P12ihipStream_tbDpT10_ENKUlT_T0_E_clISt17integral_constantIbLb0EES1E_IbLb1EEEEDaS1A_S1B_EUlS1A_E_NS1_11comp_targetILNS1_3genE9ELNS1_11target_archE1100ELNS1_3gpuE3ELNS1_3repE0EEENS1_30default_config_static_selectorELNS0_4arch9wavefront6targetE1EEEvT1_,comdat
.Lfunc_end511:
	.size	_ZN7rocprim17ROCPRIM_400000_NS6detail17trampoline_kernelINS0_14default_configENS1_25partition_config_selectorILNS1_17partition_subalgoE2ExNS0_10empty_typeEbEEZZNS1_14partition_implILS5_2ELb0ES3_jN6thrust23THRUST_200600_302600_NS6detail15normal_iteratorINSA_7pointerIxNSA_11hip_rocprim3tagENSA_11use_defaultESG_EEEEPS6_NSA_18transform_iteratorINSA_8identityIxEENSC_INSA_10device_ptrIxEEEESG_SG_EENS0_5tupleIJPxSJ_EEENSR_IJSJ_SJ_EEES6_PlJS6_EEE10hipError_tPvRmT3_T4_T5_T6_T7_T9_mT8_P12ihipStream_tbDpT10_ENKUlT_T0_E_clISt17integral_constantIbLb0EES1E_IbLb1EEEEDaS1A_S1B_EUlS1A_E_NS1_11comp_targetILNS1_3genE9ELNS1_11target_archE1100ELNS1_3gpuE3ELNS1_3repE0EEENS1_30default_config_static_selectorELNS0_4arch9wavefront6targetE1EEEvT1_, .Lfunc_end511-_ZN7rocprim17ROCPRIM_400000_NS6detail17trampoline_kernelINS0_14default_configENS1_25partition_config_selectorILNS1_17partition_subalgoE2ExNS0_10empty_typeEbEEZZNS1_14partition_implILS5_2ELb0ES3_jN6thrust23THRUST_200600_302600_NS6detail15normal_iteratorINSA_7pointerIxNSA_11hip_rocprim3tagENSA_11use_defaultESG_EEEEPS6_NSA_18transform_iteratorINSA_8identityIxEENSC_INSA_10device_ptrIxEEEESG_SG_EENS0_5tupleIJPxSJ_EEENSR_IJSJ_SJ_EEES6_PlJS6_EEE10hipError_tPvRmT3_T4_T5_T6_T7_T9_mT8_P12ihipStream_tbDpT10_ENKUlT_T0_E_clISt17integral_constantIbLb0EES1E_IbLb1EEEEDaS1A_S1B_EUlS1A_E_NS1_11comp_targetILNS1_3genE9ELNS1_11target_archE1100ELNS1_3gpuE3ELNS1_3repE0EEENS1_30default_config_static_selectorELNS0_4arch9wavefront6targetE1EEEvT1_
                                        ; -- End function
	.section	.AMDGPU.csdata,"",@progbits
; Kernel info:
; codeLenInByte = 0
; NumSgprs: 4
; NumVgprs: 0
; NumAgprs: 0
; TotalNumVgprs: 0
; ScratchSize: 0
; MemoryBound: 0
; FloatMode: 240
; IeeeMode: 1
; LDSByteSize: 0 bytes/workgroup (compile time only)
; SGPRBlocks: 0
; VGPRBlocks: 0
; NumSGPRsForWavesPerEU: 4
; NumVGPRsForWavesPerEU: 1
; AccumOffset: 4
; Occupancy: 8
; WaveLimiterHint : 0
; COMPUTE_PGM_RSRC2:SCRATCH_EN: 0
; COMPUTE_PGM_RSRC2:USER_SGPR: 6
; COMPUTE_PGM_RSRC2:TRAP_HANDLER: 0
; COMPUTE_PGM_RSRC2:TGID_X_EN: 1
; COMPUTE_PGM_RSRC2:TGID_Y_EN: 0
; COMPUTE_PGM_RSRC2:TGID_Z_EN: 0
; COMPUTE_PGM_RSRC2:TIDIG_COMP_CNT: 0
; COMPUTE_PGM_RSRC3_GFX90A:ACCUM_OFFSET: 0
; COMPUTE_PGM_RSRC3_GFX90A:TG_SPLIT: 0
	.section	.text._ZN7rocprim17ROCPRIM_400000_NS6detail17trampoline_kernelINS0_14default_configENS1_25partition_config_selectorILNS1_17partition_subalgoE2ExNS0_10empty_typeEbEEZZNS1_14partition_implILS5_2ELb0ES3_jN6thrust23THRUST_200600_302600_NS6detail15normal_iteratorINSA_7pointerIxNSA_11hip_rocprim3tagENSA_11use_defaultESG_EEEEPS6_NSA_18transform_iteratorINSA_8identityIxEENSC_INSA_10device_ptrIxEEEESG_SG_EENS0_5tupleIJPxSJ_EEENSR_IJSJ_SJ_EEES6_PlJS6_EEE10hipError_tPvRmT3_T4_T5_T6_T7_T9_mT8_P12ihipStream_tbDpT10_ENKUlT_T0_E_clISt17integral_constantIbLb0EES1E_IbLb1EEEEDaS1A_S1B_EUlS1A_E_NS1_11comp_targetILNS1_3genE8ELNS1_11target_archE1030ELNS1_3gpuE2ELNS1_3repE0EEENS1_30default_config_static_selectorELNS0_4arch9wavefront6targetE1EEEvT1_,"axG",@progbits,_ZN7rocprim17ROCPRIM_400000_NS6detail17trampoline_kernelINS0_14default_configENS1_25partition_config_selectorILNS1_17partition_subalgoE2ExNS0_10empty_typeEbEEZZNS1_14partition_implILS5_2ELb0ES3_jN6thrust23THRUST_200600_302600_NS6detail15normal_iteratorINSA_7pointerIxNSA_11hip_rocprim3tagENSA_11use_defaultESG_EEEEPS6_NSA_18transform_iteratorINSA_8identityIxEENSC_INSA_10device_ptrIxEEEESG_SG_EENS0_5tupleIJPxSJ_EEENSR_IJSJ_SJ_EEES6_PlJS6_EEE10hipError_tPvRmT3_T4_T5_T6_T7_T9_mT8_P12ihipStream_tbDpT10_ENKUlT_T0_E_clISt17integral_constantIbLb0EES1E_IbLb1EEEEDaS1A_S1B_EUlS1A_E_NS1_11comp_targetILNS1_3genE8ELNS1_11target_archE1030ELNS1_3gpuE2ELNS1_3repE0EEENS1_30default_config_static_selectorELNS0_4arch9wavefront6targetE1EEEvT1_,comdat
	.protected	_ZN7rocprim17ROCPRIM_400000_NS6detail17trampoline_kernelINS0_14default_configENS1_25partition_config_selectorILNS1_17partition_subalgoE2ExNS0_10empty_typeEbEEZZNS1_14partition_implILS5_2ELb0ES3_jN6thrust23THRUST_200600_302600_NS6detail15normal_iteratorINSA_7pointerIxNSA_11hip_rocprim3tagENSA_11use_defaultESG_EEEEPS6_NSA_18transform_iteratorINSA_8identityIxEENSC_INSA_10device_ptrIxEEEESG_SG_EENS0_5tupleIJPxSJ_EEENSR_IJSJ_SJ_EEES6_PlJS6_EEE10hipError_tPvRmT3_T4_T5_T6_T7_T9_mT8_P12ihipStream_tbDpT10_ENKUlT_T0_E_clISt17integral_constantIbLb0EES1E_IbLb1EEEEDaS1A_S1B_EUlS1A_E_NS1_11comp_targetILNS1_3genE8ELNS1_11target_archE1030ELNS1_3gpuE2ELNS1_3repE0EEENS1_30default_config_static_selectorELNS0_4arch9wavefront6targetE1EEEvT1_ ; -- Begin function _ZN7rocprim17ROCPRIM_400000_NS6detail17trampoline_kernelINS0_14default_configENS1_25partition_config_selectorILNS1_17partition_subalgoE2ExNS0_10empty_typeEbEEZZNS1_14partition_implILS5_2ELb0ES3_jN6thrust23THRUST_200600_302600_NS6detail15normal_iteratorINSA_7pointerIxNSA_11hip_rocprim3tagENSA_11use_defaultESG_EEEEPS6_NSA_18transform_iteratorINSA_8identityIxEENSC_INSA_10device_ptrIxEEEESG_SG_EENS0_5tupleIJPxSJ_EEENSR_IJSJ_SJ_EEES6_PlJS6_EEE10hipError_tPvRmT3_T4_T5_T6_T7_T9_mT8_P12ihipStream_tbDpT10_ENKUlT_T0_E_clISt17integral_constantIbLb0EES1E_IbLb1EEEEDaS1A_S1B_EUlS1A_E_NS1_11comp_targetILNS1_3genE8ELNS1_11target_archE1030ELNS1_3gpuE2ELNS1_3repE0EEENS1_30default_config_static_selectorELNS0_4arch9wavefront6targetE1EEEvT1_
	.globl	_ZN7rocprim17ROCPRIM_400000_NS6detail17trampoline_kernelINS0_14default_configENS1_25partition_config_selectorILNS1_17partition_subalgoE2ExNS0_10empty_typeEbEEZZNS1_14partition_implILS5_2ELb0ES3_jN6thrust23THRUST_200600_302600_NS6detail15normal_iteratorINSA_7pointerIxNSA_11hip_rocprim3tagENSA_11use_defaultESG_EEEEPS6_NSA_18transform_iteratorINSA_8identityIxEENSC_INSA_10device_ptrIxEEEESG_SG_EENS0_5tupleIJPxSJ_EEENSR_IJSJ_SJ_EEES6_PlJS6_EEE10hipError_tPvRmT3_T4_T5_T6_T7_T9_mT8_P12ihipStream_tbDpT10_ENKUlT_T0_E_clISt17integral_constantIbLb0EES1E_IbLb1EEEEDaS1A_S1B_EUlS1A_E_NS1_11comp_targetILNS1_3genE8ELNS1_11target_archE1030ELNS1_3gpuE2ELNS1_3repE0EEENS1_30default_config_static_selectorELNS0_4arch9wavefront6targetE1EEEvT1_
	.p2align	8
	.type	_ZN7rocprim17ROCPRIM_400000_NS6detail17trampoline_kernelINS0_14default_configENS1_25partition_config_selectorILNS1_17partition_subalgoE2ExNS0_10empty_typeEbEEZZNS1_14partition_implILS5_2ELb0ES3_jN6thrust23THRUST_200600_302600_NS6detail15normal_iteratorINSA_7pointerIxNSA_11hip_rocprim3tagENSA_11use_defaultESG_EEEEPS6_NSA_18transform_iteratorINSA_8identityIxEENSC_INSA_10device_ptrIxEEEESG_SG_EENS0_5tupleIJPxSJ_EEENSR_IJSJ_SJ_EEES6_PlJS6_EEE10hipError_tPvRmT3_T4_T5_T6_T7_T9_mT8_P12ihipStream_tbDpT10_ENKUlT_T0_E_clISt17integral_constantIbLb0EES1E_IbLb1EEEEDaS1A_S1B_EUlS1A_E_NS1_11comp_targetILNS1_3genE8ELNS1_11target_archE1030ELNS1_3gpuE2ELNS1_3repE0EEENS1_30default_config_static_selectorELNS0_4arch9wavefront6targetE1EEEvT1_,@function
_ZN7rocprim17ROCPRIM_400000_NS6detail17trampoline_kernelINS0_14default_configENS1_25partition_config_selectorILNS1_17partition_subalgoE2ExNS0_10empty_typeEbEEZZNS1_14partition_implILS5_2ELb0ES3_jN6thrust23THRUST_200600_302600_NS6detail15normal_iteratorINSA_7pointerIxNSA_11hip_rocprim3tagENSA_11use_defaultESG_EEEEPS6_NSA_18transform_iteratorINSA_8identityIxEENSC_INSA_10device_ptrIxEEEESG_SG_EENS0_5tupleIJPxSJ_EEENSR_IJSJ_SJ_EEES6_PlJS6_EEE10hipError_tPvRmT3_T4_T5_T6_T7_T9_mT8_P12ihipStream_tbDpT10_ENKUlT_T0_E_clISt17integral_constantIbLb0EES1E_IbLb1EEEEDaS1A_S1B_EUlS1A_E_NS1_11comp_targetILNS1_3genE8ELNS1_11target_archE1030ELNS1_3gpuE2ELNS1_3repE0EEENS1_30default_config_static_selectorELNS0_4arch9wavefront6targetE1EEEvT1_: ; @_ZN7rocprim17ROCPRIM_400000_NS6detail17trampoline_kernelINS0_14default_configENS1_25partition_config_selectorILNS1_17partition_subalgoE2ExNS0_10empty_typeEbEEZZNS1_14partition_implILS5_2ELb0ES3_jN6thrust23THRUST_200600_302600_NS6detail15normal_iteratorINSA_7pointerIxNSA_11hip_rocprim3tagENSA_11use_defaultESG_EEEEPS6_NSA_18transform_iteratorINSA_8identityIxEENSC_INSA_10device_ptrIxEEEESG_SG_EENS0_5tupleIJPxSJ_EEENSR_IJSJ_SJ_EEES6_PlJS6_EEE10hipError_tPvRmT3_T4_T5_T6_T7_T9_mT8_P12ihipStream_tbDpT10_ENKUlT_T0_E_clISt17integral_constantIbLb0EES1E_IbLb1EEEEDaS1A_S1B_EUlS1A_E_NS1_11comp_targetILNS1_3genE8ELNS1_11target_archE1030ELNS1_3gpuE2ELNS1_3repE0EEENS1_30default_config_static_selectorELNS0_4arch9wavefront6targetE1EEEvT1_
; %bb.0:
	.section	.rodata,"a",@progbits
	.p2align	6, 0x0
	.amdhsa_kernel _ZN7rocprim17ROCPRIM_400000_NS6detail17trampoline_kernelINS0_14default_configENS1_25partition_config_selectorILNS1_17partition_subalgoE2ExNS0_10empty_typeEbEEZZNS1_14partition_implILS5_2ELb0ES3_jN6thrust23THRUST_200600_302600_NS6detail15normal_iteratorINSA_7pointerIxNSA_11hip_rocprim3tagENSA_11use_defaultESG_EEEEPS6_NSA_18transform_iteratorINSA_8identityIxEENSC_INSA_10device_ptrIxEEEESG_SG_EENS0_5tupleIJPxSJ_EEENSR_IJSJ_SJ_EEES6_PlJS6_EEE10hipError_tPvRmT3_T4_T5_T6_T7_T9_mT8_P12ihipStream_tbDpT10_ENKUlT_T0_E_clISt17integral_constantIbLb0EES1E_IbLb1EEEEDaS1A_S1B_EUlS1A_E_NS1_11comp_targetILNS1_3genE8ELNS1_11target_archE1030ELNS1_3gpuE2ELNS1_3repE0EEENS1_30default_config_static_selectorELNS0_4arch9wavefront6targetE1EEEvT1_
		.amdhsa_group_segment_fixed_size 0
		.amdhsa_private_segment_fixed_size 0
		.amdhsa_kernarg_size 144
		.amdhsa_user_sgpr_count 6
		.amdhsa_user_sgpr_private_segment_buffer 1
		.amdhsa_user_sgpr_dispatch_ptr 0
		.amdhsa_user_sgpr_queue_ptr 0
		.amdhsa_user_sgpr_kernarg_segment_ptr 1
		.amdhsa_user_sgpr_dispatch_id 0
		.amdhsa_user_sgpr_flat_scratch_init 0
		.amdhsa_user_sgpr_kernarg_preload_length 0
		.amdhsa_user_sgpr_kernarg_preload_offset 0
		.amdhsa_user_sgpr_private_segment_size 0
		.amdhsa_uses_dynamic_stack 0
		.amdhsa_system_sgpr_private_segment_wavefront_offset 0
		.amdhsa_system_sgpr_workgroup_id_x 1
		.amdhsa_system_sgpr_workgroup_id_y 0
		.amdhsa_system_sgpr_workgroup_id_z 0
		.amdhsa_system_sgpr_workgroup_info 0
		.amdhsa_system_vgpr_workitem_id 0
		.amdhsa_next_free_vgpr 1
		.amdhsa_next_free_sgpr 0
		.amdhsa_accum_offset 4
		.amdhsa_reserve_vcc 0
		.amdhsa_reserve_flat_scratch 0
		.amdhsa_float_round_mode_32 0
		.amdhsa_float_round_mode_16_64 0
		.amdhsa_float_denorm_mode_32 3
		.amdhsa_float_denorm_mode_16_64 3
		.amdhsa_dx10_clamp 1
		.amdhsa_ieee_mode 1
		.amdhsa_fp16_overflow 0
		.amdhsa_tg_split 0
		.amdhsa_exception_fp_ieee_invalid_op 0
		.amdhsa_exception_fp_denorm_src 0
		.amdhsa_exception_fp_ieee_div_zero 0
		.amdhsa_exception_fp_ieee_overflow 0
		.amdhsa_exception_fp_ieee_underflow 0
		.amdhsa_exception_fp_ieee_inexact 0
		.amdhsa_exception_int_div_zero 0
	.end_amdhsa_kernel
	.section	.text._ZN7rocprim17ROCPRIM_400000_NS6detail17trampoline_kernelINS0_14default_configENS1_25partition_config_selectorILNS1_17partition_subalgoE2ExNS0_10empty_typeEbEEZZNS1_14partition_implILS5_2ELb0ES3_jN6thrust23THRUST_200600_302600_NS6detail15normal_iteratorINSA_7pointerIxNSA_11hip_rocprim3tagENSA_11use_defaultESG_EEEEPS6_NSA_18transform_iteratorINSA_8identityIxEENSC_INSA_10device_ptrIxEEEESG_SG_EENS0_5tupleIJPxSJ_EEENSR_IJSJ_SJ_EEES6_PlJS6_EEE10hipError_tPvRmT3_T4_T5_T6_T7_T9_mT8_P12ihipStream_tbDpT10_ENKUlT_T0_E_clISt17integral_constantIbLb0EES1E_IbLb1EEEEDaS1A_S1B_EUlS1A_E_NS1_11comp_targetILNS1_3genE8ELNS1_11target_archE1030ELNS1_3gpuE2ELNS1_3repE0EEENS1_30default_config_static_selectorELNS0_4arch9wavefront6targetE1EEEvT1_,"axG",@progbits,_ZN7rocprim17ROCPRIM_400000_NS6detail17trampoline_kernelINS0_14default_configENS1_25partition_config_selectorILNS1_17partition_subalgoE2ExNS0_10empty_typeEbEEZZNS1_14partition_implILS5_2ELb0ES3_jN6thrust23THRUST_200600_302600_NS6detail15normal_iteratorINSA_7pointerIxNSA_11hip_rocprim3tagENSA_11use_defaultESG_EEEEPS6_NSA_18transform_iteratorINSA_8identityIxEENSC_INSA_10device_ptrIxEEEESG_SG_EENS0_5tupleIJPxSJ_EEENSR_IJSJ_SJ_EEES6_PlJS6_EEE10hipError_tPvRmT3_T4_T5_T6_T7_T9_mT8_P12ihipStream_tbDpT10_ENKUlT_T0_E_clISt17integral_constantIbLb0EES1E_IbLb1EEEEDaS1A_S1B_EUlS1A_E_NS1_11comp_targetILNS1_3genE8ELNS1_11target_archE1030ELNS1_3gpuE2ELNS1_3repE0EEENS1_30default_config_static_selectorELNS0_4arch9wavefront6targetE1EEEvT1_,comdat
.Lfunc_end512:
	.size	_ZN7rocprim17ROCPRIM_400000_NS6detail17trampoline_kernelINS0_14default_configENS1_25partition_config_selectorILNS1_17partition_subalgoE2ExNS0_10empty_typeEbEEZZNS1_14partition_implILS5_2ELb0ES3_jN6thrust23THRUST_200600_302600_NS6detail15normal_iteratorINSA_7pointerIxNSA_11hip_rocprim3tagENSA_11use_defaultESG_EEEEPS6_NSA_18transform_iteratorINSA_8identityIxEENSC_INSA_10device_ptrIxEEEESG_SG_EENS0_5tupleIJPxSJ_EEENSR_IJSJ_SJ_EEES6_PlJS6_EEE10hipError_tPvRmT3_T4_T5_T6_T7_T9_mT8_P12ihipStream_tbDpT10_ENKUlT_T0_E_clISt17integral_constantIbLb0EES1E_IbLb1EEEEDaS1A_S1B_EUlS1A_E_NS1_11comp_targetILNS1_3genE8ELNS1_11target_archE1030ELNS1_3gpuE2ELNS1_3repE0EEENS1_30default_config_static_selectorELNS0_4arch9wavefront6targetE1EEEvT1_, .Lfunc_end512-_ZN7rocprim17ROCPRIM_400000_NS6detail17trampoline_kernelINS0_14default_configENS1_25partition_config_selectorILNS1_17partition_subalgoE2ExNS0_10empty_typeEbEEZZNS1_14partition_implILS5_2ELb0ES3_jN6thrust23THRUST_200600_302600_NS6detail15normal_iteratorINSA_7pointerIxNSA_11hip_rocprim3tagENSA_11use_defaultESG_EEEEPS6_NSA_18transform_iteratorINSA_8identityIxEENSC_INSA_10device_ptrIxEEEESG_SG_EENS0_5tupleIJPxSJ_EEENSR_IJSJ_SJ_EEES6_PlJS6_EEE10hipError_tPvRmT3_T4_T5_T6_T7_T9_mT8_P12ihipStream_tbDpT10_ENKUlT_T0_E_clISt17integral_constantIbLb0EES1E_IbLb1EEEEDaS1A_S1B_EUlS1A_E_NS1_11comp_targetILNS1_3genE8ELNS1_11target_archE1030ELNS1_3gpuE2ELNS1_3repE0EEENS1_30default_config_static_selectorELNS0_4arch9wavefront6targetE1EEEvT1_
                                        ; -- End function
	.section	.AMDGPU.csdata,"",@progbits
; Kernel info:
; codeLenInByte = 0
; NumSgprs: 4
; NumVgprs: 0
; NumAgprs: 0
; TotalNumVgprs: 0
; ScratchSize: 0
; MemoryBound: 0
; FloatMode: 240
; IeeeMode: 1
; LDSByteSize: 0 bytes/workgroup (compile time only)
; SGPRBlocks: 0
; VGPRBlocks: 0
; NumSGPRsForWavesPerEU: 4
; NumVGPRsForWavesPerEU: 1
; AccumOffset: 4
; Occupancy: 8
; WaveLimiterHint : 0
; COMPUTE_PGM_RSRC2:SCRATCH_EN: 0
; COMPUTE_PGM_RSRC2:USER_SGPR: 6
; COMPUTE_PGM_RSRC2:TRAP_HANDLER: 0
; COMPUTE_PGM_RSRC2:TGID_X_EN: 1
; COMPUTE_PGM_RSRC2:TGID_Y_EN: 0
; COMPUTE_PGM_RSRC2:TGID_Z_EN: 0
; COMPUTE_PGM_RSRC2:TIDIG_COMP_CNT: 0
; COMPUTE_PGM_RSRC3_GFX90A:ACCUM_OFFSET: 0
; COMPUTE_PGM_RSRC3_GFX90A:TG_SPLIT: 0
	.section	.text._ZN7rocprim17ROCPRIM_400000_NS6detail17trampoline_kernelINS0_14default_configENS1_25partition_config_selectorILNS1_17partition_subalgoE2EiNS0_10empty_typeEbEEZZNS1_14partition_implILS5_2ELb0ES3_jN6thrust23THRUST_200600_302600_NS6detail15normal_iteratorINSA_7pointerIiNSA_11hip_rocprim3tagENSA_11use_defaultESG_EEEEPS6_NSA_18transform_iteratorINSA_8identityIiEENSC_INSA_10device_ptrIiEEEESG_SG_EENS0_5tupleIJPiSJ_EEENSR_IJSJ_SJ_EEES6_PlJS6_EEE10hipError_tPvRmT3_T4_T5_T6_T7_T9_mT8_P12ihipStream_tbDpT10_ENKUlT_T0_E_clISt17integral_constantIbLb0EES1F_EEDaS1A_S1B_EUlS1A_E_NS1_11comp_targetILNS1_3genE0ELNS1_11target_archE4294967295ELNS1_3gpuE0ELNS1_3repE0EEENS1_30default_config_static_selectorELNS0_4arch9wavefront6targetE1EEEvT1_,"axG",@progbits,_ZN7rocprim17ROCPRIM_400000_NS6detail17trampoline_kernelINS0_14default_configENS1_25partition_config_selectorILNS1_17partition_subalgoE2EiNS0_10empty_typeEbEEZZNS1_14partition_implILS5_2ELb0ES3_jN6thrust23THRUST_200600_302600_NS6detail15normal_iteratorINSA_7pointerIiNSA_11hip_rocprim3tagENSA_11use_defaultESG_EEEEPS6_NSA_18transform_iteratorINSA_8identityIiEENSC_INSA_10device_ptrIiEEEESG_SG_EENS0_5tupleIJPiSJ_EEENSR_IJSJ_SJ_EEES6_PlJS6_EEE10hipError_tPvRmT3_T4_T5_T6_T7_T9_mT8_P12ihipStream_tbDpT10_ENKUlT_T0_E_clISt17integral_constantIbLb0EES1F_EEDaS1A_S1B_EUlS1A_E_NS1_11comp_targetILNS1_3genE0ELNS1_11target_archE4294967295ELNS1_3gpuE0ELNS1_3repE0EEENS1_30default_config_static_selectorELNS0_4arch9wavefront6targetE1EEEvT1_,comdat
	.protected	_ZN7rocprim17ROCPRIM_400000_NS6detail17trampoline_kernelINS0_14default_configENS1_25partition_config_selectorILNS1_17partition_subalgoE2EiNS0_10empty_typeEbEEZZNS1_14partition_implILS5_2ELb0ES3_jN6thrust23THRUST_200600_302600_NS6detail15normal_iteratorINSA_7pointerIiNSA_11hip_rocprim3tagENSA_11use_defaultESG_EEEEPS6_NSA_18transform_iteratorINSA_8identityIiEENSC_INSA_10device_ptrIiEEEESG_SG_EENS0_5tupleIJPiSJ_EEENSR_IJSJ_SJ_EEES6_PlJS6_EEE10hipError_tPvRmT3_T4_T5_T6_T7_T9_mT8_P12ihipStream_tbDpT10_ENKUlT_T0_E_clISt17integral_constantIbLb0EES1F_EEDaS1A_S1B_EUlS1A_E_NS1_11comp_targetILNS1_3genE0ELNS1_11target_archE4294967295ELNS1_3gpuE0ELNS1_3repE0EEENS1_30default_config_static_selectorELNS0_4arch9wavefront6targetE1EEEvT1_ ; -- Begin function _ZN7rocprim17ROCPRIM_400000_NS6detail17trampoline_kernelINS0_14default_configENS1_25partition_config_selectorILNS1_17partition_subalgoE2EiNS0_10empty_typeEbEEZZNS1_14partition_implILS5_2ELb0ES3_jN6thrust23THRUST_200600_302600_NS6detail15normal_iteratorINSA_7pointerIiNSA_11hip_rocprim3tagENSA_11use_defaultESG_EEEEPS6_NSA_18transform_iteratorINSA_8identityIiEENSC_INSA_10device_ptrIiEEEESG_SG_EENS0_5tupleIJPiSJ_EEENSR_IJSJ_SJ_EEES6_PlJS6_EEE10hipError_tPvRmT3_T4_T5_T6_T7_T9_mT8_P12ihipStream_tbDpT10_ENKUlT_T0_E_clISt17integral_constantIbLb0EES1F_EEDaS1A_S1B_EUlS1A_E_NS1_11comp_targetILNS1_3genE0ELNS1_11target_archE4294967295ELNS1_3gpuE0ELNS1_3repE0EEENS1_30default_config_static_selectorELNS0_4arch9wavefront6targetE1EEEvT1_
	.globl	_ZN7rocprim17ROCPRIM_400000_NS6detail17trampoline_kernelINS0_14default_configENS1_25partition_config_selectorILNS1_17partition_subalgoE2EiNS0_10empty_typeEbEEZZNS1_14partition_implILS5_2ELb0ES3_jN6thrust23THRUST_200600_302600_NS6detail15normal_iteratorINSA_7pointerIiNSA_11hip_rocprim3tagENSA_11use_defaultESG_EEEEPS6_NSA_18transform_iteratorINSA_8identityIiEENSC_INSA_10device_ptrIiEEEESG_SG_EENS0_5tupleIJPiSJ_EEENSR_IJSJ_SJ_EEES6_PlJS6_EEE10hipError_tPvRmT3_T4_T5_T6_T7_T9_mT8_P12ihipStream_tbDpT10_ENKUlT_T0_E_clISt17integral_constantIbLb0EES1F_EEDaS1A_S1B_EUlS1A_E_NS1_11comp_targetILNS1_3genE0ELNS1_11target_archE4294967295ELNS1_3gpuE0ELNS1_3repE0EEENS1_30default_config_static_selectorELNS0_4arch9wavefront6targetE1EEEvT1_
	.p2align	8
	.type	_ZN7rocprim17ROCPRIM_400000_NS6detail17trampoline_kernelINS0_14default_configENS1_25partition_config_selectorILNS1_17partition_subalgoE2EiNS0_10empty_typeEbEEZZNS1_14partition_implILS5_2ELb0ES3_jN6thrust23THRUST_200600_302600_NS6detail15normal_iteratorINSA_7pointerIiNSA_11hip_rocprim3tagENSA_11use_defaultESG_EEEEPS6_NSA_18transform_iteratorINSA_8identityIiEENSC_INSA_10device_ptrIiEEEESG_SG_EENS0_5tupleIJPiSJ_EEENSR_IJSJ_SJ_EEES6_PlJS6_EEE10hipError_tPvRmT3_T4_T5_T6_T7_T9_mT8_P12ihipStream_tbDpT10_ENKUlT_T0_E_clISt17integral_constantIbLb0EES1F_EEDaS1A_S1B_EUlS1A_E_NS1_11comp_targetILNS1_3genE0ELNS1_11target_archE4294967295ELNS1_3gpuE0ELNS1_3repE0EEENS1_30default_config_static_selectorELNS0_4arch9wavefront6targetE1EEEvT1_,@function
_ZN7rocprim17ROCPRIM_400000_NS6detail17trampoline_kernelINS0_14default_configENS1_25partition_config_selectorILNS1_17partition_subalgoE2EiNS0_10empty_typeEbEEZZNS1_14partition_implILS5_2ELb0ES3_jN6thrust23THRUST_200600_302600_NS6detail15normal_iteratorINSA_7pointerIiNSA_11hip_rocprim3tagENSA_11use_defaultESG_EEEEPS6_NSA_18transform_iteratorINSA_8identityIiEENSC_INSA_10device_ptrIiEEEESG_SG_EENS0_5tupleIJPiSJ_EEENSR_IJSJ_SJ_EEES6_PlJS6_EEE10hipError_tPvRmT3_T4_T5_T6_T7_T9_mT8_P12ihipStream_tbDpT10_ENKUlT_T0_E_clISt17integral_constantIbLb0EES1F_EEDaS1A_S1B_EUlS1A_E_NS1_11comp_targetILNS1_3genE0ELNS1_11target_archE4294967295ELNS1_3gpuE0ELNS1_3repE0EEENS1_30default_config_static_selectorELNS0_4arch9wavefront6targetE1EEEvT1_: ; @_ZN7rocprim17ROCPRIM_400000_NS6detail17trampoline_kernelINS0_14default_configENS1_25partition_config_selectorILNS1_17partition_subalgoE2EiNS0_10empty_typeEbEEZZNS1_14partition_implILS5_2ELb0ES3_jN6thrust23THRUST_200600_302600_NS6detail15normal_iteratorINSA_7pointerIiNSA_11hip_rocprim3tagENSA_11use_defaultESG_EEEEPS6_NSA_18transform_iteratorINSA_8identityIiEENSC_INSA_10device_ptrIiEEEESG_SG_EENS0_5tupleIJPiSJ_EEENSR_IJSJ_SJ_EEES6_PlJS6_EEE10hipError_tPvRmT3_T4_T5_T6_T7_T9_mT8_P12ihipStream_tbDpT10_ENKUlT_T0_E_clISt17integral_constantIbLb0EES1F_EEDaS1A_S1B_EUlS1A_E_NS1_11comp_targetILNS1_3genE0ELNS1_11target_archE4294967295ELNS1_3gpuE0ELNS1_3repE0EEENS1_30default_config_static_selectorELNS0_4arch9wavefront6targetE1EEEvT1_
; %bb.0:
	.section	.rodata,"a",@progbits
	.p2align	6, 0x0
	.amdhsa_kernel _ZN7rocprim17ROCPRIM_400000_NS6detail17trampoline_kernelINS0_14default_configENS1_25partition_config_selectorILNS1_17partition_subalgoE2EiNS0_10empty_typeEbEEZZNS1_14partition_implILS5_2ELb0ES3_jN6thrust23THRUST_200600_302600_NS6detail15normal_iteratorINSA_7pointerIiNSA_11hip_rocprim3tagENSA_11use_defaultESG_EEEEPS6_NSA_18transform_iteratorINSA_8identityIiEENSC_INSA_10device_ptrIiEEEESG_SG_EENS0_5tupleIJPiSJ_EEENSR_IJSJ_SJ_EEES6_PlJS6_EEE10hipError_tPvRmT3_T4_T5_T6_T7_T9_mT8_P12ihipStream_tbDpT10_ENKUlT_T0_E_clISt17integral_constantIbLb0EES1F_EEDaS1A_S1B_EUlS1A_E_NS1_11comp_targetILNS1_3genE0ELNS1_11target_archE4294967295ELNS1_3gpuE0ELNS1_3repE0EEENS1_30default_config_static_selectorELNS0_4arch9wavefront6targetE1EEEvT1_
		.amdhsa_group_segment_fixed_size 0
		.amdhsa_private_segment_fixed_size 0
		.amdhsa_kernarg_size 128
		.amdhsa_user_sgpr_count 6
		.amdhsa_user_sgpr_private_segment_buffer 1
		.amdhsa_user_sgpr_dispatch_ptr 0
		.amdhsa_user_sgpr_queue_ptr 0
		.amdhsa_user_sgpr_kernarg_segment_ptr 1
		.amdhsa_user_sgpr_dispatch_id 0
		.amdhsa_user_sgpr_flat_scratch_init 0
		.amdhsa_user_sgpr_kernarg_preload_length 0
		.amdhsa_user_sgpr_kernarg_preload_offset 0
		.amdhsa_user_sgpr_private_segment_size 0
		.amdhsa_uses_dynamic_stack 0
		.amdhsa_system_sgpr_private_segment_wavefront_offset 0
		.amdhsa_system_sgpr_workgroup_id_x 1
		.amdhsa_system_sgpr_workgroup_id_y 0
		.amdhsa_system_sgpr_workgroup_id_z 0
		.amdhsa_system_sgpr_workgroup_info 0
		.amdhsa_system_vgpr_workitem_id 0
		.amdhsa_next_free_vgpr 1
		.amdhsa_next_free_sgpr 0
		.amdhsa_accum_offset 4
		.amdhsa_reserve_vcc 0
		.amdhsa_reserve_flat_scratch 0
		.amdhsa_float_round_mode_32 0
		.amdhsa_float_round_mode_16_64 0
		.amdhsa_float_denorm_mode_32 3
		.amdhsa_float_denorm_mode_16_64 3
		.amdhsa_dx10_clamp 1
		.amdhsa_ieee_mode 1
		.amdhsa_fp16_overflow 0
		.amdhsa_tg_split 0
		.amdhsa_exception_fp_ieee_invalid_op 0
		.amdhsa_exception_fp_denorm_src 0
		.amdhsa_exception_fp_ieee_div_zero 0
		.amdhsa_exception_fp_ieee_overflow 0
		.amdhsa_exception_fp_ieee_underflow 0
		.amdhsa_exception_fp_ieee_inexact 0
		.amdhsa_exception_int_div_zero 0
	.end_amdhsa_kernel
	.section	.text._ZN7rocprim17ROCPRIM_400000_NS6detail17trampoline_kernelINS0_14default_configENS1_25partition_config_selectorILNS1_17partition_subalgoE2EiNS0_10empty_typeEbEEZZNS1_14partition_implILS5_2ELb0ES3_jN6thrust23THRUST_200600_302600_NS6detail15normal_iteratorINSA_7pointerIiNSA_11hip_rocprim3tagENSA_11use_defaultESG_EEEEPS6_NSA_18transform_iteratorINSA_8identityIiEENSC_INSA_10device_ptrIiEEEESG_SG_EENS0_5tupleIJPiSJ_EEENSR_IJSJ_SJ_EEES6_PlJS6_EEE10hipError_tPvRmT3_T4_T5_T6_T7_T9_mT8_P12ihipStream_tbDpT10_ENKUlT_T0_E_clISt17integral_constantIbLb0EES1F_EEDaS1A_S1B_EUlS1A_E_NS1_11comp_targetILNS1_3genE0ELNS1_11target_archE4294967295ELNS1_3gpuE0ELNS1_3repE0EEENS1_30default_config_static_selectorELNS0_4arch9wavefront6targetE1EEEvT1_,"axG",@progbits,_ZN7rocprim17ROCPRIM_400000_NS6detail17trampoline_kernelINS0_14default_configENS1_25partition_config_selectorILNS1_17partition_subalgoE2EiNS0_10empty_typeEbEEZZNS1_14partition_implILS5_2ELb0ES3_jN6thrust23THRUST_200600_302600_NS6detail15normal_iteratorINSA_7pointerIiNSA_11hip_rocprim3tagENSA_11use_defaultESG_EEEEPS6_NSA_18transform_iteratorINSA_8identityIiEENSC_INSA_10device_ptrIiEEEESG_SG_EENS0_5tupleIJPiSJ_EEENSR_IJSJ_SJ_EEES6_PlJS6_EEE10hipError_tPvRmT3_T4_T5_T6_T7_T9_mT8_P12ihipStream_tbDpT10_ENKUlT_T0_E_clISt17integral_constantIbLb0EES1F_EEDaS1A_S1B_EUlS1A_E_NS1_11comp_targetILNS1_3genE0ELNS1_11target_archE4294967295ELNS1_3gpuE0ELNS1_3repE0EEENS1_30default_config_static_selectorELNS0_4arch9wavefront6targetE1EEEvT1_,comdat
.Lfunc_end513:
	.size	_ZN7rocprim17ROCPRIM_400000_NS6detail17trampoline_kernelINS0_14default_configENS1_25partition_config_selectorILNS1_17partition_subalgoE2EiNS0_10empty_typeEbEEZZNS1_14partition_implILS5_2ELb0ES3_jN6thrust23THRUST_200600_302600_NS6detail15normal_iteratorINSA_7pointerIiNSA_11hip_rocprim3tagENSA_11use_defaultESG_EEEEPS6_NSA_18transform_iteratorINSA_8identityIiEENSC_INSA_10device_ptrIiEEEESG_SG_EENS0_5tupleIJPiSJ_EEENSR_IJSJ_SJ_EEES6_PlJS6_EEE10hipError_tPvRmT3_T4_T5_T6_T7_T9_mT8_P12ihipStream_tbDpT10_ENKUlT_T0_E_clISt17integral_constantIbLb0EES1F_EEDaS1A_S1B_EUlS1A_E_NS1_11comp_targetILNS1_3genE0ELNS1_11target_archE4294967295ELNS1_3gpuE0ELNS1_3repE0EEENS1_30default_config_static_selectorELNS0_4arch9wavefront6targetE1EEEvT1_, .Lfunc_end513-_ZN7rocprim17ROCPRIM_400000_NS6detail17trampoline_kernelINS0_14default_configENS1_25partition_config_selectorILNS1_17partition_subalgoE2EiNS0_10empty_typeEbEEZZNS1_14partition_implILS5_2ELb0ES3_jN6thrust23THRUST_200600_302600_NS6detail15normal_iteratorINSA_7pointerIiNSA_11hip_rocprim3tagENSA_11use_defaultESG_EEEEPS6_NSA_18transform_iteratorINSA_8identityIiEENSC_INSA_10device_ptrIiEEEESG_SG_EENS0_5tupleIJPiSJ_EEENSR_IJSJ_SJ_EEES6_PlJS6_EEE10hipError_tPvRmT3_T4_T5_T6_T7_T9_mT8_P12ihipStream_tbDpT10_ENKUlT_T0_E_clISt17integral_constantIbLb0EES1F_EEDaS1A_S1B_EUlS1A_E_NS1_11comp_targetILNS1_3genE0ELNS1_11target_archE4294967295ELNS1_3gpuE0ELNS1_3repE0EEENS1_30default_config_static_selectorELNS0_4arch9wavefront6targetE1EEEvT1_
                                        ; -- End function
	.section	.AMDGPU.csdata,"",@progbits
; Kernel info:
; codeLenInByte = 0
; NumSgprs: 4
; NumVgprs: 0
; NumAgprs: 0
; TotalNumVgprs: 0
; ScratchSize: 0
; MemoryBound: 0
; FloatMode: 240
; IeeeMode: 1
; LDSByteSize: 0 bytes/workgroup (compile time only)
; SGPRBlocks: 0
; VGPRBlocks: 0
; NumSGPRsForWavesPerEU: 4
; NumVGPRsForWavesPerEU: 1
; AccumOffset: 4
; Occupancy: 8
; WaveLimiterHint : 0
; COMPUTE_PGM_RSRC2:SCRATCH_EN: 0
; COMPUTE_PGM_RSRC2:USER_SGPR: 6
; COMPUTE_PGM_RSRC2:TRAP_HANDLER: 0
; COMPUTE_PGM_RSRC2:TGID_X_EN: 1
; COMPUTE_PGM_RSRC2:TGID_Y_EN: 0
; COMPUTE_PGM_RSRC2:TGID_Z_EN: 0
; COMPUTE_PGM_RSRC2:TIDIG_COMP_CNT: 0
; COMPUTE_PGM_RSRC3_GFX90A:ACCUM_OFFSET: 0
; COMPUTE_PGM_RSRC3_GFX90A:TG_SPLIT: 0
	.section	.text._ZN7rocprim17ROCPRIM_400000_NS6detail17trampoline_kernelINS0_14default_configENS1_25partition_config_selectorILNS1_17partition_subalgoE2EiNS0_10empty_typeEbEEZZNS1_14partition_implILS5_2ELb0ES3_jN6thrust23THRUST_200600_302600_NS6detail15normal_iteratorINSA_7pointerIiNSA_11hip_rocprim3tagENSA_11use_defaultESG_EEEEPS6_NSA_18transform_iteratorINSA_8identityIiEENSC_INSA_10device_ptrIiEEEESG_SG_EENS0_5tupleIJPiSJ_EEENSR_IJSJ_SJ_EEES6_PlJS6_EEE10hipError_tPvRmT3_T4_T5_T6_T7_T9_mT8_P12ihipStream_tbDpT10_ENKUlT_T0_E_clISt17integral_constantIbLb0EES1F_EEDaS1A_S1B_EUlS1A_E_NS1_11comp_targetILNS1_3genE5ELNS1_11target_archE942ELNS1_3gpuE9ELNS1_3repE0EEENS1_30default_config_static_selectorELNS0_4arch9wavefront6targetE1EEEvT1_,"axG",@progbits,_ZN7rocprim17ROCPRIM_400000_NS6detail17trampoline_kernelINS0_14default_configENS1_25partition_config_selectorILNS1_17partition_subalgoE2EiNS0_10empty_typeEbEEZZNS1_14partition_implILS5_2ELb0ES3_jN6thrust23THRUST_200600_302600_NS6detail15normal_iteratorINSA_7pointerIiNSA_11hip_rocprim3tagENSA_11use_defaultESG_EEEEPS6_NSA_18transform_iteratorINSA_8identityIiEENSC_INSA_10device_ptrIiEEEESG_SG_EENS0_5tupleIJPiSJ_EEENSR_IJSJ_SJ_EEES6_PlJS6_EEE10hipError_tPvRmT3_T4_T5_T6_T7_T9_mT8_P12ihipStream_tbDpT10_ENKUlT_T0_E_clISt17integral_constantIbLb0EES1F_EEDaS1A_S1B_EUlS1A_E_NS1_11comp_targetILNS1_3genE5ELNS1_11target_archE942ELNS1_3gpuE9ELNS1_3repE0EEENS1_30default_config_static_selectorELNS0_4arch9wavefront6targetE1EEEvT1_,comdat
	.protected	_ZN7rocprim17ROCPRIM_400000_NS6detail17trampoline_kernelINS0_14default_configENS1_25partition_config_selectorILNS1_17partition_subalgoE2EiNS0_10empty_typeEbEEZZNS1_14partition_implILS5_2ELb0ES3_jN6thrust23THRUST_200600_302600_NS6detail15normal_iteratorINSA_7pointerIiNSA_11hip_rocprim3tagENSA_11use_defaultESG_EEEEPS6_NSA_18transform_iteratorINSA_8identityIiEENSC_INSA_10device_ptrIiEEEESG_SG_EENS0_5tupleIJPiSJ_EEENSR_IJSJ_SJ_EEES6_PlJS6_EEE10hipError_tPvRmT3_T4_T5_T6_T7_T9_mT8_P12ihipStream_tbDpT10_ENKUlT_T0_E_clISt17integral_constantIbLb0EES1F_EEDaS1A_S1B_EUlS1A_E_NS1_11comp_targetILNS1_3genE5ELNS1_11target_archE942ELNS1_3gpuE9ELNS1_3repE0EEENS1_30default_config_static_selectorELNS0_4arch9wavefront6targetE1EEEvT1_ ; -- Begin function _ZN7rocprim17ROCPRIM_400000_NS6detail17trampoline_kernelINS0_14default_configENS1_25partition_config_selectorILNS1_17partition_subalgoE2EiNS0_10empty_typeEbEEZZNS1_14partition_implILS5_2ELb0ES3_jN6thrust23THRUST_200600_302600_NS6detail15normal_iteratorINSA_7pointerIiNSA_11hip_rocprim3tagENSA_11use_defaultESG_EEEEPS6_NSA_18transform_iteratorINSA_8identityIiEENSC_INSA_10device_ptrIiEEEESG_SG_EENS0_5tupleIJPiSJ_EEENSR_IJSJ_SJ_EEES6_PlJS6_EEE10hipError_tPvRmT3_T4_T5_T6_T7_T9_mT8_P12ihipStream_tbDpT10_ENKUlT_T0_E_clISt17integral_constantIbLb0EES1F_EEDaS1A_S1B_EUlS1A_E_NS1_11comp_targetILNS1_3genE5ELNS1_11target_archE942ELNS1_3gpuE9ELNS1_3repE0EEENS1_30default_config_static_selectorELNS0_4arch9wavefront6targetE1EEEvT1_
	.globl	_ZN7rocprim17ROCPRIM_400000_NS6detail17trampoline_kernelINS0_14default_configENS1_25partition_config_selectorILNS1_17partition_subalgoE2EiNS0_10empty_typeEbEEZZNS1_14partition_implILS5_2ELb0ES3_jN6thrust23THRUST_200600_302600_NS6detail15normal_iteratorINSA_7pointerIiNSA_11hip_rocprim3tagENSA_11use_defaultESG_EEEEPS6_NSA_18transform_iteratorINSA_8identityIiEENSC_INSA_10device_ptrIiEEEESG_SG_EENS0_5tupleIJPiSJ_EEENSR_IJSJ_SJ_EEES6_PlJS6_EEE10hipError_tPvRmT3_T4_T5_T6_T7_T9_mT8_P12ihipStream_tbDpT10_ENKUlT_T0_E_clISt17integral_constantIbLb0EES1F_EEDaS1A_S1B_EUlS1A_E_NS1_11comp_targetILNS1_3genE5ELNS1_11target_archE942ELNS1_3gpuE9ELNS1_3repE0EEENS1_30default_config_static_selectorELNS0_4arch9wavefront6targetE1EEEvT1_
	.p2align	8
	.type	_ZN7rocprim17ROCPRIM_400000_NS6detail17trampoline_kernelINS0_14default_configENS1_25partition_config_selectorILNS1_17partition_subalgoE2EiNS0_10empty_typeEbEEZZNS1_14partition_implILS5_2ELb0ES3_jN6thrust23THRUST_200600_302600_NS6detail15normal_iteratorINSA_7pointerIiNSA_11hip_rocprim3tagENSA_11use_defaultESG_EEEEPS6_NSA_18transform_iteratorINSA_8identityIiEENSC_INSA_10device_ptrIiEEEESG_SG_EENS0_5tupleIJPiSJ_EEENSR_IJSJ_SJ_EEES6_PlJS6_EEE10hipError_tPvRmT3_T4_T5_T6_T7_T9_mT8_P12ihipStream_tbDpT10_ENKUlT_T0_E_clISt17integral_constantIbLb0EES1F_EEDaS1A_S1B_EUlS1A_E_NS1_11comp_targetILNS1_3genE5ELNS1_11target_archE942ELNS1_3gpuE9ELNS1_3repE0EEENS1_30default_config_static_selectorELNS0_4arch9wavefront6targetE1EEEvT1_,@function
_ZN7rocprim17ROCPRIM_400000_NS6detail17trampoline_kernelINS0_14default_configENS1_25partition_config_selectorILNS1_17partition_subalgoE2EiNS0_10empty_typeEbEEZZNS1_14partition_implILS5_2ELb0ES3_jN6thrust23THRUST_200600_302600_NS6detail15normal_iteratorINSA_7pointerIiNSA_11hip_rocprim3tagENSA_11use_defaultESG_EEEEPS6_NSA_18transform_iteratorINSA_8identityIiEENSC_INSA_10device_ptrIiEEEESG_SG_EENS0_5tupleIJPiSJ_EEENSR_IJSJ_SJ_EEES6_PlJS6_EEE10hipError_tPvRmT3_T4_T5_T6_T7_T9_mT8_P12ihipStream_tbDpT10_ENKUlT_T0_E_clISt17integral_constantIbLb0EES1F_EEDaS1A_S1B_EUlS1A_E_NS1_11comp_targetILNS1_3genE5ELNS1_11target_archE942ELNS1_3gpuE9ELNS1_3repE0EEENS1_30default_config_static_selectorELNS0_4arch9wavefront6targetE1EEEvT1_: ; @_ZN7rocprim17ROCPRIM_400000_NS6detail17trampoline_kernelINS0_14default_configENS1_25partition_config_selectorILNS1_17partition_subalgoE2EiNS0_10empty_typeEbEEZZNS1_14partition_implILS5_2ELb0ES3_jN6thrust23THRUST_200600_302600_NS6detail15normal_iteratorINSA_7pointerIiNSA_11hip_rocprim3tagENSA_11use_defaultESG_EEEEPS6_NSA_18transform_iteratorINSA_8identityIiEENSC_INSA_10device_ptrIiEEEESG_SG_EENS0_5tupleIJPiSJ_EEENSR_IJSJ_SJ_EEES6_PlJS6_EEE10hipError_tPvRmT3_T4_T5_T6_T7_T9_mT8_P12ihipStream_tbDpT10_ENKUlT_T0_E_clISt17integral_constantIbLb0EES1F_EEDaS1A_S1B_EUlS1A_E_NS1_11comp_targetILNS1_3genE5ELNS1_11target_archE942ELNS1_3gpuE9ELNS1_3repE0EEENS1_30default_config_static_selectorELNS0_4arch9wavefront6targetE1EEEvT1_
; %bb.0:
	.section	.rodata,"a",@progbits
	.p2align	6, 0x0
	.amdhsa_kernel _ZN7rocprim17ROCPRIM_400000_NS6detail17trampoline_kernelINS0_14default_configENS1_25partition_config_selectorILNS1_17partition_subalgoE2EiNS0_10empty_typeEbEEZZNS1_14partition_implILS5_2ELb0ES3_jN6thrust23THRUST_200600_302600_NS6detail15normal_iteratorINSA_7pointerIiNSA_11hip_rocprim3tagENSA_11use_defaultESG_EEEEPS6_NSA_18transform_iteratorINSA_8identityIiEENSC_INSA_10device_ptrIiEEEESG_SG_EENS0_5tupleIJPiSJ_EEENSR_IJSJ_SJ_EEES6_PlJS6_EEE10hipError_tPvRmT3_T4_T5_T6_T7_T9_mT8_P12ihipStream_tbDpT10_ENKUlT_T0_E_clISt17integral_constantIbLb0EES1F_EEDaS1A_S1B_EUlS1A_E_NS1_11comp_targetILNS1_3genE5ELNS1_11target_archE942ELNS1_3gpuE9ELNS1_3repE0EEENS1_30default_config_static_selectorELNS0_4arch9wavefront6targetE1EEEvT1_
		.amdhsa_group_segment_fixed_size 0
		.amdhsa_private_segment_fixed_size 0
		.amdhsa_kernarg_size 128
		.amdhsa_user_sgpr_count 6
		.amdhsa_user_sgpr_private_segment_buffer 1
		.amdhsa_user_sgpr_dispatch_ptr 0
		.amdhsa_user_sgpr_queue_ptr 0
		.amdhsa_user_sgpr_kernarg_segment_ptr 1
		.amdhsa_user_sgpr_dispatch_id 0
		.amdhsa_user_sgpr_flat_scratch_init 0
		.amdhsa_user_sgpr_kernarg_preload_length 0
		.amdhsa_user_sgpr_kernarg_preload_offset 0
		.amdhsa_user_sgpr_private_segment_size 0
		.amdhsa_uses_dynamic_stack 0
		.amdhsa_system_sgpr_private_segment_wavefront_offset 0
		.amdhsa_system_sgpr_workgroup_id_x 1
		.amdhsa_system_sgpr_workgroup_id_y 0
		.amdhsa_system_sgpr_workgroup_id_z 0
		.amdhsa_system_sgpr_workgroup_info 0
		.amdhsa_system_vgpr_workitem_id 0
		.amdhsa_next_free_vgpr 1
		.amdhsa_next_free_sgpr 0
		.amdhsa_accum_offset 4
		.amdhsa_reserve_vcc 0
		.amdhsa_reserve_flat_scratch 0
		.amdhsa_float_round_mode_32 0
		.amdhsa_float_round_mode_16_64 0
		.amdhsa_float_denorm_mode_32 3
		.amdhsa_float_denorm_mode_16_64 3
		.amdhsa_dx10_clamp 1
		.amdhsa_ieee_mode 1
		.amdhsa_fp16_overflow 0
		.amdhsa_tg_split 0
		.amdhsa_exception_fp_ieee_invalid_op 0
		.amdhsa_exception_fp_denorm_src 0
		.amdhsa_exception_fp_ieee_div_zero 0
		.amdhsa_exception_fp_ieee_overflow 0
		.amdhsa_exception_fp_ieee_underflow 0
		.amdhsa_exception_fp_ieee_inexact 0
		.amdhsa_exception_int_div_zero 0
	.end_amdhsa_kernel
	.section	.text._ZN7rocprim17ROCPRIM_400000_NS6detail17trampoline_kernelINS0_14default_configENS1_25partition_config_selectorILNS1_17partition_subalgoE2EiNS0_10empty_typeEbEEZZNS1_14partition_implILS5_2ELb0ES3_jN6thrust23THRUST_200600_302600_NS6detail15normal_iteratorINSA_7pointerIiNSA_11hip_rocprim3tagENSA_11use_defaultESG_EEEEPS6_NSA_18transform_iteratorINSA_8identityIiEENSC_INSA_10device_ptrIiEEEESG_SG_EENS0_5tupleIJPiSJ_EEENSR_IJSJ_SJ_EEES6_PlJS6_EEE10hipError_tPvRmT3_T4_T5_T6_T7_T9_mT8_P12ihipStream_tbDpT10_ENKUlT_T0_E_clISt17integral_constantIbLb0EES1F_EEDaS1A_S1B_EUlS1A_E_NS1_11comp_targetILNS1_3genE5ELNS1_11target_archE942ELNS1_3gpuE9ELNS1_3repE0EEENS1_30default_config_static_selectorELNS0_4arch9wavefront6targetE1EEEvT1_,"axG",@progbits,_ZN7rocprim17ROCPRIM_400000_NS6detail17trampoline_kernelINS0_14default_configENS1_25partition_config_selectorILNS1_17partition_subalgoE2EiNS0_10empty_typeEbEEZZNS1_14partition_implILS5_2ELb0ES3_jN6thrust23THRUST_200600_302600_NS6detail15normal_iteratorINSA_7pointerIiNSA_11hip_rocprim3tagENSA_11use_defaultESG_EEEEPS6_NSA_18transform_iteratorINSA_8identityIiEENSC_INSA_10device_ptrIiEEEESG_SG_EENS0_5tupleIJPiSJ_EEENSR_IJSJ_SJ_EEES6_PlJS6_EEE10hipError_tPvRmT3_T4_T5_T6_T7_T9_mT8_P12ihipStream_tbDpT10_ENKUlT_T0_E_clISt17integral_constantIbLb0EES1F_EEDaS1A_S1B_EUlS1A_E_NS1_11comp_targetILNS1_3genE5ELNS1_11target_archE942ELNS1_3gpuE9ELNS1_3repE0EEENS1_30default_config_static_selectorELNS0_4arch9wavefront6targetE1EEEvT1_,comdat
.Lfunc_end514:
	.size	_ZN7rocprim17ROCPRIM_400000_NS6detail17trampoline_kernelINS0_14default_configENS1_25partition_config_selectorILNS1_17partition_subalgoE2EiNS0_10empty_typeEbEEZZNS1_14partition_implILS5_2ELb0ES3_jN6thrust23THRUST_200600_302600_NS6detail15normal_iteratorINSA_7pointerIiNSA_11hip_rocprim3tagENSA_11use_defaultESG_EEEEPS6_NSA_18transform_iteratorINSA_8identityIiEENSC_INSA_10device_ptrIiEEEESG_SG_EENS0_5tupleIJPiSJ_EEENSR_IJSJ_SJ_EEES6_PlJS6_EEE10hipError_tPvRmT3_T4_T5_T6_T7_T9_mT8_P12ihipStream_tbDpT10_ENKUlT_T0_E_clISt17integral_constantIbLb0EES1F_EEDaS1A_S1B_EUlS1A_E_NS1_11comp_targetILNS1_3genE5ELNS1_11target_archE942ELNS1_3gpuE9ELNS1_3repE0EEENS1_30default_config_static_selectorELNS0_4arch9wavefront6targetE1EEEvT1_, .Lfunc_end514-_ZN7rocprim17ROCPRIM_400000_NS6detail17trampoline_kernelINS0_14default_configENS1_25partition_config_selectorILNS1_17partition_subalgoE2EiNS0_10empty_typeEbEEZZNS1_14partition_implILS5_2ELb0ES3_jN6thrust23THRUST_200600_302600_NS6detail15normal_iteratorINSA_7pointerIiNSA_11hip_rocprim3tagENSA_11use_defaultESG_EEEEPS6_NSA_18transform_iteratorINSA_8identityIiEENSC_INSA_10device_ptrIiEEEESG_SG_EENS0_5tupleIJPiSJ_EEENSR_IJSJ_SJ_EEES6_PlJS6_EEE10hipError_tPvRmT3_T4_T5_T6_T7_T9_mT8_P12ihipStream_tbDpT10_ENKUlT_T0_E_clISt17integral_constantIbLb0EES1F_EEDaS1A_S1B_EUlS1A_E_NS1_11comp_targetILNS1_3genE5ELNS1_11target_archE942ELNS1_3gpuE9ELNS1_3repE0EEENS1_30default_config_static_selectorELNS0_4arch9wavefront6targetE1EEEvT1_
                                        ; -- End function
	.section	.AMDGPU.csdata,"",@progbits
; Kernel info:
; codeLenInByte = 0
; NumSgprs: 4
; NumVgprs: 0
; NumAgprs: 0
; TotalNumVgprs: 0
; ScratchSize: 0
; MemoryBound: 0
; FloatMode: 240
; IeeeMode: 1
; LDSByteSize: 0 bytes/workgroup (compile time only)
; SGPRBlocks: 0
; VGPRBlocks: 0
; NumSGPRsForWavesPerEU: 4
; NumVGPRsForWavesPerEU: 1
; AccumOffset: 4
; Occupancy: 8
; WaveLimiterHint : 0
; COMPUTE_PGM_RSRC2:SCRATCH_EN: 0
; COMPUTE_PGM_RSRC2:USER_SGPR: 6
; COMPUTE_PGM_RSRC2:TRAP_HANDLER: 0
; COMPUTE_PGM_RSRC2:TGID_X_EN: 1
; COMPUTE_PGM_RSRC2:TGID_Y_EN: 0
; COMPUTE_PGM_RSRC2:TGID_Z_EN: 0
; COMPUTE_PGM_RSRC2:TIDIG_COMP_CNT: 0
; COMPUTE_PGM_RSRC3_GFX90A:ACCUM_OFFSET: 0
; COMPUTE_PGM_RSRC3_GFX90A:TG_SPLIT: 0
	.section	.text._ZN7rocprim17ROCPRIM_400000_NS6detail17trampoline_kernelINS0_14default_configENS1_25partition_config_selectorILNS1_17partition_subalgoE2EiNS0_10empty_typeEbEEZZNS1_14partition_implILS5_2ELb0ES3_jN6thrust23THRUST_200600_302600_NS6detail15normal_iteratorINSA_7pointerIiNSA_11hip_rocprim3tagENSA_11use_defaultESG_EEEEPS6_NSA_18transform_iteratorINSA_8identityIiEENSC_INSA_10device_ptrIiEEEESG_SG_EENS0_5tupleIJPiSJ_EEENSR_IJSJ_SJ_EEES6_PlJS6_EEE10hipError_tPvRmT3_T4_T5_T6_T7_T9_mT8_P12ihipStream_tbDpT10_ENKUlT_T0_E_clISt17integral_constantIbLb0EES1F_EEDaS1A_S1B_EUlS1A_E_NS1_11comp_targetILNS1_3genE4ELNS1_11target_archE910ELNS1_3gpuE8ELNS1_3repE0EEENS1_30default_config_static_selectorELNS0_4arch9wavefront6targetE1EEEvT1_,"axG",@progbits,_ZN7rocprim17ROCPRIM_400000_NS6detail17trampoline_kernelINS0_14default_configENS1_25partition_config_selectorILNS1_17partition_subalgoE2EiNS0_10empty_typeEbEEZZNS1_14partition_implILS5_2ELb0ES3_jN6thrust23THRUST_200600_302600_NS6detail15normal_iteratorINSA_7pointerIiNSA_11hip_rocprim3tagENSA_11use_defaultESG_EEEEPS6_NSA_18transform_iteratorINSA_8identityIiEENSC_INSA_10device_ptrIiEEEESG_SG_EENS0_5tupleIJPiSJ_EEENSR_IJSJ_SJ_EEES6_PlJS6_EEE10hipError_tPvRmT3_T4_T5_T6_T7_T9_mT8_P12ihipStream_tbDpT10_ENKUlT_T0_E_clISt17integral_constantIbLb0EES1F_EEDaS1A_S1B_EUlS1A_E_NS1_11comp_targetILNS1_3genE4ELNS1_11target_archE910ELNS1_3gpuE8ELNS1_3repE0EEENS1_30default_config_static_selectorELNS0_4arch9wavefront6targetE1EEEvT1_,comdat
	.protected	_ZN7rocprim17ROCPRIM_400000_NS6detail17trampoline_kernelINS0_14default_configENS1_25partition_config_selectorILNS1_17partition_subalgoE2EiNS0_10empty_typeEbEEZZNS1_14partition_implILS5_2ELb0ES3_jN6thrust23THRUST_200600_302600_NS6detail15normal_iteratorINSA_7pointerIiNSA_11hip_rocprim3tagENSA_11use_defaultESG_EEEEPS6_NSA_18transform_iteratorINSA_8identityIiEENSC_INSA_10device_ptrIiEEEESG_SG_EENS0_5tupleIJPiSJ_EEENSR_IJSJ_SJ_EEES6_PlJS6_EEE10hipError_tPvRmT3_T4_T5_T6_T7_T9_mT8_P12ihipStream_tbDpT10_ENKUlT_T0_E_clISt17integral_constantIbLb0EES1F_EEDaS1A_S1B_EUlS1A_E_NS1_11comp_targetILNS1_3genE4ELNS1_11target_archE910ELNS1_3gpuE8ELNS1_3repE0EEENS1_30default_config_static_selectorELNS0_4arch9wavefront6targetE1EEEvT1_ ; -- Begin function _ZN7rocprim17ROCPRIM_400000_NS6detail17trampoline_kernelINS0_14default_configENS1_25partition_config_selectorILNS1_17partition_subalgoE2EiNS0_10empty_typeEbEEZZNS1_14partition_implILS5_2ELb0ES3_jN6thrust23THRUST_200600_302600_NS6detail15normal_iteratorINSA_7pointerIiNSA_11hip_rocprim3tagENSA_11use_defaultESG_EEEEPS6_NSA_18transform_iteratorINSA_8identityIiEENSC_INSA_10device_ptrIiEEEESG_SG_EENS0_5tupleIJPiSJ_EEENSR_IJSJ_SJ_EEES6_PlJS6_EEE10hipError_tPvRmT3_T4_T5_T6_T7_T9_mT8_P12ihipStream_tbDpT10_ENKUlT_T0_E_clISt17integral_constantIbLb0EES1F_EEDaS1A_S1B_EUlS1A_E_NS1_11comp_targetILNS1_3genE4ELNS1_11target_archE910ELNS1_3gpuE8ELNS1_3repE0EEENS1_30default_config_static_selectorELNS0_4arch9wavefront6targetE1EEEvT1_
	.globl	_ZN7rocprim17ROCPRIM_400000_NS6detail17trampoline_kernelINS0_14default_configENS1_25partition_config_selectorILNS1_17partition_subalgoE2EiNS0_10empty_typeEbEEZZNS1_14partition_implILS5_2ELb0ES3_jN6thrust23THRUST_200600_302600_NS6detail15normal_iteratorINSA_7pointerIiNSA_11hip_rocprim3tagENSA_11use_defaultESG_EEEEPS6_NSA_18transform_iteratorINSA_8identityIiEENSC_INSA_10device_ptrIiEEEESG_SG_EENS0_5tupleIJPiSJ_EEENSR_IJSJ_SJ_EEES6_PlJS6_EEE10hipError_tPvRmT3_T4_T5_T6_T7_T9_mT8_P12ihipStream_tbDpT10_ENKUlT_T0_E_clISt17integral_constantIbLb0EES1F_EEDaS1A_S1B_EUlS1A_E_NS1_11comp_targetILNS1_3genE4ELNS1_11target_archE910ELNS1_3gpuE8ELNS1_3repE0EEENS1_30default_config_static_selectorELNS0_4arch9wavefront6targetE1EEEvT1_
	.p2align	8
	.type	_ZN7rocprim17ROCPRIM_400000_NS6detail17trampoline_kernelINS0_14default_configENS1_25partition_config_selectorILNS1_17partition_subalgoE2EiNS0_10empty_typeEbEEZZNS1_14partition_implILS5_2ELb0ES3_jN6thrust23THRUST_200600_302600_NS6detail15normal_iteratorINSA_7pointerIiNSA_11hip_rocprim3tagENSA_11use_defaultESG_EEEEPS6_NSA_18transform_iteratorINSA_8identityIiEENSC_INSA_10device_ptrIiEEEESG_SG_EENS0_5tupleIJPiSJ_EEENSR_IJSJ_SJ_EEES6_PlJS6_EEE10hipError_tPvRmT3_T4_T5_T6_T7_T9_mT8_P12ihipStream_tbDpT10_ENKUlT_T0_E_clISt17integral_constantIbLb0EES1F_EEDaS1A_S1B_EUlS1A_E_NS1_11comp_targetILNS1_3genE4ELNS1_11target_archE910ELNS1_3gpuE8ELNS1_3repE0EEENS1_30default_config_static_selectorELNS0_4arch9wavefront6targetE1EEEvT1_,@function
_ZN7rocprim17ROCPRIM_400000_NS6detail17trampoline_kernelINS0_14default_configENS1_25partition_config_selectorILNS1_17partition_subalgoE2EiNS0_10empty_typeEbEEZZNS1_14partition_implILS5_2ELb0ES3_jN6thrust23THRUST_200600_302600_NS6detail15normal_iteratorINSA_7pointerIiNSA_11hip_rocprim3tagENSA_11use_defaultESG_EEEEPS6_NSA_18transform_iteratorINSA_8identityIiEENSC_INSA_10device_ptrIiEEEESG_SG_EENS0_5tupleIJPiSJ_EEENSR_IJSJ_SJ_EEES6_PlJS6_EEE10hipError_tPvRmT3_T4_T5_T6_T7_T9_mT8_P12ihipStream_tbDpT10_ENKUlT_T0_E_clISt17integral_constantIbLb0EES1F_EEDaS1A_S1B_EUlS1A_E_NS1_11comp_targetILNS1_3genE4ELNS1_11target_archE910ELNS1_3gpuE8ELNS1_3repE0EEENS1_30default_config_static_selectorELNS0_4arch9wavefront6targetE1EEEvT1_: ; @_ZN7rocprim17ROCPRIM_400000_NS6detail17trampoline_kernelINS0_14default_configENS1_25partition_config_selectorILNS1_17partition_subalgoE2EiNS0_10empty_typeEbEEZZNS1_14partition_implILS5_2ELb0ES3_jN6thrust23THRUST_200600_302600_NS6detail15normal_iteratorINSA_7pointerIiNSA_11hip_rocprim3tagENSA_11use_defaultESG_EEEEPS6_NSA_18transform_iteratorINSA_8identityIiEENSC_INSA_10device_ptrIiEEEESG_SG_EENS0_5tupleIJPiSJ_EEENSR_IJSJ_SJ_EEES6_PlJS6_EEE10hipError_tPvRmT3_T4_T5_T6_T7_T9_mT8_P12ihipStream_tbDpT10_ENKUlT_T0_E_clISt17integral_constantIbLb0EES1F_EEDaS1A_S1B_EUlS1A_E_NS1_11comp_targetILNS1_3genE4ELNS1_11target_archE910ELNS1_3gpuE8ELNS1_3repE0EEENS1_30default_config_static_selectorELNS0_4arch9wavefront6targetE1EEEvT1_
; %bb.0:
	s_load_dwordx4 s[24:27], s[4:5], 0x8
	s_load_dwordx2 s[2:3], s[4:5], 0x20
	s_load_dwordx2 s[28:29], s[4:5], 0x60
	s_load_dwordx4 s[20:23], s[4:5], 0x50
	s_load_dword s0, s[4:5], 0x78
	s_waitcnt lgkmcnt(0)
	s_lshl_b64 s[8:9], s[26:27], 2
	s_add_u32 s7, s24, s8
	s_addc_u32 s12, s25, s9
	s_load_dwordx2 s[30:31], s[22:23], 0x0
	s_add_i32 s10, s0, -1
	s_mulk_i32 s0, 0xa00
	s_add_i32 s1, s0, s26
	s_sub_i32 s33, s28, s1
	s_addk_i32 s33, 0xa00
	s_add_u32 s0, s26, s0
	s_addc_u32 s1, s27, 0
	s_cmp_eq_u32 s6, s10
	v_pk_mov_b32 v[2:3], s[28:29], s[28:29] op_sel:[0,1]
	s_cselect_b64 s[22:23], -1, 0
	s_cmp_lg_u32 s6, s10
	s_mul_i32 s24, s6, 0xa00
	s_mov_b32 s25, 0
	v_cmp_lt_u64_e32 vcc, s[0:1], v[2:3]
	s_cselect_b64 s[0:1], -1, 0
	s_or_b64 s[34:35], s[0:1], vcc
	s_lshl_b64 s[10:11], s[24:25], 2
	s_add_u32 s7, s7, s10
	s_addc_u32 s14, s12, s11
	s_mov_b64 s[0:1], -1
	s_and_b64 vcc, exec, s[34:35]
	v_lshlrev_b32_e32 v1, 2, v0
	s_cbranch_vccz .LBB515_2
; %bb.1:
	v_mov_b32_e32 v3, s14
	v_add_co_u32_e32 v2, vcc, s7, v1
	v_addc_co_u32_e32 v3, vcc, 0, v3, vcc
	v_add_co_u32_e32 v4, vcc, 0x1000, v2
	v_addc_co_u32_e32 v5, vcc, 0, v3, vcc
	flat_load_dword v6, v[2:3]
	flat_load_dword v7, v[2:3] offset:1024
	flat_load_dword v8, v[2:3] offset:2048
	flat_load_dword v9, v[2:3] offset:3072
	flat_load_dword v10, v[4:5]
	flat_load_dword v11, v[4:5] offset:1024
	flat_load_dword v12, v[4:5] offset:2048
	;; [unrolled: 1-line block ×3, first 2 shown]
	v_add_co_u32_e32 v2, vcc, 0x2000, v2
	v_addc_co_u32_e32 v3, vcc, 0, v3, vcc
	flat_load_dword v4, v[2:3]
	flat_load_dword v5, v[2:3] offset:1024
	s_mov_b64 s[0:1], 0
	s_waitcnt vmcnt(0) lgkmcnt(0)
	ds_write2st64_b32 v1, v6, v7 offset1:4
	ds_write2st64_b32 v1, v8, v9 offset0:8 offset1:12
	ds_write2st64_b32 v1, v10, v11 offset0:16 offset1:20
	;; [unrolled: 1-line block ×4, first 2 shown]
	s_waitcnt lgkmcnt(0)
	s_barrier
.LBB515_2:
	s_andn2_b64 vcc, exec, s[0:1]
	v_cmp_gt_u32_e64 s[0:1], s33, v0
	s_cbranch_vccnz .LBB515_24
; %bb.3:
                                        ; implicit-def: $vgpr2_vgpr3_vgpr4_vgpr5_vgpr6_vgpr7_vgpr8_vgpr9_vgpr10_vgpr11
	s_and_saveexec_b64 s[12:13], s[0:1]
	s_cbranch_execz .LBB515_5
; %bb.4:
	v_mov_b32_e32 v3, s14
	v_add_co_u32_e32 v2, vcc, s7, v1
	v_addc_co_u32_e32 v3, vcc, 0, v3, vcc
	flat_load_dword v2, v[2:3]
.LBB515_5:
	s_or_b64 exec, exec, s[12:13]
	v_or_b32_e32 v12, 0x100, v0
	v_cmp_gt_u32_e32 vcc, s33, v12
	s_and_saveexec_b64 s[0:1], vcc
	s_cbranch_execz .LBB515_7
; %bb.6:
	v_mov_b32_e32 v3, s14
	v_add_co_u32_e32 v12, vcc, s7, v1
	v_addc_co_u32_e32 v13, vcc, 0, v3, vcc
	flat_load_dword v3, v[12:13] offset:1024
.LBB515_7:
	s_or_b64 exec, exec, s[0:1]
	v_or_b32_e32 v12, 0x200, v0
	v_cmp_gt_u32_e32 vcc, s33, v12
	s_and_saveexec_b64 s[0:1], vcc
	s_cbranch_execz .LBB515_9
; %bb.8:
	v_mov_b32_e32 v4, s14
	v_add_co_u32_e32 v12, vcc, s7, v1
	v_addc_co_u32_e32 v13, vcc, 0, v4, vcc
	flat_load_dword v4, v[12:13] offset:2048
.LBB515_9:
	;; [unrolled: 11-line block ×3, first 2 shown]
	s_or_b64 exec, exec, s[0:1]
	v_or_b32_e32 v12, 0x400, v0
	v_cmp_gt_u32_e32 vcc, s33, v12
	s_and_saveexec_b64 s[0:1], vcc
	s_cbranch_execz .LBB515_13
; %bb.12:
	v_lshlrev_b32_e32 v6, 2, v12
	v_mov_b32_e32 v13, s14
	v_add_co_u32_e32 v12, vcc, s7, v6
	v_addc_co_u32_e32 v13, vcc, 0, v13, vcc
	flat_load_dword v6, v[12:13]
.LBB515_13:
	s_or_b64 exec, exec, s[0:1]
	v_or_b32_e32 v12, 0x500, v0
	v_cmp_gt_u32_e32 vcc, s33, v12
	s_and_saveexec_b64 s[0:1], vcc
	s_cbranch_execz .LBB515_15
; %bb.14:
	v_lshlrev_b32_e32 v7, 2, v12
	v_mov_b32_e32 v13, s14
	v_add_co_u32_e32 v12, vcc, s7, v7
	v_addc_co_u32_e32 v13, vcc, 0, v13, vcc
	flat_load_dword v7, v[12:13]
.LBB515_15:
	;; [unrolled: 12-line block ×6, first 2 shown]
	s_or_b64 exec, exec, s[0:1]
	s_waitcnt vmcnt(0) lgkmcnt(0)
	ds_write2st64_b32 v1, v2, v3 offset1:4
	ds_write2st64_b32 v1, v4, v5 offset0:8 offset1:12
	ds_write2st64_b32 v1, v6, v7 offset0:16 offset1:20
	;; [unrolled: 1-line block ×4, first 2 shown]
	s_waitcnt lgkmcnt(0)
	s_barrier
.LBB515_24:
	v_mul_u32_u24_e32 v24, 10, v0
	v_lshlrev_b32_e32 v10, 2, v24
	s_waitcnt lgkmcnt(0)
	ds_read2_b64 v[6:9], v10 offset1:1
	ds_read2_b64 v[2:5], v10 offset0:2 offset1:3
	ds_read_b64 v[12:13], v10 offset:32
	s_add_u32 s0, s2, s8
	s_addc_u32 s1, s3, s9
	s_add_u32 s0, s0, s10
	s_addc_u32 s1, s1, s11
	s_mov_b64 s[2:3], -1
	s_and_b64 vcc, exec, s[34:35]
	s_waitcnt lgkmcnt(0)
	s_barrier
	s_cbranch_vccz .LBB515_26
; %bb.25:
	v_mov_b32_e32 v11, s1
	v_add_co_u32_e32 v16, vcc, s0, v1
	v_addc_co_u32_e32 v11, vcc, 0, v11, vcc
	s_movk_i32 s2, 0x1000
	v_add_co_u32_e32 v14, vcc, s2, v16
	global_load_dword v18, v1, s[0:1]
	global_load_dword v19, v1, s[0:1] offset:1024
	global_load_dword v20, v1, s[0:1] offset:2048
	global_load_dword v21, v1, s[0:1] offset:3072
	v_addc_co_u32_e32 v15, vcc, 0, v11, vcc
	global_load_dword v22, v[14:15], off offset:1024
	s_movk_i32 s2, 0x2000
	v_add_co_u32_e32 v16, vcc, s2, v16
	v_addc_co_u32_e32 v17, vcc, 0, v11, vcc
	global_load_dword v11, v[14:15], off offset:2048
	global_load_dword v23, v[16:17], off offset:-4096
	global_load_dword v25, v[16:17], off
	global_load_dword v26, v[16:17], off offset:1024
	global_load_dword v27, v[14:15], off offset:3072
	s_mov_b64 s[2:3], 0
	s_waitcnt vmcnt(9)
	v_cmp_ne_u32_e32 vcc, 0, v18
	v_cndmask_b32_e64 v14, 0, 1, vcc
	s_waitcnt vmcnt(8)
	v_cmp_ne_u32_e32 vcc, 0, v19
	v_cndmask_b32_e64 v15, 0, 1, vcc
	;; [unrolled: 3-line block ×4, first 2 shown]
	s_waitcnt vmcnt(5)
	v_cmp_ne_u32_e32 vcc, 0, v22
	ds_write_b8 v0, v14
	ds_write_b8 v0, v15 offset:256
	ds_write_b8 v0, v16 offset:512
	;; [unrolled: 1-line block ×3, first 2 shown]
	v_cndmask_b32_e64 v14, 0, 1, vcc
	s_waitcnt vmcnt(4)
	v_cmp_ne_u32_e32 vcc, 0, v11
	v_cndmask_b32_e64 v11, 0, 1, vcc
	s_waitcnt vmcnt(3)
	v_cmp_ne_u32_e32 vcc, 0, v23
	;; [unrolled: 3-line block ×3, first 2 shown]
	v_cndmask_b32_e64 v16, 0, 1, vcc
	v_cmp_ne_u32_e32 vcc, 0, v25
	v_cndmask_b32_e64 v17, 0, 1, vcc
	v_cmp_ne_u32_e32 vcc, 0, v26
	v_cndmask_b32_e64 v18, 0, 1, vcc
	ds_write_b8 v0, v14 offset:1280
	ds_write_b8 v0, v11 offset:1536
	;; [unrolled: 1-line block ×6, first 2 shown]
	s_waitcnt lgkmcnt(0)
	s_barrier
.LBB515_26:
	s_load_dwordx2 s[36:37], s[4:5], 0x70
	s_andn2_b64 vcc, exec, s[2:3]
	s_cbranch_vccnz .LBB515_48
; %bb.27:
	v_cmp_gt_u32_e32 vcc, s33, v0
	v_mov_b32_e32 v11, 0
	v_mov_b32_e32 v14, 0
	s_and_saveexec_b64 s[2:3], vcc
	s_cbranch_execz .LBB515_29
; %bb.28:
	global_load_dword v14, v1, s[0:1]
	s_waitcnt vmcnt(0)
	v_cmp_ne_u32_e32 vcc, 0, v14
	v_cndmask_b32_e64 v14, 0, 1, vcc
.LBB515_29:
	s_or_b64 exec, exec, s[2:3]
	v_or_b32_e32 v15, 0x100, v0
	v_cmp_gt_u32_e32 vcc, s33, v15
	s_and_saveexec_b64 s[2:3], vcc
	s_cbranch_execz .LBB515_31
; %bb.30:
	global_load_dword v11, v1, s[0:1] offset:1024
	s_waitcnt vmcnt(0)
	v_cmp_ne_u32_e32 vcc, 0, v11
	v_cndmask_b32_e64 v11, 0, 1, vcc
.LBB515_31:
	s_or_b64 exec, exec, s[2:3]
	v_or_b32_e32 v15, 0x200, v0
	v_cmp_gt_u32_e32 vcc, s33, v15
	v_mov_b32_e32 v15, 0
	v_mov_b32_e32 v16, 0
	s_and_saveexec_b64 s[2:3], vcc
	s_cbranch_execz .LBB515_33
; %bb.32:
	global_load_dword v16, v1, s[0:1] offset:2048
	s_waitcnt vmcnt(0)
	v_cmp_ne_u32_e32 vcc, 0, v16
	v_cndmask_b32_e64 v16, 0, 1, vcc
.LBB515_33:
	s_or_b64 exec, exec, s[2:3]
	v_or_b32_e32 v17, 0x300, v0
	v_cmp_gt_u32_e32 vcc, s33, v17
	s_and_saveexec_b64 s[2:3], vcc
	s_cbranch_execz .LBB515_35
; %bb.34:
	global_load_dword v15, v1, s[0:1] offset:3072
	s_waitcnt vmcnt(0)
	v_cmp_ne_u32_e32 vcc, 0, v15
	v_cndmask_b32_e64 v15, 0, 1, vcc
.LBB515_35:
	s_or_b64 exec, exec, s[2:3]
	v_or_b32_e32 v19, 0x400, v0
	v_cmp_gt_u32_e32 vcc, s33, v19
	v_mov_b32_e32 v17, 0
	v_mov_b32_e32 v18, 0
	s_and_saveexec_b64 s[2:3], vcc
	s_cbranch_execz .LBB515_37
; %bb.36:
	v_lshlrev_b32_e32 v18, 2, v19
	global_load_dword v18, v18, s[0:1]
	s_waitcnt vmcnt(0)
	v_cmp_ne_u32_e32 vcc, 0, v18
	v_cndmask_b32_e64 v18, 0, 1, vcc
.LBB515_37:
	s_or_b64 exec, exec, s[2:3]
	v_or_b32_e32 v19, 0x500, v0
	v_cmp_gt_u32_e32 vcc, s33, v19
	s_and_saveexec_b64 s[2:3], vcc
	s_cbranch_execz .LBB515_39
; %bb.38:
	v_lshlrev_b32_e32 v17, 2, v19
	global_load_dword v17, v17, s[0:1]
	s_waitcnt vmcnt(0)
	v_cmp_ne_u32_e32 vcc, 0, v17
	v_cndmask_b32_e64 v17, 0, 1, vcc
.LBB515_39:
	s_or_b64 exec, exec, s[2:3]
	v_or_b32_e32 v21, 0x600, v0
	v_cmp_gt_u32_e32 vcc, s33, v21
	v_mov_b32_e32 v19, 0
	v_mov_b32_e32 v20, 0
	s_and_saveexec_b64 s[2:3], vcc
	s_cbranch_execz .LBB515_41
; %bb.40:
	v_lshlrev_b32_e32 v20, 2, v21
	global_load_dword v20, v20, s[0:1]
	s_waitcnt vmcnt(0)
	v_cmp_ne_u32_e32 vcc, 0, v20
	v_cndmask_b32_e64 v20, 0, 1, vcc
.LBB515_41:
	s_or_b64 exec, exec, s[2:3]
	v_or_b32_e32 v21, 0x700, v0
	v_cmp_gt_u32_e32 vcc, s33, v21
	s_and_saveexec_b64 s[2:3], vcc
	s_cbranch_execz .LBB515_43
; %bb.42:
	v_lshlrev_b32_e32 v19, 2, v21
	global_load_dword v19, v19, s[0:1]
	s_waitcnt vmcnt(0)
	v_cmp_ne_u32_e32 vcc, 0, v19
	v_cndmask_b32_e64 v19, 0, 1, vcc
.LBB515_43:
	;; [unrolled: 26-line block ×3, first 2 shown]
	s_or_b64 exec, exec, s[2:3]
	ds_write_b8 v0, v14
	ds_write_b8 v0, v11 offset:256
	ds_write_b8 v0, v16 offset:512
	;; [unrolled: 1-line block ×9, first 2 shown]
	s_waitcnt lgkmcnt(0)
	s_barrier
.LBB515_48:
	s_movk_i32 s0, 0xffe2
	v_mad_i32_i24 v35, v0, s0, v10
	s_waitcnt lgkmcnt(0)
	ds_read_b64 v[14:15], v35
	ds_read_u16 v26, v35 offset:8
	s_cmp_lg_u32 s6, 0
	v_lshrrev_b32_e32 v36, 6, v0
	s_waitcnt lgkmcnt(0)
	v_lshrrev_b32_e32 v28, 24, v14
	v_bfe_u32 v33, v14, 16, 8
	v_add_u32_sdwa v10, v14, v14 dst_sel:DWORD dst_unused:UNUSED_PAD src0_sel:BYTE_1 src1_sel:BYTE_0
	v_and_b32_e32 v30, 0xff, v15
	v_bfe_u32 v31, v15, 8, 8
	v_add3_u32 v10, v10, v33, v28
	v_lshrrev_b32_e32 v27, 24, v15
	v_bfe_u32 v32, v15, 16, 8
	v_add3_u32 v10, v10, v30, v31
	v_lshrrev_b16_e32 v25, 8, v26
	v_and_b32_e32 v29, 0xff, v26
	v_add3_u32 v10, v10, v32, v27
	v_add3_u32 v37, v10, v29, v25
	v_mbcnt_lo_u32_b32 v10, -1, 0
	v_mbcnt_hi_u32_b32 v34, -1, v10
	v_and_b32_e32 v10, 15, v34
	v_cmp_eq_u32_e64 s[14:15], 0, v10
	v_cmp_lt_u32_e64 s[12:13], 1, v10
	v_cmp_lt_u32_e64 s[10:11], 3, v10
	v_cmp_lt_u32_e64 s[8:9], 7, v10
	v_and_b32_e32 v10, 16, v34
	v_cmp_eq_u32_e64 s[18:19], 0, v10
	v_or_b32_e32 v10, 63, v0
	v_cmp_lt_u32_e64 s[0:1], 31, v34
	v_cmp_eq_u32_e64 s[2:3], v10, v0
	s_barrier
	s_cbranch_scc0 .LBB515_75
; %bb.49:
	v_mov_b32_dpp v10, v37 row_shr:1 row_mask:0xf bank_mask:0xf
	v_cndmask_b32_e64 v10, v10, 0, s[14:15]
	v_add_u32_e32 v10, v10, v37
	s_nop 1
	v_mov_b32_dpp v11, v10 row_shr:2 row_mask:0xf bank_mask:0xf
	v_cndmask_b32_e64 v11, 0, v11, s[12:13]
	v_add_u32_e32 v10, v10, v11
	s_nop 1
	v_mov_b32_dpp v11, v10 row_shr:4 row_mask:0xf bank_mask:0xf
	v_cndmask_b32_e64 v11, 0, v11, s[10:11]
	v_add_u32_e32 v10, v10, v11
	s_nop 1
	v_mov_b32_dpp v11, v10 row_shr:8 row_mask:0xf bank_mask:0xf
	v_cndmask_b32_e64 v11, 0, v11, s[8:9]
	v_add_u32_e32 v10, v10, v11
	s_nop 1
	v_mov_b32_dpp v11, v10 row_bcast:15 row_mask:0xf bank_mask:0xf
	v_cndmask_b32_e64 v11, v11, 0, s[18:19]
	v_add_u32_e32 v10, v10, v11
	s_nop 1
	v_mov_b32_dpp v11, v10 row_bcast:31 row_mask:0xf bank_mask:0xf
	v_cndmask_b32_e64 v11, 0, v11, s[0:1]
	v_add_u32_e32 v10, v10, v11
	s_and_saveexec_b64 s[16:17], s[2:3]
	s_cbranch_execz .LBB515_51
; %bb.50:
	v_lshlrev_b32_e32 v11, 2, v36
	ds_write_b32 v11, v10
.LBB515_51:
	s_or_b64 exec, exec, s[16:17]
	v_cmp_gt_u32_e32 vcc, 4, v0
	s_waitcnt lgkmcnt(0)
	s_barrier
	s_and_saveexec_b64 s[16:17], vcc
	s_cbranch_execz .LBB515_53
; %bb.52:
	ds_read_b32 v11, v1
	v_and_b32_e32 v16, 3, v34
	v_cmp_ne_u32_e32 vcc, 0, v16
	s_waitcnt lgkmcnt(0)
	v_mov_b32_dpp v17, v11 row_shr:1 row_mask:0xf bank_mask:0xf
	v_cndmask_b32_e32 v17, 0, v17, vcc
	v_add_u32_e32 v11, v17, v11
	v_cmp_lt_u32_e32 vcc, 1, v16
	s_nop 0
	v_mov_b32_dpp v17, v11 row_shr:2 row_mask:0xf bank_mask:0xf
	v_cndmask_b32_e32 v16, 0, v17, vcc
	v_add_u32_e32 v11, v11, v16
	ds_write_b32 v1, v11
.LBB515_53:
	s_or_b64 exec, exec, s[16:17]
	v_cmp_gt_u32_e32 vcc, 64, v0
	v_cmp_lt_u32_e64 s[16:17], 63, v0
	s_waitcnt lgkmcnt(0)
	s_barrier
	s_waitcnt lgkmcnt(0)
                                        ; implicit-def: $vgpr38
	s_and_saveexec_b64 s[38:39], s[16:17]
	s_cbranch_execz .LBB515_55
; %bb.54:
	v_lshl_add_u32 v11, v36, 2, -4
	ds_read_b32 v38, v11
	s_waitcnt lgkmcnt(0)
	v_add_u32_e32 v10, v38, v10
.LBB515_55:
	s_or_b64 exec, exec, s[38:39]
	v_add_u32_e32 v11, -1, v34
	v_and_b32_e32 v16, 64, v34
	v_cmp_lt_i32_e64 s[16:17], v11, v16
	v_cndmask_b32_e64 v11, v11, v34, s[16:17]
	v_lshlrev_b32_e32 v11, 2, v11
	ds_bpermute_b32 v39, v11, v10
	v_cmp_eq_u32_e64 s[16:17], 0, v34
	s_and_saveexec_b64 s[38:39], vcc
	s_cbranch_execz .LBB515_74
; %bb.56:
	v_mov_b32_e32 v21, 0
	ds_read_b32 v10, v21 offset:12
	s_and_saveexec_b64 s[40:41], s[16:17]
	s_cbranch_execz .LBB515_58
; %bb.57:
	s_add_i32 s42, s6, 64
	s_mov_b32 s43, 0
	s_lshl_b64 s[42:43], s[42:43], 3
	s_add_u32 s42, s36, s42
	v_mov_b32_e32 v11, 1
	s_addc_u32 s43, s37, s43
	s_waitcnt lgkmcnt(0)
	global_store_dwordx2 v21, v[10:11], s[42:43]
.LBB515_58:
	s_or_b64 exec, exec, s[40:41]
	v_xad_u32 v16, v34, -1, s6
	v_add_u32_e32 v20, 64, v16
	v_lshlrev_b64 v[18:19], 3, v[20:21]
	v_mov_b32_e32 v11, s37
	v_add_co_u32_e32 v22, vcc, s36, v18
	v_addc_co_u32_e32 v23, vcc, v11, v19, vcc
	global_load_dwordx2 v[18:19], v[22:23], off glc
	s_waitcnt vmcnt(0)
	v_cmp_eq_u16_sdwa s[42:43], v19, v21 src0_sel:BYTE_0 src1_sel:DWORD
	s_and_saveexec_b64 s[40:41], s[42:43]
	s_cbranch_execz .LBB515_62
; %bb.59:
	s_mov_b64 s[42:43], 0
	v_mov_b32_e32 v11, 0
.LBB515_60:                             ; =>This Inner Loop Header: Depth=1
	global_load_dwordx2 v[18:19], v[22:23], off glc
	s_waitcnt vmcnt(0)
	v_cmp_ne_u16_sdwa s[44:45], v19, v11 src0_sel:BYTE_0 src1_sel:DWORD
	s_or_b64 s[42:43], s[44:45], s[42:43]
	s_andn2_b64 exec, exec, s[42:43]
	s_cbranch_execnz .LBB515_60
; %bb.61:
	s_or_b64 exec, exec, s[42:43]
.LBB515_62:
	s_or_b64 exec, exec, s[40:41]
	v_and_b32_e32 v41, 63, v34
	v_mov_b32_e32 v40, 2
	v_cmp_ne_u32_e32 vcc, 63, v41
	v_cmp_eq_u16_sdwa s[40:41], v19, v40 src0_sel:BYTE_0 src1_sel:DWORD
	v_lshlrev_b64 v[20:21], v34, -1
	v_addc_co_u32_e32 v22, vcc, 0, v34, vcc
	v_and_b32_e32 v11, s41, v21
	v_lshlrev_b32_e32 v42, 2, v22
	v_or_b32_e32 v11, 0x80000000, v11
	ds_bpermute_b32 v22, v42, v18
	v_and_b32_e32 v17, s40, v20
	v_ffbl_b32_e32 v11, v11
	v_add_u32_e32 v11, 32, v11
	v_ffbl_b32_e32 v17, v17
	v_min_u32_e32 v11, v17, v11
	v_cmp_lt_u32_e32 vcc, v41, v11
	s_waitcnt lgkmcnt(0)
	v_cndmask_b32_e32 v17, 0, v22, vcc
	v_cmp_gt_u32_e32 vcc, 62, v41
	v_add_u32_e32 v17, v17, v18
	v_cndmask_b32_e64 v18, 0, 1, vcc
	v_lshlrev_b32_e32 v18, 1, v18
	v_add_lshl_u32 v43, v18, v34, 2
	ds_bpermute_b32 v18, v43, v17
	v_add_u32_e32 v44, 2, v41
	v_cmp_le_u32_e32 vcc, v44, v11
	v_add_u32_e32 v46, 4, v41
	v_add_u32_e32 v48, 8, v41
	s_waitcnt lgkmcnt(0)
	v_cndmask_b32_e32 v18, 0, v18, vcc
	v_cmp_gt_u32_e32 vcc, 60, v41
	v_add_u32_e32 v17, v17, v18
	v_cndmask_b32_e64 v18, 0, 1, vcc
	v_lshlrev_b32_e32 v18, 2, v18
	v_add_lshl_u32 v45, v18, v34, 2
	ds_bpermute_b32 v18, v45, v17
	v_cmp_le_u32_e32 vcc, v46, v11
	v_add_u32_e32 v50, 16, v41
	v_add_u32_e32 v52, 32, v41
	s_waitcnt lgkmcnt(0)
	v_cndmask_b32_e32 v18, 0, v18, vcc
	v_cmp_gt_u32_e32 vcc, 56, v41
	v_add_u32_e32 v17, v17, v18
	v_cndmask_b32_e64 v18, 0, 1, vcc
	v_lshlrev_b32_e32 v18, 3, v18
	v_add_lshl_u32 v47, v18, v34, 2
	ds_bpermute_b32 v18, v47, v17
	v_cmp_le_u32_e32 vcc, v48, v11
	s_waitcnt lgkmcnt(0)
	v_cndmask_b32_e32 v18, 0, v18, vcc
	v_cmp_gt_u32_e32 vcc, 48, v41
	v_add_u32_e32 v17, v17, v18
	v_cndmask_b32_e64 v18, 0, 1, vcc
	v_lshlrev_b32_e32 v18, 4, v18
	v_add_lshl_u32 v49, v18, v34, 2
	ds_bpermute_b32 v18, v49, v17
	v_cmp_le_u32_e32 vcc, v50, v11
	;; [unrolled: 9-line block ×3, first 2 shown]
	s_waitcnt lgkmcnt(0)
	v_cndmask_b32_e32 v11, 0, v18, vcc
	v_add_u32_e32 v18, v17, v11
	v_mov_b32_e32 v17, 0
	s_branch .LBB515_64
.LBB515_63:                             ;   in Loop: Header=BB515_64 Depth=1
	s_or_b64 exec, exec, s[40:41]
	v_cmp_eq_u16_sdwa s[40:41], v19, v40 src0_sel:BYTE_0 src1_sel:DWORD
	v_and_b32_e32 v22, s41, v21
	v_or_b32_e32 v22, 0x80000000, v22
	ds_bpermute_b32 v53, v42, v18
	v_and_b32_e32 v23, s40, v20
	v_ffbl_b32_e32 v22, v22
	v_add_u32_e32 v22, 32, v22
	v_ffbl_b32_e32 v23, v23
	v_min_u32_e32 v22, v23, v22
	v_cmp_lt_u32_e32 vcc, v41, v22
	s_waitcnt lgkmcnt(0)
	v_cndmask_b32_e32 v23, 0, v53, vcc
	v_add_u32_e32 v18, v23, v18
	ds_bpermute_b32 v23, v43, v18
	v_cmp_le_u32_e32 vcc, v44, v22
	v_subrev_u32_e32 v16, 64, v16
	s_waitcnt lgkmcnt(0)
	v_cndmask_b32_e32 v23, 0, v23, vcc
	v_add_u32_e32 v18, v18, v23
	ds_bpermute_b32 v23, v45, v18
	v_cmp_le_u32_e32 vcc, v46, v22
	s_waitcnt lgkmcnt(0)
	v_cndmask_b32_e32 v23, 0, v23, vcc
	v_add_u32_e32 v18, v18, v23
	ds_bpermute_b32 v23, v47, v18
	v_cmp_le_u32_e32 vcc, v48, v22
	;; [unrolled: 5-line block ×4, first 2 shown]
	s_waitcnt lgkmcnt(0)
	v_cndmask_b32_e32 v22, 0, v23, vcc
	v_add3_u32 v18, v22, v11, v18
.LBB515_64:                             ; =>This Loop Header: Depth=1
                                        ;     Child Loop BB515_67 Depth 2
	v_cmp_ne_u16_sdwa s[40:41], v19, v40 src0_sel:BYTE_0 src1_sel:DWORD
	v_cndmask_b32_e64 v11, 0, 1, s[40:41]
	;;#ASMSTART
	;;#ASMEND
	v_cmp_ne_u32_e32 vcc, 0, v11
	s_cmp_lg_u64 vcc, exec
	v_mov_b32_e32 v11, v18
	s_cbranch_scc1 .LBB515_69
; %bb.65:                               ;   in Loop: Header=BB515_64 Depth=1
	v_lshlrev_b64 v[18:19], 3, v[16:17]
	v_mov_b32_e32 v23, s37
	v_add_co_u32_e32 v22, vcc, s36, v18
	v_addc_co_u32_e32 v23, vcc, v23, v19, vcc
	global_load_dwordx2 v[18:19], v[22:23], off glc
	s_waitcnt vmcnt(0)
	v_cmp_eq_u16_sdwa s[42:43], v19, v17 src0_sel:BYTE_0 src1_sel:DWORD
	s_and_saveexec_b64 s[40:41], s[42:43]
	s_cbranch_execz .LBB515_63
; %bb.66:                               ;   in Loop: Header=BB515_64 Depth=1
	s_mov_b64 s[42:43], 0
.LBB515_67:                             ;   Parent Loop BB515_64 Depth=1
                                        ; =>  This Inner Loop Header: Depth=2
	global_load_dwordx2 v[18:19], v[22:23], off glc
	s_waitcnt vmcnt(0)
	v_cmp_ne_u16_sdwa s[44:45], v19, v17 src0_sel:BYTE_0 src1_sel:DWORD
	s_or_b64 s[42:43], s[44:45], s[42:43]
	s_andn2_b64 exec, exec, s[42:43]
	s_cbranch_execnz .LBB515_67
; %bb.68:                               ;   in Loop: Header=BB515_64 Depth=1
	s_or_b64 exec, exec, s[42:43]
	s_branch .LBB515_63
.LBB515_69:                             ;   in Loop: Header=BB515_64 Depth=1
                                        ; implicit-def: $vgpr18
                                        ; implicit-def: $vgpr19
	s_cbranch_execz .LBB515_64
; %bb.70:
	s_and_saveexec_b64 s[40:41], s[16:17]
	s_cbranch_execz .LBB515_72
; %bb.71:
	s_add_i32 s6, s6, 64
	s_mov_b32 s7, 0
	s_lshl_b64 s[6:7], s[6:7], 3
	s_add_u32 s6, s36, s6
	v_add_u32_e32 v16, v11, v10
	v_mov_b32_e32 v17, 2
	s_addc_u32 s7, s37, s7
	v_mov_b32_e32 v18, 0
	global_store_dwordx2 v18, v[16:17], s[6:7]
	ds_write_b64 v18, v[10:11] offset:10240
.LBB515_72:
	s_or_b64 exec, exec, s[40:41]
	v_cmp_eq_u32_e32 vcc, 0, v0
	s_and_b64 exec, exec, vcc
	s_cbranch_execz .LBB515_74
; %bb.73:
	v_mov_b32_e32 v10, 0
	ds_write_b32 v10, v11 offset:12
.LBB515_74:
	s_or_b64 exec, exec, s[38:39]
	v_mov_b32_e32 v10, 0
	s_waitcnt lgkmcnt(0)
	s_barrier
	ds_read_b32 v11, v10 offset:12
	v_cndmask_b32_e64 v16, v39, v38, s[16:17]
	v_cmp_ne_u32_e32 vcc, 0, v0
	v_cndmask_b32_e32 v16, 0, v16, vcc
	s_waitcnt lgkmcnt(0)
	v_add_u32_e32 v39, v11, v16
	v_add_u32_sdwa v38, v39, v14 dst_sel:DWORD dst_unused:UNUSED_PAD src0_sel:DWORD src1_sel:BYTE_0
	v_add_u32_sdwa v23, v38, v14 dst_sel:DWORD dst_unused:UNUSED_PAD src0_sel:DWORD src1_sel:BYTE_1
	v_add_u32_e32 v22, v23, v33
	v_add_u32_e32 v21, v22, v28
	;; [unrolled: 1-line block ×3, first 2 shown]
	s_barrier
	ds_read_b64 v[10:11], v10 offset:10240
	v_add_u32_e32 v19, v20, v31
	v_add_u32_e32 v18, v19, v32
	;; [unrolled: 1-line block ×4, first 2 shown]
	s_load_dwordx2 s[4:5], s[4:5], 0x30
	s_branch .LBB515_85
.LBB515_75:
                                        ; implicit-def: $vgpr11
                                        ; implicit-def: $vgpr16
                                        ; implicit-def: $vgpr17
                                        ; implicit-def: $vgpr18
                                        ; implicit-def: $vgpr19
                                        ; implicit-def: $vgpr20
                                        ; implicit-def: $vgpr21
                                        ; implicit-def: $vgpr22
                                        ; implicit-def: $vgpr23
                                        ; implicit-def: $vgpr38
                                        ; implicit-def: $vgpr39
	s_load_dwordx2 s[4:5], s[4:5], 0x30
	s_cbranch_execz .LBB515_85
; %bb.76:
	s_waitcnt lgkmcnt(0)
	v_mov_b32_dpp v10, v37 row_shr:1 row_mask:0xf bank_mask:0xf
	v_cndmask_b32_e64 v10, v10, 0, s[14:15]
	v_add_u32_e32 v10, v10, v37
	s_nop 1
	v_mov_b32_dpp v11, v10 row_shr:2 row_mask:0xf bank_mask:0xf
	v_cndmask_b32_e64 v11, 0, v11, s[12:13]
	v_add_u32_e32 v10, v10, v11
	s_nop 1
	;; [unrolled: 4-line block ×4, first 2 shown]
	v_mov_b32_dpp v11, v10 row_bcast:15 row_mask:0xf bank_mask:0xf
	v_cndmask_b32_e64 v11, v11, 0, s[18:19]
	v_add_u32_e32 v10, v10, v11
	s_nop 1
	v_mov_b32_dpp v11, v10 row_bcast:31 row_mask:0xf bank_mask:0xf
	v_cndmask_b32_e64 v11, 0, v11, s[0:1]
	v_add_u32_e32 v10, v10, v11
	s_and_saveexec_b64 s[0:1], s[2:3]
	s_cbranch_execz .LBB515_78
; %bb.77:
	v_lshlrev_b32_e32 v11, 2, v36
	ds_write_b32 v11, v10
.LBB515_78:
	s_or_b64 exec, exec, s[0:1]
	v_cmp_gt_u32_e32 vcc, 4, v0
	s_waitcnt lgkmcnt(0)
	s_barrier
	s_and_saveexec_b64 s[0:1], vcc
	s_cbranch_execz .LBB515_80
; %bb.79:
	v_mad_i32_i24 v11, v0, -6, v35
	ds_read_b32 v16, v11
	v_and_b32_e32 v17, 3, v34
	v_cmp_ne_u32_e32 vcc, 0, v17
	s_waitcnt lgkmcnt(0)
	v_mov_b32_dpp v18, v16 row_shr:1 row_mask:0xf bank_mask:0xf
	v_cndmask_b32_e32 v18, 0, v18, vcc
	v_add_u32_e32 v16, v18, v16
	v_cmp_lt_u32_e32 vcc, 1, v17
	s_nop 0
	v_mov_b32_dpp v18, v16 row_shr:2 row_mask:0xf bank_mask:0xf
	v_cndmask_b32_e32 v17, 0, v18, vcc
	v_add_u32_e32 v16, v16, v17
	ds_write_b32 v11, v16
.LBB515_80:
	s_or_b64 exec, exec, s[0:1]
	v_cmp_lt_u32_e32 vcc, 63, v0
	v_mov_b32_e32 v11, 0
	v_mov_b32_e32 v16, 0
	s_waitcnt lgkmcnt(0)
	s_barrier
	s_and_saveexec_b64 s[0:1], vcc
	s_cbranch_execz .LBB515_82
; %bb.81:
	v_lshl_add_u32 v16, v36, 2, -4
	ds_read_b32 v16, v16
.LBB515_82:
	s_or_b64 exec, exec, s[0:1]
	v_add_u32_e32 v17, -1, v34
	v_and_b32_e32 v18, 64, v34
	v_cmp_lt_i32_e32 vcc, v17, v18
	v_cndmask_b32_e32 v17, v17, v34, vcc
	s_waitcnt lgkmcnt(0)
	v_add_u32_e32 v10, v16, v10
	v_lshlrev_b32_e32 v17, 2, v17
	ds_bpermute_b32 v17, v17, v10
	ds_read_b32 v10, v11 offset:12
	v_cmp_eq_u32_e32 vcc, 0, v0
	s_and_saveexec_b64 s[0:1], vcc
	s_cbranch_execz .LBB515_84
; %bb.83:
	v_mov_b32_e32 v18, 0
	v_mov_b32_e32 v11, 2
	s_waitcnt lgkmcnt(0)
	global_store_dwordx2 v18, v[10:11], s[36:37] offset:512
.LBB515_84:
	s_or_b64 exec, exec, s[0:1]
	v_cmp_eq_u32_e64 s[0:1], 0, v34
	s_waitcnt lgkmcnt(1)
	v_cndmask_b32_e64 v16, v17, v16, s[0:1]
	v_cndmask_b32_e64 v39, v16, 0, vcc
	v_add_u32_sdwa v38, v39, v14 dst_sel:DWORD dst_unused:UNUSED_PAD src0_sel:DWORD src1_sel:BYTE_0
	v_add_u32_sdwa v23, v38, v14 dst_sel:DWORD dst_unused:UNUSED_PAD src0_sel:DWORD src1_sel:BYTE_1
	v_add_u32_e32 v22, v23, v33
	v_add_u32_e32 v21, v22, v28
	v_add_u32_e32 v20, v21, v30
	v_add_u32_e32 v19, v20, v31
	v_add_u32_e32 v18, v19, v32
	v_add_u32_e32 v17, v18, v27
	v_mov_b32_e32 v11, 0
	v_add_u32_e32 v16, v17, v29
	s_waitcnt lgkmcnt(0)
	s_barrier
.LBB515_85:
	s_waitcnt lgkmcnt(0)
	v_add_u32_e32 v24, v10, v24
	v_sub_u32_e32 v31, v39, v11
	v_and_b32_e32 v33, 1, v14
	v_sub_u32_e32 v32, v24, v31
	v_cmp_eq_u32_e32 vcc, 1, v33
	v_cndmask_b32_e32 v31, v32, v31, vcc
	v_lshlrev_b32_e32 v31, 2, v31
	v_lshrrev_b32_e32 v30, 8, v14
	ds_write_b32 v31, v6
	v_sub_u32_e32 v6, v38, v11
	v_sub_u32_e32 v31, v24, v6
	v_and_b32_e32 v30, 1, v30
	v_add_u32_e32 v31, 1, v31
	v_cmp_eq_u32_e32 vcc, 1, v30
	v_cndmask_b32_e32 v6, v31, v6, vcc
	v_lshlrev_b32_e32 v6, 2, v6
	ds_write_b32 v6, v7
	v_sub_u32_e32 v6, v23, v11
	v_mov_b32_e32 v23, 1
	v_sub_u32_e32 v7, v24, v6
	v_and_b32_sdwa v14, v23, v14 dst_sel:DWORD dst_unused:UNUSED_PAD src0_sel:DWORD src1_sel:WORD_1
	v_add_u32_e32 v7, 2, v7
	v_cmp_eq_u32_e32 vcc, 1, v14
	v_cndmask_b32_e32 v6, v7, v6, vcc
	v_lshlrev_b32_e32 v6, 2, v6
	ds_write_b32 v6, v8
	v_sub_u32_e32 v6, v22, v11
	v_sub_u32_e32 v7, v24, v6
	v_and_b32_e32 v8, 1, v28
	v_add_u32_e32 v7, 3, v7
	v_cmp_eq_u32_e32 vcc, 1, v8
	v_cndmask_b32_e32 v6, v7, v6, vcc
	v_lshlrev_b32_e32 v6, 2, v6
	ds_write_b32 v6, v9
	v_sub_u32_e32 v6, v21, v11
	v_sub_u32_e32 v7, v24, v6
	v_and_b32_e32 v8, 1, v15
	v_add_u32_e32 v7, 4, v7
	v_cmp_eq_u32_e32 vcc, 1, v8
	v_cndmask_b32_e32 v6, v7, v6, vcc
	v_lshlrev_b32_e32 v6, 2, v6
	v_lshrrev_b32_e32 v29, 8, v15
	ds_write_b32 v6, v2
	v_sub_u32_e32 v2, v20, v11
	v_sub_u32_e32 v6, v24, v2
	v_and_b32_e32 v7, 1, v29
	v_add_u32_e32 v6, 5, v6
	v_cmp_eq_u32_e32 vcc, 1, v7
	v_cndmask_b32_e32 v2, v6, v2, vcc
	v_lshlrev_b32_e32 v2, 2, v2
	ds_write_b32 v2, v3
	v_sub_u32_e32 v2, v19, v11
	v_sub_u32_e32 v3, v24, v2
	v_and_b32_sdwa v6, v23, v15 dst_sel:DWORD dst_unused:UNUSED_PAD src0_sel:DWORD src1_sel:WORD_1
	v_add_u32_e32 v3, 6, v3
	v_cmp_eq_u32_e32 vcc, 1, v6
	v_cndmask_b32_e32 v2, v3, v2, vcc
	v_lshlrev_b32_e32 v2, 2, v2
	ds_write_b32 v2, v4
	v_sub_u32_e32 v2, v18, v11
	v_sub_u32_e32 v3, v24, v2
	v_and_b32_e32 v4, 1, v27
	v_add_u32_e32 v3, 7, v3
	v_cmp_eq_u32_e32 vcc, 1, v4
	v_cndmask_b32_e32 v2, v3, v2, vcc
	v_lshlrev_b32_e32 v2, 2, v2
	ds_write_b32 v2, v5
	v_sub_u32_e32 v2, v17, v11
	v_sub_u32_e32 v3, v24, v2
	v_and_b32_e32 v4, 1, v26
	;; [unrolled: 8-line block ×3, first 2 shown]
	v_add_u32_e32 v3, 9, v3
	v_cmp_eq_u32_e32 vcc, 1, v4
	v_cndmask_b32_e32 v2, v3, v2, vcc
	s_add_u32 s0, s26, s24
	v_lshlrev_b32_e32 v2, 2, v2
	s_addc_u32 s1, s27, 0
	ds_write_b32 v2, v13
	s_waitcnt lgkmcnt(0)
	s_barrier
	ds_read2st64_b32 v[12:13], v1 offset1:4
	ds_read2st64_b32 v[8:9], v1 offset0:8 offset1:12
	ds_read2st64_b32 v[6:7], v1 offset0:16 offset1:20
	;; [unrolled: 1-line block ×4, first 2 shown]
	v_mov_b32_e32 v14, s31
	v_add_co_u32_e32 v1, vcc, s30, v11
	s_sub_u32 s0, s28, s0
	v_addc_co_u32_e32 v11, vcc, 0, v14, vcc
	s_subb_u32 s1, s29, s1
	v_mov_b32_e32 v14, s1
	v_add_co_u32_e32 v15, vcc, s0, v10
	v_addc_co_u32_e32 v14, vcc, 0, v14, vcc
	v_add_co_u32_e64 v17, s[0:1], v15, v1
	v_or_b32_e32 v26, 0x100, v0
	v_or_b32_e32 v25, 0x200, v0
	;; [unrolled: 1-line block ×9, first 2 shown]
	s_andn2_b64 vcc, exec, s[34:35]
	v_addc_co_u32_e64 v18, s[0:1], v14, v11, s[0:1]
	s_cbranch_vccnz .LBB515_127
; %bb.86:
	v_cmp_ge_u32_e32 vcc, v0, v10
                                        ; implicit-def: $vgpr14_vgpr15
	s_and_saveexec_b64 s[0:1], vcc
	s_xor_b64 s[0:1], exec, s[0:1]
; %bb.87:
	v_not_b32_e32 v14, v0
	v_ashrrev_i32_e32 v15, 31, v14
	v_add_co_u32_e32 v14, vcc, v17, v14
	v_addc_co_u32_e32 v15, vcc, v18, v15, vcc
; %bb.88:
	s_andn2_saveexec_b64 s[0:1], s[0:1]
; %bb.89:
	v_add_co_u32_e32 v14, vcc, v1, v0
	v_addc_co_u32_e32 v15, vcc, 0, v11, vcc
; %bb.90:
	s_or_b64 exec, exec, s[0:1]
	v_lshlrev_b64 v[14:15], 2, v[14:15]
	v_mov_b32_e32 v27, s5
	v_add_co_u32_e32 v14, vcc, s4, v14
	v_addc_co_u32_e32 v15, vcc, v27, v15, vcc
	v_cmp_ge_u32_e32 vcc, v26, v10
	s_waitcnt lgkmcnt(4)
	global_store_dword v[14:15], v12, off
                                        ; implicit-def: $vgpr14_vgpr15
	s_and_saveexec_b64 s[0:1], vcc
	s_xor_b64 s[0:1], exec, s[0:1]
; %bb.91:
	v_xor_b32_e32 v14, 0xfffffeff, v0
	v_ashrrev_i32_e32 v15, 31, v14
	v_add_co_u32_e32 v14, vcc, v17, v14
	v_addc_co_u32_e32 v15, vcc, v18, v15, vcc
; %bb.92:
	s_andn2_saveexec_b64 s[0:1], s[0:1]
; %bb.93:
	v_add_co_u32_e32 v14, vcc, v1, v26
	v_addc_co_u32_e32 v15, vcc, 0, v11, vcc
; %bb.94:
	s_or_b64 exec, exec, s[0:1]
	v_lshlrev_b64 v[14:15], 2, v[14:15]
	v_mov_b32_e32 v27, s5
	v_add_co_u32_e32 v14, vcc, s4, v14
	v_addc_co_u32_e32 v15, vcc, v27, v15, vcc
	v_cmp_ge_u32_e32 vcc, v25, v10
	global_store_dword v[14:15], v13, off
                                        ; implicit-def: $vgpr14_vgpr15
	s_and_saveexec_b64 s[0:1], vcc
	s_xor_b64 s[0:1], exec, s[0:1]
; %bb.95:
	v_xor_b32_e32 v14, 0xfffffdff, v0
	v_ashrrev_i32_e32 v15, 31, v14
	v_add_co_u32_e32 v14, vcc, v17, v14
	v_addc_co_u32_e32 v15, vcc, v18, v15, vcc
; %bb.96:
	s_andn2_saveexec_b64 s[0:1], s[0:1]
; %bb.97:
	v_add_co_u32_e32 v14, vcc, v1, v25
	v_addc_co_u32_e32 v15, vcc, 0, v11, vcc
; %bb.98:
	s_or_b64 exec, exec, s[0:1]
	v_lshlrev_b64 v[14:15], 2, v[14:15]
	v_mov_b32_e32 v27, s5
	v_add_co_u32_e32 v14, vcc, s4, v14
	v_addc_co_u32_e32 v15, vcc, v27, v15, vcc
	v_cmp_ge_u32_e32 vcc, v24, v10
	s_waitcnt lgkmcnt(3)
	global_store_dword v[14:15], v8, off
                                        ; implicit-def: $vgpr14_vgpr15
	s_and_saveexec_b64 s[0:1], vcc
	s_xor_b64 s[0:1], exec, s[0:1]
; %bb.99:
	v_xor_b32_e32 v14, 0xfffffcff, v0
	v_ashrrev_i32_e32 v15, 31, v14
	v_add_co_u32_e32 v14, vcc, v17, v14
	v_addc_co_u32_e32 v15, vcc, v18, v15, vcc
; %bb.100:
	s_andn2_saveexec_b64 s[0:1], s[0:1]
; %bb.101:
	v_add_co_u32_e32 v14, vcc, v1, v24
	v_addc_co_u32_e32 v15, vcc, 0, v11, vcc
; %bb.102:
	s_or_b64 exec, exec, s[0:1]
	v_lshlrev_b64 v[14:15], 2, v[14:15]
	v_mov_b32_e32 v27, s5
	v_add_co_u32_e32 v14, vcc, s4, v14
	v_addc_co_u32_e32 v15, vcc, v27, v15, vcc
	v_cmp_ge_u32_e32 vcc, v23, v10
	global_store_dword v[14:15], v9, off
                                        ; implicit-def: $vgpr14_vgpr15
	s_and_saveexec_b64 s[0:1], vcc
	s_xor_b64 s[0:1], exec, s[0:1]
; %bb.103:
	v_xor_b32_e32 v14, 0xfffffbff, v0
	;; [unrolled: 43-line block ×4, first 2 shown]
	v_ashrrev_i32_e32 v15, 31, v14
	v_add_co_u32_e32 v14, vcc, v17, v14
	v_addc_co_u32_e32 v15, vcc, v18, v15, vcc
; %bb.120:
	s_andn2_saveexec_b64 s[0:1], s[0:1]
; %bb.121:
	v_add_co_u32_e32 v14, vcc, v1, v19
	v_addc_co_u32_e32 v15, vcc, 0, v11, vcc
; %bb.122:
	s_or_b64 exec, exec, s[0:1]
	v_lshlrev_b64 v[14:15], 2, v[14:15]
	v_mov_b32_e32 v27, s5
	v_add_co_u32_e32 v14, vcc, s4, v14
	v_addc_co_u32_e32 v15, vcc, v27, v15, vcc
	v_cmp_ge_u32_e32 vcc, v16, v10
	s_waitcnt lgkmcnt(0)
	global_store_dword v[14:15], v2, off
                                        ; implicit-def: $vgpr14_vgpr15
	s_and_saveexec_b64 s[0:1], vcc
	s_xor_b64 s[0:1], exec, s[0:1]
; %bb.123:
	v_xor_b32_e32 v14, 0xfffff6ff, v0
	v_ashrrev_i32_e32 v15, 31, v14
	v_add_co_u32_e32 v14, vcc, v17, v14
	v_addc_co_u32_e32 v15, vcc, v18, v15, vcc
; %bb.124:
	s_andn2_saveexec_b64 s[0:1], s[0:1]
; %bb.125:
	v_add_co_u32_e32 v14, vcc, v1, v16
	v_addc_co_u32_e32 v15, vcc, 0, v11, vcc
; %bb.126:
	s_or_b64 exec, exec, s[0:1]
	s_mov_b64 s[0:1], -1
	s_branch .LBB515_189
.LBB515_127:
	s_mov_b64 s[0:1], 0
                                        ; implicit-def: $vgpr14_vgpr15
	s_cbranch_execz .LBB515_189
; %bb.128:
	v_cmp_gt_u32_e32 vcc, s33, v0
	s_and_saveexec_b64 s[2:3], vcc
	s_cbranch_execz .LBB515_154
; %bb.129:
	v_cmp_ge_u32_e32 vcc, v0, v10
                                        ; implicit-def: $vgpr14_vgpr15
	s_and_saveexec_b64 s[6:7], vcc
	s_xor_b64 s[6:7], exec, s[6:7]
; %bb.130:
	v_not_b32_e32 v14, v0
	v_ashrrev_i32_e32 v15, 31, v14
	v_add_co_u32_e32 v14, vcc, v17, v14
	v_addc_co_u32_e32 v15, vcc, v18, v15, vcc
; %bb.131:
	s_andn2_saveexec_b64 s[6:7], s[6:7]
; %bb.132:
	v_add_co_u32_e32 v14, vcc, v1, v0
	v_addc_co_u32_e32 v15, vcc, 0, v11, vcc
; %bb.133:
	s_or_b64 exec, exec, s[6:7]
	v_lshlrev_b64 v[14:15], 2, v[14:15]
	v_mov_b32_e32 v27, s5
	v_add_co_u32_e32 v14, vcc, s4, v14
	v_addc_co_u32_e32 v15, vcc, v27, v15, vcc
	s_waitcnt lgkmcnt(4)
	global_store_dword v[14:15], v12, off
	s_or_b64 exec, exec, s[2:3]
	v_cmp_gt_u32_e32 vcc, s33, v26
	s_and_saveexec_b64 s[2:3], vcc
	s_cbranch_execnz .LBB515_155
.LBB515_134:
	s_or_b64 exec, exec, s[2:3]
	v_cmp_gt_u32_e32 vcc, s33, v25
	s_and_saveexec_b64 s[2:3], vcc
	s_cbranch_execz .LBB515_160
.LBB515_135:
	v_cmp_ge_u32_e32 vcc, v25, v10
                                        ; implicit-def: $vgpr12_vgpr13
	s_and_saveexec_b64 s[6:7], vcc
	s_xor_b64 s[6:7], exec, s[6:7]
	s_cbranch_execz .LBB515_137
; %bb.136:
	s_waitcnt lgkmcnt(4)
	v_xor_b32_e32 v12, 0xfffffdff, v0
	v_ashrrev_i32_e32 v13, 31, v12
	v_add_co_u32_e32 v12, vcc, v17, v12
	v_addc_co_u32_e32 v13, vcc, v18, v13, vcc
                                        ; implicit-def: $vgpr25
.LBB515_137:
	s_andn2_saveexec_b64 s[6:7], s[6:7]
	s_cbranch_execz .LBB515_139
; %bb.138:
	s_waitcnt lgkmcnt(4)
	v_add_co_u32_e32 v12, vcc, v1, v25
	v_addc_co_u32_e32 v13, vcc, 0, v11, vcc
.LBB515_139:
	s_or_b64 exec, exec, s[6:7]
	s_waitcnt lgkmcnt(4)
	v_lshlrev_b64 v[12:13], 2, v[12:13]
	v_mov_b32_e32 v14, s5
	v_add_co_u32_e32 v12, vcc, s4, v12
	v_addc_co_u32_e32 v13, vcc, v14, v13, vcc
	s_waitcnt lgkmcnt(3)
	global_store_dword v[12:13], v8, off
	s_or_b64 exec, exec, s[2:3]
	v_cmp_gt_u32_e32 vcc, s33, v24
	s_and_saveexec_b64 s[2:3], vcc
	s_cbranch_execnz .LBB515_161
.LBB515_140:
	s_or_b64 exec, exec, s[2:3]
	v_cmp_gt_u32_e32 vcc, s33, v23
	s_and_saveexec_b64 s[2:3], vcc
	s_cbranch_execz .LBB515_166
.LBB515_141:
	v_cmp_ge_u32_e32 vcc, v23, v10
                                        ; implicit-def: $vgpr8_vgpr9
	s_and_saveexec_b64 s[6:7], vcc
	s_xor_b64 s[6:7], exec, s[6:7]
	s_cbranch_execz .LBB515_143
; %bb.142:
	s_waitcnt lgkmcnt(3)
	v_xor_b32_e32 v8, 0xfffffbff, v0
	v_ashrrev_i32_e32 v9, 31, v8
	v_add_co_u32_e32 v8, vcc, v17, v8
	v_addc_co_u32_e32 v9, vcc, v18, v9, vcc
                                        ; implicit-def: $vgpr23
.LBB515_143:
	s_andn2_saveexec_b64 s[6:7], s[6:7]
	s_cbranch_execz .LBB515_145
; %bb.144:
	s_waitcnt lgkmcnt(3)
	v_add_co_u32_e32 v8, vcc, v1, v23
	v_addc_co_u32_e32 v9, vcc, 0, v11, vcc
.LBB515_145:
	s_or_b64 exec, exec, s[6:7]
	s_waitcnt lgkmcnt(3)
	v_lshlrev_b64 v[8:9], 2, v[8:9]
	v_mov_b32_e32 v12, s5
	v_add_co_u32_e32 v8, vcc, s4, v8
	v_addc_co_u32_e32 v9, vcc, v12, v9, vcc
	s_waitcnt lgkmcnt(2)
	global_store_dword v[8:9], v6, off
	s_or_b64 exec, exec, s[2:3]
	v_cmp_gt_u32_e32 vcc, s33, v22
	s_and_saveexec_b64 s[2:3], vcc
	s_cbranch_execnz .LBB515_167
.LBB515_146:
	s_or_b64 exec, exec, s[2:3]
	v_cmp_gt_u32_e32 vcc, s33, v21
	s_and_saveexec_b64 s[2:3], vcc
	s_cbranch_execz .LBB515_172
.LBB515_147:
	v_cmp_ge_u32_e32 vcc, v21, v10
                                        ; implicit-def: $vgpr6_vgpr7
	s_and_saveexec_b64 s[6:7], vcc
	s_xor_b64 s[6:7], exec, s[6:7]
	s_cbranch_execz .LBB515_149
; %bb.148:
	s_waitcnt lgkmcnt(2)
	v_xor_b32_e32 v6, 0xfffff9ff, v0
	v_ashrrev_i32_e32 v7, 31, v6
	v_add_co_u32_e32 v6, vcc, v17, v6
	v_addc_co_u32_e32 v7, vcc, v18, v7, vcc
                                        ; implicit-def: $vgpr21
.LBB515_149:
	s_andn2_saveexec_b64 s[6:7], s[6:7]
	s_cbranch_execz .LBB515_151
; %bb.150:
	s_waitcnt lgkmcnt(2)
	v_add_co_u32_e32 v6, vcc, v1, v21
	v_addc_co_u32_e32 v7, vcc, 0, v11, vcc
.LBB515_151:
	s_or_b64 exec, exec, s[6:7]
	s_waitcnt lgkmcnt(2)
	v_lshlrev_b64 v[6:7], 2, v[6:7]
	v_mov_b32_e32 v8, s5
	v_add_co_u32_e32 v6, vcc, s4, v6
	v_addc_co_u32_e32 v7, vcc, v8, v7, vcc
	s_waitcnt lgkmcnt(1)
	global_store_dword v[6:7], v4, off
	s_or_b64 exec, exec, s[2:3]
	v_cmp_gt_u32_e32 vcc, s33, v20
	s_and_saveexec_b64 s[2:3], vcc
	s_cbranch_execnz .LBB515_173
.LBB515_152:
	s_or_b64 exec, exec, s[2:3]
	v_cmp_gt_u32_e32 vcc, s33, v19
	s_and_saveexec_b64 s[2:3], vcc
	s_cbranch_execnz .LBB515_178
.LBB515_153:
	s_or_b64 exec, exec, s[2:3]
	v_cmp_gt_u32_e32 vcc, s33, v16
                                        ; implicit-def: $vgpr14_vgpr15
	s_and_saveexec_b64 s[2:3], vcc
	s_cbranch_execz .LBB515_188
	s_branch .LBB515_183
.LBB515_154:
	s_or_b64 exec, exec, s[2:3]
	v_cmp_gt_u32_e32 vcc, s33, v26
	s_and_saveexec_b64 s[2:3], vcc
	s_cbranch_execz .LBB515_134
.LBB515_155:
	v_cmp_ge_u32_e32 vcc, v26, v10
                                        ; implicit-def: $vgpr14_vgpr15
	s_and_saveexec_b64 s[6:7], vcc
	s_xor_b64 s[6:7], exec, s[6:7]
	s_cbranch_execz .LBB515_157
; %bb.156:
	s_waitcnt lgkmcnt(4)
	v_xor_b32_e32 v12, 0xfffffeff, v0
	v_ashrrev_i32_e32 v15, 31, v12
	v_add_co_u32_e32 v14, vcc, v17, v12
	v_addc_co_u32_e32 v15, vcc, v18, v15, vcc
                                        ; implicit-def: $vgpr26
.LBB515_157:
	s_andn2_saveexec_b64 s[6:7], s[6:7]
; %bb.158:
	v_add_co_u32_e32 v14, vcc, v1, v26
	v_addc_co_u32_e32 v15, vcc, 0, v11, vcc
; %bb.159:
	s_or_b64 exec, exec, s[6:7]
	v_lshlrev_b64 v[14:15], 2, v[14:15]
	s_waitcnt lgkmcnt(4)
	v_mov_b32_e32 v12, s5
	v_add_co_u32_e32 v14, vcc, s4, v14
	v_addc_co_u32_e32 v15, vcc, v12, v15, vcc
	global_store_dword v[14:15], v13, off
	s_or_b64 exec, exec, s[2:3]
	v_cmp_gt_u32_e32 vcc, s33, v25
	s_and_saveexec_b64 s[2:3], vcc
	s_cbranch_execnz .LBB515_135
.LBB515_160:
	s_or_b64 exec, exec, s[2:3]
	v_cmp_gt_u32_e32 vcc, s33, v24
	s_and_saveexec_b64 s[2:3], vcc
	s_cbranch_execz .LBB515_140
.LBB515_161:
	v_cmp_ge_u32_e32 vcc, v24, v10
                                        ; implicit-def: $vgpr12_vgpr13
	s_and_saveexec_b64 s[6:7], vcc
	s_xor_b64 s[6:7], exec, s[6:7]
	s_cbranch_execz .LBB515_163
; %bb.162:
	s_waitcnt lgkmcnt(3)
	v_xor_b32_e32 v8, 0xfffffcff, v0
	v_ashrrev_i32_e32 v13, 31, v8
	v_add_co_u32_e32 v12, vcc, v17, v8
	v_addc_co_u32_e32 v13, vcc, v18, v13, vcc
                                        ; implicit-def: $vgpr24
.LBB515_163:
	s_andn2_saveexec_b64 s[6:7], s[6:7]
	s_cbranch_execz .LBB515_165
; %bb.164:
	s_waitcnt lgkmcnt(4)
	v_add_co_u32_e32 v12, vcc, v1, v24
	v_addc_co_u32_e32 v13, vcc, 0, v11, vcc
.LBB515_165:
	s_or_b64 exec, exec, s[6:7]
	s_waitcnt lgkmcnt(4)
	v_lshlrev_b64 v[12:13], 2, v[12:13]
	s_waitcnt lgkmcnt(3)
	v_mov_b32_e32 v8, s5
	v_add_co_u32_e32 v12, vcc, s4, v12
	v_addc_co_u32_e32 v13, vcc, v8, v13, vcc
	global_store_dword v[12:13], v9, off
	s_or_b64 exec, exec, s[2:3]
	v_cmp_gt_u32_e32 vcc, s33, v23
	s_and_saveexec_b64 s[2:3], vcc
	s_cbranch_execnz .LBB515_141
.LBB515_166:
	s_or_b64 exec, exec, s[2:3]
	v_cmp_gt_u32_e32 vcc, s33, v22
	s_and_saveexec_b64 s[2:3], vcc
	s_cbranch_execz .LBB515_146
.LBB515_167:
	v_cmp_ge_u32_e32 vcc, v22, v10
                                        ; implicit-def: $vgpr8_vgpr9
	s_and_saveexec_b64 s[6:7], vcc
	s_xor_b64 s[6:7], exec, s[6:7]
	s_cbranch_execz .LBB515_169
; %bb.168:
	s_waitcnt lgkmcnt(2)
	v_xor_b32_e32 v6, 0xfffffaff, v0
	v_ashrrev_i32_e32 v9, 31, v6
	v_add_co_u32_e32 v8, vcc, v17, v6
	v_addc_co_u32_e32 v9, vcc, v18, v9, vcc
                                        ; implicit-def: $vgpr22
.LBB515_169:
	s_andn2_saveexec_b64 s[6:7], s[6:7]
	s_cbranch_execz .LBB515_171
; %bb.170:
	s_waitcnt lgkmcnt(3)
	v_add_co_u32_e32 v8, vcc, v1, v22
	v_addc_co_u32_e32 v9, vcc, 0, v11, vcc
.LBB515_171:
	s_or_b64 exec, exec, s[6:7]
	s_waitcnt lgkmcnt(3)
	v_lshlrev_b64 v[8:9], 2, v[8:9]
	s_waitcnt lgkmcnt(2)
	v_mov_b32_e32 v6, s5
	v_add_co_u32_e32 v8, vcc, s4, v8
	v_addc_co_u32_e32 v9, vcc, v6, v9, vcc
	global_store_dword v[8:9], v7, off
	s_or_b64 exec, exec, s[2:3]
	v_cmp_gt_u32_e32 vcc, s33, v21
	s_and_saveexec_b64 s[2:3], vcc
	s_cbranch_execnz .LBB515_147
.LBB515_172:
	s_or_b64 exec, exec, s[2:3]
	v_cmp_gt_u32_e32 vcc, s33, v20
	s_and_saveexec_b64 s[2:3], vcc
	s_cbranch_execz .LBB515_152
.LBB515_173:
	v_cmp_ge_u32_e32 vcc, v20, v10
                                        ; implicit-def: $vgpr6_vgpr7
	s_and_saveexec_b64 s[6:7], vcc
	s_xor_b64 s[6:7], exec, s[6:7]
	s_cbranch_execz .LBB515_175
; %bb.174:
	s_waitcnt lgkmcnt(1)
	v_xor_b32_e32 v4, 0xfffff8ff, v0
	v_ashrrev_i32_e32 v7, 31, v4
	v_add_co_u32_e32 v6, vcc, v17, v4
	v_addc_co_u32_e32 v7, vcc, v18, v7, vcc
                                        ; implicit-def: $vgpr20
.LBB515_175:
	s_andn2_saveexec_b64 s[6:7], s[6:7]
	s_cbranch_execz .LBB515_177
; %bb.176:
	s_waitcnt lgkmcnt(2)
	v_add_co_u32_e32 v6, vcc, v1, v20
	v_addc_co_u32_e32 v7, vcc, 0, v11, vcc
.LBB515_177:
	s_or_b64 exec, exec, s[6:7]
	s_waitcnt lgkmcnt(2)
	v_lshlrev_b64 v[6:7], 2, v[6:7]
	s_waitcnt lgkmcnt(1)
	v_mov_b32_e32 v4, s5
	v_add_co_u32_e32 v6, vcc, s4, v6
	v_addc_co_u32_e32 v7, vcc, v4, v7, vcc
	global_store_dword v[6:7], v5, off
	s_or_b64 exec, exec, s[2:3]
	v_cmp_gt_u32_e32 vcc, s33, v19
	s_and_saveexec_b64 s[2:3], vcc
	s_cbranch_execz .LBB515_153
.LBB515_178:
	v_cmp_ge_u32_e32 vcc, v19, v10
                                        ; implicit-def: $vgpr4_vgpr5
	s_and_saveexec_b64 s[6:7], vcc
	s_xor_b64 s[6:7], exec, s[6:7]
	s_cbranch_execz .LBB515_180
; %bb.179:
	s_waitcnt lgkmcnt(1)
	v_xor_b32_e32 v4, 0xfffff7ff, v0
	v_ashrrev_i32_e32 v5, 31, v4
	v_add_co_u32_e32 v4, vcc, v17, v4
	v_addc_co_u32_e32 v5, vcc, v18, v5, vcc
                                        ; implicit-def: $vgpr19
.LBB515_180:
	s_andn2_saveexec_b64 s[6:7], s[6:7]
	s_cbranch_execz .LBB515_182
; %bb.181:
	s_waitcnt lgkmcnt(1)
	v_add_co_u32_e32 v4, vcc, v1, v19
	v_addc_co_u32_e32 v5, vcc, 0, v11, vcc
.LBB515_182:
	s_or_b64 exec, exec, s[6:7]
	s_waitcnt lgkmcnt(1)
	v_lshlrev_b64 v[4:5], 2, v[4:5]
	v_mov_b32_e32 v6, s5
	v_add_co_u32_e32 v4, vcc, s4, v4
	v_addc_co_u32_e32 v5, vcc, v6, v5, vcc
	s_waitcnt lgkmcnt(0)
	global_store_dword v[4:5], v2, off
	s_or_b64 exec, exec, s[2:3]
	v_cmp_gt_u32_e32 vcc, s33, v16
                                        ; implicit-def: $vgpr14_vgpr15
	s_and_saveexec_b64 s[2:3], vcc
	s_cbranch_execz .LBB515_188
.LBB515_183:
	v_cmp_ge_u32_e32 vcc, v16, v10
                                        ; implicit-def: $vgpr14_vgpr15
	s_and_saveexec_b64 s[6:7], vcc
	s_xor_b64 s[6:7], exec, s[6:7]
	s_cbranch_execz .LBB515_185
; %bb.184:
	s_waitcnt lgkmcnt(0)
	v_xor_b32_e32 v2, 0xfffff6ff, v0
	v_ashrrev_i32_e32 v4, 31, v2
	v_add_co_u32_e32 v14, vcc, v17, v2
	v_addc_co_u32_e32 v15, vcc, v18, v4, vcc
                                        ; implicit-def: $vgpr16
.LBB515_185:
	s_andn2_saveexec_b64 s[6:7], s[6:7]
; %bb.186:
	v_add_co_u32_e32 v14, vcc, v1, v16
	v_addc_co_u32_e32 v15, vcc, 0, v11, vcc
; %bb.187:
	s_or_b64 exec, exec, s[6:7]
	s_or_b64 s[0:1], s[0:1], exec
.LBB515_188:
	s_or_b64 exec, exec, s[2:3]
.LBB515_189:
	s_and_saveexec_b64 s[2:3], s[0:1]
	s_cbranch_execz .LBB515_191
; %bb.190:
	s_waitcnt lgkmcnt(1)
	v_lshlrev_b64 v[4:5], 2, v[14:15]
	s_waitcnt lgkmcnt(0)
	v_mov_b32_e32 v2, s5
	v_add_co_u32_e32 v4, vcc, s4, v4
	v_addc_co_u32_e32 v5, vcc, v2, v5, vcc
	global_store_dword v[4:5], v3, off
.LBB515_191:
	s_or_b64 exec, exec, s[2:3]
	v_cmp_eq_u32_e32 vcc, 0, v0
	s_and_b64 s[0:1], vcc, s[22:23]
	s_and_saveexec_b64 s[2:3], s[0:1]
	s_cbranch_execz .LBB515_193
; %bb.192:
	v_add_co_u32_e32 v0, vcc, v1, v10
	s_waitcnt lgkmcnt(0)
	v_mov_b32_e32 v2, 0
	v_addc_co_u32_e32 v1, vcc, 0, v11, vcc
	global_store_dwordx2 v2, v[0:1], s[20:21]
.LBB515_193:
	s_endpgm
	.section	.rodata,"a",@progbits
	.p2align	6, 0x0
	.amdhsa_kernel _ZN7rocprim17ROCPRIM_400000_NS6detail17trampoline_kernelINS0_14default_configENS1_25partition_config_selectorILNS1_17partition_subalgoE2EiNS0_10empty_typeEbEEZZNS1_14partition_implILS5_2ELb0ES3_jN6thrust23THRUST_200600_302600_NS6detail15normal_iteratorINSA_7pointerIiNSA_11hip_rocprim3tagENSA_11use_defaultESG_EEEEPS6_NSA_18transform_iteratorINSA_8identityIiEENSC_INSA_10device_ptrIiEEEESG_SG_EENS0_5tupleIJPiSJ_EEENSR_IJSJ_SJ_EEES6_PlJS6_EEE10hipError_tPvRmT3_T4_T5_T6_T7_T9_mT8_P12ihipStream_tbDpT10_ENKUlT_T0_E_clISt17integral_constantIbLb0EES1F_EEDaS1A_S1B_EUlS1A_E_NS1_11comp_targetILNS1_3genE4ELNS1_11target_archE910ELNS1_3gpuE8ELNS1_3repE0EEENS1_30default_config_static_selectorELNS0_4arch9wavefront6targetE1EEEvT1_
		.amdhsa_group_segment_fixed_size 10248
		.amdhsa_private_segment_fixed_size 0
		.amdhsa_kernarg_size 128
		.amdhsa_user_sgpr_count 6
		.amdhsa_user_sgpr_private_segment_buffer 1
		.amdhsa_user_sgpr_dispatch_ptr 0
		.amdhsa_user_sgpr_queue_ptr 0
		.amdhsa_user_sgpr_kernarg_segment_ptr 1
		.amdhsa_user_sgpr_dispatch_id 0
		.amdhsa_user_sgpr_flat_scratch_init 0
		.amdhsa_user_sgpr_kernarg_preload_length 0
		.amdhsa_user_sgpr_kernarg_preload_offset 0
		.amdhsa_user_sgpr_private_segment_size 0
		.amdhsa_uses_dynamic_stack 0
		.amdhsa_system_sgpr_private_segment_wavefront_offset 0
		.amdhsa_system_sgpr_workgroup_id_x 1
		.amdhsa_system_sgpr_workgroup_id_y 0
		.amdhsa_system_sgpr_workgroup_id_z 0
		.amdhsa_system_sgpr_workgroup_info 0
		.amdhsa_system_vgpr_workitem_id 0
		.amdhsa_next_free_vgpr 54
		.amdhsa_next_free_sgpr 46
		.amdhsa_accum_offset 56
		.amdhsa_reserve_vcc 1
		.amdhsa_reserve_flat_scratch 0
		.amdhsa_float_round_mode_32 0
		.amdhsa_float_round_mode_16_64 0
		.amdhsa_float_denorm_mode_32 3
		.amdhsa_float_denorm_mode_16_64 3
		.amdhsa_dx10_clamp 1
		.amdhsa_ieee_mode 1
		.amdhsa_fp16_overflow 0
		.amdhsa_tg_split 0
		.amdhsa_exception_fp_ieee_invalid_op 0
		.amdhsa_exception_fp_denorm_src 0
		.amdhsa_exception_fp_ieee_div_zero 0
		.amdhsa_exception_fp_ieee_overflow 0
		.amdhsa_exception_fp_ieee_underflow 0
		.amdhsa_exception_fp_ieee_inexact 0
		.amdhsa_exception_int_div_zero 0
	.end_amdhsa_kernel
	.section	.text._ZN7rocprim17ROCPRIM_400000_NS6detail17trampoline_kernelINS0_14default_configENS1_25partition_config_selectorILNS1_17partition_subalgoE2EiNS0_10empty_typeEbEEZZNS1_14partition_implILS5_2ELb0ES3_jN6thrust23THRUST_200600_302600_NS6detail15normal_iteratorINSA_7pointerIiNSA_11hip_rocprim3tagENSA_11use_defaultESG_EEEEPS6_NSA_18transform_iteratorINSA_8identityIiEENSC_INSA_10device_ptrIiEEEESG_SG_EENS0_5tupleIJPiSJ_EEENSR_IJSJ_SJ_EEES6_PlJS6_EEE10hipError_tPvRmT3_T4_T5_T6_T7_T9_mT8_P12ihipStream_tbDpT10_ENKUlT_T0_E_clISt17integral_constantIbLb0EES1F_EEDaS1A_S1B_EUlS1A_E_NS1_11comp_targetILNS1_3genE4ELNS1_11target_archE910ELNS1_3gpuE8ELNS1_3repE0EEENS1_30default_config_static_selectorELNS0_4arch9wavefront6targetE1EEEvT1_,"axG",@progbits,_ZN7rocprim17ROCPRIM_400000_NS6detail17trampoline_kernelINS0_14default_configENS1_25partition_config_selectorILNS1_17partition_subalgoE2EiNS0_10empty_typeEbEEZZNS1_14partition_implILS5_2ELb0ES3_jN6thrust23THRUST_200600_302600_NS6detail15normal_iteratorINSA_7pointerIiNSA_11hip_rocprim3tagENSA_11use_defaultESG_EEEEPS6_NSA_18transform_iteratorINSA_8identityIiEENSC_INSA_10device_ptrIiEEEESG_SG_EENS0_5tupleIJPiSJ_EEENSR_IJSJ_SJ_EEES6_PlJS6_EEE10hipError_tPvRmT3_T4_T5_T6_T7_T9_mT8_P12ihipStream_tbDpT10_ENKUlT_T0_E_clISt17integral_constantIbLb0EES1F_EEDaS1A_S1B_EUlS1A_E_NS1_11comp_targetILNS1_3genE4ELNS1_11target_archE910ELNS1_3gpuE8ELNS1_3repE0EEENS1_30default_config_static_selectorELNS0_4arch9wavefront6targetE1EEEvT1_,comdat
.Lfunc_end515:
	.size	_ZN7rocprim17ROCPRIM_400000_NS6detail17trampoline_kernelINS0_14default_configENS1_25partition_config_selectorILNS1_17partition_subalgoE2EiNS0_10empty_typeEbEEZZNS1_14partition_implILS5_2ELb0ES3_jN6thrust23THRUST_200600_302600_NS6detail15normal_iteratorINSA_7pointerIiNSA_11hip_rocprim3tagENSA_11use_defaultESG_EEEEPS6_NSA_18transform_iteratorINSA_8identityIiEENSC_INSA_10device_ptrIiEEEESG_SG_EENS0_5tupleIJPiSJ_EEENSR_IJSJ_SJ_EEES6_PlJS6_EEE10hipError_tPvRmT3_T4_T5_T6_T7_T9_mT8_P12ihipStream_tbDpT10_ENKUlT_T0_E_clISt17integral_constantIbLb0EES1F_EEDaS1A_S1B_EUlS1A_E_NS1_11comp_targetILNS1_3genE4ELNS1_11target_archE910ELNS1_3gpuE8ELNS1_3repE0EEENS1_30default_config_static_selectorELNS0_4arch9wavefront6targetE1EEEvT1_, .Lfunc_end515-_ZN7rocprim17ROCPRIM_400000_NS6detail17trampoline_kernelINS0_14default_configENS1_25partition_config_selectorILNS1_17partition_subalgoE2EiNS0_10empty_typeEbEEZZNS1_14partition_implILS5_2ELb0ES3_jN6thrust23THRUST_200600_302600_NS6detail15normal_iteratorINSA_7pointerIiNSA_11hip_rocprim3tagENSA_11use_defaultESG_EEEEPS6_NSA_18transform_iteratorINSA_8identityIiEENSC_INSA_10device_ptrIiEEEESG_SG_EENS0_5tupleIJPiSJ_EEENSR_IJSJ_SJ_EEES6_PlJS6_EEE10hipError_tPvRmT3_T4_T5_T6_T7_T9_mT8_P12ihipStream_tbDpT10_ENKUlT_T0_E_clISt17integral_constantIbLb0EES1F_EEDaS1A_S1B_EUlS1A_E_NS1_11comp_targetILNS1_3genE4ELNS1_11target_archE910ELNS1_3gpuE8ELNS1_3repE0EEENS1_30default_config_static_selectorELNS0_4arch9wavefront6targetE1EEEvT1_
                                        ; -- End function
	.section	.AMDGPU.csdata,"",@progbits
; Kernel info:
; codeLenInByte = 6724
; NumSgprs: 50
; NumVgprs: 54
; NumAgprs: 0
; TotalNumVgprs: 54
; ScratchSize: 0
; MemoryBound: 0
; FloatMode: 240
; IeeeMode: 1
; LDSByteSize: 10248 bytes/workgroup (compile time only)
; SGPRBlocks: 6
; VGPRBlocks: 6
; NumSGPRsForWavesPerEU: 50
; NumVGPRsForWavesPerEU: 54
; AccumOffset: 56
; Occupancy: 6
; WaveLimiterHint : 1
; COMPUTE_PGM_RSRC2:SCRATCH_EN: 0
; COMPUTE_PGM_RSRC2:USER_SGPR: 6
; COMPUTE_PGM_RSRC2:TRAP_HANDLER: 0
; COMPUTE_PGM_RSRC2:TGID_X_EN: 1
; COMPUTE_PGM_RSRC2:TGID_Y_EN: 0
; COMPUTE_PGM_RSRC2:TGID_Z_EN: 0
; COMPUTE_PGM_RSRC2:TIDIG_COMP_CNT: 0
; COMPUTE_PGM_RSRC3_GFX90A:ACCUM_OFFSET: 13
; COMPUTE_PGM_RSRC3_GFX90A:TG_SPLIT: 0
	.section	.text._ZN7rocprim17ROCPRIM_400000_NS6detail17trampoline_kernelINS0_14default_configENS1_25partition_config_selectorILNS1_17partition_subalgoE2EiNS0_10empty_typeEbEEZZNS1_14partition_implILS5_2ELb0ES3_jN6thrust23THRUST_200600_302600_NS6detail15normal_iteratorINSA_7pointerIiNSA_11hip_rocprim3tagENSA_11use_defaultESG_EEEEPS6_NSA_18transform_iteratorINSA_8identityIiEENSC_INSA_10device_ptrIiEEEESG_SG_EENS0_5tupleIJPiSJ_EEENSR_IJSJ_SJ_EEES6_PlJS6_EEE10hipError_tPvRmT3_T4_T5_T6_T7_T9_mT8_P12ihipStream_tbDpT10_ENKUlT_T0_E_clISt17integral_constantIbLb0EES1F_EEDaS1A_S1B_EUlS1A_E_NS1_11comp_targetILNS1_3genE3ELNS1_11target_archE908ELNS1_3gpuE7ELNS1_3repE0EEENS1_30default_config_static_selectorELNS0_4arch9wavefront6targetE1EEEvT1_,"axG",@progbits,_ZN7rocprim17ROCPRIM_400000_NS6detail17trampoline_kernelINS0_14default_configENS1_25partition_config_selectorILNS1_17partition_subalgoE2EiNS0_10empty_typeEbEEZZNS1_14partition_implILS5_2ELb0ES3_jN6thrust23THRUST_200600_302600_NS6detail15normal_iteratorINSA_7pointerIiNSA_11hip_rocprim3tagENSA_11use_defaultESG_EEEEPS6_NSA_18transform_iteratorINSA_8identityIiEENSC_INSA_10device_ptrIiEEEESG_SG_EENS0_5tupleIJPiSJ_EEENSR_IJSJ_SJ_EEES6_PlJS6_EEE10hipError_tPvRmT3_T4_T5_T6_T7_T9_mT8_P12ihipStream_tbDpT10_ENKUlT_T0_E_clISt17integral_constantIbLb0EES1F_EEDaS1A_S1B_EUlS1A_E_NS1_11comp_targetILNS1_3genE3ELNS1_11target_archE908ELNS1_3gpuE7ELNS1_3repE0EEENS1_30default_config_static_selectorELNS0_4arch9wavefront6targetE1EEEvT1_,comdat
	.protected	_ZN7rocprim17ROCPRIM_400000_NS6detail17trampoline_kernelINS0_14default_configENS1_25partition_config_selectorILNS1_17partition_subalgoE2EiNS0_10empty_typeEbEEZZNS1_14partition_implILS5_2ELb0ES3_jN6thrust23THRUST_200600_302600_NS6detail15normal_iteratorINSA_7pointerIiNSA_11hip_rocprim3tagENSA_11use_defaultESG_EEEEPS6_NSA_18transform_iteratorINSA_8identityIiEENSC_INSA_10device_ptrIiEEEESG_SG_EENS0_5tupleIJPiSJ_EEENSR_IJSJ_SJ_EEES6_PlJS6_EEE10hipError_tPvRmT3_T4_T5_T6_T7_T9_mT8_P12ihipStream_tbDpT10_ENKUlT_T0_E_clISt17integral_constantIbLb0EES1F_EEDaS1A_S1B_EUlS1A_E_NS1_11comp_targetILNS1_3genE3ELNS1_11target_archE908ELNS1_3gpuE7ELNS1_3repE0EEENS1_30default_config_static_selectorELNS0_4arch9wavefront6targetE1EEEvT1_ ; -- Begin function _ZN7rocprim17ROCPRIM_400000_NS6detail17trampoline_kernelINS0_14default_configENS1_25partition_config_selectorILNS1_17partition_subalgoE2EiNS0_10empty_typeEbEEZZNS1_14partition_implILS5_2ELb0ES3_jN6thrust23THRUST_200600_302600_NS6detail15normal_iteratorINSA_7pointerIiNSA_11hip_rocprim3tagENSA_11use_defaultESG_EEEEPS6_NSA_18transform_iteratorINSA_8identityIiEENSC_INSA_10device_ptrIiEEEESG_SG_EENS0_5tupleIJPiSJ_EEENSR_IJSJ_SJ_EEES6_PlJS6_EEE10hipError_tPvRmT3_T4_T5_T6_T7_T9_mT8_P12ihipStream_tbDpT10_ENKUlT_T0_E_clISt17integral_constantIbLb0EES1F_EEDaS1A_S1B_EUlS1A_E_NS1_11comp_targetILNS1_3genE3ELNS1_11target_archE908ELNS1_3gpuE7ELNS1_3repE0EEENS1_30default_config_static_selectorELNS0_4arch9wavefront6targetE1EEEvT1_
	.globl	_ZN7rocprim17ROCPRIM_400000_NS6detail17trampoline_kernelINS0_14default_configENS1_25partition_config_selectorILNS1_17partition_subalgoE2EiNS0_10empty_typeEbEEZZNS1_14partition_implILS5_2ELb0ES3_jN6thrust23THRUST_200600_302600_NS6detail15normal_iteratorINSA_7pointerIiNSA_11hip_rocprim3tagENSA_11use_defaultESG_EEEEPS6_NSA_18transform_iteratorINSA_8identityIiEENSC_INSA_10device_ptrIiEEEESG_SG_EENS0_5tupleIJPiSJ_EEENSR_IJSJ_SJ_EEES6_PlJS6_EEE10hipError_tPvRmT3_T4_T5_T6_T7_T9_mT8_P12ihipStream_tbDpT10_ENKUlT_T0_E_clISt17integral_constantIbLb0EES1F_EEDaS1A_S1B_EUlS1A_E_NS1_11comp_targetILNS1_3genE3ELNS1_11target_archE908ELNS1_3gpuE7ELNS1_3repE0EEENS1_30default_config_static_selectorELNS0_4arch9wavefront6targetE1EEEvT1_
	.p2align	8
	.type	_ZN7rocprim17ROCPRIM_400000_NS6detail17trampoline_kernelINS0_14default_configENS1_25partition_config_selectorILNS1_17partition_subalgoE2EiNS0_10empty_typeEbEEZZNS1_14partition_implILS5_2ELb0ES3_jN6thrust23THRUST_200600_302600_NS6detail15normal_iteratorINSA_7pointerIiNSA_11hip_rocprim3tagENSA_11use_defaultESG_EEEEPS6_NSA_18transform_iteratorINSA_8identityIiEENSC_INSA_10device_ptrIiEEEESG_SG_EENS0_5tupleIJPiSJ_EEENSR_IJSJ_SJ_EEES6_PlJS6_EEE10hipError_tPvRmT3_T4_T5_T6_T7_T9_mT8_P12ihipStream_tbDpT10_ENKUlT_T0_E_clISt17integral_constantIbLb0EES1F_EEDaS1A_S1B_EUlS1A_E_NS1_11comp_targetILNS1_3genE3ELNS1_11target_archE908ELNS1_3gpuE7ELNS1_3repE0EEENS1_30default_config_static_selectorELNS0_4arch9wavefront6targetE1EEEvT1_,@function
_ZN7rocprim17ROCPRIM_400000_NS6detail17trampoline_kernelINS0_14default_configENS1_25partition_config_selectorILNS1_17partition_subalgoE2EiNS0_10empty_typeEbEEZZNS1_14partition_implILS5_2ELb0ES3_jN6thrust23THRUST_200600_302600_NS6detail15normal_iteratorINSA_7pointerIiNSA_11hip_rocprim3tagENSA_11use_defaultESG_EEEEPS6_NSA_18transform_iteratorINSA_8identityIiEENSC_INSA_10device_ptrIiEEEESG_SG_EENS0_5tupleIJPiSJ_EEENSR_IJSJ_SJ_EEES6_PlJS6_EEE10hipError_tPvRmT3_T4_T5_T6_T7_T9_mT8_P12ihipStream_tbDpT10_ENKUlT_T0_E_clISt17integral_constantIbLb0EES1F_EEDaS1A_S1B_EUlS1A_E_NS1_11comp_targetILNS1_3genE3ELNS1_11target_archE908ELNS1_3gpuE7ELNS1_3repE0EEENS1_30default_config_static_selectorELNS0_4arch9wavefront6targetE1EEEvT1_: ; @_ZN7rocprim17ROCPRIM_400000_NS6detail17trampoline_kernelINS0_14default_configENS1_25partition_config_selectorILNS1_17partition_subalgoE2EiNS0_10empty_typeEbEEZZNS1_14partition_implILS5_2ELb0ES3_jN6thrust23THRUST_200600_302600_NS6detail15normal_iteratorINSA_7pointerIiNSA_11hip_rocprim3tagENSA_11use_defaultESG_EEEEPS6_NSA_18transform_iteratorINSA_8identityIiEENSC_INSA_10device_ptrIiEEEESG_SG_EENS0_5tupleIJPiSJ_EEENSR_IJSJ_SJ_EEES6_PlJS6_EEE10hipError_tPvRmT3_T4_T5_T6_T7_T9_mT8_P12ihipStream_tbDpT10_ENKUlT_T0_E_clISt17integral_constantIbLb0EES1F_EEDaS1A_S1B_EUlS1A_E_NS1_11comp_targetILNS1_3genE3ELNS1_11target_archE908ELNS1_3gpuE7ELNS1_3repE0EEENS1_30default_config_static_selectorELNS0_4arch9wavefront6targetE1EEEvT1_
; %bb.0:
	.section	.rodata,"a",@progbits
	.p2align	6, 0x0
	.amdhsa_kernel _ZN7rocprim17ROCPRIM_400000_NS6detail17trampoline_kernelINS0_14default_configENS1_25partition_config_selectorILNS1_17partition_subalgoE2EiNS0_10empty_typeEbEEZZNS1_14partition_implILS5_2ELb0ES3_jN6thrust23THRUST_200600_302600_NS6detail15normal_iteratorINSA_7pointerIiNSA_11hip_rocprim3tagENSA_11use_defaultESG_EEEEPS6_NSA_18transform_iteratorINSA_8identityIiEENSC_INSA_10device_ptrIiEEEESG_SG_EENS0_5tupleIJPiSJ_EEENSR_IJSJ_SJ_EEES6_PlJS6_EEE10hipError_tPvRmT3_T4_T5_T6_T7_T9_mT8_P12ihipStream_tbDpT10_ENKUlT_T0_E_clISt17integral_constantIbLb0EES1F_EEDaS1A_S1B_EUlS1A_E_NS1_11comp_targetILNS1_3genE3ELNS1_11target_archE908ELNS1_3gpuE7ELNS1_3repE0EEENS1_30default_config_static_selectorELNS0_4arch9wavefront6targetE1EEEvT1_
		.amdhsa_group_segment_fixed_size 0
		.amdhsa_private_segment_fixed_size 0
		.amdhsa_kernarg_size 128
		.amdhsa_user_sgpr_count 6
		.amdhsa_user_sgpr_private_segment_buffer 1
		.amdhsa_user_sgpr_dispatch_ptr 0
		.amdhsa_user_sgpr_queue_ptr 0
		.amdhsa_user_sgpr_kernarg_segment_ptr 1
		.amdhsa_user_sgpr_dispatch_id 0
		.amdhsa_user_sgpr_flat_scratch_init 0
		.amdhsa_user_sgpr_kernarg_preload_length 0
		.amdhsa_user_sgpr_kernarg_preload_offset 0
		.amdhsa_user_sgpr_private_segment_size 0
		.amdhsa_uses_dynamic_stack 0
		.amdhsa_system_sgpr_private_segment_wavefront_offset 0
		.amdhsa_system_sgpr_workgroup_id_x 1
		.amdhsa_system_sgpr_workgroup_id_y 0
		.amdhsa_system_sgpr_workgroup_id_z 0
		.amdhsa_system_sgpr_workgroup_info 0
		.amdhsa_system_vgpr_workitem_id 0
		.amdhsa_next_free_vgpr 1
		.amdhsa_next_free_sgpr 0
		.amdhsa_accum_offset 4
		.amdhsa_reserve_vcc 0
		.amdhsa_reserve_flat_scratch 0
		.amdhsa_float_round_mode_32 0
		.amdhsa_float_round_mode_16_64 0
		.amdhsa_float_denorm_mode_32 3
		.amdhsa_float_denorm_mode_16_64 3
		.amdhsa_dx10_clamp 1
		.amdhsa_ieee_mode 1
		.amdhsa_fp16_overflow 0
		.amdhsa_tg_split 0
		.amdhsa_exception_fp_ieee_invalid_op 0
		.amdhsa_exception_fp_denorm_src 0
		.amdhsa_exception_fp_ieee_div_zero 0
		.amdhsa_exception_fp_ieee_overflow 0
		.amdhsa_exception_fp_ieee_underflow 0
		.amdhsa_exception_fp_ieee_inexact 0
		.amdhsa_exception_int_div_zero 0
	.end_amdhsa_kernel
	.section	.text._ZN7rocprim17ROCPRIM_400000_NS6detail17trampoline_kernelINS0_14default_configENS1_25partition_config_selectorILNS1_17partition_subalgoE2EiNS0_10empty_typeEbEEZZNS1_14partition_implILS5_2ELb0ES3_jN6thrust23THRUST_200600_302600_NS6detail15normal_iteratorINSA_7pointerIiNSA_11hip_rocprim3tagENSA_11use_defaultESG_EEEEPS6_NSA_18transform_iteratorINSA_8identityIiEENSC_INSA_10device_ptrIiEEEESG_SG_EENS0_5tupleIJPiSJ_EEENSR_IJSJ_SJ_EEES6_PlJS6_EEE10hipError_tPvRmT3_T4_T5_T6_T7_T9_mT8_P12ihipStream_tbDpT10_ENKUlT_T0_E_clISt17integral_constantIbLb0EES1F_EEDaS1A_S1B_EUlS1A_E_NS1_11comp_targetILNS1_3genE3ELNS1_11target_archE908ELNS1_3gpuE7ELNS1_3repE0EEENS1_30default_config_static_selectorELNS0_4arch9wavefront6targetE1EEEvT1_,"axG",@progbits,_ZN7rocprim17ROCPRIM_400000_NS6detail17trampoline_kernelINS0_14default_configENS1_25partition_config_selectorILNS1_17partition_subalgoE2EiNS0_10empty_typeEbEEZZNS1_14partition_implILS5_2ELb0ES3_jN6thrust23THRUST_200600_302600_NS6detail15normal_iteratorINSA_7pointerIiNSA_11hip_rocprim3tagENSA_11use_defaultESG_EEEEPS6_NSA_18transform_iteratorINSA_8identityIiEENSC_INSA_10device_ptrIiEEEESG_SG_EENS0_5tupleIJPiSJ_EEENSR_IJSJ_SJ_EEES6_PlJS6_EEE10hipError_tPvRmT3_T4_T5_T6_T7_T9_mT8_P12ihipStream_tbDpT10_ENKUlT_T0_E_clISt17integral_constantIbLb0EES1F_EEDaS1A_S1B_EUlS1A_E_NS1_11comp_targetILNS1_3genE3ELNS1_11target_archE908ELNS1_3gpuE7ELNS1_3repE0EEENS1_30default_config_static_selectorELNS0_4arch9wavefront6targetE1EEEvT1_,comdat
.Lfunc_end516:
	.size	_ZN7rocprim17ROCPRIM_400000_NS6detail17trampoline_kernelINS0_14default_configENS1_25partition_config_selectorILNS1_17partition_subalgoE2EiNS0_10empty_typeEbEEZZNS1_14partition_implILS5_2ELb0ES3_jN6thrust23THRUST_200600_302600_NS6detail15normal_iteratorINSA_7pointerIiNSA_11hip_rocprim3tagENSA_11use_defaultESG_EEEEPS6_NSA_18transform_iteratorINSA_8identityIiEENSC_INSA_10device_ptrIiEEEESG_SG_EENS0_5tupleIJPiSJ_EEENSR_IJSJ_SJ_EEES6_PlJS6_EEE10hipError_tPvRmT3_T4_T5_T6_T7_T9_mT8_P12ihipStream_tbDpT10_ENKUlT_T0_E_clISt17integral_constantIbLb0EES1F_EEDaS1A_S1B_EUlS1A_E_NS1_11comp_targetILNS1_3genE3ELNS1_11target_archE908ELNS1_3gpuE7ELNS1_3repE0EEENS1_30default_config_static_selectorELNS0_4arch9wavefront6targetE1EEEvT1_, .Lfunc_end516-_ZN7rocprim17ROCPRIM_400000_NS6detail17trampoline_kernelINS0_14default_configENS1_25partition_config_selectorILNS1_17partition_subalgoE2EiNS0_10empty_typeEbEEZZNS1_14partition_implILS5_2ELb0ES3_jN6thrust23THRUST_200600_302600_NS6detail15normal_iteratorINSA_7pointerIiNSA_11hip_rocprim3tagENSA_11use_defaultESG_EEEEPS6_NSA_18transform_iteratorINSA_8identityIiEENSC_INSA_10device_ptrIiEEEESG_SG_EENS0_5tupleIJPiSJ_EEENSR_IJSJ_SJ_EEES6_PlJS6_EEE10hipError_tPvRmT3_T4_T5_T6_T7_T9_mT8_P12ihipStream_tbDpT10_ENKUlT_T0_E_clISt17integral_constantIbLb0EES1F_EEDaS1A_S1B_EUlS1A_E_NS1_11comp_targetILNS1_3genE3ELNS1_11target_archE908ELNS1_3gpuE7ELNS1_3repE0EEENS1_30default_config_static_selectorELNS0_4arch9wavefront6targetE1EEEvT1_
                                        ; -- End function
	.section	.AMDGPU.csdata,"",@progbits
; Kernel info:
; codeLenInByte = 0
; NumSgprs: 4
; NumVgprs: 0
; NumAgprs: 0
; TotalNumVgprs: 0
; ScratchSize: 0
; MemoryBound: 0
; FloatMode: 240
; IeeeMode: 1
; LDSByteSize: 0 bytes/workgroup (compile time only)
; SGPRBlocks: 0
; VGPRBlocks: 0
; NumSGPRsForWavesPerEU: 4
; NumVGPRsForWavesPerEU: 1
; AccumOffset: 4
; Occupancy: 8
; WaveLimiterHint : 0
; COMPUTE_PGM_RSRC2:SCRATCH_EN: 0
; COMPUTE_PGM_RSRC2:USER_SGPR: 6
; COMPUTE_PGM_RSRC2:TRAP_HANDLER: 0
; COMPUTE_PGM_RSRC2:TGID_X_EN: 1
; COMPUTE_PGM_RSRC2:TGID_Y_EN: 0
; COMPUTE_PGM_RSRC2:TGID_Z_EN: 0
; COMPUTE_PGM_RSRC2:TIDIG_COMP_CNT: 0
; COMPUTE_PGM_RSRC3_GFX90A:ACCUM_OFFSET: 0
; COMPUTE_PGM_RSRC3_GFX90A:TG_SPLIT: 0
	.section	.text._ZN7rocprim17ROCPRIM_400000_NS6detail17trampoline_kernelINS0_14default_configENS1_25partition_config_selectorILNS1_17partition_subalgoE2EiNS0_10empty_typeEbEEZZNS1_14partition_implILS5_2ELb0ES3_jN6thrust23THRUST_200600_302600_NS6detail15normal_iteratorINSA_7pointerIiNSA_11hip_rocprim3tagENSA_11use_defaultESG_EEEEPS6_NSA_18transform_iteratorINSA_8identityIiEENSC_INSA_10device_ptrIiEEEESG_SG_EENS0_5tupleIJPiSJ_EEENSR_IJSJ_SJ_EEES6_PlJS6_EEE10hipError_tPvRmT3_T4_T5_T6_T7_T9_mT8_P12ihipStream_tbDpT10_ENKUlT_T0_E_clISt17integral_constantIbLb0EES1F_EEDaS1A_S1B_EUlS1A_E_NS1_11comp_targetILNS1_3genE2ELNS1_11target_archE906ELNS1_3gpuE6ELNS1_3repE0EEENS1_30default_config_static_selectorELNS0_4arch9wavefront6targetE1EEEvT1_,"axG",@progbits,_ZN7rocprim17ROCPRIM_400000_NS6detail17trampoline_kernelINS0_14default_configENS1_25partition_config_selectorILNS1_17partition_subalgoE2EiNS0_10empty_typeEbEEZZNS1_14partition_implILS5_2ELb0ES3_jN6thrust23THRUST_200600_302600_NS6detail15normal_iteratorINSA_7pointerIiNSA_11hip_rocprim3tagENSA_11use_defaultESG_EEEEPS6_NSA_18transform_iteratorINSA_8identityIiEENSC_INSA_10device_ptrIiEEEESG_SG_EENS0_5tupleIJPiSJ_EEENSR_IJSJ_SJ_EEES6_PlJS6_EEE10hipError_tPvRmT3_T4_T5_T6_T7_T9_mT8_P12ihipStream_tbDpT10_ENKUlT_T0_E_clISt17integral_constantIbLb0EES1F_EEDaS1A_S1B_EUlS1A_E_NS1_11comp_targetILNS1_3genE2ELNS1_11target_archE906ELNS1_3gpuE6ELNS1_3repE0EEENS1_30default_config_static_selectorELNS0_4arch9wavefront6targetE1EEEvT1_,comdat
	.protected	_ZN7rocprim17ROCPRIM_400000_NS6detail17trampoline_kernelINS0_14default_configENS1_25partition_config_selectorILNS1_17partition_subalgoE2EiNS0_10empty_typeEbEEZZNS1_14partition_implILS5_2ELb0ES3_jN6thrust23THRUST_200600_302600_NS6detail15normal_iteratorINSA_7pointerIiNSA_11hip_rocprim3tagENSA_11use_defaultESG_EEEEPS6_NSA_18transform_iteratorINSA_8identityIiEENSC_INSA_10device_ptrIiEEEESG_SG_EENS0_5tupleIJPiSJ_EEENSR_IJSJ_SJ_EEES6_PlJS6_EEE10hipError_tPvRmT3_T4_T5_T6_T7_T9_mT8_P12ihipStream_tbDpT10_ENKUlT_T0_E_clISt17integral_constantIbLb0EES1F_EEDaS1A_S1B_EUlS1A_E_NS1_11comp_targetILNS1_3genE2ELNS1_11target_archE906ELNS1_3gpuE6ELNS1_3repE0EEENS1_30default_config_static_selectorELNS0_4arch9wavefront6targetE1EEEvT1_ ; -- Begin function _ZN7rocprim17ROCPRIM_400000_NS6detail17trampoline_kernelINS0_14default_configENS1_25partition_config_selectorILNS1_17partition_subalgoE2EiNS0_10empty_typeEbEEZZNS1_14partition_implILS5_2ELb0ES3_jN6thrust23THRUST_200600_302600_NS6detail15normal_iteratorINSA_7pointerIiNSA_11hip_rocprim3tagENSA_11use_defaultESG_EEEEPS6_NSA_18transform_iteratorINSA_8identityIiEENSC_INSA_10device_ptrIiEEEESG_SG_EENS0_5tupleIJPiSJ_EEENSR_IJSJ_SJ_EEES6_PlJS6_EEE10hipError_tPvRmT3_T4_T5_T6_T7_T9_mT8_P12ihipStream_tbDpT10_ENKUlT_T0_E_clISt17integral_constantIbLb0EES1F_EEDaS1A_S1B_EUlS1A_E_NS1_11comp_targetILNS1_3genE2ELNS1_11target_archE906ELNS1_3gpuE6ELNS1_3repE0EEENS1_30default_config_static_selectorELNS0_4arch9wavefront6targetE1EEEvT1_
	.globl	_ZN7rocprim17ROCPRIM_400000_NS6detail17trampoline_kernelINS0_14default_configENS1_25partition_config_selectorILNS1_17partition_subalgoE2EiNS0_10empty_typeEbEEZZNS1_14partition_implILS5_2ELb0ES3_jN6thrust23THRUST_200600_302600_NS6detail15normal_iteratorINSA_7pointerIiNSA_11hip_rocprim3tagENSA_11use_defaultESG_EEEEPS6_NSA_18transform_iteratorINSA_8identityIiEENSC_INSA_10device_ptrIiEEEESG_SG_EENS0_5tupleIJPiSJ_EEENSR_IJSJ_SJ_EEES6_PlJS6_EEE10hipError_tPvRmT3_T4_T5_T6_T7_T9_mT8_P12ihipStream_tbDpT10_ENKUlT_T0_E_clISt17integral_constantIbLb0EES1F_EEDaS1A_S1B_EUlS1A_E_NS1_11comp_targetILNS1_3genE2ELNS1_11target_archE906ELNS1_3gpuE6ELNS1_3repE0EEENS1_30default_config_static_selectorELNS0_4arch9wavefront6targetE1EEEvT1_
	.p2align	8
	.type	_ZN7rocprim17ROCPRIM_400000_NS6detail17trampoline_kernelINS0_14default_configENS1_25partition_config_selectorILNS1_17partition_subalgoE2EiNS0_10empty_typeEbEEZZNS1_14partition_implILS5_2ELb0ES3_jN6thrust23THRUST_200600_302600_NS6detail15normal_iteratorINSA_7pointerIiNSA_11hip_rocprim3tagENSA_11use_defaultESG_EEEEPS6_NSA_18transform_iteratorINSA_8identityIiEENSC_INSA_10device_ptrIiEEEESG_SG_EENS0_5tupleIJPiSJ_EEENSR_IJSJ_SJ_EEES6_PlJS6_EEE10hipError_tPvRmT3_T4_T5_T6_T7_T9_mT8_P12ihipStream_tbDpT10_ENKUlT_T0_E_clISt17integral_constantIbLb0EES1F_EEDaS1A_S1B_EUlS1A_E_NS1_11comp_targetILNS1_3genE2ELNS1_11target_archE906ELNS1_3gpuE6ELNS1_3repE0EEENS1_30default_config_static_selectorELNS0_4arch9wavefront6targetE1EEEvT1_,@function
_ZN7rocprim17ROCPRIM_400000_NS6detail17trampoline_kernelINS0_14default_configENS1_25partition_config_selectorILNS1_17partition_subalgoE2EiNS0_10empty_typeEbEEZZNS1_14partition_implILS5_2ELb0ES3_jN6thrust23THRUST_200600_302600_NS6detail15normal_iteratorINSA_7pointerIiNSA_11hip_rocprim3tagENSA_11use_defaultESG_EEEEPS6_NSA_18transform_iteratorINSA_8identityIiEENSC_INSA_10device_ptrIiEEEESG_SG_EENS0_5tupleIJPiSJ_EEENSR_IJSJ_SJ_EEES6_PlJS6_EEE10hipError_tPvRmT3_T4_T5_T6_T7_T9_mT8_P12ihipStream_tbDpT10_ENKUlT_T0_E_clISt17integral_constantIbLb0EES1F_EEDaS1A_S1B_EUlS1A_E_NS1_11comp_targetILNS1_3genE2ELNS1_11target_archE906ELNS1_3gpuE6ELNS1_3repE0EEENS1_30default_config_static_selectorELNS0_4arch9wavefront6targetE1EEEvT1_: ; @_ZN7rocprim17ROCPRIM_400000_NS6detail17trampoline_kernelINS0_14default_configENS1_25partition_config_selectorILNS1_17partition_subalgoE2EiNS0_10empty_typeEbEEZZNS1_14partition_implILS5_2ELb0ES3_jN6thrust23THRUST_200600_302600_NS6detail15normal_iteratorINSA_7pointerIiNSA_11hip_rocprim3tagENSA_11use_defaultESG_EEEEPS6_NSA_18transform_iteratorINSA_8identityIiEENSC_INSA_10device_ptrIiEEEESG_SG_EENS0_5tupleIJPiSJ_EEENSR_IJSJ_SJ_EEES6_PlJS6_EEE10hipError_tPvRmT3_T4_T5_T6_T7_T9_mT8_P12ihipStream_tbDpT10_ENKUlT_T0_E_clISt17integral_constantIbLb0EES1F_EEDaS1A_S1B_EUlS1A_E_NS1_11comp_targetILNS1_3genE2ELNS1_11target_archE906ELNS1_3gpuE6ELNS1_3repE0EEENS1_30default_config_static_selectorELNS0_4arch9wavefront6targetE1EEEvT1_
; %bb.0:
	.section	.rodata,"a",@progbits
	.p2align	6, 0x0
	.amdhsa_kernel _ZN7rocprim17ROCPRIM_400000_NS6detail17trampoline_kernelINS0_14default_configENS1_25partition_config_selectorILNS1_17partition_subalgoE2EiNS0_10empty_typeEbEEZZNS1_14partition_implILS5_2ELb0ES3_jN6thrust23THRUST_200600_302600_NS6detail15normal_iteratorINSA_7pointerIiNSA_11hip_rocprim3tagENSA_11use_defaultESG_EEEEPS6_NSA_18transform_iteratorINSA_8identityIiEENSC_INSA_10device_ptrIiEEEESG_SG_EENS0_5tupleIJPiSJ_EEENSR_IJSJ_SJ_EEES6_PlJS6_EEE10hipError_tPvRmT3_T4_T5_T6_T7_T9_mT8_P12ihipStream_tbDpT10_ENKUlT_T0_E_clISt17integral_constantIbLb0EES1F_EEDaS1A_S1B_EUlS1A_E_NS1_11comp_targetILNS1_3genE2ELNS1_11target_archE906ELNS1_3gpuE6ELNS1_3repE0EEENS1_30default_config_static_selectorELNS0_4arch9wavefront6targetE1EEEvT1_
		.amdhsa_group_segment_fixed_size 0
		.amdhsa_private_segment_fixed_size 0
		.amdhsa_kernarg_size 128
		.amdhsa_user_sgpr_count 6
		.amdhsa_user_sgpr_private_segment_buffer 1
		.amdhsa_user_sgpr_dispatch_ptr 0
		.amdhsa_user_sgpr_queue_ptr 0
		.amdhsa_user_sgpr_kernarg_segment_ptr 1
		.amdhsa_user_sgpr_dispatch_id 0
		.amdhsa_user_sgpr_flat_scratch_init 0
		.amdhsa_user_sgpr_kernarg_preload_length 0
		.amdhsa_user_sgpr_kernarg_preload_offset 0
		.amdhsa_user_sgpr_private_segment_size 0
		.amdhsa_uses_dynamic_stack 0
		.amdhsa_system_sgpr_private_segment_wavefront_offset 0
		.amdhsa_system_sgpr_workgroup_id_x 1
		.amdhsa_system_sgpr_workgroup_id_y 0
		.amdhsa_system_sgpr_workgroup_id_z 0
		.amdhsa_system_sgpr_workgroup_info 0
		.amdhsa_system_vgpr_workitem_id 0
		.amdhsa_next_free_vgpr 1
		.amdhsa_next_free_sgpr 0
		.amdhsa_accum_offset 4
		.amdhsa_reserve_vcc 0
		.amdhsa_reserve_flat_scratch 0
		.amdhsa_float_round_mode_32 0
		.amdhsa_float_round_mode_16_64 0
		.amdhsa_float_denorm_mode_32 3
		.amdhsa_float_denorm_mode_16_64 3
		.amdhsa_dx10_clamp 1
		.amdhsa_ieee_mode 1
		.amdhsa_fp16_overflow 0
		.amdhsa_tg_split 0
		.amdhsa_exception_fp_ieee_invalid_op 0
		.amdhsa_exception_fp_denorm_src 0
		.amdhsa_exception_fp_ieee_div_zero 0
		.amdhsa_exception_fp_ieee_overflow 0
		.amdhsa_exception_fp_ieee_underflow 0
		.amdhsa_exception_fp_ieee_inexact 0
		.amdhsa_exception_int_div_zero 0
	.end_amdhsa_kernel
	.section	.text._ZN7rocprim17ROCPRIM_400000_NS6detail17trampoline_kernelINS0_14default_configENS1_25partition_config_selectorILNS1_17partition_subalgoE2EiNS0_10empty_typeEbEEZZNS1_14partition_implILS5_2ELb0ES3_jN6thrust23THRUST_200600_302600_NS6detail15normal_iteratorINSA_7pointerIiNSA_11hip_rocprim3tagENSA_11use_defaultESG_EEEEPS6_NSA_18transform_iteratorINSA_8identityIiEENSC_INSA_10device_ptrIiEEEESG_SG_EENS0_5tupleIJPiSJ_EEENSR_IJSJ_SJ_EEES6_PlJS6_EEE10hipError_tPvRmT3_T4_T5_T6_T7_T9_mT8_P12ihipStream_tbDpT10_ENKUlT_T0_E_clISt17integral_constantIbLb0EES1F_EEDaS1A_S1B_EUlS1A_E_NS1_11comp_targetILNS1_3genE2ELNS1_11target_archE906ELNS1_3gpuE6ELNS1_3repE0EEENS1_30default_config_static_selectorELNS0_4arch9wavefront6targetE1EEEvT1_,"axG",@progbits,_ZN7rocprim17ROCPRIM_400000_NS6detail17trampoline_kernelINS0_14default_configENS1_25partition_config_selectorILNS1_17partition_subalgoE2EiNS0_10empty_typeEbEEZZNS1_14partition_implILS5_2ELb0ES3_jN6thrust23THRUST_200600_302600_NS6detail15normal_iteratorINSA_7pointerIiNSA_11hip_rocprim3tagENSA_11use_defaultESG_EEEEPS6_NSA_18transform_iteratorINSA_8identityIiEENSC_INSA_10device_ptrIiEEEESG_SG_EENS0_5tupleIJPiSJ_EEENSR_IJSJ_SJ_EEES6_PlJS6_EEE10hipError_tPvRmT3_T4_T5_T6_T7_T9_mT8_P12ihipStream_tbDpT10_ENKUlT_T0_E_clISt17integral_constantIbLb0EES1F_EEDaS1A_S1B_EUlS1A_E_NS1_11comp_targetILNS1_3genE2ELNS1_11target_archE906ELNS1_3gpuE6ELNS1_3repE0EEENS1_30default_config_static_selectorELNS0_4arch9wavefront6targetE1EEEvT1_,comdat
.Lfunc_end517:
	.size	_ZN7rocprim17ROCPRIM_400000_NS6detail17trampoline_kernelINS0_14default_configENS1_25partition_config_selectorILNS1_17partition_subalgoE2EiNS0_10empty_typeEbEEZZNS1_14partition_implILS5_2ELb0ES3_jN6thrust23THRUST_200600_302600_NS6detail15normal_iteratorINSA_7pointerIiNSA_11hip_rocprim3tagENSA_11use_defaultESG_EEEEPS6_NSA_18transform_iteratorINSA_8identityIiEENSC_INSA_10device_ptrIiEEEESG_SG_EENS0_5tupleIJPiSJ_EEENSR_IJSJ_SJ_EEES6_PlJS6_EEE10hipError_tPvRmT3_T4_T5_T6_T7_T9_mT8_P12ihipStream_tbDpT10_ENKUlT_T0_E_clISt17integral_constantIbLb0EES1F_EEDaS1A_S1B_EUlS1A_E_NS1_11comp_targetILNS1_3genE2ELNS1_11target_archE906ELNS1_3gpuE6ELNS1_3repE0EEENS1_30default_config_static_selectorELNS0_4arch9wavefront6targetE1EEEvT1_, .Lfunc_end517-_ZN7rocprim17ROCPRIM_400000_NS6detail17trampoline_kernelINS0_14default_configENS1_25partition_config_selectorILNS1_17partition_subalgoE2EiNS0_10empty_typeEbEEZZNS1_14partition_implILS5_2ELb0ES3_jN6thrust23THRUST_200600_302600_NS6detail15normal_iteratorINSA_7pointerIiNSA_11hip_rocprim3tagENSA_11use_defaultESG_EEEEPS6_NSA_18transform_iteratorINSA_8identityIiEENSC_INSA_10device_ptrIiEEEESG_SG_EENS0_5tupleIJPiSJ_EEENSR_IJSJ_SJ_EEES6_PlJS6_EEE10hipError_tPvRmT3_T4_T5_T6_T7_T9_mT8_P12ihipStream_tbDpT10_ENKUlT_T0_E_clISt17integral_constantIbLb0EES1F_EEDaS1A_S1B_EUlS1A_E_NS1_11comp_targetILNS1_3genE2ELNS1_11target_archE906ELNS1_3gpuE6ELNS1_3repE0EEENS1_30default_config_static_selectorELNS0_4arch9wavefront6targetE1EEEvT1_
                                        ; -- End function
	.section	.AMDGPU.csdata,"",@progbits
; Kernel info:
; codeLenInByte = 0
; NumSgprs: 4
; NumVgprs: 0
; NumAgprs: 0
; TotalNumVgprs: 0
; ScratchSize: 0
; MemoryBound: 0
; FloatMode: 240
; IeeeMode: 1
; LDSByteSize: 0 bytes/workgroup (compile time only)
; SGPRBlocks: 0
; VGPRBlocks: 0
; NumSGPRsForWavesPerEU: 4
; NumVGPRsForWavesPerEU: 1
; AccumOffset: 4
; Occupancy: 8
; WaveLimiterHint : 0
; COMPUTE_PGM_RSRC2:SCRATCH_EN: 0
; COMPUTE_PGM_RSRC2:USER_SGPR: 6
; COMPUTE_PGM_RSRC2:TRAP_HANDLER: 0
; COMPUTE_PGM_RSRC2:TGID_X_EN: 1
; COMPUTE_PGM_RSRC2:TGID_Y_EN: 0
; COMPUTE_PGM_RSRC2:TGID_Z_EN: 0
; COMPUTE_PGM_RSRC2:TIDIG_COMP_CNT: 0
; COMPUTE_PGM_RSRC3_GFX90A:ACCUM_OFFSET: 0
; COMPUTE_PGM_RSRC3_GFX90A:TG_SPLIT: 0
	.section	.text._ZN7rocprim17ROCPRIM_400000_NS6detail17trampoline_kernelINS0_14default_configENS1_25partition_config_selectorILNS1_17partition_subalgoE2EiNS0_10empty_typeEbEEZZNS1_14partition_implILS5_2ELb0ES3_jN6thrust23THRUST_200600_302600_NS6detail15normal_iteratorINSA_7pointerIiNSA_11hip_rocprim3tagENSA_11use_defaultESG_EEEEPS6_NSA_18transform_iteratorINSA_8identityIiEENSC_INSA_10device_ptrIiEEEESG_SG_EENS0_5tupleIJPiSJ_EEENSR_IJSJ_SJ_EEES6_PlJS6_EEE10hipError_tPvRmT3_T4_T5_T6_T7_T9_mT8_P12ihipStream_tbDpT10_ENKUlT_T0_E_clISt17integral_constantIbLb0EES1F_EEDaS1A_S1B_EUlS1A_E_NS1_11comp_targetILNS1_3genE10ELNS1_11target_archE1200ELNS1_3gpuE4ELNS1_3repE0EEENS1_30default_config_static_selectorELNS0_4arch9wavefront6targetE1EEEvT1_,"axG",@progbits,_ZN7rocprim17ROCPRIM_400000_NS6detail17trampoline_kernelINS0_14default_configENS1_25partition_config_selectorILNS1_17partition_subalgoE2EiNS0_10empty_typeEbEEZZNS1_14partition_implILS5_2ELb0ES3_jN6thrust23THRUST_200600_302600_NS6detail15normal_iteratorINSA_7pointerIiNSA_11hip_rocprim3tagENSA_11use_defaultESG_EEEEPS6_NSA_18transform_iteratorINSA_8identityIiEENSC_INSA_10device_ptrIiEEEESG_SG_EENS0_5tupleIJPiSJ_EEENSR_IJSJ_SJ_EEES6_PlJS6_EEE10hipError_tPvRmT3_T4_T5_T6_T7_T9_mT8_P12ihipStream_tbDpT10_ENKUlT_T0_E_clISt17integral_constantIbLb0EES1F_EEDaS1A_S1B_EUlS1A_E_NS1_11comp_targetILNS1_3genE10ELNS1_11target_archE1200ELNS1_3gpuE4ELNS1_3repE0EEENS1_30default_config_static_selectorELNS0_4arch9wavefront6targetE1EEEvT1_,comdat
	.protected	_ZN7rocprim17ROCPRIM_400000_NS6detail17trampoline_kernelINS0_14default_configENS1_25partition_config_selectorILNS1_17partition_subalgoE2EiNS0_10empty_typeEbEEZZNS1_14partition_implILS5_2ELb0ES3_jN6thrust23THRUST_200600_302600_NS6detail15normal_iteratorINSA_7pointerIiNSA_11hip_rocprim3tagENSA_11use_defaultESG_EEEEPS6_NSA_18transform_iteratorINSA_8identityIiEENSC_INSA_10device_ptrIiEEEESG_SG_EENS0_5tupleIJPiSJ_EEENSR_IJSJ_SJ_EEES6_PlJS6_EEE10hipError_tPvRmT3_T4_T5_T6_T7_T9_mT8_P12ihipStream_tbDpT10_ENKUlT_T0_E_clISt17integral_constantIbLb0EES1F_EEDaS1A_S1B_EUlS1A_E_NS1_11comp_targetILNS1_3genE10ELNS1_11target_archE1200ELNS1_3gpuE4ELNS1_3repE0EEENS1_30default_config_static_selectorELNS0_4arch9wavefront6targetE1EEEvT1_ ; -- Begin function _ZN7rocprim17ROCPRIM_400000_NS6detail17trampoline_kernelINS0_14default_configENS1_25partition_config_selectorILNS1_17partition_subalgoE2EiNS0_10empty_typeEbEEZZNS1_14partition_implILS5_2ELb0ES3_jN6thrust23THRUST_200600_302600_NS6detail15normal_iteratorINSA_7pointerIiNSA_11hip_rocprim3tagENSA_11use_defaultESG_EEEEPS6_NSA_18transform_iteratorINSA_8identityIiEENSC_INSA_10device_ptrIiEEEESG_SG_EENS0_5tupleIJPiSJ_EEENSR_IJSJ_SJ_EEES6_PlJS6_EEE10hipError_tPvRmT3_T4_T5_T6_T7_T9_mT8_P12ihipStream_tbDpT10_ENKUlT_T0_E_clISt17integral_constantIbLb0EES1F_EEDaS1A_S1B_EUlS1A_E_NS1_11comp_targetILNS1_3genE10ELNS1_11target_archE1200ELNS1_3gpuE4ELNS1_3repE0EEENS1_30default_config_static_selectorELNS0_4arch9wavefront6targetE1EEEvT1_
	.globl	_ZN7rocprim17ROCPRIM_400000_NS6detail17trampoline_kernelINS0_14default_configENS1_25partition_config_selectorILNS1_17partition_subalgoE2EiNS0_10empty_typeEbEEZZNS1_14partition_implILS5_2ELb0ES3_jN6thrust23THRUST_200600_302600_NS6detail15normal_iteratorINSA_7pointerIiNSA_11hip_rocprim3tagENSA_11use_defaultESG_EEEEPS6_NSA_18transform_iteratorINSA_8identityIiEENSC_INSA_10device_ptrIiEEEESG_SG_EENS0_5tupleIJPiSJ_EEENSR_IJSJ_SJ_EEES6_PlJS6_EEE10hipError_tPvRmT3_T4_T5_T6_T7_T9_mT8_P12ihipStream_tbDpT10_ENKUlT_T0_E_clISt17integral_constantIbLb0EES1F_EEDaS1A_S1B_EUlS1A_E_NS1_11comp_targetILNS1_3genE10ELNS1_11target_archE1200ELNS1_3gpuE4ELNS1_3repE0EEENS1_30default_config_static_selectorELNS0_4arch9wavefront6targetE1EEEvT1_
	.p2align	8
	.type	_ZN7rocprim17ROCPRIM_400000_NS6detail17trampoline_kernelINS0_14default_configENS1_25partition_config_selectorILNS1_17partition_subalgoE2EiNS0_10empty_typeEbEEZZNS1_14partition_implILS5_2ELb0ES3_jN6thrust23THRUST_200600_302600_NS6detail15normal_iteratorINSA_7pointerIiNSA_11hip_rocprim3tagENSA_11use_defaultESG_EEEEPS6_NSA_18transform_iteratorINSA_8identityIiEENSC_INSA_10device_ptrIiEEEESG_SG_EENS0_5tupleIJPiSJ_EEENSR_IJSJ_SJ_EEES6_PlJS6_EEE10hipError_tPvRmT3_T4_T5_T6_T7_T9_mT8_P12ihipStream_tbDpT10_ENKUlT_T0_E_clISt17integral_constantIbLb0EES1F_EEDaS1A_S1B_EUlS1A_E_NS1_11comp_targetILNS1_3genE10ELNS1_11target_archE1200ELNS1_3gpuE4ELNS1_3repE0EEENS1_30default_config_static_selectorELNS0_4arch9wavefront6targetE1EEEvT1_,@function
_ZN7rocprim17ROCPRIM_400000_NS6detail17trampoline_kernelINS0_14default_configENS1_25partition_config_selectorILNS1_17partition_subalgoE2EiNS0_10empty_typeEbEEZZNS1_14partition_implILS5_2ELb0ES3_jN6thrust23THRUST_200600_302600_NS6detail15normal_iteratorINSA_7pointerIiNSA_11hip_rocprim3tagENSA_11use_defaultESG_EEEEPS6_NSA_18transform_iteratorINSA_8identityIiEENSC_INSA_10device_ptrIiEEEESG_SG_EENS0_5tupleIJPiSJ_EEENSR_IJSJ_SJ_EEES6_PlJS6_EEE10hipError_tPvRmT3_T4_T5_T6_T7_T9_mT8_P12ihipStream_tbDpT10_ENKUlT_T0_E_clISt17integral_constantIbLb0EES1F_EEDaS1A_S1B_EUlS1A_E_NS1_11comp_targetILNS1_3genE10ELNS1_11target_archE1200ELNS1_3gpuE4ELNS1_3repE0EEENS1_30default_config_static_selectorELNS0_4arch9wavefront6targetE1EEEvT1_: ; @_ZN7rocprim17ROCPRIM_400000_NS6detail17trampoline_kernelINS0_14default_configENS1_25partition_config_selectorILNS1_17partition_subalgoE2EiNS0_10empty_typeEbEEZZNS1_14partition_implILS5_2ELb0ES3_jN6thrust23THRUST_200600_302600_NS6detail15normal_iteratorINSA_7pointerIiNSA_11hip_rocprim3tagENSA_11use_defaultESG_EEEEPS6_NSA_18transform_iteratorINSA_8identityIiEENSC_INSA_10device_ptrIiEEEESG_SG_EENS0_5tupleIJPiSJ_EEENSR_IJSJ_SJ_EEES6_PlJS6_EEE10hipError_tPvRmT3_T4_T5_T6_T7_T9_mT8_P12ihipStream_tbDpT10_ENKUlT_T0_E_clISt17integral_constantIbLb0EES1F_EEDaS1A_S1B_EUlS1A_E_NS1_11comp_targetILNS1_3genE10ELNS1_11target_archE1200ELNS1_3gpuE4ELNS1_3repE0EEENS1_30default_config_static_selectorELNS0_4arch9wavefront6targetE1EEEvT1_
; %bb.0:
	.section	.rodata,"a",@progbits
	.p2align	6, 0x0
	.amdhsa_kernel _ZN7rocprim17ROCPRIM_400000_NS6detail17trampoline_kernelINS0_14default_configENS1_25partition_config_selectorILNS1_17partition_subalgoE2EiNS0_10empty_typeEbEEZZNS1_14partition_implILS5_2ELb0ES3_jN6thrust23THRUST_200600_302600_NS6detail15normal_iteratorINSA_7pointerIiNSA_11hip_rocprim3tagENSA_11use_defaultESG_EEEEPS6_NSA_18transform_iteratorINSA_8identityIiEENSC_INSA_10device_ptrIiEEEESG_SG_EENS0_5tupleIJPiSJ_EEENSR_IJSJ_SJ_EEES6_PlJS6_EEE10hipError_tPvRmT3_T4_T5_T6_T7_T9_mT8_P12ihipStream_tbDpT10_ENKUlT_T0_E_clISt17integral_constantIbLb0EES1F_EEDaS1A_S1B_EUlS1A_E_NS1_11comp_targetILNS1_3genE10ELNS1_11target_archE1200ELNS1_3gpuE4ELNS1_3repE0EEENS1_30default_config_static_selectorELNS0_4arch9wavefront6targetE1EEEvT1_
		.amdhsa_group_segment_fixed_size 0
		.amdhsa_private_segment_fixed_size 0
		.amdhsa_kernarg_size 128
		.amdhsa_user_sgpr_count 6
		.amdhsa_user_sgpr_private_segment_buffer 1
		.amdhsa_user_sgpr_dispatch_ptr 0
		.amdhsa_user_sgpr_queue_ptr 0
		.amdhsa_user_sgpr_kernarg_segment_ptr 1
		.amdhsa_user_sgpr_dispatch_id 0
		.amdhsa_user_sgpr_flat_scratch_init 0
		.amdhsa_user_sgpr_kernarg_preload_length 0
		.amdhsa_user_sgpr_kernarg_preload_offset 0
		.amdhsa_user_sgpr_private_segment_size 0
		.amdhsa_uses_dynamic_stack 0
		.amdhsa_system_sgpr_private_segment_wavefront_offset 0
		.amdhsa_system_sgpr_workgroup_id_x 1
		.amdhsa_system_sgpr_workgroup_id_y 0
		.amdhsa_system_sgpr_workgroup_id_z 0
		.amdhsa_system_sgpr_workgroup_info 0
		.amdhsa_system_vgpr_workitem_id 0
		.amdhsa_next_free_vgpr 1
		.amdhsa_next_free_sgpr 0
		.amdhsa_accum_offset 4
		.amdhsa_reserve_vcc 0
		.amdhsa_reserve_flat_scratch 0
		.amdhsa_float_round_mode_32 0
		.amdhsa_float_round_mode_16_64 0
		.amdhsa_float_denorm_mode_32 3
		.amdhsa_float_denorm_mode_16_64 3
		.amdhsa_dx10_clamp 1
		.amdhsa_ieee_mode 1
		.amdhsa_fp16_overflow 0
		.amdhsa_tg_split 0
		.amdhsa_exception_fp_ieee_invalid_op 0
		.amdhsa_exception_fp_denorm_src 0
		.amdhsa_exception_fp_ieee_div_zero 0
		.amdhsa_exception_fp_ieee_overflow 0
		.amdhsa_exception_fp_ieee_underflow 0
		.amdhsa_exception_fp_ieee_inexact 0
		.amdhsa_exception_int_div_zero 0
	.end_amdhsa_kernel
	.section	.text._ZN7rocprim17ROCPRIM_400000_NS6detail17trampoline_kernelINS0_14default_configENS1_25partition_config_selectorILNS1_17partition_subalgoE2EiNS0_10empty_typeEbEEZZNS1_14partition_implILS5_2ELb0ES3_jN6thrust23THRUST_200600_302600_NS6detail15normal_iteratorINSA_7pointerIiNSA_11hip_rocprim3tagENSA_11use_defaultESG_EEEEPS6_NSA_18transform_iteratorINSA_8identityIiEENSC_INSA_10device_ptrIiEEEESG_SG_EENS0_5tupleIJPiSJ_EEENSR_IJSJ_SJ_EEES6_PlJS6_EEE10hipError_tPvRmT3_T4_T5_T6_T7_T9_mT8_P12ihipStream_tbDpT10_ENKUlT_T0_E_clISt17integral_constantIbLb0EES1F_EEDaS1A_S1B_EUlS1A_E_NS1_11comp_targetILNS1_3genE10ELNS1_11target_archE1200ELNS1_3gpuE4ELNS1_3repE0EEENS1_30default_config_static_selectorELNS0_4arch9wavefront6targetE1EEEvT1_,"axG",@progbits,_ZN7rocprim17ROCPRIM_400000_NS6detail17trampoline_kernelINS0_14default_configENS1_25partition_config_selectorILNS1_17partition_subalgoE2EiNS0_10empty_typeEbEEZZNS1_14partition_implILS5_2ELb0ES3_jN6thrust23THRUST_200600_302600_NS6detail15normal_iteratorINSA_7pointerIiNSA_11hip_rocprim3tagENSA_11use_defaultESG_EEEEPS6_NSA_18transform_iteratorINSA_8identityIiEENSC_INSA_10device_ptrIiEEEESG_SG_EENS0_5tupleIJPiSJ_EEENSR_IJSJ_SJ_EEES6_PlJS6_EEE10hipError_tPvRmT3_T4_T5_T6_T7_T9_mT8_P12ihipStream_tbDpT10_ENKUlT_T0_E_clISt17integral_constantIbLb0EES1F_EEDaS1A_S1B_EUlS1A_E_NS1_11comp_targetILNS1_3genE10ELNS1_11target_archE1200ELNS1_3gpuE4ELNS1_3repE0EEENS1_30default_config_static_selectorELNS0_4arch9wavefront6targetE1EEEvT1_,comdat
.Lfunc_end518:
	.size	_ZN7rocprim17ROCPRIM_400000_NS6detail17trampoline_kernelINS0_14default_configENS1_25partition_config_selectorILNS1_17partition_subalgoE2EiNS0_10empty_typeEbEEZZNS1_14partition_implILS5_2ELb0ES3_jN6thrust23THRUST_200600_302600_NS6detail15normal_iteratorINSA_7pointerIiNSA_11hip_rocprim3tagENSA_11use_defaultESG_EEEEPS6_NSA_18transform_iteratorINSA_8identityIiEENSC_INSA_10device_ptrIiEEEESG_SG_EENS0_5tupleIJPiSJ_EEENSR_IJSJ_SJ_EEES6_PlJS6_EEE10hipError_tPvRmT3_T4_T5_T6_T7_T9_mT8_P12ihipStream_tbDpT10_ENKUlT_T0_E_clISt17integral_constantIbLb0EES1F_EEDaS1A_S1B_EUlS1A_E_NS1_11comp_targetILNS1_3genE10ELNS1_11target_archE1200ELNS1_3gpuE4ELNS1_3repE0EEENS1_30default_config_static_selectorELNS0_4arch9wavefront6targetE1EEEvT1_, .Lfunc_end518-_ZN7rocprim17ROCPRIM_400000_NS6detail17trampoline_kernelINS0_14default_configENS1_25partition_config_selectorILNS1_17partition_subalgoE2EiNS0_10empty_typeEbEEZZNS1_14partition_implILS5_2ELb0ES3_jN6thrust23THRUST_200600_302600_NS6detail15normal_iteratorINSA_7pointerIiNSA_11hip_rocprim3tagENSA_11use_defaultESG_EEEEPS6_NSA_18transform_iteratorINSA_8identityIiEENSC_INSA_10device_ptrIiEEEESG_SG_EENS0_5tupleIJPiSJ_EEENSR_IJSJ_SJ_EEES6_PlJS6_EEE10hipError_tPvRmT3_T4_T5_T6_T7_T9_mT8_P12ihipStream_tbDpT10_ENKUlT_T0_E_clISt17integral_constantIbLb0EES1F_EEDaS1A_S1B_EUlS1A_E_NS1_11comp_targetILNS1_3genE10ELNS1_11target_archE1200ELNS1_3gpuE4ELNS1_3repE0EEENS1_30default_config_static_selectorELNS0_4arch9wavefront6targetE1EEEvT1_
                                        ; -- End function
	.section	.AMDGPU.csdata,"",@progbits
; Kernel info:
; codeLenInByte = 0
; NumSgprs: 4
; NumVgprs: 0
; NumAgprs: 0
; TotalNumVgprs: 0
; ScratchSize: 0
; MemoryBound: 0
; FloatMode: 240
; IeeeMode: 1
; LDSByteSize: 0 bytes/workgroup (compile time only)
; SGPRBlocks: 0
; VGPRBlocks: 0
; NumSGPRsForWavesPerEU: 4
; NumVGPRsForWavesPerEU: 1
; AccumOffset: 4
; Occupancy: 8
; WaveLimiterHint : 0
; COMPUTE_PGM_RSRC2:SCRATCH_EN: 0
; COMPUTE_PGM_RSRC2:USER_SGPR: 6
; COMPUTE_PGM_RSRC2:TRAP_HANDLER: 0
; COMPUTE_PGM_RSRC2:TGID_X_EN: 1
; COMPUTE_PGM_RSRC2:TGID_Y_EN: 0
; COMPUTE_PGM_RSRC2:TGID_Z_EN: 0
; COMPUTE_PGM_RSRC2:TIDIG_COMP_CNT: 0
; COMPUTE_PGM_RSRC3_GFX90A:ACCUM_OFFSET: 0
; COMPUTE_PGM_RSRC3_GFX90A:TG_SPLIT: 0
	.section	.text._ZN7rocprim17ROCPRIM_400000_NS6detail17trampoline_kernelINS0_14default_configENS1_25partition_config_selectorILNS1_17partition_subalgoE2EiNS0_10empty_typeEbEEZZNS1_14partition_implILS5_2ELb0ES3_jN6thrust23THRUST_200600_302600_NS6detail15normal_iteratorINSA_7pointerIiNSA_11hip_rocprim3tagENSA_11use_defaultESG_EEEEPS6_NSA_18transform_iteratorINSA_8identityIiEENSC_INSA_10device_ptrIiEEEESG_SG_EENS0_5tupleIJPiSJ_EEENSR_IJSJ_SJ_EEES6_PlJS6_EEE10hipError_tPvRmT3_T4_T5_T6_T7_T9_mT8_P12ihipStream_tbDpT10_ENKUlT_T0_E_clISt17integral_constantIbLb0EES1F_EEDaS1A_S1B_EUlS1A_E_NS1_11comp_targetILNS1_3genE9ELNS1_11target_archE1100ELNS1_3gpuE3ELNS1_3repE0EEENS1_30default_config_static_selectorELNS0_4arch9wavefront6targetE1EEEvT1_,"axG",@progbits,_ZN7rocprim17ROCPRIM_400000_NS6detail17trampoline_kernelINS0_14default_configENS1_25partition_config_selectorILNS1_17partition_subalgoE2EiNS0_10empty_typeEbEEZZNS1_14partition_implILS5_2ELb0ES3_jN6thrust23THRUST_200600_302600_NS6detail15normal_iteratorINSA_7pointerIiNSA_11hip_rocprim3tagENSA_11use_defaultESG_EEEEPS6_NSA_18transform_iteratorINSA_8identityIiEENSC_INSA_10device_ptrIiEEEESG_SG_EENS0_5tupleIJPiSJ_EEENSR_IJSJ_SJ_EEES6_PlJS6_EEE10hipError_tPvRmT3_T4_T5_T6_T7_T9_mT8_P12ihipStream_tbDpT10_ENKUlT_T0_E_clISt17integral_constantIbLb0EES1F_EEDaS1A_S1B_EUlS1A_E_NS1_11comp_targetILNS1_3genE9ELNS1_11target_archE1100ELNS1_3gpuE3ELNS1_3repE0EEENS1_30default_config_static_selectorELNS0_4arch9wavefront6targetE1EEEvT1_,comdat
	.protected	_ZN7rocprim17ROCPRIM_400000_NS6detail17trampoline_kernelINS0_14default_configENS1_25partition_config_selectorILNS1_17partition_subalgoE2EiNS0_10empty_typeEbEEZZNS1_14partition_implILS5_2ELb0ES3_jN6thrust23THRUST_200600_302600_NS6detail15normal_iteratorINSA_7pointerIiNSA_11hip_rocprim3tagENSA_11use_defaultESG_EEEEPS6_NSA_18transform_iteratorINSA_8identityIiEENSC_INSA_10device_ptrIiEEEESG_SG_EENS0_5tupleIJPiSJ_EEENSR_IJSJ_SJ_EEES6_PlJS6_EEE10hipError_tPvRmT3_T4_T5_T6_T7_T9_mT8_P12ihipStream_tbDpT10_ENKUlT_T0_E_clISt17integral_constantIbLb0EES1F_EEDaS1A_S1B_EUlS1A_E_NS1_11comp_targetILNS1_3genE9ELNS1_11target_archE1100ELNS1_3gpuE3ELNS1_3repE0EEENS1_30default_config_static_selectorELNS0_4arch9wavefront6targetE1EEEvT1_ ; -- Begin function _ZN7rocprim17ROCPRIM_400000_NS6detail17trampoline_kernelINS0_14default_configENS1_25partition_config_selectorILNS1_17partition_subalgoE2EiNS0_10empty_typeEbEEZZNS1_14partition_implILS5_2ELb0ES3_jN6thrust23THRUST_200600_302600_NS6detail15normal_iteratorINSA_7pointerIiNSA_11hip_rocprim3tagENSA_11use_defaultESG_EEEEPS6_NSA_18transform_iteratorINSA_8identityIiEENSC_INSA_10device_ptrIiEEEESG_SG_EENS0_5tupleIJPiSJ_EEENSR_IJSJ_SJ_EEES6_PlJS6_EEE10hipError_tPvRmT3_T4_T5_T6_T7_T9_mT8_P12ihipStream_tbDpT10_ENKUlT_T0_E_clISt17integral_constantIbLb0EES1F_EEDaS1A_S1B_EUlS1A_E_NS1_11comp_targetILNS1_3genE9ELNS1_11target_archE1100ELNS1_3gpuE3ELNS1_3repE0EEENS1_30default_config_static_selectorELNS0_4arch9wavefront6targetE1EEEvT1_
	.globl	_ZN7rocprim17ROCPRIM_400000_NS6detail17trampoline_kernelINS0_14default_configENS1_25partition_config_selectorILNS1_17partition_subalgoE2EiNS0_10empty_typeEbEEZZNS1_14partition_implILS5_2ELb0ES3_jN6thrust23THRUST_200600_302600_NS6detail15normal_iteratorINSA_7pointerIiNSA_11hip_rocprim3tagENSA_11use_defaultESG_EEEEPS6_NSA_18transform_iteratorINSA_8identityIiEENSC_INSA_10device_ptrIiEEEESG_SG_EENS0_5tupleIJPiSJ_EEENSR_IJSJ_SJ_EEES6_PlJS6_EEE10hipError_tPvRmT3_T4_T5_T6_T7_T9_mT8_P12ihipStream_tbDpT10_ENKUlT_T0_E_clISt17integral_constantIbLb0EES1F_EEDaS1A_S1B_EUlS1A_E_NS1_11comp_targetILNS1_3genE9ELNS1_11target_archE1100ELNS1_3gpuE3ELNS1_3repE0EEENS1_30default_config_static_selectorELNS0_4arch9wavefront6targetE1EEEvT1_
	.p2align	8
	.type	_ZN7rocprim17ROCPRIM_400000_NS6detail17trampoline_kernelINS0_14default_configENS1_25partition_config_selectorILNS1_17partition_subalgoE2EiNS0_10empty_typeEbEEZZNS1_14partition_implILS5_2ELb0ES3_jN6thrust23THRUST_200600_302600_NS6detail15normal_iteratorINSA_7pointerIiNSA_11hip_rocprim3tagENSA_11use_defaultESG_EEEEPS6_NSA_18transform_iteratorINSA_8identityIiEENSC_INSA_10device_ptrIiEEEESG_SG_EENS0_5tupleIJPiSJ_EEENSR_IJSJ_SJ_EEES6_PlJS6_EEE10hipError_tPvRmT3_T4_T5_T6_T7_T9_mT8_P12ihipStream_tbDpT10_ENKUlT_T0_E_clISt17integral_constantIbLb0EES1F_EEDaS1A_S1B_EUlS1A_E_NS1_11comp_targetILNS1_3genE9ELNS1_11target_archE1100ELNS1_3gpuE3ELNS1_3repE0EEENS1_30default_config_static_selectorELNS0_4arch9wavefront6targetE1EEEvT1_,@function
_ZN7rocprim17ROCPRIM_400000_NS6detail17trampoline_kernelINS0_14default_configENS1_25partition_config_selectorILNS1_17partition_subalgoE2EiNS0_10empty_typeEbEEZZNS1_14partition_implILS5_2ELb0ES3_jN6thrust23THRUST_200600_302600_NS6detail15normal_iteratorINSA_7pointerIiNSA_11hip_rocprim3tagENSA_11use_defaultESG_EEEEPS6_NSA_18transform_iteratorINSA_8identityIiEENSC_INSA_10device_ptrIiEEEESG_SG_EENS0_5tupleIJPiSJ_EEENSR_IJSJ_SJ_EEES6_PlJS6_EEE10hipError_tPvRmT3_T4_T5_T6_T7_T9_mT8_P12ihipStream_tbDpT10_ENKUlT_T0_E_clISt17integral_constantIbLb0EES1F_EEDaS1A_S1B_EUlS1A_E_NS1_11comp_targetILNS1_3genE9ELNS1_11target_archE1100ELNS1_3gpuE3ELNS1_3repE0EEENS1_30default_config_static_selectorELNS0_4arch9wavefront6targetE1EEEvT1_: ; @_ZN7rocprim17ROCPRIM_400000_NS6detail17trampoline_kernelINS0_14default_configENS1_25partition_config_selectorILNS1_17partition_subalgoE2EiNS0_10empty_typeEbEEZZNS1_14partition_implILS5_2ELb0ES3_jN6thrust23THRUST_200600_302600_NS6detail15normal_iteratorINSA_7pointerIiNSA_11hip_rocprim3tagENSA_11use_defaultESG_EEEEPS6_NSA_18transform_iteratorINSA_8identityIiEENSC_INSA_10device_ptrIiEEEESG_SG_EENS0_5tupleIJPiSJ_EEENSR_IJSJ_SJ_EEES6_PlJS6_EEE10hipError_tPvRmT3_T4_T5_T6_T7_T9_mT8_P12ihipStream_tbDpT10_ENKUlT_T0_E_clISt17integral_constantIbLb0EES1F_EEDaS1A_S1B_EUlS1A_E_NS1_11comp_targetILNS1_3genE9ELNS1_11target_archE1100ELNS1_3gpuE3ELNS1_3repE0EEENS1_30default_config_static_selectorELNS0_4arch9wavefront6targetE1EEEvT1_
; %bb.0:
	.section	.rodata,"a",@progbits
	.p2align	6, 0x0
	.amdhsa_kernel _ZN7rocprim17ROCPRIM_400000_NS6detail17trampoline_kernelINS0_14default_configENS1_25partition_config_selectorILNS1_17partition_subalgoE2EiNS0_10empty_typeEbEEZZNS1_14partition_implILS5_2ELb0ES3_jN6thrust23THRUST_200600_302600_NS6detail15normal_iteratorINSA_7pointerIiNSA_11hip_rocprim3tagENSA_11use_defaultESG_EEEEPS6_NSA_18transform_iteratorINSA_8identityIiEENSC_INSA_10device_ptrIiEEEESG_SG_EENS0_5tupleIJPiSJ_EEENSR_IJSJ_SJ_EEES6_PlJS6_EEE10hipError_tPvRmT3_T4_T5_T6_T7_T9_mT8_P12ihipStream_tbDpT10_ENKUlT_T0_E_clISt17integral_constantIbLb0EES1F_EEDaS1A_S1B_EUlS1A_E_NS1_11comp_targetILNS1_3genE9ELNS1_11target_archE1100ELNS1_3gpuE3ELNS1_3repE0EEENS1_30default_config_static_selectorELNS0_4arch9wavefront6targetE1EEEvT1_
		.amdhsa_group_segment_fixed_size 0
		.amdhsa_private_segment_fixed_size 0
		.amdhsa_kernarg_size 128
		.amdhsa_user_sgpr_count 6
		.amdhsa_user_sgpr_private_segment_buffer 1
		.amdhsa_user_sgpr_dispatch_ptr 0
		.amdhsa_user_sgpr_queue_ptr 0
		.amdhsa_user_sgpr_kernarg_segment_ptr 1
		.amdhsa_user_sgpr_dispatch_id 0
		.amdhsa_user_sgpr_flat_scratch_init 0
		.amdhsa_user_sgpr_kernarg_preload_length 0
		.amdhsa_user_sgpr_kernarg_preload_offset 0
		.amdhsa_user_sgpr_private_segment_size 0
		.amdhsa_uses_dynamic_stack 0
		.amdhsa_system_sgpr_private_segment_wavefront_offset 0
		.amdhsa_system_sgpr_workgroup_id_x 1
		.amdhsa_system_sgpr_workgroup_id_y 0
		.amdhsa_system_sgpr_workgroup_id_z 0
		.amdhsa_system_sgpr_workgroup_info 0
		.amdhsa_system_vgpr_workitem_id 0
		.amdhsa_next_free_vgpr 1
		.amdhsa_next_free_sgpr 0
		.amdhsa_accum_offset 4
		.amdhsa_reserve_vcc 0
		.amdhsa_reserve_flat_scratch 0
		.amdhsa_float_round_mode_32 0
		.amdhsa_float_round_mode_16_64 0
		.amdhsa_float_denorm_mode_32 3
		.amdhsa_float_denorm_mode_16_64 3
		.amdhsa_dx10_clamp 1
		.amdhsa_ieee_mode 1
		.amdhsa_fp16_overflow 0
		.amdhsa_tg_split 0
		.amdhsa_exception_fp_ieee_invalid_op 0
		.amdhsa_exception_fp_denorm_src 0
		.amdhsa_exception_fp_ieee_div_zero 0
		.amdhsa_exception_fp_ieee_overflow 0
		.amdhsa_exception_fp_ieee_underflow 0
		.amdhsa_exception_fp_ieee_inexact 0
		.amdhsa_exception_int_div_zero 0
	.end_amdhsa_kernel
	.section	.text._ZN7rocprim17ROCPRIM_400000_NS6detail17trampoline_kernelINS0_14default_configENS1_25partition_config_selectorILNS1_17partition_subalgoE2EiNS0_10empty_typeEbEEZZNS1_14partition_implILS5_2ELb0ES3_jN6thrust23THRUST_200600_302600_NS6detail15normal_iteratorINSA_7pointerIiNSA_11hip_rocprim3tagENSA_11use_defaultESG_EEEEPS6_NSA_18transform_iteratorINSA_8identityIiEENSC_INSA_10device_ptrIiEEEESG_SG_EENS0_5tupleIJPiSJ_EEENSR_IJSJ_SJ_EEES6_PlJS6_EEE10hipError_tPvRmT3_T4_T5_T6_T7_T9_mT8_P12ihipStream_tbDpT10_ENKUlT_T0_E_clISt17integral_constantIbLb0EES1F_EEDaS1A_S1B_EUlS1A_E_NS1_11comp_targetILNS1_3genE9ELNS1_11target_archE1100ELNS1_3gpuE3ELNS1_3repE0EEENS1_30default_config_static_selectorELNS0_4arch9wavefront6targetE1EEEvT1_,"axG",@progbits,_ZN7rocprim17ROCPRIM_400000_NS6detail17trampoline_kernelINS0_14default_configENS1_25partition_config_selectorILNS1_17partition_subalgoE2EiNS0_10empty_typeEbEEZZNS1_14partition_implILS5_2ELb0ES3_jN6thrust23THRUST_200600_302600_NS6detail15normal_iteratorINSA_7pointerIiNSA_11hip_rocprim3tagENSA_11use_defaultESG_EEEEPS6_NSA_18transform_iteratorINSA_8identityIiEENSC_INSA_10device_ptrIiEEEESG_SG_EENS0_5tupleIJPiSJ_EEENSR_IJSJ_SJ_EEES6_PlJS6_EEE10hipError_tPvRmT3_T4_T5_T6_T7_T9_mT8_P12ihipStream_tbDpT10_ENKUlT_T0_E_clISt17integral_constantIbLb0EES1F_EEDaS1A_S1B_EUlS1A_E_NS1_11comp_targetILNS1_3genE9ELNS1_11target_archE1100ELNS1_3gpuE3ELNS1_3repE0EEENS1_30default_config_static_selectorELNS0_4arch9wavefront6targetE1EEEvT1_,comdat
.Lfunc_end519:
	.size	_ZN7rocprim17ROCPRIM_400000_NS6detail17trampoline_kernelINS0_14default_configENS1_25partition_config_selectorILNS1_17partition_subalgoE2EiNS0_10empty_typeEbEEZZNS1_14partition_implILS5_2ELb0ES3_jN6thrust23THRUST_200600_302600_NS6detail15normal_iteratorINSA_7pointerIiNSA_11hip_rocprim3tagENSA_11use_defaultESG_EEEEPS6_NSA_18transform_iteratorINSA_8identityIiEENSC_INSA_10device_ptrIiEEEESG_SG_EENS0_5tupleIJPiSJ_EEENSR_IJSJ_SJ_EEES6_PlJS6_EEE10hipError_tPvRmT3_T4_T5_T6_T7_T9_mT8_P12ihipStream_tbDpT10_ENKUlT_T0_E_clISt17integral_constantIbLb0EES1F_EEDaS1A_S1B_EUlS1A_E_NS1_11comp_targetILNS1_3genE9ELNS1_11target_archE1100ELNS1_3gpuE3ELNS1_3repE0EEENS1_30default_config_static_selectorELNS0_4arch9wavefront6targetE1EEEvT1_, .Lfunc_end519-_ZN7rocprim17ROCPRIM_400000_NS6detail17trampoline_kernelINS0_14default_configENS1_25partition_config_selectorILNS1_17partition_subalgoE2EiNS0_10empty_typeEbEEZZNS1_14partition_implILS5_2ELb0ES3_jN6thrust23THRUST_200600_302600_NS6detail15normal_iteratorINSA_7pointerIiNSA_11hip_rocprim3tagENSA_11use_defaultESG_EEEEPS6_NSA_18transform_iteratorINSA_8identityIiEENSC_INSA_10device_ptrIiEEEESG_SG_EENS0_5tupleIJPiSJ_EEENSR_IJSJ_SJ_EEES6_PlJS6_EEE10hipError_tPvRmT3_T4_T5_T6_T7_T9_mT8_P12ihipStream_tbDpT10_ENKUlT_T0_E_clISt17integral_constantIbLb0EES1F_EEDaS1A_S1B_EUlS1A_E_NS1_11comp_targetILNS1_3genE9ELNS1_11target_archE1100ELNS1_3gpuE3ELNS1_3repE0EEENS1_30default_config_static_selectorELNS0_4arch9wavefront6targetE1EEEvT1_
                                        ; -- End function
	.section	.AMDGPU.csdata,"",@progbits
; Kernel info:
; codeLenInByte = 0
; NumSgprs: 4
; NumVgprs: 0
; NumAgprs: 0
; TotalNumVgprs: 0
; ScratchSize: 0
; MemoryBound: 0
; FloatMode: 240
; IeeeMode: 1
; LDSByteSize: 0 bytes/workgroup (compile time only)
; SGPRBlocks: 0
; VGPRBlocks: 0
; NumSGPRsForWavesPerEU: 4
; NumVGPRsForWavesPerEU: 1
; AccumOffset: 4
; Occupancy: 8
; WaveLimiterHint : 0
; COMPUTE_PGM_RSRC2:SCRATCH_EN: 0
; COMPUTE_PGM_RSRC2:USER_SGPR: 6
; COMPUTE_PGM_RSRC2:TRAP_HANDLER: 0
; COMPUTE_PGM_RSRC2:TGID_X_EN: 1
; COMPUTE_PGM_RSRC2:TGID_Y_EN: 0
; COMPUTE_PGM_RSRC2:TGID_Z_EN: 0
; COMPUTE_PGM_RSRC2:TIDIG_COMP_CNT: 0
; COMPUTE_PGM_RSRC3_GFX90A:ACCUM_OFFSET: 0
; COMPUTE_PGM_RSRC3_GFX90A:TG_SPLIT: 0
	.section	.text._ZN7rocprim17ROCPRIM_400000_NS6detail17trampoline_kernelINS0_14default_configENS1_25partition_config_selectorILNS1_17partition_subalgoE2EiNS0_10empty_typeEbEEZZNS1_14partition_implILS5_2ELb0ES3_jN6thrust23THRUST_200600_302600_NS6detail15normal_iteratorINSA_7pointerIiNSA_11hip_rocprim3tagENSA_11use_defaultESG_EEEEPS6_NSA_18transform_iteratorINSA_8identityIiEENSC_INSA_10device_ptrIiEEEESG_SG_EENS0_5tupleIJPiSJ_EEENSR_IJSJ_SJ_EEES6_PlJS6_EEE10hipError_tPvRmT3_T4_T5_T6_T7_T9_mT8_P12ihipStream_tbDpT10_ENKUlT_T0_E_clISt17integral_constantIbLb0EES1F_EEDaS1A_S1B_EUlS1A_E_NS1_11comp_targetILNS1_3genE8ELNS1_11target_archE1030ELNS1_3gpuE2ELNS1_3repE0EEENS1_30default_config_static_selectorELNS0_4arch9wavefront6targetE1EEEvT1_,"axG",@progbits,_ZN7rocprim17ROCPRIM_400000_NS6detail17trampoline_kernelINS0_14default_configENS1_25partition_config_selectorILNS1_17partition_subalgoE2EiNS0_10empty_typeEbEEZZNS1_14partition_implILS5_2ELb0ES3_jN6thrust23THRUST_200600_302600_NS6detail15normal_iteratorINSA_7pointerIiNSA_11hip_rocprim3tagENSA_11use_defaultESG_EEEEPS6_NSA_18transform_iteratorINSA_8identityIiEENSC_INSA_10device_ptrIiEEEESG_SG_EENS0_5tupleIJPiSJ_EEENSR_IJSJ_SJ_EEES6_PlJS6_EEE10hipError_tPvRmT3_T4_T5_T6_T7_T9_mT8_P12ihipStream_tbDpT10_ENKUlT_T0_E_clISt17integral_constantIbLb0EES1F_EEDaS1A_S1B_EUlS1A_E_NS1_11comp_targetILNS1_3genE8ELNS1_11target_archE1030ELNS1_3gpuE2ELNS1_3repE0EEENS1_30default_config_static_selectorELNS0_4arch9wavefront6targetE1EEEvT1_,comdat
	.protected	_ZN7rocprim17ROCPRIM_400000_NS6detail17trampoline_kernelINS0_14default_configENS1_25partition_config_selectorILNS1_17partition_subalgoE2EiNS0_10empty_typeEbEEZZNS1_14partition_implILS5_2ELb0ES3_jN6thrust23THRUST_200600_302600_NS6detail15normal_iteratorINSA_7pointerIiNSA_11hip_rocprim3tagENSA_11use_defaultESG_EEEEPS6_NSA_18transform_iteratorINSA_8identityIiEENSC_INSA_10device_ptrIiEEEESG_SG_EENS0_5tupleIJPiSJ_EEENSR_IJSJ_SJ_EEES6_PlJS6_EEE10hipError_tPvRmT3_T4_T5_T6_T7_T9_mT8_P12ihipStream_tbDpT10_ENKUlT_T0_E_clISt17integral_constantIbLb0EES1F_EEDaS1A_S1B_EUlS1A_E_NS1_11comp_targetILNS1_3genE8ELNS1_11target_archE1030ELNS1_3gpuE2ELNS1_3repE0EEENS1_30default_config_static_selectorELNS0_4arch9wavefront6targetE1EEEvT1_ ; -- Begin function _ZN7rocprim17ROCPRIM_400000_NS6detail17trampoline_kernelINS0_14default_configENS1_25partition_config_selectorILNS1_17partition_subalgoE2EiNS0_10empty_typeEbEEZZNS1_14partition_implILS5_2ELb0ES3_jN6thrust23THRUST_200600_302600_NS6detail15normal_iteratorINSA_7pointerIiNSA_11hip_rocprim3tagENSA_11use_defaultESG_EEEEPS6_NSA_18transform_iteratorINSA_8identityIiEENSC_INSA_10device_ptrIiEEEESG_SG_EENS0_5tupleIJPiSJ_EEENSR_IJSJ_SJ_EEES6_PlJS6_EEE10hipError_tPvRmT3_T4_T5_T6_T7_T9_mT8_P12ihipStream_tbDpT10_ENKUlT_T0_E_clISt17integral_constantIbLb0EES1F_EEDaS1A_S1B_EUlS1A_E_NS1_11comp_targetILNS1_3genE8ELNS1_11target_archE1030ELNS1_3gpuE2ELNS1_3repE0EEENS1_30default_config_static_selectorELNS0_4arch9wavefront6targetE1EEEvT1_
	.globl	_ZN7rocprim17ROCPRIM_400000_NS6detail17trampoline_kernelINS0_14default_configENS1_25partition_config_selectorILNS1_17partition_subalgoE2EiNS0_10empty_typeEbEEZZNS1_14partition_implILS5_2ELb0ES3_jN6thrust23THRUST_200600_302600_NS6detail15normal_iteratorINSA_7pointerIiNSA_11hip_rocprim3tagENSA_11use_defaultESG_EEEEPS6_NSA_18transform_iteratorINSA_8identityIiEENSC_INSA_10device_ptrIiEEEESG_SG_EENS0_5tupleIJPiSJ_EEENSR_IJSJ_SJ_EEES6_PlJS6_EEE10hipError_tPvRmT3_T4_T5_T6_T7_T9_mT8_P12ihipStream_tbDpT10_ENKUlT_T0_E_clISt17integral_constantIbLb0EES1F_EEDaS1A_S1B_EUlS1A_E_NS1_11comp_targetILNS1_3genE8ELNS1_11target_archE1030ELNS1_3gpuE2ELNS1_3repE0EEENS1_30default_config_static_selectorELNS0_4arch9wavefront6targetE1EEEvT1_
	.p2align	8
	.type	_ZN7rocprim17ROCPRIM_400000_NS6detail17trampoline_kernelINS0_14default_configENS1_25partition_config_selectorILNS1_17partition_subalgoE2EiNS0_10empty_typeEbEEZZNS1_14partition_implILS5_2ELb0ES3_jN6thrust23THRUST_200600_302600_NS6detail15normal_iteratorINSA_7pointerIiNSA_11hip_rocprim3tagENSA_11use_defaultESG_EEEEPS6_NSA_18transform_iteratorINSA_8identityIiEENSC_INSA_10device_ptrIiEEEESG_SG_EENS0_5tupleIJPiSJ_EEENSR_IJSJ_SJ_EEES6_PlJS6_EEE10hipError_tPvRmT3_T4_T5_T6_T7_T9_mT8_P12ihipStream_tbDpT10_ENKUlT_T0_E_clISt17integral_constantIbLb0EES1F_EEDaS1A_S1B_EUlS1A_E_NS1_11comp_targetILNS1_3genE8ELNS1_11target_archE1030ELNS1_3gpuE2ELNS1_3repE0EEENS1_30default_config_static_selectorELNS0_4arch9wavefront6targetE1EEEvT1_,@function
_ZN7rocprim17ROCPRIM_400000_NS6detail17trampoline_kernelINS0_14default_configENS1_25partition_config_selectorILNS1_17partition_subalgoE2EiNS0_10empty_typeEbEEZZNS1_14partition_implILS5_2ELb0ES3_jN6thrust23THRUST_200600_302600_NS6detail15normal_iteratorINSA_7pointerIiNSA_11hip_rocprim3tagENSA_11use_defaultESG_EEEEPS6_NSA_18transform_iteratorINSA_8identityIiEENSC_INSA_10device_ptrIiEEEESG_SG_EENS0_5tupleIJPiSJ_EEENSR_IJSJ_SJ_EEES6_PlJS6_EEE10hipError_tPvRmT3_T4_T5_T6_T7_T9_mT8_P12ihipStream_tbDpT10_ENKUlT_T0_E_clISt17integral_constantIbLb0EES1F_EEDaS1A_S1B_EUlS1A_E_NS1_11comp_targetILNS1_3genE8ELNS1_11target_archE1030ELNS1_3gpuE2ELNS1_3repE0EEENS1_30default_config_static_selectorELNS0_4arch9wavefront6targetE1EEEvT1_: ; @_ZN7rocprim17ROCPRIM_400000_NS6detail17trampoline_kernelINS0_14default_configENS1_25partition_config_selectorILNS1_17partition_subalgoE2EiNS0_10empty_typeEbEEZZNS1_14partition_implILS5_2ELb0ES3_jN6thrust23THRUST_200600_302600_NS6detail15normal_iteratorINSA_7pointerIiNSA_11hip_rocprim3tagENSA_11use_defaultESG_EEEEPS6_NSA_18transform_iteratorINSA_8identityIiEENSC_INSA_10device_ptrIiEEEESG_SG_EENS0_5tupleIJPiSJ_EEENSR_IJSJ_SJ_EEES6_PlJS6_EEE10hipError_tPvRmT3_T4_T5_T6_T7_T9_mT8_P12ihipStream_tbDpT10_ENKUlT_T0_E_clISt17integral_constantIbLb0EES1F_EEDaS1A_S1B_EUlS1A_E_NS1_11comp_targetILNS1_3genE8ELNS1_11target_archE1030ELNS1_3gpuE2ELNS1_3repE0EEENS1_30default_config_static_selectorELNS0_4arch9wavefront6targetE1EEEvT1_
; %bb.0:
	.section	.rodata,"a",@progbits
	.p2align	6, 0x0
	.amdhsa_kernel _ZN7rocprim17ROCPRIM_400000_NS6detail17trampoline_kernelINS0_14default_configENS1_25partition_config_selectorILNS1_17partition_subalgoE2EiNS0_10empty_typeEbEEZZNS1_14partition_implILS5_2ELb0ES3_jN6thrust23THRUST_200600_302600_NS6detail15normal_iteratorINSA_7pointerIiNSA_11hip_rocprim3tagENSA_11use_defaultESG_EEEEPS6_NSA_18transform_iteratorINSA_8identityIiEENSC_INSA_10device_ptrIiEEEESG_SG_EENS0_5tupleIJPiSJ_EEENSR_IJSJ_SJ_EEES6_PlJS6_EEE10hipError_tPvRmT3_T4_T5_T6_T7_T9_mT8_P12ihipStream_tbDpT10_ENKUlT_T0_E_clISt17integral_constantIbLb0EES1F_EEDaS1A_S1B_EUlS1A_E_NS1_11comp_targetILNS1_3genE8ELNS1_11target_archE1030ELNS1_3gpuE2ELNS1_3repE0EEENS1_30default_config_static_selectorELNS0_4arch9wavefront6targetE1EEEvT1_
		.amdhsa_group_segment_fixed_size 0
		.amdhsa_private_segment_fixed_size 0
		.amdhsa_kernarg_size 128
		.amdhsa_user_sgpr_count 6
		.amdhsa_user_sgpr_private_segment_buffer 1
		.amdhsa_user_sgpr_dispatch_ptr 0
		.amdhsa_user_sgpr_queue_ptr 0
		.amdhsa_user_sgpr_kernarg_segment_ptr 1
		.amdhsa_user_sgpr_dispatch_id 0
		.amdhsa_user_sgpr_flat_scratch_init 0
		.amdhsa_user_sgpr_kernarg_preload_length 0
		.amdhsa_user_sgpr_kernarg_preload_offset 0
		.amdhsa_user_sgpr_private_segment_size 0
		.amdhsa_uses_dynamic_stack 0
		.amdhsa_system_sgpr_private_segment_wavefront_offset 0
		.amdhsa_system_sgpr_workgroup_id_x 1
		.amdhsa_system_sgpr_workgroup_id_y 0
		.amdhsa_system_sgpr_workgroup_id_z 0
		.amdhsa_system_sgpr_workgroup_info 0
		.amdhsa_system_vgpr_workitem_id 0
		.amdhsa_next_free_vgpr 1
		.amdhsa_next_free_sgpr 0
		.amdhsa_accum_offset 4
		.amdhsa_reserve_vcc 0
		.amdhsa_reserve_flat_scratch 0
		.amdhsa_float_round_mode_32 0
		.amdhsa_float_round_mode_16_64 0
		.amdhsa_float_denorm_mode_32 3
		.amdhsa_float_denorm_mode_16_64 3
		.amdhsa_dx10_clamp 1
		.amdhsa_ieee_mode 1
		.amdhsa_fp16_overflow 0
		.amdhsa_tg_split 0
		.amdhsa_exception_fp_ieee_invalid_op 0
		.amdhsa_exception_fp_denorm_src 0
		.amdhsa_exception_fp_ieee_div_zero 0
		.amdhsa_exception_fp_ieee_overflow 0
		.amdhsa_exception_fp_ieee_underflow 0
		.amdhsa_exception_fp_ieee_inexact 0
		.amdhsa_exception_int_div_zero 0
	.end_amdhsa_kernel
	.section	.text._ZN7rocprim17ROCPRIM_400000_NS6detail17trampoline_kernelINS0_14default_configENS1_25partition_config_selectorILNS1_17partition_subalgoE2EiNS0_10empty_typeEbEEZZNS1_14partition_implILS5_2ELb0ES3_jN6thrust23THRUST_200600_302600_NS6detail15normal_iteratorINSA_7pointerIiNSA_11hip_rocprim3tagENSA_11use_defaultESG_EEEEPS6_NSA_18transform_iteratorINSA_8identityIiEENSC_INSA_10device_ptrIiEEEESG_SG_EENS0_5tupleIJPiSJ_EEENSR_IJSJ_SJ_EEES6_PlJS6_EEE10hipError_tPvRmT3_T4_T5_T6_T7_T9_mT8_P12ihipStream_tbDpT10_ENKUlT_T0_E_clISt17integral_constantIbLb0EES1F_EEDaS1A_S1B_EUlS1A_E_NS1_11comp_targetILNS1_3genE8ELNS1_11target_archE1030ELNS1_3gpuE2ELNS1_3repE0EEENS1_30default_config_static_selectorELNS0_4arch9wavefront6targetE1EEEvT1_,"axG",@progbits,_ZN7rocprim17ROCPRIM_400000_NS6detail17trampoline_kernelINS0_14default_configENS1_25partition_config_selectorILNS1_17partition_subalgoE2EiNS0_10empty_typeEbEEZZNS1_14partition_implILS5_2ELb0ES3_jN6thrust23THRUST_200600_302600_NS6detail15normal_iteratorINSA_7pointerIiNSA_11hip_rocprim3tagENSA_11use_defaultESG_EEEEPS6_NSA_18transform_iteratorINSA_8identityIiEENSC_INSA_10device_ptrIiEEEESG_SG_EENS0_5tupleIJPiSJ_EEENSR_IJSJ_SJ_EEES6_PlJS6_EEE10hipError_tPvRmT3_T4_T5_T6_T7_T9_mT8_P12ihipStream_tbDpT10_ENKUlT_T0_E_clISt17integral_constantIbLb0EES1F_EEDaS1A_S1B_EUlS1A_E_NS1_11comp_targetILNS1_3genE8ELNS1_11target_archE1030ELNS1_3gpuE2ELNS1_3repE0EEENS1_30default_config_static_selectorELNS0_4arch9wavefront6targetE1EEEvT1_,comdat
.Lfunc_end520:
	.size	_ZN7rocprim17ROCPRIM_400000_NS6detail17trampoline_kernelINS0_14default_configENS1_25partition_config_selectorILNS1_17partition_subalgoE2EiNS0_10empty_typeEbEEZZNS1_14partition_implILS5_2ELb0ES3_jN6thrust23THRUST_200600_302600_NS6detail15normal_iteratorINSA_7pointerIiNSA_11hip_rocprim3tagENSA_11use_defaultESG_EEEEPS6_NSA_18transform_iteratorINSA_8identityIiEENSC_INSA_10device_ptrIiEEEESG_SG_EENS0_5tupleIJPiSJ_EEENSR_IJSJ_SJ_EEES6_PlJS6_EEE10hipError_tPvRmT3_T4_T5_T6_T7_T9_mT8_P12ihipStream_tbDpT10_ENKUlT_T0_E_clISt17integral_constantIbLb0EES1F_EEDaS1A_S1B_EUlS1A_E_NS1_11comp_targetILNS1_3genE8ELNS1_11target_archE1030ELNS1_3gpuE2ELNS1_3repE0EEENS1_30default_config_static_selectorELNS0_4arch9wavefront6targetE1EEEvT1_, .Lfunc_end520-_ZN7rocprim17ROCPRIM_400000_NS6detail17trampoline_kernelINS0_14default_configENS1_25partition_config_selectorILNS1_17partition_subalgoE2EiNS0_10empty_typeEbEEZZNS1_14partition_implILS5_2ELb0ES3_jN6thrust23THRUST_200600_302600_NS6detail15normal_iteratorINSA_7pointerIiNSA_11hip_rocprim3tagENSA_11use_defaultESG_EEEEPS6_NSA_18transform_iteratorINSA_8identityIiEENSC_INSA_10device_ptrIiEEEESG_SG_EENS0_5tupleIJPiSJ_EEENSR_IJSJ_SJ_EEES6_PlJS6_EEE10hipError_tPvRmT3_T4_T5_T6_T7_T9_mT8_P12ihipStream_tbDpT10_ENKUlT_T0_E_clISt17integral_constantIbLb0EES1F_EEDaS1A_S1B_EUlS1A_E_NS1_11comp_targetILNS1_3genE8ELNS1_11target_archE1030ELNS1_3gpuE2ELNS1_3repE0EEENS1_30default_config_static_selectorELNS0_4arch9wavefront6targetE1EEEvT1_
                                        ; -- End function
	.section	.AMDGPU.csdata,"",@progbits
; Kernel info:
; codeLenInByte = 0
; NumSgprs: 4
; NumVgprs: 0
; NumAgprs: 0
; TotalNumVgprs: 0
; ScratchSize: 0
; MemoryBound: 0
; FloatMode: 240
; IeeeMode: 1
; LDSByteSize: 0 bytes/workgroup (compile time only)
; SGPRBlocks: 0
; VGPRBlocks: 0
; NumSGPRsForWavesPerEU: 4
; NumVGPRsForWavesPerEU: 1
; AccumOffset: 4
; Occupancy: 8
; WaveLimiterHint : 0
; COMPUTE_PGM_RSRC2:SCRATCH_EN: 0
; COMPUTE_PGM_RSRC2:USER_SGPR: 6
; COMPUTE_PGM_RSRC2:TRAP_HANDLER: 0
; COMPUTE_PGM_RSRC2:TGID_X_EN: 1
; COMPUTE_PGM_RSRC2:TGID_Y_EN: 0
; COMPUTE_PGM_RSRC2:TGID_Z_EN: 0
; COMPUTE_PGM_RSRC2:TIDIG_COMP_CNT: 0
; COMPUTE_PGM_RSRC3_GFX90A:ACCUM_OFFSET: 0
; COMPUTE_PGM_RSRC3_GFX90A:TG_SPLIT: 0
	.section	.text._ZN7rocprim17ROCPRIM_400000_NS6detail17trampoline_kernelINS0_14default_configENS1_25partition_config_selectorILNS1_17partition_subalgoE2EiNS0_10empty_typeEbEEZZNS1_14partition_implILS5_2ELb0ES3_jN6thrust23THRUST_200600_302600_NS6detail15normal_iteratorINSA_7pointerIiNSA_11hip_rocprim3tagENSA_11use_defaultESG_EEEEPS6_NSA_18transform_iteratorINSA_8identityIiEENSC_INSA_10device_ptrIiEEEESG_SG_EENS0_5tupleIJPiSJ_EEENSR_IJSJ_SJ_EEES6_PlJS6_EEE10hipError_tPvRmT3_T4_T5_T6_T7_T9_mT8_P12ihipStream_tbDpT10_ENKUlT_T0_E_clISt17integral_constantIbLb1EES1F_EEDaS1A_S1B_EUlS1A_E_NS1_11comp_targetILNS1_3genE0ELNS1_11target_archE4294967295ELNS1_3gpuE0ELNS1_3repE0EEENS1_30default_config_static_selectorELNS0_4arch9wavefront6targetE1EEEvT1_,"axG",@progbits,_ZN7rocprim17ROCPRIM_400000_NS6detail17trampoline_kernelINS0_14default_configENS1_25partition_config_selectorILNS1_17partition_subalgoE2EiNS0_10empty_typeEbEEZZNS1_14partition_implILS5_2ELb0ES3_jN6thrust23THRUST_200600_302600_NS6detail15normal_iteratorINSA_7pointerIiNSA_11hip_rocprim3tagENSA_11use_defaultESG_EEEEPS6_NSA_18transform_iteratorINSA_8identityIiEENSC_INSA_10device_ptrIiEEEESG_SG_EENS0_5tupleIJPiSJ_EEENSR_IJSJ_SJ_EEES6_PlJS6_EEE10hipError_tPvRmT3_T4_T5_T6_T7_T9_mT8_P12ihipStream_tbDpT10_ENKUlT_T0_E_clISt17integral_constantIbLb1EES1F_EEDaS1A_S1B_EUlS1A_E_NS1_11comp_targetILNS1_3genE0ELNS1_11target_archE4294967295ELNS1_3gpuE0ELNS1_3repE0EEENS1_30default_config_static_selectorELNS0_4arch9wavefront6targetE1EEEvT1_,comdat
	.protected	_ZN7rocprim17ROCPRIM_400000_NS6detail17trampoline_kernelINS0_14default_configENS1_25partition_config_selectorILNS1_17partition_subalgoE2EiNS0_10empty_typeEbEEZZNS1_14partition_implILS5_2ELb0ES3_jN6thrust23THRUST_200600_302600_NS6detail15normal_iteratorINSA_7pointerIiNSA_11hip_rocprim3tagENSA_11use_defaultESG_EEEEPS6_NSA_18transform_iteratorINSA_8identityIiEENSC_INSA_10device_ptrIiEEEESG_SG_EENS0_5tupleIJPiSJ_EEENSR_IJSJ_SJ_EEES6_PlJS6_EEE10hipError_tPvRmT3_T4_T5_T6_T7_T9_mT8_P12ihipStream_tbDpT10_ENKUlT_T0_E_clISt17integral_constantIbLb1EES1F_EEDaS1A_S1B_EUlS1A_E_NS1_11comp_targetILNS1_3genE0ELNS1_11target_archE4294967295ELNS1_3gpuE0ELNS1_3repE0EEENS1_30default_config_static_selectorELNS0_4arch9wavefront6targetE1EEEvT1_ ; -- Begin function _ZN7rocprim17ROCPRIM_400000_NS6detail17trampoline_kernelINS0_14default_configENS1_25partition_config_selectorILNS1_17partition_subalgoE2EiNS0_10empty_typeEbEEZZNS1_14partition_implILS5_2ELb0ES3_jN6thrust23THRUST_200600_302600_NS6detail15normal_iteratorINSA_7pointerIiNSA_11hip_rocprim3tagENSA_11use_defaultESG_EEEEPS6_NSA_18transform_iteratorINSA_8identityIiEENSC_INSA_10device_ptrIiEEEESG_SG_EENS0_5tupleIJPiSJ_EEENSR_IJSJ_SJ_EEES6_PlJS6_EEE10hipError_tPvRmT3_T4_T5_T6_T7_T9_mT8_P12ihipStream_tbDpT10_ENKUlT_T0_E_clISt17integral_constantIbLb1EES1F_EEDaS1A_S1B_EUlS1A_E_NS1_11comp_targetILNS1_3genE0ELNS1_11target_archE4294967295ELNS1_3gpuE0ELNS1_3repE0EEENS1_30default_config_static_selectorELNS0_4arch9wavefront6targetE1EEEvT1_
	.globl	_ZN7rocprim17ROCPRIM_400000_NS6detail17trampoline_kernelINS0_14default_configENS1_25partition_config_selectorILNS1_17partition_subalgoE2EiNS0_10empty_typeEbEEZZNS1_14partition_implILS5_2ELb0ES3_jN6thrust23THRUST_200600_302600_NS6detail15normal_iteratorINSA_7pointerIiNSA_11hip_rocprim3tagENSA_11use_defaultESG_EEEEPS6_NSA_18transform_iteratorINSA_8identityIiEENSC_INSA_10device_ptrIiEEEESG_SG_EENS0_5tupleIJPiSJ_EEENSR_IJSJ_SJ_EEES6_PlJS6_EEE10hipError_tPvRmT3_T4_T5_T6_T7_T9_mT8_P12ihipStream_tbDpT10_ENKUlT_T0_E_clISt17integral_constantIbLb1EES1F_EEDaS1A_S1B_EUlS1A_E_NS1_11comp_targetILNS1_3genE0ELNS1_11target_archE4294967295ELNS1_3gpuE0ELNS1_3repE0EEENS1_30default_config_static_selectorELNS0_4arch9wavefront6targetE1EEEvT1_
	.p2align	8
	.type	_ZN7rocprim17ROCPRIM_400000_NS6detail17trampoline_kernelINS0_14default_configENS1_25partition_config_selectorILNS1_17partition_subalgoE2EiNS0_10empty_typeEbEEZZNS1_14partition_implILS5_2ELb0ES3_jN6thrust23THRUST_200600_302600_NS6detail15normal_iteratorINSA_7pointerIiNSA_11hip_rocprim3tagENSA_11use_defaultESG_EEEEPS6_NSA_18transform_iteratorINSA_8identityIiEENSC_INSA_10device_ptrIiEEEESG_SG_EENS0_5tupleIJPiSJ_EEENSR_IJSJ_SJ_EEES6_PlJS6_EEE10hipError_tPvRmT3_T4_T5_T6_T7_T9_mT8_P12ihipStream_tbDpT10_ENKUlT_T0_E_clISt17integral_constantIbLb1EES1F_EEDaS1A_S1B_EUlS1A_E_NS1_11comp_targetILNS1_3genE0ELNS1_11target_archE4294967295ELNS1_3gpuE0ELNS1_3repE0EEENS1_30default_config_static_selectorELNS0_4arch9wavefront6targetE1EEEvT1_,@function
_ZN7rocprim17ROCPRIM_400000_NS6detail17trampoline_kernelINS0_14default_configENS1_25partition_config_selectorILNS1_17partition_subalgoE2EiNS0_10empty_typeEbEEZZNS1_14partition_implILS5_2ELb0ES3_jN6thrust23THRUST_200600_302600_NS6detail15normal_iteratorINSA_7pointerIiNSA_11hip_rocprim3tagENSA_11use_defaultESG_EEEEPS6_NSA_18transform_iteratorINSA_8identityIiEENSC_INSA_10device_ptrIiEEEESG_SG_EENS0_5tupleIJPiSJ_EEENSR_IJSJ_SJ_EEES6_PlJS6_EEE10hipError_tPvRmT3_T4_T5_T6_T7_T9_mT8_P12ihipStream_tbDpT10_ENKUlT_T0_E_clISt17integral_constantIbLb1EES1F_EEDaS1A_S1B_EUlS1A_E_NS1_11comp_targetILNS1_3genE0ELNS1_11target_archE4294967295ELNS1_3gpuE0ELNS1_3repE0EEENS1_30default_config_static_selectorELNS0_4arch9wavefront6targetE1EEEvT1_: ; @_ZN7rocprim17ROCPRIM_400000_NS6detail17trampoline_kernelINS0_14default_configENS1_25partition_config_selectorILNS1_17partition_subalgoE2EiNS0_10empty_typeEbEEZZNS1_14partition_implILS5_2ELb0ES3_jN6thrust23THRUST_200600_302600_NS6detail15normal_iteratorINSA_7pointerIiNSA_11hip_rocprim3tagENSA_11use_defaultESG_EEEEPS6_NSA_18transform_iteratorINSA_8identityIiEENSC_INSA_10device_ptrIiEEEESG_SG_EENS0_5tupleIJPiSJ_EEENSR_IJSJ_SJ_EEES6_PlJS6_EEE10hipError_tPvRmT3_T4_T5_T6_T7_T9_mT8_P12ihipStream_tbDpT10_ENKUlT_T0_E_clISt17integral_constantIbLb1EES1F_EEDaS1A_S1B_EUlS1A_E_NS1_11comp_targetILNS1_3genE0ELNS1_11target_archE4294967295ELNS1_3gpuE0ELNS1_3repE0EEENS1_30default_config_static_selectorELNS0_4arch9wavefront6targetE1EEEvT1_
; %bb.0:
	.section	.rodata,"a",@progbits
	.p2align	6, 0x0
	.amdhsa_kernel _ZN7rocprim17ROCPRIM_400000_NS6detail17trampoline_kernelINS0_14default_configENS1_25partition_config_selectorILNS1_17partition_subalgoE2EiNS0_10empty_typeEbEEZZNS1_14partition_implILS5_2ELb0ES3_jN6thrust23THRUST_200600_302600_NS6detail15normal_iteratorINSA_7pointerIiNSA_11hip_rocprim3tagENSA_11use_defaultESG_EEEEPS6_NSA_18transform_iteratorINSA_8identityIiEENSC_INSA_10device_ptrIiEEEESG_SG_EENS0_5tupleIJPiSJ_EEENSR_IJSJ_SJ_EEES6_PlJS6_EEE10hipError_tPvRmT3_T4_T5_T6_T7_T9_mT8_P12ihipStream_tbDpT10_ENKUlT_T0_E_clISt17integral_constantIbLb1EES1F_EEDaS1A_S1B_EUlS1A_E_NS1_11comp_targetILNS1_3genE0ELNS1_11target_archE4294967295ELNS1_3gpuE0ELNS1_3repE0EEENS1_30default_config_static_selectorELNS0_4arch9wavefront6targetE1EEEvT1_
		.amdhsa_group_segment_fixed_size 0
		.amdhsa_private_segment_fixed_size 0
		.amdhsa_kernarg_size 144
		.amdhsa_user_sgpr_count 6
		.amdhsa_user_sgpr_private_segment_buffer 1
		.amdhsa_user_sgpr_dispatch_ptr 0
		.amdhsa_user_sgpr_queue_ptr 0
		.amdhsa_user_sgpr_kernarg_segment_ptr 1
		.amdhsa_user_sgpr_dispatch_id 0
		.amdhsa_user_sgpr_flat_scratch_init 0
		.amdhsa_user_sgpr_kernarg_preload_length 0
		.amdhsa_user_sgpr_kernarg_preload_offset 0
		.amdhsa_user_sgpr_private_segment_size 0
		.amdhsa_uses_dynamic_stack 0
		.amdhsa_system_sgpr_private_segment_wavefront_offset 0
		.amdhsa_system_sgpr_workgroup_id_x 1
		.amdhsa_system_sgpr_workgroup_id_y 0
		.amdhsa_system_sgpr_workgroup_id_z 0
		.amdhsa_system_sgpr_workgroup_info 0
		.amdhsa_system_vgpr_workitem_id 0
		.amdhsa_next_free_vgpr 1
		.amdhsa_next_free_sgpr 0
		.amdhsa_accum_offset 4
		.amdhsa_reserve_vcc 0
		.amdhsa_reserve_flat_scratch 0
		.amdhsa_float_round_mode_32 0
		.amdhsa_float_round_mode_16_64 0
		.amdhsa_float_denorm_mode_32 3
		.amdhsa_float_denorm_mode_16_64 3
		.amdhsa_dx10_clamp 1
		.amdhsa_ieee_mode 1
		.amdhsa_fp16_overflow 0
		.amdhsa_tg_split 0
		.amdhsa_exception_fp_ieee_invalid_op 0
		.amdhsa_exception_fp_denorm_src 0
		.amdhsa_exception_fp_ieee_div_zero 0
		.amdhsa_exception_fp_ieee_overflow 0
		.amdhsa_exception_fp_ieee_underflow 0
		.amdhsa_exception_fp_ieee_inexact 0
		.amdhsa_exception_int_div_zero 0
	.end_amdhsa_kernel
	.section	.text._ZN7rocprim17ROCPRIM_400000_NS6detail17trampoline_kernelINS0_14default_configENS1_25partition_config_selectorILNS1_17partition_subalgoE2EiNS0_10empty_typeEbEEZZNS1_14partition_implILS5_2ELb0ES3_jN6thrust23THRUST_200600_302600_NS6detail15normal_iteratorINSA_7pointerIiNSA_11hip_rocprim3tagENSA_11use_defaultESG_EEEEPS6_NSA_18transform_iteratorINSA_8identityIiEENSC_INSA_10device_ptrIiEEEESG_SG_EENS0_5tupleIJPiSJ_EEENSR_IJSJ_SJ_EEES6_PlJS6_EEE10hipError_tPvRmT3_T4_T5_T6_T7_T9_mT8_P12ihipStream_tbDpT10_ENKUlT_T0_E_clISt17integral_constantIbLb1EES1F_EEDaS1A_S1B_EUlS1A_E_NS1_11comp_targetILNS1_3genE0ELNS1_11target_archE4294967295ELNS1_3gpuE0ELNS1_3repE0EEENS1_30default_config_static_selectorELNS0_4arch9wavefront6targetE1EEEvT1_,"axG",@progbits,_ZN7rocprim17ROCPRIM_400000_NS6detail17trampoline_kernelINS0_14default_configENS1_25partition_config_selectorILNS1_17partition_subalgoE2EiNS0_10empty_typeEbEEZZNS1_14partition_implILS5_2ELb0ES3_jN6thrust23THRUST_200600_302600_NS6detail15normal_iteratorINSA_7pointerIiNSA_11hip_rocprim3tagENSA_11use_defaultESG_EEEEPS6_NSA_18transform_iteratorINSA_8identityIiEENSC_INSA_10device_ptrIiEEEESG_SG_EENS0_5tupleIJPiSJ_EEENSR_IJSJ_SJ_EEES6_PlJS6_EEE10hipError_tPvRmT3_T4_T5_T6_T7_T9_mT8_P12ihipStream_tbDpT10_ENKUlT_T0_E_clISt17integral_constantIbLb1EES1F_EEDaS1A_S1B_EUlS1A_E_NS1_11comp_targetILNS1_3genE0ELNS1_11target_archE4294967295ELNS1_3gpuE0ELNS1_3repE0EEENS1_30default_config_static_selectorELNS0_4arch9wavefront6targetE1EEEvT1_,comdat
.Lfunc_end521:
	.size	_ZN7rocprim17ROCPRIM_400000_NS6detail17trampoline_kernelINS0_14default_configENS1_25partition_config_selectorILNS1_17partition_subalgoE2EiNS0_10empty_typeEbEEZZNS1_14partition_implILS5_2ELb0ES3_jN6thrust23THRUST_200600_302600_NS6detail15normal_iteratorINSA_7pointerIiNSA_11hip_rocprim3tagENSA_11use_defaultESG_EEEEPS6_NSA_18transform_iteratorINSA_8identityIiEENSC_INSA_10device_ptrIiEEEESG_SG_EENS0_5tupleIJPiSJ_EEENSR_IJSJ_SJ_EEES6_PlJS6_EEE10hipError_tPvRmT3_T4_T5_T6_T7_T9_mT8_P12ihipStream_tbDpT10_ENKUlT_T0_E_clISt17integral_constantIbLb1EES1F_EEDaS1A_S1B_EUlS1A_E_NS1_11comp_targetILNS1_3genE0ELNS1_11target_archE4294967295ELNS1_3gpuE0ELNS1_3repE0EEENS1_30default_config_static_selectorELNS0_4arch9wavefront6targetE1EEEvT1_, .Lfunc_end521-_ZN7rocprim17ROCPRIM_400000_NS6detail17trampoline_kernelINS0_14default_configENS1_25partition_config_selectorILNS1_17partition_subalgoE2EiNS0_10empty_typeEbEEZZNS1_14partition_implILS5_2ELb0ES3_jN6thrust23THRUST_200600_302600_NS6detail15normal_iteratorINSA_7pointerIiNSA_11hip_rocprim3tagENSA_11use_defaultESG_EEEEPS6_NSA_18transform_iteratorINSA_8identityIiEENSC_INSA_10device_ptrIiEEEESG_SG_EENS0_5tupleIJPiSJ_EEENSR_IJSJ_SJ_EEES6_PlJS6_EEE10hipError_tPvRmT3_T4_T5_T6_T7_T9_mT8_P12ihipStream_tbDpT10_ENKUlT_T0_E_clISt17integral_constantIbLb1EES1F_EEDaS1A_S1B_EUlS1A_E_NS1_11comp_targetILNS1_3genE0ELNS1_11target_archE4294967295ELNS1_3gpuE0ELNS1_3repE0EEENS1_30default_config_static_selectorELNS0_4arch9wavefront6targetE1EEEvT1_
                                        ; -- End function
	.section	.AMDGPU.csdata,"",@progbits
; Kernel info:
; codeLenInByte = 0
; NumSgprs: 4
; NumVgprs: 0
; NumAgprs: 0
; TotalNumVgprs: 0
; ScratchSize: 0
; MemoryBound: 0
; FloatMode: 240
; IeeeMode: 1
; LDSByteSize: 0 bytes/workgroup (compile time only)
; SGPRBlocks: 0
; VGPRBlocks: 0
; NumSGPRsForWavesPerEU: 4
; NumVGPRsForWavesPerEU: 1
; AccumOffset: 4
; Occupancy: 8
; WaveLimiterHint : 0
; COMPUTE_PGM_RSRC2:SCRATCH_EN: 0
; COMPUTE_PGM_RSRC2:USER_SGPR: 6
; COMPUTE_PGM_RSRC2:TRAP_HANDLER: 0
; COMPUTE_PGM_RSRC2:TGID_X_EN: 1
; COMPUTE_PGM_RSRC2:TGID_Y_EN: 0
; COMPUTE_PGM_RSRC2:TGID_Z_EN: 0
; COMPUTE_PGM_RSRC2:TIDIG_COMP_CNT: 0
; COMPUTE_PGM_RSRC3_GFX90A:ACCUM_OFFSET: 0
; COMPUTE_PGM_RSRC3_GFX90A:TG_SPLIT: 0
	.section	.text._ZN7rocprim17ROCPRIM_400000_NS6detail17trampoline_kernelINS0_14default_configENS1_25partition_config_selectorILNS1_17partition_subalgoE2EiNS0_10empty_typeEbEEZZNS1_14partition_implILS5_2ELb0ES3_jN6thrust23THRUST_200600_302600_NS6detail15normal_iteratorINSA_7pointerIiNSA_11hip_rocprim3tagENSA_11use_defaultESG_EEEEPS6_NSA_18transform_iteratorINSA_8identityIiEENSC_INSA_10device_ptrIiEEEESG_SG_EENS0_5tupleIJPiSJ_EEENSR_IJSJ_SJ_EEES6_PlJS6_EEE10hipError_tPvRmT3_T4_T5_T6_T7_T9_mT8_P12ihipStream_tbDpT10_ENKUlT_T0_E_clISt17integral_constantIbLb1EES1F_EEDaS1A_S1B_EUlS1A_E_NS1_11comp_targetILNS1_3genE5ELNS1_11target_archE942ELNS1_3gpuE9ELNS1_3repE0EEENS1_30default_config_static_selectorELNS0_4arch9wavefront6targetE1EEEvT1_,"axG",@progbits,_ZN7rocprim17ROCPRIM_400000_NS6detail17trampoline_kernelINS0_14default_configENS1_25partition_config_selectorILNS1_17partition_subalgoE2EiNS0_10empty_typeEbEEZZNS1_14partition_implILS5_2ELb0ES3_jN6thrust23THRUST_200600_302600_NS6detail15normal_iteratorINSA_7pointerIiNSA_11hip_rocprim3tagENSA_11use_defaultESG_EEEEPS6_NSA_18transform_iteratorINSA_8identityIiEENSC_INSA_10device_ptrIiEEEESG_SG_EENS0_5tupleIJPiSJ_EEENSR_IJSJ_SJ_EEES6_PlJS6_EEE10hipError_tPvRmT3_T4_T5_T6_T7_T9_mT8_P12ihipStream_tbDpT10_ENKUlT_T0_E_clISt17integral_constantIbLb1EES1F_EEDaS1A_S1B_EUlS1A_E_NS1_11comp_targetILNS1_3genE5ELNS1_11target_archE942ELNS1_3gpuE9ELNS1_3repE0EEENS1_30default_config_static_selectorELNS0_4arch9wavefront6targetE1EEEvT1_,comdat
	.protected	_ZN7rocprim17ROCPRIM_400000_NS6detail17trampoline_kernelINS0_14default_configENS1_25partition_config_selectorILNS1_17partition_subalgoE2EiNS0_10empty_typeEbEEZZNS1_14partition_implILS5_2ELb0ES3_jN6thrust23THRUST_200600_302600_NS6detail15normal_iteratorINSA_7pointerIiNSA_11hip_rocprim3tagENSA_11use_defaultESG_EEEEPS6_NSA_18transform_iteratorINSA_8identityIiEENSC_INSA_10device_ptrIiEEEESG_SG_EENS0_5tupleIJPiSJ_EEENSR_IJSJ_SJ_EEES6_PlJS6_EEE10hipError_tPvRmT3_T4_T5_T6_T7_T9_mT8_P12ihipStream_tbDpT10_ENKUlT_T0_E_clISt17integral_constantIbLb1EES1F_EEDaS1A_S1B_EUlS1A_E_NS1_11comp_targetILNS1_3genE5ELNS1_11target_archE942ELNS1_3gpuE9ELNS1_3repE0EEENS1_30default_config_static_selectorELNS0_4arch9wavefront6targetE1EEEvT1_ ; -- Begin function _ZN7rocprim17ROCPRIM_400000_NS6detail17trampoline_kernelINS0_14default_configENS1_25partition_config_selectorILNS1_17partition_subalgoE2EiNS0_10empty_typeEbEEZZNS1_14partition_implILS5_2ELb0ES3_jN6thrust23THRUST_200600_302600_NS6detail15normal_iteratorINSA_7pointerIiNSA_11hip_rocprim3tagENSA_11use_defaultESG_EEEEPS6_NSA_18transform_iteratorINSA_8identityIiEENSC_INSA_10device_ptrIiEEEESG_SG_EENS0_5tupleIJPiSJ_EEENSR_IJSJ_SJ_EEES6_PlJS6_EEE10hipError_tPvRmT3_T4_T5_T6_T7_T9_mT8_P12ihipStream_tbDpT10_ENKUlT_T0_E_clISt17integral_constantIbLb1EES1F_EEDaS1A_S1B_EUlS1A_E_NS1_11comp_targetILNS1_3genE5ELNS1_11target_archE942ELNS1_3gpuE9ELNS1_3repE0EEENS1_30default_config_static_selectorELNS0_4arch9wavefront6targetE1EEEvT1_
	.globl	_ZN7rocprim17ROCPRIM_400000_NS6detail17trampoline_kernelINS0_14default_configENS1_25partition_config_selectorILNS1_17partition_subalgoE2EiNS0_10empty_typeEbEEZZNS1_14partition_implILS5_2ELb0ES3_jN6thrust23THRUST_200600_302600_NS6detail15normal_iteratorINSA_7pointerIiNSA_11hip_rocprim3tagENSA_11use_defaultESG_EEEEPS6_NSA_18transform_iteratorINSA_8identityIiEENSC_INSA_10device_ptrIiEEEESG_SG_EENS0_5tupleIJPiSJ_EEENSR_IJSJ_SJ_EEES6_PlJS6_EEE10hipError_tPvRmT3_T4_T5_T6_T7_T9_mT8_P12ihipStream_tbDpT10_ENKUlT_T0_E_clISt17integral_constantIbLb1EES1F_EEDaS1A_S1B_EUlS1A_E_NS1_11comp_targetILNS1_3genE5ELNS1_11target_archE942ELNS1_3gpuE9ELNS1_3repE0EEENS1_30default_config_static_selectorELNS0_4arch9wavefront6targetE1EEEvT1_
	.p2align	8
	.type	_ZN7rocprim17ROCPRIM_400000_NS6detail17trampoline_kernelINS0_14default_configENS1_25partition_config_selectorILNS1_17partition_subalgoE2EiNS0_10empty_typeEbEEZZNS1_14partition_implILS5_2ELb0ES3_jN6thrust23THRUST_200600_302600_NS6detail15normal_iteratorINSA_7pointerIiNSA_11hip_rocprim3tagENSA_11use_defaultESG_EEEEPS6_NSA_18transform_iteratorINSA_8identityIiEENSC_INSA_10device_ptrIiEEEESG_SG_EENS0_5tupleIJPiSJ_EEENSR_IJSJ_SJ_EEES6_PlJS6_EEE10hipError_tPvRmT3_T4_T5_T6_T7_T9_mT8_P12ihipStream_tbDpT10_ENKUlT_T0_E_clISt17integral_constantIbLb1EES1F_EEDaS1A_S1B_EUlS1A_E_NS1_11comp_targetILNS1_3genE5ELNS1_11target_archE942ELNS1_3gpuE9ELNS1_3repE0EEENS1_30default_config_static_selectorELNS0_4arch9wavefront6targetE1EEEvT1_,@function
_ZN7rocprim17ROCPRIM_400000_NS6detail17trampoline_kernelINS0_14default_configENS1_25partition_config_selectorILNS1_17partition_subalgoE2EiNS0_10empty_typeEbEEZZNS1_14partition_implILS5_2ELb0ES3_jN6thrust23THRUST_200600_302600_NS6detail15normal_iteratorINSA_7pointerIiNSA_11hip_rocprim3tagENSA_11use_defaultESG_EEEEPS6_NSA_18transform_iteratorINSA_8identityIiEENSC_INSA_10device_ptrIiEEEESG_SG_EENS0_5tupleIJPiSJ_EEENSR_IJSJ_SJ_EEES6_PlJS6_EEE10hipError_tPvRmT3_T4_T5_T6_T7_T9_mT8_P12ihipStream_tbDpT10_ENKUlT_T0_E_clISt17integral_constantIbLb1EES1F_EEDaS1A_S1B_EUlS1A_E_NS1_11comp_targetILNS1_3genE5ELNS1_11target_archE942ELNS1_3gpuE9ELNS1_3repE0EEENS1_30default_config_static_selectorELNS0_4arch9wavefront6targetE1EEEvT1_: ; @_ZN7rocprim17ROCPRIM_400000_NS6detail17trampoline_kernelINS0_14default_configENS1_25partition_config_selectorILNS1_17partition_subalgoE2EiNS0_10empty_typeEbEEZZNS1_14partition_implILS5_2ELb0ES3_jN6thrust23THRUST_200600_302600_NS6detail15normal_iteratorINSA_7pointerIiNSA_11hip_rocprim3tagENSA_11use_defaultESG_EEEEPS6_NSA_18transform_iteratorINSA_8identityIiEENSC_INSA_10device_ptrIiEEEESG_SG_EENS0_5tupleIJPiSJ_EEENSR_IJSJ_SJ_EEES6_PlJS6_EEE10hipError_tPvRmT3_T4_T5_T6_T7_T9_mT8_P12ihipStream_tbDpT10_ENKUlT_T0_E_clISt17integral_constantIbLb1EES1F_EEDaS1A_S1B_EUlS1A_E_NS1_11comp_targetILNS1_3genE5ELNS1_11target_archE942ELNS1_3gpuE9ELNS1_3repE0EEENS1_30default_config_static_selectorELNS0_4arch9wavefront6targetE1EEEvT1_
; %bb.0:
	.section	.rodata,"a",@progbits
	.p2align	6, 0x0
	.amdhsa_kernel _ZN7rocprim17ROCPRIM_400000_NS6detail17trampoline_kernelINS0_14default_configENS1_25partition_config_selectorILNS1_17partition_subalgoE2EiNS0_10empty_typeEbEEZZNS1_14partition_implILS5_2ELb0ES3_jN6thrust23THRUST_200600_302600_NS6detail15normal_iteratorINSA_7pointerIiNSA_11hip_rocprim3tagENSA_11use_defaultESG_EEEEPS6_NSA_18transform_iteratorINSA_8identityIiEENSC_INSA_10device_ptrIiEEEESG_SG_EENS0_5tupleIJPiSJ_EEENSR_IJSJ_SJ_EEES6_PlJS6_EEE10hipError_tPvRmT3_T4_T5_T6_T7_T9_mT8_P12ihipStream_tbDpT10_ENKUlT_T0_E_clISt17integral_constantIbLb1EES1F_EEDaS1A_S1B_EUlS1A_E_NS1_11comp_targetILNS1_3genE5ELNS1_11target_archE942ELNS1_3gpuE9ELNS1_3repE0EEENS1_30default_config_static_selectorELNS0_4arch9wavefront6targetE1EEEvT1_
		.amdhsa_group_segment_fixed_size 0
		.amdhsa_private_segment_fixed_size 0
		.amdhsa_kernarg_size 144
		.amdhsa_user_sgpr_count 6
		.amdhsa_user_sgpr_private_segment_buffer 1
		.amdhsa_user_sgpr_dispatch_ptr 0
		.amdhsa_user_sgpr_queue_ptr 0
		.amdhsa_user_sgpr_kernarg_segment_ptr 1
		.amdhsa_user_sgpr_dispatch_id 0
		.amdhsa_user_sgpr_flat_scratch_init 0
		.amdhsa_user_sgpr_kernarg_preload_length 0
		.amdhsa_user_sgpr_kernarg_preload_offset 0
		.amdhsa_user_sgpr_private_segment_size 0
		.amdhsa_uses_dynamic_stack 0
		.amdhsa_system_sgpr_private_segment_wavefront_offset 0
		.amdhsa_system_sgpr_workgroup_id_x 1
		.amdhsa_system_sgpr_workgroup_id_y 0
		.amdhsa_system_sgpr_workgroup_id_z 0
		.amdhsa_system_sgpr_workgroup_info 0
		.amdhsa_system_vgpr_workitem_id 0
		.amdhsa_next_free_vgpr 1
		.amdhsa_next_free_sgpr 0
		.amdhsa_accum_offset 4
		.amdhsa_reserve_vcc 0
		.amdhsa_reserve_flat_scratch 0
		.amdhsa_float_round_mode_32 0
		.amdhsa_float_round_mode_16_64 0
		.amdhsa_float_denorm_mode_32 3
		.amdhsa_float_denorm_mode_16_64 3
		.amdhsa_dx10_clamp 1
		.amdhsa_ieee_mode 1
		.amdhsa_fp16_overflow 0
		.amdhsa_tg_split 0
		.amdhsa_exception_fp_ieee_invalid_op 0
		.amdhsa_exception_fp_denorm_src 0
		.amdhsa_exception_fp_ieee_div_zero 0
		.amdhsa_exception_fp_ieee_overflow 0
		.amdhsa_exception_fp_ieee_underflow 0
		.amdhsa_exception_fp_ieee_inexact 0
		.amdhsa_exception_int_div_zero 0
	.end_amdhsa_kernel
	.section	.text._ZN7rocprim17ROCPRIM_400000_NS6detail17trampoline_kernelINS0_14default_configENS1_25partition_config_selectorILNS1_17partition_subalgoE2EiNS0_10empty_typeEbEEZZNS1_14partition_implILS5_2ELb0ES3_jN6thrust23THRUST_200600_302600_NS6detail15normal_iteratorINSA_7pointerIiNSA_11hip_rocprim3tagENSA_11use_defaultESG_EEEEPS6_NSA_18transform_iteratorINSA_8identityIiEENSC_INSA_10device_ptrIiEEEESG_SG_EENS0_5tupleIJPiSJ_EEENSR_IJSJ_SJ_EEES6_PlJS6_EEE10hipError_tPvRmT3_T4_T5_T6_T7_T9_mT8_P12ihipStream_tbDpT10_ENKUlT_T0_E_clISt17integral_constantIbLb1EES1F_EEDaS1A_S1B_EUlS1A_E_NS1_11comp_targetILNS1_3genE5ELNS1_11target_archE942ELNS1_3gpuE9ELNS1_3repE0EEENS1_30default_config_static_selectorELNS0_4arch9wavefront6targetE1EEEvT1_,"axG",@progbits,_ZN7rocprim17ROCPRIM_400000_NS6detail17trampoline_kernelINS0_14default_configENS1_25partition_config_selectorILNS1_17partition_subalgoE2EiNS0_10empty_typeEbEEZZNS1_14partition_implILS5_2ELb0ES3_jN6thrust23THRUST_200600_302600_NS6detail15normal_iteratorINSA_7pointerIiNSA_11hip_rocprim3tagENSA_11use_defaultESG_EEEEPS6_NSA_18transform_iteratorINSA_8identityIiEENSC_INSA_10device_ptrIiEEEESG_SG_EENS0_5tupleIJPiSJ_EEENSR_IJSJ_SJ_EEES6_PlJS6_EEE10hipError_tPvRmT3_T4_T5_T6_T7_T9_mT8_P12ihipStream_tbDpT10_ENKUlT_T0_E_clISt17integral_constantIbLb1EES1F_EEDaS1A_S1B_EUlS1A_E_NS1_11comp_targetILNS1_3genE5ELNS1_11target_archE942ELNS1_3gpuE9ELNS1_3repE0EEENS1_30default_config_static_selectorELNS0_4arch9wavefront6targetE1EEEvT1_,comdat
.Lfunc_end522:
	.size	_ZN7rocprim17ROCPRIM_400000_NS6detail17trampoline_kernelINS0_14default_configENS1_25partition_config_selectorILNS1_17partition_subalgoE2EiNS0_10empty_typeEbEEZZNS1_14partition_implILS5_2ELb0ES3_jN6thrust23THRUST_200600_302600_NS6detail15normal_iteratorINSA_7pointerIiNSA_11hip_rocprim3tagENSA_11use_defaultESG_EEEEPS6_NSA_18transform_iteratorINSA_8identityIiEENSC_INSA_10device_ptrIiEEEESG_SG_EENS0_5tupleIJPiSJ_EEENSR_IJSJ_SJ_EEES6_PlJS6_EEE10hipError_tPvRmT3_T4_T5_T6_T7_T9_mT8_P12ihipStream_tbDpT10_ENKUlT_T0_E_clISt17integral_constantIbLb1EES1F_EEDaS1A_S1B_EUlS1A_E_NS1_11comp_targetILNS1_3genE5ELNS1_11target_archE942ELNS1_3gpuE9ELNS1_3repE0EEENS1_30default_config_static_selectorELNS0_4arch9wavefront6targetE1EEEvT1_, .Lfunc_end522-_ZN7rocprim17ROCPRIM_400000_NS6detail17trampoline_kernelINS0_14default_configENS1_25partition_config_selectorILNS1_17partition_subalgoE2EiNS0_10empty_typeEbEEZZNS1_14partition_implILS5_2ELb0ES3_jN6thrust23THRUST_200600_302600_NS6detail15normal_iteratorINSA_7pointerIiNSA_11hip_rocprim3tagENSA_11use_defaultESG_EEEEPS6_NSA_18transform_iteratorINSA_8identityIiEENSC_INSA_10device_ptrIiEEEESG_SG_EENS0_5tupleIJPiSJ_EEENSR_IJSJ_SJ_EEES6_PlJS6_EEE10hipError_tPvRmT3_T4_T5_T6_T7_T9_mT8_P12ihipStream_tbDpT10_ENKUlT_T0_E_clISt17integral_constantIbLb1EES1F_EEDaS1A_S1B_EUlS1A_E_NS1_11comp_targetILNS1_3genE5ELNS1_11target_archE942ELNS1_3gpuE9ELNS1_3repE0EEENS1_30default_config_static_selectorELNS0_4arch9wavefront6targetE1EEEvT1_
                                        ; -- End function
	.section	.AMDGPU.csdata,"",@progbits
; Kernel info:
; codeLenInByte = 0
; NumSgprs: 4
; NumVgprs: 0
; NumAgprs: 0
; TotalNumVgprs: 0
; ScratchSize: 0
; MemoryBound: 0
; FloatMode: 240
; IeeeMode: 1
; LDSByteSize: 0 bytes/workgroup (compile time only)
; SGPRBlocks: 0
; VGPRBlocks: 0
; NumSGPRsForWavesPerEU: 4
; NumVGPRsForWavesPerEU: 1
; AccumOffset: 4
; Occupancy: 8
; WaveLimiterHint : 0
; COMPUTE_PGM_RSRC2:SCRATCH_EN: 0
; COMPUTE_PGM_RSRC2:USER_SGPR: 6
; COMPUTE_PGM_RSRC2:TRAP_HANDLER: 0
; COMPUTE_PGM_RSRC2:TGID_X_EN: 1
; COMPUTE_PGM_RSRC2:TGID_Y_EN: 0
; COMPUTE_PGM_RSRC2:TGID_Z_EN: 0
; COMPUTE_PGM_RSRC2:TIDIG_COMP_CNT: 0
; COMPUTE_PGM_RSRC3_GFX90A:ACCUM_OFFSET: 0
; COMPUTE_PGM_RSRC3_GFX90A:TG_SPLIT: 0
	.section	.text._ZN7rocprim17ROCPRIM_400000_NS6detail17trampoline_kernelINS0_14default_configENS1_25partition_config_selectorILNS1_17partition_subalgoE2EiNS0_10empty_typeEbEEZZNS1_14partition_implILS5_2ELb0ES3_jN6thrust23THRUST_200600_302600_NS6detail15normal_iteratorINSA_7pointerIiNSA_11hip_rocprim3tagENSA_11use_defaultESG_EEEEPS6_NSA_18transform_iteratorINSA_8identityIiEENSC_INSA_10device_ptrIiEEEESG_SG_EENS0_5tupleIJPiSJ_EEENSR_IJSJ_SJ_EEES6_PlJS6_EEE10hipError_tPvRmT3_T4_T5_T6_T7_T9_mT8_P12ihipStream_tbDpT10_ENKUlT_T0_E_clISt17integral_constantIbLb1EES1F_EEDaS1A_S1B_EUlS1A_E_NS1_11comp_targetILNS1_3genE4ELNS1_11target_archE910ELNS1_3gpuE8ELNS1_3repE0EEENS1_30default_config_static_selectorELNS0_4arch9wavefront6targetE1EEEvT1_,"axG",@progbits,_ZN7rocprim17ROCPRIM_400000_NS6detail17trampoline_kernelINS0_14default_configENS1_25partition_config_selectorILNS1_17partition_subalgoE2EiNS0_10empty_typeEbEEZZNS1_14partition_implILS5_2ELb0ES3_jN6thrust23THRUST_200600_302600_NS6detail15normal_iteratorINSA_7pointerIiNSA_11hip_rocprim3tagENSA_11use_defaultESG_EEEEPS6_NSA_18transform_iteratorINSA_8identityIiEENSC_INSA_10device_ptrIiEEEESG_SG_EENS0_5tupleIJPiSJ_EEENSR_IJSJ_SJ_EEES6_PlJS6_EEE10hipError_tPvRmT3_T4_T5_T6_T7_T9_mT8_P12ihipStream_tbDpT10_ENKUlT_T0_E_clISt17integral_constantIbLb1EES1F_EEDaS1A_S1B_EUlS1A_E_NS1_11comp_targetILNS1_3genE4ELNS1_11target_archE910ELNS1_3gpuE8ELNS1_3repE0EEENS1_30default_config_static_selectorELNS0_4arch9wavefront6targetE1EEEvT1_,comdat
	.protected	_ZN7rocprim17ROCPRIM_400000_NS6detail17trampoline_kernelINS0_14default_configENS1_25partition_config_selectorILNS1_17partition_subalgoE2EiNS0_10empty_typeEbEEZZNS1_14partition_implILS5_2ELb0ES3_jN6thrust23THRUST_200600_302600_NS6detail15normal_iteratorINSA_7pointerIiNSA_11hip_rocprim3tagENSA_11use_defaultESG_EEEEPS6_NSA_18transform_iteratorINSA_8identityIiEENSC_INSA_10device_ptrIiEEEESG_SG_EENS0_5tupleIJPiSJ_EEENSR_IJSJ_SJ_EEES6_PlJS6_EEE10hipError_tPvRmT3_T4_T5_T6_T7_T9_mT8_P12ihipStream_tbDpT10_ENKUlT_T0_E_clISt17integral_constantIbLb1EES1F_EEDaS1A_S1B_EUlS1A_E_NS1_11comp_targetILNS1_3genE4ELNS1_11target_archE910ELNS1_3gpuE8ELNS1_3repE0EEENS1_30default_config_static_selectorELNS0_4arch9wavefront6targetE1EEEvT1_ ; -- Begin function _ZN7rocprim17ROCPRIM_400000_NS6detail17trampoline_kernelINS0_14default_configENS1_25partition_config_selectorILNS1_17partition_subalgoE2EiNS0_10empty_typeEbEEZZNS1_14partition_implILS5_2ELb0ES3_jN6thrust23THRUST_200600_302600_NS6detail15normal_iteratorINSA_7pointerIiNSA_11hip_rocprim3tagENSA_11use_defaultESG_EEEEPS6_NSA_18transform_iteratorINSA_8identityIiEENSC_INSA_10device_ptrIiEEEESG_SG_EENS0_5tupleIJPiSJ_EEENSR_IJSJ_SJ_EEES6_PlJS6_EEE10hipError_tPvRmT3_T4_T5_T6_T7_T9_mT8_P12ihipStream_tbDpT10_ENKUlT_T0_E_clISt17integral_constantIbLb1EES1F_EEDaS1A_S1B_EUlS1A_E_NS1_11comp_targetILNS1_3genE4ELNS1_11target_archE910ELNS1_3gpuE8ELNS1_3repE0EEENS1_30default_config_static_selectorELNS0_4arch9wavefront6targetE1EEEvT1_
	.globl	_ZN7rocprim17ROCPRIM_400000_NS6detail17trampoline_kernelINS0_14default_configENS1_25partition_config_selectorILNS1_17partition_subalgoE2EiNS0_10empty_typeEbEEZZNS1_14partition_implILS5_2ELb0ES3_jN6thrust23THRUST_200600_302600_NS6detail15normal_iteratorINSA_7pointerIiNSA_11hip_rocprim3tagENSA_11use_defaultESG_EEEEPS6_NSA_18transform_iteratorINSA_8identityIiEENSC_INSA_10device_ptrIiEEEESG_SG_EENS0_5tupleIJPiSJ_EEENSR_IJSJ_SJ_EEES6_PlJS6_EEE10hipError_tPvRmT3_T4_T5_T6_T7_T9_mT8_P12ihipStream_tbDpT10_ENKUlT_T0_E_clISt17integral_constantIbLb1EES1F_EEDaS1A_S1B_EUlS1A_E_NS1_11comp_targetILNS1_3genE4ELNS1_11target_archE910ELNS1_3gpuE8ELNS1_3repE0EEENS1_30default_config_static_selectorELNS0_4arch9wavefront6targetE1EEEvT1_
	.p2align	8
	.type	_ZN7rocprim17ROCPRIM_400000_NS6detail17trampoline_kernelINS0_14default_configENS1_25partition_config_selectorILNS1_17partition_subalgoE2EiNS0_10empty_typeEbEEZZNS1_14partition_implILS5_2ELb0ES3_jN6thrust23THRUST_200600_302600_NS6detail15normal_iteratorINSA_7pointerIiNSA_11hip_rocprim3tagENSA_11use_defaultESG_EEEEPS6_NSA_18transform_iteratorINSA_8identityIiEENSC_INSA_10device_ptrIiEEEESG_SG_EENS0_5tupleIJPiSJ_EEENSR_IJSJ_SJ_EEES6_PlJS6_EEE10hipError_tPvRmT3_T4_T5_T6_T7_T9_mT8_P12ihipStream_tbDpT10_ENKUlT_T0_E_clISt17integral_constantIbLb1EES1F_EEDaS1A_S1B_EUlS1A_E_NS1_11comp_targetILNS1_3genE4ELNS1_11target_archE910ELNS1_3gpuE8ELNS1_3repE0EEENS1_30default_config_static_selectorELNS0_4arch9wavefront6targetE1EEEvT1_,@function
_ZN7rocprim17ROCPRIM_400000_NS6detail17trampoline_kernelINS0_14default_configENS1_25partition_config_selectorILNS1_17partition_subalgoE2EiNS0_10empty_typeEbEEZZNS1_14partition_implILS5_2ELb0ES3_jN6thrust23THRUST_200600_302600_NS6detail15normal_iteratorINSA_7pointerIiNSA_11hip_rocprim3tagENSA_11use_defaultESG_EEEEPS6_NSA_18transform_iteratorINSA_8identityIiEENSC_INSA_10device_ptrIiEEEESG_SG_EENS0_5tupleIJPiSJ_EEENSR_IJSJ_SJ_EEES6_PlJS6_EEE10hipError_tPvRmT3_T4_T5_T6_T7_T9_mT8_P12ihipStream_tbDpT10_ENKUlT_T0_E_clISt17integral_constantIbLb1EES1F_EEDaS1A_S1B_EUlS1A_E_NS1_11comp_targetILNS1_3genE4ELNS1_11target_archE910ELNS1_3gpuE8ELNS1_3repE0EEENS1_30default_config_static_selectorELNS0_4arch9wavefront6targetE1EEEvT1_: ; @_ZN7rocprim17ROCPRIM_400000_NS6detail17trampoline_kernelINS0_14default_configENS1_25partition_config_selectorILNS1_17partition_subalgoE2EiNS0_10empty_typeEbEEZZNS1_14partition_implILS5_2ELb0ES3_jN6thrust23THRUST_200600_302600_NS6detail15normal_iteratorINSA_7pointerIiNSA_11hip_rocprim3tagENSA_11use_defaultESG_EEEEPS6_NSA_18transform_iteratorINSA_8identityIiEENSC_INSA_10device_ptrIiEEEESG_SG_EENS0_5tupleIJPiSJ_EEENSR_IJSJ_SJ_EEES6_PlJS6_EEE10hipError_tPvRmT3_T4_T5_T6_T7_T9_mT8_P12ihipStream_tbDpT10_ENKUlT_T0_E_clISt17integral_constantIbLb1EES1F_EEDaS1A_S1B_EUlS1A_E_NS1_11comp_targetILNS1_3genE4ELNS1_11target_archE910ELNS1_3gpuE8ELNS1_3repE0EEENS1_30default_config_static_selectorELNS0_4arch9wavefront6targetE1EEEvT1_
; %bb.0:
	s_load_dwordx2 s[6:7], s[4:5], 0x20
	s_load_dwordx2 s[24:25], s[4:5], 0x30
	;; [unrolled: 1-line block ×3, first 2 shown]
	s_load_dwordx4 s[20:23], s[4:5], 0x50
	s_load_dwordx2 s[34:35], s[4:5], 0x70
	v_cmp_eq_u32_e64 s[0:1], 0, v0
	s_and_saveexec_b64 s[2:3], s[0:1]
	s_cbranch_execz .LBB523_4
; %bb.1:
	s_mov_b64 s[10:11], exec
	v_mbcnt_lo_u32_b32 v1, s10, 0
	v_mbcnt_hi_u32_b32 v1, s11, v1
	v_cmp_eq_u32_e32 vcc, 0, v1
                                        ; implicit-def: $vgpr2
	s_and_saveexec_b64 s[8:9], vcc
	s_cbranch_execz .LBB523_3
; %bb.2:
	s_load_dwordx2 s[12:13], s[4:5], 0x80
	s_bcnt1_i32_b64 s10, s[10:11]
	v_mov_b32_e32 v2, 0
	v_mov_b32_e32 v3, s10
	s_waitcnt lgkmcnt(0)
	global_atomic_add v2, v2, v3, s[12:13] glc
.LBB523_3:
	s_or_b64 exec, exec, s[8:9]
	s_waitcnt vmcnt(0)
	v_readfirstlane_b32 s8, v2
	v_add_u32_e32 v1, s8, v1
	v_mov_b32_e32 v2, 0
	ds_write_b32 v2, v1
.LBB523_4:
	s_or_b64 exec, exec, s[2:3]
	v_mov_b32_e32 v1, 0
	s_load_dwordx4 s[16:19], s[4:5], 0x8
	s_load_dword s2, s[4:5], 0x78
	s_waitcnt lgkmcnt(0)
	s_barrier
	ds_read_b32 v2, v1
	s_waitcnt lgkmcnt(0)
	s_barrier
	global_load_dwordx2 v[12:13], v1, s[22:23]
	s_lshl_b64 s[4:5], s[18:19], 2
	s_add_u32 s10, s16, s4
	s_addc_u32 s11, s17, s5
	s_add_i32 s8, s2, -1
	s_mulk_i32 s2, 0xa00
	s_add_i32 s3, s2, s18
	s_sub_i32 s33, s26, s3
	s_addk_i32 s33, 0xa00
	s_add_u32 s2, s18, s2
	v_readfirstlane_b32 s42, v2
	s_addc_u32 s3, s19, 0
	s_cmp_eq_u32 s42, s8
	v_pk_mov_b32 v[2:3], s[26:27], s[26:27] op_sel:[0,1]
	s_cselect_b64 s[22:23], -1, 0
	s_cmp_lg_u32 s42, s8
	s_mul_i32 s28, s42, 0xa00
	s_mov_b32 s29, 0
	v_cmp_lt_u64_e32 vcc, s[2:3], v[2:3]
	s_cselect_b64 s[2:3], -1, 0
	s_or_b64 s[30:31], vcc, s[2:3]
	s_lshl_b64 s[8:9], s[28:29], 2
	s_add_u32 s12, s10, s8
	s_addc_u32 s13, s11, s9
	s_mov_b64 s[2:3], -1
	s_and_b64 vcc, exec, s[30:31]
	v_lshlrev_b32_e32 v1, 2, v0
	s_cbranch_vccz .LBB523_6
; %bb.5:
	v_mov_b32_e32 v3, s13
	v_add_co_u32_e32 v2, vcc, s12, v1
	v_addc_co_u32_e32 v3, vcc, 0, v3, vcc
	v_add_co_u32_e32 v4, vcc, 0x1000, v2
	v_addc_co_u32_e32 v5, vcc, 0, v3, vcc
	flat_load_dword v6, v[2:3]
	flat_load_dword v7, v[2:3] offset:1024
	flat_load_dword v8, v[2:3] offset:2048
	;; [unrolled: 1-line block ×3, first 2 shown]
	flat_load_dword v10, v[4:5]
	flat_load_dword v11, v[4:5] offset:1024
	flat_load_dword v14, v[4:5] offset:2048
	;; [unrolled: 1-line block ×3, first 2 shown]
	v_add_co_u32_e32 v2, vcc, 0x2000, v2
	v_addc_co_u32_e32 v3, vcc, 0, v3, vcc
	flat_load_dword v4, v[2:3]
	flat_load_dword v5, v[2:3] offset:1024
	s_mov_b64 s[2:3], 0
	s_waitcnt vmcnt(0) lgkmcnt(0)
	ds_write2st64_b32 v1, v6, v7 offset1:4
	ds_write2st64_b32 v1, v8, v9 offset0:8 offset1:12
	ds_write2st64_b32 v1, v10, v11 offset0:16 offset1:20
	;; [unrolled: 1-line block ×4, first 2 shown]
	s_waitcnt lgkmcnt(0)
	s_barrier
.LBB523_6:
	s_andn2_b64 vcc, exec, s[2:3]
	v_cmp_gt_u32_e64 s[2:3], s33, v0
	s_cbranch_vccnz .LBB523_28
; %bb.7:
                                        ; implicit-def: $vgpr2_vgpr3_vgpr4_vgpr5_vgpr6_vgpr7_vgpr8_vgpr9_vgpr10_vgpr11
	s_and_saveexec_b64 s[10:11], s[2:3]
	s_cbranch_execz .LBB523_9
; %bb.8:
	v_mov_b32_e32 v3, s13
	v_add_co_u32_e32 v2, vcc, s12, v1
	v_addc_co_u32_e32 v3, vcc, 0, v3, vcc
	flat_load_dword v2, v[2:3]
.LBB523_9:
	s_or_b64 exec, exec, s[10:11]
	v_or_b32_e32 v14, 0x100, v0
	v_cmp_gt_u32_e32 vcc, s33, v14
	s_and_saveexec_b64 s[2:3], vcc
	s_cbranch_execz .LBB523_11
; %bb.10:
	v_mov_b32_e32 v3, s13
	v_add_co_u32_e32 v14, vcc, s12, v1
	v_addc_co_u32_e32 v15, vcc, 0, v3, vcc
	flat_load_dword v3, v[14:15] offset:1024
.LBB523_11:
	s_or_b64 exec, exec, s[2:3]
	v_or_b32_e32 v14, 0x200, v0
	v_cmp_gt_u32_e32 vcc, s33, v14
	s_and_saveexec_b64 s[2:3], vcc
	s_cbranch_execz .LBB523_13
; %bb.12:
	v_mov_b32_e32 v4, s13
	v_add_co_u32_e32 v14, vcc, s12, v1
	v_addc_co_u32_e32 v15, vcc, 0, v4, vcc
	flat_load_dword v4, v[14:15] offset:2048
.LBB523_13:
	;; [unrolled: 11-line block ×3, first 2 shown]
	s_or_b64 exec, exec, s[2:3]
	v_or_b32_e32 v14, 0x400, v0
	v_cmp_gt_u32_e32 vcc, s33, v14
	s_and_saveexec_b64 s[2:3], vcc
	s_cbranch_execz .LBB523_17
; %bb.16:
	v_lshlrev_b32_e32 v6, 2, v14
	v_mov_b32_e32 v15, s13
	v_add_co_u32_e32 v14, vcc, s12, v6
	v_addc_co_u32_e32 v15, vcc, 0, v15, vcc
	flat_load_dword v6, v[14:15]
.LBB523_17:
	s_or_b64 exec, exec, s[2:3]
	v_or_b32_e32 v14, 0x500, v0
	v_cmp_gt_u32_e32 vcc, s33, v14
	s_and_saveexec_b64 s[2:3], vcc
	s_cbranch_execz .LBB523_19
; %bb.18:
	v_lshlrev_b32_e32 v7, 2, v14
	v_mov_b32_e32 v15, s13
	v_add_co_u32_e32 v14, vcc, s12, v7
	v_addc_co_u32_e32 v15, vcc, 0, v15, vcc
	flat_load_dword v7, v[14:15]
.LBB523_19:
	;; [unrolled: 12-line block ×6, first 2 shown]
	s_or_b64 exec, exec, s[2:3]
	s_waitcnt vmcnt(0) lgkmcnt(0)
	ds_write2st64_b32 v1, v2, v3 offset1:4
	ds_write2st64_b32 v1, v4, v5 offset0:8 offset1:12
	ds_write2st64_b32 v1, v6, v7 offset0:16 offset1:20
	ds_write2st64_b32 v1, v8, v9 offset0:24 offset1:28
	ds_write2st64_b32 v1, v10, v11 offset0:32 offset1:36
	s_waitcnt lgkmcnt(0)
	s_barrier
.LBB523_28:
	v_mul_u32_u24_e32 v26, 10, v0
	v_lshlrev_b32_e32 v10, 2, v26
	ds_read2_b64 v[6:9], v10 offset1:1
	ds_read2_b64 v[2:5], v10 offset0:2 offset1:3
	ds_read_b64 v[14:15], v10 offset:32
	s_add_u32 s2, s6, s4
	s_addc_u32 s3, s7, s5
	s_add_u32 s2, s2, s8
	s_addc_u32 s3, s3, s9
	s_mov_b64 s[4:5], -1
	s_and_b64 vcc, exec, s[30:31]
	s_waitcnt lgkmcnt(0)
	s_barrier
	s_cbranch_vccz .LBB523_30
; %bb.29:
	v_mov_b32_e32 v11, s3
	v_add_co_u32_e32 v18, vcc, s2, v1
	v_addc_co_u32_e32 v11, vcc, 0, v11, vcc
	s_movk_i32 s4, 0x1000
	v_add_co_u32_e32 v16, vcc, s4, v18
	global_load_dword v20, v1, s[2:3]
	global_load_dword v21, v1, s[2:3] offset:1024
	global_load_dword v22, v1, s[2:3] offset:2048
	global_load_dword v23, v1, s[2:3] offset:3072
	v_addc_co_u32_e32 v17, vcc, 0, v11, vcc
	global_load_dword v24, v[16:17], off offset:1024
	s_movk_i32 s4, 0x2000
	v_add_co_u32_e32 v18, vcc, s4, v18
	v_addc_co_u32_e32 v19, vcc, 0, v11, vcc
	global_load_dword v11, v[16:17], off offset:2048
	global_load_dword v25, v[18:19], off offset:-4096
	global_load_dword v27, v[18:19], off
	global_load_dword v28, v[18:19], off offset:1024
	global_load_dword v29, v[16:17], off offset:3072
	s_mov_b64 s[4:5], 0
	s_waitcnt vmcnt(9)
	v_cmp_ne_u32_e32 vcc, 0, v20
	v_cndmask_b32_e64 v16, 0, 1, vcc
	s_waitcnt vmcnt(8)
	v_cmp_ne_u32_e32 vcc, 0, v21
	v_cndmask_b32_e64 v17, 0, 1, vcc
	;; [unrolled: 3-line block ×4, first 2 shown]
	s_waitcnt vmcnt(5)
	v_cmp_ne_u32_e32 vcc, 0, v24
	ds_write_b8 v0, v16
	ds_write_b8 v0, v17 offset:256
	ds_write_b8 v0, v18 offset:512
	;; [unrolled: 1-line block ×3, first 2 shown]
	v_cndmask_b32_e64 v16, 0, 1, vcc
	s_waitcnt vmcnt(4)
	v_cmp_ne_u32_e32 vcc, 0, v11
	v_cndmask_b32_e64 v11, 0, 1, vcc
	s_waitcnt vmcnt(3)
	v_cmp_ne_u32_e32 vcc, 0, v25
	;; [unrolled: 3-line block ×3, first 2 shown]
	v_cndmask_b32_e64 v18, 0, 1, vcc
	v_cmp_ne_u32_e32 vcc, 0, v27
	v_cndmask_b32_e64 v19, 0, 1, vcc
	v_cmp_ne_u32_e32 vcc, 0, v28
	v_cndmask_b32_e64 v20, 0, 1, vcc
	ds_write_b8 v0, v16 offset:1280
	ds_write_b8 v0, v11 offset:1536
	;; [unrolled: 1-line block ×6, first 2 shown]
	s_waitcnt lgkmcnt(0)
	s_barrier
.LBB523_30:
	s_andn2_b64 vcc, exec, s[4:5]
	s_cbranch_vccnz .LBB523_52
; %bb.31:
	v_cmp_gt_u32_e32 vcc, s33, v0
	v_mov_b32_e32 v11, 0
	v_mov_b32_e32 v16, 0
	s_and_saveexec_b64 s[4:5], vcc
	s_cbranch_execz .LBB523_33
; %bb.32:
	global_load_dword v16, v1, s[2:3]
	s_waitcnt vmcnt(0)
	v_cmp_ne_u32_e32 vcc, 0, v16
	v_cndmask_b32_e64 v16, 0, 1, vcc
.LBB523_33:
	s_or_b64 exec, exec, s[4:5]
	v_or_b32_e32 v17, 0x100, v0
	v_cmp_gt_u32_e32 vcc, s33, v17
	s_and_saveexec_b64 s[4:5], vcc
	s_cbranch_execz .LBB523_35
; %bb.34:
	global_load_dword v11, v1, s[2:3] offset:1024
	s_waitcnt vmcnt(0)
	v_cmp_ne_u32_e32 vcc, 0, v11
	v_cndmask_b32_e64 v11, 0, 1, vcc
.LBB523_35:
	s_or_b64 exec, exec, s[4:5]
	v_or_b32_e32 v17, 0x200, v0
	v_cmp_gt_u32_e32 vcc, s33, v17
	v_mov_b32_e32 v17, 0
	v_mov_b32_e32 v18, 0
	s_and_saveexec_b64 s[4:5], vcc
	s_cbranch_execz .LBB523_37
; %bb.36:
	global_load_dword v18, v1, s[2:3] offset:2048
	s_waitcnt vmcnt(0)
	v_cmp_ne_u32_e32 vcc, 0, v18
	v_cndmask_b32_e64 v18, 0, 1, vcc
.LBB523_37:
	s_or_b64 exec, exec, s[4:5]
	v_or_b32_e32 v19, 0x300, v0
	v_cmp_gt_u32_e32 vcc, s33, v19
	s_and_saveexec_b64 s[4:5], vcc
	s_cbranch_execz .LBB523_39
; %bb.38:
	global_load_dword v17, v1, s[2:3] offset:3072
	s_waitcnt vmcnt(0)
	v_cmp_ne_u32_e32 vcc, 0, v17
	v_cndmask_b32_e64 v17, 0, 1, vcc
.LBB523_39:
	s_or_b64 exec, exec, s[4:5]
	v_or_b32_e32 v21, 0x400, v0
	v_cmp_gt_u32_e32 vcc, s33, v21
	v_mov_b32_e32 v19, 0
	v_mov_b32_e32 v20, 0
	s_and_saveexec_b64 s[4:5], vcc
	s_cbranch_execz .LBB523_41
; %bb.40:
	v_lshlrev_b32_e32 v20, 2, v21
	global_load_dword v20, v20, s[2:3]
	s_waitcnt vmcnt(0)
	v_cmp_ne_u32_e32 vcc, 0, v20
	v_cndmask_b32_e64 v20, 0, 1, vcc
.LBB523_41:
	s_or_b64 exec, exec, s[4:5]
	v_or_b32_e32 v21, 0x500, v0
	v_cmp_gt_u32_e32 vcc, s33, v21
	s_and_saveexec_b64 s[4:5], vcc
	s_cbranch_execz .LBB523_43
; %bb.42:
	v_lshlrev_b32_e32 v19, 2, v21
	global_load_dword v19, v19, s[2:3]
	s_waitcnt vmcnt(0)
	v_cmp_ne_u32_e32 vcc, 0, v19
	v_cndmask_b32_e64 v19, 0, 1, vcc
.LBB523_43:
	s_or_b64 exec, exec, s[4:5]
	v_or_b32_e32 v23, 0x600, v0
	v_cmp_gt_u32_e32 vcc, s33, v23
	v_mov_b32_e32 v21, 0
	v_mov_b32_e32 v22, 0
	s_and_saveexec_b64 s[4:5], vcc
	s_cbranch_execz .LBB523_45
; %bb.44:
	v_lshlrev_b32_e32 v22, 2, v23
	global_load_dword v22, v22, s[2:3]
	s_waitcnt vmcnt(0)
	v_cmp_ne_u32_e32 vcc, 0, v22
	v_cndmask_b32_e64 v22, 0, 1, vcc
.LBB523_45:
	s_or_b64 exec, exec, s[4:5]
	v_or_b32_e32 v23, 0x700, v0
	v_cmp_gt_u32_e32 vcc, s33, v23
	s_and_saveexec_b64 s[4:5], vcc
	s_cbranch_execz .LBB523_47
; %bb.46:
	v_lshlrev_b32_e32 v21, 2, v23
	global_load_dword v21, v21, s[2:3]
	s_waitcnt vmcnt(0)
	v_cmp_ne_u32_e32 vcc, 0, v21
	v_cndmask_b32_e64 v21, 0, 1, vcc
.LBB523_47:
	s_or_b64 exec, exec, s[4:5]
	v_or_b32_e32 v25, 0x800, v0
	v_cmp_gt_u32_e32 vcc, s33, v25
	v_mov_b32_e32 v23, 0
	v_mov_b32_e32 v24, 0
	s_and_saveexec_b64 s[4:5], vcc
	s_cbranch_execz .LBB523_49
; %bb.48:
	v_lshlrev_b32_e32 v24, 2, v25
	global_load_dword v24, v24, s[2:3]
	s_waitcnt vmcnt(0)
	v_cmp_ne_u32_e32 vcc, 0, v24
	v_cndmask_b32_e64 v24, 0, 1, vcc
.LBB523_49:
	s_or_b64 exec, exec, s[4:5]
	v_or_b32_e32 v25, 0x900, v0
	v_cmp_gt_u32_e32 vcc, s33, v25
	s_and_saveexec_b64 s[4:5], vcc
	s_cbranch_execz .LBB523_51
; %bb.50:
	v_lshlrev_b32_e32 v23, 2, v25
	global_load_dword v23, v23, s[2:3]
	s_waitcnt vmcnt(0)
	v_cmp_ne_u32_e32 vcc, 0, v23
	v_cndmask_b32_e64 v23, 0, 1, vcc
.LBB523_51:
	s_or_b64 exec, exec, s[4:5]
	ds_write_b8 v0, v16
	ds_write_b8 v0, v11 offset:256
	ds_write_b8 v0, v18 offset:512
	ds_write_b8 v0, v17 offset:768
	ds_write_b8 v0, v20 offset:1024
	ds_write_b8 v0, v19 offset:1280
	ds_write_b8 v0, v22 offset:1536
	ds_write_b8 v0, v21 offset:1792
	ds_write_b8 v0, v24 offset:2048
	ds_write_b8 v0, v23 offset:2304
	s_waitcnt lgkmcnt(0)
	s_barrier
.LBB523_52:
	s_movk_i32 s2, 0xffe2
	v_mad_i32_i24 v37, v0, s2, v10
	ds_read_b64 v[16:17], v37
	ds_read_u16 v28, v37 offset:8
	s_cmp_lg_u32 s42, 0
	v_lshrrev_b32_e32 v38, 6, v0
	s_waitcnt lgkmcnt(0)
	v_lshrrev_b32_e32 v30, 24, v16
	v_bfe_u32 v35, v16, 16, 8
	v_add_u32_sdwa v10, v16, v16 dst_sel:DWORD dst_unused:UNUSED_PAD src0_sel:BYTE_1 src1_sel:BYTE_0
	v_and_b32_e32 v32, 0xff, v17
	v_bfe_u32 v33, v17, 8, 8
	v_add3_u32 v10, v10, v35, v30
	v_lshrrev_b32_e32 v29, 24, v17
	v_bfe_u32 v34, v17, 16, 8
	v_add3_u32 v10, v10, v32, v33
	v_lshrrev_b16_e32 v27, 8, v28
	v_and_b32_e32 v31, 0xff, v28
	v_add3_u32 v10, v10, v34, v29
	v_add3_u32 v39, v10, v31, v27
	v_mbcnt_lo_u32_b32 v10, -1, 0
	v_mbcnt_hi_u32_b32 v36, -1, v10
	v_and_b32_e32 v10, 15, v36
	v_cmp_eq_u32_e64 s[14:15], 0, v10
	v_cmp_lt_u32_e64 s[12:13], 1, v10
	v_cmp_lt_u32_e64 s[10:11], 3, v10
	;; [unrolled: 1-line block ×3, first 2 shown]
	v_and_b32_e32 v10, 16, v36
	v_cmp_eq_u32_e64 s[6:7], 0, v10
	v_or_b32_e32 v10, 63, v0
	v_cmp_lt_u32_e64 s[2:3], 31, v36
	v_cmp_eq_u32_e64 s[4:5], v10, v0
	s_barrier
	s_cbranch_scc0 .LBB523_83
; %bb.53:
	v_mov_b32_dpp v10, v39 row_shr:1 row_mask:0xf bank_mask:0xf
	v_cndmask_b32_e64 v10, v10, 0, s[14:15]
	v_add_u32_e32 v10, v10, v39
	s_nop 1
	v_mov_b32_dpp v11, v10 row_shr:2 row_mask:0xf bank_mask:0xf
	v_cndmask_b32_e64 v11, 0, v11, s[12:13]
	v_add_u32_e32 v10, v10, v11
	s_nop 1
	;; [unrolled: 4-line block ×4, first 2 shown]
	v_mov_b32_dpp v11, v10 row_bcast:15 row_mask:0xf bank_mask:0xf
	v_cndmask_b32_e64 v11, v11, 0, s[6:7]
	v_add_u32_e32 v10, v10, v11
	s_nop 1
	v_mov_b32_dpp v11, v10 row_bcast:31 row_mask:0xf bank_mask:0xf
	v_cndmask_b32_e64 v11, 0, v11, s[2:3]
	v_add_u32_e32 v10, v10, v11
	s_and_saveexec_b64 s[16:17], s[4:5]
	s_cbranch_execz .LBB523_55
; %bb.54:
	v_lshlrev_b32_e32 v11, 2, v38
	ds_write_b32 v11, v10
.LBB523_55:
	s_or_b64 exec, exec, s[16:17]
	v_cmp_gt_u32_e32 vcc, 4, v0
	s_waitcnt lgkmcnt(0)
	s_barrier
	s_and_saveexec_b64 s[16:17], vcc
	s_cbranch_execz .LBB523_57
; %bb.56:
	ds_read_b32 v11, v1
	v_and_b32_e32 v18, 3, v36
	v_cmp_ne_u32_e32 vcc, 0, v18
	s_waitcnt lgkmcnt(0)
	v_mov_b32_dpp v19, v11 row_shr:1 row_mask:0xf bank_mask:0xf
	v_cndmask_b32_e32 v19, 0, v19, vcc
	v_add_u32_e32 v11, v19, v11
	v_cmp_lt_u32_e32 vcc, 1, v18
	s_nop 0
	v_mov_b32_dpp v19, v11 row_shr:2 row_mask:0xf bank_mask:0xf
	v_cndmask_b32_e32 v18, 0, v19, vcc
	v_add_u32_e32 v11, v11, v18
	ds_write_b32 v1, v11
.LBB523_57:
	s_or_b64 exec, exec, s[16:17]
	v_cmp_gt_u32_e32 vcc, 64, v0
	v_cmp_lt_u32_e64 s[16:17], 63, v0
	s_waitcnt lgkmcnt(0)
	s_barrier
	s_waitcnt lgkmcnt(0)
                                        ; implicit-def: $vgpr40
	s_and_saveexec_b64 s[36:37], s[16:17]
	s_cbranch_execz .LBB523_59
; %bb.58:
	v_lshl_add_u32 v11, v38, 2, -4
	ds_read_b32 v40, v11
	s_waitcnt lgkmcnt(0)
	v_add_u32_e32 v10, v40, v10
.LBB523_59:
	s_or_b64 exec, exec, s[36:37]
	v_add_u32_e32 v11, -1, v36
	v_and_b32_e32 v18, 64, v36
	v_cmp_lt_i32_e64 s[16:17], v11, v18
	v_cndmask_b32_e64 v11, v11, v36, s[16:17]
	v_lshlrev_b32_e32 v11, 2, v11
	ds_bpermute_b32 v41, v11, v10
	v_cmp_eq_u32_e64 s[16:17], 0, v36
	s_and_saveexec_b64 s[36:37], vcc
	s_cbranch_execz .LBB523_82
; %bb.60:
	v_mov_b32_e32 v25, 0
	ds_read_b32 v10, v25 offset:12
	s_and_saveexec_b64 s[38:39], s[16:17]
	s_cbranch_execz .LBB523_62
; %bb.61:
	s_add_i32 s40, s42, 64
	s_mov_b32 s41, 0
	s_lshl_b64 s[40:41], s[40:41], 3
	s_add_u32 s40, s34, s40
	v_mov_b32_e32 v11, 1
	s_addc_u32 s41, s35, s41
	s_waitcnt lgkmcnt(0)
	global_store_dwordx2 v25, v[10:11], s[40:41]
.LBB523_62:
	s_or_b64 exec, exec, s[38:39]
	v_xad_u32 v18, v36, -1, s42
	v_add_u32_e32 v24, 64, v18
	v_lshlrev_b64 v[20:21], 3, v[24:25]
	v_mov_b32_e32 v11, s35
	v_add_co_u32_e32 v20, vcc, s34, v20
	v_addc_co_u32_e32 v21, vcc, v11, v21, vcc
	global_load_dwordx2 v[22:23], v[20:21], off glc
	s_waitcnt vmcnt(0)
	v_cmp_eq_u16_sdwa s[40:41], v23, v25 src0_sel:BYTE_0 src1_sel:DWORD
	s_and_saveexec_b64 s[38:39], s[40:41]
	s_cbranch_execz .LBB523_68
; %bb.63:
	s_mov_b32 s29, 1
	s_mov_b64 s[40:41], 0
	v_mov_b32_e32 v11, 0
.LBB523_64:                             ; =>This Loop Header: Depth=1
                                        ;     Child Loop BB523_65 Depth 2
	s_max_u32 s43, s29, 1
.LBB523_65:                             ;   Parent Loop BB523_64 Depth=1
                                        ; =>  This Inner Loop Header: Depth=2
	s_add_i32 s43, s43, -1
	s_cmp_eq_u32 s43, 0
	s_sleep 1
	s_cbranch_scc0 .LBB523_65
; %bb.66:                               ;   in Loop: Header=BB523_64 Depth=1
	global_load_dwordx2 v[22:23], v[20:21], off glc
	s_cmp_lt_u32 s29, 32
	s_cselect_b64 s[44:45], -1, 0
	s_cmp_lg_u64 s[44:45], 0
	s_addc_u32 s29, s29, 0
	s_waitcnt vmcnt(0)
	v_cmp_ne_u16_sdwa s[44:45], v23, v11 src0_sel:BYTE_0 src1_sel:DWORD
	s_or_b64 s[40:41], s[44:45], s[40:41]
	s_andn2_b64 exec, exec, s[40:41]
	s_cbranch_execnz .LBB523_64
; %bb.67:
	s_or_b64 exec, exec, s[40:41]
.LBB523_68:
	s_or_b64 exec, exec, s[38:39]
	v_and_b32_e32 v43, 63, v36
	v_mov_b32_e32 v42, 2
	v_cmp_ne_u32_e32 vcc, 63, v43
	v_cmp_eq_u16_sdwa s[38:39], v23, v42 src0_sel:BYTE_0 src1_sel:DWORD
	v_lshlrev_b64 v[20:21], v36, -1
	v_addc_co_u32_e32 v24, vcc, 0, v36, vcc
	v_and_b32_e32 v11, s39, v21
	v_lshlrev_b32_e32 v44, 2, v24
	v_or_b32_e32 v11, 0x80000000, v11
	ds_bpermute_b32 v24, v44, v22
	v_and_b32_e32 v19, s38, v20
	v_ffbl_b32_e32 v11, v11
	v_add_u32_e32 v11, 32, v11
	v_ffbl_b32_e32 v19, v19
	v_min_u32_e32 v11, v19, v11
	v_cmp_lt_u32_e32 vcc, v43, v11
	s_waitcnt lgkmcnt(0)
	v_cndmask_b32_e32 v19, 0, v24, vcc
	v_cmp_gt_u32_e32 vcc, 62, v43
	v_add_u32_e32 v19, v19, v22
	v_cndmask_b32_e64 v22, 0, 1, vcc
	v_lshlrev_b32_e32 v22, 1, v22
	v_add_lshl_u32 v45, v22, v36, 2
	ds_bpermute_b32 v22, v45, v19
	v_add_u32_e32 v46, 2, v43
	v_cmp_le_u32_e32 vcc, v46, v11
	v_add_u32_e32 v48, 4, v43
	v_add_u32_e32 v50, 8, v43
	s_waitcnt lgkmcnt(0)
	v_cndmask_b32_e32 v22, 0, v22, vcc
	v_cmp_gt_u32_e32 vcc, 60, v43
	v_add_u32_e32 v19, v19, v22
	v_cndmask_b32_e64 v22, 0, 1, vcc
	v_lshlrev_b32_e32 v22, 2, v22
	v_add_lshl_u32 v47, v22, v36, 2
	ds_bpermute_b32 v22, v47, v19
	v_cmp_le_u32_e32 vcc, v48, v11
	v_add_u32_e32 v52, 16, v43
	v_add_u32_e32 v54, 32, v43
	s_waitcnt lgkmcnt(0)
	v_cndmask_b32_e32 v22, 0, v22, vcc
	v_cmp_gt_u32_e32 vcc, 56, v43
	v_add_u32_e32 v19, v19, v22
	v_cndmask_b32_e64 v22, 0, 1, vcc
	v_lshlrev_b32_e32 v22, 3, v22
	v_add_lshl_u32 v49, v22, v36, 2
	ds_bpermute_b32 v22, v49, v19
	v_cmp_le_u32_e32 vcc, v50, v11
	s_waitcnt lgkmcnt(0)
	v_cndmask_b32_e32 v22, 0, v22, vcc
	v_cmp_gt_u32_e32 vcc, 48, v43
	v_add_u32_e32 v19, v19, v22
	v_cndmask_b32_e64 v22, 0, 1, vcc
	v_lshlrev_b32_e32 v22, 4, v22
	v_add_lshl_u32 v51, v22, v36, 2
	ds_bpermute_b32 v22, v51, v19
	v_cmp_le_u32_e32 vcc, v52, v11
	s_waitcnt lgkmcnt(0)
	v_cndmask_b32_e32 v22, 0, v22, vcc
	v_cmp_gt_u32_e32 vcc, 32, v43
	v_add_u32_e32 v19, v19, v22
	v_cndmask_b32_e64 v22, 0, 1, vcc
	v_lshlrev_b32_e32 v22, 5, v22
	v_add_lshl_u32 v53, v22, v36, 2
	ds_bpermute_b32 v22, v53, v19
	v_cmp_le_u32_e32 vcc, v54, v11
	s_waitcnt lgkmcnt(0)
	v_cndmask_b32_e32 v11, 0, v22, vcc
	v_add_u32_e32 v22, v19, v11
	v_mov_b32_e32 v19, 0
	s_branch .LBB523_70
.LBB523_69:                             ;   in Loop: Header=BB523_70 Depth=1
	s_or_b64 exec, exec, s[38:39]
	v_cmp_eq_u16_sdwa s[38:39], v23, v42 src0_sel:BYTE_0 src1_sel:DWORD
	v_and_b32_e32 v24, s39, v21
	v_or_b32_e32 v24, 0x80000000, v24
	ds_bpermute_b32 v55, v44, v22
	v_and_b32_e32 v25, s38, v20
	v_ffbl_b32_e32 v24, v24
	v_add_u32_e32 v24, 32, v24
	v_ffbl_b32_e32 v25, v25
	v_min_u32_e32 v24, v25, v24
	v_cmp_lt_u32_e32 vcc, v43, v24
	s_waitcnt lgkmcnt(0)
	v_cndmask_b32_e32 v25, 0, v55, vcc
	v_add_u32_e32 v22, v25, v22
	ds_bpermute_b32 v25, v45, v22
	v_cmp_le_u32_e32 vcc, v46, v24
	v_subrev_u32_e32 v18, 64, v18
	s_waitcnt lgkmcnt(0)
	v_cndmask_b32_e32 v25, 0, v25, vcc
	v_add_u32_e32 v22, v22, v25
	ds_bpermute_b32 v25, v47, v22
	v_cmp_le_u32_e32 vcc, v48, v24
	s_waitcnt lgkmcnt(0)
	v_cndmask_b32_e32 v25, 0, v25, vcc
	v_add_u32_e32 v22, v22, v25
	ds_bpermute_b32 v25, v49, v22
	v_cmp_le_u32_e32 vcc, v50, v24
	;; [unrolled: 5-line block ×4, first 2 shown]
	s_waitcnt lgkmcnt(0)
	v_cndmask_b32_e32 v24, 0, v25, vcc
	v_add3_u32 v22, v24, v11, v22
.LBB523_70:                             ; =>This Loop Header: Depth=1
                                        ;     Child Loop BB523_73 Depth 2
                                        ;       Child Loop BB523_74 Depth 3
	v_cmp_ne_u16_sdwa s[38:39], v23, v42 src0_sel:BYTE_0 src1_sel:DWORD
	v_cndmask_b32_e64 v11, 0, 1, s[38:39]
	;;#ASMSTART
	;;#ASMEND
	v_cmp_ne_u32_e32 vcc, 0, v11
	s_cmp_lg_u64 vcc, exec
	v_mov_b32_e32 v11, v22
	s_cbranch_scc1 .LBB523_77
; %bb.71:                               ;   in Loop: Header=BB523_70 Depth=1
	v_lshlrev_b64 v[22:23], 3, v[18:19]
	v_mov_b32_e32 v25, s35
	v_add_co_u32_e32 v24, vcc, s34, v22
	v_addc_co_u32_e32 v25, vcc, v25, v23, vcc
	global_load_dwordx2 v[22:23], v[24:25], off glc
	s_waitcnt vmcnt(0)
	v_cmp_eq_u16_sdwa s[40:41], v23, v19 src0_sel:BYTE_0 src1_sel:DWORD
	s_and_saveexec_b64 s[38:39], s[40:41]
	s_cbranch_execz .LBB523_69
; %bb.72:                               ;   in Loop: Header=BB523_70 Depth=1
	s_mov_b32 s29, 1
	s_mov_b64 s[40:41], 0
.LBB523_73:                             ;   Parent Loop BB523_70 Depth=1
                                        ; =>  This Loop Header: Depth=2
                                        ;       Child Loop BB523_74 Depth 3
	s_max_u32 s43, s29, 1
.LBB523_74:                             ;   Parent Loop BB523_70 Depth=1
                                        ;     Parent Loop BB523_73 Depth=2
                                        ; =>    This Inner Loop Header: Depth=3
	s_add_i32 s43, s43, -1
	s_cmp_eq_u32 s43, 0
	s_sleep 1
	s_cbranch_scc0 .LBB523_74
; %bb.75:                               ;   in Loop: Header=BB523_73 Depth=2
	global_load_dwordx2 v[22:23], v[24:25], off glc
	s_cmp_lt_u32 s29, 32
	s_cselect_b64 s[44:45], -1, 0
	s_cmp_lg_u64 s[44:45], 0
	s_addc_u32 s29, s29, 0
	s_waitcnt vmcnt(0)
	v_cmp_ne_u16_sdwa s[44:45], v23, v19 src0_sel:BYTE_0 src1_sel:DWORD
	s_or_b64 s[40:41], s[44:45], s[40:41]
	s_andn2_b64 exec, exec, s[40:41]
	s_cbranch_execnz .LBB523_73
; %bb.76:                               ;   in Loop: Header=BB523_70 Depth=1
	s_or_b64 exec, exec, s[40:41]
	s_branch .LBB523_69
.LBB523_77:                             ;   in Loop: Header=BB523_70 Depth=1
                                        ; implicit-def: $vgpr22
                                        ; implicit-def: $vgpr23
	s_cbranch_execz .LBB523_70
; %bb.78:
	s_and_saveexec_b64 s[38:39], s[16:17]
	s_cbranch_execz .LBB523_80
; %bb.79:
	s_add_i32 s40, s42, 64
	s_mov_b32 s41, 0
	s_lshl_b64 s[40:41], s[40:41], 3
	s_add_u32 s40, s34, s40
	v_add_u32_e32 v18, v11, v10
	v_mov_b32_e32 v19, 2
	s_addc_u32 s41, s35, s41
	v_mov_b32_e32 v20, 0
	global_store_dwordx2 v20, v[18:19], s[40:41]
	ds_write_b64 v20, v[10:11] offset:10240
.LBB523_80:
	s_or_b64 exec, exec, s[38:39]
	s_and_b64 exec, exec, s[0:1]
	s_cbranch_execz .LBB523_82
; %bb.81:
	v_mov_b32_e32 v10, 0
	ds_write_b32 v10, v11 offset:12
.LBB523_82:
	s_or_b64 exec, exec, s[36:37]
	v_mov_b32_e32 v10, 0
	s_waitcnt lgkmcnt(0)
	s_barrier
	ds_read_b32 v11, v10 offset:12
	v_cndmask_b32_e64 v18, v41, v40, s[16:17]
	v_cndmask_b32_e64 v18, v18, 0, s[0:1]
	s_waitcnt lgkmcnt(0)
	s_barrier
	v_add_u32_e32 v41, v11, v18
	v_add_u32_sdwa v40, v41, v16 dst_sel:DWORD dst_unused:UNUSED_PAD src0_sel:DWORD src1_sel:BYTE_0
	v_add_u32_sdwa v25, v40, v16 dst_sel:DWORD dst_unused:UNUSED_PAD src0_sel:DWORD src1_sel:BYTE_1
	v_add_u32_e32 v24, v25, v35
	v_add_u32_e32 v23, v24, v30
	;; [unrolled: 1-line block ×3, first 2 shown]
	ds_read_b64 v[10:11], v10 offset:10240
	v_add_u32_e32 v21, v22, v33
	v_add_u32_e32 v20, v21, v34
	;; [unrolled: 1-line block ×4, first 2 shown]
	s_branch .LBB523_93
.LBB523_83:
                                        ; implicit-def: $vgpr11
                                        ; implicit-def: $vgpr18
                                        ; implicit-def: $vgpr19
                                        ; implicit-def: $vgpr20
                                        ; implicit-def: $vgpr21
                                        ; implicit-def: $vgpr22
                                        ; implicit-def: $vgpr23
                                        ; implicit-def: $vgpr24
                                        ; implicit-def: $vgpr25
                                        ; implicit-def: $vgpr40
                                        ; implicit-def: $vgpr41
	s_cbranch_execz .LBB523_93
; %bb.84:
	s_waitcnt lgkmcnt(0)
	v_mov_b32_dpp v10, v39 row_shr:1 row_mask:0xf bank_mask:0xf
	v_cndmask_b32_e64 v10, v10, 0, s[14:15]
	v_add_u32_e32 v10, v10, v39
	s_nop 1
	v_mov_b32_dpp v11, v10 row_shr:2 row_mask:0xf bank_mask:0xf
	v_cndmask_b32_e64 v11, 0, v11, s[12:13]
	v_add_u32_e32 v10, v10, v11
	s_nop 1
	;; [unrolled: 4-line block ×4, first 2 shown]
	v_mov_b32_dpp v11, v10 row_bcast:15 row_mask:0xf bank_mask:0xf
	v_cndmask_b32_e64 v11, v11, 0, s[6:7]
	v_add_u32_e32 v10, v10, v11
	s_nop 1
	v_mov_b32_dpp v11, v10 row_bcast:31 row_mask:0xf bank_mask:0xf
	v_cndmask_b32_e64 v11, 0, v11, s[2:3]
	v_add_u32_e32 v10, v10, v11
	s_and_saveexec_b64 s[2:3], s[4:5]
	s_cbranch_execz .LBB523_86
; %bb.85:
	v_lshlrev_b32_e32 v11, 2, v38
	ds_write_b32 v11, v10
.LBB523_86:
	s_or_b64 exec, exec, s[2:3]
	v_cmp_gt_u32_e32 vcc, 4, v0
	s_waitcnt lgkmcnt(0)
	s_barrier
	s_and_saveexec_b64 s[2:3], vcc
	s_cbranch_execz .LBB523_88
; %bb.87:
	v_mad_i32_i24 v11, v0, -6, v37
	ds_read_b32 v18, v11
	v_and_b32_e32 v19, 3, v36
	v_cmp_ne_u32_e32 vcc, 0, v19
	s_waitcnt lgkmcnt(0)
	v_mov_b32_dpp v20, v18 row_shr:1 row_mask:0xf bank_mask:0xf
	v_cndmask_b32_e32 v20, 0, v20, vcc
	v_add_u32_e32 v18, v20, v18
	v_cmp_lt_u32_e32 vcc, 1, v19
	s_nop 0
	v_mov_b32_dpp v20, v18 row_shr:2 row_mask:0xf bank_mask:0xf
	v_cndmask_b32_e32 v19, 0, v20, vcc
	v_add_u32_e32 v18, v18, v19
	ds_write_b32 v11, v18
.LBB523_88:
	s_or_b64 exec, exec, s[2:3]
	v_cmp_lt_u32_e32 vcc, 63, v0
	v_mov_b32_e32 v11, 0
	v_mov_b32_e32 v18, 0
	s_waitcnt lgkmcnt(0)
	s_barrier
	s_and_saveexec_b64 s[2:3], vcc
	s_cbranch_execz .LBB523_90
; %bb.89:
	v_lshl_add_u32 v18, v38, 2, -4
	ds_read_b32 v18, v18
.LBB523_90:
	s_or_b64 exec, exec, s[2:3]
	v_add_u32_e32 v19, -1, v36
	v_and_b32_e32 v20, 64, v36
	v_cmp_lt_i32_e32 vcc, v19, v20
	v_cndmask_b32_e32 v19, v19, v36, vcc
	s_waitcnt lgkmcnt(0)
	v_add_u32_e32 v10, v18, v10
	v_lshlrev_b32_e32 v19, 2, v19
	ds_bpermute_b32 v19, v19, v10
	ds_read_b32 v10, v11 offset:12
	s_and_saveexec_b64 s[2:3], s[0:1]
	s_cbranch_execz .LBB523_92
; %bb.91:
	v_mov_b32_e32 v20, 0
	v_mov_b32_e32 v11, 2
	s_waitcnt lgkmcnt(0)
	global_store_dwordx2 v20, v[10:11], s[34:35] offset:512
.LBB523_92:
	s_or_b64 exec, exec, s[2:3]
	v_cmp_eq_u32_e32 vcc, 0, v36
	s_waitcnt lgkmcnt(1)
	v_cndmask_b32_e32 v18, v19, v18, vcc
	v_cndmask_b32_e64 v41, v18, 0, s[0:1]
	v_add_u32_sdwa v40, v41, v16 dst_sel:DWORD dst_unused:UNUSED_PAD src0_sel:DWORD src1_sel:BYTE_0
	v_add_u32_sdwa v25, v40, v16 dst_sel:DWORD dst_unused:UNUSED_PAD src0_sel:DWORD src1_sel:BYTE_1
	v_add_u32_e32 v24, v25, v35
	v_add_u32_e32 v23, v24, v30
	;; [unrolled: 1-line block ×6, first 2 shown]
	v_mov_b32_e32 v11, 0
	v_add_u32_e32 v18, v19, v31
	s_waitcnt lgkmcnt(0)
	s_barrier
.LBB523_93:
	s_waitcnt lgkmcnt(0)
	v_add_u32_e32 v26, v10, v26
	v_sub_u32_e32 v33, v41, v11
	v_and_b32_e32 v35, 1, v16
	v_sub_u32_e32 v34, v26, v33
	v_cmp_eq_u32_e32 vcc, 1, v35
	v_cndmask_b32_e32 v33, v34, v33, vcc
	v_lshlrev_b32_e32 v33, 2, v33
	v_lshrrev_b32_e32 v32, 8, v16
	ds_write_b32 v33, v6
	v_sub_u32_e32 v6, v40, v11
	v_sub_u32_e32 v33, v26, v6
	v_and_b32_e32 v32, 1, v32
	v_add_u32_e32 v33, 1, v33
	v_cmp_eq_u32_e32 vcc, 1, v32
	v_cndmask_b32_e32 v6, v33, v6, vcc
	v_lshlrev_b32_e32 v6, 2, v6
	ds_write_b32 v6, v7
	v_sub_u32_e32 v6, v25, v11
	v_mov_b32_e32 v25, 1
	v_sub_u32_e32 v7, v26, v6
	v_and_b32_sdwa v16, v25, v16 dst_sel:DWORD dst_unused:UNUSED_PAD src0_sel:DWORD src1_sel:WORD_1
	v_add_u32_e32 v7, 2, v7
	v_cmp_eq_u32_e32 vcc, 1, v16
	v_cndmask_b32_e32 v6, v7, v6, vcc
	v_lshlrev_b32_e32 v6, 2, v6
	ds_write_b32 v6, v8
	v_sub_u32_e32 v6, v24, v11
	v_sub_u32_e32 v7, v26, v6
	v_and_b32_e32 v8, 1, v30
	v_add_u32_e32 v7, 3, v7
	v_cmp_eq_u32_e32 vcc, 1, v8
	v_cndmask_b32_e32 v6, v7, v6, vcc
	v_lshlrev_b32_e32 v6, 2, v6
	ds_write_b32 v6, v9
	v_sub_u32_e32 v6, v23, v11
	v_sub_u32_e32 v7, v26, v6
	v_and_b32_e32 v8, 1, v17
	v_add_u32_e32 v7, 4, v7
	v_cmp_eq_u32_e32 vcc, 1, v8
	v_cndmask_b32_e32 v6, v7, v6, vcc
	v_lshlrev_b32_e32 v6, 2, v6
	v_lshrrev_b32_e32 v31, 8, v17
	ds_write_b32 v6, v2
	v_sub_u32_e32 v2, v22, v11
	v_sub_u32_e32 v6, v26, v2
	v_and_b32_e32 v7, 1, v31
	v_add_u32_e32 v6, 5, v6
	v_cmp_eq_u32_e32 vcc, 1, v7
	v_cndmask_b32_e32 v2, v6, v2, vcc
	v_lshlrev_b32_e32 v2, 2, v2
	ds_write_b32 v2, v3
	v_sub_u32_e32 v2, v21, v11
	v_sub_u32_e32 v3, v26, v2
	v_and_b32_sdwa v6, v25, v17 dst_sel:DWORD dst_unused:UNUSED_PAD src0_sel:DWORD src1_sel:WORD_1
	v_add_u32_e32 v3, 6, v3
	v_cmp_eq_u32_e32 vcc, 1, v6
	v_cndmask_b32_e32 v2, v3, v2, vcc
	v_lshlrev_b32_e32 v2, 2, v2
	ds_write_b32 v2, v4
	v_sub_u32_e32 v2, v20, v11
	v_sub_u32_e32 v3, v26, v2
	v_and_b32_e32 v4, 1, v29
	v_add_u32_e32 v3, 7, v3
	v_cmp_eq_u32_e32 vcc, 1, v4
	v_cndmask_b32_e32 v2, v3, v2, vcc
	v_lshlrev_b32_e32 v2, 2, v2
	ds_write_b32 v2, v5
	v_sub_u32_e32 v2, v19, v11
	v_sub_u32_e32 v3, v26, v2
	v_and_b32_e32 v4, 1, v28
	;; [unrolled: 8-line block ×3, first 2 shown]
	v_add_u32_e32 v3, 9, v3
	v_cmp_eq_u32_e32 vcc, 1, v4
	v_cndmask_b32_e32 v2, v3, v2, vcc
	s_add_u32 s2, s18, s28
	v_lshlrev_b32_e32 v2, 2, v2
	s_addc_u32 s3, s19, 0
	ds_write_b32 v2, v15
	s_waitcnt lgkmcnt(0)
	s_barrier
	ds_read2st64_b32 v[14:15], v1 offset1:4
	ds_read2st64_b32 v[8:9], v1 offset0:8 offset1:12
	ds_read2st64_b32 v[6:7], v1 offset0:16 offset1:20
	ds_read2st64_b32 v[4:5], v1 offset0:24 offset1:28
	ds_read2st64_b32 v[2:3], v1 offset0:32 offset1:36
	s_waitcnt vmcnt(0)
	v_add_co_u32_e32 v1, vcc, v12, v11
	s_sub_u32 s2, s26, s2
	v_addc_co_u32_e32 v11, vcc, 0, v13, vcc
	s_subb_u32 s3, s27, s3
	v_mov_b32_e32 v12, s3
	v_add_co_u32_e32 v13, vcc, s2, v10
	v_addc_co_u32_e32 v12, vcc, 0, v12, vcc
	v_add_co_u32_e64 v17, s[2:3], v13, v1
	v_or_b32_e32 v26, 0x100, v0
	v_or_b32_e32 v25, 0x200, v0
	;; [unrolled: 1-line block ×9, first 2 shown]
	s_andn2_b64 vcc, exec, s[30:31]
	v_addc_co_u32_e64 v18, s[2:3], v12, v11, s[2:3]
	s_cbranch_vccnz .LBB523_138
; %bb.94:
	v_cmp_ge_u32_e32 vcc, v0, v10
                                        ; implicit-def: $vgpr12_vgpr13
	s_and_saveexec_b64 s[2:3], vcc
	s_xor_b64 s[2:3], exec, s[2:3]
; %bb.95:
	v_not_b32_e32 v12, v0
	v_ashrrev_i32_e32 v13, 31, v12
	v_add_co_u32_e32 v12, vcc, v17, v12
	v_addc_co_u32_e32 v13, vcc, v18, v13, vcc
; %bb.96:
	s_andn2_saveexec_b64 s[2:3], s[2:3]
; %bb.97:
	v_add_co_u32_e32 v12, vcc, v1, v0
	v_addc_co_u32_e32 v13, vcc, 0, v11, vcc
; %bb.98:
	s_or_b64 exec, exec, s[2:3]
	v_lshlrev_b64 v[12:13], 2, v[12:13]
	v_mov_b32_e32 v27, s25
	v_add_co_u32_e32 v12, vcc, s24, v12
	v_addc_co_u32_e32 v13, vcc, v27, v13, vcc
	v_cmp_ge_u32_e32 vcc, v26, v10
	s_waitcnt lgkmcnt(4)
	global_store_dword v[12:13], v14, off
                                        ; implicit-def: $vgpr12_vgpr13
	s_and_saveexec_b64 s[2:3], vcc
	s_xor_b64 s[2:3], exec, s[2:3]
; %bb.99:
	v_xor_b32_e32 v12, 0xfffffeff, v0
	v_ashrrev_i32_e32 v13, 31, v12
	v_add_co_u32_e32 v12, vcc, v17, v12
	v_addc_co_u32_e32 v13, vcc, v18, v13, vcc
; %bb.100:
	s_andn2_saveexec_b64 s[2:3], s[2:3]
; %bb.101:
	v_add_co_u32_e32 v12, vcc, v1, v26
	v_addc_co_u32_e32 v13, vcc, 0, v11, vcc
; %bb.102:
	s_or_b64 exec, exec, s[2:3]
	v_lshlrev_b64 v[12:13], 2, v[12:13]
	v_mov_b32_e32 v27, s25
	v_add_co_u32_e32 v12, vcc, s24, v12
	v_addc_co_u32_e32 v13, vcc, v27, v13, vcc
	v_cmp_ge_u32_e32 vcc, v25, v10
	global_store_dword v[12:13], v15, off
                                        ; implicit-def: $vgpr12_vgpr13
	s_and_saveexec_b64 s[2:3], vcc
	s_xor_b64 s[2:3], exec, s[2:3]
; %bb.103:
	v_xor_b32_e32 v12, 0xfffffdff, v0
	v_ashrrev_i32_e32 v13, 31, v12
	v_add_co_u32_e32 v12, vcc, v17, v12
	v_addc_co_u32_e32 v13, vcc, v18, v13, vcc
; %bb.104:
	s_andn2_saveexec_b64 s[2:3], s[2:3]
; %bb.105:
	v_add_co_u32_e32 v12, vcc, v1, v25
	v_addc_co_u32_e32 v13, vcc, 0, v11, vcc
; %bb.106:
	s_or_b64 exec, exec, s[2:3]
	v_lshlrev_b64 v[12:13], 2, v[12:13]
	v_mov_b32_e32 v27, s25
	v_add_co_u32_e32 v12, vcc, s24, v12
	v_addc_co_u32_e32 v13, vcc, v27, v13, vcc
	v_cmp_ge_u32_e32 vcc, v24, v10
	s_waitcnt lgkmcnt(3)
	global_store_dword v[12:13], v8, off
                                        ; implicit-def: $vgpr12_vgpr13
	s_and_saveexec_b64 s[2:3], vcc
	s_xor_b64 s[2:3], exec, s[2:3]
; %bb.107:
	v_xor_b32_e32 v12, 0xfffffcff, v0
	v_ashrrev_i32_e32 v13, 31, v12
	v_add_co_u32_e32 v12, vcc, v17, v12
	v_addc_co_u32_e32 v13, vcc, v18, v13, vcc
; %bb.108:
	s_andn2_saveexec_b64 s[2:3], s[2:3]
; %bb.109:
	v_add_co_u32_e32 v12, vcc, v1, v24
	v_addc_co_u32_e32 v13, vcc, 0, v11, vcc
; %bb.110:
	s_or_b64 exec, exec, s[2:3]
	v_lshlrev_b64 v[12:13], 2, v[12:13]
	v_mov_b32_e32 v27, s25
	v_add_co_u32_e32 v12, vcc, s24, v12
	v_addc_co_u32_e32 v13, vcc, v27, v13, vcc
	v_cmp_ge_u32_e32 vcc, v23, v10
	global_store_dword v[12:13], v9, off
                                        ; implicit-def: $vgpr12_vgpr13
	s_and_saveexec_b64 s[2:3], vcc
	s_xor_b64 s[2:3], exec, s[2:3]
; %bb.111:
	v_xor_b32_e32 v12, 0xfffffbff, v0
	;; [unrolled: 43-line block ×4, first 2 shown]
	v_ashrrev_i32_e32 v13, 31, v12
	v_add_co_u32_e32 v12, vcc, v17, v12
	v_addc_co_u32_e32 v13, vcc, v18, v13, vcc
; %bb.128:
	s_andn2_saveexec_b64 s[2:3], s[2:3]
; %bb.129:
	v_add_co_u32_e32 v12, vcc, v1, v19
	v_addc_co_u32_e32 v13, vcc, 0, v11, vcc
; %bb.130:
	s_or_b64 exec, exec, s[2:3]
	v_lshlrev_b64 v[12:13], 2, v[12:13]
	v_mov_b32_e32 v27, s25
	v_add_co_u32_e32 v12, vcc, s24, v12
	v_addc_co_u32_e32 v13, vcc, v27, v13, vcc
	v_cmp_ge_u32_e32 vcc, v16, v10
	s_waitcnt lgkmcnt(0)
	global_store_dword v[12:13], v2, off
                                        ; implicit-def: $vgpr12_vgpr13
	s_and_saveexec_b64 s[2:3], vcc
	s_xor_b64 s[2:3], exec, s[2:3]
; %bb.131:
	v_xor_b32_e32 v12, 0xfffff6ff, v0
	v_ashrrev_i32_e32 v13, 31, v12
	v_add_co_u32_e32 v12, vcc, v17, v12
	v_addc_co_u32_e32 v13, vcc, v18, v13, vcc
; %bb.132:
	s_andn2_saveexec_b64 s[2:3], s[2:3]
; %bb.133:
	v_add_co_u32_e32 v12, vcc, v1, v16
	v_addc_co_u32_e32 v13, vcc, 0, v11, vcc
; %bb.134:
	s_or_b64 exec, exec, s[2:3]
	s_mov_b64 s[2:3], -1
.LBB523_135:
	s_and_saveexec_b64 s[4:5], s[2:3]
	s_cbranch_execz .LBB523_166
.LBB523_136:
	s_waitcnt lgkmcnt(1)
	v_lshlrev_b64 v[4:5], 2, v[12:13]
	v_mov_b32_e32 v0, s25
	v_add_co_u32_e32 v4, vcc, s24, v4
	v_addc_co_u32_e32 v5, vcc, v0, v5, vcc
	s_waitcnt lgkmcnt(0)
	global_store_dword v[4:5], v3, off
	s_or_b64 exec, exec, s[4:5]
	s_and_b64 s[0:1], s[0:1], s[22:23]
	s_and_saveexec_b64 s[2:3], s[0:1]
	s_cbranch_execnz .LBB523_167
.LBB523_137:
	s_endpgm
.LBB523_138:
	s_mov_b64 s[2:3], 0
                                        ; implicit-def: $vgpr12_vgpr13
	s_cbranch_execz .LBB523_135
; %bb.139:
	v_cmp_gt_u32_e32 vcc, s33, v0
	s_and_saveexec_b64 s[4:5], vcc
	s_cbranch_execz .LBB523_168
; %bb.140:
	v_cmp_ge_u32_e32 vcc, v0, v10
                                        ; implicit-def: $vgpr12_vgpr13
	s_and_saveexec_b64 s[6:7], vcc
	s_xor_b64 s[6:7], exec, s[6:7]
; %bb.141:
	v_not_b32_e32 v12, v0
	v_ashrrev_i32_e32 v13, 31, v12
	v_add_co_u32_e32 v12, vcc, v17, v12
	v_addc_co_u32_e32 v13, vcc, v18, v13, vcc
; %bb.142:
	s_andn2_saveexec_b64 s[6:7], s[6:7]
; %bb.143:
	v_add_co_u32_e32 v12, vcc, v1, v0
	v_addc_co_u32_e32 v13, vcc, 0, v11, vcc
; %bb.144:
	s_or_b64 exec, exec, s[6:7]
	v_lshlrev_b64 v[12:13], 2, v[12:13]
	v_mov_b32_e32 v27, s25
	v_add_co_u32_e32 v12, vcc, s24, v12
	v_addc_co_u32_e32 v13, vcc, v27, v13, vcc
	s_waitcnt lgkmcnt(4)
	global_store_dword v[12:13], v14, off
	s_or_b64 exec, exec, s[4:5]
	v_cmp_gt_u32_e32 vcc, s33, v26
	s_and_saveexec_b64 s[4:5], vcc
	s_cbranch_execnz .LBB523_169
.LBB523_145:
	s_or_b64 exec, exec, s[4:5]
	v_cmp_gt_u32_e32 vcc, s33, v25
	s_and_saveexec_b64 s[4:5], vcc
	s_cbranch_execz .LBB523_174
.LBB523_146:
	v_cmp_ge_u32_e32 vcc, v25, v10
                                        ; implicit-def: $vgpr12_vgpr13
	s_and_saveexec_b64 s[6:7], vcc
	s_xor_b64 s[6:7], exec, s[6:7]
; %bb.147:
	v_xor_b32_e32 v12, 0xfffffdff, v0
	v_ashrrev_i32_e32 v13, 31, v12
	v_add_co_u32_e32 v12, vcc, v17, v12
	v_addc_co_u32_e32 v13, vcc, v18, v13, vcc
                                        ; implicit-def: $vgpr25
; %bb.148:
	s_andn2_saveexec_b64 s[6:7], s[6:7]
; %bb.149:
	v_add_co_u32_e32 v12, vcc, v1, v25
	v_addc_co_u32_e32 v13, vcc, 0, v11, vcc
; %bb.150:
	s_or_b64 exec, exec, s[6:7]
	v_lshlrev_b64 v[12:13], 2, v[12:13]
	s_waitcnt lgkmcnt(4)
	v_mov_b32_e32 v14, s25
	v_add_co_u32_e32 v12, vcc, s24, v12
	v_addc_co_u32_e32 v13, vcc, v14, v13, vcc
	s_waitcnt lgkmcnt(3)
	global_store_dword v[12:13], v8, off
	s_or_b64 exec, exec, s[4:5]
	v_cmp_gt_u32_e32 vcc, s33, v24
	s_and_saveexec_b64 s[4:5], vcc
	s_cbranch_execnz .LBB523_175
.LBB523_151:
	s_or_b64 exec, exec, s[4:5]
	v_cmp_gt_u32_e32 vcc, s33, v23
	s_and_saveexec_b64 s[4:5], vcc
	s_cbranch_execz .LBB523_180
.LBB523_152:
	v_cmp_ge_u32_e32 vcc, v23, v10
                                        ; implicit-def: $vgpr8_vgpr9
	s_and_saveexec_b64 s[6:7], vcc
	s_xor_b64 s[6:7], exec, s[6:7]
	s_cbranch_execz .LBB523_154
; %bb.153:
	s_waitcnt lgkmcnt(3)
	v_xor_b32_e32 v8, 0xfffffbff, v0
	v_ashrrev_i32_e32 v9, 31, v8
	v_add_co_u32_e32 v8, vcc, v17, v8
	v_addc_co_u32_e32 v9, vcc, v18, v9, vcc
                                        ; implicit-def: $vgpr23
.LBB523_154:
	s_andn2_saveexec_b64 s[6:7], s[6:7]
	s_cbranch_execz .LBB523_156
; %bb.155:
	s_waitcnt lgkmcnt(3)
	v_add_co_u32_e32 v8, vcc, v1, v23
	v_addc_co_u32_e32 v9, vcc, 0, v11, vcc
.LBB523_156:
	s_or_b64 exec, exec, s[6:7]
	s_waitcnt lgkmcnt(3)
	v_lshlrev_b64 v[8:9], 2, v[8:9]
	v_mov_b32_e32 v12, s25
	v_add_co_u32_e32 v8, vcc, s24, v8
	v_addc_co_u32_e32 v9, vcc, v12, v9, vcc
	s_waitcnt lgkmcnt(2)
	global_store_dword v[8:9], v6, off
	s_or_b64 exec, exec, s[4:5]
	v_cmp_gt_u32_e32 vcc, s33, v22
	s_and_saveexec_b64 s[4:5], vcc
	s_cbranch_execnz .LBB523_181
.LBB523_157:
	s_or_b64 exec, exec, s[4:5]
	v_cmp_gt_u32_e32 vcc, s33, v21
	s_and_saveexec_b64 s[4:5], vcc
	s_cbranch_execz .LBB523_186
.LBB523_158:
	v_cmp_ge_u32_e32 vcc, v21, v10
                                        ; implicit-def: $vgpr6_vgpr7
	s_and_saveexec_b64 s[6:7], vcc
	s_xor_b64 s[6:7], exec, s[6:7]
	s_cbranch_execz .LBB523_160
; %bb.159:
	s_waitcnt lgkmcnt(2)
	v_xor_b32_e32 v6, 0xfffff9ff, v0
	v_ashrrev_i32_e32 v7, 31, v6
	v_add_co_u32_e32 v6, vcc, v17, v6
	v_addc_co_u32_e32 v7, vcc, v18, v7, vcc
                                        ; implicit-def: $vgpr21
.LBB523_160:
	s_andn2_saveexec_b64 s[6:7], s[6:7]
	s_cbranch_execz .LBB523_162
; %bb.161:
	s_waitcnt lgkmcnt(2)
	v_add_co_u32_e32 v6, vcc, v1, v21
	v_addc_co_u32_e32 v7, vcc, 0, v11, vcc
.LBB523_162:
	s_or_b64 exec, exec, s[6:7]
	s_waitcnt lgkmcnt(2)
	v_lshlrev_b64 v[6:7], 2, v[6:7]
	v_mov_b32_e32 v8, s25
	v_add_co_u32_e32 v6, vcc, s24, v6
	v_addc_co_u32_e32 v7, vcc, v8, v7, vcc
	s_waitcnt lgkmcnt(1)
	global_store_dword v[6:7], v4, off
	s_or_b64 exec, exec, s[4:5]
	v_cmp_gt_u32_e32 vcc, s33, v20
	s_and_saveexec_b64 s[4:5], vcc
	s_cbranch_execnz .LBB523_187
.LBB523_163:
	s_or_b64 exec, exec, s[4:5]
	v_cmp_gt_u32_e32 vcc, s33, v19
	s_and_saveexec_b64 s[4:5], vcc
	s_cbranch_execnz .LBB523_192
.LBB523_164:
	s_or_b64 exec, exec, s[4:5]
	v_cmp_gt_u32_e32 vcc, s33, v16
                                        ; implicit-def: $vgpr12_vgpr13
	s_and_saveexec_b64 s[4:5], vcc
	s_cbranch_execnz .LBB523_197
.LBB523_165:
	s_or_b64 exec, exec, s[4:5]
	s_and_saveexec_b64 s[4:5], s[2:3]
	s_cbranch_execnz .LBB523_136
.LBB523_166:
	s_or_b64 exec, exec, s[4:5]
	s_and_b64 s[0:1], s[0:1], s[22:23]
	s_and_saveexec_b64 s[2:3], s[0:1]
	s_cbranch_execz .LBB523_137
.LBB523_167:
	v_add_co_u32_e32 v0, vcc, v1, v10
	s_waitcnt lgkmcnt(0)
	v_mov_b32_e32 v2, 0
	v_addc_co_u32_e32 v1, vcc, 0, v11, vcc
	global_store_dwordx2 v2, v[0:1], s[20:21]
	s_endpgm
.LBB523_168:
	s_or_b64 exec, exec, s[4:5]
	v_cmp_gt_u32_e32 vcc, s33, v26
	s_and_saveexec_b64 s[4:5], vcc
	s_cbranch_execz .LBB523_145
.LBB523_169:
	v_cmp_ge_u32_e32 vcc, v26, v10
                                        ; implicit-def: $vgpr12_vgpr13
	s_and_saveexec_b64 s[6:7], vcc
	s_xor_b64 s[6:7], exec, s[6:7]
; %bb.170:
	v_xor_b32_e32 v12, 0xfffffeff, v0
	v_ashrrev_i32_e32 v13, 31, v12
	v_add_co_u32_e32 v12, vcc, v17, v12
	v_addc_co_u32_e32 v13, vcc, v18, v13, vcc
                                        ; implicit-def: $vgpr26
; %bb.171:
	s_andn2_saveexec_b64 s[6:7], s[6:7]
; %bb.172:
	v_add_co_u32_e32 v12, vcc, v1, v26
	v_addc_co_u32_e32 v13, vcc, 0, v11, vcc
; %bb.173:
	s_or_b64 exec, exec, s[6:7]
	v_lshlrev_b64 v[12:13], 2, v[12:13]
	s_waitcnt lgkmcnt(4)
	v_mov_b32_e32 v14, s25
	v_add_co_u32_e32 v12, vcc, s24, v12
	v_addc_co_u32_e32 v13, vcc, v14, v13, vcc
	global_store_dword v[12:13], v15, off
	s_or_b64 exec, exec, s[4:5]
	v_cmp_gt_u32_e32 vcc, s33, v25
	s_and_saveexec_b64 s[4:5], vcc
	s_cbranch_execnz .LBB523_146
.LBB523_174:
	s_or_b64 exec, exec, s[4:5]
	v_cmp_gt_u32_e32 vcc, s33, v24
	s_and_saveexec_b64 s[4:5], vcc
	s_cbranch_execz .LBB523_151
.LBB523_175:
	v_cmp_ge_u32_e32 vcc, v24, v10
                                        ; implicit-def: $vgpr12_vgpr13
	s_and_saveexec_b64 s[6:7], vcc
	s_xor_b64 s[6:7], exec, s[6:7]
	s_cbranch_execz .LBB523_177
; %bb.176:
	s_waitcnt lgkmcnt(3)
	v_xor_b32_e32 v8, 0xfffffcff, v0
	v_ashrrev_i32_e32 v13, 31, v8
	v_add_co_u32_e32 v12, vcc, v17, v8
	v_addc_co_u32_e32 v13, vcc, v18, v13, vcc
                                        ; implicit-def: $vgpr24
.LBB523_177:
	s_andn2_saveexec_b64 s[6:7], s[6:7]
; %bb.178:
	v_add_co_u32_e32 v12, vcc, v1, v24
	v_addc_co_u32_e32 v13, vcc, 0, v11, vcc
; %bb.179:
	s_or_b64 exec, exec, s[6:7]
	v_lshlrev_b64 v[12:13], 2, v[12:13]
	s_waitcnt lgkmcnt(3)
	v_mov_b32_e32 v8, s25
	v_add_co_u32_e32 v12, vcc, s24, v12
	v_addc_co_u32_e32 v13, vcc, v8, v13, vcc
	global_store_dword v[12:13], v9, off
	s_or_b64 exec, exec, s[4:5]
	v_cmp_gt_u32_e32 vcc, s33, v23
	s_and_saveexec_b64 s[4:5], vcc
	s_cbranch_execnz .LBB523_152
.LBB523_180:
	s_or_b64 exec, exec, s[4:5]
	v_cmp_gt_u32_e32 vcc, s33, v22
	s_and_saveexec_b64 s[4:5], vcc
	s_cbranch_execz .LBB523_157
.LBB523_181:
	v_cmp_ge_u32_e32 vcc, v22, v10
                                        ; implicit-def: $vgpr8_vgpr9
	s_and_saveexec_b64 s[6:7], vcc
	s_xor_b64 s[6:7], exec, s[6:7]
	s_cbranch_execz .LBB523_183
; %bb.182:
	s_waitcnt lgkmcnt(2)
	v_xor_b32_e32 v6, 0xfffffaff, v0
	v_ashrrev_i32_e32 v9, 31, v6
	v_add_co_u32_e32 v8, vcc, v17, v6
	v_addc_co_u32_e32 v9, vcc, v18, v9, vcc
                                        ; implicit-def: $vgpr22
.LBB523_183:
	s_andn2_saveexec_b64 s[6:7], s[6:7]
	s_cbranch_execz .LBB523_185
; %bb.184:
	s_waitcnt lgkmcnt(3)
	v_add_co_u32_e32 v8, vcc, v1, v22
	v_addc_co_u32_e32 v9, vcc, 0, v11, vcc
.LBB523_185:
	s_or_b64 exec, exec, s[6:7]
	s_waitcnt lgkmcnt(3)
	v_lshlrev_b64 v[8:9], 2, v[8:9]
	s_waitcnt lgkmcnt(2)
	v_mov_b32_e32 v6, s25
	v_add_co_u32_e32 v8, vcc, s24, v8
	v_addc_co_u32_e32 v9, vcc, v6, v9, vcc
	global_store_dword v[8:9], v7, off
	s_or_b64 exec, exec, s[4:5]
	v_cmp_gt_u32_e32 vcc, s33, v21
	s_and_saveexec_b64 s[4:5], vcc
	s_cbranch_execnz .LBB523_158
.LBB523_186:
	s_or_b64 exec, exec, s[4:5]
	v_cmp_gt_u32_e32 vcc, s33, v20
	s_and_saveexec_b64 s[4:5], vcc
	s_cbranch_execz .LBB523_163
.LBB523_187:
	v_cmp_ge_u32_e32 vcc, v20, v10
                                        ; implicit-def: $vgpr6_vgpr7
	s_and_saveexec_b64 s[6:7], vcc
	s_xor_b64 s[6:7], exec, s[6:7]
	s_cbranch_execz .LBB523_189
; %bb.188:
	s_waitcnt lgkmcnt(1)
	v_xor_b32_e32 v4, 0xfffff8ff, v0
	v_ashrrev_i32_e32 v7, 31, v4
	v_add_co_u32_e32 v6, vcc, v17, v4
	v_addc_co_u32_e32 v7, vcc, v18, v7, vcc
                                        ; implicit-def: $vgpr20
.LBB523_189:
	s_andn2_saveexec_b64 s[6:7], s[6:7]
	s_cbranch_execz .LBB523_191
; %bb.190:
	s_waitcnt lgkmcnt(2)
	v_add_co_u32_e32 v6, vcc, v1, v20
	v_addc_co_u32_e32 v7, vcc, 0, v11, vcc
.LBB523_191:
	s_or_b64 exec, exec, s[6:7]
	s_waitcnt lgkmcnt(2)
	v_lshlrev_b64 v[6:7], 2, v[6:7]
	s_waitcnt lgkmcnt(1)
	v_mov_b32_e32 v4, s25
	v_add_co_u32_e32 v6, vcc, s24, v6
	v_addc_co_u32_e32 v7, vcc, v4, v7, vcc
	global_store_dword v[6:7], v5, off
	s_or_b64 exec, exec, s[4:5]
	v_cmp_gt_u32_e32 vcc, s33, v19
	s_and_saveexec_b64 s[4:5], vcc
	s_cbranch_execz .LBB523_164
.LBB523_192:
	v_cmp_ge_u32_e32 vcc, v19, v10
                                        ; implicit-def: $vgpr4_vgpr5
	s_and_saveexec_b64 s[6:7], vcc
	s_xor_b64 s[6:7], exec, s[6:7]
	s_cbranch_execz .LBB523_194
; %bb.193:
	s_waitcnt lgkmcnt(1)
	v_xor_b32_e32 v4, 0xfffff7ff, v0
	v_ashrrev_i32_e32 v5, 31, v4
	v_add_co_u32_e32 v4, vcc, v17, v4
	v_addc_co_u32_e32 v5, vcc, v18, v5, vcc
                                        ; implicit-def: $vgpr19
.LBB523_194:
	s_andn2_saveexec_b64 s[6:7], s[6:7]
	s_cbranch_execz .LBB523_196
; %bb.195:
	s_waitcnt lgkmcnt(1)
	v_add_co_u32_e32 v4, vcc, v1, v19
	v_addc_co_u32_e32 v5, vcc, 0, v11, vcc
.LBB523_196:
	s_or_b64 exec, exec, s[6:7]
	s_waitcnt lgkmcnt(1)
	v_lshlrev_b64 v[4:5], 2, v[4:5]
	v_mov_b32_e32 v6, s25
	v_add_co_u32_e32 v4, vcc, s24, v4
	v_addc_co_u32_e32 v5, vcc, v6, v5, vcc
	s_waitcnt lgkmcnt(0)
	global_store_dword v[4:5], v2, off
	s_or_b64 exec, exec, s[4:5]
	v_cmp_gt_u32_e32 vcc, s33, v16
                                        ; implicit-def: $vgpr12_vgpr13
	s_and_saveexec_b64 s[4:5], vcc
	s_cbranch_execz .LBB523_165
.LBB523_197:
	v_cmp_ge_u32_e32 vcc, v16, v10
                                        ; implicit-def: $vgpr12_vgpr13
	s_and_saveexec_b64 s[6:7], vcc
	s_xor_b64 s[6:7], exec, s[6:7]
	s_cbranch_execz .LBB523_199
; %bb.198:
	v_xor_b32_e32 v0, 0xfffff6ff, v0
	s_waitcnt lgkmcnt(0)
	v_ashrrev_i32_e32 v2, 31, v0
	v_add_co_u32_e32 v12, vcc, v17, v0
	v_addc_co_u32_e32 v13, vcc, v18, v2, vcc
                                        ; implicit-def: $vgpr16
.LBB523_199:
	s_andn2_saveexec_b64 s[6:7], s[6:7]
; %bb.200:
	v_add_co_u32_e32 v12, vcc, v1, v16
	v_addc_co_u32_e32 v13, vcc, 0, v11, vcc
; %bb.201:
	s_or_b64 exec, exec, s[6:7]
	s_or_b64 s[2:3], s[2:3], exec
	s_or_b64 exec, exec, s[4:5]
	s_and_saveexec_b64 s[4:5], s[2:3]
	s_cbranch_execnz .LBB523_136
	s_branch .LBB523_166
	.section	.rodata,"a",@progbits
	.p2align	6, 0x0
	.amdhsa_kernel _ZN7rocprim17ROCPRIM_400000_NS6detail17trampoline_kernelINS0_14default_configENS1_25partition_config_selectorILNS1_17partition_subalgoE2EiNS0_10empty_typeEbEEZZNS1_14partition_implILS5_2ELb0ES3_jN6thrust23THRUST_200600_302600_NS6detail15normal_iteratorINSA_7pointerIiNSA_11hip_rocprim3tagENSA_11use_defaultESG_EEEEPS6_NSA_18transform_iteratorINSA_8identityIiEENSC_INSA_10device_ptrIiEEEESG_SG_EENS0_5tupleIJPiSJ_EEENSR_IJSJ_SJ_EEES6_PlJS6_EEE10hipError_tPvRmT3_T4_T5_T6_T7_T9_mT8_P12ihipStream_tbDpT10_ENKUlT_T0_E_clISt17integral_constantIbLb1EES1F_EEDaS1A_S1B_EUlS1A_E_NS1_11comp_targetILNS1_3genE4ELNS1_11target_archE910ELNS1_3gpuE8ELNS1_3repE0EEENS1_30default_config_static_selectorELNS0_4arch9wavefront6targetE1EEEvT1_
		.amdhsa_group_segment_fixed_size 10248
		.amdhsa_private_segment_fixed_size 0
		.amdhsa_kernarg_size 144
		.amdhsa_user_sgpr_count 6
		.amdhsa_user_sgpr_private_segment_buffer 1
		.amdhsa_user_sgpr_dispatch_ptr 0
		.amdhsa_user_sgpr_queue_ptr 0
		.amdhsa_user_sgpr_kernarg_segment_ptr 1
		.amdhsa_user_sgpr_dispatch_id 0
		.amdhsa_user_sgpr_flat_scratch_init 0
		.amdhsa_user_sgpr_kernarg_preload_length 0
		.amdhsa_user_sgpr_kernarg_preload_offset 0
		.amdhsa_user_sgpr_private_segment_size 0
		.amdhsa_uses_dynamic_stack 0
		.amdhsa_system_sgpr_private_segment_wavefront_offset 0
		.amdhsa_system_sgpr_workgroup_id_x 1
		.amdhsa_system_sgpr_workgroup_id_y 0
		.amdhsa_system_sgpr_workgroup_id_z 0
		.amdhsa_system_sgpr_workgroup_info 0
		.amdhsa_system_vgpr_workitem_id 0
		.amdhsa_next_free_vgpr 56
		.amdhsa_next_free_sgpr 46
		.amdhsa_accum_offset 56
		.amdhsa_reserve_vcc 1
		.amdhsa_reserve_flat_scratch 0
		.amdhsa_float_round_mode_32 0
		.amdhsa_float_round_mode_16_64 0
		.amdhsa_float_denorm_mode_32 3
		.amdhsa_float_denorm_mode_16_64 3
		.amdhsa_dx10_clamp 1
		.amdhsa_ieee_mode 1
		.amdhsa_fp16_overflow 0
		.amdhsa_tg_split 0
		.amdhsa_exception_fp_ieee_invalid_op 0
		.amdhsa_exception_fp_denorm_src 0
		.amdhsa_exception_fp_ieee_div_zero 0
		.amdhsa_exception_fp_ieee_overflow 0
		.amdhsa_exception_fp_ieee_underflow 0
		.amdhsa_exception_fp_ieee_inexact 0
		.amdhsa_exception_int_div_zero 0
	.end_amdhsa_kernel
	.section	.text._ZN7rocprim17ROCPRIM_400000_NS6detail17trampoline_kernelINS0_14default_configENS1_25partition_config_selectorILNS1_17partition_subalgoE2EiNS0_10empty_typeEbEEZZNS1_14partition_implILS5_2ELb0ES3_jN6thrust23THRUST_200600_302600_NS6detail15normal_iteratorINSA_7pointerIiNSA_11hip_rocprim3tagENSA_11use_defaultESG_EEEEPS6_NSA_18transform_iteratorINSA_8identityIiEENSC_INSA_10device_ptrIiEEEESG_SG_EENS0_5tupleIJPiSJ_EEENSR_IJSJ_SJ_EEES6_PlJS6_EEE10hipError_tPvRmT3_T4_T5_T6_T7_T9_mT8_P12ihipStream_tbDpT10_ENKUlT_T0_E_clISt17integral_constantIbLb1EES1F_EEDaS1A_S1B_EUlS1A_E_NS1_11comp_targetILNS1_3genE4ELNS1_11target_archE910ELNS1_3gpuE8ELNS1_3repE0EEENS1_30default_config_static_selectorELNS0_4arch9wavefront6targetE1EEEvT1_,"axG",@progbits,_ZN7rocprim17ROCPRIM_400000_NS6detail17trampoline_kernelINS0_14default_configENS1_25partition_config_selectorILNS1_17partition_subalgoE2EiNS0_10empty_typeEbEEZZNS1_14partition_implILS5_2ELb0ES3_jN6thrust23THRUST_200600_302600_NS6detail15normal_iteratorINSA_7pointerIiNSA_11hip_rocprim3tagENSA_11use_defaultESG_EEEEPS6_NSA_18transform_iteratorINSA_8identityIiEENSC_INSA_10device_ptrIiEEEESG_SG_EENS0_5tupleIJPiSJ_EEENSR_IJSJ_SJ_EEES6_PlJS6_EEE10hipError_tPvRmT3_T4_T5_T6_T7_T9_mT8_P12ihipStream_tbDpT10_ENKUlT_T0_E_clISt17integral_constantIbLb1EES1F_EEDaS1A_S1B_EUlS1A_E_NS1_11comp_targetILNS1_3genE4ELNS1_11target_archE910ELNS1_3gpuE8ELNS1_3repE0EEENS1_30default_config_static_selectorELNS0_4arch9wavefront6targetE1EEEvT1_,comdat
.Lfunc_end523:
	.size	_ZN7rocprim17ROCPRIM_400000_NS6detail17trampoline_kernelINS0_14default_configENS1_25partition_config_selectorILNS1_17partition_subalgoE2EiNS0_10empty_typeEbEEZZNS1_14partition_implILS5_2ELb0ES3_jN6thrust23THRUST_200600_302600_NS6detail15normal_iteratorINSA_7pointerIiNSA_11hip_rocprim3tagENSA_11use_defaultESG_EEEEPS6_NSA_18transform_iteratorINSA_8identityIiEENSC_INSA_10device_ptrIiEEEESG_SG_EENS0_5tupleIJPiSJ_EEENSR_IJSJ_SJ_EEES6_PlJS6_EEE10hipError_tPvRmT3_T4_T5_T6_T7_T9_mT8_P12ihipStream_tbDpT10_ENKUlT_T0_E_clISt17integral_constantIbLb1EES1F_EEDaS1A_S1B_EUlS1A_E_NS1_11comp_targetILNS1_3genE4ELNS1_11target_archE910ELNS1_3gpuE8ELNS1_3repE0EEENS1_30default_config_static_selectorELNS0_4arch9wavefront6targetE1EEEvT1_, .Lfunc_end523-_ZN7rocprim17ROCPRIM_400000_NS6detail17trampoline_kernelINS0_14default_configENS1_25partition_config_selectorILNS1_17partition_subalgoE2EiNS0_10empty_typeEbEEZZNS1_14partition_implILS5_2ELb0ES3_jN6thrust23THRUST_200600_302600_NS6detail15normal_iteratorINSA_7pointerIiNSA_11hip_rocprim3tagENSA_11use_defaultESG_EEEEPS6_NSA_18transform_iteratorINSA_8identityIiEENSC_INSA_10device_ptrIiEEEESG_SG_EENS0_5tupleIJPiSJ_EEENSR_IJSJ_SJ_EEES6_PlJS6_EEE10hipError_tPvRmT3_T4_T5_T6_T7_T9_mT8_P12ihipStream_tbDpT10_ENKUlT_T0_E_clISt17integral_constantIbLb1EES1F_EEDaS1A_S1B_EUlS1A_E_NS1_11comp_targetILNS1_3genE4ELNS1_11target_archE910ELNS1_3gpuE8ELNS1_3repE0EEENS1_30default_config_static_selectorELNS0_4arch9wavefront6targetE1EEEvT1_
                                        ; -- End function
	.section	.AMDGPU.csdata,"",@progbits
; Kernel info:
; codeLenInByte = 6908
; NumSgprs: 50
; NumVgprs: 56
; NumAgprs: 0
; TotalNumVgprs: 56
; ScratchSize: 0
; MemoryBound: 0
; FloatMode: 240
; IeeeMode: 1
; LDSByteSize: 10248 bytes/workgroup (compile time only)
; SGPRBlocks: 6
; VGPRBlocks: 6
; NumSGPRsForWavesPerEU: 50
; NumVGPRsForWavesPerEU: 56
; AccumOffset: 56
; Occupancy: 6
; WaveLimiterHint : 1
; COMPUTE_PGM_RSRC2:SCRATCH_EN: 0
; COMPUTE_PGM_RSRC2:USER_SGPR: 6
; COMPUTE_PGM_RSRC2:TRAP_HANDLER: 0
; COMPUTE_PGM_RSRC2:TGID_X_EN: 1
; COMPUTE_PGM_RSRC2:TGID_Y_EN: 0
; COMPUTE_PGM_RSRC2:TGID_Z_EN: 0
; COMPUTE_PGM_RSRC2:TIDIG_COMP_CNT: 0
; COMPUTE_PGM_RSRC3_GFX90A:ACCUM_OFFSET: 13
; COMPUTE_PGM_RSRC3_GFX90A:TG_SPLIT: 0
	.section	.text._ZN7rocprim17ROCPRIM_400000_NS6detail17trampoline_kernelINS0_14default_configENS1_25partition_config_selectorILNS1_17partition_subalgoE2EiNS0_10empty_typeEbEEZZNS1_14partition_implILS5_2ELb0ES3_jN6thrust23THRUST_200600_302600_NS6detail15normal_iteratorINSA_7pointerIiNSA_11hip_rocprim3tagENSA_11use_defaultESG_EEEEPS6_NSA_18transform_iteratorINSA_8identityIiEENSC_INSA_10device_ptrIiEEEESG_SG_EENS0_5tupleIJPiSJ_EEENSR_IJSJ_SJ_EEES6_PlJS6_EEE10hipError_tPvRmT3_T4_T5_T6_T7_T9_mT8_P12ihipStream_tbDpT10_ENKUlT_T0_E_clISt17integral_constantIbLb1EES1F_EEDaS1A_S1B_EUlS1A_E_NS1_11comp_targetILNS1_3genE3ELNS1_11target_archE908ELNS1_3gpuE7ELNS1_3repE0EEENS1_30default_config_static_selectorELNS0_4arch9wavefront6targetE1EEEvT1_,"axG",@progbits,_ZN7rocprim17ROCPRIM_400000_NS6detail17trampoline_kernelINS0_14default_configENS1_25partition_config_selectorILNS1_17partition_subalgoE2EiNS0_10empty_typeEbEEZZNS1_14partition_implILS5_2ELb0ES3_jN6thrust23THRUST_200600_302600_NS6detail15normal_iteratorINSA_7pointerIiNSA_11hip_rocprim3tagENSA_11use_defaultESG_EEEEPS6_NSA_18transform_iteratorINSA_8identityIiEENSC_INSA_10device_ptrIiEEEESG_SG_EENS0_5tupleIJPiSJ_EEENSR_IJSJ_SJ_EEES6_PlJS6_EEE10hipError_tPvRmT3_T4_T5_T6_T7_T9_mT8_P12ihipStream_tbDpT10_ENKUlT_T0_E_clISt17integral_constantIbLb1EES1F_EEDaS1A_S1B_EUlS1A_E_NS1_11comp_targetILNS1_3genE3ELNS1_11target_archE908ELNS1_3gpuE7ELNS1_3repE0EEENS1_30default_config_static_selectorELNS0_4arch9wavefront6targetE1EEEvT1_,comdat
	.protected	_ZN7rocprim17ROCPRIM_400000_NS6detail17trampoline_kernelINS0_14default_configENS1_25partition_config_selectorILNS1_17partition_subalgoE2EiNS0_10empty_typeEbEEZZNS1_14partition_implILS5_2ELb0ES3_jN6thrust23THRUST_200600_302600_NS6detail15normal_iteratorINSA_7pointerIiNSA_11hip_rocprim3tagENSA_11use_defaultESG_EEEEPS6_NSA_18transform_iteratorINSA_8identityIiEENSC_INSA_10device_ptrIiEEEESG_SG_EENS0_5tupleIJPiSJ_EEENSR_IJSJ_SJ_EEES6_PlJS6_EEE10hipError_tPvRmT3_T4_T5_T6_T7_T9_mT8_P12ihipStream_tbDpT10_ENKUlT_T0_E_clISt17integral_constantIbLb1EES1F_EEDaS1A_S1B_EUlS1A_E_NS1_11comp_targetILNS1_3genE3ELNS1_11target_archE908ELNS1_3gpuE7ELNS1_3repE0EEENS1_30default_config_static_selectorELNS0_4arch9wavefront6targetE1EEEvT1_ ; -- Begin function _ZN7rocprim17ROCPRIM_400000_NS6detail17trampoline_kernelINS0_14default_configENS1_25partition_config_selectorILNS1_17partition_subalgoE2EiNS0_10empty_typeEbEEZZNS1_14partition_implILS5_2ELb0ES3_jN6thrust23THRUST_200600_302600_NS6detail15normal_iteratorINSA_7pointerIiNSA_11hip_rocprim3tagENSA_11use_defaultESG_EEEEPS6_NSA_18transform_iteratorINSA_8identityIiEENSC_INSA_10device_ptrIiEEEESG_SG_EENS0_5tupleIJPiSJ_EEENSR_IJSJ_SJ_EEES6_PlJS6_EEE10hipError_tPvRmT3_T4_T5_T6_T7_T9_mT8_P12ihipStream_tbDpT10_ENKUlT_T0_E_clISt17integral_constantIbLb1EES1F_EEDaS1A_S1B_EUlS1A_E_NS1_11comp_targetILNS1_3genE3ELNS1_11target_archE908ELNS1_3gpuE7ELNS1_3repE0EEENS1_30default_config_static_selectorELNS0_4arch9wavefront6targetE1EEEvT1_
	.globl	_ZN7rocprim17ROCPRIM_400000_NS6detail17trampoline_kernelINS0_14default_configENS1_25partition_config_selectorILNS1_17partition_subalgoE2EiNS0_10empty_typeEbEEZZNS1_14partition_implILS5_2ELb0ES3_jN6thrust23THRUST_200600_302600_NS6detail15normal_iteratorINSA_7pointerIiNSA_11hip_rocprim3tagENSA_11use_defaultESG_EEEEPS6_NSA_18transform_iteratorINSA_8identityIiEENSC_INSA_10device_ptrIiEEEESG_SG_EENS0_5tupleIJPiSJ_EEENSR_IJSJ_SJ_EEES6_PlJS6_EEE10hipError_tPvRmT3_T4_T5_T6_T7_T9_mT8_P12ihipStream_tbDpT10_ENKUlT_T0_E_clISt17integral_constantIbLb1EES1F_EEDaS1A_S1B_EUlS1A_E_NS1_11comp_targetILNS1_3genE3ELNS1_11target_archE908ELNS1_3gpuE7ELNS1_3repE0EEENS1_30default_config_static_selectorELNS0_4arch9wavefront6targetE1EEEvT1_
	.p2align	8
	.type	_ZN7rocprim17ROCPRIM_400000_NS6detail17trampoline_kernelINS0_14default_configENS1_25partition_config_selectorILNS1_17partition_subalgoE2EiNS0_10empty_typeEbEEZZNS1_14partition_implILS5_2ELb0ES3_jN6thrust23THRUST_200600_302600_NS6detail15normal_iteratorINSA_7pointerIiNSA_11hip_rocprim3tagENSA_11use_defaultESG_EEEEPS6_NSA_18transform_iteratorINSA_8identityIiEENSC_INSA_10device_ptrIiEEEESG_SG_EENS0_5tupleIJPiSJ_EEENSR_IJSJ_SJ_EEES6_PlJS6_EEE10hipError_tPvRmT3_T4_T5_T6_T7_T9_mT8_P12ihipStream_tbDpT10_ENKUlT_T0_E_clISt17integral_constantIbLb1EES1F_EEDaS1A_S1B_EUlS1A_E_NS1_11comp_targetILNS1_3genE3ELNS1_11target_archE908ELNS1_3gpuE7ELNS1_3repE0EEENS1_30default_config_static_selectorELNS0_4arch9wavefront6targetE1EEEvT1_,@function
_ZN7rocprim17ROCPRIM_400000_NS6detail17trampoline_kernelINS0_14default_configENS1_25partition_config_selectorILNS1_17partition_subalgoE2EiNS0_10empty_typeEbEEZZNS1_14partition_implILS5_2ELb0ES3_jN6thrust23THRUST_200600_302600_NS6detail15normal_iteratorINSA_7pointerIiNSA_11hip_rocprim3tagENSA_11use_defaultESG_EEEEPS6_NSA_18transform_iteratorINSA_8identityIiEENSC_INSA_10device_ptrIiEEEESG_SG_EENS0_5tupleIJPiSJ_EEENSR_IJSJ_SJ_EEES6_PlJS6_EEE10hipError_tPvRmT3_T4_T5_T6_T7_T9_mT8_P12ihipStream_tbDpT10_ENKUlT_T0_E_clISt17integral_constantIbLb1EES1F_EEDaS1A_S1B_EUlS1A_E_NS1_11comp_targetILNS1_3genE3ELNS1_11target_archE908ELNS1_3gpuE7ELNS1_3repE0EEENS1_30default_config_static_selectorELNS0_4arch9wavefront6targetE1EEEvT1_: ; @_ZN7rocprim17ROCPRIM_400000_NS6detail17trampoline_kernelINS0_14default_configENS1_25partition_config_selectorILNS1_17partition_subalgoE2EiNS0_10empty_typeEbEEZZNS1_14partition_implILS5_2ELb0ES3_jN6thrust23THRUST_200600_302600_NS6detail15normal_iteratorINSA_7pointerIiNSA_11hip_rocprim3tagENSA_11use_defaultESG_EEEEPS6_NSA_18transform_iteratorINSA_8identityIiEENSC_INSA_10device_ptrIiEEEESG_SG_EENS0_5tupleIJPiSJ_EEENSR_IJSJ_SJ_EEES6_PlJS6_EEE10hipError_tPvRmT3_T4_T5_T6_T7_T9_mT8_P12ihipStream_tbDpT10_ENKUlT_T0_E_clISt17integral_constantIbLb1EES1F_EEDaS1A_S1B_EUlS1A_E_NS1_11comp_targetILNS1_3genE3ELNS1_11target_archE908ELNS1_3gpuE7ELNS1_3repE0EEENS1_30default_config_static_selectorELNS0_4arch9wavefront6targetE1EEEvT1_
; %bb.0:
	.section	.rodata,"a",@progbits
	.p2align	6, 0x0
	.amdhsa_kernel _ZN7rocprim17ROCPRIM_400000_NS6detail17trampoline_kernelINS0_14default_configENS1_25partition_config_selectorILNS1_17partition_subalgoE2EiNS0_10empty_typeEbEEZZNS1_14partition_implILS5_2ELb0ES3_jN6thrust23THRUST_200600_302600_NS6detail15normal_iteratorINSA_7pointerIiNSA_11hip_rocprim3tagENSA_11use_defaultESG_EEEEPS6_NSA_18transform_iteratorINSA_8identityIiEENSC_INSA_10device_ptrIiEEEESG_SG_EENS0_5tupleIJPiSJ_EEENSR_IJSJ_SJ_EEES6_PlJS6_EEE10hipError_tPvRmT3_T4_T5_T6_T7_T9_mT8_P12ihipStream_tbDpT10_ENKUlT_T0_E_clISt17integral_constantIbLb1EES1F_EEDaS1A_S1B_EUlS1A_E_NS1_11comp_targetILNS1_3genE3ELNS1_11target_archE908ELNS1_3gpuE7ELNS1_3repE0EEENS1_30default_config_static_selectorELNS0_4arch9wavefront6targetE1EEEvT1_
		.amdhsa_group_segment_fixed_size 0
		.amdhsa_private_segment_fixed_size 0
		.amdhsa_kernarg_size 144
		.amdhsa_user_sgpr_count 6
		.amdhsa_user_sgpr_private_segment_buffer 1
		.amdhsa_user_sgpr_dispatch_ptr 0
		.amdhsa_user_sgpr_queue_ptr 0
		.amdhsa_user_sgpr_kernarg_segment_ptr 1
		.amdhsa_user_sgpr_dispatch_id 0
		.amdhsa_user_sgpr_flat_scratch_init 0
		.amdhsa_user_sgpr_kernarg_preload_length 0
		.amdhsa_user_sgpr_kernarg_preload_offset 0
		.amdhsa_user_sgpr_private_segment_size 0
		.amdhsa_uses_dynamic_stack 0
		.amdhsa_system_sgpr_private_segment_wavefront_offset 0
		.amdhsa_system_sgpr_workgroup_id_x 1
		.amdhsa_system_sgpr_workgroup_id_y 0
		.amdhsa_system_sgpr_workgroup_id_z 0
		.amdhsa_system_sgpr_workgroup_info 0
		.amdhsa_system_vgpr_workitem_id 0
		.amdhsa_next_free_vgpr 1
		.amdhsa_next_free_sgpr 0
		.amdhsa_accum_offset 4
		.amdhsa_reserve_vcc 0
		.amdhsa_reserve_flat_scratch 0
		.amdhsa_float_round_mode_32 0
		.amdhsa_float_round_mode_16_64 0
		.amdhsa_float_denorm_mode_32 3
		.amdhsa_float_denorm_mode_16_64 3
		.amdhsa_dx10_clamp 1
		.amdhsa_ieee_mode 1
		.amdhsa_fp16_overflow 0
		.amdhsa_tg_split 0
		.amdhsa_exception_fp_ieee_invalid_op 0
		.amdhsa_exception_fp_denorm_src 0
		.amdhsa_exception_fp_ieee_div_zero 0
		.amdhsa_exception_fp_ieee_overflow 0
		.amdhsa_exception_fp_ieee_underflow 0
		.amdhsa_exception_fp_ieee_inexact 0
		.amdhsa_exception_int_div_zero 0
	.end_amdhsa_kernel
	.section	.text._ZN7rocprim17ROCPRIM_400000_NS6detail17trampoline_kernelINS0_14default_configENS1_25partition_config_selectorILNS1_17partition_subalgoE2EiNS0_10empty_typeEbEEZZNS1_14partition_implILS5_2ELb0ES3_jN6thrust23THRUST_200600_302600_NS6detail15normal_iteratorINSA_7pointerIiNSA_11hip_rocprim3tagENSA_11use_defaultESG_EEEEPS6_NSA_18transform_iteratorINSA_8identityIiEENSC_INSA_10device_ptrIiEEEESG_SG_EENS0_5tupleIJPiSJ_EEENSR_IJSJ_SJ_EEES6_PlJS6_EEE10hipError_tPvRmT3_T4_T5_T6_T7_T9_mT8_P12ihipStream_tbDpT10_ENKUlT_T0_E_clISt17integral_constantIbLb1EES1F_EEDaS1A_S1B_EUlS1A_E_NS1_11comp_targetILNS1_3genE3ELNS1_11target_archE908ELNS1_3gpuE7ELNS1_3repE0EEENS1_30default_config_static_selectorELNS0_4arch9wavefront6targetE1EEEvT1_,"axG",@progbits,_ZN7rocprim17ROCPRIM_400000_NS6detail17trampoline_kernelINS0_14default_configENS1_25partition_config_selectorILNS1_17partition_subalgoE2EiNS0_10empty_typeEbEEZZNS1_14partition_implILS5_2ELb0ES3_jN6thrust23THRUST_200600_302600_NS6detail15normal_iteratorINSA_7pointerIiNSA_11hip_rocprim3tagENSA_11use_defaultESG_EEEEPS6_NSA_18transform_iteratorINSA_8identityIiEENSC_INSA_10device_ptrIiEEEESG_SG_EENS0_5tupleIJPiSJ_EEENSR_IJSJ_SJ_EEES6_PlJS6_EEE10hipError_tPvRmT3_T4_T5_T6_T7_T9_mT8_P12ihipStream_tbDpT10_ENKUlT_T0_E_clISt17integral_constantIbLb1EES1F_EEDaS1A_S1B_EUlS1A_E_NS1_11comp_targetILNS1_3genE3ELNS1_11target_archE908ELNS1_3gpuE7ELNS1_3repE0EEENS1_30default_config_static_selectorELNS0_4arch9wavefront6targetE1EEEvT1_,comdat
.Lfunc_end524:
	.size	_ZN7rocprim17ROCPRIM_400000_NS6detail17trampoline_kernelINS0_14default_configENS1_25partition_config_selectorILNS1_17partition_subalgoE2EiNS0_10empty_typeEbEEZZNS1_14partition_implILS5_2ELb0ES3_jN6thrust23THRUST_200600_302600_NS6detail15normal_iteratorINSA_7pointerIiNSA_11hip_rocprim3tagENSA_11use_defaultESG_EEEEPS6_NSA_18transform_iteratorINSA_8identityIiEENSC_INSA_10device_ptrIiEEEESG_SG_EENS0_5tupleIJPiSJ_EEENSR_IJSJ_SJ_EEES6_PlJS6_EEE10hipError_tPvRmT3_T4_T5_T6_T7_T9_mT8_P12ihipStream_tbDpT10_ENKUlT_T0_E_clISt17integral_constantIbLb1EES1F_EEDaS1A_S1B_EUlS1A_E_NS1_11comp_targetILNS1_3genE3ELNS1_11target_archE908ELNS1_3gpuE7ELNS1_3repE0EEENS1_30default_config_static_selectorELNS0_4arch9wavefront6targetE1EEEvT1_, .Lfunc_end524-_ZN7rocprim17ROCPRIM_400000_NS6detail17trampoline_kernelINS0_14default_configENS1_25partition_config_selectorILNS1_17partition_subalgoE2EiNS0_10empty_typeEbEEZZNS1_14partition_implILS5_2ELb0ES3_jN6thrust23THRUST_200600_302600_NS6detail15normal_iteratorINSA_7pointerIiNSA_11hip_rocprim3tagENSA_11use_defaultESG_EEEEPS6_NSA_18transform_iteratorINSA_8identityIiEENSC_INSA_10device_ptrIiEEEESG_SG_EENS0_5tupleIJPiSJ_EEENSR_IJSJ_SJ_EEES6_PlJS6_EEE10hipError_tPvRmT3_T4_T5_T6_T7_T9_mT8_P12ihipStream_tbDpT10_ENKUlT_T0_E_clISt17integral_constantIbLb1EES1F_EEDaS1A_S1B_EUlS1A_E_NS1_11comp_targetILNS1_3genE3ELNS1_11target_archE908ELNS1_3gpuE7ELNS1_3repE0EEENS1_30default_config_static_selectorELNS0_4arch9wavefront6targetE1EEEvT1_
                                        ; -- End function
	.section	.AMDGPU.csdata,"",@progbits
; Kernel info:
; codeLenInByte = 0
; NumSgprs: 4
; NumVgprs: 0
; NumAgprs: 0
; TotalNumVgprs: 0
; ScratchSize: 0
; MemoryBound: 0
; FloatMode: 240
; IeeeMode: 1
; LDSByteSize: 0 bytes/workgroup (compile time only)
; SGPRBlocks: 0
; VGPRBlocks: 0
; NumSGPRsForWavesPerEU: 4
; NumVGPRsForWavesPerEU: 1
; AccumOffset: 4
; Occupancy: 8
; WaveLimiterHint : 0
; COMPUTE_PGM_RSRC2:SCRATCH_EN: 0
; COMPUTE_PGM_RSRC2:USER_SGPR: 6
; COMPUTE_PGM_RSRC2:TRAP_HANDLER: 0
; COMPUTE_PGM_RSRC2:TGID_X_EN: 1
; COMPUTE_PGM_RSRC2:TGID_Y_EN: 0
; COMPUTE_PGM_RSRC2:TGID_Z_EN: 0
; COMPUTE_PGM_RSRC2:TIDIG_COMP_CNT: 0
; COMPUTE_PGM_RSRC3_GFX90A:ACCUM_OFFSET: 0
; COMPUTE_PGM_RSRC3_GFX90A:TG_SPLIT: 0
	.section	.text._ZN7rocprim17ROCPRIM_400000_NS6detail17trampoline_kernelINS0_14default_configENS1_25partition_config_selectorILNS1_17partition_subalgoE2EiNS0_10empty_typeEbEEZZNS1_14partition_implILS5_2ELb0ES3_jN6thrust23THRUST_200600_302600_NS6detail15normal_iteratorINSA_7pointerIiNSA_11hip_rocprim3tagENSA_11use_defaultESG_EEEEPS6_NSA_18transform_iteratorINSA_8identityIiEENSC_INSA_10device_ptrIiEEEESG_SG_EENS0_5tupleIJPiSJ_EEENSR_IJSJ_SJ_EEES6_PlJS6_EEE10hipError_tPvRmT3_T4_T5_T6_T7_T9_mT8_P12ihipStream_tbDpT10_ENKUlT_T0_E_clISt17integral_constantIbLb1EES1F_EEDaS1A_S1B_EUlS1A_E_NS1_11comp_targetILNS1_3genE2ELNS1_11target_archE906ELNS1_3gpuE6ELNS1_3repE0EEENS1_30default_config_static_selectorELNS0_4arch9wavefront6targetE1EEEvT1_,"axG",@progbits,_ZN7rocprim17ROCPRIM_400000_NS6detail17trampoline_kernelINS0_14default_configENS1_25partition_config_selectorILNS1_17partition_subalgoE2EiNS0_10empty_typeEbEEZZNS1_14partition_implILS5_2ELb0ES3_jN6thrust23THRUST_200600_302600_NS6detail15normal_iteratorINSA_7pointerIiNSA_11hip_rocprim3tagENSA_11use_defaultESG_EEEEPS6_NSA_18transform_iteratorINSA_8identityIiEENSC_INSA_10device_ptrIiEEEESG_SG_EENS0_5tupleIJPiSJ_EEENSR_IJSJ_SJ_EEES6_PlJS6_EEE10hipError_tPvRmT3_T4_T5_T6_T7_T9_mT8_P12ihipStream_tbDpT10_ENKUlT_T0_E_clISt17integral_constantIbLb1EES1F_EEDaS1A_S1B_EUlS1A_E_NS1_11comp_targetILNS1_3genE2ELNS1_11target_archE906ELNS1_3gpuE6ELNS1_3repE0EEENS1_30default_config_static_selectorELNS0_4arch9wavefront6targetE1EEEvT1_,comdat
	.protected	_ZN7rocprim17ROCPRIM_400000_NS6detail17trampoline_kernelINS0_14default_configENS1_25partition_config_selectorILNS1_17partition_subalgoE2EiNS0_10empty_typeEbEEZZNS1_14partition_implILS5_2ELb0ES3_jN6thrust23THRUST_200600_302600_NS6detail15normal_iteratorINSA_7pointerIiNSA_11hip_rocprim3tagENSA_11use_defaultESG_EEEEPS6_NSA_18transform_iteratorINSA_8identityIiEENSC_INSA_10device_ptrIiEEEESG_SG_EENS0_5tupleIJPiSJ_EEENSR_IJSJ_SJ_EEES6_PlJS6_EEE10hipError_tPvRmT3_T4_T5_T6_T7_T9_mT8_P12ihipStream_tbDpT10_ENKUlT_T0_E_clISt17integral_constantIbLb1EES1F_EEDaS1A_S1B_EUlS1A_E_NS1_11comp_targetILNS1_3genE2ELNS1_11target_archE906ELNS1_3gpuE6ELNS1_3repE0EEENS1_30default_config_static_selectorELNS0_4arch9wavefront6targetE1EEEvT1_ ; -- Begin function _ZN7rocprim17ROCPRIM_400000_NS6detail17trampoline_kernelINS0_14default_configENS1_25partition_config_selectorILNS1_17partition_subalgoE2EiNS0_10empty_typeEbEEZZNS1_14partition_implILS5_2ELb0ES3_jN6thrust23THRUST_200600_302600_NS6detail15normal_iteratorINSA_7pointerIiNSA_11hip_rocprim3tagENSA_11use_defaultESG_EEEEPS6_NSA_18transform_iteratorINSA_8identityIiEENSC_INSA_10device_ptrIiEEEESG_SG_EENS0_5tupleIJPiSJ_EEENSR_IJSJ_SJ_EEES6_PlJS6_EEE10hipError_tPvRmT3_T4_T5_T6_T7_T9_mT8_P12ihipStream_tbDpT10_ENKUlT_T0_E_clISt17integral_constantIbLb1EES1F_EEDaS1A_S1B_EUlS1A_E_NS1_11comp_targetILNS1_3genE2ELNS1_11target_archE906ELNS1_3gpuE6ELNS1_3repE0EEENS1_30default_config_static_selectorELNS0_4arch9wavefront6targetE1EEEvT1_
	.globl	_ZN7rocprim17ROCPRIM_400000_NS6detail17trampoline_kernelINS0_14default_configENS1_25partition_config_selectorILNS1_17partition_subalgoE2EiNS0_10empty_typeEbEEZZNS1_14partition_implILS5_2ELb0ES3_jN6thrust23THRUST_200600_302600_NS6detail15normal_iteratorINSA_7pointerIiNSA_11hip_rocprim3tagENSA_11use_defaultESG_EEEEPS6_NSA_18transform_iteratorINSA_8identityIiEENSC_INSA_10device_ptrIiEEEESG_SG_EENS0_5tupleIJPiSJ_EEENSR_IJSJ_SJ_EEES6_PlJS6_EEE10hipError_tPvRmT3_T4_T5_T6_T7_T9_mT8_P12ihipStream_tbDpT10_ENKUlT_T0_E_clISt17integral_constantIbLb1EES1F_EEDaS1A_S1B_EUlS1A_E_NS1_11comp_targetILNS1_3genE2ELNS1_11target_archE906ELNS1_3gpuE6ELNS1_3repE0EEENS1_30default_config_static_selectorELNS0_4arch9wavefront6targetE1EEEvT1_
	.p2align	8
	.type	_ZN7rocprim17ROCPRIM_400000_NS6detail17trampoline_kernelINS0_14default_configENS1_25partition_config_selectorILNS1_17partition_subalgoE2EiNS0_10empty_typeEbEEZZNS1_14partition_implILS5_2ELb0ES3_jN6thrust23THRUST_200600_302600_NS6detail15normal_iteratorINSA_7pointerIiNSA_11hip_rocprim3tagENSA_11use_defaultESG_EEEEPS6_NSA_18transform_iteratorINSA_8identityIiEENSC_INSA_10device_ptrIiEEEESG_SG_EENS0_5tupleIJPiSJ_EEENSR_IJSJ_SJ_EEES6_PlJS6_EEE10hipError_tPvRmT3_T4_T5_T6_T7_T9_mT8_P12ihipStream_tbDpT10_ENKUlT_T0_E_clISt17integral_constantIbLb1EES1F_EEDaS1A_S1B_EUlS1A_E_NS1_11comp_targetILNS1_3genE2ELNS1_11target_archE906ELNS1_3gpuE6ELNS1_3repE0EEENS1_30default_config_static_selectorELNS0_4arch9wavefront6targetE1EEEvT1_,@function
_ZN7rocprim17ROCPRIM_400000_NS6detail17trampoline_kernelINS0_14default_configENS1_25partition_config_selectorILNS1_17partition_subalgoE2EiNS0_10empty_typeEbEEZZNS1_14partition_implILS5_2ELb0ES3_jN6thrust23THRUST_200600_302600_NS6detail15normal_iteratorINSA_7pointerIiNSA_11hip_rocprim3tagENSA_11use_defaultESG_EEEEPS6_NSA_18transform_iteratorINSA_8identityIiEENSC_INSA_10device_ptrIiEEEESG_SG_EENS0_5tupleIJPiSJ_EEENSR_IJSJ_SJ_EEES6_PlJS6_EEE10hipError_tPvRmT3_T4_T5_T6_T7_T9_mT8_P12ihipStream_tbDpT10_ENKUlT_T0_E_clISt17integral_constantIbLb1EES1F_EEDaS1A_S1B_EUlS1A_E_NS1_11comp_targetILNS1_3genE2ELNS1_11target_archE906ELNS1_3gpuE6ELNS1_3repE0EEENS1_30default_config_static_selectorELNS0_4arch9wavefront6targetE1EEEvT1_: ; @_ZN7rocprim17ROCPRIM_400000_NS6detail17trampoline_kernelINS0_14default_configENS1_25partition_config_selectorILNS1_17partition_subalgoE2EiNS0_10empty_typeEbEEZZNS1_14partition_implILS5_2ELb0ES3_jN6thrust23THRUST_200600_302600_NS6detail15normal_iteratorINSA_7pointerIiNSA_11hip_rocprim3tagENSA_11use_defaultESG_EEEEPS6_NSA_18transform_iteratorINSA_8identityIiEENSC_INSA_10device_ptrIiEEEESG_SG_EENS0_5tupleIJPiSJ_EEENSR_IJSJ_SJ_EEES6_PlJS6_EEE10hipError_tPvRmT3_T4_T5_T6_T7_T9_mT8_P12ihipStream_tbDpT10_ENKUlT_T0_E_clISt17integral_constantIbLb1EES1F_EEDaS1A_S1B_EUlS1A_E_NS1_11comp_targetILNS1_3genE2ELNS1_11target_archE906ELNS1_3gpuE6ELNS1_3repE0EEENS1_30default_config_static_selectorELNS0_4arch9wavefront6targetE1EEEvT1_
; %bb.0:
	.section	.rodata,"a",@progbits
	.p2align	6, 0x0
	.amdhsa_kernel _ZN7rocprim17ROCPRIM_400000_NS6detail17trampoline_kernelINS0_14default_configENS1_25partition_config_selectorILNS1_17partition_subalgoE2EiNS0_10empty_typeEbEEZZNS1_14partition_implILS5_2ELb0ES3_jN6thrust23THRUST_200600_302600_NS6detail15normal_iteratorINSA_7pointerIiNSA_11hip_rocprim3tagENSA_11use_defaultESG_EEEEPS6_NSA_18transform_iteratorINSA_8identityIiEENSC_INSA_10device_ptrIiEEEESG_SG_EENS0_5tupleIJPiSJ_EEENSR_IJSJ_SJ_EEES6_PlJS6_EEE10hipError_tPvRmT3_T4_T5_T6_T7_T9_mT8_P12ihipStream_tbDpT10_ENKUlT_T0_E_clISt17integral_constantIbLb1EES1F_EEDaS1A_S1B_EUlS1A_E_NS1_11comp_targetILNS1_3genE2ELNS1_11target_archE906ELNS1_3gpuE6ELNS1_3repE0EEENS1_30default_config_static_selectorELNS0_4arch9wavefront6targetE1EEEvT1_
		.amdhsa_group_segment_fixed_size 0
		.amdhsa_private_segment_fixed_size 0
		.amdhsa_kernarg_size 144
		.amdhsa_user_sgpr_count 6
		.amdhsa_user_sgpr_private_segment_buffer 1
		.amdhsa_user_sgpr_dispatch_ptr 0
		.amdhsa_user_sgpr_queue_ptr 0
		.amdhsa_user_sgpr_kernarg_segment_ptr 1
		.amdhsa_user_sgpr_dispatch_id 0
		.amdhsa_user_sgpr_flat_scratch_init 0
		.amdhsa_user_sgpr_kernarg_preload_length 0
		.amdhsa_user_sgpr_kernarg_preload_offset 0
		.amdhsa_user_sgpr_private_segment_size 0
		.amdhsa_uses_dynamic_stack 0
		.amdhsa_system_sgpr_private_segment_wavefront_offset 0
		.amdhsa_system_sgpr_workgroup_id_x 1
		.amdhsa_system_sgpr_workgroup_id_y 0
		.amdhsa_system_sgpr_workgroup_id_z 0
		.amdhsa_system_sgpr_workgroup_info 0
		.amdhsa_system_vgpr_workitem_id 0
		.amdhsa_next_free_vgpr 1
		.amdhsa_next_free_sgpr 0
		.amdhsa_accum_offset 4
		.amdhsa_reserve_vcc 0
		.amdhsa_reserve_flat_scratch 0
		.amdhsa_float_round_mode_32 0
		.amdhsa_float_round_mode_16_64 0
		.amdhsa_float_denorm_mode_32 3
		.amdhsa_float_denorm_mode_16_64 3
		.amdhsa_dx10_clamp 1
		.amdhsa_ieee_mode 1
		.amdhsa_fp16_overflow 0
		.amdhsa_tg_split 0
		.amdhsa_exception_fp_ieee_invalid_op 0
		.amdhsa_exception_fp_denorm_src 0
		.amdhsa_exception_fp_ieee_div_zero 0
		.amdhsa_exception_fp_ieee_overflow 0
		.amdhsa_exception_fp_ieee_underflow 0
		.amdhsa_exception_fp_ieee_inexact 0
		.amdhsa_exception_int_div_zero 0
	.end_amdhsa_kernel
	.section	.text._ZN7rocprim17ROCPRIM_400000_NS6detail17trampoline_kernelINS0_14default_configENS1_25partition_config_selectorILNS1_17partition_subalgoE2EiNS0_10empty_typeEbEEZZNS1_14partition_implILS5_2ELb0ES3_jN6thrust23THRUST_200600_302600_NS6detail15normal_iteratorINSA_7pointerIiNSA_11hip_rocprim3tagENSA_11use_defaultESG_EEEEPS6_NSA_18transform_iteratorINSA_8identityIiEENSC_INSA_10device_ptrIiEEEESG_SG_EENS0_5tupleIJPiSJ_EEENSR_IJSJ_SJ_EEES6_PlJS6_EEE10hipError_tPvRmT3_T4_T5_T6_T7_T9_mT8_P12ihipStream_tbDpT10_ENKUlT_T0_E_clISt17integral_constantIbLb1EES1F_EEDaS1A_S1B_EUlS1A_E_NS1_11comp_targetILNS1_3genE2ELNS1_11target_archE906ELNS1_3gpuE6ELNS1_3repE0EEENS1_30default_config_static_selectorELNS0_4arch9wavefront6targetE1EEEvT1_,"axG",@progbits,_ZN7rocprim17ROCPRIM_400000_NS6detail17trampoline_kernelINS0_14default_configENS1_25partition_config_selectorILNS1_17partition_subalgoE2EiNS0_10empty_typeEbEEZZNS1_14partition_implILS5_2ELb0ES3_jN6thrust23THRUST_200600_302600_NS6detail15normal_iteratorINSA_7pointerIiNSA_11hip_rocprim3tagENSA_11use_defaultESG_EEEEPS6_NSA_18transform_iteratorINSA_8identityIiEENSC_INSA_10device_ptrIiEEEESG_SG_EENS0_5tupleIJPiSJ_EEENSR_IJSJ_SJ_EEES6_PlJS6_EEE10hipError_tPvRmT3_T4_T5_T6_T7_T9_mT8_P12ihipStream_tbDpT10_ENKUlT_T0_E_clISt17integral_constantIbLb1EES1F_EEDaS1A_S1B_EUlS1A_E_NS1_11comp_targetILNS1_3genE2ELNS1_11target_archE906ELNS1_3gpuE6ELNS1_3repE0EEENS1_30default_config_static_selectorELNS0_4arch9wavefront6targetE1EEEvT1_,comdat
.Lfunc_end525:
	.size	_ZN7rocprim17ROCPRIM_400000_NS6detail17trampoline_kernelINS0_14default_configENS1_25partition_config_selectorILNS1_17partition_subalgoE2EiNS0_10empty_typeEbEEZZNS1_14partition_implILS5_2ELb0ES3_jN6thrust23THRUST_200600_302600_NS6detail15normal_iteratorINSA_7pointerIiNSA_11hip_rocprim3tagENSA_11use_defaultESG_EEEEPS6_NSA_18transform_iteratorINSA_8identityIiEENSC_INSA_10device_ptrIiEEEESG_SG_EENS0_5tupleIJPiSJ_EEENSR_IJSJ_SJ_EEES6_PlJS6_EEE10hipError_tPvRmT3_T4_T5_T6_T7_T9_mT8_P12ihipStream_tbDpT10_ENKUlT_T0_E_clISt17integral_constantIbLb1EES1F_EEDaS1A_S1B_EUlS1A_E_NS1_11comp_targetILNS1_3genE2ELNS1_11target_archE906ELNS1_3gpuE6ELNS1_3repE0EEENS1_30default_config_static_selectorELNS0_4arch9wavefront6targetE1EEEvT1_, .Lfunc_end525-_ZN7rocprim17ROCPRIM_400000_NS6detail17trampoline_kernelINS0_14default_configENS1_25partition_config_selectorILNS1_17partition_subalgoE2EiNS0_10empty_typeEbEEZZNS1_14partition_implILS5_2ELb0ES3_jN6thrust23THRUST_200600_302600_NS6detail15normal_iteratorINSA_7pointerIiNSA_11hip_rocprim3tagENSA_11use_defaultESG_EEEEPS6_NSA_18transform_iteratorINSA_8identityIiEENSC_INSA_10device_ptrIiEEEESG_SG_EENS0_5tupleIJPiSJ_EEENSR_IJSJ_SJ_EEES6_PlJS6_EEE10hipError_tPvRmT3_T4_T5_T6_T7_T9_mT8_P12ihipStream_tbDpT10_ENKUlT_T0_E_clISt17integral_constantIbLb1EES1F_EEDaS1A_S1B_EUlS1A_E_NS1_11comp_targetILNS1_3genE2ELNS1_11target_archE906ELNS1_3gpuE6ELNS1_3repE0EEENS1_30default_config_static_selectorELNS0_4arch9wavefront6targetE1EEEvT1_
                                        ; -- End function
	.section	.AMDGPU.csdata,"",@progbits
; Kernel info:
; codeLenInByte = 0
; NumSgprs: 4
; NumVgprs: 0
; NumAgprs: 0
; TotalNumVgprs: 0
; ScratchSize: 0
; MemoryBound: 0
; FloatMode: 240
; IeeeMode: 1
; LDSByteSize: 0 bytes/workgroup (compile time only)
; SGPRBlocks: 0
; VGPRBlocks: 0
; NumSGPRsForWavesPerEU: 4
; NumVGPRsForWavesPerEU: 1
; AccumOffset: 4
; Occupancy: 8
; WaveLimiterHint : 0
; COMPUTE_PGM_RSRC2:SCRATCH_EN: 0
; COMPUTE_PGM_RSRC2:USER_SGPR: 6
; COMPUTE_PGM_RSRC2:TRAP_HANDLER: 0
; COMPUTE_PGM_RSRC2:TGID_X_EN: 1
; COMPUTE_PGM_RSRC2:TGID_Y_EN: 0
; COMPUTE_PGM_RSRC2:TGID_Z_EN: 0
; COMPUTE_PGM_RSRC2:TIDIG_COMP_CNT: 0
; COMPUTE_PGM_RSRC3_GFX90A:ACCUM_OFFSET: 0
; COMPUTE_PGM_RSRC3_GFX90A:TG_SPLIT: 0
	.section	.text._ZN7rocprim17ROCPRIM_400000_NS6detail17trampoline_kernelINS0_14default_configENS1_25partition_config_selectorILNS1_17partition_subalgoE2EiNS0_10empty_typeEbEEZZNS1_14partition_implILS5_2ELb0ES3_jN6thrust23THRUST_200600_302600_NS6detail15normal_iteratorINSA_7pointerIiNSA_11hip_rocprim3tagENSA_11use_defaultESG_EEEEPS6_NSA_18transform_iteratorINSA_8identityIiEENSC_INSA_10device_ptrIiEEEESG_SG_EENS0_5tupleIJPiSJ_EEENSR_IJSJ_SJ_EEES6_PlJS6_EEE10hipError_tPvRmT3_T4_T5_T6_T7_T9_mT8_P12ihipStream_tbDpT10_ENKUlT_T0_E_clISt17integral_constantIbLb1EES1F_EEDaS1A_S1B_EUlS1A_E_NS1_11comp_targetILNS1_3genE10ELNS1_11target_archE1200ELNS1_3gpuE4ELNS1_3repE0EEENS1_30default_config_static_selectorELNS0_4arch9wavefront6targetE1EEEvT1_,"axG",@progbits,_ZN7rocprim17ROCPRIM_400000_NS6detail17trampoline_kernelINS0_14default_configENS1_25partition_config_selectorILNS1_17partition_subalgoE2EiNS0_10empty_typeEbEEZZNS1_14partition_implILS5_2ELb0ES3_jN6thrust23THRUST_200600_302600_NS6detail15normal_iteratorINSA_7pointerIiNSA_11hip_rocprim3tagENSA_11use_defaultESG_EEEEPS6_NSA_18transform_iteratorINSA_8identityIiEENSC_INSA_10device_ptrIiEEEESG_SG_EENS0_5tupleIJPiSJ_EEENSR_IJSJ_SJ_EEES6_PlJS6_EEE10hipError_tPvRmT3_T4_T5_T6_T7_T9_mT8_P12ihipStream_tbDpT10_ENKUlT_T0_E_clISt17integral_constantIbLb1EES1F_EEDaS1A_S1B_EUlS1A_E_NS1_11comp_targetILNS1_3genE10ELNS1_11target_archE1200ELNS1_3gpuE4ELNS1_3repE0EEENS1_30default_config_static_selectorELNS0_4arch9wavefront6targetE1EEEvT1_,comdat
	.protected	_ZN7rocprim17ROCPRIM_400000_NS6detail17trampoline_kernelINS0_14default_configENS1_25partition_config_selectorILNS1_17partition_subalgoE2EiNS0_10empty_typeEbEEZZNS1_14partition_implILS5_2ELb0ES3_jN6thrust23THRUST_200600_302600_NS6detail15normal_iteratorINSA_7pointerIiNSA_11hip_rocprim3tagENSA_11use_defaultESG_EEEEPS6_NSA_18transform_iteratorINSA_8identityIiEENSC_INSA_10device_ptrIiEEEESG_SG_EENS0_5tupleIJPiSJ_EEENSR_IJSJ_SJ_EEES6_PlJS6_EEE10hipError_tPvRmT3_T4_T5_T6_T7_T9_mT8_P12ihipStream_tbDpT10_ENKUlT_T0_E_clISt17integral_constantIbLb1EES1F_EEDaS1A_S1B_EUlS1A_E_NS1_11comp_targetILNS1_3genE10ELNS1_11target_archE1200ELNS1_3gpuE4ELNS1_3repE0EEENS1_30default_config_static_selectorELNS0_4arch9wavefront6targetE1EEEvT1_ ; -- Begin function _ZN7rocprim17ROCPRIM_400000_NS6detail17trampoline_kernelINS0_14default_configENS1_25partition_config_selectorILNS1_17partition_subalgoE2EiNS0_10empty_typeEbEEZZNS1_14partition_implILS5_2ELb0ES3_jN6thrust23THRUST_200600_302600_NS6detail15normal_iteratorINSA_7pointerIiNSA_11hip_rocprim3tagENSA_11use_defaultESG_EEEEPS6_NSA_18transform_iteratorINSA_8identityIiEENSC_INSA_10device_ptrIiEEEESG_SG_EENS0_5tupleIJPiSJ_EEENSR_IJSJ_SJ_EEES6_PlJS6_EEE10hipError_tPvRmT3_T4_T5_T6_T7_T9_mT8_P12ihipStream_tbDpT10_ENKUlT_T0_E_clISt17integral_constantIbLb1EES1F_EEDaS1A_S1B_EUlS1A_E_NS1_11comp_targetILNS1_3genE10ELNS1_11target_archE1200ELNS1_3gpuE4ELNS1_3repE0EEENS1_30default_config_static_selectorELNS0_4arch9wavefront6targetE1EEEvT1_
	.globl	_ZN7rocprim17ROCPRIM_400000_NS6detail17trampoline_kernelINS0_14default_configENS1_25partition_config_selectorILNS1_17partition_subalgoE2EiNS0_10empty_typeEbEEZZNS1_14partition_implILS5_2ELb0ES3_jN6thrust23THRUST_200600_302600_NS6detail15normal_iteratorINSA_7pointerIiNSA_11hip_rocprim3tagENSA_11use_defaultESG_EEEEPS6_NSA_18transform_iteratorINSA_8identityIiEENSC_INSA_10device_ptrIiEEEESG_SG_EENS0_5tupleIJPiSJ_EEENSR_IJSJ_SJ_EEES6_PlJS6_EEE10hipError_tPvRmT3_T4_T5_T6_T7_T9_mT8_P12ihipStream_tbDpT10_ENKUlT_T0_E_clISt17integral_constantIbLb1EES1F_EEDaS1A_S1B_EUlS1A_E_NS1_11comp_targetILNS1_3genE10ELNS1_11target_archE1200ELNS1_3gpuE4ELNS1_3repE0EEENS1_30default_config_static_selectorELNS0_4arch9wavefront6targetE1EEEvT1_
	.p2align	8
	.type	_ZN7rocprim17ROCPRIM_400000_NS6detail17trampoline_kernelINS0_14default_configENS1_25partition_config_selectorILNS1_17partition_subalgoE2EiNS0_10empty_typeEbEEZZNS1_14partition_implILS5_2ELb0ES3_jN6thrust23THRUST_200600_302600_NS6detail15normal_iteratorINSA_7pointerIiNSA_11hip_rocprim3tagENSA_11use_defaultESG_EEEEPS6_NSA_18transform_iteratorINSA_8identityIiEENSC_INSA_10device_ptrIiEEEESG_SG_EENS0_5tupleIJPiSJ_EEENSR_IJSJ_SJ_EEES6_PlJS6_EEE10hipError_tPvRmT3_T4_T5_T6_T7_T9_mT8_P12ihipStream_tbDpT10_ENKUlT_T0_E_clISt17integral_constantIbLb1EES1F_EEDaS1A_S1B_EUlS1A_E_NS1_11comp_targetILNS1_3genE10ELNS1_11target_archE1200ELNS1_3gpuE4ELNS1_3repE0EEENS1_30default_config_static_selectorELNS0_4arch9wavefront6targetE1EEEvT1_,@function
_ZN7rocprim17ROCPRIM_400000_NS6detail17trampoline_kernelINS0_14default_configENS1_25partition_config_selectorILNS1_17partition_subalgoE2EiNS0_10empty_typeEbEEZZNS1_14partition_implILS5_2ELb0ES3_jN6thrust23THRUST_200600_302600_NS6detail15normal_iteratorINSA_7pointerIiNSA_11hip_rocprim3tagENSA_11use_defaultESG_EEEEPS6_NSA_18transform_iteratorINSA_8identityIiEENSC_INSA_10device_ptrIiEEEESG_SG_EENS0_5tupleIJPiSJ_EEENSR_IJSJ_SJ_EEES6_PlJS6_EEE10hipError_tPvRmT3_T4_T5_T6_T7_T9_mT8_P12ihipStream_tbDpT10_ENKUlT_T0_E_clISt17integral_constantIbLb1EES1F_EEDaS1A_S1B_EUlS1A_E_NS1_11comp_targetILNS1_3genE10ELNS1_11target_archE1200ELNS1_3gpuE4ELNS1_3repE0EEENS1_30default_config_static_selectorELNS0_4arch9wavefront6targetE1EEEvT1_: ; @_ZN7rocprim17ROCPRIM_400000_NS6detail17trampoline_kernelINS0_14default_configENS1_25partition_config_selectorILNS1_17partition_subalgoE2EiNS0_10empty_typeEbEEZZNS1_14partition_implILS5_2ELb0ES3_jN6thrust23THRUST_200600_302600_NS6detail15normal_iteratorINSA_7pointerIiNSA_11hip_rocprim3tagENSA_11use_defaultESG_EEEEPS6_NSA_18transform_iteratorINSA_8identityIiEENSC_INSA_10device_ptrIiEEEESG_SG_EENS0_5tupleIJPiSJ_EEENSR_IJSJ_SJ_EEES6_PlJS6_EEE10hipError_tPvRmT3_T4_T5_T6_T7_T9_mT8_P12ihipStream_tbDpT10_ENKUlT_T0_E_clISt17integral_constantIbLb1EES1F_EEDaS1A_S1B_EUlS1A_E_NS1_11comp_targetILNS1_3genE10ELNS1_11target_archE1200ELNS1_3gpuE4ELNS1_3repE0EEENS1_30default_config_static_selectorELNS0_4arch9wavefront6targetE1EEEvT1_
; %bb.0:
	.section	.rodata,"a",@progbits
	.p2align	6, 0x0
	.amdhsa_kernel _ZN7rocprim17ROCPRIM_400000_NS6detail17trampoline_kernelINS0_14default_configENS1_25partition_config_selectorILNS1_17partition_subalgoE2EiNS0_10empty_typeEbEEZZNS1_14partition_implILS5_2ELb0ES3_jN6thrust23THRUST_200600_302600_NS6detail15normal_iteratorINSA_7pointerIiNSA_11hip_rocprim3tagENSA_11use_defaultESG_EEEEPS6_NSA_18transform_iteratorINSA_8identityIiEENSC_INSA_10device_ptrIiEEEESG_SG_EENS0_5tupleIJPiSJ_EEENSR_IJSJ_SJ_EEES6_PlJS6_EEE10hipError_tPvRmT3_T4_T5_T6_T7_T9_mT8_P12ihipStream_tbDpT10_ENKUlT_T0_E_clISt17integral_constantIbLb1EES1F_EEDaS1A_S1B_EUlS1A_E_NS1_11comp_targetILNS1_3genE10ELNS1_11target_archE1200ELNS1_3gpuE4ELNS1_3repE0EEENS1_30default_config_static_selectorELNS0_4arch9wavefront6targetE1EEEvT1_
		.amdhsa_group_segment_fixed_size 0
		.amdhsa_private_segment_fixed_size 0
		.amdhsa_kernarg_size 144
		.amdhsa_user_sgpr_count 6
		.amdhsa_user_sgpr_private_segment_buffer 1
		.amdhsa_user_sgpr_dispatch_ptr 0
		.amdhsa_user_sgpr_queue_ptr 0
		.amdhsa_user_sgpr_kernarg_segment_ptr 1
		.amdhsa_user_sgpr_dispatch_id 0
		.amdhsa_user_sgpr_flat_scratch_init 0
		.amdhsa_user_sgpr_kernarg_preload_length 0
		.amdhsa_user_sgpr_kernarg_preload_offset 0
		.amdhsa_user_sgpr_private_segment_size 0
		.amdhsa_uses_dynamic_stack 0
		.amdhsa_system_sgpr_private_segment_wavefront_offset 0
		.amdhsa_system_sgpr_workgroup_id_x 1
		.amdhsa_system_sgpr_workgroup_id_y 0
		.amdhsa_system_sgpr_workgroup_id_z 0
		.amdhsa_system_sgpr_workgroup_info 0
		.amdhsa_system_vgpr_workitem_id 0
		.amdhsa_next_free_vgpr 1
		.amdhsa_next_free_sgpr 0
		.amdhsa_accum_offset 4
		.amdhsa_reserve_vcc 0
		.amdhsa_reserve_flat_scratch 0
		.amdhsa_float_round_mode_32 0
		.amdhsa_float_round_mode_16_64 0
		.amdhsa_float_denorm_mode_32 3
		.amdhsa_float_denorm_mode_16_64 3
		.amdhsa_dx10_clamp 1
		.amdhsa_ieee_mode 1
		.amdhsa_fp16_overflow 0
		.amdhsa_tg_split 0
		.amdhsa_exception_fp_ieee_invalid_op 0
		.amdhsa_exception_fp_denorm_src 0
		.amdhsa_exception_fp_ieee_div_zero 0
		.amdhsa_exception_fp_ieee_overflow 0
		.amdhsa_exception_fp_ieee_underflow 0
		.amdhsa_exception_fp_ieee_inexact 0
		.amdhsa_exception_int_div_zero 0
	.end_amdhsa_kernel
	.section	.text._ZN7rocprim17ROCPRIM_400000_NS6detail17trampoline_kernelINS0_14default_configENS1_25partition_config_selectorILNS1_17partition_subalgoE2EiNS0_10empty_typeEbEEZZNS1_14partition_implILS5_2ELb0ES3_jN6thrust23THRUST_200600_302600_NS6detail15normal_iteratorINSA_7pointerIiNSA_11hip_rocprim3tagENSA_11use_defaultESG_EEEEPS6_NSA_18transform_iteratorINSA_8identityIiEENSC_INSA_10device_ptrIiEEEESG_SG_EENS0_5tupleIJPiSJ_EEENSR_IJSJ_SJ_EEES6_PlJS6_EEE10hipError_tPvRmT3_T4_T5_T6_T7_T9_mT8_P12ihipStream_tbDpT10_ENKUlT_T0_E_clISt17integral_constantIbLb1EES1F_EEDaS1A_S1B_EUlS1A_E_NS1_11comp_targetILNS1_3genE10ELNS1_11target_archE1200ELNS1_3gpuE4ELNS1_3repE0EEENS1_30default_config_static_selectorELNS0_4arch9wavefront6targetE1EEEvT1_,"axG",@progbits,_ZN7rocprim17ROCPRIM_400000_NS6detail17trampoline_kernelINS0_14default_configENS1_25partition_config_selectorILNS1_17partition_subalgoE2EiNS0_10empty_typeEbEEZZNS1_14partition_implILS5_2ELb0ES3_jN6thrust23THRUST_200600_302600_NS6detail15normal_iteratorINSA_7pointerIiNSA_11hip_rocprim3tagENSA_11use_defaultESG_EEEEPS6_NSA_18transform_iteratorINSA_8identityIiEENSC_INSA_10device_ptrIiEEEESG_SG_EENS0_5tupleIJPiSJ_EEENSR_IJSJ_SJ_EEES6_PlJS6_EEE10hipError_tPvRmT3_T4_T5_T6_T7_T9_mT8_P12ihipStream_tbDpT10_ENKUlT_T0_E_clISt17integral_constantIbLb1EES1F_EEDaS1A_S1B_EUlS1A_E_NS1_11comp_targetILNS1_3genE10ELNS1_11target_archE1200ELNS1_3gpuE4ELNS1_3repE0EEENS1_30default_config_static_selectorELNS0_4arch9wavefront6targetE1EEEvT1_,comdat
.Lfunc_end526:
	.size	_ZN7rocprim17ROCPRIM_400000_NS6detail17trampoline_kernelINS0_14default_configENS1_25partition_config_selectorILNS1_17partition_subalgoE2EiNS0_10empty_typeEbEEZZNS1_14partition_implILS5_2ELb0ES3_jN6thrust23THRUST_200600_302600_NS6detail15normal_iteratorINSA_7pointerIiNSA_11hip_rocprim3tagENSA_11use_defaultESG_EEEEPS6_NSA_18transform_iteratorINSA_8identityIiEENSC_INSA_10device_ptrIiEEEESG_SG_EENS0_5tupleIJPiSJ_EEENSR_IJSJ_SJ_EEES6_PlJS6_EEE10hipError_tPvRmT3_T4_T5_T6_T7_T9_mT8_P12ihipStream_tbDpT10_ENKUlT_T0_E_clISt17integral_constantIbLb1EES1F_EEDaS1A_S1B_EUlS1A_E_NS1_11comp_targetILNS1_3genE10ELNS1_11target_archE1200ELNS1_3gpuE4ELNS1_3repE0EEENS1_30default_config_static_selectorELNS0_4arch9wavefront6targetE1EEEvT1_, .Lfunc_end526-_ZN7rocprim17ROCPRIM_400000_NS6detail17trampoline_kernelINS0_14default_configENS1_25partition_config_selectorILNS1_17partition_subalgoE2EiNS0_10empty_typeEbEEZZNS1_14partition_implILS5_2ELb0ES3_jN6thrust23THRUST_200600_302600_NS6detail15normal_iteratorINSA_7pointerIiNSA_11hip_rocprim3tagENSA_11use_defaultESG_EEEEPS6_NSA_18transform_iteratorINSA_8identityIiEENSC_INSA_10device_ptrIiEEEESG_SG_EENS0_5tupleIJPiSJ_EEENSR_IJSJ_SJ_EEES6_PlJS6_EEE10hipError_tPvRmT3_T4_T5_T6_T7_T9_mT8_P12ihipStream_tbDpT10_ENKUlT_T0_E_clISt17integral_constantIbLb1EES1F_EEDaS1A_S1B_EUlS1A_E_NS1_11comp_targetILNS1_3genE10ELNS1_11target_archE1200ELNS1_3gpuE4ELNS1_3repE0EEENS1_30default_config_static_selectorELNS0_4arch9wavefront6targetE1EEEvT1_
                                        ; -- End function
	.section	.AMDGPU.csdata,"",@progbits
; Kernel info:
; codeLenInByte = 0
; NumSgprs: 4
; NumVgprs: 0
; NumAgprs: 0
; TotalNumVgprs: 0
; ScratchSize: 0
; MemoryBound: 0
; FloatMode: 240
; IeeeMode: 1
; LDSByteSize: 0 bytes/workgroup (compile time only)
; SGPRBlocks: 0
; VGPRBlocks: 0
; NumSGPRsForWavesPerEU: 4
; NumVGPRsForWavesPerEU: 1
; AccumOffset: 4
; Occupancy: 8
; WaveLimiterHint : 0
; COMPUTE_PGM_RSRC2:SCRATCH_EN: 0
; COMPUTE_PGM_RSRC2:USER_SGPR: 6
; COMPUTE_PGM_RSRC2:TRAP_HANDLER: 0
; COMPUTE_PGM_RSRC2:TGID_X_EN: 1
; COMPUTE_PGM_RSRC2:TGID_Y_EN: 0
; COMPUTE_PGM_RSRC2:TGID_Z_EN: 0
; COMPUTE_PGM_RSRC2:TIDIG_COMP_CNT: 0
; COMPUTE_PGM_RSRC3_GFX90A:ACCUM_OFFSET: 0
; COMPUTE_PGM_RSRC3_GFX90A:TG_SPLIT: 0
	.section	.text._ZN7rocprim17ROCPRIM_400000_NS6detail17trampoline_kernelINS0_14default_configENS1_25partition_config_selectorILNS1_17partition_subalgoE2EiNS0_10empty_typeEbEEZZNS1_14partition_implILS5_2ELb0ES3_jN6thrust23THRUST_200600_302600_NS6detail15normal_iteratorINSA_7pointerIiNSA_11hip_rocprim3tagENSA_11use_defaultESG_EEEEPS6_NSA_18transform_iteratorINSA_8identityIiEENSC_INSA_10device_ptrIiEEEESG_SG_EENS0_5tupleIJPiSJ_EEENSR_IJSJ_SJ_EEES6_PlJS6_EEE10hipError_tPvRmT3_T4_T5_T6_T7_T9_mT8_P12ihipStream_tbDpT10_ENKUlT_T0_E_clISt17integral_constantIbLb1EES1F_EEDaS1A_S1B_EUlS1A_E_NS1_11comp_targetILNS1_3genE9ELNS1_11target_archE1100ELNS1_3gpuE3ELNS1_3repE0EEENS1_30default_config_static_selectorELNS0_4arch9wavefront6targetE1EEEvT1_,"axG",@progbits,_ZN7rocprim17ROCPRIM_400000_NS6detail17trampoline_kernelINS0_14default_configENS1_25partition_config_selectorILNS1_17partition_subalgoE2EiNS0_10empty_typeEbEEZZNS1_14partition_implILS5_2ELb0ES3_jN6thrust23THRUST_200600_302600_NS6detail15normal_iteratorINSA_7pointerIiNSA_11hip_rocprim3tagENSA_11use_defaultESG_EEEEPS6_NSA_18transform_iteratorINSA_8identityIiEENSC_INSA_10device_ptrIiEEEESG_SG_EENS0_5tupleIJPiSJ_EEENSR_IJSJ_SJ_EEES6_PlJS6_EEE10hipError_tPvRmT3_T4_T5_T6_T7_T9_mT8_P12ihipStream_tbDpT10_ENKUlT_T0_E_clISt17integral_constantIbLb1EES1F_EEDaS1A_S1B_EUlS1A_E_NS1_11comp_targetILNS1_3genE9ELNS1_11target_archE1100ELNS1_3gpuE3ELNS1_3repE0EEENS1_30default_config_static_selectorELNS0_4arch9wavefront6targetE1EEEvT1_,comdat
	.protected	_ZN7rocprim17ROCPRIM_400000_NS6detail17trampoline_kernelINS0_14default_configENS1_25partition_config_selectorILNS1_17partition_subalgoE2EiNS0_10empty_typeEbEEZZNS1_14partition_implILS5_2ELb0ES3_jN6thrust23THRUST_200600_302600_NS6detail15normal_iteratorINSA_7pointerIiNSA_11hip_rocprim3tagENSA_11use_defaultESG_EEEEPS6_NSA_18transform_iteratorINSA_8identityIiEENSC_INSA_10device_ptrIiEEEESG_SG_EENS0_5tupleIJPiSJ_EEENSR_IJSJ_SJ_EEES6_PlJS6_EEE10hipError_tPvRmT3_T4_T5_T6_T7_T9_mT8_P12ihipStream_tbDpT10_ENKUlT_T0_E_clISt17integral_constantIbLb1EES1F_EEDaS1A_S1B_EUlS1A_E_NS1_11comp_targetILNS1_3genE9ELNS1_11target_archE1100ELNS1_3gpuE3ELNS1_3repE0EEENS1_30default_config_static_selectorELNS0_4arch9wavefront6targetE1EEEvT1_ ; -- Begin function _ZN7rocprim17ROCPRIM_400000_NS6detail17trampoline_kernelINS0_14default_configENS1_25partition_config_selectorILNS1_17partition_subalgoE2EiNS0_10empty_typeEbEEZZNS1_14partition_implILS5_2ELb0ES3_jN6thrust23THRUST_200600_302600_NS6detail15normal_iteratorINSA_7pointerIiNSA_11hip_rocprim3tagENSA_11use_defaultESG_EEEEPS6_NSA_18transform_iteratorINSA_8identityIiEENSC_INSA_10device_ptrIiEEEESG_SG_EENS0_5tupleIJPiSJ_EEENSR_IJSJ_SJ_EEES6_PlJS6_EEE10hipError_tPvRmT3_T4_T5_T6_T7_T9_mT8_P12ihipStream_tbDpT10_ENKUlT_T0_E_clISt17integral_constantIbLb1EES1F_EEDaS1A_S1B_EUlS1A_E_NS1_11comp_targetILNS1_3genE9ELNS1_11target_archE1100ELNS1_3gpuE3ELNS1_3repE0EEENS1_30default_config_static_selectorELNS0_4arch9wavefront6targetE1EEEvT1_
	.globl	_ZN7rocprim17ROCPRIM_400000_NS6detail17trampoline_kernelINS0_14default_configENS1_25partition_config_selectorILNS1_17partition_subalgoE2EiNS0_10empty_typeEbEEZZNS1_14partition_implILS5_2ELb0ES3_jN6thrust23THRUST_200600_302600_NS6detail15normal_iteratorINSA_7pointerIiNSA_11hip_rocprim3tagENSA_11use_defaultESG_EEEEPS6_NSA_18transform_iteratorINSA_8identityIiEENSC_INSA_10device_ptrIiEEEESG_SG_EENS0_5tupleIJPiSJ_EEENSR_IJSJ_SJ_EEES6_PlJS6_EEE10hipError_tPvRmT3_T4_T5_T6_T7_T9_mT8_P12ihipStream_tbDpT10_ENKUlT_T0_E_clISt17integral_constantIbLb1EES1F_EEDaS1A_S1B_EUlS1A_E_NS1_11comp_targetILNS1_3genE9ELNS1_11target_archE1100ELNS1_3gpuE3ELNS1_3repE0EEENS1_30default_config_static_selectorELNS0_4arch9wavefront6targetE1EEEvT1_
	.p2align	8
	.type	_ZN7rocprim17ROCPRIM_400000_NS6detail17trampoline_kernelINS0_14default_configENS1_25partition_config_selectorILNS1_17partition_subalgoE2EiNS0_10empty_typeEbEEZZNS1_14partition_implILS5_2ELb0ES3_jN6thrust23THRUST_200600_302600_NS6detail15normal_iteratorINSA_7pointerIiNSA_11hip_rocprim3tagENSA_11use_defaultESG_EEEEPS6_NSA_18transform_iteratorINSA_8identityIiEENSC_INSA_10device_ptrIiEEEESG_SG_EENS0_5tupleIJPiSJ_EEENSR_IJSJ_SJ_EEES6_PlJS6_EEE10hipError_tPvRmT3_T4_T5_T6_T7_T9_mT8_P12ihipStream_tbDpT10_ENKUlT_T0_E_clISt17integral_constantIbLb1EES1F_EEDaS1A_S1B_EUlS1A_E_NS1_11comp_targetILNS1_3genE9ELNS1_11target_archE1100ELNS1_3gpuE3ELNS1_3repE0EEENS1_30default_config_static_selectorELNS0_4arch9wavefront6targetE1EEEvT1_,@function
_ZN7rocprim17ROCPRIM_400000_NS6detail17trampoline_kernelINS0_14default_configENS1_25partition_config_selectorILNS1_17partition_subalgoE2EiNS0_10empty_typeEbEEZZNS1_14partition_implILS5_2ELb0ES3_jN6thrust23THRUST_200600_302600_NS6detail15normal_iteratorINSA_7pointerIiNSA_11hip_rocprim3tagENSA_11use_defaultESG_EEEEPS6_NSA_18transform_iteratorINSA_8identityIiEENSC_INSA_10device_ptrIiEEEESG_SG_EENS0_5tupleIJPiSJ_EEENSR_IJSJ_SJ_EEES6_PlJS6_EEE10hipError_tPvRmT3_T4_T5_T6_T7_T9_mT8_P12ihipStream_tbDpT10_ENKUlT_T0_E_clISt17integral_constantIbLb1EES1F_EEDaS1A_S1B_EUlS1A_E_NS1_11comp_targetILNS1_3genE9ELNS1_11target_archE1100ELNS1_3gpuE3ELNS1_3repE0EEENS1_30default_config_static_selectorELNS0_4arch9wavefront6targetE1EEEvT1_: ; @_ZN7rocprim17ROCPRIM_400000_NS6detail17trampoline_kernelINS0_14default_configENS1_25partition_config_selectorILNS1_17partition_subalgoE2EiNS0_10empty_typeEbEEZZNS1_14partition_implILS5_2ELb0ES3_jN6thrust23THRUST_200600_302600_NS6detail15normal_iteratorINSA_7pointerIiNSA_11hip_rocprim3tagENSA_11use_defaultESG_EEEEPS6_NSA_18transform_iteratorINSA_8identityIiEENSC_INSA_10device_ptrIiEEEESG_SG_EENS0_5tupleIJPiSJ_EEENSR_IJSJ_SJ_EEES6_PlJS6_EEE10hipError_tPvRmT3_T4_T5_T6_T7_T9_mT8_P12ihipStream_tbDpT10_ENKUlT_T0_E_clISt17integral_constantIbLb1EES1F_EEDaS1A_S1B_EUlS1A_E_NS1_11comp_targetILNS1_3genE9ELNS1_11target_archE1100ELNS1_3gpuE3ELNS1_3repE0EEENS1_30default_config_static_selectorELNS0_4arch9wavefront6targetE1EEEvT1_
; %bb.0:
	.section	.rodata,"a",@progbits
	.p2align	6, 0x0
	.amdhsa_kernel _ZN7rocprim17ROCPRIM_400000_NS6detail17trampoline_kernelINS0_14default_configENS1_25partition_config_selectorILNS1_17partition_subalgoE2EiNS0_10empty_typeEbEEZZNS1_14partition_implILS5_2ELb0ES3_jN6thrust23THRUST_200600_302600_NS6detail15normal_iteratorINSA_7pointerIiNSA_11hip_rocprim3tagENSA_11use_defaultESG_EEEEPS6_NSA_18transform_iteratorINSA_8identityIiEENSC_INSA_10device_ptrIiEEEESG_SG_EENS0_5tupleIJPiSJ_EEENSR_IJSJ_SJ_EEES6_PlJS6_EEE10hipError_tPvRmT3_T4_T5_T6_T7_T9_mT8_P12ihipStream_tbDpT10_ENKUlT_T0_E_clISt17integral_constantIbLb1EES1F_EEDaS1A_S1B_EUlS1A_E_NS1_11comp_targetILNS1_3genE9ELNS1_11target_archE1100ELNS1_3gpuE3ELNS1_3repE0EEENS1_30default_config_static_selectorELNS0_4arch9wavefront6targetE1EEEvT1_
		.amdhsa_group_segment_fixed_size 0
		.amdhsa_private_segment_fixed_size 0
		.amdhsa_kernarg_size 144
		.amdhsa_user_sgpr_count 6
		.amdhsa_user_sgpr_private_segment_buffer 1
		.amdhsa_user_sgpr_dispatch_ptr 0
		.amdhsa_user_sgpr_queue_ptr 0
		.amdhsa_user_sgpr_kernarg_segment_ptr 1
		.amdhsa_user_sgpr_dispatch_id 0
		.amdhsa_user_sgpr_flat_scratch_init 0
		.amdhsa_user_sgpr_kernarg_preload_length 0
		.amdhsa_user_sgpr_kernarg_preload_offset 0
		.amdhsa_user_sgpr_private_segment_size 0
		.amdhsa_uses_dynamic_stack 0
		.amdhsa_system_sgpr_private_segment_wavefront_offset 0
		.amdhsa_system_sgpr_workgroup_id_x 1
		.amdhsa_system_sgpr_workgroup_id_y 0
		.amdhsa_system_sgpr_workgroup_id_z 0
		.amdhsa_system_sgpr_workgroup_info 0
		.amdhsa_system_vgpr_workitem_id 0
		.amdhsa_next_free_vgpr 1
		.amdhsa_next_free_sgpr 0
		.amdhsa_accum_offset 4
		.amdhsa_reserve_vcc 0
		.amdhsa_reserve_flat_scratch 0
		.amdhsa_float_round_mode_32 0
		.amdhsa_float_round_mode_16_64 0
		.amdhsa_float_denorm_mode_32 3
		.amdhsa_float_denorm_mode_16_64 3
		.amdhsa_dx10_clamp 1
		.amdhsa_ieee_mode 1
		.amdhsa_fp16_overflow 0
		.amdhsa_tg_split 0
		.amdhsa_exception_fp_ieee_invalid_op 0
		.amdhsa_exception_fp_denorm_src 0
		.amdhsa_exception_fp_ieee_div_zero 0
		.amdhsa_exception_fp_ieee_overflow 0
		.amdhsa_exception_fp_ieee_underflow 0
		.amdhsa_exception_fp_ieee_inexact 0
		.amdhsa_exception_int_div_zero 0
	.end_amdhsa_kernel
	.section	.text._ZN7rocprim17ROCPRIM_400000_NS6detail17trampoline_kernelINS0_14default_configENS1_25partition_config_selectorILNS1_17partition_subalgoE2EiNS0_10empty_typeEbEEZZNS1_14partition_implILS5_2ELb0ES3_jN6thrust23THRUST_200600_302600_NS6detail15normal_iteratorINSA_7pointerIiNSA_11hip_rocprim3tagENSA_11use_defaultESG_EEEEPS6_NSA_18transform_iteratorINSA_8identityIiEENSC_INSA_10device_ptrIiEEEESG_SG_EENS0_5tupleIJPiSJ_EEENSR_IJSJ_SJ_EEES6_PlJS6_EEE10hipError_tPvRmT3_T4_T5_T6_T7_T9_mT8_P12ihipStream_tbDpT10_ENKUlT_T0_E_clISt17integral_constantIbLb1EES1F_EEDaS1A_S1B_EUlS1A_E_NS1_11comp_targetILNS1_3genE9ELNS1_11target_archE1100ELNS1_3gpuE3ELNS1_3repE0EEENS1_30default_config_static_selectorELNS0_4arch9wavefront6targetE1EEEvT1_,"axG",@progbits,_ZN7rocprim17ROCPRIM_400000_NS6detail17trampoline_kernelINS0_14default_configENS1_25partition_config_selectorILNS1_17partition_subalgoE2EiNS0_10empty_typeEbEEZZNS1_14partition_implILS5_2ELb0ES3_jN6thrust23THRUST_200600_302600_NS6detail15normal_iteratorINSA_7pointerIiNSA_11hip_rocprim3tagENSA_11use_defaultESG_EEEEPS6_NSA_18transform_iteratorINSA_8identityIiEENSC_INSA_10device_ptrIiEEEESG_SG_EENS0_5tupleIJPiSJ_EEENSR_IJSJ_SJ_EEES6_PlJS6_EEE10hipError_tPvRmT3_T4_T5_T6_T7_T9_mT8_P12ihipStream_tbDpT10_ENKUlT_T0_E_clISt17integral_constantIbLb1EES1F_EEDaS1A_S1B_EUlS1A_E_NS1_11comp_targetILNS1_3genE9ELNS1_11target_archE1100ELNS1_3gpuE3ELNS1_3repE0EEENS1_30default_config_static_selectorELNS0_4arch9wavefront6targetE1EEEvT1_,comdat
.Lfunc_end527:
	.size	_ZN7rocprim17ROCPRIM_400000_NS6detail17trampoline_kernelINS0_14default_configENS1_25partition_config_selectorILNS1_17partition_subalgoE2EiNS0_10empty_typeEbEEZZNS1_14partition_implILS5_2ELb0ES3_jN6thrust23THRUST_200600_302600_NS6detail15normal_iteratorINSA_7pointerIiNSA_11hip_rocprim3tagENSA_11use_defaultESG_EEEEPS6_NSA_18transform_iteratorINSA_8identityIiEENSC_INSA_10device_ptrIiEEEESG_SG_EENS0_5tupleIJPiSJ_EEENSR_IJSJ_SJ_EEES6_PlJS6_EEE10hipError_tPvRmT3_T4_T5_T6_T7_T9_mT8_P12ihipStream_tbDpT10_ENKUlT_T0_E_clISt17integral_constantIbLb1EES1F_EEDaS1A_S1B_EUlS1A_E_NS1_11comp_targetILNS1_3genE9ELNS1_11target_archE1100ELNS1_3gpuE3ELNS1_3repE0EEENS1_30default_config_static_selectorELNS0_4arch9wavefront6targetE1EEEvT1_, .Lfunc_end527-_ZN7rocprim17ROCPRIM_400000_NS6detail17trampoline_kernelINS0_14default_configENS1_25partition_config_selectorILNS1_17partition_subalgoE2EiNS0_10empty_typeEbEEZZNS1_14partition_implILS5_2ELb0ES3_jN6thrust23THRUST_200600_302600_NS6detail15normal_iteratorINSA_7pointerIiNSA_11hip_rocprim3tagENSA_11use_defaultESG_EEEEPS6_NSA_18transform_iteratorINSA_8identityIiEENSC_INSA_10device_ptrIiEEEESG_SG_EENS0_5tupleIJPiSJ_EEENSR_IJSJ_SJ_EEES6_PlJS6_EEE10hipError_tPvRmT3_T4_T5_T6_T7_T9_mT8_P12ihipStream_tbDpT10_ENKUlT_T0_E_clISt17integral_constantIbLb1EES1F_EEDaS1A_S1B_EUlS1A_E_NS1_11comp_targetILNS1_3genE9ELNS1_11target_archE1100ELNS1_3gpuE3ELNS1_3repE0EEENS1_30default_config_static_selectorELNS0_4arch9wavefront6targetE1EEEvT1_
                                        ; -- End function
	.section	.AMDGPU.csdata,"",@progbits
; Kernel info:
; codeLenInByte = 0
; NumSgprs: 4
; NumVgprs: 0
; NumAgprs: 0
; TotalNumVgprs: 0
; ScratchSize: 0
; MemoryBound: 0
; FloatMode: 240
; IeeeMode: 1
; LDSByteSize: 0 bytes/workgroup (compile time only)
; SGPRBlocks: 0
; VGPRBlocks: 0
; NumSGPRsForWavesPerEU: 4
; NumVGPRsForWavesPerEU: 1
; AccumOffset: 4
; Occupancy: 8
; WaveLimiterHint : 0
; COMPUTE_PGM_RSRC2:SCRATCH_EN: 0
; COMPUTE_PGM_RSRC2:USER_SGPR: 6
; COMPUTE_PGM_RSRC2:TRAP_HANDLER: 0
; COMPUTE_PGM_RSRC2:TGID_X_EN: 1
; COMPUTE_PGM_RSRC2:TGID_Y_EN: 0
; COMPUTE_PGM_RSRC2:TGID_Z_EN: 0
; COMPUTE_PGM_RSRC2:TIDIG_COMP_CNT: 0
; COMPUTE_PGM_RSRC3_GFX90A:ACCUM_OFFSET: 0
; COMPUTE_PGM_RSRC3_GFX90A:TG_SPLIT: 0
	.section	.text._ZN7rocprim17ROCPRIM_400000_NS6detail17trampoline_kernelINS0_14default_configENS1_25partition_config_selectorILNS1_17partition_subalgoE2EiNS0_10empty_typeEbEEZZNS1_14partition_implILS5_2ELb0ES3_jN6thrust23THRUST_200600_302600_NS6detail15normal_iteratorINSA_7pointerIiNSA_11hip_rocprim3tagENSA_11use_defaultESG_EEEEPS6_NSA_18transform_iteratorINSA_8identityIiEENSC_INSA_10device_ptrIiEEEESG_SG_EENS0_5tupleIJPiSJ_EEENSR_IJSJ_SJ_EEES6_PlJS6_EEE10hipError_tPvRmT3_T4_T5_T6_T7_T9_mT8_P12ihipStream_tbDpT10_ENKUlT_T0_E_clISt17integral_constantIbLb1EES1F_EEDaS1A_S1B_EUlS1A_E_NS1_11comp_targetILNS1_3genE8ELNS1_11target_archE1030ELNS1_3gpuE2ELNS1_3repE0EEENS1_30default_config_static_selectorELNS0_4arch9wavefront6targetE1EEEvT1_,"axG",@progbits,_ZN7rocprim17ROCPRIM_400000_NS6detail17trampoline_kernelINS0_14default_configENS1_25partition_config_selectorILNS1_17partition_subalgoE2EiNS0_10empty_typeEbEEZZNS1_14partition_implILS5_2ELb0ES3_jN6thrust23THRUST_200600_302600_NS6detail15normal_iteratorINSA_7pointerIiNSA_11hip_rocprim3tagENSA_11use_defaultESG_EEEEPS6_NSA_18transform_iteratorINSA_8identityIiEENSC_INSA_10device_ptrIiEEEESG_SG_EENS0_5tupleIJPiSJ_EEENSR_IJSJ_SJ_EEES6_PlJS6_EEE10hipError_tPvRmT3_T4_T5_T6_T7_T9_mT8_P12ihipStream_tbDpT10_ENKUlT_T0_E_clISt17integral_constantIbLb1EES1F_EEDaS1A_S1B_EUlS1A_E_NS1_11comp_targetILNS1_3genE8ELNS1_11target_archE1030ELNS1_3gpuE2ELNS1_3repE0EEENS1_30default_config_static_selectorELNS0_4arch9wavefront6targetE1EEEvT1_,comdat
	.protected	_ZN7rocprim17ROCPRIM_400000_NS6detail17trampoline_kernelINS0_14default_configENS1_25partition_config_selectorILNS1_17partition_subalgoE2EiNS0_10empty_typeEbEEZZNS1_14partition_implILS5_2ELb0ES3_jN6thrust23THRUST_200600_302600_NS6detail15normal_iteratorINSA_7pointerIiNSA_11hip_rocprim3tagENSA_11use_defaultESG_EEEEPS6_NSA_18transform_iteratorINSA_8identityIiEENSC_INSA_10device_ptrIiEEEESG_SG_EENS0_5tupleIJPiSJ_EEENSR_IJSJ_SJ_EEES6_PlJS6_EEE10hipError_tPvRmT3_T4_T5_T6_T7_T9_mT8_P12ihipStream_tbDpT10_ENKUlT_T0_E_clISt17integral_constantIbLb1EES1F_EEDaS1A_S1B_EUlS1A_E_NS1_11comp_targetILNS1_3genE8ELNS1_11target_archE1030ELNS1_3gpuE2ELNS1_3repE0EEENS1_30default_config_static_selectorELNS0_4arch9wavefront6targetE1EEEvT1_ ; -- Begin function _ZN7rocprim17ROCPRIM_400000_NS6detail17trampoline_kernelINS0_14default_configENS1_25partition_config_selectorILNS1_17partition_subalgoE2EiNS0_10empty_typeEbEEZZNS1_14partition_implILS5_2ELb0ES3_jN6thrust23THRUST_200600_302600_NS6detail15normal_iteratorINSA_7pointerIiNSA_11hip_rocprim3tagENSA_11use_defaultESG_EEEEPS6_NSA_18transform_iteratorINSA_8identityIiEENSC_INSA_10device_ptrIiEEEESG_SG_EENS0_5tupleIJPiSJ_EEENSR_IJSJ_SJ_EEES6_PlJS6_EEE10hipError_tPvRmT3_T4_T5_T6_T7_T9_mT8_P12ihipStream_tbDpT10_ENKUlT_T0_E_clISt17integral_constantIbLb1EES1F_EEDaS1A_S1B_EUlS1A_E_NS1_11comp_targetILNS1_3genE8ELNS1_11target_archE1030ELNS1_3gpuE2ELNS1_3repE0EEENS1_30default_config_static_selectorELNS0_4arch9wavefront6targetE1EEEvT1_
	.globl	_ZN7rocprim17ROCPRIM_400000_NS6detail17trampoline_kernelINS0_14default_configENS1_25partition_config_selectorILNS1_17partition_subalgoE2EiNS0_10empty_typeEbEEZZNS1_14partition_implILS5_2ELb0ES3_jN6thrust23THRUST_200600_302600_NS6detail15normal_iteratorINSA_7pointerIiNSA_11hip_rocprim3tagENSA_11use_defaultESG_EEEEPS6_NSA_18transform_iteratorINSA_8identityIiEENSC_INSA_10device_ptrIiEEEESG_SG_EENS0_5tupleIJPiSJ_EEENSR_IJSJ_SJ_EEES6_PlJS6_EEE10hipError_tPvRmT3_T4_T5_T6_T7_T9_mT8_P12ihipStream_tbDpT10_ENKUlT_T0_E_clISt17integral_constantIbLb1EES1F_EEDaS1A_S1B_EUlS1A_E_NS1_11comp_targetILNS1_3genE8ELNS1_11target_archE1030ELNS1_3gpuE2ELNS1_3repE0EEENS1_30default_config_static_selectorELNS0_4arch9wavefront6targetE1EEEvT1_
	.p2align	8
	.type	_ZN7rocprim17ROCPRIM_400000_NS6detail17trampoline_kernelINS0_14default_configENS1_25partition_config_selectorILNS1_17partition_subalgoE2EiNS0_10empty_typeEbEEZZNS1_14partition_implILS5_2ELb0ES3_jN6thrust23THRUST_200600_302600_NS6detail15normal_iteratorINSA_7pointerIiNSA_11hip_rocprim3tagENSA_11use_defaultESG_EEEEPS6_NSA_18transform_iteratorINSA_8identityIiEENSC_INSA_10device_ptrIiEEEESG_SG_EENS0_5tupleIJPiSJ_EEENSR_IJSJ_SJ_EEES6_PlJS6_EEE10hipError_tPvRmT3_T4_T5_T6_T7_T9_mT8_P12ihipStream_tbDpT10_ENKUlT_T0_E_clISt17integral_constantIbLb1EES1F_EEDaS1A_S1B_EUlS1A_E_NS1_11comp_targetILNS1_3genE8ELNS1_11target_archE1030ELNS1_3gpuE2ELNS1_3repE0EEENS1_30default_config_static_selectorELNS0_4arch9wavefront6targetE1EEEvT1_,@function
_ZN7rocprim17ROCPRIM_400000_NS6detail17trampoline_kernelINS0_14default_configENS1_25partition_config_selectorILNS1_17partition_subalgoE2EiNS0_10empty_typeEbEEZZNS1_14partition_implILS5_2ELb0ES3_jN6thrust23THRUST_200600_302600_NS6detail15normal_iteratorINSA_7pointerIiNSA_11hip_rocprim3tagENSA_11use_defaultESG_EEEEPS6_NSA_18transform_iteratorINSA_8identityIiEENSC_INSA_10device_ptrIiEEEESG_SG_EENS0_5tupleIJPiSJ_EEENSR_IJSJ_SJ_EEES6_PlJS6_EEE10hipError_tPvRmT3_T4_T5_T6_T7_T9_mT8_P12ihipStream_tbDpT10_ENKUlT_T0_E_clISt17integral_constantIbLb1EES1F_EEDaS1A_S1B_EUlS1A_E_NS1_11comp_targetILNS1_3genE8ELNS1_11target_archE1030ELNS1_3gpuE2ELNS1_3repE0EEENS1_30default_config_static_selectorELNS0_4arch9wavefront6targetE1EEEvT1_: ; @_ZN7rocprim17ROCPRIM_400000_NS6detail17trampoline_kernelINS0_14default_configENS1_25partition_config_selectorILNS1_17partition_subalgoE2EiNS0_10empty_typeEbEEZZNS1_14partition_implILS5_2ELb0ES3_jN6thrust23THRUST_200600_302600_NS6detail15normal_iteratorINSA_7pointerIiNSA_11hip_rocprim3tagENSA_11use_defaultESG_EEEEPS6_NSA_18transform_iteratorINSA_8identityIiEENSC_INSA_10device_ptrIiEEEESG_SG_EENS0_5tupleIJPiSJ_EEENSR_IJSJ_SJ_EEES6_PlJS6_EEE10hipError_tPvRmT3_T4_T5_T6_T7_T9_mT8_P12ihipStream_tbDpT10_ENKUlT_T0_E_clISt17integral_constantIbLb1EES1F_EEDaS1A_S1B_EUlS1A_E_NS1_11comp_targetILNS1_3genE8ELNS1_11target_archE1030ELNS1_3gpuE2ELNS1_3repE0EEENS1_30default_config_static_selectorELNS0_4arch9wavefront6targetE1EEEvT1_
; %bb.0:
	.section	.rodata,"a",@progbits
	.p2align	6, 0x0
	.amdhsa_kernel _ZN7rocprim17ROCPRIM_400000_NS6detail17trampoline_kernelINS0_14default_configENS1_25partition_config_selectorILNS1_17partition_subalgoE2EiNS0_10empty_typeEbEEZZNS1_14partition_implILS5_2ELb0ES3_jN6thrust23THRUST_200600_302600_NS6detail15normal_iteratorINSA_7pointerIiNSA_11hip_rocprim3tagENSA_11use_defaultESG_EEEEPS6_NSA_18transform_iteratorINSA_8identityIiEENSC_INSA_10device_ptrIiEEEESG_SG_EENS0_5tupleIJPiSJ_EEENSR_IJSJ_SJ_EEES6_PlJS6_EEE10hipError_tPvRmT3_T4_T5_T6_T7_T9_mT8_P12ihipStream_tbDpT10_ENKUlT_T0_E_clISt17integral_constantIbLb1EES1F_EEDaS1A_S1B_EUlS1A_E_NS1_11comp_targetILNS1_3genE8ELNS1_11target_archE1030ELNS1_3gpuE2ELNS1_3repE0EEENS1_30default_config_static_selectorELNS0_4arch9wavefront6targetE1EEEvT1_
		.amdhsa_group_segment_fixed_size 0
		.amdhsa_private_segment_fixed_size 0
		.amdhsa_kernarg_size 144
		.amdhsa_user_sgpr_count 6
		.amdhsa_user_sgpr_private_segment_buffer 1
		.amdhsa_user_sgpr_dispatch_ptr 0
		.amdhsa_user_sgpr_queue_ptr 0
		.amdhsa_user_sgpr_kernarg_segment_ptr 1
		.amdhsa_user_sgpr_dispatch_id 0
		.amdhsa_user_sgpr_flat_scratch_init 0
		.amdhsa_user_sgpr_kernarg_preload_length 0
		.amdhsa_user_sgpr_kernarg_preload_offset 0
		.amdhsa_user_sgpr_private_segment_size 0
		.amdhsa_uses_dynamic_stack 0
		.amdhsa_system_sgpr_private_segment_wavefront_offset 0
		.amdhsa_system_sgpr_workgroup_id_x 1
		.amdhsa_system_sgpr_workgroup_id_y 0
		.amdhsa_system_sgpr_workgroup_id_z 0
		.amdhsa_system_sgpr_workgroup_info 0
		.amdhsa_system_vgpr_workitem_id 0
		.amdhsa_next_free_vgpr 1
		.amdhsa_next_free_sgpr 0
		.amdhsa_accum_offset 4
		.amdhsa_reserve_vcc 0
		.amdhsa_reserve_flat_scratch 0
		.amdhsa_float_round_mode_32 0
		.amdhsa_float_round_mode_16_64 0
		.amdhsa_float_denorm_mode_32 3
		.amdhsa_float_denorm_mode_16_64 3
		.amdhsa_dx10_clamp 1
		.amdhsa_ieee_mode 1
		.amdhsa_fp16_overflow 0
		.amdhsa_tg_split 0
		.amdhsa_exception_fp_ieee_invalid_op 0
		.amdhsa_exception_fp_denorm_src 0
		.amdhsa_exception_fp_ieee_div_zero 0
		.amdhsa_exception_fp_ieee_overflow 0
		.amdhsa_exception_fp_ieee_underflow 0
		.amdhsa_exception_fp_ieee_inexact 0
		.amdhsa_exception_int_div_zero 0
	.end_amdhsa_kernel
	.section	.text._ZN7rocprim17ROCPRIM_400000_NS6detail17trampoline_kernelINS0_14default_configENS1_25partition_config_selectorILNS1_17partition_subalgoE2EiNS0_10empty_typeEbEEZZNS1_14partition_implILS5_2ELb0ES3_jN6thrust23THRUST_200600_302600_NS6detail15normal_iteratorINSA_7pointerIiNSA_11hip_rocprim3tagENSA_11use_defaultESG_EEEEPS6_NSA_18transform_iteratorINSA_8identityIiEENSC_INSA_10device_ptrIiEEEESG_SG_EENS0_5tupleIJPiSJ_EEENSR_IJSJ_SJ_EEES6_PlJS6_EEE10hipError_tPvRmT3_T4_T5_T6_T7_T9_mT8_P12ihipStream_tbDpT10_ENKUlT_T0_E_clISt17integral_constantIbLb1EES1F_EEDaS1A_S1B_EUlS1A_E_NS1_11comp_targetILNS1_3genE8ELNS1_11target_archE1030ELNS1_3gpuE2ELNS1_3repE0EEENS1_30default_config_static_selectorELNS0_4arch9wavefront6targetE1EEEvT1_,"axG",@progbits,_ZN7rocprim17ROCPRIM_400000_NS6detail17trampoline_kernelINS0_14default_configENS1_25partition_config_selectorILNS1_17partition_subalgoE2EiNS0_10empty_typeEbEEZZNS1_14partition_implILS5_2ELb0ES3_jN6thrust23THRUST_200600_302600_NS6detail15normal_iteratorINSA_7pointerIiNSA_11hip_rocprim3tagENSA_11use_defaultESG_EEEEPS6_NSA_18transform_iteratorINSA_8identityIiEENSC_INSA_10device_ptrIiEEEESG_SG_EENS0_5tupleIJPiSJ_EEENSR_IJSJ_SJ_EEES6_PlJS6_EEE10hipError_tPvRmT3_T4_T5_T6_T7_T9_mT8_P12ihipStream_tbDpT10_ENKUlT_T0_E_clISt17integral_constantIbLb1EES1F_EEDaS1A_S1B_EUlS1A_E_NS1_11comp_targetILNS1_3genE8ELNS1_11target_archE1030ELNS1_3gpuE2ELNS1_3repE0EEENS1_30default_config_static_selectorELNS0_4arch9wavefront6targetE1EEEvT1_,comdat
.Lfunc_end528:
	.size	_ZN7rocprim17ROCPRIM_400000_NS6detail17trampoline_kernelINS0_14default_configENS1_25partition_config_selectorILNS1_17partition_subalgoE2EiNS0_10empty_typeEbEEZZNS1_14partition_implILS5_2ELb0ES3_jN6thrust23THRUST_200600_302600_NS6detail15normal_iteratorINSA_7pointerIiNSA_11hip_rocprim3tagENSA_11use_defaultESG_EEEEPS6_NSA_18transform_iteratorINSA_8identityIiEENSC_INSA_10device_ptrIiEEEESG_SG_EENS0_5tupleIJPiSJ_EEENSR_IJSJ_SJ_EEES6_PlJS6_EEE10hipError_tPvRmT3_T4_T5_T6_T7_T9_mT8_P12ihipStream_tbDpT10_ENKUlT_T0_E_clISt17integral_constantIbLb1EES1F_EEDaS1A_S1B_EUlS1A_E_NS1_11comp_targetILNS1_3genE8ELNS1_11target_archE1030ELNS1_3gpuE2ELNS1_3repE0EEENS1_30default_config_static_selectorELNS0_4arch9wavefront6targetE1EEEvT1_, .Lfunc_end528-_ZN7rocprim17ROCPRIM_400000_NS6detail17trampoline_kernelINS0_14default_configENS1_25partition_config_selectorILNS1_17partition_subalgoE2EiNS0_10empty_typeEbEEZZNS1_14partition_implILS5_2ELb0ES3_jN6thrust23THRUST_200600_302600_NS6detail15normal_iteratorINSA_7pointerIiNSA_11hip_rocprim3tagENSA_11use_defaultESG_EEEEPS6_NSA_18transform_iteratorINSA_8identityIiEENSC_INSA_10device_ptrIiEEEESG_SG_EENS0_5tupleIJPiSJ_EEENSR_IJSJ_SJ_EEES6_PlJS6_EEE10hipError_tPvRmT3_T4_T5_T6_T7_T9_mT8_P12ihipStream_tbDpT10_ENKUlT_T0_E_clISt17integral_constantIbLb1EES1F_EEDaS1A_S1B_EUlS1A_E_NS1_11comp_targetILNS1_3genE8ELNS1_11target_archE1030ELNS1_3gpuE2ELNS1_3repE0EEENS1_30default_config_static_selectorELNS0_4arch9wavefront6targetE1EEEvT1_
                                        ; -- End function
	.section	.AMDGPU.csdata,"",@progbits
; Kernel info:
; codeLenInByte = 0
; NumSgprs: 4
; NumVgprs: 0
; NumAgprs: 0
; TotalNumVgprs: 0
; ScratchSize: 0
; MemoryBound: 0
; FloatMode: 240
; IeeeMode: 1
; LDSByteSize: 0 bytes/workgroup (compile time only)
; SGPRBlocks: 0
; VGPRBlocks: 0
; NumSGPRsForWavesPerEU: 4
; NumVGPRsForWavesPerEU: 1
; AccumOffset: 4
; Occupancy: 8
; WaveLimiterHint : 0
; COMPUTE_PGM_RSRC2:SCRATCH_EN: 0
; COMPUTE_PGM_RSRC2:USER_SGPR: 6
; COMPUTE_PGM_RSRC2:TRAP_HANDLER: 0
; COMPUTE_PGM_RSRC2:TGID_X_EN: 1
; COMPUTE_PGM_RSRC2:TGID_Y_EN: 0
; COMPUTE_PGM_RSRC2:TGID_Z_EN: 0
; COMPUTE_PGM_RSRC2:TIDIG_COMP_CNT: 0
; COMPUTE_PGM_RSRC3_GFX90A:ACCUM_OFFSET: 0
; COMPUTE_PGM_RSRC3_GFX90A:TG_SPLIT: 0
	.section	.text._ZN7rocprim17ROCPRIM_400000_NS6detail17trampoline_kernelINS0_14default_configENS1_25partition_config_selectorILNS1_17partition_subalgoE2EiNS0_10empty_typeEbEEZZNS1_14partition_implILS5_2ELb0ES3_jN6thrust23THRUST_200600_302600_NS6detail15normal_iteratorINSA_7pointerIiNSA_11hip_rocprim3tagENSA_11use_defaultESG_EEEEPS6_NSA_18transform_iteratorINSA_8identityIiEENSC_INSA_10device_ptrIiEEEESG_SG_EENS0_5tupleIJPiSJ_EEENSR_IJSJ_SJ_EEES6_PlJS6_EEE10hipError_tPvRmT3_T4_T5_T6_T7_T9_mT8_P12ihipStream_tbDpT10_ENKUlT_T0_E_clISt17integral_constantIbLb1EES1E_IbLb0EEEEDaS1A_S1B_EUlS1A_E_NS1_11comp_targetILNS1_3genE0ELNS1_11target_archE4294967295ELNS1_3gpuE0ELNS1_3repE0EEENS1_30default_config_static_selectorELNS0_4arch9wavefront6targetE1EEEvT1_,"axG",@progbits,_ZN7rocprim17ROCPRIM_400000_NS6detail17trampoline_kernelINS0_14default_configENS1_25partition_config_selectorILNS1_17partition_subalgoE2EiNS0_10empty_typeEbEEZZNS1_14partition_implILS5_2ELb0ES3_jN6thrust23THRUST_200600_302600_NS6detail15normal_iteratorINSA_7pointerIiNSA_11hip_rocprim3tagENSA_11use_defaultESG_EEEEPS6_NSA_18transform_iteratorINSA_8identityIiEENSC_INSA_10device_ptrIiEEEESG_SG_EENS0_5tupleIJPiSJ_EEENSR_IJSJ_SJ_EEES6_PlJS6_EEE10hipError_tPvRmT3_T4_T5_T6_T7_T9_mT8_P12ihipStream_tbDpT10_ENKUlT_T0_E_clISt17integral_constantIbLb1EES1E_IbLb0EEEEDaS1A_S1B_EUlS1A_E_NS1_11comp_targetILNS1_3genE0ELNS1_11target_archE4294967295ELNS1_3gpuE0ELNS1_3repE0EEENS1_30default_config_static_selectorELNS0_4arch9wavefront6targetE1EEEvT1_,comdat
	.protected	_ZN7rocprim17ROCPRIM_400000_NS6detail17trampoline_kernelINS0_14default_configENS1_25partition_config_selectorILNS1_17partition_subalgoE2EiNS0_10empty_typeEbEEZZNS1_14partition_implILS5_2ELb0ES3_jN6thrust23THRUST_200600_302600_NS6detail15normal_iteratorINSA_7pointerIiNSA_11hip_rocprim3tagENSA_11use_defaultESG_EEEEPS6_NSA_18transform_iteratorINSA_8identityIiEENSC_INSA_10device_ptrIiEEEESG_SG_EENS0_5tupleIJPiSJ_EEENSR_IJSJ_SJ_EEES6_PlJS6_EEE10hipError_tPvRmT3_T4_T5_T6_T7_T9_mT8_P12ihipStream_tbDpT10_ENKUlT_T0_E_clISt17integral_constantIbLb1EES1E_IbLb0EEEEDaS1A_S1B_EUlS1A_E_NS1_11comp_targetILNS1_3genE0ELNS1_11target_archE4294967295ELNS1_3gpuE0ELNS1_3repE0EEENS1_30default_config_static_selectorELNS0_4arch9wavefront6targetE1EEEvT1_ ; -- Begin function _ZN7rocprim17ROCPRIM_400000_NS6detail17trampoline_kernelINS0_14default_configENS1_25partition_config_selectorILNS1_17partition_subalgoE2EiNS0_10empty_typeEbEEZZNS1_14partition_implILS5_2ELb0ES3_jN6thrust23THRUST_200600_302600_NS6detail15normal_iteratorINSA_7pointerIiNSA_11hip_rocprim3tagENSA_11use_defaultESG_EEEEPS6_NSA_18transform_iteratorINSA_8identityIiEENSC_INSA_10device_ptrIiEEEESG_SG_EENS0_5tupleIJPiSJ_EEENSR_IJSJ_SJ_EEES6_PlJS6_EEE10hipError_tPvRmT3_T4_T5_T6_T7_T9_mT8_P12ihipStream_tbDpT10_ENKUlT_T0_E_clISt17integral_constantIbLb1EES1E_IbLb0EEEEDaS1A_S1B_EUlS1A_E_NS1_11comp_targetILNS1_3genE0ELNS1_11target_archE4294967295ELNS1_3gpuE0ELNS1_3repE0EEENS1_30default_config_static_selectorELNS0_4arch9wavefront6targetE1EEEvT1_
	.globl	_ZN7rocprim17ROCPRIM_400000_NS6detail17trampoline_kernelINS0_14default_configENS1_25partition_config_selectorILNS1_17partition_subalgoE2EiNS0_10empty_typeEbEEZZNS1_14partition_implILS5_2ELb0ES3_jN6thrust23THRUST_200600_302600_NS6detail15normal_iteratorINSA_7pointerIiNSA_11hip_rocprim3tagENSA_11use_defaultESG_EEEEPS6_NSA_18transform_iteratorINSA_8identityIiEENSC_INSA_10device_ptrIiEEEESG_SG_EENS0_5tupleIJPiSJ_EEENSR_IJSJ_SJ_EEES6_PlJS6_EEE10hipError_tPvRmT3_T4_T5_T6_T7_T9_mT8_P12ihipStream_tbDpT10_ENKUlT_T0_E_clISt17integral_constantIbLb1EES1E_IbLb0EEEEDaS1A_S1B_EUlS1A_E_NS1_11comp_targetILNS1_3genE0ELNS1_11target_archE4294967295ELNS1_3gpuE0ELNS1_3repE0EEENS1_30default_config_static_selectorELNS0_4arch9wavefront6targetE1EEEvT1_
	.p2align	8
	.type	_ZN7rocprim17ROCPRIM_400000_NS6detail17trampoline_kernelINS0_14default_configENS1_25partition_config_selectorILNS1_17partition_subalgoE2EiNS0_10empty_typeEbEEZZNS1_14partition_implILS5_2ELb0ES3_jN6thrust23THRUST_200600_302600_NS6detail15normal_iteratorINSA_7pointerIiNSA_11hip_rocprim3tagENSA_11use_defaultESG_EEEEPS6_NSA_18transform_iteratorINSA_8identityIiEENSC_INSA_10device_ptrIiEEEESG_SG_EENS0_5tupleIJPiSJ_EEENSR_IJSJ_SJ_EEES6_PlJS6_EEE10hipError_tPvRmT3_T4_T5_T6_T7_T9_mT8_P12ihipStream_tbDpT10_ENKUlT_T0_E_clISt17integral_constantIbLb1EES1E_IbLb0EEEEDaS1A_S1B_EUlS1A_E_NS1_11comp_targetILNS1_3genE0ELNS1_11target_archE4294967295ELNS1_3gpuE0ELNS1_3repE0EEENS1_30default_config_static_selectorELNS0_4arch9wavefront6targetE1EEEvT1_,@function
_ZN7rocprim17ROCPRIM_400000_NS6detail17trampoline_kernelINS0_14default_configENS1_25partition_config_selectorILNS1_17partition_subalgoE2EiNS0_10empty_typeEbEEZZNS1_14partition_implILS5_2ELb0ES3_jN6thrust23THRUST_200600_302600_NS6detail15normal_iteratorINSA_7pointerIiNSA_11hip_rocprim3tagENSA_11use_defaultESG_EEEEPS6_NSA_18transform_iteratorINSA_8identityIiEENSC_INSA_10device_ptrIiEEEESG_SG_EENS0_5tupleIJPiSJ_EEENSR_IJSJ_SJ_EEES6_PlJS6_EEE10hipError_tPvRmT3_T4_T5_T6_T7_T9_mT8_P12ihipStream_tbDpT10_ENKUlT_T0_E_clISt17integral_constantIbLb1EES1E_IbLb0EEEEDaS1A_S1B_EUlS1A_E_NS1_11comp_targetILNS1_3genE0ELNS1_11target_archE4294967295ELNS1_3gpuE0ELNS1_3repE0EEENS1_30default_config_static_selectorELNS0_4arch9wavefront6targetE1EEEvT1_: ; @_ZN7rocprim17ROCPRIM_400000_NS6detail17trampoline_kernelINS0_14default_configENS1_25partition_config_selectorILNS1_17partition_subalgoE2EiNS0_10empty_typeEbEEZZNS1_14partition_implILS5_2ELb0ES3_jN6thrust23THRUST_200600_302600_NS6detail15normal_iteratorINSA_7pointerIiNSA_11hip_rocprim3tagENSA_11use_defaultESG_EEEEPS6_NSA_18transform_iteratorINSA_8identityIiEENSC_INSA_10device_ptrIiEEEESG_SG_EENS0_5tupleIJPiSJ_EEENSR_IJSJ_SJ_EEES6_PlJS6_EEE10hipError_tPvRmT3_T4_T5_T6_T7_T9_mT8_P12ihipStream_tbDpT10_ENKUlT_T0_E_clISt17integral_constantIbLb1EES1E_IbLb0EEEEDaS1A_S1B_EUlS1A_E_NS1_11comp_targetILNS1_3genE0ELNS1_11target_archE4294967295ELNS1_3gpuE0ELNS1_3repE0EEENS1_30default_config_static_selectorELNS0_4arch9wavefront6targetE1EEEvT1_
; %bb.0:
	.section	.rodata,"a",@progbits
	.p2align	6, 0x0
	.amdhsa_kernel _ZN7rocprim17ROCPRIM_400000_NS6detail17trampoline_kernelINS0_14default_configENS1_25partition_config_selectorILNS1_17partition_subalgoE2EiNS0_10empty_typeEbEEZZNS1_14partition_implILS5_2ELb0ES3_jN6thrust23THRUST_200600_302600_NS6detail15normal_iteratorINSA_7pointerIiNSA_11hip_rocprim3tagENSA_11use_defaultESG_EEEEPS6_NSA_18transform_iteratorINSA_8identityIiEENSC_INSA_10device_ptrIiEEEESG_SG_EENS0_5tupleIJPiSJ_EEENSR_IJSJ_SJ_EEES6_PlJS6_EEE10hipError_tPvRmT3_T4_T5_T6_T7_T9_mT8_P12ihipStream_tbDpT10_ENKUlT_T0_E_clISt17integral_constantIbLb1EES1E_IbLb0EEEEDaS1A_S1B_EUlS1A_E_NS1_11comp_targetILNS1_3genE0ELNS1_11target_archE4294967295ELNS1_3gpuE0ELNS1_3repE0EEENS1_30default_config_static_selectorELNS0_4arch9wavefront6targetE1EEEvT1_
		.amdhsa_group_segment_fixed_size 0
		.amdhsa_private_segment_fixed_size 0
		.amdhsa_kernarg_size 128
		.amdhsa_user_sgpr_count 6
		.amdhsa_user_sgpr_private_segment_buffer 1
		.amdhsa_user_sgpr_dispatch_ptr 0
		.amdhsa_user_sgpr_queue_ptr 0
		.amdhsa_user_sgpr_kernarg_segment_ptr 1
		.amdhsa_user_sgpr_dispatch_id 0
		.amdhsa_user_sgpr_flat_scratch_init 0
		.amdhsa_user_sgpr_kernarg_preload_length 0
		.amdhsa_user_sgpr_kernarg_preload_offset 0
		.amdhsa_user_sgpr_private_segment_size 0
		.amdhsa_uses_dynamic_stack 0
		.amdhsa_system_sgpr_private_segment_wavefront_offset 0
		.amdhsa_system_sgpr_workgroup_id_x 1
		.amdhsa_system_sgpr_workgroup_id_y 0
		.amdhsa_system_sgpr_workgroup_id_z 0
		.amdhsa_system_sgpr_workgroup_info 0
		.amdhsa_system_vgpr_workitem_id 0
		.amdhsa_next_free_vgpr 1
		.amdhsa_next_free_sgpr 0
		.amdhsa_accum_offset 4
		.amdhsa_reserve_vcc 0
		.amdhsa_reserve_flat_scratch 0
		.amdhsa_float_round_mode_32 0
		.amdhsa_float_round_mode_16_64 0
		.amdhsa_float_denorm_mode_32 3
		.amdhsa_float_denorm_mode_16_64 3
		.amdhsa_dx10_clamp 1
		.amdhsa_ieee_mode 1
		.amdhsa_fp16_overflow 0
		.amdhsa_tg_split 0
		.amdhsa_exception_fp_ieee_invalid_op 0
		.amdhsa_exception_fp_denorm_src 0
		.amdhsa_exception_fp_ieee_div_zero 0
		.amdhsa_exception_fp_ieee_overflow 0
		.amdhsa_exception_fp_ieee_underflow 0
		.amdhsa_exception_fp_ieee_inexact 0
		.amdhsa_exception_int_div_zero 0
	.end_amdhsa_kernel
	.section	.text._ZN7rocprim17ROCPRIM_400000_NS6detail17trampoline_kernelINS0_14default_configENS1_25partition_config_selectorILNS1_17partition_subalgoE2EiNS0_10empty_typeEbEEZZNS1_14partition_implILS5_2ELb0ES3_jN6thrust23THRUST_200600_302600_NS6detail15normal_iteratorINSA_7pointerIiNSA_11hip_rocprim3tagENSA_11use_defaultESG_EEEEPS6_NSA_18transform_iteratorINSA_8identityIiEENSC_INSA_10device_ptrIiEEEESG_SG_EENS0_5tupleIJPiSJ_EEENSR_IJSJ_SJ_EEES6_PlJS6_EEE10hipError_tPvRmT3_T4_T5_T6_T7_T9_mT8_P12ihipStream_tbDpT10_ENKUlT_T0_E_clISt17integral_constantIbLb1EES1E_IbLb0EEEEDaS1A_S1B_EUlS1A_E_NS1_11comp_targetILNS1_3genE0ELNS1_11target_archE4294967295ELNS1_3gpuE0ELNS1_3repE0EEENS1_30default_config_static_selectorELNS0_4arch9wavefront6targetE1EEEvT1_,"axG",@progbits,_ZN7rocprim17ROCPRIM_400000_NS6detail17trampoline_kernelINS0_14default_configENS1_25partition_config_selectorILNS1_17partition_subalgoE2EiNS0_10empty_typeEbEEZZNS1_14partition_implILS5_2ELb0ES3_jN6thrust23THRUST_200600_302600_NS6detail15normal_iteratorINSA_7pointerIiNSA_11hip_rocprim3tagENSA_11use_defaultESG_EEEEPS6_NSA_18transform_iteratorINSA_8identityIiEENSC_INSA_10device_ptrIiEEEESG_SG_EENS0_5tupleIJPiSJ_EEENSR_IJSJ_SJ_EEES6_PlJS6_EEE10hipError_tPvRmT3_T4_T5_T6_T7_T9_mT8_P12ihipStream_tbDpT10_ENKUlT_T0_E_clISt17integral_constantIbLb1EES1E_IbLb0EEEEDaS1A_S1B_EUlS1A_E_NS1_11comp_targetILNS1_3genE0ELNS1_11target_archE4294967295ELNS1_3gpuE0ELNS1_3repE0EEENS1_30default_config_static_selectorELNS0_4arch9wavefront6targetE1EEEvT1_,comdat
.Lfunc_end529:
	.size	_ZN7rocprim17ROCPRIM_400000_NS6detail17trampoline_kernelINS0_14default_configENS1_25partition_config_selectorILNS1_17partition_subalgoE2EiNS0_10empty_typeEbEEZZNS1_14partition_implILS5_2ELb0ES3_jN6thrust23THRUST_200600_302600_NS6detail15normal_iteratorINSA_7pointerIiNSA_11hip_rocprim3tagENSA_11use_defaultESG_EEEEPS6_NSA_18transform_iteratorINSA_8identityIiEENSC_INSA_10device_ptrIiEEEESG_SG_EENS0_5tupleIJPiSJ_EEENSR_IJSJ_SJ_EEES6_PlJS6_EEE10hipError_tPvRmT3_T4_T5_T6_T7_T9_mT8_P12ihipStream_tbDpT10_ENKUlT_T0_E_clISt17integral_constantIbLb1EES1E_IbLb0EEEEDaS1A_S1B_EUlS1A_E_NS1_11comp_targetILNS1_3genE0ELNS1_11target_archE4294967295ELNS1_3gpuE0ELNS1_3repE0EEENS1_30default_config_static_selectorELNS0_4arch9wavefront6targetE1EEEvT1_, .Lfunc_end529-_ZN7rocprim17ROCPRIM_400000_NS6detail17trampoline_kernelINS0_14default_configENS1_25partition_config_selectorILNS1_17partition_subalgoE2EiNS0_10empty_typeEbEEZZNS1_14partition_implILS5_2ELb0ES3_jN6thrust23THRUST_200600_302600_NS6detail15normal_iteratorINSA_7pointerIiNSA_11hip_rocprim3tagENSA_11use_defaultESG_EEEEPS6_NSA_18transform_iteratorINSA_8identityIiEENSC_INSA_10device_ptrIiEEEESG_SG_EENS0_5tupleIJPiSJ_EEENSR_IJSJ_SJ_EEES6_PlJS6_EEE10hipError_tPvRmT3_T4_T5_T6_T7_T9_mT8_P12ihipStream_tbDpT10_ENKUlT_T0_E_clISt17integral_constantIbLb1EES1E_IbLb0EEEEDaS1A_S1B_EUlS1A_E_NS1_11comp_targetILNS1_3genE0ELNS1_11target_archE4294967295ELNS1_3gpuE0ELNS1_3repE0EEENS1_30default_config_static_selectorELNS0_4arch9wavefront6targetE1EEEvT1_
                                        ; -- End function
	.section	.AMDGPU.csdata,"",@progbits
; Kernel info:
; codeLenInByte = 0
; NumSgprs: 4
; NumVgprs: 0
; NumAgprs: 0
; TotalNumVgprs: 0
; ScratchSize: 0
; MemoryBound: 0
; FloatMode: 240
; IeeeMode: 1
; LDSByteSize: 0 bytes/workgroup (compile time only)
; SGPRBlocks: 0
; VGPRBlocks: 0
; NumSGPRsForWavesPerEU: 4
; NumVGPRsForWavesPerEU: 1
; AccumOffset: 4
; Occupancy: 8
; WaveLimiterHint : 0
; COMPUTE_PGM_RSRC2:SCRATCH_EN: 0
; COMPUTE_PGM_RSRC2:USER_SGPR: 6
; COMPUTE_PGM_RSRC2:TRAP_HANDLER: 0
; COMPUTE_PGM_RSRC2:TGID_X_EN: 1
; COMPUTE_PGM_RSRC2:TGID_Y_EN: 0
; COMPUTE_PGM_RSRC2:TGID_Z_EN: 0
; COMPUTE_PGM_RSRC2:TIDIG_COMP_CNT: 0
; COMPUTE_PGM_RSRC3_GFX90A:ACCUM_OFFSET: 0
; COMPUTE_PGM_RSRC3_GFX90A:TG_SPLIT: 0
	.section	.text._ZN7rocprim17ROCPRIM_400000_NS6detail17trampoline_kernelINS0_14default_configENS1_25partition_config_selectorILNS1_17partition_subalgoE2EiNS0_10empty_typeEbEEZZNS1_14partition_implILS5_2ELb0ES3_jN6thrust23THRUST_200600_302600_NS6detail15normal_iteratorINSA_7pointerIiNSA_11hip_rocprim3tagENSA_11use_defaultESG_EEEEPS6_NSA_18transform_iteratorINSA_8identityIiEENSC_INSA_10device_ptrIiEEEESG_SG_EENS0_5tupleIJPiSJ_EEENSR_IJSJ_SJ_EEES6_PlJS6_EEE10hipError_tPvRmT3_T4_T5_T6_T7_T9_mT8_P12ihipStream_tbDpT10_ENKUlT_T0_E_clISt17integral_constantIbLb1EES1E_IbLb0EEEEDaS1A_S1B_EUlS1A_E_NS1_11comp_targetILNS1_3genE5ELNS1_11target_archE942ELNS1_3gpuE9ELNS1_3repE0EEENS1_30default_config_static_selectorELNS0_4arch9wavefront6targetE1EEEvT1_,"axG",@progbits,_ZN7rocprim17ROCPRIM_400000_NS6detail17trampoline_kernelINS0_14default_configENS1_25partition_config_selectorILNS1_17partition_subalgoE2EiNS0_10empty_typeEbEEZZNS1_14partition_implILS5_2ELb0ES3_jN6thrust23THRUST_200600_302600_NS6detail15normal_iteratorINSA_7pointerIiNSA_11hip_rocprim3tagENSA_11use_defaultESG_EEEEPS6_NSA_18transform_iteratorINSA_8identityIiEENSC_INSA_10device_ptrIiEEEESG_SG_EENS0_5tupleIJPiSJ_EEENSR_IJSJ_SJ_EEES6_PlJS6_EEE10hipError_tPvRmT3_T4_T5_T6_T7_T9_mT8_P12ihipStream_tbDpT10_ENKUlT_T0_E_clISt17integral_constantIbLb1EES1E_IbLb0EEEEDaS1A_S1B_EUlS1A_E_NS1_11comp_targetILNS1_3genE5ELNS1_11target_archE942ELNS1_3gpuE9ELNS1_3repE0EEENS1_30default_config_static_selectorELNS0_4arch9wavefront6targetE1EEEvT1_,comdat
	.protected	_ZN7rocprim17ROCPRIM_400000_NS6detail17trampoline_kernelINS0_14default_configENS1_25partition_config_selectorILNS1_17partition_subalgoE2EiNS0_10empty_typeEbEEZZNS1_14partition_implILS5_2ELb0ES3_jN6thrust23THRUST_200600_302600_NS6detail15normal_iteratorINSA_7pointerIiNSA_11hip_rocprim3tagENSA_11use_defaultESG_EEEEPS6_NSA_18transform_iteratorINSA_8identityIiEENSC_INSA_10device_ptrIiEEEESG_SG_EENS0_5tupleIJPiSJ_EEENSR_IJSJ_SJ_EEES6_PlJS6_EEE10hipError_tPvRmT3_T4_T5_T6_T7_T9_mT8_P12ihipStream_tbDpT10_ENKUlT_T0_E_clISt17integral_constantIbLb1EES1E_IbLb0EEEEDaS1A_S1B_EUlS1A_E_NS1_11comp_targetILNS1_3genE5ELNS1_11target_archE942ELNS1_3gpuE9ELNS1_3repE0EEENS1_30default_config_static_selectorELNS0_4arch9wavefront6targetE1EEEvT1_ ; -- Begin function _ZN7rocprim17ROCPRIM_400000_NS6detail17trampoline_kernelINS0_14default_configENS1_25partition_config_selectorILNS1_17partition_subalgoE2EiNS0_10empty_typeEbEEZZNS1_14partition_implILS5_2ELb0ES3_jN6thrust23THRUST_200600_302600_NS6detail15normal_iteratorINSA_7pointerIiNSA_11hip_rocprim3tagENSA_11use_defaultESG_EEEEPS6_NSA_18transform_iteratorINSA_8identityIiEENSC_INSA_10device_ptrIiEEEESG_SG_EENS0_5tupleIJPiSJ_EEENSR_IJSJ_SJ_EEES6_PlJS6_EEE10hipError_tPvRmT3_T4_T5_T6_T7_T9_mT8_P12ihipStream_tbDpT10_ENKUlT_T0_E_clISt17integral_constantIbLb1EES1E_IbLb0EEEEDaS1A_S1B_EUlS1A_E_NS1_11comp_targetILNS1_3genE5ELNS1_11target_archE942ELNS1_3gpuE9ELNS1_3repE0EEENS1_30default_config_static_selectorELNS0_4arch9wavefront6targetE1EEEvT1_
	.globl	_ZN7rocprim17ROCPRIM_400000_NS6detail17trampoline_kernelINS0_14default_configENS1_25partition_config_selectorILNS1_17partition_subalgoE2EiNS0_10empty_typeEbEEZZNS1_14partition_implILS5_2ELb0ES3_jN6thrust23THRUST_200600_302600_NS6detail15normal_iteratorINSA_7pointerIiNSA_11hip_rocprim3tagENSA_11use_defaultESG_EEEEPS6_NSA_18transform_iteratorINSA_8identityIiEENSC_INSA_10device_ptrIiEEEESG_SG_EENS0_5tupleIJPiSJ_EEENSR_IJSJ_SJ_EEES6_PlJS6_EEE10hipError_tPvRmT3_T4_T5_T6_T7_T9_mT8_P12ihipStream_tbDpT10_ENKUlT_T0_E_clISt17integral_constantIbLb1EES1E_IbLb0EEEEDaS1A_S1B_EUlS1A_E_NS1_11comp_targetILNS1_3genE5ELNS1_11target_archE942ELNS1_3gpuE9ELNS1_3repE0EEENS1_30default_config_static_selectorELNS0_4arch9wavefront6targetE1EEEvT1_
	.p2align	8
	.type	_ZN7rocprim17ROCPRIM_400000_NS6detail17trampoline_kernelINS0_14default_configENS1_25partition_config_selectorILNS1_17partition_subalgoE2EiNS0_10empty_typeEbEEZZNS1_14partition_implILS5_2ELb0ES3_jN6thrust23THRUST_200600_302600_NS6detail15normal_iteratorINSA_7pointerIiNSA_11hip_rocprim3tagENSA_11use_defaultESG_EEEEPS6_NSA_18transform_iteratorINSA_8identityIiEENSC_INSA_10device_ptrIiEEEESG_SG_EENS0_5tupleIJPiSJ_EEENSR_IJSJ_SJ_EEES6_PlJS6_EEE10hipError_tPvRmT3_T4_T5_T6_T7_T9_mT8_P12ihipStream_tbDpT10_ENKUlT_T0_E_clISt17integral_constantIbLb1EES1E_IbLb0EEEEDaS1A_S1B_EUlS1A_E_NS1_11comp_targetILNS1_3genE5ELNS1_11target_archE942ELNS1_3gpuE9ELNS1_3repE0EEENS1_30default_config_static_selectorELNS0_4arch9wavefront6targetE1EEEvT1_,@function
_ZN7rocprim17ROCPRIM_400000_NS6detail17trampoline_kernelINS0_14default_configENS1_25partition_config_selectorILNS1_17partition_subalgoE2EiNS0_10empty_typeEbEEZZNS1_14partition_implILS5_2ELb0ES3_jN6thrust23THRUST_200600_302600_NS6detail15normal_iteratorINSA_7pointerIiNSA_11hip_rocprim3tagENSA_11use_defaultESG_EEEEPS6_NSA_18transform_iteratorINSA_8identityIiEENSC_INSA_10device_ptrIiEEEESG_SG_EENS0_5tupleIJPiSJ_EEENSR_IJSJ_SJ_EEES6_PlJS6_EEE10hipError_tPvRmT3_T4_T5_T6_T7_T9_mT8_P12ihipStream_tbDpT10_ENKUlT_T0_E_clISt17integral_constantIbLb1EES1E_IbLb0EEEEDaS1A_S1B_EUlS1A_E_NS1_11comp_targetILNS1_3genE5ELNS1_11target_archE942ELNS1_3gpuE9ELNS1_3repE0EEENS1_30default_config_static_selectorELNS0_4arch9wavefront6targetE1EEEvT1_: ; @_ZN7rocprim17ROCPRIM_400000_NS6detail17trampoline_kernelINS0_14default_configENS1_25partition_config_selectorILNS1_17partition_subalgoE2EiNS0_10empty_typeEbEEZZNS1_14partition_implILS5_2ELb0ES3_jN6thrust23THRUST_200600_302600_NS6detail15normal_iteratorINSA_7pointerIiNSA_11hip_rocprim3tagENSA_11use_defaultESG_EEEEPS6_NSA_18transform_iteratorINSA_8identityIiEENSC_INSA_10device_ptrIiEEEESG_SG_EENS0_5tupleIJPiSJ_EEENSR_IJSJ_SJ_EEES6_PlJS6_EEE10hipError_tPvRmT3_T4_T5_T6_T7_T9_mT8_P12ihipStream_tbDpT10_ENKUlT_T0_E_clISt17integral_constantIbLb1EES1E_IbLb0EEEEDaS1A_S1B_EUlS1A_E_NS1_11comp_targetILNS1_3genE5ELNS1_11target_archE942ELNS1_3gpuE9ELNS1_3repE0EEENS1_30default_config_static_selectorELNS0_4arch9wavefront6targetE1EEEvT1_
; %bb.0:
	.section	.rodata,"a",@progbits
	.p2align	6, 0x0
	.amdhsa_kernel _ZN7rocprim17ROCPRIM_400000_NS6detail17trampoline_kernelINS0_14default_configENS1_25partition_config_selectorILNS1_17partition_subalgoE2EiNS0_10empty_typeEbEEZZNS1_14partition_implILS5_2ELb0ES3_jN6thrust23THRUST_200600_302600_NS6detail15normal_iteratorINSA_7pointerIiNSA_11hip_rocprim3tagENSA_11use_defaultESG_EEEEPS6_NSA_18transform_iteratorINSA_8identityIiEENSC_INSA_10device_ptrIiEEEESG_SG_EENS0_5tupleIJPiSJ_EEENSR_IJSJ_SJ_EEES6_PlJS6_EEE10hipError_tPvRmT3_T4_T5_T6_T7_T9_mT8_P12ihipStream_tbDpT10_ENKUlT_T0_E_clISt17integral_constantIbLb1EES1E_IbLb0EEEEDaS1A_S1B_EUlS1A_E_NS1_11comp_targetILNS1_3genE5ELNS1_11target_archE942ELNS1_3gpuE9ELNS1_3repE0EEENS1_30default_config_static_selectorELNS0_4arch9wavefront6targetE1EEEvT1_
		.amdhsa_group_segment_fixed_size 0
		.amdhsa_private_segment_fixed_size 0
		.amdhsa_kernarg_size 128
		.amdhsa_user_sgpr_count 6
		.amdhsa_user_sgpr_private_segment_buffer 1
		.amdhsa_user_sgpr_dispatch_ptr 0
		.amdhsa_user_sgpr_queue_ptr 0
		.amdhsa_user_sgpr_kernarg_segment_ptr 1
		.amdhsa_user_sgpr_dispatch_id 0
		.amdhsa_user_sgpr_flat_scratch_init 0
		.amdhsa_user_sgpr_kernarg_preload_length 0
		.amdhsa_user_sgpr_kernarg_preload_offset 0
		.amdhsa_user_sgpr_private_segment_size 0
		.amdhsa_uses_dynamic_stack 0
		.amdhsa_system_sgpr_private_segment_wavefront_offset 0
		.amdhsa_system_sgpr_workgroup_id_x 1
		.amdhsa_system_sgpr_workgroup_id_y 0
		.amdhsa_system_sgpr_workgroup_id_z 0
		.amdhsa_system_sgpr_workgroup_info 0
		.amdhsa_system_vgpr_workitem_id 0
		.amdhsa_next_free_vgpr 1
		.amdhsa_next_free_sgpr 0
		.amdhsa_accum_offset 4
		.amdhsa_reserve_vcc 0
		.amdhsa_reserve_flat_scratch 0
		.amdhsa_float_round_mode_32 0
		.amdhsa_float_round_mode_16_64 0
		.amdhsa_float_denorm_mode_32 3
		.amdhsa_float_denorm_mode_16_64 3
		.amdhsa_dx10_clamp 1
		.amdhsa_ieee_mode 1
		.amdhsa_fp16_overflow 0
		.amdhsa_tg_split 0
		.amdhsa_exception_fp_ieee_invalid_op 0
		.amdhsa_exception_fp_denorm_src 0
		.amdhsa_exception_fp_ieee_div_zero 0
		.amdhsa_exception_fp_ieee_overflow 0
		.amdhsa_exception_fp_ieee_underflow 0
		.amdhsa_exception_fp_ieee_inexact 0
		.amdhsa_exception_int_div_zero 0
	.end_amdhsa_kernel
	.section	.text._ZN7rocprim17ROCPRIM_400000_NS6detail17trampoline_kernelINS0_14default_configENS1_25partition_config_selectorILNS1_17partition_subalgoE2EiNS0_10empty_typeEbEEZZNS1_14partition_implILS5_2ELb0ES3_jN6thrust23THRUST_200600_302600_NS6detail15normal_iteratorINSA_7pointerIiNSA_11hip_rocprim3tagENSA_11use_defaultESG_EEEEPS6_NSA_18transform_iteratorINSA_8identityIiEENSC_INSA_10device_ptrIiEEEESG_SG_EENS0_5tupleIJPiSJ_EEENSR_IJSJ_SJ_EEES6_PlJS6_EEE10hipError_tPvRmT3_T4_T5_T6_T7_T9_mT8_P12ihipStream_tbDpT10_ENKUlT_T0_E_clISt17integral_constantIbLb1EES1E_IbLb0EEEEDaS1A_S1B_EUlS1A_E_NS1_11comp_targetILNS1_3genE5ELNS1_11target_archE942ELNS1_3gpuE9ELNS1_3repE0EEENS1_30default_config_static_selectorELNS0_4arch9wavefront6targetE1EEEvT1_,"axG",@progbits,_ZN7rocprim17ROCPRIM_400000_NS6detail17trampoline_kernelINS0_14default_configENS1_25partition_config_selectorILNS1_17partition_subalgoE2EiNS0_10empty_typeEbEEZZNS1_14partition_implILS5_2ELb0ES3_jN6thrust23THRUST_200600_302600_NS6detail15normal_iteratorINSA_7pointerIiNSA_11hip_rocprim3tagENSA_11use_defaultESG_EEEEPS6_NSA_18transform_iteratorINSA_8identityIiEENSC_INSA_10device_ptrIiEEEESG_SG_EENS0_5tupleIJPiSJ_EEENSR_IJSJ_SJ_EEES6_PlJS6_EEE10hipError_tPvRmT3_T4_T5_T6_T7_T9_mT8_P12ihipStream_tbDpT10_ENKUlT_T0_E_clISt17integral_constantIbLb1EES1E_IbLb0EEEEDaS1A_S1B_EUlS1A_E_NS1_11comp_targetILNS1_3genE5ELNS1_11target_archE942ELNS1_3gpuE9ELNS1_3repE0EEENS1_30default_config_static_selectorELNS0_4arch9wavefront6targetE1EEEvT1_,comdat
.Lfunc_end530:
	.size	_ZN7rocprim17ROCPRIM_400000_NS6detail17trampoline_kernelINS0_14default_configENS1_25partition_config_selectorILNS1_17partition_subalgoE2EiNS0_10empty_typeEbEEZZNS1_14partition_implILS5_2ELb0ES3_jN6thrust23THRUST_200600_302600_NS6detail15normal_iteratorINSA_7pointerIiNSA_11hip_rocprim3tagENSA_11use_defaultESG_EEEEPS6_NSA_18transform_iteratorINSA_8identityIiEENSC_INSA_10device_ptrIiEEEESG_SG_EENS0_5tupleIJPiSJ_EEENSR_IJSJ_SJ_EEES6_PlJS6_EEE10hipError_tPvRmT3_T4_T5_T6_T7_T9_mT8_P12ihipStream_tbDpT10_ENKUlT_T0_E_clISt17integral_constantIbLb1EES1E_IbLb0EEEEDaS1A_S1B_EUlS1A_E_NS1_11comp_targetILNS1_3genE5ELNS1_11target_archE942ELNS1_3gpuE9ELNS1_3repE0EEENS1_30default_config_static_selectorELNS0_4arch9wavefront6targetE1EEEvT1_, .Lfunc_end530-_ZN7rocprim17ROCPRIM_400000_NS6detail17trampoline_kernelINS0_14default_configENS1_25partition_config_selectorILNS1_17partition_subalgoE2EiNS0_10empty_typeEbEEZZNS1_14partition_implILS5_2ELb0ES3_jN6thrust23THRUST_200600_302600_NS6detail15normal_iteratorINSA_7pointerIiNSA_11hip_rocprim3tagENSA_11use_defaultESG_EEEEPS6_NSA_18transform_iteratorINSA_8identityIiEENSC_INSA_10device_ptrIiEEEESG_SG_EENS0_5tupleIJPiSJ_EEENSR_IJSJ_SJ_EEES6_PlJS6_EEE10hipError_tPvRmT3_T4_T5_T6_T7_T9_mT8_P12ihipStream_tbDpT10_ENKUlT_T0_E_clISt17integral_constantIbLb1EES1E_IbLb0EEEEDaS1A_S1B_EUlS1A_E_NS1_11comp_targetILNS1_3genE5ELNS1_11target_archE942ELNS1_3gpuE9ELNS1_3repE0EEENS1_30default_config_static_selectorELNS0_4arch9wavefront6targetE1EEEvT1_
                                        ; -- End function
	.section	.AMDGPU.csdata,"",@progbits
; Kernel info:
; codeLenInByte = 0
; NumSgprs: 4
; NumVgprs: 0
; NumAgprs: 0
; TotalNumVgprs: 0
; ScratchSize: 0
; MemoryBound: 0
; FloatMode: 240
; IeeeMode: 1
; LDSByteSize: 0 bytes/workgroup (compile time only)
; SGPRBlocks: 0
; VGPRBlocks: 0
; NumSGPRsForWavesPerEU: 4
; NumVGPRsForWavesPerEU: 1
; AccumOffset: 4
; Occupancy: 8
; WaveLimiterHint : 0
; COMPUTE_PGM_RSRC2:SCRATCH_EN: 0
; COMPUTE_PGM_RSRC2:USER_SGPR: 6
; COMPUTE_PGM_RSRC2:TRAP_HANDLER: 0
; COMPUTE_PGM_RSRC2:TGID_X_EN: 1
; COMPUTE_PGM_RSRC2:TGID_Y_EN: 0
; COMPUTE_PGM_RSRC2:TGID_Z_EN: 0
; COMPUTE_PGM_RSRC2:TIDIG_COMP_CNT: 0
; COMPUTE_PGM_RSRC3_GFX90A:ACCUM_OFFSET: 0
; COMPUTE_PGM_RSRC3_GFX90A:TG_SPLIT: 0
	.section	.text._ZN7rocprim17ROCPRIM_400000_NS6detail17trampoline_kernelINS0_14default_configENS1_25partition_config_selectorILNS1_17partition_subalgoE2EiNS0_10empty_typeEbEEZZNS1_14partition_implILS5_2ELb0ES3_jN6thrust23THRUST_200600_302600_NS6detail15normal_iteratorINSA_7pointerIiNSA_11hip_rocprim3tagENSA_11use_defaultESG_EEEEPS6_NSA_18transform_iteratorINSA_8identityIiEENSC_INSA_10device_ptrIiEEEESG_SG_EENS0_5tupleIJPiSJ_EEENSR_IJSJ_SJ_EEES6_PlJS6_EEE10hipError_tPvRmT3_T4_T5_T6_T7_T9_mT8_P12ihipStream_tbDpT10_ENKUlT_T0_E_clISt17integral_constantIbLb1EES1E_IbLb0EEEEDaS1A_S1B_EUlS1A_E_NS1_11comp_targetILNS1_3genE4ELNS1_11target_archE910ELNS1_3gpuE8ELNS1_3repE0EEENS1_30default_config_static_selectorELNS0_4arch9wavefront6targetE1EEEvT1_,"axG",@progbits,_ZN7rocprim17ROCPRIM_400000_NS6detail17trampoline_kernelINS0_14default_configENS1_25partition_config_selectorILNS1_17partition_subalgoE2EiNS0_10empty_typeEbEEZZNS1_14partition_implILS5_2ELb0ES3_jN6thrust23THRUST_200600_302600_NS6detail15normal_iteratorINSA_7pointerIiNSA_11hip_rocprim3tagENSA_11use_defaultESG_EEEEPS6_NSA_18transform_iteratorINSA_8identityIiEENSC_INSA_10device_ptrIiEEEESG_SG_EENS0_5tupleIJPiSJ_EEENSR_IJSJ_SJ_EEES6_PlJS6_EEE10hipError_tPvRmT3_T4_T5_T6_T7_T9_mT8_P12ihipStream_tbDpT10_ENKUlT_T0_E_clISt17integral_constantIbLb1EES1E_IbLb0EEEEDaS1A_S1B_EUlS1A_E_NS1_11comp_targetILNS1_3genE4ELNS1_11target_archE910ELNS1_3gpuE8ELNS1_3repE0EEENS1_30default_config_static_selectorELNS0_4arch9wavefront6targetE1EEEvT1_,comdat
	.protected	_ZN7rocprim17ROCPRIM_400000_NS6detail17trampoline_kernelINS0_14default_configENS1_25partition_config_selectorILNS1_17partition_subalgoE2EiNS0_10empty_typeEbEEZZNS1_14partition_implILS5_2ELb0ES3_jN6thrust23THRUST_200600_302600_NS6detail15normal_iteratorINSA_7pointerIiNSA_11hip_rocprim3tagENSA_11use_defaultESG_EEEEPS6_NSA_18transform_iteratorINSA_8identityIiEENSC_INSA_10device_ptrIiEEEESG_SG_EENS0_5tupleIJPiSJ_EEENSR_IJSJ_SJ_EEES6_PlJS6_EEE10hipError_tPvRmT3_T4_T5_T6_T7_T9_mT8_P12ihipStream_tbDpT10_ENKUlT_T0_E_clISt17integral_constantIbLb1EES1E_IbLb0EEEEDaS1A_S1B_EUlS1A_E_NS1_11comp_targetILNS1_3genE4ELNS1_11target_archE910ELNS1_3gpuE8ELNS1_3repE0EEENS1_30default_config_static_selectorELNS0_4arch9wavefront6targetE1EEEvT1_ ; -- Begin function _ZN7rocprim17ROCPRIM_400000_NS6detail17trampoline_kernelINS0_14default_configENS1_25partition_config_selectorILNS1_17partition_subalgoE2EiNS0_10empty_typeEbEEZZNS1_14partition_implILS5_2ELb0ES3_jN6thrust23THRUST_200600_302600_NS6detail15normal_iteratorINSA_7pointerIiNSA_11hip_rocprim3tagENSA_11use_defaultESG_EEEEPS6_NSA_18transform_iteratorINSA_8identityIiEENSC_INSA_10device_ptrIiEEEESG_SG_EENS0_5tupleIJPiSJ_EEENSR_IJSJ_SJ_EEES6_PlJS6_EEE10hipError_tPvRmT3_T4_T5_T6_T7_T9_mT8_P12ihipStream_tbDpT10_ENKUlT_T0_E_clISt17integral_constantIbLb1EES1E_IbLb0EEEEDaS1A_S1B_EUlS1A_E_NS1_11comp_targetILNS1_3genE4ELNS1_11target_archE910ELNS1_3gpuE8ELNS1_3repE0EEENS1_30default_config_static_selectorELNS0_4arch9wavefront6targetE1EEEvT1_
	.globl	_ZN7rocprim17ROCPRIM_400000_NS6detail17trampoline_kernelINS0_14default_configENS1_25partition_config_selectorILNS1_17partition_subalgoE2EiNS0_10empty_typeEbEEZZNS1_14partition_implILS5_2ELb0ES3_jN6thrust23THRUST_200600_302600_NS6detail15normal_iteratorINSA_7pointerIiNSA_11hip_rocprim3tagENSA_11use_defaultESG_EEEEPS6_NSA_18transform_iteratorINSA_8identityIiEENSC_INSA_10device_ptrIiEEEESG_SG_EENS0_5tupleIJPiSJ_EEENSR_IJSJ_SJ_EEES6_PlJS6_EEE10hipError_tPvRmT3_T4_T5_T6_T7_T9_mT8_P12ihipStream_tbDpT10_ENKUlT_T0_E_clISt17integral_constantIbLb1EES1E_IbLb0EEEEDaS1A_S1B_EUlS1A_E_NS1_11comp_targetILNS1_3genE4ELNS1_11target_archE910ELNS1_3gpuE8ELNS1_3repE0EEENS1_30default_config_static_selectorELNS0_4arch9wavefront6targetE1EEEvT1_
	.p2align	8
	.type	_ZN7rocprim17ROCPRIM_400000_NS6detail17trampoline_kernelINS0_14default_configENS1_25partition_config_selectorILNS1_17partition_subalgoE2EiNS0_10empty_typeEbEEZZNS1_14partition_implILS5_2ELb0ES3_jN6thrust23THRUST_200600_302600_NS6detail15normal_iteratorINSA_7pointerIiNSA_11hip_rocprim3tagENSA_11use_defaultESG_EEEEPS6_NSA_18transform_iteratorINSA_8identityIiEENSC_INSA_10device_ptrIiEEEESG_SG_EENS0_5tupleIJPiSJ_EEENSR_IJSJ_SJ_EEES6_PlJS6_EEE10hipError_tPvRmT3_T4_T5_T6_T7_T9_mT8_P12ihipStream_tbDpT10_ENKUlT_T0_E_clISt17integral_constantIbLb1EES1E_IbLb0EEEEDaS1A_S1B_EUlS1A_E_NS1_11comp_targetILNS1_3genE4ELNS1_11target_archE910ELNS1_3gpuE8ELNS1_3repE0EEENS1_30default_config_static_selectorELNS0_4arch9wavefront6targetE1EEEvT1_,@function
_ZN7rocprim17ROCPRIM_400000_NS6detail17trampoline_kernelINS0_14default_configENS1_25partition_config_selectorILNS1_17partition_subalgoE2EiNS0_10empty_typeEbEEZZNS1_14partition_implILS5_2ELb0ES3_jN6thrust23THRUST_200600_302600_NS6detail15normal_iteratorINSA_7pointerIiNSA_11hip_rocprim3tagENSA_11use_defaultESG_EEEEPS6_NSA_18transform_iteratorINSA_8identityIiEENSC_INSA_10device_ptrIiEEEESG_SG_EENS0_5tupleIJPiSJ_EEENSR_IJSJ_SJ_EEES6_PlJS6_EEE10hipError_tPvRmT3_T4_T5_T6_T7_T9_mT8_P12ihipStream_tbDpT10_ENKUlT_T0_E_clISt17integral_constantIbLb1EES1E_IbLb0EEEEDaS1A_S1B_EUlS1A_E_NS1_11comp_targetILNS1_3genE4ELNS1_11target_archE910ELNS1_3gpuE8ELNS1_3repE0EEENS1_30default_config_static_selectorELNS0_4arch9wavefront6targetE1EEEvT1_: ; @_ZN7rocprim17ROCPRIM_400000_NS6detail17trampoline_kernelINS0_14default_configENS1_25partition_config_selectorILNS1_17partition_subalgoE2EiNS0_10empty_typeEbEEZZNS1_14partition_implILS5_2ELb0ES3_jN6thrust23THRUST_200600_302600_NS6detail15normal_iteratorINSA_7pointerIiNSA_11hip_rocprim3tagENSA_11use_defaultESG_EEEEPS6_NSA_18transform_iteratorINSA_8identityIiEENSC_INSA_10device_ptrIiEEEESG_SG_EENS0_5tupleIJPiSJ_EEENSR_IJSJ_SJ_EEES6_PlJS6_EEE10hipError_tPvRmT3_T4_T5_T6_T7_T9_mT8_P12ihipStream_tbDpT10_ENKUlT_T0_E_clISt17integral_constantIbLb1EES1E_IbLb0EEEEDaS1A_S1B_EUlS1A_E_NS1_11comp_targetILNS1_3genE4ELNS1_11target_archE910ELNS1_3gpuE8ELNS1_3repE0EEENS1_30default_config_static_selectorELNS0_4arch9wavefront6targetE1EEEvT1_
; %bb.0:
	s_load_dwordx4 s[24:27], s[4:5], 0x8
	s_load_dwordx2 s[2:3], s[4:5], 0x20
	s_load_dwordx2 s[28:29], s[4:5], 0x60
	s_load_dwordx4 s[20:23], s[4:5], 0x50
	s_load_dword s0, s[4:5], 0x78
	s_waitcnt lgkmcnt(0)
	s_lshl_b64 s[8:9], s[26:27], 2
	s_add_u32 s7, s24, s8
	s_addc_u32 s12, s25, s9
	s_load_dwordx2 s[30:31], s[22:23], 0x0
	s_add_i32 s10, s0, -1
	s_mulk_i32 s0, 0xa00
	s_add_i32 s1, s0, s26
	s_sub_i32 s33, s28, s1
	s_addk_i32 s33, 0xa00
	s_add_u32 s0, s26, s0
	s_addc_u32 s1, s27, 0
	s_cmp_eq_u32 s6, s10
	v_pk_mov_b32 v[2:3], s[28:29], s[28:29] op_sel:[0,1]
	s_cselect_b64 s[22:23], -1, 0
	s_cmp_lg_u32 s6, s10
	s_mul_i32 s24, s6, 0xa00
	s_mov_b32 s25, 0
	v_cmp_lt_u64_e32 vcc, s[0:1], v[2:3]
	s_cselect_b64 s[0:1], -1, 0
	s_or_b64 s[34:35], s[0:1], vcc
	s_lshl_b64 s[10:11], s[24:25], 2
	s_add_u32 s7, s7, s10
	s_addc_u32 s14, s12, s11
	s_mov_b64 s[0:1], -1
	s_and_b64 vcc, exec, s[34:35]
	v_lshlrev_b32_e32 v1, 2, v0
	s_cbranch_vccz .LBB531_2
; %bb.1:
	v_mov_b32_e32 v3, s14
	v_add_co_u32_e32 v2, vcc, s7, v1
	v_addc_co_u32_e32 v3, vcc, 0, v3, vcc
	v_add_co_u32_e32 v4, vcc, 0x1000, v2
	v_addc_co_u32_e32 v5, vcc, 0, v3, vcc
	flat_load_dword v6, v[2:3]
	flat_load_dword v7, v[2:3] offset:1024
	flat_load_dword v8, v[2:3] offset:2048
	;; [unrolled: 1-line block ×3, first 2 shown]
	flat_load_dword v10, v[4:5]
	flat_load_dword v11, v[4:5] offset:1024
	flat_load_dword v12, v[4:5] offset:2048
	;; [unrolled: 1-line block ×3, first 2 shown]
	v_add_co_u32_e32 v2, vcc, 0x2000, v2
	v_addc_co_u32_e32 v3, vcc, 0, v3, vcc
	flat_load_dword v4, v[2:3]
	flat_load_dword v5, v[2:3] offset:1024
	s_mov_b64 s[0:1], 0
	s_waitcnt vmcnt(0) lgkmcnt(0)
	ds_write2st64_b32 v1, v6, v7 offset1:4
	ds_write2st64_b32 v1, v8, v9 offset0:8 offset1:12
	ds_write2st64_b32 v1, v10, v11 offset0:16 offset1:20
	;; [unrolled: 1-line block ×4, first 2 shown]
	s_waitcnt lgkmcnt(0)
	s_barrier
.LBB531_2:
	s_andn2_b64 vcc, exec, s[0:1]
	v_cmp_gt_u32_e64 s[0:1], s33, v0
	s_cbranch_vccnz .LBB531_24
; %bb.3:
                                        ; implicit-def: $vgpr2_vgpr3_vgpr4_vgpr5_vgpr6_vgpr7_vgpr8_vgpr9_vgpr10_vgpr11
	s_and_saveexec_b64 s[12:13], s[0:1]
	s_cbranch_execz .LBB531_5
; %bb.4:
	v_mov_b32_e32 v3, s14
	v_add_co_u32_e32 v2, vcc, s7, v1
	v_addc_co_u32_e32 v3, vcc, 0, v3, vcc
	flat_load_dword v2, v[2:3]
.LBB531_5:
	s_or_b64 exec, exec, s[12:13]
	v_or_b32_e32 v12, 0x100, v0
	v_cmp_gt_u32_e32 vcc, s33, v12
	s_and_saveexec_b64 s[0:1], vcc
	s_cbranch_execz .LBB531_7
; %bb.6:
	v_mov_b32_e32 v3, s14
	v_add_co_u32_e32 v12, vcc, s7, v1
	v_addc_co_u32_e32 v13, vcc, 0, v3, vcc
	flat_load_dword v3, v[12:13] offset:1024
.LBB531_7:
	s_or_b64 exec, exec, s[0:1]
	v_or_b32_e32 v12, 0x200, v0
	v_cmp_gt_u32_e32 vcc, s33, v12
	s_and_saveexec_b64 s[0:1], vcc
	s_cbranch_execz .LBB531_9
; %bb.8:
	v_mov_b32_e32 v4, s14
	v_add_co_u32_e32 v12, vcc, s7, v1
	v_addc_co_u32_e32 v13, vcc, 0, v4, vcc
	flat_load_dword v4, v[12:13] offset:2048
.LBB531_9:
	;; [unrolled: 11-line block ×3, first 2 shown]
	s_or_b64 exec, exec, s[0:1]
	v_or_b32_e32 v12, 0x400, v0
	v_cmp_gt_u32_e32 vcc, s33, v12
	s_and_saveexec_b64 s[0:1], vcc
	s_cbranch_execz .LBB531_13
; %bb.12:
	v_lshlrev_b32_e32 v6, 2, v12
	v_mov_b32_e32 v13, s14
	v_add_co_u32_e32 v12, vcc, s7, v6
	v_addc_co_u32_e32 v13, vcc, 0, v13, vcc
	flat_load_dword v6, v[12:13]
.LBB531_13:
	s_or_b64 exec, exec, s[0:1]
	v_or_b32_e32 v12, 0x500, v0
	v_cmp_gt_u32_e32 vcc, s33, v12
	s_and_saveexec_b64 s[0:1], vcc
	s_cbranch_execz .LBB531_15
; %bb.14:
	v_lshlrev_b32_e32 v7, 2, v12
	v_mov_b32_e32 v13, s14
	v_add_co_u32_e32 v12, vcc, s7, v7
	v_addc_co_u32_e32 v13, vcc, 0, v13, vcc
	flat_load_dword v7, v[12:13]
.LBB531_15:
	;; [unrolled: 12-line block ×6, first 2 shown]
	s_or_b64 exec, exec, s[0:1]
	s_waitcnt vmcnt(0) lgkmcnt(0)
	ds_write2st64_b32 v1, v2, v3 offset1:4
	ds_write2st64_b32 v1, v4, v5 offset0:8 offset1:12
	ds_write2st64_b32 v1, v6, v7 offset0:16 offset1:20
	;; [unrolled: 1-line block ×4, first 2 shown]
	s_waitcnt lgkmcnt(0)
	s_barrier
.LBB531_24:
	v_mul_u32_u24_e32 v24, 10, v0
	v_lshlrev_b32_e32 v10, 2, v24
	s_waitcnt lgkmcnt(0)
	ds_read2_b64 v[6:9], v10 offset1:1
	ds_read2_b64 v[2:5], v10 offset0:2 offset1:3
	ds_read_b64 v[12:13], v10 offset:32
	s_add_u32 s0, s2, s8
	s_addc_u32 s1, s3, s9
	s_add_u32 s0, s0, s10
	s_addc_u32 s1, s1, s11
	s_mov_b64 s[2:3], -1
	s_and_b64 vcc, exec, s[34:35]
	s_waitcnt lgkmcnt(0)
	s_barrier
	s_cbranch_vccz .LBB531_26
; %bb.25:
	v_mov_b32_e32 v11, s1
	v_add_co_u32_e32 v16, vcc, s0, v1
	v_addc_co_u32_e32 v11, vcc, 0, v11, vcc
	s_movk_i32 s2, 0x1000
	v_add_co_u32_e32 v14, vcc, s2, v16
	global_load_dword v18, v1, s[0:1]
	global_load_dword v19, v1, s[0:1] offset:1024
	global_load_dword v20, v1, s[0:1] offset:2048
	;; [unrolled: 1-line block ×3, first 2 shown]
	v_addc_co_u32_e32 v15, vcc, 0, v11, vcc
	global_load_dword v22, v[14:15], off offset:1024
	s_movk_i32 s2, 0x2000
	v_add_co_u32_e32 v16, vcc, s2, v16
	v_addc_co_u32_e32 v17, vcc, 0, v11, vcc
	global_load_dword v11, v[14:15], off offset:2048
	global_load_dword v23, v[16:17], off offset:-4096
	global_load_dword v25, v[16:17], off
	global_load_dword v26, v[16:17], off offset:1024
	global_load_dword v27, v[14:15], off offset:3072
	s_mov_b64 s[2:3], 0
	s_waitcnt vmcnt(9)
	v_cmp_ne_u32_e32 vcc, 0, v18
	v_cndmask_b32_e64 v14, 0, 1, vcc
	s_waitcnt vmcnt(8)
	v_cmp_ne_u32_e32 vcc, 0, v19
	v_cndmask_b32_e64 v15, 0, 1, vcc
	;; [unrolled: 3-line block ×4, first 2 shown]
	s_waitcnt vmcnt(5)
	v_cmp_ne_u32_e32 vcc, 0, v22
	ds_write_b8 v0, v14
	ds_write_b8 v0, v15 offset:256
	ds_write_b8 v0, v16 offset:512
	;; [unrolled: 1-line block ×3, first 2 shown]
	v_cndmask_b32_e64 v14, 0, 1, vcc
	s_waitcnt vmcnt(4)
	v_cmp_ne_u32_e32 vcc, 0, v11
	v_cndmask_b32_e64 v11, 0, 1, vcc
	s_waitcnt vmcnt(3)
	v_cmp_ne_u32_e32 vcc, 0, v23
	;; [unrolled: 3-line block ×3, first 2 shown]
	v_cndmask_b32_e64 v16, 0, 1, vcc
	v_cmp_ne_u32_e32 vcc, 0, v25
	v_cndmask_b32_e64 v17, 0, 1, vcc
	v_cmp_ne_u32_e32 vcc, 0, v26
	v_cndmask_b32_e64 v18, 0, 1, vcc
	ds_write_b8 v0, v14 offset:1280
	ds_write_b8 v0, v11 offset:1536
	;; [unrolled: 1-line block ×6, first 2 shown]
	s_waitcnt lgkmcnt(0)
	s_barrier
.LBB531_26:
	s_load_dwordx2 s[36:37], s[4:5], 0x70
	s_andn2_b64 vcc, exec, s[2:3]
	s_cbranch_vccnz .LBB531_48
; %bb.27:
	v_cmp_gt_u32_e32 vcc, s33, v0
	v_mov_b32_e32 v11, 0
	v_mov_b32_e32 v14, 0
	s_and_saveexec_b64 s[2:3], vcc
	s_cbranch_execz .LBB531_29
; %bb.28:
	global_load_dword v14, v1, s[0:1]
	s_waitcnt vmcnt(0)
	v_cmp_ne_u32_e32 vcc, 0, v14
	v_cndmask_b32_e64 v14, 0, 1, vcc
.LBB531_29:
	s_or_b64 exec, exec, s[2:3]
	v_or_b32_e32 v15, 0x100, v0
	v_cmp_gt_u32_e32 vcc, s33, v15
	s_and_saveexec_b64 s[2:3], vcc
	s_cbranch_execz .LBB531_31
; %bb.30:
	global_load_dword v11, v1, s[0:1] offset:1024
	s_waitcnt vmcnt(0)
	v_cmp_ne_u32_e32 vcc, 0, v11
	v_cndmask_b32_e64 v11, 0, 1, vcc
.LBB531_31:
	s_or_b64 exec, exec, s[2:3]
	v_or_b32_e32 v15, 0x200, v0
	v_cmp_gt_u32_e32 vcc, s33, v15
	v_mov_b32_e32 v15, 0
	v_mov_b32_e32 v16, 0
	s_and_saveexec_b64 s[2:3], vcc
	s_cbranch_execz .LBB531_33
; %bb.32:
	global_load_dword v16, v1, s[0:1] offset:2048
	s_waitcnt vmcnt(0)
	v_cmp_ne_u32_e32 vcc, 0, v16
	v_cndmask_b32_e64 v16, 0, 1, vcc
.LBB531_33:
	s_or_b64 exec, exec, s[2:3]
	v_or_b32_e32 v17, 0x300, v0
	v_cmp_gt_u32_e32 vcc, s33, v17
	s_and_saveexec_b64 s[2:3], vcc
	s_cbranch_execz .LBB531_35
; %bb.34:
	global_load_dword v15, v1, s[0:1] offset:3072
	s_waitcnt vmcnt(0)
	v_cmp_ne_u32_e32 vcc, 0, v15
	v_cndmask_b32_e64 v15, 0, 1, vcc
.LBB531_35:
	s_or_b64 exec, exec, s[2:3]
	v_or_b32_e32 v19, 0x400, v0
	v_cmp_gt_u32_e32 vcc, s33, v19
	v_mov_b32_e32 v17, 0
	v_mov_b32_e32 v18, 0
	s_and_saveexec_b64 s[2:3], vcc
	s_cbranch_execz .LBB531_37
; %bb.36:
	v_lshlrev_b32_e32 v18, 2, v19
	global_load_dword v18, v18, s[0:1]
	s_waitcnt vmcnt(0)
	v_cmp_ne_u32_e32 vcc, 0, v18
	v_cndmask_b32_e64 v18, 0, 1, vcc
.LBB531_37:
	s_or_b64 exec, exec, s[2:3]
	v_or_b32_e32 v19, 0x500, v0
	v_cmp_gt_u32_e32 vcc, s33, v19
	s_and_saveexec_b64 s[2:3], vcc
	s_cbranch_execz .LBB531_39
; %bb.38:
	v_lshlrev_b32_e32 v17, 2, v19
	global_load_dword v17, v17, s[0:1]
	s_waitcnt vmcnt(0)
	v_cmp_ne_u32_e32 vcc, 0, v17
	v_cndmask_b32_e64 v17, 0, 1, vcc
.LBB531_39:
	s_or_b64 exec, exec, s[2:3]
	v_or_b32_e32 v21, 0x600, v0
	v_cmp_gt_u32_e32 vcc, s33, v21
	v_mov_b32_e32 v19, 0
	v_mov_b32_e32 v20, 0
	s_and_saveexec_b64 s[2:3], vcc
	s_cbranch_execz .LBB531_41
; %bb.40:
	v_lshlrev_b32_e32 v20, 2, v21
	global_load_dword v20, v20, s[0:1]
	s_waitcnt vmcnt(0)
	v_cmp_ne_u32_e32 vcc, 0, v20
	v_cndmask_b32_e64 v20, 0, 1, vcc
.LBB531_41:
	s_or_b64 exec, exec, s[2:3]
	v_or_b32_e32 v21, 0x700, v0
	v_cmp_gt_u32_e32 vcc, s33, v21
	s_and_saveexec_b64 s[2:3], vcc
	s_cbranch_execz .LBB531_43
; %bb.42:
	v_lshlrev_b32_e32 v19, 2, v21
	global_load_dword v19, v19, s[0:1]
	s_waitcnt vmcnt(0)
	v_cmp_ne_u32_e32 vcc, 0, v19
	v_cndmask_b32_e64 v19, 0, 1, vcc
.LBB531_43:
	;; [unrolled: 26-line block ×3, first 2 shown]
	s_or_b64 exec, exec, s[2:3]
	ds_write_b8 v0, v14
	ds_write_b8 v0, v11 offset:256
	ds_write_b8 v0, v16 offset:512
	;; [unrolled: 1-line block ×9, first 2 shown]
	s_waitcnt lgkmcnt(0)
	s_barrier
.LBB531_48:
	s_movk_i32 s0, 0xffe2
	v_mad_i32_i24 v35, v0, s0, v10
	s_waitcnt lgkmcnt(0)
	ds_read_b64 v[14:15], v35
	ds_read_u16 v26, v35 offset:8
	s_cmp_lg_u32 s6, 0
	v_lshrrev_b32_e32 v36, 6, v0
	s_waitcnt lgkmcnt(0)
	v_lshrrev_b32_e32 v28, 24, v14
	v_bfe_u32 v33, v14, 16, 8
	v_add_u32_sdwa v10, v14, v14 dst_sel:DWORD dst_unused:UNUSED_PAD src0_sel:BYTE_1 src1_sel:BYTE_0
	v_and_b32_e32 v30, 0xff, v15
	v_bfe_u32 v31, v15, 8, 8
	v_add3_u32 v10, v10, v33, v28
	v_lshrrev_b32_e32 v27, 24, v15
	v_bfe_u32 v32, v15, 16, 8
	v_add3_u32 v10, v10, v30, v31
	v_lshrrev_b16_e32 v25, 8, v26
	v_and_b32_e32 v29, 0xff, v26
	v_add3_u32 v10, v10, v32, v27
	v_add3_u32 v37, v10, v29, v25
	v_mbcnt_lo_u32_b32 v10, -1, 0
	v_mbcnt_hi_u32_b32 v34, -1, v10
	v_and_b32_e32 v10, 15, v34
	v_cmp_eq_u32_e64 s[14:15], 0, v10
	v_cmp_lt_u32_e64 s[12:13], 1, v10
	v_cmp_lt_u32_e64 s[10:11], 3, v10
	;; [unrolled: 1-line block ×3, first 2 shown]
	v_and_b32_e32 v10, 16, v34
	v_cmp_eq_u32_e64 s[18:19], 0, v10
	v_or_b32_e32 v10, 63, v0
	v_cmp_lt_u32_e64 s[0:1], 31, v34
	v_cmp_eq_u32_e64 s[2:3], v10, v0
	s_barrier
	s_cbranch_scc0 .LBB531_79
; %bb.49:
	v_mov_b32_dpp v10, v37 row_shr:1 row_mask:0xf bank_mask:0xf
	v_cndmask_b32_e64 v10, v10, 0, s[14:15]
	v_add_u32_e32 v10, v10, v37
	s_nop 1
	v_mov_b32_dpp v11, v10 row_shr:2 row_mask:0xf bank_mask:0xf
	v_cndmask_b32_e64 v11, 0, v11, s[12:13]
	v_add_u32_e32 v10, v10, v11
	s_nop 1
	;; [unrolled: 4-line block ×4, first 2 shown]
	v_mov_b32_dpp v11, v10 row_bcast:15 row_mask:0xf bank_mask:0xf
	v_cndmask_b32_e64 v11, v11, 0, s[18:19]
	v_add_u32_e32 v10, v10, v11
	s_nop 1
	v_mov_b32_dpp v11, v10 row_bcast:31 row_mask:0xf bank_mask:0xf
	v_cndmask_b32_e64 v11, 0, v11, s[0:1]
	v_add_u32_e32 v10, v10, v11
	s_and_saveexec_b64 s[16:17], s[2:3]
	s_cbranch_execz .LBB531_51
; %bb.50:
	v_lshlrev_b32_e32 v11, 2, v36
	ds_write_b32 v11, v10
.LBB531_51:
	s_or_b64 exec, exec, s[16:17]
	v_cmp_gt_u32_e32 vcc, 4, v0
	s_waitcnt lgkmcnt(0)
	s_barrier
	s_and_saveexec_b64 s[16:17], vcc
	s_cbranch_execz .LBB531_53
; %bb.52:
	ds_read_b32 v11, v1
	v_and_b32_e32 v16, 3, v34
	v_cmp_ne_u32_e32 vcc, 0, v16
	s_waitcnt lgkmcnt(0)
	v_mov_b32_dpp v17, v11 row_shr:1 row_mask:0xf bank_mask:0xf
	v_cndmask_b32_e32 v17, 0, v17, vcc
	v_add_u32_e32 v11, v17, v11
	v_cmp_lt_u32_e32 vcc, 1, v16
	s_nop 0
	v_mov_b32_dpp v17, v11 row_shr:2 row_mask:0xf bank_mask:0xf
	v_cndmask_b32_e32 v16, 0, v17, vcc
	v_add_u32_e32 v11, v11, v16
	ds_write_b32 v1, v11
.LBB531_53:
	s_or_b64 exec, exec, s[16:17]
	v_cmp_gt_u32_e32 vcc, 64, v0
	v_cmp_lt_u32_e64 s[16:17], 63, v0
	s_waitcnt lgkmcnt(0)
	s_barrier
	s_waitcnt lgkmcnt(0)
                                        ; implicit-def: $vgpr38
	s_and_saveexec_b64 s[38:39], s[16:17]
	s_cbranch_execz .LBB531_55
; %bb.54:
	v_lshl_add_u32 v11, v36, 2, -4
	ds_read_b32 v38, v11
	s_waitcnt lgkmcnt(0)
	v_add_u32_e32 v10, v38, v10
.LBB531_55:
	s_or_b64 exec, exec, s[38:39]
	v_add_u32_e32 v11, -1, v34
	v_and_b32_e32 v16, 64, v34
	v_cmp_lt_i32_e64 s[16:17], v11, v16
	v_cndmask_b32_e64 v11, v11, v34, s[16:17]
	v_lshlrev_b32_e32 v11, 2, v11
	ds_bpermute_b32 v39, v11, v10
	v_cmp_eq_u32_e64 s[16:17], 0, v34
	s_and_saveexec_b64 s[38:39], vcc
	s_cbranch_execz .LBB531_78
; %bb.56:
	v_mov_b32_e32 v23, 0
	ds_read_b32 v10, v23 offset:12
	s_and_saveexec_b64 s[40:41], s[16:17]
	s_cbranch_execz .LBB531_58
; %bb.57:
	s_add_i32 s42, s6, 64
	s_mov_b32 s43, 0
	s_lshl_b64 s[42:43], s[42:43], 3
	s_add_u32 s42, s36, s42
	v_mov_b32_e32 v11, 1
	s_addc_u32 s43, s37, s43
	s_waitcnt lgkmcnt(0)
	global_store_dwordx2 v23, v[10:11], s[42:43]
.LBB531_58:
	s_or_b64 exec, exec, s[40:41]
	v_xad_u32 v16, v34, -1, s6
	v_add_u32_e32 v22, 64, v16
	v_lshlrev_b64 v[18:19], 3, v[22:23]
	v_mov_b32_e32 v11, s37
	v_add_co_u32_e32 v18, vcc, s36, v18
	v_addc_co_u32_e32 v19, vcc, v11, v19, vcc
	global_load_dwordx2 v[20:21], v[18:19], off glc
	s_waitcnt vmcnt(0)
	v_cmp_eq_u16_sdwa s[42:43], v21, v23 src0_sel:BYTE_0 src1_sel:DWORD
	s_and_saveexec_b64 s[40:41], s[42:43]
	s_cbranch_execz .LBB531_64
; %bb.59:
	s_mov_b32 s7, 1
	s_mov_b64 s[42:43], 0
	v_mov_b32_e32 v11, 0
.LBB531_60:                             ; =>This Loop Header: Depth=1
                                        ;     Child Loop BB531_61 Depth 2
	s_max_u32 s25, s7, 1
.LBB531_61:                             ;   Parent Loop BB531_60 Depth=1
                                        ; =>  This Inner Loop Header: Depth=2
	s_add_i32 s25, s25, -1
	s_cmp_eq_u32 s25, 0
	s_sleep 1
	s_cbranch_scc0 .LBB531_61
; %bb.62:                               ;   in Loop: Header=BB531_60 Depth=1
	global_load_dwordx2 v[20:21], v[18:19], off glc
	s_cmp_lt_u32 s7, 32
	s_cselect_b64 s[44:45], -1, 0
	s_cmp_lg_u64 s[44:45], 0
	s_addc_u32 s7, s7, 0
	s_waitcnt vmcnt(0)
	v_cmp_ne_u16_sdwa s[44:45], v21, v11 src0_sel:BYTE_0 src1_sel:DWORD
	s_or_b64 s[42:43], s[44:45], s[42:43]
	s_andn2_b64 exec, exec, s[42:43]
	s_cbranch_execnz .LBB531_60
; %bb.63:
	s_or_b64 exec, exec, s[42:43]
.LBB531_64:
	s_or_b64 exec, exec, s[40:41]
	v_and_b32_e32 v41, 63, v34
	v_mov_b32_e32 v40, 2
	v_cmp_ne_u32_e32 vcc, 63, v41
	v_cmp_eq_u16_sdwa s[40:41], v21, v40 src0_sel:BYTE_0 src1_sel:DWORD
	v_lshlrev_b64 v[18:19], v34, -1
	v_addc_co_u32_e32 v22, vcc, 0, v34, vcc
	v_and_b32_e32 v11, s41, v19
	v_lshlrev_b32_e32 v42, 2, v22
	v_or_b32_e32 v11, 0x80000000, v11
	ds_bpermute_b32 v22, v42, v20
	v_and_b32_e32 v17, s40, v18
	v_ffbl_b32_e32 v11, v11
	v_add_u32_e32 v11, 32, v11
	v_ffbl_b32_e32 v17, v17
	v_min_u32_e32 v11, v17, v11
	v_cmp_lt_u32_e32 vcc, v41, v11
	s_waitcnt lgkmcnt(0)
	v_cndmask_b32_e32 v17, 0, v22, vcc
	v_cmp_gt_u32_e32 vcc, 62, v41
	v_add_u32_e32 v17, v17, v20
	v_cndmask_b32_e64 v20, 0, 1, vcc
	v_lshlrev_b32_e32 v20, 1, v20
	v_add_lshl_u32 v43, v20, v34, 2
	ds_bpermute_b32 v20, v43, v17
	v_add_u32_e32 v44, 2, v41
	v_cmp_le_u32_e32 vcc, v44, v11
	v_add_u32_e32 v46, 4, v41
	v_add_u32_e32 v48, 8, v41
	s_waitcnt lgkmcnt(0)
	v_cndmask_b32_e32 v20, 0, v20, vcc
	v_cmp_gt_u32_e32 vcc, 60, v41
	v_add_u32_e32 v17, v17, v20
	v_cndmask_b32_e64 v20, 0, 1, vcc
	v_lshlrev_b32_e32 v20, 2, v20
	v_add_lshl_u32 v45, v20, v34, 2
	ds_bpermute_b32 v20, v45, v17
	v_cmp_le_u32_e32 vcc, v46, v11
	v_add_u32_e32 v50, 16, v41
	v_add_u32_e32 v52, 32, v41
	s_waitcnt lgkmcnt(0)
	v_cndmask_b32_e32 v20, 0, v20, vcc
	v_cmp_gt_u32_e32 vcc, 56, v41
	v_add_u32_e32 v17, v17, v20
	v_cndmask_b32_e64 v20, 0, 1, vcc
	v_lshlrev_b32_e32 v20, 3, v20
	v_add_lshl_u32 v47, v20, v34, 2
	ds_bpermute_b32 v20, v47, v17
	v_cmp_le_u32_e32 vcc, v48, v11
	s_waitcnt lgkmcnt(0)
	v_cndmask_b32_e32 v20, 0, v20, vcc
	v_cmp_gt_u32_e32 vcc, 48, v41
	v_add_u32_e32 v17, v17, v20
	v_cndmask_b32_e64 v20, 0, 1, vcc
	v_lshlrev_b32_e32 v20, 4, v20
	v_add_lshl_u32 v49, v20, v34, 2
	ds_bpermute_b32 v20, v49, v17
	v_cmp_le_u32_e32 vcc, v50, v11
	;; [unrolled: 9-line block ×3, first 2 shown]
	s_waitcnt lgkmcnt(0)
	v_cndmask_b32_e32 v11, 0, v20, vcc
	v_add_u32_e32 v20, v17, v11
	v_mov_b32_e32 v17, 0
	s_branch .LBB531_66
.LBB531_65:                             ;   in Loop: Header=BB531_66 Depth=1
	s_or_b64 exec, exec, s[40:41]
	v_cmp_eq_u16_sdwa s[40:41], v21, v40 src0_sel:BYTE_0 src1_sel:DWORD
	v_and_b32_e32 v22, s41, v19
	v_or_b32_e32 v22, 0x80000000, v22
	ds_bpermute_b32 v53, v42, v20
	v_and_b32_e32 v23, s40, v18
	v_ffbl_b32_e32 v22, v22
	v_add_u32_e32 v22, 32, v22
	v_ffbl_b32_e32 v23, v23
	v_min_u32_e32 v22, v23, v22
	v_cmp_lt_u32_e32 vcc, v41, v22
	s_waitcnt lgkmcnt(0)
	v_cndmask_b32_e32 v23, 0, v53, vcc
	v_add_u32_e32 v20, v23, v20
	ds_bpermute_b32 v23, v43, v20
	v_cmp_le_u32_e32 vcc, v44, v22
	v_subrev_u32_e32 v16, 64, v16
	s_waitcnt lgkmcnt(0)
	v_cndmask_b32_e32 v23, 0, v23, vcc
	v_add_u32_e32 v20, v20, v23
	ds_bpermute_b32 v23, v45, v20
	v_cmp_le_u32_e32 vcc, v46, v22
	s_waitcnt lgkmcnt(0)
	v_cndmask_b32_e32 v23, 0, v23, vcc
	v_add_u32_e32 v20, v20, v23
	ds_bpermute_b32 v23, v47, v20
	v_cmp_le_u32_e32 vcc, v48, v22
	;; [unrolled: 5-line block ×4, first 2 shown]
	s_waitcnt lgkmcnt(0)
	v_cndmask_b32_e32 v22, 0, v23, vcc
	v_add3_u32 v20, v22, v11, v20
.LBB531_66:                             ; =>This Loop Header: Depth=1
                                        ;     Child Loop BB531_69 Depth 2
                                        ;       Child Loop BB531_70 Depth 3
	v_cmp_ne_u16_sdwa s[40:41], v21, v40 src0_sel:BYTE_0 src1_sel:DWORD
	v_cndmask_b32_e64 v11, 0, 1, s[40:41]
	;;#ASMSTART
	;;#ASMEND
	v_cmp_ne_u32_e32 vcc, 0, v11
	s_cmp_lg_u64 vcc, exec
	v_mov_b32_e32 v11, v20
	s_cbranch_scc1 .LBB531_73
; %bb.67:                               ;   in Loop: Header=BB531_66 Depth=1
	v_lshlrev_b64 v[20:21], 3, v[16:17]
	v_mov_b32_e32 v23, s37
	v_add_co_u32_e32 v22, vcc, s36, v20
	v_addc_co_u32_e32 v23, vcc, v23, v21, vcc
	global_load_dwordx2 v[20:21], v[22:23], off glc
	s_waitcnt vmcnt(0)
	v_cmp_eq_u16_sdwa s[42:43], v21, v17 src0_sel:BYTE_0 src1_sel:DWORD
	s_and_saveexec_b64 s[40:41], s[42:43]
	s_cbranch_execz .LBB531_65
; %bb.68:                               ;   in Loop: Header=BB531_66 Depth=1
	s_mov_b32 s7, 1
	s_mov_b64 s[42:43], 0
.LBB531_69:                             ;   Parent Loop BB531_66 Depth=1
                                        ; =>  This Loop Header: Depth=2
                                        ;       Child Loop BB531_70 Depth 3
	s_max_u32 s25, s7, 1
.LBB531_70:                             ;   Parent Loop BB531_66 Depth=1
                                        ;     Parent Loop BB531_69 Depth=2
                                        ; =>    This Inner Loop Header: Depth=3
	s_add_i32 s25, s25, -1
	s_cmp_eq_u32 s25, 0
	s_sleep 1
	s_cbranch_scc0 .LBB531_70
; %bb.71:                               ;   in Loop: Header=BB531_69 Depth=2
	global_load_dwordx2 v[20:21], v[22:23], off glc
	s_cmp_lt_u32 s7, 32
	s_cselect_b64 s[44:45], -1, 0
	s_cmp_lg_u64 s[44:45], 0
	s_addc_u32 s7, s7, 0
	s_waitcnt vmcnt(0)
	v_cmp_ne_u16_sdwa s[44:45], v21, v17 src0_sel:BYTE_0 src1_sel:DWORD
	s_or_b64 s[42:43], s[44:45], s[42:43]
	s_andn2_b64 exec, exec, s[42:43]
	s_cbranch_execnz .LBB531_69
; %bb.72:                               ;   in Loop: Header=BB531_66 Depth=1
	s_or_b64 exec, exec, s[42:43]
	s_branch .LBB531_65
.LBB531_73:                             ;   in Loop: Header=BB531_66 Depth=1
                                        ; implicit-def: $vgpr20
                                        ; implicit-def: $vgpr21
	s_cbranch_execz .LBB531_66
; %bb.74:
	s_and_saveexec_b64 s[40:41], s[16:17]
	s_cbranch_execz .LBB531_76
; %bb.75:
	s_add_i32 s6, s6, 64
	s_mov_b32 s7, 0
	s_lshl_b64 s[6:7], s[6:7], 3
	s_add_u32 s6, s36, s6
	v_add_u32_e32 v16, v11, v10
	v_mov_b32_e32 v17, 2
	s_addc_u32 s7, s37, s7
	v_mov_b32_e32 v18, 0
	global_store_dwordx2 v18, v[16:17], s[6:7]
	ds_write_b64 v18, v[10:11] offset:10240
.LBB531_76:
	s_or_b64 exec, exec, s[40:41]
	v_cmp_eq_u32_e32 vcc, 0, v0
	s_and_b64 exec, exec, vcc
	s_cbranch_execz .LBB531_78
; %bb.77:
	v_mov_b32_e32 v10, 0
	ds_write_b32 v10, v11 offset:12
.LBB531_78:
	s_or_b64 exec, exec, s[38:39]
	v_mov_b32_e32 v10, 0
	s_waitcnt lgkmcnt(0)
	s_barrier
	ds_read_b32 v11, v10 offset:12
	v_cndmask_b32_e64 v16, v39, v38, s[16:17]
	v_cmp_ne_u32_e32 vcc, 0, v0
	v_cndmask_b32_e32 v16, 0, v16, vcc
	s_waitcnt lgkmcnt(0)
	v_add_u32_e32 v39, v11, v16
	v_add_u32_sdwa v38, v39, v14 dst_sel:DWORD dst_unused:UNUSED_PAD src0_sel:DWORD src1_sel:BYTE_0
	v_add_u32_sdwa v23, v38, v14 dst_sel:DWORD dst_unused:UNUSED_PAD src0_sel:DWORD src1_sel:BYTE_1
	v_add_u32_e32 v22, v23, v33
	v_add_u32_e32 v21, v22, v28
	;; [unrolled: 1-line block ×3, first 2 shown]
	s_barrier
	ds_read_b64 v[10:11], v10 offset:10240
	v_add_u32_e32 v19, v20, v31
	v_add_u32_e32 v18, v19, v32
	;; [unrolled: 1-line block ×4, first 2 shown]
	s_load_dwordx2 s[4:5], s[4:5], 0x30
	s_branch .LBB531_89
.LBB531_79:
                                        ; implicit-def: $vgpr11
                                        ; implicit-def: $vgpr16
                                        ; implicit-def: $vgpr17
                                        ; implicit-def: $vgpr18
                                        ; implicit-def: $vgpr19
                                        ; implicit-def: $vgpr20
                                        ; implicit-def: $vgpr21
                                        ; implicit-def: $vgpr22
                                        ; implicit-def: $vgpr23
                                        ; implicit-def: $vgpr38
                                        ; implicit-def: $vgpr39
	s_load_dwordx2 s[4:5], s[4:5], 0x30
	s_cbranch_execz .LBB531_89
; %bb.80:
	s_waitcnt lgkmcnt(0)
	v_mov_b32_dpp v10, v37 row_shr:1 row_mask:0xf bank_mask:0xf
	v_cndmask_b32_e64 v10, v10, 0, s[14:15]
	v_add_u32_e32 v10, v10, v37
	s_nop 1
	v_mov_b32_dpp v11, v10 row_shr:2 row_mask:0xf bank_mask:0xf
	v_cndmask_b32_e64 v11, 0, v11, s[12:13]
	v_add_u32_e32 v10, v10, v11
	s_nop 1
	;; [unrolled: 4-line block ×4, first 2 shown]
	v_mov_b32_dpp v11, v10 row_bcast:15 row_mask:0xf bank_mask:0xf
	v_cndmask_b32_e64 v11, v11, 0, s[18:19]
	v_add_u32_e32 v10, v10, v11
	s_nop 1
	v_mov_b32_dpp v11, v10 row_bcast:31 row_mask:0xf bank_mask:0xf
	v_cndmask_b32_e64 v11, 0, v11, s[0:1]
	v_add_u32_e32 v10, v10, v11
	s_and_saveexec_b64 s[0:1], s[2:3]
	s_cbranch_execz .LBB531_82
; %bb.81:
	v_lshlrev_b32_e32 v11, 2, v36
	ds_write_b32 v11, v10
.LBB531_82:
	s_or_b64 exec, exec, s[0:1]
	v_cmp_gt_u32_e32 vcc, 4, v0
	s_waitcnt lgkmcnt(0)
	s_barrier
	s_and_saveexec_b64 s[0:1], vcc
	s_cbranch_execz .LBB531_84
; %bb.83:
	v_mad_i32_i24 v11, v0, -6, v35
	ds_read_b32 v16, v11
	v_and_b32_e32 v17, 3, v34
	v_cmp_ne_u32_e32 vcc, 0, v17
	s_waitcnt lgkmcnt(0)
	v_mov_b32_dpp v18, v16 row_shr:1 row_mask:0xf bank_mask:0xf
	v_cndmask_b32_e32 v18, 0, v18, vcc
	v_add_u32_e32 v16, v18, v16
	v_cmp_lt_u32_e32 vcc, 1, v17
	s_nop 0
	v_mov_b32_dpp v18, v16 row_shr:2 row_mask:0xf bank_mask:0xf
	v_cndmask_b32_e32 v17, 0, v18, vcc
	v_add_u32_e32 v16, v16, v17
	ds_write_b32 v11, v16
.LBB531_84:
	s_or_b64 exec, exec, s[0:1]
	v_cmp_lt_u32_e32 vcc, 63, v0
	v_mov_b32_e32 v11, 0
	v_mov_b32_e32 v16, 0
	s_waitcnt lgkmcnt(0)
	s_barrier
	s_and_saveexec_b64 s[0:1], vcc
	s_cbranch_execz .LBB531_86
; %bb.85:
	v_lshl_add_u32 v16, v36, 2, -4
	ds_read_b32 v16, v16
.LBB531_86:
	s_or_b64 exec, exec, s[0:1]
	v_add_u32_e32 v17, -1, v34
	v_and_b32_e32 v18, 64, v34
	v_cmp_lt_i32_e32 vcc, v17, v18
	v_cndmask_b32_e32 v17, v17, v34, vcc
	s_waitcnt lgkmcnt(0)
	v_add_u32_e32 v10, v16, v10
	v_lshlrev_b32_e32 v17, 2, v17
	ds_bpermute_b32 v17, v17, v10
	ds_read_b32 v10, v11 offset:12
	v_cmp_eq_u32_e32 vcc, 0, v0
	s_and_saveexec_b64 s[0:1], vcc
	s_cbranch_execz .LBB531_88
; %bb.87:
	v_mov_b32_e32 v18, 0
	v_mov_b32_e32 v11, 2
	s_waitcnt lgkmcnt(0)
	global_store_dwordx2 v18, v[10:11], s[36:37] offset:512
.LBB531_88:
	s_or_b64 exec, exec, s[0:1]
	v_cmp_eq_u32_e64 s[0:1], 0, v34
	s_waitcnt lgkmcnt(1)
	v_cndmask_b32_e64 v16, v17, v16, s[0:1]
	v_cndmask_b32_e64 v39, v16, 0, vcc
	v_add_u32_sdwa v38, v39, v14 dst_sel:DWORD dst_unused:UNUSED_PAD src0_sel:DWORD src1_sel:BYTE_0
	v_add_u32_sdwa v23, v38, v14 dst_sel:DWORD dst_unused:UNUSED_PAD src0_sel:DWORD src1_sel:BYTE_1
	v_add_u32_e32 v22, v23, v33
	v_add_u32_e32 v21, v22, v28
	v_add_u32_e32 v20, v21, v30
	v_add_u32_e32 v19, v20, v31
	v_add_u32_e32 v18, v19, v32
	v_add_u32_e32 v17, v18, v27
	v_mov_b32_e32 v11, 0
	v_add_u32_e32 v16, v17, v29
	s_waitcnt lgkmcnt(0)
	s_barrier
.LBB531_89:
	s_waitcnt lgkmcnt(0)
	v_add_u32_e32 v24, v10, v24
	v_sub_u32_e32 v31, v39, v11
	v_and_b32_e32 v33, 1, v14
	v_sub_u32_e32 v32, v24, v31
	v_cmp_eq_u32_e32 vcc, 1, v33
	v_cndmask_b32_e32 v31, v32, v31, vcc
	v_lshlrev_b32_e32 v31, 2, v31
	v_lshrrev_b32_e32 v30, 8, v14
	ds_write_b32 v31, v6
	v_sub_u32_e32 v6, v38, v11
	v_sub_u32_e32 v31, v24, v6
	v_and_b32_e32 v30, 1, v30
	v_add_u32_e32 v31, 1, v31
	v_cmp_eq_u32_e32 vcc, 1, v30
	v_cndmask_b32_e32 v6, v31, v6, vcc
	v_lshlrev_b32_e32 v6, 2, v6
	ds_write_b32 v6, v7
	v_sub_u32_e32 v6, v23, v11
	v_mov_b32_e32 v23, 1
	v_sub_u32_e32 v7, v24, v6
	v_and_b32_sdwa v14, v23, v14 dst_sel:DWORD dst_unused:UNUSED_PAD src0_sel:DWORD src1_sel:WORD_1
	v_add_u32_e32 v7, 2, v7
	v_cmp_eq_u32_e32 vcc, 1, v14
	v_cndmask_b32_e32 v6, v7, v6, vcc
	v_lshlrev_b32_e32 v6, 2, v6
	ds_write_b32 v6, v8
	v_sub_u32_e32 v6, v22, v11
	v_sub_u32_e32 v7, v24, v6
	v_and_b32_e32 v8, 1, v28
	v_add_u32_e32 v7, 3, v7
	v_cmp_eq_u32_e32 vcc, 1, v8
	v_cndmask_b32_e32 v6, v7, v6, vcc
	v_lshlrev_b32_e32 v6, 2, v6
	ds_write_b32 v6, v9
	v_sub_u32_e32 v6, v21, v11
	v_sub_u32_e32 v7, v24, v6
	v_and_b32_e32 v8, 1, v15
	v_add_u32_e32 v7, 4, v7
	v_cmp_eq_u32_e32 vcc, 1, v8
	v_cndmask_b32_e32 v6, v7, v6, vcc
	v_lshlrev_b32_e32 v6, 2, v6
	v_lshrrev_b32_e32 v29, 8, v15
	ds_write_b32 v6, v2
	v_sub_u32_e32 v2, v20, v11
	v_sub_u32_e32 v6, v24, v2
	v_and_b32_e32 v7, 1, v29
	v_add_u32_e32 v6, 5, v6
	v_cmp_eq_u32_e32 vcc, 1, v7
	v_cndmask_b32_e32 v2, v6, v2, vcc
	v_lshlrev_b32_e32 v2, 2, v2
	ds_write_b32 v2, v3
	v_sub_u32_e32 v2, v19, v11
	v_sub_u32_e32 v3, v24, v2
	v_and_b32_sdwa v6, v23, v15 dst_sel:DWORD dst_unused:UNUSED_PAD src0_sel:DWORD src1_sel:WORD_1
	v_add_u32_e32 v3, 6, v3
	v_cmp_eq_u32_e32 vcc, 1, v6
	v_cndmask_b32_e32 v2, v3, v2, vcc
	v_lshlrev_b32_e32 v2, 2, v2
	ds_write_b32 v2, v4
	v_sub_u32_e32 v2, v18, v11
	v_sub_u32_e32 v3, v24, v2
	v_and_b32_e32 v4, 1, v27
	v_add_u32_e32 v3, 7, v3
	v_cmp_eq_u32_e32 vcc, 1, v4
	v_cndmask_b32_e32 v2, v3, v2, vcc
	v_lshlrev_b32_e32 v2, 2, v2
	ds_write_b32 v2, v5
	v_sub_u32_e32 v2, v17, v11
	v_sub_u32_e32 v3, v24, v2
	v_and_b32_e32 v4, 1, v26
	;; [unrolled: 8-line block ×3, first 2 shown]
	v_add_u32_e32 v3, 9, v3
	v_cmp_eq_u32_e32 vcc, 1, v4
	v_cndmask_b32_e32 v2, v3, v2, vcc
	s_add_u32 s0, s26, s24
	v_lshlrev_b32_e32 v2, 2, v2
	s_addc_u32 s1, s27, 0
	ds_write_b32 v2, v13
	s_waitcnt lgkmcnt(0)
	s_barrier
	ds_read2st64_b32 v[12:13], v1 offset1:4
	ds_read2st64_b32 v[8:9], v1 offset0:8 offset1:12
	ds_read2st64_b32 v[6:7], v1 offset0:16 offset1:20
	;; [unrolled: 1-line block ×4, first 2 shown]
	v_mov_b32_e32 v14, s31
	v_add_co_u32_e32 v1, vcc, s30, v11
	s_sub_u32 s0, s28, s0
	v_addc_co_u32_e32 v11, vcc, 0, v14, vcc
	s_subb_u32 s1, s29, s1
	v_mov_b32_e32 v14, s1
	v_add_co_u32_e32 v15, vcc, s0, v10
	v_addc_co_u32_e32 v14, vcc, 0, v14, vcc
	v_add_co_u32_e64 v17, s[0:1], v15, v1
	v_or_b32_e32 v26, 0x100, v0
	v_or_b32_e32 v25, 0x200, v0
	v_or_b32_e32 v24, 0x300, v0
	v_or_b32_e32 v23, 0x400, v0
	v_or_b32_e32 v22, 0x500, v0
	v_or_b32_e32 v21, 0x600, v0
	v_or_b32_e32 v20, 0x700, v0
	v_or_b32_e32 v19, 0x800, v0
	v_or_b32_e32 v16, 0x900, v0
	s_andn2_b64 vcc, exec, s[34:35]
	v_addc_co_u32_e64 v18, s[0:1], v14, v11, s[0:1]
	s_cbranch_vccnz .LBB531_131
; %bb.90:
	v_cmp_ge_u32_e32 vcc, v0, v10
                                        ; implicit-def: $vgpr14_vgpr15
	s_and_saveexec_b64 s[0:1], vcc
	s_xor_b64 s[0:1], exec, s[0:1]
; %bb.91:
	v_not_b32_e32 v14, v0
	v_ashrrev_i32_e32 v15, 31, v14
	v_add_co_u32_e32 v14, vcc, v17, v14
	v_addc_co_u32_e32 v15, vcc, v18, v15, vcc
; %bb.92:
	s_andn2_saveexec_b64 s[0:1], s[0:1]
; %bb.93:
	v_add_co_u32_e32 v14, vcc, v1, v0
	v_addc_co_u32_e32 v15, vcc, 0, v11, vcc
; %bb.94:
	s_or_b64 exec, exec, s[0:1]
	v_lshlrev_b64 v[14:15], 2, v[14:15]
	v_mov_b32_e32 v27, s5
	v_add_co_u32_e32 v14, vcc, s4, v14
	v_addc_co_u32_e32 v15, vcc, v27, v15, vcc
	v_cmp_ge_u32_e32 vcc, v26, v10
	s_waitcnt lgkmcnt(4)
	global_store_dword v[14:15], v12, off
                                        ; implicit-def: $vgpr14_vgpr15
	s_and_saveexec_b64 s[0:1], vcc
	s_xor_b64 s[0:1], exec, s[0:1]
; %bb.95:
	v_xor_b32_e32 v14, 0xfffffeff, v0
	v_ashrrev_i32_e32 v15, 31, v14
	v_add_co_u32_e32 v14, vcc, v17, v14
	v_addc_co_u32_e32 v15, vcc, v18, v15, vcc
; %bb.96:
	s_andn2_saveexec_b64 s[0:1], s[0:1]
; %bb.97:
	v_add_co_u32_e32 v14, vcc, v1, v26
	v_addc_co_u32_e32 v15, vcc, 0, v11, vcc
; %bb.98:
	s_or_b64 exec, exec, s[0:1]
	v_lshlrev_b64 v[14:15], 2, v[14:15]
	v_mov_b32_e32 v27, s5
	v_add_co_u32_e32 v14, vcc, s4, v14
	v_addc_co_u32_e32 v15, vcc, v27, v15, vcc
	v_cmp_ge_u32_e32 vcc, v25, v10
	global_store_dword v[14:15], v13, off
                                        ; implicit-def: $vgpr14_vgpr15
	s_and_saveexec_b64 s[0:1], vcc
	s_xor_b64 s[0:1], exec, s[0:1]
; %bb.99:
	v_xor_b32_e32 v14, 0xfffffdff, v0
	v_ashrrev_i32_e32 v15, 31, v14
	v_add_co_u32_e32 v14, vcc, v17, v14
	v_addc_co_u32_e32 v15, vcc, v18, v15, vcc
; %bb.100:
	s_andn2_saveexec_b64 s[0:1], s[0:1]
; %bb.101:
	v_add_co_u32_e32 v14, vcc, v1, v25
	v_addc_co_u32_e32 v15, vcc, 0, v11, vcc
; %bb.102:
	s_or_b64 exec, exec, s[0:1]
	v_lshlrev_b64 v[14:15], 2, v[14:15]
	v_mov_b32_e32 v27, s5
	v_add_co_u32_e32 v14, vcc, s4, v14
	v_addc_co_u32_e32 v15, vcc, v27, v15, vcc
	v_cmp_ge_u32_e32 vcc, v24, v10
	s_waitcnt lgkmcnt(3)
	global_store_dword v[14:15], v8, off
                                        ; implicit-def: $vgpr14_vgpr15
	s_and_saveexec_b64 s[0:1], vcc
	s_xor_b64 s[0:1], exec, s[0:1]
; %bb.103:
	v_xor_b32_e32 v14, 0xfffffcff, v0
	v_ashrrev_i32_e32 v15, 31, v14
	v_add_co_u32_e32 v14, vcc, v17, v14
	v_addc_co_u32_e32 v15, vcc, v18, v15, vcc
; %bb.104:
	s_andn2_saveexec_b64 s[0:1], s[0:1]
; %bb.105:
	v_add_co_u32_e32 v14, vcc, v1, v24
	v_addc_co_u32_e32 v15, vcc, 0, v11, vcc
; %bb.106:
	s_or_b64 exec, exec, s[0:1]
	v_lshlrev_b64 v[14:15], 2, v[14:15]
	v_mov_b32_e32 v27, s5
	v_add_co_u32_e32 v14, vcc, s4, v14
	v_addc_co_u32_e32 v15, vcc, v27, v15, vcc
	v_cmp_ge_u32_e32 vcc, v23, v10
	global_store_dword v[14:15], v9, off
                                        ; implicit-def: $vgpr14_vgpr15
	s_and_saveexec_b64 s[0:1], vcc
	s_xor_b64 s[0:1], exec, s[0:1]
; %bb.107:
	v_xor_b32_e32 v14, 0xfffffbff, v0
	;; [unrolled: 43-line block ×4, first 2 shown]
	v_ashrrev_i32_e32 v15, 31, v14
	v_add_co_u32_e32 v14, vcc, v17, v14
	v_addc_co_u32_e32 v15, vcc, v18, v15, vcc
; %bb.124:
	s_andn2_saveexec_b64 s[0:1], s[0:1]
; %bb.125:
	v_add_co_u32_e32 v14, vcc, v1, v19
	v_addc_co_u32_e32 v15, vcc, 0, v11, vcc
; %bb.126:
	s_or_b64 exec, exec, s[0:1]
	v_lshlrev_b64 v[14:15], 2, v[14:15]
	v_mov_b32_e32 v27, s5
	v_add_co_u32_e32 v14, vcc, s4, v14
	v_addc_co_u32_e32 v15, vcc, v27, v15, vcc
	v_cmp_ge_u32_e32 vcc, v16, v10
	s_waitcnt lgkmcnt(0)
	global_store_dword v[14:15], v2, off
                                        ; implicit-def: $vgpr14_vgpr15
	s_and_saveexec_b64 s[0:1], vcc
	s_xor_b64 s[0:1], exec, s[0:1]
; %bb.127:
	v_xor_b32_e32 v14, 0xfffff6ff, v0
	v_ashrrev_i32_e32 v15, 31, v14
	v_add_co_u32_e32 v14, vcc, v17, v14
	v_addc_co_u32_e32 v15, vcc, v18, v15, vcc
; %bb.128:
	s_andn2_saveexec_b64 s[0:1], s[0:1]
; %bb.129:
	v_add_co_u32_e32 v14, vcc, v1, v16
	v_addc_co_u32_e32 v15, vcc, 0, v11, vcc
; %bb.130:
	s_or_b64 exec, exec, s[0:1]
	s_mov_b64 s[0:1], -1
	s_branch .LBB531_193
.LBB531_131:
	s_mov_b64 s[0:1], 0
                                        ; implicit-def: $vgpr14_vgpr15
	s_cbranch_execz .LBB531_193
; %bb.132:
	v_cmp_gt_u32_e32 vcc, s33, v0
	s_and_saveexec_b64 s[2:3], vcc
	s_cbranch_execz .LBB531_158
; %bb.133:
	v_cmp_ge_u32_e32 vcc, v0, v10
                                        ; implicit-def: $vgpr14_vgpr15
	s_and_saveexec_b64 s[6:7], vcc
	s_xor_b64 s[6:7], exec, s[6:7]
; %bb.134:
	v_not_b32_e32 v14, v0
	v_ashrrev_i32_e32 v15, 31, v14
	v_add_co_u32_e32 v14, vcc, v17, v14
	v_addc_co_u32_e32 v15, vcc, v18, v15, vcc
; %bb.135:
	s_andn2_saveexec_b64 s[6:7], s[6:7]
; %bb.136:
	v_add_co_u32_e32 v14, vcc, v1, v0
	v_addc_co_u32_e32 v15, vcc, 0, v11, vcc
; %bb.137:
	s_or_b64 exec, exec, s[6:7]
	v_lshlrev_b64 v[14:15], 2, v[14:15]
	v_mov_b32_e32 v27, s5
	v_add_co_u32_e32 v14, vcc, s4, v14
	v_addc_co_u32_e32 v15, vcc, v27, v15, vcc
	s_waitcnt lgkmcnt(4)
	global_store_dword v[14:15], v12, off
	s_or_b64 exec, exec, s[2:3]
	v_cmp_gt_u32_e32 vcc, s33, v26
	s_and_saveexec_b64 s[2:3], vcc
	s_cbranch_execnz .LBB531_159
.LBB531_138:
	s_or_b64 exec, exec, s[2:3]
	v_cmp_gt_u32_e32 vcc, s33, v25
	s_and_saveexec_b64 s[2:3], vcc
	s_cbranch_execz .LBB531_164
.LBB531_139:
	v_cmp_ge_u32_e32 vcc, v25, v10
                                        ; implicit-def: $vgpr12_vgpr13
	s_and_saveexec_b64 s[6:7], vcc
	s_xor_b64 s[6:7], exec, s[6:7]
	s_cbranch_execz .LBB531_141
; %bb.140:
	s_waitcnt lgkmcnt(4)
	v_xor_b32_e32 v12, 0xfffffdff, v0
	v_ashrrev_i32_e32 v13, 31, v12
	v_add_co_u32_e32 v12, vcc, v17, v12
	v_addc_co_u32_e32 v13, vcc, v18, v13, vcc
                                        ; implicit-def: $vgpr25
.LBB531_141:
	s_andn2_saveexec_b64 s[6:7], s[6:7]
	s_cbranch_execz .LBB531_143
; %bb.142:
	s_waitcnt lgkmcnt(4)
	v_add_co_u32_e32 v12, vcc, v1, v25
	v_addc_co_u32_e32 v13, vcc, 0, v11, vcc
.LBB531_143:
	s_or_b64 exec, exec, s[6:7]
	s_waitcnt lgkmcnt(4)
	v_lshlrev_b64 v[12:13], 2, v[12:13]
	v_mov_b32_e32 v14, s5
	v_add_co_u32_e32 v12, vcc, s4, v12
	v_addc_co_u32_e32 v13, vcc, v14, v13, vcc
	s_waitcnt lgkmcnt(3)
	global_store_dword v[12:13], v8, off
	s_or_b64 exec, exec, s[2:3]
	v_cmp_gt_u32_e32 vcc, s33, v24
	s_and_saveexec_b64 s[2:3], vcc
	s_cbranch_execnz .LBB531_165
.LBB531_144:
	s_or_b64 exec, exec, s[2:3]
	v_cmp_gt_u32_e32 vcc, s33, v23
	s_and_saveexec_b64 s[2:3], vcc
	s_cbranch_execz .LBB531_170
.LBB531_145:
	v_cmp_ge_u32_e32 vcc, v23, v10
                                        ; implicit-def: $vgpr8_vgpr9
	s_and_saveexec_b64 s[6:7], vcc
	s_xor_b64 s[6:7], exec, s[6:7]
	s_cbranch_execz .LBB531_147
; %bb.146:
	s_waitcnt lgkmcnt(3)
	v_xor_b32_e32 v8, 0xfffffbff, v0
	v_ashrrev_i32_e32 v9, 31, v8
	v_add_co_u32_e32 v8, vcc, v17, v8
	v_addc_co_u32_e32 v9, vcc, v18, v9, vcc
                                        ; implicit-def: $vgpr23
.LBB531_147:
	s_andn2_saveexec_b64 s[6:7], s[6:7]
	s_cbranch_execz .LBB531_149
; %bb.148:
	s_waitcnt lgkmcnt(3)
	v_add_co_u32_e32 v8, vcc, v1, v23
	v_addc_co_u32_e32 v9, vcc, 0, v11, vcc
.LBB531_149:
	s_or_b64 exec, exec, s[6:7]
	s_waitcnt lgkmcnt(3)
	v_lshlrev_b64 v[8:9], 2, v[8:9]
	v_mov_b32_e32 v12, s5
	v_add_co_u32_e32 v8, vcc, s4, v8
	v_addc_co_u32_e32 v9, vcc, v12, v9, vcc
	s_waitcnt lgkmcnt(2)
	global_store_dword v[8:9], v6, off
	s_or_b64 exec, exec, s[2:3]
	v_cmp_gt_u32_e32 vcc, s33, v22
	s_and_saveexec_b64 s[2:3], vcc
	s_cbranch_execnz .LBB531_171
.LBB531_150:
	s_or_b64 exec, exec, s[2:3]
	v_cmp_gt_u32_e32 vcc, s33, v21
	s_and_saveexec_b64 s[2:3], vcc
	s_cbranch_execz .LBB531_176
.LBB531_151:
	v_cmp_ge_u32_e32 vcc, v21, v10
                                        ; implicit-def: $vgpr6_vgpr7
	s_and_saveexec_b64 s[6:7], vcc
	s_xor_b64 s[6:7], exec, s[6:7]
	s_cbranch_execz .LBB531_153
; %bb.152:
	s_waitcnt lgkmcnt(2)
	v_xor_b32_e32 v6, 0xfffff9ff, v0
	v_ashrrev_i32_e32 v7, 31, v6
	v_add_co_u32_e32 v6, vcc, v17, v6
	v_addc_co_u32_e32 v7, vcc, v18, v7, vcc
                                        ; implicit-def: $vgpr21
.LBB531_153:
	s_andn2_saveexec_b64 s[6:7], s[6:7]
	s_cbranch_execz .LBB531_155
; %bb.154:
	s_waitcnt lgkmcnt(2)
	v_add_co_u32_e32 v6, vcc, v1, v21
	v_addc_co_u32_e32 v7, vcc, 0, v11, vcc
.LBB531_155:
	s_or_b64 exec, exec, s[6:7]
	s_waitcnt lgkmcnt(2)
	v_lshlrev_b64 v[6:7], 2, v[6:7]
	v_mov_b32_e32 v8, s5
	v_add_co_u32_e32 v6, vcc, s4, v6
	v_addc_co_u32_e32 v7, vcc, v8, v7, vcc
	s_waitcnt lgkmcnt(1)
	global_store_dword v[6:7], v4, off
	s_or_b64 exec, exec, s[2:3]
	v_cmp_gt_u32_e32 vcc, s33, v20
	s_and_saveexec_b64 s[2:3], vcc
	s_cbranch_execnz .LBB531_177
.LBB531_156:
	s_or_b64 exec, exec, s[2:3]
	v_cmp_gt_u32_e32 vcc, s33, v19
	s_and_saveexec_b64 s[2:3], vcc
	s_cbranch_execnz .LBB531_182
.LBB531_157:
	s_or_b64 exec, exec, s[2:3]
	v_cmp_gt_u32_e32 vcc, s33, v16
                                        ; implicit-def: $vgpr14_vgpr15
	s_and_saveexec_b64 s[2:3], vcc
	s_cbranch_execz .LBB531_192
	s_branch .LBB531_187
.LBB531_158:
	s_or_b64 exec, exec, s[2:3]
	v_cmp_gt_u32_e32 vcc, s33, v26
	s_and_saveexec_b64 s[2:3], vcc
	s_cbranch_execz .LBB531_138
.LBB531_159:
	v_cmp_ge_u32_e32 vcc, v26, v10
                                        ; implicit-def: $vgpr14_vgpr15
	s_and_saveexec_b64 s[6:7], vcc
	s_xor_b64 s[6:7], exec, s[6:7]
	s_cbranch_execz .LBB531_161
; %bb.160:
	s_waitcnt lgkmcnt(4)
	v_xor_b32_e32 v12, 0xfffffeff, v0
	v_ashrrev_i32_e32 v15, 31, v12
	v_add_co_u32_e32 v14, vcc, v17, v12
	v_addc_co_u32_e32 v15, vcc, v18, v15, vcc
                                        ; implicit-def: $vgpr26
.LBB531_161:
	s_andn2_saveexec_b64 s[6:7], s[6:7]
; %bb.162:
	v_add_co_u32_e32 v14, vcc, v1, v26
	v_addc_co_u32_e32 v15, vcc, 0, v11, vcc
; %bb.163:
	s_or_b64 exec, exec, s[6:7]
	v_lshlrev_b64 v[14:15], 2, v[14:15]
	s_waitcnt lgkmcnt(4)
	v_mov_b32_e32 v12, s5
	v_add_co_u32_e32 v14, vcc, s4, v14
	v_addc_co_u32_e32 v15, vcc, v12, v15, vcc
	global_store_dword v[14:15], v13, off
	s_or_b64 exec, exec, s[2:3]
	v_cmp_gt_u32_e32 vcc, s33, v25
	s_and_saveexec_b64 s[2:3], vcc
	s_cbranch_execnz .LBB531_139
.LBB531_164:
	s_or_b64 exec, exec, s[2:3]
	v_cmp_gt_u32_e32 vcc, s33, v24
	s_and_saveexec_b64 s[2:3], vcc
	s_cbranch_execz .LBB531_144
.LBB531_165:
	v_cmp_ge_u32_e32 vcc, v24, v10
                                        ; implicit-def: $vgpr12_vgpr13
	s_and_saveexec_b64 s[6:7], vcc
	s_xor_b64 s[6:7], exec, s[6:7]
	s_cbranch_execz .LBB531_167
; %bb.166:
	s_waitcnt lgkmcnt(3)
	v_xor_b32_e32 v8, 0xfffffcff, v0
	v_ashrrev_i32_e32 v13, 31, v8
	v_add_co_u32_e32 v12, vcc, v17, v8
	v_addc_co_u32_e32 v13, vcc, v18, v13, vcc
                                        ; implicit-def: $vgpr24
.LBB531_167:
	s_andn2_saveexec_b64 s[6:7], s[6:7]
	s_cbranch_execz .LBB531_169
; %bb.168:
	s_waitcnt lgkmcnt(4)
	v_add_co_u32_e32 v12, vcc, v1, v24
	v_addc_co_u32_e32 v13, vcc, 0, v11, vcc
.LBB531_169:
	s_or_b64 exec, exec, s[6:7]
	s_waitcnt lgkmcnt(4)
	v_lshlrev_b64 v[12:13], 2, v[12:13]
	s_waitcnt lgkmcnt(3)
	v_mov_b32_e32 v8, s5
	v_add_co_u32_e32 v12, vcc, s4, v12
	v_addc_co_u32_e32 v13, vcc, v8, v13, vcc
	global_store_dword v[12:13], v9, off
	s_or_b64 exec, exec, s[2:3]
	v_cmp_gt_u32_e32 vcc, s33, v23
	s_and_saveexec_b64 s[2:3], vcc
	s_cbranch_execnz .LBB531_145
.LBB531_170:
	s_or_b64 exec, exec, s[2:3]
	v_cmp_gt_u32_e32 vcc, s33, v22
	s_and_saveexec_b64 s[2:3], vcc
	s_cbranch_execz .LBB531_150
.LBB531_171:
	v_cmp_ge_u32_e32 vcc, v22, v10
                                        ; implicit-def: $vgpr8_vgpr9
	s_and_saveexec_b64 s[6:7], vcc
	s_xor_b64 s[6:7], exec, s[6:7]
	s_cbranch_execz .LBB531_173
; %bb.172:
	s_waitcnt lgkmcnt(2)
	v_xor_b32_e32 v6, 0xfffffaff, v0
	v_ashrrev_i32_e32 v9, 31, v6
	v_add_co_u32_e32 v8, vcc, v17, v6
	v_addc_co_u32_e32 v9, vcc, v18, v9, vcc
                                        ; implicit-def: $vgpr22
.LBB531_173:
	s_andn2_saveexec_b64 s[6:7], s[6:7]
	s_cbranch_execz .LBB531_175
; %bb.174:
	s_waitcnt lgkmcnt(3)
	v_add_co_u32_e32 v8, vcc, v1, v22
	v_addc_co_u32_e32 v9, vcc, 0, v11, vcc
.LBB531_175:
	s_or_b64 exec, exec, s[6:7]
	s_waitcnt lgkmcnt(3)
	v_lshlrev_b64 v[8:9], 2, v[8:9]
	s_waitcnt lgkmcnt(2)
	v_mov_b32_e32 v6, s5
	v_add_co_u32_e32 v8, vcc, s4, v8
	v_addc_co_u32_e32 v9, vcc, v6, v9, vcc
	global_store_dword v[8:9], v7, off
	s_or_b64 exec, exec, s[2:3]
	v_cmp_gt_u32_e32 vcc, s33, v21
	s_and_saveexec_b64 s[2:3], vcc
	s_cbranch_execnz .LBB531_151
.LBB531_176:
	s_or_b64 exec, exec, s[2:3]
	v_cmp_gt_u32_e32 vcc, s33, v20
	s_and_saveexec_b64 s[2:3], vcc
	s_cbranch_execz .LBB531_156
.LBB531_177:
	v_cmp_ge_u32_e32 vcc, v20, v10
                                        ; implicit-def: $vgpr6_vgpr7
	s_and_saveexec_b64 s[6:7], vcc
	s_xor_b64 s[6:7], exec, s[6:7]
	s_cbranch_execz .LBB531_179
; %bb.178:
	s_waitcnt lgkmcnt(1)
	v_xor_b32_e32 v4, 0xfffff8ff, v0
	v_ashrrev_i32_e32 v7, 31, v4
	v_add_co_u32_e32 v6, vcc, v17, v4
	v_addc_co_u32_e32 v7, vcc, v18, v7, vcc
                                        ; implicit-def: $vgpr20
.LBB531_179:
	s_andn2_saveexec_b64 s[6:7], s[6:7]
	s_cbranch_execz .LBB531_181
; %bb.180:
	s_waitcnt lgkmcnt(2)
	v_add_co_u32_e32 v6, vcc, v1, v20
	v_addc_co_u32_e32 v7, vcc, 0, v11, vcc
.LBB531_181:
	s_or_b64 exec, exec, s[6:7]
	s_waitcnt lgkmcnt(2)
	v_lshlrev_b64 v[6:7], 2, v[6:7]
	s_waitcnt lgkmcnt(1)
	v_mov_b32_e32 v4, s5
	v_add_co_u32_e32 v6, vcc, s4, v6
	v_addc_co_u32_e32 v7, vcc, v4, v7, vcc
	global_store_dword v[6:7], v5, off
	s_or_b64 exec, exec, s[2:3]
	v_cmp_gt_u32_e32 vcc, s33, v19
	s_and_saveexec_b64 s[2:3], vcc
	s_cbranch_execz .LBB531_157
.LBB531_182:
	v_cmp_ge_u32_e32 vcc, v19, v10
                                        ; implicit-def: $vgpr4_vgpr5
	s_and_saveexec_b64 s[6:7], vcc
	s_xor_b64 s[6:7], exec, s[6:7]
	s_cbranch_execz .LBB531_184
; %bb.183:
	s_waitcnt lgkmcnt(1)
	v_xor_b32_e32 v4, 0xfffff7ff, v0
	v_ashrrev_i32_e32 v5, 31, v4
	v_add_co_u32_e32 v4, vcc, v17, v4
	v_addc_co_u32_e32 v5, vcc, v18, v5, vcc
                                        ; implicit-def: $vgpr19
.LBB531_184:
	s_andn2_saveexec_b64 s[6:7], s[6:7]
	s_cbranch_execz .LBB531_186
; %bb.185:
	s_waitcnt lgkmcnt(1)
	v_add_co_u32_e32 v4, vcc, v1, v19
	v_addc_co_u32_e32 v5, vcc, 0, v11, vcc
.LBB531_186:
	s_or_b64 exec, exec, s[6:7]
	s_waitcnt lgkmcnt(1)
	v_lshlrev_b64 v[4:5], 2, v[4:5]
	v_mov_b32_e32 v6, s5
	v_add_co_u32_e32 v4, vcc, s4, v4
	v_addc_co_u32_e32 v5, vcc, v6, v5, vcc
	s_waitcnt lgkmcnt(0)
	global_store_dword v[4:5], v2, off
	s_or_b64 exec, exec, s[2:3]
	v_cmp_gt_u32_e32 vcc, s33, v16
                                        ; implicit-def: $vgpr14_vgpr15
	s_and_saveexec_b64 s[2:3], vcc
	s_cbranch_execz .LBB531_192
.LBB531_187:
	v_cmp_ge_u32_e32 vcc, v16, v10
                                        ; implicit-def: $vgpr14_vgpr15
	s_and_saveexec_b64 s[6:7], vcc
	s_xor_b64 s[6:7], exec, s[6:7]
	s_cbranch_execz .LBB531_189
; %bb.188:
	s_waitcnt lgkmcnt(0)
	v_xor_b32_e32 v2, 0xfffff6ff, v0
	v_ashrrev_i32_e32 v4, 31, v2
	v_add_co_u32_e32 v14, vcc, v17, v2
	v_addc_co_u32_e32 v15, vcc, v18, v4, vcc
                                        ; implicit-def: $vgpr16
.LBB531_189:
	s_andn2_saveexec_b64 s[6:7], s[6:7]
; %bb.190:
	v_add_co_u32_e32 v14, vcc, v1, v16
	v_addc_co_u32_e32 v15, vcc, 0, v11, vcc
; %bb.191:
	s_or_b64 exec, exec, s[6:7]
	s_or_b64 s[0:1], s[0:1], exec
.LBB531_192:
	s_or_b64 exec, exec, s[2:3]
.LBB531_193:
	s_and_saveexec_b64 s[2:3], s[0:1]
	s_cbranch_execz .LBB531_195
; %bb.194:
	s_waitcnt lgkmcnt(1)
	v_lshlrev_b64 v[4:5], 2, v[14:15]
	s_waitcnt lgkmcnt(0)
	v_mov_b32_e32 v2, s5
	v_add_co_u32_e32 v4, vcc, s4, v4
	v_addc_co_u32_e32 v5, vcc, v2, v5, vcc
	global_store_dword v[4:5], v3, off
.LBB531_195:
	s_or_b64 exec, exec, s[2:3]
	v_cmp_eq_u32_e32 vcc, 0, v0
	s_and_b64 s[0:1], vcc, s[22:23]
	s_and_saveexec_b64 s[2:3], s[0:1]
	s_cbranch_execz .LBB531_197
; %bb.196:
	v_add_co_u32_e32 v0, vcc, v1, v10
	s_waitcnt lgkmcnt(0)
	v_mov_b32_e32 v2, 0
	v_addc_co_u32_e32 v1, vcc, 0, v11, vcc
	global_store_dwordx2 v2, v[0:1], s[20:21]
.LBB531_197:
	s_endpgm
	.section	.rodata,"a",@progbits
	.p2align	6, 0x0
	.amdhsa_kernel _ZN7rocprim17ROCPRIM_400000_NS6detail17trampoline_kernelINS0_14default_configENS1_25partition_config_selectorILNS1_17partition_subalgoE2EiNS0_10empty_typeEbEEZZNS1_14partition_implILS5_2ELb0ES3_jN6thrust23THRUST_200600_302600_NS6detail15normal_iteratorINSA_7pointerIiNSA_11hip_rocprim3tagENSA_11use_defaultESG_EEEEPS6_NSA_18transform_iteratorINSA_8identityIiEENSC_INSA_10device_ptrIiEEEESG_SG_EENS0_5tupleIJPiSJ_EEENSR_IJSJ_SJ_EEES6_PlJS6_EEE10hipError_tPvRmT3_T4_T5_T6_T7_T9_mT8_P12ihipStream_tbDpT10_ENKUlT_T0_E_clISt17integral_constantIbLb1EES1E_IbLb0EEEEDaS1A_S1B_EUlS1A_E_NS1_11comp_targetILNS1_3genE4ELNS1_11target_archE910ELNS1_3gpuE8ELNS1_3repE0EEENS1_30default_config_static_selectorELNS0_4arch9wavefront6targetE1EEEvT1_
		.amdhsa_group_segment_fixed_size 10248
		.amdhsa_private_segment_fixed_size 0
		.amdhsa_kernarg_size 128
		.amdhsa_user_sgpr_count 6
		.amdhsa_user_sgpr_private_segment_buffer 1
		.amdhsa_user_sgpr_dispatch_ptr 0
		.amdhsa_user_sgpr_queue_ptr 0
		.amdhsa_user_sgpr_kernarg_segment_ptr 1
		.amdhsa_user_sgpr_dispatch_id 0
		.amdhsa_user_sgpr_flat_scratch_init 0
		.amdhsa_user_sgpr_kernarg_preload_length 0
		.amdhsa_user_sgpr_kernarg_preload_offset 0
		.amdhsa_user_sgpr_private_segment_size 0
		.amdhsa_uses_dynamic_stack 0
		.amdhsa_system_sgpr_private_segment_wavefront_offset 0
		.amdhsa_system_sgpr_workgroup_id_x 1
		.amdhsa_system_sgpr_workgroup_id_y 0
		.amdhsa_system_sgpr_workgroup_id_z 0
		.amdhsa_system_sgpr_workgroup_info 0
		.amdhsa_system_vgpr_workitem_id 0
		.amdhsa_next_free_vgpr 54
		.amdhsa_next_free_sgpr 46
		.amdhsa_accum_offset 56
		.amdhsa_reserve_vcc 1
		.amdhsa_reserve_flat_scratch 0
		.amdhsa_float_round_mode_32 0
		.amdhsa_float_round_mode_16_64 0
		.amdhsa_float_denorm_mode_32 3
		.amdhsa_float_denorm_mode_16_64 3
		.amdhsa_dx10_clamp 1
		.amdhsa_ieee_mode 1
		.amdhsa_fp16_overflow 0
		.amdhsa_tg_split 0
		.amdhsa_exception_fp_ieee_invalid_op 0
		.amdhsa_exception_fp_denorm_src 0
		.amdhsa_exception_fp_ieee_div_zero 0
		.amdhsa_exception_fp_ieee_overflow 0
		.amdhsa_exception_fp_ieee_underflow 0
		.amdhsa_exception_fp_ieee_inexact 0
		.amdhsa_exception_int_div_zero 0
	.end_amdhsa_kernel
	.section	.text._ZN7rocprim17ROCPRIM_400000_NS6detail17trampoline_kernelINS0_14default_configENS1_25partition_config_selectorILNS1_17partition_subalgoE2EiNS0_10empty_typeEbEEZZNS1_14partition_implILS5_2ELb0ES3_jN6thrust23THRUST_200600_302600_NS6detail15normal_iteratorINSA_7pointerIiNSA_11hip_rocprim3tagENSA_11use_defaultESG_EEEEPS6_NSA_18transform_iteratorINSA_8identityIiEENSC_INSA_10device_ptrIiEEEESG_SG_EENS0_5tupleIJPiSJ_EEENSR_IJSJ_SJ_EEES6_PlJS6_EEE10hipError_tPvRmT3_T4_T5_T6_T7_T9_mT8_P12ihipStream_tbDpT10_ENKUlT_T0_E_clISt17integral_constantIbLb1EES1E_IbLb0EEEEDaS1A_S1B_EUlS1A_E_NS1_11comp_targetILNS1_3genE4ELNS1_11target_archE910ELNS1_3gpuE8ELNS1_3repE0EEENS1_30default_config_static_selectorELNS0_4arch9wavefront6targetE1EEEvT1_,"axG",@progbits,_ZN7rocprim17ROCPRIM_400000_NS6detail17trampoline_kernelINS0_14default_configENS1_25partition_config_selectorILNS1_17partition_subalgoE2EiNS0_10empty_typeEbEEZZNS1_14partition_implILS5_2ELb0ES3_jN6thrust23THRUST_200600_302600_NS6detail15normal_iteratorINSA_7pointerIiNSA_11hip_rocprim3tagENSA_11use_defaultESG_EEEEPS6_NSA_18transform_iteratorINSA_8identityIiEENSC_INSA_10device_ptrIiEEEESG_SG_EENS0_5tupleIJPiSJ_EEENSR_IJSJ_SJ_EEES6_PlJS6_EEE10hipError_tPvRmT3_T4_T5_T6_T7_T9_mT8_P12ihipStream_tbDpT10_ENKUlT_T0_E_clISt17integral_constantIbLb1EES1E_IbLb0EEEEDaS1A_S1B_EUlS1A_E_NS1_11comp_targetILNS1_3genE4ELNS1_11target_archE910ELNS1_3gpuE8ELNS1_3repE0EEENS1_30default_config_static_selectorELNS0_4arch9wavefront6targetE1EEEvT1_,comdat
.Lfunc_end531:
	.size	_ZN7rocprim17ROCPRIM_400000_NS6detail17trampoline_kernelINS0_14default_configENS1_25partition_config_selectorILNS1_17partition_subalgoE2EiNS0_10empty_typeEbEEZZNS1_14partition_implILS5_2ELb0ES3_jN6thrust23THRUST_200600_302600_NS6detail15normal_iteratorINSA_7pointerIiNSA_11hip_rocprim3tagENSA_11use_defaultESG_EEEEPS6_NSA_18transform_iteratorINSA_8identityIiEENSC_INSA_10device_ptrIiEEEESG_SG_EENS0_5tupleIJPiSJ_EEENSR_IJSJ_SJ_EEES6_PlJS6_EEE10hipError_tPvRmT3_T4_T5_T6_T7_T9_mT8_P12ihipStream_tbDpT10_ENKUlT_T0_E_clISt17integral_constantIbLb1EES1E_IbLb0EEEEDaS1A_S1B_EUlS1A_E_NS1_11comp_targetILNS1_3genE4ELNS1_11target_archE910ELNS1_3gpuE8ELNS1_3repE0EEENS1_30default_config_static_selectorELNS0_4arch9wavefront6targetE1EEEvT1_, .Lfunc_end531-_ZN7rocprim17ROCPRIM_400000_NS6detail17trampoline_kernelINS0_14default_configENS1_25partition_config_selectorILNS1_17partition_subalgoE2EiNS0_10empty_typeEbEEZZNS1_14partition_implILS5_2ELb0ES3_jN6thrust23THRUST_200600_302600_NS6detail15normal_iteratorINSA_7pointerIiNSA_11hip_rocprim3tagENSA_11use_defaultESG_EEEEPS6_NSA_18transform_iteratorINSA_8identityIiEENSC_INSA_10device_ptrIiEEEESG_SG_EENS0_5tupleIJPiSJ_EEENSR_IJSJ_SJ_EEES6_PlJS6_EEE10hipError_tPvRmT3_T4_T5_T6_T7_T9_mT8_P12ihipStream_tbDpT10_ENKUlT_T0_E_clISt17integral_constantIbLb1EES1E_IbLb0EEEEDaS1A_S1B_EUlS1A_E_NS1_11comp_targetILNS1_3genE4ELNS1_11target_archE910ELNS1_3gpuE8ELNS1_3repE0EEENS1_30default_config_static_selectorELNS0_4arch9wavefront6targetE1EEEvT1_
                                        ; -- End function
	.section	.AMDGPU.csdata,"",@progbits
; Kernel info:
; codeLenInByte = 6804
; NumSgprs: 50
; NumVgprs: 54
; NumAgprs: 0
; TotalNumVgprs: 54
; ScratchSize: 0
; MemoryBound: 0
; FloatMode: 240
; IeeeMode: 1
; LDSByteSize: 10248 bytes/workgroup (compile time only)
; SGPRBlocks: 6
; VGPRBlocks: 6
; NumSGPRsForWavesPerEU: 50
; NumVGPRsForWavesPerEU: 54
; AccumOffset: 56
; Occupancy: 6
; WaveLimiterHint : 1
; COMPUTE_PGM_RSRC2:SCRATCH_EN: 0
; COMPUTE_PGM_RSRC2:USER_SGPR: 6
; COMPUTE_PGM_RSRC2:TRAP_HANDLER: 0
; COMPUTE_PGM_RSRC2:TGID_X_EN: 1
; COMPUTE_PGM_RSRC2:TGID_Y_EN: 0
; COMPUTE_PGM_RSRC2:TGID_Z_EN: 0
; COMPUTE_PGM_RSRC2:TIDIG_COMP_CNT: 0
; COMPUTE_PGM_RSRC3_GFX90A:ACCUM_OFFSET: 13
; COMPUTE_PGM_RSRC3_GFX90A:TG_SPLIT: 0
	.section	.text._ZN7rocprim17ROCPRIM_400000_NS6detail17trampoline_kernelINS0_14default_configENS1_25partition_config_selectorILNS1_17partition_subalgoE2EiNS0_10empty_typeEbEEZZNS1_14partition_implILS5_2ELb0ES3_jN6thrust23THRUST_200600_302600_NS6detail15normal_iteratorINSA_7pointerIiNSA_11hip_rocprim3tagENSA_11use_defaultESG_EEEEPS6_NSA_18transform_iteratorINSA_8identityIiEENSC_INSA_10device_ptrIiEEEESG_SG_EENS0_5tupleIJPiSJ_EEENSR_IJSJ_SJ_EEES6_PlJS6_EEE10hipError_tPvRmT3_T4_T5_T6_T7_T9_mT8_P12ihipStream_tbDpT10_ENKUlT_T0_E_clISt17integral_constantIbLb1EES1E_IbLb0EEEEDaS1A_S1B_EUlS1A_E_NS1_11comp_targetILNS1_3genE3ELNS1_11target_archE908ELNS1_3gpuE7ELNS1_3repE0EEENS1_30default_config_static_selectorELNS0_4arch9wavefront6targetE1EEEvT1_,"axG",@progbits,_ZN7rocprim17ROCPRIM_400000_NS6detail17trampoline_kernelINS0_14default_configENS1_25partition_config_selectorILNS1_17partition_subalgoE2EiNS0_10empty_typeEbEEZZNS1_14partition_implILS5_2ELb0ES3_jN6thrust23THRUST_200600_302600_NS6detail15normal_iteratorINSA_7pointerIiNSA_11hip_rocprim3tagENSA_11use_defaultESG_EEEEPS6_NSA_18transform_iteratorINSA_8identityIiEENSC_INSA_10device_ptrIiEEEESG_SG_EENS0_5tupleIJPiSJ_EEENSR_IJSJ_SJ_EEES6_PlJS6_EEE10hipError_tPvRmT3_T4_T5_T6_T7_T9_mT8_P12ihipStream_tbDpT10_ENKUlT_T0_E_clISt17integral_constantIbLb1EES1E_IbLb0EEEEDaS1A_S1B_EUlS1A_E_NS1_11comp_targetILNS1_3genE3ELNS1_11target_archE908ELNS1_3gpuE7ELNS1_3repE0EEENS1_30default_config_static_selectorELNS0_4arch9wavefront6targetE1EEEvT1_,comdat
	.protected	_ZN7rocprim17ROCPRIM_400000_NS6detail17trampoline_kernelINS0_14default_configENS1_25partition_config_selectorILNS1_17partition_subalgoE2EiNS0_10empty_typeEbEEZZNS1_14partition_implILS5_2ELb0ES3_jN6thrust23THRUST_200600_302600_NS6detail15normal_iteratorINSA_7pointerIiNSA_11hip_rocprim3tagENSA_11use_defaultESG_EEEEPS6_NSA_18transform_iteratorINSA_8identityIiEENSC_INSA_10device_ptrIiEEEESG_SG_EENS0_5tupleIJPiSJ_EEENSR_IJSJ_SJ_EEES6_PlJS6_EEE10hipError_tPvRmT3_T4_T5_T6_T7_T9_mT8_P12ihipStream_tbDpT10_ENKUlT_T0_E_clISt17integral_constantIbLb1EES1E_IbLb0EEEEDaS1A_S1B_EUlS1A_E_NS1_11comp_targetILNS1_3genE3ELNS1_11target_archE908ELNS1_3gpuE7ELNS1_3repE0EEENS1_30default_config_static_selectorELNS0_4arch9wavefront6targetE1EEEvT1_ ; -- Begin function _ZN7rocprim17ROCPRIM_400000_NS6detail17trampoline_kernelINS0_14default_configENS1_25partition_config_selectorILNS1_17partition_subalgoE2EiNS0_10empty_typeEbEEZZNS1_14partition_implILS5_2ELb0ES3_jN6thrust23THRUST_200600_302600_NS6detail15normal_iteratorINSA_7pointerIiNSA_11hip_rocprim3tagENSA_11use_defaultESG_EEEEPS6_NSA_18transform_iteratorINSA_8identityIiEENSC_INSA_10device_ptrIiEEEESG_SG_EENS0_5tupleIJPiSJ_EEENSR_IJSJ_SJ_EEES6_PlJS6_EEE10hipError_tPvRmT3_T4_T5_T6_T7_T9_mT8_P12ihipStream_tbDpT10_ENKUlT_T0_E_clISt17integral_constantIbLb1EES1E_IbLb0EEEEDaS1A_S1B_EUlS1A_E_NS1_11comp_targetILNS1_3genE3ELNS1_11target_archE908ELNS1_3gpuE7ELNS1_3repE0EEENS1_30default_config_static_selectorELNS0_4arch9wavefront6targetE1EEEvT1_
	.globl	_ZN7rocprim17ROCPRIM_400000_NS6detail17trampoline_kernelINS0_14default_configENS1_25partition_config_selectorILNS1_17partition_subalgoE2EiNS0_10empty_typeEbEEZZNS1_14partition_implILS5_2ELb0ES3_jN6thrust23THRUST_200600_302600_NS6detail15normal_iteratorINSA_7pointerIiNSA_11hip_rocprim3tagENSA_11use_defaultESG_EEEEPS6_NSA_18transform_iteratorINSA_8identityIiEENSC_INSA_10device_ptrIiEEEESG_SG_EENS0_5tupleIJPiSJ_EEENSR_IJSJ_SJ_EEES6_PlJS6_EEE10hipError_tPvRmT3_T4_T5_T6_T7_T9_mT8_P12ihipStream_tbDpT10_ENKUlT_T0_E_clISt17integral_constantIbLb1EES1E_IbLb0EEEEDaS1A_S1B_EUlS1A_E_NS1_11comp_targetILNS1_3genE3ELNS1_11target_archE908ELNS1_3gpuE7ELNS1_3repE0EEENS1_30default_config_static_selectorELNS0_4arch9wavefront6targetE1EEEvT1_
	.p2align	8
	.type	_ZN7rocprim17ROCPRIM_400000_NS6detail17trampoline_kernelINS0_14default_configENS1_25partition_config_selectorILNS1_17partition_subalgoE2EiNS0_10empty_typeEbEEZZNS1_14partition_implILS5_2ELb0ES3_jN6thrust23THRUST_200600_302600_NS6detail15normal_iteratorINSA_7pointerIiNSA_11hip_rocprim3tagENSA_11use_defaultESG_EEEEPS6_NSA_18transform_iteratorINSA_8identityIiEENSC_INSA_10device_ptrIiEEEESG_SG_EENS0_5tupleIJPiSJ_EEENSR_IJSJ_SJ_EEES6_PlJS6_EEE10hipError_tPvRmT3_T4_T5_T6_T7_T9_mT8_P12ihipStream_tbDpT10_ENKUlT_T0_E_clISt17integral_constantIbLb1EES1E_IbLb0EEEEDaS1A_S1B_EUlS1A_E_NS1_11comp_targetILNS1_3genE3ELNS1_11target_archE908ELNS1_3gpuE7ELNS1_3repE0EEENS1_30default_config_static_selectorELNS0_4arch9wavefront6targetE1EEEvT1_,@function
_ZN7rocprim17ROCPRIM_400000_NS6detail17trampoline_kernelINS0_14default_configENS1_25partition_config_selectorILNS1_17partition_subalgoE2EiNS0_10empty_typeEbEEZZNS1_14partition_implILS5_2ELb0ES3_jN6thrust23THRUST_200600_302600_NS6detail15normal_iteratorINSA_7pointerIiNSA_11hip_rocprim3tagENSA_11use_defaultESG_EEEEPS6_NSA_18transform_iteratorINSA_8identityIiEENSC_INSA_10device_ptrIiEEEESG_SG_EENS0_5tupleIJPiSJ_EEENSR_IJSJ_SJ_EEES6_PlJS6_EEE10hipError_tPvRmT3_T4_T5_T6_T7_T9_mT8_P12ihipStream_tbDpT10_ENKUlT_T0_E_clISt17integral_constantIbLb1EES1E_IbLb0EEEEDaS1A_S1B_EUlS1A_E_NS1_11comp_targetILNS1_3genE3ELNS1_11target_archE908ELNS1_3gpuE7ELNS1_3repE0EEENS1_30default_config_static_selectorELNS0_4arch9wavefront6targetE1EEEvT1_: ; @_ZN7rocprim17ROCPRIM_400000_NS6detail17trampoline_kernelINS0_14default_configENS1_25partition_config_selectorILNS1_17partition_subalgoE2EiNS0_10empty_typeEbEEZZNS1_14partition_implILS5_2ELb0ES3_jN6thrust23THRUST_200600_302600_NS6detail15normal_iteratorINSA_7pointerIiNSA_11hip_rocprim3tagENSA_11use_defaultESG_EEEEPS6_NSA_18transform_iteratorINSA_8identityIiEENSC_INSA_10device_ptrIiEEEESG_SG_EENS0_5tupleIJPiSJ_EEENSR_IJSJ_SJ_EEES6_PlJS6_EEE10hipError_tPvRmT3_T4_T5_T6_T7_T9_mT8_P12ihipStream_tbDpT10_ENKUlT_T0_E_clISt17integral_constantIbLb1EES1E_IbLb0EEEEDaS1A_S1B_EUlS1A_E_NS1_11comp_targetILNS1_3genE3ELNS1_11target_archE908ELNS1_3gpuE7ELNS1_3repE0EEENS1_30default_config_static_selectorELNS0_4arch9wavefront6targetE1EEEvT1_
; %bb.0:
	.section	.rodata,"a",@progbits
	.p2align	6, 0x0
	.amdhsa_kernel _ZN7rocprim17ROCPRIM_400000_NS6detail17trampoline_kernelINS0_14default_configENS1_25partition_config_selectorILNS1_17partition_subalgoE2EiNS0_10empty_typeEbEEZZNS1_14partition_implILS5_2ELb0ES3_jN6thrust23THRUST_200600_302600_NS6detail15normal_iteratorINSA_7pointerIiNSA_11hip_rocprim3tagENSA_11use_defaultESG_EEEEPS6_NSA_18transform_iteratorINSA_8identityIiEENSC_INSA_10device_ptrIiEEEESG_SG_EENS0_5tupleIJPiSJ_EEENSR_IJSJ_SJ_EEES6_PlJS6_EEE10hipError_tPvRmT3_T4_T5_T6_T7_T9_mT8_P12ihipStream_tbDpT10_ENKUlT_T0_E_clISt17integral_constantIbLb1EES1E_IbLb0EEEEDaS1A_S1B_EUlS1A_E_NS1_11comp_targetILNS1_3genE3ELNS1_11target_archE908ELNS1_3gpuE7ELNS1_3repE0EEENS1_30default_config_static_selectorELNS0_4arch9wavefront6targetE1EEEvT1_
		.amdhsa_group_segment_fixed_size 0
		.amdhsa_private_segment_fixed_size 0
		.amdhsa_kernarg_size 128
		.amdhsa_user_sgpr_count 6
		.amdhsa_user_sgpr_private_segment_buffer 1
		.amdhsa_user_sgpr_dispatch_ptr 0
		.amdhsa_user_sgpr_queue_ptr 0
		.amdhsa_user_sgpr_kernarg_segment_ptr 1
		.amdhsa_user_sgpr_dispatch_id 0
		.amdhsa_user_sgpr_flat_scratch_init 0
		.amdhsa_user_sgpr_kernarg_preload_length 0
		.amdhsa_user_sgpr_kernarg_preload_offset 0
		.amdhsa_user_sgpr_private_segment_size 0
		.amdhsa_uses_dynamic_stack 0
		.amdhsa_system_sgpr_private_segment_wavefront_offset 0
		.amdhsa_system_sgpr_workgroup_id_x 1
		.amdhsa_system_sgpr_workgroup_id_y 0
		.amdhsa_system_sgpr_workgroup_id_z 0
		.amdhsa_system_sgpr_workgroup_info 0
		.amdhsa_system_vgpr_workitem_id 0
		.amdhsa_next_free_vgpr 1
		.amdhsa_next_free_sgpr 0
		.amdhsa_accum_offset 4
		.amdhsa_reserve_vcc 0
		.amdhsa_reserve_flat_scratch 0
		.amdhsa_float_round_mode_32 0
		.amdhsa_float_round_mode_16_64 0
		.amdhsa_float_denorm_mode_32 3
		.amdhsa_float_denorm_mode_16_64 3
		.amdhsa_dx10_clamp 1
		.amdhsa_ieee_mode 1
		.amdhsa_fp16_overflow 0
		.amdhsa_tg_split 0
		.amdhsa_exception_fp_ieee_invalid_op 0
		.amdhsa_exception_fp_denorm_src 0
		.amdhsa_exception_fp_ieee_div_zero 0
		.amdhsa_exception_fp_ieee_overflow 0
		.amdhsa_exception_fp_ieee_underflow 0
		.amdhsa_exception_fp_ieee_inexact 0
		.amdhsa_exception_int_div_zero 0
	.end_amdhsa_kernel
	.section	.text._ZN7rocprim17ROCPRIM_400000_NS6detail17trampoline_kernelINS0_14default_configENS1_25partition_config_selectorILNS1_17partition_subalgoE2EiNS0_10empty_typeEbEEZZNS1_14partition_implILS5_2ELb0ES3_jN6thrust23THRUST_200600_302600_NS6detail15normal_iteratorINSA_7pointerIiNSA_11hip_rocprim3tagENSA_11use_defaultESG_EEEEPS6_NSA_18transform_iteratorINSA_8identityIiEENSC_INSA_10device_ptrIiEEEESG_SG_EENS0_5tupleIJPiSJ_EEENSR_IJSJ_SJ_EEES6_PlJS6_EEE10hipError_tPvRmT3_T4_T5_T6_T7_T9_mT8_P12ihipStream_tbDpT10_ENKUlT_T0_E_clISt17integral_constantIbLb1EES1E_IbLb0EEEEDaS1A_S1B_EUlS1A_E_NS1_11comp_targetILNS1_3genE3ELNS1_11target_archE908ELNS1_3gpuE7ELNS1_3repE0EEENS1_30default_config_static_selectorELNS0_4arch9wavefront6targetE1EEEvT1_,"axG",@progbits,_ZN7rocprim17ROCPRIM_400000_NS6detail17trampoline_kernelINS0_14default_configENS1_25partition_config_selectorILNS1_17partition_subalgoE2EiNS0_10empty_typeEbEEZZNS1_14partition_implILS5_2ELb0ES3_jN6thrust23THRUST_200600_302600_NS6detail15normal_iteratorINSA_7pointerIiNSA_11hip_rocprim3tagENSA_11use_defaultESG_EEEEPS6_NSA_18transform_iteratorINSA_8identityIiEENSC_INSA_10device_ptrIiEEEESG_SG_EENS0_5tupleIJPiSJ_EEENSR_IJSJ_SJ_EEES6_PlJS6_EEE10hipError_tPvRmT3_T4_T5_T6_T7_T9_mT8_P12ihipStream_tbDpT10_ENKUlT_T0_E_clISt17integral_constantIbLb1EES1E_IbLb0EEEEDaS1A_S1B_EUlS1A_E_NS1_11comp_targetILNS1_3genE3ELNS1_11target_archE908ELNS1_3gpuE7ELNS1_3repE0EEENS1_30default_config_static_selectorELNS0_4arch9wavefront6targetE1EEEvT1_,comdat
.Lfunc_end532:
	.size	_ZN7rocprim17ROCPRIM_400000_NS6detail17trampoline_kernelINS0_14default_configENS1_25partition_config_selectorILNS1_17partition_subalgoE2EiNS0_10empty_typeEbEEZZNS1_14partition_implILS5_2ELb0ES3_jN6thrust23THRUST_200600_302600_NS6detail15normal_iteratorINSA_7pointerIiNSA_11hip_rocprim3tagENSA_11use_defaultESG_EEEEPS6_NSA_18transform_iteratorINSA_8identityIiEENSC_INSA_10device_ptrIiEEEESG_SG_EENS0_5tupleIJPiSJ_EEENSR_IJSJ_SJ_EEES6_PlJS6_EEE10hipError_tPvRmT3_T4_T5_T6_T7_T9_mT8_P12ihipStream_tbDpT10_ENKUlT_T0_E_clISt17integral_constantIbLb1EES1E_IbLb0EEEEDaS1A_S1B_EUlS1A_E_NS1_11comp_targetILNS1_3genE3ELNS1_11target_archE908ELNS1_3gpuE7ELNS1_3repE0EEENS1_30default_config_static_selectorELNS0_4arch9wavefront6targetE1EEEvT1_, .Lfunc_end532-_ZN7rocprim17ROCPRIM_400000_NS6detail17trampoline_kernelINS0_14default_configENS1_25partition_config_selectorILNS1_17partition_subalgoE2EiNS0_10empty_typeEbEEZZNS1_14partition_implILS5_2ELb0ES3_jN6thrust23THRUST_200600_302600_NS6detail15normal_iteratorINSA_7pointerIiNSA_11hip_rocprim3tagENSA_11use_defaultESG_EEEEPS6_NSA_18transform_iteratorINSA_8identityIiEENSC_INSA_10device_ptrIiEEEESG_SG_EENS0_5tupleIJPiSJ_EEENSR_IJSJ_SJ_EEES6_PlJS6_EEE10hipError_tPvRmT3_T4_T5_T6_T7_T9_mT8_P12ihipStream_tbDpT10_ENKUlT_T0_E_clISt17integral_constantIbLb1EES1E_IbLb0EEEEDaS1A_S1B_EUlS1A_E_NS1_11comp_targetILNS1_3genE3ELNS1_11target_archE908ELNS1_3gpuE7ELNS1_3repE0EEENS1_30default_config_static_selectorELNS0_4arch9wavefront6targetE1EEEvT1_
                                        ; -- End function
	.section	.AMDGPU.csdata,"",@progbits
; Kernel info:
; codeLenInByte = 0
; NumSgprs: 4
; NumVgprs: 0
; NumAgprs: 0
; TotalNumVgprs: 0
; ScratchSize: 0
; MemoryBound: 0
; FloatMode: 240
; IeeeMode: 1
; LDSByteSize: 0 bytes/workgroup (compile time only)
; SGPRBlocks: 0
; VGPRBlocks: 0
; NumSGPRsForWavesPerEU: 4
; NumVGPRsForWavesPerEU: 1
; AccumOffset: 4
; Occupancy: 8
; WaveLimiterHint : 0
; COMPUTE_PGM_RSRC2:SCRATCH_EN: 0
; COMPUTE_PGM_RSRC2:USER_SGPR: 6
; COMPUTE_PGM_RSRC2:TRAP_HANDLER: 0
; COMPUTE_PGM_RSRC2:TGID_X_EN: 1
; COMPUTE_PGM_RSRC2:TGID_Y_EN: 0
; COMPUTE_PGM_RSRC2:TGID_Z_EN: 0
; COMPUTE_PGM_RSRC2:TIDIG_COMP_CNT: 0
; COMPUTE_PGM_RSRC3_GFX90A:ACCUM_OFFSET: 0
; COMPUTE_PGM_RSRC3_GFX90A:TG_SPLIT: 0
	.section	.text._ZN7rocprim17ROCPRIM_400000_NS6detail17trampoline_kernelINS0_14default_configENS1_25partition_config_selectorILNS1_17partition_subalgoE2EiNS0_10empty_typeEbEEZZNS1_14partition_implILS5_2ELb0ES3_jN6thrust23THRUST_200600_302600_NS6detail15normal_iteratorINSA_7pointerIiNSA_11hip_rocprim3tagENSA_11use_defaultESG_EEEEPS6_NSA_18transform_iteratorINSA_8identityIiEENSC_INSA_10device_ptrIiEEEESG_SG_EENS0_5tupleIJPiSJ_EEENSR_IJSJ_SJ_EEES6_PlJS6_EEE10hipError_tPvRmT3_T4_T5_T6_T7_T9_mT8_P12ihipStream_tbDpT10_ENKUlT_T0_E_clISt17integral_constantIbLb1EES1E_IbLb0EEEEDaS1A_S1B_EUlS1A_E_NS1_11comp_targetILNS1_3genE2ELNS1_11target_archE906ELNS1_3gpuE6ELNS1_3repE0EEENS1_30default_config_static_selectorELNS0_4arch9wavefront6targetE1EEEvT1_,"axG",@progbits,_ZN7rocprim17ROCPRIM_400000_NS6detail17trampoline_kernelINS0_14default_configENS1_25partition_config_selectorILNS1_17partition_subalgoE2EiNS0_10empty_typeEbEEZZNS1_14partition_implILS5_2ELb0ES3_jN6thrust23THRUST_200600_302600_NS6detail15normal_iteratorINSA_7pointerIiNSA_11hip_rocprim3tagENSA_11use_defaultESG_EEEEPS6_NSA_18transform_iteratorINSA_8identityIiEENSC_INSA_10device_ptrIiEEEESG_SG_EENS0_5tupleIJPiSJ_EEENSR_IJSJ_SJ_EEES6_PlJS6_EEE10hipError_tPvRmT3_T4_T5_T6_T7_T9_mT8_P12ihipStream_tbDpT10_ENKUlT_T0_E_clISt17integral_constantIbLb1EES1E_IbLb0EEEEDaS1A_S1B_EUlS1A_E_NS1_11comp_targetILNS1_3genE2ELNS1_11target_archE906ELNS1_3gpuE6ELNS1_3repE0EEENS1_30default_config_static_selectorELNS0_4arch9wavefront6targetE1EEEvT1_,comdat
	.protected	_ZN7rocprim17ROCPRIM_400000_NS6detail17trampoline_kernelINS0_14default_configENS1_25partition_config_selectorILNS1_17partition_subalgoE2EiNS0_10empty_typeEbEEZZNS1_14partition_implILS5_2ELb0ES3_jN6thrust23THRUST_200600_302600_NS6detail15normal_iteratorINSA_7pointerIiNSA_11hip_rocprim3tagENSA_11use_defaultESG_EEEEPS6_NSA_18transform_iteratorINSA_8identityIiEENSC_INSA_10device_ptrIiEEEESG_SG_EENS0_5tupleIJPiSJ_EEENSR_IJSJ_SJ_EEES6_PlJS6_EEE10hipError_tPvRmT3_T4_T5_T6_T7_T9_mT8_P12ihipStream_tbDpT10_ENKUlT_T0_E_clISt17integral_constantIbLb1EES1E_IbLb0EEEEDaS1A_S1B_EUlS1A_E_NS1_11comp_targetILNS1_3genE2ELNS1_11target_archE906ELNS1_3gpuE6ELNS1_3repE0EEENS1_30default_config_static_selectorELNS0_4arch9wavefront6targetE1EEEvT1_ ; -- Begin function _ZN7rocprim17ROCPRIM_400000_NS6detail17trampoline_kernelINS0_14default_configENS1_25partition_config_selectorILNS1_17partition_subalgoE2EiNS0_10empty_typeEbEEZZNS1_14partition_implILS5_2ELb0ES3_jN6thrust23THRUST_200600_302600_NS6detail15normal_iteratorINSA_7pointerIiNSA_11hip_rocprim3tagENSA_11use_defaultESG_EEEEPS6_NSA_18transform_iteratorINSA_8identityIiEENSC_INSA_10device_ptrIiEEEESG_SG_EENS0_5tupleIJPiSJ_EEENSR_IJSJ_SJ_EEES6_PlJS6_EEE10hipError_tPvRmT3_T4_T5_T6_T7_T9_mT8_P12ihipStream_tbDpT10_ENKUlT_T0_E_clISt17integral_constantIbLb1EES1E_IbLb0EEEEDaS1A_S1B_EUlS1A_E_NS1_11comp_targetILNS1_3genE2ELNS1_11target_archE906ELNS1_3gpuE6ELNS1_3repE0EEENS1_30default_config_static_selectorELNS0_4arch9wavefront6targetE1EEEvT1_
	.globl	_ZN7rocprim17ROCPRIM_400000_NS6detail17trampoline_kernelINS0_14default_configENS1_25partition_config_selectorILNS1_17partition_subalgoE2EiNS0_10empty_typeEbEEZZNS1_14partition_implILS5_2ELb0ES3_jN6thrust23THRUST_200600_302600_NS6detail15normal_iteratorINSA_7pointerIiNSA_11hip_rocprim3tagENSA_11use_defaultESG_EEEEPS6_NSA_18transform_iteratorINSA_8identityIiEENSC_INSA_10device_ptrIiEEEESG_SG_EENS0_5tupleIJPiSJ_EEENSR_IJSJ_SJ_EEES6_PlJS6_EEE10hipError_tPvRmT3_T4_T5_T6_T7_T9_mT8_P12ihipStream_tbDpT10_ENKUlT_T0_E_clISt17integral_constantIbLb1EES1E_IbLb0EEEEDaS1A_S1B_EUlS1A_E_NS1_11comp_targetILNS1_3genE2ELNS1_11target_archE906ELNS1_3gpuE6ELNS1_3repE0EEENS1_30default_config_static_selectorELNS0_4arch9wavefront6targetE1EEEvT1_
	.p2align	8
	.type	_ZN7rocprim17ROCPRIM_400000_NS6detail17trampoline_kernelINS0_14default_configENS1_25partition_config_selectorILNS1_17partition_subalgoE2EiNS0_10empty_typeEbEEZZNS1_14partition_implILS5_2ELb0ES3_jN6thrust23THRUST_200600_302600_NS6detail15normal_iteratorINSA_7pointerIiNSA_11hip_rocprim3tagENSA_11use_defaultESG_EEEEPS6_NSA_18transform_iteratorINSA_8identityIiEENSC_INSA_10device_ptrIiEEEESG_SG_EENS0_5tupleIJPiSJ_EEENSR_IJSJ_SJ_EEES6_PlJS6_EEE10hipError_tPvRmT3_T4_T5_T6_T7_T9_mT8_P12ihipStream_tbDpT10_ENKUlT_T0_E_clISt17integral_constantIbLb1EES1E_IbLb0EEEEDaS1A_S1B_EUlS1A_E_NS1_11comp_targetILNS1_3genE2ELNS1_11target_archE906ELNS1_3gpuE6ELNS1_3repE0EEENS1_30default_config_static_selectorELNS0_4arch9wavefront6targetE1EEEvT1_,@function
_ZN7rocprim17ROCPRIM_400000_NS6detail17trampoline_kernelINS0_14default_configENS1_25partition_config_selectorILNS1_17partition_subalgoE2EiNS0_10empty_typeEbEEZZNS1_14partition_implILS5_2ELb0ES3_jN6thrust23THRUST_200600_302600_NS6detail15normal_iteratorINSA_7pointerIiNSA_11hip_rocprim3tagENSA_11use_defaultESG_EEEEPS6_NSA_18transform_iteratorINSA_8identityIiEENSC_INSA_10device_ptrIiEEEESG_SG_EENS0_5tupleIJPiSJ_EEENSR_IJSJ_SJ_EEES6_PlJS6_EEE10hipError_tPvRmT3_T4_T5_T6_T7_T9_mT8_P12ihipStream_tbDpT10_ENKUlT_T0_E_clISt17integral_constantIbLb1EES1E_IbLb0EEEEDaS1A_S1B_EUlS1A_E_NS1_11comp_targetILNS1_3genE2ELNS1_11target_archE906ELNS1_3gpuE6ELNS1_3repE0EEENS1_30default_config_static_selectorELNS0_4arch9wavefront6targetE1EEEvT1_: ; @_ZN7rocprim17ROCPRIM_400000_NS6detail17trampoline_kernelINS0_14default_configENS1_25partition_config_selectorILNS1_17partition_subalgoE2EiNS0_10empty_typeEbEEZZNS1_14partition_implILS5_2ELb0ES3_jN6thrust23THRUST_200600_302600_NS6detail15normal_iteratorINSA_7pointerIiNSA_11hip_rocprim3tagENSA_11use_defaultESG_EEEEPS6_NSA_18transform_iteratorINSA_8identityIiEENSC_INSA_10device_ptrIiEEEESG_SG_EENS0_5tupleIJPiSJ_EEENSR_IJSJ_SJ_EEES6_PlJS6_EEE10hipError_tPvRmT3_T4_T5_T6_T7_T9_mT8_P12ihipStream_tbDpT10_ENKUlT_T0_E_clISt17integral_constantIbLb1EES1E_IbLb0EEEEDaS1A_S1B_EUlS1A_E_NS1_11comp_targetILNS1_3genE2ELNS1_11target_archE906ELNS1_3gpuE6ELNS1_3repE0EEENS1_30default_config_static_selectorELNS0_4arch9wavefront6targetE1EEEvT1_
; %bb.0:
	.section	.rodata,"a",@progbits
	.p2align	6, 0x0
	.amdhsa_kernel _ZN7rocprim17ROCPRIM_400000_NS6detail17trampoline_kernelINS0_14default_configENS1_25partition_config_selectorILNS1_17partition_subalgoE2EiNS0_10empty_typeEbEEZZNS1_14partition_implILS5_2ELb0ES3_jN6thrust23THRUST_200600_302600_NS6detail15normal_iteratorINSA_7pointerIiNSA_11hip_rocprim3tagENSA_11use_defaultESG_EEEEPS6_NSA_18transform_iteratorINSA_8identityIiEENSC_INSA_10device_ptrIiEEEESG_SG_EENS0_5tupleIJPiSJ_EEENSR_IJSJ_SJ_EEES6_PlJS6_EEE10hipError_tPvRmT3_T4_T5_T6_T7_T9_mT8_P12ihipStream_tbDpT10_ENKUlT_T0_E_clISt17integral_constantIbLb1EES1E_IbLb0EEEEDaS1A_S1B_EUlS1A_E_NS1_11comp_targetILNS1_3genE2ELNS1_11target_archE906ELNS1_3gpuE6ELNS1_3repE0EEENS1_30default_config_static_selectorELNS0_4arch9wavefront6targetE1EEEvT1_
		.amdhsa_group_segment_fixed_size 0
		.amdhsa_private_segment_fixed_size 0
		.amdhsa_kernarg_size 128
		.amdhsa_user_sgpr_count 6
		.amdhsa_user_sgpr_private_segment_buffer 1
		.amdhsa_user_sgpr_dispatch_ptr 0
		.amdhsa_user_sgpr_queue_ptr 0
		.amdhsa_user_sgpr_kernarg_segment_ptr 1
		.amdhsa_user_sgpr_dispatch_id 0
		.amdhsa_user_sgpr_flat_scratch_init 0
		.amdhsa_user_sgpr_kernarg_preload_length 0
		.amdhsa_user_sgpr_kernarg_preload_offset 0
		.amdhsa_user_sgpr_private_segment_size 0
		.amdhsa_uses_dynamic_stack 0
		.amdhsa_system_sgpr_private_segment_wavefront_offset 0
		.amdhsa_system_sgpr_workgroup_id_x 1
		.amdhsa_system_sgpr_workgroup_id_y 0
		.amdhsa_system_sgpr_workgroup_id_z 0
		.amdhsa_system_sgpr_workgroup_info 0
		.amdhsa_system_vgpr_workitem_id 0
		.amdhsa_next_free_vgpr 1
		.amdhsa_next_free_sgpr 0
		.amdhsa_accum_offset 4
		.amdhsa_reserve_vcc 0
		.amdhsa_reserve_flat_scratch 0
		.amdhsa_float_round_mode_32 0
		.amdhsa_float_round_mode_16_64 0
		.amdhsa_float_denorm_mode_32 3
		.amdhsa_float_denorm_mode_16_64 3
		.amdhsa_dx10_clamp 1
		.amdhsa_ieee_mode 1
		.amdhsa_fp16_overflow 0
		.amdhsa_tg_split 0
		.amdhsa_exception_fp_ieee_invalid_op 0
		.amdhsa_exception_fp_denorm_src 0
		.amdhsa_exception_fp_ieee_div_zero 0
		.amdhsa_exception_fp_ieee_overflow 0
		.amdhsa_exception_fp_ieee_underflow 0
		.amdhsa_exception_fp_ieee_inexact 0
		.amdhsa_exception_int_div_zero 0
	.end_amdhsa_kernel
	.section	.text._ZN7rocprim17ROCPRIM_400000_NS6detail17trampoline_kernelINS0_14default_configENS1_25partition_config_selectorILNS1_17partition_subalgoE2EiNS0_10empty_typeEbEEZZNS1_14partition_implILS5_2ELb0ES3_jN6thrust23THRUST_200600_302600_NS6detail15normal_iteratorINSA_7pointerIiNSA_11hip_rocprim3tagENSA_11use_defaultESG_EEEEPS6_NSA_18transform_iteratorINSA_8identityIiEENSC_INSA_10device_ptrIiEEEESG_SG_EENS0_5tupleIJPiSJ_EEENSR_IJSJ_SJ_EEES6_PlJS6_EEE10hipError_tPvRmT3_T4_T5_T6_T7_T9_mT8_P12ihipStream_tbDpT10_ENKUlT_T0_E_clISt17integral_constantIbLb1EES1E_IbLb0EEEEDaS1A_S1B_EUlS1A_E_NS1_11comp_targetILNS1_3genE2ELNS1_11target_archE906ELNS1_3gpuE6ELNS1_3repE0EEENS1_30default_config_static_selectorELNS0_4arch9wavefront6targetE1EEEvT1_,"axG",@progbits,_ZN7rocprim17ROCPRIM_400000_NS6detail17trampoline_kernelINS0_14default_configENS1_25partition_config_selectorILNS1_17partition_subalgoE2EiNS0_10empty_typeEbEEZZNS1_14partition_implILS5_2ELb0ES3_jN6thrust23THRUST_200600_302600_NS6detail15normal_iteratorINSA_7pointerIiNSA_11hip_rocprim3tagENSA_11use_defaultESG_EEEEPS6_NSA_18transform_iteratorINSA_8identityIiEENSC_INSA_10device_ptrIiEEEESG_SG_EENS0_5tupleIJPiSJ_EEENSR_IJSJ_SJ_EEES6_PlJS6_EEE10hipError_tPvRmT3_T4_T5_T6_T7_T9_mT8_P12ihipStream_tbDpT10_ENKUlT_T0_E_clISt17integral_constantIbLb1EES1E_IbLb0EEEEDaS1A_S1B_EUlS1A_E_NS1_11comp_targetILNS1_3genE2ELNS1_11target_archE906ELNS1_3gpuE6ELNS1_3repE0EEENS1_30default_config_static_selectorELNS0_4arch9wavefront6targetE1EEEvT1_,comdat
.Lfunc_end533:
	.size	_ZN7rocprim17ROCPRIM_400000_NS6detail17trampoline_kernelINS0_14default_configENS1_25partition_config_selectorILNS1_17partition_subalgoE2EiNS0_10empty_typeEbEEZZNS1_14partition_implILS5_2ELb0ES3_jN6thrust23THRUST_200600_302600_NS6detail15normal_iteratorINSA_7pointerIiNSA_11hip_rocprim3tagENSA_11use_defaultESG_EEEEPS6_NSA_18transform_iteratorINSA_8identityIiEENSC_INSA_10device_ptrIiEEEESG_SG_EENS0_5tupleIJPiSJ_EEENSR_IJSJ_SJ_EEES6_PlJS6_EEE10hipError_tPvRmT3_T4_T5_T6_T7_T9_mT8_P12ihipStream_tbDpT10_ENKUlT_T0_E_clISt17integral_constantIbLb1EES1E_IbLb0EEEEDaS1A_S1B_EUlS1A_E_NS1_11comp_targetILNS1_3genE2ELNS1_11target_archE906ELNS1_3gpuE6ELNS1_3repE0EEENS1_30default_config_static_selectorELNS0_4arch9wavefront6targetE1EEEvT1_, .Lfunc_end533-_ZN7rocprim17ROCPRIM_400000_NS6detail17trampoline_kernelINS0_14default_configENS1_25partition_config_selectorILNS1_17partition_subalgoE2EiNS0_10empty_typeEbEEZZNS1_14partition_implILS5_2ELb0ES3_jN6thrust23THRUST_200600_302600_NS6detail15normal_iteratorINSA_7pointerIiNSA_11hip_rocprim3tagENSA_11use_defaultESG_EEEEPS6_NSA_18transform_iteratorINSA_8identityIiEENSC_INSA_10device_ptrIiEEEESG_SG_EENS0_5tupleIJPiSJ_EEENSR_IJSJ_SJ_EEES6_PlJS6_EEE10hipError_tPvRmT3_T4_T5_T6_T7_T9_mT8_P12ihipStream_tbDpT10_ENKUlT_T0_E_clISt17integral_constantIbLb1EES1E_IbLb0EEEEDaS1A_S1B_EUlS1A_E_NS1_11comp_targetILNS1_3genE2ELNS1_11target_archE906ELNS1_3gpuE6ELNS1_3repE0EEENS1_30default_config_static_selectorELNS0_4arch9wavefront6targetE1EEEvT1_
                                        ; -- End function
	.section	.AMDGPU.csdata,"",@progbits
; Kernel info:
; codeLenInByte = 0
; NumSgprs: 4
; NumVgprs: 0
; NumAgprs: 0
; TotalNumVgprs: 0
; ScratchSize: 0
; MemoryBound: 0
; FloatMode: 240
; IeeeMode: 1
; LDSByteSize: 0 bytes/workgroup (compile time only)
; SGPRBlocks: 0
; VGPRBlocks: 0
; NumSGPRsForWavesPerEU: 4
; NumVGPRsForWavesPerEU: 1
; AccumOffset: 4
; Occupancy: 8
; WaveLimiterHint : 0
; COMPUTE_PGM_RSRC2:SCRATCH_EN: 0
; COMPUTE_PGM_RSRC2:USER_SGPR: 6
; COMPUTE_PGM_RSRC2:TRAP_HANDLER: 0
; COMPUTE_PGM_RSRC2:TGID_X_EN: 1
; COMPUTE_PGM_RSRC2:TGID_Y_EN: 0
; COMPUTE_PGM_RSRC2:TGID_Z_EN: 0
; COMPUTE_PGM_RSRC2:TIDIG_COMP_CNT: 0
; COMPUTE_PGM_RSRC3_GFX90A:ACCUM_OFFSET: 0
; COMPUTE_PGM_RSRC3_GFX90A:TG_SPLIT: 0
	.section	.text._ZN7rocprim17ROCPRIM_400000_NS6detail17trampoline_kernelINS0_14default_configENS1_25partition_config_selectorILNS1_17partition_subalgoE2EiNS0_10empty_typeEbEEZZNS1_14partition_implILS5_2ELb0ES3_jN6thrust23THRUST_200600_302600_NS6detail15normal_iteratorINSA_7pointerIiNSA_11hip_rocprim3tagENSA_11use_defaultESG_EEEEPS6_NSA_18transform_iteratorINSA_8identityIiEENSC_INSA_10device_ptrIiEEEESG_SG_EENS0_5tupleIJPiSJ_EEENSR_IJSJ_SJ_EEES6_PlJS6_EEE10hipError_tPvRmT3_T4_T5_T6_T7_T9_mT8_P12ihipStream_tbDpT10_ENKUlT_T0_E_clISt17integral_constantIbLb1EES1E_IbLb0EEEEDaS1A_S1B_EUlS1A_E_NS1_11comp_targetILNS1_3genE10ELNS1_11target_archE1200ELNS1_3gpuE4ELNS1_3repE0EEENS1_30default_config_static_selectorELNS0_4arch9wavefront6targetE1EEEvT1_,"axG",@progbits,_ZN7rocprim17ROCPRIM_400000_NS6detail17trampoline_kernelINS0_14default_configENS1_25partition_config_selectorILNS1_17partition_subalgoE2EiNS0_10empty_typeEbEEZZNS1_14partition_implILS5_2ELb0ES3_jN6thrust23THRUST_200600_302600_NS6detail15normal_iteratorINSA_7pointerIiNSA_11hip_rocprim3tagENSA_11use_defaultESG_EEEEPS6_NSA_18transform_iteratorINSA_8identityIiEENSC_INSA_10device_ptrIiEEEESG_SG_EENS0_5tupleIJPiSJ_EEENSR_IJSJ_SJ_EEES6_PlJS6_EEE10hipError_tPvRmT3_T4_T5_T6_T7_T9_mT8_P12ihipStream_tbDpT10_ENKUlT_T0_E_clISt17integral_constantIbLb1EES1E_IbLb0EEEEDaS1A_S1B_EUlS1A_E_NS1_11comp_targetILNS1_3genE10ELNS1_11target_archE1200ELNS1_3gpuE4ELNS1_3repE0EEENS1_30default_config_static_selectorELNS0_4arch9wavefront6targetE1EEEvT1_,comdat
	.protected	_ZN7rocprim17ROCPRIM_400000_NS6detail17trampoline_kernelINS0_14default_configENS1_25partition_config_selectorILNS1_17partition_subalgoE2EiNS0_10empty_typeEbEEZZNS1_14partition_implILS5_2ELb0ES3_jN6thrust23THRUST_200600_302600_NS6detail15normal_iteratorINSA_7pointerIiNSA_11hip_rocprim3tagENSA_11use_defaultESG_EEEEPS6_NSA_18transform_iteratorINSA_8identityIiEENSC_INSA_10device_ptrIiEEEESG_SG_EENS0_5tupleIJPiSJ_EEENSR_IJSJ_SJ_EEES6_PlJS6_EEE10hipError_tPvRmT3_T4_T5_T6_T7_T9_mT8_P12ihipStream_tbDpT10_ENKUlT_T0_E_clISt17integral_constantIbLb1EES1E_IbLb0EEEEDaS1A_S1B_EUlS1A_E_NS1_11comp_targetILNS1_3genE10ELNS1_11target_archE1200ELNS1_3gpuE4ELNS1_3repE0EEENS1_30default_config_static_selectorELNS0_4arch9wavefront6targetE1EEEvT1_ ; -- Begin function _ZN7rocprim17ROCPRIM_400000_NS6detail17trampoline_kernelINS0_14default_configENS1_25partition_config_selectorILNS1_17partition_subalgoE2EiNS0_10empty_typeEbEEZZNS1_14partition_implILS5_2ELb0ES3_jN6thrust23THRUST_200600_302600_NS6detail15normal_iteratorINSA_7pointerIiNSA_11hip_rocprim3tagENSA_11use_defaultESG_EEEEPS6_NSA_18transform_iteratorINSA_8identityIiEENSC_INSA_10device_ptrIiEEEESG_SG_EENS0_5tupleIJPiSJ_EEENSR_IJSJ_SJ_EEES6_PlJS6_EEE10hipError_tPvRmT3_T4_T5_T6_T7_T9_mT8_P12ihipStream_tbDpT10_ENKUlT_T0_E_clISt17integral_constantIbLb1EES1E_IbLb0EEEEDaS1A_S1B_EUlS1A_E_NS1_11comp_targetILNS1_3genE10ELNS1_11target_archE1200ELNS1_3gpuE4ELNS1_3repE0EEENS1_30default_config_static_selectorELNS0_4arch9wavefront6targetE1EEEvT1_
	.globl	_ZN7rocprim17ROCPRIM_400000_NS6detail17trampoline_kernelINS0_14default_configENS1_25partition_config_selectorILNS1_17partition_subalgoE2EiNS0_10empty_typeEbEEZZNS1_14partition_implILS5_2ELb0ES3_jN6thrust23THRUST_200600_302600_NS6detail15normal_iteratorINSA_7pointerIiNSA_11hip_rocprim3tagENSA_11use_defaultESG_EEEEPS6_NSA_18transform_iteratorINSA_8identityIiEENSC_INSA_10device_ptrIiEEEESG_SG_EENS0_5tupleIJPiSJ_EEENSR_IJSJ_SJ_EEES6_PlJS6_EEE10hipError_tPvRmT3_T4_T5_T6_T7_T9_mT8_P12ihipStream_tbDpT10_ENKUlT_T0_E_clISt17integral_constantIbLb1EES1E_IbLb0EEEEDaS1A_S1B_EUlS1A_E_NS1_11comp_targetILNS1_3genE10ELNS1_11target_archE1200ELNS1_3gpuE4ELNS1_3repE0EEENS1_30default_config_static_selectorELNS0_4arch9wavefront6targetE1EEEvT1_
	.p2align	8
	.type	_ZN7rocprim17ROCPRIM_400000_NS6detail17trampoline_kernelINS0_14default_configENS1_25partition_config_selectorILNS1_17partition_subalgoE2EiNS0_10empty_typeEbEEZZNS1_14partition_implILS5_2ELb0ES3_jN6thrust23THRUST_200600_302600_NS6detail15normal_iteratorINSA_7pointerIiNSA_11hip_rocprim3tagENSA_11use_defaultESG_EEEEPS6_NSA_18transform_iteratorINSA_8identityIiEENSC_INSA_10device_ptrIiEEEESG_SG_EENS0_5tupleIJPiSJ_EEENSR_IJSJ_SJ_EEES6_PlJS6_EEE10hipError_tPvRmT3_T4_T5_T6_T7_T9_mT8_P12ihipStream_tbDpT10_ENKUlT_T0_E_clISt17integral_constantIbLb1EES1E_IbLb0EEEEDaS1A_S1B_EUlS1A_E_NS1_11comp_targetILNS1_3genE10ELNS1_11target_archE1200ELNS1_3gpuE4ELNS1_3repE0EEENS1_30default_config_static_selectorELNS0_4arch9wavefront6targetE1EEEvT1_,@function
_ZN7rocprim17ROCPRIM_400000_NS6detail17trampoline_kernelINS0_14default_configENS1_25partition_config_selectorILNS1_17partition_subalgoE2EiNS0_10empty_typeEbEEZZNS1_14partition_implILS5_2ELb0ES3_jN6thrust23THRUST_200600_302600_NS6detail15normal_iteratorINSA_7pointerIiNSA_11hip_rocprim3tagENSA_11use_defaultESG_EEEEPS6_NSA_18transform_iteratorINSA_8identityIiEENSC_INSA_10device_ptrIiEEEESG_SG_EENS0_5tupleIJPiSJ_EEENSR_IJSJ_SJ_EEES6_PlJS6_EEE10hipError_tPvRmT3_T4_T5_T6_T7_T9_mT8_P12ihipStream_tbDpT10_ENKUlT_T0_E_clISt17integral_constantIbLb1EES1E_IbLb0EEEEDaS1A_S1B_EUlS1A_E_NS1_11comp_targetILNS1_3genE10ELNS1_11target_archE1200ELNS1_3gpuE4ELNS1_3repE0EEENS1_30default_config_static_selectorELNS0_4arch9wavefront6targetE1EEEvT1_: ; @_ZN7rocprim17ROCPRIM_400000_NS6detail17trampoline_kernelINS0_14default_configENS1_25partition_config_selectorILNS1_17partition_subalgoE2EiNS0_10empty_typeEbEEZZNS1_14partition_implILS5_2ELb0ES3_jN6thrust23THRUST_200600_302600_NS6detail15normal_iteratorINSA_7pointerIiNSA_11hip_rocprim3tagENSA_11use_defaultESG_EEEEPS6_NSA_18transform_iteratorINSA_8identityIiEENSC_INSA_10device_ptrIiEEEESG_SG_EENS0_5tupleIJPiSJ_EEENSR_IJSJ_SJ_EEES6_PlJS6_EEE10hipError_tPvRmT3_T4_T5_T6_T7_T9_mT8_P12ihipStream_tbDpT10_ENKUlT_T0_E_clISt17integral_constantIbLb1EES1E_IbLb0EEEEDaS1A_S1B_EUlS1A_E_NS1_11comp_targetILNS1_3genE10ELNS1_11target_archE1200ELNS1_3gpuE4ELNS1_3repE0EEENS1_30default_config_static_selectorELNS0_4arch9wavefront6targetE1EEEvT1_
; %bb.0:
	.section	.rodata,"a",@progbits
	.p2align	6, 0x0
	.amdhsa_kernel _ZN7rocprim17ROCPRIM_400000_NS6detail17trampoline_kernelINS0_14default_configENS1_25partition_config_selectorILNS1_17partition_subalgoE2EiNS0_10empty_typeEbEEZZNS1_14partition_implILS5_2ELb0ES3_jN6thrust23THRUST_200600_302600_NS6detail15normal_iteratorINSA_7pointerIiNSA_11hip_rocprim3tagENSA_11use_defaultESG_EEEEPS6_NSA_18transform_iteratorINSA_8identityIiEENSC_INSA_10device_ptrIiEEEESG_SG_EENS0_5tupleIJPiSJ_EEENSR_IJSJ_SJ_EEES6_PlJS6_EEE10hipError_tPvRmT3_T4_T5_T6_T7_T9_mT8_P12ihipStream_tbDpT10_ENKUlT_T0_E_clISt17integral_constantIbLb1EES1E_IbLb0EEEEDaS1A_S1B_EUlS1A_E_NS1_11comp_targetILNS1_3genE10ELNS1_11target_archE1200ELNS1_3gpuE4ELNS1_3repE0EEENS1_30default_config_static_selectorELNS0_4arch9wavefront6targetE1EEEvT1_
		.amdhsa_group_segment_fixed_size 0
		.amdhsa_private_segment_fixed_size 0
		.amdhsa_kernarg_size 128
		.amdhsa_user_sgpr_count 6
		.amdhsa_user_sgpr_private_segment_buffer 1
		.amdhsa_user_sgpr_dispatch_ptr 0
		.amdhsa_user_sgpr_queue_ptr 0
		.amdhsa_user_sgpr_kernarg_segment_ptr 1
		.amdhsa_user_sgpr_dispatch_id 0
		.amdhsa_user_sgpr_flat_scratch_init 0
		.amdhsa_user_sgpr_kernarg_preload_length 0
		.amdhsa_user_sgpr_kernarg_preload_offset 0
		.amdhsa_user_sgpr_private_segment_size 0
		.amdhsa_uses_dynamic_stack 0
		.amdhsa_system_sgpr_private_segment_wavefront_offset 0
		.amdhsa_system_sgpr_workgroup_id_x 1
		.amdhsa_system_sgpr_workgroup_id_y 0
		.amdhsa_system_sgpr_workgroup_id_z 0
		.amdhsa_system_sgpr_workgroup_info 0
		.amdhsa_system_vgpr_workitem_id 0
		.amdhsa_next_free_vgpr 1
		.amdhsa_next_free_sgpr 0
		.amdhsa_accum_offset 4
		.amdhsa_reserve_vcc 0
		.amdhsa_reserve_flat_scratch 0
		.amdhsa_float_round_mode_32 0
		.amdhsa_float_round_mode_16_64 0
		.amdhsa_float_denorm_mode_32 3
		.amdhsa_float_denorm_mode_16_64 3
		.amdhsa_dx10_clamp 1
		.amdhsa_ieee_mode 1
		.amdhsa_fp16_overflow 0
		.amdhsa_tg_split 0
		.amdhsa_exception_fp_ieee_invalid_op 0
		.amdhsa_exception_fp_denorm_src 0
		.amdhsa_exception_fp_ieee_div_zero 0
		.amdhsa_exception_fp_ieee_overflow 0
		.amdhsa_exception_fp_ieee_underflow 0
		.amdhsa_exception_fp_ieee_inexact 0
		.amdhsa_exception_int_div_zero 0
	.end_amdhsa_kernel
	.section	.text._ZN7rocprim17ROCPRIM_400000_NS6detail17trampoline_kernelINS0_14default_configENS1_25partition_config_selectorILNS1_17partition_subalgoE2EiNS0_10empty_typeEbEEZZNS1_14partition_implILS5_2ELb0ES3_jN6thrust23THRUST_200600_302600_NS6detail15normal_iteratorINSA_7pointerIiNSA_11hip_rocprim3tagENSA_11use_defaultESG_EEEEPS6_NSA_18transform_iteratorINSA_8identityIiEENSC_INSA_10device_ptrIiEEEESG_SG_EENS0_5tupleIJPiSJ_EEENSR_IJSJ_SJ_EEES6_PlJS6_EEE10hipError_tPvRmT3_T4_T5_T6_T7_T9_mT8_P12ihipStream_tbDpT10_ENKUlT_T0_E_clISt17integral_constantIbLb1EES1E_IbLb0EEEEDaS1A_S1B_EUlS1A_E_NS1_11comp_targetILNS1_3genE10ELNS1_11target_archE1200ELNS1_3gpuE4ELNS1_3repE0EEENS1_30default_config_static_selectorELNS0_4arch9wavefront6targetE1EEEvT1_,"axG",@progbits,_ZN7rocprim17ROCPRIM_400000_NS6detail17trampoline_kernelINS0_14default_configENS1_25partition_config_selectorILNS1_17partition_subalgoE2EiNS0_10empty_typeEbEEZZNS1_14partition_implILS5_2ELb0ES3_jN6thrust23THRUST_200600_302600_NS6detail15normal_iteratorINSA_7pointerIiNSA_11hip_rocprim3tagENSA_11use_defaultESG_EEEEPS6_NSA_18transform_iteratorINSA_8identityIiEENSC_INSA_10device_ptrIiEEEESG_SG_EENS0_5tupleIJPiSJ_EEENSR_IJSJ_SJ_EEES6_PlJS6_EEE10hipError_tPvRmT3_T4_T5_T6_T7_T9_mT8_P12ihipStream_tbDpT10_ENKUlT_T0_E_clISt17integral_constantIbLb1EES1E_IbLb0EEEEDaS1A_S1B_EUlS1A_E_NS1_11comp_targetILNS1_3genE10ELNS1_11target_archE1200ELNS1_3gpuE4ELNS1_3repE0EEENS1_30default_config_static_selectorELNS0_4arch9wavefront6targetE1EEEvT1_,comdat
.Lfunc_end534:
	.size	_ZN7rocprim17ROCPRIM_400000_NS6detail17trampoline_kernelINS0_14default_configENS1_25partition_config_selectorILNS1_17partition_subalgoE2EiNS0_10empty_typeEbEEZZNS1_14partition_implILS5_2ELb0ES3_jN6thrust23THRUST_200600_302600_NS6detail15normal_iteratorINSA_7pointerIiNSA_11hip_rocprim3tagENSA_11use_defaultESG_EEEEPS6_NSA_18transform_iteratorINSA_8identityIiEENSC_INSA_10device_ptrIiEEEESG_SG_EENS0_5tupleIJPiSJ_EEENSR_IJSJ_SJ_EEES6_PlJS6_EEE10hipError_tPvRmT3_T4_T5_T6_T7_T9_mT8_P12ihipStream_tbDpT10_ENKUlT_T0_E_clISt17integral_constantIbLb1EES1E_IbLb0EEEEDaS1A_S1B_EUlS1A_E_NS1_11comp_targetILNS1_3genE10ELNS1_11target_archE1200ELNS1_3gpuE4ELNS1_3repE0EEENS1_30default_config_static_selectorELNS0_4arch9wavefront6targetE1EEEvT1_, .Lfunc_end534-_ZN7rocprim17ROCPRIM_400000_NS6detail17trampoline_kernelINS0_14default_configENS1_25partition_config_selectorILNS1_17partition_subalgoE2EiNS0_10empty_typeEbEEZZNS1_14partition_implILS5_2ELb0ES3_jN6thrust23THRUST_200600_302600_NS6detail15normal_iteratorINSA_7pointerIiNSA_11hip_rocprim3tagENSA_11use_defaultESG_EEEEPS6_NSA_18transform_iteratorINSA_8identityIiEENSC_INSA_10device_ptrIiEEEESG_SG_EENS0_5tupleIJPiSJ_EEENSR_IJSJ_SJ_EEES6_PlJS6_EEE10hipError_tPvRmT3_T4_T5_T6_T7_T9_mT8_P12ihipStream_tbDpT10_ENKUlT_T0_E_clISt17integral_constantIbLb1EES1E_IbLb0EEEEDaS1A_S1B_EUlS1A_E_NS1_11comp_targetILNS1_3genE10ELNS1_11target_archE1200ELNS1_3gpuE4ELNS1_3repE0EEENS1_30default_config_static_selectorELNS0_4arch9wavefront6targetE1EEEvT1_
                                        ; -- End function
	.section	.AMDGPU.csdata,"",@progbits
; Kernel info:
; codeLenInByte = 0
; NumSgprs: 4
; NumVgprs: 0
; NumAgprs: 0
; TotalNumVgprs: 0
; ScratchSize: 0
; MemoryBound: 0
; FloatMode: 240
; IeeeMode: 1
; LDSByteSize: 0 bytes/workgroup (compile time only)
; SGPRBlocks: 0
; VGPRBlocks: 0
; NumSGPRsForWavesPerEU: 4
; NumVGPRsForWavesPerEU: 1
; AccumOffset: 4
; Occupancy: 8
; WaveLimiterHint : 0
; COMPUTE_PGM_RSRC2:SCRATCH_EN: 0
; COMPUTE_PGM_RSRC2:USER_SGPR: 6
; COMPUTE_PGM_RSRC2:TRAP_HANDLER: 0
; COMPUTE_PGM_RSRC2:TGID_X_EN: 1
; COMPUTE_PGM_RSRC2:TGID_Y_EN: 0
; COMPUTE_PGM_RSRC2:TGID_Z_EN: 0
; COMPUTE_PGM_RSRC2:TIDIG_COMP_CNT: 0
; COMPUTE_PGM_RSRC3_GFX90A:ACCUM_OFFSET: 0
; COMPUTE_PGM_RSRC3_GFX90A:TG_SPLIT: 0
	.section	.text._ZN7rocprim17ROCPRIM_400000_NS6detail17trampoline_kernelINS0_14default_configENS1_25partition_config_selectorILNS1_17partition_subalgoE2EiNS0_10empty_typeEbEEZZNS1_14partition_implILS5_2ELb0ES3_jN6thrust23THRUST_200600_302600_NS6detail15normal_iteratorINSA_7pointerIiNSA_11hip_rocprim3tagENSA_11use_defaultESG_EEEEPS6_NSA_18transform_iteratorINSA_8identityIiEENSC_INSA_10device_ptrIiEEEESG_SG_EENS0_5tupleIJPiSJ_EEENSR_IJSJ_SJ_EEES6_PlJS6_EEE10hipError_tPvRmT3_T4_T5_T6_T7_T9_mT8_P12ihipStream_tbDpT10_ENKUlT_T0_E_clISt17integral_constantIbLb1EES1E_IbLb0EEEEDaS1A_S1B_EUlS1A_E_NS1_11comp_targetILNS1_3genE9ELNS1_11target_archE1100ELNS1_3gpuE3ELNS1_3repE0EEENS1_30default_config_static_selectorELNS0_4arch9wavefront6targetE1EEEvT1_,"axG",@progbits,_ZN7rocprim17ROCPRIM_400000_NS6detail17trampoline_kernelINS0_14default_configENS1_25partition_config_selectorILNS1_17partition_subalgoE2EiNS0_10empty_typeEbEEZZNS1_14partition_implILS5_2ELb0ES3_jN6thrust23THRUST_200600_302600_NS6detail15normal_iteratorINSA_7pointerIiNSA_11hip_rocprim3tagENSA_11use_defaultESG_EEEEPS6_NSA_18transform_iteratorINSA_8identityIiEENSC_INSA_10device_ptrIiEEEESG_SG_EENS0_5tupleIJPiSJ_EEENSR_IJSJ_SJ_EEES6_PlJS6_EEE10hipError_tPvRmT3_T4_T5_T6_T7_T9_mT8_P12ihipStream_tbDpT10_ENKUlT_T0_E_clISt17integral_constantIbLb1EES1E_IbLb0EEEEDaS1A_S1B_EUlS1A_E_NS1_11comp_targetILNS1_3genE9ELNS1_11target_archE1100ELNS1_3gpuE3ELNS1_3repE0EEENS1_30default_config_static_selectorELNS0_4arch9wavefront6targetE1EEEvT1_,comdat
	.protected	_ZN7rocprim17ROCPRIM_400000_NS6detail17trampoline_kernelINS0_14default_configENS1_25partition_config_selectorILNS1_17partition_subalgoE2EiNS0_10empty_typeEbEEZZNS1_14partition_implILS5_2ELb0ES3_jN6thrust23THRUST_200600_302600_NS6detail15normal_iteratorINSA_7pointerIiNSA_11hip_rocprim3tagENSA_11use_defaultESG_EEEEPS6_NSA_18transform_iteratorINSA_8identityIiEENSC_INSA_10device_ptrIiEEEESG_SG_EENS0_5tupleIJPiSJ_EEENSR_IJSJ_SJ_EEES6_PlJS6_EEE10hipError_tPvRmT3_T4_T5_T6_T7_T9_mT8_P12ihipStream_tbDpT10_ENKUlT_T0_E_clISt17integral_constantIbLb1EES1E_IbLb0EEEEDaS1A_S1B_EUlS1A_E_NS1_11comp_targetILNS1_3genE9ELNS1_11target_archE1100ELNS1_3gpuE3ELNS1_3repE0EEENS1_30default_config_static_selectorELNS0_4arch9wavefront6targetE1EEEvT1_ ; -- Begin function _ZN7rocprim17ROCPRIM_400000_NS6detail17trampoline_kernelINS0_14default_configENS1_25partition_config_selectorILNS1_17partition_subalgoE2EiNS0_10empty_typeEbEEZZNS1_14partition_implILS5_2ELb0ES3_jN6thrust23THRUST_200600_302600_NS6detail15normal_iteratorINSA_7pointerIiNSA_11hip_rocprim3tagENSA_11use_defaultESG_EEEEPS6_NSA_18transform_iteratorINSA_8identityIiEENSC_INSA_10device_ptrIiEEEESG_SG_EENS0_5tupleIJPiSJ_EEENSR_IJSJ_SJ_EEES6_PlJS6_EEE10hipError_tPvRmT3_T4_T5_T6_T7_T9_mT8_P12ihipStream_tbDpT10_ENKUlT_T0_E_clISt17integral_constantIbLb1EES1E_IbLb0EEEEDaS1A_S1B_EUlS1A_E_NS1_11comp_targetILNS1_3genE9ELNS1_11target_archE1100ELNS1_3gpuE3ELNS1_3repE0EEENS1_30default_config_static_selectorELNS0_4arch9wavefront6targetE1EEEvT1_
	.globl	_ZN7rocprim17ROCPRIM_400000_NS6detail17trampoline_kernelINS0_14default_configENS1_25partition_config_selectorILNS1_17partition_subalgoE2EiNS0_10empty_typeEbEEZZNS1_14partition_implILS5_2ELb0ES3_jN6thrust23THRUST_200600_302600_NS6detail15normal_iteratorINSA_7pointerIiNSA_11hip_rocprim3tagENSA_11use_defaultESG_EEEEPS6_NSA_18transform_iteratorINSA_8identityIiEENSC_INSA_10device_ptrIiEEEESG_SG_EENS0_5tupleIJPiSJ_EEENSR_IJSJ_SJ_EEES6_PlJS6_EEE10hipError_tPvRmT3_T4_T5_T6_T7_T9_mT8_P12ihipStream_tbDpT10_ENKUlT_T0_E_clISt17integral_constantIbLb1EES1E_IbLb0EEEEDaS1A_S1B_EUlS1A_E_NS1_11comp_targetILNS1_3genE9ELNS1_11target_archE1100ELNS1_3gpuE3ELNS1_3repE0EEENS1_30default_config_static_selectorELNS0_4arch9wavefront6targetE1EEEvT1_
	.p2align	8
	.type	_ZN7rocprim17ROCPRIM_400000_NS6detail17trampoline_kernelINS0_14default_configENS1_25partition_config_selectorILNS1_17partition_subalgoE2EiNS0_10empty_typeEbEEZZNS1_14partition_implILS5_2ELb0ES3_jN6thrust23THRUST_200600_302600_NS6detail15normal_iteratorINSA_7pointerIiNSA_11hip_rocprim3tagENSA_11use_defaultESG_EEEEPS6_NSA_18transform_iteratorINSA_8identityIiEENSC_INSA_10device_ptrIiEEEESG_SG_EENS0_5tupleIJPiSJ_EEENSR_IJSJ_SJ_EEES6_PlJS6_EEE10hipError_tPvRmT3_T4_T5_T6_T7_T9_mT8_P12ihipStream_tbDpT10_ENKUlT_T0_E_clISt17integral_constantIbLb1EES1E_IbLb0EEEEDaS1A_S1B_EUlS1A_E_NS1_11comp_targetILNS1_3genE9ELNS1_11target_archE1100ELNS1_3gpuE3ELNS1_3repE0EEENS1_30default_config_static_selectorELNS0_4arch9wavefront6targetE1EEEvT1_,@function
_ZN7rocprim17ROCPRIM_400000_NS6detail17trampoline_kernelINS0_14default_configENS1_25partition_config_selectorILNS1_17partition_subalgoE2EiNS0_10empty_typeEbEEZZNS1_14partition_implILS5_2ELb0ES3_jN6thrust23THRUST_200600_302600_NS6detail15normal_iteratorINSA_7pointerIiNSA_11hip_rocprim3tagENSA_11use_defaultESG_EEEEPS6_NSA_18transform_iteratorINSA_8identityIiEENSC_INSA_10device_ptrIiEEEESG_SG_EENS0_5tupleIJPiSJ_EEENSR_IJSJ_SJ_EEES6_PlJS6_EEE10hipError_tPvRmT3_T4_T5_T6_T7_T9_mT8_P12ihipStream_tbDpT10_ENKUlT_T0_E_clISt17integral_constantIbLb1EES1E_IbLb0EEEEDaS1A_S1B_EUlS1A_E_NS1_11comp_targetILNS1_3genE9ELNS1_11target_archE1100ELNS1_3gpuE3ELNS1_3repE0EEENS1_30default_config_static_selectorELNS0_4arch9wavefront6targetE1EEEvT1_: ; @_ZN7rocprim17ROCPRIM_400000_NS6detail17trampoline_kernelINS0_14default_configENS1_25partition_config_selectorILNS1_17partition_subalgoE2EiNS0_10empty_typeEbEEZZNS1_14partition_implILS5_2ELb0ES3_jN6thrust23THRUST_200600_302600_NS6detail15normal_iteratorINSA_7pointerIiNSA_11hip_rocprim3tagENSA_11use_defaultESG_EEEEPS6_NSA_18transform_iteratorINSA_8identityIiEENSC_INSA_10device_ptrIiEEEESG_SG_EENS0_5tupleIJPiSJ_EEENSR_IJSJ_SJ_EEES6_PlJS6_EEE10hipError_tPvRmT3_T4_T5_T6_T7_T9_mT8_P12ihipStream_tbDpT10_ENKUlT_T0_E_clISt17integral_constantIbLb1EES1E_IbLb0EEEEDaS1A_S1B_EUlS1A_E_NS1_11comp_targetILNS1_3genE9ELNS1_11target_archE1100ELNS1_3gpuE3ELNS1_3repE0EEENS1_30default_config_static_selectorELNS0_4arch9wavefront6targetE1EEEvT1_
; %bb.0:
	.section	.rodata,"a",@progbits
	.p2align	6, 0x0
	.amdhsa_kernel _ZN7rocprim17ROCPRIM_400000_NS6detail17trampoline_kernelINS0_14default_configENS1_25partition_config_selectorILNS1_17partition_subalgoE2EiNS0_10empty_typeEbEEZZNS1_14partition_implILS5_2ELb0ES3_jN6thrust23THRUST_200600_302600_NS6detail15normal_iteratorINSA_7pointerIiNSA_11hip_rocprim3tagENSA_11use_defaultESG_EEEEPS6_NSA_18transform_iteratorINSA_8identityIiEENSC_INSA_10device_ptrIiEEEESG_SG_EENS0_5tupleIJPiSJ_EEENSR_IJSJ_SJ_EEES6_PlJS6_EEE10hipError_tPvRmT3_T4_T5_T6_T7_T9_mT8_P12ihipStream_tbDpT10_ENKUlT_T0_E_clISt17integral_constantIbLb1EES1E_IbLb0EEEEDaS1A_S1B_EUlS1A_E_NS1_11comp_targetILNS1_3genE9ELNS1_11target_archE1100ELNS1_3gpuE3ELNS1_3repE0EEENS1_30default_config_static_selectorELNS0_4arch9wavefront6targetE1EEEvT1_
		.amdhsa_group_segment_fixed_size 0
		.amdhsa_private_segment_fixed_size 0
		.amdhsa_kernarg_size 128
		.amdhsa_user_sgpr_count 6
		.amdhsa_user_sgpr_private_segment_buffer 1
		.amdhsa_user_sgpr_dispatch_ptr 0
		.amdhsa_user_sgpr_queue_ptr 0
		.amdhsa_user_sgpr_kernarg_segment_ptr 1
		.amdhsa_user_sgpr_dispatch_id 0
		.amdhsa_user_sgpr_flat_scratch_init 0
		.amdhsa_user_sgpr_kernarg_preload_length 0
		.amdhsa_user_sgpr_kernarg_preload_offset 0
		.amdhsa_user_sgpr_private_segment_size 0
		.amdhsa_uses_dynamic_stack 0
		.amdhsa_system_sgpr_private_segment_wavefront_offset 0
		.amdhsa_system_sgpr_workgroup_id_x 1
		.amdhsa_system_sgpr_workgroup_id_y 0
		.amdhsa_system_sgpr_workgroup_id_z 0
		.amdhsa_system_sgpr_workgroup_info 0
		.amdhsa_system_vgpr_workitem_id 0
		.amdhsa_next_free_vgpr 1
		.amdhsa_next_free_sgpr 0
		.amdhsa_accum_offset 4
		.amdhsa_reserve_vcc 0
		.amdhsa_reserve_flat_scratch 0
		.amdhsa_float_round_mode_32 0
		.amdhsa_float_round_mode_16_64 0
		.amdhsa_float_denorm_mode_32 3
		.amdhsa_float_denorm_mode_16_64 3
		.amdhsa_dx10_clamp 1
		.amdhsa_ieee_mode 1
		.amdhsa_fp16_overflow 0
		.amdhsa_tg_split 0
		.amdhsa_exception_fp_ieee_invalid_op 0
		.amdhsa_exception_fp_denorm_src 0
		.amdhsa_exception_fp_ieee_div_zero 0
		.amdhsa_exception_fp_ieee_overflow 0
		.amdhsa_exception_fp_ieee_underflow 0
		.amdhsa_exception_fp_ieee_inexact 0
		.amdhsa_exception_int_div_zero 0
	.end_amdhsa_kernel
	.section	.text._ZN7rocprim17ROCPRIM_400000_NS6detail17trampoline_kernelINS0_14default_configENS1_25partition_config_selectorILNS1_17partition_subalgoE2EiNS0_10empty_typeEbEEZZNS1_14partition_implILS5_2ELb0ES3_jN6thrust23THRUST_200600_302600_NS6detail15normal_iteratorINSA_7pointerIiNSA_11hip_rocprim3tagENSA_11use_defaultESG_EEEEPS6_NSA_18transform_iteratorINSA_8identityIiEENSC_INSA_10device_ptrIiEEEESG_SG_EENS0_5tupleIJPiSJ_EEENSR_IJSJ_SJ_EEES6_PlJS6_EEE10hipError_tPvRmT3_T4_T5_T6_T7_T9_mT8_P12ihipStream_tbDpT10_ENKUlT_T0_E_clISt17integral_constantIbLb1EES1E_IbLb0EEEEDaS1A_S1B_EUlS1A_E_NS1_11comp_targetILNS1_3genE9ELNS1_11target_archE1100ELNS1_3gpuE3ELNS1_3repE0EEENS1_30default_config_static_selectorELNS0_4arch9wavefront6targetE1EEEvT1_,"axG",@progbits,_ZN7rocprim17ROCPRIM_400000_NS6detail17trampoline_kernelINS0_14default_configENS1_25partition_config_selectorILNS1_17partition_subalgoE2EiNS0_10empty_typeEbEEZZNS1_14partition_implILS5_2ELb0ES3_jN6thrust23THRUST_200600_302600_NS6detail15normal_iteratorINSA_7pointerIiNSA_11hip_rocprim3tagENSA_11use_defaultESG_EEEEPS6_NSA_18transform_iteratorINSA_8identityIiEENSC_INSA_10device_ptrIiEEEESG_SG_EENS0_5tupleIJPiSJ_EEENSR_IJSJ_SJ_EEES6_PlJS6_EEE10hipError_tPvRmT3_T4_T5_T6_T7_T9_mT8_P12ihipStream_tbDpT10_ENKUlT_T0_E_clISt17integral_constantIbLb1EES1E_IbLb0EEEEDaS1A_S1B_EUlS1A_E_NS1_11comp_targetILNS1_3genE9ELNS1_11target_archE1100ELNS1_3gpuE3ELNS1_3repE0EEENS1_30default_config_static_selectorELNS0_4arch9wavefront6targetE1EEEvT1_,comdat
.Lfunc_end535:
	.size	_ZN7rocprim17ROCPRIM_400000_NS6detail17trampoline_kernelINS0_14default_configENS1_25partition_config_selectorILNS1_17partition_subalgoE2EiNS0_10empty_typeEbEEZZNS1_14partition_implILS5_2ELb0ES3_jN6thrust23THRUST_200600_302600_NS6detail15normal_iteratorINSA_7pointerIiNSA_11hip_rocprim3tagENSA_11use_defaultESG_EEEEPS6_NSA_18transform_iteratorINSA_8identityIiEENSC_INSA_10device_ptrIiEEEESG_SG_EENS0_5tupleIJPiSJ_EEENSR_IJSJ_SJ_EEES6_PlJS6_EEE10hipError_tPvRmT3_T4_T5_T6_T7_T9_mT8_P12ihipStream_tbDpT10_ENKUlT_T0_E_clISt17integral_constantIbLb1EES1E_IbLb0EEEEDaS1A_S1B_EUlS1A_E_NS1_11comp_targetILNS1_3genE9ELNS1_11target_archE1100ELNS1_3gpuE3ELNS1_3repE0EEENS1_30default_config_static_selectorELNS0_4arch9wavefront6targetE1EEEvT1_, .Lfunc_end535-_ZN7rocprim17ROCPRIM_400000_NS6detail17trampoline_kernelINS0_14default_configENS1_25partition_config_selectorILNS1_17partition_subalgoE2EiNS0_10empty_typeEbEEZZNS1_14partition_implILS5_2ELb0ES3_jN6thrust23THRUST_200600_302600_NS6detail15normal_iteratorINSA_7pointerIiNSA_11hip_rocprim3tagENSA_11use_defaultESG_EEEEPS6_NSA_18transform_iteratorINSA_8identityIiEENSC_INSA_10device_ptrIiEEEESG_SG_EENS0_5tupleIJPiSJ_EEENSR_IJSJ_SJ_EEES6_PlJS6_EEE10hipError_tPvRmT3_T4_T5_T6_T7_T9_mT8_P12ihipStream_tbDpT10_ENKUlT_T0_E_clISt17integral_constantIbLb1EES1E_IbLb0EEEEDaS1A_S1B_EUlS1A_E_NS1_11comp_targetILNS1_3genE9ELNS1_11target_archE1100ELNS1_3gpuE3ELNS1_3repE0EEENS1_30default_config_static_selectorELNS0_4arch9wavefront6targetE1EEEvT1_
                                        ; -- End function
	.section	.AMDGPU.csdata,"",@progbits
; Kernel info:
; codeLenInByte = 0
; NumSgprs: 4
; NumVgprs: 0
; NumAgprs: 0
; TotalNumVgprs: 0
; ScratchSize: 0
; MemoryBound: 0
; FloatMode: 240
; IeeeMode: 1
; LDSByteSize: 0 bytes/workgroup (compile time only)
; SGPRBlocks: 0
; VGPRBlocks: 0
; NumSGPRsForWavesPerEU: 4
; NumVGPRsForWavesPerEU: 1
; AccumOffset: 4
; Occupancy: 8
; WaveLimiterHint : 0
; COMPUTE_PGM_RSRC2:SCRATCH_EN: 0
; COMPUTE_PGM_RSRC2:USER_SGPR: 6
; COMPUTE_PGM_RSRC2:TRAP_HANDLER: 0
; COMPUTE_PGM_RSRC2:TGID_X_EN: 1
; COMPUTE_PGM_RSRC2:TGID_Y_EN: 0
; COMPUTE_PGM_RSRC2:TGID_Z_EN: 0
; COMPUTE_PGM_RSRC2:TIDIG_COMP_CNT: 0
; COMPUTE_PGM_RSRC3_GFX90A:ACCUM_OFFSET: 0
; COMPUTE_PGM_RSRC3_GFX90A:TG_SPLIT: 0
	.section	.text._ZN7rocprim17ROCPRIM_400000_NS6detail17trampoline_kernelINS0_14default_configENS1_25partition_config_selectorILNS1_17partition_subalgoE2EiNS0_10empty_typeEbEEZZNS1_14partition_implILS5_2ELb0ES3_jN6thrust23THRUST_200600_302600_NS6detail15normal_iteratorINSA_7pointerIiNSA_11hip_rocprim3tagENSA_11use_defaultESG_EEEEPS6_NSA_18transform_iteratorINSA_8identityIiEENSC_INSA_10device_ptrIiEEEESG_SG_EENS0_5tupleIJPiSJ_EEENSR_IJSJ_SJ_EEES6_PlJS6_EEE10hipError_tPvRmT3_T4_T5_T6_T7_T9_mT8_P12ihipStream_tbDpT10_ENKUlT_T0_E_clISt17integral_constantIbLb1EES1E_IbLb0EEEEDaS1A_S1B_EUlS1A_E_NS1_11comp_targetILNS1_3genE8ELNS1_11target_archE1030ELNS1_3gpuE2ELNS1_3repE0EEENS1_30default_config_static_selectorELNS0_4arch9wavefront6targetE1EEEvT1_,"axG",@progbits,_ZN7rocprim17ROCPRIM_400000_NS6detail17trampoline_kernelINS0_14default_configENS1_25partition_config_selectorILNS1_17partition_subalgoE2EiNS0_10empty_typeEbEEZZNS1_14partition_implILS5_2ELb0ES3_jN6thrust23THRUST_200600_302600_NS6detail15normal_iteratorINSA_7pointerIiNSA_11hip_rocprim3tagENSA_11use_defaultESG_EEEEPS6_NSA_18transform_iteratorINSA_8identityIiEENSC_INSA_10device_ptrIiEEEESG_SG_EENS0_5tupleIJPiSJ_EEENSR_IJSJ_SJ_EEES6_PlJS6_EEE10hipError_tPvRmT3_T4_T5_T6_T7_T9_mT8_P12ihipStream_tbDpT10_ENKUlT_T0_E_clISt17integral_constantIbLb1EES1E_IbLb0EEEEDaS1A_S1B_EUlS1A_E_NS1_11comp_targetILNS1_3genE8ELNS1_11target_archE1030ELNS1_3gpuE2ELNS1_3repE0EEENS1_30default_config_static_selectorELNS0_4arch9wavefront6targetE1EEEvT1_,comdat
	.protected	_ZN7rocprim17ROCPRIM_400000_NS6detail17trampoline_kernelINS0_14default_configENS1_25partition_config_selectorILNS1_17partition_subalgoE2EiNS0_10empty_typeEbEEZZNS1_14partition_implILS5_2ELb0ES3_jN6thrust23THRUST_200600_302600_NS6detail15normal_iteratorINSA_7pointerIiNSA_11hip_rocprim3tagENSA_11use_defaultESG_EEEEPS6_NSA_18transform_iteratorINSA_8identityIiEENSC_INSA_10device_ptrIiEEEESG_SG_EENS0_5tupleIJPiSJ_EEENSR_IJSJ_SJ_EEES6_PlJS6_EEE10hipError_tPvRmT3_T4_T5_T6_T7_T9_mT8_P12ihipStream_tbDpT10_ENKUlT_T0_E_clISt17integral_constantIbLb1EES1E_IbLb0EEEEDaS1A_S1B_EUlS1A_E_NS1_11comp_targetILNS1_3genE8ELNS1_11target_archE1030ELNS1_3gpuE2ELNS1_3repE0EEENS1_30default_config_static_selectorELNS0_4arch9wavefront6targetE1EEEvT1_ ; -- Begin function _ZN7rocprim17ROCPRIM_400000_NS6detail17trampoline_kernelINS0_14default_configENS1_25partition_config_selectorILNS1_17partition_subalgoE2EiNS0_10empty_typeEbEEZZNS1_14partition_implILS5_2ELb0ES3_jN6thrust23THRUST_200600_302600_NS6detail15normal_iteratorINSA_7pointerIiNSA_11hip_rocprim3tagENSA_11use_defaultESG_EEEEPS6_NSA_18transform_iteratorINSA_8identityIiEENSC_INSA_10device_ptrIiEEEESG_SG_EENS0_5tupleIJPiSJ_EEENSR_IJSJ_SJ_EEES6_PlJS6_EEE10hipError_tPvRmT3_T4_T5_T6_T7_T9_mT8_P12ihipStream_tbDpT10_ENKUlT_T0_E_clISt17integral_constantIbLb1EES1E_IbLb0EEEEDaS1A_S1B_EUlS1A_E_NS1_11comp_targetILNS1_3genE8ELNS1_11target_archE1030ELNS1_3gpuE2ELNS1_3repE0EEENS1_30default_config_static_selectorELNS0_4arch9wavefront6targetE1EEEvT1_
	.globl	_ZN7rocprim17ROCPRIM_400000_NS6detail17trampoline_kernelINS0_14default_configENS1_25partition_config_selectorILNS1_17partition_subalgoE2EiNS0_10empty_typeEbEEZZNS1_14partition_implILS5_2ELb0ES3_jN6thrust23THRUST_200600_302600_NS6detail15normal_iteratorINSA_7pointerIiNSA_11hip_rocprim3tagENSA_11use_defaultESG_EEEEPS6_NSA_18transform_iteratorINSA_8identityIiEENSC_INSA_10device_ptrIiEEEESG_SG_EENS0_5tupleIJPiSJ_EEENSR_IJSJ_SJ_EEES6_PlJS6_EEE10hipError_tPvRmT3_T4_T5_T6_T7_T9_mT8_P12ihipStream_tbDpT10_ENKUlT_T0_E_clISt17integral_constantIbLb1EES1E_IbLb0EEEEDaS1A_S1B_EUlS1A_E_NS1_11comp_targetILNS1_3genE8ELNS1_11target_archE1030ELNS1_3gpuE2ELNS1_3repE0EEENS1_30default_config_static_selectorELNS0_4arch9wavefront6targetE1EEEvT1_
	.p2align	8
	.type	_ZN7rocprim17ROCPRIM_400000_NS6detail17trampoline_kernelINS0_14default_configENS1_25partition_config_selectorILNS1_17partition_subalgoE2EiNS0_10empty_typeEbEEZZNS1_14partition_implILS5_2ELb0ES3_jN6thrust23THRUST_200600_302600_NS6detail15normal_iteratorINSA_7pointerIiNSA_11hip_rocprim3tagENSA_11use_defaultESG_EEEEPS6_NSA_18transform_iteratorINSA_8identityIiEENSC_INSA_10device_ptrIiEEEESG_SG_EENS0_5tupleIJPiSJ_EEENSR_IJSJ_SJ_EEES6_PlJS6_EEE10hipError_tPvRmT3_T4_T5_T6_T7_T9_mT8_P12ihipStream_tbDpT10_ENKUlT_T0_E_clISt17integral_constantIbLb1EES1E_IbLb0EEEEDaS1A_S1B_EUlS1A_E_NS1_11comp_targetILNS1_3genE8ELNS1_11target_archE1030ELNS1_3gpuE2ELNS1_3repE0EEENS1_30default_config_static_selectorELNS0_4arch9wavefront6targetE1EEEvT1_,@function
_ZN7rocprim17ROCPRIM_400000_NS6detail17trampoline_kernelINS0_14default_configENS1_25partition_config_selectorILNS1_17partition_subalgoE2EiNS0_10empty_typeEbEEZZNS1_14partition_implILS5_2ELb0ES3_jN6thrust23THRUST_200600_302600_NS6detail15normal_iteratorINSA_7pointerIiNSA_11hip_rocprim3tagENSA_11use_defaultESG_EEEEPS6_NSA_18transform_iteratorINSA_8identityIiEENSC_INSA_10device_ptrIiEEEESG_SG_EENS0_5tupleIJPiSJ_EEENSR_IJSJ_SJ_EEES6_PlJS6_EEE10hipError_tPvRmT3_T4_T5_T6_T7_T9_mT8_P12ihipStream_tbDpT10_ENKUlT_T0_E_clISt17integral_constantIbLb1EES1E_IbLb0EEEEDaS1A_S1B_EUlS1A_E_NS1_11comp_targetILNS1_3genE8ELNS1_11target_archE1030ELNS1_3gpuE2ELNS1_3repE0EEENS1_30default_config_static_selectorELNS0_4arch9wavefront6targetE1EEEvT1_: ; @_ZN7rocprim17ROCPRIM_400000_NS6detail17trampoline_kernelINS0_14default_configENS1_25partition_config_selectorILNS1_17partition_subalgoE2EiNS0_10empty_typeEbEEZZNS1_14partition_implILS5_2ELb0ES3_jN6thrust23THRUST_200600_302600_NS6detail15normal_iteratorINSA_7pointerIiNSA_11hip_rocprim3tagENSA_11use_defaultESG_EEEEPS6_NSA_18transform_iteratorINSA_8identityIiEENSC_INSA_10device_ptrIiEEEESG_SG_EENS0_5tupleIJPiSJ_EEENSR_IJSJ_SJ_EEES6_PlJS6_EEE10hipError_tPvRmT3_T4_T5_T6_T7_T9_mT8_P12ihipStream_tbDpT10_ENKUlT_T0_E_clISt17integral_constantIbLb1EES1E_IbLb0EEEEDaS1A_S1B_EUlS1A_E_NS1_11comp_targetILNS1_3genE8ELNS1_11target_archE1030ELNS1_3gpuE2ELNS1_3repE0EEENS1_30default_config_static_selectorELNS0_4arch9wavefront6targetE1EEEvT1_
; %bb.0:
	.section	.rodata,"a",@progbits
	.p2align	6, 0x0
	.amdhsa_kernel _ZN7rocprim17ROCPRIM_400000_NS6detail17trampoline_kernelINS0_14default_configENS1_25partition_config_selectorILNS1_17partition_subalgoE2EiNS0_10empty_typeEbEEZZNS1_14partition_implILS5_2ELb0ES3_jN6thrust23THRUST_200600_302600_NS6detail15normal_iteratorINSA_7pointerIiNSA_11hip_rocprim3tagENSA_11use_defaultESG_EEEEPS6_NSA_18transform_iteratorINSA_8identityIiEENSC_INSA_10device_ptrIiEEEESG_SG_EENS0_5tupleIJPiSJ_EEENSR_IJSJ_SJ_EEES6_PlJS6_EEE10hipError_tPvRmT3_T4_T5_T6_T7_T9_mT8_P12ihipStream_tbDpT10_ENKUlT_T0_E_clISt17integral_constantIbLb1EES1E_IbLb0EEEEDaS1A_S1B_EUlS1A_E_NS1_11comp_targetILNS1_3genE8ELNS1_11target_archE1030ELNS1_3gpuE2ELNS1_3repE0EEENS1_30default_config_static_selectorELNS0_4arch9wavefront6targetE1EEEvT1_
		.amdhsa_group_segment_fixed_size 0
		.amdhsa_private_segment_fixed_size 0
		.amdhsa_kernarg_size 128
		.amdhsa_user_sgpr_count 6
		.amdhsa_user_sgpr_private_segment_buffer 1
		.amdhsa_user_sgpr_dispatch_ptr 0
		.amdhsa_user_sgpr_queue_ptr 0
		.amdhsa_user_sgpr_kernarg_segment_ptr 1
		.amdhsa_user_sgpr_dispatch_id 0
		.amdhsa_user_sgpr_flat_scratch_init 0
		.amdhsa_user_sgpr_kernarg_preload_length 0
		.amdhsa_user_sgpr_kernarg_preload_offset 0
		.amdhsa_user_sgpr_private_segment_size 0
		.amdhsa_uses_dynamic_stack 0
		.amdhsa_system_sgpr_private_segment_wavefront_offset 0
		.amdhsa_system_sgpr_workgroup_id_x 1
		.amdhsa_system_sgpr_workgroup_id_y 0
		.amdhsa_system_sgpr_workgroup_id_z 0
		.amdhsa_system_sgpr_workgroup_info 0
		.amdhsa_system_vgpr_workitem_id 0
		.amdhsa_next_free_vgpr 1
		.amdhsa_next_free_sgpr 0
		.amdhsa_accum_offset 4
		.amdhsa_reserve_vcc 0
		.amdhsa_reserve_flat_scratch 0
		.amdhsa_float_round_mode_32 0
		.amdhsa_float_round_mode_16_64 0
		.amdhsa_float_denorm_mode_32 3
		.amdhsa_float_denorm_mode_16_64 3
		.amdhsa_dx10_clamp 1
		.amdhsa_ieee_mode 1
		.amdhsa_fp16_overflow 0
		.amdhsa_tg_split 0
		.amdhsa_exception_fp_ieee_invalid_op 0
		.amdhsa_exception_fp_denorm_src 0
		.amdhsa_exception_fp_ieee_div_zero 0
		.amdhsa_exception_fp_ieee_overflow 0
		.amdhsa_exception_fp_ieee_underflow 0
		.amdhsa_exception_fp_ieee_inexact 0
		.amdhsa_exception_int_div_zero 0
	.end_amdhsa_kernel
	.section	.text._ZN7rocprim17ROCPRIM_400000_NS6detail17trampoline_kernelINS0_14default_configENS1_25partition_config_selectorILNS1_17partition_subalgoE2EiNS0_10empty_typeEbEEZZNS1_14partition_implILS5_2ELb0ES3_jN6thrust23THRUST_200600_302600_NS6detail15normal_iteratorINSA_7pointerIiNSA_11hip_rocprim3tagENSA_11use_defaultESG_EEEEPS6_NSA_18transform_iteratorINSA_8identityIiEENSC_INSA_10device_ptrIiEEEESG_SG_EENS0_5tupleIJPiSJ_EEENSR_IJSJ_SJ_EEES6_PlJS6_EEE10hipError_tPvRmT3_T4_T5_T6_T7_T9_mT8_P12ihipStream_tbDpT10_ENKUlT_T0_E_clISt17integral_constantIbLb1EES1E_IbLb0EEEEDaS1A_S1B_EUlS1A_E_NS1_11comp_targetILNS1_3genE8ELNS1_11target_archE1030ELNS1_3gpuE2ELNS1_3repE0EEENS1_30default_config_static_selectorELNS0_4arch9wavefront6targetE1EEEvT1_,"axG",@progbits,_ZN7rocprim17ROCPRIM_400000_NS6detail17trampoline_kernelINS0_14default_configENS1_25partition_config_selectorILNS1_17partition_subalgoE2EiNS0_10empty_typeEbEEZZNS1_14partition_implILS5_2ELb0ES3_jN6thrust23THRUST_200600_302600_NS6detail15normal_iteratorINSA_7pointerIiNSA_11hip_rocprim3tagENSA_11use_defaultESG_EEEEPS6_NSA_18transform_iteratorINSA_8identityIiEENSC_INSA_10device_ptrIiEEEESG_SG_EENS0_5tupleIJPiSJ_EEENSR_IJSJ_SJ_EEES6_PlJS6_EEE10hipError_tPvRmT3_T4_T5_T6_T7_T9_mT8_P12ihipStream_tbDpT10_ENKUlT_T0_E_clISt17integral_constantIbLb1EES1E_IbLb0EEEEDaS1A_S1B_EUlS1A_E_NS1_11comp_targetILNS1_3genE8ELNS1_11target_archE1030ELNS1_3gpuE2ELNS1_3repE0EEENS1_30default_config_static_selectorELNS0_4arch9wavefront6targetE1EEEvT1_,comdat
.Lfunc_end536:
	.size	_ZN7rocprim17ROCPRIM_400000_NS6detail17trampoline_kernelINS0_14default_configENS1_25partition_config_selectorILNS1_17partition_subalgoE2EiNS0_10empty_typeEbEEZZNS1_14partition_implILS5_2ELb0ES3_jN6thrust23THRUST_200600_302600_NS6detail15normal_iteratorINSA_7pointerIiNSA_11hip_rocprim3tagENSA_11use_defaultESG_EEEEPS6_NSA_18transform_iteratorINSA_8identityIiEENSC_INSA_10device_ptrIiEEEESG_SG_EENS0_5tupleIJPiSJ_EEENSR_IJSJ_SJ_EEES6_PlJS6_EEE10hipError_tPvRmT3_T4_T5_T6_T7_T9_mT8_P12ihipStream_tbDpT10_ENKUlT_T0_E_clISt17integral_constantIbLb1EES1E_IbLb0EEEEDaS1A_S1B_EUlS1A_E_NS1_11comp_targetILNS1_3genE8ELNS1_11target_archE1030ELNS1_3gpuE2ELNS1_3repE0EEENS1_30default_config_static_selectorELNS0_4arch9wavefront6targetE1EEEvT1_, .Lfunc_end536-_ZN7rocprim17ROCPRIM_400000_NS6detail17trampoline_kernelINS0_14default_configENS1_25partition_config_selectorILNS1_17partition_subalgoE2EiNS0_10empty_typeEbEEZZNS1_14partition_implILS5_2ELb0ES3_jN6thrust23THRUST_200600_302600_NS6detail15normal_iteratorINSA_7pointerIiNSA_11hip_rocprim3tagENSA_11use_defaultESG_EEEEPS6_NSA_18transform_iteratorINSA_8identityIiEENSC_INSA_10device_ptrIiEEEESG_SG_EENS0_5tupleIJPiSJ_EEENSR_IJSJ_SJ_EEES6_PlJS6_EEE10hipError_tPvRmT3_T4_T5_T6_T7_T9_mT8_P12ihipStream_tbDpT10_ENKUlT_T0_E_clISt17integral_constantIbLb1EES1E_IbLb0EEEEDaS1A_S1B_EUlS1A_E_NS1_11comp_targetILNS1_3genE8ELNS1_11target_archE1030ELNS1_3gpuE2ELNS1_3repE0EEENS1_30default_config_static_selectorELNS0_4arch9wavefront6targetE1EEEvT1_
                                        ; -- End function
	.section	.AMDGPU.csdata,"",@progbits
; Kernel info:
; codeLenInByte = 0
; NumSgprs: 4
; NumVgprs: 0
; NumAgprs: 0
; TotalNumVgprs: 0
; ScratchSize: 0
; MemoryBound: 0
; FloatMode: 240
; IeeeMode: 1
; LDSByteSize: 0 bytes/workgroup (compile time only)
; SGPRBlocks: 0
; VGPRBlocks: 0
; NumSGPRsForWavesPerEU: 4
; NumVGPRsForWavesPerEU: 1
; AccumOffset: 4
; Occupancy: 8
; WaveLimiterHint : 0
; COMPUTE_PGM_RSRC2:SCRATCH_EN: 0
; COMPUTE_PGM_RSRC2:USER_SGPR: 6
; COMPUTE_PGM_RSRC2:TRAP_HANDLER: 0
; COMPUTE_PGM_RSRC2:TGID_X_EN: 1
; COMPUTE_PGM_RSRC2:TGID_Y_EN: 0
; COMPUTE_PGM_RSRC2:TGID_Z_EN: 0
; COMPUTE_PGM_RSRC2:TIDIG_COMP_CNT: 0
; COMPUTE_PGM_RSRC3_GFX90A:ACCUM_OFFSET: 0
; COMPUTE_PGM_RSRC3_GFX90A:TG_SPLIT: 0
	.section	.text._ZN7rocprim17ROCPRIM_400000_NS6detail17trampoline_kernelINS0_14default_configENS1_25partition_config_selectorILNS1_17partition_subalgoE2EiNS0_10empty_typeEbEEZZNS1_14partition_implILS5_2ELb0ES3_jN6thrust23THRUST_200600_302600_NS6detail15normal_iteratorINSA_7pointerIiNSA_11hip_rocprim3tagENSA_11use_defaultESG_EEEEPS6_NSA_18transform_iteratorINSA_8identityIiEENSC_INSA_10device_ptrIiEEEESG_SG_EENS0_5tupleIJPiSJ_EEENSR_IJSJ_SJ_EEES6_PlJS6_EEE10hipError_tPvRmT3_T4_T5_T6_T7_T9_mT8_P12ihipStream_tbDpT10_ENKUlT_T0_E_clISt17integral_constantIbLb0EES1E_IbLb1EEEEDaS1A_S1B_EUlS1A_E_NS1_11comp_targetILNS1_3genE0ELNS1_11target_archE4294967295ELNS1_3gpuE0ELNS1_3repE0EEENS1_30default_config_static_selectorELNS0_4arch9wavefront6targetE1EEEvT1_,"axG",@progbits,_ZN7rocprim17ROCPRIM_400000_NS6detail17trampoline_kernelINS0_14default_configENS1_25partition_config_selectorILNS1_17partition_subalgoE2EiNS0_10empty_typeEbEEZZNS1_14partition_implILS5_2ELb0ES3_jN6thrust23THRUST_200600_302600_NS6detail15normal_iteratorINSA_7pointerIiNSA_11hip_rocprim3tagENSA_11use_defaultESG_EEEEPS6_NSA_18transform_iteratorINSA_8identityIiEENSC_INSA_10device_ptrIiEEEESG_SG_EENS0_5tupleIJPiSJ_EEENSR_IJSJ_SJ_EEES6_PlJS6_EEE10hipError_tPvRmT3_T4_T5_T6_T7_T9_mT8_P12ihipStream_tbDpT10_ENKUlT_T0_E_clISt17integral_constantIbLb0EES1E_IbLb1EEEEDaS1A_S1B_EUlS1A_E_NS1_11comp_targetILNS1_3genE0ELNS1_11target_archE4294967295ELNS1_3gpuE0ELNS1_3repE0EEENS1_30default_config_static_selectorELNS0_4arch9wavefront6targetE1EEEvT1_,comdat
	.protected	_ZN7rocprim17ROCPRIM_400000_NS6detail17trampoline_kernelINS0_14default_configENS1_25partition_config_selectorILNS1_17partition_subalgoE2EiNS0_10empty_typeEbEEZZNS1_14partition_implILS5_2ELb0ES3_jN6thrust23THRUST_200600_302600_NS6detail15normal_iteratorINSA_7pointerIiNSA_11hip_rocprim3tagENSA_11use_defaultESG_EEEEPS6_NSA_18transform_iteratorINSA_8identityIiEENSC_INSA_10device_ptrIiEEEESG_SG_EENS0_5tupleIJPiSJ_EEENSR_IJSJ_SJ_EEES6_PlJS6_EEE10hipError_tPvRmT3_T4_T5_T6_T7_T9_mT8_P12ihipStream_tbDpT10_ENKUlT_T0_E_clISt17integral_constantIbLb0EES1E_IbLb1EEEEDaS1A_S1B_EUlS1A_E_NS1_11comp_targetILNS1_3genE0ELNS1_11target_archE4294967295ELNS1_3gpuE0ELNS1_3repE0EEENS1_30default_config_static_selectorELNS0_4arch9wavefront6targetE1EEEvT1_ ; -- Begin function _ZN7rocprim17ROCPRIM_400000_NS6detail17trampoline_kernelINS0_14default_configENS1_25partition_config_selectorILNS1_17partition_subalgoE2EiNS0_10empty_typeEbEEZZNS1_14partition_implILS5_2ELb0ES3_jN6thrust23THRUST_200600_302600_NS6detail15normal_iteratorINSA_7pointerIiNSA_11hip_rocprim3tagENSA_11use_defaultESG_EEEEPS6_NSA_18transform_iteratorINSA_8identityIiEENSC_INSA_10device_ptrIiEEEESG_SG_EENS0_5tupleIJPiSJ_EEENSR_IJSJ_SJ_EEES6_PlJS6_EEE10hipError_tPvRmT3_T4_T5_T6_T7_T9_mT8_P12ihipStream_tbDpT10_ENKUlT_T0_E_clISt17integral_constantIbLb0EES1E_IbLb1EEEEDaS1A_S1B_EUlS1A_E_NS1_11comp_targetILNS1_3genE0ELNS1_11target_archE4294967295ELNS1_3gpuE0ELNS1_3repE0EEENS1_30default_config_static_selectorELNS0_4arch9wavefront6targetE1EEEvT1_
	.globl	_ZN7rocprim17ROCPRIM_400000_NS6detail17trampoline_kernelINS0_14default_configENS1_25partition_config_selectorILNS1_17partition_subalgoE2EiNS0_10empty_typeEbEEZZNS1_14partition_implILS5_2ELb0ES3_jN6thrust23THRUST_200600_302600_NS6detail15normal_iteratorINSA_7pointerIiNSA_11hip_rocprim3tagENSA_11use_defaultESG_EEEEPS6_NSA_18transform_iteratorINSA_8identityIiEENSC_INSA_10device_ptrIiEEEESG_SG_EENS0_5tupleIJPiSJ_EEENSR_IJSJ_SJ_EEES6_PlJS6_EEE10hipError_tPvRmT3_T4_T5_T6_T7_T9_mT8_P12ihipStream_tbDpT10_ENKUlT_T0_E_clISt17integral_constantIbLb0EES1E_IbLb1EEEEDaS1A_S1B_EUlS1A_E_NS1_11comp_targetILNS1_3genE0ELNS1_11target_archE4294967295ELNS1_3gpuE0ELNS1_3repE0EEENS1_30default_config_static_selectorELNS0_4arch9wavefront6targetE1EEEvT1_
	.p2align	8
	.type	_ZN7rocprim17ROCPRIM_400000_NS6detail17trampoline_kernelINS0_14default_configENS1_25partition_config_selectorILNS1_17partition_subalgoE2EiNS0_10empty_typeEbEEZZNS1_14partition_implILS5_2ELb0ES3_jN6thrust23THRUST_200600_302600_NS6detail15normal_iteratorINSA_7pointerIiNSA_11hip_rocprim3tagENSA_11use_defaultESG_EEEEPS6_NSA_18transform_iteratorINSA_8identityIiEENSC_INSA_10device_ptrIiEEEESG_SG_EENS0_5tupleIJPiSJ_EEENSR_IJSJ_SJ_EEES6_PlJS6_EEE10hipError_tPvRmT3_T4_T5_T6_T7_T9_mT8_P12ihipStream_tbDpT10_ENKUlT_T0_E_clISt17integral_constantIbLb0EES1E_IbLb1EEEEDaS1A_S1B_EUlS1A_E_NS1_11comp_targetILNS1_3genE0ELNS1_11target_archE4294967295ELNS1_3gpuE0ELNS1_3repE0EEENS1_30default_config_static_selectorELNS0_4arch9wavefront6targetE1EEEvT1_,@function
_ZN7rocprim17ROCPRIM_400000_NS6detail17trampoline_kernelINS0_14default_configENS1_25partition_config_selectorILNS1_17partition_subalgoE2EiNS0_10empty_typeEbEEZZNS1_14partition_implILS5_2ELb0ES3_jN6thrust23THRUST_200600_302600_NS6detail15normal_iteratorINSA_7pointerIiNSA_11hip_rocprim3tagENSA_11use_defaultESG_EEEEPS6_NSA_18transform_iteratorINSA_8identityIiEENSC_INSA_10device_ptrIiEEEESG_SG_EENS0_5tupleIJPiSJ_EEENSR_IJSJ_SJ_EEES6_PlJS6_EEE10hipError_tPvRmT3_T4_T5_T6_T7_T9_mT8_P12ihipStream_tbDpT10_ENKUlT_T0_E_clISt17integral_constantIbLb0EES1E_IbLb1EEEEDaS1A_S1B_EUlS1A_E_NS1_11comp_targetILNS1_3genE0ELNS1_11target_archE4294967295ELNS1_3gpuE0ELNS1_3repE0EEENS1_30default_config_static_selectorELNS0_4arch9wavefront6targetE1EEEvT1_: ; @_ZN7rocprim17ROCPRIM_400000_NS6detail17trampoline_kernelINS0_14default_configENS1_25partition_config_selectorILNS1_17partition_subalgoE2EiNS0_10empty_typeEbEEZZNS1_14partition_implILS5_2ELb0ES3_jN6thrust23THRUST_200600_302600_NS6detail15normal_iteratorINSA_7pointerIiNSA_11hip_rocprim3tagENSA_11use_defaultESG_EEEEPS6_NSA_18transform_iteratorINSA_8identityIiEENSC_INSA_10device_ptrIiEEEESG_SG_EENS0_5tupleIJPiSJ_EEENSR_IJSJ_SJ_EEES6_PlJS6_EEE10hipError_tPvRmT3_T4_T5_T6_T7_T9_mT8_P12ihipStream_tbDpT10_ENKUlT_T0_E_clISt17integral_constantIbLb0EES1E_IbLb1EEEEDaS1A_S1B_EUlS1A_E_NS1_11comp_targetILNS1_3genE0ELNS1_11target_archE4294967295ELNS1_3gpuE0ELNS1_3repE0EEENS1_30default_config_static_selectorELNS0_4arch9wavefront6targetE1EEEvT1_
; %bb.0:
	.section	.rodata,"a",@progbits
	.p2align	6, 0x0
	.amdhsa_kernel _ZN7rocprim17ROCPRIM_400000_NS6detail17trampoline_kernelINS0_14default_configENS1_25partition_config_selectorILNS1_17partition_subalgoE2EiNS0_10empty_typeEbEEZZNS1_14partition_implILS5_2ELb0ES3_jN6thrust23THRUST_200600_302600_NS6detail15normal_iteratorINSA_7pointerIiNSA_11hip_rocprim3tagENSA_11use_defaultESG_EEEEPS6_NSA_18transform_iteratorINSA_8identityIiEENSC_INSA_10device_ptrIiEEEESG_SG_EENS0_5tupleIJPiSJ_EEENSR_IJSJ_SJ_EEES6_PlJS6_EEE10hipError_tPvRmT3_T4_T5_T6_T7_T9_mT8_P12ihipStream_tbDpT10_ENKUlT_T0_E_clISt17integral_constantIbLb0EES1E_IbLb1EEEEDaS1A_S1B_EUlS1A_E_NS1_11comp_targetILNS1_3genE0ELNS1_11target_archE4294967295ELNS1_3gpuE0ELNS1_3repE0EEENS1_30default_config_static_selectorELNS0_4arch9wavefront6targetE1EEEvT1_
		.amdhsa_group_segment_fixed_size 0
		.amdhsa_private_segment_fixed_size 0
		.amdhsa_kernarg_size 144
		.amdhsa_user_sgpr_count 6
		.amdhsa_user_sgpr_private_segment_buffer 1
		.amdhsa_user_sgpr_dispatch_ptr 0
		.amdhsa_user_sgpr_queue_ptr 0
		.amdhsa_user_sgpr_kernarg_segment_ptr 1
		.amdhsa_user_sgpr_dispatch_id 0
		.amdhsa_user_sgpr_flat_scratch_init 0
		.amdhsa_user_sgpr_kernarg_preload_length 0
		.amdhsa_user_sgpr_kernarg_preload_offset 0
		.amdhsa_user_sgpr_private_segment_size 0
		.amdhsa_uses_dynamic_stack 0
		.amdhsa_system_sgpr_private_segment_wavefront_offset 0
		.amdhsa_system_sgpr_workgroup_id_x 1
		.amdhsa_system_sgpr_workgroup_id_y 0
		.amdhsa_system_sgpr_workgroup_id_z 0
		.amdhsa_system_sgpr_workgroup_info 0
		.amdhsa_system_vgpr_workitem_id 0
		.amdhsa_next_free_vgpr 1
		.amdhsa_next_free_sgpr 0
		.amdhsa_accum_offset 4
		.amdhsa_reserve_vcc 0
		.amdhsa_reserve_flat_scratch 0
		.amdhsa_float_round_mode_32 0
		.amdhsa_float_round_mode_16_64 0
		.amdhsa_float_denorm_mode_32 3
		.amdhsa_float_denorm_mode_16_64 3
		.amdhsa_dx10_clamp 1
		.amdhsa_ieee_mode 1
		.amdhsa_fp16_overflow 0
		.amdhsa_tg_split 0
		.amdhsa_exception_fp_ieee_invalid_op 0
		.amdhsa_exception_fp_denorm_src 0
		.amdhsa_exception_fp_ieee_div_zero 0
		.amdhsa_exception_fp_ieee_overflow 0
		.amdhsa_exception_fp_ieee_underflow 0
		.amdhsa_exception_fp_ieee_inexact 0
		.amdhsa_exception_int_div_zero 0
	.end_amdhsa_kernel
	.section	.text._ZN7rocprim17ROCPRIM_400000_NS6detail17trampoline_kernelINS0_14default_configENS1_25partition_config_selectorILNS1_17partition_subalgoE2EiNS0_10empty_typeEbEEZZNS1_14partition_implILS5_2ELb0ES3_jN6thrust23THRUST_200600_302600_NS6detail15normal_iteratorINSA_7pointerIiNSA_11hip_rocprim3tagENSA_11use_defaultESG_EEEEPS6_NSA_18transform_iteratorINSA_8identityIiEENSC_INSA_10device_ptrIiEEEESG_SG_EENS0_5tupleIJPiSJ_EEENSR_IJSJ_SJ_EEES6_PlJS6_EEE10hipError_tPvRmT3_T4_T5_T6_T7_T9_mT8_P12ihipStream_tbDpT10_ENKUlT_T0_E_clISt17integral_constantIbLb0EES1E_IbLb1EEEEDaS1A_S1B_EUlS1A_E_NS1_11comp_targetILNS1_3genE0ELNS1_11target_archE4294967295ELNS1_3gpuE0ELNS1_3repE0EEENS1_30default_config_static_selectorELNS0_4arch9wavefront6targetE1EEEvT1_,"axG",@progbits,_ZN7rocprim17ROCPRIM_400000_NS6detail17trampoline_kernelINS0_14default_configENS1_25partition_config_selectorILNS1_17partition_subalgoE2EiNS0_10empty_typeEbEEZZNS1_14partition_implILS5_2ELb0ES3_jN6thrust23THRUST_200600_302600_NS6detail15normal_iteratorINSA_7pointerIiNSA_11hip_rocprim3tagENSA_11use_defaultESG_EEEEPS6_NSA_18transform_iteratorINSA_8identityIiEENSC_INSA_10device_ptrIiEEEESG_SG_EENS0_5tupleIJPiSJ_EEENSR_IJSJ_SJ_EEES6_PlJS6_EEE10hipError_tPvRmT3_T4_T5_T6_T7_T9_mT8_P12ihipStream_tbDpT10_ENKUlT_T0_E_clISt17integral_constantIbLb0EES1E_IbLb1EEEEDaS1A_S1B_EUlS1A_E_NS1_11comp_targetILNS1_3genE0ELNS1_11target_archE4294967295ELNS1_3gpuE0ELNS1_3repE0EEENS1_30default_config_static_selectorELNS0_4arch9wavefront6targetE1EEEvT1_,comdat
.Lfunc_end537:
	.size	_ZN7rocprim17ROCPRIM_400000_NS6detail17trampoline_kernelINS0_14default_configENS1_25partition_config_selectorILNS1_17partition_subalgoE2EiNS0_10empty_typeEbEEZZNS1_14partition_implILS5_2ELb0ES3_jN6thrust23THRUST_200600_302600_NS6detail15normal_iteratorINSA_7pointerIiNSA_11hip_rocprim3tagENSA_11use_defaultESG_EEEEPS6_NSA_18transform_iteratorINSA_8identityIiEENSC_INSA_10device_ptrIiEEEESG_SG_EENS0_5tupleIJPiSJ_EEENSR_IJSJ_SJ_EEES6_PlJS6_EEE10hipError_tPvRmT3_T4_T5_T6_T7_T9_mT8_P12ihipStream_tbDpT10_ENKUlT_T0_E_clISt17integral_constantIbLb0EES1E_IbLb1EEEEDaS1A_S1B_EUlS1A_E_NS1_11comp_targetILNS1_3genE0ELNS1_11target_archE4294967295ELNS1_3gpuE0ELNS1_3repE0EEENS1_30default_config_static_selectorELNS0_4arch9wavefront6targetE1EEEvT1_, .Lfunc_end537-_ZN7rocprim17ROCPRIM_400000_NS6detail17trampoline_kernelINS0_14default_configENS1_25partition_config_selectorILNS1_17partition_subalgoE2EiNS0_10empty_typeEbEEZZNS1_14partition_implILS5_2ELb0ES3_jN6thrust23THRUST_200600_302600_NS6detail15normal_iteratorINSA_7pointerIiNSA_11hip_rocprim3tagENSA_11use_defaultESG_EEEEPS6_NSA_18transform_iteratorINSA_8identityIiEENSC_INSA_10device_ptrIiEEEESG_SG_EENS0_5tupleIJPiSJ_EEENSR_IJSJ_SJ_EEES6_PlJS6_EEE10hipError_tPvRmT3_T4_T5_T6_T7_T9_mT8_P12ihipStream_tbDpT10_ENKUlT_T0_E_clISt17integral_constantIbLb0EES1E_IbLb1EEEEDaS1A_S1B_EUlS1A_E_NS1_11comp_targetILNS1_3genE0ELNS1_11target_archE4294967295ELNS1_3gpuE0ELNS1_3repE0EEENS1_30default_config_static_selectorELNS0_4arch9wavefront6targetE1EEEvT1_
                                        ; -- End function
	.section	.AMDGPU.csdata,"",@progbits
; Kernel info:
; codeLenInByte = 0
; NumSgprs: 4
; NumVgprs: 0
; NumAgprs: 0
; TotalNumVgprs: 0
; ScratchSize: 0
; MemoryBound: 0
; FloatMode: 240
; IeeeMode: 1
; LDSByteSize: 0 bytes/workgroup (compile time only)
; SGPRBlocks: 0
; VGPRBlocks: 0
; NumSGPRsForWavesPerEU: 4
; NumVGPRsForWavesPerEU: 1
; AccumOffset: 4
; Occupancy: 8
; WaveLimiterHint : 0
; COMPUTE_PGM_RSRC2:SCRATCH_EN: 0
; COMPUTE_PGM_RSRC2:USER_SGPR: 6
; COMPUTE_PGM_RSRC2:TRAP_HANDLER: 0
; COMPUTE_PGM_RSRC2:TGID_X_EN: 1
; COMPUTE_PGM_RSRC2:TGID_Y_EN: 0
; COMPUTE_PGM_RSRC2:TGID_Z_EN: 0
; COMPUTE_PGM_RSRC2:TIDIG_COMP_CNT: 0
; COMPUTE_PGM_RSRC3_GFX90A:ACCUM_OFFSET: 0
; COMPUTE_PGM_RSRC3_GFX90A:TG_SPLIT: 0
	.section	.text._ZN7rocprim17ROCPRIM_400000_NS6detail17trampoline_kernelINS0_14default_configENS1_25partition_config_selectorILNS1_17partition_subalgoE2EiNS0_10empty_typeEbEEZZNS1_14partition_implILS5_2ELb0ES3_jN6thrust23THRUST_200600_302600_NS6detail15normal_iteratorINSA_7pointerIiNSA_11hip_rocprim3tagENSA_11use_defaultESG_EEEEPS6_NSA_18transform_iteratorINSA_8identityIiEENSC_INSA_10device_ptrIiEEEESG_SG_EENS0_5tupleIJPiSJ_EEENSR_IJSJ_SJ_EEES6_PlJS6_EEE10hipError_tPvRmT3_T4_T5_T6_T7_T9_mT8_P12ihipStream_tbDpT10_ENKUlT_T0_E_clISt17integral_constantIbLb0EES1E_IbLb1EEEEDaS1A_S1B_EUlS1A_E_NS1_11comp_targetILNS1_3genE5ELNS1_11target_archE942ELNS1_3gpuE9ELNS1_3repE0EEENS1_30default_config_static_selectorELNS0_4arch9wavefront6targetE1EEEvT1_,"axG",@progbits,_ZN7rocprim17ROCPRIM_400000_NS6detail17trampoline_kernelINS0_14default_configENS1_25partition_config_selectorILNS1_17partition_subalgoE2EiNS0_10empty_typeEbEEZZNS1_14partition_implILS5_2ELb0ES3_jN6thrust23THRUST_200600_302600_NS6detail15normal_iteratorINSA_7pointerIiNSA_11hip_rocprim3tagENSA_11use_defaultESG_EEEEPS6_NSA_18transform_iteratorINSA_8identityIiEENSC_INSA_10device_ptrIiEEEESG_SG_EENS0_5tupleIJPiSJ_EEENSR_IJSJ_SJ_EEES6_PlJS6_EEE10hipError_tPvRmT3_T4_T5_T6_T7_T9_mT8_P12ihipStream_tbDpT10_ENKUlT_T0_E_clISt17integral_constantIbLb0EES1E_IbLb1EEEEDaS1A_S1B_EUlS1A_E_NS1_11comp_targetILNS1_3genE5ELNS1_11target_archE942ELNS1_3gpuE9ELNS1_3repE0EEENS1_30default_config_static_selectorELNS0_4arch9wavefront6targetE1EEEvT1_,comdat
	.protected	_ZN7rocprim17ROCPRIM_400000_NS6detail17trampoline_kernelINS0_14default_configENS1_25partition_config_selectorILNS1_17partition_subalgoE2EiNS0_10empty_typeEbEEZZNS1_14partition_implILS5_2ELb0ES3_jN6thrust23THRUST_200600_302600_NS6detail15normal_iteratorINSA_7pointerIiNSA_11hip_rocprim3tagENSA_11use_defaultESG_EEEEPS6_NSA_18transform_iteratorINSA_8identityIiEENSC_INSA_10device_ptrIiEEEESG_SG_EENS0_5tupleIJPiSJ_EEENSR_IJSJ_SJ_EEES6_PlJS6_EEE10hipError_tPvRmT3_T4_T5_T6_T7_T9_mT8_P12ihipStream_tbDpT10_ENKUlT_T0_E_clISt17integral_constantIbLb0EES1E_IbLb1EEEEDaS1A_S1B_EUlS1A_E_NS1_11comp_targetILNS1_3genE5ELNS1_11target_archE942ELNS1_3gpuE9ELNS1_3repE0EEENS1_30default_config_static_selectorELNS0_4arch9wavefront6targetE1EEEvT1_ ; -- Begin function _ZN7rocprim17ROCPRIM_400000_NS6detail17trampoline_kernelINS0_14default_configENS1_25partition_config_selectorILNS1_17partition_subalgoE2EiNS0_10empty_typeEbEEZZNS1_14partition_implILS5_2ELb0ES3_jN6thrust23THRUST_200600_302600_NS6detail15normal_iteratorINSA_7pointerIiNSA_11hip_rocprim3tagENSA_11use_defaultESG_EEEEPS6_NSA_18transform_iteratorINSA_8identityIiEENSC_INSA_10device_ptrIiEEEESG_SG_EENS0_5tupleIJPiSJ_EEENSR_IJSJ_SJ_EEES6_PlJS6_EEE10hipError_tPvRmT3_T4_T5_T6_T7_T9_mT8_P12ihipStream_tbDpT10_ENKUlT_T0_E_clISt17integral_constantIbLb0EES1E_IbLb1EEEEDaS1A_S1B_EUlS1A_E_NS1_11comp_targetILNS1_3genE5ELNS1_11target_archE942ELNS1_3gpuE9ELNS1_3repE0EEENS1_30default_config_static_selectorELNS0_4arch9wavefront6targetE1EEEvT1_
	.globl	_ZN7rocprim17ROCPRIM_400000_NS6detail17trampoline_kernelINS0_14default_configENS1_25partition_config_selectorILNS1_17partition_subalgoE2EiNS0_10empty_typeEbEEZZNS1_14partition_implILS5_2ELb0ES3_jN6thrust23THRUST_200600_302600_NS6detail15normal_iteratorINSA_7pointerIiNSA_11hip_rocprim3tagENSA_11use_defaultESG_EEEEPS6_NSA_18transform_iteratorINSA_8identityIiEENSC_INSA_10device_ptrIiEEEESG_SG_EENS0_5tupleIJPiSJ_EEENSR_IJSJ_SJ_EEES6_PlJS6_EEE10hipError_tPvRmT3_T4_T5_T6_T7_T9_mT8_P12ihipStream_tbDpT10_ENKUlT_T0_E_clISt17integral_constantIbLb0EES1E_IbLb1EEEEDaS1A_S1B_EUlS1A_E_NS1_11comp_targetILNS1_3genE5ELNS1_11target_archE942ELNS1_3gpuE9ELNS1_3repE0EEENS1_30default_config_static_selectorELNS0_4arch9wavefront6targetE1EEEvT1_
	.p2align	8
	.type	_ZN7rocprim17ROCPRIM_400000_NS6detail17trampoline_kernelINS0_14default_configENS1_25partition_config_selectorILNS1_17partition_subalgoE2EiNS0_10empty_typeEbEEZZNS1_14partition_implILS5_2ELb0ES3_jN6thrust23THRUST_200600_302600_NS6detail15normal_iteratorINSA_7pointerIiNSA_11hip_rocprim3tagENSA_11use_defaultESG_EEEEPS6_NSA_18transform_iteratorINSA_8identityIiEENSC_INSA_10device_ptrIiEEEESG_SG_EENS0_5tupleIJPiSJ_EEENSR_IJSJ_SJ_EEES6_PlJS6_EEE10hipError_tPvRmT3_T4_T5_T6_T7_T9_mT8_P12ihipStream_tbDpT10_ENKUlT_T0_E_clISt17integral_constantIbLb0EES1E_IbLb1EEEEDaS1A_S1B_EUlS1A_E_NS1_11comp_targetILNS1_3genE5ELNS1_11target_archE942ELNS1_3gpuE9ELNS1_3repE0EEENS1_30default_config_static_selectorELNS0_4arch9wavefront6targetE1EEEvT1_,@function
_ZN7rocprim17ROCPRIM_400000_NS6detail17trampoline_kernelINS0_14default_configENS1_25partition_config_selectorILNS1_17partition_subalgoE2EiNS0_10empty_typeEbEEZZNS1_14partition_implILS5_2ELb0ES3_jN6thrust23THRUST_200600_302600_NS6detail15normal_iteratorINSA_7pointerIiNSA_11hip_rocprim3tagENSA_11use_defaultESG_EEEEPS6_NSA_18transform_iteratorINSA_8identityIiEENSC_INSA_10device_ptrIiEEEESG_SG_EENS0_5tupleIJPiSJ_EEENSR_IJSJ_SJ_EEES6_PlJS6_EEE10hipError_tPvRmT3_T4_T5_T6_T7_T9_mT8_P12ihipStream_tbDpT10_ENKUlT_T0_E_clISt17integral_constantIbLb0EES1E_IbLb1EEEEDaS1A_S1B_EUlS1A_E_NS1_11comp_targetILNS1_3genE5ELNS1_11target_archE942ELNS1_3gpuE9ELNS1_3repE0EEENS1_30default_config_static_selectorELNS0_4arch9wavefront6targetE1EEEvT1_: ; @_ZN7rocprim17ROCPRIM_400000_NS6detail17trampoline_kernelINS0_14default_configENS1_25partition_config_selectorILNS1_17partition_subalgoE2EiNS0_10empty_typeEbEEZZNS1_14partition_implILS5_2ELb0ES3_jN6thrust23THRUST_200600_302600_NS6detail15normal_iteratorINSA_7pointerIiNSA_11hip_rocprim3tagENSA_11use_defaultESG_EEEEPS6_NSA_18transform_iteratorINSA_8identityIiEENSC_INSA_10device_ptrIiEEEESG_SG_EENS0_5tupleIJPiSJ_EEENSR_IJSJ_SJ_EEES6_PlJS6_EEE10hipError_tPvRmT3_T4_T5_T6_T7_T9_mT8_P12ihipStream_tbDpT10_ENKUlT_T0_E_clISt17integral_constantIbLb0EES1E_IbLb1EEEEDaS1A_S1B_EUlS1A_E_NS1_11comp_targetILNS1_3genE5ELNS1_11target_archE942ELNS1_3gpuE9ELNS1_3repE0EEENS1_30default_config_static_selectorELNS0_4arch9wavefront6targetE1EEEvT1_
; %bb.0:
	.section	.rodata,"a",@progbits
	.p2align	6, 0x0
	.amdhsa_kernel _ZN7rocprim17ROCPRIM_400000_NS6detail17trampoline_kernelINS0_14default_configENS1_25partition_config_selectorILNS1_17partition_subalgoE2EiNS0_10empty_typeEbEEZZNS1_14partition_implILS5_2ELb0ES3_jN6thrust23THRUST_200600_302600_NS6detail15normal_iteratorINSA_7pointerIiNSA_11hip_rocprim3tagENSA_11use_defaultESG_EEEEPS6_NSA_18transform_iteratorINSA_8identityIiEENSC_INSA_10device_ptrIiEEEESG_SG_EENS0_5tupleIJPiSJ_EEENSR_IJSJ_SJ_EEES6_PlJS6_EEE10hipError_tPvRmT3_T4_T5_T6_T7_T9_mT8_P12ihipStream_tbDpT10_ENKUlT_T0_E_clISt17integral_constantIbLb0EES1E_IbLb1EEEEDaS1A_S1B_EUlS1A_E_NS1_11comp_targetILNS1_3genE5ELNS1_11target_archE942ELNS1_3gpuE9ELNS1_3repE0EEENS1_30default_config_static_selectorELNS0_4arch9wavefront6targetE1EEEvT1_
		.amdhsa_group_segment_fixed_size 0
		.amdhsa_private_segment_fixed_size 0
		.amdhsa_kernarg_size 144
		.amdhsa_user_sgpr_count 6
		.amdhsa_user_sgpr_private_segment_buffer 1
		.amdhsa_user_sgpr_dispatch_ptr 0
		.amdhsa_user_sgpr_queue_ptr 0
		.amdhsa_user_sgpr_kernarg_segment_ptr 1
		.amdhsa_user_sgpr_dispatch_id 0
		.amdhsa_user_sgpr_flat_scratch_init 0
		.amdhsa_user_sgpr_kernarg_preload_length 0
		.amdhsa_user_sgpr_kernarg_preload_offset 0
		.amdhsa_user_sgpr_private_segment_size 0
		.amdhsa_uses_dynamic_stack 0
		.amdhsa_system_sgpr_private_segment_wavefront_offset 0
		.amdhsa_system_sgpr_workgroup_id_x 1
		.amdhsa_system_sgpr_workgroup_id_y 0
		.amdhsa_system_sgpr_workgroup_id_z 0
		.amdhsa_system_sgpr_workgroup_info 0
		.amdhsa_system_vgpr_workitem_id 0
		.amdhsa_next_free_vgpr 1
		.amdhsa_next_free_sgpr 0
		.amdhsa_accum_offset 4
		.amdhsa_reserve_vcc 0
		.amdhsa_reserve_flat_scratch 0
		.amdhsa_float_round_mode_32 0
		.amdhsa_float_round_mode_16_64 0
		.amdhsa_float_denorm_mode_32 3
		.amdhsa_float_denorm_mode_16_64 3
		.amdhsa_dx10_clamp 1
		.amdhsa_ieee_mode 1
		.amdhsa_fp16_overflow 0
		.amdhsa_tg_split 0
		.amdhsa_exception_fp_ieee_invalid_op 0
		.amdhsa_exception_fp_denorm_src 0
		.amdhsa_exception_fp_ieee_div_zero 0
		.amdhsa_exception_fp_ieee_overflow 0
		.amdhsa_exception_fp_ieee_underflow 0
		.amdhsa_exception_fp_ieee_inexact 0
		.amdhsa_exception_int_div_zero 0
	.end_amdhsa_kernel
	.section	.text._ZN7rocprim17ROCPRIM_400000_NS6detail17trampoline_kernelINS0_14default_configENS1_25partition_config_selectorILNS1_17partition_subalgoE2EiNS0_10empty_typeEbEEZZNS1_14partition_implILS5_2ELb0ES3_jN6thrust23THRUST_200600_302600_NS6detail15normal_iteratorINSA_7pointerIiNSA_11hip_rocprim3tagENSA_11use_defaultESG_EEEEPS6_NSA_18transform_iteratorINSA_8identityIiEENSC_INSA_10device_ptrIiEEEESG_SG_EENS0_5tupleIJPiSJ_EEENSR_IJSJ_SJ_EEES6_PlJS6_EEE10hipError_tPvRmT3_T4_T5_T6_T7_T9_mT8_P12ihipStream_tbDpT10_ENKUlT_T0_E_clISt17integral_constantIbLb0EES1E_IbLb1EEEEDaS1A_S1B_EUlS1A_E_NS1_11comp_targetILNS1_3genE5ELNS1_11target_archE942ELNS1_3gpuE9ELNS1_3repE0EEENS1_30default_config_static_selectorELNS0_4arch9wavefront6targetE1EEEvT1_,"axG",@progbits,_ZN7rocprim17ROCPRIM_400000_NS6detail17trampoline_kernelINS0_14default_configENS1_25partition_config_selectorILNS1_17partition_subalgoE2EiNS0_10empty_typeEbEEZZNS1_14partition_implILS5_2ELb0ES3_jN6thrust23THRUST_200600_302600_NS6detail15normal_iteratorINSA_7pointerIiNSA_11hip_rocprim3tagENSA_11use_defaultESG_EEEEPS6_NSA_18transform_iteratorINSA_8identityIiEENSC_INSA_10device_ptrIiEEEESG_SG_EENS0_5tupleIJPiSJ_EEENSR_IJSJ_SJ_EEES6_PlJS6_EEE10hipError_tPvRmT3_T4_T5_T6_T7_T9_mT8_P12ihipStream_tbDpT10_ENKUlT_T0_E_clISt17integral_constantIbLb0EES1E_IbLb1EEEEDaS1A_S1B_EUlS1A_E_NS1_11comp_targetILNS1_3genE5ELNS1_11target_archE942ELNS1_3gpuE9ELNS1_3repE0EEENS1_30default_config_static_selectorELNS0_4arch9wavefront6targetE1EEEvT1_,comdat
.Lfunc_end538:
	.size	_ZN7rocprim17ROCPRIM_400000_NS6detail17trampoline_kernelINS0_14default_configENS1_25partition_config_selectorILNS1_17partition_subalgoE2EiNS0_10empty_typeEbEEZZNS1_14partition_implILS5_2ELb0ES3_jN6thrust23THRUST_200600_302600_NS6detail15normal_iteratorINSA_7pointerIiNSA_11hip_rocprim3tagENSA_11use_defaultESG_EEEEPS6_NSA_18transform_iteratorINSA_8identityIiEENSC_INSA_10device_ptrIiEEEESG_SG_EENS0_5tupleIJPiSJ_EEENSR_IJSJ_SJ_EEES6_PlJS6_EEE10hipError_tPvRmT3_T4_T5_T6_T7_T9_mT8_P12ihipStream_tbDpT10_ENKUlT_T0_E_clISt17integral_constantIbLb0EES1E_IbLb1EEEEDaS1A_S1B_EUlS1A_E_NS1_11comp_targetILNS1_3genE5ELNS1_11target_archE942ELNS1_3gpuE9ELNS1_3repE0EEENS1_30default_config_static_selectorELNS0_4arch9wavefront6targetE1EEEvT1_, .Lfunc_end538-_ZN7rocprim17ROCPRIM_400000_NS6detail17trampoline_kernelINS0_14default_configENS1_25partition_config_selectorILNS1_17partition_subalgoE2EiNS0_10empty_typeEbEEZZNS1_14partition_implILS5_2ELb0ES3_jN6thrust23THRUST_200600_302600_NS6detail15normal_iteratorINSA_7pointerIiNSA_11hip_rocprim3tagENSA_11use_defaultESG_EEEEPS6_NSA_18transform_iteratorINSA_8identityIiEENSC_INSA_10device_ptrIiEEEESG_SG_EENS0_5tupleIJPiSJ_EEENSR_IJSJ_SJ_EEES6_PlJS6_EEE10hipError_tPvRmT3_T4_T5_T6_T7_T9_mT8_P12ihipStream_tbDpT10_ENKUlT_T0_E_clISt17integral_constantIbLb0EES1E_IbLb1EEEEDaS1A_S1B_EUlS1A_E_NS1_11comp_targetILNS1_3genE5ELNS1_11target_archE942ELNS1_3gpuE9ELNS1_3repE0EEENS1_30default_config_static_selectorELNS0_4arch9wavefront6targetE1EEEvT1_
                                        ; -- End function
	.section	.AMDGPU.csdata,"",@progbits
; Kernel info:
; codeLenInByte = 0
; NumSgprs: 4
; NumVgprs: 0
; NumAgprs: 0
; TotalNumVgprs: 0
; ScratchSize: 0
; MemoryBound: 0
; FloatMode: 240
; IeeeMode: 1
; LDSByteSize: 0 bytes/workgroup (compile time only)
; SGPRBlocks: 0
; VGPRBlocks: 0
; NumSGPRsForWavesPerEU: 4
; NumVGPRsForWavesPerEU: 1
; AccumOffset: 4
; Occupancy: 8
; WaveLimiterHint : 0
; COMPUTE_PGM_RSRC2:SCRATCH_EN: 0
; COMPUTE_PGM_RSRC2:USER_SGPR: 6
; COMPUTE_PGM_RSRC2:TRAP_HANDLER: 0
; COMPUTE_PGM_RSRC2:TGID_X_EN: 1
; COMPUTE_PGM_RSRC2:TGID_Y_EN: 0
; COMPUTE_PGM_RSRC2:TGID_Z_EN: 0
; COMPUTE_PGM_RSRC2:TIDIG_COMP_CNT: 0
; COMPUTE_PGM_RSRC3_GFX90A:ACCUM_OFFSET: 0
; COMPUTE_PGM_RSRC3_GFX90A:TG_SPLIT: 0
	.section	.text._ZN7rocprim17ROCPRIM_400000_NS6detail17trampoline_kernelINS0_14default_configENS1_25partition_config_selectorILNS1_17partition_subalgoE2EiNS0_10empty_typeEbEEZZNS1_14partition_implILS5_2ELb0ES3_jN6thrust23THRUST_200600_302600_NS6detail15normal_iteratorINSA_7pointerIiNSA_11hip_rocprim3tagENSA_11use_defaultESG_EEEEPS6_NSA_18transform_iteratorINSA_8identityIiEENSC_INSA_10device_ptrIiEEEESG_SG_EENS0_5tupleIJPiSJ_EEENSR_IJSJ_SJ_EEES6_PlJS6_EEE10hipError_tPvRmT3_T4_T5_T6_T7_T9_mT8_P12ihipStream_tbDpT10_ENKUlT_T0_E_clISt17integral_constantIbLb0EES1E_IbLb1EEEEDaS1A_S1B_EUlS1A_E_NS1_11comp_targetILNS1_3genE4ELNS1_11target_archE910ELNS1_3gpuE8ELNS1_3repE0EEENS1_30default_config_static_selectorELNS0_4arch9wavefront6targetE1EEEvT1_,"axG",@progbits,_ZN7rocprim17ROCPRIM_400000_NS6detail17trampoline_kernelINS0_14default_configENS1_25partition_config_selectorILNS1_17partition_subalgoE2EiNS0_10empty_typeEbEEZZNS1_14partition_implILS5_2ELb0ES3_jN6thrust23THRUST_200600_302600_NS6detail15normal_iteratorINSA_7pointerIiNSA_11hip_rocprim3tagENSA_11use_defaultESG_EEEEPS6_NSA_18transform_iteratorINSA_8identityIiEENSC_INSA_10device_ptrIiEEEESG_SG_EENS0_5tupleIJPiSJ_EEENSR_IJSJ_SJ_EEES6_PlJS6_EEE10hipError_tPvRmT3_T4_T5_T6_T7_T9_mT8_P12ihipStream_tbDpT10_ENKUlT_T0_E_clISt17integral_constantIbLb0EES1E_IbLb1EEEEDaS1A_S1B_EUlS1A_E_NS1_11comp_targetILNS1_3genE4ELNS1_11target_archE910ELNS1_3gpuE8ELNS1_3repE0EEENS1_30default_config_static_selectorELNS0_4arch9wavefront6targetE1EEEvT1_,comdat
	.protected	_ZN7rocprim17ROCPRIM_400000_NS6detail17trampoline_kernelINS0_14default_configENS1_25partition_config_selectorILNS1_17partition_subalgoE2EiNS0_10empty_typeEbEEZZNS1_14partition_implILS5_2ELb0ES3_jN6thrust23THRUST_200600_302600_NS6detail15normal_iteratorINSA_7pointerIiNSA_11hip_rocprim3tagENSA_11use_defaultESG_EEEEPS6_NSA_18transform_iteratorINSA_8identityIiEENSC_INSA_10device_ptrIiEEEESG_SG_EENS0_5tupleIJPiSJ_EEENSR_IJSJ_SJ_EEES6_PlJS6_EEE10hipError_tPvRmT3_T4_T5_T6_T7_T9_mT8_P12ihipStream_tbDpT10_ENKUlT_T0_E_clISt17integral_constantIbLb0EES1E_IbLb1EEEEDaS1A_S1B_EUlS1A_E_NS1_11comp_targetILNS1_3genE4ELNS1_11target_archE910ELNS1_3gpuE8ELNS1_3repE0EEENS1_30default_config_static_selectorELNS0_4arch9wavefront6targetE1EEEvT1_ ; -- Begin function _ZN7rocprim17ROCPRIM_400000_NS6detail17trampoline_kernelINS0_14default_configENS1_25partition_config_selectorILNS1_17partition_subalgoE2EiNS0_10empty_typeEbEEZZNS1_14partition_implILS5_2ELb0ES3_jN6thrust23THRUST_200600_302600_NS6detail15normal_iteratorINSA_7pointerIiNSA_11hip_rocprim3tagENSA_11use_defaultESG_EEEEPS6_NSA_18transform_iteratorINSA_8identityIiEENSC_INSA_10device_ptrIiEEEESG_SG_EENS0_5tupleIJPiSJ_EEENSR_IJSJ_SJ_EEES6_PlJS6_EEE10hipError_tPvRmT3_T4_T5_T6_T7_T9_mT8_P12ihipStream_tbDpT10_ENKUlT_T0_E_clISt17integral_constantIbLb0EES1E_IbLb1EEEEDaS1A_S1B_EUlS1A_E_NS1_11comp_targetILNS1_3genE4ELNS1_11target_archE910ELNS1_3gpuE8ELNS1_3repE0EEENS1_30default_config_static_selectorELNS0_4arch9wavefront6targetE1EEEvT1_
	.globl	_ZN7rocprim17ROCPRIM_400000_NS6detail17trampoline_kernelINS0_14default_configENS1_25partition_config_selectorILNS1_17partition_subalgoE2EiNS0_10empty_typeEbEEZZNS1_14partition_implILS5_2ELb0ES3_jN6thrust23THRUST_200600_302600_NS6detail15normal_iteratorINSA_7pointerIiNSA_11hip_rocprim3tagENSA_11use_defaultESG_EEEEPS6_NSA_18transform_iteratorINSA_8identityIiEENSC_INSA_10device_ptrIiEEEESG_SG_EENS0_5tupleIJPiSJ_EEENSR_IJSJ_SJ_EEES6_PlJS6_EEE10hipError_tPvRmT3_T4_T5_T6_T7_T9_mT8_P12ihipStream_tbDpT10_ENKUlT_T0_E_clISt17integral_constantIbLb0EES1E_IbLb1EEEEDaS1A_S1B_EUlS1A_E_NS1_11comp_targetILNS1_3genE4ELNS1_11target_archE910ELNS1_3gpuE8ELNS1_3repE0EEENS1_30default_config_static_selectorELNS0_4arch9wavefront6targetE1EEEvT1_
	.p2align	8
	.type	_ZN7rocprim17ROCPRIM_400000_NS6detail17trampoline_kernelINS0_14default_configENS1_25partition_config_selectorILNS1_17partition_subalgoE2EiNS0_10empty_typeEbEEZZNS1_14partition_implILS5_2ELb0ES3_jN6thrust23THRUST_200600_302600_NS6detail15normal_iteratorINSA_7pointerIiNSA_11hip_rocprim3tagENSA_11use_defaultESG_EEEEPS6_NSA_18transform_iteratorINSA_8identityIiEENSC_INSA_10device_ptrIiEEEESG_SG_EENS0_5tupleIJPiSJ_EEENSR_IJSJ_SJ_EEES6_PlJS6_EEE10hipError_tPvRmT3_T4_T5_T6_T7_T9_mT8_P12ihipStream_tbDpT10_ENKUlT_T0_E_clISt17integral_constantIbLb0EES1E_IbLb1EEEEDaS1A_S1B_EUlS1A_E_NS1_11comp_targetILNS1_3genE4ELNS1_11target_archE910ELNS1_3gpuE8ELNS1_3repE0EEENS1_30default_config_static_selectorELNS0_4arch9wavefront6targetE1EEEvT1_,@function
_ZN7rocprim17ROCPRIM_400000_NS6detail17trampoline_kernelINS0_14default_configENS1_25partition_config_selectorILNS1_17partition_subalgoE2EiNS0_10empty_typeEbEEZZNS1_14partition_implILS5_2ELb0ES3_jN6thrust23THRUST_200600_302600_NS6detail15normal_iteratorINSA_7pointerIiNSA_11hip_rocprim3tagENSA_11use_defaultESG_EEEEPS6_NSA_18transform_iteratorINSA_8identityIiEENSC_INSA_10device_ptrIiEEEESG_SG_EENS0_5tupleIJPiSJ_EEENSR_IJSJ_SJ_EEES6_PlJS6_EEE10hipError_tPvRmT3_T4_T5_T6_T7_T9_mT8_P12ihipStream_tbDpT10_ENKUlT_T0_E_clISt17integral_constantIbLb0EES1E_IbLb1EEEEDaS1A_S1B_EUlS1A_E_NS1_11comp_targetILNS1_3genE4ELNS1_11target_archE910ELNS1_3gpuE8ELNS1_3repE0EEENS1_30default_config_static_selectorELNS0_4arch9wavefront6targetE1EEEvT1_: ; @_ZN7rocprim17ROCPRIM_400000_NS6detail17trampoline_kernelINS0_14default_configENS1_25partition_config_selectorILNS1_17partition_subalgoE2EiNS0_10empty_typeEbEEZZNS1_14partition_implILS5_2ELb0ES3_jN6thrust23THRUST_200600_302600_NS6detail15normal_iteratorINSA_7pointerIiNSA_11hip_rocprim3tagENSA_11use_defaultESG_EEEEPS6_NSA_18transform_iteratorINSA_8identityIiEENSC_INSA_10device_ptrIiEEEESG_SG_EENS0_5tupleIJPiSJ_EEENSR_IJSJ_SJ_EEES6_PlJS6_EEE10hipError_tPvRmT3_T4_T5_T6_T7_T9_mT8_P12ihipStream_tbDpT10_ENKUlT_T0_E_clISt17integral_constantIbLb0EES1E_IbLb1EEEEDaS1A_S1B_EUlS1A_E_NS1_11comp_targetILNS1_3genE4ELNS1_11target_archE910ELNS1_3gpuE8ELNS1_3repE0EEENS1_30default_config_static_selectorELNS0_4arch9wavefront6targetE1EEEvT1_
; %bb.0:
	s_load_dwordx2 s[6:7], s[4:5], 0x20
	s_load_dwordx2 s[24:25], s[4:5], 0x30
	;; [unrolled: 1-line block ×3, first 2 shown]
	s_load_dwordx4 s[20:23], s[4:5], 0x50
	s_load_dwordx2 s[34:35], s[4:5], 0x70
	v_cmp_eq_u32_e64 s[0:1], 0, v0
	s_and_saveexec_b64 s[2:3], s[0:1]
	s_cbranch_execz .LBB539_4
; %bb.1:
	s_mov_b64 s[10:11], exec
	v_mbcnt_lo_u32_b32 v1, s10, 0
	v_mbcnt_hi_u32_b32 v1, s11, v1
	v_cmp_eq_u32_e32 vcc, 0, v1
                                        ; implicit-def: $vgpr2
	s_and_saveexec_b64 s[8:9], vcc
	s_cbranch_execz .LBB539_3
; %bb.2:
	s_load_dwordx2 s[12:13], s[4:5], 0x80
	s_bcnt1_i32_b64 s10, s[10:11]
	v_mov_b32_e32 v2, 0
	v_mov_b32_e32 v3, s10
	s_waitcnt lgkmcnt(0)
	global_atomic_add v2, v2, v3, s[12:13] glc
.LBB539_3:
	s_or_b64 exec, exec, s[8:9]
	s_waitcnt vmcnt(0)
	v_readfirstlane_b32 s8, v2
	v_add_u32_e32 v1, s8, v1
	v_mov_b32_e32 v2, 0
	ds_write_b32 v2, v1
.LBB539_4:
	s_or_b64 exec, exec, s[2:3]
	v_mov_b32_e32 v1, 0
	s_load_dwordx4 s[16:19], s[4:5], 0x8
	s_load_dword s2, s[4:5], 0x78
	s_waitcnt lgkmcnt(0)
	s_barrier
	ds_read_b32 v2, v1
	s_waitcnt lgkmcnt(0)
	s_barrier
	global_load_dwordx2 v[12:13], v1, s[22:23]
	s_lshl_b64 s[4:5], s[18:19], 2
	s_add_u32 s10, s16, s4
	s_addc_u32 s11, s17, s5
	s_add_i32 s8, s2, -1
	s_mulk_i32 s2, 0xa00
	s_add_i32 s3, s2, s18
	s_sub_i32 s33, s26, s3
	s_addk_i32 s33, 0xa00
	s_add_u32 s2, s18, s2
	v_readfirstlane_b32 s42, v2
	s_addc_u32 s3, s19, 0
	s_cmp_eq_u32 s42, s8
	v_pk_mov_b32 v[2:3], s[26:27], s[26:27] op_sel:[0,1]
	s_cselect_b64 s[22:23], -1, 0
	s_cmp_lg_u32 s42, s8
	s_mul_i32 s28, s42, 0xa00
	s_mov_b32 s29, 0
	v_cmp_lt_u64_e32 vcc, s[2:3], v[2:3]
	s_cselect_b64 s[2:3], -1, 0
	s_or_b64 s[30:31], vcc, s[2:3]
	s_lshl_b64 s[8:9], s[28:29], 2
	s_add_u32 s12, s10, s8
	s_addc_u32 s13, s11, s9
	s_mov_b64 s[2:3], -1
	s_and_b64 vcc, exec, s[30:31]
	v_lshlrev_b32_e32 v1, 2, v0
	s_cbranch_vccz .LBB539_6
; %bb.5:
	v_mov_b32_e32 v3, s13
	v_add_co_u32_e32 v2, vcc, s12, v1
	v_addc_co_u32_e32 v3, vcc, 0, v3, vcc
	v_add_co_u32_e32 v4, vcc, 0x1000, v2
	v_addc_co_u32_e32 v5, vcc, 0, v3, vcc
	flat_load_dword v6, v[2:3]
	flat_load_dword v7, v[2:3] offset:1024
	flat_load_dword v8, v[2:3] offset:2048
	;; [unrolled: 1-line block ×3, first 2 shown]
	flat_load_dword v10, v[4:5]
	flat_load_dword v11, v[4:5] offset:1024
	flat_load_dword v14, v[4:5] offset:2048
	;; [unrolled: 1-line block ×3, first 2 shown]
	v_add_co_u32_e32 v2, vcc, 0x2000, v2
	v_addc_co_u32_e32 v3, vcc, 0, v3, vcc
	flat_load_dword v4, v[2:3]
	flat_load_dword v5, v[2:3] offset:1024
	s_mov_b64 s[2:3], 0
	s_waitcnt vmcnt(0) lgkmcnt(0)
	ds_write2st64_b32 v1, v6, v7 offset1:4
	ds_write2st64_b32 v1, v8, v9 offset0:8 offset1:12
	ds_write2st64_b32 v1, v10, v11 offset0:16 offset1:20
	;; [unrolled: 1-line block ×4, first 2 shown]
	s_waitcnt lgkmcnt(0)
	s_barrier
.LBB539_6:
	s_andn2_b64 vcc, exec, s[2:3]
	v_cmp_gt_u32_e64 s[2:3], s33, v0
	s_cbranch_vccnz .LBB539_28
; %bb.7:
                                        ; implicit-def: $vgpr2_vgpr3_vgpr4_vgpr5_vgpr6_vgpr7_vgpr8_vgpr9_vgpr10_vgpr11
	s_and_saveexec_b64 s[10:11], s[2:3]
	s_cbranch_execz .LBB539_9
; %bb.8:
	v_mov_b32_e32 v3, s13
	v_add_co_u32_e32 v2, vcc, s12, v1
	v_addc_co_u32_e32 v3, vcc, 0, v3, vcc
	flat_load_dword v2, v[2:3]
.LBB539_9:
	s_or_b64 exec, exec, s[10:11]
	v_or_b32_e32 v14, 0x100, v0
	v_cmp_gt_u32_e32 vcc, s33, v14
	s_and_saveexec_b64 s[2:3], vcc
	s_cbranch_execz .LBB539_11
; %bb.10:
	v_mov_b32_e32 v3, s13
	v_add_co_u32_e32 v14, vcc, s12, v1
	v_addc_co_u32_e32 v15, vcc, 0, v3, vcc
	flat_load_dword v3, v[14:15] offset:1024
.LBB539_11:
	s_or_b64 exec, exec, s[2:3]
	v_or_b32_e32 v14, 0x200, v0
	v_cmp_gt_u32_e32 vcc, s33, v14
	s_and_saveexec_b64 s[2:3], vcc
	s_cbranch_execz .LBB539_13
; %bb.12:
	v_mov_b32_e32 v4, s13
	v_add_co_u32_e32 v14, vcc, s12, v1
	v_addc_co_u32_e32 v15, vcc, 0, v4, vcc
	flat_load_dword v4, v[14:15] offset:2048
.LBB539_13:
	;; [unrolled: 11-line block ×3, first 2 shown]
	s_or_b64 exec, exec, s[2:3]
	v_or_b32_e32 v14, 0x400, v0
	v_cmp_gt_u32_e32 vcc, s33, v14
	s_and_saveexec_b64 s[2:3], vcc
	s_cbranch_execz .LBB539_17
; %bb.16:
	v_lshlrev_b32_e32 v6, 2, v14
	v_mov_b32_e32 v15, s13
	v_add_co_u32_e32 v14, vcc, s12, v6
	v_addc_co_u32_e32 v15, vcc, 0, v15, vcc
	flat_load_dword v6, v[14:15]
.LBB539_17:
	s_or_b64 exec, exec, s[2:3]
	v_or_b32_e32 v14, 0x500, v0
	v_cmp_gt_u32_e32 vcc, s33, v14
	s_and_saveexec_b64 s[2:3], vcc
	s_cbranch_execz .LBB539_19
; %bb.18:
	v_lshlrev_b32_e32 v7, 2, v14
	v_mov_b32_e32 v15, s13
	v_add_co_u32_e32 v14, vcc, s12, v7
	v_addc_co_u32_e32 v15, vcc, 0, v15, vcc
	flat_load_dword v7, v[14:15]
.LBB539_19:
	;; [unrolled: 12-line block ×6, first 2 shown]
	s_or_b64 exec, exec, s[2:3]
	s_waitcnt vmcnt(0) lgkmcnt(0)
	ds_write2st64_b32 v1, v2, v3 offset1:4
	ds_write2st64_b32 v1, v4, v5 offset0:8 offset1:12
	ds_write2st64_b32 v1, v6, v7 offset0:16 offset1:20
	;; [unrolled: 1-line block ×4, first 2 shown]
	s_waitcnt lgkmcnt(0)
	s_barrier
.LBB539_28:
	v_mul_u32_u24_e32 v26, 10, v0
	v_lshlrev_b32_e32 v10, 2, v26
	ds_read2_b64 v[6:9], v10 offset1:1
	ds_read2_b64 v[2:5], v10 offset0:2 offset1:3
	ds_read_b64 v[14:15], v10 offset:32
	s_add_u32 s2, s6, s4
	s_addc_u32 s3, s7, s5
	s_add_u32 s2, s2, s8
	s_addc_u32 s3, s3, s9
	s_mov_b64 s[4:5], -1
	s_and_b64 vcc, exec, s[30:31]
	s_waitcnt lgkmcnt(0)
	s_barrier
	s_cbranch_vccz .LBB539_30
; %bb.29:
	v_mov_b32_e32 v11, s3
	v_add_co_u32_e32 v18, vcc, s2, v1
	v_addc_co_u32_e32 v11, vcc, 0, v11, vcc
	s_movk_i32 s4, 0x1000
	v_add_co_u32_e32 v16, vcc, s4, v18
	global_load_dword v20, v1, s[2:3]
	global_load_dword v21, v1, s[2:3] offset:1024
	global_load_dword v22, v1, s[2:3] offset:2048
	;; [unrolled: 1-line block ×3, first 2 shown]
	v_addc_co_u32_e32 v17, vcc, 0, v11, vcc
	global_load_dword v24, v[16:17], off offset:1024
	s_movk_i32 s4, 0x2000
	v_add_co_u32_e32 v18, vcc, s4, v18
	v_addc_co_u32_e32 v19, vcc, 0, v11, vcc
	global_load_dword v11, v[16:17], off offset:2048
	global_load_dword v25, v[18:19], off offset:-4096
	global_load_dword v27, v[18:19], off
	global_load_dword v28, v[18:19], off offset:1024
	global_load_dword v29, v[16:17], off offset:3072
	s_mov_b64 s[4:5], 0
	s_waitcnt vmcnt(9)
	v_cmp_ne_u32_e32 vcc, 0, v20
	v_cndmask_b32_e64 v16, 0, 1, vcc
	s_waitcnt vmcnt(8)
	v_cmp_ne_u32_e32 vcc, 0, v21
	v_cndmask_b32_e64 v17, 0, 1, vcc
	;; [unrolled: 3-line block ×4, first 2 shown]
	s_waitcnt vmcnt(5)
	v_cmp_ne_u32_e32 vcc, 0, v24
	ds_write_b8 v0, v16
	ds_write_b8 v0, v17 offset:256
	ds_write_b8 v0, v18 offset:512
	;; [unrolled: 1-line block ×3, first 2 shown]
	v_cndmask_b32_e64 v16, 0, 1, vcc
	s_waitcnt vmcnt(4)
	v_cmp_ne_u32_e32 vcc, 0, v11
	v_cndmask_b32_e64 v11, 0, 1, vcc
	s_waitcnt vmcnt(3)
	v_cmp_ne_u32_e32 vcc, 0, v25
	;; [unrolled: 3-line block ×3, first 2 shown]
	v_cndmask_b32_e64 v18, 0, 1, vcc
	v_cmp_ne_u32_e32 vcc, 0, v27
	v_cndmask_b32_e64 v19, 0, 1, vcc
	v_cmp_ne_u32_e32 vcc, 0, v28
	v_cndmask_b32_e64 v20, 0, 1, vcc
	ds_write_b8 v0, v16 offset:1280
	ds_write_b8 v0, v11 offset:1536
	;; [unrolled: 1-line block ×6, first 2 shown]
	s_waitcnt lgkmcnt(0)
	s_barrier
.LBB539_30:
	s_andn2_b64 vcc, exec, s[4:5]
	s_cbranch_vccnz .LBB539_52
; %bb.31:
	v_cmp_gt_u32_e32 vcc, s33, v0
	v_mov_b32_e32 v11, 0
	v_mov_b32_e32 v16, 0
	s_and_saveexec_b64 s[4:5], vcc
	s_cbranch_execz .LBB539_33
; %bb.32:
	global_load_dword v16, v1, s[2:3]
	s_waitcnt vmcnt(0)
	v_cmp_ne_u32_e32 vcc, 0, v16
	v_cndmask_b32_e64 v16, 0, 1, vcc
.LBB539_33:
	s_or_b64 exec, exec, s[4:5]
	v_or_b32_e32 v17, 0x100, v0
	v_cmp_gt_u32_e32 vcc, s33, v17
	s_and_saveexec_b64 s[4:5], vcc
	s_cbranch_execz .LBB539_35
; %bb.34:
	global_load_dword v11, v1, s[2:3] offset:1024
	s_waitcnt vmcnt(0)
	v_cmp_ne_u32_e32 vcc, 0, v11
	v_cndmask_b32_e64 v11, 0, 1, vcc
.LBB539_35:
	s_or_b64 exec, exec, s[4:5]
	v_or_b32_e32 v17, 0x200, v0
	v_cmp_gt_u32_e32 vcc, s33, v17
	v_mov_b32_e32 v17, 0
	v_mov_b32_e32 v18, 0
	s_and_saveexec_b64 s[4:5], vcc
	s_cbranch_execz .LBB539_37
; %bb.36:
	global_load_dword v18, v1, s[2:3] offset:2048
	s_waitcnt vmcnt(0)
	v_cmp_ne_u32_e32 vcc, 0, v18
	v_cndmask_b32_e64 v18, 0, 1, vcc
.LBB539_37:
	s_or_b64 exec, exec, s[4:5]
	v_or_b32_e32 v19, 0x300, v0
	v_cmp_gt_u32_e32 vcc, s33, v19
	s_and_saveexec_b64 s[4:5], vcc
	s_cbranch_execz .LBB539_39
; %bb.38:
	global_load_dword v17, v1, s[2:3] offset:3072
	s_waitcnt vmcnt(0)
	v_cmp_ne_u32_e32 vcc, 0, v17
	v_cndmask_b32_e64 v17, 0, 1, vcc
.LBB539_39:
	s_or_b64 exec, exec, s[4:5]
	v_or_b32_e32 v21, 0x400, v0
	v_cmp_gt_u32_e32 vcc, s33, v21
	v_mov_b32_e32 v19, 0
	v_mov_b32_e32 v20, 0
	s_and_saveexec_b64 s[4:5], vcc
	s_cbranch_execz .LBB539_41
; %bb.40:
	v_lshlrev_b32_e32 v20, 2, v21
	global_load_dword v20, v20, s[2:3]
	s_waitcnt vmcnt(0)
	v_cmp_ne_u32_e32 vcc, 0, v20
	v_cndmask_b32_e64 v20, 0, 1, vcc
.LBB539_41:
	s_or_b64 exec, exec, s[4:5]
	v_or_b32_e32 v21, 0x500, v0
	v_cmp_gt_u32_e32 vcc, s33, v21
	s_and_saveexec_b64 s[4:5], vcc
	s_cbranch_execz .LBB539_43
; %bb.42:
	v_lshlrev_b32_e32 v19, 2, v21
	global_load_dword v19, v19, s[2:3]
	s_waitcnt vmcnt(0)
	v_cmp_ne_u32_e32 vcc, 0, v19
	v_cndmask_b32_e64 v19, 0, 1, vcc
.LBB539_43:
	s_or_b64 exec, exec, s[4:5]
	v_or_b32_e32 v23, 0x600, v0
	v_cmp_gt_u32_e32 vcc, s33, v23
	v_mov_b32_e32 v21, 0
	v_mov_b32_e32 v22, 0
	s_and_saveexec_b64 s[4:5], vcc
	s_cbranch_execz .LBB539_45
; %bb.44:
	v_lshlrev_b32_e32 v22, 2, v23
	global_load_dword v22, v22, s[2:3]
	s_waitcnt vmcnt(0)
	v_cmp_ne_u32_e32 vcc, 0, v22
	v_cndmask_b32_e64 v22, 0, 1, vcc
.LBB539_45:
	s_or_b64 exec, exec, s[4:5]
	v_or_b32_e32 v23, 0x700, v0
	v_cmp_gt_u32_e32 vcc, s33, v23
	s_and_saveexec_b64 s[4:5], vcc
	s_cbranch_execz .LBB539_47
; %bb.46:
	v_lshlrev_b32_e32 v21, 2, v23
	global_load_dword v21, v21, s[2:3]
	s_waitcnt vmcnt(0)
	v_cmp_ne_u32_e32 vcc, 0, v21
	v_cndmask_b32_e64 v21, 0, 1, vcc
.LBB539_47:
	;; [unrolled: 26-line block ×3, first 2 shown]
	s_or_b64 exec, exec, s[4:5]
	ds_write_b8 v0, v16
	ds_write_b8 v0, v11 offset:256
	ds_write_b8 v0, v18 offset:512
	;; [unrolled: 1-line block ×9, first 2 shown]
	s_waitcnt lgkmcnt(0)
	s_barrier
.LBB539_52:
	s_movk_i32 s2, 0xffe2
	v_mad_i32_i24 v37, v0, s2, v10
	ds_read_b64 v[16:17], v37
	ds_read_u16 v28, v37 offset:8
	s_cmp_lg_u32 s42, 0
	v_lshrrev_b32_e32 v38, 6, v0
	s_waitcnt lgkmcnt(0)
	v_lshrrev_b32_e32 v30, 24, v16
	v_bfe_u32 v35, v16, 16, 8
	v_add_u32_sdwa v10, v16, v16 dst_sel:DWORD dst_unused:UNUSED_PAD src0_sel:BYTE_1 src1_sel:BYTE_0
	v_and_b32_e32 v32, 0xff, v17
	v_bfe_u32 v33, v17, 8, 8
	v_add3_u32 v10, v10, v35, v30
	v_lshrrev_b32_e32 v29, 24, v17
	v_bfe_u32 v34, v17, 16, 8
	v_add3_u32 v10, v10, v32, v33
	v_lshrrev_b16_e32 v27, 8, v28
	v_and_b32_e32 v31, 0xff, v28
	v_add3_u32 v10, v10, v34, v29
	v_add3_u32 v39, v10, v31, v27
	v_mbcnt_lo_u32_b32 v10, -1, 0
	v_mbcnt_hi_u32_b32 v36, -1, v10
	v_and_b32_e32 v10, 15, v36
	v_cmp_eq_u32_e64 s[14:15], 0, v10
	v_cmp_lt_u32_e64 s[12:13], 1, v10
	v_cmp_lt_u32_e64 s[10:11], 3, v10
	;; [unrolled: 1-line block ×3, first 2 shown]
	v_and_b32_e32 v10, 16, v36
	v_cmp_eq_u32_e64 s[6:7], 0, v10
	v_or_b32_e32 v10, 63, v0
	v_cmp_lt_u32_e64 s[2:3], 31, v36
	v_cmp_eq_u32_e64 s[4:5], v10, v0
	s_barrier
	s_cbranch_scc0 .LBB539_79
; %bb.53:
	v_mov_b32_dpp v10, v39 row_shr:1 row_mask:0xf bank_mask:0xf
	v_cndmask_b32_e64 v10, v10, 0, s[14:15]
	v_add_u32_e32 v10, v10, v39
	s_nop 1
	v_mov_b32_dpp v11, v10 row_shr:2 row_mask:0xf bank_mask:0xf
	v_cndmask_b32_e64 v11, 0, v11, s[12:13]
	v_add_u32_e32 v10, v10, v11
	s_nop 1
	;; [unrolled: 4-line block ×4, first 2 shown]
	v_mov_b32_dpp v11, v10 row_bcast:15 row_mask:0xf bank_mask:0xf
	v_cndmask_b32_e64 v11, v11, 0, s[6:7]
	v_add_u32_e32 v10, v10, v11
	s_nop 1
	v_mov_b32_dpp v11, v10 row_bcast:31 row_mask:0xf bank_mask:0xf
	v_cndmask_b32_e64 v11, 0, v11, s[2:3]
	v_add_u32_e32 v10, v10, v11
	s_and_saveexec_b64 s[16:17], s[4:5]
	s_cbranch_execz .LBB539_55
; %bb.54:
	v_lshlrev_b32_e32 v11, 2, v38
	ds_write_b32 v11, v10
.LBB539_55:
	s_or_b64 exec, exec, s[16:17]
	v_cmp_gt_u32_e32 vcc, 4, v0
	s_waitcnt lgkmcnt(0)
	s_barrier
	s_and_saveexec_b64 s[16:17], vcc
	s_cbranch_execz .LBB539_57
; %bb.56:
	ds_read_b32 v11, v1
	v_and_b32_e32 v18, 3, v36
	v_cmp_ne_u32_e32 vcc, 0, v18
	s_waitcnt lgkmcnt(0)
	v_mov_b32_dpp v19, v11 row_shr:1 row_mask:0xf bank_mask:0xf
	v_cndmask_b32_e32 v19, 0, v19, vcc
	v_add_u32_e32 v11, v19, v11
	v_cmp_lt_u32_e32 vcc, 1, v18
	s_nop 0
	v_mov_b32_dpp v19, v11 row_shr:2 row_mask:0xf bank_mask:0xf
	v_cndmask_b32_e32 v18, 0, v19, vcc
	v_add_u32_e32 v11, v11, v18
	ds_write_b32 v1, v11
.LBB539_57:
	s_or_b64 exec, exec, s[16:17]
	v_cmp_gt_u32_e32 vcc, 64, v0
	v_cmp_lt_u32_e64 s[16:17], 63, v0
	s_waitcnt lgkmcnt(0)
	s_barrier
	s_waitcnt lgkmcnt(0)
                                        ; implicit-def: $vgpr40
	s_and_saveexec_b64 s[36:37], s[16:17]
	s_cbranch_execz .LBB539_59
; %bb.58:
	v_lshl_add_u32 v11, v38, 2, -4
	ds_read_b32 v40, v11
	s_waitcnt lgkmcnt(0)
	v_add_u32_e32 v10, v40, v10
.LBB539_59:
	s_or_b64 exec, exec, s[36:37]
	v_add_u32_e32 v11, -1, v36
	v_and_b32_e32 v18, 64, v36
	v_cmp_lt_i32_e64 s[16:17], v11, v18
	v_cndmask_b32_e64 v11, v11, v36, s[16:17]
	v_lshlrev_b32_e32 v11, 2, v11
	ds_bpermute_b32 v41, v11, v10
	v_cmp_eq_u32_e64 s[16:17], 0, v36
	s_and_saveexec_b64 s[36:37], vcc
	s_cbranch_execz .LBB539_78
; %bb.60:
	v_mov_b32_e32 v23, 0
	ds_read_b32 v10, v23 offset:12
	s_and_saveexec_b64 s[38:39], s[16:17]
	s_cbranch_execz .LBB539_62
; %bb.61:
	s_add_i32 s40, s42, 64
	s_mov_b32 s41, 0
	s_lshl_b64 s[40:41], s[40:41], 3
	s_add_u32 s40, s34, s40
	v_mov_b32_e32 v11, 1
	s_addc_u32 s41, s35, s41
	s_waitcnt lgkmcnt(0)
	global_store_dwordx2 v23, v[10:11], s[40:41]
.LBB539_62:
	s_or_b64 exec, exec, s[38:39]
	v_xad_u32 v18, v36, -1, s42
	v_add_u32_e32 v22, 64, v18
	v_lshlrev_b64 v[20:21], 3, v[22:23]
	v_mov_b32_e32 v11, s35
	v_add_co_u32_e32 v24, vcc, s34, v20
	v_addc_co_u32_e32 v25, vcc, v11, v21, vcc
	global_load_dwordx2 v[20:21], v[24:25], off glc
	s_waitcnt vmcnt(0)
	v_cmp_eq_u16_sdwa s[40:41], v21, v23 src0_sel:BYTE_0 src1_sel:DWORD
	s_and_saveexec_b64 s[38:39], s[40:41]
	s_cbranch_execz .LBB539_66
; %bb.63:
	s_mov_b64 s[40:41], 0
	v_mov_b32_e32 v11, 0
.LBB539_64:                             ; =>This Inner Loop Header: Depth=1
	global_load_dwordx2 v[20:21], v[24:25], off glc
	s_waitcnt vmcnt(0)
	v_cmp_ne_u16_sdwa s[44:45], v21, v11 src0_sel:BYTE_0 src1_sel:DWORD
	s_or_b64 s[40:41], s[44:45], s[40:41]
	s_andn2_b64 exec, exec, s[40:41]
	s_cbranch_execnz .LBB539_64
; %bb.65:
	s_or_b64 exec, exec, s[40:41]
.LBB539_66:
	s_or_b64 exec, exec, s[38:39]
	v_and_b32_e32 v43, 63, v36
	v_mov_b32_e32 v42, 2
	v_cmp_ne_u32_e32 vcc, 63, v43
	v_cmp_eq_u16_sdwa s[38:39], v21, v42 src0_sel:BYTE_0 src1_sel:DWORD
	v_lshlrev_b64 v[22:23], v36, -1
	v_addc_co_u32_e32 v24, vcc, 0, v36, vcc
	v_and_b32_e32 v11, s39, v23
	v_lshlrev_b32_e32 v44, 2, v24
	v_or_b32_e32 v11, 0x80000000, v11
	ds_bpermute_b32 v24, v44, v20
	v_and_b32_e32 v19, s38, v22
	v_ffbl_b32_e32 v11, v11
	v_add_u32_e32 v11, 32, v11
	v_ffbl_b32_e32 v19, v19
	v_min_u32_e32 v11, v19, v11
	v_cmp_lt_u32_e32 vcc, v43, v11
	s_waitcnt lgkmcnt(0)
	v_cndmask_b32_e32 v19, 0, v24, vcc
	v_cmp_gt_u32_e32 vcc, 62, v43
	v_add_u32_e32 v19, v19, v20
	v_cndmask_b32_e64 v20, 0, 1, vcc
	v_lshlrev_b32_e32 v20, 1, v20
	v_add_lshl_u32 v45, v20, v36, 2
	ds_bpermute_b32 v20, v45, v19
	v_add_u32_e32 v46, 2, v43
	v_cmp_le_u32_e32 vcc, v46, v11
	v_add_u32_e32 v48, 4, v43
	v_add_u32_e32 v50, 8, v43
	s_waitcnt lgkmcnt(0)
	v_cndmask_b32_e32 v20, 0, v20, vcc
	v_cmp_gt_u32_e32 vcc, 60, v43
	v_add_u32_e32 v19, v19, v20
	v_cndmask_b32_e64 v20, 0, 1, vcc
	v_lshlrev_b32_e32 v20, 2, v20
	v_add_lshl_u32 v47, v20, v36, 2
	ds_bpermute_b32 v20, v47, v19
	v_cmp_le_u32_e32 vcc, v48, v11
	v_add_u32_e32 v52, 16, v43
	v_add_u32_e32 v54, 32, v43
	s_waitcnt lgkmcnt(0)
	v_cndmask_b32_e32 v20, 0, v20, vcc
	v_cmp_gt_u32_e32 vcc, 56, v43
	v_add_u32_e32 v19, v19, v20
	v_cndmask_b32_e64 v20, 0, 1, vcc
	v_lshlrev_b32_e32 v20, 3, v20
	v_add_lshl_u32 v49, v20, v36, 2
	ds_bpermute_b32 v20, v49, v19
	v_cmp_le_u32_e32 vcc, v50, v11
	s_waitcnt lgkmcnt(0)
	v_cndmask_b32_e32 v20, 0, v20, vcc
	v_cmp_gt_u32_e32 vcc, 48, v43
	v_add_u32_e32 v19, v19, v20
	v_cndmask_b32_e64 v20, 0, 1, vcc
	v_lshlrev_b32_e32 v20, 4, v20
	v_add_lshl_u32 v51, v20, v36, 2
	ds_bpermute_b32 v20, v51, v19
	v_cmp_le_u32_e32 vcc, v52, v11
	;; [unrolled: 9-line block ×3, first 2 shown]
	s_waitcnt lgkmcnt(0)
	v_cndmask_b32_e32 v11, 0, v20, vcc
	v_add_u32_e32 v20, v19, v11
	v_mov_b32_e32 v19, 0
	s_branch .LBB539_68
.LBB539_67:                             ;   in Loop: Header=BB539_68 Depth=1
	s_or_b64 exec, exec, s[38:39]
	v_cmp_eq_u16_sdwa s[38:39], v21, v42 src0_sel:BYTE_0 src1_sel:DWORD
	v_and_b32_e32 v24, s39, v23
	v_or_b32_e32 v24, 0x80000000, v24
	ds_bpermute_b32 v55, v44, v20
	v_and_b32_e32 v25, s38, v22
	v_ffbl_b32_e32 v24, v24
	v_add_u32_e32 v24, 32, v24
	v_ffbl_b32_e32 v25, v25
	v_min_u32_e32 v24, v25, v24
	v_cmp_lt_u32_e32 vcc, v43, v24
	s_waitcnt lgkmcnt(0)
	v_cndmask_b32_e32 v25, 0, v55, vcc
	v_add_u32_e32 v20, v25, v20
	ds_bpermute_b32 v25, v45, v20
	v_cmp_le_u32_e32 vcc, v46, v24
	v_subrev_u32_e32 v18, 64, v18
	s_waitcnt lgkmcnt(0)
	v_cndmask_b32_e32 v25, 0, v25, vcc
	v_add_u32_e32 v20, v20, v25
	ds_bpermute_b32 v25, v47, v20
	v_cmp_le_u32_e32 vcc, v48, v24
	s_waitcnt lgkmcnt(0)
	v_cndmask_b32_e32 v25, 0, v25, vcc
	v_add_u32_e32 v20, v20, v25
	ds_bpermute_b32 v25, v49, v20
	v_cmp_le_u32_e32 vcc, v50, v24
	;; [unrolled: 5-line block ×4, first 2 shown]
	s_waitcnt lgkmcnt(0)
	v_cndmask_b32_e32 v24, 0, v25, vcc
	v_add3_u32 v20, v24, v11, v20
.LBB539_68:                             ; =>This Loop Header: Depth=1
                                        ;     Child Loop BB539_71 Depth 2
	v_cmp_ne_u16_sdwa s[38:39], v21, v42 src0_sel:BYTE_0 src1_sel:DWORD
	v_cndmask_b32_e64 v11, 0, 1, s[38:39]
	;;#ASMSTART
	;;#ASMEND
	v_cmp_ne_u32_e32 vcc, 0, v11
	s_cmp_lg_u64 vcc, exec
	v_mov_b32_e32 v11, v20
	s_cbranch_scc1 .LBB539_73
; %bb.69:                               ;   in Loop: Header=BB539_68 Depth=1
	v_lshlrev_b64 v[20:21], 3, v[18:19]
	v_mov_b32_e32 v25, s35
	v_add_co_u32_e32 v24, vcc, s34, v20
	v_addc_co_u32_e32 v25, vcc, v25, v21, vcc
	global_load_dwordx2 v[20:21], v[24:25], off glc
	s_waitcnt vmcnt(0)
	v_cmp_eq_u16_sdwa s[40:41], v21, v19 src0_sel:BYTE_0 src1_sel:DWORD
	s_and_saveexec_b64 s[38:39], s[40:41]
	s_cbranch_execz .LBB539_67
; %bb.70:                               ;   in Loop: Header=BB539_68 Depth=1
	s_mov_b64 s[40:41], 0
.LBB539_71:                             ;   Parent Loop BB539_68 Depth=1
                                        ; =>  This Inner Loop Header: Depth=2
	global_load_dwordx2 v[20:21], v[24:25], off glc
	s_waitcnt vmcnt(0)
	v_cmp_ne_u16_sdwa s[44:45], v21, v19 src0_sel:BYTE_0 src1_sel:DWORD
	s_or_b64 s[40:41], s[44:45], s[40:41]
	s_andn2_b64 exec, exec, s[40:41]
	s_cbranch_execnz .LBB539_71
; %bb.72:                               ;   in Loop: Header=BB539_68 Depth=1
	s_or_b64 exec, exec, s[40:41]
	s_branch .LBB539_67
.LBB539_73:                             ;   in Loop: Header=BB539_68 Depth=1
                                        ; implicit-def: $vgpr20
                                        ; implicit-def: $vgpr21
	s_cbranch_execz .LBB539_68
; %bb.74:
	s_and_saveexec_b64 s[38:39], s[16:17]
	s_cbranch_execz .LBB539_76
; %bb.75:
	s_add_i32 s40, s42, 64
	s_mov_b32 s41, 0
	s_lshl_b64 s[40:41], s[40:41], 3
	s_add_u32 s40, s34, s40
	v_add_u32_e32 v18, v11, v10
	v_mov_b32_e32 v19, 2
	s_addc_u32 s41, s35, s41
	v_mov_b32_e32 v20, 0
	global_store_dwordx2 v20, v[18:19], s[40:41]
	ds_write_b64 v20, v[10:11] offset:10240
.LBB539_76:
	s_or_b64 exec, exec, s[38:39]
	s_and_b64 exec, exec, s[0:1]
	s_cbranch_execz .LBB539_78
; %bb.77:
	v_mov_b32_e32 v10, 0
	ds_write_b32 v10, v11 offset:12
.LBB539_78:
	s_or_b64 exec, exec, s[36:37]
	v_mov_b32_e32 v10, 0
	s_waitcnt lgkmcnt(0)
	s_barrier
	ds_read_b32 v11, v10 offset:12
	v_cndmask_b32_e64 v18, v41, v40, s[16:17]
	v_cndmask_b32_e64 v18, v18, 0, s[0:1]
	s_waitcnt lgkmcnt(0)
	s_barrier
	v_add_u32_e32 v41, v11, v18
	v_add_u32_sdwa v40, v41, v16 dst_sel:DWORD dst_unused:UNUSED_PAD src0_sel:DWORD src1_sel:BYTE_0
	v_add_u32_sdwa v25, v40, v16 dst_sel:DWORD dst_unused:UNUSED_PAD src0_sel:DWORD src1_sel:BYTE_1
	v_add_u32_e32 v24, v25, v35
	v_add_u32_e32 v23, v24, v30
	;; [unrolled: 1-line block ×3, first 2 shown]
	ds_read_b64 v[10:11], v10 offset:10240
	v_add_u32_e32 v21, v22, v33
	v_add_u32_e32 v20, v21, v34
	;; [unrolled: 1-line block ×4, first 2 shown]
	s_branch .LBB539_89
.LBB539_79:
                                        ; implicit-def: $vgpr11
                                        ; implicit-def: $vgpr18
                                        ; implicit-def: $vgpr19
                                        ; implicit-def: $vgpr20
                                        ; implicit-def: $vgpr21
                                        ; implicit-def: $vgpr22
                                        ; implicit-def: $vgpr23
                                        ; implicit-def: $vgpr24
                                        ; implicit-def: $vgpr25
                                        ; implicit-def: $vgpr40
                                        ; implicit-def: $vgpr41
	s_cbranch_execz .LBB539_89
; %bb.80:
	s_waitcnt lgkmcnt(0)
	v_mov_b32_dpp v10, v39 row_shr:1 row_mask:0xf bank_mask:0xf
	v_cndmask_b32_e64 v10, v10, 0, s[14:15]
	v_add_u32_e32 v10, v10, v39
	s_nop 1
	v_mov_b32_dpp v11, v10 row_shr:2 row_mask:0xf bank_mask:0xf
	v_cndmask_b32_e64 v11, 0, v11, s[12:13]
	v_add_u32_e32 v10, v10, v11
	s_nop 1
	;; [unrolled: 4-line block ×4, first 2 shown]
	v_mov_b32_dpp v11, v10 row_bcast:15 row_mask:0xf bank_mask:0xf
	v_cndmask_b32_e64 v11, v11, 0, s[6:7]
	v_add_u32_e32 v10, v10, v11
	s_nop 1
	v_mov_b32_dpp v11, v10 row_bcast:31 row_mask:0xf bank_mask:0xf
	v_cndmask_b32_e64 v11, 0, v11, s[2:3]
	v_add_u32_e32 v10, v10, v11
	s_and_saveexec_b64 s[2:3], s[4:5]
	s_cbranch_execz .LBB539_82
; %bb.81:
	v_lshlrev_b32_e32 v11, 2, v38
	ds_write_b32 v11, v10
.LBB539_82:
	s_or_b64 exec, exec, s[2:3]
	v_cmp_gt_u32_e32 vcc, 4, v0
	s_waitcnt lgkmcnt(0)
	s_barrier
	s_and_saveexec_b64 s[2:3], vcc
	s_cbranch_execz .LBB539_84
; %bb.83:
	v_mad_i32_i24 v11, v0, -6, v37
	ds_read_b32 v18, v11
	v_and_b32_e32 v19, 3, v36
	v_cmp_ne_u32_e32 vcc, 0, v19
	s_waitcnt lgkmcnt(0)
	v_mov_b32_dpp v20, v18 row_shr:1 row_mask:0xf bank_mask:0xf
	v_cndmask_b32_e32 v20, 0, v20, vcc
	v_add_u32_e32 v18, v20, v18
	v_cmp_lt_u32_e32 vcc, 1, v19
	s_nop 0
	v_mov_b32_dpp v20, v18 row_shr:2 row_mask:0xf bank_mask:0xf
	v_cndmask_b32_e32 v19, 0, v20, vcc
	v_add_u32_e32 v18, v18, v19
	ds_write_b32 v11, v18
.LBB539_84:
	s_or_b64 exec, exec, s[2:3]
	v_cmp_lt_u32_e32 vcc, 63, v0
	v_mov_b32_e32 v11, 0
	v_mov_b32_e32 v18, 0
	s_waitcnt lgkmcnt(0)
	s_barrier
	s_and_saveexec_b64 s[2:3], vcc
	s_cbranch_execz .LBB539_86
; %bb.85:
	v_lshl_add_u32 v18, v38, 2, -4
	ds_read_b32 v18, v18
.LBB539_86:
	s_or_b64 exec, exec, s[2:3]
	v_add_u32_e32 v19, -1, v36
	v_and_b32_e32 v20, 64, v36
	v_cmp_lt_i32_e32 vcc, v19, v20
	v_cndmask_b32_e32 v19, v19, v36, vcc
	s_waitcnt lgkmcnt(0)
	v_add_u32_e32 v10, v18, v10
	v_lshlrev_b32_e32 v19, 2, v19
	ds_bpermute_b32 v19, v19, v10
	ds_read_b32 v10, v11 offset:12
	s_and_saveexec_b64 s[2:3], s[0:1]
	s_cbranch_execz .LBB539_88
; %bb.87:
	v_mov_b32_e32 v20, 0
	v_mov_b32_e32 v11, 2
	s_waitcnt lgkmcnt(0)
	global_store_dwordx2 v20, v[10:11], s[34:35] offset:512
.LBB539_88:
	s_or_b64 exec, exec, s[2:3]
	v_cmp_eq_u32_e32 vcc, 0, v36
	s_waitcnt lgkmcnt(1)
	v_cndmask_b32_e32 v18, v19, v18, vcc
	v_cndmask_b32_e64 v41, v18, 0, s[0:1]
	v_add_u32_sdwa v40, v41, v16 dst_sel:DWORD dst_unused:UNUSED_PAD src0_sel:DWORD src1_sel:BYTE_0
	v_add_u32_sdwa v25, v40, v16 dst_sel:DWORD dst_unused:UNUSED_PAD src0_sel:DWORD src1_sel:BYTE_1
	v_add_u32_e32 v24, v25, v35
	v_add_u32_e32 v23, v24, v30
	v_add_u32_e32 v22, v23, v32
	v_add_u32_e32 v21, v22, v33
	v_add_u32_e32 v20, v21, v34
	v_add_u32_e32 v19, v20, v29
	v_mov_b32_e32 v11, 0
	v_add_u32_e32 v18, v19, v31
	s_waitcnt lgkmcnt(0)
	s_barrier
.LBB539_89:
	s_waitcnt lgkmcnt(0)
	v_add_u32_e32 v26, v10, v26
	v_sub_u32_e32 v33, v41, v11
	v_and_b32_e32 v35, 1, v16
	v_sub_u32_e32 v34, v26, v33
	v_cmp_eq_u32_e32 vcc, 1, v35
	v_cndmask_b32_e32 v33, v34, v33, vcc
	v_lshlrev_b32_e32 v33, 2, v33
	v_lshrrev_b32_e32 v32, 8, v16
	ds_write_b32 v33, v6
	v_sub_u32_e32 v6, v40, v11
	v_sub_u32_e32 v33, v26, v6
	v_and_b32_e32 v32, 1, v32
	v_add_u32_e32 v33, 1, v33
	v_cmp_eq_u32_e32 vcc, 1, v32
	v_cndmask_b32_e32 v6, v33, v6, vcc
	v_lshlrev_b32_e32 v6, 2, v6
	ds_write_b32 v6, v7
	v_sub_u32_e32 v6, v25, v11
	v_mov_b32_e32 v25, 1
	v_sub_u32_e32 v7, v26, v6
	v_and_b32_sdwa v16, v25, v16 dst_sel:DWORD dst_unused:UNUSED_PAD src0_sel:DWORD src1_sel:WORD_1
	v_add_u32_e32 v7, 2, v7
	v_cmp_eq_u32_e32 vcc, 1, v16
	v_cndmask_b32_e32 v6, v7, v6, vcc
	v_lshlrev_b32_e32 v6, 2, v6
	ds_write_b32 v6, v8
	v_sub_u32_e32 v6, v24, v11
	v_sub_u32_e32 v7, v26, v6
	v_and_b32_e32 v8, 1, v30
	v_add_u32_e32 v7, 3, v7
	v_cmp_eq_u32_e32 vcc, 1, v8
	v_cndmask_b32_e32 v6, v7, v6, vcc
	v_lshlrev_b32_e32 v6, 2, v6
	ds_write_b32 v6, v9
	v_sub_u32_e32 v6, v23, v11
	v_sub_u32_e32 v7, v26, v6
	v_and_b32_e32 v8, 1, v17
	v_add_u32_e32 v7, 4, v7
	v_cmp_eq_u32_e32 vcc, 1, v8
	v_cndmask_b32_e32 v6, v7, v6, vcc
	v_lshlrev_b32_e32 v6, 2, v6
	v_lshrrev_b32_e32 v31, 8, v17
	ds_write_b32 v6, v2
	v_sub_u32_e32 v2, v22, v11
	v_sub_u32_e32 v6, v26, v2
	v_and_b32_e32 v7, 1, v31
	v_add_u32_e32 v6, 5, v6
	v_cmp_eq_u32_e32 vcc, 1, v7
	v_cndmask_b32_e32 v2, v6, v2, vcc
	v_lshlrev_b32_e32 v2, 2, v2
	ds_write_b32 v2, v3
	v_sub_u32_e32 v2, v21, v11
	v_sub_u32_e32 v3, v26, v2
	v_and_b32_sdwa v6, v25, v17 dst_sel:DWORD dst_unused:UNUSED_PAD src0_sel:DWORD src1_sel:WORD_1
	v_add_u32_e32 v3, 6, v3
	v_cmp_eq_u32_e32 vcc, 1, v6
	v_cndmask_b32_e32 v2, v3, v2, vcc
	v_lshlrev_b32_e32 v2, 2, v2
	ds_write_b32 v2, v4
	v_sub_u32_e32 v2, v20, v11
	v_sub_u32_e32 v3, v26, v2
	v_and_b32_e32 v4, 1, v29
	v_add_u32_e32 v3, 7, v3
	v_cmp_eq_u32_e32 vcc, 1, v4
	v_cndmask_b32_e32 v2, v3, v2, vcc
	v_lshlrev_b32_e32 v2, 2, v2
	ds_write_b32 v2, v5
	v_sub_u32_e32 v2, v19, v11
	v_sub_u32_e32 v3, v26, v2
	v_and_b32_e32 v4, 1, v28
	;; [unrolled: 8-line block ×3, first 2 shown]
	v_add_u32_e32 v3, 9, v3
	v_cmp_eq_u32_e32 vcc, 1, v4
	v_cndmask_b32_e32 v2, v3, v2, vcc
	s_add_u32 s2, s18, s28
	v_lshlrev_b32_e32 v2, 2, v2
	s_addc_u32 s3, s19, 0
	ds_write_b32 v2, v15
	s_waitcnt lgkmcnt(0)
	s_barrier
	ds_read2st64_b32 v[14:15], v1 offset1:4
	ds_read2st64_b32 v[8:9], v1 offset0:8 offset1:12
	ds_read2st64_b32 v[6:7], v1 offset0:16 offset1:20
	;; [unrolled: 1-line block ×4, first 2 shown]
	s_waitcnt vmcnt(0)
	v_add_co_u32_e32 v1, vcc, v12, v11
	s_sub_u32 s2, s26, s2
	v_addc_co_u32_e32 v11, vcc, 0, v13, vcc
	s_subb_u32 s3, s27, s3
	v_mov_b32_e32 v12, s3
	v_add_co_u32_e32 v13, vcc, s2, v10
	v_addc_co_u32_e32 v12, vcc, 0, v12, vcc
	v_add_co_u32_e64 v17, s[2:3], v13, v1
	v_or_b32_e32 v26, 0x100, v0
	v_or_b32_e32 v25, 0x200, v0
	;; [unrolled: 1-line block ×9, first 2 shown]
	s_andn2_b64 vcc, exec, s[30:31]
	v_addc_co_u32_e64 v18, s[2:3], v12, v11, s[2:3]
	s_cbranch_vccnz .LBB539_134
; %bb.90:
	v_cmp_ge_u32_e32 vcc, v0, v10
                                        ; implicit-def: $vgpr12_vgpr13
	s_and_saveexec_b64 s[2:3], vcc
	s_xor_b64 s[2:3], exec, s[2:3]
; %bb.91:
	v_not_b32_e32 v12, v0
	v_ashrrev_i32_e32 v13, 31, v12
	v_add_co_u32_e32 v12, vcc, v17, v12
	v_addc_co_u32_e32 v13, vcc, v18, v13, vcc
; %bb.92:
	s_andn2_saveexec_b64 s[2:3], s[2:3]
; %bb.93:
	v_add_co_u32_e32 v12, vcc, v1, v0
	v_addc_co_u32_e32 v13, vcc, 0, v11, vcc
; %bb.94:
	s_or_b64 exec, exec, s[2:3]
	v_lshlrev_b64 v[12:13], 2, v[12:13]
	v_mov_b32_e32 v27, s25
	v_add_co_u32_e32 v12, vcc, s24, v12
	v_addc_co_u32_e32 v13, vcc, v27, v13, vcc
	v_cmp_ge_u32_e32 vcc, v26, v10
	s_waitcnt lgkmcnt(4)
	global_store_dword v[12:13], v14, off
                                        ; implicit-def: $vgpr12_vgpr13
	s_and_saveexec_b64 s[2:3], vcc
	s_xor_b64 s[2:3], exec, s[2:3]
; %bb.95:
	v_xor_b32_e32 v12, 0xfffffeff, v0
	v_ashrrev_i32_e32 v13, 31, v12
	v_add_co_u32_e32 v12, vcc, v17, v12
	v_addc_co_u32_e32 v13, vcc, v18, v13, vcc
; %bb.96:
	s_andn2_saveexec_b64 s[2:3], s[2:3]
; %bb.97:
	v_add_co_u32_e32 v12, vcc, v1, v26
	v_addc_co_u32_e32 v13, vcc, 0, v11, vcc
; %bb.98:
	s_or_b64 exec, exec, s[2:3]
	v_lshlrev_b64 v[12:13], 2, v[12:13]
	v_mov_b32_e32 v27, s25
	v_add_co_u32_e32 v12, vcc, s24, v12
	v_addc_co_u32_e32 v13, vcc, v27, v13, vcc
	v_cmp_ge_u32_e32 vcc, v25, v10
	global_store_dword v[12:13], v15, off
                                        ; implicit-def: $vgpr12_vgpr13
	s_and_saveexec_b64 s[2:3], vcc
	s_xor_b64 s[2:3], exec, s[2:3]
; %bb.99:
	v_xor_b32_e32 v12, 0xfffffdff, v0
	v_ashrrev_i32_e32 v13, 31, v12
	v_add_co_u32_e32 v12, vcc, v17, v12
	v_addc_co_u32_e32 v13, vcc, v18, v13, vcc
; %bb.100:
	s_andn2_saveexec_b64 s[2:3], s[2:3]
; %bb.101:
	v_add_co_u32_e32 v12, vcc, v1, v25
	v_addc_co_u32_e32 v13, vcc, 0, v11, vcc
; %bb.102:
	s_or_b64 exec, exec, s[2:3]
	v_lshlrev_b64 v[12:13], 2, v[12:13]
	v_mov_b32_e32 v27, s25
	v_add_co_u32_e32 v12, vcc, s24, v12
	v_addc_co_u32_e32 v13, vcc, v27, v13, vcc
	v_cmp_ge_u32_e32 vcc, v24, v10
	s_waitcnt lgkmcnt(3)
	global_store_dword v[12:13], v8, off
                                        ; implicit-def: $vgpr12_vgpr13
	s_and_saveexec_b64 s[2:3], vcc
	s_xor_b64 s[2:3], exec, s[2:3]
; %bb.103:
	v_xor_b32_e32 v12, 0xfffffcff, v0
	v_ashrrev_i32_e32 v13, 31, v12
	v_add_co_u32_e32 v12, vcc, v17, v12
	v_addc_co_u32_e32 v13, vcc, v18, v13, vcc
; %bb.104:
	s_andn2_saveexec_b64 s[2:3], s[2:3]
; %bb.105:
	v_add_co_u32_e32 v12, vcc, v1, v24
	v_addc_co_u32_e32 v13, vcc, 0, v11, vcc
; %bb.106:
	s_or_b64 exec, exec, s[2:3]
	v_lshlrev_b64 v[12:13], 2, v[12:13]
	v_mov_b32_e32 v27, s25
	v_add_co_u32_e32 v12, vcc, s24, v12
	v_addc_co_u32_e32 v13, vcc, v27, v13, vcc
	v_cmp_ge_u32_e32 vcc, v23, v10
	global_store_dword v[12:13], v9, off
                                        ; implicit-def: $vgpr12_vgpr13
	s_and_saveexec_b64 s[2:3], vcc
	s_xor_b64 s[2:3], exec, s[2:3]
; %bb.107:
	v_xor_b32_e32 v12, 0xfffffbff, v0
	v_ashrrev_i32_e32 v13, 31, v12
	v_add_co_u32_e32 v12, vcc, v17, v12
	v_addc_co_u32_e32 v13, vcc, v18, v13, vcc
; %bb.108:
	s_andn2_saveexec_b64 s[2:3], s[2:3]
; %bb.109:
	v_add_co_u32_e32 v12, vcc, v1, v23
	v_addc_co_u32_e32 v13, vcc, 0, v11, vcc
; %bb.110:
	s_or_b64 exec, exec, s[2:3]
	v_lshlrev_b64 v[12:13], 2, v[12:13]
	v_mov_b32_e32 v27, s25
	v_add_co_u32_e32 v12, vcc, s24, v12
	v_addc_co_u32_e32 v13, vcc, v27, v13, vcc
	v_cmp_ge_u32_e32 vcc, v22, v10
	s_waitcnt lgkmcnt(2)
	global_store_dword v[12:13], v6, off
                                        ; implicit-def: $vgpr12_vgpr13
	s_and_saveexec_b64 s[2:3], vcc
	s_xor_b64 s[2:3], exec, s[2:3]
; %bb.111:
	v_xor_b32_e32 v12, 0xfffffaff, v0
	v_ashrrev_i32_e32 v13, 31, v12
	v_add_co_u32_e32 v12, vcc, v17, v12
	v_addc_co_u32_e32 v13, vcc, v18, v13, vcc
; %bb.112:
	s_andn2_saveexec_b64 s[2:3], s[2:3]
; %bb.113:
	v_add_co_u32_e32 v12, vcc, v1, v22
	v_addc_co_u32_e32 v13, vcc, 0, v11, vcc
; %bb.114:
	s_or_b64 exec, exec, s[2:3]
	v_lshlrev_b64 v[12:13], 2, v[12:13]
	v_mov_b32_e32 v27, s25
	v_add_co_u32_e32 v12, vcc, s24, v12
	v_addc_co_u32_e32 v13, vcc, v27, v13, vcc
	v_cmp_ge_u32_e32 vcc, v21, v10
	global_store_dword v[12:13], v7, off
                                        ; implicit-def: $vgpr12_vgpr13
	s_and_saveexec_b64 s[2:3], vcc
	s_xor_b64 s[2:3], exec, s[2:3]
; %bb.115:
	v_xor_b32_e32 v12, 0xfffff9ff, v0
	v_ashrrev_i32_e32 v13, 31, v12
	v_add_co_u32_e32 v12, vcc, v17, v12
	v_addc_co_u32_e32 v13, vcc, v18, v13, vcc
; %bb.116:
	s_andn2_saveexec_b64 s[2:3], s[2:3]
; %bb.117:
	v_add_co_u32_e32 v12, vcc, v1, v21
	v_addc_co_u32_e32 v13, vcc, 0, v11, vcc
; %bb.118:
	s_or_b64 exec, exec, s[2:3]
	v_lshlrev_b64 v[12:13], 2, v[12:13]
	v_mov_b32_e32 v27, s25
	v_add_co_u32_e32 v12, vcc, s24, v12
	v_addc_co_u32_e32 v13, vcc, v27, v13, vcc
	v_cmp_ge_u32_e32 vcc, v20, v10
	s_waitcnt lgkmcnt(1)
	global_store_dword v[12:13], v4, off
                                        ; implicit-def: $vgpr12_vgpr13
	s_and_saveexec_b64 s[2:3], vcc
	s_xor_b64 s[2:3], exec, s[2:3]
; %bb.119:
	v_xor_b32_e32 v12, 0xfffff8ff, v0
	v_ashrrev_i32_e32 v13, 31, v12
	v_add_co_u32_e32 v12, vcc, v17, v12
	v_addc_co_u32_e32 v13, vcc, v18, v13, vcc
; %bb.120:
	s_andn2_saveexec_b64 s[2:3], s[2:3]
; %bb.121:
	v_add_co_u32_e32 v12, vcc, v1, v20
	v_addc_co_u32_e32 v13, vcc, 0, v11, vcc
; %bb.122:
	s_or_b64 exec, exec, s[2:3]
	v_lshlrev_b64 v[12:13], 2, v[12:13]
	v_mov_b32_e32 v27, s25
	v_add_co_u32_e32 v12, vcc, s24, v12
	v_addc_co_u32_e32 v13, vcc, v27, v13, vcc
	v_cmp_ge_u32_e32 vcc, v19, v10
	global_store_dword v[12:13], v5, off
                                        ; implicit-def: $vgpr12_vgpr13
	s_and_saveexec_b64 s[2:3], vcc
	s_xor_b64 s[2:3], exec, s[2:3]
; %bb.123:
	v_xor_b32_e32 v12, 0xfffff7ff, v0
	v_ashrrev_i32_e32 v13, 31, v12
	v_add_co_u32_e32 v12, vcc, v17, v12
	v_addc_co_u32_e32 v13, vcc, v18, v13, vcc
; %bb.124:
	s_andn2_saveexec_b64 s[2:3], s[2:3]
; %bb.125:
	v_add_co_u32_e32 v12, vcc, v1, v19
	v_addc_co_u32_e32 v13, vcc, 0, v11, vcc
; %bb.126:
	s_or_b64 exec, exec, s[2:3]
	v_lshlrev_b64 v[12:13], 2, v[12:13]
	v_mov_b32_e32 v27, s25
	v_add_co_u32_e32 v12, vcc, s24, v12
	v_addc_co_u32_e32 v13, vcc, v27, v13, vcc
	v_cmp_ge_u32_e32 vcc, v16, v10
	s_waitcnt lgkmcnt(0)
	global_store_dword v[12:13], v2, off
                                        ; implicit-def: $vgpr12_vgpr13
	s_and_saveexec_b64 s[2:3], vcc
	s_xor_b64 s[2:3], exec, s[2:3]
; %bb.127:
	v_xor_b32_e32 v12, 0xfffff6ff, v0
	v_ashrrev_i32_e32 v13, 31, v12
	v_add_co_u32_e32 v12, vcc, v17, v12
	v_addc_co_u32_e32 v13, vcc, v18, v13, vcc
; %bb.128:
	s_andn2_saveexec_b64 s[2:3], s[2:3]
; %bb.129:
	v_add_co_u32_e32 v12, vcc, v1, v16
	v_addc_co_u32_e32 v13, vcc, 0, v11, vcc
; %bb.130:
	s_or_b64 exec, exec, s[2:3]
	s_mov_b64 s[2:3], -1
.LBB539_131:
	s_and_saveexec_b64 s[4:5], s[2:3]
	s_cbranch_execz .LBB539_162
.LBB539_132:
	s_waitcnt lgkmcnt(1)
	v_lshlrev_b64 v[4:5], 2, v[12:13]
	v_mov_b32_e32 v0, s25
	v_add_co_u32_e32 v4, vcc, s24, v4
	v_addc_co_u32_e32 v5, vcc, v0, v5, vcc
	s_waitcnt lgkmcnt(0)
	global_store_dword v[4:5], v3, off
	s_or_b64 exec, exec, s[4:5]
	s_and_b64 s[0:1], s[0:1], s[22:23]
	s_and_saveexec_b64 s[2:3], s[0:1]
	s_cbranch_execnz .LBB539_163
.LBB539_133:
	s_endpgm
.LBB539_134:
	s_mov_b64 s[2:3], 0
                                        ; implicit-def: $vgpr12_vgpr13
	s_cbranch_execz .LBB539_131
; %bb.135:
	v_cmp_gt_u32_e32 vcc, s33, v0
	s_and_saveexec_b64 s[4:5], vcc
	s_cbranch_execz .LBB539_164
; %bb.136:
	v_cmp_ge_u32_e32 vcc, v0, v10
                                        ; implicit-def: $vgpr12_vgpr13
	s_and_saveexec_b64 s[6:7], vcc
	s_xor_b64 s[6:7], exec, s[6:7]
; %bb.137:
	v_not_b32_e32 v12, v0
	v_ashrrev_i32_e32 v13, 31, v12
	v_add_co_u32_e32 v12, vcc, v17, v12
	v_addc_co_u32_e32 v13, vcc, v18, v13, vcc
; %bb.138:
	s_andn2_saveexec_b64 s[6:7], s[6:7]
; %bb.139:
	v_add_co_u32_e32 v12, vcc, v1, v0
	v_addc_co_u32_e32 v13, vcc, 0, v11, vcc
; %bb.140:
	s_or_b64 exec, exec, s[6:7]
	v_lshlrev_b64 v[12:13], 2, v[12:13]
	v_mov_b32_e32 v27, s25
	v_add_co_u32_e32 v12, vcc, s24, v12
	v_addc_co_u32_e32 v13, vcc, v27, v13, vcc
	s_waitcnt lgkmcnt(4)
	global_store_dword v[12:13], v14, off
	s_or_b64 exec, exec, s[4:5]
	v_cmp_gt_u32_e32 vcc, s33, v26
	s_and_saveexec_b64 s[4:5], vcc
	s_cbranch_execnz .LBB539_165
.LBB539_141:
	s_or_b64 exec, exec, s[4:5]
	v_cmp_gt_u32_e32 vcc, s33, v25
	s_and_saveexec_b64 s[4:5], vcc
	s_cbranch_execz .LBB539_170
.LBB539_142:
	v_cmp_ge_u32_e32 vcc, v25, v10
                                        ; implicit-def: $vgpr12_vgpr13
	s_and_saveexec_b64 s[6:7], vcc
	s_xor_b64 s[6:7], exec, s[6:7]
; %bb.143:
	v_xor_b32_e32 v12, 0xfffffdff, v0
	v_ashrrev_i32_e32 v13, 31, v12
	v_add_co_u32_e32 v12, vcc, v17, v12
	v_addc_co_u32_e32 v13, vcc, v18, v13, vcc
                                        ; implicit-def: $vgpr25
; %bb.144:
	s_andn2_saveexec_b64 s[6:7], s[6:7]
; %bb.145:
	v_add_co_u32_e32 v12, vcc, v1, v25
	v_addc_co_u32_e32 v13, vcc, 0, v11, vcc
; %bb.146:
	s_or_b64 exec, exec, s[6:7]
	v_lshlrev_b64 v[12:13], 2, v[12:13]
	s_waitcnt lgkmcnt(4)
	v_mov_b32_e32 v14, s25
	v_add_co_u32_e32 v12, vcc, s24, v12
	v_addc_co_u32_e32 v13, vcc, v14, v13, vcc
	s_waitcnt lgkmcnt(3)
	global_store_dword v[12:13], v8, off
	s_or_b64 exec, exec, s[4:5]
	v_cmp_gt_u32_e32 vcc, s33, v24
	s_and_saveexec_b64 s[4:5], vcc
	s_cbranch_execnz .LBB539_171
.LBB539_147:
	s_or_b64 exec, exec, s[4:5]
	v_cmp_gt_u32_e32 vcc, s33, v23
	s_and_saveexec_b64 s[4:5], vcc
	s_cbranch_execz .LBB539_176
.LBB539_148:
	v_cmp_ge_u32_e32 vcc, v23, v10
                                        ; implicit-def: $vgpr8_vgpr9
	s_and_saveexec_b64 s[6:7], vcc
	s_xor_b64 s[6:7], exec, s[6:7]
	s_cbranch_execz .LBB539_150
; %bb.149:
	s_waitcnt lgkmcnt(3)
	v_xor_b32_e32 v8, 0xfffffbff, v0
	v_ashrrev_i32_e32 v9, 31, v8
	v_add_co_u32_e32 v8, vcc, v17, v8
	v_addc_co_u32_e32 v9, vcc, v18, v9, vcc
                                        ; implicit-def: $vgpr23
.LBB539_150:
	s_andn2_saveexec_b64 s[6:7], s[6:7]
	s_cbranch_execz .LBB539_152
; %bb.151:
	s_waitcnt lgkmcnt(3)
	v_add_co_u32_e32 v8, vcc, v1, v23
	v_addc_co_u32_e32 v9, vcc, 0, v11, vcc
.LBB539_152:
	s_or_b64 exec, exec, s[6:7]
	s_waitcnt lgkmcnt(3)
	v_lshlrev_b64 v[8:9], 2, v[8:9]
	v_mov_b32_e32 v12, s25
	v_add_co_u32_e32 v8, vcc, s24, v8
	v_addc_co_u32_e32 v9, vcc, v12, v9, vcc
	s_waitcnt lgkmcnt(2)
	global_store_dword v[8:9], v6, off
	s_or_b64 exec, exec, s[4:5]
	v_cmp_gt_u32_e32 vcc, s33, v22
	s_and_saveexec_b64 s[4:5], vcc
	s_cbranch_execnz .LBB539_177
.LBB539_153:
	s_or_b64 exec, exec, s[4:5]
	v_cmp_gt_u32_e32 vcc, s33, v21
	s_and_saveexec_b64 s[4:5], vcc
	s_cbranch_execz .LBB539_182
.LBB539_154:
	v_cmp_ge_u32_e32 vcc, v21, v10
                                        ; implicit-def: $vgpr6_vgpr7
	s_and_saveexec_b64 s[6:7], vcc
	s_xor_b64 s[6:7], exec, s[6:7]
	s_cbranch_execz .LBB539_156
; %bb.155:
	s_waitcnt lgkmcnt(2)
	v_xor_b32_e32 v6, 0xfffff9ff, v0
	v_ashrrev_i32_e32 v7, 31, v6
	v_add_co_u32_e32 v6, vcc, v17, v6
	v_addc_co_u32_e32 v7, vcc, v18, v7, vcc
                                        ; implicit-def: $vgpr21
.LBB539_156:
	s_andn2_saveexec_b64 s[6:7], s[6:7]
	s_cbranch_execz .LBB539_158
; %bb.157:
	s_waitcnt lgkmcnt(2)
	v_add_co_u32_e32 v6, vcc, v1, v21
	v_addc_co_u32_e32 v7, vcc, 0, v11, vcc
.LBB539_158:
	s_or_b64 exec, exec, s[6:7]
	s_waitcnt lgkmcnt(2)
	v_lshlrev_b64 v[6:7], 2, v[6:7]
	v_mov_b32_e32 v8, s25
	v_add_co_u32_e32 v6, vcc, s24, v6
	v_addc_co_u32_e32 v7, vcc, v8, v7, vcc
	s_waitcnt lgkmcnt(1)
	global_store_dword v[6:7], v4, off
	s_or_b64 exec, exec, s[4:5]
	v_cmp_gt_u32_e32 vcc, s33, v20
	s_and_saveexec_b64 s[4:5], vcc
	s_cbranch_execnz .LBB539_183
.LBB539_159:
	s_or_b64 exec, exec, s[4:5]
	v_cmp_gt_u32_e32 vcc, s33, v19
	s_and_saveexec_b64 s[4:5], vcc
	s_cbranch_execnz .LBB539_188
.LBB539_160:
	s_or_b64 exec, exec, s[4:5]
	v_cmp_gt_u32_e32 vcc, s33, v16
                                        ; implicit-def: $vgpr12_vgpr13
	s_and_saveexec_b64 s[4:5], vcc
	s_cbranch_execnz .LBB539_193
.LBB539_161:
	s_or_b64 exec, exec, s[4:5]
	s_and_saveexec_b64 s[4:5], s[2:3]
	s_cbranch_execnz .LBB539_132
.LBB539_162:
	s_or_b64 exec, exec, s[4:5]
	s_and_b64 s[0:1], s[0:1], s[22:23]
	s_and_saveexec_b64 s[2:3], s[0:1]
	s_cbranch_execz .LBB539_133
.LBB539_163:
	v_add_co_u32_e32 v0, vcc, v1, v10
	s_waitcnt lgkmcnt(0)
	v_mov_b32_e32 v2, 0
	v_addc_co_u32_e32 v1, vcc, 0, v11, vcc
	global_store_dwordx2 v2, v[0:1], s[20:21]
	s_endpgm
.LBB539_164:
	s_or_b64 exec, exec, s[4:5]
	v_cmp_gt_u32_e32 vcc, s33, v26
	s_and_saveexec_b64 s[4:5], vcc
	s_cbranch_execz .LBB539_141
.LBB539_165:
	v_cmp_ge_u32_e32 vcc, v26, v10
                                        ; implicit-def: $vgpr12_vgpr13
	s_and_saveexec_b64 s[6:7], vcc
	s_xor_b64 s[6:7], exec, s[6:7]
; %bb.166:
	v_xor_b32_e32 v12, 0xfffffeff, v0
	v_ashrrev_i32_e32 v13, 31, v12
	v_add_co_u32_e32 v12, vcc, v17, v12
	v_addc_co_u32_e32 v13, vcc, v18, v13, vcc
                                        ; implicit-def: $vgpr26
; %bb.167:
	s_andn2_saveexec_b64 s[6:7], s[6:7]
; %bb.168:
	v_add_co_u32_e32 v12, vcc, v1, v26
	v_addc_co_u32_e32 v13, vcc, 0, v11, vcc
; %bb.169:
	s_or_b64 exec, exec, s[6:7]
	v_lshlrev_b64 v[12:13], 2, v[12:13]
	s_waitcnt lgkmcnt(4)
	v_mov_b32_e32 v14, s25
	v_add_co_u32_e32 v12, vcc, s24, v12
	v_addc_co_u32_e32 v13, vcc, v14, v13, vcc
	global_store_dword v[12:13], v15, off
	s_or_b64 exec, exec, s[4:5]
	v_cmp_gt_u32_e32 vcc, s33, v25
	s_and_saveexec_b64 s[4:5], vcc
	s_cbranch_execnz .LBB539_142
.LBB539_170:
	s_or_b64 exec, exec, s[4:5]
	v_cmp_gt_u32_e32 vcc, s33, v24
	s_and_saveexec_b64 s[4:5], vcc
	s_cbranch_execz .LBB539_147
.LBB539_171:
	v_cmp_ge_u32_e32 vcc, v24, v10
                                        ; implicit-def: $vgpr12_vgpr13
	s_and_saveexec_b64 s[6:7], vcc
	s_xor_b64 s[6:7], exec, s[6:7]
	s_cbranch_execz .LBB539_173
; %bb.172:
	s_waitcnt lgkmcnt(3)
	v_xor_b32_e32 v8, 0xfffffcff, v0
	v_ashrrev_i32_e32 v13, 31, v8
	v_add_co_u32_e32 v12, vcc, v17, v8
	v_addc_co_u32_e32 v13, vcc, v18, v13, vcc
                                        ; implicit-def: $vgpr24
.LBB539_173:
	s_andn2_saveexec_b64 s[6:7], s[6:7]
; %bb.174:
	v_add_co_u32_e32 v12, vcc, v1, v24
	v_addc_co_u32_e32 v13, vcc, 0, v11, vcc
; %bb.175:
	s_or_b64 exec, exec, s[6:7]
	v_lshlrev_b64 v[12:13], 2, v[12:13]
	s_waitcnt lgkmcnt(3)
	v_mov_b32_e32 v8, s25
	v_add_co_u32_e32 v12, vcc, s24, v12
	v_addc_co_u32_e32 v13, vcc, v8, v13, vcc
	global_store_dword v[12:13], v9, off
	s_or_b64 exec, exec, s[4:5]
	v_cmp_gt_u32_e32 vcc, s33, v23
	s_and_saveexec_b64 s[4:5], vcc
	s_cbranch_execnz .LBB539_148
.LBB539_176:
	s_or_b64 exec, exec, s[4:5]
	v_cmp_gt_u32_e32 vcc, s33, v22
	s_and_saveexec_b64 s[4:5], vcc
	s_cbranch_execz .LBB539_153
.LBB539_177:
	v_cmp_ge_u32_e32 vcc, v22, v10
                                        ; implicit-def: $vgpr8_vgpr9
	s_and_saveexec_b64 s[6:7], vcc
	s_xor_b64 s[6:7], exec, s[6:7]
	s_cbranch_execz .LBB539_179
; %bb.178:
	s_waitcnt lgkmcnt(2)
	v_xor_b32_e32 v6, 0xfffffaff, v0
	v_ashrrev_i32_e32 v9, 31, v6
	v_add_co_u32_e32 v8, vcc, v17, v6
	v_addc_co_u32_e32 v9, vcc, v18, v9, vcc
                                        ; implicit-def: $vgpr22
.LBB539_179:
	s_andn2_saveexec_b64 s[6:7], s[6:7]
	s_cbranch_execz .LBB539_181
; %bb.180:
	s_waitcnt lgkmcnt(3)
	v_add_co_u32_e32 v8, vcc, v1, v22
	v_addc_co_u32_e32 v9, vcc, 0, v11, vcc
.LBB539_181:
	s_or_b64 exec, exec, s[6:7]
	s_waitcnt lgkmcnt(3)
	v_lshlrev_b64 v[8:9], 2, v[8:9]
	s_waitcnt lgkmcnt(2)
	v_mov_b32_e32 v6, s25
	v_add_co_u32_e32 v8, vcc, s24, v8
	v_addc_co_u32_e32 v9, vcc, v6, v9, vcc
	global_store_dword v[8:9], v7, off
	s_or_b64 exec, exec, s[4:5]
	v_cmp_gt_u32_e32 vcc, s33, v21
	s_and_saveexec_b64 s[4:5], vcc
	s_cbranch_execnz .LBB539_154
.LBB539_182:
	s_or_b64 exec, exec, s[4:5]
	v_cmp_gt_u32_e32 vcc, s33, v20
	s_and_saveexec_b64 s[4:5], vcc
	s_cbranch_execz .LBB539_159
.LBB539_183:
	v_cmp_ge_u32_e32 vcc, v20, v10
                                        ; implicit-def: $vgpr6_vgpr7
	s_and_saveexec_b64 s[6:7], vcc
	s_xor_b64 s[6:7], exec, s[6:7]
	s_cbranch_execz .LBB539_185
; %bb.184:
	s_waitcnt lgkmcnt(1)
	v_xor_b32_e32 v4, 0xfffff8ff, v0
	v_ashrrev_i32_e32 v7, 31, v4
	v_add_co_u32_e32 v6, vcc, v17, v4
	v_addc_co_u32_e32 v7, vcc, v18, v7, vcc
                                        ; implicit-def: $vgpr20
.LBB539_185:
	s_andn2_saveexec_b64 s[6:7], s[6:7]
	s_cbranch_execz .LBB539_187
; %bb.186:
	s_waitcnt lgkmcnt(2)
	v_add_co_u32_e32 v6, vcc, v1, v20
	v_addc_co_u32_e32 v7, vcc, 0, v11, vcc
.LBB539_187:
	s_or_b64 exec, exec, s[6:7]
	s_waitcnt lgkmcnt(2)
	v_lshlrev_b64 v[6:7], 2, v[6:7]
	s_waitcnt lgkmcnt(1)
	v_mov_b32_e32 v4, s25
	v_add_co_u32_e32 v6, vcc, s24, v6
	v_addc_co_u32_e32 v7, vcc, v4, v7, vcc
	global_store_dword v[6:7], v5, off
	s_or_b64 exec, exec, s[4:5]
	v_cmp_gt_u32_e32 vcc, s33, v19
	s_and_saveexec_b64 s[4:5], vcc
	s_cbranch_execz .LBB539_160
.LBB539_188:
	v_cmp_ge_u32_e32 vcc, v19, v10
                                        ; implicit-def: $vgpr4_vgpr5
	s_and_saveexec_b64 s[6:7], vcc
	s_xor_b64 s[6:7], exec, s[6:7]
	s_cbranch_execz .LBB539_190
; %bb.189:
	s_waitcnt lgkmcnt(1)
	v_xor_b32_e32 v4, 0xfffff7ff, v0
	v_ashrrev_i32_e32 v5, 31, v4
	v_add_co_u32_e32 v4, vcc, v17, v4
	v_addc_co_u32_e32 v5, vcc, v18, v5, vcc
                                        ; implicit-def: $vgpr19
.LBB539_190:
	s_andn2_saveexec_b64 s[6:7], s[6:7]
	s_cbranch_execz .LBB539_192
; %bb.191:
	s_waitcnt lgkmcnt(1)
	v_add_co_u32_e32 v4, vcc, v1, v19
	v_addc_co_u32_e32 v5, vcc, 0, v11, vcc
.LBB539_192:
	s_or_b64 exec, exec, s[6:7]
	s_waitcnt lgkmcnt(1)
	v_lshlrev_b64 v[4:5], 2, v[4:5]
	v_mov_b32_e32 v6, s25
	v_add_co_u32_e32 v4, vcc, s24, v4
	v_addc_co_u32_e32 v5, vcc, v6, v5, vcc
	s_waitcnt lgkmcnt(0)
	global_store_dword v[4:5], v2, off
	s_or_b64 exec, exec, s[4:5]
	v_cmp_gt_u32_e32 vcc, s33, v16
                                        ; implicit-def: $vgpr12_vgpr13
	s_and_saveexec_b64 s[4:5], vcc
	s_cbranch_execz .LBB539_161
.LBB539_193:
	v_cmp_ge_u32_e32 vcc, v16, v10
                                        ; implicit-def: $vgpr12_vgpr13
	s_and_saveexec_b64 s[6:7], vcc
	s_xor_b64 s[6:7], exec, s[6:7]
	s_cbranch_execz .LBB539_195
; %bb.194:
	v_xor_b32_e32 v0, 0xfffff6ff, v0
	s_waitcnt lgkmcnt(0)
	v_ashrrev_i32_e32 v2, 31, v0
	v_add_co_u32_e32 v12, vcc, v17, v0
	v_addc_co_u32_e32 v13, vcc, v18, v2, vcc
                                        ; implicit-def: $vgpr16
.LBB539_195:
	s_andn2_saveexec_b64 s[6:7], s[6:7]
; %bb.196:
	v_add_co_u32_e32 v12, vcc, v1, v16
	v_addc_co_u32_e32 v13, vcc, 0, v11, vcc
; %bb.197:
	s_or_b64 exec, exec, s[6:7]
	s_or_b64 s[2:3], s[2:3], exec
	s_or_b64 exec, exec, s[4:5]
	s_and_saveexec_b64 s[4:5], s[2:3]
	s_cbranch_execnz .LBB539_132
	s_branch .LBB539_162
	.section	.rodata,"a",@progbits
	.p2align	6, 0x0
	.amdhsa_kernel _ZN7rocprim17ROCPRIM_400000_NS6detail17trampoline_kernelINS0_14default_configENS1_25partition_config_selectorILNS1_17partition_subalgoE2EiNS0_10empty_typeEbEEZZNS1_14partition_implILS5_2ELb0ES3_jN6thrust23THRUST_200600_302600_NS6detail15normal_iteratorINSA_7pointerIiNSA_11hip_rocprim3tagENSA_11use_defaultESG_EEEEPS6_NSA_18transform_iteratorINSA_8identityIiEENSC_INSA_10device_ptrIiEEEESG_SG_EENS0_5tupleIJPiSJ_EEENSR_IJSJ_SJ_EEES6_PlJS6_EEE10hipError_tPvRmT3_T4_T5_T6_T7_T9_mT8_P12ihipStream_tbDpT10_ENKUlT_T0_E_clISt17integral_constantIbLb0EES1E_IbLb1EEEEDaS1A_S1B_EUlS1A_E_NS1_11comp_targetILNS1_3genE4ELNS1_11target_archE910ELNS1_3gpuE8ELNS1_3repE0EEENS1_30default_config_static_selectorELNS0_4arch9wavefront6targetE1EEEvT1_
		.amdhsa_group_segment_fixed_size 10248
		.amdhsa_private_segment_fixed_size 0
		.amdhsa_kernarg_size 144
		.amdhsa_user_sgpr_count 6
		.amdhsa_user_sgpr_private_segment_buffer 1
		.amdhsa_user_sgpr_dispatch_ptr 0
		.amdhsa_user_sgpr_queue_ptr 0
		.amdhsa_user_sgpr_kernarg_segment_ptr 1
		.amdhsa_user_sgpr_dispatch_id 0
		.amdhsa_user_sgpr_flat_scratch_init 0
		.amdhsa_user_sgpr_kernarg_preload_length 0
		.amdhsa_user_sgpr_kernarg_preload_offset 0
		.amdhsa_user_sgpr_private_segment_size 0
		.amdhsa_uses_dynamic_stack 0
		.amdhsa_system_sgpr_private_segment_wavefront_offset 0
		.amdhsa_system_sgpr_workgroup_id_x 1
		.amdhsa_system_sgpr_workgroup_id_y 0
		.amdhsa_system_sgpr_workgroup_id_z 0
		.amdhsa_system_sgpr_workgroup_info 0
		.amdhsa_system_vgpr_workitem_id 0
		.amdhsa_next_free_vgpr 56
		.amdhsa_next_free_sgpr 46
		.amdhsa_accum_offset 56
		.amdhsa_reserve_vcc 1
		.amdhsa_reserve_flat_scratch 0
		.amdhsa_float_round_mode_32 0
		.amdhsa_float_round_mode_16_64 0
		.amdhsa_float_denorm_mode_32 3
		.amdhsa_float_denorm_mode_16_64 3
		.amdhsa_dx10_clamp 1
		.amdhsa_ieee_mode 1
		.amdhsa_fp16_overflow 0
		.amdhsa_tg_split 0
		.amdhsa_exception_fp_ieee_invalid_op 0
		.amdhsa_exception_fp_denorm_src 0
		.amdhsa_exception_fp_ieee_div_zero 0
		.amdhsa_exception_fp_ieee_overflow 0
		.amdhsa_exception_fp_ieee_underflow 0
		.amdhsa_exception_fp_ieee_inexact 0
		.amdhsa_exception_int_div_zero 0
	.end_amdhsa_kernel
	.section	.text._ZN7rocprim17ROCPRIM_400000_NS6detail17trampoline_kernelINS0_14default_configENS1_25partition_config_selectorILNS1_17partition_subalgoE2EiNS0_10empty_typeEbEEZZNS1_14partition_implILS5_2ELb0ES3_jN6thrust23THRUST_200600_302600_NS6detail15normal_iteratorINSA_7pointerIiNSA_11hip_rocprim3tagENSA_11use_defaultESG_EEEEPS6_NSA_18transform_iteratorINSA_8identityIiEENSC_INSA_10device_ptrIiEEEESG_SG_EENS0_5tupleIJPiSJ_EEENSR_IJSJ_SJ_EEES6_PlJS6_EEE10hipError_tPvRmT3_T4_T5_T6_T7_T9_mT8_P12ihipStream_tbDpT10_ENKUlT_T0_E_clISt17integral_constantIbLb0EES1E_IbLb1EEEEDaS1A_S1B_EUlS1A_E_NS1_11comp_targetILNS1_3genE4ELNS1_11target_archE910ELNS1_3gpuE8ELNS1_3repE0EEENS1_30default_config_static_selectorELNS0_4arch9wavefront6targetE1EEEvT1_,"axG",@progbits,_ZN7rocprim17ROCPRIM_400000_NS6detail17trampoline_kernelINS0_14default_configENS1_25partition_config_selectorILNS1_17partition_subalgoE2EiNS0_10empty_typeEbEEZZNS1_14partition_implILS5_2ELb0ES3_jN6thrust23THRUST_200600_302600_NS6detail15normal_iteratorINSA_7pointerIiNSA_11hip_rocprim3tagENSA_11use_defaultESG_EEEEPS6_NSA_18transform_iteratorINSA_8identityIiEENSC_INSA_10device_ptrIiEEEESG_SG_EENS0_5tupleIJPiSJ_EEENSR_IJSJ_SJ_EEES6_PlJS6_EEE10hipError_tPvRmT3_T4_T5_T6_T7_T9_mT8_P12ihipStream_tbDpT10_ENKUlT_T0_E_clISt17integral_constantIbLb0EES1E_IbLb1EEEEDaS1A_S1B_EUlS1A_E_NS1_11comp_targetILNS1_3genE4ELNS1_11target_archE910ELNS1_3gpuE8ELNS1_3repE0EEENS1_30default_config_static_selectorELNS0_4arch9wavefront6targetE1EEEvT1_,comdat
.Lfunc_end539:
	.size	_ZN7rocprim17ROCPRIM_400000_NS6detail17trampoline_kernelINS0_14default_configENS1_25partition_config_selectorILNS1_17partition_subalgoE2EiNS0_10empty_typeEbEEZZNS1_14partition_implILS5_2ELb0ES3_jN6thrust23THRUST_200600_302600_NS6detail15normal_iteratorINSA_7pointerIiNSA_11hip_rocprim3tagENSA_11use_defaultESG_EEEEPS6_NSA_18transform_iteratorINSA_8identityIiEENSC_INSA_10device_ptrIiEEEESG_SG_EENS0_5tupleIJPiSJ_EEENSR_IJSJ_SJ_EEES6_PlJS6_EEE10hipError_tPvRmT3_T4_T5_T6_T7_T9_mT8_P12ihipStream_tbDpT10_ENKUlT_T0_E_clISt17integral_constantIbLb0EES1E_IbLb1EEEEDaS1A_S1B_EUlS1A_E_NS1_11comp_targetILNS1_3genE4ELNS1_11target_archE910ELNS1_3gpuE8ELNS1_3repE0EEENS1_30default_config_static_selectorELNS0_4arch9wavefront6targetE1EEEvT1_, .Lfunc_end539-_ZN7rocprim17ROCPRIM_400000_NS6detail17trampoline_kernelINS0_14default_configENS1_25partition_config_selectorILNS1_17partition_subalgoE2EiNS0_10empty_typeEbEEZZNS1_14partition_implILS5_2ELb0ES3_jN6thrust23THRUST_200600_302600_NS6detail15normal_iteratorINSA_7pointerIiNSA_11hip_rocprim3tagENSA_11use_defaultESG_EEEEPS6_NSA_18transform_iteratorINSA_8identityIiEENSC_INSA_10device_ptrIiEEEESG_SG_EENS0_5tupleIJPiSJ_EEENSR_IJSJ_SJ_EEES6_PlJS6_EEE10hipError_tPvRmT3_T4_T5_T6_T7_T9_mT8_P12ihipStream_tbDpT10_ENKUlT_T0_E_clISt17integral_constantIbLb0EES1E_IbLb1EEEEDaS1A_S1B_EUlS1A_E_NS1_11comp_targetILNS1_3genE4ELNS1_11target_archE910ELNS1_3gpuE8ELNS1_3repE0EEENS1_30default_config_static_selectorELNS0_4arch9wavefront6targetE1EEEvT1_
                                        ; -- End function
	.section	.AMDGPU.csdata,"",@progbits
; Kernel info:
; codeLenInByte = 6828
; NumSgprs: 50
; NumVgprs: 56
; NumAgprs: 0
; TotalNumVgprs: 56
; ScratchSize: 0
; MemoryBound: 0
; FloatMode: 240
; IeeeMode: 1
; LDSByteSize: 10248 bytes/workgroup (compile time only)
; SGPRBlocks: 6
; VGPRBlocks: 6
; NumSGPRsForWavesPerEU: 50
; NumVGPRsForWavesPerEU: 56
; AccumOffset: 56
; Occupancy: 6
; WaveLimiterHint : 1
; COMPUTE_PGM_RSRC2:SCRATCH_EN: 0
; COMPUTE_PGM_RSRC2:USER_SGPR: 6
; COMPUTE_PGM_RSRC2:TRAP_HANDLER: 0
; COMPUTE_PGM_RSRC2:TGID_X_EN: 1
; COMPUTE_PGM_RSRC2:TGID_Y_EN: 0
; COMPUTE_PGM_RSRC2:TGID_Z_EN: 0
; COMPUTE_PGM_RSRC2:TIDIG_COMP_CNT: 0
; COMPUTE_PGM_RSRC3_GFX90A:ACCUM_OFFSET: 13
; COMPUTE_PGM_RSRC3_GFX90A:TG_SPLIT: 0
	.section	.text._ZN7rocprim17ROCPRIM_400000_NS6detail17trampoline_kernelINS0_14default_configENS1_25partition_config_selectorILNS1_17partition_subalgoE2EiNS0_10empty_typeEbEEZZNS1_14partition_implILS5_2ELb0ES3_jN6thrust23THRUST_200600_302600_NS6detail15normal_iteratorINSA_7pointerIiNSA_11hip_rocprim3tagENSA_11use_defaultESG_EEEEPS6_NSA_18transform_iteratorINSA_8identityIiEENSC_INSA_10device_ptrIiEEEESG_SG_EENS0_5tupleIJPiSJ_EEENSR_IJSJ_SJ_EEES6_PlJS6_EEE10hipError_tPvRmT3_T4_T5_T6_T7_T9_mT8_P12ihipStream_tbDpT10_ENKUlT_T0_E_clISt17integral_constantIbLb0EES1E_IbLb1EEEEDaS1A_S1B_EUlS1A_E_NS1_11comp_targetILNS1_3genE3ELNS1_11target_archE908ELNS1_3gpuE7ELNS1_3repE0EEENS1_30default_config_static_selectorELNS0_4arch9wavefront6targetE1EEEvT1_,"axG",@progbits,_ZN7rocprim17ROCPRIM_400000_NS6detail17trampoline_kernelINS0_14default_configENS1_25partition_config_selectorILNS1_17partition_subalgoE2EiNS0_10empty_typeEbEEZZNS1_14partition_implILS5_2ELb0ES3_jN6thrust23THRUST_200600_302600_NS6detail15normal_iteratorINSA_7pointerIiNSA_11hip_rocprim3tagENSA_11use_defaultESG_EEEEPS6_NSA_18transform_iteratorINSA_8identityIiEENSC_INSA_10device_ptrIiEEEESG_SG_EENS0_5tupleIJPiSJ_EEENSR_IJSJ_SJ_EEES6_PlJS6_EEE10hipError_tPvRmT3_T4_T5_T6_T7_T9_mT8_P12ihipStream_tbDpT10_ENKUlT_T0_E_clISt17integral_constantIbLb0EES1E_IbLb1EEEEDaS1A_S1B_EUlS1A_E_NS1_11comp_targetILNS1_3genE3ELNS1_11target_archE908ELNS1_3gpuE7ELNS1_3repE0EEENS1_30default_config_static_selectorELNS0_4arch9wavefront6targetE1EEEvT1_,comdat
	.protected	_ZN7rocprim17ROCPRIM_400000_NS6detail17trampoline_kernelINS0_14default_configENS1_25partition_config_selectorILNS1_17partition_subalgoE2EiNS0_10empty_typeEbEEZZNS1_14partition_implILS5_2ELb0ES3_jN6thrust23THRUST_200600_302600_NS6detail15normal_iteratorINSA_7pointerIiNSA_11hip_rocprim3tagENSA_11use_defaultESG_EEEEPS6_NSA_18transform_iteratorINSA_8identityIiEENSC_INSA_10device_ptrIiEEEESG_SG_EENS0_5tupleIJPiSJ_EEENSR_IJSJ_SJ_EEES6_PlJS6_EEE10hipError_tPvRmT3_T4_T5_T6_T7_T9_mT8_P12ihipStream_tbDpT10_ENKUlT_T0_E_clISt17integral_constantIbLb0EES1E_IbLb1EEEEDaS1A_S1B_EUlS1A_E_NS1_11comp_targetILNS1_3genE3ELNS1_11target_archE908ELNS1_3gpuE7ELNS1_3repE0EEENS1_30default_config_static_selectorELNS0_4arch9wavefront6targetE1EEEvT1_ ; -- Begin function _ZN7rocprim17ROCPRIM_400000_NS6detail17trampoline_kernelINS0_14default_configENS1_25partition_config_selectorILNS1_17partition_subalgoE2EiNS0_10empty_typeEbEEZZNS1_14partition_implILS5_2ELb0ES3_jN6thrust23THRUST_200600_302600_NS6detail15normal_iteratorINSA_7pointerIiNSA_11hip_rocprim3tagENSA_11use_defaultESG_EEEEPS6_NSA_18transform_iteratorINSA_8identityIiEENSC_INSA_10device_ptrIiEEEESG_SG_EENS0_5tupleIJPiSJ_EEENSR_IJSJ_SJ_EEES6_PlJS6_EEE10hipError_tPvRmT3_T4_T5_T6_T7_T9_mT8_P12ihipStream_tbDpT10_ENKUlT_T0_E_clISt17integral_constantIbLb0EES1E_IbLb1EEEEDaS1A_S1B_EUlS1A_E_NS1_11comp_targetILNS1_3genE3ELNS1_11target_archE908ELNS1_3gpuE7ELNS1_3repE0EEENS1_30default_config_static_selectorELNS0_4arch9wavefront6targetE1EEEvT1_
	.globl	_ZN7rocprim17ROCPRIM_400000_NS6detail17trampoline_kernelINS0_14default_configENS1_25partition_config_selectorILNS1_17partition_subalgoE2EiNS0_10empty_typeEbEEZZNS1_14partition_implILS5_2ELb0ES3_jN6thrust23THRUST_200600_302600_NS6detail15normal_iteratorINSA_7pointerIiNSA_11hip_rocprim3tagENSA_11use_defaultESG_EEEEPS6_NSA_18transform_iteratorINSA_8identityIiEENSC_INSA_10device_ptrIiEEEESG_SG_EENS0_5tupleIJPiSJ_EEENSR_IJSJ_SJ_EEES6_PlJS6_EEE10hipError_tPvRmT3_T4_T5_T6_T7_T9_mT8_P12ihipStream_tbDpT10_ENKUlT_T0_E_clISt17integral_constantIbLb0EES1E_IbLb1EEEEDaS1A_S1B_EUlS1A_E_NS1_11comp_targetILNS1_3genE3ELNS1_11target_archE908ELNS1_3gpuE7ELNS1_3repE0EEENS1_30default_config_static_selectorELNS0_4arch9wavefront6targetE1EEEvT1_
	.p2align	8
	.type	_ZN7rocprim17ROCPRIM_400000_NS6detail17trampoline_kernelINS0_14default_configENS1_25partition_config_selectorILNS1_17partition_subalgoE2EiNS0_10empty_typeEbEEZZNS1_14partition_implILS5_2ELb0ES3_jN6thrust23THRUST_200600_302600_NS6detail15normal_iteratorINSA_7pointerIiNSA_11hip_rocprim3tagENSA_11use_defaultESG_EEEEPS6_NSA_18transform_iteratorINSA_8identityIiEENSC_INSA_10device_ptrIiEEEESG_SG_EENS0_5tupleIJPiSJ_EEENSR_IJSJ_SJ_EEES6_PlJS6_EEE10hipError_tPvRmT3_T4_T5_T6_T7_T9_mT8_P12ihipStream_tbDpT10_ENKUlT_T0_E_clISt17integral_constantIbLb0EES1E_IbLb1EEEEDaS1A_S1B_EUlS1A_E_NS1_11comp_targetILNS1_3genE3ELNS1_11target_archE908ELNS1_3gpuE7ELNS1_3repE0EEENS1_30default_config_static_selectorELNS0_4arch9wavefront6targetE1EEEvT1_,@function
_ZN7rocprim17ROCPRIM_400000_NS6detail17trampoline_kernelINS0_14default_configENS1_25partition_config_selectorILNS1_17partition_subalgoE2EiNS0_10empty_typeEbEEZZNS1_14partition_implILS5_2ELb0ES3_jN6thrust23THRUST_200600_302600_NS6detail15normal_iteratorINSA_7pointerIiNSA_11hip_rocprim3tagENSA_11use_defaultESG_EEEEPS6_NSA_18transform_iteratorINSA_8identityIiEENSC_INSA_10device_ptrIiEEEESG_SG_EENS0_5tupleIJPiSJ_EEENSR_IJSJ_SJ_EEES6_PlJS6_EEE10hipError_tPvRmT3_T4_T5_T6_T7_T9_mT8_P12ihipStream_tbDpT10_ENKUlT_T0_E_clISt17integral_constantIbLb0EES1E_IbLb1EEEEDaS1A_S1B_EUlS1A_E_NS1_11comp_targetILNS1_3genE3ELNS1_11target_archE908ELNS1_3gpuE7ELNS1_3repE0EEENS1_30default_config_static_selectorELNS0_4arch9wavefront6targetE1EEEvT1_: ; @_ZN7rocprim17ROCPRIM_400000_NS6detail17trampoline_kernelINS0_14default_configENS1_25partition_config_selectorILNS1_17partition_subalgoE2EiNS0_10empty_typeEbEEZZNS1_14partition_implILS5_2ELb0ES3_jN6thrust23THRUST_200600_302600_NS6detail15normal_iteratorINSA_7pointerIiNSA_11hip_rocprim3tagENSA_11use_defaultESG_EEEEPS6_NSA_18transform_iteratorINSA_8identityIiEENSC_INSA_10device_ptrIiEEEESG_SG_EENS0_5tupleIJPiSJ_EEENSR_IJSJ_SJ_EEES6_PlJS6_EEE10hipError_tPvRmT3_T4_T5_T6_T7_T9_mT8_P12ihipStream_tbDpT10_ENKUlT_T0_E_clISt17integral_constantIbLb0EES1E_IbLb1EEEEDaS1A_S1B_EUlS1A_E_NS1_11comp_targetILNS1_3genE3ELNS1_11target_archE908ELNS1_3gpuE7ELNS1_3repE0EEENS1_30default_config_static_selectorELNS0_4arch9wavefront6targetE1EEEvT1_
; %bb.0:
	.section	.rodata,"a",@progbits
	.p2align	6, 0x0
	.amdhsa_kernel _ZN7rocprim17ROCPRIM_400000_NS6detail17trampoline_kernelINS0_14default_configENS1_25partition_config_selectorILNS1_17partition_subalgoE2EiNS0_10empty_typeEbEEZZNS1_14partition_implILS5_2ELb0ES3_jN6thrust23THRUST_200600_302600_NS6detail15normal_iteratorINSA_7pointerIiNSA_11hip_rocprim3tagENSA_11use_defaultESG_EEEEPS6_NSA_18transform_iteratorINSA_8identityIiEENSC_INSA_10device_ptrIiEEEESG_SG_EENS0_5tupleIJPiSJ_EEENSR_IJSJ_SJ_EEES6_PlJS6_EEE10hipError_tPvRmT3_T4_T5_T6_T7_T9_mT8_P12ihipStream_tbDpT10_ENKUlT_T0_E_clISt17integral_constantIbLb0EES1E_IbLb1EEEEDaS1A_S1B_EUlS1A_E_NS1_11comp_targetILNS1_3genE3ELNS1_11target_archE908ELNS1_3gpuE7ELNS1_3repE0EEENS1_30default_config_static_selectorELNS0_4arch9wavefront6targetE1EEEvT1_
		.amdhsa_group_segment_fixed_size 0
		.amdhsa_private_segment_fixed_size 0
		.amdhsa_kernarg_size 144
		.amdhsa_user_sgpr_count 6
		.amdhsa_user_sgpr_private_segment_buffer 1
		.amdhsa_user_sgpr_dispatch_ptr 0
		.amdhsa_user_sgpr_queue_ptr 0
		.amdhsa_user_sgpr_kernarg_segment_ptr 1
		.amdhsa_user_sgpr_dispatch_id 0
		.amdhsa_user_sgpr_flat_scratch_init 0
		.amdhsa_user_sgpr_kernarg_preload_length 0
		.amdhsa_user_sgpr_kernarg_preload_offset 0
		.amdhsa_user_sgpr_private_segment_size 0
		.amdhsa_uses_dynamic_stack 0
		.amdhsa_system_sgpr_private_segment_wavefront_offset 0
		.amdhsa_system_sgpr_workgroup_id_x 1
		.amdhsa_system_sgpr_workgroup_id_y 0
		.amdhsa_system_sgpr_workgroup_id_z 0
		.amdhsa_system_sgpr_workgroup_info 0
		.amdhsa_system_vgpr_workitem_id 0
		.amdhsa_next_free_vgpr 1
		.amdhsa_next_free_sgpr 0
		.amdhsa_accum_offset 4
		.amdhsa_reserve_vcc 0
		.amdhsa_reserve_flat_scratch 0
		.amdhsa_float_round_mode_32 0
		.amdhsa_float_round_mode_16_64 0
		.amdhsa_float_denorm_mode_32 3
		.amdhsa_float_denorm_mode_16_64 3
		.amdhsa_dx10_clamp 1
		.amdhsa_ieee_mode 1
		.amdhsa_fp16_overflow 0
		.amdhsa_tg_split 0
		.amdhsa_exception_fp_ieee_invalid_op 0
		.amdhsa_exception_fp_denorm_src 0
		.amdhsa_exception_fp_ieee_div_zero 0
		.amdhsa_exception_fp_ieee_overflow 0
		.amdhsa_exception_fp_ieee_underflow 0
		.amdhsa_exception_fp_ieee_inexact 0
		.amdhsa_exception_int_div_zero 0
	.end_amdhsa_kernel
	.section	.text._ZN7rocprim17ROCPRIM_400000_NS6detail17trampoline_kernelINS0_14default_configENS1_25partition_config_selectorILNS1_17partition_subalgoE2EiNS0_10empty_typeEbEEZZNS1_14partition_implILS5_2ELb0ES3_jN6thrust23THRUST_200600_302600_NS6detail15normal_iteratorINSA_7pointerIiNSA_11hip_rocprim3tagENSA_11use_defaultESG_EEEEPS6_NSA_18transform_iteratorINSA_8identityIiEENSC_INSA_10device_ptrIiEEEESG_SG_EENS0_5tupleIJPiSJ_EEENSR_IJSJ_SJ_EEES6_PlJS6_EEE10hipError_tPvRmT3_T4_T5_T6_T7_T9_mT8_P12ihipStream_tbDpT10_ENKUlT_T0_E_clISt17integral_constantIbLb0EES1E_IbLb1EEEEDaS1A_S1B_EUlS1A_E_NS1_11comp_targetILNS1_3genE3ELNS1_11target_archE908ELNS1_3gpuE7ELNS1_3repE0EEENS1_30default_config_static_selectorELNS0_4arch9wavefront6targetE1EEEvT1_,"axG",@progbits,_ZN7rocprim17ROCPRIM_400000_NS6detail17trampoline_kernelINS0_14default_configENS1_25partition_config_selectorILNS1_17partition_subalgoE2EiNS0_10empty_typeEbEEZZNS1_14partition_implILS5_2ELb0ES3_jN6thrust23THRUST_200600_302600_NS6detail15normal_iteratorINSA_7pointerIiNSA_11hip_rocprim3tagENSA_11use_defaultESG_EEEEPS6_NSA_18transform_iteratorINSA_8identityIiEENSC_INSA_10device_ptrIiEEEESG_SG_EENS0_5tupleIJPiSJ_EEENSR_IJSJ_SJ_EEES6_PlJS6_EEE10hipError_tPvRmT3_T4_T5_T6_T7_T9_mT8_P12ihipStream_tbDpT10_ENKUlT_T0_E_clISt17integral_constantIbLb0EES1E_IbLb1EEEEDaS1A_S1B_EUlS1A_E_NS1_11comp_targetILNS1_3genE3ELNS1_11target_archE908ELNS1_3gpuE7ELNS1_3repE0EEENS1_30default_config_static_selectorELNS0_4arch9wavefront6targetE1EEEvT1_,comdat
.Lfunc_end540:
	.size	_ZN7rocprim17ROCPRIM_400000_NS6detail17trampoline_kernelINS0_14default_configENS1_25partition_config_selectorILNS1_17partition_subalgoE2EiNS0_10empty_typeEbEEZZNS1_14partition_implILS5_2ELb0ES3_jN6thrust23THRUST_200600_302600_NS6detail15normal_iteratorINSA_7pointerIiNSA_11hip_rocprim3tagENSA_11use_defaultESG_EEEEPS6_NSA_18transform_iteratorINSA_8identityIiEENSC_INSA_10device_ptrIiEEEESG_SG_EENS0_5tupleIJPiSJ_EEENSR_IJSJ_SJ_EEES6_PlJS6_EEE10hipError_tPvRmT3_T4_T5_T6_T7_T9_mT8_P12ihipStream_tbDpT10_ENKUlT_T0_E_clISt17integral_constantIbLb0EES1E_IbLb1EEEEDaS1A_S1B_EUlS1A_E_NS1_11comp_targetILNS1_3genE3ELNS1_11target_archE908ELNS1_3gpuE7ELNS1_3repE0EEENS1_30default_config_static_selectorELNS0_4arch9wavefront6targetE1EEEvT1_, .Lfunc_end540-_ZN7rocprim17ROCPRIM_400000_NS6detail17trampoline_kernelINS0_14default_configENS1_25partition_config_selectorILNS1_17partition_subalgoE2EiNS0_10empty_typeEbEEZZNS1_14partition_implILS5_2ELb0ES3_jN6thrust23THRUST_200600_302600_NS6detail15normal_iteratorINSA_7pointerIiNSA_11hip_rocprim3tagENSA_11use_defaultESG_EEEEPS6_NSA_18transform_iteratorINSA_8identityIiEENSC_INSA_10device_ptrIiEEEESG_SG_EENS0_5tupleIJPiSJ_EEENSR_IJSJ_SJ_EEES6_PlJS6_EEE10hipError_tPvRmT3_T4_T5_T6_T7_T9_mT8_P12ihipStream_tbDpT10_ENKUlT_T0_E_clISt17integral_constantIbLb0EES1E_IbLb1EEEEDaS1A_S1B_EUlS1A_E_NS1_11comp_targetILNS1_3genE3ELNS1_11target_archE908ELNS1_3gpuE7ELNS1_3repE0EEENS1_30default_config_static_selectorELNS0_4arch9wavefront6targetE1EEEvT1_
                                        ; -- End function
	.section	.AMDGPU.csdata,"",@progbits
; Kernel info:
; codeLenInByte = 0
; NumSgprs: 4
; NumVgprs: 0
; NumAgprs: 0
; TotalNumVgprs: 0
; ScratchSize: 0
; MemoryBound: 0
; FloatMode: 240
; IeeeMode: 1
; LDSByteSize: 0 bytes/workgroup (compile time only)
; SGPRBlocks: 0
; VGPRBlocks: 0
; NumSGPRsForWavesPerEU: 4
; NumVGPRsForWavesPerEU: 1
; AccumOffset: 4
; Occupancy: 8
; WaveLimiterHint : 0
; COMPUTE_PGM_RSRC2:SCRATCH_EN: 0
; COMPUTE_PGM_RSRC2:USER_SGPR: 6
; COMPUTE_PGM_RSRC2:TRAP_HANDLER: 0
; COMPUTE_PGM_RSRC2:TGID_X_EN: 1
; COMPUTE_PGM_RSRC2:TGID_Y_EN: 0
; COMPUTE_PGM_RSRC2:TGID_Z_EN: 0
; COMPUTE_PGM_RSRC2:TIDIG_COMP_CNT: 0
; COMPUTE_PGM_RSRC3_GFX90A:ACCUM_OFFSET: 0
; COMPUTE_PGM_RSRC3_GFX90A:TG_SPLIT: 0
	.section	.text._ZN7rocprim17ROCPRIM_400000_NS6detail17trampoline_kernelINS0_14default_configENS1_25partition_config_selectorILNS1_17partition_subalgoE2EiNS0_10empty_typeEbEEZZNS1_14partition_implILS5_2ELb0ES3_jN6thrust23THRUST_200600_302600_NS6detail15normal_iteratorINSA_7pointerIiNSA_11hip_rocprim3tagENSA_11use_defaultESG_EEEEPS6_NSA_18transform_iteratorINSA_8identityIiEENSC_INSA_10device_ptrIiEEEESG_SG_EENS0_5tupleIJPiSJ_EEENSR_IJSJ_SJ_EEES6_PlJS6_EEE10hipError_tPvRmT3_T4_T5_T6_T7_T9_mT8_P12ihipStream_tbDpT10_ENKUlT_T0_E_clISt17integral_constantIbLb0EES1E_IbLb1EEEEDaS1A_S1B_EUlS1A_E_NS1_11comp_targetILNS1_3genE2ELNS1_11target_archE906ELNS1_3gpuE6ELNS1_3repE0EEENS1_30default_config_static_selectorELNS0_4arch9wavefront6targetE1EEEvT1_,"axG",@progbits,_ZN7rocprim17ROCPRIM_400000_NS6detail17trampoline_kernelINS0_14default_configENS1_25partition_config_selectorILNS1_17partition_subalgoE2EiNS0_10empty_typeEbEEZZNS1_14partition_implILS5_2ELb0ES3_jN6thrust23THRUST_200600_302600_NS6detail15normal_iteratorINSA_7pointerIiNSA_11hip_rocprim3tagENSA_11use_defaultESG_EEEEPS6_NSA_18transform_iteratorINSA_8identityIiEENSC_INSA_10device_ptrIiEEEESG_SG_EENS0_5tupleIJPiSJ_EEENSR_IJSJ_SJ_EEES6_PlJS6_EEE10hipError_tPvRmT3_T4_T5_T6_T7_T9_mT8_P12ihipStream_tbDpT10_ENKUlT_T0_E_clISt17integral_constantIbLb0EES1E_IbLb1EEEEDaS1A_S1B_EUlS1A_E_NS1_11comp_targetILNS1_3genE2ELNS1_11target_archE906ELNS1_3gpuE6ELNS1_3repE0EEENS1_30default_config_static_selectorELNS0_4arch9wavefront6targetE1EEEvT1_,comdat
	.protected	_ZN7rocprim17ROCPRIM_400000_NS6detail17trampoline_kernelINS0_14default_configENS1_25partition_config_selectorILNS1_17partition_subalgoE2EiNS0_10empty_typeEbEEZZNS1_14partition_implILS5_2ELb0ES3_jN6thrust23THRUST_200600_302600_NS6detail15normal_iteratorINSA_7pointerIiNSA_11hip_rocprim3tagENSA_11use_defaultESG_EEEEPS6_NSA_18transform_iteratorINSA_8identityIiEENSC_INSA_10device_ptrIiEEEESG_SG_EENS0_5tupleIJPiSJ_EEENSR_IJSJ_SJ_EEES6_PlJS6_EEE10hipError_tPvRmT3_T4_T5_T6_T7_T9_mT8_P12ihipStream_tbDpT10_ENKUlT_T0_E_clISt17integral_constantIbLb0EES1E_IbLb1EEEEDaS1A_S1B_EUlS1A_E_NS1_11comp_targetILNS1_3genE2ELNS1_11target_archE906ELNS1_3gpuE6ELNS1_3repE0EEENS1_30default_config_static_selectorELNS0_4arch9wavefront6targetE1EEEvT1_ ; -- Begin function _ZN7rocprim17ROCPRIM_400000_NS6detail17trampoline_kernelINS0_14default_configENS1_25partition_config_selectorILNS1_17partition_subalgoE2EiNS0_10empty_typeEbEEZZNS1_14partition_implILS5_2ELb0ES3_jN6thrust23THRUST_200600_302600_NS6detail15normal_iteratorINSA_7pointerIiNSA_11hip_rocprim3tagENSA_11use_defaultESG_EEEEPS6_NSA_18transform_iteratorINSA_8identityIiEENSC_INSA_10device_ptrIiEEEESG_SG_EENS0_5tupleIJPiSJ_EEENSR_IJSJ_SJ_EEES6_PlJS6_EEE10hipError_tPvRmT3_T4_T5_T6_T7_T9_mT8_P12ihipStream_tbDpT10_ENKUlT_T0_E_clISt17integral_constantIbLb0EES1E_IbLb1EEEEDaS1A_S1B_EUlS1A_E_NS1_11comp_targetILNS1_3genE2ELNS1_11target_archE906ELNS1_3gpuE6ELNS1_3repE0EEENS1_30default_config_static_selectorELNS0_4arch9wavefront6targetE1EEEvT1_
	.globl	_ZN7rocprim17ROCPRIM_400000_NS6detail17trampoline_kernelINS0_14default_configENS1_25partition_config_selectorILNS1_17partition_subalgoE2EiNS0_10empty_typeEbEEZZNS1_14partition_implILS5_2ELb0ES3_jN6thrust23THRUST_200600_302600_NS6detail15normal_iteratorINSA_7pointerIiNSA_11hip_rocprim3tagENSA_11use_defaultESG_EEEEPS6_NSA_18transform_iteratorINSA_8identityIiEENSC_INSA_10device_ptrIiEEEESG_SG_EENS0_5tupleIJPiSJ_EEENSR_IJSJ_SJ_EEES6_PlJS6_EEE10hipError_tPvRmT3_T4_T5_T6_T7_T9_mT8_P12ihipStream_tbDpT10_ENKUlT_T0_E_clISt17integral_constantIbLb0EES1E_IbLb1EEEEDaS1A_S1B_EUlS1A_E_NS1_11comp_targetILNS1_3genE2ELNS1_11target_archE906ELNS1_3gpuE6ELNS1_3repE0EEENS1_30default_config_static_selectorELNS0_4arch9wavefront6targetE1EEEvT1_
	.p2align	8
	.type	_ZN7rocprim17ROCPRIM_400000_NS6detail17trampoline_kernelINS0_14default_configENS1_25partition_config_selectorILNS1_17partition_subalgoE2EiNS0_10empty_typeEbEEZZNS1_14partition_implILS5_2ELb0ES3_jN6thrust23THRUST_200600_302600_NS6detail15normal_iteratorINSA_7pointerIiNSA_11hip_rocprim3tagENSA_11use_defaultESG_EEEEPS6_NSA_18transform_iteratorINSA_8identityIiEENSC_INSA_10device_ptrIiEEEESG_SG_EENS0_5tupleIJPiSJ_EEENSR_IJSJ_SJ_EEES6_PlJS6_EEE10hipError_tPvRmT3_T4_T5_T6_T7_T9_mT8_P12ihipStream_tbDpT10_ENKUlT_T0_E_clISt17integral_constantIbLb0EES1E_IbLb1EEEEDaS1A_S1B_EUlS1A_E_NS1_11comp_targetILNS1_3genE2ELNS1_11target_archE906ELNS1_3gpuE6ELNS1_3repE0EEENS1_30default_config_static_selectorELNS0_4arch9wavefront6targetE1EEEvT1_,@function
_ZN7rocprim17ROCPRIM_400000_NS6detail17trampoline_kernelINS0_14default_configENS1_25partition_config_selectorILNS1_17partition_subalgoE2EiNS0_10empty_typeEbEEZZNS1_14partition_implILS5_2ELb0ES3_jN6thrust23THRUST_200600_302600_NS6detail15normal_iteratorINSA_7pointerIiNSA_11hip_rocprim3tagENSA_11use_defaultESG_EEEEPS6_NSA_18transform_iteratorINSA_8identityIiEENSC_INSA_10device_ptrIiEEEESG_SG_EENS0_5tupleIJPiSJ_EEENSR_IJSJ_SJ_EEES6_PlJS6_EEE10hipError_tPvRmT3_T4_T5_T6_T7_T9_mT8_P12ihipStream_tbDpT10_ENKUlT_T0_E_clISt17integral_constantIbLb0EES1E_IbLb1EEEEDaS1A_S1B_EUlS1A_E_NS1_11comp_targetILNS1_3genE2ELNS1_11target_archE906ELNS1_3gpuE6ELNS1_3repE0EEENS1_30default_config_static_selectorELNS0_4arch9wavefront6targetE1EEEvT1_: ; @_ZN7rocprim17ROCPRIM_400000_NS6detail17trampoline_kernelINS0_14default_configENS1_25partition_config_selectorILNS1_17partition_subalgoE2EiNS0_10empty_typeEbEEZZNS1_14partition_implILS5_2ELb0ES3_jN6thrust23THRUST_200600_302600_NS6detail15normal_iteratorINSA_7pointerIiNSA_11hip_rocprim3tagENSA_11use_defaultESG_EEEEPS6_NSA_18transform_iteratorINSA_8identityIiEENSC_INSA_10device_ptrIiEEEESG_SG_EENS0_5tupleIJPiSJ_EEENSR_IJSJ_SJ_EEES6_PlJS6_EEE10hipError_tPvRmT3_T4_T5_T6_T7_T9_mT8_P12ihipStream_tbDpT10_ENKUlT_T0_E_clISt17integral_constantIbLb0EES1E_IbLb1EEEEDaS1A_S1B_EUlS1A_E_NS1_11comp_targetILNS1_3genE2ELNS1_11target_archE906ELNS1_3gpuE6ELNS1_3repE0EEENS1_30default_config_static_selectorELNS0_4arch9wavefront6targetE1EEEvT1_
; %bb.0:
	.section	.rodata,"a",@progbits
	.p2align	6, 0x0
	.amdhsa_kernel _ZN7rocprim17ROCPRIM_400000_NS6detail17trampoline_kernelINS0_14default_configENS1_25partition_config_selectorILNS1_17partition_subalgoE2EiNS0_10empty_typeEbEEZZNS1_14partition_implILS5_2ELb0ES3_jN6thrust23THRUST_200600_302600_NS6detail15normal_iteratorINSA_7pointerIiNSA_11hip_rocprim3tagENSA_11use_defaultESG_EEEEPS6_NSA_18transform_iteratorINSA_8identityIiEENSC_INSA_10device_ptrIiEEEESG_SG_EENS0_5tupleIJPiSJ_EEENSR_IJSJ_SJ_EEES6_PlJS6_EEE10hipError_tPvRmT3_T4_T5_T6_T7_T9_mT8_P12ihipStream_tbDpT10_ENKUlT_T0_E_clISt17integral_constantIbLb0EES1E_IbLb1EEEEDaS1A_S1B_EUlS1A_E_NS1_11comp_targetILNS1_3genE2ELNS1_11target_archE906ELNS1_3gpuE6ELNS1_3repE0EEENS1_30default_config_static_selectorELNS0_4arch9wavefront6targetE1EEEvT1_
		.amdhsa_group_segment_fixed_size 0
		.amdhsa_private_segment_fixed_size 0
		.amdhsa_kernarg_size 144
		.amdhsa_user_sgpr_count 6
		.amdhsa_user_sgpr_private_segment_buffer 1
		.amdhsa_user_sgpr_dispatch_ptr 0
		.amdhsa_user_sgpr_queue_ptr 0
		.amdhsa_user_sgpr_kernarg_segment_ptr 1
		.amdhsa_user_sgpr_dispatch_id 0
		.amdhsa_user_sgpr_flat_scratch_init 0
		.amdhsa_user_sgpr_kernarg_preload_length 0
		.amdhsa_user_sgpr_kernarg_preload_offset 0
		.amdhsa_user_sgpr_private_segment_size 0
		.amdhsa_uses_dynamic_stack 0
		.amdhsa_system_sgpr_private_segment_wavefront_offset 0
		.amdhsa_system_sgpr_workgroup_id_x 1
		.amdhsa_system_sgpr_workgroup_id_y 0
		.amdhsa_system_sgpr_workgroup_id_z 0
		.amdhsa_system_sgpr_workgroup_info 0
		.amdhsa_system_vgpr_workitem_id 0
		.amdhsa_next_free_vgpr 1
		.amdhsa_next_free_sgpr 0
		.amdhsa_accum_offset 4
		.amdhsa_reserve_vcc 0
		.amdhsa_reserve_flat_scratch 0
		.amdhsa_float_round_mode_32 0
		.amdhsa_float_round_mode_16_64 0
		.amdhsa_float_denorm_mode_32 3
		.amdhsa_float_denorm_mode_16_64 3
		.amdhsa_dx10_clamp 1
		.amdhsa_ieee_mode 1
		.amdhsa_fp16_overflow 0
		.amdhsa_tg_split 0
		.amdhsa_exception_fp_ieee_invalid_op 0
		.amdhsa_exception_fp_denorm_src 0
		.amdhsa_exception_fp_ieee_div_zero 0
		.amdhsa_exception_fp_ieee_overflow 0
		.amdhsa_exception_fp_ieee_underflow 0
		.amdhsa_exception_fp_ieee_inexact 0
		.amdhsa_exception_int_div_zero 0
	.end_amdhsa_kernel
	.section	.text._ZN7rocprim17ROCPRIM_400000_NS6detail17trampoline_kernelINS0_14default_configENS1_25partition_config_selectorILNS1_17partition_subalgoE2EiNS0_10empty_typeEbEEZZNS1_14partition_implILS5_2ELb0ES3_jN6thrust23THRUST_200600_302600_NS6detail15normal_iteratorINSA_7pointerIiNSA_11hip_rocprim3tagENSA_11use_defaultESG_EEEEPS6_NSA_18transform_iteratorINSA_8identityIiEENSC_INSA_10device_ptrIiEEEESG_SG_EENS0_5tupleIJPiSJ_EEENSR_IJSJ_SJ_EEES6_PlJS6_EEE10hipError_tPvRmT3_T4_T5_T6_T7_T9_mT8_P12ihipStream_tbDpT10_ENKUlT_T0_E_clISt17integral_constantIbLb0EES1E_IbLb1EEEEDaS1A_S1B_EUlS1A_E_NS1_11comp_targetILNS1_3genE2ELNS1_11target_archE906ELNS1_3gpuE6ELNS1_3repE0EEENS1_30default_config_static_selectorELNS0_4arch9wavefront6targetE1EEEvT1_,"axG",@progbits,_ZN7rocprim17ROCPRIM_400000_NS6detail17trampoline_kernelINS0_14default_configENS1_25partition_config_selectorILNS1_17partition_subalgoE2EiNS0_10empty_typeEbEEZZNS1_14partition_implILS5_2ELb0ES3_jN6thrust23THRUST_200600_302600_NS6detail15normal_iteratorINSA_7pointerIiNSA_11hip_rocprim3tagENSA_11use_defaultESG_EEEEPS6_NSA_18transform_iteratorINSA_8identityIiEENSC_INSA_10device_ptrIiEEEESG_SG_EENS0_5tupleIJPiSJ_EEENSR_IJSJ_SJ_EEES6_PlJS6_EEE10hipError_tPvRmT3_T4_T5_T6_T7_T9_mT8_P12ihipStream_tbDpT10_ENKUlT_T0_E_clISt17integral_constantIbLb0EES1E_IbLb1EEEEDaS1A_S1B_EUlS1A_E_NS1_11comp_targetILNS1_3genE2ELNS1_11target_archE906ELNS1_3gpuE6ELNS1_3repE0EEENS1_30default_config_static_selectorELNS0_4arch9wavefront6targetE1EEEvT1_,comdat
.Lfunc_end541:
	.size	_ZN7rocprim17ROCPRIM_400000_NS6detail17trampoline_kernelINS0_14default_configENS1_25partition_config_selectorILNS1_17partition_subalgoE2EiNS0_10empty_typeEbEEZZNS1_14partition_implILS5_2ELb0ES3_jN6thrust23THRUST_200600_302600_NS6detail15normal_iteratorINSA_7pointerIiNSA_11hip_rocprim3tagENSA_11use_defaultESG_EEEEPS6_NSA_18transform_iteratorINSA_8identityIiEENSC_INSA_10device_ptrIiEEEESG_SG_EENS0_5tupleIJPiSJ_EEENSR_IJSJ_SJ_EEES6_PlJS6_EEE10hipError_tPvRmT3_T4_T5_T6_T7_T9_mT8_P12ihipStream_tbDpT10_ENKUlT_T0_E_clISt17integral_constantIbLb0EES1E_IbLb1EEEEDaS1A_S1B_EUlS1A_E_NS1_11comp_targetILNS1_3genE2ELNS1_11target_archE906ELNS1_3gpuE6ELNS1_3repE0EEENS1_30default_config_static_selectorELNS0_4arch9wavefront6targetE1EEEvT1_, .Lfunc_end541-_ZN7rocprim17ROCPRIM_400000_NS6detail17trampoline_kernelINS0_14default_configENS1_25partition_config_selectorILNS1_17partition_subalgoE2EiNS0_10empty_typeEbEEZZNS1_14partition_implILS5_2ELb0ES3_jN6thrust23THRUST_200600_302600_NS6detail15normal_iteratorINSA_7pointerIiNSA_11hip_rocprim3tagENSA_11use_defaultESG_EEEEPS6_NSA_18transform_iteratorINSA_8identityIiEENSC_INSA_10device_ptrIiEEEESG_SG_EENS0_5tupleIJPiSJ_EEENSR_IJSJ_SJ_EEES6_PlJS6_EEE10hipError_tPvRmT3_T4_T5_T6_T7_T9_mT8_P12ihipStream_tbDpT10_ENKUlT_T0_E_clISt17integral_constantIbLb0EES1E_IbLb1EEEEDaS1A_S1B_EUlS1A_E_NS1_11comp_targetILNS1_3genE2ELNS1_11target_archE906ELNS1_3gpuE6ELNS1_3repE0EEENS1_30default_config_static_selectorELNS0_4arch9wavefront6targetE1EEEvT1_
                                        ; -- End function
	.section	.AMDGPU.csdata,"",@progbits
; Kernel info:
; codeLenInByte = 0
; NumSgprs: 4
; NumVgprs: 0
; NumAgprs: 0
; TotalNumVgprs: 0
; ScratchSize: 0
; MemoryBound: 0
; FloatMode: 240
; IeeeMode: 1
; LDSByteSize: 0 bytes/workgroup (compile time only)
; SGPRBlocks: 0
; VGPRBlocks: 0
; NumSGPRsForWavesPerEU: 4
; NumVGPRsForWavesPerEU: 1
; AccumOffset: 4
; Occupancy: 8
; WaveLimiterHint : 0
; COMPUTE_PGM_RSRC2:SCRATCH_EN: 0
; COMPUTE_PGM_RSRC2:USER_SGPR: 6
; COMPUTE_PGM_RSRC2:TRAP_HANDLER: 0
; COMPUTE_PGM_RSRC2:TGID_X_EN: 1
; COMPUTE_PGM_RSRC2:TGID_Y_EN: 0
; COMPUTE_PGM_RSRC2:TGID_Z_EN: 0
; COMPUTE_PGM_RSRC2:TIDIG_COMP_CNT: 0
; COMPUTE_PGM_RSRC3_GFX90A:ACCUM_OFFSET: 0
; COMPUTE_PGM_RSRC3_GFX90A:TG_SPLIT: 0
	.section	.text._ZN7rocprim17ROCPRIM_400000_NS6detail17trampoline_kernelINS0_14default_configENS1_25partition_config_selectorILNS1_17partition_subalgoE2EiNS0_10empty_typeEbEEZZNS1_14partition_implILS5_2ELb0ES3_jN6thrust23THRUST_200600_302600_NS6detail15normal_iteratorINSA_7pointerIiNSA_11hip_rocprim3tagENSA_11use_defaultESG_EEEEPS6_NSA_18transform_iteratorINSA_8identityIiEENSC_INSA_10device_ptrIiEEEESG_SG_EENS0_5tupleIJPiSJ_EEENSR_IJSJ_SJ_EEES6_PlJS6_EEE10hipError_tPvRmT3_T4_T5_T6_T7_T9_mT8_P12ihipStream_tbDpT10_ENKUlT_T0_E_clISt17integral_constantIbLb0EES1E_IbLb1EEEEDaS1A_S1B_EUlS1A_E_NS1_11comp_targetILNS1_3genE10ELNS1_11target_archE1200ELNS1_3gpuE4ELNS1_3repE0EEENS1_30default_config_static_selectorELNS0_4arch9wavefront6targetE1EEEvT1_,"axG",@progbits,_ZN7rocprim17ROCPRIM_400000_NS6detail17trampoline_kernelINS0_14default_configENS1_25partition_config_selectorILNS1_17partition_subalgoE2EiNS0_10empty_typeEbEEZZNS1_14partition_implILS5_2ELb0ES3_jN6thrust23THRUST_200600_302600_NS6detail15normal_iteratorINSA_7pointerIiNSA_11hip_rocprim3tagENSA_11use_defaultESG_EEEEPS6_NSA_18transform_iteratorINSA_8identityIiEENSC_INSA_10device_ptrIiEEEESG_SG_EENS0_5tupleIJPiSJ_EEENSR_IJSJ_SJ_EEES6_PlJS6_EEE10hipError_tPvRmT3_T4_T5_T6_T7_T9_mT8_P12ihipStream_tbDpT10_ENKUlT_T0_E_clISt17integral_constantIbLb0EES1E_IbLb1EEEEDaS1A_S1B_EUlS1A_E_NS1_11comp_targetILNS1_3genE10ELNS1_11target_archE1200ELNS1_3gpuE4ELNS1_3repE0EEENS1_30default_config_static_selectorELNS0_4arch9wavefront6targetE1EEEvT1_,comdat
	.protected	_ZN7rocprim17ROCPRIM_400000_NS6detail17trampoline_kernelINS0_14default_configENS1_25partition_config_selectorILNS1_17partition_subalgoE2EiNS0_10empty_typeEbEEZZNS1_14partition_implILS5_2ELb0ES3_jN6thrust23THRUST_200600_302600_NS6detail15normal_iteratorINSA_7pointerIiNSA_11hip_rocprim3tagENSA_11use_defaultESG_EEEEPS6_NSA_18transform_iteratorINSA_8identityIiEENSC_INSA_10device_ptrIiEEEESG_SG_EENS0_5tupleIJPiSJ_EEENSR_IJSJ_SJ_EEES6_PlJS6_EEE10hipError_tPvRmT3_T4_T5_T6_T7_T9_mT8_P12ihipStream_tbDpT10_ENKUlT_T0_E_clISt17integral_constantIbLb0EES1E_IbLb1EEEEDaS1A_S1B_EUlS1A_E_NS1_11comp_targetILNS1_3genE10ELNS1_11target_archE1200ELNS1_3gpuE4ELNS1_3repE0EEENS1_30default_config_static_selectorELNS0_4arch9wavefront6targetE1EEEvT1_ ; -- Begin function _ZN7rocprim17ROCPRIM_400000_NS6detail17trampoline_kernelINS0_14default_configENS1_25partition_config_selectorILNS1_17partition_subalgoE2EiNS0_10empty_typeEbEEZZNS1_14partition_implILS5_2ELb0ES3_jN6thrust23THRUST_200600_302600_NS6detail15normal_iteratorINSA_7pointerIiNSA_11hip_rocprim3tagENSA_11use_defaultESG_EEEEPS6_NSA_18transform_iteratorINSA_8identityIiEENSC_INSA_10device_ptrIiEEEESG_SG_EENS0_5tupleIJPiSJ_EEENSR_IJSJ_SJ_EEES6_PlJS6_EEE10hipError_tPvRmT3_T4_T5_T6_T7_T9_mT8_P12ihipStream_tbDpT10_ENKUlT_T0_E_clISt17integral_constantIbLb0EES1E_IbLb1EEEEDaS1A_S1B_EUlS1A_E_NS1_11comp_targetILNS1_3genE10ELNS1_11target_archE1200ELNS1_3gpuE4ELNS1_3repE0EEENS1_30default_config_static_selectorELNS0_4arch9wavefront6targetE1EEEvT1_
	.globl	_ZN7rocprim17ROCPRIM_400000_NS6detail17trampoline_kernelINS0_14default_configENS1_25partition_config_selectorILNS1_17partition_subalgoE2EiNS0_10empty_typeEbEEZZNS1_14partition_implILS5_2ELb0ES3_jN6thrust23THRUST_200600_302600_NS6detail15normal_iteratorINSA_7pointerIiNSA_11hip_rocprim3tagENSA_11use_defaultESG_EEEEPS6_NSA_18transform_iteratorINSA_8identityIiEENSC_INSA_10device_ptrIiEEEESG_SG_EENS0_5tupleIJPiSJ_EEENSR_IJSJ_SJ_EEES6_PlJS6_EEE10hipError_tPvRmT3_T4_T5_T6_T7_T9_mT8_P12ihipStream_tbDpT10_ENKUlT_T0_E_clISt17integral_constantIbLb0EES1E_IbLb1EEEEDaS1A_S1B_EUlS1A_E_NS1_11comp_targetILNS1_3genE10ELNS1_11target_archE1200ELNS1_3gpuE4ELNS1_3repE0EEENS1_30default_config_static_selectorELNS0_4arch9wavefront6targetE1EEEvT1_
	.p2align	8
	.type	_ZN7rocprim17ROCPRIM_400000_NS6detail17trampoline_kernelINS0_14default_configENS1_25partition_config_selectorILNS1_17partition_subalgoE2EiNS0_10empty_typeEbEEZZNS1_14partition_implILS5_2ELb0ES3_jN6thrust23THRUST_200600_302600_NS6detail15normal_iteratorINSA_7pointerIiNSA_11hip_rocprim3tagENSA_11use_defaultESG_EEEEPS6_NSA_18transform_iteratorINSA_8identityIiEENSC_INSA_10device_ptrIiEEEESG_SG_EENS0_5tupleIJPiSJ_EEENSR_IJSJ_SJ_EEES6_PlJS6_EEE10hipError_tPvRmT3_T4_T5_T6_T7_T9_mT8_P12ihipStream_tbDpT10_ENKUlT_T0_E_clISt17integral_constantIbLb0EES1E_IbLb1EEEEDaS1A_S1B_EUlS1A_E_NS1_11comp_targetILNS1_3genE10ELNS1_11target_archE1200ELNS1_3gpuE4ELNS1_3repE0EEENS1_30default_config_static_selectorELNS0_4arch9wavefront6targetE1EEEvT1_,@function
_ZN7rocprim17ROCPRIM_400000_NS6detail17trampoline_kernelINS0_14default_configENS1_25partition_config_selectorILNS1_17partition_subalgoE2EiNS0_10empty_typeEbEEZZNS1_14partition_implILS5_2ELb0ES3_jN6thrust23THRUST_200600_302600_NS6detail15normal_iteratorINSA_7pointerIiNSA_11hip_rocprim3tagENSA_11use_defaultESG_EEEEPS6_NSA_18transform_iteratorINSA_8identityIiEENSC_INSA_10device_ptrIiEEEESG_SG_EENS0_5tupleIJPiSJ_EEENSR_IJSJ_SJ_EEES6_PlJS6_EEE10hipError_tPvRmT3_T4_T5_T6_T7_T9_mT8_P12ihipStream_tbDpT10_ENKUlT_T0_E_clISt17integral_constantIbLb0EES1E_IbLb1EEEEDaS1A_S1B_EUlS1A_E_NS1_11comp_targetILNS1_3genE10ELNS1_11target_archE1200ELNS1_3gpuE4ELNS1_3repE0EEENS1_30default_config_static_selectorELNS0_4arch9wavefront6targetE1EEEvT1_: ; @_ZN7rocprim17ROCPRIM_400000_NS6detail17trampoline_kernelINS0_14default_configENS1_25partition_config_selectorILNS1_17partition_subalgoE2EiNS0_10empty_typeEbEEZZNS1_14partition_implILS5_2ELb0ES3_jN6thrust23THRUST_200600_302600_NS6detail15normal_iteratorINSA_7pointerIiNSA_11hip_rocprim3tagENSA_11use_defaultESG_EEEEPS6_NSA_18transform_iteratorINSA_8identityIiEENSC_INSA_10device_ptrIiEEEESG_SG_EENS0_5tupleIJPiSJ_EEENSR_IJSJ_SJ_EEES6_PlJS6_EEE10hipError_tPvRmT3_T4_T5_T6_T7_T9_mT8_P12ihipStream_tbDpT10_ENKUlT_T0_E_clISt17integral_constantIbLb0EES1E_IbLb1EEEEDaS1A_S1B_EUlS1A_E_NS1_11comp_targetILNS1_3genE10ELNS1_11target_archE1200ELNS1_3gpuE4ELNS1_3repE0EEENS1_30default_config_static_selectorELNS0_4arch9wavefront6targetE1EEEvT1_
; %bb.0:
	.section	.rodata,"a",@progbits
	.p2align	6, 0x0
	.amdhsa_kernel _ZN7rocprim17ROCPRIM_400000_NS6detail17trampoline_kernelINS0_14default_configENS1_25partition_config_selectorILNS1_17partition_subalgoE2EiNS0_10empty_typeEbEEZZNS1_14partition_implILS5_2ELb0ES3_jN6thrust23THRUST_200600_302600_NS6detail15normal_iteratorINSA_7pointerIiNSA_11hip_rocprim3tagENSA_11use_defaultESG_EEEEPS6_NSA_18transform_iteratorINSA_8identityIiEENSC_INSA_10device_ptrIiEEEESG_SG_EENS0_5tupleIJPiSJ_EEENSR_IJSJ_SJ_EEES6_PlJS6_EEE10hipError_tPvRmT3_T4_T5_T6_T7_T9_mT8_P12ihipStream_tbDpT10_ENKUlT_T0_E_clISt17integral_constantIbLb0EES1E_IbLb1EEEEDaS1A_S1B_EUlS1A_E_NS1_11comp_targetILNS1_3genE10ELNS1_11target_archE1200ELNS1_3gpuE4ELNS1_3repE0EEENS1_30default_config_static_selectorELNS0_4arch9wavefront6targetE1EEEvT1_
		.amdhsa_group_segment_fixed_size 0
		.amdhsa_private_segment_fixed_size 0
		.amdhsa_kernarg_size 144
		.amdhsa_user_sgpr_count 6
		.amdhsa_user_sgpr_private_segment_buffer 1
		.amdhsa_user_sgpr_dispatch_ptr 0
		.amdhsa_user_sgpr_queue_ptr 0
		.amdhsa_user_sgpr_kernarg_segment_ptr 1
		.amdhsa_user_sgpr_dispatch_id 0
		.amdhsa_user_sgpr_flat_scratch_init 0
		.amdhsa_user_sgpr_kernarg_preload_length 0
		.amdhsa_user_sgpr_kernarg_preload_offset 0
		.amdhsa_user_sgpr_private_segment_size 0
		.amdhsa_uses_dynamic_stack 0
		.amdhsa_system_sgpr_private_segment_wavefront_offset 0
		.amdhsa_system_sgpr_workgroup_id_x 1
		.amdhsa_system_sgpr_workgroup_id_y 0
		.amdhsa_system_sgpr_workgroup_id_z 0
		.amdhsa_system_sgpr_workgroup_info 0
		.amdhsa_system_vgpr_workitem_id 0
		.amdhsa_next_free_vgpr 1
		.amdhsa_next_free_sgpr 0
		.amdhsa_accum_offset 4
		.amdhsa_reserve_vcc 0
		.amdhsa_reserve_flat_scratch 0
		.amdhsa_float_round_mode_32 0
		.amdhsa_float_round_mode_16_64 0
		.amdhsa_float_denorm_mode_32 3
		.amdhsa_float_denorm_mode_16_64 3
		.amdhsa_dx10_clamp 1
		.amdhsa_ieee_mode 1
		.amdhsa_fp16_overflow 0
		.amdhsa_tg_split 0
		.amdhsa_exception_fp_ieee_invalid_op 0
		.amdhsa_exception_fp_denorm_src 0
		.amdhsa_exception_fp_ieee_div_zero 0
		.amdhsa_exception_fp_ieee_overflow 0
		.amdhsa_exception_fp_ieee_underflow 0
		.amdhsa_exception_fp_ieee_inexact 0
		.amdhsa_exception_int_div_zero 0
	.end_amdhsa_kernel
	.section	.text._ZN7rocprim17ROCPRIM_400000_NS6detail17trampoline_kernelINS0_14default_configENS1_25partition_config_selectorILNS1_17partition_subalgoE2EiNS0_10empty_typeEbEEZZNS1_14partition_implILS5_2ELb0ES3_jN6thrust23THRUST_200600_302600_NS6detail15normal_iteratorINSA_7pointerIiNSA_11hip_rocprim3tagENSA_11use_defaultESG_EEEEPS6_NSA_18transform_iteratorINSA_8identityIiEENSC_INSA_10device_ptrIiEEEESG_SG_EENS0_5tupleIJPiSJ_EEENSR_IJSJ_SJ_EEES6_PlJS6_EEE10hipError_tPvRmT3_T4_T5_T6_T7_T9_mT8_P12ihipStream_tbDpT10_ENKUlT_T0_E_clISt17integral_constantIbLb0EES1E_IbLb1EEEEDaS1A_S1B_EUlS1A_E_NS1_11comp_targetILNS1_3genE10ELNS1_11target_archE1200ELNS1_3gpuE4ELNS1_3repE0EEENS1_30default_config_static_selectorELNS0_4arch9wavefront6targetE1EEEvT1_,"axG",@progbits,_ZN7rocprim17ROCPRIM_400000_NS6detail17trampoline_kernelINS0_14default_configENS1_25partition_config_selectorILNS1_17partition_subalgoE2EiNS0_10empty_typeEbEEZZNS1_14partition_implILS5_2ELb0ES3_jN6thrust23THRUST_200600_302600_NS6detail15normal_iteratorINSA_7pointerIiNSA_11hip_rocprim3tagENSA_11use_defaultESG_EEEEPS6_NSA_18transform_iteratorINSA_8identityIiEENSC_INSA_10device_ptrIiEEEESG_SG_EENS0_5tupleIJPiSJ_EEENSR_IJSJ_SJ_EEES6_PlJS6_EEE10hipError_tPvRmT3_T4_T5_T6_T7_T9_mT8_P12ihipStream_tbDpT10_ENKUlT_T0_E_clISt17integral_constantIbLb0EES1E_IbLb1EEEEDaS1A_S1B_EUlS1A_E_NS1_11comp_targetILNS1_3genE10ELNS1_11target_archE1200ELNS1_3gpuE4ELNS1_3repE0EEENS1_30default_config_static_selectorELNS0_4arch9wavefront6targetE1EEEvT1_,comdat
.Lfunc_end542:
	.size	_ZN7rocprim17ROCPRIM_400000_NS6detail17trampoline_kernelINS0_14default_configENS1_25partition_config_selectorILNS1_17partition_subalgoE2EiNS0_10empty_typeEbEEZZNS1_14partition_implILS5_2ELb0ES3_jN6thrust23THRUST_200600_302600_NS6detail15normal_iteratorINSA_7pointerIiNSA_11hip_rocprim3tagENSA_11use_defaultESG_EEEEPS6_NSA_18transform_iteratorINSA_8identityIiEENSC_INSA_10device_ptrIiEEEESG_SG_EENS0_5tupleIJPiSJ_EEENSR_IJSJ_SJ_EEES6_PlJS6_EEE10hipError_tPvRmT3_T4_T5_T6_T7_T9_mT8_P12ihipStream_tbDpT10_ENKUlT_T0_E_clISt17integral_constantIbLb0EES1E_IbLb1EEEEDaS1A_S1B_EUlS1A_E_NS1_11comp_targetILNS1_3genE10ELNS1_11target_archE1200ELNS1_3gpuE4ELNS1_3repE0EEENS1_30default_config_static_selectorELNS0_4arch9wavefront6targetE1EEEvT1_, .Lfunc_end542-_ZN7rocprim17ROCPRIM_400000_NS6detail17trampoline_kernelINS0_14default_configENS1_25partition_config_selectorILNS1_17partition_subalgoE2EiNS0_10empty_typeEbEEZZNS1_14partition_implILS5_2ELb0ES3_jN6thrust23THRUST_200600_302600_NS6detail15normal_iteratorINSA_7pointerIiNSA_11hip_rocprim3tagENSA_11use_defaultESG_EEEEPS6_NSA_18transform_iteratorINSA_8identityIiEENSC_INSA_10device_ptrIiEEEESG_SG_EENS0_5tupleIJPiSJ_EEENSR_IJSJ_SJ_EEES6_PlJS6_EEE10hipError_tPvRmT3_T4_T5_T6_T7_T9_mT8_P12ihipStream_tbDpT10_ENKUlT_T0_E_clISt17integral_constantIbLb0EES1E_IbLb1EEEEDaS1A_S1B_EUlS1A_E_NS1_11comp_targetILNS1_3genE10ELNS1_11target_archE1200ELNS1_3gpuE4ELNS1_3repE0EEENS1_30default_config_static_selectorELNS0_4arch9wavefront6targetE1EEEvT1_
                                        ; -- End function
	.section	.AMDGPU.csdata,"",@progbits
; Kernel info:
; codeLenInByte = 0
; NumSgprs: 4
; NumVgprs: 0
; NumAgprs: 0
; TotalNumVgprs: 0
; ScratchSize: 0
; MemoryBound: 0
; FloatMode: 240
; IeeeMode: 1
; LDSByteSize: 0 bytes/workgroup (compile time only)
; SGPRBlocks: 0
; VGPRBlocks: 0
; NumSGPRsForWavesPerEU: 4
; NumVGPRsForWavesPerEU: 1
; AccumOffset: 4
; Occupancy: 8
; WaveLimiterHint : 0
; COMPUTE_PGM_RSRC2:SCRATCH_EN: 0
; COMPUTE_PGM_RSRC2:USER_SGPR: 6
; COMPUTE_PGM_RSRC2:TRAP_HANDLER: 0
; COMPUTE_PGM_RSRC2:TGID_X_EN: 1
; COMPUTE_PGM_RSRC2:TGID_Y_EN: 0
; COMPUTE_PGM_RSRC2:TGID_Z_EN: 0
; COMPUTE_PGM_RSRC2:TIDIG_COMP_CNT: 0
; COMPUTE_PGM_RSRC3_GFX90A:ACCUM_OFFSET: 0
; COMPUTE_PGM_RSRC3_GFX90A:TG_SPLIT: 0
	.section	.text._ZN7rocprim17ROCPRIM_400000_NS6detail17trampoline_kernelINS0_14default_configENS1_25partition_config_selectorILNS1_17partition_subalgoE2EiNS0_10empty_typeEbEEZZNS1_14partition_implILS5_2ELb0ES3_jN6thrust23THRUST_200600_302600_NS6detail15normal_iteratorINSA_7pointerIiNSA_11hip_rocprim3tagENSA_11use_defaultESG_EEEEPS6_NSA_18transform_iteratorINSA_8identityIiEENSC_INSA_10device_ptrIiEEEESG_SG_EENS0_5tupleIJPiSJ_EEENSR_IJSJ_SJ_EEES6_PlJS6_EEE10hipError_tPvRmT3_T4_T5_T6_T7_T9_mT8_P12ihipStream_tbDpT10_ENKUlT_T0_E_clISt17integral_constantIbLb0EES1E_IbLb1EEEEDaS1A_S1B_EUlS1A_E_NS1_11comp_targetILNS1_3genE9ELNS1_11target_archE1100ELNS1_3gpuE3ELNS1_3repE0EEENS1_30default_config_static_selectorELNS0_4arch9wavefront6targetE1EEEvT1_,"axG",@progbits,_ZN7rocprim17ROCPRIM_400000_NS6detail17trampoline_kernelINS0_14default_configENS1_25partition_config_selectorILNS1_17partition_subalgoE2EiNS0_10empty_typeEbEEZZNS1_14partition_implILS5_2ELb0ES3_jN6thrust23THRUST_200600_302600_NS6detail15normal_iteratorINSA_7pointerIiNSA_11hip_rocprim3tagENSA_11use_defaultESG_EEEEPS6_NSA_18transform_iteratorINSA_8identityIiEENSC_INSA_10device_ptrIiEEEESG_SG_EENS0_5tupleIJPiSJ_EEENSR_IJSJ_SJ_EEES6_PlJS6_EEE10hipError_tPvRmT3_T4_T5_T6_T7_T9_mT8_P12ihipStream_tbDpT10_ENKUlT_T0_E_clISt17integral_constantIbLb0EES1E_IbLb1EEEEDaS1A_S1B_EUlS1A_E_NS1_11comp_targetILNS1_3genE9ELNS1_11target_archE1100ELNS1_3gpuE3ELNS1_3repE0EEENS1_30default_config_static_selectorELNS0_4arch9wavefront6targetE1EEEvT1_,comdat
	.protected	_ZN7rocprim17ROCPRIM_400000_NS6detail17trampoline_kernelINS0_14default_configENS1_25partition_config_selectorILNS1_17partition_subalgoE2EiNS0_10empty_typeEbEEZZNS1_14partition_implILS5_2ELb0ES3_jN6thrust23THRUST_200600_302600_NS6detail15normal_iteratorINSA_7pointerIiNSA_11hip_rocprim3tagENSA_11use_defaultESG_EEEEPS6_NSA_18transform_iteratorINSA_8identityIiEENSC_INSA_10device_ptrIiEEEESG_SG_EENS0_5tupleIJPiSJ_EEENSR_IJSJ_SJ_EEES6_PlJS6_EEE10hipError_tPvRmT3_T4_T5_T6_T7_T9_mT8_P12ihipStream_tbDpT10_ENKUlT_T0_E_clISt17integral_constantIbLb0EES1E_IbLb1EEEEDaS1A_S1B_EUlS1A_E_NS1_11comp_targetILNS1_3genE9ELNS1_11target_archE1100ELNS1_3gpuE3ELNS1_3repE0EEENS1_30default_config_static_selectorELNS0_4arch9wavefront6targetE1EEEvT1_ ; -- Begin function _ZN7rocprim17ROCPRIM_400000_NS6detail17trampoline_kernelINS0_14default_configENS1_25partition_config_selectorILNS1_17partition_subalgoE2EiNS0_10empty_typeEbEEZZNS1_14partition_implILS5_2ELb0ES3_jN6thrust23THRUST_200600_302600_NS6detail15normal_iteratorINSA_7pointerIiNSA_11hip_rocprim3tagENSA_11use_defaultESG_EEEEPS6_NSA_18transform_iteratorINSA_8identityIiEENSC_INSA_10device_ptrIiEEEESG_SG_EENS0_5tupleIJPiSJ_EEENSR_IJSJ_SJ_EEES6_PlJS6_EEE10hipError_tPvRmT3_T4_T5_T6_T7_T9_mT8_P12ihipStream_tbDpT10_ENKUlT_T0_E_clISt17integral_constantIbLb0EES1E_IbLb1EEEEDaS1A_S1B_EUlS1A_E_NS1_11comp_targetILNS1_3genE9ELNS1_11target_archE1100ELNS1_3gpuE3ELNS1_3repE0EEENS1_30default_config_static_selectorELNS0_4arch9wavefront6targetE1EEEvT1_
	.globl	_ZN7rocprim17ROCPRIM_400000_NS6detail17trampoline_kernelINS0_14default_configENS1_25partition_config_selectorILNS1_17partition_subalgoE2EiNS0_10empty_typeEbEEZZNS1_14partition_implILS5_2ELb0ES3_jN6thrust23THRUST_200600_302600_NS6detail15normal_iteratorINSA_7pointerIiNSA_11hip_rocprim3tagENSA_11use_defaultESG_EEEEPS6_NSA_18transform_iteratorINSA_8identityIiEENSC_INSA_10device_ptrIiEEEESG_SG_EENS0_5tupleIJPiSJ_EEENSR_IJSJ_SJ_EEES6_PlJS6_EEE10hipError_tPvRmT3_T4_T5_T6_T7_T9_mT8_P12ihipStream_tbDpT10_ENKUlT_T0_E_clISt17integral_constantIbLb0EES1E_IbLb1EEEEDaS1A_S1B_EUlS1A_E_NS1_11comp_targetILNS1_3genE9ELNS1_11target_archE1100ELNS1_3gpuE3ELNS1_3repE0EEENS1_30default_config_static_selectorELNS0_4arch9wavefront6targetE1EEEvT1_
	.p2align	8
	.type	_ZN7rocprim17ROCPRIM_400000_NS6detail17trampoline_kernelINS0_14default_configENS1_25partition_config_selectorILNS1_17partition_subalgoE2EiNS0_10empty_typeEbEEZZNS1_14partition_implILS5_2ELb0ES3_jN6thrust23THRUST_200600_302600_NS6detail15normal_iteratorINSA_7pointerIiNSA_11hip_rocprim3tagENSA_11use_defaultESG_EEEEPS6_NSA_18transform_iteratorINSA_8identityIiEENSC_INSA_10device_ptrIiEEEESG_SG_EENS0_5tupleIJPiSJ_EEENSR_IJSJ_SJ_EEES6_PlJS6_EEE10hipError_tPvRmT3_T4_T5_T6_T7_T9_mT8_P12ihipStream_tbDpT10_ENKUlT_T0_E_clISt17integral_constantIbLb0EES1E_IbLb1EEEEDaS1A_S1B_EUlS1A_E_NS1_11comp_targetILNS1_3genE9ELNS1_11target_archE1100ELNS1_3gpuE3ELNS1_3repE0EEENS1_30default_config_static_selectorELNS0_4arch9wavefront6targetE1EEEvT1_,@function
_ZN7rocprim17ROCPRIM_400000_NS6detail17trampoline_kernelINS0_14default_configENS1_25partition_config_selectorILNS1_17partition_subalgoE2EiNS0_10empty_typeEbEEZZNS1_14partition_implILS5_2ELb0ES3_jN6thrust23THRUST_200600_302600_NS6detail15normal_iteratorINSA_7pointerIiNSA_11hip_rocprim3tagENSA_11use_defaultESG_EEEEPS6_NSA_18transform_iteratorINSA_8identityIiEENSC_INSA_10device_ptrIiEEEESG_SG_EENS0_5tupleIJPiSJ_EEENSR_IJSJ_SJ_EEES6_PlJS6_EEE10hipError_tPvRmT3_T4_T5_T6_T7_T9_mT8_P12ihipStream_tbDpT10_ENKUlT_T0_E_clISt17integral_constantIbLb0EES1E_IbLb1EEEEDaS1A_S1B_EUlS1A_E_NS1_11comp_targetILNS1_3genE9ELNS1_11target_archE1100ELNS1_3gpuE3ELNS1_3repE0EEENS1_30default_config_static_selectorELNS0_4arch9wavefront6targetE1EEEvT1_: ; @_ZN7rocprim17ROCPRIM_400000_NS6detail17trampoline_kernelINS0_14default_configENS1_25partition_config_selectorILNS1_17partition_subalgoE2EiNS0_10empty_typeEbEEZZNS1_14partition_implILS5_2ELb0ES3_jN6thrust23THRUST_200600_302600_NS6detail15normal_iteratorINSA_7pointerIiNSA_11hip_rocprim3tagENSA_11use_defaultESG_EEEEPS6_NSA_18transform_iteratorINSA_8identityIiEENSC_INSA_10device_ptrIiEEEESG_SG_EENS0_5tupleIJPiSJ_EEENSR_IJSJ_SJ_EEES6_PlJS6_EEE10hipError_tPvRmT3_T4_T5_T6_T7_T9_mT8_P12ihipStream_tbDpT10_ENKUlT_T0_E_clISt17integral_constantIbLb0EES1E_IbLb1EEEEDaS1A_S1B_EUlS1A_E_NS1_11comp_targetILNS1_3genE9ELNS1_11target_archE1100ELNS1_3gpuE3ELNS1_3repE0EEENS1_30default_config_static_selectorELNS0_4arch9wavefront6targetE1EEEvT1_
; %bb.0:
	.section	.rodata,"a",@progbits
	.p2align	6, 0x0
	.amdhsa_kernel _ZN7rocprim17ROCPRIM_400000_NS6detail17trampoline_kernelINS0_14default_configENS1_25partition_config_selectorILNS1_17partition_subalgoE2EiNS0_10empty_typeEbEEZZNS1_14partition_implILS5_2ELb0ES3_jN6thrust23THRUST_200600_302600_NS6detail15normal_iteratorINSA_7pointerIiNSA_11hip_rocprim3tagENSA_11use_defaultESG_EEEEPS6_NSA_18transform_iteratorINSA_8identityIiEENSC_INSA_10device_ptrIiEEEESG_SG_EENS0_5tupleIJPiSJ_EEENSR_IJSJ_SJ_EEES6_PlJS6_EEE10hipError_tPvRmT3_T4_T5_T6_T7_T9_mT8_P12ihipStream_tbDpT10_ENKUlT_T0_E_clISt17integral_constantIbLb0EES1E_IbLb1EEEEDaS1A_S1B_EUlS1A_E_NS1_11comp_targetILNS1_3genE9ELNS1_11target_archE1100ELNS1_3gpuE3ELNS1_3repE0EEENS1_30default_config_static_selectorELNS0_4arch9wavefront6targetE1EEEvT1_
		.amdhsa_group_segment_fixed_size 0
		.amdhsa_private_segment_fixed_size 0
		.amdhsa_kernarg_size 144
		.amdhsa_user_sgpr_count 6
		.amdhsa_user_sgpr_private_segment_buffer 1
		.amdhsa_user_sgpr_dispatch_ptr 0
		.amdhsa_user_sgpr_queue_ptr 0
		.amdhsa_user_sgpr_kernarg_segment_ptr 1
		.amdhsa_user_sgpr_dispatch_id 0
		.amdhsa_user_sgpr_flat_scratch_init 0
		.amdhsa_user_sgpr_kernarg_preload_length 0
		.amdhsa_user_sgpr_kernarg_preload_offset 0
		.amdhsa_user_sgpr_private_segment_size 0
		.amdhsa_uses_dynamic_stack 0
		.amdhsa_system_sgpr_private_segment_wavefront_offset 0
		.amdhsa_system_sgpr_workgroup_id_x 1
		.amdhsa_system_sgpr_workgroup_id_y 0
		.amdhsa_system_sgpr_workgroup_id_z 0
		.amdhsa_system_sgpr_workgroup_info 0
		.amdhsa_system_vgpr_workitem_id 0
		.amdhsa_next_free_vgpr 1
		.amdhsa_next_free_sgpr 0
		.amdhsa_accum_offset 4
		.amdhsa_reserve_vcc 0
		.amdhsa_reserve_flat_scratch 0
		.amdhsa_float_round_mode_32 0
		.amdhsa_float_round_mode_16_64 0
		.amdhsa_float_denorm_mode_32 3
		.amdhsa_float_denorm_mode_16_64 3
		.amdhsa_dx10_clamp 1
		.amdhsa_ieee_mode 1
		.amdhsa_fp16_overflow 0
		.amdhsa_tg_split 0
		.amdhsa_exception_fp_ieee_invalid_op 0
		.amdhsa_exception_fp_denorm_src 0
		.amdhsa_exception_fp_ieee_div_zero 0
		.amdhsa_exception_fp_ieee_overflow 0
		.amdhsa_exception_fp_ieee_underflow 0
		.amdhsa_exception_fp_ieee_inexact 0
		.amdhsa_exception_int_div_zero 0
	.end_amdhsa_kernel
	.section	.text._ZN7rocprim17ROCPRIM_400000_NS6detail17trampoline_kernelINS0_14default_configENS1_25partition_config_selectorILNS1_17partition_subalgoE2EiNS0_10empty_typeEbEEZZNS1_14partition_implILS5_2ELb0ES3_jN6thrust23THRUST_200600_302600_NS6detail15normal_iteratorINSA_7pointerIiNSA_11hip_rocprim3tagENSA_11use_defaultESG_EEEEPS6_NSA_18transform_iteratorINSA_8identityIiEENSC_INSA_10device_ptrIiEEEESG_SG_EENS0_5tupleIJPiSJ_EEENSR_IJSJ_SJ_EEES6_PlJS6_EEE10hipError_tPvRmT3_T4_T5_T6_T7_T9_mT8_P12ihipStream_tbDpT10_ENKUlT_T0_E_clISt17integral_constantIbLb0EES1E_IbLb1EEEEDaS1A_S1B_EUlS1A_E_NS1_11comp_targetILNS1_3genE9ELNS1_11target_archE1100ELNS1_3gpuE3ELNS1_3repE0EEENS1_30default_config_static_selectorELNS0_4arch9wavefront6targetE1EEEvT1_,"axG",@progbits,_ZN7rocprim17ROCPRIM_400000_NS6detail17trampoline_kernelINS0_14default_configENS1_25partition_config_selectorILNS1_17partition_subalgoE2EiNS0_10empty_typeEbEEZZNS1_14partition_implILS5_2ELb0ES3_jN6thrust23THRUST_200600_302600_NS6detail15normal_iteratorINSA_7pointerIiNSA_11hip_rocprim3tagENSA_11use_defaultESG_EEEEPS6_NSA_18transform_iteratorINSA_8identityIiEENSC_INSA_10device_ptrIiEEEESG_SG_EENS0_5tupleIJPiSJ_EEENSR_IJSJ_SJ_EEES6_PlJS6_EEE10hipError_tPvRmT3_T4_T5_T6_T7_T9_mT8_P12ihipStream_tbDpT10_ENKUlT_T0_E_clISt17integral_constantIbLb0EES1E_IbLb1EEEEDaS1A_S1B_EUlS1A_E_NS1_11comp_targetILNS1_3genE9ELNS1_11target_archE1100ELNS1_3gpuE3ELNS1_3repE0EEENS1_30default_config_static_selectorELNS0_4arch9wavefront6targetE1EEEvT1_,comdat
.Lfunc_end543:
	.size	_ZN7rocprim17ROCPRIM_400000_NS6detail17trampoline_kernelINS0_14default_configENS1_25partition_config_selectorILNS1_17partition_subalgoE2EiNS0_10empty_typeEbEEZZNS1_14partition_implILS5_2ELb0ES3_jN6thrust23THRUST_200600_302600_NS6detail15normal_iteratorINSA_7pointerIiNSA_11hip_rocprim3tagENSA_11use_defaultESG_EEEEPS6_NSA_18transform_iteratorINSA_8identityIiEENSC_INSA_10device_ptrIiEEEESG_SG_EENS0_5tupleIJPiSJ_EEENSR_IJSJ_SJ_EEES6_PlJS6_EEE10hipError_tPvRmT3_T4_T5_T6_T7_T9_mT8_P12ihipStream_tbDpT10_ENKUlT_T0_E_clISt17integral_constantIbLb0EES1E_IbLb1EEEEDaS1A_S1B_EUlS1A_E_NS1_11comp_targetILNS1_3genE9ELNS1_11target_archE1100ELNS1_3gpuE3ELNS1_3repE0EEENS1_30default_config_static_selectorELNS0_4arch9wavefront6targetE1EEEvT1_, .Lfunc_end543-_ZN7rocprim17ROCPRIM_400000_NS6detail17trampoline_kernelINS0_14default_configENS1_25partition_config_selectorILNS1_17partition_subalgoE2EiNS0_10empty_typeEbEEZZNS1_14partition_implILS5_2ELb0ES3_jN6thrust23THRUST_200600_302600_NS6detail15normal_iteratorINSA_7pointerIiNSA_11hip_rocprim3tagENSA_11use_defaultESG_EEEEPS6_NSA_18transform_iteratorINSA_8identityIiEENSC_INSA_10device_ptrIiEEEESG_SG_EENS0_5tupleIJPiSJ_EEENSR_IJSJ_SJ_EEES6_PlJS6_EEE10hipError_tPvRmT3_T4_T5_T6_T7_T9_mT8_P12ihipStream_tbDpT10_ENKUlT_T0_E_clISt17integral_constantIbLb0EES1E_IbLb1EEEEDaS1A_S1B_EUlS1A_E_NS1_11comp_targetILNS1_3genE9ELNS1_11target_archE1100ELNS1_3gpuE3ELNS1_3repE0EEENS1_30default_config_static_selectorELNS0_4arch9wavefront6targetE1EEEvT1_
                                        ; -- End function
	.section	.AMDGPU.csdata,"",@progbits
; Kernel info:
; codeLenInByte = 0
; NumSgprs: 4
; NumVgprs: 0
; NumAgprs: 0
; TotalNumVgprs: 0
; ScratchSize: 0
; MemoryBound: 0
; FloatMode: 240
; IeeeMode: 1
; LDSByteSize: 0 bytes/workgroup (compile time only)
; SGPRBlocks: 0
; VGPRBlocks: 0
; NumSGPRsForWavesPerEU: 4
; NumVGPRsForWavesPerEU: 1
; AccumOffset: 4
; Occupancy: 8
; WaveLimiterHint : 0
; COMPUTE_PGM_RSRC2:SCRATCH_EN: 0
; COMPUTE_PGM_RSRC2:USER_SGPR: 6
; COMPUTE_PGM_RSRC2:TRAP_HANDLER: 0
; COMPUTE_PGM_RSRC2:TGID_X_EN: 1
; COMPUTE_PGM_RSRC2:TGID_Y_EN: 0
; COMPUTE_PGM_RSRC2:TGID_Z_EN: 0
; COMPUTE_PGM_RSRC2:TIDIG_COMP_CNT: 0
; COMPUTE_PGM_RSRC3_GFX90A:ACCUM_OFFSET: 0
; COMPUTE_PGM_RSRC3_GFX90A:TG_SPLIT: 0
	.section	.text._ZN7rocprim17ROCPRIM_400000_NS6detail17trampoline_kernelINS0_14default_configENS1_25partition_config_selectorILNS1_17partition_subalgoE2EiNS0_10empty_typeEbEEZZNS1_14partition_implILS5_2ELb0ES3_jN6thrust23THRUST_200600_302600_NS6detail15normal_iteratorINSA_7pointerIiNSA_11hip_rocprim3tagENSA_11use_defaultESG_EEEEPS6_NSA_18transform_iteratorINSA_8identityIiEENSC_INSA_10device_ptrIiEEEESG_SG_EENS0_5tupleIJPiSJ_EEENSR_IJSJ_SJ_EEES6_PlJS6_EEE10hipError_tPvRmT3_T4_T5_T6_T7_T9_mT8_P12ihipStream_tbDpT10_ENKUlT_T0_E_clISt17integral_constantIbLb0EES1E_IbLb1EEEEDaS1A_S1B_EUlS1A_E_NS1_11comp_targetILNS1_3genE8ELNS1_11target_archE1030ELNS1_3gpuE2ELNS1_3repE0EEENS1_30default_config_static_selectorELNS0_4arch9wavefront6targetE1EEEvT1_,"axG",@progbits,_ZN7rocprim17ROCPRIM_400000_NS6detail17trampoline_kernelINS0_14default_configENS1_25partition_config_selectorILNS1_17partition_subalgoE2EiNS0_10empty_typeEbEEZZNS1_14partition_implILS5_2ELb0ES3_jN6thrust23THRUST_200600_302600_NS6detail15normal_iteratorINSA_7pointerIiNSA_11hip_rocprim3tagENSA_11use_defaultESG_EEEEPS6_NSA_18transform_iteratorINSA_8identityIiEENSC_INSA_10device_ptrIiEEEESG_SG_EENS0_5tupleIJPiSJ_EEENSR_IJSJ_SJ_EEES6_PlJS6_EEE10hipError_tPvRmT3_T4_T5_T6_T7_T9_mT8_P12ihipStream_tbDpT10_ENKUlT_T0_E_clISt17integral_constantIbLb0EES1E_IbLb1EEEEDaS1A_S1B_EUlS1A_E_NS1_11comp_targetILNS1_3genE8ELNS1_11target_archE1030ELNS1_3gpuE2ELNS1_3repE0EEENS1_30default_config_static_selectorELNS0_4arch9wavefront6targetE1EEEvT1_,comdat
	.protected	_ZN7rocprim17ROCPRIM_400000_NS6detail17trampoline_kernelINS0_14default_configENS1_25partition_config_selectorILNS1_17partition_subalgoE2EiNS0_10empty_typeEbEEZZNS1_14partition_implILS5_2ELb0ES3_jN6thrust23THRUST_200600_302600_NS6detail15normal_iteratorINSA_7pointerIiNSA_11hip_rocprim3tagENSA_11use_defaultESG_EEEEPS6_NSA_18transform_iteratorINSA_8identityIiEENSC_INSA_10device_ptrIiEEEESG_SG_EENS0_5tupleIJPiSJ_EEENSR_IJSJ_SJ_EEES6_PlJS6_EEE10hipError_tPvRmT3_T4_T5_T6_T7_T9_mT8_P12ihipStream_tbDpT10_ENKUlT_T0_E_clISt17integral_constantIbLb0EES1E_IbLb1EEEEDaS1A_S1B_EUlS1A_E_NS1_11comp_targetILNS1_3genE8ELNS1_11target_archE1030ELNS1_3gpuE2ELNS1_3repE0EEENS1_30default_config_static_selectorELNS0_4arch9wavefront6targetE1EEEvT1_ ; -- Begin function _ZN7rocprim17ROCPRIM_400000_NS6detail17trampoline_kernelINS0_14default_configENS1_25partition_config_selectorILNS1_17partition_subalgoE2EiNS0_10empty_typeEbEEZZNS1_14partition_implILS5_2ELb0ES3_jN6thrust23THRUST_200600_302600_NS6detail15normal_iteratorINSA_7pointerIiNSA_11hip_rocprim3tagENSA_11use_defaultESG_EEEEPS6_NSA_18transform_iteratorINSA_8identityIiEENSC_INSA_10device_ptrIiEEEESG_SG_EENS0_5tupleIJPiSJ_EEENSR_IJSJ_SJ_EEES6_PlJS6_EEE10hipError_tPvRmT3_T4_T5_T6_T7_T9_mT8_P12ihipStream_tbDpT10_ENKUlT_T0_E_clISt17integral_constantIbLb0EES1E_IbLb1EEEEDaS1A_S1B_EUlS1A_E_NS1_11comp_targetILNS1_3genE8ELNS1_11target_archE1030ELNS1_3gpuE2ELNS1_3repE0EEENS1_30default_config_static_selectorELNS0_4arch9wavefront6targetE1EEEvT1_
	.globl	_ZN7rocprim17ROCPRIM_400000_NS6detail17trampoline_kernelINS0_14default_configENS1_25partition_config_selectorILNS1_17partition_subalgoE2EiNS0_10empty_typeEbEEZZNS1_14partition_implILS5_2ELb0ES3_jN6thrust23THRUST_200600_302600_NS6detail15normal_iteratorINSA_7pointerIiNSA_11hip_rocprim3tagENSA_11use_defaultESG_EEEEPS6_NSA_18transform_iteratorINSA_8identityIiEENSC_INSA_10device_ptrIiEEEESG_SG_EENS0_5tupleIJPiSJ_EEENSR_IJSJ_SJ_EEES6_PlJS6_EEE10hipError_tPvRmT3_T4_T5_T6_T7_T9_mT8_P12ihipStream_tbDpT10_ENKUlT_T0_E_clISt17integral_constantIbLb0EES1E_IbLb1EEEEDaS1A_S1B_EUlS1A_E_NS1_11comp_targetILNS1_3genE8ELNS1_11target_archE1030ELNS1_3gpuE2ELNS1_3repE0EEENS1_30default_config_static_selectorELNS0_4arch9wavefront6targetE1EEEvT1_
	.p2align	8
	.type	_ZN7rocprim17ROCPRIM_400000_NS6detail17trampoline_kernelINS0_14default_configENS1_25partition_config_selectorILNS1_17partition_subalgoE2EiNS0_10empty_typeEbEEZZNS1_14partition_implILS5_2ELb0ES3_jN6thrust23THRUST_200600_302600_NS6detail15normal_iteratorINSA_7pointerIiNSA_11hip_rocprim3tagENSA_11use_defaultESG_EEEEPS6_NSA_18transform_iteratorINSA_8identityIiEENSC_INSA_10device_ptrIiEEEESG_SG_EENS0_5tupleIJPiSJ_EEENSR_IJSJ_SJ_EEES6_PlJS6_EEE10hipError_tPvRmT3_T4_T5_T6_T7_T9_mT8_P12ihipStream_tbDpT10_ENKUlT_T0_E_clISt17integral_constantIbLb0EES1E_IbLb1EEEEDaS1A_S1B_EUlS1A_E_NS1_11comp_targetILNS1_3genE8ELNS1_11target_archE1030ELNS1_3gpuE2ELNS1_3repE0EEENS1_30default_config_static_selectorELNS0_4arch9wavefront6targetE1EEEvT1_,@function
_ZN7rocprim17ROCPRIM_400000_NS6detail17trampoline_kernelINS0_14default_configENS1_25partition_config_selectorILNS1_17partition_subalgoE2EiNS0_10empty_typeEbEEZZNS1_14partition_implILS5_2ELb0ES3_jN6thrust23THRUST_200600_302600_NS6detail15normal_iteratorINSA_7pointerIiNSA_11hip_rocprim3tagENSA_11use_defaultESG_EEEEPS6_NSA_18transform_iteratorINSA_8identityIiEENSC_INSA_10device_ptrIiEEEESG_SG_EENS0_5tupleIJPiSJ_EEENSR_IJSJ_SJ_EEES6_PlJS6_EEE10hipError_tPvRmT3_T4_T5_T6_T7_T9_mT8_P12ihipStream_tbDpT10_ENKUlT_T0_E_clISt17integral_constantIbLb0EES1E_IbLb1EEEEDaS1A_S1B_EUlS1A_E_NS1_11comp_targetILNS1_3genE8ELNS1_11target_archE1030ELNS1_3gpuE2ELNS1_3repE0EEENS1_30default_config_static_selectorELNS0_4arch9wavefront6targetE1EEEvT1_: ; @_ZN7rocprim17ROCPRIM_400000_NS6detail17trampoline_kernelINS0_14default_configENS1_25partition_config_selectorILNS1_17partition_subalgoE2EiNS0_10empty_typeEbEEZZNS1_14partition_implILS5_2ELb0ES3_jN6thrust23THRUST_200600_302600_NS6detail15normal_iteratorINSA_7pointerIiNSA_11hip_rocprim3tagENSA_11use_defaultESG_EEEEPS6_NSA_18transform_iteratorINSA_8identityIiEENSC_INSA_10device_ptrIiEEEESG_SG_EENS0_5tupleIJPiSJ_EEENSR_IJSJ_SJ_EEES6_PlJS6_EEE10hipError_tPvRmT3_T4_T5_T6_T7_T9_mT8_P12ihipStream_tbDpT10_ENKUlT_T0_E_clISt17integral_constantIbLb0EES1E_IbLb1EEEEDaS1A_S1B_EUlS1A_E_NS1_11comp_targetILNS1_3genE8ELNS1_11target_archE1030ELNS1_3gpuE2ELNS1_3repE0EEENS1_30default_config_static_selectorELNS0_4arch9wavefront6targetE1EEEvT1_
; %bb.0:
	.section	.rodata,"a",@progbits
	.p2align	6, 0x0
	.amdhsa_kernel _ZN7rocprim17ROCPRIM_400000_NS6detail17trampoline_kernelINS0_14default_configENS1_25partition_config_selectorILNS1_17partition_subalgoE2EiNS0_10empty_typeEbEEZZNS1_14partition_implILS5_2ELb0ES3_jN6thrust23THRUST_200600_302600_NS6detail15normal_iteratorINSA_7pointerIiNSA_11hip_rocprim3tagENSA_11use_defaultESG_EEEEPS6_NSA_18transform_iteratorINSA_8identityIiEENSC_INSA_10device_ptrIiEEEESG_SG_EENS0_5tupleIJPiSJ_EEENSR_IJSJ_SJ_EEES6_PlJS6_EEE10hipError_tPvRmT3_T4_T5_T6_T7_T9_mT8_P12ihipStream_tbDpT10_ENKUlT_T0_E_clISt17integral_constantIbLb0EES1E_IbLb1EEEEDaS1A_S1B_EUlS1A_E_NS1_11comp_targetILNS1_3genE8ELNS1_11target_archE1030ELNS1_3gpuE2ELNS1_3repE0EEENS1_30default_config_static_selectorELNS0_4arch9wavefront6targetE1EEEvT1_
		.amdhsa_group_segment_fixed_size 0
		.amdhsa_private_segment_fixed_size 0
		.amdhsa_kernarg_size 144
		.amdhsa_user_sgpr_count 6
		.amdhsa_user_sgpr_private_segment_buffer 1
		.amdhsa_user_sgpr_dispatch_ptr 0
		.amdhsa_user_sgpr_queue_ptr 0
		.amdhsa_user_sgpr_kernarg_segment_ptr 1
		.amdhsa_user_sgpr_dispatch_id 0
		.amdhsa_user_sgpr_flat_scratch_init 0
		.amdhsa_user_sgpr_kernarg_preload_length 0
		.amdhsa_user_sgpr_kernarg_preload_offset 0
		.amdhsa_user_sgpr_private_segment_size 0
		.amdhsa_uses_dynamic_stack 0
		.amdhsa_system_sgpr_private_segment_wavefront_offset 0
		.amdhsa_system_sgpr_workgroup_id_x 1
		.amdhsa_system_sgpr_workgroup_id_y 0
		.amdhsa_system_sgpr_workgroup_id_z 0
		.amdhsa_system_sgpr_workgroup_info 0
		.amdhsa_system_vgpr_workitem_id 0
		.amdhsa_next_free_vgpr 1
		.amdhsa_next_free_sgpr 0
		.amdhsa_accum_offset 4
		.amdhsa_reserve_vcc 0
		.amdhsa_reserve_flat_scratch 0
		.amdhsa_float_round_mode_32 0
		.amdhsa_float_round_mode_16_64 0
		.amdhsa_float_denorm_mode_32 3
		.amdhsa_float_denorm_mode_16_64 3
		.amdhsa_dx10_clamp 1
		.amdhsa_ieee_mode 1
		.amdhsa_fp16_overflow 0
		.amdhsa_tg_split 0
		.amdhsa_exception_fp_ieee_invalid_op 0
		.amdhsa_exception_fp_denorm_src 0
		.amdhsa_exception_fp_ieee_div_zero 0
		.amdhsa_exception_fp_ieee_overflow 0
		.amdhsa_exception_fp_ieee_underflow 0
		.amdhsa_exception_fp_ieee_inexact 0
		.amdhsa_exception_int_div_zero 0
	.end_amdhsa_kernel
	.section	.text._ZN7rocprim17ROCPRIM_400000_NS6detail17trampoline_kernelINS0_14default_configENS1_25partition_config_selectorILNS1_17partition_subalgoE2EiNS0_10empty_typeEbEEZZNS1_14partition_implILS5_2ELb0ES3_jN6thrust23THRUST_200600_302600_NS6detail15normal_iteratorINSA_7pointerIiNSA_11hip_rocprim3tagENSA_11use_defaultESG_EEEEPS6_NSA_18transform_iteratorINSA_8identityIiEENSC_INSA_10device_ptrIiEEEESG_SG_EENS0_5tupleIJPiSJ_EEENSR_IJSJ_SJ_EEES6_PlJS6_EEE10hipError_tPvRmT3_T4_T5_T6_T7_T9_mT8_P12ihipStream_tbDpT10_ENKUlT_T0_E_clISt17integral_constantIbLb0EES1E_IbLb1EEEEDaS1A_S1B_EUlS1A_E_NS1_11comp_targetILNS1_3genE8ELNS1_11target_archE1030ELNS1_3gpuE2ELNS1_3repE0EEENS1_30default_config_static_selectorELNS0_4arch9wavefront6targetE1EEEvT1_,"axG",@progbits,_ZN7rocprim17ROCPRIM_400000_NS6detail17trampoline_kernelINS0_14default_configENS1_25partition_config_selectorILNS1_17partition_subalgoE2EiNS0_10empty_typeEbEEZZNS1_14partition_implILS5_2ELb0ES3_jN6thrust23THRUST_200600_302600_NS6detail15normal_iteratorINSA_7pointerIiNSA_11hip_rocprim3tagENSA_11use_defaultESG_EEEEPS6_NSA_18transform_iteratorINSA_8identityIiEENSC_INSA_10device_ptrIiEEEESG_SG_EENS0_5tupleIJPiSJ_EEENSR_IJSJ_SJ_EEES6_PlJS6_EEE10hipError_tPvRmT3_T4_T5_T6_T7_T9_mT8_P12ihipStream_tbDpT10_ENKUlT_T0_E_clISt17integral_constantIbLb0EES1E_IbLb1EEEEDaS1A_S1B_EUlS1A_E_NS1_11comp_targetILNS1_3genE8ELNS1_11target_archE1030ELNS1_3gpuE2ELNS1_3repE0EEENS1_30default_config_static_selectorELNS0_4arch9wavefront6targetE1EEEvT1_,comdat
.Lfunc_end544:
	.size	_ZN7rocprim17ROCPRIM_400000_NS6detail17trampoline_kernelINS0_14default_configENS1_25partition_config_selectorILNS1_17partition_subalgoE2EiNS0_10empty_typeEbEEZZNS1_14partition_implILS5_2ELb0ES3_jN6thrust23THRUST_200600_302600_NS6detail15normal_iteratorINSA_7pointerIiNSA_11hip_rocprim3tagENSA_11use_defaultESG_EEEEPS6_NSA_18transform_iteratorINSA_8identityIiEENSC_INSA_10device_ptrIiEEEESG_SG_EENS0_5tupleIJPiSJ_EEENSR_IJSJ_SJ_EEES6_PlJS6_EEE10hipError_tPvRmT3_T4_T5_T6_T7_T9_mT8_P12ihipStream_tbDpT10_ENKUlT_T0_E_clISt17integral_constantIbLb0EES1E_IbLb1EEEEDaS1A_S1B_EUlS1A_E_NS1_11comp_targetILNS1_3genE8ELNS1_11target_archE1030ELNS1_3gpuE2ELNS1_3repE0EEENS1_30default_config_static_selectorELNS0_4arch9wavefront6targetE1EEEvT1_, .Lfunc_end544-_ZN7rocprim17ROCPRIM_400000_NS6detail17trampoline_kernelINS0_14default_configENS1_25partition_config_selectorILNS1_17partition_subalgoE2EiNS0_10empty_typeEbEEZZNS1_14partition_implILS5_2ELb0ES3_jN6thrust23THRUST_200600_302600_NS6detail15normal_iteratorINSA_7pointerIiNSA_11hip_rocprim3tagENSA_11use_defaultESG_EEEEPS6_NSA_18transform_iteratorINSA_8identityIiEENSC_INSA_10device_ptrIiEEEESG_SG_EENS0_5tupleIJPiSJ_EEENSR_IJSJ_SJ_EEES6_PlJS6_EEE10hipError_tPvRmT3_T4_T5_T6_T7_T9_mT8_P12ihipStream_tbDpT10_ENKUlT_T0_E_clISt17integral_constantIbLb0EES1E_IbLb1EEEEDaS1A_S1B_EUlS1A_E_NS1_11comp_targetILNS1_3genE8ELNS1_11target_archE1030ELNS1_3gpuE2ELNS1_3repE0EEENS1_30default_config_static_selectorELNS0_4arch9wavefront6targetE1EEEvT1_
                                        ; -- End function
	.section	.AMDGPU.csdata,"",@progbits
; Kernel info:
; codeLenInByte = 0
; NumSgprs: 4
; NumVgprs: 0
; NumAgprs: 0
; TotalNumVgprs: 0
; ScratchSize: 0
; MemoryBound: 0
; FloatMode: 240
; IeeeMode: 1
; LDSByteSize: 0 bytes/workgroup (compile time only)
; SGPRBlocks: 0
; VGPRBlocks: 0
; NumSGPRsForWavesPerEU: 4
; NumVGPRsForWavesPerEU: 1
; AccumOffset: 4
; Occupancy: 8
; WaveLimiterHint : 0
; COMPUTE_PGM_RSRC2:SCRATCH_EN: 0
; COMPUTE_PGM_RSRC2:USER_SGPR: 6
; COMPUTE_PGM_RSRC2:TRAP_HANDLER: 0
; COMPUTE_PGM_RSRC2:TGID_X_EN: 1
; COMPUTE_PGM_RSRC2:TGID_Y_EN: 0
; COMPUTE_PGM_RSRC2:TGID_Z_EN: 0
; COMPUTE_PGM_RSRC2:TIDIG_COMP_CNT: 0
; COMPUTE_PGM_RSRC3_GFX90A:ACCUM_OFFSET: 0
; COMPUTE_PGM_RSRC3_GFX90A:TG_SPLIT: 0
	.section	.text._ZN7rocprim17ROCPRIM_400000_NS6detail17trampoline_kernelINS0_14default_configENS1_25partition_config_selectorILNS1_17partition_subalgoE2EsNS0_10empty_typeEbEEZZNS1_14partition_implILS5_2ELb0ES3_jN6thrust23THRUST_200600_302600_NS6detail15normal_iteratorINSA_7pointerIsNSA_11hip_rocprim3tagENSA_11use_defaultESG_EEEEPS6_NSA_18transform_iteratorINSA_8identityIsEENSC_INSA_10device_ptrIsEEEESG_SG_EENS0_5tupleIJPsSJ_EEENSR_IJSJ_SJ_EEES6_PlJS6_EEE10hipError_tPvRmT3_T4_T5_T6_T7_T9_mT8_P12ihipStream_tbDpT10_ENKUlT_T0_E_clISt17integral_constantIbLb0EES1F_EEDaS1A_S1B_EUlS1A_E_NS1_11comp_targetILNS1_3genE0ELNS1_11target_archE4294967295ELNS1_3gpuE0ELNS1_3repE0EEENS1_30default_config_static_selectorELNS0_4arch9wavefront6targetE1EEEvT1_,"axG",@progbits,_ZN7rocprim17ROCPRIM_400000_NS6detail17trampoline_kernelINS0_14default_configENS1_25partition_config_selectorILNS1_17partition_subalgoE2EsNS0_10empty_typeEbEEZZNS1_14partition_implILS5_2ELb0ES3_jN6thrust23THRUST_200600_302600_NS6detail15normal_iteratorINSA_7pointerIsNSA_11hip_rocprim3tagENSA_11use_defaultESG_EEEEPS6_NSA_18transform_iteratorINSA_8identityIsEENSC_INSA_10device_ptrIsEEEESG_SG_EENS0_5tupleIJPsSJ_EEENSR_IJSJ_SJ_EEES6_PlJS6_EEE10hipError_tPvRmT3_T4_T5_T6_T7_T9_mT8_P12ihipStream_tbDpT10_ENKUlT_T0_E_clISt17integral_constantIbLb0EES1F_EEDaS1A_S1B_EUlS1A_E_NS1_11comp_targetILNS1_3genE0ELNS1_11target_archE4294967295ELNS1_3gpuE0ELNS1_3repE0EEENS1_30default_config_static_selectorELNS0_4arch9wavefront6targetE1EEEvT1_,comdat
	.protected	_ZN7rocprim17ROCPRIM_400000_NS6detail17trampoline_kernelINS0_14default_configENS1_25partition_config_selectorILNS1_17partition_subalgoE2EsNS0_10empty_typeEbEEZZNS1_14partition_implILS5_2ELb0ES3_jN6thrust23THRUST_200600_302600_NS6detail15normal_iteratorINSA_7pointerIsNSA_11hip_rocprim3tagENSA_11use_defaultESG_EEEEPS6_NSA_18transform_iteratorINSA_8identityIsEENSC_INSA_10device_ptrIsEEEESG_SG_EENS0_5tupleIJPsSJ_EEENSR_IJSJ_SJ_EEES6_PlJS6_EEE10hipError_tPvRmT3_T4_T5_T6_T7_T9_mT8_P12ihipStream_tbDpT10_ENKUlT_T0_E_clISt17integral_constantIbLb0EES1F_EEDaS1A_S1B_EUlS1A_E_NS1_11comp_targetILNS1_3genE0ELNS1_11target_archE4294967295ELNS1_3gpuE0ELNS1_3repE0EEENS1_30default_config_static_selectorELNS0_4arch9wavefront6targetE1EEEvT1_ ; -- Begin function _ZN7rocprim17ROCPRIM_400000_NS6detail17trampoline_kernelINS0_14default_configENS1_25partition_config_selectorILNS1_17partition_subalgoE2EsNS0_10empty_typeEbEEZZNS1_14partition_implILS5_2ELb0ES3_jN6thrust23THRUST_200600_302600_NS6detail15normal_iteratorINSA_7pointerIsNSA_11hip_rocprim3tagENSA_11use_defaultESG_EEEEPS6_NSA_18transform_iteratorINSA_8identityIsEENSC_INSA_10device_ptrIsEEEESG_SG_EENS0_5tupleIJPsSJ_EEENSR_IJSJ_SJ_EEES6_PlJS6_EEE10hipError_tPvRmT3_T4_T5_T6_T7_T9_mT8_P12ihipStream_tbDpT10_ENKUlT_T0_E_clISt17integral_constantIbLb0EES1F_EEDaS1A_S1B_EUlS1A_E_NS1_11comp_targetILNS1_3genE0ELNS1_11target_archE4294967295ELNS1_3gpuE0ELNS1_3repE0EEENS1_30default_config_static_selectorELNS0_4arch9wavefront6targetE1EEEvT1_
	.globl	_ZN7rocprim17ROCPRIM_400000_NS6detail17trampoline_kernelINS0_14default_configENS1_25partition_config_selectorILNS1_17partition_subalgoE2EsNS0_10empty_typeEbEEZZNS1_14partition_implILS5_2ELb0ES3_jN6thrust23THRUST_200600_302600_NS6detail15normal_iteratorINSA_7pointerIsNSA_11hip_rocprim3tagENSA_11use_defaultESG_EEEEPS6_NSA_18transform_iteratorINSA_8identityIsEENSC_INSA_10device_ptrIsEEEESG_SG_EENS0_5tupleIJPsSJ_EEENSR_IJSJ_SJ_EEES6_PlJS6_EEE10hipError_tPvRmT3_T4_T5_T6_T7_T9_mT8_P12ihipStream_tbDpT10_ENKUlT_T0_E_clISt17integral_constantIbLb0EES1F_EEDaS1A_S1B_EUlS1A_E_NS1_11comp_targetILNS1_3genE0ELNS1_11target_archE4294967295ELNS1_3gpuE0ELNS1_3repE0EEENS1_30default_config_static_selectorELNS0_4arch9wavefront6targetE1EEEvT1_
	.p2align	8
	.type	_ZN7rocprim17ROCPRIM_400000_NS6detail17trampoline_kernelINS0_14default_configENS1_25partition_config_selectorILNS1_17partition_subalgoE2EsNS0_10empty_typeEbEEZZNS1_14partition_implILS5_2ELb0ES3_jN6thrust23THRUST_200600_302600_NS6detail15normal_iteratorINSA_7pointerIsNSA_11hip_rocprim3tagENSA_11use_defaultESG_EEEEPS6_NSA_18transform_iteratorINSA_8identityIsEENSC_INSA_10device_ptrIsEEEESG_SG_EENS0_5tupleIJPsSJ_EEENSR_IJSJ_SJ_EEES6_PlJS6_EEE10hipError_tPvRmT3_T4_T5_T6_T7_T9_mT8_P12ihipStream_tbDpT10_ENKUlT_T0_E_clISt17integral_constantIbLb0EES1F_EEDaS1A_S1B_EUlS1A_E_NS1_11comp_targetILNS1_3genE0ELNS1_11target_archE4294967295ELNS1_3gpuE0ELNS1_3repE0EEENS1_30default_config_static_selectorELNS0_4arch9wavefront6targetE1EEEvT1_,@function
_ZN7rocprim17ROCPRIM_400000_NS6detail17trampoline_kernelINS0_14default_configENS1_25partition_config_selectorILNS1_17partition_subalgoE2EsNS0_10empty_typeEbEEZZNS1_14partition_implILS5_2ELb0ES3_jN6thrust23THRUST_200600_302600_NS6detail15normal_iteratorINSA_7pointerIsNSA_11hip_rocprim3tagENSA_11use_defaultESG_EEEEPS6_NSA_18transform_iteratorINSA_8identityIsEENSC_INSA_10device_ptrIsEEEESG_SG_EENS0_5tupleIJPsSJ_EEENSR_IJSJ_SJ_EEES6_PlJS6_EEE10hipError_tPvRmT3_T4_T5_T6_T7_T9_mT8_P12ihipStream_tbDpT10_ENKUlT_T0_E_clISt17integral_constantIbLb0EES1F_EEDaS1A_S1B_EUlS1A_E_NS1_11comp_targetILNS1_3genE0ELNS1_11target_archE4294967295ELNS1_3gpuE0ELNS1_3repE0EEENS1_30default_config_static_selectorELNS0_4arch9wavefront6targetE1EEEvT1_: ; @_ZN7rocprim17ROCPRIM_400000_NS6detail17trampoline_kernelINS0_14default_configENS1_25partition_config_selectorILNS1_17partition_subalgoE2EsNS0_10empty_typeEbEEZZNS1_14partition_implILS5_2ELb0ES3_jN6thrust23THRUST_200600_302600_NS6detail15normal_iteratorINSA_7pointerIsNSA_11hip_rocprim3tagENSA_11use_defaultESG_EEEEPS6_NSA_18transform_iteratorINSA_8identityIsEENSC_INSA_10device_ptrIsEEEESG_SG_EENS0_5tupleIJPsSJ_EEENSR_IJSJ_SJ_EEES6_PlJS6_EEE10hipError_tPvRmT3_T4_T5_T6_T7_T9_mT8_P12ihipStream_tbDpT10_ENKUlT_T0_E_clISt17integral_constantIbLb0EES1F_EEDaS1A_S1B_EUlS1A_E_NS1_11comp_targetILNS1_3genE0ELNS1_11target_archE4294967295ELNS1_3gpuE0ELNS1_3repE0EEENS1_30default_config_static_selectorELNS0_4arch9wavefront6targetE1EEEvT1_
; %bb.0:
	.section	.rodata,"a",@progbits
	.p2align	6, 0x0
	.amdhsa_kernel _ZN7rocprim17ROCPRIM_400000_NS6detail17trampoline_kernelINS0_14default_configENS1_25partition_config_selectorILNS1_17partition_subalgoE2EsNS0_10empty_typeEbEEZZNS1_14partition_implILS5_2ELb0ES3_jN6thrust23THRUST_200600_302600_NS6detail15normal_iteratorINSA_7pointerIsNSA_11hip_rocprim3tagENSA_11use_defaultESG_EEEEPS6_NSA_18transform_iteratorINSA_8identityIsEENSC_INSA_10device_ptrIsEEEESG_SG_EENS0_5tupleIJPsSJ_EEENSR_IJSJ_SJ_EEES6_PlJS6_EEE10hipError_tPvRmT3_T4_T5_T6_T7_T9_mT8_P12ihipStream_tbDpT10_ENKUlT_T0_E_clISt17integral_constantIbLb0EES1F_EEDaS1A_S1B_EUlS1A_E_NS1_11comp_targetILNS1_3genE0ELNS1_11target_archE4294967295ELNS1_3gpuE0ELNS1_3repE0EEENS1_30default_config_static_selectorELNS0_4arch9wavefront6targetE1EEEvT1_
		.amdhsa_group_segment_fixed_size 0
		.amdhsa_private_segment_fixed_size 0
		.amdhsa_kernarg_size 128
		.amdhsa_user_sgpr_count 6
		.amdhsa_user_sgpr_private_segment_buffer 1
		.amdhsa_user_sgpr_dispatch_ptr 0
		.amdhsa_user_sgpr_queue_ptr 0
		.amdhsa_user_sgpr_kernarg_segment_ptr 1
		.amdhsa_user_sgpr_dispatch_id 0
		.amdhsa_user_sgpr_flat_scratch_init 0
		.amdhsa_user_sgpr_kernarg_preload_length 0
		.amdhsa_user_sgpr_kernarg_preload_offset 0
		.amdhsa_user_sgpr_private_segment_size 0
		.amdhsa_uses_dynamic_stack 0
		.amdhsa_system_sgpr_private_segment_wavefront_offset 0
		.amdhsa_system_sgpr_workgroup_id_x 1
		.amdhsa_system_sgpr_workgroup_id_y 0
		.amdhsa_system_sgpr_workgroup_id_z 0
		.amdhsa_system_sgpr_workgroup_info 0
		.amdhsa_system_vgpr_workitem_id 0
		.amdhsa_next_free_vgpr 1
		.amdhsa_next_free_sgpr 0
		.amdhsa_accum_offset 4
		.amdhsa_reserve_vcc 0
		.amdhsa_reserve_flat_scratch 0
		.amdhsa_float_round_mode_32 0
		.amdhsa_float_round_mode_16_64 0
		.amdhsa_float_denorm_mode_32 3
		.amdhsa_float_denorm_mode_16_64 3
		.amdhsa_dx10_clamp 1
		.amdhsa_ieee_mode 1
		.amdhsa_fp16_overflow 0
		.amdhsa_tg_split 0
		.amdhsa_exception_fp_ieee_invalid_op 0
		.amdhsa_exception_fp_denorm_src 0
		.amdhsa_exception_fp_ieee_div_zero 0
		.amdhsa_exception_fp_ieee_overflow 0
		.amdhsa_exception_fp_ieee_underflow 0
		.amdhsa_exception_fp_ieee_inexact 0
		.amdhsa_exception_int_div_zero 0
	.end_amdhsa_kernel
	.section	.text._ZN7rocprim17ROCPRIM_400000_NS6detail17trampoline_kernelINS0_14default_configENS1_25partition_config_selectorILNS1_17partition_subalgoE2EsNS0_10empty_typeEbEEZZNS1_14partition_implILS5_2ELb0ES3_jN6thrust23THRUST_200600_302600_NS6detail15normal_iteratorINSA_7pointerIsNSA_11hip_rocprim3tagENSA_11use_defaultESG_EEEEPS6_NSA_18transform_iteratorINSA_8identityIsEENSC_INSA_10device_ptrIsEEEESG_SG_EENS0_5tupleIJPsSJ_EEENSR_IJSJ_SJ_EEES6_PlJS6_EEE10hipError_tPvRmT3_T4_T5_T6_T7_T9_mT8_P12ihipStream_tbDpT10_ENKUlT_T0_E_clISt17integral_constantIbLb0EES1F_EEDaS1A_S1B_EUlS1A_E_NS1_11comp_targetILNS1_3genE0ELNS1_11target_archE4294967295ELNS1_3gpuE0ELNS1_3repE0EEENS1_30default_config_static_selectorELNS0_4arch9wavefront6targetE1EEEvT1_,"axG",@progbits,_ZN7rocprim17ROCPRIM_400000_NS6detail17trampoline_kernelINS0_14default_configENS1_25partition_config_selectorILNS1_17partition_subalgoE2EsNS0_10empty_typeEbEEZZNS1_14partition_implILS5_2ELb0ES3_jN6thrust23THRUST_200600_302600_NS6detail15normal_iteratorINSA_7pointerIsNSA_11hip_rocprim3tagENSA_11use_defaultESG_EEEEPS6_NSA_18transform_iteratorINSA_8identityIsEENSC_INSA_10device_ptrIsEEEESG_SG_EENS0_5tupleIJPsSJ_EEENSR_IJSJ_SJ_EEES6_PlJS6_EEE10hipError_tPvRmT3_T4_T5_T6_T7_T9_mT8_P12ihipStream_tbDpT10_ENKUlT_T0_E_clISt17integral_constantIbLb0EES1F_EEDaS1A_S1B_EUlS1A_E_NS1_11comp_targetILNS1_3genE0ELNS1_11target_archE4294967295ELNS1_3gpuE0ELNS1_3repE0EEENS1_30default_config_static_selectorELNS0_4arch9wavefront6targetE1EEEvT1_,comdat
.Lfunc_end545:
	.size	_ZN7rocprim17ROCPRIM_400000_NS6detail17trampoline_kernelINS0_14default_configENS1_25partition_config_selectorILNS1_17partition_subalgoE2EsNS0_10empty_typeEbEEZZNS1_14partition_implILS5_2ELb0ES3_jN6thrust23THRUST_200600_302600_NS6detail15normal_iteratorINSA_7pointerIsNSA_11hip_rocprim3tagENSA_11use_defaultESG_EEEEPS6_NSA_18transform_iteratorINSA_8identityIsEENSC_INSA_10device_ptrIsEEEESG_SG_EENS0_5tupleIJPsSJ_EEENSR_IJSJ_SJ_EEES6_PlJS6_EEE10hipError_tPvRmT3_T4_T5_T6_T7_T9_mT8_P12ihipStream_tbDpT10_ENKUlT_T0_E_clISt17integral_constantIbLb0EES1F_EEDaS1A_S1B_EUlS1A_E_NS1_11comp_targetILNS1_3genE0ELNS1_11target_archE4294967295ELNS1_3gpuE0ELNS1_3repE0EEENS1_30default_config_static_selectorELNS0_4arch9wavefront6targetE1EEEvT1_, .Lfunc_end545-_ZN7rocprim17ROCPRIM_400000_NS6detail17trampoline_kernelINS0_14default_configENS1_25partition_config_selectorILNS1_17partition_subalgoE2EsNS0_10empty_typeEbEEZZNS1_14partition_implILS5_2ELb0ES3_jN6thrust23THRUST_200600_302600_NS6detail15normal_iteratorINSA_7pointerIsNSA_11hip_rocprim3tagENSA_11use_defaultESG_EEEEPS6_NSA_18transform_iteratorINSA_8identityIsEENSC_INSA_10device_ptrIsEEEESG_SG_EENS0_5tupleIJPsSJ_EEENSR_IJSJ_SJ_EEES6_PlJS6_EEE10hipError_tPvRmT3_T4_T5_T6_T7_T9_mT8_P12ihipStream_tbDpT10_ENKUlT_T0_E_clISt17integral_constantIbLb0EES1F_EEDaS1A_S1B_EUlS1A_E_NS1_11comp_targetILNS1_3genE0ELNS1_11target_archE4294967295ELNS1_3gpuE0ELNS1_3repE0EEENS1_30default_config_static_selectorELNS0_4arch9wavefront6targetE1EEEvT1_
                                        ; -- End function
	.section	.AMDGPU.csdata,"",@progbits
; Kernel info:
; codeLenInByte = 0
; NumSgprs: 4
; NumVgprs: 0
; NumAgprs: 0
; TotalNumVgprs: 0
; ScratchSize: 0
; MemoryBound: 0
; FloatMode: 240
; IeeeMode: 1
; LDSByteSize: 0 bytes/workgroup (compile time only)
; SGPRBlocks: 0
; VGPRBlocks: 0
; NumSGPRsForWavesPerEU: 4
; NumVGPRsForWavesPerEU: 1
; AccumOffset: 4
; Occupancy: 8
; WaveLimiterHint : 0
; COMPUTE_PGM_RSRC2:SCRATCH_EN: 0
; COMPUTE_PGM_RSRC2:USER_SGPR: 6
; COMPUTE_PGM_RSRC2:TRAP_HANDLER: 0
; COMPUTE_PGM_RSRC2:TGID_X_EN: 1
; COMPUTE_PGM_RSRC2:TGID_Y_EN: 0
; COMPUTE_PGM_RSRC2:TGID_Z_EN: 0
; COMPUTE_PGM_RSRC2:TIDIG_COMP_CNT: 0
; COMPUTE_PGM_RSRC3_GFX90A:ACCUM_OFFSET: 0
; COMPUTE_PGM_RSRC3_GFX90A:TG_SPLIT: 0
	.section	.text._ZN7rocprim17ROCPRIM_400000_NS6detail17trampoline_kernelINS0_14default_configENS1_25partition_config_selectorILNS1_17partition_subalgoE2EsNS0_10empty_typeEbEEZZNS1_14partition_implILS5_2ELb0ES3_jN6thrust23THRUST_200600_302600_NS6detail15normal_iteratorINSA_7pointerIsNSA_11hip_rocprim3tagENSA_11use_defaultESG_EEEEPS6_NSA_18transform_iteratorINSA_8identityIsEENSC_INSA_10device_ptrIsEEEESG_SG_EENS0_5tupleIJPsSJ_EEENSR_IJSJ_SJ_EEES6_PlJS6_EEE10hipError_tPvRmT3_T4_T5_T6_T7_T9_mT8_P12ihipStream_tbDpT10_ENKUlT_T0_E_clISt17integral_constantIbLb0EES1F_EEDaS1A_S1B_EUlS1A_E_NS1_11comp_targetILNS1_3genE5ELNS1_11target_archE942ELNS1_3gpuE9ELNS1_3repE0EEENS1_30default_config_static_selectorELNS0_4arch9wavefront6targetE1EEEvT1_,"axG",@progbits,_ZN7rocprim17ROCPRIM_400000_NS6detail17trampoline_kernelINS0_14default_configENS1_25partition_config_selectorILNS1_17partition_subalgoE2EsNS0_10empty_typeEbEEZZNS1_14partition_implILS5_2ELb0ES3_jN6thrust23THRUST_200600_302600_NS6detail15normal_iteratorINSA_7pointerIsNSA_11hip_rocprim3tagENSA_11use_defaultESG_EEEEPS6_NSA_18transform_iteratorINSA_8identityIsEENSC_INSA_10device_ptrIsEEEESG_SG_EENS0_5tupleIJPsSJ_EEENSR_IJSJ_SJ_EEES6_PlJS6_EEE10hipError_tPvRmT3_T4_T5_T6_T7_T9_mT8_P12ihipStream_tbDpT10_ENKUlT_T0_E_clISt17integral_constantIbLb0EES1F_EEDaS1A_S1B_EUlS1A_E_NS1_11comp_targetILNS1_3genE5ELNS1_11target_archE942ELNS1_3gpuE9ELNS1_3repE0EEENS1_30default_config_static_selectorELNS0_4arch9wavefront6targetE1EEEvT1_,comdat
	.protected	_ZN7rocprim17ROCPRIM_400000_NS6detail17trampoline_kernelINS0_14default_configENS1_25partition_config_selectorILNS1_17partition_subalgoE2EsNS0_10empty_typeEbEEZZNS1_14partition_implILS5_2ELb0ES3_jN6thrust23THRUST_200600_302600_NS6detail15normal_iteratorINSA_7pointerIsNSA_11hip_rocprim3tagENSA_11use_defaultESG_EEEEPS6_NSA_18transform_iteratorINSA_8identityIsEENSC_INSA_10device_ptrIsEEEESG_SG_EENS0_5tupleIJPsSJ_EEENSR_IJSJ_SJ_EEES6_PlJS6_EEE10hipError_tPvRmT3_T4_T5_T6_T7_T9_mT8_P12ihipStream_tbDpT10_ENKUlT_T0_E_clISt17integral_constantIbLb0EES1F_EEDaS1A_S1B_EUlS1A_E_NS1_11comp_targetILNS1_3genE5ELNS1_11target_archE942ELNS1_3gpuE9ELNS1_3repE0EEENS1_30default_config_static_selectorELNS0_4arch9wavefront6targetE1EEEvT1_ ; -- Begin function _ZN7rocprim17ROCPRIM_400000_NS6detail17trampoline_kernelINS0_14default_configENS1_25partition_config_selectorILNS1_17partition_subalgoE2EsNS0_10empty_typeEbEEZZNS1_14partition_implILS5_2ELb0ES3_jN6thrust23THRUST_200600_302600_NS6detail15normal_iteratorINSA_7pointerIsNSA_11hip_rocprim3tagENSA_11use_defaultESG_EEEEPS6_NSA_18transform_iteratorINSA_8identityIsEENSC_INSA_10device_ptrIsEEEESG_SG_EENS0_5tupleIJPsSJ_EEENSR_IJSJ_SJ_EEES6_PlJS6_EEE10hipError_tPvRmT3_T4_T5_T6_T7_T9_mT8_P12ihipStream_tbDpT10_ENKUlT_T0_E_clISt17integral_constantIbLb0EES1F_EEDaS1A_S1B_EUlS1A_E_NS1_11comp_targetILNS1_3genE5ELNS1_11target_archE942ELNS1_3gpuE9ELNS1_3repE0EEENS1_30default_config_static_selectorELNS0_4arch9wavefront6targetE1EEEvT1_
	.globl	_ZN7rocprim17ROCPRIM_400000_NS6detail17trampoline_kernelINS0_14default_configENS1_25partition_config_selectorILNS1_17partition_subalgoE2EsNS0_10empty_typeEbEEZZNS1_14partition_implILS5_2ELb0ES3_jN6thrust23THRUST_200600_302600_NS6detail15normal_iteratorINSA_7pointerIsNSA_11hip_rocprim3tagENSA_11use_defaultESG_EEEEPS6_NSA_18transform_iteratorINSA_8identityIsEENSC_INSA_10device_ptrIsEEEESG_SG_EENS0_5tupleIJPsSJ_EEENSR_IJSJ_SJ_EEES6_PlJS6_EEE10hipError_tPvRmT3_T4_T5_T6_T7_T9_mT8_P12ihipStream_tbDpT10_ENKUlT_T0_E_clISt17integral_constantIbLb0EES1F_EEDaS1A_S1B_EUlS1A_E_NS1_11comp_targetILNS1_3genE5ELNS1_11target_archE942ELNS1_3gpuE9ELNS1_3repE0EEENS1_30default_config_static_selectorELNS0_4arch9wavefront6targetE1EEEvT1_
	.p2align	8
	.type	_ZN7rocprim17ROCPRIM_400000_NS6detail17trampoline_kernelINS0_14default_configENS1_25partition_config_selectorILNS1_17partition_subalgoE2EsNS0_10empty_typeEbEEZZNS1_14partition_implILS5_2ELb0ES3_jN6thrust23THRUST_200600_302600_NS6detail15normal_iteratorINSA_7pointerIsNSA_11hip_rocprim3tagENSA_11use_defaultESG_EEEEPS6_NSA_18transform_iteratorINSA_8identityIsEENSC_INSA_10device_ptrIsEEEESG_SG_EENS0_5tupleIJPsSJ_EEENSR_IJSJ_SJ_EEES6_PlJS6_EEE10hipError_tPvRmT3_T4_T5_T6_T7_T9_mT8_P12ihipStream_tbDpT10_ENKUlT_T0_E_clISt17integral_constantIbLb0EES1F_EEDaS1A_S1B_EUlS1A_E_NS1_11comp_targetILNS1_3genE5ELNS1_11target_archE942ELNS1_3gpuE9ELNS1_3repE0EEENS1_30default_config_static_selectorELNS0_4arch9wavefront6targetE1EEEvT1_,@function
_ZN7rocprim17ROCPRIM_400000_NS6detail17trampoline_kernelINS0_14default_configENS1_25partition_config_selectorILNS1_17partition_subalgoE2EsNS0_10empty_typeEbEEZZNS1_14partition_implILS5_2ELb0ES3_jN6thrust23THRUST_200600_302600_NS6detail15normal_iteratorINSA_7pointerIsNSA_11hip_rocprim3tagENSA_11use_defaultESG_EEEEPS6_NSA_18transform_iteratorINSA_8identityIsEENSC_INSA_10device_ptrIsEEEESG_SG_EENS0_5tupleIJPsSJ_EEENSR_IJSJ_SJ_EEES6_PlJS6_EEE10hipError_tPvRmT3_T4_T5_T6_T7_T9_mT8_P12ihipStream_tbDpT10_ENKUlT_T0_E_clISt17integral_constantIbLb0EES1F_EEDaS1A_S1B_EUlS1A_E_NS1_11comp_targetILNS1_3genE5ELNS1_11target_archE942ELNS1_3gpuE9ELNS1_3repE0EEENS1_30default_config_static_selectorELNS0_4arch9wavefront6targetE1EEEvT1_: ; @_ZN7rocprim17ROCPRIM_400000_NS6detail17trampoline_kernelINS0_14default_configENS1_25partition_config_selectorILNS1_17partition_subalgoE2EsNS0_10empty_typeEbEEZZNS1_14partition_implILS5_2ELb0ES3_jN6thrust23THRUST_200600_302600_NS6detail15normal_iteratorINSA_7pointerIsNSA_11hip_rocprim3tagENSA_11use_defaultESG_EEEEPS6_NSA_18transform_iteratorINSA_8identityIsEENSC_INSA_10device_ptrIsEEEESG_SG_EENS0_5tupleIJPsSJ_EEENSR_IJSJ_SJ_EEES6_PlJS6_EEE10hipError_tPvRmT3_T4_T5_T6_T7_T9_mT8_P12ihipStream_tbDpT10_ENKUlT_T0_E_clISt17integral_constantIbLb0EES1F_EEDaS1A_S1B_EUlS1A_E_NS1_11comp_targetILNS1_3genE5ELNS1_11target_archE942ELNS1_3gpuE9ELNS1_3repE0EEENS1_30default_config_static_selectorELNS0_4arch9wavefront6targetE1EEEvT1_
; %bb.0:
	.section	.rodata,"a",@progbits
	.p2align	6, 0x0
	.amdhsa_kernel _ZN7rocprim17ROCPRIM_400000_NS6detail17trampoline_kernelINS0_14default_configENS1_25partition_config_selectorILNS1_17partition_subalgoE2EsNS0_10empty_typeEbEEZZNS1_14partition_implILS5_2ELb0ES3_jN6thrust23THRUST_200600_302600_NS6detail15normal_iteratorINSA_7pointerIsNSA_11hip_rocprim3tagENSA_11use_defaultESG_EEEEPS6_NSA_18transform_iteratorINSA_8identityIsEENSC_INSA_10device_ptrIsEEEESG_SG_EENS0_5tupleIJPsSJ_EEENSR_IJSJ_SJ_EEES6_PlJS6_EEE10hipError_tPvRmT3_T4_T5_T6_T7_T9_mT8_P12ihipStream_tbDpT10_ENKUlT_T0_E_clISt17integral_constantIbLb0EES1F_EEDaS1A_S1B_EUlS1A_E_NS1_11comp_targetILNS1_3genE5ELNS1_11target_archE942ELNS1_3gpuE9ELNS1_3repE0EEENS1_30default_config_static_selectorELNS0_4arch9wavefront6targetE1EEEvT1_
		.amdhsa_group_segment_fixed_size 0
		.amdhsa_private_segment_fixed_size 0
		.amdhsa_kernarg_size 128
		.amdhsa_user_sgpr_count 6
		.amdhsa_user_sgpr_private_segment_buffer 1
		.amdhsa_user_sgpr_dispatch_ptr 0
		.amdhsa_user_sgpr_queue_ptr 0
		.amdhsa_user_sgpr_kernarg_segment_ptr 1
		.amdhsa_user_sgpr_dispatch_id 0
		.amdhsa_user_sgpr_flat_scratch_init 0
		.amdhsa_user_sgpr_kernarg_preload_length 0
		.amdhsa_user_sgpr_kernarg_preload_offset 0
		.amdhsa_user_sgpr_private_segment_size 0
		.amdhsa_uses_dynamic_stack 0
		.amdhsa_system_sgpr_private_segment_wavefront_offset 0
		.amdhsa_system_sgpr_workgroup_id_x 1
		.amdhsa_system_sgpr_workgroup_id_y 0
		.amdhsa_system_sgpr_workgroup_id_z 0
		.amdhsa_system_sgpr_workgroup_info 0
		.amdhsa_system_vgpr_workitem_id 0
		.amdhsa_next_free_vgpr 1
		.amdhsa_next_free_sgpr 0
		.amdhsa_accum_offset 4
		.amdhsa_reserve_vcc 0
		.amdhsa_reserve_flat_scratch 0
		.amdhsa_float_round_mode_32 0
		.amdhsa_float_round_mode_16_64 0
		.amdhsa_float_denorm_mode_32 3
		.amdhsa_float_denorm_mode_16_64 3
		.amdhsa_dx10_clamp 1
		.amdhsa_ieee_mode 1
		.amdhsa_fp16_overflow 0
		.amdhsa_tg_split 0
		.amdhsa_exception_fp_ieee_invalid_op 0
		.amdhsa_exception_fp_denorm_src 0
		.amdhsa_exception_fp_ieee_div_zero 0
		.amdhsa_exception_fp_ieee_overflow 0
		.amdhsa_exception_fp_ieee_underflow 0
		.amdhsa_exception_fp_ieee_inexact 0
		.amdhsa_exception_int_div_zero 0
	.end_amdhsa_kernel
	.section	.text._ZN7rocprim17ROCPRIM_400000_NS6detail17trampoline_kernelINS0_14default_configENS1_25partition_config_selectorILNS1_17partition_subalgoE2EsNS0_10empty_typeEbEEZZNS1_14partition_implILS5_2ELb0ES3_jN6thrust23THRUST_200600_302600_NS6detail15normal_iteratorINSA_7pointerIsNSA_11hip_rocprim3tagENSA_11use_defaultESG_EEEEPS6_NSA_18transform_iteratorINSA_8identityIsEENSC_INSA_10device_ptrIsEEEESG_SG_EENS0_5tupleIJPsSJ_EEENSR_IJSJ_SJ_EEES6_PlJS6_EEE10hipError_tPvRmT3_T4_T5_T6_T7_T9_mT8_P12ihipStream_tbDpT10_ENKUlT_T0_E_clISt17integral_constantIbLb0EES1F_EEDaS1A_S1B_EUlS1A_E_NS1_11comp_targetILNS1_3genE5ELNS1_11target_archE942ELNS1_3gpuE9ELNS1_3repE0EEENS1_30default_config_static_selectorELNS0_4arch9wavefront6targetE1EEEvT1_,"axG",@progbits,_ZN7rocprim17ROCPRIM_400000_NS6detail17trampoline_kernelINS0_14default_configENS1_25partition_config_selectorILNS1_17partition_subalgoE2EsNS0_10empty_typeEbEEZZNS1_14partition_implILS5_2ELb0ES3_jN6thrust23THRUST_200600_302600_NS6detail15normal_iteratorINSA_7pointerIsNSA_11hip_rocprim3tagENSA_11use_defaultESG_EEEEPS6_NSA_18transform_iteratorINSA_8identityIsEENSC_INSA_10device_ptrIsEEEESG_SG_EENS0_5tupleIJPsSJ_EEENSR_IJSJ_SJ_EEES6_PlJS6_EEE10hipError_tPvRmT3_T4_T5_T6_T7_T9_mT8_P12ihipStream_tbDpT10_ENKUlT_T0_E_clISt17integral_constantIbLb0EES1F_EEDaS1A_S1B_EUlS1A_E_NS1_11comp_targetILNS1_3genE5ELNS1_11target_archE942ELNS1_3gpuE9ELNS1_3repE0EEENS1_30default_config_static_selectorELNS0_4arch9wavefront6targetE1EEEvT1_,comdat
.Lfunc_end546:
	.size	_ZN7rocprim17ROCPRIM_400000_NS6detail17trampoline_kernelINS0_14default_configENS1_25partition_config_selectorILNS1_17partition_subalgoE2EsNS0_10empty_typeEbEEZZNS1_14partition_implILS5_2ELb0ES3_jN6thrust23THRUST_200600_302600_NS6detail15normal_iteratorINSA_7pointerIsNSA_11hip_rocprim3tagENSA_11use_defaultESG_EEEEPS6_NSA_18transform_iteratorINSA_8identityIsEENSC_INSA_10device_ptrIsEEEESG_SG_EENS0_5tupleIJPsSJ_EEENSR_IJSJ_SJ_EEES6_PlJS6_EEE10hipError_tPvRmT3_T4_T5_T6_T7_T9_mT8_P12ihipStream_tbDpT10_ENKUlT_T0_E_clISt17integral_constantIbLb0EES1F_EEDaS1A_S1B_EUlS1A_E_NS1_11comp_targetILNS1_3genE5ELNS1_11target_archE942ELNS1_3gpuE9ELNS1_3repE0EEENS1_30default_config_static_selectorELNS0_4arch9wavefront6targetE1EEEvT1_, .Lfunc_end546-_ZN7rocprim17ROCPRIM_400000_NS6detail17trampoline_kernelINS0_14default_configENS1_25partition_config_selectorILNS1_17partition_subalgoE2EsNS0_10empty_typeEbEEZZNS1_14partition_implILS5_2ELb0ES3_jN6thrust23THRUST_200600_302600_NS6detail15normal_iteratorINSA_7pointerIsNSA_11hip_rocprim3tagENSA_11use_defaultESG_EEEEPS6_NSA_18transform_iteratorINSA_8identityIsEENSC_INSA_10device_ptrIsEEEESG_SG_EENS0_5tupleIJPsSJ_EEENSR_IJSJ_SJ_EEES6_PlJS6_EEE10hipError_tPvRmT3_T4_T5_T6_T7_T9_mT8_P12ihipStream_tbDpT10_ENKUlT_T0_E_clISt17integral_constantIbLb0EES1F_EEDaS1A_S1B_EUlS1A_E_NS1_11comp_targetILNS1_3genE5ELNS1_11target_archE942ELNS1_3gpuE9ELNS1_3repE0EEENS1_30default_config_static_selectorELNS0_4arch9wavefront6targetE1EEEvT1_
                                        ; -- End function
	.section	.AMDGPU.csdata,"",@progbits
; Kernel info:
; codeLenInByte = 0
; NumSgprs: 4
; NumVgprs: 0
; NumAgprs: 0
; TotalNumVgprs: 0
; ScratchSize: 0
; MemoryBound: 0
; FloatMode: 240
; IeeeMode: 1
; LDSByteSize: 0 bytes/workgroup (compile time only)
; SGPRBlocks: 0
; VGPRBlocks: 0
; NumSGPRsForWavesPerEU: 4
; NumVGPRsForWavesPerEU: 1
; AccumOffset: 4
; Occupancy: 8
; WaveLimiterHint : 0
; COMPUTE_PGM_RSRC2:SCRATCH_EN: 0
; COMPUTE_PGM_RSRC2:USER_SGPR: 6
; COMPUTE_PGM_RSRC2:TRAP_HANDLER: 0
; COMPUTE_PGM_RSRC2:TGID_X_EN: 1
; COMPUTE_PGM_RSRC2:TGID_Y_EN: 0
; COMPUTE_PGM_RSRC2:TGID_Z_EN: 0
; COMPUTE_PGM_RSRC2:TIDIG_COMP_CNT: 0
; COMPUTE_PGM_RSRC3_GFX90A:ACCUM_OFFSET: 0
; COMPUTE_PGM_RSRC3_GFX90A:TG_SPLIT: 0
	.section	.text._ZN7rocprim17ROCPRIM_400000_NS6detail17trampoline_kernelINS0_14default_configENS1_25partition_config_selectorILNS1_17partition_subalgoE2EsNS0_10empty_typeEbEEZZNS1_14partition_implILS5_2ELb0ES3_jN6thrust23THRUST_200600_302600_NS6detail15normal_iteratorINSA_7pointerIsNSA_11hip_rocprim3tagENSA_11use_defaultESG_EEEEPS6_NSA_18transform_iteratorINSA_8identityIsEENSC_INSA_10device_ptrIsEEEESG_SG_EENS0_5tupleIJPsSJ_EEENSR_IJSJ_SJ_EEES6_PlJS6_EEE10hipError_tPvRmT3_T4_T5_T6_T7_T9_mT8_P12ihipStream_tbDpT10_ENKUlT_T0_E_clISt17integral_constantIbLb0EES1F_EEDaS1A_S1B_EUlS1A_E_NS1_11comp_targetILNS1_3genE4ELNS1_11target_archE910ELNS1_3gpuE8ELNS1_3repE0EEENS1_30default_config_static_selectorELNS0_4arch9wavefront6targetE1EEEvT1_,"axG",@progbits,_ZN7rocprim17ROCPRIM_400000_NS6detail17trampoline_kernelINS0_14default_configENS1_25partition_config_selectorILNS1_17partition_subalgoE2EsNS0_10empty_typeEbEEZZNS1_14partition_implILS5_2ELb0ES3_jN6thrust23THRUST_200600_302600_NS6detail15normal_iteratorINSA_7pointerIsNSA_11hip_rocprim3tagENSA_11use_defaultESG_EEEEPS6_NSA_18transform_iteratorINSA_8identityIsEENSC_INSA_10device_ptrIsEEEESG_SG_EENS0_5tupleIJPsSJ_EEENSR_IJSJ_SJ_EEES6_PlJS6_EEE10hipError_tPvRmT3_T4_T5_T6_T7_T9_mT8_P12ihipStream_tbDpT10_ENKUlT_T0_E_clISt17integral_constantIbLb0EES1F_EEDaS1A_S1B_EUlS1A_E_NS1_11comp_targetILNS1_3genE4ELNS1_11target_archE910ELNS1_3gpuE8ELNS1_3repE0EEENS1_30default_config_static_selectorELNS0_4arch9wavefront6targetE1EEEvT1_,comdat
	.protected	_ZN7rocprim17ROCPRIM_400000_NS6detail17trampoline_kernelINS0_14default_configENS1_25partition_config_selectorILNS1_17partition_subalgoE2EsNS0_10empty_typeEbEEZZNS1_14partition_implILS5_2ELb0ES3_jN6thrust23THRUST_200600_302600_NS6detail15normal_iteratorINSA_7pointerIsNSA_11hip_rocprim3tagENSA_11use_defaultESG_EEEEPS6_NSA_18transform_iteratorINSA_8identityIsEENSC_INSA_10device_ptrIsEEEESG_SG_EENS0_5tupleIJPsSJ_EEENSR_IJSJ_SJ_EEES6_PlJS6_EEE10hipError_tPvRmT3_T4_T5_T6_T7_T9_mT8_P12ihipStream_tbDpT10_ENKUlT_T0_E_clISt17integral_constantIbLb0EES1F_EEDaS1A_S1B_EUlS1A_E_NS1_11comp_targetILNS1_3genE4ELNS1_11target_archE910ELNS1_3gpuE8ELNS1_3repE0EEENS1_30default_config_static_selectorELNS0_4arch9wavefront6targetE1EEEvT1_ ; -- Begin function _ZN7rocprim17ROCPRIM_400000_NS6detail17trampoline_kernelINS0_14default_configENS1_25partition_config_selectorILNS1_17partition_subalgoE2EsNS0_10empty_typeEbEEZZNS1_14partition_implILS5_2ELb0ES3_jN6thrust23THRUST_200600_302600_NS6detail15normal_iteratorINSA_7pointerIsNSA_11hip_rocprim3tagENSA_11use_defaultESG_EEEEPS6_NSA_18transform_iteratorINSA_8identityIsEENSC_INSA_10device_ptrIsEEEESG_SG_EENS0_5tupleIJPsSJ_EEENSR_IJSJ_SJ_EEES6_PlJS6_EEE10hipError_tPvRmT3_T4_T5_T6_T7_T9_mT8_P12ihipStream_tbDpT10_ENKUlT_T0_E_clISt17integral_constantIbLb0EES1F_EEDaS1A_S1B_EUlS1A_E_NS1_11comp_targetILNS1_3genE4ELNS1_11target_archE910ELNS1_3gpuE8ELNS1_3repE0EEENS1_30default_config_static_selectorELNS0_4arch9wavefront6targetE1EEEvT1_
	.globl	_ZN7rocprim17ROCPRIM_400000_NS6detail17trampoline_kernelINS0_14default_configENS1_25partition_config_selectorILNS1_17partition_subalgoE2EsNS0_10empty_typeEbEEZZNS1_14partition_implILS5_2ELb0ES3_jN6thrust23THRUST_200600_302600_NS6detail15normal_iteratorINSA_7pointerIsNSA_11hip_rocprim3tagENSA_11use_defaultESG_EEEEPS6_NSA_18transform_iteratorINSA_8identityIsEENSC_INSA_10device_ptrIsEEEESG_SG_EENS0_5tupleIJPsSJ_EEENSR_IJSJ_SJ_EEES6_PlJS6_EEE10hipError_tPvRmT3_T4_T5_T6_T7_T9_mT8_P12ihipStream_tbDpT10_ENKUlT_T0_E_clISt17integral_constantIbLb0EES1F_EEDaS1A_S1B_EUlS1A_E_NS1_11comp_targetILNS1_3genE4ELNS1_11target_archE910ELNS1_3gpuE8ELNS1_3repE0EEENS1_30default_config_static_selectorELNS0_4arch9wavefront6targetE1EEEvT1_
	.p2align	8
	.type	_ZN7rocprim17ROCPRIM_400000_NS6detail17trampoline_kernelINS0_14default_configENS1_25partition_config_selectorILNS1_17partition_subalgoE2EsNS0_10empty_typeEbEEZZNS1_14partition_implILS5_2ELb0ES3_jN6thrust23THRUST_200600_302600_NS6detail15normal_iteratorINSA_7pointerIsNSA_11hip_rocprim3tagENSA_11use_defaultESG_EEEEPS6_NSA_18transform_iteratorINSA_8identityIsEENSC_INSA_10device_ptrIsEEEESG_SG_EENS0_5tupleIJPsSJ_EEENSR_IJSJ_SJ_EEES6_PlJS6_EEE10hipError_tPvRmT3_T4_T5_T6_T7_T9_mT8_P12ihipStream_tbDpT10_ENKUlT_T0_E_clISt17integral_constantIbLb0EES1F_EEDaS1A_S1B_EUlS1A_E_NS1_11comp_targetILNS1_3genE4ELNS1_11target_archE910ELNS1_3gpuE8ELNS1_3repE0EEENS1_30default_config_static_selectorELNS0_4arch9wavefront6targetE1EEEvT1_,@function
_ZN7rocprim17ROCPRIM_400000_NS6detail17trampoline_kernelINS0_14default_configENS1_25partition_config_selectorILNS1_17partition_subalgoE2EsNS0_10empty_typeEbEEZZNS1_14partition_implILS5_2ELb0ES3_jN6thrust23THRUST_200600_302600_NS6detail15normal_iteratorINSA_7pointerIsNSA_11hip_rocprim3tagENSA_11use_defaultESG_EEEEPS6_NSA_18transform_iteratorINSA_8identityIsEENSC_INSA_10device_ptrIsEEEESG_SG_EENS0_5tupleIJPsSJ_EEENSR_IJSJ_SJ_EEES6_PlJS6_EEE10hipError_tPvRmT3_T4_T5_T6_T7_T9_mT8_P12ihipStream_tbDpT10_ENKUlT_T0_E_clISt17integral_constantIbLb0EES1F_EEDaS1A_S1B_EUlS1A_E_NS1_11comp_targetILNS1_3genE4ELNS1_11target_archE910ELNS1_3gpuE8ELNS1_3repE0EEENS1_30default_config_static_selectorELNS0_4arch9wavefront6targetE1EEEvT1_: ; @_ZN7rocprim17ROCPRIM_400000_NS6detail17trampoline_kernelINS0_14default_configENS1_25partition_config_selectorILNS1_17partition_subalgoE2EsNS0_10empty_typeEbEEZZNS1_14partition_implILS5_2ELb0ES3_jN6thrust23THRUST_200600_302600_NS6detail15normal_iteratorINSA_7pointerIsNSA_11hip_rocprim3tagENSA_11use_defaultESG_EEEEPS6_NSA_18transform_iteratorINSA_8identityIsEENSC_INSA_10device_ptrIsEEEESG_SG_EENS0_5tupleIJPsSJ_EEENSR_IJSJ_SJ_EEES6_PlJS6_EEE10hipError_tPvRmT3_T4_T5_T6_T7_T9_mT8_P12ihipStream_tbDpT10_ENKUlT_T0_E_clISt17integral_constantIbLb0EES1F_EEDaS1A_S1B_EUlS1A_E_NS1_11comp_targetILNS1_3genE4ELNS1_11target_archE910ELNS1_3gpuE8ELNS1_3repE0EEENS1_30default_config_static_selectorELNS0_4arch9wavefront6targetE1EEEvT1_
; %bb.0:
	s_load_dwordx4 s[24:27], s[4:5], 0x8
	s_load_dwordx2 s[2:3], s[4:5], 0x20
	s_load_dwordx2 s[28:29], s[4:5], 0x60
	s_load_dwordx4 s[20:23], s[4:5], 0x50
	s_load_dword s0, s[4:5], 0x78
	s_waitcnt lgkmcnt(0)
	s_lshl_b64 s[8:9], s[26:27], 1
	s_add_u32 s7, s24, s8
	s_addc_u32 s12, s25, s9
	s_load_dwordx2 s[30:31], s[22:23], 0x0
	s_add_i32 s10, s0, -1
	s_mulk_i32 s0, 0x1400
	s_add_i32 s1, s0, s26
	s_sub_i32 s33, s28, s1
	s_addk_i32 s33, 0x1400
	s_add_u32 s0, s26, s0
	s_addc_u32 s1, s27, 0
	s_cmp_eq_u32 s6, s10
	v_pk_mov_b32 v[2:3], s[28:29], s[28:29] op_sel:[0,1]
	s_cselect_b64 s[22:23], -1, 0
	s_cmp_lg_u32 s6, s10
	s_mul_i32 s24, s6, 0x1400
	s_mov_b32 s25, 0
	v_cmp_lt_u64_e32 vcc, s[0:1], v[2:3]
	s_cselect_b64 s[0:1], -1, 0
	s_or_b64 s[34:35], s[0:1], vcc
	s_lshl_b64 s[10:11], s[24:25], 1
	s_add_u32 s7, s7, s10
	s_addc_u32 s14, s12, s11
	s_mov_b64 s[0:1], -1
	s_and_b64 vcc, exec, s[34:35]
	v_lshlrev_b32_e32 v1, 1, v0
	s_cbranch_vccz .LBB547_2
; %bb.1:
	v_mov_b32_e32 v3, s14
	v_add_co_u32_e32 v2, vcc, s7, v1
	v_addc_co_u32_e32 v3, vcc, 0, v3, vcc
	v_add_co_u32_e32 v4, vcc, 0x1000, v2
	v_addc_co_u32_e32 v5, vcc, 0, v3, vcc
	flat_load_ushort v6, v[2:3]
	flat_load_ushort v7, v[2:3] offset:512
	flat_load_ushort v8, v[2:3] offset:1024
	;; [unrolled: 1-line block ×7, first 2 shown]
	v_add_co_u32_e32 v2, vcc, 0x2000, v2
	v_addc_co_u32_e32 v3, vcc, 0, v3, vcc
	flat_load_ushort v14, v[4:5]
	flat_load_ushort v15, v[4:5] offset:512
	flat_load_ushort v16, v[4:5] offset:1024
	;; [unrolled: 1-line block ×7, first 2 shown]
	s_nop 0
	flat_load_ushort v4, v[2:3]
	flat_load_ushort v5, v[2:3] offset:512
	flat_load_ushort v22, v[2:3] offset:1024
	;; [unrolled: 1-line block ×3, first 2 shown]
	s_mov_b64 s[0:1], 0
	s_waitcnt vmcnt(0) lgkmcnt(0)
	ds_write_b16 v1, v6
	ds_write_b16 v1, v7 offset:512
	ds_write_b16 v1, v8 offset:1024
	;; [unrolled: 1-line block ×19, first 2 shown]
	s_waitcnt lgkmcnt(0)
	s_barrier
.LBB547_2:
	s_andn2_b64 vcc, exec, s[0:1]
	v_cmp_gt_u32_e64 s[0:1], s33, v0
	s_cbranch_vccnz .LBB547_44
; %bb.3:
                                        ; implicit-def: $vgpr2
	s_and_saveexec_b64 s[12:13], s[0:1]
	s_cbranch_execz .LBB547_5
; %bb.4:
	v_mov_b32_e32 v3, s14
	v_add_co_u32_e32 v2, vcc, s7, v1
	v_addc_co_u32_e32 v3, vcc, 0, v3, vcc
	flat_load_ushort v2, v[2:3]
.LBB547_5:
	s_or_b64 exec, exec, s[12:13]
	v_or_b32_e32 v3, 0x100, v0
	v_cmp_gt_u32_e32 vcc, s33, v3
                                        ; implicit-def: $vgpr3
	s_and_saveexec_b64 s[0:1], vcc
	s_cbranch_execz .LBB547_7
; %bb.6:
	v_mov_b32_e32 v3, s14
	v_add_co_u32_e32 v4, vcc, s7, v1
	v_addc_co_u32_e32 v5, vcc, 0, v3, vcc
	flat_load_ushort v3, v[4:5] offset:512
.LBB547_7:
	s_or_b64 exec, exec, s[0:1]
	v_or_b32_e32 v4, 0x200, v0
	v_cmp_gt_u32_e32 vcc, s33, v4
                                        ; implicit-def: $vgpr4
	s_and_saveexec_b64 s[0:1], vcc
	s_cbranch_execz .LBB547_9
; %bb.8:
	v_mov_b32_e32 v5, s14
	v_add_co_u32_e32 v4, vcc, s7, v1
	v_addc_co_u32_e32 v5, vcc, 0, v5, vcc
	flat_load_ushort v4, v[4:5] offset:1024
.LBB547_9:
	s_or_b64 exec, exec, s[0:1]
	v_or_b32_e32 v5, 0x300, v0
	v_cmp_gt_u32_e32 vcc, s33, v5
                                        ; implicit-def: $vgpr5
	s_and_saveexec_b64 s[0:1], vcc
	s_cbranch_execz .LBB547_11
; %bb.10:
	v_mov_b32_e32 v5, s14
	v_add_co_u32_e32 v6, vcc, s7, v1
	v_addc_co_u32_e32 v7, vcc, 0, v5, vcc
	flat_load_ushort v5, v[6:7] offset:1536
.LBB547_11:
	s_or_b64 exec, exec, s[0:1]
	v_or_b32_e32 v6, 0x400, v0
	v_cmp_gt_u32_e32 vcc, s33, v6
                                        ; implicit-def: $vgpr6
	s_and_saveexec_b64 s[0:1], vcc
	s_cbranch_execz .LBB547_13
; %bb.12:
	v_mov_b32_e32 v7, s14
	v_add_co_u32_e32 v6, vcc, s7, v1
	v_addc_co_u32_e32 v7, vcc, 0, v7, vcc
	flat_load_ushort v6, v[6:7] offset:2048
.LBB547_13:
	s_or_b64 exec, exec, s[0:1]
	v_or_b32_e32 v7, 0x500, v0
	v_cmp_gt_u32_e32 vcc, s33, v7
                                        ; implicit-def: $vgpr7
	s_and_saveexec_b64 s[0:1], vcc
	s_cbranch_execz .LBB547_15
; %bb.14:
	v_mov_b32_e32 v7, s14
	v_add_co_u32_e32 v8, vcc, s7, v1
	v_addc_co_u32_e32 v9, vcc, 0, v7, vcc
	flat_load_ushort v7, v[8:9] offset:2560
.LBB547_15:
	s_or_b64 exec, exec, s[0:1]
	v_or_b32_e32 v8, 0x600, v0
	v_cmp_gt_u32_e32 vcc, s33, v8
                                        ; implicit-def: $vgpr8
	s_and_saveexec_b64 s[0:1], vcc
	s_cbranch_execz .LBB547_17
; %bb.16:
	v_mov_b32_e32 v9, s14
	v_add_co_u32_e32 v8, vcc, s7, v1
	v_addc_co_u32_e32 v9, vcc, 0, v9, vcc
	flat_load_ushort v8, v[8:9] offset:3072
.LBB547_17:
	s_or_b64 exec, exec, s[0:1]
	v_or_b32_e32 v9, 0x700, v0
	v_cmp_gt_u32_e32 vcc, s33, v9
                                        ; implicit-def: $vgpr9
	s_and_saveexec_b64 s[0:1], vcc
	s_cbranch_execz .LBB547_19
; %bb.18:
	v_mov_b32_e32 v9, s14
	v_add_co_u32_e32 v10, vcc, s7, v1
	v_addc_co_u32_e32 v11, vcc, 0, v9, vcc
	flat_load_ushort v9, v[10:11] offset:3584
.LBB547_19:
	s_or_b64 exec, exec, s[0:1]
	v_or_b32_e32 v11, 0x800, v0
	v_cmp_gt_u32_e32 vcc, s33, v11
                                        ; implicit-def: $vgpr10
	s_and_saveexec_b64 s[0:1], vcc
	s_cbranch_execz .LBB547_21
; %bb.20:
	v_lshlrev_b32_e32 v10, 1, v11
	v_mov_b32_e32 v11, s14
	v_add_co_u32_e32 v10, vcc, s7, v10
	v_addc_co_u32_e32 v11, vcc, 0, v11, vcc
	flat_load_ushort v10, v[10:11]
.LBB547_21:
	s_or_b64 exec, exec, s[0:1]
	v_or_b32_e32 v12, 0x900, v0
	v_cmp_gt_u32_e32 vcc, s33, v12
                                        ; implicit-def: $vgpr11
	s_and_saveexec_b64 s[0:1], vcc
	s_cbranch_execz .LBB547_23
; %bb.22:
	v_lshlrev_b32_e32 v11, 1, v12
	v_mov_b32_e32 v13, s14
	v_add_co_u32_e32 v12, vcc, s7, v11
	v_addc_co_u32_e32 v13, vcc, 0, v13, vcc
	flat_load_ushort v11, v[12:13]
.LBB547_23:
	s_or_b64 exec, exec, s[0:1]
	v_or_b32_e32 v13, 0xa00, v0
	v_cmp_gt_u32_e32 vcc, s33, v13
                                        ; implicit-def: $vgpr12
	s_and_saveexec_b64 s[0:1], vcc
	s_cbranch_execz .LBB547_25
; %bb.24:
	v_lshlrev_b32_e32 v12, 1, v13
	v_mov_b32_e32 v13, s14
	v_add_co_u32_e32 v12, vcc, s7, v12
	v_addc_co_u32_e32 v13, vcc, 0, v13, vcc
	flat_load_ushort v12, v[12:13]
.LBB547_25:
	s_or_b64 exec, exec, s[0:1]
	v_or_b32_e32 v14, 0xb00, v0
	v_cmp_gt_u32_e32 vcc, s33, v14
                                        ; implicit-def: $vgpr13
	s_and_saveexec_b64 s[0:1], vcc
	s_cbranch_execz .LBB547_27
; %bb.26:
	v_lshlrev_b32_e32 v13, 1, v14
	v_mov_b32_e32 v15, s14
	v_add_co_u32_e32 v14, vcc, s7, v13
	v_addc_co_u32_e32 v15, vcc, 0, v15, vcc
	flat_load_ushort v13, v[14:15]
.LBB547_27:
	s_or_b64 exec, exec, s[0:1]
	v_or_b32_e32 v15, 0xc00, v0
	v_cmp_gt_u32_e32 vcc, s33, v15
                                        ; implicit-def: $vgpr14
	s_and_saveexec_b64 s[0:1], vcc
	s_cbranch_execz .LBB547_29
; %bb.28:
	v_lshlrev_b32_e32 v14, 1, v15
	v_mov_b32_e32 v15, s14
	v_add_co_u32_e32 v14, vcc, s7, v14
	v_addc_co_u32_e32 v15, vcc, 0, v15, vcc
	flat_load_ushort v14, v[14:15]
.LBB547_29:
	s_or_b64 exec, exec, s[0:1]
	v_or_b32_e32 v16, 0xd00, v0
	v_cmp_gt_u32_e32 vcc, s33, v16
                                        ; implicit-def: $vgpr15
	s_and_saveexec_b64 s[0:1], vcc
	s_cbranch_execz .LBB547_31
; %bb.30:
	v_lshlrev_b32_e32 v15, 1, v16
	v_mov_b32_e32 v17, s14
	v_add_co_u32_e32 v16, vcc, s7, v15
	v_addc_co_u32_e32 v17, vcc, 0, v17, vcc
	flat_load_ushort v15, v[16:17]
.LBB547_31:
	s_or_b64 exec, exec, s[0:1]
	v_or_b32_e32 v17, 0xe00, v0
	v_cmp_gt_u32_e32 vcc, s33, v17
                                        ; implicit-def: $vgpr16
	s_and_saveexec_b64 s[0:1], vcc
	s_cbranch_execz .LBB547_33
; %bb.32:
	v_lshlrev_b32_e32 v16, 1, v17
	v_mov_b32_e32 v17, s14
	v_add_co_u32_e32 v16, vcc, s7, v16
	v_addc_co_u32_e32 v17, vcc, 0, v17, vcc
	flat_load_ushort v16, v[16:17]
.LBB547_33:
	s_or_b64 exec, exec, s[0:1]
	v_or_b32_e32 v18, 0xf00, v0
	v_cmp_gt_u32_e32 vcc, s33, v18
                                        ; implicit-def: $vgpr17
	s_and_saveexec_b64 s[0:1], vcc
	s_cbranch_execz .LBB547_35
; %bb.34:
	v_lshlrev_b32_e32 v17, 1, v18
	v_mov_b32_e32 v19, s14
	v_add_co_u32_e32 v18, vcc, s7, v17
	v_addc_co_u32_e32 v19, vcc, 0, v19, vcc
	flat_load_ushort v17, v[18:19]
.LBB547_35:
	s_or_b64 exec, exec, s[0:1]
	v_or_b32_e32 v19, 0x1000, v0
	v_cmp_gt_u32_e32 vcc, s33, v19
                                        ; implicit-def: $vgpr18
	s_and_saveexec_b64 s[0:1], vcc
	s_cbranch_execz .LBB547_37
; %bb.36:
	v_lshlrev_b32_e32 v18, 1, v19
	v_mov_b32_e32 v19, s14
	v_add_co_u32_e32 v18, vcc, s7, v18
	v_addc_co_u32_e32 v19, vcc, 0, v19, vcc
	flat_load_ushort v18, v[18:19]
.LBB547_37:
	s_or_b64 exec, exec, s[0:1]
	v_or_b32_e32 v20, 0x1100, v0
	v_cmp_gt_u32_e32 vcc, s33, v20
                                        ; implicit-def: $vgpr19
	s_and_saveexec_b64 s[0:1], vcc
	s_cbranch_execz .LBB547_39
; %bb.38:
	v_lshlrev_b32_e32 v19, 1, v20
	v_mov_b32_e32 v21, s14
	v_add_co_u32_e32 v20, vcc, s7, v19
	v_addc_co_u32_e32 v21, vcc, 0, v21, vcc
	flat_load_ushort v19, v[20:21]
.LBB547_39:
	s_or_b64 exec, exec, s[0:1]
	v_or_b32_e32 v21, 0x1200, v0
	v_cmp_gt_u32_e32 vcc, s33, v21
                                        ; implicit-def: $vgpr20
	s_and_saveexec_b64 s[0:1], vcc
	s_cbranch_execz .LBB547_41
; %bb.40:
	v_lshlrev_b32_e32 v20, 1, v21
	v_mov_b32_e32 v21, s14
	v_add_co_u32_e32 v20, vcc, s7, v20
	v_addc_co_u32_e32 v21, vcc, 0, v21, vcc
	flat_load_ushort v20, v[20:21]
.LBB547_41:
	s_or_b64 exec, exec, s[0:1]
	v_or_b32_e32 v22, 0x1300, v0
	v_cmp_gt_u32_e32 vcc, s33, v22
                                        ; implicit-def: $vgpr21
	s_and_saveexec_b64 s[0:1], vcc
	s_cbranch_execz .LBB547_43
; %bb.42:
	v_lshlrev_b32_e32 v21, 1, v22
	v_mov_b32_e32 v23, s14
	v_add_co_u32_e32 v22, vcc, s7, v21
	v_addc_co_u32_e32 v23, vcc, 0, v23, vcc
	flat_load_ushort v21, v[22:23]
.LBB547_43:
	s_or_b64 exec, exec, s[0:1]
	s_waitcnt vmcnt(0) lgkmcnt(0)
	ds_write_b16 v1, v2
	ds_write_b16 v1, v3 offset:512
	ds_write_b16 v1, v4 offset:1024
	;; [unrolled: 1-line block ×19, first 2 shown]
	s_waitcnt lgkmcnt(0)
	s_barrier
.LBB547_44:
	v_mul_u32_u24_e32 v26, 20, v0
	v_lshlrev_b32_e32 v6, 1, v26
	s_waitcnt lgkmcnt(0)
	ds_read_b64 v[12:13], v6 offset:32
	ds_read2_b64 v[2:5], v6 offset0:2 offset1:3
	ds_read2_b64 v[6:9], v6 offset1:1
	s_add_u32 s0, s2, s8
	s_addc_u32 s1, s3, s9
	s_add_u32 s0, s0, s10
	s_addc_u32 s1, s1, s11
	s_mov_b64 s[2:3], -1
	s_and_b64 vcc, exec, s[34:35]
	s_waitcnt lgkmcnt(0)
	s_barrier
	s_cbranch_vccz .LBB547_46
; %bb.45:
	global_load_ushort v16, v1, s[0:1]
	global_load_ushort v17, v1, s[0:1] offset:512
	global_load_ushort v18, v1, s[0:1] offset:1024
	v_mov_b32_e32 v10, s1
	v_add_co_u32_e32 v14, vcc, s0, v1
	s_movk_i32 s3, 0x2000
	v_addc_co_u32_e32 v15, vcc, 0, v10, vcc
	v_add_co_u32_e32 v10, vcc, s3, v14
	global_load_ushort v19, v1, s[0:1] offset:1536
	global_load_ushort v20, v1, s[0:1] offset:2048
	;; [unrolled: 1-line block ×5, first 2 shown]
	v_addc_co_u32_e32 v11, vcc, 0, v15, vcc
	global_load_ushort v24, v[10:11], off offset:-4096
	s_movk_i32 s2, 0x1000
	v_add_co_u32_e32 v14, vcc, s2, v14
	v_addc_co_u32_e32 v15, vcc, 0, v15, vcc
	global_load_ushort v25, v[14:15], off offset:512
	global_load_ushort v27, v[14:15], off offset:1024
	;; [unrolled: 1-line block ×7, first 2 shown]
	global_load_ushort v33, v[10:11], off
	global_load_ushort v34, v[10:11], off offset:512
	global_load_ushort v35, v[10:11], off offset:1024
	;; [unrolled: 1-line block ×3, first 2 shown]
	s_mov_b64 s[2:3], 0
	s_waitcnt vmcnt(19)
	v_cmp_ne_u16_e32 vcc, 0, v16
	v_cndmask_b32_e64 v10, 0, 1, vcc
	s_waitcnt vmcnt(18)
	v_cmp_ne_u16_e32 vcc, 0, v17
	v_cndmask_b32_e64 v11, 0, 1, vcc
	;; [unrolled: 3-line block ×8, first 2 shown]
	s_waitcnt vmcnt(11)
	v_cmp_ne_u16_e32 vcc, 0, v24
	ds_write_b8 v0, v10
	ds_write_b8 v0, v11 offset:256
	ds_write_b8 v0, v14 offset:512
	;; [unrolled: 1-line block ×7, first 2 shown]
	v_cndmask_b32_e64 v10, 0, 1, vcc
	s_waitcnt vmcnt(10)
	v_cmp_ne_u16_e32 vcc, 0, v25
	v_cndmask_b32_e64 v11, 0, 1, vcc
	s_waitcnt vmcnt(9)
	v_cmp_ne_u16_e32 vcc, 0, v27
	;; [unrolled: 3-line block ×11, first 2 shown]
	v_cndmask_b32_e64 v23, 0, 1, vcc
	ds_write_b8 v0, v10 offset:2048
	ds_write_b8 v0, v11 offset:2304
	;; [unrolled: 1-line block ×12, first 2 shown]
	s_waitcnt lgkmcnt(0)
	s_barrier
.LBB547_46:
	s_load_dwordx2 s[36:37], s[4:5], 0x70
	s_andn2_b64 vcc, exec, s[2:3]
	s_cbranch_vccnz .LBB547_88
; %bb.47:
	v_cmp_gt_u32_e32 vcc, s33, v0
	v_mov_b32_e32 v10, 0
	v_mov_b32_e32 v11, 0
	s_and_saveexec_b64 s[2:3], vcc
	s_cbranch_execz .LBB547_49
; %bb.48:
	global_load_ushort v11, v1, s[0:1]
	s_waitcnt vmcnt(0)
	v_cmp_ne_u16_e32 vcc, 0, v11
	v_cndmask_b32_e64 v11, 0, 1, vcc
.LBB547_49:
	s_or_b64 exec, exec, s[2:3]
	v_or_b32_e32 v14, 0x100, v0
	v_cmp_gt_u32_e32 vcc, s33, v14
	s_and_saveexec_b64 s[2:3], vcc
	s_cbranch_execz .LBB547_51
; %bb.50:
	global_load_ushort v10, v1, s[0:1] offset:512
	s_waitcnt vmcnt(0)
	v_cmp_ne_u16_e32 vcc, 0, v10
	v_cndmask_b32_e64 v10, 0, 1, vcc
.LBB547_51:
	s_or_b64 exec, exec, s[2:3]
	v_or_b32_e32 v14, 0x200, v0
	v_cmp_gt_u32_e32 vcc, s33, v14
	v_mov_b32_e32 v14, 0
	v_mov_b32_e32 v15, 0
	s_and_saveexec_b64 s[2:3], vcc
	s_cbranch_execz .LBB547_53
; %bb.52:
	global_load_ushort v15, v1, s[0:1] offset:1024
	s_waitcnt vmcnt(0)
	v_cmp_ne_u16_e32 vcc, 0, v15
	v_cndmask_b32_e64 v15, 0, 1, vcc
.LBB547_53:
	s_or_b64 exec, exec, s[2:3]
	v_or_b32_e32 v16, 0x300, v0
	v_cmp_gt_u32_e32 vcc, s33, v16
	s_and_saveexec_b64 s[2:3], vcc
	s_cbranch_execz .LBB547_55
; %bb.54:
	global_load_ushort v14, v1, s[0:1] offset:1536
	s_waitcnt vmcnt(0)
	v_cmp_ne_u16_e32 vcc, 0, v14
	v_cndmask_b32_e64 v14, 0, 1, vcc
.LBB547_55:
	s_or_b64 exec, exec, s[2:3]
	v_or_b32_e32 v16, 0x400, v0
	v_cmp_gt_u32_e32 vcc, s33, v16
	v_mov_b32_e32 v16, 0
	v_mov_b32_e32 v17, 0
	s_and_saveexec_b64 s[2:3], vcc
	s_cbranch_execz .LBB547_57
; %bb.56:
	global_load_ushort v17, v1, s[0:1] offset:2048
	s_waitcnt vmcnt(0)
	v_cmp_ne_u16_e32 vcc, 0, v17
	v_cndmask_b32_e64 v17, 0, 1, vcc
.LBB547_57:
	;; [unrolled: 24-line block ×3, first 2 shown]
	s_or_b64 exec, exec, s[2:3]
	v_or_b32_e32 v20, 0x700, v0
	v_cmp_gt_u32_e32 vcc, s33, v20
	s_and_saveexec_b64 s[2:3], vcc
	s_cbranch_execz .LBB547_63
; %bb.62:
	global_load_ushort v18, v1, s[0:1] offset:3584
	s_waitcnt vmcnt(0)
	v_cmp_ne_u16_e32 vcc, 0, v18
	v_cndmask_b32_e64 v18, 0, 1, vcc
.LBB547_63:
	s_or_b64 exec, exec, s[2:3]
	v_or_b32_e32 v22, 0x800, v0
	v_cmp_gt_u32_e32 vcc, s33, v22
	v_mov_b32_e32 v20, 0
	v_mov_b32_e32 v21, 0
	s_and_saveexec_b64 s[2:3], vcc
	s_cbranch_execz .LBB547_65
; %bb.64:
	v_lshlrev_b32_e32 v21, 1, v22
	global_load_ushort v21, v21, s[0:1]
	s_waitcnt vmcnt(0)
	v_cmp_ne_u16_e32 vcc, 0, v21
	v_cndmask_b32_e64 v21, 0, 1, vcc
.LBB547_65:
	s_or_b64 exec, exec, s[2:3]
	v_or_b32_e32 v22, 0x900, v0
	v_cmp_gt_u32_e32 vcc, s33, v22
	s_and_saveexec_b64 s[2:3], vcc
	s_cbranch_execz .LBB547_67
; %bb.66:
	v_lshlrev_b32_e32 v20, 1, v22
	global_load_ushort v20, v20, s[0:1]
	s_waitcnt vmcnt(0)
	v_cmp_ne_u16_e32 vcc, 0, v20
	v_cndmask_b32_e64 v20, 0, 1, vcc
.LBB547_67:
	s_or_b64 exec, exec, s[2:3]
	v_or_b32_e32 v24, 0xa00, v0
	v_cmp_gt_u32_e32 vcc, s33, v24
	v_mov_b32_e32 v22, 0
	v_mov_b32_e32 v23, 0
	s_and_saveexec_b64 s[2:3], vcc
	s_cbranch_execz .LBB547_69
; %bb.68:
	v_lshlrev_b32_e32 v23, 1, v24
	global_load_ushort v23, v23, s[0:1]
	s_waitcnt vmcnt(0)
	v_cmp_ne_u16_e32 vcc, 0, v23
	v_cndmask_b32_e64 v23, 0, 1, vcc
.LBB547_69:
	s_or_b64 exec, exec, s[2:3]
	v_or_b32_e32 v24, 0xb00, v0
	v_cmp_gt_u32_e32 vcc, s33, v24
	s_and_saveexec_b64 s[2:3], vcc
	s_cbranch_execz .LBB547_71
; %bb.70:
	v_lshlrev_b32_e32 v22, 1, v24
	global_load_ushort v22, v22, s[0:1]
	s_waitcnt vmcnt(0)
	v_cmp_ne_u16_e32 vcc, 0, v22
	v_cndmask_b32_e64 v22, 0, 1, vcc
.LBB547_71:
	;; [unrolled: 26-line block ×6, first 2 shown]
	s_or_b64 exec, exec, s[2:3]
	ds_write_b8 v0, v11
	ds_write_b8 v0, v10 offset:256
	ds_write_b8 v0, v15 offset:512
	;; [unrolled: 1-line block ×19, first 2 shown]
	s_waitcnt lgkmcnt(0)
	s_barrier
.LBB547_88:
	s_waitcnt lgkmcnt(0)
	ds_read2_b32 v[16:17], v26 offset1:1
	ds_read2_b32 v[14:15], v26 offset0:2 offset1:3
	ds_read_b32 v28, v26 offset:16
	s_cmp_lg_u32 s6, 0
	v_lshrrev_b32_e32 v47, 6, v0
	s_waitcnt lgkmcnt(2)
	v_lshrrev_b32_e32 v33, 24, v16
	v_bfe_u32 v45, v16, 16, 8
	v_add_u32_sdwa v10, v16, v16 dst_sel:DWORD dst_unused:UNUSED_PAD src0_sel:BYTE_1 src1_sel:BYTE_0
	v_and_b32_e32 v42, 0xff, v17
	v_bfe_u32 v43, v17, 8, 8
	v_add3_u32 v10, v10, v45, v33
	v_lshrrev_b32_e32 v32, 24, v17
	v_bfe_u32 v44, v17, 16, 8
	v_add3_u32 v10, v10, v42, v43
	s_waitcnt lgkmcnt(1)
	v_and_b32_e32 v39, 0xff, v14
	v_bfe_u32 v40, v14, 8, 8
	v_add3_u32 v10, v10, v44, v32
	v_lshrrev_b32_e32 v31, 24, v14
	v_bfe_u32 v41, v14, 16, 8
	v_add3_u32 v10, v10, v39, v40
	v_and_b32_e32 v36, 0xff, v15
	v_bfe_u32 v37, v15, 8, 8
	v_add3_u32 v10, v10, v41, v31
	v_lshrrev_b32_e32 v30, 24, v15
	v_bfe_u32 v38, v15, 16, 8
	v_add3_u32 v10, v10, v36, v37
	s_waitcnt lgkmcnt(0)
	v_and_b32_e32 v34, 0xff, v28
	v_bfe_u32 v35, v28, 8, 8
	v_add3_u32 v10, v10, v38, v30
	v_lshrrev_b32_e32 v27, 24, v28
	v_bfe_u32 v29, v28, 16, 8
	v_add3_u32 v10, v10, v34, v35
	v_add3_u32 v48, v10, v29, v27
	v_mbcnt_lo_u32_b32 v10, -1, 0
	v_mbcnt_hi_u32_b32 v46, -1, v10
	v_and_b32_e32 v10, 15, v46
	v_cmp_eq_u32_e64 s[14:15], 0, v10
	v_cmp_lt_u32_e64 s[12:13], 1, v10
	v_cmp_lt_u32_e64 s[10:11], 3, v10
	;; [unrolled: 1-line block ×3, first 2 shown]
	v_and_b32_e32 v10, 16, v46
	v_cmp_eq_u32_e64 s[18:19], 0, v10
	v_or_b32_e32 v10, 63, v0
	v_cmp_lt_u32_e64 s[0:1], 31, v46
	v_cmp_eq_u32_e64 s[2:3], v10, v0
	s_barrier
	s_cbranch_scc0 .LBB547_115
; %bb.89:
	v_mov_b32_dpp v10, v48 row_shr:1 row_mask:0xf bank_mask:0xf
	v_cndmask_b32_e64 v10, v10, 0, s[14:15]
	v_add_u32_e32 v10, v10, v48
	s_nop 1
	v_mov_b32_dpp v11, v10 row_shr:2 row_mask:0xf bank_mask:0xf
	v_cndmask_b32_e64 v11, 0, v11, s[12:13]
	v_add_u32_e32 v10, v10, v11
	s_nop 1
	;; [unrolled: 4-line block ×4, first 2 shown]
	v_mov_b32_dpp v11, v10 row_bcast:15 row_mask:0xf bank_mask:0xf
	v_cndmask_b32_e64 v11, v11, 0, s[18:19]
	v_add_u32_e32 v10, v10, v11
	s_nop 1
	v_mov_b32_dpp v11, v10 row_bcast:31 row_mask:0xf bank_mask:0xf
	v_cndmask_b32_e64 v11, 0, v11, s[0:1]
	v_add_u32_e32 v10, v10, v11
	s_and_saveexec_b64 s[16:17], s[2:3]
	s_cbranch_execz .LBB547_91
; %bb.90:
	v_lshlrev_b32_e32 v11, 2, v47
	ds_write_b32 v11, v10
.LBB547_91:
	s_or_b64 exec, exec, s[16:17]
	v_cmp_gt_u32_e32 vcc, 4, v0
	s_waitcnt lgkmcnt(0)
	s_barrier
	s_and_saveexec_b64 s[16:17], vcc
	s_cbranch_execz .LBB547_93
; %bb.92:
	v_lshlrev_b32_e32 v11, 2, v0
	ds_read_b32 v18, v11
	v_and_b32_e32 v19, 3, v46
	v_cmp_ne_u32_e32 vcc, 0, v19
	s_waitcnt lgkmcnt(0)
	v_mov_b32_dpp v20, v18 row_shr:1 row_mask:0xf bank_mask:0xf
	v_cndmask_b32_e32 v20, 0, v20, vcc
	v_add_u32_e32 v18, v20, v18
	v_cmp_lt_u32_e32 vcc, 1, v19
	s_nop 0
	v_mov_b32_dpp v20, v18 row_shr:2 row_mask:0xf bank_mask:0xf
	v_cndmask_b32_e32 v19, 0, v20, vcc
	v_add_u32_e32 v18, v18, v19
	ds_write_b32 v11, v18
.LBB547_93:
	s_or_b64 exec, exec, s[16:17]
	v_cmp_gt_u32_e32 vcc, 64, v0
	v_cmp_lt_u32_e64 s[16:17], 63, v0
	s_waitcnt lgkmcnt(0)
	s_barrier
	s_waitcnt lgkmcnt(0)
                                        ; implicit-def: $vgpr49
	s_and_saveexec_b64 s[38:39], s[16:17]
	s_cbranch_execz .LBB547_95
; %bb.94:
	v_lshl_add_u32 v11, v47, 2, -4
	ds_read_b32 v49, v11
	s_waitcnt lgkmcnt(0)
	v_add_u32_e32 v10, v49, v10
.LBB547_95:
	s_or_b64 exec, exec, s[38:39]
	v_add_u32_e32 v11, -1, v46
	v_and_b32_e32 v18, 64, v46
	v_cmp_lt_i32_e64 s[16:17], v11, v18
	v_cndmask_b32_e64 v11, v11, v46, s[16:17]
	v_lshlrev_b32_e32 v11, 2, v11
	ds_bpermute_b32 v50, v11, v10
	v_cmp_eq_u32_e64 s[16:17], 0, v46
	s_and_saveexec_b64 s[38:39], vcc
	s_cbranch_execz .LBB547_114
; %bb.96:
	v_mov_b32_e32 v23, 0
	ds_read_b32 v10, v23 offset:12
	s_and_saveexec_b64 s[40:41], s[16:17]
	s_cbranch_execz .LBB547_98
; %bb.97:
	s_add_i32 s42, s6, 64
	s_mov_b32 s43, 0
	s_lshl_b64 s[42:43], s[42:43], 3
	s_add_u32 s42, s36, s42
	v_mov_b32_e32 v11, 1
	s_addc_u32 s43, s37, s43
	s_waitcnt lgkmcnt(0)
	global_store_dwordx2 v23, v[10:11], s[42:43]
.LBB547_98:
	s_or_b64 exec, exec, s[40:41]
	v_xad_u32 v18, v46, -1, s6
	v_add_u32_e32 v22, 64, v18
	v_lshlrev_b64 v[20:21], 3, v[22:23]
	v_mov_b32_e32 v11, s37
	v_add_co_u32_e32 v24, vcc, s36, v20
	v_addc_co_u32_e32 v25, vcc, v11, v21, vcc
	global_load_dwordx2 v[20:21], v[24:25], off glc
	s_waitcnt vmcnt(0)
	v_cmp_eq_u16_sdwa s[42:43], v21, v23 src0_sel:BYTE_0 src1_sel:DWORD
	s_and_saveexec_b64 s[40:41], s[42:43]
	s_cbranch_execz .LBB547_102
; %bb.99:
	s_mov_b64 s[42:43], 0
	v_mov_b32_e32 v11, 0
.LBB547_100:                            ; =>This Inner Loop Header: Depth=1
	global_load_dwordx2 v[20:21], v[24:25], off glc
	s_waitcnt vmcnt(0)
	v_cmp_ne_u16_sdwa s[44:45], v21, v11 src0_sel:BYTE_0 src1_sel:DWORD
	s_or_b64 s[42:43], s[44:45], s[42:43]
	s_andn2_b64 exec, exec, s[42:43]
	s_cbranch_execnz .LBB547_100
; %bb.101:
	s_or_b64 exec, exec, s[42:43]
.LBB547_102:
	s_or_b64 exec, exec, s[40:41]
	v_and_b32_e32 v52, 63, v46
	v_mov_b32_e32 v51, 2
	v_cmp_ne_u32_e32 vcc, 63, v52
	v_cmp_eq_u16_sdwa s[40:41], v21, v51 src0_sel:BYTE_0 src1_sel:DWORD
	v_lshlrev_b64 v[22:23], v46, -1
	v_addc_co_u32_e32 v24, vcc, 0, v46, vcc
	v_and_b32_e32 v11, s41, v23
	v_lshlrev_b32_e32 v53, 2, v24
	v_or_b32_e32 v11, 0x80000000, v11
	ds_bpermute_b32 v24, v53, v20
	v_and_b32_e32 v19, s40, v22
	v_ffbl_b32_e32 v11, v11
	v_add_u32_e32 v11, 32, v11
	v_ffbl_b32_e32 v19, v19
	v_min_u32_e32 v11, v19, v11
	v_cmp_lt_u32_e32 vcc, v52, v11
	s_waitcnt lgkmcnt(0)
	v_cndmask_b32_e32 v19, 0, v24, vcc
	v_cmp_gt_u32_e32 vcc, 62, v52
	v_add_u32_e32 v19, v19, v20
	v_cndmask_b32_e64 v20, 0, 1, vcc
	v_lshlrev_b32_e32 v20, 1, v20
	v_add_lshl_u32 v54, v20, v46, 2
	ds_bpermute_b32 v20, v54, v19
	v_add_u32_e32 v55, 2, v52
	v_cmp_le_u32_e32 vcc, v55, v11
	v_add_u32_e32 v57, 4, v52
	v_add_u32_e32 v59, 8, v52
	s_waitcnt lgkmcnt(0)
	v_cndmask_b32_e32 v20, 0, v20, vcc
	v_cmp_gt_u32_e32 vcc, 60, v52
	v_add_u32_e32 v19, v19, v20
	v_cndmask_b32_e64 v20, 0, 1, vcc
	v_lshlrev_b32_e32 v20, 2, v20
	v_add_lshl_u32 v56, v20, v46, 2
	ds_bpermute_b32 v20, v56, v19
	v_cmp_le_u32_e32 vcc, v57, v11
	v_add_u32_e32 v61, 16, v52
	v_add_u32_e32 v63, 32, v52
	s_waitcnt lgkmcnt(0)
	v_cndmask_b32_e32 v20, 0, v20, vcc
	v_cmp_gt_u32_e32 vcc, 56, v52
	v_add_u32_e32 v19, v19, v20
	v_cndmask_b32_e64 v20, 0, 1, vcc
	v_lshlrev_b32_e32 v20, 3, v20
	v_add_lshl_u32 v58, v20, v46, 2
	ds_bpermute_b32 v20, v58, v19
	v_cmp_le_u32_e32 vcc, v59, v11
	s_waitcnt lgkmcnt(0)
	v_cndmask_b32_e32 v20, 0, v20, vcc
	v_cmp_gt_u32_e32 vcc, 48, v52
	v_add_u32_e32 v19, v19, v20
	v_cndmask_b32_e64 v20, 0, 1, vcc
	v_lshlrev_b32_e32 v20, 4, v20
	v_add_lshl_u32 v60, v20, v46, 2
	ds_bpermute_b32 v20, v60, v19
	v_cmp_le_u32_e32 vcc, v61, v11
	;; [unrolled: 9-line block ×3, first 2 shown]
	s_waitcnt lgkmcnt(0)
	v_cndmask_b32_e32 v11, 0, v20, vcc
	v_add_u32_e32 v20, v19, v11
	v_mov_b32_e32 v19, 0
	s_branch .LBB547_104
.LBB547_103:                            ;   in Loop: Header=BB547_104 Depth=1
	s_or_b64 exec, exec, s[40:41]
	v_cmp_eq_u16_sdwa s[40:41], v21, v51 src0_sel:BYTE_0 src1_sel:DWORD
	v_and_b32_e32 v24, s41, v23
	v_or_b32_e32 v24, 0x80000000, v24
	ds_bpermute_b32 v64, v53, v20
	v_and_b32_e32 v25, s40, v22
	v_ffbl_b32_e32 v24, v24
	v_add_u32_e32 v24, 32, v24
	v_ffbl_b32_e32 v25, v25
	v_min_u32_e32 v24, v25, v24
	v_cmp_lt_u32_e32 vcc, v52, v24
	s_waitcnt lgkmcnt(0)
	v_cndmask_b32_e32 v25, 0, v64, vcc
	v_add_u32_e32 v20, v25, v20
	ds_bpermute_b32 v25, v54, v20
	v_cmp_le_u32_e32 vcc, v55, v24
	v_subrev_u32_e32 v18, 64, v18
	s_waitcnt lgkmcnt(0)
	v_cndmask_b32_e32 v25, 0, v25, vcc
	v_add_u32_e32 v20, v20, v25
	ds_bpermute_b32 v25, v56, v20
	v_cmp_le_u32_e32 vcc, v57, v24
	s_waitcnt lgkmcnt(0)
	v_cndmask_b32_e32 v25, 0, v25, vcc
	v_add_u32_e32 v20, v20, v25
	ds_bpermute_b32 v25, v58, v20
	v_cmp_le_u32_e32 vcc, v59, v24
	;; [unrolled: 5-line block ×4, first 2 shown]
	s_waitcnt lgkmcnt(0)
	v_cndmask_b32_e32 v24, 0, v25, vcc
	v_add3_u32 v20, v24, v11, v20
.LBB547_104:                            ; =>This Loop Header: Depth=1
                                        ;     Child Loop BB547_107 Depth 2
	v_cmp_ne_u16_sdwa s[40:41], v21, v51 src0_sel:BYTE_0 src1_sel:DWORD
	v_cndmask_b32_e64 v11, 0, 1, s[40:41]
	;;#ASMSTART
	;;#ASMEND
	v_cmp_ne_u32_e32 vcc, 0, v11
	s_cmp_lg_u64 vcc, exec
	v_mov_b32_e32 v11, v20
	s_cbranch_scc1 .LBB547_109
; %bb.105:                              ;   in Loop: Header=BB547_104 Depth=1
	v_lshlrev_b64 v[20:21], 3, v[18:19]
	v_mov_b32_e32 v25, s37
	v_add_co_u32_e32 v24, vcc, s36, v20
	v_addc_co_u32_e32 v25, vcc, v25, v21, vcc
	global_load_dwordx2 v[20:21], v[24:25], off glc
	s_waitcnt vmcnt(0)
	v_cmp_eq_u16_sdwa s[42:43], v21, v19 src0_sel:BYTE_0 src1_sel:DWORD
	s_and_saveexec_b64 s[40:41], s[42:43]
	s_cbranch_execz .LBB547_103
; %bb.106:                              ;   in Loop: Header=BB547_104 Depth=1
	s_mov_b64 s[42:43], 0
.LBB547_107:                            ;   Parent Loop BB547_104 Depth=1
                                        ; =>  This Inner Loop Header: Depth=2
	global_load_dwordx2 v[20:21], v[24:25], off glc
	s_waitcnt vmcnt(0)
	v_cmp_ne_u16_sdwa s[44:45], v21, v19 src0_sel:BYTE_0 src1_sel:DWORD
	s_or_b64 s[42:43], s[44:45], s[42:43]
	s_andn2_b64 exec, exec, s[42:43]
	s_cbranch_execnz .LBB547_107
; %bb.108:                              ;   in Loop: Header=BB547_104 Depth=1
	s_or_b64 exec, exec, s[42:43]
	s_branch .LBB547_103
.LBB547_109:                            ;   in Loop: Header=BB547_104 Depth=1
                                        ; implicit-def: $vgpr20
                                        ; implicit-def: $vgpr21
	s_cbranch_execz .LBB547_104
; %bb.110:
	s_and_saveexec_b64 s[40:41], s[16:17]
	s_cbranch_execz .LBB547_112
; %bb.111:
	s_add_i32 s6, s6, 64
	s_mov_b32 s7, 0
	s_lshl_b64 s[6:7], s[6:7], 3
	s_add_u32 s6, s36, s6
	v_add_u32_e32 v18, v11, v10
	v_mov_b32_e32 v19, 2
	s_addc_u32 s7, s37, s7
	v_mov_b32_e32 v20, 0
	global_store_dwordx2 v20, v[18:19], s[6:7]
	ds_write_b64 v20, v[10:11] offset:10240
.LBB547_112:
	s_or_b64 exec, exec, s[40:41]
	v_cmp_eq_u32_e32 vcc, 0, v0
	s_and_b64 exec, exec, vcc
	s_cbranch_execz .LBB547_114
; %bb.113:
	v_mov_b32_e32 v10, 0
	ds_write_b32 v10, v11 offset:12
.LBB547_114:
	s_or_b64 exec, exec, s[38:39]
	v_mov_b32_e32 v10, 0
	s_waitcnt lgkmcnt(0)
	s_barrier
	ds_read_b32 v19, v10 offset:12
	s_waitcnt lgkmcnt(0)
	s_barrier
	ds_read_b64 v[10:11], v10 offset:10240
	v_cndmask_b32_e64 v18, v50, v49, s[16:17]
	v_cmp_ne_u32_e32 vcc, 0, v0
	v_cndmask_b32_e32 v18, 0, v18, vcc
	v_add_u32_e32 v22, v19, v18
	s_load_dwordx2 s[4:5], s[4:5], 0x30
	s_branch .LBB547_125
.LBB547_115:
                                        ; implicit-def: $vgpr11
                                        ; implicit-def: $vgpr22
	s_load_dwordx2 s[4:5], s[4:5], 0x30
	s_cbranch_execz .LBB547_125
; %bb.116:
	s_waitcnt lgkmcnt(0)
	v_mov_b32_dpp v10, v48 row_shr:1 row_mask:0xf bank_mask:0xf
	v_cndmask_b32_e64 v10, v10, 0, s[14:15]
	v_add_u32_e32 v10, v10, v48
	s_nop 1
	v_mov_b32_dpp v11, v10 row_shr:2 row_mask:0xf bank_mask:0xf
	v_cndmask_b32_e64 v11, 0, v11, s[12:13]
	v_add_u32_e32 v10, v10, v11
	s_nop 1
	;; [unrolled: 4-line block ×4, first 2 shown]
	v_mov_b32_dpp v11, v10 row_bcast:15 row_mask:0xf bank_mask:0xf
	v_cndmask_b32_e64 v11, v11, 0, s[18:19]
	v_add_u32_e32 v10, v10, v11
	s_nop 1
	v_mov_b32_dpp v11, v10 row_bcast:31 row_mask:0xf bank_mask:0xf
	v_cndmask_b32_e64 v11, 0, v11, s[0:1]
	v_add_u32_e32 v10, v10, v11
	s_and_saveexec_b64 s[0:1], s[2:3]
	s_cbranch_execz .LBB547_118
; %bb.117:
	v_lshlrev_b32_e32 v11, 2, v47
	ds_write_b32 v11, v10
.LBB547_118:
	s_or_b64 exec, exec, s[0:1]
	v_cmp_gt_u32_e32 vcc, 4, v0
	s_waitcnt lgkmcnt(0)
	s_barrier
	s_and_saveexec_b64 s[0:1], vcc
	s_cbranch_execz .LBB547_120
; %bb.119:
	v_lshlrev_b32_e32 v11, 2, v0
	ds_read_b32 v18, v11
	v_and_b32_e32 v19, 3, v46
	v_cmp_ne_u32_e32 vcc, 0, v19
	s_waitcnt lgkmcnt(0)
	v_mov_b32_dpp v20, v18 row_shr:1 row_mask:0xf bank_mask:0xf
	v_cndmask_b32_e32 v20, 0, v20, vcc
	v_add_u32_e32 v18, v20, v18
	v_cmp_lt_u32_e32 vcc, 1, v19
	s_nop 0
	v_mov_b32_dpp v20, v18 row_shr:2 row_mask:0xf bank_mask:0xf
	v_cndmask_b32_e32 v19, 0, v20, vcc
	v_add_u32_e32 v18, v18, v19
	ds_write_b32 v11, v18
.LBB547_120:
	s_or_b64 exec, exec, s[0:1]
	v_cmp_lt_u32_e32 vcc, 63, v0
	v_mov_b32_e32 v11, 0
	v_mov_b32_e32 v18, 0
	s_waitcnt lgkmcnt(0)
	s_barrier
	s_and_saveexec_b64 s[0:1], vcc
	s_cbranch_execz .LBB547_122
; %bb.121:
	v_lshl_add_u32 v18, v47, 2, -4
	ds_read_b32 v18, v18
.LBB547_122:
	s_or_b64 exec, exec, s[0:1]
	v_add_u32_e32 v19, -1, v46
	v_and_b32_e32 v20, 64, v46
	v_cmp_lt_i32_e32 vcc, v19, v20
	v_cndmask_b32_e32 v19, v19, v46, vcc
	s_waitcnt lgkmcnt(0)
	v_add_u32_e32 v10, v18, v10
	v_lshlrev_b32_e32 v19, 2, v19
	ds_bpermute_b32 v19, v19, v10
	ds_read_b32 v10, v11 offset:12
	v_cmp_eq_u32_e32 vcc, 0, v0
	s_and_saveexec_b64 s[0:1], vcc
	s_cbranch_execz .LBB547_124
; %bb.123:
	v_mov_b32_e32 v20, 0
	v_mov_b32_e32 v11, 2
	s_waitcnt lgkmcnt(0)
	global_store_dwordx2 v20, v[10:11], s[36:37] offset:512
.LBB547_124:
	s_or_b64 exec, exec, s[0:1]
	v_cmp_eq_u32_e64 s[0:1], 0, v46
	s_waitcnt lgkmcnt(1)
	v_cndmask_b32_e64 v18, v19, v18, s[0:1]
	v_mov_b32_e32 v11, 0
	v_cndmask_b32_e64 v22, v18, 0, vcc
	s_waitcnt lgkmcnt(0)
	s_barrier
.LBB547_125:
	v_add_u32_sdwa v24, v22, v16 dst_sel:DWORD dst_unused:UNUSED_PAD src0_sel:DWORD src1_sel:BYTE_0
	s_waitcnt lgkmcnt(0)
	v_add_u32_e32 v26, v10, v26
	v_sub_u32_e32 v22, v22, v11
	v_and_b32_e32 v51, 1, v16
	v_sub_u32_e32 v50, v26, v22
	v_cmp_eq_u32_e32 vcc, 1, v51
	v_cndmask_b32_e32 v22, v50, v22, vcc
	v_lshlrev_b32_e32 v22, 1, v22
	v_lshrrev_b32_e32 v23, 8, v16
	ds_write_b16 v22, v6
	v_sub_u32_e32 v22, v24, v11
	v_add_u32_sdwa v25, v24, v16 dst_sel:DWORD dst_unused:UNUSED_PAD src0_sel:DWORD src1_sel:BYTE_1
	v_sub_u32_e32 v24, v26, v22
	v_and_b32_e32 v23, 1, v23
	v_add_u32_e32 v24, 1, v24
	v_cmp_eq_u32_e32 vcc, 1, v23
	v_cndmask_b32_e32 v22, v24, v22, vcc
	v_lshlrev_b32_e32 v22, 1, v22
	ds_write_b16_d16_hi v22, v6
	v_sub_u32_e32 v6, v25, v11
	v_mov_b32_e32 v23, 1
	v_sub_u32_e32 v22, v26, v6
	v_and_b32_sdwa v16, v23, v16 dst_sel:DWORD dst_unused:UNUSED_PAD src0_sel:DWORD src1_sel:WORD_1
	v_add_u32_e32 v22, 2, v22
	v_cmp_eq_u32_e32 vcc, 1, v16
	v_cndmask_b32_e32 v6, v22, v6, vcc
	v_add_u32_e32 v45, v25, v45
	v_lshlrev_b32_e32 v6, 1, v6
	ds_write_b16 v6, v7
	v_sub_u32_e32 v6, v45, v11
	v_sub_u32_e32 v16, v26, v6
	v_and_b32_e32 v22, 1, v33
	v_add_u32_e32 v16, 3, v16
	v_cmp_eq_u32_e32 vcc, 1, v22
	v_cndmask_b32_e32 v6, v16, v6, vcc
	v_add_u32_e32 v46, v45, v33
	v_lshlrev_b32_e32 v6, 1, v6
	ds_write_b16_d16_hi v6, v7
	v_sub_u32_e32 v6, v46, v11
	v_sub_u32_e32 v7, v26, v6
	v_and_b32_e32 v16, 1, v17
	v_add_u32_e32 v7, 4, v7
	v_cmp_eq_u32_e32 vcc, 1, v16
	v_cndmask_b32_e32 v6, v7, v6, vcc
	v_add_u32_e32 v42, v46, v42
	v_lshlrev_b32_e32 v6, 1, v6
	v_lshrrev_b32_e32 v21, 8, v17
	ds_write_b16 v6, v8
	v_sub_u32_e32 v6, v42, v11
	v_sub_u32_e32 v7, v26, v6
	v_and_b32_e32 v16, 1, v21
	v_add_u32_e32 v7, 5, v7
	v_cmp_eq_u32_e32 vcc, 1, v16
	v_cndmask_b32_e32 v6, v7, v6, vcc
	v_add_u32_e32 v43, v42, v43
	v_lshlrev_b32_e32 v6, 1, v6
	ds_write_b16_d16_hi v6, v8
	v_sub_u32_e32 v6, v43, v11
	v_sub_u32_e32 v7, v26, v6
	v_and_b32_sdwa v8, v23, v17 dst_sel:DWORD dst_unused:UNUSED_PAD src0_sel:DWORD src1_sel:WORD_1
	v_add_u32_e32 v7, 6, v7
	v_cmp_eq_u32_e32 vcc, 1, v8
	v_cndmask_b32_e32 v6, v7, v6, vcc
	v_add_u32_e32 v44, v43, v44
	v_lshlrev_b32_e32 v6, 1, v6
	ds_write_b16 v6, v9
	v_sub_u32_e32 v6, v44, v11
	v_sub_u32_e32 v7, v26, v6
	v_and_b32_e32 v8, 1, v32
	v_add_u32_e32 v7, 7, v7
	v_cmp_eq_u32_e32 vcc, 1, v8
	v_cndmask_b32_e32 v6, v7, v6, vcc
	v_add_u32_e32 v47, v44, v32
	v_lshlrev_b32_e32 v6, 1, v6
	ds_write_b16_d16_hi v6, v9
	v_sub_u32_e32 v6, v47, v11
	v_sub_u32_e32 v7, v26, v6
	v_and_b32_e32 v8, 1, v14
	v_add_u32_e32 v7, 8, v7
	v_cmp_eq_u32_e32 vcc, 1, v8
	v_cndmask_b32_e32 v6, v7, v6, vcc
	v_add_u32_e32 v39, v47, v39
	v_lshlrev_b32_e32 v6, 1, v6
	v_lshrrev_b32_e32 v20, 8, v14
	ds_write_b16 v6, v2
	v_sub_u32_e32 v6, v39, v11
	v_sub_u32_e32 v7, v26, v6
	v_and_b32_e32 v8, 1, v20
	v_add_u32_e32 v7, 9, v7
	v_cmp_eq_u32_e32 vcc, 1, v8
	v_cndmask_b32_e32 v6, v7, v6, vcc
	v_add_u32_e32 v40, v39, v40
	v_lshlrev_b32_e32 v6, 1, v6
	ds_write_b16_d16_hi v6, v2
	v_sub_u32_e32 v2, v40, v11
	v_sub_u32_e32 v6, v26, v2
	v_and_b32_sdwa v7, v23, v14 dst_sel:DWORD dst_unused:UNUSED_PAD src0_sel:DWORD src1_sel:WORD_1
	v_add_u32_e32 v6, 10, v6
	v_cmp_eq_u32_e32 vcc, 1, v7
	v_cndmask_b32_e32 v2, v6, v2, vcc
	v_add_u32_e32 v41, v40, v41
	v_lshlrev_b32_e32 v2, 1, v2
	ds_write_b16 v2, v3
	v_sub_u32_e32 v2, v41, v11
	v_sub_u32_e32 v6, v26, v2
	v_and_b32_e32 v7, 1, v31
	v_add_u32_e32 v6, 11, v6
	v_cmp_eq_u32_e32 vcc, 1, v7
	v_cndmask_b32_e32 v2, v6, v2, vcc
	v_add_u32_e32 v48, v41, v31
	v_lshlrev_b32_e32 v2, 1, v2
	ds_write_b16_d16_hi v2, v3
	v_sub_u32_e32 v2, v48, v11
	v_sub_u32_e32 v3, v26, v2
	v_and_b32_e32 v6, 1, v15
	v_add_u32_e32 v3, 12, v3
	v_cmp_eq_u32_e32 vcc, 1, v6
	v_cndmask_b32_e32 v2, v3, v2, vcc
	v_add_u32_e32 v36, v48, v36
	v_lshlrev_b32_e32 v2, 1, v2
	v_lshrrev_b32_e32 v19, 8, v15
	ds_write_b16 v2, v4
	v_sub_u32_e32 v2, v36, v11
	v_sub_u32_e32 v3, v26, v2
	v_and_b32_e32 v6, 1, v19
	v_add_u32_e32 v3, 13, v3
	v_cmp_eq_u32_e32 vcc, 1, v6
	v_cndmask_b32_e32 v2, v3, v2, vcc
	v_add_u32_e32 v37, v36, v37
	v_lshlrev_b32_e32 v2, 1, v2
	ds_write_b16_d16_hi v2, v4
	v_sub_u32_e32 v2, v37, v11
	v_sub_u32_e32 v3, v26, v2
	v_and_b32_sdwa v4, v23, v15 dst_sel:DWORD dst_unused:UNUSED_PAD src0_sel:DWORD src1_sel:WORD_1
	v_add_u32_e32 v3, 14, v3
	v_cmp_eq_u32_e32 vcc, 1, v4
	v_cndmask_b32_e32 v2, v3, v2, vcc
	v_add_u32_e32 v38, v37, v38
	v_lshlrev_b32_e32 v2, 1, v2
	ds_write_b16 v2, v5
	v_sub_u32_e32 v2, v38, v11
	v_sub_u32_e32 v3, v26, v2
	v_and_b32_e32 v4, 1, v30
	v_add_u32_e32 v3, 15, v3
	v_cmp_eq_u32_e32 vcc, 1, v4
	v_cndmask_b32_e32 v2, v3, v2, vcc
	v_add_u32_e32 v49, v38, v30
	v_lshlrev_b32_e32 v2, 1, v2
	ds_write_b16_d16_hi v2, v5
	v_sub_u32_e32 v2, v49, v11
	v_sub_u32_e32 v3, v26, v2
	v_and_b32_e32 v4, 1, v28
	v_add_u32_e32 v3, 16, v3
	v_cmp_eq_u32_e32 vcc, 1, v4
	v_cndmask_b32_e32 v2, v3, v2, vcc
	v_add_u32_e32 v34, v49, v34
	v_lshlrev_b32_e32 v2, 1, v2
	v_lshrrev_b32_e32 v18, 8, v28
	ds_write_b16 v2, v12
	v_sub_u32_e32 v2, v34, v11
	v_sub_u32_e32 v3, v26, v2
	v_and_b32_e32 v4, 1, v18
	v_add_u32_e32 v3, 17, v3
	v_cmp_eq_u32_e32 vcc, 1, v4
	v_cndmask_b32_e32 v2, v3, v2, vcc
	v_add_u32_e32 v35, v34, v35
	v_lshlrev_b32_e32 v2, 1, v2
	ds_write_b16_d16_hi v2, v12
	v_sub_u32_e32 v2, v35, v11
	v_sub_u32_e32 v3, v26, v2
	v_and_b32_sdwa v4, v23, v28 dst_sel:DWORD dst_unused:UNUSED_PAD src0_sel:DWORD src1_sel:WORD_1
	v_add_u32_e32 v3, 18, v3
	v_cmp_eq_u32_e32 vcc, 1, v4
	v_cndmask_b32_e32 v2, v3, v2, vcc
	v_lshlrev_b32_e32 v2, 1, v2
	ds_write_b16 v2, v13
	v_sub_u32_e32 v2, v29, v11
	v_add_u32_e32 v2, v35, v2
	v_sub_u32_e32 v3, v26, v2
	v_and_b32_e32 v4, 1, v27
	v_add_u32_e32 v3, 19, v3
	v_cmp_eq_u32_e32 vcc, 1, v4
	v_cndmask_b32_e32 v2, v3, v2, vcc
	v_lshlrev_b32_e32 v2, 1, v2
	ds_write_b16_d16_hi v2, v13
	s_waitcnt lgkmcnt(0)
	s_barrier
	ds_read_u16 v47, v1
	ds_read_u16 v45, v1 offset:512
	ds_read_u16 v43, v1 offset:1024
	;; [unrolled: 1-line block ×19, first 2 shown]
	s_add_u32 s0, s26, s24
	s_addc_u32 s1, s27, 0
	v_mov_b32_e32 v2, s31
	v_add_co_u32_e32 v1, vcc, s30, v11
	s_sub_u32 s0, s28, s0
	v_addc_co_u32_e32 v4, vcc, 0, v2, vcc
	s_subb_u32 s1, s29, s1
	v_mov_b32_e32 v2, s1
	v_add_co_u32_e32 v3, vcc, s0, v10
	v_addc_co_u32_e32 v2, vcc, 0, v2, vcc
	v_add_co_u32_e64 v7, s[0:1], v3, v1
	v_or_b32_e32 v46, 0x100, v0
	v_or_b32_e32 v44, 0x200, v0
	;; [unrolled: 1-line block ×19, first 2 shown]
	s_andn2_b64 vcc, exec, s[34:35]
	v_addc_co_u32_e64 v8, s[0:1], v2, v4, s[0:1]
	s_cbranch_vccnz .LBB547_207
; %bb.126:
	v_cmp_ge_u32_e32 vcc, v0, v10
                                        ; implicit-def: $vgpr2_vgpr3
	s_and_saveexec_b64 s[0:1], vcc
	s_xor_b64 s[0:1], exec, s[0:1]
; %bb.127:
	v_not_b32_e32 v2, v0
	v_ashrrev_i32_e32 v3, 31, v2
	v_add_co_u32_e32 v2, vcc, v7, v2
	v_addc_co_u32_e32 v3, vcc, v8, v3, vcc
; %bb.128:
	s_andn2_saveexec_b64 s[0:1], s[0:1]
; %bb.129:
	v_add_co_u32_e32 v2, vcc, v1, v0
	v_addc_co_u32_e32 v3, vcc, 0, v4, vcc
; %bb.130:
	s_or_b64 exec, exec, s[0:1]
	v_lshlrev_b64 v[2:3], 1, v[2:3]
	v_mov_b32_e32 v11, s5
	v_add_co_u32_e32 v2, vcc, s4, v2
	v_addc_co_u32_e32 v3, vcc, v11, v3, vcc
	v_cmp_ge_u32_e32 vcc, v46, v10
	s_waitcnt lgkmcnt(14)
	global_store_short v[2:3], v47, off
                                        ; implicit-def: $vgpr2_vgpr3
	s_and_saveexec_b64 s[0:1], vcc
	s_xor_b64 s[0:1], exec, s[0:1]
; %bb.131:
	v_xor_b32_e32 v2, 0xfffffeff, v0
	v_ashrrev_i32_e32 v3, 31, v2
	v_add_co_u32_e32 v2, vcc, v7, v2
	v_addc_co_u32_e32 v3, vcc, v8, v3, vcc
; %bb.132:
	s_andn2_saveexec_b64 s[0:1], s[0:1]
; %bb.133:
	v_add_co_u32_e32 v2, vcc, v1, v46
	v_addc_co_u32_e32 v3, vcc, 0, v4, vcc
; %bb.134:
	s_or_b64 exec, exec, s[0:1]
	v_lshlrev_b64 v[2:3], 1, v[2:3]
	v_mov_b32_e32 v11, s5
	v_add_co_u32_e32 v2, vcc, s4, v2
	v_addc_co_u32_e32 v3, vcc, v11, v3, vcc
	v_cmp_ge_u32_e32 vcc, v44, v10
	global_store_short v[2:3], v45, off
                                        ; implicit-def: $vgpr2_vgpr3
	s_and_saveexec_b64 s[0:1], vcc
	s_xor_b64 s[0:1], exec, s[0:1]
; %bb.135:
	v_xor_b32_e32 v2, 0xfffffdff, v0
	v_ashrrev_i32_e32 v3, 31, v2
	v_add_co_u32_e32 v2, vcc, v7, v2
	v_addc_co_u32_e32 v3, vcc, v8, v3, vcc
; %bb.136:
	s_andn2_saveexec_b64 s[0:1], s[0:1]
; %bb.137:
	v_add_co_u32_e32 v2, vcc, v1, v44
	v_addc_co_u32_e32 v3, vcc, 0, v4, vcc
; %bb.138:
	s_or_b64 exec, exec, s[0:1]
	v_lshlrev_b64 v[2:3], 1, v[2:3]
	v_mov_b32_e32 v11, s5
	v_add_co_u32_e32 v2, vcc, s4, v2
	v_addc_co_u32_e32 v3, vcc, v11, v3, vcc
	v_cmp_ge_u32_e32 vcc, v42, v10
	;; [unrolled: 21-line block ×6, first 2 shown]
	s_waitcnt lgkmcnt(13)
	global_store_short v[2:3], v35, off
                                        ; implicit-def: $vgpr2_vgpr3
	s_and_saveexec_b64 s[0:1], vcc
	s_xor_b64 s[0:1], exec, s[0:1]
; %bb.155:
	v_xor_b32_e32 v2, 0xfffff8ff, v0
	v_ashrrev_i32_e32 v3, 31, v2
	v_add_co_u32_e32 v2, vcc, v7, v2
	v_addc_co_u32_e32 v3, vcc, v8, v3, vcc
; %bb.156:
	s_andn2_saveexec_b64 s[0:1], s[0:1]
; %bb.157:
	v_add_co_u32_e32 v2, vcc, v1, v34
	v_addc_co_u32_e32 v3, vcc, 0, v4, vcc
; %bb.158:
	s_or_b64 exec, exec, s[0:1]
	v_lshlrev_b64 v[2:3], 1, v[2:3]
	v_mov_b32_e32 v11, s5
	v_add_co_u32_e32 v2, vcc, s4, v2
	v_addc_co_u32_e32 v3, vcc, v11, v3, vcc
	v_cmp_ge_u32_e32 vcc, v32, v10
	s_waitcnt lgkmcnt(12)
	global_store_short v[2:3], v33, off
                                        ; implicit-def: $vgpr2_vgpr3
	s_and_saveexec_b64 s[0:1], vcc
	s_xor_b64 s[0:1], exec, s[0:1]
; %bb.159:
	v_xor_b32_e32 v2, 0xfffff7ff, v0
	v_ashrrev_i32_e32 v3, 31, v2
	v_add_co_u32_e32 v2, vcc, v7, v2
	v_addc_co_u32_e32 v3, vcc, v8, v3, vcc
; %bb.160:
	s_andn2_saveexec_b64 s[0:1], s[0:1]
; %bb.161:
	v_add_co_u32_e32 v2, vcc, v1, v32
	v_addc_co_u32_e32 v3, vcc, 0, v4, vcc
; %bb.162:
	s_or_b64 exec, exec, s[0:1]
	v_lshlrev_b64 v[2:3], 1, v[2:3]
	v_mov_b32_e32 v11, s5
	v_add_co_u32_e32 v2, vcc, s4, v2
	v_addc_co_u32_e32 v3, vcc, v11, v3, vcc
	v_cmp_ge_u32_e32 vcc, v30, v10
	;; [unrolled: 22-line block ×12, first 2 shown]
	s_waitcnt lgkmcnt(1)
	global_store_short v[2:3], v9, off
                                        ; implicit-def: $vgpr2_vgpr3
	s_and_saveexec_b64 s[0:1], vcc
	s_xor_b64 s[0:1], exec, s[0:1]
; %bb.203:
	v_xor_b32_e32 v2, 0xffffecff, v0
	v_ashrrev_i32_e32 v3, 31, v2
	v_add_co_u32_e32 v2, vcc, v7, v2
	v_addc_co_u32_e32 v3, vcc, v8, v3, vcc
; %bb.204:
	s_andn2_saveexec_b64 s[0:1], s[0:1]
; %bb.205:
	v_add_co_u32_e32 v2, vcc, v1, v6
	v_addc_co_u32_e32 v3, vcc, 0, v4, vcc
; %bb.206:
	s_or_b64 exec, exec, s[0:1]
	s_mov_b64 s[0:1], -1
	s_branch .LBB547_329
.LBB547_207:
	s_mov_b64 s[0:1], 0
                                        ; implicit-def: $vgpr2_vgpr3
	s_cbranch_execz .LBB547_329
; %bb.208:
	v_cmp_gt_u32_e32 vcc, s33, v0
	s_and_saveexec_b64 s[2:3], vcc
	s_cbranch_execz .LBB547_264
; %bb.209:
	v_cmp_ge_u32_e32 vcc, v0, v10
                                        ; implicit-def: $vgpr2_vgpr3
	s_and_saveexec_b64 s[6:7], vcc
	s_xor_b64 s[6:7], exec, s[6:7]
; %bb.210:
	v_not_b32_e32 v2, v0
	v_ashrrev_i32_e32 v3, 31, v2
	v_add_co_u32_e32 v2, vcc, v7, v2
	v_addc_co_u32_e32 v3, vcc, v8, v3, vcc
; %bb.211:
	s_andn2_saveexec_b64 s[6:7], s[6:7]
; %bb.212:
	v_add_co_u32_e32 v2, vcc, v1, v0
	v_addc_co_u32_e32 v3, vcc, 0, v4, vcc
; %bb.213:
	s_or_b64 exec, exec, s[6:7]
	v_lshlrev_b64 v[2:3], 1, v[2:3]
	v_mov_b32_e32 v11, s5
	v_add_co_u32_e32 v2, vcc, s4, v2
	v_addc_co_u32_e32 v3, vcc, v11, v3, vcc
	s_waitcnt lgkmcnt(14)
	global_store_short v[2:3], v47, off
	s_or_b64 exec, exec, s[2:3]
	v_cmp_gt_u32_e32 vcc, s33, v46
	s_and_saveexec_b64 s[2:3], vcc
	s_cbranch_execnz .LBB547_265
.LBB547_214:
	s_or_b64 exec, exec, s[2:3]
	v_cmp_gt_u32_e32 vcc, s33, v44
	s_and_saveexec_b64 s[2:3], vcc
	s_cbranch_execz .LBB547_270
.LBB547_215:
	v_cmp_ge_u32_e32 vcc, v44, v10
                                        ; implicit-def: $vgpr2_vgpr3
	s_and_saveexec_b64 s[6:7], vcc
	s_xor_b64 s[6:7], exec, s[6:7]
; %bb.216:
	v_xor_b32_e32 v2, 0xfffffdff, v0
	v_ashrrev_i32_e32 v3, 31, v2
	v_add_co_u32_e32 v2, vcc, v7, v2
	v_addc_co_u32_e32 v3, vcc, v8, v3, vcc
                                        ; implicit-def: $vgpr44
; %bb.217:
	s_andn2_saveexec_b64 s[6:7], s[6:7]
; %bb.218:
	v_add_co_u32_e32 v2, vcc, v1, v44
	v_addc_co_u32_e32 v3, vcc, 0, v4, vcc
; %bb.219:
	s_or_b64 exec, exec, s[6:7]
	v_lshlrev_b64 v[2:3], 1, v[2:3]
	v_mov_b32_e32 v11, s5
	v_add_co_u32_e32 v2, vcc, s4, v2
	v_addc_co_u32_e32 v3, vcc, v11, v3, vcc
	s_waitcnt lgkmcnt(14)
	global_store_short v[2:3], v43, off
	s_or_b64 exec, exec, s[2:3]
	v_cmp_gt_u32_e32 vcc, s33, v42
	s_and_saveexec_b64 s[2:3], vcc
	s_cbranch_execnz .LBB547_271
.LBB547_220:
	s_or_b64 exec, exec, s[2:3]
	v_cmp_gt_u32_e32 vcc, s33, v40
	s_and_saveexec_b64 s[2:3], vcc
	s_cbranch_execz .LBB547_276
.LBB547_221:
	v_cmp_ge_u32_e32 vcc, v40, v10
                                        ; implicit-def: $vgpr2_vgpr3
	s_and_saveexec_b64 s[6:7], vcc
	s_xor_b64 s[6:7], exec, s[6:7]
; %bb.222:
	v_xor_b32_e32 v2, 0xfffffbff, v0
	v_ashrrev_i32_e32 v3, 31, v2
	v_add_co_u32_e32 v2, vcc, v7, v2
	v_addc_co_u32_e32 v3, vcc, v8, v3, vcc
                                        ; implicit-def: $vgpr40
; %bb.223:
	s_andn2_saveexec_b64 s[6:7], s[6:7]
; %bb.224:
	v_add_co_u32_e32 v2, vcc, v1, v40
	v_addc_co_u32_e32 v3, vcc, 0, v4, vcc
; %bb.225:
	s_or_b64 exec, exec, s[6:7]
	v_lshlrev_b64 v[2:3], 1, v[2:3]
	v_mov_b32_e32 v11, s5
	v_add_co_u32_e32 v2, vcc, s4, v2
	v_addc_co_u32_e32 v3, vcc, v11, v3, vcc
	s_waitcnt lgkmcnt(14)
	global_store_short v[2:3], v39, off
	s_or_b64 exec, exec, s[2:3]
	v_cmp_gt_u32_e32 vcc, s33, v38
	s_and_saveexec_b64 s[2:3], vcc
	s_cbranch_execnz .LBB547_277
.LBB547_226:
	s_or_b64 exec, exec, s[2:3]
	v_cmp_gt_u32_e32 vcc, s33, v36
	s_and_saveexec_b64 s[2:3], vcc
	s_cbranch_execz .LBB547_282
.LBB547_227:
	v_cmp_ge_u32_e32 vcc, v36, v10
                                        ; implicit-def: $vgpr2_vgpr3
	s_and_saveexec_b64 s[6:7], vcc
	s_xor_b64 s[6:7], exec, s[6:7]
; %bb.228:
	v_xor_b32_e32 v2, 0xfffff9ff, v0
	v_ashrrev_i32_e32 v3, 31, v2
	v_add_co_u32_e32 v2, vcc, v7, v2
	v_addc_co_u32_e32 v3, vcc, v8, v3, vcc
                                        ; implicit-def: $vgpr36
; %bb.229:
	s_andn2_saveexec_b64 s[6:7], s[6:7]
; %bb.230:
	v_add_co_u32_e32 v2, vcc, v1, v36
	v_addc_co_u32_e32 v3, vcc, 0, v4, vcc
; %bb.231:
	s_or_b64 exec, exec, s[6:7]
	v_lshlrev_b64 v[2:3], 1, v[2:3]
	v_mov_b32_e32 v11, s5
	v_add_co_u32_e32 v2, vcc, s4, v2
	v_addc_co_u32_e32 v3, vcc, v11, v3, vcc
	s_waitcnt lgkmcnt(13)
	global_store_short v[2:3], v35, off
	s_or_b64 exec, exec, s[2:3]
	v_cmp_gt_u32_e32 vcc, s33, v34
	s_and_saveexec_b64 s[2:3], vcc
	s_cbranch_execnz .LBB547_283
.LBB547_232:
	s_or_b64 exec, exec, s[2:3]
	v_cmp_gt_u32_e32 vcc, s33, v32
	s_and_saveexec_b64 s[2:3], vcc
	s_cbranch_execz .LBB547_288
.LBB547_233:
	v_cmp_ge_u32_e32 vcc, v32, v10
                                        ; implicit-def: $vgpr2_vgpr3
	s_and_saveexec_b64 s[6:7], vcc
	s_xor_b64 s[6:7], exec, s[6:7]
; %bb.234:
	v_xor_b32_e32 v2, 0xfffff7ff, v0
	v_ashrrev_i32_e32 v3, 31, v2
	v_add_co_u32_e32 v2, vcc, v7, v2
	v_addc_co_u32_e32 v3, vcc, v8, v3, vcc
                                        ; implicit-def: $vgpr32
; %bb.235:
	s_andn2_saveexec_b64 s[6:7], s[6:7]
; %bb.236:
	v_add_co_u32_e32 v2, vcc, v1, v32
	v_addc_co_u32_e32 v3, vcc, 0, v4, vcc
; %bb.237:
	s_or_b64 exec, exec, s[6:7]
	v_lshlrev_b64 v[2:3], 1, v[2:3]
	v_mov_b32_e32 v11, s5
	v_add_co_u32_e32 v2, vcc, s4, v2
	v_addc_co_u32_e32 v3, vcc, v11, v3, vcc
	s_waitcnt lgkmcnt(11)
	global_store_short v[2:3], v31, off
	s_or_b64 exec, exec, s[2:3]
	v_cmp_gt_u32_e32 vcc, s33, v30
	s_and_saveexec_b64 s[2:3], vcc
	s_cbranch_execnz .LBB547_289
.LBB547_238:
	s_or_b64 exec, exec, s[2:3]
	v_cmp_gt_u32_e32 vcc, s33, v28
	s_and_saveexec_b64 s[2:3], vcc
	s_cbranch_execz .LBB547_294
.LBB547_239:
	v_cmp_ge_u32_e32 vcc, v28, v10
                                        ; implicit-def: $vgpr2_vgpr3
	s_and_saveexec_b64 s[6:7], vcc
	s_xor_b64 s[6:7], exec, s[6:7]
; %bb.240:
	v_xor_b32_e32 v2, 0xfffff5ff, v0
	v_ashrrev_i32_e32 v3, 31, v2
	v_add_co_u32_e32 v2, vcc, v7, v2
	v_addc_co_u32_e32 v3, vcc, v8, v3, vcc
                                        ; implicit-def: $vgpr28
; %bb.241:
	s_andn2_saveexec_b64 s[6:7], s[6:7]
; %bb.242:
	v_add_co_u32_e32 v2, vcc, v1, v28
	v_addc_co_u32_e32 v3, vcc, 0, v4, vcc
; %bb.243:
	s_or_b64 exec, exec, s[6:7]
	v_lshlrev_b64 v[2:3], 1, v[2:3]
	v_mov_b32_e32 v11, s5
	v_add_co_u32_e32 v2, vcc, s4, v2
	v_addc_co_u32_e32 v3, vcc, v11, v3, vcc
	s_waitcnt lgkmcnt(9)
	global_store_short v[2:3], v27, off
	s_or_b64 exec, exec, s[2:3]
	v_cmp_gt_u32_e32 vcc, s33, v26
	s_and_saveexec_b64 s[2:3], vcc
	s_cbranch_execnz .LBB547_295
.LBB547_244:
	s_or_b64 exec, exec, s[2:3]
	v_cmp_gt_u32_e32 vcc, s33, v24
	s_and_saveexec_b64 s[2:3], vcc
	s_cbranch_execz .LBB547_300
.LBB547_245:
	v_cmp_ge_u32_e32 vcc, v24, v10
                                        ; implicit-def: $vgpr2_vgpr3
	s_and_saveexec_b64 s[6:7], vcc
	s_xor_b64 s[6:7], exec, s[6:7]
; %bb.246:
	v_xor_b32_e32 v2, 0xfffff3ff, v0
	v_ashrrev_i32_e32 v3, 31, v2
	v_add_co_u32_e32 v2, vcc, v7, v2
	v_addc_co_u32_e32 v3, vcc, v8, v3, vcc
                                        ; implicit-def: $vgpr24
; %bb.247:
	s_andn2_saveexec_b64 s[6:7], s[6:7]
; %bb.248:
	v_add_co_u32_e32 v2, vcc, v1, v24
	v_addc_co_u32_e32 v3, vcc, 0, v4, vcc
; %bb.249:
	s_or_b64 exec, exec, s[6:7]
	v_lshlrev_b64 v[2:3], 1, v[2:3]
	v_mov_b32_e32 v11, s5
	v_add_co_u32_e32 v2, vcc, s4, v2
	v_addc_co_u32_e32 v3, vcc, v11, v3, vcc
	s_waitcnt lgkmcnt(7)
	global_store_short v[2:3], v23, off
	s_or_b64 exec, exec, s[2:3]
	v_cmp_gt_u32_e32 vcc, s33, v22
	s_and_saveexec_b64 s[2:3], vcc
	s_cbranch_execnz .LBB547_301
.LBB547_250:
	s_or_b64 exec, exec, s[2:3]
	v_cmp_gt_u32_e32 vcc, s33, v20
	s_and_saveexec_b64 s[2:3], vcc
	s_cbranch_execz .LBB547_306
.LBB547_251:
	v_cmp_ge_u32_e32 vcc, v20, v10
                                        ; implicit-def: $vgpr2_vgpr3
	s_and_saveexec_b64 s[6:7], vcc
	s_xor_b64 s[6:7], exec, s[6:7]
; %bb.252:
	v_xor_b32_e32 v2, 0xfffff1ff, v0
	v_ashrrev_i32_e32 v3, 31, v2
	v_add_co_u32_e32 v2, vcc, v7, v2
	v_addc_co_u32_e32 v3, vcc, v8, v3, vcc
                                        ; implicit-def: $vgpr20
; %bb.253:
	s_andn2_saveexec_b64 s[6:7], s[6:7]
; %bb.254:
	v_add_co_u32_e32 v2, vcc, v1, v20
	v_addc_co_u32_e32 v3, vcc, 0, v4, vcc
; %bb.255:
	s_or_b64 exec, exec, s[6:7]
	v_lshlrev_b64 v[2:3], 1, v[2:3]
	v_mov_b32_e32 v11, s5
	v_add_co_u32_e32 v2, vcc, s4, v2
	v_addc_co_u32_e32 v3, vcc, v11, v3, vcc
	s_waitcnt lgkmcnt(5)
	global_store_short v[2:3], v19, off
	s_or_b64 exec, exec, s[2:3]
	v_cmp_gt_u32_e32 vcc, s33, v18
	s_and_saveexec_b64 s[2:3], vcc
	s_cbranch_execnz .LBB547_307
.LBB547_256:
	s_or_b64 exec, exec, s[2:3]
	v_cmp_gt_u32_e32 vcc, s33, v16
	s_and_saveexec_b64 s[2:3], vcc
	s_cbranch_execz .LBB547_312
.LBB547_257:
	v_cmp_ge_u32_e32 vcc, v16, v10
                                        ; implicit-def: $vgpr2_vgpr3
	s_and_saveexec_b64 s[6:7], vcc
	s_xor_b64 s[6:7], exec, s[6:7]
; %bb.258:
	v_xor_b32_e32 v2, 0xffffefff, v0
	v_ashrrev_i32_e32 v3, 31, v2
	v_add_co_u32_e32 v2, vcc, v7, v2
	v_addc_co_u32_e32 v3, vcc, v8, v3, vcc
                                        ; implicit-def: $vgpr16
; %bb.259:
	s_andn2_saveexec_b64 s[6:7], s[6:7]
; %bb.260:
	v_add_co_u32_e32 v2, vcc, v1, v16
	v_addc_co_u32_e32 v3, vcc, 0, v4, vcc
; %bb.261:
	s_or_b64 exec, exec, s[6:7]
	v_lshlrev_b64 v[2:3], 1, v[2:3]
	v_mov_b32_e32 v11, s5
	v_add_co_u32_e32 v2, vcc, s4, v2
	v_addc_co_u32_e32 v3, vcc, v11, v3, vcc
	s_waitcnt lgkmcnt(3)
	global_store_short v[2:3], v15, off
	s_or_b64 exec, exec, s[2:3]
	v_cmp_gt_u32_e32 vcc, s33, v14
	s_and_saveexec_b64 s[2:3], vcc
	s_cbranch_execnz .LBB547_313
.LBB547_262:
	s_or_b64 exec, exec, s[2:3]
	v_cmp_gt_u32_e32 vcc, s33, v12
	s_and_saveexec_b64 s[2:3], vcc
	s_cbranch_execnz .LBB547_318
.LBB547_263:
	s_or_b64 exec, exec, s[2:3]
	v_cmp_gt_u32_e32 vcc, s33, v6
                                        ; implicit-def: $vgpr2_vgpr3
	s_and_saveexec_b64 s[2:3], vcc
	s_cbranch_execz .LBB547_328
	s_branch .LBB547_323
.LBB547_264:
	s_or_b64 exec, exec, s[2:3]
	v_cmp_gt_u32_e32 vcc, s33, v46
	s_and_saveexec_b64 s[2:3], vcc
	s_cbranch_execz .LBB547_214
.LBB547_265:
	v_cmp_ge_u32_e32 vcc, v46, v10
                                        ; implicit-def: $vgpr2_vgpr3
	s_and_saveexec_b64 s[6:7], vcc
	s_xor_b64 s[6:7], exec, s[6:7]
; %bb.266:
	v_xor_b32_e32 v2, 0xfffffeff, v0
	v_ashrrev_i32_e32 v3, 31, v2
	v_add_co_u32_e32 v2, vcc, v7, v2
	v_addc_co_u32_e32 v3, vcc, v8, v3, vcc
                                        ; implicit-def: $vgpr46
; %bb.267:
	s_andn2_saveexec_b64 s[6:7], s[6:7]
; %bb.268:
	v_add_co_u32_e32 v2, vcc, v1, v46
	v_addc_co_u32_e32 v3, vcc, 0, v4, vcc
; %bb.269:
	s_or_b64 exec, exec, s[6:7]
	v_lshlrev_b64 v[2:3], 1, v[2:3]
	v_mov_b32_e32 v11, s5
	v_add_co_u32_e32 v2, vcc, s4, v2
	v_addc_co_u32_e32 v3, vcc, v11, v3, vcc
	s_waitcnt lgkmcnt(14)
	global_store_short v[2:3], v45, off
	s_or_b64 exec, exec, s[2:3]
	v_cmp_gt_u32_e32 vcc, s33, v44
	s_and_saveexec_b64 s[2:3], vcc
	s_cbranch_execnz .LBB547_215
.LBB547_270:
	s_or_b64 exec, exec, s[2:3]
	v_cmp_gt_u32_e32 vcc, s33, v42
	s_and_saveexec_b64 s[2:3], vcc
	s_cbranch_execz .LBB547_220
.LBB547_271:
	v_cmp_ge_u32_e32 vcc, v42, v10
                                        ; implicit-def: $vgpr2_vgpr3
	s_and_saveexec_b64 s[6:7], vcc
	s_xor_b64 s[6:7], exec, s[6:7]
; %bb.272:
	v_xor_b32_e32 v2, 0xfffffcff, v0
	v_ashrrev_i32_e32 v3, 31, v2
	v_add_co_u32_e32 v2, vcc, v7, v2
	v_addc_co_u32_e32 v3, vcc, v8, v3, vcc
                                        ; implicit-def: $vgpr42
; %bb.273:
	s_andn2_saveexec_b64 s[6:7], s[6:7]
; %bb.274:
	v_add_co_u32_e32 v2, vcc, v1, v42
	v_addc_co_u32_e32 v3, vcc, 0, v4, vcc
; %bb.275:
	s_or_b64 exec, exec, s[6:7]
	v_lshlrev_b64 v[2:3], 1, v[2:3]
	v_mov_b32_e32 v11, s5
	v_add_co_u32_e32 v2, vcc, s4, v2
	v_addc_co_u32_e32 v3, vcc, v11, v3, vcc
	s_waitcnt lgkmcnt(14)
	global_store_short v[2:3], v41, off
	s_or_b64 exec, exec, s[2:3]
	v_cmp_gt_u32_e32 vcc, s33, v40
	s_and_saveexec_b64 s[2:3], vcc
	s_cbranch_execnz .LBB547_221
.LBB547_276:
	s_or_b64 exec, exec, s[2:3]
	v_cmp_gt_u32_e32 vcc, s33, v38
	s_and_saveexec_b64 s[2:3], vcc
	s_cbranch_execz .LBB547_226
.LBB547_277:
	v_cmp_ge_u32_e32 vcc, v38, v10
                                        ; implicit-def: $vgpr2_vgpr3
	s_and_saveexec_b64 s[6:7], vcc
	s_xor_b64 s[6:7], exec, s[6:7]
; %bb.278:
	v_xor_b32_e32 v2, 0xfffffaff, v0
	v_ashrrev_i32_e32 v3, 31, v2
	v_add_co_u32_e32 v2, vcc, v7, v2
	v_addc_co_u32_e32 v3, vcc, v8, v3, vcc
                                        ; implicit-def: $vgpr38
; %bb.279:
	s_andn2_saveexec_b64 s[6:7], s[6:7]
; %bb.280:
	v_add_co_u32_e32 v2, vcc, v1, v38
	v_addc_co_u32_e32 v3, vcc, 0, v4, vcc
; %bb.281:
	s_or_b64 exec, exec, s[6:7]
	v_lshlrev_b64 v[2:3], 1, v[2:3]
	v_mov_b32_e32 v11, s5
	v_add_co_u32_e32 v2, vcc, s4, v2
	v_addc_co_u32_e32 v3, vcc, v11, v3, vcc
	s_waitcnt lgkmcnt(14)
	global_store_short v[2:3], v37, off
	s_or_b64 exec, exec, s[2:3]
	v_cmp_gt_u32_e32 vcc, s33, v36
	s_and_saveexec_b64 s[2:3], vcc
	s_cbranch_execnz .LBB547_227
.LBB547_282:
	s_or_b64 exec, exec, s[2:3]
	v_cmp_gt_u32_e32 vcc, s33, v34
	s_and_saveexec_b64 s[2:3], vcc
	s_cbranch_execz .LBB547_232
.LBB547_283:
	v_cmp_ge_u32_e32 vcc, v34, v10
                                        ; implicit-def: $vgpr2_vgpr3
	s_and_saveexec_b64 s[6:7], vcc
	s_xor_b64 s[6:7], exec, s[6:7]
; %bb.284:
	v_xor_b32_e32 v2, 0xfffff8ff, v0
	v_ashrrev_i32_e32 v3, 31, v2
	v_add_co_u32_e32 v2, vcc, v7, v2
	v_addc_co_u32_e32 v3, vcc, v8, v3, vcc
                                        ; implicit-def: $vgpr34
; %bb.285:
	s_andn2_saveexec_b64 s[6:7], s[6:7]
; %bb.286:
	v_add_co_u32_e32 v2, vcc, v1, v34
	v_addc_co_u32_e32 v3, vcc, 0, v4, vcc
; %bb.287:
	s_or_b64 exec, exec, s[6:7]
	v_lshlrev_b64 v[2:3], 1, v[2:3]
	v_mov_b32_e32 v11, s5
	v_add_co_u32_e32 v2, vcc, s4, v2
	v_addc_co_u32_e32 v3, vcc, v11, v3, vcc
	s_waitcnt lgkmcnt(12)
	global_store_short v[2:3], v33, off
	s_or_b64 exec, exec, s[2:3]
	v_cmp_gt_u32_e32 vcc, s33, v32
	s_and_saveexec_b64 s[2:3], vcc
	s_cbranch_execnz .LBB547_233
.LBB547_288:
	s_or_b64 exec, exec, s[2:3]
	v_cmp_gt_u32_e32 vcc, s33, v30
	s_and_saveexec_b64 s[2:3], vcc
	s_cbranch_execz .LBB547_238
.LBB547_289:
	v_cmp_ge_u32_e32 vcc, v30, v10
                                        ; implicit-def: $vgpr2_vgpr3
	s_and_saveexec_b64 s[6:7], vcc
	s_xor_b64 s[6:7], exec, s[6:7]
; %bb.290:
	v_xor_b32_e32 v2, 0xfffff6ff, v0
	v_ashrrev_i32_e32 v3, 31, v2
	v_add_co_u32_e32 v2, vcc, v7, v2
	v_addc_co_u32_e32 v3, vcc, v8, v3, vcc
                                        ; implicit-def: $vgpr30
; %bb.291:
	s_andn2_saveexec_b64 s[6:7], s[6:7]
; %bb.292:
	v_add_co_u32_e32 v2, vcc, v1, v30
	v_addc_co_u32_e32 v3, vcc, 0, v4, vcc
; %bb.293:
	s_or_b64 exec, exec, s[6:7]
	v_lshlrev_b64 v[2:3], 1, v[2:3]
	v_mov_b32_e32 v11, s5
	v_add_co_u32_e32 v2, vcc, s4, v2
	v_addc_co_u32_e32 v3, vcc, v11, v3, vcc
	s_waitcnt lgkmcnt(10)
	global_store_short v[2:3], v29, off
	s_or_b64 exec, exec, s[2:3]
	v_cmp_gt_u32_e32 vcc, s33, v28
	s_and_saveexec_b64 s[2:3], vcc
	s_cbranch_execnz .LBB547_239
.LBB547_294:
	s_or_b64 exec, exec, s[2:3]
	v_cmp_gt_u32_e32 vcc, s33, v26
	s_and_saveexec_b64 s[2:3], vcc
	s_cbranch_execz .LBB547_244
.LBB547_295:
	v_cmp_ge_u32_e32 vcc, v26, v10
                                        ; implicit-def: $vgpr2_vgpr3
	s_and_saveexec_b64 s[6:7], vcc
	s_xor_b64 s[6:7], exec, s[6:7]
; %bb.296:
	v_xor_b32_e32 v2, 0xfffff4ff, v0
	v_ashrrev_i32_e32 v3, 31, v2
	v_add_co_u32_e32 v2, vcc, v7, v2
	v_addc_co_u32_e32 v3, vcc, v8, v3, vcc
                                        ; implicit-def: $vgpr26
; %bb.297:
	s_andn2_saveexec_b64 s[6:7], s[6:7]
; %bb.298:
	v_add_co_u32_e32 v2, vcc, v1, v26
	v_addc_co_u32_e32 v3, vcc, 0, v4, vcc
; %bb.299:
	s_or_b64 exec, exec, s[6:7]
	v_lshlrev_b64 v[2:3], 1, v[2:3]
	v_mov_b32_e32 v11, s5
	v_add_co_u32_e32 v2, vcc, s4, v2
	v_addc_co_u32_e32 v3, vcc, v11, v3, vcc
	s_waitcnt lgkmcnt(8)
	global_store_short v[2:3], v25, off
	s_or_b64 exec, exec, s[2:3]
	v_cmp_gt_u32_e32 vcc, s33, v24
	s_and_saveexec_b64 s[2:3], vcc
	s_cbranch_execnz .LBB547_245
.LBB547_300:
	s_or_b64 exec, exec, s[2:3]
	v_cmp_gt_u32_e32 vcc, s33, v22
	s_and_saveexec_b64 s[2:3], vcc
	s_cbranch_execz .LBB547_250
.LBB547_301:
	v_cmp_ge_u32_e32 vcc, v22, v10
                                        ; implicit-def: $vgpr2_vgpr3
	s_and_saveexec_b64 s[6:7], vcc
	s_xor_b64 s[6:7], exec, s[6:7]
; %bb.302:
	v_xor_b32_e32 v2, 0xfffff2ff, v0
	v_ashrrev_i32_e32 v3, 31, v2
	v_add_co_u32_e32 v2, vcc, v7, v2
	v_addc_co_u32_e32 v3, vcc, v8, v3, vcc
                                        ; implicit-def: $vgpr22
; %bb.303:
	s_andn2_saveexec_b64 s[6:7], s[6:7]
; %bb.304:
	v_add_co_u32_e32 v2, vcc, v1, v22
	v_addc_co_u32_e32 v3, vcc, 0, v4, vcc
; %bb.305:
	s_or_b64 exec, exec, s[6:7]
	v_lshlrev_b64 v[2:3], 1, v[2:3]
	v_mov_b32_e32 v11, s5
	v_add_co_u32_e32 v2, vcc, s4, v2
	v_addc_co_u32_e32 v3, vcc, v11, v3, vcc
	s_waitcnt lgkmcnt(6)
	global_store_short v[2:3], v21, off
	s_or_b64 exec, exec, s[2:3]
	v_cmp_gt_u32_e32 vcc, s33, v20
	s_and_saveexec_b64 s[2:3], vcc
	s_cbranch_execnz .LBB547_251
.LBB547_306:
	s_or_b64 exec, exec, s[2:3]
	v_cmp_gt_u32_e32 vcc, s33, v18
	s_and_saveexec_b64 s[2:3], vcc
	s_cbranch_execz .LBB547_256
.LBB547_307:
	v_cmp_ge_u32_e32 vcc, v18, v10
                                        ; implicit-def: $vgpr2_vgpr3
	s_and_saveexec_b64 s[6:7], vcc
	s_xor_b64 s[6:7], exec, s[6:7]
; %bb.308:
	v_xor_b32_e32 v2, 0xfffff0ff, v0
	v_ashrrev_i32_e32 v3, 31, v2
	v_add_co_u32_e32 v2, vcc, v7, v2
	v_addc_co_u32_e32 v3, vcc, v8, v3, vcc
                                        ; implicit-def: $vgpr18
; %bb.309:
	s_andn2_saveexec_b64 s[6:7], s[6:7]
; %bb.310:
	v_add_co_u32_e32 v2, vcc, v1, v18
	v_addc_co_u32_e32 v3, vcc, 0, v4, vcc
; %bb.311:
	s_or_b64 exec, exec, s[6:7]
	v_lshlrev_b64 v[2:3], 1, v[2:3]
	v_mov_b32_e32 v11, s5
	v_add_co_u32_e32 v2, vcc, s4, v2
	v_addc_co_u32_e32 v3, vcc, v11, v3, vcc
	s_waitcnt lgkmcnt(4)
	global_store_short v[2:3], v17, off
	s_or_b64 exec, exec, s[2:3]
	v_cmp_gt_u32_e32 vcc, s33, v16
	s_and_saveexec_b64 s[2:3], vcc
	s_cbranch_execnz .LBB547_257
.LBB547_312:
	s_or_b64 exec, exec, s[2:3]
	v_cmp_gt_u32_e32 vcc, s33, v14
	s_and_saveexec_b64 s[2:3], vcc
	s_cbranch_execz .LBB547_262
.LBB547_313:
	v_cmp_ge_u32_e32 vcc, v14, v10
                                        ; implicit-def: $vgpr2_vgpr3
	s_and_saveexec_b64 s[6:7], vcc
	s_xor_b64 s[6:7], exec, s[6:7]
; %bb.314:
	v_xor_b32_e32 v2, 0xffffeeff, v0
	v_ashrrev_i32_e32 v3, 31, v2
	v_add_co_u32_e32 v2, vcc, v7, v2
	v_addc_co_u32_e32 v3, vcc, v8, v3, vcc
                                        ; implicit-def: $vgpr14
; %bb.315:
	s_andn2_saveexec_b64 s[6:7], s[6:7]
; %bb.316:
	v_add_co_u32_e32 v2, vcc, v1, v14
	v_addc_co_u32_e32 v3, vcc, 0, v4, vcc
; %bb.317:
	s_or_b64 exec, exec, s[6:7]
	v_lshlrev_b64 v[2:3], 1, v[2:3]
	v_mov_b32_e32 v11, s5
	v_add_co_u32_e32 v2, vcc, s4, v2
	v_addc_co_u32_e32 v3, vcc, v11, v3, vcc
	s_waitcnt lgkmcnt(2)
	global_store_short v[2:3], v13, off
	s_or_b64 exec, exec, s[2:3]
	v_cmp_gt_u32_e32 vcc, s33, v12
	s_and_saveexec_b64 s[2:3], vcc
	s_cbranch_execz .LBB547_263
.LBB547_318:
	v_cmp_ge_u32_e32 vcc, v12, v10
                                        ; implicit-def: $vgpr2_vgpr3
	s_and_saveexec_b64 s[6:7], vcc
	s_xor_b64 s[6:7], exec, s[6:7]
; %bb.319:
	v_xor_b32_e32 v2, 0xffffedff, v0
	v_ashrrev_i32_e32 v3, 31, v2
	v_add_co_u32_e32 v2, vcc, v7, v2
	v_addc_co_u32_e32 v3, vcc, v8, v3, vcc
                                        ; implicit-def: $vgpr12
; %bb.320:
	s_andn2_saveexec_b64 s[6:7], s[6:7]
; %bb.321:
	v_add_co_u32_e32 v2, vcc, v1, v12
	v_addc_co_u32_e32 v3, vcc, 0, v4, vcc
; %bb.322:
	s_or_b64 exec, exec, s[6:7]
	v_lshlrev_b64 v[2:3], 1, v[2:3]
	v_mov_b32_e32 v11, s5
	v_add_co_u32_e32 v2, vcc, s4, v2
	v_addc_co_u32_e32 v3, vcc, v11, v3, vcc
	s_waitcnt lgkmcnt(1)
	global_store_short v[2:3], v9, off
	s_or_b64 exec, exec, s[2:3]
	v_cmp_gt_u32_e32 vcc, s33, v6
                                        ; implicit-def: $vgpr2_vgpr3
	s_and_saveexec_b64 s[2:3], vcc
	s_cbranch_execz .LBB547_328
.LBB547_323:
	v_cmp_ge_u32_e32 vcc, v6, v10
                                        ; implicit-def: $vgpr2_vgpr3
	s_and_saveexec_b64 s[6:7], vcc
	s_xor_b64 s[6:7], exec, s[6:7]
; %bb.324:
	v_xor_b32_e32 v2, 0xffffecff, v0
	v_ashrrev_i32_e32 v3, 31, v2
	v_add_co_u32_e32 v2, vcc, v7, v2
	v_addc_co_u32_e32 v3, vcc, v8, v3, vcc
                                        ; implicit-def: $vgpr6
; %bb.325:
	s_andn2_saveexec_b64 s[6:7], s[6:7]
; %bb.326:
	v_add_co_u32_e32 v2, vcc, v1, v6
	v_addc_co_u32_e32 v3, vcc, 0, v4, vcc
; %bb.327:
	s_or_b64 exec, exec, s[6:7]
	s_or_b64 s[0:1], s[0:1], exec
.LBB547_328:
	s_or_b64 exec, exec, s[2:3]
.LBB547_329:
	s_and_saveexec_b64 s[2:3], s[0:1]
	s_cbranch_execz .LBB547_331
; %bb.330:
	v_lshlrev_b64 v[2:3], 1, v[2:3]
	v_mov_b32_e32 v6, s5
	v_add_co_u32_e32 v2, vcc, s4, v2
	v_addc_co_u32_e32 v3, vcc, v6, v3, vcc
	s_waitcnt lgkmcnt(0)
	global_store_short v[2:3], v5, off
.LBB547_331:
	s_or_b64 exec, exec, s[2:3]
	v_cmp_eq_u32_e32 vcc, 0, v0
	s_and_b64 s[0:1], vcc, s[22:23]
	s_and_saveexec_b64 s[2:3], s[0:1]
	s_cbranch_execz .LBB547_333
; %bb.332:
	v_add_co_u32_e32 v0, vcc, v1, v10
	v_mov_b32_e32 v2, 0
	v_addc_co_u32_e32 v1, vcc, 0, v4, vcc
	global_store_dwordx2 v2, v[0:1], s[20:21]
.LBB547_333:
	s_endpgm
	.section	.rodata,"a",@progbits
	.p2align	6, 0x0
	.amdhsa_kernel _ZN7rocprim17ROCPRIM_400000_NS6detail17trampoline_kernelINS0_14default_configENS1_25partition_config_selectorILNS1_17partition_subalgoE2EsNS0_10empty_typeEbEEZZNS1_14partition_implILS5_2ELb0ES3_jN6thrust23THRUST_200600_302600_NS6detail15normal_iteratorINSA_7pointerIsNSA_11hip_rocprim3tagENSA_11use_defaultESG_EEEEPS6_NSA_18transform_iteratorINSA_8identityIsEENSC_INSA_10device_ptrIsEEEESG_SG_EENS0_5tupleIJPsSJ_EEENSR_IJSJ_SJ_EEES6_PlJS6_EEE10hipError_tPvRmT3_T4_T5_T6_T7_T9_mT8_P12ihipStream_tbDpT10_ENKUlT_T0_E_clISt17integral_constantIbLb0EES1F_EEDaS1A_S1B_EUlS1A_E_NS1_11comp_targetILNS1_3genE4ELNS1_11target_archE910ELNS1_3gpuE8ELNS1_3repE0EEENS1_30default_config_static_selectorELNS0_4arch9wavefront6targetE1EEEvT1_
		.amdhsa_group_segment_fixed_size 10248
		.amdhsa_private_segment_fixed_size 0
		.amdhsa_kernarg_size 128
		.amdhsa_user_sgpr_count 6
		.amdhsa_user_sgpr_private_segment_buffer 1
		.amdhsa_user_sgpr_dispatch_ptr 0
		.amdhsa_user_sgpr_queue_ptr 0
		.amdhsa_user_sgpr_kernarg_segment_ptr 1
		.amdhsa_user_sgpr_dispatch_id 0
		.amdhsa_user_sgpr_flat_scratch_init 0
		.amdhsa_user_sgpr_kernarg_preload_length 0
		.amdhsa_user_sgpr_kernarg_preload_offset 0
		.amdhsa_user_sgpr_private_segment_size 0
		.amdhsa_uses_dynamic_stack 0
		.amdhsa_system_sgpr_private_segment_wavefront_offset 0
		.amdhsa_system_sgpr_workgroup_id_x 1
		.amdhsa_system_sgpr_workgroup_id_y 0
		.amdhsa_system_sgpr_workgroup_id_z 0
		.amdhsa_system_sgpr_workgroup_info 0
		.amdhsa_system_vgpr_workitem_id 0
		.amdhsa_next_free_vgpr 65
		.amdhsa_next_free_sgpr 46
		.amdhsa_accum_offset 68
		.amdhsa_reserve_vcc 1
		.amdhsa_reserve_flat_scratch 0
		.amdhsa_float_round_mode_32 0
		.amdhsa_float_round_mode_16_64 0
		.amdhsa_float_denorm_mode_32 3
		.amdhsa_float_denorm_mode_16_64 3
		.amdhsa_dx10_clamp 1
		.amdhsa_ieee_mode 1
		.amdhsa_fp16_overflow 0
		.amdhsa_tg_split 0
		.amdhsa_exception_fp_ieee_invalid_op 0
		.amdhsa_exception_fp_denorm_src 0
		.amdhsa_exception_fp_ieee_div_zero 0
		.amdhsa_exception_fp_ieee_overflow 0
		.amdhsa_exception_fp_ieee_underflow 0
		.amdhsa_exception_fp_ieee_inexact 0
		.amdhsa_exception_int_div_zero 0
	.end_amdhsa_kernel
	.section	.text._ZN7rocprim17ROCPRIM_400000_NS6detail17trampoline_kernelINS0_14default_configENS1_25partition_config_selectorILNS1_17partition_subalgoE2EsNS0_10empty_typeEbEEZZNS1_14partition_implILS5_2ELb0ES3_jN6thrust23THRUST_200600_302600_NS6detail15normal_iteratorINSA_7pointerIsNSA_11hip_rocprim3tagENSA_11use_defaultESG_EEEEPS6_NSA_18transform_iteratorINSA_8identityIsEENSC_INSA_10device_ptrIsEEEESG_SG_EENS0_5tupleIJPsSJ_EEENSR_IJSJ_SJ_EEES6_PlJS6_EEE10hipError_tPvRmT3_T4_T5_T6_T7_T9_mT8_P12ihipStream_tbDpT10_ENKUlT_T0_E_clISt17integral_constantIbLb0EES1F_EEDaS1A_S1B_EUlS1A_E_NS1_11comp_targetILNS1_3genE4ELNS1_11target_archE910ELNS1_3gpuE8ELNS1_3repE0EEENS1_30default_config_static_selectorELNS0_4arch9wavefront6targetE1EEEvT1_,"axG",@progbits,_ZN7rocprim17ROCPRIM_400000_NS6detail17trampoline_kernelINS0_14default_configENS1_25partition_config_selectorILNS1_17partition_subalgoE2EsNS0_10empty_typeEbEEZZNS1_14partition_implILS5_2ELb0ES3_jN6thrust23THRUST_200600_302600_NS6detail15normal_iteratorINSA_7pointerIsNSA_11hip_rocprim3tagENSA_11use_defaultESG_EEEEPS6_NSA_18transform_iteratorINSA_8identityIsEENSC_INSA_10device_ptrIsEEEESG_SG_EENS0_5tupleIJPsSJ_EEENSR_IJSJ_SJ_EEES6_PlJS6_EEE10hipError_tPvRmT3_T4_T5_T6_T7_T9_mT8_P12ihipStream_tbDpT10_ENKUlT_T0_E_clISt17integral_constantIbLb0EES1F_EEDaS1A_S1B_EUlS1A_E_NS1_11comp_targetILNS1_3genE4ELNS1_11target_archE910ELNS1_3gpuE8ELNS1_3repE0EEENS1_30default_config_static_selectorELNS0_4arch9wavefront6targetE1EEEvT1_,comdat
.Lfunc_end547:
	.size	_ZN7rocprim17ROCPRIM_400000_NS6detail17trampoline_kernelINS0_14default_configENS1_25partition_config_selectorILNS1_17partition_subalgoE2EsNS0_10empty_typeEbEEZZNS1_14partition_implILS5_2ELb0ES3_jN6thrust23THRUST_200600_302600_NS6detail15normal_iteratorINSA_7pointerIsNSA_11hip_rocprim3tagENSA_11use_defaultESG_EEEEPS6_NSA_18transform_iteratorINSA_8identityIsEENSC_INSA_10device_ptrIsEEEESG_SG_EENS0_5tupleIJPsSJ_EEENSR_IJSJ_SJ_EEES6_PlJS6_EEE10hipError_tPvRmT3_T4_T5_T6_T7_T9_mT8_P12ihipStream_tbDpT10_ENKUlT_T0_E_clISt17integral_constantIbLb0EES1F_EEDaS1A_S1B_EUlS1A_E_NS1_11comp_targetILNS1_3genE4ELNS1_11target_archE910ELNS1_3gpuE8ELNS1_3repE0EEENS1_30default_config_static_selectorELNS0_4arch9wavefront6targetE1EEEvT1_, .Lfunc_end547-_ZN7rocprim17ROCPRIM_400000_NS6detail17trampoline_kernelINS0_14default_configENS1_25partition_config_selectorILNS1_17partition_subalgoE2EsNS0_10empty_typeEbEEZZNS1_14partition_implILS5_2ELb0ES3_jN6thrust23THRUST_200600_302600_NS6detail15normal_iteratorINSA_7pointerIsNSA_11hip_rocprim3tagENSA_11use_defaultESG_EEEEPS6_NSA_18transform_iteratorINSA_8identityIsEENSC_INSA_10device_ptrIsEEEESG_SG_EENS0_5tupleIJPsSJ_EEENSR_IJSJ_SJ_EEES6_PlJS6_EEE10hipError_tPvRmT3_T4_T5_T6_T7_T9_mT8_P12ihipStream_tbDpT10_ENKUlT_T0_E_clISt17integral_constantIbLb0EES1F_EEDaS1A_S1B_EUlS1A_E_NS1_11comp_targetILNS1_3genE4ELNS1_11target_archE910ELNS1_3gpuE8ELNS1_3repE0EEENS1_30default_config_static_selectorELNS0_4arch9wavefront6targetE1EEEvT1_
                                        ; -- End function
	.section	.AMDGPU.csdata,"",@progbits
; Kernel info:
; codeLenInByte = 10912
; NumSgprs: 50
; NumVgprs: 65
; NumAgprs: 0
; TotalNumVgprs: 65
; ScratchSize: 0
; MemoryBound: 0
; FloatMode: 240
; IeeeMode: 1
; LDSByteSize: 10248 bytes/workgroup (compile time only)
; SGPRBlocks: 6
; VGPRBlocks: 8
; NumSGPRsForWavesPerEU: 50
; NumVGPRsForWavesPerEU: 65
; AccumOffset: 68
; Occupancy: 6
; WaveLimiterHint : 1
; COMPUTE_PGM_RSRC2:SCRATCH_EN: 0
; COMPUTE_PGM_RSRC2:USER_SGPR: 6
; COMPUTE_PGM_RSRC2:TRAP_HANDLER: 0
; COMPUTE_PGM_RSRC2:TGID_X_EN: 1
; COMPUTE_PGM_RSRC2:TGID_Y_EN: 0
; COMPUTE_PGM_RSRC2:TGID_Z_EN: 0
; COMPUTE_PGM_RSRC2:TIDIG_COMP_CNT: 0
; COMPUTE_PGM_RSRC3_GFX90A:ACCUM_OFFSET: 16
; COMPUTE_PGM_RSRC3_GFX90A:TG_SPLIT: 0
	.section	.text._ZN7rocprim17ROCPRIM_400000_NS6detail17trampoline_kernelINS0_14default_configENS1_25partition_config_selectorILNS1_17partition_subalgoE2EsNS0_10empty_typeEbEEZZNS1_14partition_implILS5_2ELb0ES3_jN6thrust23THRUST_200600_302600_NS6detail15normal_iteratorINSA_7pointerIsNSA_11hip_rocprim3tagENSA_11use_defaultESG_EEEEPS6_NSA_18transform_iteratorINSA_8identityIsEENSC_INSA_10device_ptrIsEEEESG_SG_EENS0_5tupleIJPsSJ_EEENSR_IJSJ_SJ_EEES6_PlJS6_EEE10hipError_tPvRmT3_T4_T5_T6_T7_T9_mT8_P12ihipStream_tbDpT10_ENKUlT_T0_E_clISt17integral_constantIbLb0EES1F_EEDaS1A_S1B_EUlS1A_E_NS1_11comp_targetILNS1_3genE3ELNS1_11target_archE908ELNS1_3gpuE7ELNS1_3repE0EEENS1_30default_config_static_selectorELNS0_4arch9wavefront6targetE1EEEvT1_,"axG",@progbits,_ZN7rocprim17ROCPRIM_400000_NS6detail17trampoline_kernelINS0_14default_configENS1_25partition_config_selectorILNS1_17partition_subalgoE2EsNS0_10empty_typeEbEEZZNS1_14partition_implILS5_2ELb0ES3_jN6thrust23THRUST_200600_302600_NS6detail15normal_iteratorINSA_7pointerIsNSA_11hip_rocprim3tagENSA_11use_defaultESG_EEEEPS6_NSA_18transform_iteratorINSA_8identityIsEENSC_INSA_10device_ptrIsEEEESG_SG_EENS0_5tupleIJPsSJ_EEENSR_IJSJ_SJ_EEES6_PlJS6_EEE10hipError_tPvRmT3_T4_T5_T6_T7_T9_mT8_P12ihipStream_tbDpT10_ENKUlT_T0_E_clISt17integral_constantIbLb0EES1F_EEDaS1A_S1B_EUlS1A_E_NS1_11comp_targetILNS1_3genE3ELNS1_11target_archE908ELNS1_3gpuE7ELNS1_3repE0EEENS1_30default_config_static_selectorELNS0_4arch9wavefront6targetE1EEEvT1_,comdat
	.protected	_ZN7rocprim17ROCPRIM_400000_NS6detail17trampoline_kernelINS0_14default_configENS1_25partition_config_selectorILNS1_17partition_subalgoE2EsNS0_10empty_typeEbEEZZNS1_14partition_implILS5_2ELb0ES3_jN6thrust23THRUST_200600_302600_NS6detail15normal_iteratorINSA_7pointerIsNSA_11hip_rocprim3tagENSA_11use_defaultESG_EEEEPS6_NSA_18transform_iteratorINSA_8identityIsEENSC_INSA_10device_ptrIsEEEESG_SG_EENS0_5tupleIJPsSJ_EEENSR_IJSJ_SJ_EEES6_PlJS6_EEE10hipError_tPvRmT3_T4_T5_T6_T7_T9_mT8_P12ihipStream_tbDpT10_ENKUlT_T0_E_clISt17integral_constantIbLb0EES1F_EEDaS1A_S1B_EUlS1A_E_NS1_11comp_targetILNS1_3genE3ELNS1_11target_archE908ELNS1_3gpuE7ELNS1_3repE0EEENS1_30default_config_static_selectorELNS0_4arch9wavefront6targetE1EEEvT1_ ; -- Begin function _ZN7rocprim17ROCPRIM_400000_NS6detail17trampoline_kernelINS0_14default_configENS1_25partition_config_selectorILNS1_17partition_subalgoE2EsNS0_10empty_typeEbEEZZNS1_14partition_implILS5_2ELb0ES3_jN6thrust23THRUST_200600_302600_NS6detail15normal_iteratorINSA_7pointerIsNSA_11hip_rocprim3tagENSA_11use_defaultESG_EEEEPS6_NSA_18transform_iteratorINSA_8identityIsEENSC_INSA_10device_ptrIsEEEESG_SG_EENS0_5tupleIJPsSJ_EEENSR_IJSJ_SJ_EEES6_PlJS6_EEE10hipError_tPvRmT3_T4_T5_T6_T7_T9_mT8_P12ihipStream_tbDpT10_ENKUlT_T0_E_clISt17integral_constantIbLb0EES1F_EEDaS1A_S1B_EUlS1A_E_NS1_11comp_targetILNS1_3genE3ELNS1_11target_archE908ELNS1_3gpuE7ELNS1_3repE0EEENS1_30default_config_static_selectorELNS0_4arch9wavefront6targetE1EEEvT1_
	.globl	_ZN7rocprim17ROCPRIM_400000_NS6detail17trampoline_kernelINS0_14default_configENS1_25partition_config_selectorILNS1_17partition_subalgoE2EsNS0_10empty_typeEbEEZZNS1_14partition_implILS5_2ELb0ES3_jN6thrust23THRUST_200600_302600_NS6detail15normal_iteratorINSA_7pointerIsNSA_11hip_rocprim3tagENSA_11use_defaultESG_EEEEPS6_NSA_18transform_iteratorINSA_8identityIsEENSC_INSA_10device_ptrIsEEEESG_SG_EENS0_5tupleIJPsSJ_EEENSR_IJSJ_SJ_EEES6_PlJS6_EEE10hipError_tPvRmT3_T4_T5_T6_T7_T9_mT8_P12ihipStream_tbDpT10_ENKUlT_T0_E_clISt17integral_constantIbLb0EES1F_EEDaS1A_S1B_EUlS1A_E_NS1_11comp_targetILNS1_3genE3ELNS1_11target_archE908ELNS1_3gpuE7ELNS1_3repE0EEENS1_30default_config_static_selectorELNS0_4arch9wavefront6targetE1EEEvT1_
	.p2align	8
	.type	_ZN7rocprim17ROCPRIM_400000_NS6detail17trampoline_kernelINS0_14default_configENS1_25partition_config_selectorILNS1_17partition_subalgoE2EsNS0_10empty_typeEbEEZZNS1_14partition_implILS5_2ELb0ES3_jN6thrust23THRUST_200600_302600_NS6detail15normal_iteratorINSA_7pointerIsNSA_11hip_rocprim3tagENSA_11use_defaultESG_EEEEPS6_NSA_18transform_iteratorINSA_8identityIsEENSC_INSA_10device_ptrIsEEEESG_SG_EENS0_5tupleIJPsSJ_EEENSR_IJSJ_SJ_EEES6_PlJS6_EEE10hipError_tPvRmT3_T4_T5_T6_T7_T9_mT8_P12ihipStream_tbDpT10_ENKUlT_T0_E_clISt17integral_constantIbLb0EES1F_EEDaS1A_S1B_EUlS1A_E_NS1_11comp_targetILNS1_3genE3ELNS1_11target_archE908ELNS1_3gpuE7ELNS1_3repE0EEENS1_30default_config_static_selectorELNS0_4arch9wavefront6targetE1EEEvT1_,@function
_ZN7rocprim17ROCPRIM_400000_NS6detail17trampoline_kernelINS0_14default_configENS1_25partition_config_selectorILNS1_17partition_subalgoE2EsNS0_10empty_typeEbEEZZNS1_14partition_implILS5_2ELb0ES3_jN6thrust23THRUST_200600_302600_NS6detail15normal_iteratorINSA_7pointerIsNSA_11hip_rocprim3tagENSA_11use_defaultESG_EEEEPS6_NSA_18transform_iteratorINSA_8identityIsEENSC_INSA_10device_ptrIsEEEESG_SG_EENS0_5tupleIJPsSJ_EEENSR_IJSJ_SJ_EEES6_PlJS6_EEE10hipError_tPvRmT3_T4_T5_T6_T7_T9_mT8_P12ihipStream_tbDpT10_ENKUlT_T0_E_clISt17integral_constantIbLb0EES1F_EEDaS1A_S1B_EUlS1A_E_NS1_11comp_targetILNS1_3genE3ELNS1_11target_archE908ELNS1_3gpuE7ELNS1_3repE0EEENS1_30default_config_static_selectorELNS0_4arch9wavefront6targetE1EEEvT1_: ; @_ZN7rocprim17ROCPRIM_400000_NS6detail17trampoline_kernelINS0_14default_configENS1_25partition_config_selectorILNS1_17partition_subalgoE2EsNS0_10empty_typeEbEEZZNS1_14partition_implILS5_2ELb0ES3_jN6thrust23THRUST_200600_302600_NS6detail15normal_iteratorINSA_7pointerIsNSA_11hip_rocprim3tagENSA_11use_defaultESG_EEEEPS6_NSA_18transform_iteratorINSA_8identityIsEENSC_INSA_10device_ptrIsEEEESG_SG_EENS0_5tupleIJPsSJ_EEENSR_IJSJ_SJ_EEES6_PlJS6_EEE10hipError_tPvRmT3_T4_T5_T6_T7_T9_mT8_P12ihipStream_tbDpT10_ENKUlT_T0_E_clISt17integral_constantIbLb0EES1F_EEDaS1A_S1B_EUlS1A_E_NS1_11comp_targetILNS1_3genE3ELNS1_11target_archE908ELNS1_3gpuE7ELNS1_3repE0EEENS1_30default_config_static_selectorELNS0_4arch9wavefront6targetE1EEEvT1_
; %bb.0:
	.section	.rodata,"a",@progbits
	.p2align	6, 0x0
	.amdhsa_kernel _ZN7rocprim17ROCPRIM_400000_NS6detail17trampoline_kernelINS0_14default_configENS1_25partition_config_selectorILNS1_17partition_subalgoE2EsNS0_10empty_typeEbEEZZNS1_14partition_implILS5_2ELb0ES3_jN6thrust23THRUST_200600_302600_NS6detail15normal_iteratorINSA_7pointerIsNSA_11hip_rocprim3tagENSA_11use_defaultESG_EEEEPS6_NSA_18transform_iteratorINSA_8identityIsEENSC_INSA_10device_ptrIsEEEESG_SG_EENS0_5tupleIJPsSJ_EEENSR_IJSJ_SJ_EEES6_PlJS6_EEE10hipError_tPvRmT3_T4_T5_T6_T7_T9_mT8_P12ihipStream_tbDpT10_ENKUlT_T0_E_clISt17integral_constantIbLb0EES1F_EEDaS1A_S1B_EUlS1A_E_NS1_11comp_targetILNS1_3genE3ELNS1_11target_archE908ELNS1_3gpuE7ELNS1_3repE0EEENS1_30default_config_static_selectorELNS0_4arch9wavefront6targetE1EEEvT1_
		.amdhsa_group_segment_fixed_size 0
		.amdhsa_private_segment_fixed_size 0
		.amdhsa_kernarg_size 128
		.amdhsa_user_sgpr_count 6
		.amdhsa_user_sgpr_private_segment_buffer 1
		.amdhsa_user_sgpr_dispatch_ptr 0
		.amdhsa_user_sgpr_queue_ptr 0
		.amdhsa_user_sgpr_kernarg_segment_ptr 1
		.amdhsa_user_sgpr_dispatch_id 0
		.amdhsa_user_sgpr_flat_scratch_init 0
		.amdhsa_user_sgpr_kernarg_preload_length 0
		.amdhsa_user_sgpr_kernarg_preload_offset 0
		.amdhsa_user_sgpr_private_segment_size 0
		.amdhsa_uses_dynamic_stack 0
		.amdhsa_system_sgpr_private_segment_wavefront_offset 0
		.amdhsa_system_sgpr_workgroup_id_x 1
		.amdhsa_system_sgpr_workgroup_id_y 0
		.amdhsa_system_sgpr_workgroup_id_z 0
		.amdhsa_system_sgpr_workgroup_info 0
		.amdhsa_system_vgpr_workitem_id 0
		.amdhsa_next_free_vgpr 1
		.amdhsa_next_free_sgpr 0
		.amdhsa_accum_offset 4
		.amdhsa_reserve_vcc 0
		.amdhsa_reserve_flat_scratch 0
		.amdhsa_float_round_mode_32 0
		.amdhsa_float_round_mode_16_64 0
		.amdhsa_float_denorm_mode_32 3
		.amdhsa_float_denorm_mode_16_64 3
		.amdhsa_dx10_clamp 1
		.amdhsa_ieee_mode 1
		.amdhsa_fp16_overflow 0
		.amdhsa_tg_split 0
		.amdhsa_exception_fp_ieee_invalid_op 0
		.amdhsa_exception_fp_denorm_src 0
		.amdhsa_exception_fp_ieee_div_zero 0
		.amdhsa_exception_fp_ieee_overflow 0
		.amdhsa_exception_fp_ieee_underflow 0
		.amdhsa_exception_fp_ieee_inexact 0
		.amdhsa_exception_int_div_zero 0
	.end_amdhsa_kernel
	.section	.text._ZN7rocprim17ROCPRIM_400000_NS6detail17trampoline_kernelINS0_14default_configENS1_25partition_config_selectorILNS1_17partition_subalgoE2EsNS0_10empty_typeEbEEZZNS1_14partition_implILS5_2ELb0ES3_jN6thrust23THRUST_200600_302600_NS6detail15normal_iteratorINSA_7pointerIsNSA_11hip_rocprim3tagENSA_11use_defaultESG_EEEEPS6_NSA_18transform_iteratorINSA_8identityIsEENSC_INSA_10device_ptrIsEEEESG_SG_EENS0_5tupleIJPsSJ_EEENSR_IJSJ_SJ_EEES6_PlJS6_EEE10hipError_tPvRmT3_T4_T5_T6_T7_T9_mT8_P12ihipStream_tbDpT10_ENKUlT_T0_E_clISt17integral_constantIbLb0EES1F_EEDaS1A_S1B_EUlS1A_E_NS1_11comp_targetILNS1_3genE3ELNS1_11target_archE908ELNS1_3gpuE7ELNS1_3repE0EEENS1_30default_config_static_selectorELNS0_4arch9wavefront6targetE1EEEvT1_,"axG",@progbits,_ZN7rocprim17ROCPRIM_400000_NS6detail17trampoline_kernelINS0_14default_configENS1_25partition_config_selectorILNS1_17partition_subalgoE2EsNS0_10empty_typeEbEEZZNS1_14partition_implILS5_2ELb0ES3_jN6thrust23THRUST_200600_302600_NS6detail15normal_iteratorINSA_7pointerIsNSA_11hip_rocprim3tagENSA_11use_defaultESG_EEEEPS6_NSA_18transform_iteratorINSA_8identityIsEENSC_INSA_10device_ptrIsEEEESG_SG_EENS0_5tupleIJPsSJ_EEENSR_IJSJ_SJ_EEES6_PlJS6_EEE10hipError_tPvRmT3_T4_T5_T6_T7_T9_mT8_P12ihipStream_tbDpT10_ENKUlT_T0_E_clISt17integral_constantIbLb0EES1F_EEDaS1A_S1B_EUlS1A_E_NS1_11comp_targetILNS1_3genE3ELNS1_11target_archE908ELNS1_3gpuE7ELNS1_3repE0EEENS1_30default_config_static_selectorELNS0_4arch9wavefront6targetE1EEEvT1_,comdat
.Lfunc_end548:
	.size	_ZN7rocprim17ROCPRIM_400000_NS6detail17trampoline_kernelINS0_14default_configENS1_25partition_config_selectorILNS1_17partition_subalgoE2EsNS0_10empty_typeEbEEZZNS1_14partition_implILS5_2ELb0ES3_jN6thrust23THRUST_200600_302600_NS6detail15normal_iteratorINSA_7pointerIsNSA_11hip_rocprim3tagENSA_11use_defaultESG_EEEEPS6_NSA_18transform_iteratorINSA_8identityIsEENSC_INSA_10device_ptrIsEEEESG_SG_EENS0_5tupleIJPsSJ_EEENSR_IJSJ_SJ_EEES6_PlJS6_EEE10hipError_tPvRmT3_T4_T5_T6_T7_T9_mT8_P12ihipStream_tbDpT10_ENKUlT_T0_E_clISt17integral_constantIbLb0EES1F_EEDaS1A_S1B_EUlS1A_E_NS1_11comp_targetILNS1_3genE3ELNS1_11target_archE908ELNS1_3gpuE7ELNS1_3repE0EEENS1_30default_config_static_selectorELNS0_4arch9wavefront6targetE1EEEvT1_, .Lfunc_end548-_ZN7rocprim17ROCPRIM_400000_NS6detail17trampoline_kernelINS0_14default_configENS1_25partition_config_selectorILNS1_17partition_subalgoE2EsNS0_10empty_typeEbEEZZNS1_14partition_implILS5_2ELb0ES3_jN6thrust23THRUST_200600_302600_NS6detail15normal_iteratorINSA_7pointerIsNSA_11hip_rocprim3tagENSA_11use_defaultESG_EEEEPS6_NSA_18transform_iteratorINSA_8identityIsEENSC_INSA_10device_ptrIsEEEESG_SG_EENS0_5tupleIJPsSJ_EEENSR_IJSJ_SJ_EEES6_PlJS6_EEE10hipError_tPvRmT3_T4_T5_T6_T7_T9_mT8_P12ihipStream_tbDpT10_ENKUlT_T0_E_clISt17integral_constantIbLb0EES1F_EEDaS1A_S1B_EUlS1A_E_NS1_11comp_targetILNS1_3genE3ELNS1_11target_archE908ELNS1_3gpuE7ELNS1_3repE0EEENS1_30default_config_static_selectorELNS0_4arch9wavefront6targetE1EEEvT1_
                                        ; -- End function
	.section	.AMDGPU.csdata,"",@progbits
; Kernel info:
; codeLenInByte = 0
; NumSgprs: 4
; NumVgprs: 0
; NumAgprs: 0
; TotalNumVgprs: 0
; ScratchSize: 0
; MemoryBound: 0
; FloatMode: 240
; IeeeMode: 1
; LDSByteSize: 0 bytes/workgroup (compile time only)
; SGPRBlocks: 0
; VGPRBlocks: 0
; NumSGPRsForWavesPerEU: 4
; NumVGPRsForWavesPerEU: 1
; AccumOffset: 4
; Occupancy: 8
; WaveLimiterHint : 0
; COMPUTE_PGM_RSRC2:SCRATCH_EN: 0
; COMPUTE_PGM_RSRC2:USER_SGPR: 6
; COMPUTE_PGM_RSRC2:TRAP_HANDLER: 0
; COMPUTE_PGM_RSRC2:TGID_X_EN: 1
; COMPUTE_PGM_RSRC2:TGID_Y_EN: 0
; COMPUTE_PGM_RSRC2:TGID_Z_EN: 0
; COMPUTE_PGM_RSRC2:TIDIG_COMP_CNT: 0
; COMPUTE_PGM_RSRC3_GFX90A:ACCUM_OFFSET: 0
; COMPUTE_PGM_RSRC3_GFX90A:TG_SPLIT: 0
	.section	.text._ZN7rocprim17ROCPRIM_400000_NS6detail17trampoline_kernelINS0_14default_configENS1_25partition_config_selectorILNS1_17partition_subalgoE2EsNS0_10empty_typeEbEEZZNS1_14partition_implILS5_2ELb0ES3_jN6thrust23THRUST_200600_302600_NS6detail15normal_iteratorINSA_7pointerIsNSA_11hip_rocprim3tagENSA_11use_defaultESG_EEEEPS6_NSA_18transform_iteratorINSA_8identityIsEENSC_INSA_10device_ptrIsEEEESG_SG_EENS0_5tupleIJPsSJ_EEENSR_IJSJ_SJ_EEES6_PlJS6_EEE10hipError_tPvRmT3_T4_T5_T6_T7_T9_mT8_P12ihipStream_tbDpT10_ENKUlT_T0_E_clISt17integral_constantIbLb0EES1F_EEDaS1A_S1B_EUlS1A_E_NS1_11comp_targetILNS1_3genE2ELNS1_11target_archE906ELNS1_3gpuE6ELNS1_3repE0EEENS1_30default_config_static_selectorELNS0_4arch9wavefront6targetE1EEEvT1_,"axG",@progbits,_ZN7rocprim17ROCPRIM_400000_NS6detail17trampoline_kernelINS0_14default_configENS1_25partition_config_selectorILNS1_17partition_subalgoE2EsNS0_10empty_typeEbEEZZNS1_14partition_implILS5_2ELb0ES3_jN6thrust23THRUST_200600_302600_NS6detail15normal_iteratorINSA_7pointerIsNSA_11hip_rocprim3tagENSA_11use_defaultESG_EEEEPS6_NSA_18transform_iteratorINSA_8identityIsEENSC_INSA_10device_ptrIsEEEESG_SG_EENS0_5tupleIJPsSJ_EEENSR_IJSJ_SJ_EEES6_PlJS6_EEE10hipError_tPvRmT3_T4_T5_T6_T7_T9_mT8_P12ihipStream_tbDpT10_ENKUlT_T0_E_clISt17integral_constantIbLb0EES1F_EEDaS1A_S1B_EUlS1A_E_NS1_11comp_targetILNS1_3genE2ELNS1_11target_archE906ELNS1_3gpuE6ELNS1_3repE0EEENS1_30default_config_static_selectorELNS0_4arch9wavefront6targetE1EEEvT1_,comdat
	.protected	_ZN7rocprim17ROCPRIM_400000_NS6detail17trampoline_kernelINS0_14default_configENS1_25partition_config_selectorILNS1_17partition_subalgoE2EsNS0_10empty_typeEbEEZZNS1_14partition_implILS5_2ELb0ES3_jN6thrust23THRUST_200600_302600_NS6detail15normal_iteratorINSA_7pointerIsNSA_11hip_rocprim3tagENSA_11use_defaultESG_EEEEPS6_NSA_18transform_iteratorINSA_8identityIsEENSC_INSA_10device_ptrIsEEEESG_SG_EENS0_5tupleIJPsSJ_EEENSR_IJSJ_SJ_EEES6_PlJS6_EEE10hipError_tPvRmT3_T4_T5_T6_T7_T9_mT8_P12ihipStream_tbDpT10_ENKUlT_T0_E_clISt17integral_constantIbLb0EES1F_EEDaS1A_S1B_EUlS1A_E_NS1_11comp_targetILNS1_3genE2ELNS1_11target_archE906ELNS1_3gpuE6ELNS1_3repE0EEENS1_30default_config_static_selectorELNS0_4arch9wavefront6targetE1EEEvT1_ ; -- Begin function _ZN7rocprim17ROCPRIM_400000_NS6detail17trampoline_kernelINS0_14default_configENS1_25partition_config_selectorILNS1_17partition_subalgoE2EsNS0_10empty_typeEbEEZZNS1_14partition_implILS5_2ELb0ES3_jN6thrust23THRUST_200600_302600_NS6detail15normal_iteratorINSA_7pointerIsNSA_11hip_rocprim3tagENSA_11use_defaultESG_EEEEPS6_NSA_18transform_iteratorINSA_8identityIsEENSC_INSA_10device_ptrIsEEEESG_SG_EENS0_5tupleIJPsSJ_EEENSR_IJSJ_SJ_EEES6_PlJS6_EEE10hipError_tPvRmT3_T4_T5_T6_T7_T9_mT8_P12ihipStream_tbDpT10_ENKUlT_T0_E_clISt17integral_constantIbLb0EES1F_EEDaS1A_S1B_EUlS1A_E_NS1_11comp_targetILNS1_3genE2ELNS1_11target_archE906ELNS1_3gpuE6ELNS1_3repE0EEENS1_30default_config_static_selectorELNS0_4arch9wavefront6targetE1EEEvT1_
	.globl	_ZN7rocprim17ROCPRIM_400000_NS6detail17trampoline_kernelINS0_14default_configENS1_25partition_config_selectorILNS1_17partition_subalgoE2EsNS0_10empty_typeEbEEZZNS1_14partition_implILS5_2ELb0ES3_jN6thrust23THRUST_200600_302600_NS6detail15normal_iteratorINSA_7pointerIsNSA_11hip_rocprim3tagENSA_11use_defaultESG_EEEEPS6_NSA_18transform_iteratorINSA_8identityIsEENSC_INSA_10device_ptrIsEEEESG_SG_EENS0_5tupleIJPsSJ_EEENSR_IJSJ_SJ_EEES6_PlJS6_EEE10hipError_tPvRmT3_T4_T5_T6_T7_T9_mT8_P12ihipStream_tbDpT10_ENKUlT_T0_E_clISt17integral_constantIbLb0EES1F_EEDaS1A_S1B_EUlS1A_E_NS1_11comp_targetILNS1_3genE2ELNS1_11target_archE906ELNS1_3gpuE6ELNS1_3repE0EEENS1_30default_config_static_selectorELNS0_4arch9wavefront6targetE1EEEvT1_
	.p2align	8
	.type	_ZN7rocprim17ROCPRIM_400000_NS6detail17trampoline_kernelINS0_14default_configENS1_25partition_config_selectorILNS1_17partition_subalgoE2EsNS0_10empty_typeEbEEZZNS1_14partition_implILS5_2ELb0ES3_jN6thrust23THRUST_200600_302600_NS6detail15normal_iteratorINSA_7pointerIsNSA_11hip_rocprim3tagENSA_11use_defaultESG_EEEEPS6_NSA_18transform_iteratorINSA_8identityIsEENSC_INSA_10device_ptrIsEEEESG_SG_EENS0_5tupleIJPsSJ_EEENSR_IJSJ_SJ_EEES6_PlJS6_EEE10hipError_tPvRmT3_T4_T5_T6_T7_T9_mT8_P12ihipStream_tbDpT10_ENKUlT_T0_E_clISt17integral_constantIbLb0EES1F_EEDaS1A_S1B_EUlS1A_E_NS1_11comp_targetILNS1_3genE2ELNS1_11target_archE906ELNS1_3gpuE6ELNS1_3repE0EEENS1_30default_config_static_selectorELNS0_4arch9wavefront6targetE1EEEvT1_,@function
_ZN7rocprim17ROCPRIM_400000_NS6detail17trampoline_kernelINS0_14default_configENS1_25partition_config_selectorILNS1_17partition_subalgoE2EsNS0_10empty_typeEbEEZZNS1_14partition_implILS5_2ELb0ES3_jN6thrust23THRUST_200600_302600_NS6detail15normal_iteratorINSA_7pointerIsNSA_11hip_rocprim3tagENSA_11use_defaultESG_EEEEPS6_NSA_18transform_iteratorINSA_8identityIsEENSC_INSA_10device_ptrIsEEEESG_SG_EENS0_5tupleIJPsSJ_EEENSR_IJSJ_SJ_EEES6_PlJS6_EEE10hipError_tPvRmT3_T4_T5_T6_T7_T9_mT8_P12ihipStream_tbDpT10_ENKUlT_T0_E_clISt17integral_constantIbLb0EES1F_EEDaS1A_S1B_EUlS1A_E_NS1_11comp_targetILNS1_3genE2ELNS1_11target_archE906ELNS1_3gpuE6ELNS1_3repE0EEENS1_30default_config_static_selectorELNS0_4arch9wavefront6targetE1EEEvT1_: ; @_ZN7rocprim17ROCPRIM_400000_NS6detail17trampoline_kernelINS0_14default_configENS1_25partition_config_selectorILNS1_17partition_subalgoE2EsNS0_10empty_typeEbEEZZNS1_14partition_implILS5_2ELb0ES3_jN6thrust23THRUST_200600_302600_NS6detail15normal_iteratorINSA_7pointerIsNSA_11hip_rocprim3tagENSA_11use_defaultESG_EEEEPS6_NSA_18transform_iteratorINSA_8identityIsEENSC_INSA_10device_ptrIsEEEESG_SG_EENS0_5tupleIJPsSJ_EEENSR_IJSJ_SJ_EEES6_PlJS6_EEE10hipError_tPvRmT3_T4_T5_T6_T7_T9_mT8_P12ihipStream_tbDpT10_ENKUlT_T0_E_clISt17integral_constantIbLb0EES1F_EEDaS1A_S1B_EUlS1A_E_NS1_11comp_targetILNS1_3genE2ELNS1_11target_archE906ELNS1_3gpuE6ELNS1_3repE0EEENS1_30default_config_static_selectorELNS0_4arch9wavefront6targetE1EEEvT1_
; %bb.0:
	.section	.rodata,"a",@progbits
	.p2align	6, 0x0
	.amdhsa_kernel _ZN7rocprim17ROCPRIM_400000_NS6detail17trampoline_kernelINS0_14default_configENS1_25partition_config_selectorILNS1_17partition_subalgoE2EsNS0_10empty_typeEbEEZZNS1_14partition_implILS5_2ELb0ES3_jN6thrust23THRUST_200600_302600_NS6detail15normal_iteratorINSA_7pointerIsNSA_11hip_rocprim3tagENSA_11use_defaultESG_EEEEPS6_NSA_18transform_iteratorINSA_8identityIsEENSC_INSA_10device_ptrIsEEEESG_SG_EENS0_5tupleIJPsSJ_EEENSR_IJSJ_SJ_EEES6_PlJS6_EEE10hipError_tPvRmT3_T4_T5_T6_T7_T9_mT8_P12ihipStream_tbDpT10_ENKUlT_T0_E_clISt17integral_constantIbLb0EES1F_EEDaS1A_S1B_EUlS1A_E_NS1_11comp_targetILNS1_3genE2ELNS1_11target_archE906ELNS1_3gpuE6ELNS1_3repE0EEENS1_30default_config_static_selectorELNS0_4arch9wavefront6targetE1EEEvT1_
		.amdhsa_group_segment_fixed_size 0
		.amdhsa_private_segment_fixed_size 0
		.amdhsa_kernarg_size 128
		.amdhsa_user_sgpr_count 6
		.amdhsa_user_sgpr_private_segment_buffer 1
		.amdhsa_user_sgpr_dispatch_ptr 0
		.amdhsa_user_sgpr_queue_ptr 0
		.amdhsa_user_sgpr_kernarg_segment_ptr 1
		.amdhsa_user_sgpr_dispatch_id 0
		.amdhsa_user_sgpr_flat_scratch_init 0
		.amdhsa_user_sgpr_kernarg_preload_length 0
		.amdhsa_user_sgpr_kernarg_preload_offset 0
		.amdhsa_user_sgpr_private_segment_size 0
		.amdhsa_uses_dynamic_stack 0
		.amdhsa_system_sgpr_private_segment_wavefront_offset 0
		.amdhsa_system_sgpr_workgroup_id_x 1
		.amdhsa_system_sgpr_workgroup_id_y 0
		.amdhsa_system_sgpr_workgroup_id_z 0
		.amdhsa_system_sgpr_workgroup_info 0
		.amdhsa_system_vgpr_workitem_id 0
		.amdhsa_next_free_vgpr 1
		.amdhsa_next_free_sgpr 0
		.amdhsa_accum_offset 4
		.amdhsa_reserve_vcc 0
		.amdhsa_reserve_flat_scratch 0
		.amdhsa_float_round_mode_32 0
		.amdhsa_float_round_mode_16_64 0
		.amdhsa_float_denorm_mode_32 3
		.amdhsa_float_denorm_mode_16_64 3
		.amdhsa_dx10_clamp 1
		.amdhsa_ieee_mode 1
		.amdhsa_fp16_overflow 0
		.amdhsa_tg_split 0
		.amdhsa_exception_fp_ieee_invalid_op 0
		.amdhsa_exception_fp_denorm_src 0
		.amdhsa_exception_fp_ieee_div_zero 0
		.amdhsa_exception_fp_ieee_overflow 0
		.amdhsa_exception_fp_ieee_underflow 0
		.amdhsa_exception_fp_ieee_inexact 0
		.amdhsa_exception_int_div_zero 0
	.end_amdhsa_kernel
	.section	.text._ZN7rocprim17ROCPRIM_400000_NS6detail17trampoline_kernelINS0_14default_configENS1_25partition_config_selectorILNS1_17partition_subalgoE2EsNS0_10empty_typeEbEEZZNS1_14partition_implILS5_2ELb0ES3_jN6thrust23THRUST_200600_302600_NS6detail15normal_iteratorINSA_7pointerIsNSA_11hip_rocprim3tagENSA_11use_defaultESG_EEEEPS6_NSA_18transform_iteratorINSA_8identityIsEENSC_INSA_10device_ptrIsEEEESG_SG_EENS0_5tupleIJPsSJ_EEENSR_IJSJ_SJ_EEES6_PlJS6_EEE10hipError_tPvRmT3_T4_T5_T6_T7_T9_mT8_P12ihipStream_tbDpT10_ENKUlT_T0_E_clISt17integral_constantIbLb0EES1F_EEDaS1A_S1B_EUlS1A_E_NS1_11comp_targetILNS1_3genE2ELNS1_11target_archE906ELNS1_3gpuE6ELNS1_3repE0EEENS1_30default_config_static_selectorELNS0_4arch9wavefront6targetE1EEEvT1_,"axG",@progbits,_ZN7rocprim17ROCPRIM_400000_NS6detail17trampoline_kernelINS0_14default_configENS1_25partition_config_selectorILNS1_17partition_subalgoE2EsNS0_10empty_typeEbEEZZNS1_14partition_implILS5_2ELb0ES3_jN6thrust23THRUST_200600_302600_NS6detail15normal_iteratorINSA_7pointerIsNSA_11hip_rocprim3tagENSA_11use_defaultESG_EEEEPS6_NSA_18transform_iteratorINSA_8identityIsEENSC_INSA_10device_ptrIsEEEESG_SG_EENS0_5tupleIJPsSJ_EEENSR_IJSJ_SJ_EEES6_PlJS6_EEE10hipError_tPvRmT3_T4_T5_T6_T7_T9_mT8_P12ihipStream_tbDpT10_ENKUlT_T0_E_clISt17integral_constantIbLb0EES1F_EEDaS1A_S1B_EUlS1A_E_NS1_11comp_targetILNS1_3genE2ELNS1_11target_archE906ELNS1_3gpuE6ELNS1_3repE0EEENS1_30default_config_static_selectorELNS0_4arch9wavefront6targetE1EEEvT1_,comdat
.Lfunc_end549:
	.size	_ZN7rocprim17ROCPRIM_400000_NS6detail17trampoline_kernelINS0_14default_configENS1_25partition_config_selectorILNS1_17partition_subalgoE2EsNS0_10empty_typeEbEEZZNS1_14partition_implILS5_2ELb0ES3_jN6thrust23THRUST_200600_302600_NS6detail15normal_iteratorINSA_7pointerIsNSA_11hip_rocprim3tagENSA_11use_defaultESG_EEEEPS6_NSA_18transform_iteratorINSA_8identityIsEENSC_INSA_10device_ptrIsEEEESG_SG_EENS0_5tupleIJPsSJ_EEENSR_IJSJ_SJ_EEES6_PlJS6_EEE10hipError_tPvRmT3_T4_T5_T6_T7_T9_mT8_P12ihipStream_tbDpT10_ENKUlT_T0_E_clISt17integral_constantIbLb0EES1F_EEDaS1A_S1B_EUlS1A_E_NS1_11comp_targetILNS1_3genE2ELNS1_11target_archE906ELNS1_3gpuE6ELNS1_3repE0EEENS1_30default_config_static_selectorELNS0_4arch9wavefront6targetE1EEEvT1_, .Lfunc_end549-_ZN7rocprim17ROCPRIM_400000_NS6detail17trampoline_kernelINS0_14default_configENS1_25partition_config_selectorILNS1_17partition_subalgoE2EsNS0_10empty_typeEbEEZZNS1_14partition_implILS5_2ELb0ES3_jN6thrust23THRUST_200600_302600_NS6detail15normal_iteratorINSA_7pointerIsNSA_11hip_rocprim3tagENSA_11use_defaultESG_EEEEPS6_NSA_18transform_iteratorINSA_8identityIsEENSC_INSA_10device_ptrIsEEEESG_SG_EENS0_5tupleIJPsSJ_EEENSR_IJSJ_SJ_EEES6_PlJS6_EEE10hipError_tPvRmT3_T4_T5_T6_T7_T9_mT8_P12ihipStream_tbDpT10_ENKUlT_T0_E_clISt17integral_constantIbLb0EES1F_EEDaS1A_S1B_EUlS1A_E_NS1_11comp_targetILNS1_3genE2ELNS1_11target_archE906ELNS1_3gpuE6ELNS1_3repE0EEENS1_30default_config_static_selectorELNS0_4arch9wavefront6targetE1EEEvT1_
                                        ; -- End function
	.section	.AMDGPU.csdata,"",@progbits
; Kernel info:
; codeLenInByte = 0
; NumSgprs: 4
; NumVgprs: 0
; NumAgprs: 0
; TotalNumVgprs: 0
; ScratchSize: 0
; MemoryBound: 0
; FloatMode: 240
; IeeeMode: 1
; LDSByteSize: 0 bytes/workgroup (compile time only)
; SGPRBlocks: 0
; VGPRBlocks: 0
; NumSGPRsForWavesPerEU: 4
; NumVGPRsForWavesPerEU: 1
; AccumOffset: 4
; Occupancy: 8
; WaveLimiterHint : 0
; COMPUTE_PGM_RSRC2:SCRATCH_EN: 0
; COMPUTE_PGM_RSRC2:USER_SGPR: 6
; COMPUTE_PGM_RSRC2:TRAP_HANDLER: 0
; COMPUTE_PGM_RSRC2:TGID_X_EN: 1
; COMPUTE_PGM_RSRC2:TGID_Y_EN: 0
; COMPUTE_PGM_RSRC2:TGID_Z_EN: 0
; COMPUTE_PGM_RSRC2:TIDIG_COMP_CNT: 0
; COMPUTE_PGM_RSRC3_GFX90A:ACCUM_OFFSET: 0
; COMPUTE_PGM_RSRC3_GFX90A:TG_SPLIT: 0
	.section	.text._ZN7rocprim17ROCPRIM_400000_NS6detail17trampoline_kernelINS0_14default_configENS1_25partition_config_selectorILNS1_17partition_subalgoE2EsNS0_10empty_typeEbEEZZNS1_14partition_implILS5_2ELb0ES3_jN6thrust23THRUST_200600_302600_NS6detail15normal_iteratorINSA_7pointerIsNSA_11hip_rocprim3tagENSA_11use_defaultESG_EEEEPS6_NSA_18transform_iteratorINSA_8identityIsEENSC_INSA_10device_ptrIsEEEESG_SG_EENS0_5tupleIJPsSJ_EEENSR_IJSJ_SJ_EEES6_PlJS6_EEE10hipError_tPvRmT3_T4_T5_T6_T7_T9_mT8_P12ihipStream_tbDpT10_ENKUlT_T0_E_clISt17integral_constantIbLb0EES1F_EEDaS1A_S1B_EUlS1A_E_NS1_11comp_targetILNS1_3genE10ELNS1_11target_archE1200ELNS1_3gpuE4ELNS1_3repE0EEENS1_30default_config_static_selectorELNS0_4arch9wavefront6targetE1EEEvT1_,"axG",@progbits,_ZN7rocprim17ROCPRIM_400000_NS6detail17trampoline_kernelINS0_14default_configENS1_25partition_config_selectorILNS1_17partition_subalgoE2EsNS0_10empty_typeEbEEZZNS1_14partition_implILS5_2ELb0ES3_jN6thrust23THRUST_200600_302600_NS6detail15normal_iteratorINSA_7pointerIsNSA_11hip_rocprim3tagENSA_11use_defaultESG_EEEEPS6_NSA_18transform_iteratorINSA_8identityIsEENSC_INSA_10device_ptrIsEEEESG_SG_EENS0_5tupleIJPsSJ_EEENSR_IJSJ_SJ_EEES6_PlJS6_EEE10hipError_tPvRmT3_T4_T5_T6_T7_T9_mT8_P12ihipStream_tbDpT10_ENKUlT_T0_E_clISt17integral_constantIbLb0EES1F_EEDaS1A_S1B_EUlS1A_E_NS1_11comp_targetILNS1_3genE10ELNS1_11target_archE1200ELNS1_3gpuE4ELNS1_3repE0EEENS1_30default_config_static_selectorELNS0_4arch9wavefront6targetE1EEEvT1_,comdat
	.protected	_ZN7rocprim17ROCPRIM_400000_NS6detail17trampoline_kernelINS0_14default_configENS1_25partition_config_selectorILNS1_17partition_subalgoE2EsNS0_10empty_typeEbEEZZNS1_14partition_implILS5_2ELb0ES3_jN6thrust23THRUST_200600_302600_NS6detail15normal_iteratorINSA_7pointerIsNSA_11hip_rocprim3tagENSA_11use_defaultESG_EEEEPS6_NSA_18transform_iteratorINSA_8identityIsEENSC_INSA_10device_ptrIsEEEESG_SG_EENS0_5tupleIJPsSJ_EEENSR_IJSJ_SJ_EEES6_PlJS6_EEE10hipError_tPvRmT3_T4_T5_T6_T7_T9_mT8_P12ihipStream_tbDpT10_ENKUlT_T0_E_clISt17integral_constantIbLb0EES1F_EEDaS1A_S1B_EUlS1A_E_NS1_11comp_targetILNS1_3genE10ELNS1_11target_archE1200ELNS1_3gpuE4ELNS1_3repE0EEENS1_30default_config_static_selectorELNS0_4arch9wavefront6targetE1EEEvT1_ ; -- Begin function _ZN7rocprim17ROCPRIM_400000_NS6detail17trampoline_kernelINS0_14default_configENS1_25partition_config_selectorILNS1_17partition_subalgoE2EsNS0_10empty_typeEbEEZZNS1_14partition_implILS5_2ELb0ES3_jN6thrust23THRUST_200600_302600_NS6detail15normal_iteratorINSA_7pointerIsNSA_11hip_rocprim3tagENSA_11use_defaultESG_EEEEPS6_NSA_18transform_iteratorINSA_8identityIsEENSC_INSA_10device_ptrIsEEEESG_SG_EENS0_5tupleIJPsSJ_EEENSR_IJSJ_SJ_EEES6_PlJS6_EEE10hipError_tPvRmT3_T4_T5_T6_T7_T9_mT8_P12ihipStream_tbDpT10_ENKUlT_T0_E_clISt17integral_constantIbLb0EES1F_EEDaS1A_S1B_EUlS1A_E_NS1_11comp_targetILNS1_3genE10ELNS1_11target_archE1200ELNS1_3gpuE4ELNS1_3repE0EEENS1_30default_config_static_selectorELNS0_4arch9wavefront6targetE1EEEvT1_
	.globl	_ZN7rocprim17ROCPRIM_400000_NS6detail17trampoline_kernelINS0_14default_configENS1_25partition_config_selectorILNS1_17partition_subalgoE2EsNS0_10empty_typeEbEEZZNS1_14partition_implILS5_2ELb0ES3_jN6thrust23THRUST_200600_302600_NS6detail15normal_iteratorINSA_7pointerIsNSA_11hip_rocprim3tagENSA_11use_defaultESG_EEEEPS6_NSA_18transform_iteratorINSA_8identityIsEENSC_INSA_10device_ptrIsEEEESG_SG_EENS0_5tupleIJPsSJ_EEENSR_IJSJ_SJ_EEES6_PlJS6_EEE10hipError_tPvRmT3_T4_T5_T6_T7_T9_mT8_P12ihipStream_tbDpT10_ENKUlT_T0_E_clISt17integral_constantIbLb0EES1F_EEDaS1A_S1B_EUlS1A_E_NS1_11comp_targetILNS1_3genE10ELNS1_11target_archE1200ELNS1_3gpuE4ELNS1_3repE0EEENS1_30default_config_static_selectorELNS0_4arch9wavefront6targetE1EEEvT1_
	.p2align	8
	.type	_ZN7rocprim17ROCPRIM_400000_NS6detail17trampoline_kernelINS0_14default_configENS1_25partition_config_selectorILNS1_17partition_subalgoE2EsNS0_10empty_typeEbEEZZNS1_14partition_implILS5_2ELb0ES3_jN6thrust23THRUST_200600_302600_NS6detail15normal_iteratorINSA_7pointerIsNSA_11hip_rocprim3tagENSA_11use_defaultESG_EEEEPS6_NSA_18transform_iteratorINSA_8identityIsEENSC_INSA_10device_ptrIsEEEESG_SG_EENS0_5tupleIJPsSJ_EEENSR_IJSJ_SJ_EEES6_PlJS6_EEE10hipError_tPvRmT3_T4_T5_T6_T7_T9_mT8_P12ihipStream_tbDpT10_ENKUlT_T0_E_clISt17integral_constantIbLb0EES1F_EEDaS1A_S1B_EUlS1A_E_NS1_11comp_targetILNS1_3genE10ELNS1_11target_archE1200ELNS1_3gpuE4ELNS1_3repE0EEENS1_30default_config_static_selectorELNS0_4arch9wavefront6targetE1EEEvT1_,@function
_ZN7rocprim17ROCPRIM_400000_NS6detail17trampoline_kernelINS0_14default_configENS1_25partition_config_selectorILNS1_17partition_subalgoE2EsNS0_10empty_typeEbEEZZNS1_14partition_implILS5_2ELb0ES3_jN6thrust23THRUST_200600_302600_NS6detail15normal_iteratorINSA_7pointerIsNSA_11hip_rocprim3tagENSA_11use_defaultESG_EEEEPS6_NSA_18transform_iteratorINSA_8identityIsEENSC_INSA_10device_ptrIsEEEESG_SG_EENS0_5tupleIJPsSJ_EEENSR_IJSJ_SJ_EEES6_PlJS6_EEE10hipError_tPvRmT3_T4_T5_T6_T7_T9_mT8_P12ihipStream_tbDpT10_ENKUlT_T0_E_clISt17integral_constantIbLb0EES1F_EEDaS1A_S1B_EUlS1A_E_NS1_11comp_targetILNS1_3genE10ELNS1_11target_archE1200ELNS1_3gpuE4ELNS1_3repE0EEENS1_30default_config_static_selectorELNS0_4arch9wavefront6targetE1EEEvT1_: ; @_ZN7rocprim17ROCPRIM_400000_NS6detail17trampoline_kernelINS0_14default_configENS1_25partition_config_selectorILNS1_17partition_subalgoE2EsNS0_10empty_typeEbEEZZNS1_14partition_implILS5_2ELb0ES3_jN6thrust23THRUST_200600_302600_NS6detail15normal_iteratorINSA_7pointerIsNSA_11hip_rocprim3tagENSA_11use_defaultESG_EEEEPS6_NSA_18transform_iteratorINSA_8identityIsEENSC_INSA_10device_ptrIsEEEESG_SG_EENS0_5tupleIJPsSJ_EEENSR_IJSJ_SJ_EEES6_PlJS6_EEE10hipError_tPvRmT3_T4_T5_T6_T7_T9_mT8_P12ihipStream_tbDpT10_ENKUlT_T0_E_clISt17integral_constantIbLb0EES1F_EEDaS1A_S1B_EUlS1A_E_NS1_11comp_targetILNS1_3genE10ELNS1_11target_archE1200ELNS1_3gpuE4ELNS1_3repE0EEENS1_30default_config_static_selectorELNS0_4arch9wavefront6targetE1EEEvT1_
; %bb.0:
	.section	.rodata,"a",@progbits
	.p2align	6, 0x0
	.amdhsa_kernel _ZN7rocprim17ROCPRIM_400000_NS6detail17trampoline_kernelINS0_14default_configENS1_25partition_config_selectorILNS1_17partition_subalgoE2EsNS0_10empty_typeEbEEZZNS1_14partition_implILS5_2ELb0ES3_jN6thrust23THRUST_200600_302600_NS6detail15normal_iteratorINSA_7pointerIsNSA_11hip_rocprim3tagENSA_11use_defaultESG_EEEEPS6_NSA_18transform_iteratorINSA_8identityIsEENSC_INSA_10device_ptrIsEEEESG_SG_EENS0_5tupleIJPsSJ_EEENSR_IJSJ_SJ_EEES6_PlJS6_EEE10hipError_tPvRmT3_T4_T5_T6_T7_T9_mT8_P12ihipStream_tbDpT10_ENKUlT_T0_E_clISt17integral_constantIbLb0EES1F_EEDaS1A_S1B_EUlS1A_E_NS1_11comp_targetILNS1_3genE10ELNS1_11target_archE1200ELNS1_3gpuE4ELNS1_3repE0EEENS1_30default_config_static_selectorELNS0_4arch9wavefront6targetE1EEEvT1_
		.amdhsa_group_segment_fixed_size 0
		.amdhsa_private_segment_fixed_size 0
		.amdhsa_kernarg_size 128
		.amdhsa_user_sgpr_count 6
		.amdhsa_user_sgpr_private_segment_buffer 1
		.amdhsa_user_sgpr_dispatch_ptr 0
		.amdhsa_user_sgpr_queue_ptr 0
		.amdhsa_user_sgpr_kernarg_segment_ptr 1
		.amdhsa_user_sgpr_dispatch_id 0
		.amdhsa_user_sgpr_flat_scratch_init 0
		.amdhsa_user_sgpr_kernarg_preload_length 0
		.amdhsa_user_sgpr_kernarg_preload_offset 0
		.amdhsa_user_sgpr_private_segment_size 0
		.amdhsa_uses_dynamic_stack 0
		.amdhsa_system_sgpr_private_segment_wavefront_offset 0
		.amdhsa_system_sgpr_workgroup_id_x 1
		.amdhsa_system_sgpr_workgroup_id_y 0
		.amdhsa_system_sgpr_workgroup_id_z 0
		.amdhsa_system_sgpr_workgroup_info 0
		.amdhsa_system_vgpr_workitem_id 0
		.amdhsa_next_free_vgpr 1
		.amdhsa_next_free_sgpr 0
		.amdhsa_accum_offset 4
		.amdhsa_reserve_vcc 0
		.amdhsa_reserve_flat_scratch 0
		.amdhsa_float_round_mode_32 0
		.amdhsa_float_round_mode_16_64 0
		.amdhsa_float_denorm_mode_32 3
		.amdhsa_float_denorm_mode_16_64 3
		.amdhsa_dx10_clamp 1
		.amdhsa_ieee_mode 1
		.amdhsa_fp16_overflow 0
		.amdhsa_tg_split 0
		.amdhsa_exception_fp_ieee_invalid_op 0
		.amdhsa_exception_fp_denorm_src 0
		.amdhsa_exception_fp_ieee_div_zero 0
		.amdhsa_exception_fp_ieee_overflow 0
		.amdhsa_exception_fp_ieee_underflow 0
		.amdhsa_exception_fp_ieee_inexact 0
		.amdhsa_exception_int_div_zero 0
	.end_amdhsa_kernel
	.section	.text._ZN7rocprim17ROCPRIM_400000_NS6detail17trampoline_kernelINS0_14default_configENS1_25partition_config_selectorILNS1_17partition_subalgoE2EsNS0_10empty_typeEbEEZZNS1_14partition_implILS5_2ELb0ES3_jN6thrust23THRUST_200600_302600_NS6detail15normal_iteratorINSA_7pointerIsNSA_11hip_rocprim3tagENSA_11use_defaultESG_EEEEPS6_NSA_18transform_iteratorINSA_8identityIsEENSC_INSA_10device_ptrIsEEEESG_SG_EENS0_5tupleIJPsSJ_EEENSR_IJSJ_SJ_EEES6_PlJS6_EEE10hipError_tPvRmT3_T4_T5_T6_T7_T9_mT8_P12ihipStream_tbDpT10_ENKUlT_T0_E_clISt17integral_constantIbLb0EES1F_EEDaS1A_S1B_EUlS1A_E_NS1_11comp_targetILNS1_3genE10ELNS1_11target_archE1200ELNS1_3gpuE4ELNS1_3repE0EEENS1_30default_config_static_selectorELNS0_4arch9wavefront6targetE1EEEvT1_,"axG",@progbits,_ZN7rocprim17ROCPRIM_400000_NS6detail17trampoline_kernelINS0_14default_configENS1_25partition_config_selectorILNS1_17partition_subalgoE2EsNS0_10empty_typeEbEEZZNS1_14partition_implILS5_2ELb0ES3_jN6thrust23THRUST_200600_302600_NS6detail15normal_iteratorINSA_7pointerIsNSA_11hip_rocprim3tagENSA_11use_defaultESG_EEEEPS6_NSA_18transform_iteratorINSA_8identityIsEENSC_INSA_10device_ptrIsEEEESG_SG_EENS0_5tupleIJPsSJ_EEENSR_IJSJ_SJ_EEES6_PlJS6_EEE10hipError_tPvRmT3_T4_T5_T6_T7_T9_mT8_P12ihipStream_tbDpT10_ENKUlT_T0_E_clISt17integral_constantIbLb0EES1F_EEDaS1A_S1B_EUlS1A_E_NS1_11comp_targetILNS1_3genE10ELNS1_11target_archE1200ELNS1_3gpuE4ELNS1_3repE0EEENS1_30default_config_static_selectorELNS0_4arch9wavefront6targetE1EEEvT1_,comdat
.Lfunc_end550:
	.size	_ZN7rocprim17ROCPRIM_400000_NS6detail17trampoline_kernelINS0_14default_configENS1_25partition_config_selectorILNS1_17partition_subalgoE2EsNS0_10empty_typeEbEEZZNS1_14partition_implILS5_2ELb0ES3_jN6thrust23THRUST_200600_302600_NS6detail15normal_iteratorINSA_7pointerIsNSA_11hip_rocprim3tagENSA_11use_defaultESG_EEEEPS6_NSA_18transform_iteratorINSA_8identityIsEENSC_INSA_10device_ptrIsEEEESG_SG_EENS0_5tupleIJPsSJ_EEENSR_IJSJ_SJ_EEES6_PlJS6_EEE10hipError_tPvRmT3_T4_T5_T6_T7_T9_mT8_P12ihipStream_tbDpT10_ENKUlT_T0_E_clISt17integral_constantIbLb0EES1F_EEDaS1A_S1B_EUlS1A_E_NS1_11comp_targetILNS1_3genE10ELNS1_11target_archE1200ELNS1_3gpuE4ELNS1_3repE0EEENS1_30default_config_static_selectorELNS0_4arch9wavefront6targetE1EEEvT1_, .Lfunc_end550-_ZN7rocprim17ROCPRIM_400000_NS6detail17trampoline_kernelINS0_14default_configENS1_25partition_config_selectorILNS1_17partition_subalgoE2EsNS0_10empty_typeEbEEZZNS1_14partition_implILS5_2ELb0ES3_jN6thrust23THRUST_200600_302600_NS6detail15normal_iteratorINSA_7pointerIsNSA_11hip_rocprim3tagENSA_11use_defaultESG_EEEEPS6_NSA_18transform_iteratorINSA_8identityIsEENSC_INSA_10device_ptrIsEEEESG_SG_EENS0_5tupleIJPsSJ_EEENSR_IJSJ_SJ_EEES6_PlJS6_EEE10hipError_tPvRmT3_T4_T5_T6_T7_T9_mT8_P12ihipStream_tbDpT10_ENKUlT_T0_E_clISt17integral_constantIbLb0EES1F_EEDaS1A_S1B_EUlS1A_E_NS1_11comp_targetILNS1_3genE10ELNS1_11target_archE1200ELNS1_3gpuE4ELNS1_3repE0EEENS1_30default_config_static_selectorELNS0_4arch9wavefront6targetE1EEEvT1_
                                        ; -- End function
	.section	.AMDGPU.csdata,"",@progbits
; Kernel info:
; codeLenInByte = 0
; NumSgprs: 4
; NumVgprs: 0
; NumAgprs: 0
; TotalNumVgprs: 0
; ScratchSize: 0
; MemoryBound: 0
; FloatMode: 240
; IeeeMode: 1
; LDSByteSize: 0 bytes/workgroup (compile time only)
; SGPRBlocks: 0
; VGPRBlocks: 0
; NumSGPRsForWavesPerEU: 4
; NumVGPRsForWavesPerEU: 1
; AccumOffset: 4
; Occupancy: 8
; WaveLimiterHint : 0
; COMPUTE_PGM_RSRC2:SCRATCH_EN: 0
; COMPUTE_PGM_RSRC2:USER_SGPR: 6
; COMPUTE_PGM_RSRC2:TRAP_HANDLER: 0
; COMPUTE_PGM_RSRC2:TGID_X_EN: 1
; COMPUTE_PGM_RSRC2:TGID_Y_EN: 0
; COMPUTE_PGM_RSRC2:TGID_Z_EN: 0
; COMPUTE_PGM_RSRC2:TIDIG_COMP_CNT: 0
; COMPUTE_PGM_RSRC3_GFX90A:ACCUM_OFFSET: 0
; COMPUTE_PGM_RSRC3_GFX90A:TG_SPLIT: 0
	.section	.text._ZN7rocprim17ROCPRIM_400000_NS6detail17trampoline_kernelINS0_14default_configENS1_25partition_config_selectorILNS1_17partition_subalgoE2EsNS0_10empty_typeEbEEZZNS1_14partition_implILS5_2ELb0ES3_jN6thrust23THRUST_200600_302600_NS6detail15normal_iteratorINSA_7pointerIsNSA_11hip_rocprim3tagENSA_11use_defaultESG_EEEEPS6_NSA_18transform_iteratorINSA_8identityIsEENSC_INSA_10device_ptrIsEEEESG_SG_EENS0_5tupleIJPsSJ_EEENSR_IJSJ_SJ_EEES6_PlJS6_EEE10hipError_tPvRmT3_T4_T5_T6_T7_T9_mT8_P12ihipStream_tbDpT10_ENKUlT_T0_E_clISt17integral_constantIbLb0EES1F_EEDaS1A_S1B_EUlS1A_E_NS1_11comp_targetILNS1_3genE9ELNS1_11target_archE1100ELNS1_3gpuE3ELNS1_3repE0EEENS1_30default_config_static_selectorELNS0_4arch9wavefront6targetE1EEEvT1_,"axG",@progbits,_ZN7rocprim17ROCPRIM_400000_NS6detail17trampoline_kernelINS0_14default_configENS1_25partition_config_selectorILNS1_17partition_subalgoE2EsNS0_10empty_typeEbEEZZNS1_14partition_implILS5_2ELb0ES3_jN6thrust23THRUST_200600_302600_NS6detail15normal_iteratorINSA_7pointerIsNSA_11hip_rocprim3tagENSA_11use_defaultESG_EEEEPS6_NSA_18transform_iteratorINSA_8identityIsEENSC_INSA_10device_ptrIsEEEESG_SG_EENS0_5tupleIJPsSJ_EEENSR_IJSJ_SJ_EEES6_PlJS6_EEE10hipError_tPvRmT3_T4_T5_T6_T7_T9_mT8_P12ihipStream_tbDpT10_ENKUlT_T0_E_clISt17integral_constantIbLb0EES1F_EEDaS1A_S1B_EUlS1A_E_NS1_11comp_targetILNS1_3genE9ELNS1_11target_archE1100ELNS1_3gpuE3ELNS1_3repE0EEENS1_30default_config_static_selectorELNS0_4arch9wavefront6targetE1EEEvT1_,comdat
	.protected	_ZN7rocprim17ROCPRIM_400000_NS6detail17trampoline_kernelINS0_14default_configENS1_25partition_config_selectorILNS1_17partition_subalgoE2EsNS0_10empty_typeEbEEZZNS1_14partition_implILS5_2ELb0ES3_jN6thrust23THRUST_200600_302600_NS6detail15normal_iteratorINSA_7pointerIsNSA_11hip_rocprim3tagENSA_11use_defaultESG_EEEEPS6_NSA_18transform_iteratorINSA_8identityIsEENSC_INSA_10device_ptrIsEEEESG_SG_EENS0_5tupleIJPsSJ_EEENSR_IJSJ_SJ_EEES6_PlJS6_EEE10hipError_tPvRmT3_T4_T5_T6_T7_T9_mT8_P12ihipStream_tbDpT10_ENKUlT_T0_E_clISt17integral_constantIbLb0EES1F_EEDaS1A_S1B_EUlS1A_E_NS1_11comp_targetILNS1_3genE9ELNS1_11target_archE1100ELNS1_3gpuE3ELNS1_3repE0EEENS1_30default_config_static_selectorELNS0_4arch9wavefront6targetE1EEEvT1_ ; -- Begin function _ZN7rocprim17ROCPRIM_400000_NS6detail17trampoline_kernelINS0_14default_configENS1_25partition_config_selectorILNS1_17partition_subalgoE2EsNS0_10empty_typeEbEEZZNS1_14partition_implILS5_2ELb0ES3_jN6thrust23THRUST_200600_302600_NS6detail15normal_iteratorINSA_7pointerIsNSA_11hip_rocprim3tagENSA_11use_defaultESG_EEEEPS6_NSA_18transform_iteratorINSA_8identityIsEENSC_INSA_10device_ptrIsEEEESG_SG_EENS0_5tupleIJPsSJ_EEENSR_IJSJ_SJ_EEES6_PlJS6_EEE10hipError_tPvRmT3_T4_T5_T6_T7_T9_mT8_P12ihipStream_tbDpT10_ENKUlT_T0_E_clISt17integral_constantIbLb0EES1F_EEDaS1A_S1B_EUlS1A_E_NS1_11comp_targetILNS1_3genE9ELNS1_11target_archE1100ELNS1_3gpuE3ELNS1_3repE0EEENS1_30default_config_static_selectorELNS0_4arch9wavefront6targetE1EEEvT1_
	.globl	_ZN7rocprim17ROCPRIM_400000_NS6detail17trampoline_kernelINS0_14default_configENS1_25partition_config_selectorILNS1_17partition_subalgoE2EsNS0_10empty_typeEbEEZZNS1_14partition_implILS5_2ELb0ES3_jN6thrust23THRUST_200600_302600_NS6detail15normal_iteratorINSA_7pointerIsNSA_11hip_rocprim3tagENSA_11use_defaultESG_EEEEPS6_NSA_18transform_iteratorINSA_8identityIsEENSC_INSA_10device_ptrIsEEEESG_SG_EENS0_5tupleIJPsSJ_EEENSR_IJSJ_SJ_EEES6_PlJS6_EEE10hipError_tPvRmT3_T4_T5_T6_T7_T9_mT8_P12ihipStream_tbDpT10_ENKUlT_T0_E_clISt17integral_constantIbLb0EES1F_EEDaS1A_S1B_EUlS1A_E_NS1_11comp_targetILNS1_3genE9ELNS1_11target_archE1100ELNS1_3gpuE3ELNS1_3repE0EEENS1_30default_config_static_selectorELNS0_4arch9wavefront6targetE1EEEvT1_
	.p2align	8
	.type	_ZN7rocprim17ROCPRIM_400000_NS6detail17trampoline_kernelINS0_14default_configENS1_25partition_config_selectorILNS1_17partition_subalgoE2EsNS0_10empty_typeEbEEZZNS1_14partition_implILS5_2ELb0ES3_jN6thrust23THRUST_200600_302600_NS6detail15normal_iteratorINSA_7pointerIsNSA_11hip_rocprim3tagENSA_11use_defaultESG_EEEEPS6_NSA_18transform_iteratorINSA_8identityIsEENSC_INSA_10device_ptrIsEEEESG_SG_EENS0_5tupleIJPsSJ_EEENSR_IJSJ_SJ_EEES6_PlJS6_EEE10hipError_tPvRmT3_T4_T5_T6_T7_T9_mT8_P12ihipStream_tbDpT10_ENKUlT_T0_E_clISt17integral_constantIbLb0EES1F_EEDaS1A_S1B_EUlS1A_E_NS1_11comp_targetILNS1_3genE9ELNS1_11target_archE1100ELNS1_3gpuE3ELNS1_3repE0EEENS1_30default_config_static_selectorELNS0_4arch9wavefront6targetE1EEEvT1_,@function
_ZN7rocprim17ROCPRIM_400000_NS6detail17trampoline_kernelINS0_14default_configENS1_25partition_config_selectorILNS1_17partition_subalgoE2EsNS0_10empty_typeEbEEZZNS1_14partition_implILS5_2ELb0ES3_jN6thrust23THRUST_200600_302600_NS6detail15normal_iteratorINSA_7pointerIsNSA_11hip_rocprim3tagENSA_11use_defaultESG_EEEEPS6_NSA_18transform_iteratorINSA_8identityIsEENSC_INSA_10device_ptrIsEEEESG_SG_EENS0_5tupleIJPsSJ_EEENSR_IJSJ_SJ_EEES6_PlJS6_EEE10hipError_tPvRmT3_T4_T5_T6_T7_T9_mT8_P12ihipStream_tbDpT10_ENKUlT_T0_E_clISt17integral_constantIbLb0EES1F_EEDaS1A_S1B_EUlS1A_E_NS1_11comp_targetILNS1_3genE9ELNS1_11target_archE1100ELNS1_3gpuE3ELNS1_3repE0EEENS1_30default_config_static_selectorELNS0_4arch9wavefront6targetE1EEEvT1_: ; @_ZN7rocprim17ROCPRIM_400000_NS6detail17trampoline_kernelINS0_14default_configENS1_25partition_config_selectorILNS1_17partition_subalgoE2EsNS0_10empty_typeEbEEZZNS1_14partition_implILS5_2ELb0ES3_jN6thrust23THRUST_200600_302600_NS6detail15normal_iteratorINSA_7pointerIsNSA_11hip_rocprim3tagENSA_11use_defaultESG_EEEEPS6_NSA_18transform_iteratorINSA_8identityIsEENSC_INSA_10device_ptrIsEEEESG_SG_EENS0_5tupleIJPsSJ_EEENSR_IJSJ_SJ_EEES6_PlJS6_EEE10hipError_tPvRmT3_T4_T5_T6_T7_T9_mT8_P12ihipStream_tbDpT10_ENKUlT_T0_E_clISt17integral_constantIbLb0EES1F_EEDaS1A_S1B_EUlS1A_E_NS1_11comp_targetILNS1_3genE9ELNS1_11target_archE1100ELNS1_3gpuE3ELNS1_3repE0EEENS1_30default_config_static_selectorELNS0_4arch9wavefront6targetE1EEEvT1_
; %bb.0:
	.section	.rodata,"a",@progbits
	.p2align	6, 0x0
	.amdhsa_kernel _ZN7rocprim17ROCPRIM_400000_NS6detail17trampoline_kernelINS0_14default_configENS1_25partition_config_selectorILNS1_17partition_subalgoE2EsNS0_10empty_typeEbEEZZNS1_14partition_implILS5_2ELb0ES3_jN6thrust23THRUST_200600_302600_NS6detail15normal_iteratorINSA_7pointerIsNSA_11hip_rocprim3tagENSA_11use_defaultESG_EEEEPS6_NSA_18transform_iteratorINSA_8identityIsEENSC_INSA_10device_ptrIsEEEESG_SG_EENS0_5tupleIJPsSJ_EEENSR_IJSJ_SJ_EEES6_PlJS6_EEE10hipError_tPvRmT3_T4_T5_T6_T7_T9_mT8_P12ihipStream_tbDpT10_ENKUlT_T0_E_clISt17integral_constantIbLb0EES1F_EEDaS1A_S1B_EUlS1A_E_NS1_11comp_targetILNS1_3genE9ELNS1_11target_archE1100ELNS1_3gpuE3ELNS1_3repE0EEENS1_30default_config_static_selectorELNS0_4arch9wavefront6targetE1EEEvT1_
		.amdhsa_group_segment_fixed_size 0
		.amdhsa_private_segment_fixed_size 0
		.amdhsa_kernarg_size 128
		.amdhsa_user_sgpr_count 6
		.amdhsa_user_sgpr_private_segment_buffer 1
		.amdhsa_user_sgpr_dispatch_ptr 0
		.amdhsa_user_sgpr_queue_ptr 0
		.amdhsa_user_sgpr_kernarg_segment_ptr 1
		.amdhsa_user_sgpr_dispatch_id 0
		.amdhsa_user_sgpr_flat_scratch_init 0
		.amdhsa_user_sgpr_kernarg_preload_length 0
		.amdhsa_user_sgpr_kernarg_preload_offset 0
		.amdhsa_user_sgpr_private_segment_size 0
		.amdhsa_uses_dynamic_stack 0
		.amdhsa_system_sgpr_private_segment_wavefront_offset 0
		.amdhsa_system_sgpr_workgroup_id_x 1
		.amdhsa_system_sgpr_workgroup_id_y 0
		.amdhsa_system_sgpr_workgroup_id_z 0
		.amdhsa_system_sgpr_workgroup_info 0
		.amdhsa_system_vgpr_workitem_id 0
		.amdhsa_next_free_vgpr 1
		.amdhsa_next_free_sgpr 0
		.amdhsa_accum_offset 4
		.amdhsa_reserve_vcc 0
		.amdhsa_reserve_flat_scratch 0
		.amdhsa_float_round_mode_32 0
		.amdhsa_float_round_mode_16_64 0
		.amdhsa_float_denorm_mode_32 3
		.amdhsa_float_denorm_mode_16_64 3
		.amdhsa_dx10_clamp 1
		.amdhsa_ieee_mode 1
		.amdhsa_fp16_overflow 0
		.amdhsa_tg_split 0
		.amdhsa_exception_fp_ieee_invalid_op 0
		.amdhsa_exception_fp_denorm_src 0
		.amdhsa_exception_fp_ieee_div_zero 0
		.amdhsa_exception_fp_ieee_overflow 0
		.amdhsa_exception_fp_ieee_underflow 0
		.amdhsa_exception_fp_ieee_inexact 0
		.amdhsa_exception_int_div_zero 0
	.end_amdhsa_kernel
	.section	.text._ZN7rocprim17ROCPRIM_400000_NS6detail17trampoline_kernelINS0_14default_configENS1_25partition_config_selectorILNS1_17partition_subalgoE2EsNS0_10empty_typeEbEEZZNS1_14partition_implILS5_2ELb0ES3_jN6thrust23THRUST_200600_302600_NS6detail15normal_iteratorINSA_7pointerIsNSA_11hip_rocprim3tagENSA_11use_defaultESG_EEEEPS6_NSA_18transform_iteratorINSA_8identityIsEENSC_INSA_10device_ptrIsEEEESG_SG_EENS0_5tupleIJPsSJ_EEENSR_IJSJ_SJ_EEES6_PlJS6_EEE10hipError_tPvRmT3_T4_T5_T6_T7_T9_mT8_P12ihipStream_tbDpT10_ENKUlT_T0_E_clISt17integral_constantIbLb0EES1F_EEDaS1A_S1B_EUlS1A_E_NS1_11comp_targetILNS1_3genE9ELNS1_11target_archE1100ELNS1_3gpuE3ELNS1_3repE0EEENS1_30default_config_static_selectorELNS0_4arch9wavefront6targetE1EEEvT1_,"axG",@progbits,_ZN7rocprim17ROCPRIM_400000_NS6detail17trampoline_kernelINS0_14default_configENS1_25partition_config_selectorILNS1_17partition_subalgoE2EsNS0_10empty_typeEbEEZZNS1_14partition_implILS5_2ELb0ES3_jN6thrust23THRUST_200600_302600_NS6detail15normal_iteratorINSA_7pointerIsNSA_11hip_rocprim3tagENSA_11use_defaultESG_EEEEPS6_NSA_18transform_iteratorINSA_8identityIsEENSC_INSA_10device_ptrIsEEEESG_SG_EENS0_5tupleIJPsSJ_EEENSR_IJSJ_SJ_EEES6_PlJS6_EEE10hipError_tPvRmT3_T4_T5_T6_T7_T9_mT8_P12ihipStream_tbDpT10_ENKUlT_T0_E_clISt17integral_constantIbLb0EES1F_EEDaS1A_S1B_EUlS1A_E_NS1_11comp_targetILNS1_3genE9ELNS1_11target_archE1100ELNS1_3gpuE3ELNS1_3repE0EEENS1_30default_config_static_selectorELNS0_4arch9wavefront6targetE1EEEvT1_,comdat
.Lfunc_end551:
	.size	_ZN7rocprim17ROCPRIM_400000_NS6detail17trampoline_kernelINS0_14default_configENS1_25partition_config_selectorILNS1_17partition_subalgoE2EsNS0_10empty_typeEbEEZZNS1_14partition_implILS5_2ELb0ES3_jN6thrust23THRUST_200600_302600_NS6detail15normal_iteratorINSA_7pointerIsNSA_11hip_rocprim3tagENSA_11use_defaultESG_EEEEPS6_NSA_18transform_iteratorINSA_8identityIsEENSC_INSA_10device_ptrIsEEEESG_SG_EENS0_5tupleIJPsSJ_EEENSR_IJSJ_SJ_EEES6_PlJS6_EEE10hipError_tPvRmT3_T4_T5_T6_T7_T9_mT8_P12ihipStream_tbDpT10_ENKUlT_T0_E_clISt17integral_constantIbLb0EES1F_EEDaS1A_S1B_EUlS1A_E_NS1_11comp_targetILNS1_3genE9ELNS1_11target_archE1100ELNS1_3gpuE3ELNS1_3repE0EEENS1_30default_config_static_selectorELNS0_4arch9wavefront6targetE1EEEvT1_, .Lfunc_end551-_ZN7rocprim17ROCPRIM_400000_NS6detail17trampoline_kernelINS0_14default_configENS1_25partition_config_selectorILNS1_17partition_subalgoE2EsNS0_10empty_typeEbEEZZNS1_14partition_implILS5_2ELb0ES3_jN6thrust23THRUST_200600_302600_NS6detail15normal_iteratorINSA_7pointerIsNSA_11hip_rocprim3tagENSA_11use_defaultESG_EEEEPS6_NSA_18transform_iteratorINSA_8identityIsEENSC_INSA_10device_ptrIsEEEESG_SG_EENS0_5tupleIJPsSJ_EEENSR_IJSJ_SJ_EEES6_PlJS6_EEE10hipError_tPvRmT3_T4_T5_T6_T7_T9_mT8_P12ihipStream_tbDpT10_ENKUlT_T0_E_clISt17integral_constantIbLb0EES1F_EEDaS1A_S1B_EUlS1A_E_NS1_11comp_targetILNS1_3genE9ELNS1_11target_archE1100ELNS1_3gpuE3ELNS1_3repE0EEENS1_30default_config_static_selectorELNS0_4arch9wavefront6targetE1EEEvT1_
                                        ; -- End function
	.section	.AMDGPU.csdata,"",@progbits
; Kernel info:
; codeLenInByte = 0
; NumSgprs: 4
; NumVgprs: 0
; NumAgprs: 0
; TotalNumVgprs: 0
; ScratchSize: 0
; MemoryBound: 0
; FloatMode: 240
; IeeeMode: 1
; LDSByteSize: 0 bytes/workgroup (compile time only)
; SGPRBlocks: 0
; VGPRBlocks: 0
; NumSGPRsForWavesPerEU: 4
; NumVGPRsForWavesPerEU: 1
; AccumOffset: 4
; Occupancy: 8
; WaveLimiterHint : 0
; COMPUTE_PGM_RSRC2:SCRATCH_EN: 0
; COMPUTE_PGM_RSRC2:USER_SGPR: 6
; COMPUTE_PGM_RSRC2:TRAP_HANDLER: 0
; COMPUTE_PGM_RSRC2:TGID_X_EN: 1
; COMPUTE_PGM_RSRC2:TGID_Y_EN: 0
; COMPUTE_PGM_RSRC2:TGID_Z_EN: 0
; COMPUTE_PGM_RSRC2:TIDIG_COMP_CNT: 0
; COMPUTE_PGM_RSRC3_GFX90A:ACCUM_OFFSET: 0
; COMPUTE_PGM_RSRC3_GFX90A:TG_SPLIT: 0
	.section	.text._ZN7rocprim17ROCPRIM_400000_NS6detail17trampoline_kernelINS0_14default_configENS1_25partition_config_selectorILNS1_17partition_subalgoE2EsNS0_10empty_typeEbEEZZNS1_14partition_implILS5_2ELb0ES3_jN6thrust23THRUST_200600_302600_NS6detail15normal_iteratorINSA_7pointerIsNSA_11hip_rocprim3tagENSA_11use_defaultESG_EEEEPS6_NSA_18transform_iteratorINSA_8identityIsEENSC_INSA_10device_ptrIsEEEESG_SG_EENS0_5tupleIJPsSJ_EEENSR_IJSJ_SJ_EEES6_PlJS6_EEE10hipError_tPvRmT3_T4_T5_T6_T7_T9_mT8_P12ihipStream_tbDpT10_ENKUlT_T0_E_clISt17integral_constantIbLb0EES1F_EEDaS1A_S1B_EUlS1A_E_NS1_11comp_targetILNS1_3genE8ELNS1_11target_archE1030ELNS1_3gpuE2ELNS1_3repE0EEENS1_30default_config_static_selectorELNS0_4arch9wavefront6targetE1EEEvT1_,"axG",@progbits,_ZN7rocprim17ROCPRIM_400000_NS6detail17trampoline_kernelINS0_14default_configENS1_25partition_config_selectorILNS1_17partition_subalgoE2EsNS0_10empty_typeEbEEZZNS1_14partition_implILS5_2ELb0ES3_jN6thrust23THRUST_200600_302600_NS6detail15normal_iteratorINSA_7pointerIsNSA_11hip_rocprim3tagENSA_11use_defaultESG_EEEEPS6_NSA_18transform_iteratorINSA_8identityIsEENSC_INSA_10device_ptrIsEEEESG_SG_EENS0_5tupleIJPsSJ_EEENSR_IJSJ_SJ_EEES6_PlJS6_EEE10hipError_tPvRmT3_T4_T5_T6_T7_T9_mT8_P12ihipStream_tbDpT10_ENKUlT_T0_E_clISt17integral_constantIbLb0EES1F_EEDaS1A_S1B_EUlS1A_E_NS1_11comp_targetILNS1_3genE8ELNS1_11target_archE1030ELNS1_3gpuE2ELNS1_3repE0EEENS1_30default_config_static_selectorELNS0_4arch9wavefront6targetE1EEEvT1_,comdat
	.protected	_ZN7rocprim17ROCPRIM_400000_NS6detail17trampoline_kernelINS0_14default_configENS1_25partition_config_selectorILNS1_17partition_subalgoE2EsNS0_10empty_typeEbEEZZNS1_14partition_implILS5_2ELb0ES3_jN6thrust23THRUST_200600_302600_NS6detail15normal_iteratorINSA_7pointerIsNSA_11hip_rocprim3tagENSA_11use_defaultESG_EEEEPS6_NSA_18transform_iteratorINSA_8identityIsEENSC_INSA_10device_ptrIsEEEESG_SG_EENS0_5tupleIJPsSJ_EEENSR_IJSJ_SJ_EEES6_PlJS6_EEE10hipError_tPvRmT3_T4_T5_T6_T7_T9_mT8_P12ihipStream_tbDpT10_ENKUlT_T0_E_clISt17integral_constantIbLb0EES1F_EEDaS1A_S1B_EUlS1A_E_NS1_11comp_targetILNS1_3genE8ELNS1_11target_archE1030ELNS1_3gpuE2ELNS1_3repE0EEENS1_30default_config_static_selectorELNS0_4arch9wavefront6targetE1EEEvT1_ ; -- Begin function _ZN7rocprim17ROCPRIM_400000_NS6detail17trampoline_kernelINS0_14default_configENS1_25partition_config_selectorILNS1_17partition_subalgoE2EsNS0_10empty_typeEbEEZZNS1_14partition_implILS5_2ELb0ES3_jN6thrust23THRUST_200600_302600_NS6detail15normal_iteratorINSA_7pointerIsNSA_11hip_rocprim3tagENSA_11use_defaultESG_EEEEPS6_NSA_18transform_iteratorINSA_8identityIsEENSC_INSA_10device_ptrIsEEEESG_SG_EENS0_5tupleIJPsSJ_EEENSR_IJSJ_SJ_EEES6_PlJS6_EEE10hipError_tPvRmT3_T4_T5_T6_T7_T9_mT8_P12ihipStream_tbDpT10_ENKUlT_T0_E_clISt17integral_constantIbLb0EES1F_EEDaS1A_S1B_EUlS1A_E_NS1_11comp_targetILNS1_3genE8ELNS1_11target_archE1030ELNS1_3gpuE2ELNS1_3repE0EEENS1_30default_config_static_selectorELNS0_4arch9wavefront6targetE1EEEvT1_
	.globl	_ZN7rocprim17ROCPRIM_400000_NS6detail17trampoline_kernelINS0_14default_configENS1_25partition_config_selectorILNS1_17partition_subalgoE2EsNS0_10empty_typeEbEEZZNS1_14partition_implILS5_2ELb0ES3_jN6thrust23THRUST_200600_302600_NS6detail15normal_iteratorINSA_7pointerIsNSA_11hip_rocprim3tagENSA_11use_defaultESG_EEEEPS6_NSA_18transform_iteratorINSA_8identityIsEENSC_INSA_10device_ptrIsEEEESG_SG_EENS0_5tupleIJPsSJ_EEENSR_IJSJ_SJ_EEES6_PlJS6_EEE10hipError_tPvRmT3_T4_T5_T6_T7_T9_mT8_P12ihipStream_tbDpT10_ENKUlT_T0_E_clISt17integral_constantIbLb0EES1F_EEDaS1A_S1B_EUlS1A_E_NS1_11comp_targetILNS1_3genE8ELNS1_11target_archE1030ELNS1_3gpuE2ELNS1_3repE0EEENS1_30default_config_static_selectorELNS0_4arch9wavefront6targetE1EEEvT1_
	.p2align	8
	.type	_ZN7rocprim17ROCPRIM_400000_NS6detail17trampoline_kernelINS0_14default_configENS1_25partition_config_selectorILNS1_17partition_subalgoE2EsNS0_10empty_typeEbEEZZNS1_14partition_implILS5_2ELb0ES3_jN6thrust23THRUST_200600_302600_NS6detail15normal_iteratorINSA_7pointerIsNSA_11hip_rocprim3tagENSA_11use_defaultESG_EEEEPS6_NSA_18transform_iteratorINSA_8identityIsEENSC_INSA_10device_ptrIsEEEESG_SG_EENS0_5tupleIJPsSJ_EEENSR_IJSJ_SJ_EEES6_PlJS6_EEE10hipError_tPvRmT3_T4_T5_T6_T7_T9_mT8_P12ihipStream_tbDpT10_ENKUlT_T0_E_clISt17integral_constantIbLb0EES1F_EEDaS1A_S1B_EUlS1A_E_NS1_11comp_targetILNS1_3genE8ELNS1_11target_archE1030ELNS1_3gpuE2ELNS1_3repE0EEENS1_30default_config_static_selectorELNS0_4arch9wavefront6targetE1EEEvT1_,@function
_ZN7rocprim17ROCPRIM_400000_NS6detail17trampoline_kernelINS0_14default_configENS1_25partition_config_selectorILNS1_17partition_subalgoE2EsNS0_10empty_typeEbEEZZNS1_14partition_implILS5_2ELb0ES3_jN6thrust23THRUST_200600_302600_NS6detail15normal_iteratorINSA_7pointerIsNSA_11hip_rocprim3tagENSA_11use_defaultESG_EEEEPS6_NSA_18transform_iteratorINSA_8identityIsEENSC_INSA_10device_ptrIsEEEESG_SG_EENS0_5tupleIJPsSJ_EEENSR_IJSJ_SJ_EEES6_PlJS6_EEE10hipError_tPvRmT3_T4_T5_T6_T7_T9_mT8_P12ihipStream_tbDpT10_ENKUlT_T0_E_clISt17integral_constantIbLb0EES1F_EEDaS1A_S1B_EUlS1A_E_NS1_11comp_targetILNS1_3genE8ELNS1_11target_archE1030ELNS1_3gpuE2ELNS1_3repE0EEENS1_30default_config_static_selectorELNS0_4arch9wavefront6targetE1EEEvT1_: ; @_ZN7rocprim17ROCPRIM_400000_NS6detail17trampoline_kernelINS0_14default_configENS1_25partition_config_selectorILNS1_17partition_subalgoE2EsNS0_10empty_typeEbEEZZNS1_14partition_implILS5_2ELb0ES3_jN6thrust23THRUST_200600_302600_NS6detail15normal_iteratorINSA_7pointerIsNSA_11hip_rocprim3tagENSA_11use_defaultESG_EEEEPS6_NSA_18transform_iteratorINSA_8identityIsEENSC_INSA_10device_ptrIsEEEESG_SG_EENS0_5tupleIJPsSJ_EEENSR_IJSJ_SJ_EEES6_PlJS6_EEE10hipError_tPvRmT3_T4_T5_T6_T7_T9_mT8_P12ihipStream_tbDpT10_ENKUlT_T0_E_clISt17integral_constantIbLb0EES1F_EEDaS1A_S1B_EUlS1A_E_NS1_11comp_targetILNS1_3genE8ELNS1_11target_archE1030ELNS1_3gpuE2ELNS1_3repE0EEENS1_30default_config_static_selectorELNS0_4arch9wavefront6targetE1EEEvT1_
; %bb.0:
	.section	.rodata,"a",@progbits
	.p2align	6, 0x0
	.amdhsa_kernel _ZN7rocprim17ROCPRIM_400000_NS6detail17trampoline_kernelINS0_14default_configENS1_25partition_config_selectorILNS1_17partition_subalgoE2EsNS0_10empty_typeEbEEZZNS1_14partition_implILS5_2ELb0ES3_jN6thrust23THRUST_200600_302600_NS6detail15normal_iteratorINSA_7pointerIsNSA_11hip_rocprim3tagENSA_11use_defaultESG_EEEEPS6_NSA_18transform_iteratorINSA_8identityIsEENSC_INSA_10device_ptrIsEEEESG_SG_EENS0_5tupleIJPsSJ_EEENSR_IJSJ_SJ_EEES6_PlJS6_EEE10hipError_tPvRmT3_T4_T5_T6_T7_T9_mT8_P12ihipStream_tbDpT10_ENKUlT_T0_E_clISt17integral_constantIbLb0EES1F_EEDaS1A_S1B_EUlS1A_E_NS1_11comp_targetILNS1_3genE8ELNS1_11target_archE1030ELNS1_3gpuE2ELNS1_3repE0EEENS1_30default_config_static_selectorELNS0_4arch9wavefront6targetE1EEEvT1_
		.amdhsa_group_segment_fixed_size 0
		.amdhsa_private_segment_fixed_size 0
		.amdhsa_kernarg_size 128
		.amdhsa_user_sgpr_count 6
		.amdhsa_user_sgpr_private_segment_buffer 1
		.amdhsa_user_sgpr_dispatch_ptr 0
		.amdhsa_user_sgpr_queue_ptr 0
		.amdhsa_user_sgpr_kernarg_segment_ptr 1
		.amdhsa_user_sgpr_dispatch_id 0
		.amdhsa_user_sgpr_flat_scratch_init 0
		.amdhsa_user_sgpr_kernarg_preload_length 0
		.amdhsa_user_sgpr_kernarg_preload_offset 0
		.amdhsa_user_sgpr_private_segment_size 0
		.amdhsa_uses_dynamic_stack 0
		.amdhsa_system_sgpr_private_segment_wavefront_offset 0
		.amdhsa_system_sgpr_workgroup_id_x 1
		.amdhsa_system_sgpr_workgroup_id_y 0
		.amdhsa_system_sgpr_workgroup_id_z 0
		.amdhsa_system_sgpr_workgroup_info 0
		.amdhsa_system_vgpr_workitem_id 0
		.amdhsa_next_free_vgpr 1
		.amdhsa_next_free_sgpr 0
		.amdhsa_accum_offset 4
		.amdhsa_reserve_vcc 0
		.amdhsa_reserve_flat_scratch 0
		.amdhsa_float_round_mode_32 0
		.amdhsa_float_round_mode_16_64 0
		.amdhsa_float_denorm_mode_32 3
		.amdhsa_float_denorm_mode_16_64 3
		.amdhsa_dx10_clamp 1
		.amdhsa_ieee_mode 1
		.amdhsa_fp16_overflow 0
		.amdhsa_tg_split 0
		.amdhsa_exception_fp_ieee_invalid_op 0
		.amdhsa_exception_fp_denorm_src 0
		.amdhsa_exception_fp_ieee_div_zero 0
		.amdhsa_exception_fp_ieee_overflow 0
		.amdhsa_exception_fp_ieee_underflow 0
		.amdhsa_exception_fp_ieee_inexact 0
		.amdhsa_exception_int_div_zero 0
	.end_amdhsa_kernel
	.section	.text._ZN7rocprim17ROCPRIM_400000_NS6detail17trampoline_kernelINS0_14default_configENS1_25partition_config_selectorILNS1_17partition_subalgoE2EsNS0_10empty_typeEbEEZZNS1_14partition_implILS5_2ELb0ES3_jN6thrust23THRUST_200600_302600_NS6detail15normal_iteratorINSA_7pointerIsNSA_11hip_rocprim3tagENSA_11use_defaultESG_EEEEPS6_NSA_18transform_iteratorINSA_8identityIsEENSC_INSA_10device_ptrIsEEEESG_SG_EENS0_5tupleIJPsSJ_EEENSR_IJSJ_SJ_EEES6_PlJS6_EEE10hipError_tPvRmT3_T4_T5_T6_T7_T9_mT8_P12ihipStream_tbDpT10_ENKUlT_T0_E_clISt17integral_constantIbLb0EES1F_EEDaS1A_S1B_EUlS1A_E_NS1_11comp_targetILNS1_3genE8ELNS1_11target_archE1030ELNS1_3gpuE2ELNS1_3repE0EEENS1_30default_config_static_selectorELNS0_4arch9wavefront6targetE1EEEvT1_,"axG",@progbits,_ZN7rocprim17ROCPRIM_400000_NS6detail17trampoline_kernelINS0_14default_configENS1_25partition_config_selectorILNS1_17partition_subalgoE2EsNS0_10empty_typeEbEEZZNS1_14partition_implILS5_2ELb0ES3_jN6thrust23THRUST_200600_302600_NS6detail15normal_iteratorINSA_7pointerIsNSA_11hip_rocprim3tagENSA_11use_defaultESG_EEEEPS6_NSA_18transform_iteratorINSA_8identityIsEENSC_INSA_10device_ptrIsEEEESG_SG_EENS0_5tupleIJPsSJ_EEENSR_IJSJ_SJ_EEES6_PlJS6_EEE10hipError_tPvRmT3_T4_T5_T6_T7_T9_mT8_P12ihipStream_tbDpT10_ENKUlT_T0_E_clISt17integral_constantIbLb0EES1F_EEDaS1A_S1B_EUlS1A_E_NS1_11comp_targetILNS1_3genE8ELNS1_11target_archE1030ELNS1_3gpuE2ELNS1_3repE0EEENS1_30default_config_static_selectorELNS0_4arch9wavefront6targetE1EEEvT1_,comdat
.Lfunc_end552:
	.size	_ZN7rocprim17ROCPRIM_400000_NS6detail17trampoline_kernelINS0_14default_configENS1_25partition_config_selectorILNS1_17partition_subalgoE2EsNS0_10empty_typeEbEEZZNS1_14partition_implILS5_2ELb0ES3_jN6thrust23THRUST_200600_302600_NS6detail15normal_iteratorINSA_7pointerIsNSA_11hip_rocprim3tagENSA_11use_defaultESG_EEEEPS6_NSA_18transform_iteratorINSA_8identityIsEENSC_INSA_10device_ptrIsEEEESG_SG_EENS0_5tupleIJPsSJ_EEENSR_IJSJ_SJ_EEES6_PlJS6_EEE10hipError_tPvRmT3_T4_T5_T6_T7_T9_mT8_P12ihipStream_tbDpT10_ENKUlT_T0_E_clISt17integral_constantIbLb0EES1F_EEDaS1A_S1B_EUlS1A_E_NS1_11comp_targetILNS1_3genE8ELNS1_11target_archE1030ELNS1_3gpuE2ELNS1_3repE0EEENS1_30default_config_static_selectorELNS0_4arch9wavefront6targetE1EEEvT1_, .Lfunc_end552-_ZN7rocprim17ROCPRIM_400000_NS6detail17trampoline_kernelINS0_14default_configENS1_25partition_config_selectorILNS1_17partition_subalgoE2EsNS0_10empty_typeEbEEZZNS1_14partition_implILS5_2ELb0ES3_jN6thrust23THRUST_200600_302600_NS6detail15normal_iteratorINSA_7pointerIsNSA_11hip_rocprim3tagENSA_11use_defaultESG_EEEEPS6_NSA_18transform_iteratorINSA_8identityIsEENSC_INSA_10device_ptrIsEEEESG_SG_EENS0_5tupleIJPsSJ_EEENSR_IJSJ_SJ_EEES6_PlJS6_EEE10hipError_tPvRmT3_T4_T5_T6_T7_T9_mT8_P12ihipStream_tbDpT10_ENKUlT_T0_E_clISt17integral_constantIbLb0EES1F_EEDaS1A_S1B_EUlS1A_E_NS1_11comp_targetILNS1_3genE8ELNS1_11target_archE1030ELNS1_3gpuE2ELNS1_3repE0EEENS1_30default_config_static_selectorELNS0_4arch9wavefront6targetE1EEEvT1_
                                        ; -- End function
	.section	.AMDGPU.csdata,"",@progbits
; Kernel info:
; codeLenInByte = 0
; NumSgprs: 4
; NumVgprs: 0
; NumAgprs: 0
; TotalNumVgprs: 0
; ScratchSize: 0
; MemoryBound: 0
; FloatMode: 240
; IeeeMode: 1
; LDSByteSize: 0 bytes/workgroup (compile time only)
; SGPRBlocks: 0
; VGPRBlocks: 0
; NumSGPRsForWavesPerEU: 4
; NumVGPRsForWavesPerEU: 1
; AccumOffset: 4
; Occupancy: 8
; WaveLimiterHint : 0
; COMPUTE_PGM_RSRC2:SCRATCH_EN: 0
; COMPUTE_PGM_RSRC2:USER_SGPR: 6
; COMPUTE_PGM_RSRC2:TRAP_HANDLER: 0
; COMPUTE_PGM_RSRC2:TGID_X_EN: 1
; COMPUTE_PGM_RSRC2:TGID_Y_EN: 0
; COMPUTE_PGM_RSRC2:TGID_Z_EN: 0
; COMPUTE_PGM_RSRC2:TIDIG_COMP_CNT: 0
; COMPUTE_PGM_RSRC3_GFX90A:ACCUM_OFFSET: 0
; COMPUTE_PGM_RSRC3_GFX90A:TG_SPLIT: 0
	.section	.text._ZN7rocprim17ROCPRIM_400000_NS6detail17trampoline_kernelINS0_14default_configENS1_25partition_config_selectorILNS1_17partition_subalgoE2EsNS0_10empty_typeEbEEZZNS1_14partition_implILS5_2ELb0ES3_jN6thrust23THRUST_200600_302600_NS6detail15normal_iteratorINSA_7pointerIsNSA_11hip_rocprim3tagENSA_11use_defaultESG_EEEEPS6_NSA_18transform_iteratorINSA_8identityIsEENSC_INSA_10device_ptrIsEEEESG_SG_EENS0_5tupleIJPsSJ_EEENSR_IJSJ_SJ_EEES6_PlJS6_EEE10hipError_tPvRmT3_T4_T5_T6_T7_T9_mT8_P12ihipStream_tbDpT10_ENKUlT_T0_E_clISt17integral_constantIbLb1EES1F_EEDaS1A_S1B_EUlS1A_E_NS1_11comp_targetILNS1_3genE0ELNS1_11target_archE4294967295ELNS1_3gpuE0ELNS1_3repE0EEENS1_30default_config_static_selectorELNS0_4arch9wavefront6targetE1EEEvT1_,"axG",@progbits,_ZN7rocprim17ROCPRIM_400000_NS6detail17trampoline_kernelINS0_14default_configENS1_25partition_config_selectorILNS1_17partition_subalgoE2EsNS0_10empty_typeEbEEZZNS1_14partition_implILS5_2ELb0ES3_jN6thrust23THRUST_200600_302600_NS6detail15normal_iteratorINSA_7pointerIsNSA_11hip_rocprim3tagENSA_11use_defaultESG_EEEEPS6_NSA_18transform_iteratorINSA_8identityIsEENSC_INSA_10device_ptrIsEEEESG_SG_EENS0_5tupleIJPsSJ_EEENSR_IJSJ_SJ_EEES6_PlJS6_EEE10hipError_tPvRmT3_T4_T5_T6_T7_T9_mT8_P12ihipStream_tbDpT10_ENKUlT_T0_E_clISt17integral_constantIbLb1EES1F_EEDaS1A_S1B_EUlS1A_E_NS1_11comp_targetILNS1_3genE0ELNS1_11target_archE4294967295ELNS1_3gpuE0ELNS1_3repE0EEENS1_30default_config_static_selectorELNS0_4arch9wavefront6targetE1EEEvT1_,comdat
	.protected	_ZN7rocprim17ROCPRIM_400000_NS6detail17trampoline_kernelINS0_14default_configENS1_25partition_config_selectorILNS1_17partition_subalgoE2EsNS0_10empty_typeEbEEZZNS1_14partition_implILS5_2ELb0ES3_jN6thrust23THRUST_200600_302600_NS6detail15normal_iteratorINSA_7pointerIsNSA_11hip_rocprim3tagENSA_11use_defaultESG_EEEEPS6_NSA_18transform_iteratorINSA_8identityIsEENSC_INSA_10device_ptrIsEEEESG_SG_EENS0_5tupleIJPsSJ_EEENSR_IJSJ_SJ_EEES6_PlJS6_EEE10hipError_tPvRmT3_T4_T5_T6_T7_T9_mT8_P12ihipStream_tbDpT10_ENKUlT_T0_E_clISt17integral_constantIbLb1EES1F_EEDaS1A_S1B_EUlS1A_E_NS1_11comp_targetILNS1_3genE0ELNS1_11target_archE4294967295ELNS1_3gpuE0ELNS1_3repE0EEENS1_30default_config_static_selectorELNS0_4arch9wavefront6targetE1EEEvT1_ ; -- Begin function _ZN7rocprim17ROCPRIM_400000_NS6detail17trampoline_kernelINS0_14default_configENS1_25partition_config_selectorILNS1_17partition_subalgoE2EsNS0_10empty_typeEbEEZZNS1_14partition_implILS5_2ELb0ES3_jN6thrust23THRUST_200600_302600_NS6detail15normal_iteratorINSA_7pointerIsNSA_11hip_rocprim3tagENSA_11use_defaultESG_EEEEPS6_NSA_18transform_iteratorINSA_8identityIsEENSC_INSA_10device_ptrIsEEEESG_SG_EENS0_5tupleIJPsSJ_EEENSR_IJSJ_SJ_EEES6_PlJS6_EEE10hipError_tPvRmT3_T4_T5_T6_T7_T9_mT8_P12ihipStream_tbDpT10_ENKUlT_T0_E_clISt17integral_constantIbLb1EES1F_EEDaS1A_S1B_EUlS1A_E_NS1_11comp_targetILNS1_3genE0ELNS1_11target_archE4294967295ELNS1_3gpuE0ELNS1_3repE0EEENS1_30default_config_static_selectorELNS0_4arch9wavefront6targetE1EEEvT1_
	.globl	_ZN7rocprim17ROCPRIM_400000_NS6detail17trampoline_kernelINS0_14default_configENS1_25partition_config_selectorILNS1_17partition_subalgoE2EsNS0_10empty_typeEbEEZZNS1_14partition_implILS5_2ELb0ES3_jN6thrust23THRUST_200600_302600_NS6detail15normal_iteratorINSA_7pointerIsNSA_11hip_rocprim3tagENSA_11use_defaultESG_EEEEPS6_NSA_18transform_iteratorINSA_8identityIsEENSC_INSA_10device_ptrIsEEEESG_SG_EENS0_5tupleIJPsSJ_EEENSR_IJSJ_SJ_EEES6_PlJS6_EEE10hipError_tPvRmT3_T4_T5_T6_T7_T9_mT8_P12ihipStream_tbDpT10_ENKUlT_T0_E_clISt17integral_constantIbLb1EES1F_EEDaS1A_S1B_EUlS1A_E_NS1_11comp_targetILNS1_3genE0ELNS1_11target_archE4294967295ELNS1_3gpuE0ELNS1_3repE0EEENS1_30default_config_static_selectorELNS0_4arch9wavefront6targetE1EEEvT1_
	.p2align	8
	.type	_ZN7rocprim17ROCPRIM_400000_NS6detail17trampoline_kernelINS0_14default_configENS1_25partition_config_selectorILNS1_17partition_subalgoE2EsNS0_10empty_typeEbEEZZNS1_14partition_implILS5_2ELb0ES3_jN6thrust23THRUST_200600_302600_NS6detail15normal_iteratorINSA_7pointerIsNSA_11hip_rocprim3tagENSA_11use_defaultESG_EEEEPS6_NSA_18transform_iteratorINSA_8identityIsEENSC_INSA_10device_ptrIsEEEESG_SG_EENS0_5tupleIJPsSJ_EEENSR_IJSJ_SJ_EEES6_PlJS6_EEE10hipError_tPvRmT3_T4_T5_T6_T7_T9_mT8_P12ihipStream_tbDpT10_ENKUlT_T0_E_clISt17integral_constantIbLb1EES1F_EEDaS1A_S1B_EUlS1A_E_NS1_11comp_targetILNS1_3genE0ELNS1_11target_archE4294967295ELNS1_3gpuE0ELNS1_3repE0EEENS1_30default_config_static_selectorELNS0_4arch9wavefront6targetE1EEEvT1_,@function
_ZN7rocprim17ROCPRIM_400000_NS6detail17trampoline_kernelINS0_14default_configENS1_25partition_config_selectorILNS1_17partition_subalgoE2EsNS0_10empty_typeEbEEZZNS1_14partition_implILS5_2ELb0ES3_jN6thrust23THRUST_200600_302600_NS6detail15normal_iteratorINSA_7pointerIsNSA_11hip_rocprim3tagENSA_11use_defaultESG_EEEEPS6_NSA_18transform_iteratorINSA_8identityIsEENSC_INSA_10device_ptrIsEEEESG_SG_EENS0_5tupleIJPsSJ_EEENSR_IJSJ_SJ_EEES6_PlJS6_EEE10hipError_tPvRmT3_T4_T5_T6_T7_T9_mT8_P12ihipStream_tbDpT10_ENKUlT_T0_E_clISt17integral_constantIbLb1EES1F_EEDaS1A_S1B_EUlS1A_E_NS1_11comp_targetILNS1_3genE0ELNS1_11target_archE4294967295ELNS1_3gpuE0ELNS1_3repE0EEENS1_30default_config_static_selectorELNS0_4arch9wavefront6targetE1EEEvT1_: ; @_ZN7rocprim17ROCPRIM_400000_NS6detail17trampoline_kernelINS0_14default_configENS1_25partition_config_selectorILNS1_17partition_subalgoE2EsNS0_10empty_typeEbEEZZNS1_14partition_implILS5_2ELb0ES3_jN6thrust23THRUST_200600_302600_NS6detail15normal_iteratorINSA_7pointerIsNSA_11hip_rocprim3tagENSA_11use_defaultESG_EEEEPS6_NSA_18transform_iteratorINSA_8identityIsEENSC_INSA_10device_ptrIsEEEESG_SG_EENS0_5tupleIJPsSJ_EEENSR_IJSJ_SJ_EEES6_PlJS6_EEE10hipError_tPvRmT3_T4_T5_T6_T7_T9_mT8_P12ihipStream_tbDpT10_ENKUlT_T0_E_clISt17integral_constantIbLb1EES1F_EEDaS1A_S1B_EUlS1A_E_NS1_11comp_targetILNS1_3genE0ELNS1_11target_archE4294967295ELNS1_3gpuE0ELNS1_3repE0EEENS1_30default_config_static_selectorELNS0_4arch9wavefront6targetE1EEEvT1_
; %bb.0:
	.section	.rodata,"a",@progbits
	.p2align	6, 0x0
	.amdhsa_kernel _ZN7rocprim17ROCPRIM_400000_NS6detail17trampoline_kernelINS0_14default_configENS1_25partition_config_selectorILNS1_17partition_subalgoE2EsNS0_10empty_typeEbEEZZNS1_14partition_implILS5_2ELb0ES3_jN6thrust23THRUST_200600_302600_NS6detail15normal_iteratorINSA_7pointerIsNSA_11hip_rocprim3tagENSA_11use_defaultESG_EEEEPS6_NSA_18transform_iteratorINSA_8identityIsEENSC_INSA_10device_ptrIsEEEESG_SG_EENS0_5tupleIJPsSJ_EEENSR_IJSJ_SJ_EEES6_PlJS6_EEE10hipError_tPvRmT3_T4_T5_T6_T7_T9_mT8_P12ihipStream_tbDpT10_ENKUlT_T0_E_clISt17integral_constantIbLb1EES1F_EEDaS1A_S1B_EUlS1A_E_NS1_11comp_targetILNS1_3genE0ELNS1_11target_archE4294967295ELNS1_3gpuE0ELNS1_3repE0EEENS1_30default_config_static_selectorELNS0_4arch9wavefront6targetE1EEEvT1_
		.amdhsa_group_segment_fixed_size 0
		.amdhsa_private_segment_fixed_size 0
		.amdhsa_kernarg_size 144
		.amdhsa_user_sgpr_count 6
		.amdhsa_user_sgpr_private_segment_buffer 1
		.amdhsa_user_sgpr_dispatch_ptr 0
		.amdhsa_user_sgpr_queue_ptr 0
		.amdhsa_user_sgpr_kernarg_segment_ptr 1
		.amdhsa_user_sgpr_dispatch_id 0
		.amdhsa_user_sgpr_flat_scratch_init 0
		.amdhsa_user_sgpr_kernarg_preload_length 0
		.amdhsa_user_sgpr_kernarg_preload_offset 0
		.amdhsa_user_sgpr_private_segment_size 0
		.amdhsa_uses_dynamic_stack 0
		.amdhsa_system_sgpr_private_segment_wavefront_offset 0
		.amdhsa_system_sgpr_workgroup_id_x 1
		.amdhsa_system_sgpr_workgroup_id_y 0
		.amdhsa_system_sgpr_workgroup_id_z 0
		.amdhsa_system_sgpr_workgroup_info 0
		.amdhsa_system_vgpr_workitem_id 0
		.amdhsa_next_free_vgpr 1
		.amdhsa_next_free_sgpr 0
		.amdhsa_accum_offset 4
		.amdhsa_reserve_vcc 0
		.amdhsa_reserve_flat_scratch 0
		.amdhsa_float_round_mode_32 0
		.amdhsa_float_round_mode_16_64 0
		.amdhsa_float_denorm_mode_32 3
		.amdhsa_float_denorm_mode_16_64 3
		.amdhsa_dx10_clamp 1
		.amdhsa_ieee_mode 1
		.amdhsa_fp16_overflow 0
		.amdhsa_tg_split 0
		.amdhsa_exception_fp_ieee_invalid_op 0
		.amdhsa_exception_fp_denorm_src 0
		.amdhsa_exception_fp_ieee_div_zero 0
		.amdhsa_exception_fp_ieee_overflow 0
		.amdhsa_exception_fp_ieee_underflow 0
		.amdhsa_exception_fp_ieee_inexact 0
		.amdhsa_exception_int_div_zero 0
	.end_amdhsa_kernel
	.section	.text._ZN7rocprim17ROCPRIM_400000_NS6detail17trampoline_kernelINS0_14default_configENS1_25partition_config_selectorILNS1_17partition_subalgoE2EsNS0_10empty_typeEbEEZZNS1_14partition_implILS5_2ELb0ES3_jN6thrust23THRUST_200600_302600_NS6detail15normal_iteratorINSA_7pointerIsNSA_11hip_rocprim3tagENSA_11use_defaultESG_EEEEPS6_NSA_18transform_iteratorINSA_8identityIsEENSC_INSA_10device_ptrIsEEEESG_SG_EENS0_5tupleIJPsSJ_EEENSR_IJSJ_SJ_EEES6_PlJS6_EEE10hipError_tPvRmT3_T4_T5_T6_T7_T9_mT8_P12ihipStream_tbDpT10_ENKUlT_T0_E_clISt17integral_constantIbLb1EES1F_EEDaS1A_S1B_EUlS1A_E_NS1_11comp_targetILNS1_3genE0ELNS1_11target_archE4294967295ELNS1_3gpuE0ELNS1_3repE0EEENS1_30default_config_static_selectorELNS0_4arch9wavefront6targetE1EEEvT1_,"axG",@progbits,_ZN7rocprim17ROCPRIM_400000_NS6detail17trampoline_kernelINS0_14default_configENS1_25partition_config_selectorILNS1_17partition_subalgoE2EsNS0_10empty_typeEbEEZZNS1_14partition_implILS5_2ELb0ES3_jN6thrust23THRUST_200600_302600_NS6detail15normal_iteratorINSA_7pointerIsNSA_11hip_rocprim3tagENSA_11use_defaultESG_EEEEPS6_NSA_18transform_iteratorINSA_8identityIsEENSC_INSA_10device_ptrIsEEEESG_SG_EENS0_5tupleIJPsSJ_EEENSR_IJSJ_SJ_EEES6_PlJS6_EEE10hipError_tPvRmT3_T4_T5_T6_T7_T9_mT8_P12ihipStream_tbDpT10_ENKUlT_T0_E_clISt17integral_constantIbLb1EES1F_EEDaS1A_S1B_EUlS1A_E_NS1_11comp_targetILNS1_3genE0ELNS1_11target_archE4294967295ELNS1_3gpuE0ELNS1_3repE0EEENS1_30default_config_static_selectorELNS0_4arch9wavefront6targetE1EEEvT1_,comdat
.Lfunc_end553:
	.size	_ZN7rocprim17ROCPRIM_400000_NS6detail17trampoline_kernelINS0_14default_configENS1_25partition_config_selectorILNS1_17partition_subalgoE2EsNS0_10empty_typeEbEEZZNS1_14partition_implILS5_2ELb0ES3_jN6thrust23THRUST_200600_302600_NS6detail15normal_iteratorINSA_7pointerIsNSA_11hip_rocprim3tagENSA_11use_defaultESG_EEEEPS6_NSA_18transform_iteratorINSA_8identityIsEENSC_INSA_10device_ptrIsEEEESG_SG_EENS0_5tupleIJPsSJ_EEENSR_IJSJ_SJ_EEES6_PlJS6_EEE10hipError_tPvRmT3_T4_T5_T6_T7_T9_mT8_P12ihipStream_tbDpT10_ENKUlT_T0_E_clISt17integral_constantIbLb1EES1F_EEDaS1A_S1B_EUlS1A_E_NS1_11comp_targetILNS1_3genE0ELNS1_11target_archE4294967295ELNS1_3gpuE0ELNS1_3repE0EEENS1_30default_config_static_selectorELNS0_4arch9wavefront6targetE1EEEvT1_, .Lfunc_end553-_ZN7rocprim17ROCPRIM_400000_NS6detail17trampoline_kernelINS0_14default_configENS1_25partition_config_selectorILNS1_17partition_subalgoE2EsNS0_10empty_typeEbEEZZNS1_14partition_implILS5_2ELb0ES3_jN6thrust23THRUST_200600_302600_NS6detail15normal_iteratorINSA_7pointerIsNSA_11hip_rocprim3tagENSA_11use_defaultESG_EEEEPS6_NSA_18transform_iteratorINSA_8identityIsEENSC_INSA_10device_ptrIsEEEESG_SG_EENS0_5tupleIJPsSJ_EEENSR_IJSJ_SJ_EEES6_PlJS6_EEE10hipError_tPvRmT3_T4_T5_T6_T7_T9_mT8_P12ihipStream_tbDpT10_ENKUlT_T0_E_clISt17integral_constantIbLb1EES1F_EEDaS1A_S1B_EUlS1A_E_NS1_11comp_targetILNS1_3genE0ELNS1_11target_archE4294967295ELNS1_3gpuE0ELNS1_3repE0EEENS1_30default_config_static_selectorELNS0_4arch9wavefront6targetE1EEEvT1_
                                        ; -- End function
	.section	.AMDGPU.csdata,"",@progbits
; Kernel info:
; codeLenInByte = 0
; NumSgprs: 4
; NumVgprs: 0
; NumAgprs: 0
; TotalNumVgprs: 0
; ScratchSize: 0
; MemoryBound: 0
; FloatMode: 240
; IeeeMode: 1
; LDSByteSize: 0 bytes/workgroup (compile time only)
; SGPRBlocks: 0
; VGPRBlocks: 0
; NumSGPRsForWavesPerEU: 4
; NumVGPRsForWavesPerEU: 1
; AccumOffset: 4
; Occupancy: 8
; WaveLimiterHint : 0
; COMPUTE_PGM_RSRC2:SCRATCH_EN: 0
; COMPUTE_PGM_RSRC2:USER_SGPR: 6
; COMPUTE_PGM_RSRC2:TRAP_HANDLER: 0
; COMPUTE_PGM_RSRC2:TGID_X_EN: 1
; COMPUTE_PGM_RSRC2:TGID_Y_EN: 0
; COMPUTE_PGM_RSRC2:TGID_Z_EN: 0
; COMPUTE_PGM_RSRC2:TIDIG_COMP_CNT: 0
; COMPUTE_PGM_RSRC3_GFX90A:ACCUM_OFFSET: 0
; COMPUTE_PGM_RSRC3_GFX90A:TG_SPLIT: 0
	.section	.text._ZN7rocprim17ROCPRIM_400000_NS6detail17trampoline_kernelINS0_14default_configENS1_25partition_config_selectorILNS1_17partition_subalgoE2EsNS0_10empty_typeEbEEZZNS1_14partition_implILS5_2ELb0ES3_jN6thrust23THRUST_200600_302600_NS6detail15normal_iteratorINSA_7pointerIsNSA_11hip_rocprim3tagENSA_11use_defaultESG_EEEEPS6_NSA_18transform_iteratorINSA_8identityIsEENSC_INSA_10device_ptrIsEEEESG_SG_EENS0_5tupleIJPsSJ_EEENSR_IJSJ_SJ_EEES6_PlJS6_EEE10hipError_tPvRmT3_T4_T5_T6_T7_T9_mT8_P12ihipStream_tbDpT10_ENKUlT_T0_E_clISt17integral_constantIbLb1EES1F_EEDaS1A_S1B_EUlS1A_E_NS1_11comp_targetILNS1_3genE5ELNS1_11target_archE942ELNS1_3gpuE9ELNS1_3repE0EEENS1_30default_config_static_selectorELNS0_4arch9wavefront6targetE1EEEvT1_,"axG",@progbits,_ZN7rocprim17ROCPRIM_400000_NS6detail17trampoline_kernelINS0_14default_configENS1_25partition_config_selectorILNS1_17partition_subalgoE2EsNS0_10empty_typeEbEEZZNS1_14partition_implILS5_2ELb0ES3_jN6thrust23THRUST_200600_302600_NS6detail15normal_iteratorINSA_7pointerIsNSA_11hip_rocprim3tagENSA_11use_defaultESG_EEEEPS6_NSA_18transform_iteratorINSA_8identityIsEENSC_INSA_10device_ptrIsEEEESG_SG_EENS0_5tupleIJPsSJ_EEENSR_IJSJ_SJ_EEES6_PlJS6_EEE10hipError_tPvRmT3_T4_T5_T6_T7_T9_mT8_P12ihipStream_tbDpT10_ENKUlT_T0_E_clISt17integral_constantIbLb1EES1F_EEDaS1A_S1B_EUlS1A_E_NS1_11comp_targetILNS1_3genE5ELNS1_11target_archE942ELNS1_3gpuE9ELNS1_3repE0EEENS1_30default_config_static_selectorELNS0_4arch9wavefront6targetE1EEEvT1_,comdat
	.protected	_ZN7rocprim17ROCPRIM_400000_NS6detail17trampoline_kernelINS0_14default_configENS1_25partition_config_selectorILNS1_17partition_subalgoE2EsNS0_10empty_typeEbEEZZNS1_14partition_implILS5_2ELb0ES3_jN6thrust23THRUST_200600_302600_NS6detail15normal_iteratorINSA_7pointerIsNSA_11hip_rocprim3tagENSA_11use_defaultESG_EEEEPS6_NSA_18transform_iteratorINSA_8identityIsEENSC_INSA_10device_ptrIsEEEESG_SG_EENS0_5tupleIJPsSJ_EEENSR_IJSJ_SJ_EEES6_PlJS6_EEE10hipError_tPvRmT3_T4_T5_T6_T7_T9_mT8_P12ihipStream_tbDpT10_ENKUlT_T0_E_clISt17integral_constantIbLb1EES1F_EEDaS1A_S1B_EUlS1A_E_NS1_11comp_targetILNS1_3genE5ELNS1_11target_archE942ELNS1_3gpuE9ELNS1_3repE0EEENS1_30default_config_static_selectorELNS0_4arch9wavefront6targetE1EEEvT1_ ; -- Begin function _ZN7rocprim17ROCPRIM_400000_NS6detail17trampoline_kernelINS0_14default_configENS1_25partition_config_selectorILNS1_17partition_subalgoE2EsNS0_10empty_typeEbEEZZNS1_14partition_implILS5_2ELb0ES3_jN6thrust23THRUST_200600_302600_NS6detail15normal_iteratorINSA_7pointerIsNSA_11hip_rocprim3tagENSA_11use_defaultESG_EEEEPS6_NSA_18transform_iteratorINSA_8identityIsEENSC_INSA_10device_ptrIsEEEESG_SG_EENS0_5tupleIJPsSJ_EEENSR_IJSJ_SJ_EEES6_PlJS6_EEE10hipError_tPvRmT3_T4_T5_T6_T7_T9_mT8_P12ihipStream_tbDpT10_ENKUlT_T0_E_clISt17integral_constantIbLb1EES1F_EEDaS1A_S1B_EUlS1A_E_NS1_11comp_targetILNS1_3genE5ELNS1_11target_archE942ELNS1_3gpuE9ELNS1_3repE0EEENS1_30default_config_static_selectorELNS0_4arch9wavefront6targetE1EEEvT1_
	.globl	_ZN7rocprim17ROCPRIM_400000_NS6detail17trampoline_kernelINS0_14default_configENS1_25partition_config_selectorILNS1_17partition_subalgoE2EsNS0_10empty_typeEbEEZZNS1_14partition_implILS5_2ELb0ES3_jN6thrust23THRUST_200600_302600_NS6detail15normal_iteratorINSA_7pointerIsNSA_11hip_rocprim3tagENSA_11use_defaultESG_EEEEPS6_NSA_18transform_iteratorINSA_8identityIsEENSC_INSA_10device_ptrIsEEEESG_SG_EENS0_5tupleIJPsSJ_EEENSR_IJSJ_SJ_EEES6_PlJS6_EEE10hipError_tPvRmT3_T4_T5_T6_T7_T9_mT8_P12ihipStream_tbDpT10_ENKUlT_T0_E_clISt17integral_constantIbLb1EES1F_EEDaS1A_S1B_EUlS1A_E_NS1_11comp_targetILNS1_3genE5ELNS1_11target_archE942ELNS1_3gpuE9ELNS1_3repE0EEENS1_30default_config_static_selectorELNS0_4arch9wavefront6targetE1EEEvT1_
	.p2align	8
	.type	_ZN7rocprim17ROCPRIM_400000_NS6detail17trampoline_kernelINS0_14default_configENS1_25partition_config_selectorILNS1_17partition_subalgoE2EsNS0_10empty_typeEbEEZZNS1_14partition_implILS5_2ELb0ES3_jN6thrust23THRUST_200600_302600_NS6detail15normal_iteratorINSA_7pointerIsNSA_11hip_rocprim3tagENSA_11use_defaultESG_EEEEPS6_NSA_18transform_iteratorINSA_8identityIsEENSC_INSA_10device_ptrIsEEEESG_SG_EENS0_5tupleIJPsSJ_EEENSR_IJSJ_SJ_EEES6_PlJS6_EEE10hipError_tPvRmT3_T4_T5_T6_T7_T9_mT8_P12ihipStream_tbDpT10_ENKUlT_T0_E_clISt17integral_constantIbLb1EES1F_EEDaS1A_S1B_EUlS1A_E_NS1_11comp_targetILNS1_3genE5ELNS1_11target_archE942ELNS1_3gpuE9ELNS1_3repE0EEENS1_30default_config_static_selectorELNS0_4arch9wavefront6targetE1EEEvT1_,@function
_ZN7rocprim17ROCPRIM_400000_NS6detail17trampoline_kernelINS0_14default_configENS1_25partition_config_selectorILNS1_17partition_subalgoE2EsNS0_10empty_typeEbEEZZNS1_14partition_implILS5_2ELb0ES3_jN6thrust23THRUST_200600_302600_NS6detail15normal_iteratorINSA_7pointerIsNSA_11hip_rocprim3tagENSA_11use_defaultESG_EEEEPS6_NSA_18transform_iteratorINSA_8identityIsEENSC_INSA_10device_ptrIsEEEESG_SG_EENS0_5tupleIJPsSJ_EEENSR_IJSJ_SJ_EEES6_PlJS6_EEE10hipError_tPvRmT3_T4_T5_T6_T7_T9_mT8_P12ihipStream_tbDpT10_ENKUlT_T0_E_clISt17integral_constantIbLb1EES1F_EEDaS1A_S1B_EUlS1A_E_NS1_11comp_targetILNS1_3genE5ELNS1_11target_archE942ELNS1_3gpuE9ELNS1_3repE0EEENS1_30default_config_static_selectorELNS0_4arch9wavefront6targetE1EEEvT1_: ; @_ZN7rocprim17ROCPRIM_400000_NS6detail17trampoline_kernelINS0_14default_configENS1_25partition_config_selectorILNS1_17partition_subalgoE2EsNS0_10empty_typeEbEEZZNS1_14partition_implILS5_2ELb0ES3_jN6thrust23THRUST_200600_302600_NS6detail15normal_iteratorINSA_7pointerIsNSA_11hip_rocprim3tagENSA_11use_defaultESG_EEEEPS6_NSA_18transform_iteratorINSA_8identityIsEENSC_INSA_10device_ptrIsEEEESG_SG_EENS0_5tupleIJPsSJ_EEENSR_IJSJ_SJ_EEES6_PlJS6_EEE10hipError_tPvRmT3_T4_T5_T6_T7_T9_mT8_P12ihipStream_tbDpT10_ENKUlT_T0_E_clISt17integral_constantIbLb1EES1F_EEDaS1A_S1B_EUlS1A_E_NS1_11comp_targetILNS1_3genE5ELNS1_11target_archE942ELNS1_3gpuE9ELNS1_3repE0EEENS1_30default_config_static_selectorELNS0_4arch9wavefront6targetE1EEEvT1_
; %bb.0:
	.section	.rodata,"a",@progbits
	.p2align	6, 0x0
	.amdhsa_kernel _ZN7rocprim17ROCPRIM_400000_NS6detail17trampoline_kernelINS0_14default_configENS1_25partition_config_selectorILNS1_17partition_subalgoE2EsNS0_10empty_typeEbEEZZNS1_14partition_implILS5_2ELb0ES3_jN6thrust23THRUST_200600_302600_NS6detail15normal_iteratorINSA_7pointerIsNSA_11hip_rocprim3tagENSA_11use_defaultESG_EEEEPS6_NSA_18transform_iteratorINSA_8identityIsEENSC_INSA_10device_ptrIsEEEESG_SG_EENS0_5tupleIJPsSJ_EEENSR_IJSJ_SJ_EEES6_PlJS6_EEE10hipError_tPvRmT3_T4_T5_T6_T7_T9_mT8_P12ihipStream_tbDpT10_ENKUlT_T0_E_clISt17integral_constantIbLb1EES1F_EEDaS1A_S1B_EUlS1A_E_NS1_11comp_targetILNS1_3genE5ELNS1_11target_archE942ELNS1_3gpuE9ELNS1_3repE0EEENS1_30default_config_static_selectorELNS0_4arch9wavefront6targetE1EEEvT1_
		.amdhsa_group_segment_fixed_size 0
		.amdhsa_private_segment_fixed_size 0
		.amdhsa_kernarg_size 144
		.amdhsa_user_sgpr_count 6
		.amdhsa_user_sgpr_private_segment_buffer 1
		.amdhsa_user_sgpr_dispatch_ptr 0
		.amdhsa_user_sgpr_queue_ptr 0
		.amdhsa_user_sgpr_kernarg_segment_ptr 1
		.amdhsa_user_sgpr_dispatch_id 0
		.amdhsa_user_sgpr_flat_scratch_init 0
		.amdhsa_user_sgpr_kernarg_preload_length 0
		.amdhsa_user_sgpr_kernarg_preload_offset 0
		.amdhsa_user_sgpr_private_segment_size 0
		.amdhsa_uses_dynamic_stack 0
		.amdhsa_system_sgpr_private_segment_wavefront_offset 0
		.amdhsa_system_sgpr_workgroup_id_x 1
		.amdhsa_system_sgpr_workgroup_id_y 0
		.amdhsa_system_sgpr_workgroup_id_z 0
		.amdhsa_system_sgpr_workgroup_info 0
		.amdhsa_system_vgpr_workitem_id 0
		.amdhsa_next_free_vgpr 1
		.amdhsa_next_free_sgpr 0
		.amdhsa_accum_offset 4
		.amdhsa_reserve_vcc 0
		.amdhsa_reserve_flat_scratch 0
		.amdhsa_float_round_mode_32 0
		.amdhsa_float_round_mode_16_64 0
		.amdhsa_float_denorm_mode_32 3
		.amdhsa_float_denorm_mode_16_64 3
		.amdhsa_dx10_clamp 1
		.amdhsa_ieee_mode 1
		.amdhsa_fp16_overflow 0
		.amdhsa_tg_split 0
		.amdhsa_exception_fp_ieee_invalid_op 0
		.amdhsa_exception_fp_denorm_src 0
		.amdhsa_exception_fp_ieee_div_zero 0
		.amdhsa_exception_fp_ieee_overflow 0
		.amdhsa_exception_fp_ieee_underflow 0
		.amdhsa_exception_fp_ieee_inexact 0
		.amdhsa_exception_int_div_zero 0
	.end_amdhsa_kernel
	.section	.text._ZN7rocprim17ROCPRIM_400000_NS6detail17trampoline_kernelINS0_14default_configENS1_25partition_config_selectorILNS1_17partition_subalgoE2EsNS0_10empty_typeEbEEZZNS1_14partition_implILS5_2ELb0ES3_jN6thrust23THRUST_200600_302600_NS6detail15normal_iteratorINSA_7pointerIsNSA_11hip_rocprim3tagENSA_11use_defaultESG_EEEEPS6_NSA_18transform_iteratorINSA_8identityIsEENSC_INSA_10device_ptrIsEEEESG_SG_EENS0_5tupleIJPsSJ_EEENSR_IJSJ_SJ_EEES6_PlJS6_EEE10hipError_tPvRmT3_T4_T5_T6_T7_T9_mT8_P12ihipStream_tbDpT10_ENKUlT_T0_E_clISt17integral_constantIbLb1EES1F_EEDaS1A_S1B_EUlS1A_E_NS1_11comp_targetILNS1_3genE5ELNS1_11target_archE942ELNS1_3gpuE9ELNS1_3repE0EEENS1_30default_config_static_selectorELNS0_4arch9wavefront6targetE1EEEvT1_,"axG",@progbits,_ZN7rocprim17ROCPRIM_400000_NS6detail17trampoline_kernelINS0_14default_configENS1_25partition_config_selectorILNS1_17partition_subalgoE2EsNS0_10empty_typeEbEEZZNS1_14partition_implILS5_2ELb0ES3_jN6thrust23THRUST_200600_302600_NS6detail15normal_iteratorINSA_7pointerIsNSA_11hip_rocprim3tagENSA_11use_defaultESG_EEEEPS6_NSA_18transform_iteratorINSA_8identityIsEENSC_INSA_10device_ptrIsEEEESG_SG_EENS0_5tupleIJPsSJ_EEENSR_IJSJ_SJ_EEES6_PlJS6_EEE10hipError_tPvRmT3_T4_T5_T6_T7_T9_mT8_P12ihipStream_tbDpT10_ENKUlT_T0_E_clISt17integral_constantIbLb1EES1F_EEDaS1A_S1B_EUlS1A_E_NS1_11comp_targetILNS1_3genE5ELNS1_11target_archE942ELNS1_3gpuE9ELNS1_3repE0EEENS1_30default_config_static_selectorELNS0_4arch9wavefront6targetE1EEEvT1_,comdat
.Lfunc_end554:
	.size	_ZN7rocprim17ROCPRIM_400000_NS6detail17trampoline_kernelINS0_14default_configENS1_25partition_config_selectorILNS1_17partition_subalgoE2EsNS0_10empty_typeEbEEZZNS1_14partition_implILS5_2ELb0ES3_jN6thrust23THRUST_200600_302600_NS6detail15normal_iteratorINSA_7pointerIsNSA_11hip_rocprim3tagENSA_11use_defaultESG_EEEEPS6_NSA_18transform_iteratorINSA_8identityIsEENSC_INSA_10device_ptrIsEEEESG_SG_EENS0_5tupleIJPsSJ_EEENSR_IJSJ_SJ_EEES6_PlJS6_EEE10hipError_tPvRmT3_T4_T5_T6_T7_T9_mT8_P12ihipStream_tbDpT10_ENKUlT_T0_E_clISt17integral_constantIbLb1EES1F_EEDaS1A_S1B_EUlS1A_E_NS1_11comp_targetILNS1_3genE5ELNS1_11target_archE942ELNS1_3gpuE9ELNS1_3repE0EEENS1_30default_config_static_selectorELNS0_4arch9wavefront6targetE1EEEvT1_, .Lfunc_end554-_ZN7rocprim17ROCPRIM_400000_NS6detail17trampoline_kernelINS0_14default_configENS1_25partition_config_selectorILNS1_17partition_subalgoE2EsNS0_10empty_typeEbEEZZNS1_14partition_implILS5_2ELb0ES3_jN6thrust23THRUST_200600_302600_NS6detail15normal_iteratorINSA_7pointerIsNSA_11hip_rocprim3tagENSA_11use_defaultESG_EEEEPS6_NSA_18transform_iteratorINSA_8identityIsEENSC_INSA_10device_ptrIsEEEESG_SG_EENS0_5tupleIJPsSJ_EEENSR_IJSJ_SJ_EEES6_PlJS6_EEE10hipError_tPvRmT3_T4_T5_T6_T7_T9_mT8_P12ihipStream_tbDpT10_ENKUlT_T0_E_clISt17integral_constantIbLb1EES1F_EEDaS1A_S1B_EUlS1A_E_NS1_11comp_targetILNS1_3genE5ELNS1_11target_archE942ELNS1_3gpuE9ELNS1_3repE0EEENS1_30default_config_static_selectorELNS0_4arch9wavefront6targetE1EEEvT1_
                                        ; -- End function
	.section	.AMDGPU.csdata,"",@progbits
; Kernel info:
; codeLenInByte = 0
; NumSgprs: 4
; NumVgprs: 0
; NumAgprs: 0
; TotalNumVgprs: 0
; ScratchSize: 0
; MemoryBound: 0
; FloatMode: 240
; IeeeMode: 1
; LDSByteSize: 0 bytes/workgroup (compile time only)
; SGPRBlocks: 0
; VGPRBlocks: 0
; NumSGPRsForWavesPerEU: 4
; NumVGPRsForWavesPerEU: 1
; AccumOffset: 4
; Occupancy: 8
; WaveLimiterHint : 0
; COMPUTE_PGM_RSRC2:SCRATCH_EN: 0
; COMPUTE_PGM_RSRC2:USER_SGPR: 6
; COMPUTE_PGM_RSRC2:TRAP_HANDLER: 0
; COMPUTE_PGM_RSRC2:TGID_X_EN: 1
; COMPUTE_PGM_RSRC2:TGID_Y_EN: 0
; COMPUTE_PGM_RSRC2:TGID_Z_EN: 0
; COMPUTE_PGM_RSRC2:TIDIG_COMP_CNT: 0
; COMPUTE_PGM_RSRC3_GFX90A:ACCUM_OFFSET: 0
; COMPUTE_PGM_RSRC3_GFX90A:TG_SPLIT: 0
	.section	.text._ZN7rocprim17ROCPRIM_400000_NS6detail17trampoline_kernelINS0_14default_configENS1_25partition_config_selectorILNS1_17partition_subalgoE2EsNS0_10empty_typeEbEEZZNS1_14partition_implILS5_2ELb0ES3_jN6thrust23THRUST_200600_302600_NS6detail15normal_iteratorINSA_7pointerIsNSA_11hip_rocprim3tagENSA_11use_defaultESG_EEEEPS6_NSA_18transform_iteratorINSA_8identityIsEENSC_INSA_10device_ptrIsEEEESG_SG_EENS0_5tupleIJPsSJ_EEENSR_IJSJ_SJ_EEES6_PlJS6_EEE10hipError_tPvRmT3_T4_T5_T6_T7_T9_mT8_P12ihipStream_tbDpT10_ENKUlT_T0_E_clISt17integral_constantIbLb1EES1F_EEDaS1A_S1B_EUlS1A_E_NS1_11comp_targetILNS1_3genE4ELNS1_11target_archE910ELNS1_3gpuE8ELNS1_3repE0EEENS1_30default_config_static_selectorELNS0_4arch9wavefront6targetE1EEEvT1_,"axG",@progbits,_ZN7rocprim17ROCPRIM_400000_NS6detail17trampoline_kernelINS0_14default_configENS1_25partition_config_selectorILNS1_17partition_subalgoE2EsNS0_10empty_typeEbEEZZNS1_14partition_implILS5_2ELb0ES3_jN6thrust23THRUST_200600_302600_NS6detail15normal_iteratorINSA_7pointerIsNSA_11hip_rocprim3tagENSA_11use_defaultESG_EEEEPS6_NSA_18transform_iteratorINSA_8identityIsEENSC_INSA_10device_ptrIsEEEESG_SG_EENS0_5tupleIJPsSJ_EEENSR_IJSJ_SJ_EEES6_PlJS6_EEE10hipError_tPvRmT3_T4_T5_T6_T7_T9_mT8_P12ihipStream_tbDpT10_ENKUlT_T0_E_clISt17integral_constantIbLb1EES1F_EEDaS1A_S1B_EUlS1A_E_NS1_11comp_targetILNS1_3genE4ELNS1_11target_archE910ELNS1_3gpuE8ELNS1_3repE0EEENS1_30default_config_static_selectorELNS0_4arch9wavefront6targetE1EEEvT1_,comdat
	.protected	_ZN7rocprim17ROCPRIM_400000_NS6detail17trampoline_kernelINS0_14default_configENS1_25partition_config_selectorILNS1_17partition_subalgoE2EsNS0_10empty_typeEbEEZZNS1_14partition_implILS5_2ELb0ES3_jN6thrust23THRUST_200600_302600_NS6detail15normal_iteratorINSA_7pointerIsNSA_11hip_rocprim3tagENSA_11use_defaultESG_EEEEPS6_NSA_18transform_iteratorINSA_8identityIsEENSC_INSA_10device_ptrIsEEEESG_SG_EENS0_5tupleIJPsSJ_EEENSR_IJSJ_SJ_EEES6_PlJS6_EEE10hipError_tPvRmT3_T4_T5_T6_T7_T9_mT8_P12ihipStream_tbDpT10_ENKUlT_T0_E_clISt17integral_constantIbLb1EES1F_EEDaS1A_S1B_EUlS1A_E_NS1_11comp_targetILNS1_3genE4ELNS1_11target_archE910ELNS1_3gpuE8ELNS1_3repE0EEENS1_30default_config_static_selectorELNS0_4arch9wavefront6targetE1EEEvT1_ ; -- Begin function _ZN7rocprim17ROCPRIM_400000_NS6detail17trampoline_kernelINS0_14default_configENS1_25partition_config_selectorILNS1_17partition_subalgoE2EsNS0_10empty_typeEbEEZZNS1_14partition_implILS5_2ELb0ES3_jN6thrust23THRUST_200600_302600_NS6detail15normal_iteratorINSA_7pointerIsNSA_11hip_rocprim3tagENSA_11use_defaultESG_EEEEPS6_NSA_18transform_iteratorINSA_8identityIsEENSC_INSA_10device_ptrIsEEEESG_SG_EENS0_5tupleIJPsSJ_EEENSR_IJSJ_SJ_EEES6_PlJS6_EEE10hipError_tPvRmT3_T4_T5_T6_T7_T9_mT8_P12ihipStream_tbDpT10_ENKUlT_T0_E_clISt17integral_constantIbLb1EES1F_EEDaS1A_S1B_EUlS1A_E_NS1_11comp_targetILNS1_3genE4ELNS1_11target_archE910ELNS1_3gpuE8ELNS1_3repE0EEENS1_30default_config_static_selectorELNS0_4arch9wavefront6targetE1EEEvT1_
	.globl	_ZN7rocprim17ROCPRIM_400000_NS6detail17trampoline_kernelINS0_14default_configENS1_25partition_config_selectorILNS1_17partition_subalgoE2EsNS0_10empty_typeEbEEZZNS1_14partition_implILS5_2ELb0ES3_jN6thrust23THRUST_200600_302600_NS6detail15normal_iteratorINSA_7pointerIsNSA_11hip_rocprim3tagENSA_11use_defaultESG_EEEEPS6_NSA_18transform_iteratorINSA_8identityIsEENSC_INSA_10device_ptrIsEEEESG_SG_EENS0_5tupleIJPsSJ_EEENSR_IJSJ_SJ_EEES6_PlJS6_EEE10hipError_tPvRmT3_T4_T5_T6_T7_T9_mT8_P12ihipStream_tbDpT10_ENKUlT_T0_E_clISt17integral_constantIbLb1EES1F_EEDaS1A_S1B_EUlS1A_E_NS1_11comp_targetILNS1_3genE4ELNS1_11target_archE910ELNS1_3gpuE8ELNS1_3repE0EEENS1_30default_config_static_selectorELNS0_4arch9wavefront6targetE1EEEvT1_
	.p2align	8
	.type	_ZN7rocprim17ROCPRIM_400000_NS6detail17trampoline_kernelINS0_14default_configENS1_25partition_config_selectorILNS1_17partition_subalgoE2EsNS0_10empty_typeEbEEZZNS1_14partition_implILS5_2ELb0ES3_jN6thrust23THRUST_200600_302600_NS6detail15normal_iteratorINSA_7pointerIsNSA_11hip_rocprim3tagENSA_11use_defaultESG_EEEEPS6_NSA_18transform_iteratorINSA_8identityIsEENSC_INSA_10device_ptrIsEEEESG_SG_EENS0_5tupleIJPsSJ_EEENSR_IJSJ_SJ_EEES6_PlJS6_EEE10hipError_tPvRmT3_T4_T5_T6_T7_T9_mT8_P12ihipStream_tbDpT10_ENKUlT_T0_E_clISt17integral_constantIbLb1EES1F_EEDaS1A_S1B_EUlS1A_E_NS1_11comp_targetILNS1_3genE4ELNS1_11target_archE910ELNS1_3gpuE8ELNS1_3repE0EEENS1_30default_config_static_selectorELNS0_4arch9wavefront6targetE1EEEvT1_,@function
_ZN7rocprim17ROCPRIM_400000_NS6detail17trampoline_kernelINS0_14default_configENS1_25partition_config_selectorILNS1_17partition_subalgoE2EsNS0_10empty_typeEbEEZZNS1_14partition_implILS5_2ELb0ES3_jN6thrust23THRUST_200600_302600_NS6detail15normal_iteratorINSA_7pointerIsNSA_11hip_rocprim3tagENSA_11use_defaultESG_EEEEPS6_NSA_18transform_iteratorINSA_8identityIsEENSC_INSA_10device_ptrIsEEEESG_SG_EENS0_5tupleIJPsSJ_EEENSR_IJSJ_SJ_EEES6_PlJS6_EEE10hipError_tPvRmT3_T4_T5_T6_T7_T9_mT8_P12ihipStream_tbDpT10_ENKUlT_T0_E_clISt17integral_constantIbLb1EES1F_EEDaS1A_S1B_EUlS1A_E_NS1_11comp_targetILNS1_3genE4ELNS1_11target_archE910ELNS1_3gpuE8ELNS1_3repE0EEENS1_30default_config_static_selectorELNS0_4arch9wavefront6targetE1EEEvT1_: ; @_ZN7rocprim17ROCPRIM_400000_NS6detail17trampoline_kernelINS0_14default_configENS1_25partition_config_selectorILNS1_17partition_subalgoE2EsNS0_10empty_typeEbEEZZNS1_14partition_implILS5_2ELb0ES3_jN6thrust23THRUST_200600_302600_NS6detail15normal_iteratorINSA_7pointerIsNSA_11hip_rocprim3tagENSA_11use_defaultESG_EEEEPS6_NSA_18transform_iteratorINSA_8identityIsEENSC_INSA_10device_ptrIsEEEESG_SG_EENS0_5tupleIJPsSJ_EEENSR_IJSJ_SJ_EEES6_PlJS6_EEE10hipError_tPvRmT3_T4_T5_T6_T7_T9_mT8_P12ihipStream_tbDpT10_ENKUlT_T0_E_clISt17integral_constantIbLb1EES1F_EEDaS1A_S1B_EUlS1A_E_NS1_11comp_targetILNS1_3genE4ELNS1_11target_archE910ELNS1_3gpuE8ELNS1_3repE0EEENS1_30default_config_static_selectorELNS0_4arch9wavefront6targetE1EEEvT1_
; %bb.0:
	s_load_dwordx2 s[6:7], s[4:5], 0x20
	s_load_dwordx2 s[24:25], s[4:5], 0x30
	;; [unrolled: 1-line block ×3, first 2 shown]
	s_load_dwordx4 s[20:23], s[4:5], 0x50
	s_load_dwordx2 s[34:35], s[4:5], 0x70
	v_cmp_eq_u32_e64 s[0:1], 0, v0
	s_and_saveexec_b64 s[2:3], s[0:1]
	s_cbranch_execz .LBB555_4
; %bb.1:
	s_mov_b64 s[10:11], exec
	v_mbcnt_lo_u32_b32 v1, s10, 0
	v_mbcnt_hi_u32_b32 v1, s11, v1
	v_cmp_eq_u32_e32 vcc, 0, v1
                                        ; implicit-def: $vgpr2
	s_and_saveexec_b64 s[8:9], vcc
	s_cbranch_execz .LBB555_3
; %bb.2:
	s_load_dwordx2 s[12:13], s[4:5], 0x80
	s_bcnt1_i32_b64 s10, s[10:11]
	v_mov_b32_e32 v2, 0
	v_mov_b32_e32 v3, s10
	s_waitcnt lgkmcnt(0)
	global_atomic_add v2, v2, v3, s[12:13] glc
.LBB555_3:
	s_or_b64 exec, exec, s[8:9]
	s_waitcnt vmcnt(0)
	v_readfirstlane_b32 s8, v2
	v_add_u32_e32 v1, s8, v1
	v_mov_b32_e32 v2, 0
	ds_write_b32 v2, v1
.LBB555_4:
	s_or_b64 exec, exec, s[2:3]
	v_mov_b32_e32 v1, 0
	s_load_dwordx4 s[16:19], s[4:5], 0x8
	s_load_dword s2, s[4:5], 0x78
	s_waitcnt lgkmcnt(0)
	s_barrier
	ds_read_b32 v2, v1
	s_waitcnt lgkmcnt(0)
	s_barrier
	global_load_dwordx2 v[12:13], v1, s[22:23]
	s_lshl_b64 s[4:5], s[18:19], 1
	s_add_u32 s10, s16, s4
	s_addc_u32 s11, s17, s5
	s_add_i32 s8, s2, -1
	s_mulk_i32 s2, 0x1400
	s_add_i32 s3, s2, s18
	s_sub_i32 s33, s26, s3
	s_addk_i32 s33, 0x1400
	s_add_u32 s2, s18, s2
	v_readfirstlane_b32 s42, v2
	s_addc_u32 s3, s19, 0
	s_cmp_eq_u32 s42, s8
	v_pk_mov_b32 v[2:3], s[26:27], s[26:27] op_sel:[0,1]
	s_cselect_b64 s[22:23], -1, 0
	s_cmp_lg_u32 s42, s8
	s_mul_i32 s28, s42, 0x1400
	s_mov_b32 s29, 0
	v_cmp_lt_u64_e32 vcc, s[2:3], v[2:3]
	s_cselect_b64 s[2:3], -1, 0
	s_or_b64 s[30:31], vcc, s[2:3]
	s_lshl_b64 s[8:9], s[28:29], 1
	s_add_u32 s12, s10, s8
	s_addc_u32 s13, s11, s9
	s_mov_b64 s[2:3], -1
	s_and_b64 vcc, exec, s[30:31]
	v_lshlrev_b32_e32 v1, 1, v0
	s_cbranch_vccz .LBB555_6
; %bb.5:
	v_mov_b32_e32 v3, s13
	v_add_co_u32_e32 v2, vcc, s12, v1
	v_addc_co_u32_e32 v3, vcc, 0, v3, vcc
	v_add_co_u32_e32 v4, vcc, 0x1000, v2
	v_addc_co_u32_e32 v5, vcc, 0, v3, vcc
	flat_load_ushort v6, v[2:3]
	flat_load_ushort v7, v[2:3] offset:512
	flat_load_ushort v8, v[2:3] offset:1024
	;; [unrolled: 1-line block ×7, first 2 shown]
	v_add_co_u32_e32 v2, vcc, 0x2000, v2
	v_addc_co_u32_e32 v3, vcc, 0, v3, vcc
	flat_load_ushort v16, v[4:5]
	flat_load_ushort v17, v[4:5] offset:512
	flat_load_ushort v18, v[4:5] offset:1024
	;; [unrolled: 1-line block ×7, first 2 shown]
	s_nop 0
	flat_load_ushort v4, v[2:3]
	flat_load_ushort v5, v[2:3] offset:512
	flat_load_ushort v24, v[2:3] offset:1024
	;; [unrolled: 1-line block ×3, first 2 shown]
	s_mov_b64 s[2:3], 0
	s_waitcnt vmcnt(0) lgkmcnt(0)
	ds_write_b16 v1, v6
	ds_write_b16 v1, v7 offset:512
	ds_write_b16 v1, v8 offset:1024
	;; [unrolled: 1-line block ×19, first 2 shown]
	s_waitcnt lgkmcnt(0)
	s_barrier
.LBB555_6:
	s_andn2_b64 vcc, exec, s[2:3]
	v_cmp_gt_u32_e64 s[2:3], s33, v0
	s_cbranch_vccnz .LBB555_48
; %bb.7:
                                        ; implicit-def: $vgpr2
	s_and_saveexec_b64 s[10:11], s[2:3]
	s_cbranch_execz .LBB555_9
; %bb.8:
	v_mov_b32_e32 v3, s13
	v_add_co_u32_e32 v2, vcc, s12, v1
	v_addc_co_u32_e32 v3, vcc, 0, v3, vcc
	flat_load_ushort v2, v[2:3]
.LBB555_9:
	s_or_b64 exec, exec, s[10:11]
	v_or_b32_e32 v3, 0x100, v0
	v_cmp_gt_u32_e32 vcc, s33, v3
                                        ; implicit-def: $vgpr3
	s_and_saveexec_b64 s[2:3], vcc
	s_cbranch_execz .LBB555_11
; %bb.10:
	v_mov_b32_e32 v3, s13
	v_add_co_u32_e32 v4, vcc, s12, v1
	v_addc_co_u32_e32 v5, vcc, 0, v3, vcc
	flat_load_ushort v3, v[4:5] offset:512
.LBB555_11:
	s_or_b64 exec, exec, s[2:3]
	v_or_b32_e32 v4, 0x200, v0
	v_cmp_gt_u32_e32 vcc, s33, v4
                                        ; implicit-def: $vgpr4
	s_and_saveexec_b64 s[2:3], vcc
	s_cbranch_execz .LBB555_13
; %bb.12:
	v_mov_b32_e32 v5, s13
	v_add_co_u32_e32 v4, vcc, s12, v1
	v_addc_co_u32_e32 v5, vcc, 0, v5, vcc
	flat_load_ushort v4, v[4:5] offset:1024
.LBB555_13:
	s_or_b64 exec, exec, s[2:3]
	v_or_b32_e32 v5, 0x300, v0
	v_cmp_gt_u32_e32 vcc, s33, v5
                                        ; implicit-def: $vgpr5
	s_and_saveexec_b64 s[2:3], vcc
	s_cbranch_execz .LBB555_15
; %bb.14:
	v_mov_b32_e32 v5, s13
	v_add_co_u32_e32 v6, vcc, s12, v1
	v_addc_co_u32_e32 v7, vcc, 0, v5, vcc
	flat_load_ushort v5, v[6:7] offset:1536
.LBB555_15:
	s_or_b64 exec, exec, s[2:3]
	v_or_b32_e32 v6, 0x400, v0
	v_cmp_gt_u32_e32 vcc, s33, v6
                                        ; implicit-def: $vgpr6
	s_and_saveexec_b64 s[2:3], vcc
	s_cbranch_execz .LBB555_17
; %bb.16:
	v_mov_b32_e32 v7, s13
	v_add_co_u32_e32 v6, vcc, s12, v1
	v_addc_co_u32_e32 v7, vcc, 0, v7, vcc
	flat_load_ushort v6, v[6:7] offset:2048
.LBB555_17:
	s_or_b64 exec, exec, s[2:3]
	v_or_b32_e32 v7, 0x500, v0
	v_cmp_gt_u32_e32 vcc, s33, v7
                                        ; implicit-def: $vgpr7
	s_and_saveexec_b64 s[2:3], vcc
	s_cbranch_execz .LBB555_19
; %bb.18:
	v_mov_b32_e32 v7, s13
	v_add_co_u32_e32 v8, vcc, s12, v1
	v_addc_co_u32_e32 v9, vcc, 0, v7, vcc
	flat_load_ushort v7, v[8:9] offset:2560
.LBB555_19:
	s_or_b64 exec, exec, s[2:3]
	v_or_b32_e32 v8, 0x600, v0
	v_cmp_gt_u32_e32 vcc, s33, v8
                                        ; implicit-def: $vgpr8
	s_and_saveexec_b64 s[2:3], vcc
	s_cbranch_execz .LBB555_21
; %bb.20:
	v_mov_b32_e32 v9, s13
	v_add_co_u32_e32 v8, vcc, s12, v1
	v_addc_co_u32_e32 v9, vcc, 0, v9, vcc
	flat_load_ushort v8, v[8:9] offset:3072
.LBB555_21:
	s_or_b64 exec, exec, s[2:3]
	v_or_b32_e32 v9, 0x700, v0
	v_cmp_gt_u32_e32 vcc, s33, v9
                                        ; implicit-def: $vgpr9
	s_and_saveexec_b64 s[2:3], vcc
	s_cbranch_execz .LBB555_23
; %bb.22:
	v_mov_b32_e32 v9, s13
	v_add_co_u32_e32 v10, vcc, s12, v1
	v_addc_co_u32_e32 v11, vcc, 0, v9, vcc
	flat_load_ushort v9, v[10:11] offset:3584
.LBB555_23:
	s_or_b64 exec, exec, s[2:3]
	v_or_b32_e32 v11, 0x800, v0
	v_cmp_gt_u32_e32 vcc, s33, v11
                                        ; implicit-def: $vgpr10
	s_and_saveexec_b64 s[2:3], vcc
	s_cbranch_execz .LBB555_25
; %bb.24:
	v_lshlrev_b32_e32 v10, 1, v11
	v_mov_b32_e32 v11, s13
	v_add_co_u32_e32 v10, vcc, s12, v10
	v_addc_co_u32_e32 v11, vcc, 0, v11, vcc
	flat_load_ushort v10, v[10:11]
.LBB555_25:
	s_or_b64 exec, exec, s[2:3]
	v_or_b32_e32 v14, 0x900, v0
	v_cmp_gt_u32_e32 vcc, s33, v14
                                        ; implicit-def: $vgpr11
	s_and_saveexec_b64 s[2:3], vcc
	s_cbranch_execz .LBB555_27
; %bb.26:
	v_lshlrev_b32_e32 v11, 1, v14
	v_mov_b32_e32 v15, s13
	v_add_co_u32_e32 v14, vcc, s12, v11
	v_addc_co_u32_e32 v15, vcc, 0, v15, vcc
	flat_load_ushort v11, v[14:15]
.LBB555_27:
	s_or_b64 exec, exec, s[2:3]
	v_or_b32_e32 v15, 0xa00, v0
	v_cmp_gt_u32_e32 vcc, s33, v15
                                        ; implicit-def: $vgpr14
	s_and_saveexec_b64 s[2:3], vcc
	s_cbranch_execz .LBB555_29
; %bb.28:
	v_lshlrev_b32_e32 v14, 1, v15
	v_mov_b32_e32 v15, s13
	v_add_co_u32_e32 v14, vcc, s12, v14
	v_addc_co_u32_e32 v15, vcc, 0, v15, vcc
	flat_load_ushort v14, v[14:15]
.LBB555_29:
	s_or_b64 exec, exec, s[2:3]
	v_or_b32_e32 v16, 0xb00, v0
	v_cmp_gt_u32_e32 vcc, s33, v16
                                        ; implicit-def: $vgpr15
	s_and_saveexec_b64 s[2:3], vcc
	s_cbranch_execz .LBB555_31
; %bb.30:
	v_lshlrev_b32_e32 v15, 1, v16
	v_mov_b32_e32 v17, s13
	v_add_co_u32_e32 v16, vcc, s12, v15
	v_addc_co_u32_e32 v17, vcc, 0, v17, vcc
	flat_load_ushort v15, v[16:17]
.LBB555_31:
	s_or_b64 exec, exec, s[2:3]
	v_or_b32_e32 v17, 0xc00, v0
	v_cmp_gt_u32_e32 vcc, s33, v17
                                        ; implicit-def: $vgpr16
	s_and_saveexec_b64 s[2:3], vcc
	s_cbranch_execz .LBB555_33
; %bb.32:
	v_lshlrev_b32_e32 v16, 1, v17
	v_mov_b32_e32 v17, s13
	v_add_co_u32_e32 v16, vcc, s12, v16
	v_addc_co_u32_e32 v17, vcc, 0, v17, vcc
	flat_load_ushort v16, v[16:17]
.LBB555_33:
	s_or_b64 exec, exec, s[2:3]
	v_or_b32_e32 v18, 0xd00, v0
	v_cmp_gt_u32_e32 vcc, s33, v18
                                        ; implicit-def: $vgpr17
	s_and_saveexec_b64 s[2:3], vcc
	s_cbranch_execz .LBB555_35
; %bb.34:
	v_lshlrev_b32_e32 v17, 1, v18
	v_mov_b32_e32 v19, s13
	v_add_co_u32_e32 v18, vcc, s12, v17
	v_addc_co_u32_e32 v19, vcc, 0, v19, vcc
	flat_load_ushort v17, v[18:19]
.LBB555_35:
	s_or_b64 exec, exec, s[2:3]
	v_or_b32_e32 v19, 0xe00, v0
	v_cmp_gt_u32_e32 vcc, s33, v19
                                        ; implicit-def: $vgpr18
	s_and_saveexec_b64 s[2:3], vcc
	s_cbranch_execz .LBB555_37
; %bb.36:
	v_lshlrev_b32_e32 v18, 1, v19
	v_mov_b32_e32 v19, s13
	v_add_co_u32_e32 v18, vcc, s12, v18
	v_addc_co_u32_e32 v19, vcc, 0, v19, vcc
	flat_load_ushort v18, v[18:19]
.LBB555_37:
	s_or_b64 exec, exec, s[2:3]
	v_or_b32_e32 v20, 0xf00, v0
	v_cmp_gt_u32_e32 vcc, s33, v20
                                        ; implicit-def: $vgpr19
	s_and_saveexec_b64 s[2:3], vcc
	s_cbranch_execz .LBB555_39
; %bb.38:
	v_lshlrev_b32_e32 v19, 1, v20
	v_mov_b32_e32 v21, s13
	v_add_co_u32_e32 v20, vcc, s12, v19
	v_addc_co_u32_e32 v21, vcc, 0, v21, vcc
	flat_load_ushort v19, v[20:21]
.LBB555_39:
	s_or_b64 exec, exec, s[2:3]
	v_or_b32_e32 v21, 0x1000, v0
	v_cmp_gt_u32_e32 vcc, s33, v21
                                        ; implicit-def: $vgpr20
	s_and_saveexec_b64 s[2:3], vcc
	s_cbranch_execz .LBB555_41
; %bb.40:
	v_lshlrev_b32_e32 v20, 1, v21
	v_mov_b32_e32 v21, s13
	v_add_co_u32_e32 v20, vcc, s12, v20
	v_addc_co_u32_e32 v21, vcc, 0, v21, vcc
	flat_load_ushort v20, v[20:21]
.LBB555_41:
	s_or_b64 exec, exec, s[2:3]
	v_or_b32_e32 v22, 0x1100, v0
	v_cmp_gt_u32_e32 vcc, s33, v22
                                        ; implicit-def: $vgpr21
	s_and_saveexec_b64 s[2:3], vcc
	s_cbranch_execz .LBB555_43
; %bb.42:
	v_lshlrev_b32_e32 v21, 1, v22
	v_mov_b32_e32 v23, s13
	v_add_co_u32_e32 v22, vcc, s12, v21
	v_addc_co_u32_e32 v23, vcc, 0, v23, vcc
	flat_load_ushort v21, v[22:23]
.LBB555_43:
	s_or_b64 exec, exec, s[2:3]
	v_or_b32_e32 v23, 0x1200, v0
	v_cmp_gt_u32_e32 vcc, s33, v23
                                        ; implicit-def: $vgpr22
	s_and_saveexec_b64 s[2:3], vcc
	s_cbranch_execz .LBB555_45
; %bb.44:
	v_lshlrev_b32_e32 v22, 1, v23
	v_mov_b32_e32 v23, s13
	v_add_co_u32_e32 v22, vcc, s12, v22
	v_addc_co_u32_e32 v23, vcc, 0, v23, vcc
	flat_load_ushort v22, v[22:23]
.LBB555_45:
	s_or_b64 exec, exec, s[2:3]
	v_or_b32_e32 v24, 0x1300, v0
	v_cmp_gt_u32_e32 vcc, s33, v24
                                        ; implicit-def: $vgpr23
	s_and_saveexec_b64 s[2:3], vcc
	s_cbranch_execz .LBB555_47
; %bb.46:
	v_lshlrev_b32_e32 v23, 1, v24
	v_mov_b32_e32 v25, s13
	v_add_co_u32_e32 v24, vcc, s12, v23
	v_addc_co_u32_e32 v25, vcc, 0, v25, vcc
	flat_load_ushort v23, v[24:25]
.LBB555_47:
	s_or_b64 exec, exec, s[2:3]
	s_waitcnt vmcnt(0) lgkmcnt(0)
	ds_write_b16 v1, v2
	ds_write_b16 v1, v3 offset:512
	ds_write_b16 v1, v4 offset:1024
	;; [unrolled: 1-line block ×19, first 2 shown]
	s_waitcnt lgkmcnt(0)
	s_barrier
.LBB555_48:
	v_mul_u32_u24_e32 v28, 20, v0
	v_lshlrev_b32_e32 v6, 1, v28
	ds_read_b64 v[14:15], v6 offset:32
	ds_read2_b64 v[2:5], v6 offset0:2 offset1:3
	ds_read2_b64 v[6:9], v6 offset1:1
	s_add_u32 s2, s6, s4
	s_addc_u32 s3, s7, s5
	s_add_u32 s2, s2, s8
	s_addc_u32 s3, s3, s9
	s_mov_b64 s[4:5], -1
	s_and_b64 vcc, exec, s[30:31]
	s_waitcnt lgkmcnt(0)
	s_barrier
	s_cbranch_vccz .LBB555_50
; %bb.49:
	global_load_ushort v18, v1, s[2:3]
	global_load_ushort v19, v1, s[2:3] offset:512
	global_load_ushort v20, v1, s[2:3] offset:1024
	v_mov_b32_e32 v10, s3
	v_add_co_u32_e32 v16, vcc, s2, v1
	s_movk_i32 s5, 0x2000
	v_addc_co_u32_e32 v17, vcc, 0, v10, vcc
	v_add_co_u32_e32 v10, vcc, s5, v16
	global_load_ushort v21, v1, s[2:3] offset:1536
	global_load_ushort v22, v1, s[2:3] offset:2048
	;; [unrolled: 1-line block ×5, first 2 shown]
	v_addc_co_u32_e32 v11, vcc, 0, v17, vcc
	global_load_ushort v26, v[10:11], off offset:-4096
	s_movk_i32 s4, 0x1000
	v_add_co_u32_e32 v16, vcc, s4, v16
	v_addc_co_u32_e32 v17, vcc, 0, v17, vcc
	global_load_ushort v27, v[16:17], off offset:512
	global_load_ushort v29, v[16:17], off offset:1024
	;; [unrolled: 1-line block ×7, first 2 shown]
	global_load_ushort v35, v[10:11], off
	global_load_ushort v36, v[10:11], off offset:512
	global_load_ushort v37, v[10:11], off offset:1024
	;; [unrolled: 1-line block ×3, first 2 shown]
	s_mov_b64 s[4:5], 0
	s_waitcnt vmcnt(19)
	v_cmp_ne_u16_e32 vcc, 0, v18
	v_cndmask_b32_e64 v10, 0, 1, vcc
	s_waitcnt vmcnt(18)
	v_cmp_ne_u16_e32 vcc, 0, v19
	v_cndmask_b32_e64 v11, 0, 1, vcc
	;; [unrolled: 3-line block ×8, first 2 shown]
	s_waitcnt vmcnt(11)
	v_cmp_ne_u16_e32 vcc, 0, v26
	ds_write_b8 v0, v10
	ds_write_b8 v0, v11 offset:256
	ds_write_b8 v0, v16 offset:512
	;; [unrolled: 1-line block ×7, first 2 shown]
	v_cndmask_b32_e64 v10, 0, 1, vcc
	s_waitcnt vmcnt(10)
	v_cmp_ne_u16_e32 vcc, 0, v27
	v_cndmask_b32_e64 v11, 0, 1, vcc
	s_waitcnt vmcnt(9)
	v_cmp_ne_u16_e32 vcc, 0, v29
	;; [unrolled: 3-line block ×11, first 2 shown]
	v_cndmask_b32_e64 v25, 0, 1, vcc
	ds_write_b8 v0, v10 offset:2048
	ds_write_b8 v0, v11 offset:2304
	ds_write_b8 v0, v16 offset:2560
	ds_write_b8 v0, v17 offset:2816
	ds_write_b8 v0, v18 offset:3072
	ds_write_b8 v0, v19 offset:3328
	ds_write_b8 v0, v20 offset:3584
	ds_write_b8 v0, v21 offset:3840
	ds_write_b8 v0, v22 offset:4096
	ds_write_b8 v0, v23 offset:4352
	ds_write_b8 v0, v24 offset:4608
	ds_write_b8 v0, v25 offset:4864
	s_waitcnt lgkmcnt(0)
	s_barrier
.LBB555_50:
	s_andn2_b64 vcc, exec, s[4:5]
	s_cbranch_vccnz .LBB555_92
; %bb.51:
	v_cmp_gt_u32_e32 vcc, s33, v0
	v_mov_b32_e32 v10, 0
	v_mov_b32_e32 v11, 0
	s_and_saveexec_b64 s[4:5], vcc
	s_cbranch_execz .LBB555_53
; %bb.52:
	global_load_ushort v11, v1, s[2:3]
	s_waitcnt vmcnt(0)
	v_cmp_ne_u16_e32 vcc, 0, v11
	v_cndmask_b32_e64 v11, 0, 1, vcc
.LBB555_53:
	s_or_b64 exec, exec, s[4:5]
	v_or_b32_e32 v16, 0x100, v0
	v_cmp_gt_u32_e32 vcc, s33, v16
	s_and_saveexec_b64 s[4:5], vcc
	s_cbranch_execz .LBB555_55
; %bb.54:
	global_load_ushort v10, v1, s[2:3] offset:512
	s_waitcnt vmcnt(0)
	v_cmp_ne_u16_e32 vcc, 0, v10
	v_cndmask_b32_e64 v10, 0, 1, vcc
.LBB555_55:
	s_or_b64 exec, exec, s[4:5]
	v_or_b32_e32 v16, 0x200, v0
	v_cmp_gt_u32_e32 vcc, s33, v16
	v_mov_b32_e32 v16, 0
	v_mov_b32_e32 v17, 0
	s_and_saveexec_b64 s[4:5], vcc
	s_cbranch_execz .LBB555_57
; %bb.56:
	global_load_ushort v17, v1, s[2:3] offset:1024
	s_waitcnt vmcnt(0)
	v_cmp_ne_u16_e32 vcc, 0, v17
	v_cndmask_b32_e64 v17, 0, 1, vcc
.LBB555_57:
	s_or_b64 exec, exec, s[4:5]
	v_or_b32_e32 v18, 0x300, v0
	v_cmp_gt_u32_e32 vcc, s33, v18
	s_and_saveexec_b64 s[4:5], vcc
	s_cbranch_execz .LBB555_59
; %bb.58:
	global_load_ushort v16, v1, s[2:3] offset:1536
	s_waitcnt vmcnt(0)
	v_cmp_ne_u16_e32 vcc, 0, v16
	v_cndmask_b32_e64 v16, 0, 1, vcc
.LBB555_59:
	s_or_b64 exec, exec, s[4:5]
	v_or_b32_e32 v18, 0x400, v0
	v_cmp_gt_u32_e32 vcc, s33, v18
	v_mov_b32_e32 v18, 0
	v_mov_b32_e32 v19, 0
	s_and_saveexec_b64 s[4:5], vcc
	s_cbranch_execz .LBB555_61
; %bb.60:
	global_load_ushort v19, v1, s[2:3] offset:2048
	s_waitcnt vmcnt(0)
	v_cmp_ne_u16_e32 vcc, 0, v19
	v_cndmask_b32_e64 v19, 0, 1, vcc
.LBB555_61:
	;; [unrolled: 24-line block ×3, first 2 shown]
	s_or_b64 exec, exec, s[4:5]
	v_or_b32_e32 v22, 0x700, v0
	v_cmp_gt_u32_e32 vcc, s33, v22
	s_and_saveexec_b64 s[4:5], vcc
	s_cbranch_execz .LBB555_67
; %bb.66:
	global_load_ushort v20, v1, s[2:3] offset:3584
	s_waitcnt vmcnt(0)
	v_cmp_ne_u16_e32 vcc, 0, v20
	v_cndmask_b32_e64 v20, 0, 1, vcc
.LBB555_67:
	s_or_b64 exec, exec, s[4:5]
	v_or_b32_e32 v24, 0x800, v0
	v_cmp_gt_u32_e32 vcc, s33, v24
	v_mov_b32_e32 v22, 0
	v_mov_b32_e32 v23, 0
	s_and_saveexec_b64 s[4:5], vcc
	s_cbranch_execz .LBB555_69
; %bb.68:
	v_lshlrev_b32_e32 v23, 1, v24
	global_load_ushort v23, v23, s[2:3]
	s_waitcnt vmcnt(0)
	v_cmp_ne_u16_e32 vcc, 0, v23
	v_cndmask_b32_e64 v23, 0, 1, vcc
.LBB555_69:
	s_or_b64 exec, exec, s[4:5]
	v_or_b32_e32 v24, 0x900, v0
	v_cmp_gt_u32_e32 vcc, s33, v24
	s_and_saveexec_b64 s[4:5], vcc
	s_cbranch_execz .LBB555_71
; %bb.70:
	v_lshlrev_b32_e32 v22, 1, v24
	global_load_ushort v22, v22, s[2:3]
	s_waitcnt vmcnt(0)
	v_cmp_ne_u16_e32 vcc, 0, v22
	v_cndmask_b32_e64 v22, 0, 1, vcc
.LBB555_71:
	s_or_b64 exec, exec, s[4:5]
	v_or_b32_e32 v26, 0xa00, v0
	v_cmp_gt_u32_e32 vcc, s33, v26
	v_mov_b32_e32 v24, 0
	v_mov_b32_e32 v25, 0
	s_and_saveexec_b64 s[4:5], vcc
	s_cbranch_execz .LBB555_73
; %bb.72:
	v_lshlrev_b32_e32 v25, 1, v26
	global_load_ushort v25, v25, s[2:3]
	s_waitcnt vmcnt(0)
	v_cmp_ne_u16_e32 vcc, 0, v25
	v_cndmask_b32_e64 v25, 0, 1, vcc
.LBB555_73:
	s_or_b64 exec, exec, s[4:5]
	v_or_b32_e32 v26, 0xb00, v0
	v_cmp_gt_u32_e32 vcc, s33, v26
	s_and_saveexec_b64 s[4:5], vcc
	s_cbranch_execz .LBB555_75
; %bb.74:
	v_lshlrev_b32_e32 v24, 1, v26
	global_load_ushort v24, v24, s[2:3]
	s_waitcnt vmcnt(0)
	v_cmp_ne_u16_e32 vcc, 0, v24
	v_cndmask_b32_e64 v24, 0, 1, vcc
.LBB555_75:
	;; [unrolled: 26-line block ×6, first 2 shown]
	s_or_b64 exec, exec, s[4:5]
	ds_write_b8 v0, v11
	ds_write_b8 v0, v10 offset:256
	ds_write_b8 v0, v17 offset:512
	;; [unrolled: 1-line block ×19, first 2 shown]
	s_waitcnt lgkmcnt(0)
	s_barrier
.LBB555_92:
	ds_read2_b32 v[18:19], v28 offset1:1
	ds_read2_b32 v[16:17], v28 offset0:2 offset1:3
	ds_read_b32 v30, v28 offset:16
	s_cmp_lg_u32 s42, 0
	v_lshrrev_b32_e32 v49, 6, v0
	s_waitcnt lgkmcnt(2)
	v_lshrrev_b32_e32 v35, 24, v18
	v_bfe_u32 v47, v18, 16, 8
	v_add_u32_sdwa v10, v18, v18 dst_sel:DWORD dst_unused:UNUSED_PAD src0_sel:BYTE_1 src1_sel:BYTE_0
	v_and_b32_e32 v44, 0xff, v19
	v_bfe_u32 v45, v19, 8, 8
	v_add3_u32 v10, v10, v47, v35
	v_lshrrev_b32_e32 v34, 24, v19
	v_bfe_u32 v46, v19, 16, 8
	v_add3_u32 v10, v10, v44, v45
	s_waitcnt lgkmcnt(1)
	v_and_b32_e32 v41, 0xff, v16
	v_bfe_u32 v42, v16, 8, 8
	v_add3_u32 v10, v10, v46, v34
	v_lshrrev_b32_e32 v33, 24, v16
	v_bfe_u32 v43, v16, 16, 8
	v_add3_u32 v10, v10, v41, v42
	v_and_b32_e32 v38, 0xff, v17
	v_bfe_u32 v39, v17, 8, 8
	v_add3_u32 v10, v10, v43, v33
	v_lshrrev_b32_e32 v32, 24, v17
	v_bfe_u32 v40, v17, 16, 8
	v_add3_u32 v10, v10, v38, v39
	s_waitcnt lgkmcnt(0)
	v_and_b32_e32 v36, 0xff, v30
	v_bfe_u32 v37, v30, 8, 8
	v_add3_u32 v10, v10, v40, v32
	v_lshrrev_b32_e32 v29, 24, v30
	v_bfe_u32 v31, v30, 16, 8
	v_add3_u32 v10, v10, v36, v37
	v_add3_u32 v50, v10, v31, v29
	v_mbcnt_lo_u32_b32 v10, -1, 0
	v_mbcnt_hi_u32_b32 v48, -1, v10
	v_and_b32_e32 v10, 15, v48
	v_cmp_eq_u32_e64 s[14:15], 0, v10
	v_cmp_lt_u32_e64 s[12:13], 1, v10
	v_cmp_lt_u32_e64 s[10:11], 3, v10
	;; [unrolled: 1-line block ×3, first 2 shown]
	v_and_b32_e32 v10, 16, v48
	v_cmp_eq_u32_e64 s[6:7], 0, v10
	v_or_b32_e32 v10, 63, v0
	v_cmp_lt_u32_e64 s[2:3], 31, v48
	v_cmp_eq_u32_e64 s[4:5], v10, v0
	s_barrier
	s_cbranch_scc0 .LBB555_123
; %bb.93:
	v_mov_b32_dpp v10, v50 row_shr:1 row_mask:0xf bank_mask:0xf
	v_cndmask_b32_e64 v10, v10, 0, s[14:15]
	v_add_u32_e32 v10, v10, v50
	s_nop 1
	v_mov_b32_dpp v11, v10 row_shr:2 row_mask:0xf bank_mask:0xf
	v_cndmask_b32_e64 v11, 0, v11, s[12:13]
	v_add_u32_e32 v10, v10, v11
	s_nop 1
	;; [unrolled: 4-line block ×4, first 2 shown]
	v_mov_b32_dpp v11, v10 row_bcast:15 row_mask:0xf bank_mask:0xf
	v_cndmask_b32_e64 v11, v11, 0, s[6:7]
	v_add_u32_e32 v10, v10, v11
	s_nop 1
	v_mov_b32_dpp v11, v10 row_bcast:31 row_mask:0xf bank_mask:0xf
	v_cndmask_b32_e64 v11, 0, v11, s[2:3]
	v_add_u32_e32 v10, v10, v11
	s_and_saveexec_b64 s[16:17], s[4:5]
	s_cbranch_execz .LBB555_95
; %bb.94:
	v_lshlrev_b32_e32 v11, 2, v49
	ds_write_b32 v11, v10
.LBB555_95:
	s_or_b64 exec, exec, s[16:17]
	v_cmp_gt_u32_e32 vcc, 4, v0
	s_waitcnt lgkmcnt(0)
	s_barrier
	s_and_saveexec_b64 s[16:17], vcc
	s_cbranch_execz .LBB555_97
; %bb.96:
	v_lshlrev_b32_e32 v11, 2, v0
	ds_read_b32 v20, v11
	v_and_b32_e32 v21, 3, v48
	v_cmp_ne_u32_e32 vcc, 0, v21
	s_waitcnt lgkmcnt(0)
	v_mov_b32_dpp v22, v20 row_shr:1 row_mask:0xf bank_mask:0xf
	v_cndmask_b32_e32 v22, 0, v22, vcc
	v_add_u32_e32 v20, v22, v20
	v_cmp_lt_u32_e32 vcc, 1, v21
	s_nop 0
	v_mov_b32_dpp v22, v20 row_shr:2 row_mask:0xf bank_mask:0xf
	v_cndmask_b32_e32 v21, 0, v22, vcc
	v_add_u32_e32 v20, v20, v21
	ds_write_b32 v11, v20
.LBB555_97:
	s_or_b64 exec, exec, s[16:17]
	v_cmp_gt_u32_e32 vcc, 64, v0
	v_cmp_lt_u32_e64 s[16:17], 63, v0
	s_waitcnt lgkmcnt(0)
	s_barrier
	s_waitcnt lgkmcnt(0)
                                        ; implicit-def: $vgpr51
	s_and_saveexec_b64 s[36:37], s[16:17]
	s_cbranch_execz .LBB555_99
; %bb.98:
	v_lshl_add_u32 v11, v49, 2, -4
	ds_read_b32 v51, v11
	s_waitcnt lgkmcnt(0)
	v_add_u32_e32 v10, v51, v10
.LBB555_99:
	s_or_b64 exec, exec, s[36:37]
	v_add_u32_e32 v11, -1, v48
	v_and_b32_e32 v20, 64, v48
	v_cmp_lt_i32_e64 s[16:17], v11, v20
	v_cndmask_b32_e64 v11, v11, v48, s[16:17]
	v_lshlrev_b32_e32 v11, 2, v11
	ds_bpermute_b32 v52, v11, v10
	v_cmp_eq_u32_e64 s[16:17], 0, v48
	s_and_saveexec_b64 s[36:37], vcc
	s_cbranch_execz .LBB555_122
; %bb.100:
	v_mov_b32_e32 v27, 0
	ds_read_b32 v10, v27 offset:12
	s_and_saveexec_b64 s[38:39], s[16:17]
	s_cbranch_execz .LBB555_102
; %bb.101:
	s_add_i32 s40, s42, 64
	s_mov_b32 s41, 0
	s_lshl_b64 s[40:41], s[40:41], 3
	s_add_u32 s40, s34, s40
	v_mov_b32_e32 v11, 1
	s_addc_u32 s41, s35, s41
	s_waitcnt lgkmcnt(0)
	global_store_dwordx2 v27, v[10:11], s[40:41]
.LBB555_102:
	s_or_b64 exec, exec, s[38:39]
	v_xad_u32 v20, v48, -1, s42
	v_add_u32_e32 v26, 64, v20
	v_lshlrev_b64 v[22:23], 3, v[26:27]
	v_mov_b32_e32 v11, s35
	v_add_co_u32_e32 v22, vcc, s34, v22
	v_addc_co_u32_e32 v23, vcc, v11, v23, vcc
	global_load_dwordx2 v[24:25], v[22:23], off glc
	s_waitcnt vmcnt(0)
	v_cmp_eq_u16_sdwa s[40:41], v25, v27 src0_sel:BYTE_0 src1_sel:DWORD
	s_and_saveexec_b64 s[38:39], s[40:41]
	s_cbranch_execz .LBB555_108
; %bb.103:
	s_mov_b32 s29, 1
	s_mov_b64 s[40:41], 0
	v_mov_b32_e32 v11, 0
.LBB555_104:                            ; =>This Loop Header: Depth=1
                                        ;     Child Loop BB555_105 Depth 2
	s_max_u32 s43, s29, 1
.LBB555_105:                            ;   Parent Loop BB555_104 Depth=1
                                        ; =>  This Inner Loop Header: Depth=2
	s_add_i32 s43, s43, -1
	s_cmp_eq_u32 s43, 0
	s_sleep 1
	s_cbranch_scc0 .LBB555_105
; %bb.106:                              ;   in Loop: Header=BB555_104 Depth=1
	global_load_dwordx2 v[24:25], v[22:23], off glc
	s_cmp_lt_u32 s29, 32
	s_cselect_b64 s[44:45], -1, 0
	s_cmp_lg_u64 s[44:45], 0
	s_addc_u32 s29, s29, 0
	s_waitcnt vmcnt(0)
	v_cmp_ne_u16_sdwa s[44:45], v25, v11 src0_sel:BYTE_0 src1_sel:DWORD
	s_or_b64 s[40:41], s[44:45], s[40:41]
	s_andn2_b64 exec, exec, s[40:41]
	s_cbranch_execnz .LBB555_104
; %bb.107:
	s_or_b64 exec, exec, s[40:41]
.LBB555_108:
	s_or_b64 exec, exec, s[38:39]
	v_and_b32_e32 v54, 63, v48
	v_mov_b32_e32 v53, 2
	v_cmp_ne_u32_e32 vcc, 63, v54
	v_cmp_eq_u16_sdwa s[38:39], v25, v53 src0_sel:BYTE_0 src1_sel:DWORD
	v_lshlrev_b64 v[22:23], v48, -1
	v_addc_co_u32_e32 v26, vcc, 0, v48, vcc
	v_and_b32_e32 v11, s39, v23
	v_lshlrev_b32_e32 v55, 2, v26
	v_or_b32_e32 v11, 0x80000000, v11
	ds_bpermute_b32 v26, v55, v24
	v_and_b32_e32 v21, s38, v22
	v_ffbl_b32_e32 v11, v11
	v_add_u32_e32 v11, 32, v11
	v_ffbl_b32_e32 v21, v21
	v_min_u32_e32 v11, v21, v11
	v_cmp_lt_u32_e32 vcc, v54, v11
	s_waitcnt lgkmcnt(0)
	v_cndmask_b32_e32 v21, 0, v26, vcc
	v_cmp_gt_u32_e32 vcc, 62, v54
	v_add_u32_e32 v21, v21, v24
	v_cndmask_b32_e64 v24, 0, 1, vcc
	v_lshlrev_b32_e32 v24, 1, v24
	v_add_lshl_u32 v56, v24, v48, 2
	ds_bpermute_b32 v24, v56, v21
	v_add_u32_e32 v57, 2, v54
	v_cmp_le_u32_e32 vcc, v57, v11
	v_add_u32_e32 v59, 4, v54
	v_add_u32_e32 v61, 8, v54
	s_waitcnt lgkmcnt(0)
	v_cndmask_b32_e32 v24, 0, v24, vcc
	v_cmp_gt_u32_e32 vcc, 60, v54
	v_add_u32_e32 v21, v21, v24
	v_cndmask_b32_e64 v24, 0, 1, vcc
	v_lshlrev_b32_e32 v24, 2, v24
	v_add_lshl_u32 v58, v24, v48, 2
	ds_bpermute_b32 v24, v58, v21
	v_cmp_le_u32_e32 vcc, v59, v11
	v_add_u32_e32 v63, 16, v54
	v_add_u32_e32 v65, 32, v54
	s_waitcnt lgkmcnt(0)
	v_cndmask_b32_e32 v24, 0, v24, vcc
	v_cmp_gt_u32_e32 vcc, 56, v54
	v_add_u32_e32 v21, v21, v24
	v_cndmask_b32_e64 v24, 0, 1, vcc
	v_lshlrev_b32_e32 v24, 3, v24
	v_add_lshl_u32 v60, v24, v48, 2
	ds_bpermute_b32 v24, v60, v21
	v_cmp_le_u32_e32 vcc, v61, v11
	s_waitcnt lgkmcnt(0)
	v_cndmask_b32_e32 v24, 0, v24, vcc
	v_cmp_gt_u32_e32 vcc, 48, v54
	v_add_u32_e32 v21, v21, v24
	v_cndmask_b32_e64 v24, 0, 1, vcc
	v_lshlrev_b32_e32 v24, 4, v24
	v_add_lshl_u32 v62, v24, v48, 2
	ds_bpermute_b32 v24, v62, v21
	v_cmp_le_u32_e32 vcc, v63, v11
	;; [unrolled: 9-line block ×3, first 2 shown]
	s_waitcnt lgkmcnt(0)
	v_cndmask_b32_e32 v11, 0, v24, vcc
	v_add_u32_e32 v24, v21, v11
	v_mov_b32_e32 v21, 0
	s_branch .LBB555_110
.LBB555_109:                            ;   in Loop: Header=BB555_110 Depth=1
	s_or_b64 exec, exec, s[38:39]
	v_cmp_eq_u16_sdwa s[38:39], v25, v53 src0_sel:BYTE_0 src1_sel:DWORD
	v_and_b32_e32 v26, s39, v23
	v_or_b32_e32 v26, 0x80000000, v26
	ds_bpermute_b32 v66, v55, v24
	v_and_b32_e32 v27, s38, v22
	v_ffbl_b32_e32 v26, v26
	v_add_u32_e32 v26, 32, v26
	v_ffbl_b32_e32 v27, v27
	v_min_u32_e32 v26, v27, v26
	v_cmp_lt_u32_e32 vcc, v54, v26
	s_waitcnt lgkmcnt(0)
	v_cndmask_b32_e32 v27, 0, v66, vcc
	v_add_u32_e32 v24, v27, v24
	ds_bpermute_b32 v27, v56, v24
	v_cmp_le_u32_e32 vcc, v57, v26
	v_subrev_u32_e32 v20, 64, v20
	s_waitcnt lgkmcnt(0)
	v_cndmask_b32_e32 v27, 0, v27, vcc
	v_add_u32_e32 v24, v24, v27
	ds_bpermute_b32 v27, v58, v24
	v_cmp_le_u32_e32 vcc, v59, v26
	s_waitcnt lgkmcnt(0)
	v_cndmask_b32_e32 v27, 0, v27, vcc
	v_add_u32_e32 v24, v24, v27
	ds_bpermute_b32 v27, v60, v24
	v_cmp_le_u32_e32 vcc, v61, v26
	;; [unrolled: 5-line block ×4, first 2 shown]
	s_waitcnt lgkmcnt(0)
	v_cndmask_b32_e32 v26, 0, v27, vcc
	v_add3_u32 v24, v26, v11, v24
.LBB555_110:                            ; =>This Loop Header: Depth=1
                                        ;     Child Loop BB555_113 Depth 2
                                        ;       Child Loop BB555_114 Depth 3
	v_cmp_ne_u16_sdwa s[38:39], v25, v53 src0_sel:BYTE_0 src1_sel:DWORD
	v_cndmask_b32_e64 v11, 0, 1, s[38:39]
	;;#ASMSTART
	;;#ASMEND
	v_cmp_ne_u32_e32 vcc, 0, v11
	s_cmp_lg_u64 vcc, exec
	v_mov_b32_e32 v11, v24
	s_cbranch_scc1 .LBB555_117
; %bb.111:                              ;   in Loop: Header=BB555_110 Depth=1
	v_lshlrev_b64 v[24:25], 3, v[20:21]
	v_mov_b32_e32 v27, s35
	v_add_co_u32_e32 v26, vcc, s34, v24
	v_addc_co_u32_e32 v27, vcc, v27, v25, vcc
	global_load_dwordx2 v[24:25], v[26:27], off glc
	s_waitcnt vmcnt(0)
	v_cmp_eq_u16_sdwa s[40:41], v25, v21 src0_sel:BYTE_0 src1_sel:DWORD
	s_and_saveexec_b64 s[38:39], s[40:41]
	s_cbranch_execz .LBB555_109
; %bb.112:                              ;   in Loop: Header=BB555_110 Depth=1
	s_mov_b32 s29, 1
	s_mov_b64 s[40:41], 0
.LBB555_113:                            ;   Parent Loop BB555_110 Depth=1
                                        ; =>  This Loop Header: Depth=2
                                        ;       Child Loop BB555_114 Depth 3
	s_max_u32 s43, s29, 1
.LBB555_114:                            ;   Parent Loop BB555_110 Depth=1
                                        ;     Parent Loop BB555_113 Depth=2
                                        ; =>    This Inner Loop Header: Depth=3
	s_add_i32 s43, s43, -1
	s_cmp_eq_u32 s43, 0
	s_sleep 1
	s_cbranch_scc0 .LBB555_114
; %bb.115:                              ;   in Loop: Header=BB555_113 Depth=2
	global_load_dwordx2 v[24:25], v[26:27], off glc
	s_cmp_lt_u32 s29, 32
	s_cselect_b64 s[44:45], -1, 0
	s_cmp_lg_u64 s[44:45], 0
	s_addc_u32 s29, s29, 0
	s_waitcnt vmcnt(0)
	v_cmp_ne_u16_sdwa s[44:45], v25, v21 src0_sel:BYTE_0 src1_sel:DWORD
	s_or_b64 s[40:41], s[44:45], s[40:41]
	s_andn2_b64 exec, exec, s[40:41]
	s_cbranch_execnz .LBB555_113
; %bb.116:                              ;   in Loop: Header=BB555_110 Depth=1
	s_or_b64 exec, exec, s[40:41]
	s_branch .LBB555_109
.LBB555_117:                            ;   in Loop: Header=BB555_110 Depth=1
                                        ; implicit-def: $vgpr24
                                        ; implicit-def: $vgpr25
	s_cbranch_execz .LBB555_110
; %bb.118:
	s_and_saveexec_b64 s[38:39], s[16:17]
	s_cbranch_execz .LBB555_120
; %bb.119:
	s_add_i32 s40, s42, 64
	s_mov_b32 s41, 0
	s_lshl_b64 s[40:41], s[40:41], 3
	s_add_u32 s40, s34, s40
	v_add_u32_e32 v20, v11, v10
	v_mov_b32_e32 v21, 2
	s_addc_u32 s41, s35, s41
	v_mov_b32_e32 v22, 0
	global_store_dwordx2 v22, v[20:21], s[40:41]
	ds_write_b64 v22, v[10:11] offset:10240
.LBB555_120:
	s_or_b64 exec, exec, s[38:39]
	s_and_b64 exec, exec, s[0:1]
	s_cbranch_execz .LBB555_122
; %bb.121:
	v_mov_b32_e32 v10, 0
	ds_write_b32 v10, v11 offset:12
.LBB555_122:
	s_or_b64 exec, exec, s[36:37]
	v_mov_b32_e32 v10, 0
	s_waitcnt lgkmcnt(0)
	s_barrier
	ds_read_b32 v20, v10 offset:12
	s_waitcnt lgkmcnt(0)
	s_barrier
	ds_read_b64 v[10:11], v10 offset:10240
	v_cndmask_b32_e64 v21, v52, v51, s[16:17]
	v_cndmask_b32_e64 v21, v21, 0, s[0:1]
	v_add_u32_e32 v24, v20, v21
	s_branch .LBB555_133
.LBB555_123:
                                        ; implicit-def: $vgpr11
                                        ; implicit-def: $vgpr24
	s_cbranch_execz .LBB555_133
; %bb.124:
	s_waitcnt lgkmcnt(0)
	v_mov_b32_dpp v10, v50 row_shr:1 row_mask:0xf bank_mask:0xf
	v_cndmask_b32_e64 v10, v10, 0, s[14:15]
	v_add_u32_e32 v10, v10, v50
	s_nop 1
	v_mov_b32_dpp v11, v10 row_shr:2 row_mask:0xf bank_mask:0xf
	v_cndmask_b32_e64 v11, 0, v11, s[12:13]
	v_add_u32_e32 v10, v10, v11
	s_nop 1
	;; [unrolled: 4-line block ×4, first 2 shown]
	v_mov_b32_dpp v11, v10 row_bcast:15 row_mask:0xf bank_mask:0xf
	v_cndmask_b32_e64 v11, v11, 0, s[6:7]
	v_add_u32_e32 v10, v10, v11
	s_nop 1
	v_mov_b32_dpp v11, v10 row_bcast:31 row_mask:0xf bank_mask:0xf
	v_cndmask_b32_e64 v11, 0, v11, s[2:3]
	v_add_u32_e32 v10, v10, v11
	s_and_saveexec_b64 s[2:3], s[4:5]
	s_cbranch_execz .LBB555_126
; %bb.125:
	v_lshlrev_b32_e32 v11, 2, v49
	ds_write_b32 v11, v10
.LBB555_126:
	s_or_b64 exec, exec, s[2:3]
	v_cmp_gt_u32_e32 vcc, 4, v0
	s_waitcnt lgkmcnt(0)
	s_barrier
	s_and_saveexec_b64 s[2:3], vcc
	s_cbranch_execz .LBB555_128
; %bb.127:
	v_lshlrev_b32_e32 v11, 2, v0
	ds_read_b32 v20, v11
	v_and_b32_e32 v21, 3, v48
	v_cmp_ne_u32_e32 vcc, 0, v21
	s_waitcnt lgkmcnt(0)
	v_mov_b32_dpp v22, v20 row_shr:1 row_mask:0xf bank_mask:0xf
	v_cndmask_b32_e32 v22, 0, v22, vcc
	v_add_u32_e32 v20, v22, v20
	v_cmp_lt_u32_e32 vcc, 1, v21
	s_nop 0
	v_mov_b32_dpp v22, v20 row_shr:2 row_mask:0xf bank_mask:0xf
	v_cndmask_b32_e32 v21, 0, v22, vcc
	v_add_u32_e32 v20, v20, v21
	ds_write_b32 v11, v20
.LBB555_128:
	s_or_b64 exec, exec, s[2:3]
	v_cmp_lt_u32_e32 vcc, 63, v0
	v_mov_b32_e32 v11, 0
	v_mov_b32_e32 v20, 0
	s_waitcnt lgkmcnt(0)
	s_barrier
	s_and_saveexec_b64 s[2:3], vcc
	s_cbranch_execz .LBB555_130
; %bb.129:
	v_lshl_add_u32 v20, v49, 2, -4
	ds_read_b32 v20, v20
.LBB555_130:
	s_or_b64 exec, exec, s[2:3]
	v_add_u32_e32 v21, -1, v48
	v_and_b32_e32 v22, 64, v48
	v_cmp_lt_i32_e32 vcc, v21, v22
	v_cndmask_b32_e32 v21, v21, v48, vcc
	s_waitcnt lgkmcnt(0)
	v_add_u32_e32 v10, v20, v10
	v_lshlrev_b32_e32 v21, 2, v21
	ds_bpermute_b32 v21, v21, v10
	ds_read_b32 v10, v11 offset:12
	s_and_saveexec_b64 s[2:3], s[0:1]
	s_cbranch_execz .LBB555_132
; %bb.131:
	v_mov_b32_e32 v22, 0
	v_mov_b32_e32 v11, 2
	s_waitcnt lgkmcnt(0)
	global_store_dwordx2 v22, v[10:11], s[34:35] offset:512
.LBB555_132:
	s_or_b64 exec, exec, s[2:3]
	v_cmp_eq_u32_e32 vcc, 0, v48
	s_waitcnt lgkmcnt(1)
	v_cndmask_b32_e32 v20, v21, v20, vcc
	v_mov_b32_e32 v11, 0
	v_cndmask_b32_e64 v24, v20, 0, s[0:1]
	s_waitcnt lgkmcnt(0)
	s_barrier
.LBB555_133:
	v_add_u32_sdwa v26, v24, v18 dst_sel:DWORD dst_unused:UNUSED_PAD src0_sel:DWORD src1_sel:BYTE_0
	s_waitcnt lgkmcnt(0)
	v_add_u32_e32 v28, v10, v28
	v_sub_u32_e32 v24, v24, v11
	v_and_b32_e32 v53, 1, v18
	v_sub_u32_e32 v52, v28, v24
	v_cmp_eq_u32_e32 vcc, 1, v53
	v_cndmask_b32_e32 v24, v52, v24, vcc
	v_lshlrev_b32_e32 v24, 1, v24
	v_lshrrev_b32_e32 v25, 8, v18
	ds_write_b16 v24, v6
	v_sub_u32_e32 v24, v26, v11
	v_add_u32_sdwa v27, v26, v18 dst_sel:DWORD dst_unused:UNUSED_PAD src0_sel:DWORD src1_sel:BYTE_1
	v_sub_u32_e32 v26, v28, v24
	v_and_b32_e32 v25, 1, v25
	v_add_u32_e32 v26, 1, v26
	v_cmp_eq_u32_e32 vcc, 1, v25
	v_cndmask_b32_e32 v24, v26, v24, vcc
	v_lshlrev_b32_e32 v24, 1, v24
	ds_write_b16_d16_hi v24, v6
	v_sub_u32_e32 v6, v27, v11
	v_mov_b32_e32 v25, 1
	v_sub_u32_e32 v24, v28, v6
	v_and_b32_sdwa v18, v25, v18 dst_sel:DWORD dst_unused:UNUSED_PAD src0_sel:DWORD src1_sel:WORD_1
	v_add_u32_e32 v24, 2, v24
	v_cmp_eq_u32_e32 vcc, 1, v18
	v_cndmask_b32_e32 v6, v24, v6, vcc
	v_add_u32_e32 v47, v27, v47
	v_lshlrev_b32_e32 v6, 1, v6
	ds_write_b16 v6, v7
	v_sub_u32_e32 v6, v47, v11
	v_sub_u32_e32 v18, v28, v6
	v_and_b32_e32 v24, 1, v35
	v_add_u32_e32 v18, 3, v18
	v_cmp_eq_u32_e32 vcc, 1, v24
	v_cndmask_b32_e32 v6, v18, v6, vcc
	v_add_u32_e32 v48, v47, v35
	v_lshlrev_b32_e32 v6, 1, v6
	ds_write_b16_d16_hi v6, v7
	v_sub_u32_e32 v6, v48, v11
	v_sub_u32_e32 v7, v28, v6
	v_and_b32_e32 v18, 1, v19
	v_add_u32_e32 v7, 4, v7
	v_cmp_eq_u32_e32 vcc, 1, v18
	v_cndmask_b32_e32 v6, v7, v6, vcc
	v_add_u32_e32 v44, v48, v44
	v_lshlrev_b32_e32 v6, 1, v6
	v_lshrrev_b32_e32 v23, 8, v19
	ds_write_b16 v6, v8
	v_sub_u32_e32 v6, v44, v11
	v_sub_u32_e32 v7, v28, v6
	v_and_b32_e32 v18, 1, v23
	v_add_u32_e32 v7, 5, v7
	v_cmp_eq_u32_e32 vcc, 1, v18
	v_cndmask_b32_e32 v6, v7, v6, vcc
	v_add_u32_e32 v45, v44, v45
	v_lshlrev_b32_e32 v6, 1, v6
	ds_write_b16_d16_hi v6, v8
	v_sub_u32_e32 v6, v45, v11
	v_sub_u32_e32 v7, v28, v6
	v_and_b32_sdwa v8, v25, v19 dst_sel:DWORD dst_unused:UNUSED_PAD src0_sel:DWORD src1_sel:WORD_1
	v_add_u32_e32 v7, 6, v7
	v_cmp_eq_u32_e32 vcc, 1, v8
	v_cndmask_b32_e32 v6, v7, v6, vcc
	v_add_u32_e32 v46, v45, v46
	v_lshlrev_b32_e32 v6, 1, v6
	ds_write_b16 v6, v9
	v_sub_u32_e32 v6, v46, v11
	v_sub_u32_e32 v7, v28, v6
	v_and_b32_e32 v8, 1, v34
	v_add_u32_e32 v7, 7, v7
	v_cmp_eq_u32_e32 vcc, 1, v8
	v_cndmask_b32_e32 v6, v7, v6, vcc
	v_add_u32_e32 v49, v46, v34
	v_lshlrev_b32_e32 v6, 1, v6
	ds_write_b16_d16_hi v6, v9
	v_sub_u32_e32 v6, v49, v11
	v_sub_u32_e32 v7, v28, v6
	v_and_b32_e32 v8, 1, v16
	v_add_u32_e32 v7, 8, v7
	v_cmp_eq_u32_e32 vcc, 1, v8
	v_cndmask_b32_e32 v6, v7, v6, vcc
	v_add_u32_e32 v41, v49, v41
	v_lshlrev_b32_e32 v6, 1, v6
	v_lshrrev_b32_e32 v22, 8, v16
	ds_write_b16 v6, v2
	v_sub_u32_e32 v6, v41, v11
	v_sub_u32_e32 v7, v28, v6
	v_and_b32_e32 v8, 1, v22
	v_add_u32_e32 v7, 9, v7
	v_cmp_eq_u32_e32 vcc, 1, v8
	v_cndmask_b32_e32 v6, v7, v6, vcc
	v_add_u32_e32 v42, v41, v42
	v_lshlrev_b32_e32 v6, 1, v6
	ds_write_b16_d16_hi v6, v2
	v_sub_u32_e32 v2, v42, v11
	;; [unrolled: 37-line block ×4, first 2 shown]
	v_sub_u32_e32 v3, v28, v2
	v_and_b32_sdwa v4, v25, v30 dst_sel:DWORD dst_unused:UNUSED_PAD src0_sel:DWORD src1_sel:WORD_1
	v_add_u32_e32 v3, 18, v3
	v_cmp_eq_u32_e32 vcc, 1, v4
	v_cndmask_b32_e32 v2, v3, v2, vcc
	v_lshlrev_b32_e32 v2, 1, v2
	ds_write_b16 v2, v15
	v_sub_u32_e32 v2, v31, v11
	v_add_u32_e32 v2, v37, v2
	v_sub_u32_e32 v3, v28, v2
	v_and_b32_e32 v4, 1, v29
	v_add_u32_e32 v3, 19, v3
	v_cmp_eq_u32_e32 vcc, 1, v4
	v_cndmask_b32_e32 v2, v3, v2, vcc
	v_lshlrev_b32_e32 v2, 1, v2
	ds_write_b16_d16_hi v2, v15
	s_waitcnt lgkmcnt(0)
	s_barrier
	ds_read_u16 v49, v1
	ds_read_u16 v47, v1 offset:512
	ds_read_u16 v45, v1 offset:1024
	;; [unrolled: 1-line block ×19, first 2 shown]
	s_add_u32 s2, s18, s28
	s_addc_u32 s3, s19, 0
	s_waitcnt vmcnt(0)
	v_add_co_u32_e32 v1, vcc, v12, v11
	s_sub_u32 s2, s26, s2
	v_addc_co_u32_e32 v4, vcc, 0, v13, vcc
	s_subb_u32 s3, s27, s3
	v_mov_b32_e32 v2, s3
	v_add_co_u32_e32 v3, vcc, s2, v10
	v_addc_co_u32_e32 v2, vcc, 0, v2, vcc
	v_add_co_u32_e64 v7, s[2:3], v3, v1
	v_or_b32_e32 v48, 0x100, v0
	v_or_b32_e32 v46, 0x200, v0
	;; [unrolled: 1-line block ×19, first 2 shown]
	s_andn2_b64 vcc, exec, s[30:31]
	v_addc_co_u32_e64 v8, s[2:3], v2, v4, s[2:3]
	s_cbranch_vccnz .LBB555_218
; %bb.134:
	v_cmp_ge_u32_e32 vcc, v0, v10
                                        ; implicit-def: $vgpr2_vgpr3
	s_and_saveexec_b64 s[2:3], vcc
	s_xor_b64 s[2:3], exec, s[2:3]
; %bb.135:
	v_not_b32_e32 v2, v0
	v_ashrrev_i32_e32 v3, 31, v2
	v_add_co_u32_e32 v2, vcc, v7, v2
	v_addc_co_u32_e32 v3, vcc, v8, v3, vcc
; %bb.136:
	s_andn2_saveexec_b64 s[2:3], s[2:3]
; %bb.137:
	v_add_co_u32_e32 v2, vcc, v1, v0
	v_addc_co_u32_e32 v3, vcc, 0, v4, vcc
; %bb.138:
	s_or_b64 exec, exec, s[2:3]
	v_lshlrev_b64 v[2:3], 1, v[2:3]
	v_mov_b32_e32 v11, s25
	v_add_co_u32_e32 v2, vcc, s24, v2
	v_addc_co_u32_e32 v3, vcc, v11, v3, vcc
	v_cmp_ge_u32_e32 vcc, v48, v10
	s_waitcnt lgkmcnt(14)
	global_store_short v[2:3], v49, off
                                        ; implicit-def: $vgpr2_vgpr3
	s_and_saveexec_b64 s[2:3], vcc
	s_xor_b64 s[2:3], exec, s[2:3]
; %bb.139:
	v_xor_b32_e32 v2, 0xfffffeff, v0
	v_ashrrev_i32_e32 v3, 31, v2
	v_add_co_u32_e32 v2, vcc, v7, v2
	v_addc_co_u32_e32 v3, vcc, v8, v3, vcc
; %bb.140:
	s_andn2_saveexec_b64 s[2:3], s[2:3]
; %bb.141:
	v_add_co_u32_e32 v2, vcc, v1, v48
	v_addc_co_u32_e32 v3, vcc, 0, v4, vcc
; %bb.142:
	s_or_b64 exec, exec, s[2:3]
	v_lshlrev_b64 v[2:3], 1, v[2:3]
	v_mov_b32_e32 v11, s25
	v_add_co_u32_e32 v2, vcc, s24, v2
	v_addc_co_u32_e32 v3, vcc, v11, v3, vcc
	v_cmp_ge_u32_e32 vcc, v46, v10
	global_store_short v[2:3], v47, off
                                        ; implicit-def: $vgpr2_vgpr3
	s_and_saveexec_b64 s[2:3], vcc
	s_xor_b64 s[2:3], exec, s[2:3]
; %bb.143:
	v_xor_b32_e32 v2, 0xfffffdff, v0
	v_ashrrev_i32_e32 v3, 31, v2
	v_add_co_u32_e32 v2, vcc, v7, v2
	v_addc_co_u32_e32 v3, vcc, v8, v3, vcc
; %bb.144:
	s_andn2_saveexec_b64 s[2:3], s[2:3]
; %bb.145:
	v_add_co_u32_e32 v2, vcc, v1, v46
	v_addc_co_u32_e32 v3, vcc, 0, v4, vcc
; %bb.146:
	s_or_b64 exec, exec, s[2:3]
	v_lshlrev_b64 v[2:3], 1, v[2:3]
	v_mov_b32_e32 v11, s25
	v_add_co_u32_e32 v2, vcc, s24, v2
	v_addc_co_u32_e32 v3, vcc, v11, v3, vcc
	v_cmp_ge_u32_e32 vcc, v44, v10
	;; [unrolled: 21-line block ×6, first 2 shown]
	s_waitcnt lgkmcnt(13)
	global_store_short v[2:3], v37, off
                                        ; implicit-def: $vgpr2_vgpr3
	s_and_saveexec_b64 s[2:3], vcc
	s_xor_b64 s[2:3], exec, s[2:3]
; %bb.163:
	v_xor_b32_e32 v2, 0xfffff8ff, v0
	v_ashrrev_i32_e32 v3, 31, v2
	v_add_co_u32_e32 v2, vcc, v7, v2
	v_addc_co_u32_e32 v3, vcc, v8, v3, vcc
; %bb.164:
	s_andn2_saveexec_b64 s[2:3], s[2:3]
; %bb.165:
	v_add_co_u32_e32 v2, vcc, v1, v36
	v_addc_co_u32_e32 v3, vcc, 0, v4, vcc
; %bb.166:
	s_or_b64 exec, exec, s[2:3]
	v_lshlrev_b64 v[2:3], 1, v[2:3]
	v_mov_b32_e32 v11, s25
	v_add_co_u32_e32 v2, vcc, s24, v2
	v_addc_co_u32_e32 v3, vcc, v11, v3, vcc
	v_cmp_ge_u32_e32 vcc, v34, v10
	s_waitcnt lgkmcnt(12)
	global_store_short v[2:3], v35, off
                                        ; implicit-def: $vgpr2_vgpr3
	s_and_saveexec_b64 s[2:3], vcc
	s_xor_b64 s[2:3], exec, s[2:3]
; %bb.167:
	v_xor_b32_e32 v2, 0xfffff7ff, v0
	v_ashrrev_i32_e32 v3, 31, v2
	v_add_co_u32_e32 v2, vcc, v7, v2
	v_addc_co_u32_e32 v3, vcc, v8, v3, vcc
; %bb.168:
	s_andn2_saveexec_b64 s[2:3], s[2:3]
; %bb.169:
	v_add_co_u32_e32 v2, vcc, v1, v34
	v_addc_co_u32_e32 v3, vcc, 0, v4, vcc
; %bb.170:
	s_or_b64 exec, exec, s[2:3]
	v_lshlrev_b64 v[2:3], 1, v[2:3]
	v_mov_b32_e32 v11, s25
	v_add_co_u32_e32 v2, vcc, s24, v2
	v_addc_co_u32_e32 v3, vcc, v11, v3, vcc
	v_cmp_ge_u32_e32 vcc, v32, v10
	;; [unrolled: 22-line block ×12, first 2 shown]
	s_waitcnt lgkmcnt(1)
	global_store_short v[2:3], v9, off
                                        ; implicit-def: $vgpr2_vgpr3
	s_and_saveexec_b64 s[2:3], vcc
	s_xor_b64 s[2:3], exec, s[2:3]
; %bb.211:
	v_xor_b32_e32 v2, 0xffffecff, v0
	v_ashrrev_i32_e32 v3, 31, v2
	v_add_co_u32_e32 v2, vcc, v7, v2
	v_addc_co_u32_e32 v3, vcc, v8, v3, vcc
; %bb.212:
	s_andn2_saveexec_b64 s[2:3], s[2:3]
; %bb.213:
	v_add_co_u32_e32 v2, vcc, v1, v6
	v_addc_co_u32_e32 v3, vcc, 0, v4, vcc
; %bb.214:
	s_or_b64 exec, exec, s[2:3]
	s_mov_b64 s[2:3], -1
.LBB555_215:
	s_and_saveexec_b64 s[4:5], s[2:3]
	s_cbranch_execz .LBB555_276
.LBB555_216:
	v_lshlrev_b64 v[2:3], 1, v[2:3]
	v_mov_b32_e32 v0, s25
	v_add_co_u32_e32 v2, vcc, s24, v2
	v_addc_co_u32_e32 v3, vcc, v0, v3, vcc
	s_waitcnt lgkmcnt(0)
	global_store_short v[2:3], v5, off
	s_or_b64 exec, exec, s[4:5]
	s_and_b64 s[0:1], s[0:1], s[22:23]
	s_and_saveexec_b64 s[2:3], s[0:1]
	s_cbranch_execnz .LBB555_277
.LBB555_217:
	s_endpgm
.LBB555_218:
	s_mov_b64 s[2:3], 0
                                        ; implicit-def: $vgpr2_vgpr3
	s_cbranch_execz .LBB555_215
; %bb.219:
	v_cmp_gt_u32_e32 vcc, s33, v0
	s_and_saveexec_b64 s[4:5], vcc
	s_cbranch_execz .LBB555_278
; %bb.220:
	v_cmp_ge_u32_e32 vcc, v0, v10
                                        ; implicit-def: $vgpr2_vgpr3
	s_and_saveexec_b64 s[6:7], vcc
	s_xor_b64 s[6:7], exec, s[6:7]
; %bb.221:
	v_not_b32_e32 v2, v0
	v_ashrrev_i32_e32 v3, 31, v2
	v_add_co_u32_e32 v2, vcc, v7, v2
	v_addc_co_u32_e32 v3, vcc, v8, v3, vcc
; %bb.222:
	s_andn2_saveexec_b64 s[6:7], s[6:7]
; %bb.223:
	v_add_co_u32_e32 v2, vcc, v1, v0
	v_addc_co_u32_e32 v3, vcc, 0, v4, vcc
; %bb.224:
	s_or_b64 exec, exec, s[6:7]
	v_lshlrev_b64 v[2:3], 1, v[2:3]
	v_mov_b32_e32 v11, s25
	v_add_co_u32_e32 v2, vcc, s24, v2
	v_addc_co_u32_e32 v3, vcc, v11, v3, vcc
	s_waitcnt lgkmcnt(14)
	global_store_short v[2:3], v49, off
	s_or_b64 exec, exec, s[4:5]
	v_cmp_gt_u32_e32 vcc, s33, v48
	s_and_saveexec_b64 s[4:5], vcc
	s_cbranch_execnz .LBB555_279
.LBB555_225:
	s_or_b64 exec, exec, s[4:5]
	v_cmp_gt_u32_e32 vcc, s33, v46
	s_and_saveexec_b64 s[4:5], vcc
	s_cbranch_execz .LBB555_284
.LBB555_226:
	v_cmp_ge_u32_e32 vcc, v46, v10
                                        ; implicit-def: $vgpr2_vgpr3
	s_and_saveexec_b64 s[6:7], vcc
	s_xor_b64 s[6:7], exec, s[6:7]
; %bb.227:
	v_xor_b32_e32 v2, 0xfffffdff, v0
	v_ashrrev_i32_e32 v3, 31, v2
	v_add_co_u32_e32 v2, vcc, v7, v2
	v_addc_co_u32_e32 v3, vcc, v8, v3, vcc
                                        ; implicit-def: $vgpr46
; %bb.228:
	s_andn2_saveexec_b64 s[6:7], s[6:7]
; %bb.229:
	v_add_co_u32_e32 v2, vcc, v1, v46
	v_addc_co_u32_e32 v3, vcc, 0, v4, vcc
; %bb.230:
	s_or_b64 exec, exec, s[6:7]
	v_lshlrev_b64 v[2:3], 1, v[2:3]
	v_mov_b32_e32 v11, s25
	v_add_co_u32_e32 v2, vcc, s24, v2
	v_addc_co_u32_e32 v3, vcc, v11, v3, vcc
	s_waitcnt lgkmcnt(14)
	global_store_short v[2:3], v45, off
	s_or_b64 exec, exec, s[4:5]
	v_cmp_gt_u32_e32 vcc, s33, v44
	s_and_saveexec_b64 s[4:5], vcc
	s_cbranch_execnz .LBB555_285
.LBB555_231:
	s_or_b64 exec, exec, s[4:5]
	v_cmp_gt_u32_e32 vcc, s33, v42
	s_and_saveexec_b64 s[4:5], vcc
	s_cbranch_execz .LBB555_290
.LBB555_232:
	v_cmp_ge_u32_e32 vcc, v42, v10
                                        ; implicit-def: $vgpr2_vgpr3
	s_and_saveexec_b64 s[6:7], vcc
	s_xor_b64 s[6:7], exec, s[6:7]
; %bb.233:
	v_xor_b32_e32 v2, 0xfffffbff, v0
	v_ashrrev_i32_e32 v3, 31, v2
	v_add_co_u32_e32 v2, vcc, v7, v2
	v_addc_co_u32_e32 v3, vcc, v8, v3, vcc
                                        ; implicit-def: $vgpr42
; %bb.234:
	s_andn2_saveexec_b64 s[6:7], s[6:7]
; %bb.235:
	v_add_co_u32_e32 v2, vcc, v1, v42
	v_addc_co_u32_e32 v3, vcc, 0, v4, vcc
; %bb.236:
	s_or_b64 exec, exec, s[6:7]
	v_lshlrev_b64 v[2:3], 1, v[2:3]
	v_mov_b32_e32 v11, s25
	v_add_co_u32_e32 v2, vcc, s24, v2
	v_addc_co_u32_e32 v3, vcc, v11, v3, vcc
	s_waitcnt lgkmcnt(14)
	global_store_short v[2:3], v41, off
	s_or_b64 exec, exec, s[4:5]
	v_cmp_gt_u32_e32 vcc, s33, v40
	s_and_saveexec_b64 s[4:5], vcc
	s_cbranch_execnz .LBB555_291
.LBB555_237:
	s_or_b64 exec, exec, s[4:5]
	v_cmp_gt_u32_e32 vcc, s33, v38
	s_and_saveexec_b64 s[4:5], vcc
	s_cbranch_execz .LBB555_296
.LBB555_238:
	v_cmp_ge_u32_e32 vcc, v38, v10
                                        ; implicit-def: $vgpr2_vgpr3
	s_and_saveexec_b64 s[6:7], vcc
	s_xor_b64 s[6:7], exec, s[6:7]
; %bb.239:
	v_xor_b32_e32 v2, 0xfffff9ff, v0
	v_ashrrev_i32_e32 v3, 31, v2
	v_add_co_u32_e32 v2, vcc, v7, v2
	v_addc_co_u32_e32 v3, vcc, v8, v3, vcc
                                        ; implicit-def: $vgpr38
; %bb.240:
	s_andn2_saveexec_b64 s[6:7], s[6:7]
; %bb.241:
	v_add_co_u32_e32 v2, vcc, v1, v38
	v_addc_co_u32_e32 v3, vcc, 0, v4, vcc
; %bb.242:
	s_or_b64 exec, exec, s[6:7]
	v_lshlrev_b64 v[2:3], 1, v[2:3]
	v_mov_b32_e32 v11, s25
	v_add_co_u32_e32 v2, vcc, s24, v2
	v_addc_co_u32_e32 v3, vcc, v11, v3, vcc
	s_waitcnt lgkmcnt(13)
	global_store_short v[2:3], v37, off
	s_or_b64 exec, exec, s[4:5]
	v_cmp_gt_u32_e32 vcc, s33, v36
	s_and_saveexec_b64 s[4:5], vcc
	s_cbranch_execnz .LBB555_297
.LBB555_243:
	s_or_b64 exec, exec, s[4:5]
	v_cmp_gt_u32_e32 vcc, s33, v34
	s_and_saveexec_b64 s[4:5], vcc
	s_cbranch_execz .LBB555_302
.LBB555_244:
	v_cmp_ge_u32_e32 vcc, v34, v10
                                        ; implicit-def: $vgpr2_vgpr3
	s_and_saveexec_b64 s[6:7], vcc
	s_xor_b64 s[6:7], exec, s[6:7]
; %bb.245:
	v_xor_b32_e32 v2, 0xfffff7ff, v0
	v_ashrrev_i32_e32 v3, 31, v2
	v_add_co_u32_e32 v2, vcc, v7, v2
	v_addc_co_u32_e32 v3, vcc, v8, v3, vcc
                                        ; implicit-def: $vgpr34
; %bb.246:
	s_andn2_saveexec_b64 s[6:7], s[6:7]
; %bb.247:
	v_add_co_u32_e32 v2, vcc, v1, v34
	v_addc_co_u32_e32 v3, vcc, 0, v4, vcc
; %bb.248:
	s_or_b64 exec, exec, s[6:7]
	v_lshlrev_b64 v[2:3], 1, v[2:3]
	v_mov_b32_e32 v11, s25
	v_add_co_u32_e32 v2, vcc, s24, v2
	v_addc_co_u32_e32 v3, vcc, v11, v3, vcc
	s_waitcnt lgkmcnt(11)
	global_store_short v[2:3], v33, off
	s_or_b64 exec, exec, s[4:5]
	v_cmp_gt_u32_e32 vcc, s33, v32
	s_and_saveexec_b64 s[4:5], vcc
	s_cbranch_execnz .LBB555_303
.LBB555_249:
	s_or_b64 exec, exec, s[4:5]
	v_cmp_gt_u32_e32 vcc, s33, v30
	s_and_saveexec_b64 s[4:5], vcc
	s_cbranch_execz .LBB555_308
.LBB555_250:
	v_cmp_ge_u32_e32 vcc, v30, v10
                                        ; implicit-def: $vgpr2_vgpr3
	s_and_saveexec_b64 s[6:7], vcc
	s_xor_b64 s[6:7], exec, s[6:7]
; %bb.251:
	v_xor_b32_e32 v2, 0xfffff5ff, v0
	v_ashrrev_i32_e32 v3, 31, v2
	v_add_co_u32_e32 v2, vcc, v7, v2
	v_addc_co_u32_e32 v3, vcc, v8, v3, vcc
                                        ; implicit-def: $vgpr30
; %bb.252:
	s_andn2_saveexec_b64 s[6:7], s[6:7]
; %bb.253:
	v_add_co_u32_e32 v2, vcc, v1, v30
	v_addc_co_u32_e32 v3, vcc, 0, v4, vcc
; %bb.254:
	s_or_b64 exec, exec, s[6:7]
	v_lshlrev_b64 v[2:3], 1, v[2:3]
	v_mov_b32_e32 v11, s25
	v_add_co_u32_e32 v2, vcc, s24, v2
	v_addc_co_u32_e32 v3, vcc, v11, v3, vcc
	s_waitcnt lgkmcnt(9)
	global_store_short v[2:3], v29, off
	s_or_b64 exec, exec, s[4:5]
	v_cmp_gt_u32_e32 vcc, s33, v28
	s_and_saveexec_b64 s[4:5], vcc
	s_cbranch_execnz .LBB555_309
.LBB555_255:
	s_or_b64 exec, exec, s[4:5]
	v_cmp_gt_u32_e32 vcc, s33, v26
	s_and_saveexec_b64 s[4:5], vcc
	s_cbranch_execz .LBB555_314
.LBB555_256:
	v_cmp_ge_u32_e32 vcc, v26, v10
                                        ; implicit-def: $vgpr2_vgpr3
	s_and_saveexec_b64 s[6:7], vcc
	s_xor_b64 s[6:7], exec, s[6:7]
; %bb.257:
	v_xor_b32_e32 v2, 0xfffff3ff, v0
	v_ashrrev_i32_e32 v3, 31, v2
	v_add_co_u32_e32 v2, vcc, v7, v2
	v_addc_co_u32_e32 v3, vcc, v8, v3, vcc
                                        ; implicit-def: $vgpr26
; %bb.258:
	s_andn2_saveexec_b64 s[6:7], s[6:7]
; %bb.259:
	v_add_co_u32_e32 v2, vcc, v1, v26
	v_addc_co_u32_e32 v3, vcc, 0, v4, vcc
; %bb.260:
	s_or_b64 exec, exec, s[6:7]
	v_lshlrev_b64 v[2:3], 1, v[2:3]
	v_mov_b32_e32 v11, s25
	v_add_co_u32_e32 v2, vcc, s24, v2
	v_addc_co_u32_e32 v3, vcc, v11, v3, vcc
	s_waitcnt lgkmcnt(7)
	global_store_short v[2:3], v25, off
	s_or_b64 exec, exec, s[4:5]
	v_cmp_gt_u32_e32 vcc, s33, v24
	s_and_saveexec_b64 s[4:5], vcc
	s_cbranch_execnz .LBB555_315
.LBB555_261:
	s_or_b64 exec, exec, s[4:5]
	v_cmp_gt_u32_e32 vcc, s33, v22
	s_and_saveexec_b64 s[4:5], vcc
	s_cbranch_execz .LBB555_320
.LBB555_262:
	v_cmp_ge_u32_e32 vcc, v22, v10
                                        ; implicit-def: $vgpr2_vgpr3
	s_and_saveexec_b64 s[6:7], vcc
	s_xor_b64 s[6:7], exec, s[6:7]
; %bb.263:
	v_xor_b32_e32 v2, 0xfffff1ff, v0
	v_ashrrev_i32_e32 v3, 31, v2
	v_add_co_u32_e32 v2, vcc, v7, v2
	v_addc_co_u32_e32 v3, vcc, v8, v3, vcc
                                        ; implicit-def: $vgpr22
; %bb.264:
	s_andn2_saveexec_b64 s[6:7], s[6:7]
; %bb.265:
	v_add_co_u32_e32 v2, vcc, v1, v22
	v_addc_co_u32_e32 v3, vcc, 0, v4, vcc
; %bb.266:
	s_or_b64 exec, exec, s[6:7]
	v_lshlrev_b64 v[2:3], 1, v[2:3]
	v_mov_b32_e32 v11, s25
	v_add_co_u32_e32 v2, vcc, s24, v2
	v_addc_co_u32_e32 v3, vcc, v11, v3, vcc
	s_waitcnt lgkmcnt(5)
	global_store_short v[2:3], v21, off
	s_or_b64 exec, exec, s[4:5]
	v_cmp_gt_u32_e32 vcc, s33, v20
	s_and_saveexec_b64 s[4:5], vcc
	s_cbranch_execnz .LBB555_321
.LBB555_267:
	s_or_b64 exec, exec, s[4:5]
	v_cmp_gt_u32_e32 vcc, s33, v18
	s_and_saveexec_b64 s[4:5], vcc
	s_cbranch_execz .LBB555_326
.LBB555_268:
	v_cmp_ge_u32_e32 vcc, v18, v10
                                        ; implicit-def: $vgpr2_vgpr3
	s_and_saveexec_b64 s[6:7], vcc
	s_xor_b64 s[6:7], exec, s[6:7]
; %bb.269:
	v_xor_b32_e32 v2, 0xffffefff, v0
	v_ashrrev_i32_e32 v3, 31, v2
	v_add_co_u32_e32 v2, vcc, v7, v2
	v_addc_co_u32_e32 v3, vcc, v8, v3, vcc
                                        ; implicit-def: $vgpr18
; %bb.270:
	s_andn2_saveexec_b64 s[6:7], s[6:7]
; %bb.271:
	v_add_co_u32_e32 v2, vcc, v1, v18
	v_addc_co_u32_e32 v3, vcc, 0, v4, vcc
; %bb.272:
	s_or_b64 exec, exec, s[6:7]
	v_lshlrev_b64 v[2:3], 1, v[2:3]
	v_mov_b32_e32 v11, s25
	v_add_co_u32_e32 v2, vcc, s24, v2
	v_addc_co_u32_e32 v3, vcc, v11, v3, vcc
	s_waitcnt lgkmcnt(3)
	global_store_short v[2:3], v17, off
	s_or_b64 exec, exec, s[4:5]
	v_cmp_gt_u32_e32 vcc, s33, v16
	s_and_saveexec_b64 s[4:5], vcc
	s_cbranch_execnz .LBB555_327
.LBB555_273:
	s_or_b64 exec, exec, s[4:5]
	v_cmp_gt_u32_e32 vcc, s33, v14
	s_and_saveexec_b64 s[4:5], vcc
	s_cbranch_execnz .LBB555_332
.LBB555_274:
	s_or_b64 exec, exec, s[4:5]
	v_cmp_gt_u32_e32 vcc, s33, v6
                                        ; implicit-def: $vgpr2_vgpr3
	s_and_saveexec_b64 s[4:5], vcc
	s_cbranch_execnz .LBB555_337
.LBB555_275:
	s_or_b64 exec, exec, s[4:5]
	s_and_saveexec_b64 s[4:5], s[2:3]
	s_cbranch_execnz .LBB555_216
.LBB555_276:
	s_or_b64 exec, exec, s[4:5]
	s_and_b64 s[0:1], s[0:1], s[22:23]
	s_and_saveexec_b64 s[2:3], s[0:1]
	s_cbranch_execz .LBB555_217
.LBB555_277:
	v_add_co_u32_e32 v0, vcc, v1, v10
	v_mov_b32_e32 v2, 0
	v_addc_co_u32_e32 v1, vcc, 0, v4, vcc
	global_store_dwordx2 v2, v[0:1], s[20:21]
	s_endpgm
.LBB555_278:
	s_or_b64 exec, exec, s[4:5]
	v_cmp_gt_u32_e32 vcc, s33, v48
	s_and_saveexec_b64 s[4:5], vcc
	s_cbranch_execz .LBB555_225
.LBB555_279:
	v_cmp_ge_u32_e32 vcc, v48, v10
                                        ; implicit-def: $vgpr2_vgpr3
	s_and_saveexec_b64 s[6:7], vcc
	s_xor_b64 s[6:7], exec, s[6:7]
; %bb.280:
	v_xor_b32_e32 v2, 0xfffffeff, v0
	v_ashrrev_i32_e32 v3, 31, v2
	v_add_co_u32_e32 v2, vcc, v7, v2
	v_addc_co_u32_e32 v3, vcc, v8, v3, vcc
                                        ; implicit-def: $vgpr48
; %bb.281:
	s_andn2_saveexec_b64 s[6:7], s[6:7]
; %bb.282:
	v_add_co_u32_e32 v2, vcc, v1, v48
	v_addc_co_u32_e32 v3, vcc, 0, v4, vcc
; %bb.283:
	s_or_b64 exec, exec, s[6:7]
	v_lshlrev_b64 v[2:3], 1, v[2:3]
	v_mov_b32_e32 v11, s25
	v_add_co_u32_e32 v2, vcc, s24, v2
	v_addc_co_u32_e32 v3, vcc, v11, v3, vcc
	s_waitcnt lgkmcnt(14)
	global_store_short v[2:3], v47, off
	s_or_b64 exec, exec, s[4:5]
	v_cmp_gt_u32_e32 vcc, s33, v46
	s_and_saveexec_b64 s[4:5], vcc
	s_cbranch_execnz .LBB555_226
.LBB555_284:
	s_or_b64 exec, exec, s[4:5]
	v_cmp_gt_u32_e32 vcc, s33, v44
	s_and_saveexec_b64 s[4:5], vcc
	s_cbranch_execz .LBB555_231
.LBB555_285:
	v_cmp_ge_u32_e32 vcc, v44, v10
                                        ; implicit-def: $vgpr2_vgpr3
	s_and_saveexec_b64 s[6:7], vcc
	s_xor_b64 s[6:7], exec, s[6:7]
; %bb.286:
	v_xor_b32_e32 v2, 0xfffffcff, v0
	v_ashrrev_i32_e32 v3, 31, v2
	v_add_co_u32_e32 v2, vcc, v7, v2
	v_addc_co_u32_e32 v3, vcc, v8, v3, vcc
                                        ; implicit-def: $vgpr44
; %bb.287:
	s_andn2_saveexec_b64 s[6:7], s[6:7]
; %bb.288:
	v_add_co_u32_e32 v2, vcc, v1, v44
	v_addc_co_u32_e32 v3, vcc, 0, v4, vcc
; %bb.289:
	s_or_b64 exec, exec, s[6:7]
	v_lshlrev_b64 v[2:3], 1, v[2:3]
	v_mov_b32_e32 v11, s25
	v_add_co_u32_e32 v2, vcc, s24, v2
	v_addc_co_u32_e32 v3, vcc, v11, v3, vcc
	s_waitcnt lgkmcnt(14)
	global_store_short v[2:3], v43, off
	s_or_b64 exec, exec, s[4:5]
	v_cmp_gt_u32_e32 vcc, s33, v42
	s_and_saveexec_b64 s[4:5], vcc
	s_cbranch_execnz .LBB555_232
.LBB555_290:
	s_or_b64 exec, exec, s[4:5]
	v_cmp_gt_u32_e32 vcc, s33, v40
	s_and_saveexec_b64 s[4:5], vcc
	s_cbranch_execz .LBB555_237
.LBB555_291:
	v_cmp_ge_u32_e32 vcc, v40, v10
                                        ; implicit-def: $vgpr2_vgpr3
	s_and_saveexec_b64 s[6:7], vcc
	s_xor_b64 s[6:7], exec, s[6:7]
; %bb.292:
	v_xor_b32_e32 v2, 0xfffffaff, v0
	v_ashrrev_i32_e32 v3, 31, v2
	v_add_co_u32_e32 v2, vcc, v7, v2
	v_addc_co_u32_e32 v3, vcc, v8, v3, vcc
                                        ; implicit-def: $vgpr40
; %bb.293:
	s_andn2_saveexec_b64 s[6:7], s[6:7]
; %bb.294:
	v_add_co_u32_e32 v2, vcc, v1, v40
	v_addc_co_u32_e32 v3, vcc, 0, v4, vcc
; %bb.295:
	s_or_b64 exec, exec, s[6:7]
	v_lshlrev_b64 v[2:3], 1, v[2:3]
	v_mov_b32_e32 v11, s25
	v_add_co_u32_e32 v2, vcc, s24, v2
	v_addc_co_u32_e32 v3, vcc, v11, v3, vcc
	s_waitcnt lgkmcnt(14)
	global_store_short v[2:3], v39, off
	s_or_b64 exec, exec, s[4:5]
	v_cmp_gt_u32_e32 vcc, s33, v38
	s_and_saveexec_b64 s[4:5], vcc
	s_cbranch_execnz .LBB555_238
.LBB555_296:
	s_or_b64 exec, exec, s[4:5]
	v_cmp_gt_u32_e32 vcc, s33, v36
	s_and_saveexec_b64 s[4:5], vcc
	s_cbranch_execz .LBB555_243
.LBB555_297:
	v_cmp_ge_u32_e32 vcc, v36, v10
                                        ; implicit-def: $vgpr2_vgpr3
	s_and_saveexec_b64 s[6:7], vcc
	s_xor_b64 s[6:7], exec, s[6:7]
; %bb.298:
	v_xor_b32_e32 v2, 0xfffff8ff, v0
	v_ashrrev_i32_e32 v3, 31, v2
	v_add_co_u32_e32 v2, vcc, v7, v2
	v_addc_co_u32_e32 v3, vcc, v8, v3, vcc
                                        ; implicit-def: $vgpr36
; %bb.299:
	s_andn2_saveexec_b64 s[6:7], s[6:7]
; %bb.300:
	v_add_co_u32_e32 v2, vcc, v1, v36
	v_addc_co_u32_e32 v3, vcc, 0, v4, vcc
; %bb.301:
	s_or_b64 exec, exec, s[6:7]
	v_lshlrev_b64 v[2:3], 1, v[2:3]
	v_mov_b32_e32 v11, s25
	v_add_co_u32_e32 v2, vcc, s24, v2
	v_addc_co_u32_e32 v3, vcc, v11, v3, vcc
	s_waitcnt lgkmcnt(12)
	global_store_short v[2:3], v35, off
	s_or_b64 exec, exec, s[4:5]
	v_cmp_gt_u32_e32 vcc, s33, v34
	s_and_saveexec_b64 s[4:5], vcc
	s_cbranch_execnz .LBB555_244
.LBB555_302:
	s_or_b64 exec, exec, s[4:5]
	v_cmp_gt_u32_e32 vcc, s33, v32
	s_and_saveexec_b64 s[4:5], vcc
	s_cbranch_execz .LBB555_249
.LBB555_303:
	v_cmp_ge_u32_e32 vcc, v32, v10
                                        ; implicit-def: $vgpr2_vgpr3
	s_and_saveexec_b64 s[6:7], vcc
	s_xor_b64 s[6:7], exec, s[6:7]
; %bb.304:
	v_xor_b32_e32 v2, 0xfffff6ff, v0
	v_ashrrev_i32_e32 v3, 31, v2
	v_add_co_u32_e32 v2, vcc, v7, v2
	v_addc_co_u32_e32 v3, vcc, v8, v3, vcc
                                        ; implicit-def: $vgpr32
; %bb.305:
	s_andn2_saveexec_b64 s[6:7], s[6:7]
; %bb.306:
	v_add_co_u32_e32 v2, vcc, v1, v32
	v_addc_co_u32_e32 v3, vcc, 0, v4, vcc
; %bb.307:
	s_or_b64 exec, exec, s[6:7]
	v_lshlrev_b64 v[2:3], 1, v[2:3]
	v_mov_b32_e32 v11, s25
	v_add_co_u32_e32 v2, vcc, s24, v2
	v_addc_co_u32_e32 v3, vcc, v11, v3, vcc
	s_waitcnt lgkmcnt(10)
	global_store_short v[2:3], v31, off
	s_or_b64 exec, exec, s[4:5]
	v_cmp_gt_u32_e32 vcc, s33, v30
	s_and_saveexec_b64 s[4:5], vcc
	s_cbranch_execnz .LBB555_250
.LBB555_308:
	s_or_b64 exec, exec, s[4:5]
	v_cmp_gt_u32_e32 vcc, s33, v28
	s_and_saveexec_b64 s[4:5], vcc
	s_cbranch_execz .LBB555_255
.LBB555_309:
	v_cmp_ge_u32_e32 vcc, v28, v10
                                        ; implicit-def: $vgpr2_vgpr3
	s_and_saveexec_b64 s[6:7], vcc
	s_xor_b64 s[6:7], exec, s[6:7]
; %bb.310:
	v_xor_b32_e32 v2, 0xfffff4ff, v0
	v_ashrrev_i32_e32 v3, 31, v2
	v_add_co_u32_e32 v2, vcc, v7, v2
	v_addc_co_u32_e32 v3, vcc, v8, v3, vcc
                                        ; implicit-def: $vgpr28
; %bb.311:
	s_andn2_saveexec_b64 s[6:7], s[6:7]
; %bb.312:
	v_add_co_u32_e32 v2, vcc, v1, v28
	v_addc_co_u32_e32 v3, vcc, 0, v4, vcc
; %bb.313:
	s_or_b64 exec, exec, s[6:7]
	v_lshlrev_b64 v[2:3], 1, v[2:3]
	v_mov_b32_e32 v11, s25
	v_add_co_u32_e32 v2, vcc, s24, v2
	v_addc_co_u32_e32 v3, vcc, v11, v3, vcc
	s_waitcnt lgkmcnt(8)
	global_store_short v[2:3], v27, off
	s_or_b64 exec, exec, s[4:5]
	v_cmp_gt_u32_e32 vcc, s33, v26
	s_and_saveexec_b64 s[4:5], vcc
	s_cbranch_execnz .LBB555_256
.LBB555_314:
	s_or_b64 exec, exec, s[4:5]
	v_cmp_gt_u32_e32 vcc, s33, v24
	s_and_saveexec_b64 s[4:5], vcc
	s_cbranch_execz .LBB555_261
.LBB555_315:
	v_cmp_ge_u32_e32 vcc, v24, v10
                                        ; implicit-def: $vgpr2_vgpr3
	s_and_saveexec_b64 s[6:7], vcc
	s_xor_b64 s[6:7], exec, s[6:7]
; %bb.316:
	v_xor_b32_e32 v2, 0xfffff2ff, v0
	v_ashrrev_i32_e32 v3, 31, v2
	v_add_co_u32_e32 v2, vcc, v7, v2
	v_addc_co_u32_e32 v3, vcc, v8, v3, vcc
                                        ; implicit-def: $vgpr24
; %bb.317:
	s_andn2_saveexec_b64 s[6:7], s[6:7]
; %bb.318:
	v_add_co_u32_e32 v2, vcc, v1, v24
	v_addc_co_u32_e32 v3, vcc, 0, v4, vcc
; %bb.319:
	s_or_b64 exec, exec, s[6:7]
	v_lshlrev_b64 v[2:3], 1, v[2:3]
	v_mov_b32_e32 v11, s25
	v_add_co_u32_e32 v2, vcc, s24, v2
	v_addc_co_u32_e32 v3, vcc, v11, v3, vcc
	s_waitcnt lgkmcnt(6)
	global_store_short v[2:3], v23, off
	s_or_b64 exec, exec, s[4:5]
	v_cmp_gt_u32_e32 vcc, s33, v22
	s_and_saveexec_b64 s[4:5], vcc
	s_cbranch_execnz .LBB555_262
.LBB555_320:
	s_or_b64 exec, exec, s[4:5]
	v_cmp_gt_u32_e32 vcc, s33, v20
	s_and_saveexec_b64 s[4:5], vcc
	s_cbranch_execz .LBB555_267
.LBB555_321:
	v_cmp_ge_u32_e32 vcc, v20, v10
                                        ; implicit-def: $vgpr2_vgpr3
	s_and_saveexec_b64 s[6:7], vcc
	s_xor_b64 s[6:7], exec, s[6:7]
; %bb.322:
	v_xor_b32_e32 v2, 0xfffff0ff, v0
	v_ashrrev_i32_e32 v3, 31, v2
	v_add_co_u32_e32 v2, vcc, v7, v2
	v_addc_co_u32_e32 v3, vcc, v8, v3, vcc
                                        ; implicit-def: $vgpr20
; %bb.323:
	s_andn2_saveexec_b64 s[6:7], s[6:7]
; %bb.324:
	v_add_co_u32_e32 v2, vcc, v1, v20
	v_addc_co_u32_e32 v3, vcc, 0, v4, vcc
; %bb.325:
	s_or_b64 exec, exec, s[6:7]
	v_lshlrev_b64 v[2:3], 1, v[2:3]
	v_mov_b32_e32 v11, s25
	v_add_co_u32_e32 v2, vcc, s24, v2
	v_addc_co_u32_e32 v3, vcc, v11, v3, vcc
	s_waitcnt lgkmcnt(4)
	global_store_short v[2:3], v19, off
	s_or_b64 exec, exec, s[4:5]
	v_cmp_gt_u32_e32 vcc, s33, v18
	s_and_saveexec_b64 s[4:5], vcc
	s_cbranch_execnz .LBB555_268
.LBB555_326:
	s_or_b64 exec, exec, s[4:5]
	v_cmp_gt_u32_e32 vcc, s33, v16
	s_and_saveexec_b64 s[4:5], vcc
	s_cbranch_execz .LBB555_273
.LBB555_327:
	v_cmp_ge_u32_e32 vcc, v16, v10
                                        ; implicit-def: $vgpr2_vgpr3
	s_and_saveexec_b64 s[6:7], vcc
	s_xor_b64 s[6:7], exec, s[6:7]
; %bb.328:
	v_xor_b32_e32 v2, 0xffffeeff, v0
	v_ashrrev_i32_e32 v3, 31, v2
	v_add_co_u32_e32 v2, vcc, v7, v2
	v_addc_co_u32_e32 v3, vcc, v8, v3, vcc
                                        ; implicit-def: $vgpr16
; %bb.329:
	s_andn2_saveexec_b64 s[6:7], s[6:7]
; %bb.330:
	v_add_co_u32_e32 v2, vcc, v1, v16
	v_addc_co_u32_e32 v3, vcc, 0, v4, vcc
; %bb.331:
	s_or_b64 exec, exec, s[6:7]
	v_lshlrev_b64 v[2:3], 1, v[2:3]
	v_mov_b32_e32 v11, s25
	v_add_co_u32_e32 v2, vcc, s24, v2
	v_addc_co_u32_e32 v3, vcc, v11, v3, vcc
	s_waitcnt lgkmcnt(2)
	global_store_short v[2:3], v15, off
	s_or_b64 exec, exec, s[4:5]
	v_cmp_gt_u32_e32 vcc, s33, v14
	s_and_saveexec_b64 s[4:5], vcc
	s_cbranch_execz .LBB555_274
.LBB555_332:
	v_cmp_ge_u32_e32 vcc, v14, v10
                                        ; implicit-def: $vgpr2_vgpr3
	s_and_saveexec_b64 s[6:7], vcc
	s_xor_b64 s[6:7], exec, s[6:7]
; %bb.333:
	v_xor_b32_e32 v2, 0xffffedff, v0
	v_ashrrev_i32_e32 v3, 31, v2
	v_add_co_u32_e32 v2, vcc, v7, v2
	v_addc_co_u32_e32 v3, vcc, v8, v3, vcc
                                        ; implicit-def: $vgpr14
; %bb.334:
	s_andn2_saveexec_b64 s[6:7], s[6:7]
; %bb.335:
	v_add_co_u32_e32 v2, vcc, v1, v14
	v_addc_co_u32_e32 v3, vcc, 0, v4, vcc
; %bb.336:
	s_or_b64 exec, exec, s[6:7]
	v_lshlrev_b64 v[2:3], 1, v[2:3]
	v_mov_b32_e32 v11, s25
	v_add_co_u32_e32 v2, vcc, s24, v2
	v_addc_co_u32_e32 v3, vcc, v11, v3, vcc
	s_waitcnt lgkmcnt(1)
	global_store_short v[2:3], v9, off
	s_or_b64 exec, exec, s[4:5]
	v_cmp_gt_u32_e32 vcc, s33, v6
                                        ; implicit-def: $vgpr2_vgpr3
	s_and_saveexec_b64 s[4:5], vcc
	s_cbranch_execz .LBB555_275
.LBB555_337:
	v_cmp_ge_u32_e32 vcc, v6, v10
                                        ; implicit-def: $vgpr2_vgpr3
	s_and_saveexec_b64 s[6:7], vcc
	s_xor_b64 s[6:7], exec, s[6:7]
; %bb.338:
	v_xor_b32_e32 v0, 0xffffecff, v0
	v_ashrrev_i32_e32 v3, 31, v0
	v_add_co_u32_e32 v2, vcc, v7, v0
	v_addc_co_u32_e32 v3, vcc, v8, v3, vcc
                                        ; implicit-def: $vgpr6
; %bb.339:
	s_andn2_saveexec_b64 s[6:7], s[6:7]
; %bb.340:
	v_add_co_u32_e32 v2, vcc, v1, v6
	v_addc_co_u32_e32 v3, vcc, 0, v4, vcc
; %bb.341:
	s_or_b64 exec, exec, s[6:7]
	s_or_b64 s[2:3], s[2:3], exec
	s_or_b64 exec, exec, s[4:5]
	s_and_saveexec_b64 s[4:5], s[2:3]
	s_cbranch_execnz .LBB555_216
	s_branch .LBB555_276
	.section	.rodata,"a",@progbits
	.p2align	6, 0x0
	.amdhsa_kernel _ZN7rocprim17ROCPRIM_400000_NS6detail17trampoline_kernelINS0_14default_configENS1_25partition_config_selectorILNS1_17partition_subalgoE2EsNS0_10empty_typeEbEEZZNS1_14partition_implILS5_2ELb0ES3_jN6thrust23THRUST_200600_302600_NS6detail15normal_iteratorINSA_7pointerIsNSA_11hip_rocprim3tagENSA_11use_defaultESG_EEEEPS6_NSA_18transform_iteratorINSA_8identityIsEENSC_INSA_10device_ptrIsEEEESG_SG_EENS0_5tupleIJPsSJ_EEENSR_IJSJ_SJ_EEES6_PlJS6_EEE10hipError_tPvRmT3_T4_T5_T6_T7_T9_mT8_P12ihipStream_tbDpT10_ENKUlT_T0_E_clISt17integral_constantIbLb1EES1F_EEDaS1A_S1B_EUlS1A_E_NS1_11comp_targetILNS1_3genE4ELNS1_11target_archE910ELNS1_3gpuE8ELNS1_3repE0EEENS1_30default_config_static_selectorELNS0_4arch9wavefront6targetE1EEEvT1_
		.amdhsa_group_segment_fixed_size 10248
		.amdhsa_private_segment_fixed_size 0
		.amdhsa_kernarg_size 144
		.amdhsa_user_sgpr_count 6
		.amdhsa_user_sgpr_private_segment_buffer 1
		.amdhsa_user_sgpr_dispatch_ptr 0
		.amdhsa_user_sgpr_queue_ptr 0
		.amdhsa_user_sgpr_kernarg_segment_ptr 1
		.amdhsa_user_sgpr_dispatch_id 0
		.amdhsa_user_sgpr_flat_scratch_init 0
		.amdhsa_user_sgpr_kernarg_preload_length 0
		.amdhsa_user_sgpr_kernarg_preload_offset 0
		.amdhsa_user_sgpr_private_segment_size 0
		.amdhsa_uses_dynamic_stack 0
		.amdhsa_system_sgpr_private_segment_wavefront_offset 0
		.amdhsa_system_sgpr_workgroup_id_x 1
		.amdhsa_system_sgpr_workgroup_id_y 0
		.amdhsa_system_sgpr_workgroup_id_z 0
		.amdhsa_system_sgpr_workgroup_info 0
		.amdhsa_system_vgpr_workitem_id 0
		.amdhsa_next_free_vgpr 67
		.amdhsa_next_free_sgpr 46
		.amdhsa_accum_offset 68
		.amdhsa_reserve_vcc 1
		.amdhsa_reserve_flat_scratch 0
		.amdhsa_float_round_mode_32 0
		.amdhsa_float_round_mode_16_64 0
		.amdhsa_float_denorm_mode_32 3
		.amdhsa_float_denorm_mode_16_64 3
		.amdhsa_dx10_clamp 1
		.amdhsa_ieee_mode 1
		.amdhsa_fp16_overflow 0
		.amdhsa_tg_split 0
		.amdhsa_exception_fp_ieee_invalid_op 0
		.amdhsa_exception_fp_denorm_src 0
		.amdhsa_exception_fp_ieee_div_zero 0
		.amdhsa_exception_fp_ieee_overflow 0
		.amdhsa_exception_fp_ieee_underflow 0
		.amdhsa_exception_fp_ieee_inexact 0
		.amdhsa_exception_int_div_zero 0
	.end_amdhsa_kernel
	.section	.text._ZN7rocprim17ROCPRIM_400000_NS6detail17trampoline_kernelINS0_14default_configENS1_25partition_config_selectorILNS1_17partition_subalgoE2EsNS0_10empty_typeEbEEZZNS1_14partition_implILS5_2ELb0ES3_jN6thrust23THRUST_200600_302600_NS6detail15normal_iteratorINSA_7pointerIsNSA_11hip_rocprim3tagENSA_11use_defaultESG_EEEEPS6_NSA_18transform_iteratorINSA_8identityIsEENSC_INSA_10device_ptrIsEEEESG_SG_EENS0_5tupleIJPsSJ_EEENSR_IJSJ_SJ_EEES6_PlJS6_EEE10hipError_tPvRmT3_T4_T5_T6_T7_T9_mT8_P12ihipStream_tbDpT10_ENKUlT_T0_E_clISt17integral_constantIbLb1EES1F_EEDaS1A_S1B_EUlS1A_E_NS1_11comp_targetILNS1_3genE4ELNS1_11target_archE910ELNS1_3gpuE8ELNS1_3repE0EEENS1_30default_config_static_selectorELNS0_4arch9wavefront6targetE1EEEvT1_,"axG",@progbits,_ZN7rocprim17ROCPRIM_400000_NS6detail17trampoline_kernelINS0_14default_configENS1_25partition_config_selectorILNS1_17partition_subalgoE2EsNS0_10empty_typeEbEEZZNS1_14partition_implILS5_2ELb0ES3_jN6thrust23THRUST_200600_302600_NS6detail15normal_iteratorINSA_7pointerIsNSA_11hip_rocprim3tagENSA_11use_defaultESG_EEEEPS6_NSA_18transform_iteratorINSA_8identityIsEENSC_INSA_10device_ptrIsEEEESG_SG_EENS0_5tupleIJPsSJ_EEENSR_IJSJ_SJ_EEES6_PlJS6_EEE10hipError_tPvRmT3_T4_T5_T6_T7_T9_mT8_P12ihipStream_tbDpT10_ENKUlT_T0_E_clISt17integral_constantIbLb1EES1F_EEDaS1A_S1B_EUlS1A_E_NS1_11comp_targetILNS1_3genE4ELNS1_11target_archE910ELNS1_3gpuE8ELNS1_3repE0EEENS1_30default_config_static_selectorELNS0_4arch9wavefront6targetE1EEEvT1_,comdat
.Lfunc_end555:
	.size	_ZN7rocprim17ROCPRIM_400000_NS6detail17trampoline_kernelINS0_14default_configENS1_25partition_config_selectorILNS1_17partition_subalgoE2EsNS0_10empty_typeEbEEZZNS1_14partition_implILS5_2ELb0ES3_jN6thrust23THRUST_200600_302600_NS6detail15normal_iteratorINSA_7pointerIsNSA_11hip_rocprim3tagENSA_11use_defaultESG_EEEEPS6_NSA_18transform_iteratorINSA_8identityIsEENSC_INSA_10device_ptrIsEEEESG_SG_EENS0_5tupleIJPsSJ_EEENSR_IJSJ_SJ_EEES6_PlJS6_EEE10hipError_tPvRmT3_T4_T5_T6_T7_T9_mT8_P12ihipStream_tbDpT10_ENKUlT_T0_E_clISt17integral_constantIbLb1EES1F_EEDaS1A_S1B_EUlS1A_E_NS1_11comp_targetILNS1_3genE4ELNS1_11target_archE910ELNS1_3gpuE8ELNS1_3repE0EEENS1_30default_config_static_selectorELNS0_4arch9wavefront6targetE1EEEvT1_, .Lfunc_end555-_ZN7rocprim17ROCPRIM_400000_NS6detail17trampoline_kernelINS0_14default_configENS1_25partition_config_selectorILNS1_17partition_subalgoE2EsNS0_10empty_typeEbEEZZNS1_14partition_implILS5_2ELb0ES3_jN6thrust23THRUST_200600_302600_NS6detail15normal_iteratorINSA_7pointerIsNSA_11hip_rocprim3tagENSA_11use_defaultESG_EEEEPS6_NSA_18transform_iteratorINSA_8identityIsEENSC_INSA_10device_ptrIsEEEESG_SG_EENS0_5tupleIJPsSJ_EEENSR_IJSJ_SJ_EEES6_PlJS6_EEE10hipError_tPvRmT3_T4_T5_T6_T7_T9_mT8_P12ihipStream_tbDpT10_ENKUlT_T0_E_clISt17integral_constantIbLb1EES1F_EEDaS1A_S1B_EUlS1A_E_NS1_11comp_targetILNS1_3genE4ELNS1_11target_archE910ELNS1_3gpuE8ELNS1_3repE0EEENS1_30default_config_static_selectorELNS0_4arch9wavefront6targetE1EEEvT1_
                                        ; -- End function
	.section	.AMDGPU.csdata,"",@progbits
; Kernel info:
; codeLenInByte = 11132
; NumSgprs: 50
; NumVgprs: 67
; NumAgprs: 0
; TotalNumVgprs: 67
; ScratchSize: 0
; MemoryBound: 0
; FloatMode: 240
; IeeeMode: 1
; LDSByteSize: 10248 bytes/workgroup (compile time only)
; SGPRBlocks: 6
; VGPRBlocks: 8
; NumSGPRsForWavesPerEU: 50
; NumVGPRsForWavesPerEU: 67
; AccumOffset: 68
; Occupancy: 6
; WaveLimiterHint : 1
; COMPUTE_PGM_RSRC2:SCRATCH_EN: 0
; COMPUTE_PGM_RSRC2:USER_SGPR: 6
; COMPUTE_PGM_RSRC2:TRAP_HANDLER: 0
; COMPUTE_PGM_RSRC2:TGID_X_EN: 1
; COMPUTE_PGM_RSRC2:TGID_Y_EN: 0
; COMPUTE_PGM_RSRC2:TGID_Z_EN: 0
; COMPUTE_PGM_RSRC2:TIDIG_COMP_CNT: 0
; COMPUTE_PGM_RSRC3_GFX90A:ACCUM_OFFSET: 16
; COMPUTE_PGM_RSRC3_GFX90A:TG_SPLIT: 0
	.section	.text._ZN7rocprim17ROCPRIM_400000_NS6detail17trampoline_kernelINS0_14default_configENS1_25partition_config_selectorILNS1_17partition_subalgoE2EsNS0_10empty_typeEbEEZZNS1_14partition_implILS5_2ELb0ES3_jN6thrust23THRUST_200600_302600_NS6detail15normal_iteratorINSA_7pointerIsNSA_11hip_rocprim3tagENSA_11use_defaultESG_EEEEPS6_NSA_18transform_iteratorINSA_8identityIsEENSC_INSA_10device_ptrIsEEEESG_SG_EENS0_5tupleIJPsSJ_EEENSR_IJSJ_SJ_EEES6_PlJS6_EEE10hipError_tPvRmT3_T4_T5_T6_T7_T9_mT8_P12ihipStream_tbDpT10_ENKUlT_T0_E_clISt17integral_constantIbLb1EES1F_EEDaS1A_S1B_EUlS1A_E_NS1_11comp_targetILNS1_3genE3ELNS1_11target_archE908ELNS1_3gpuE7ELNS1_3repE0EEENS1_30default_config_static_selectorELNS0_4arch9wavefront6targetE1EEEvT1_,"axG",@progbits,_ZN7rocprim17ROCPRIM_400000_NS6detail17trampoline_kernelINS0_14default_configENS1_25partition_config_selectorILNS1_17partition_subalgoE2EsNS0_10empty_typeEbEEZZNS1_14partition_implILS5_2ELb0ES3_jN6thrust23THRUST_200600_302600_NS6detail15normal_iteratorINSA_7pointerIsNSA_11hip_rocprim3tagENSA_11use_defaultESG_EEEEPS6_NSA_18transform_iteratorINSA_8identityIsEENSC_INSA_10device_ptrIsEEEESG_SG_EENS0_5tupleIJPsSJ_EEENSR_IJSJ_SJ_EEES6_PlJS6_EEE10hipError_tPvRmT3_T4_T5_T6_T7_T9_mT8_P12ihipStream_tbDpT10_ENKUlT_T0_E_clISt17integral_constantIbLb1EES1F_EEDaS1A_S1B_EUlS1A_E_NS1_11comp_targetILNS1_3genE3ELNS1_11target_archE908ELNS1_3gpuE7ELNS1_3repE0EEENS1_30default_config_static_selectorELNS0_4arch9wavefront6targetE1EEEvT1_,comdat
	.protected	_ZN7rocprim17ROCPRIM_400000_NS6detail17trampoline_kernelINS0_14default_configENS1_25partition_config_selectorILNS1_17partition_subalgoE2EsNS0_10empty_typeEbEEZZNS1_14partition_implILS5_2ELb0ES3_jN6thrust23THRUST_200600_302600_NS6detail15normal_iteratorINSA_7pointerIsNSA_11hip_rocprim3tagENSA_11use_defaultESG_EEEEPS6_NSA_18transform_iteratorINSA_8identityIsEENSC_INSA_10device_ptrIsEEEESG_SG_EENS0_5tupleIJPsSJ_EEENSR_IJSJ_SJ_EEES6_PlJS6_EEE10hipError_tPvRmT3_T4_T5_T6_T7_T9_mT8_P12ihipStream_tbDpT10_ENKUlT_T0_E_clISt17integral_constantIbLb1EES1F_EEDaS1A_S1B_EUlS1A_E_NS1_11comp_targetILNS1_3genE3ELNS1_11target_archE908ELNS1_3gpuE7ELNS1_3repE0EEENS1_30default_config_static_selectorELNS0_4arch9wavefront6targetE1EEEvT1_ ; -- Begin function _ZN7rocprim17ROCPRIM_400000_NS6detail17trampoline_kernelINS0_14default_configENS1_25partition_config_selectorILNS1_17partition_subalgoE2EsNS0_10empty_typeEbEEZZNS1_14partition_implILS5_2ELb0ES3_jN6thrust23THRUST_200600_302600_NS6detail15normal_iteratorINSA_7pointerIsNSA_11hip_rocprim3tagENSA_11use_defaultESG_EEEEPS6_NSA_18transform_iteratorINSA_8identityIsEENSC_INSA_10device_ptrIsEEEESG_SG_EENS0_5tupleIJPsSJ_EEENSR_IJSJ_SJ_EEES6_PlJS6_EEE10hipError_tPvRmT3_T4_T5_T6_T7_T9_mT8_P12ihipStream_tbDpT10_ENKUlT_T0_E_clISt17integral_constantIbLb1EES1F_EEDaS1A_S1B_EUlS1A_E_NS1_11comp_targetILNS1_3genE3ELNS1_11target_archE908ELNS1_3gpuE7ELNS1_3repE0EEENS1_30default_config_static_selectorELNS0_4arch9wavefront6targetE1EEEvT1_
	.globl	_ZN7rocprim17ROCPRIM_400000_NS6detail17trampoline_kernelINS0_14default_configENS1_25partition_config_selectorILNS1_17partition_subalgoE2EsNS0_10empty_typeEbEEZZNS1_14partition_implILS5_2ELb0ES3_jN6thrust23THRUST_200600_302600_NS6detail15normal_iteratorINSA_7pointerIsNSA_11hip_rocprim3tagENSA_11use_defaultESG_EEEEPS6_NSA_18transform_iteratorINSA_8identityIsEENSC_INSA_10device_ptrIsEEEESG_SG_EENS0_5tupleIJPsSJ_EEENSR_IJSJ_SJ_EEES6_PlJS6_EEE10hipError_tPvRmT3_T4_T5_T6_T7_T9_mT8_P12ihipStream_tbDpT10_ENKUlT_T0_E_clISt17integral_constantIbLb1EES1F_EEDaS1A_S1B_EUlS1A_E_NS1_11comp_targetILNS1_3genE3ELNS1_11target_archE908ELNS1_3gpuE7ELNS1_3repE0EEENS1_30default_config_static_selectorELNS0_4arch9wavefront6targetE1EEEvT1_
	.p2align	8
	.type	_ZN7rocprim17ROCPRIM_400000_NS6detail17trampoline_kernelINS0_14default_configENS1_25partition_config_selectorILNS1_17partition_subalgoE2EsNS0_10empty_typeEbEEZZNS1_14partition_implILS5_2ELb0ES3_jN6thrust23THRUST_200600_302600_NS6detail15normal_iteratorINSA_7pointerIsNSA_11hip_rocprim3tagENSA_11use_defaultESG_EEEEPS6_NSA_18transform_iteratorINSA_8identityIsEENSC_INSA_10device_ptrIsEEEESG_SG_EENS0_5tupleIJPsSJ_EEENSR_IJSJ_SJ_EEES6_PlJS6_EEE10hipError_tPvRmT3_T4_T5_T6_T7_T9_mT8_P12ihipStream_tbDpT10_ENKUlT_T0_E_clISt17integral_constantIbLb1EES1F_EEDaS1A_S1B_EUlS1A_E_NS1_11comp_targetILNS1_3genE3ELNS1_11target_archE908ELNS1_3gpuE7ELNS1_3repE0EEENS1_30default_config_static_selectorELNS0_4arch9wavefront6targetE1EEEvT1_,@function
_ZN7rocprim17ROCPRIM_400000_NS6detail17trampoline_kernelINS0_14default_configENS1_25partition_config_selectorILNS1_17partition_subalgoE2EsNS0_10empty_typeEbEEZZNS1_14partition_implILS5_2ELb0ES3_jN6thrust23THRUST_200600_302600_NS6detail15normal_iteratorINSA_7pointerIsNSA_11hip_rocprim3tagENSA_11use_defaultESG_EEEEPS6_NSA_18transform_iteratorINSA_8identityIsEENSC_INSA_10device_ptrIsEEEESG_SG_EENS0_5tupleIJPsSJ_EEENSR_IJSJ_SJ_EEES6_PlJS6_EEE10hipError_tPvRmT3_T4_T5_T6_T7_T9_mT8_P12ihipStream_tbDpT10_ENKUlT_T0_E_clISt17integral_constantIbLb1EES1F_EEDaS1A_S1B_EUlS1A_E_NS1_11comp_targetILNS1_3genE3ELNS1_11target_archE908ELNS1_3gpuE7ELNS1_3repE0EEENS1_30default_config_static_selectorELNS0_4arch9wavefront6targetE1EEEvT1_: ; @_ZN7rocprim17ROCPRIM_400000_NS6detail17trampoline_kernelINS0_14default_configENS1_25partition_config_selectorILNS1_17partition_subalgoE2EsNS0_10empty_typeEbEEZZNS1_14partition_implILS5_2ELb0ES3_jN6thrust23THRUST_200600_302600_NS6detail15normal_iteratorINSA_7pointerIsNSA_11hip_rocprim3tagENSA_11use_defaultESG_EEEEPS6_NSA_18transform_iteratorINSA_8identityIsEENSC_INSA_10device_ptrIsEEEESG_SG_EENS0_5tupleIJPsSJ_EEENSR_IJSJ_SJ_EEES6_PlJS6_EEE10hipError_tPvRmT3_T4_T5_T6_T7_T9_mT8_P12ihipStream_tbDpT10_ENKUlT_T0_E_clISt17integral_constantIbLb1EES1F_EEDaS1A_S1B_EUlS1A_E_NS1_11comp_targetILNS1_3genE3ELNS1_11target_archE908ELNS1_3gpuE7ELNS1_3repE0EEENS1_30default_config_static_selectorELNS0_4arch9wavefront6targetE1EEEvT1_
; %bb.0:
	.section	.rodata,"a",@progbits
	.p2align	6, 0x0
	.amdhsa_kernel _ZN7rocprim17ROCPRIM_400000_NS6detail17trampoline_kernelINS0_14default_configENS1_25partition_config_selectorILNS1_17partition_subalgoE2EsNS0_10empty_typeEbEEZZNS1_14partition_implILS5_2ELb0ES3_jN6thrust23THRUST_200600_302600_NS6detail15normal_iteratorINSA_7pointerIsNSA_11hip_rocprim3tagENSA_11use_defaultESG_EEEEPS6_NSA_18transform_iteratorINSA_8identityIsEENSC_INSA_10device_ptrIsEEEESG_SG_EENS0_5tupleIJPsSJ_EEENSR_IJSJ_SJ_EEES6_PlJS6_EEE10hipError_tPvRmT3_T4_T5_T6_T7_T9_mT8_P12ihipStream_tbDpT10_ENKUlT_T0_E_clISt17integral_constantIbLb1EES1F_EEDaS1A_S1B_EUlS1A_E_NS1_11comp_targetILNS1_3genE3ELNS1_11target_archE908ELNS1_3gpuE7ELNS1_3repE0EEENS1_30default_config_static_selectorELNS0_4arch9wavefront6targetE1EEEvT1_
		.amdhsa_group_segment_fixed_size 0
		.amdhsa_private_segment_fixed_size 0
		.amdhsa_kernarg_size 144
		.amdhsa_user_sgpr_count 6
		.amdhsa_user_sgpr_private_segment_buffer 1
		.amdhsa_user_sgpr_dispatch_ptr 0
		.amdhsa_user_sgpr_queue_ptr 0
		.amdhsa_user_sgpr_kernarg_segment_ptr 1
		.amdhsa_user_sgpr_dispatch_id 0
		.amdhsa_user_sgpr_flat_scratch_init 0
		.amdhsa_user_sgpr_kernarg_preload_length 0
		.amdhsa_user_sgpr_kernarg_preload_offset 0
		.amdhsa_user_sgpr_private_segment_size 0
		.amdhsa_uses_dynamic_stack 0
		.amdhsa_system_sgpr_private_segment_wavefront_offset 0
		.amdhsa_system_sgpr_workgroup_id_x 1
		.amdhsa_system_sgpr_workgroup_id_y 0
		.amdhsa_system_sgpr_workgroup_id_z 0
		.amdhsa_system_sgpr_workgroup_info 0
		.amdhsa_system_vgpr_workitem_id 0
		.amdhsa_next_free_vgpr 1
		.amdhsa_next_free_sgpr 0
		.amdhsa_accum_offset 4
		.amdhsa_reserve_vcc 0
		.amdhsa_reserve_flat_scratch 0
		.amdhsa_float_round_mode_32 0
		.amdhsa_float_round_mode_16_64 0
		.amdhsa_float_denorm_mode_32 3
		.amdhsa_float_denorm_mode_16_64 3
		.amdhsa_dx10_clamp 1
		.amdhsa_ieee_mode 1
		.amdhsa_fp16_overflow 0
		.amdhsa_tg_split 0
		.amdhsa_exception_fp_ieee_invalid_op 0
		.amdhsa_exception_fp_denorm_src 0
		.amdhsa_exception_fp_ieee_div_zero 0
		.amdhsa_exception_fp_ieee_overflow 0
		.amdhsa_exception_fp_ieee_underflow 0
		.amdhsa_exception_fp_ieee_inexact 0
		.amdhsa_exception_int_div_zero 0
	.end_amdhsa_kernel
	.section	.text._ZN7rocprim17ROCPRIM_400000_NS6detail17trampoline_kernelINS0_14default_configENS1_25partition_config_selectorILNS1_17partition_subalgoE2EsNS0_10empty_typeEbEEZZNS1_14partition_implILS5_2ELb0ES3_jN6thrust23THRUST_200600_302600_NS6detail15normal_iteratorINSA_7pointerIsNSA_11hip_rocprim3tagENSA_11use_defaultESG_EEEEPS6_NSA_18transform_iteratorINSA_8identityIsEENSC_INSA_10device_ptrIsEEEESG_SG_EENS0_5tupleIJPsSJ_EEENSR_IJSJ_SJ_EEES6_PlJS6_EEE10hipError_tPvRmT3_T4_T5_T6_T7_T9_mT8_P12ihipStream_tbDpT10_ENKUlT_T0_E_clISt17integral_constantIbLb1EES1F_EEDaS1A_S1B_EUlS1A_E_NS1_11comp_targetILNS1_3genE3ELNS1_11target_archE908ELNS1_3gpuE7ELNS1_3repE0EEENS1_30default_config_static_selectorELNS0_4arch9wavefront6targetE1EEEvT1_,"axG",@progbits,_ZN7rocprim17ROCPRIM_400000_NS6detail17trampoline_kernelINS0_14default_configENS1_25partition_config_selectorILNS1_17partition_subalgoE2EsNS0_10empty_typeEbEEZZNS1_14partition_implILS5_2ELb0ES3_jN6thrust23THRUST_200600_302600_NS6detail15normal_iteratorINSA_7pointerIsNSA_11hip_rocprim3tagENSA_11use_defaultESG_EEEEPS6_NSA_18transform_iteratorINSA_8identityIsEENSC_INSA_10device_ptrIsEEEESG_SG_EENS0_5tupleIJPsSJ_EEENSR_IJSJ_SJ_EEES6_PlJS6_EEE10hipError_tPvRmT3_T4_T5_T6_T7_T9_mT8_P12ihipStream_tbDpT10_ENKUlT_T0_E_clISt17integral_constantIbLb1EES1F_EEDaS1A_S1B_EUlS1A_E_NS1_11comp_targetILNS1_3genE3ELNS1_11target_archE908ELNS1_3gpuE7ELNS1_3repE0EEENS1_30default_config_static_selectorELNS0_4arch9wavefront6targetE1EEEvT1_,comdat
.Lfunc_end556:
	.size	_ZN7rocprim17ROCPRIM_400000_NS6detail17trampoline_kernelINS0_14default_configENS1_25partition_config_selectorILNS1_17partition_subalgoE2EsNS0_10empty_typeEbEEZZNS1_14partition_implILS5_2ELb0ES3_jN6thrust23THRUST_200600_302600_NS6detail15normal_iteratorINSA_7pointerIsNSA_11hip_rocprim3tagENSA_11use_defaultESG_EEEEPS6_NSA_18transform_iteratorINSA_8identityIsEENSC_INSA_10device_ptrIsEEEESG_SG_EENS0_5tupleIJPsSJ_EEENSR_IJSJ_SJ_EEES6_PlJS6_EEE10hipError_tPvRmT3_T4_T5_T6_T7_T9_mT8_P12ihipStream_tbDpT10_ENKUlT_T0_E_clISt17integral_constantIbLb1EES1F_EEDaS1A_S1B_EUlS1A_E_NS1_11comp_targetILNS1_3genE3ELNS1_11target_archE908ELNS1_3gpuE7ELNS1_3repE0EEENS1_30default_config_static_selectorELNS0_4arch9wavefront6targetE1EEEvT1_, .Lfunc_end556-_ZN7rocprim17ROCPRIM_400000_NS6detail17trampoline_kernelINS0_14default_configENS1_25partition_config_selectorILNS1_17partition_subalgoE2EsNS0_10empty_typeEbEEZZNS1_14partition_implILS5_2ELb0ES3_jN6thrust23THRUST_200600_302600_NS6detail15normal_iteratorINSA_7pointerIsNSA_11hip_rocprim3tagENSA_11use_defaultESG_EEEEPS6_NSA_18transform_iteratorINSA_8identityIsEENSC_INSA_10device_ptrIsEEEESG_SG_EENS0_5tupleIJPsSJ_EEENSR_IJSJ_SJ_EEES6_PlJS6_EEE10hipError_tPvRmT3_T4_T5_T6_T7_T9_mT8_P12ihipStream_tbDpT10_ENKUlT_T0_E_clISt17integral_constantIbLb1EES1F_EEDaS1A_S1B_EUlS1A_E_NS1_11comp_targetILNS1_3genE3ELNS1_11target_archE908ELNS1_3gpuE7ELNS1_3repE0EEENS1_30default_config_static_selectorELNS0_4arch9wavefront6targetE1EEEvT1_
                                        ; -- End function
	.section	.AMDGPU.csdata,"",@progbits
; Kernel info:
; codeLenInByte = 0
; NumSgprs: 4
; NumVgprs: 0
; NumAgprs: 0
; TotalNumVgprs: 0
; ScratchSize: 0
; MemoryBound: 0
; FloatMode: 240
; IeeeMode: 1
; LDSByteSize: 0 bytes/workgroup (compile time only)
; SGPRBlocks: 0
; VGPRBlocks: 0
; NumSGPRsForWavesPerEU: 4
; NumVGPRsForWavesPerEU: 1
; AccumOffset: 4
; Occupancy: 8
; WaveLimiterHint : 0
; COMPUTE_PGM_RSRC2:SCRATCH_EN: 0
; COMPUTE_PGM_RSRC2:USER_SGPR: 6
; COMPUTE_PGM_RSRC2:TRAP_HANDLER: 0
; COMPUTE_PGM_RSRC2:TGID_X_EN: 1
; COMPUTE_PGM_RSRC2:TGID_Y_EN: 0
; COMPUTE_PGM_RSRC2:TGID_Z_EN: 0
; COMPUTE_PGM_RSRC2:TIDIG_COMP_CNT: 0
; COMPUTE_PGM_RSRC3_GFX90A:ACCUM_OFFSET: 0
; COMPUTE_PGM_RSRC3_GFX90A:TG_SPLIT: 0
	.section	.text._ZN7rocprim17ROCPRIM_400000_NS6detail17trampoline_kernelINS0_14default_configENS1_25partition_config_selectorILNS1_17partition_subalgoE2EsNS0_10empty_typeEbEEZZNS1_14partition_implILS5_2ELb0ES3_jN6thrust23THRUST_200600_302600_NS6detail15normal_iteratorINSA_7pointerIsNSA_11hip_rocprim3tagENSA_11use_defaultESG_EEEEPS6_NSA_18transform_iteratorINSA_8identityIsEENSC_INSA_10device_ptrIsEEEESG_SG_EENS0_5tupleIJPsSJ_EEENSR_IJSJ_SJ_EEES6_PlJS6_EEE10hipError_tPvRmT3_T4_T5_T6_T7_T9_mT8_P12ihipStream_tbDpT10_ENKUlT_T0_E_clISt17integral_constantIbLb1EES1F_EEDaS1A_S1B_EUlS1A_E_NS1_11comp_targetILNS1_3genE2ELNS1_11target_archE906ELNS1_3gpuE6ELNS1_3repE0EEENS1_30default_config_static_selectorELNS0_4arch9wavefront6targetE1EEEvT1_,"axG",@progbits,_ZN7rocprim17ROCPRIM_400000_NS6detail17trampoline_kernelINS0_14default_configENS1_25partition_config_selectorILNS1_17partition_subalgoE2EsNS0_10empty_typeEbEEZZNS1_14partition_implILS5_2ELb0ES3_jN6thrust23THRUST_200600_302600_NS6detail15normal_iteratorINSA_7pointerIsNSA_11hip_rocprim3tagENSA_11use_defaultESG_EEEEPS6_NSA_18transform_iteratorINSA_8identityIsEENSC_INSA_10device_ptrIsEEEESG_SG_EENS0_5tupleIJPsSJ_EEENSR_IJSJ_SJ_EEES6_PlJS6_EEE10hipError_tPvRmT3_T4_T5_T6_T7_T9_mT8_P12ihipStream_tbDpT10_ENKUlT_T0_E_clISt17integral_constantIbLb1EES1F_EEDaS1A_S1B_EUlS1A_E_NS1_11comp_targetILNS1_3genE2ELNS1_11target_archE906ELNS1_3gpuE6ELNS1_3repE0EEENS1_30default_config_static_selectorELNS0_4arch9wavefront6targetE1EEEvT1_,comdat
	.protected	_ZN7rocprim17ROCPRIM_400000_NS6detail17trampoline_kernelINS0_14default_configENS1_25partition_config_selectorILNS1_17partition_subalgoE2EsNS0_10empty_typeEbEEZZNS1_14partition_implILS5_2ELb0ES3_jN6thrust23THRUST_200600_302600_NS6detail15normal_iteratorINSA_7pointerIsNSA_11hip_rocprim3tagENSA_11use_defaultESG_EEEEPS6_NSA_18transform_iteratorINSA_8identityIsEENSC_INSA_10device_ptrIsEEEESG_SG_EENS0_5tupleIJPsSJ_EEENSR_IJSJ_SJ_EEES6_PlJS6_EEE10hipError_tPvRmT3_T4_T5_T6_T7_T9_mT8_P12ihipStream_tbDpT10_ENKUlT_T0_E_clISt17integral_constantIbLb1EES1F_EEDaS1A_S1B_EUlS1A_E_NS1_11comp_targetILNS1_3genE2ELNS1_11target_archE906ELNS1_3gpuE6ELNS1_3repE0EEENS1_30default_config_static_selectorELNS0_4arch9wavefront6targetE1EEEvT1_ ; -- Begin function _ZN7rocprim17ROCPRIM_400000_NS6detail17trampoline_kernelINS0_14default_configENS1_25partition_config_selectorILNS1_17partition_subalgoE2EsNS0_10empty_typeEbEEZZNS1_14partition_implILS5_2ELb0ES3_jN6thrust23THRUST_200600_302600_NS6detail15normal_iteratorINSA_7pointerIsNSA_11hip_rocprim3tagENSA_11use_defaultESG_EEEEPS6_NSA_18transform_iteratorINSA_8identityIsEENSC_INSA_10device_ptrIsEEEESG_SG_EENS0_5tupleIJPsSJ_EEENSR_IJSJ_SJ_EEES6_PlJS6_EEE10hipError_tPvRmT3_T4_T5_T6_T7_T9_mT8_P12ihipStream_tbDpT10_ENKUlT_T0_E_clISt17integral_constantIbLb1EES1F_EEDaS1A_S1B_EUlS1A_E_NS1_11comp_targetILNS1_3genE2ELNS1_11target_archE906ELNS1_3gpuE6ELNS1_3repE0EEENS1_30default_config_static_selectorELNS0_4arch9wavefront6targetE1EEEvT1_
	.globl	_ZN7rocprim17ROCPRIM_400000_NS6detail17trampoline_kernelINS0_14default_configENS1_25partition_config_selectorILNS1_17partition_subalgoE2EsNS0_10empty_typeEbEEZZNS1_14partition_implILS5_2ELb0ES3_jN6thrust23THRUST_200600_302600_NS6detail15normal_iteratorINSA_7pointerIsNSA_11hip_rocprim3tagENSA_11use_defaultESG_EEEEPS6_NSA_18transform_iteratorINSA_8identityIsEENSC_INSA_10device_ptrIsEEEESG_SG_EENS0_5tupleIJPsSJ_EEENSR_IJSJ_SJ_EEES6_PlJS6_EEE10hipError_tPvRmT3_T4_T5_T6_T7_T9_mT8_P12ihipStream_tbDpT10_ENKUlT_T0_E_clISt17integral_constantIbLb1EES1F_EEDaS1A_S1B_EUlS1A_E_NS1_11comp_targetILNS1_3genE2ELNS1_11target_archE906ELNS1_3gpuE6ELNS1_3repE0EEENS1_30default_config_static_selectorELNS0_4arch9wavefront6targetE1EEEvT1_
	.p2align	8
	.type	_ZN7rocprim17ROCPRIM_400000_NS6detail17trampoline_kernelINS0_14default_configENS1_25partition_config_selectorILNS1_17partition_subalgoE2EsNS0_10empty_typeEbEEZZNS1_14partition_implILS5_2ELb0ES3_jN6thrust23THRUST_200600_302600_NS6detail15normal_iteratorINSA_7pointerIsNSA_11hip_rocprim3tagENSA_11use_defaultESG_EEEEPS6_NSA_18transform_iteratorINSA_8identityIsEENSC_INSA_10device_ptrIsEEEESG_SG_EENS0_5tupleIJPsSJ_EEENSR_IJSJ_SJ_EEES6_PlJS6_EEE10hipError_tPvRmT3_T4_T5_T6_T7_T9_mT8_P12ihipStream_tbDpT10_ENKUlT_T0_E_clISt17integral_constantIbLb1EES1F_EEDaS1A_S1B_EUlS1A_E_NS1_11comp_targetILNS1_3genE2ELNS1_11target_archE906ELNS1_3gpuE6ELNS1_3repE0EEENS1_30default_config_static_selectorELNS0_4arch9wavefront6targetE1EEEvT1_,@function
_ZN7rocprim17ROCPRIM_400000_NS6detail17trampoline_kernelINS0_14default_configENS1_25partition_config_selectorILNS1_17partition_subalgoE2EsNS0_10empty_typeEbEEZZNS1_14partition_implILS5_2ELb0ES3_jN6thrust23THRUST_200600_302600_NS6detail15normal_iteratorINSA_7pointerIsNSA_11hip_rocprim3tagENSA_11use_defaultESG_EEEEPS6_NSA_18transform_iteratorINSA_8identityIsEENSC_INSA_10device_ptrIsEEEESG_SG_EENS0_5tupleIJPsSJ_EEENSR_IJSJ_SJ_EEES6_PlJS6_EEE10hipError_tPvRmT3_T4_T5_T6_T7_T9_mT8_P12ihipStream_tbDpT10_ENKUlT_T0_E_clISt17integral_constantIbLb1EES1F_EEDaS1A_S1B_EUlS1A_E_NS1_11comp_targetILNS1_3genE2ELNS1_11target_archE906ELNS1_3gpuE6ELNS1_3repE0EEENS1_30default_config_static_selectorELNS0_4arch9wavefront6targetE1EEEvT1_: ; @_ZN7rocprim17ROCPRIM_400000_NS6detail17trampoline_kernelINS0_14default_configENS1_25partition_config_selectorILNS1_17partition_subalgoE2EsNS0_10empty_typeEbEEZZNS1_14partition_implILS5_2ELb0ES3_jN6thrust23THRUST_200600_302600_NS6detail15normal_iteratorINSA_7pointerIsNSA_11hip_rocprim3tagENSA_11use_defaultESG_EEEEPS6_NSA_18transform_iteratorINSA_8identityIsEENSC_INSA_10device_ptrIsEEEESG_SG_EENS0_5tupleIJPsSJ_EEENSR_IJSJ_SJ_EEES6_PlJS6_EEE10hipError_tPvRmT3_T4_T5_T6_T7_T9_mT8_P12ihipStream_tbDpT10_ENKUlT_T0_E_clISt17integral_constantIbLb1EES1F_EEDaS1A_S1B_EUlS1A_E_NS1_11comp_targetILNS1_3genE2ELNS1_11target_archE906ELNS1_3gpuE6ELNS1_3repE0EEENS1_30default_config_static_selectorELNS0_4arch9wavefront6targetE1EEEvT1_
; %bb.0:
	.section	.rodata,"a",@progbits
	.p2align	6, 0x0
	.amdhsa_kernel _ZN7rocprim17ROCPRIM_400000_NS6detail17trampoline_kernelINS0_14default_configENS1_25partition_config_selectorILNS1_17partition_subalgoE2EsNS0_10empty_typeEbEEZZNS1_14partition_implILS5_2ELb0ES3_jN6thrust23THRUST_200600_302600_NS6detail15normal_iteratorINSA_7pointerIsNSA_11hip_rocprim3tagENSA_11use_defaultESG_EEEEPS6_NSA_18transform_iteratorINSA_8identityIsEENSC_INSA_10device_ptrIsEEEESG_SG_EENS0_5tupleIJPsSJ_EEENSR_IJSJ_SJ_EEES6_PlJS6_EEE10hipError_tPvRmT3_T4_T5_T6_T7_T9_mT8_P12ihipStream_tbDpT10_ENKUlT_T0_E_clISt17integral_constantIbLb1EES1F_EEDaS1A_S1B_EUlS1A_E_NS1_11comp_targetILNS1_3genE2ELNS1_11target_archE906ELNS1_3gpuE6ELNS1_3repE0EEENS1_30default_config_static_selectorELNS0_4arch9wavefront6targetE1EEEvT1_
		.amdhsa_group_segment_fixed_size 0
		.amdhsa_private_segment_fixed_size 0
		.amdhsa_kernarg_size 144
		.amdhsa_user_sgpr_count 6
		.amdhsa_user_sgpr_private_segment_buffer 1
		.amdhsa_user_sgpr_dispatch_ptr 0
		.amdhsa_user_sgpr_queue_ptr 0
		.amdhsa_user_sgpr_kernarg_segment_ptr 1
		.amdhsa_user_sgpr_dispatch_id 0
		.amdhsa_user_sgpr_flat_scratch_init 0
		.amdhsa_user_sgpr_kernarg_preload_length 0
		.amdhsa_user_sgpr_kernarg_preload_offset 0
		.amdhsa_user_sgpr_private_segment_size 0
		.amdhsa_uses_dynamic_stack 0
		.amdhsa_system_sgpr_private_segment_wavefront_offset 0
		.amdhsa_system_sgpr_workgroup_id_x 1
		.amdhsa_system_sgpr_workgroup_id_y 0
		.amdhsa_system_sgpr_workgroup_id_z 0
		.amdhsa_system_sgpr_workgroup_info 0
		.amdhsa_system_vgpr_workitem_id 0
		.amdhsa_next_free_vgpr 1
		.amdhsa_next_free_sgpr 0
		.amdhsa_accum_offset 4
		.amdhsa_reserve_vcc 0
		.amdhsa_reserve_flat_scratch 0
		.amdhsa_float_round_mode_32 0
		.amdhsa_float_round_mode_16_64 0
		.amdhsa_float_denorm_mode_32 3
		.amdhsa_float_denorm_mode_16_64 3
		.amdhsa_dx10_clamp 1
		.amdhsa_ieee_mode 1
		.amdhsa_fp16_overflow 0
		.amdhsa_tg_split 0
		.amdhsa_exception_fp_ieee_invalid_op 0
		.amdhsa_exception_fp_denorm_src 0
		.amdhsa_exception_fp_ieee_div_zero 0
		.amdhsa_exception_fp_ieee_overflow 0
		.amdhsa_exception_fp_ieee_underflow 0
		.amdhsa_exception_fp_ieee_inexact 0
		.amdhsa_exception_int_div_zero 0
	.end_amdhsa_kernel
	.section	.text._ZN7rocprim17ROCPRIM_400000_NS6detail17trampoline_kernelINS0_14default_configENS1_25partition_config_selectorILNS1_17partition_subalgoE2EsNS0_10empty_typeEbEEZZNS1_14partition_implILS5_2ELb0ES3_jN6thrust23THRUST_200600_302600_NS6detail15normal_iteratorINSA_7pointerIsNSA_11hip_rocprim3tagENSA_11use_defaultESG_EEEEPS6_NSA_18transform_iteratorINSA_8identityIsEENSC_INSA_10device_ptrIsEEEESG_SG_EENS0_5tupleIJPsSJ_EEENSR_IJSJ_SJ_EEES6_PlJS6_EEE10hipError_tPvRmT3_T4_T5_T6_T7_T9_mT8_P12ihipStream_tbDpT10_ENKUlT_T0_E_clISt17integral_constantIbLb1EES1F_EEDaS1A_S1B_EUlS1A_E_NS1_11comp_targetILNS1_3genE2ELNS1_11target_archE906ELNS1_3gpuE6ELNS1_3repE0EEENS1_30default_config_static_selectorELNS0_4arch9wavefront6targetE1EEEvT1_,"axG",@progbits,_ZN7rocprim17ROCPRIM_400000_NS6detail17trampoline_kernelINS0_14default_configENS1_25partition_config_selectorILNS1_17partition_subalgoE2EsNS0_10empty_typeEbEEZZNS1_14partition_implILS5_2ELb0ES3_jN6thrust23THRUST_200600_302600_NS6detail15normal_iteratorINSA_7pointerIsNSA_11hip_rocprim3tagENSA_11use_defaultESG_EEEEPS6_NSA_18transform_iteratorINSA_8identityIsEENSC_INSA_10device_ptrIsEEEESG_SG_EENS0_5tupleIJPsSJ_EEENSR_IJSJ_SJ_EEES6_PlJS6_EEE10hipError_tPvRmT3_T4_T5_T6_T7_T9_mT8_P12ihipStream_tbDpT10_ENKUlT_T0_E_clISt17integral_constantIbLb1EES1F_EEDaS1A_S1B_EUlS1A_E_NS1_11comp_targetILNS1_3genE2ELNS1_11target_archE906ELNS1_3gpuE6ELNS1_3repE0EEENS1_30default_config_static_selectorELNS0_4arch9wavefront6targetE1EEEvT1_,comdat
.Lfunc_end557:
	.size	_ZN7rocprim17ROCPRIM_400000_NS6detail17trampoline_kernelINS0_14default_configENS1_25partition_config_selectorILNS1_17partition_subalgoE2EsNS0_10empty_typeEbEEZZNS1_14partition_implILS5_2ELb0ES3_jN6thrust23THRUST_200600_302600_NS6detail15normal_iteratorINSA_7pointerIsNSA_11hip_rocprim3tagENSA_11use_defaultESG_EEEEPS6_NSA_18transform_iteratorINSA_8identityIsEENSC_INSA_10device_ptrIsEEEESG_SG_EENS0_5tupleIJPsSJ_EEENSR_IJSJ_SJ_EEES6_PlJS6_EEE10hipError_tPvRmT3_T4_T5_T6_T7_T9_mT8_P12ihipStream_tbDpT10_ENKUlT_T0_E_clISt17integral_constantIbLb1EES1F_EEDaS1A_S1B_EUlS1A_E_NS1_11comp_targetILNS1_3genE2ELNS1_11target_archE906ELNS1_3gpuE6ELNS1_3repE0EEENS1_30default_config_static_selectorELNS0_4arch9wavefront6targetE1EEEvT1_, .Lfunc_end557-_ZN7rocprim17ROCPRIM_400000_NS6detail17trampoline_kernelINS0_14default_configENS1_25partition_config_selectorILNS1_17partition_subalgoE2EsNS0_10empty_typeEbEEZZNS1_14partition_implILS5_2ELb0ES3_jN6thrust23THRUST_200600_302600_NS6detail15normal_iteratorINSA_7pointerIsNSA_11hip_rocprim3tagENSA_11use_defaultESG_EEEEPS6_NSA_18transform_iteratorINSA_8identityIsEENSC_INSA_10device_ptrIsEEEESG_SG_EENS0_5tupleIJPsSJ_EEENSR_IJSJ_SJ_EEES6_PlJS6_EEE10hipError_tPvRmT3_T4_T5_T6_T7_T9_mT8_P12ihipStream_tbDpT10_ENKUlT_T0_E_clISt17integral_constantIbLb1EES1F_EEDaS1A_S1B_EUlS1A_E_NS1_11comp_targetILNS1_3genE2ELNS1_11target_archE906ELNS1_3gpuE6ELNS1_3repE0EEENS1_30default_config_static_selectorELNS0_4arch9wavefront6targetE1EEEvT1_
                                        ; -- End function
	.section	.AMDGPU.csdata,"",@progbits
; Kernel info:
; codeLenInByte = 0
; NumSgprs: 4
; NumVgprs: 0
; NumAgprs: 0
; TotalNumVgprs: 0
; ScratchSize: 0
; MemoryBound: 0
; FloatMode: 240
; IeeeMode: 1
; LDSByteSize: 0 bytes/workgroup (compile time only)
; SGPRBlocks: 0
; VGPRBlocks: 0
; NumSGPRsForWavesPerEU: 4
; NumVGPRsForWavesPerEU: 1
; AccumOffset: 4
; Occupancy: 8
; WaveLimiterHint : 0
; COMPUTE_PGM_RSRC2:SCRATCH_EN: 0
; COMPUTE_PGM_RSRC2:USER_SGPR: 6
; COMPUTE_PGM_RSRC2:TRAP_HANDLER: 0
; COMPUTE_PGM_RSRC2:TGID_X_EN: 1
; COMPUTE_PGM_RSRC2:TGID_Y_EN: 0
; COMPUTE_PGM_RSRC2:TGID_Z_EN: 0
; COMPUTE_PGM_RSRC2:TIDIG_COMP_CNT: 0
; COMPUTE_PGM_RSRC3_GFX90A:ACCUM_OFFSET: 0
; COMPUTE_PGM_RSRC3_GFX90A:TG_SPLIT: 0
	.section	.text._ZN7rocprim17ROCPRIM_400000_NS6detail17trampoline_kernelINS0_14default_configENS1_25partition_config_selectorILNS1_17partition_subalgoE2EsNS0_10empty_typeEbEEZZNS1_14partition_implILS5_2ELb0ES3_jN6thrust23THRUST_200600_302600_NS6detail15normal_iteratorINSA_7pointerIsNSA_11hip_rocprim3tagENSA_11use_defaultESG_EEEEPS6_NSA_18transform_iteratorINSA_8identityIsEENSC_INSA_10device_ptrIsEEEESG_SG_EENS0_5tupleIJPsSJ_EEENSR_IJSJ_SJ_EEES6_PlJS6_EEE10hipError_tPvRmT3_T4_T5_T6_T7_T9_mT8_P12ihipStream_tbDpT10_ENKUlT_T0_E_clISt17integral_constantIbLb1EES1F_EEDaS1A_S1B_EUlS1A_E_NS1_11comp_targetILNS1_3genE10ELNS1_11target_archE1200ELNS1_3gpuE4ELNS1_3repE0EEENS1_30default_config_static_selectorELNS0_4arch9wavefront6targetE1EEEvT1_,"axG",@progbits,_ZN7rocprim17ROCPRIM_400000_NS6detail17trampoline_kernelINS0_14default_configENS1_25partition_config_selectorILNS1_17partition_subalgoE2EsNS0_10empty_typeEbEEZZNS1_14partition_implILS5_2ELb0ES3_jN6thrust23THRUST_200600_302600_NS6detail15normal_iteratorINSA_7pointerIsNSA_11hip_rocprim3tagENSA_11use_defaultESG_EEEEPS6_NSA_18transform_iteratorINSA_8identityIsEENSC_INSA_10device_ptrIsEEEESG_SG_EENS0_5tupleIJPsSJ_EEENSR_IJSJ_SJ_EEES6_PlJS6_EEE10hipError_tPvRmT3_T4_T5_T6_T7_T9_mT8_P12ihipStream_tbDpT10_ENKUlT_T0_E_clISt17integral_constantIbLb1EES1F_EEDaS1A_S1B_EUlS1A_E_NS1_11comp_targetILNS1_3genE10ELNS1_11target_archE1200ELNS1_3gpuE4ELNS1_3repE0EEENS1_30default_config_static_selectorELNS0_4arch9wavefront6targetE1EEEvT1_,comdat
	.protected	_ZN7rocprim17ROCPRIM_400000_NS6detail17trampoline_kernelINS0_14default_configENS1_25partition_config_selectorILNS1_17partition_subalgoE2EsNS0_10empty_typeEbEEZZNS1_14partition_implILS5_2ELb0ES3_jN6thrust23THRUST_200600_302600_NS6detail15normal_iteratorINSA_7pointerIsNSA_11hip_rocprim3tagENSA_11use_defaultESG_EEEEPS6_NSA_18transform_iteratorINSA_8identityIsEENSC_INSA_10device_ptrIsEEEESG_SG_EENS0_5tupleIJPsSJ_EEENSR_IJSJ_SJ_EEES6_PlJS6_EEE10hipError_tPvRmT3_T4_T5_T6_T7_T9_mT8_P12ihipStream_tbDpT10_ENKUlT_T0_E_clISt17integral_constantIbLb1EES1F_EEDaS1A_S1B_EUlS1A_E_NS1_11comp_targetILNS1_3genE10ELNS1_11target_archE1200ELNS1_3gpuE4ELNS1_3repE0EEENS1_30default_config_static_selectorELNS0_4arch9wavefront6targetE1EEEvT1_ ; -- Begin function _ZN7rocprim17ROCPRIM_400000_NS6detail17trampoline_kernelINS0_14default_configENS1_25partition_config_selectorILNS1_17partition_subalgoE2EsNS0_10empty_typeEbEEZZNS1_14partition_implILS5_2ELb0ES3_jN6thrust23THRUST_200600_302600_NS6detail15normal_iteratorINSA_7pointerIsNSA_11hip_rocprim3tagENSA_11use_defaultESG_EEEEPS6_NSA_18transform_iteratorINSA_8identityIsEENSC_INSA_10device_ptrIsEEEESG_SG_EENS0_5tupleIJPsSJ_EEENSR_IJSJ_SJ_EEES6_PlJS6_EEE10hipError_tPvRmT3_T4_T5_T6_T7_T9_mT8_P12ihipStream_tbDpT10_ENKUlT_T0_E_clISt17integral_constantIbLb1EES1F_EEDaS1A_S1B_EUlS1A_E_NS1_11comp_targetILNS1_3genE10ELNS1_11target_archE1200ELNS1_3gpuE4ELNS1_3repE0EEENS1_30default_config_static_selectorELNS0_4arch9wavefront6targetE1EEEvT1_
	.globl	_ZN7rocprim17ROCPRIM_400000_NS6detail17trampoline_kernelINS0_14default_configENS1_25partition_config_selectorILNS1_17partition_subalgoE2EsNS0_10empty_typeEbEEZZNS1_14partition_implILS5_2ELb0ES3_jN6thrust23THRUST_200600_302600_NS6detail15normal_iteratorINSA_7pointerIsNSA_11hip_rocprim3tagENSA_11use_defaultESG_EEEEPS6_NSA_18transform_iteratorINSA_8identityIsEENSC_INSA_10device_ptrIsEEEESG_SG_EENS0_5tupleIJPsSJ_EEENSR_IJSJ_SJ_EEES6_PlJS6_EEE10hipError_tPvRmT3_T4_T5_T6_T7_T9_mT8_P12ihipStream_tbDpT10_ENKUlT_T0_E_clISt17integral_constantIbLb1EES1F_EEDaS1A_S1B_EUlS1A_E_NS1_11comp_targetILNS1_3genE10ELNS1_11target_archE1200ELNS1_3gpuE4ELNS1_3repE0EEENS1_30default_config_static_selectorELNS0_4arch9wavefront6targetE1EEEvT1_
	.p2align	8
	.type	_ZN7rocprim17ROCPRIM_400000_NS6detail17trampoline_kernelINS0_14default_configENS1_25partition_config_selectorILNS1_17partition_subalgoE2EsNS0_10empty_typeEbEEZZNS1_14partition_implILS5_2ELb0ES3_jN6thrust23THRUST_200600_302600_NS6detail15normal_iteratorINSA_7pointerIsNSA_11hip_rocprim3tagENSA_11use_defaultESG_EEEEPS6_NSA_18transform_iteratorINSA_8identityIsEENSC_INSA_10device_ptrIsEEEESG_SG_EENS0_5tupleIJPsSJ_EEENSR_IJSJ_SJ_EEES6_PlJS6_EEE10hipError_tPvRmT3_T4_T5_T6_T7_T9_mT8_P12ihipStream_tbDpT10_ENKUlT_T0_E_clISt17integral_constantIbLb1EES1F_EEDaS1A_S1B_EUlS1A_E_NS1_11comp_targetILNS1_3genE10ELNS1_11target_archE1200ELNS1_3gpuE4ELNS1_3repE0EEENS1_30default_config_static_selectorELNS0_4arch9wavefront6targetE1EEEvT1_,@function
_ZN7rocprim17ROCPRIM_400000_NS6detail17trampoline_kernelINS0_14default_configENS1_25partition_config_selectorILNS1_17partition_subalgoE2EsNS0_10empty_typeEbEEZZNS1_14partition_implILS5_2ELb0ES3_jN6thrust23THRUST_200600_302600_NS6detail15normal_iteratorINSA_7pointerIsNSA_11hip_rocprim3tagENSA_11use_defaultESG_EEEEPS6_NSA_18transform_iteratorINSA_8identityIsEENSC_INSA_10device_ptrIsEEEESG_SG_EENS0_5tupleIJPsSJ_EEENSR_IJSJ_SJ_EEES6_PlJS6_EEE10hipError_tPvRmT3_T4_T5_T6_T7_T9_mT8_P12ihipStream_tbDpT10_ENKUlT_T0_E_clISt17integral_constantIbLb1EES1F_EEDaS1A_S1B_EUlS1A_E_NS1_11comp_targetILNS1_3genE10ELNS1_11target_archE1200ELNS1_3gpuE4ELNS1_3repE0EEENS1_30default_config_static_selectorELNS0_4arch9wavefront6targetE1EEEvT1_: ; @_ZN7rocprim17ROCPRIM_400000_NS6detail17trampoline_kernelINS0_14default_configENS1_25partition_config_selectorILNS1_17partition_subalgoE2EsNS0_10empty_typeEbEEZZNS1_14partition_implILS5_2ELb0ES3_jN6thrust23THRUST_200600_302600_NS6detail15normal_iteratorINSA_7pointerIsNSA_11hip_rocprim3tagENSA_11use_defaultESG_EEEEPS6_NSA_18transform_iteratorINSA_8identityIsEENSC_INSA_10device_ptrIsEEEESG_SG_EENS0_5tupleIJPsSJ_EEENSR_IJSJ_SJ_EEES6_PlJS6_EEE10hipError_tPvRmT3_T4_T5_T6_T7_T9_mT8_P12ihipStream_tbDpT10_ENKUlT_T0_E_clISt17integral_constantIbLb1EES1F_EEDaS1A_S1B_EUlS1A_E_NS1_11comp_targetILNS1_3genE10ELNS1_11target_archE1200ELNS1_3gpuE4ELNS1_3repE0EEENS1_30default_config_static_selectorELNS0_4arch9wavefront6targetE1EEEvT1_
; %bb.0:
	.section	.rodata,"a",@progbits
	.p2align	6, 0x0
	.amdhsa_kernel _ZN7rocprim17ROCPRIM_400000_NS6detail17trampoline_kernelINS0_14default_configENS1_25partition_config_selectorILNS1_17partition_subalgoE2EsNS0_10empty_typeEbEEZZNS1_14partition_implILS5_2ELb0ES3_jN6thrust23THRUST_200600_302600_NS6detail15normal_iteratorINSA_7pointerIsNSA_11hip_rocprim3tagENSA_11use_defaultESG_EEEEPS6_NSA_18transform_iteratorINSA_8identityIsEENSC_INSA_10device_ptrIsEEEESG_SG_EENS0_5tupleIJPsSJ_EEENSR_IJSJ_SJ_EEES6_PlJS6_EEE10hipError_tPvRmT3_T4_T5_T6_T7_T9_mT8_P12ihipStream_tbDpT10_ENKUlT_T0_E_clISt17integral_constantIbLb1EES1F_EEDaS1A_S1B_EUlS1A_E_NS1_11comp_targetILNS1_3genE10ELNS1_11target_archE1200ELNS1_3gpuE4ELNS1_3repE0EEENS1_30default_config_static_selectorELNS0_4arch9wavefront6targetE1EEEvT1_
		.amdhsa_group_segment_fixed_size 0
		.amdhsa_private_segment_fixed_size 0
		.amdhsa_kernarg_size 144
		.amdhsa_user_sgpr_count 6
		.amdhsa_user_sgpr_private_segment_buffer 1
		.amdhsa_user_sgpr_dispatch_ptr 0
		.amdhsa_user_sgpr_queue_ptr 0
		.amdhsa_user_sgpr_kernarg_segment_ptr 1
		.amdhsa_user_sgpr_dispatch_id 0
		.amdhsa_user_sgpr_flat_scratch_init 0
		.amdhsa_user_sgpr_kernarg_preload_length 0
		.amdhsa_user_sgpr_kernarg_preload_offset 0
		.amdhsa_user_sgpr_private_segment_size 0
		.amdhsa_uses_dynamic_stack 0
		.amdhsa_system_sgpr_private_segment_wavefront_offset 0
		.amdhsa_system_sgpr_workgroup_id_x 1
		.amdhsa_system_sgpr_workgroup_id_y 0
		.amdhsa_system_sgpr_workgroup_id_z 0
		.amdhsa_system_sgpr_workgroup_info 0
		.amdhsa_system_vgpr_workitem_id 0
		.amdhsa_next_free_vgpr 1
		.amdhsa_next_free_sgpr 0
		.amdhsa_accum_offset 4
		.amdhsa_reserve_vcc 0
		.amdhsa_reserve_flat_scratch 0
		.amdhsa_float_round_mode_32 0
		.amdhsa_float_round_mode_16_64 0
		.amdhsa_float_denorm_mode_32 3
		.amdhsa_float_denorm_mode_16_64 3
		.amdhsa_dx10_clamp 1
		.amdhsa_ieee_mode 1
		.amdhsa_fp16_overflow 0
		.amdhsa_tg_split 0
		.amdhsa_exception_fp_ieee_invalid_op 0
		.amdhsa_exception_fp_denorm_src 0
		.amdhsa_exception_fp_ieee_div_zero 0
		.amdhsa_exception_fp_ieee_overflow 0
		.amdhsa_exception_fp_ieee_underflow 0
		.amdhsa_exception_fp_ieee_inexact 0
		.amdhsa_exception_int_div_zero 0
	.end_amdhsa_kernel
	.section	.text._ZN7rocprim17ROCPRIM_400000_NS6detail17trampoline_kernelINS0_14default_configENS1_25partition_config_selectorILNS1_17partition_subalgoE2EsNS0_10empty_typeEbEEZZNS1_14partition_implILS5_2ELb0ES3_jN6thrust23THRUST_200600_302600_NS6detail15normal_iteratorINSA_7pointerIsNSA_11hip_rocprim3tagENSA_11use_defaultESG_EEEEPS6_NSA_18transform_iteratorINSA_8identityIsEENSC_INSA_10device_ptrIsEEEESG_SG_EENS0_5tupleIJPsSJ_EEENSR_IJSJ_SJ_EEES6_PlJS6_EEE10hipError_tPvRmT3_T4_T5_T6_T7_T9_mT8_P12ihipStream_tbDpT10_ENKUlT_T0_E_clISt17integral_constantIbLb1EES1F_EEDaS1A_S1B_EUlS1A_E_NS1_11comp_targetILNS1_3genE10ELNS1_11target_archE1200ELNS1_3gpuE4ELNS1_3repE0EEENS1_30default_config_static_selectorELNS0_4arch9wavefront6targetE1EEEvT1_,"axG",@progbits,_ZN7rocprim17ROCPRIM_400000_NS6detail17trampoline_kernelINS0_14default_configENS1_25partition_config_selectorILNS1_17partition_subalgoE2EsNS0_10empty_typeEbEEZZNS1_14partition_implILS5_2ELb0ES3_jN6thrust23THRUST_200600_302600_NS6detail15normal_iteratorINSA_7pointerIsNSA_11hip_rocprim3tagENSA_11use_defaultESG_EEEEPS6_NSA_18transform_iteratorINSA_8identityIsEENSC_INSA_10device_ptrIsEEEESG_SG_EENS0_5tupleIJPsSJ_EEENSR_IJSJ_SJ_EEES6_PlJS6_EEE10hipError_tPvRmT3_T4_T5_T6_T7_T9_mT8_P12ihipStream_tbDpT10_ENKUlT_T0_E_clISt17integral_constantIbLb1EES1F_EEDaS1A_S1B_EUlS1A_E_NS1_11comp_targetILNS1_3genE10ELNS1_11target_archE1200ELNS1_3gpuE4ELNS1_3repE0EEENS1_30default_config_static_selectorELNS0_4arch9wavefront6targetE1EEEvT1_,comdat
.Lfunc_end558:
	.size	_ZN7rocprim17ROCPRIM_400000_NS6detail17trampoline_kernelINS0_14default_configENS1_25partition_config_selectorILNS1_17partition_subalgoE2EsNS0_10empty_typeEbEEZZNS1_14partition_implILS5_2ELb0ES3_jN6thrust23THRUST_200600_302600_NS6detail15normal_iteratorINSA_7pointerIsNSA_11hip_rocprim3tagENSA_11use_defaultESG_EEEEPS6_NSA_18transform_iteratorINSA_8identityIsEENSC_INSA_10device_ptrIsEEEESG_SG_EENS0_5tupleIJPsSJ_EEENSR_IJSJ_SJ_EEES6_PlJS6_EEE10hipError_tPvRmT3_T4_T5_T6_T7_T9_mT8_P12ihipStream_tbDpT10_ENKUlT_T0_E_clISt17integral_constantIbLb1EES1F_EEDaS1A_S1B_EUlS1A_E_NS1_11comp_targetILNS1_3genE10ELNS1_11target_archE1200ELNS1_3gpuE4ELNS1_3repE0EEENS1_30default_config_static_selectorELNS0_4arch9wavefront6targetE1EEEvT1_, .Lfunc_end558-_ZN7rocprim17ROCPRIM_400000_NS6detail17trampoline_kernelINS0_14default_configENS1_25partition_config_selectorILNS1_17partition_subalgoE2EsNS0_10empty_typeEbEEZZNS1_14partition_implILS5_2ELb0ES3_jN6thrust23THRUST_200600_302600_NS6detail15normal_iteratorINSA_7pointerIsNSA_11hip_rocprim3tagENSA_11use_defaultESG_EEEEPS6_NSA_18transform_iteratorINSA_8identityIsEENSC_INSA_10device_ptrIsEEEESG_SG_EENS0_5tupleIJPsSJ_EEENSR_IJSJ_SJ_EEES6_PlJS6_EEE10hipError_tPvRmT3_T4_T5_T6_T7_T9_mT8_P12ihipStream_tbDpT10_ENKUlT_T0_E_clISt17integral_constantIbLb1EES1F_EEDaS1A_S1B_EUlS1A_E_NS1_11comp_targetILNS1_3genE10ELNS1_11target_archE1200ELNS1_3gpuE4ELNS1_3repE0EEENS1_30default_config_static_selectorELNS0_4arch9wavefront6targetE1EEEvT1_
                                        ; -- End function
	.section	.AMDGPU.csdata,"",@progbits
; Kernel info:
; codeLenInByte = 0
; NumSgprs: 4
; NumVgprs: 0
; NumAgprs: 0
; TotalNumVgprs: 0
; ScratchSize: 0
; MemoryBound: 0
; FloatMode: 240
; IeeeMode: 1
; LDSByteSize: 0 bytes/workgroup (compile time only)
; SGPRBlocks: 0
; VGPRBlocks: 0
; NumSGPRsForWavesPerEU: 4
; NumVGPRsForWavesPerEU: 1
; AccumOffset: 4
; Occupancy: 8
; WaveLimiterHint : 0
; COMPUTE_PGM_RSRC2:SCRATCH_EN: 0
; COMPUTE_PGM_RSRC2:USER_SGPR: 6
; COMPUTE_PGM_RSRC2:TRAP_HANDLER: 0
; COMPUTE_PGM_RSRC2:TGID_X_EN: 1
; COMPUTE_PGM_RSRC2:TGID_Y_EN: 0
; COMPUTE_PGM_RSRC2:TGID_Z_EN: 0
; COMPUTE_PGM_RSRC2:TIDIG_COMP_CNT: 0
; COMPUTE_PGM_RSRC3_GFX90A:ACCUM_OFFSET: 0
; COMPUTE_PGM_RSRC3_GFX90A:TG_SPLIT: 0
	.section	.text._ZN7rocprim17ROCPRIM_400000_NS6detail17trampoline_kernelINS0_14default_configENS1_25partition_config_selectorILNS1_17partition_subalgoE2EsNS0_10empty_typeEbEEZZNS1_14partition_implILS5_2ELb0ES3_jN6thrust23THRUST_200600_302600_NS6detail15normal_iteratorINSA_7pointerIsNSA_11hip_rocprim3tagENSA_11use_defaultESG_EEEEPS6_NSA_18transform_iteratorINSA_8identityIsEENSC_INSA_10device_ptrIsEEEESG_SG_EENS0_5tupleIJPsSJ_EEENSR_IJSJ_SJ_EEES6_PlJS6_EEE10hipError_tPvRmT3_T4_T5_T6_T7_T9_mT8_P12ihipStream_tbDpT10_ENKUlT_T0_E_clISt17integral_constantIbLb1EES1F_EEDaS1A_S1B_EUlS1A_E_NS1_11comp_targetILNS1_3genE9ELNS1_11target_archE1100ELNS1_3gpuE3ELNS1_3repE0EEENS1_30default_config_static_selectorELNS0_4arch9wavefront6targetE1EEEvT1_,"axG",@progbits,_ZN7rocprim17ROCPRIM_400000_NS6detail17trampoline_kernelINS0_14default_configENS1_25partition_config_selectorILNS1_17partition_subalgoE2EsNS0_10empty_typeEbEEZZNS1_14partition_implILS5_2ELb0ES3_jN6thrust23THRUST_200600_302600_NS6detail15normal_iteratorINSA_7pointerIsNSA_11hip_rocprim3tagENSA_11use_defaultESG_EEEEPS6_NSA_18transform_iteratorINSA_8identityIsEENSC_INSA_10device_ptrIsEEEESG_SG_EENS0_5tupleIJPsSJ_EEENSR_IJSJ_SJ_EEES6_PlJS6_EEE10hipError_tPvRmT3_T4_T5_T6_T7_T9_mT8_P12ihipStream_tbDpT10_ENKUlT_T0_E_clISt17integral_constantIbLb1EES1F_EEDaS1A_S1B_EUlS1A_E_NS1_11comp_targetILNS1_3genE9ELNS1_11target_archE1100ELNS1_3gpuE3ELNS1_3repE0EEENS1_30default_config_static_selectorELNS0_4arch9wavefront6targetE1EEEvT1_,comdat
	.protected	_ZN7rocprim17ROCPRIM_400000_NS6detail17trampoline_kernelINS0_14default_configENS1_25partition_config_selectorILNS1_17partition_subalgoE2EsNS0_10empty_typeEbEEZZNS1_14partition_implILS5_2ELb0ES3_jN6thrust23THRUST_200600_302600_NS6detail15normal_iteratorINSA_7pointerIsNSA_11hip_rocprim3tagENSA_11use_defaultESG_EEEEPS6_NSA_18transform_iteratorINSA_8identityIsEENSC_INSA_10device_ptrIsEEEESG_SG_EENS0_5tupleIJPsSJ_EEENSR_IJSJ_SJ_EEES6_PlJS6_EEE10hipError_tPvRmT3_T4_T5_T6_T7_T9_mT8_P12ihipStream_tbDpT10_ENKUlT_T0_E_clISt17integral_constantIbLb1EES1F_EEDaS1A_S1B_EUlS1A_E_NS1_11comp_targetILNS1_3genE9ELNS1_11target_archE1100ELNS1_3gpuE3ELNS1_3repE0EEENS1_30default_config_static_selectorELNS0_4arch9wavefront6targetE1EEEvT1_ ; -- Begin function _ZN7rocprim17ROCPRIM_400000_NS6detail17trampoline_kernelINS0_14default_configENS1_25partition_config_selectorILNS1_17partition_subalgoE2EsNS0_10empty_typeEbEEZZNS1_14partition_implILS5_2ELb0ES3_jN6thrust23THRUST_200600_302600_NS6detail15normal_iteratorINSA_7pointerIsNSA_11hip_rocprim3tagENSA_11use_defaultESG_EEEEPS6_NSA_18transform_iteratorINSA_8identityIsEENSC_INSA_10device_ptrIsEEEESG_SG_EENS0_5tupleIJPsSJ_EEENSR_IJSJ_SJ_EEES6_PlJS6_EEE10hipError_tPvRmT3_T4_T5_T6_T7_T9_mT8_P12ihipStream_tbDpT10_ENKUlT_T0_E_clISt17integral_constantIbLb1EES1F_EEDaS1A_S1B_EUlS1A_E_NS1_11comp_targetILNS1_3genE9ELNS1_11target_archE1100ELNS1_3gpuE3ELNS1_3repE0EEENS1_30default_config_static_selectorELNS0_4arch9wavefront6targetE1EEEvT1_
	.globl	_ZN7rocprim17ROCPRIM_400000_NS6detail17trampoline_kernelINS0_14default_configENS1_25partition_config_selectorILNS1_17partition_subalgoE2EsNS0_10empty_typeEbEEZZNS1_14partition_implILS5_2ELb0ES3_jN6thrust23THRUST_200600_302600_NS6detail15normal_iteratorINSA_7pointerIsNSA_11hip_rocprim3tagENSA_11use_defaultESG_EEEEPS6_NSA_18transform_iteratorINSA_8identityIsEENSC_INSA_10device_ptrIsEEEESG_SG_EENS0_5tupleIJPsSJ_EEENSR_IJSJ_SJ_EEES6_PlJS6_EEE10hipError_tPvRmT3_T4_T5_T6_T7_T9_mT8_P12ihipStream_tbDpT10_ENKUlT_T0_E_clISt17integral_constantIbLb1EES1F_EEDaS1A_S1B_EUlS1A_E_NS1_11comp_targetILNS1_3genE9ELNS1_11target_archE1100ELNS1_3gpuE3ELNS1_3repE0EEENS1_30default_config_static_selectorELNS0_4arch9wavefront6targetE1EEEvT1_
	.p2align	8
	.type	_ZN7rocprim17ROCPRIM_400000_NS6detail17trampoline_kernelINS0_14default_configENS1_25partition_config_selectorILNS1_17partition_subalgoE2EsNS0_10empty_typeEbEEZZNS1_14partition_implILS5_2ELb0ES3_jN6thrust23THRUST_200600_302600_NS6detail15normal_iteratorINSA_7pointerIsNSA_11hip_rocprim3tagENSA_11use_defaultESG_EEEEPS6_NSA_18transform_iteratorINSA_8identityIsEENSC_INSA_10device_ptrIsEEEESG_SG_EENS0_5tupleIJPsSJ_EEENSR_IJSJ_SJ_EEES6_PlJS6_EEE10hipError_tPvRmT3_T4_T5_T6_T7_T9_mT8_P12ihipStream_tbDpT10_ENKUlT_T0_E_clISt17integral_constantIbLb1EES1F_EEDaS1A_S1B_EUlS1A_E_NS1_11comp_targetILNS1_3genE9ELNS1_11target_archE1100ELNS1_3gpuE3ELNS1_3repE0EEENS1_30default_config_static_selectorELNS0_4arch9wavefront6targetE1EEEvT1_,@function
_ZN7rocprim17ROCPRIM_400000_NS6detail17trampoline_kernelINS0_14default_configENS1_25partition_config_selectorILNS1_17partition_subalgoE2EsNS0_10empty_typeEbEEZZNS1_14partition_implILS5_2ELb0ES3_jN6thrust23THRUST_200600_302600_NS6detail15normal_iteratorINSA_7pointerIsNSA_11hip_rocprim3tagENSA_11use_defaultESG_EEEEPS6_NSA_18transform_iteratorINSA_8identityIsEENSC_INSA_10device_ptrIsEEEESG_SG_EENS0_5tupleIJPsSJ_EEENSR_IJSJ_SJ_EEES6_PlJS6_EEE10hipError_tPvRmT3_T4_T5_T6_T7_T9_mT8_P12ihipStream_tbDpT10_ENKUlT_T0_E_clISt17integral_constantIbLb1EES1F_EEDaS1A_S1B_EUlS1A_E_NS1_11comp_targetILNS1_3genE9ELNS1_11target_archE1100ELNS1_3gpuE3ELNS1_3repE0EEENS1_30default_config_static_selectorELNS0_4arch9wavefront6targetE1EEEvT1_: ; @_ZN7rocprim17ROCPRIM_400000_NS6detail17trampoline_kernelINS0_14default_configENS1_25partition_config_selectorILNS1_17partition_subalgoE2EsNS0_10empty_typeEbEEZZNS1_14partition_implILS5_2ELb0ES3_jN6thrust23THRUST_200600_302600_NS6detail15normal_iteratorINSA_7pointerIsNSA_11hip_rocprim3tagENSA_11use_defaultESG_EEEEPS6_NSA_18transform_iteratorINSA_8identityIsEENSC_INSA_10device_ptrIsEEEESG_SG_EENS0_5tupleIJPsSJ_EEENSR_IJSJ_SJ_EEES6_PlJS6_EEE10hipError_tPvRmT3_T4_T5_T6_T7_T9_mT8_P12ihipStream_tbDpT10_ENKUlT_T0_E_clISt17integral_constantIbLb1EES1F_EEDaS1A_S1B_EUlS1A_E_NS1_11comp_targetILNS1_3genE9ELNS1_11target_archE1100ELNS1_3gpuE3ELNS1_3repE0EEENS1_30default_config_static_selectorELNS0_4arch9wavefront6targetE1EEEvT1_
; %bb.0:
	.section	.rodata,"a",@progbits
	.p2align	6, 0x0
	.amdhsa_kernel _ZN7rocprim17ROCPRIM_400000_NS6detail17trampoline_kernelINS0_14default_configENS1_25partition_config_selectorILNS1_17partition_subalgoE2EsNS0_10empty_typeEbEEZZNS1_14partition_implILS5_2ELb0ES3_jN6thrust23THRUST_200600_302600_NS6detail15normal_iteratorINSA_7pointerIsNSA_11hip_rocprim3tagENSA_11use_defaultESG_EEEEPS6_NSA_18transform_iteratorINSA_8identityIsEENSC_INSA_10device_ptrIsEEEESG_SG_EENS0_5tupleIJPsSJ_EEENSR_IJSJ_SJ_EEES6_PlJS6_EEE10hipError_tPvRmT3_T4_T5_T6_T7_T9_mT8_P12ihipStream_tbDpT10_ENKUlT_T0_E_clISt17integral_constantIbLb1EES1F_EEDaS1A_S1B_EUlS1A_E_NS1_11comp_targetILNS1_3genE9ELNS1_11target_archE1100ELNS1_3gpuE3ELNS1_3repE0EEENS1_30default_config_static_selectorELNS0_4arch9wavefront6targetE1EEEvT1_
		.amdhsa_group_segment_fixed_size 0
		.amdhsa_private_segment_fixed_size 0
		.amdhsa_kernarg_size 144
		.amdhsa_user_sgpr_count 6
		.amdhsa_user_sgpr_private_segment_buffer 1
		.amdhsa_user_sgpr_dispatch_ptr 0
		.amdhsa_user_sgpr_queue_ptr 0
		.amdhsa_user_sgpr_kernarg_segment_ptr 1
		.amdhsa_user_sgpr_dispatch_id 0
		.amdhsa_user_sgpr_flat_scratch_init 0
		.amdhsa_user_sgpr_kernarg_preload_length 0
		.amdhsa_user_sgpr_kernarg_preload_offset 0
		.amdhsa_user_sgpr_private_segment_size 0
		.amdhsa_uses_dynamic_stack 0
		.amdhsa_system_sgpr_private_segment_wavefront_offset 0
		.amdhsa_system_sgpr_workgroup_id_x 1
		.amdhsa_system_sgpr_workgroup_id_y 0
		.amdhsa_system_sgpr_workgroup_id_z 0
		.amdhsa_system_sgpr_workgroup_info 0
		.amdhsa_system_vgpr_workitem_id 0
		.amdhsa_next_free_vgpr 1
		.amdhsa_next_free_sgpr 0
		.amdhsa_accum_offset 4
		.amdhsa_reserve_vcc 0
		.amdhsa_reserve_flat_scratch 0
		.amdhsa_float_round_mode_32 0
		.amdhsa_float_round_mode_16_64 0
		.amdhsa_float_denorm_mode_32 3
		.amdhsa_float_denorm_mode_16_64 3
		.amdhsa_dx10_clamp 1
		.amdhsa_ieee_mode 1
		.amdhsa_fp16_overflow 0
		.amdhsa_tg_split 0
		.amdhsa_exception_fp_ieee_invalid_op 0
		.amdhsa_exception_fp_denorm_src 0
		.amdhsa_exception_fp_ieee_div_zero 0
		.amdhsa_exception_fp_ieee_overflow 0
		.amdhsa_exception_fp_ieee_underflow 0
		.amdhsa_exception_fp_ieee_inexact 0
		.amdhsa_exception_int_div_zero 0
	.end_amdhsa_kernel
	.section	.text._ZN7rocprim17ROCPRIM_400000_NS6detail17trampoline_kernelINS0_14default_configENS1_25partition_config_selectorILNS1_17partition_subalgoE2EsNS0_10empty_typeEbEEZZNS1_14partition_implILS5_2ELb0ES3_jN6thrust23THRUST_200600_302600_NS6detail15normal_iteratorINSA_7pointerIsNSA_11hip_rocprim3tagENSA_11use_defaultESG_EEEEPS6_NSA_18transform_iteratorINSA_8identityIsEENSC_INSA_10device_ptrIsEEEESG_SG_EENS0_5tupleIJPsSJ_EEENSR_IJSJ_SJ_EEES6_PlJS6_EEE10hipError_tPvRmT3_T4_T5_T6_T7_T9_mT8_P12ihipStream_tbDpT10_ENKUlT_T0_E_clISt17integral_constantIbLb1EES1F_EEDaS1A_S1B_EUlS1A_E_NS1_11comp_targetILNS1_3genE9ELNS1_11target_archE1100ELNS1_3gpuE3ELNS1_3repE0EEENS1_30default_config_static_selectorELNS0_4arch9wavefront6targetE1EEEvT1_,"axG",@progbits,_ZN7rocprim17ROCPRIM_400000_NS6detail17trampoline_kernelINS0_14default_configENS1_25partition_config_selectorILNS1_17partition_subalgoE2EsNS0_10empty_typeEbEEZZNS1_14partition_implILS5_2ELb0ES3_jN6thrust23THRUST_200600_302600_NS6detail15normal_iteratorINSA_7pointerIsNSA_11hip_rocprim3tagENSA_11use_defaultESG_EEEEPS6_NSA_18transform_iteratorINSA_8identityIsEENSC_INSA_10device_ptrIsEEEESG_SG_EENS0_5tupleIJPsSJ_EEENSR_IJSJ_SJ_EEES6_PlJS6_EEE10hipError_tPvRmT3_T4_T5_T6_T7_T9_mT8_P12ihipStream_tbDpT10_ENKUlT_T0_E_clISt17integral_constantIbLb1EES1F_EEDaS1A_S1B_EUlS1A_E_NS1_11comp_targetILNS1_3genE9ELNS1_11target_archE1100ELNS1_3gpuE3ELNS1_3repE0EEENS1_30default_config_static_selectorELNS0_4arch9wavefront6targetE1EEEvT1_,comdat
.Lfunc_end559:
	.size	_ZN7rocprim17ROCPRIM_400000_NS6detail17trampoline_kernelINS0_14default_configENS1_25partition_config_selectorILNS1_17partition_subalgoE2EsNS0_10empty_typeEbEEZZNS1_14partition_implILS5_2ELb0ES3_jN6thrust23THRUST_200600_302600_NS6detail15normal_iteratorINSA_7pointerIsNSA_11hip_rocprim3tagENSA_11use_defaultESG_EEEEPS6_NSA_18transform_iteratorINSA_8identityIsEENSC_INSA_10device_ptrIsEEEESG_SG_EENS0_5tupleIJPsSJ_EEENSR_IJSJ_SJ_EEES6_PlJS6_EEE10hipError_tPvRmT3_T4_T5_T6_T7_T9_mT8_P12ihipStream_tbDpT10_ENKUlT_T0_E_clISt17integral_constantIbLb1EES1F_EEDaS1A_S1B_EUlS1A_E_NS1_11comp_targetILNS1_3genE9ELNS1_11target_archE1100ELNS1_3gpuE3ELNS1_3repE0EEENS1_30default_config_static_selectorELNS0_4arch9wavefront6targetE1EEEvT1_, .Lfunc_end559-_ZN7rocprim17ROCPRIM_400000_NS6detail17trampoline_kernelINS0_14default_configENS1_25partition_config_selectorILNS1_17partition_subalgoE2EsNS0_10empty_typeEbEEZZNS1_14partition_implILS5_2ELb0ES3_jN6thrust23THRUST_200600_302600_NS6detail15normal_iteratorINSA_7pointerIsNSA_11hip_rocprim3tagENSA_11use_defaultESG_EEEEPS6_NSA_18transform_iteratorINSA_8identityIsEENSC_INSA_10device_ptrIsEEEESG_SG_EENS0_5tupleIJPsSJ_EEENSR_IJSJ_SJ_EEES6_PlJS6_EEE10hipError_tPvRmT3_T4_T5_T6_T7_T9_mT8_P12ihipStream_tbDpT10_ENKUlT_T0_E_clISt17integral_constantIbLb1EES1F_EEDaS1A_S1B_EUlS1A_E_NS1_11comp_targetILNS1_3genE9ELNS1_11target_archE1100ELNS1_3gpuE3ELNS1_3repE0EEENS1_30default_config_static_selectorELNS0_4arch9wavefront6targetE1EEEvT1_
                                        ; -- End function
	.section	.AMDGPU.csdata,"",@progbits
; Kernel info:
; codeLenInByte = 0
; NumSgprs: 4
; NumVgprs: 0
; NumAgprs: 0
; TotalNumVgprs: 0
; ScratchSize: 0
; MemoryBound: 0
; FloatMode: 240
; IeeeMode: 1
; LDSByteSize: 0 bytes/workgroup (compile time only)
; SGPRBlocks: 0
; VGPRBlocks: 0
; NumSGPRsForWavesPerEU: 4
; NumVGPRsForWavesPerEU: 1
; AccumOffset: 4
; Occupancy: 8
; WaveLimiterHint : 0
; COMPUTE_PGM_RSRC2:SCRATCH_EN: 0
; COMPUTE_PGM_RSRC2:USER_SGPR: 6
; COMPUTE_PGM_RSRC2:TRAP_HANDLER: 0
; COMPUTE_PGM_RSRC2:TGID_X_EN: 1
; COMPUTE_PGM_RSRC2:TGID_Y_EN: 0
; COMPUTE_PGM_RSRC2:TGID_Z_EN: 0
; COMPUTE_PGM_RSRC2:TIDIG_COMP_CNT: 0
; COMPUTE_PGM_RSRC3_GFX90A:ACCUM_OFFSET: 0
; COMPUTE_PGM_RSRC3_GFX90A:TG_SPLIT: 0
	.section	.text._ZN7rocprim17ROCPRIM_400000_NS6detail17trampoline_kernelINS0_14default_configENS1_25partition_config_selectorILNS1_17partition_subalgoE2EsNS0_10empty_typeEbEEZZNS1_14partition_implILS5_2ELb0ES3_jN6thrust23THRUST_200600_302600_NS6detail15normal_iteratorINSA_7pointerIsNSA_11hip_rocprim3tagENSA_11use_defaultESG_EEEEPS6_NSA_18transform_iteratorINSA_8identityIsEENSC_INSA_10device_ptrIsEEEESG_SG_EENS0_5tupleIJPsSJ_EEENSR_IJSJ_SJ_EEES6_PlJS6_EEE10hipError_tPvRmT3_T4_T5_T6_T7_T9_mT8_P12ihipStream_tbDpT10_ENKUlT_T0_E_clISt17integral_constantIbLb1EES1F_EEDaS1A_S1B_EUlS1A_E_NS1_11comp_targetILNS1_3genE8ELNS1_11target_archE1030ELNS1_3gpuE2ELNS1_3repE0EEENS1_30default_config_static_selectorELNS0_4arch9wavefront6targetE1EEEvT1_,"axG",@progbits,_ZN7rocprim17ROCPRIM_400000_NS6detail17trampoline_kernelINS0_14default_configENS1_25partition_config_selectorILNS1_17partition_subalgoE2EsNS0_10empty_typeEbEEZZNS1_14partition_implILS5_2ELb0ES3_jN6thrust23THRUST_200600_302600_NS6detail15normal_iteratorINSA_7pointerIsNSA_11hip_rocprim3tagENSA_11use_defaultESG_EEEEPS6_NSA_18transform_iteratorINSA_8identityIsEENSC_INSA_10device_ptrIsEEEESG_SG_EENS0_5tupleIJPsSJ_EEENSR_IJSJ_SJ_EEES6_PlJS6_EEE10hipError_tPvRmT3_T4_T5_T6_T7_T9_mT8_P12ihipStream_tbDpT10_ENKUlT_T0_E_clISt17integral_constantIbLb1EES1F_EEDaS1A_S1B_EUlS1A_E_NS1_11comp_targetILNS1_3genE8ELNS1_11target_archE1030ELNS1_3gpuE2ELNS1_3repE0EEENS1_30default_config_static_selectorELNS0_4arch9wavefront6targetE1EEEvT1_,comdat
	.protected	_ZN7rocprim17ROCPRIM_400000_NS6detail17trampoline_kernelINS0_14default_configENS1_25partition_config_selectorILNS1_17partition_subalgoE2EsNS0_10empty_typeEbEEZZNS1_14partition_implILS5_2ELb0ES3_jN6thrust23THRUST_200600_302600_NS6detail15normal_iteratorINSA_7pointerIsNSA_11hip_rocprim3tagENSA_11use_defaultESG_EEEEPS6_NSA_18transform_iteratorINSA_8identityIsEENSC_INSA_10device_ptrIsEEEESG_SG_EENS0_5tupleIJPsSJ_EEENSR_IJSJ_SJ_EEES6_PlJS6_EEE10hipError_tPvRmT3_T4_T5_T6_T7_T9_mT8_P12ihipStream_tbDpT10_ENKUlT_T0_E_clISt17integral_constantIbLb1EES1F_EEDaS1A_S1B_EUlS1A_E_NS1_11comp_targetILNS1_3genE8ELNS1_11target_archE1030ELNS1_3gpuE2ELNS1_3repE0EEENS1_30default_config_static_selectorELNS0_4arch9wavefront6targetE1EEEvT1_ ; -- Begin function _ZN7rocprim17ROCPRIM_400000_NS6detail17trampoline_kernelINS0_14default_configENS1_25partition_config_selectorILNS1_17partition_subalgoE2EsNS0_10empty_typeEbEEZZNS1_14partition_implILS5_2ELb0ES3_jN6thrust23THRUST_200600_302600_NS6detail15normal_iteratorINSA_7pointerIsNSA_11hip_rocprim3tagENSA_11use_defaultESG_EEEEPS6_NSA_18transform_iteratorINSA_8identityIsEENSC_INSA_10device_ptrIsEEEESG_SG_EENS0_5tupleIJPsSJ_EEENSR_IJSJ_SJ_EEES6_PlJS6_EEE10hipError_tPvRmT3_T4_T5_T6_T7_T9_mT8_P12ihipStream_tbDpT10_ENKUlT_T0_E_clISt17integral_constantIbLb1EES1F_EEDaS1A_S1B_EUlS1A_E_NS1_11comp_targetILNS1_3genE8ELNS1_11target_archE1030ELNS1_3gpuE2ELNS1_3repE0EEENS1_30default_config_static_selectorELNS0_4arch9wavefront6targetE1EEEvT1_
	.globl	_ZN7rocprim17ROCPRIM_400000_NS6detail17trampoline_kernelINS0_14default_configENS1_25partition_config_selectorILNS1_17partition_subalgoE2EsNS0_10empty_typeEbEEZZNS1_14partition_implILS5_2ELb0ES3_jN6thrust23THRUST_200600_302600_NS6detail15normal_iteratorINSA_7pointerIsNSA_11hip_rocprim3tagENSA_11use_defaultESG_EEEEPS6_NSA_18transform_iteratorINSA_8identityIsEENSC_INSA_10device_ptrIsEEEESG_SG_EENS0_5tupleIJPsSJ_EEENSR_IJSJ_SJ_EEES6_PlJS6_EEE10hipError_tPvRmT3_T4_T5_T6_T7_T9_mT8_P12ihipStream_tbDpT10_ENKUlT_T0_E_clISt17integral_constantIbLb1EES1F_EEDaS1A_S1B_EUlS1A_E_NS1_11comp_targetILNS1_3genE8ELNS1_11target_archE1030ELNS1_3gpuE2ELNS1_3repE0EEENS1_30default_config_static_selectorELNS0_4arch9wavefront6targetE1EEEvT1_
	.p2align	8
	.type	_ZN7rocprim17ROCPRIM_400000_NS6detail17trampoline_kernelINS0_14default_configENS1_25partition_config_selectorILNS1_17partition_subalgoE2EsNS0_10empty_typeEbEEZZNS1_14partition_implILS5_2ELb0ES3_jN6thrust23THRUST_200600_302600_NS6detail15normal_iteratorINSA_7pointerIsNSA_11hip_rocprim3tagENSA_11use_defaultESG_EEEEPS6_NSA_18transform_iteratorINSA_8identityIsEENSC_INSA_10device_ptrIsEEEESG_SG_EENS0_5tupleIJPsSJ_EEENSR_IJSJ_SJ_EEES6_PlJS6_EEE10hipError_tPvRmT3_T4_T5_T6_T7_T9_mT8_P12ihipStream_tbDpT10_ENKUlT_T0_E_clISt17integral_constantIbLb1EES1F_EEDaS1A_S1B_EUlS1A_E_NS1_11comp_targetILNS1_3genE8ELNS1_11target_archE1030ELNS1_3gpuE2ELNS1_3repE0EEENS1_30default_config_static_selectorELNS0_4arch9wavefront6targetE1EEEvT1_,@function
_ZN7rocprim17ROCPRIM_400000_NS6detail17trampoline_kernelINS0_14default_configENS1_25partition_config_selectorILNS1_17partition_subalgoE2EsNS0_10empty_typeEbEEZZNS1_14partition_implILS5_2ELb0ES3_jN6thrust23THRUST_200600_302600_NS6detail15normal_iteratorINSA_7pointerIsNSA_11hip_rocprim3tagENSA_11use_defaultESG_EEEEPS6_NSA_18transform_iteratorINSA_8identityIsEENSC_INSA_10device_ptrIsEEEESG_SG_EENS0_5tupleIJPsSJ_EEENSR_IJSJ_SJ_EEES6_PlJS6_EEE10hipError_tPvRmT3_T4_T5_T6_T7_T9_mT8_P12ihipStream_tbDpT10_ENKUlT_T0_E_clISt17integral_constantIbLb1EES1F_EEDaS1A_S1B_EUlS1A_E_NS1_11comp_targetILNS1_3genE8ELNS1_11target_archE1030ELNS1_3gpuE2ELNS1_3repE0EEENS1_30default_config_static_selectorELNS0_4arch9wavefront6targetE1EEEvT1_: ; @_ZN7rocprim17ROCPRIM_400000_NS6detail17trampoline_kernelINS0_14default_configENS1_25partition_config_selectorILNS1_17partition_subalgoE2EsNS0_10empty_typeEbEEZZNS1_14partition_implILS5_2ELb0ES3_jN6thrust23THRUST_200600_302600_NS6detail15normal_iteratorINSA_7pointerIsNSA_11hip_rocprim3tagENSA_11use_defaultESG_EEEEPS6_NSA_18transform_iteratorINSA_8identityIsEENSC_INSA_10device_ptrIsEEEESG_SG_EENS0_5tupleIJPsSJ_EEENSR_IJSJ_SJ_EEES6_PlJS6_EEE10hipError_tPvRmT3_T4_T5_T6_T7_T9_mT8_P12ihipStream_tbDpT10_ENKUlT_T0_E_clISt17integral_constantIbLb1EES1F_EEDaS1A_S1B_EUlS1A_E_NS1_11comp_targetILNS1_3genE8ELNS1_11target_archE1030ELNS1_3gpuE2ELNS1_3repE0EEENS1_30default_config_static_selectorELNS0_4arch9wavefront6targetE1EEEvT1_
; %bb.0:
	.section	.rodata,"a",@progbits
	.p2align	6, 0x0
	.amdhsa_kernel _ZN7rocprim17ROCPRIM_400000_NS6detail17trampoline_kernelINS0_14default_configENS1_25partition_config_selectorILNS1_17partition_subalgoE2EsNS0_10empty_typeEbEEZZNS1_14partition_implILS5_2ELb0ES3_jN6thrust23THRUST_200600_302600_NS6detail15normal_iteratorINSA_7pointerIsNSA_11hip_rocprim3tagENSA_11use_defaultESG_EEEEPS6_NSA_18transform_iteratorINSA_8identityIsEENSC_INSA_10device_ptrIsEEEESG_SG_EENS0_5tupleIJPsSJ_EEENSR_IJSJ_SJ_EEES6_PlJS6_EEE10hipError_tPvRmT3_T4_T5_T6_T7_T9_mT8_P12ihipStream_tbDpT10_ENKUlT_T0_E_clISt17integral_constantIbLb1EES1F_EEDaS1A_S1B_EUlS1A_E_NS1_11comp_targetILNS1_3genE8ELNS1_11target_archE1030ELNS1_3gpuE2ELNS1_3repE0EEENS1_30default_config_static_selectorELNS0_4arch9wavefront6targetE1EEEvT1_
		.amdhsa_group_segment_fixed_size 0
		.amdhsa_private_segment_fixed_size 0
		.amdhsa_kernarg_size 144
		.amdhsa_user_sgpr_count 6
		.amdhsa_user_sgpr_private_segment_buffer 1
		.amdhsa_user_sgpr_dispatch_ptr 0
		.amdhsa_user_sgpr_queue_ptr 0
		.amdhsa_user_sgpr_kernarg_segment_ptr 1
		.amdhsa_user_sgpr_dispatch_id 0
		.amdhsa_user_sgpr_flat_scratch_init 0
		.amdhsa_user_sgpr_kernarg_preload_length 0
		.amdhsa_user_sgpr_kernarg_preload_offset 0
		.amdhsa_user_sgpr_private_segment_size 0
		.amdhsa_uses_dynamic_stack 0
		.amdhsa_system_sgpr_private_segment_wavefront_offset 0
		.amdhsa_system_sgpr_workgroup_id_x 1
		.amdhsa_system_sgpr_workgroup_id_y 0
		.amdhsa_system_sgpr_workgroup_id_z 0
		.amdhsa_system_sgpr_workgroup_info 0
		.amdhsa_system_vgpr_workitem_id 0
		.amdhsa_next_free_vgpr 1
		.amdhsa_next_free_sgpr 0
		.amdhsa_accum_offset 4
		.amdhsa_reserve_vcc 0
		.amdhsa_reserve_flat_scratch 0
		.amdhsa_float_round_mode_32 0
		.amdhsa_float_round_mode_16_64 0
		.amdhsa_float_denorm_mode_32 3
		.amdhsa_float_denorm_mode_16_64 3
		.amdhsa_dx10_clamp 1
		.amdhsa_ieee_mode 1
		.amdhsa_fp16_overflow 0
		.amdhsa_tg_split 0
		.amdhsa_exception_fp_ieee_invalid_op 0
		.amdhsa_exception_fp_denorm_src 0
		.amdhsa_exception_fp_ieee_div_zero 0
		.amdhsa_exception_fp_ieee_overflow 0
		.amdhsa_exception_fp_ieee_underflow 0
		.amdhsa_exception_fp_ieee_inexact 0
		.amdhsa_exception_int_div_zero 0
	.end_amdhsa_kernel
	.section	.text._ZN7rocprim17ROCPRIM_400000_NS6detail17trampoline_kernelINS0_14default_configENS1_25partition_config_selectorILNS1_17partition_subalgoE2EsNS0_10empty_typeEbEEZZNS1_14partition_implILS5_2ELb0ES3_jN6thrust23THRUST_200600_302600_NS6detail15normal_iteratorINSA_7pointerIsNSA_11hip_rocprim3tagENSA_11use_defaultESG_EEEEPS6_NSA_18transform_iteratorINSA_8identityIsEENSC_INSA_10device_ptrIsEEEESG_SG_EENS0_5tupleIJPsSJ_EEENSR_IJSJ_SJ_EEES6_PlJS6_EEE10hipError_tPvRmT3_T4_T5_T6_T7_T9_mT8_P12ihipStream_tbDpT10_ENKUlT_T0_E_clISt17integral_constantIbLb1EES1F_EEDaS1A_S1B_EUlS1A_E_NS1_11comp_targetILNS1_3genE8ELNS1_11target_archE1030ELNS1_3gpuE2ELNS1_3repE0EEENS1_30default_config_static_selectorELNS0_4arch9wavefront6targetE1EEEvT1_,"axG",@progbits,_ZN7rocprim17ROCPRIM_400000_NS6detail17trampoline_kernelINS0_14default_configENS1_25partition_config_selectorILNS1_17partition_subalgoE2EsNS0_10empty_typeEbEEZZNS1_14partition_implILS5_2ELb0ES3_jN6thrust23THRUST_200600_302600_NS6detail15normal_iteratorINSA_7pointerIsNSA_11hip_rocprim3tagENSA_11use_defaultESG_EEEEPS6_NSA_18transform_iteratorINSA_8identityIsEENSC_INSA_10device_ptrIsEEEESG_SG_EENS0_5tupleIJPsSJ_EEENSR_IJSJ_SJ_EEES6_PlJS6_EEE10hipError_tPvRmT3_T4_T5_T6_T7_T9_mT8_P12ihipStream_tbDpT10_ENKUlT_T0_E_clISt17integral_constantIbLb1EES1F_EEDaS1A_S1B_EUlS1A_E_NS1_11comp_targetILNS1_3genE8ELNS1_11target_archE1030ELNS1_3gpuE2ELNS1_3repE0EEENS1_30default_config_static_selectorELNS0_4arch9wavefront6targetE1EEEvT1_,comdat
.Lfunc_end560:
	.size	_ZN7rocprim17ROCPRIM_400000_NS6detail17trampoline_kernelINS0_14default_configENS1_25partition_config_selectorILNS1_17partition_subalgoE2EsNS0_10empty_typeEbEEZZNS1_14partition_implILS5_2ELb0ES3_jN6thrust23THRUST_200600_302600_NS6detail15normal_iteratorINSA_7pointerIsNSA_11hip_rocprim3tagENSA_11use_defaultESG_EEEEPS6_NSA_18transform_iteratorINSA_8identityIsEENSC_INSA_10device_ptrIsEEEESG_SG_EENS0_5tupleIJPsSJ_EEENSR_IJSJ_SJ_EEES6_PlJS6_EEE10hipError_tPvRmT3_T4_T5_T6_T7_T9_mT8_P12ihipStream_tbDpT10_ENKUlT_T0_E_clISt17integral_constantIbLb1EES1F_EEDaS1A_S1B_EUlS1A_E_NS1_11comp_targetILNS1_3genE8ELNS1_11target_archE1030ELNS1_3gpuE2ELNS1_3repE0EEENS1_30default_config_static_selectorELNS0_4arch9wavefront6targetE1EEEvT1_, .Lfunc_end560-_ZN7rocprim17ROCPRIM_400000_NS6detail17trampoline_kernelINS0_14default_configENS1_25partition_config_selectorILNS1_17partition_subalgoE2EsNS0_10empty_typeEbEEZZNS1_14partition_implILS5_2ELb0ES3_jN6thrust23THRUST_200600_302600_NS6detail15normal_iteratorINSA_7pointerIsNSA_11hip_rocprim3tagENSA_11use_defaultESG_EEEEPS6_NSA_18transform_iteratorINSA_8identityIsEENSC_INSA_10device_ptrIsEEEESG_SG_EENS0_5tupleIJPsSJ_EEENSR_IJSJ_SJ_EEES6_PlJS6_EEE10hipError_tPvRmT3_T4_T5_T6_T7_T9_mT8_P12ihipStream_tbDpT10_ENKUlT_T0_E_clISt17integral_constantIbLb1EES1F_EEDaS1A_S1B_EUlS1A_E_NS1_11comp_targetILNS1_3genE8ELNS1_11target_archE1030ELNS1_3gpuE2ELNS1_3repE0EEENS1_30default_config_static_selectorELNS0_4arch9wavefront6targetE1EEEvT1_
                                        ; -- End function
	.section	.AMDGPU.csdata,"",@progbits
; Kernel info:
; codeLenInByte = 0
; NumSgprs: 4
; NumVgprs: 0
; NumAgprs: 0
; TotalNumVgprs: 0
; ScratchSize: 0
; MemoryBound: 0
; FloatMode: 240
; IeeeMode: 1
; LDSByteSize: 0 bytes/workgroup (compile time only)
; SGPRBlocks: 0
; VGPRBlocks: 0
; NumSGPRsForWavesPerEU: 4
; NumVGPRsForWavesPerEU: 1
; AccumOffset: 4
; Occupancy: 8
; WaveLimiterHint : 0
; COMPUTE_PGM_RSRC2:SCRATCH_EN: 0
; COMPUTE_PGM_RSRC2:USER_SGPR: 6
; COMPUTE_PGM_RSRC2:TRAP_HANDLER: 0
; COMPUTE_PGM_RSRC2:TGID_X_EN: 1
; COMPUTE_PGM_RSRC2:TGID_Y_EN: 0
; COMPUTE_PGM_RSRC2:TGID_Z_EN: 0
; COMPUTE_PGM_RSRC2:TIDIG_COMP_CNT: 0
; COMPUTE_PGM_RSRC3_GFX90A:ACCUM_OFFSET: 0
; COMPUTE_PGM_RSRC3_GFX90A:TG_SPLIT: 0
	.section	.text._ZN7rocprim17ROCPRIM_400000_NS6detail17trampoline_kernelINS0_14default_configENS1_25partition_config_selectorILNS1_17partition_subalgoE2EsNS0_10empty_typeEbEEZZNS1_14partition_implILS5_2ELb0ES3_jN6thrust23THRUST_200600_302600_NS6detail15normal_iteratorINSA_7pointerIsNSA_11hip_rocprim3tagENSA_11use_defaultESG_EEEEPS6_NSA_18transform_iteratorINSA_8identityIsEENSC_INSA_10device_ptrIsEEEESG_SG_EENS0_5tupleIJPsSJ_EEENSR_IJSJ_SJ_EEES6_PlJS6_EEE10hipError_tPvRmT3_T4_T5_T6_T7_T9_mT8_P12ihipStream_tbDpT10_ENKUlT_T0_E_clISt17integral_constantIbLb1EES1E_IbLb0EEEEDaS1A_S1B_EUlS1A_E_NS1_11comp_targetILNS1_3genE0ELNS1_11target_archE4294967295ELNS1_3gpuE0ELNS1_3repE0EEENS1_30default_config_static_selectorELNS0_4arch9wavefront6targetE1EEEvT1_,"axG",@progbits,_ZN7rocprim17ROCPRIM_400000_NS6detail17trampoline_kernelINS0_14default_configENS1_25partition_config_selectorILNS1_17partition_subalgoE2EsNS0_10empty_typeEbEEZZNS1_14partition_implILS5_2ELb0ES3_jN6thrust23THRUST_200600_302600_NS6detail15normal_iteratorINSA_7pointerIsNSA_11hip_rocprim3tagENSA_11use_defaultESG_EEEEPS6_NSA_18transform_iteratorINSA_8identityIsEENSC_INSA_10device_ptrIsEEEESG_SG_EENS0_5tupleIJPsSJ_EEENSR_IJSJ_SJ_EEES6_PlJS6_EEE10hipError_tPvRmT3_T4_T5_T6_T7_T9_mT8_P12ihipStream_tbDpT10_ENKUlT_T0_E_clISt17integral_constantIbLb1EES1E_IbLb0EEEEDaS1A_S1B_EUlS1A_E_NS1_11comp_targetILNS1_3genE0ELNS1_11target_archE4294967295ELNS1_3gpuE0ELNS1_3repE0EEENS1_30default_config_static_selectorELNS0_4arch9wavefront6targetE1EEEvT1_,comdat
	.protected	_ZN7rocprim17ROCPRIM_400000_NS6detail17trampoline_kernelINS0_14default_configENS1_25partition_config_selectorILNS1_17partition_subalgoE2EsNS0_10empty_typeEbEEZZNS1_14partition_implILS5_2ELb0ES3_jN6thrust23THRUST_200600_302600_NS6detail15normal_iteratorINSA_7pointerIsNSA_11hip_rocprim3tagENSA_11use_defaultESG_EEEEPS6_NSA_18transform_iteratorINSA_8identityIsEENSC_INSA_10device_ptrIsEEEESG_SG_EENS0_5tupleIJPsSJ_EEENSR_IJSJ_SJ_EEES6_PlJS6_EEE10hipError_tPvRmT3_T4_T5_T6_T7_T9_mT8_P12ihipStream_tbDpT10_ENKUlT_T0_E_clISt17integral_constantIbLb1EES1E_IbLb0EEEEDaS1A_S1B_EUlS1A_E_NS1_11comp_targetILNS1_3genE0ELNS1_11target_archE4294967295ELNS1_3gpuE0ELNS1_3repE0EEENS1_30default_config_static_selectorELNS0_4arch9wavefront6targetE1EEEvT1_ ; -- Begin function _ZN7rocprim17ROCPRIM_400000_NS6detail17trampoline_kernelINS0_14default_configENS1_25partition_config_selectorILNS1_17partition_subalgoE2EsNS0_10empty_typeEbEEZZNS1_14partition_implILS5_2ELb0ES3_jN6thrust23THRUST_200600_302600_NS6detail15normal_iteratorINSA_7pointerIsNSA_11hip_rocprim3tagENSA_11use_defaultESG_EEEEPS6_NSA_18transform_iteratorINSA_8identityIsEENSC_INSA_10device_ptrIsEEEESG_SG_EENS0_5tupleIJPsSJ_EEENSR_IJSJ_SJ_EEES6_PlJS6_EEE10hipError_tPvRmT3_T4_T5_T6_T7_T9_mT8_P12ihipStream_tbDpT10_ENKUlT_T0_E_clISt17integral_constantIbLb1EES1E_IbLb0EEEEDaS1A_S1B_EUlS1A_E_NS1_11comp_targetILNS1_3genE0ELNS1_11target_archE4294967295ELNS1_3gpuE0ELNS1_3repE0EEENS1_30default_config_static_selectorELNS0_4arch9wavefront6targetE1EEEvT1_
	.globl	_ZN7rocprim17ROCPRIM_400000_NS6detail17trampoline_kernelINS0_14default_configENS1_25partition_config_selectorILNS1_17partition_subalgoE2EsNS0_10empty_typeEbEEZZNS1_14partition_implILS5_2ELb0ES3_jN6thrust23THRUST_200600_302600_NS6detail15normal_iteratorINSA_7pointerIsNSA_11hip_rocprim3tagENSA_11use_defaultESG_EEEEPS6_NSA_18transform_iteratorINSA_8identityIsEENSC_INSA_10device_ptrIsEEEESG_SG_EENS0_5tupleIJPsSJ_EEENSR_IJSJ_SJ_EEES6_PlJS6_EEE10hipError_tPvRmT3_T4_T5_T6_T7_T9_mT8_P12ihipStream_tbDpT10_ENKUlT_T0_E_clISt17integral_constantIbLb1EES1E_IbLb0EEEEDaS1A_S1B_EUlS1A_E_NS1_11comp_targetILNS1_3genE0ELNS1_11target_archE4294967295ELNS1_3gpuE0ELNS1_3repE0EEENS1_30default_config_static_selectorELNS0_4arch9wavefront6targetE1EEEvT1_
	.p2align	8
	.type	_ZN7rocprim17ROCPRIM_400000_NS6detail17trampoline_kernelINS0_14default_configENS1_25partition_config_selectorILNS1_17partition_subalgoE2EsNS0_10empty_typeEbEEZZNS1_14partition_implILS5_2ELb0ES3_jN6thrust23THRUST_200600_302600_NS6detail15normal_iteratorINSA_7pointerIsNSA_11hip_rocprim3tagENSA_11use_defaultESG_EEEEPS6_NSA_18transform_iteratorINSA_8identityIsEENSC_INSA_10device_ptrIsEEEESG_SG_EENS0_5tupleIJPsSJ_EEENSR_IJSJ_SJ_EEES6_PlJS6_EEE10hipError_tPvRmT3_T4_T5_T6_T7_T9_mT8_P12ihipStream_tbDpT10_ENKUlT_T0_E_clISt17integral_constantIbLb1EES1E_IbLb0EEEEDaS1A_S1B_EUlS1A_E_NS1_11comp_targetILNS1_3genE0ELNS1_11target_archE4294967295ELNS1_3gpuE0ELNS1_3repE0EEENS1_30default_config_static_selectorELNS0_4arch9wavefront6targetE1EEEvT1_,@function
_ZN7rocprim17ROCPRIM_400000_NS6detail17trampoline_kernelINS0_14default_configENS1_25partition_config_selectorILNS1_17partition_subalgoE2EsNS0_10empty_typeEbEEZZNS1_14partition_implILS5_2ELb0ES3_jN6thrust23THRUST_200600_302600_NS6detail15normal_iteratorINSA_7pointerIsNSA_11hip_rocprim3tagENSA_11use_defaultESG_EEEEPS6_NSA_18transform_iteratorINSA_8identityIsEENSC_INSA_10device_ptrIsEEEESG_SG_EENS0_5tupleIJPsSJ_EEENSR_IJSJ_SJ_EEES6_PlJS6_EEE10hipError_tPvRmT3_T4_T5_T6_T7_T9_mT8_P12ihipStream_tbDpT10_ENKUlT_T0_E_clISt17integral_constantIbLb1EES1E_IbLb0EEEEDaS1A_S1B_EUlS1A_E_NS1_11comp_targetILNS1_3genE0ELNS1_11target_archE4294967295ELNS1_3gpuE0ELNS1_3repE0EEENS1_30default_config_static_selectorELNS0_4arch9wavefront6targetE1EEEvT1_: ; @_ZN7rocprim17ROCPRIM_400000_NS6detail17trampoline_kernelINS0_14default_configENS1_25partition_config_selectorILNS1_17partition_subalgoE2EsNS0_10empty_typeEbEEZZNS1_14partition_implILS5_2ELb0ES3_jN6thrust23THRUST_200600_302600_NS6detail15normal_iteratorINSA_7pointerIsNSA_11hip_rocprim3tagENSA_11use_defaultESG_EEEEPS6_NSA_18transform_iteratorINSA_8identityIsEENSC_INSA_10device_ptrIsEEEESG_SG_EENS0_5tupleIJPsSJ_EEENSR_IJSJ_SJ_EEES6_PlJS6_EEE10hipError_tPvRmT3_T4_T5_T6_T7_T9_mT8_P12ihipStream_tbDpT10_ENKUlT_T0_E_clISt17integral_constantIbLb1EES1E_IbLb0EEEEDaS1A_S1B_EUlS1A_E_NS1_11comp_targetILNS1_3genE0ELNS1_11target_archE4294967295ELNS1_3gpuE0ELNS1_3repE0EEENS1_30default_config_static_selectorELNS0_4arch9wavefront6targetE1EEEvT1_
; %bb.0:
	.section	.rodata,"a",@progbits
	.p2align	6, 0x0
	.amdhsa_kernel _ZN7rocprim17ROCPRIM_400000_NS6detail17trampoline_kernelINS0_14default_configENS1_25partition_config_selectorILNS1_17partition_subalgoE2EsNS0_10empty_typeEbEEZZNS1_14partition_implILS5_2ELb0ES3_jN6thrust23THRUST_200600_302600_NS6detail15normal_iteratorINSA_7pointerIsNSA_11hip_rocprim3tagENSA_11use_defaultESG_EEEEPS6_NSA_18transform_iteratorINSA_8identityIsEENSC_INSA_10device_ptrIsEEEESG_SG_EENS0_5tupleIJPsSJ_EEENSR_IJSJ_SJ_EEES6_PlJS6_EEE10hipError_tPvRmT3_T4_T5_T6_T7_T9_mT8_P12ihipStream_tbDpT10_ENKUlT_T0_E_clISt17integral_constantIbLb1EES1E_IbLb0EEEEDaS1A_S1B_EUlS1A_E_NS1_11comp_targetILNS1_3genE0ELNS1_11target_archE4294967295ELNS1_3gpuE0ELNS1_3repE0EEENS1_30default_config_static_selectorELNS0_4arch9wavefront6targetE1EEEvT1_
		.amdhsa_group_segment_fixed_size 0
		.amdhsa_private_segment_fixed_size 0
		.amdhsa_kernarg_size 128
		.amdhsa_user_sgpr_count 6
		.amdhsa_user_sgpr_private_segment_buffer 1
		.amdhsa_user_sgpr_dispatch_ptr 0
		.amdhsa_user_sgpr_queue_ptr 0
		.amdhsa_user_sgpr_kernarg_segment_ptr 1
		.amdhsa_user_sgpr_dispatch_id 0
		.amdhsa_user_sgpr_flat_scratch_init 0
		.amdhsa_user_sgpr_kernarg_preload_length 0
		.amdhsa_user_sgpr_kernarg_preload_offset 0
		.amdhsa_user_sgpr_private_segment_size 0
		.amdhsa_uses_dynamic_stack 0
		.amdhsa_system_sgpr_private_segment_wavefront_offset 0
		.amdhsa_system_sgpr_workgroup_id_x 1
		.amdhsa_system_sgpr_workgroup_id_y 0
		.amdhsa_system_sgpr_workgroup_id_z 0
		.amdhsa_system_sgpr_workgroup_info 0
		.amdhsa_system_vgpr_workitem_id 0
		.amdhsa_next_free_vgpr 1
		.amdhsa_next_free_sgpr 0
		.amdhsa_accum_offset 4
		.amdhsa_reserve_vcc 0
		.amdhsa_reserve_flat_scratch 0
		.amdhsa_float_round_mode_32 0
		.amdhsa_float_round_mode_16_64 0
		.amdhsa_float_denorm_mode_32 3
		.amdhsa_float_denorm_mode_16_64 3
		.amdhsa_dx10_clamp 1
		.amdhsa_ieee_mode 1
		.amdhsa_fp16_overflow 0
		.amdhsa_tg_split 0
		.amdhsa_exception_fp_ieee_invalid_op 0
		.amdhsa_exception_fp_denorm_src 0
		.amdhsa_exception_fp_ieee_div_zero 0
		.amdhsa_exception_fp_ieee_overflow 0
		.amdhsa_exception_fp_ieee_underflow 0
		.amdhsa_exception_fp_ieee_inexact 0
		.amdhsa_exception_int_div_zero 0
	.end_amdhsa_kernel
	.section	.text._ZN7rocprim17ROCPRIM_400000_NS6detail17trampoline_kernelINS0_14default_configENS1_25partition_config_selectorILNS1_17partition_subalgoE2EsNS0_10empty_typeEbEEZZNS1_14partition_implILS5_2ELb0ES3_jN6thrust23THRUST_200600_302600_NS6detail15normal_iteratorINSA_7pointerIsNSA_11hip_rocprim3tagENSA_11use_defaultESG_EEEEPS6_NSA_18transform_iteratorINSA_8identityIsEENSC_INSA_10device_ptrIsEEEESG_SG_EENS0_5tupleIJPsSJ_EEENSR_IJSJ_SJ_EEES6_PlJS6_EEE10hipError_tPvRmT3_T4_T5_T6_T7_T9_mT8_P12ihipStream_tbDpT10_ENKUlT_T0_E_clISt17integral_constantIbLb1EES1E_IbLb0EEEEDaS1A_S1B_EUlS1A_E_NS1_11comp_targetILNS1_3genE0ELNS1_11target_archE4294967295ELNS1_3gpuE0ELNS1_3repE0EEENS1_30default_config_static_selectorELNS0_4arch9wavefront6targetE1EEEvT1_,"axG",@progbits,_ZN7rocprim17ROCPRIM_400000_NS6detail17trampoline_kernelINS0_14default_configENS1_25partition_config_selectorILNS1_17partition_subalgoE2EsNS0_10empty_typeEbEEZZNS1_14partition_implILS5_2ELb0ES3_jN6thrust23THRUST_200600_302600_NS6detail15normal_iteratorINSA_7pointerIsNSA_11hip_rocprim3tagENSA_11use_defaultESG_EEEEPS6_NSA_18transform_iteratorINSA_8identityIsEENSC_INSA_10device_ptrIsEEEESG_SG_EENS0_5tupleIJPsSJ_EEENSR_IJSJ_SJ_EEES6_PlJS6_EEE10hipError_tPvRmT3_T4_T5_T6_T7_T9_mT8_P12ihipStream_tbDpT10_ENKUlT_T0_E_clISt17integral_constantIbLb1EES1E_IbLb0EEEEDaS1A_S1B_EUlS1A_E_NS1_11comp_targetILNS1_3genE0ELNS1_11target_archE4294967295ELNS1_3gpuE0ELNS1_3repE0EEENS1_30default_config_static_selectorELNS0_4arch9wavefront6targetE1EEEvT1_,comdat
.Lfunc_end561:
	.size	_ZN7rocprim17ROCPRIM_400000_NS6detail17trampoline_kernelINS0_14default_configENS1_25partition_config_selectorILNS1_17partition_subalgoE2EsNS0_10empty_typeEbEEZZNS1_14partition_implILS5_2ELb0ES3_jN6thrust23THRUST_200600_302600_NS6detail15normal_iteratorINSA_7pointerIsNSA_11hip_rocprim3tagENSA_11use_defaultESG_EEEEPS6_NSA_18transform_iteratorINSA_8identityIsEENSC_INSA_10device_ptrIsEEEESG_SG_EENS0_5tupleIJPsSJ_EEENSR_IJSJ_SJ_EEES6_PlJS6_EEE10hipError_tPvRmT3_T4_T5_T6_T7_T9_mT8_P12ihipStream_tbDpT10_ENKUlT_T0_E_clISt17integral_constantIbLb1EES1E_IbLb0EEEEDaS1A_S1B_EUlS1A_E_NS1_11comp_targetILNS1_3genE0ELNS1_11target_archE4294967295ELNS1_3gpuE0ELNS1_3repE0EEENS1_30default_config_static_selectorELNS0_4arch9wavefront6targetE1EEEvT1_, .Lfunc_end561-_ZN7rocprim17ROCPRIM_400000_NS6detail17trampoline_kernelINS0_14default_configENS1_25partition_config_selectorILNS1_17partition_subalgoE2EsNS0_10empty_typeEbEEZZNS1_14partition_implILS5_2ELb0ES3_jN6thrust23THRUST_200600_302600_NS6detail15normal_iteratorINSA_7pointerIsNSA_11hip_rocprim3tagENSA_11use_defaultESG_EEEEPS6_NSA_18transform_iteratorINSA_8identityIsEENSC_INSA_10device_ptrIsEEEESG_SG_EENS0_5tupleIJPsSJ_EEENSR_IJSJ_SJ_EEES6_PlJS6_EEE10hipError_tPvRmT3_T4_T5_T6_T7_T9_mT8_P12ihipStream_tbDpT10_ENKUlT_T0_E_clISt17integral_constantIbLb1EES1E_IbLb0EEEEDaS1A_S1B_EUlS1A_E_NS1_11comp_targetILNS1_3genE0ELNS1_11target_archE4294967295ELNS1_3gpuE0ELNS1_3repE0EEENS1_30default_config_static_selectorELNS0_4arch9wavefront6targetE1EEEvT1_
                                        ; -- End function
	.section	.AMDGPU.csdata,"",@progbits
; Kernel info:
; codeLenInByte = 0
; NumSgprs: 4
; NumVgprs: 0
; NumAgprs: 0
; TotalNumVgprs: 0
; ScratchSize: 0
; MemoryBound: 0
; FloatMode: 240
; IeeeMode: 1
; LDSByteSize: 0 bytes/workgroup (compile time only)
; SGPRBlocks: 0
; VGPRBlocks: 0
; NumSGPRsForWavesPerEU: 4
; NumVGPRsForWavesPerEU: 1
; AccumOffset: 4
; Occupancy: 8
; WaveLimiterHint : 0
; COMPUTE_PGM_RSRC2:SCRATCH_EN: 0
; COMPUTE_PGM_RSRC2:USER_SGPR: 6
; COMPUTE_PGM_RSRC2:TRAP_HANDLER: 0
; COMPUTE_PGM_RSRC2:TGID_X_EN: 1
; COMPUTE_PGM_RSRC2:TGID_Y_EN: 0
; COMPUTE_PGM_RSRC2:TGID_Z_EN: 0
; COMPUTE_PGM_RSRC2:TIDIG_COMP_CNT: 0
; COMPUTE_PGM_RSRC3_GFX90A:ACCUM_OFFSET: 0
; COMPUTE_PGM_RSRC3_GFX90A:TG_SPLIT: 0
	.section	.text._ZN7rocprim17ROCPRIM_400000_NS6detail17trampoline_kernelINS0_14default_configENS1_25partition_config_selectorILNS1_17partition_subalgoE2EsNS0_10empty_typeEbEEZZNS1_14partition_implILS5_2ELb0ES3_jN6thrust23THRUST_200600_302600_NS6detail15normal_iteratorINSA_7pointerIsNSA_11hip_rocprim3tagENSA_11use_defaultESG_EEEEPS6_NSA_18transform_iteratorINSA_8identityIsEENSC_INSA_10device_ptrIsEEEESG_SG_EENS0_5tupleIJPsSJ_EEENSR_IJSJ_SJ_EEES6_PlJS6_EEE10hipError_tPvRmT3_T4_T5_T6_T7_T9_mT8_P12ihipStream_tbDpT10_ENKUlT_T0_E_clISt17integral_constantIbLb1EES1E_IbLb0EEEEDaS1A_S1B_EUlS1A_E_NS1_11comp_targetILNS1_3genE5ELNS1_11target_archE942ELNS1_3gpuE9ELNS1_3repE0EEENS1_30default_config_static_selectorELNS0_4arch9wavefront6targetE1EEEvT1_,"axG",@progbits,_ZN7rocprim17ROCPRIM_400000_NS6detail17trampoline_kernelINS0_14default_configENS1_25partition_config_selectorILNS1_17partition_subalgoE2EsNS0_10empty_typeEbEEZZNS1_14partition_implILS5_2ELb0ES3_jN6thrust23THRUST_200600_302600_NS6detail15normal_iteratorINSA_7pointerIsNSA_11hip_rocprim3tagENSA_11use_defaultESG_EEEEPS6_NSA_18transform_iteratorINSA_8identityIsEENSC_INSA_10device_ptrIsEEEESG_SG_EENS0_5tupleIJPsSJ_EEENSR_IJSJ_SJ_EEES6_PlJS6_EEE10hipError_tPvRmT3_T4_T5_T6_T7_T9_mT8_P12ihipStream_tbDpT10_ENKUlT_T0_E_clISt17integral_constantIbLb1EES1E_IbLb0EEEEDaS1A_S1B_EUlS1A_E_NS1_11comp_targetILNS1_3genE5ELNS1_11target_archE942ELNS1_3gpuE9ELNS1_3repE0EEENS1_30default_config_static_selectorELNS0_4arch9wavefront6targetE1EEEvT1_,comdat
	.protected	_ZN7rocprim17ROCPRIM_400000_NS6detail17trampoline_kernelINS0_14default_configENS1_25partition_config_selectorILNS1_17partition_subalgoE2EsNS0_10empty_typeEbEEZZNS1_14partition_implILS5_2ELb0ES3_jN6thrust23THRUST_200600_302600_NS6detail15normal_iteratorINSA_7pointerIsNSA_11hip_rocprim3tagENSA_11use_defaultESG_EEEEPS6_NSA_18transform_iteratorINSA_8identityIsEENSC_INSA_10device_ptrIsEEEESG_SG_EENS0_5tupleIJPsSJ_EEENSR_IJSJ_SJ_EEES6_PlJS6_EEE10hipError_tPvRmT3_T4_T5_T6_T7_T9_mT8_P12ihipStream_tbDpT10_ENKUlT_T0_E_clISt17integral_constantIbLb1EES1E_IbLb0EEEEDaS1A_S1B_EUlS1A_E_NS1_11comp_targetILNS1_3genE5ELNS1_11target_archE942ELNS1_3gpuE9ELNS1_3repE0EEENS1_30default_config_static_selectorELNS0_4arch9wavefront6targetE1EEEvT1_ ; -- Begin function _ZN7rocprim17ROCPRIM_400000_NS6detail17trampoline_kernelINS0_14default_configENS1_25partition_config_selectorILNS1_17partition_subalgoE2EsNS0_10empty_typeEbEEZZNS1_14partition_implILS5_2ELb0ES3_jN6thrust23THRUST_200600_302600_NS6detail15normal_iteratorINSA_7pointerIsNSA_11hip_rocprim3tagENSA_11use_defaultESG_EEEEPS6_NSA_18transform_iteratorINSA_8identityIsEENSC_INSA_10device_ptrIsEEEESG_SG_EENS0_5tupleIJPsSJ_EEENSR_IJSJ_SJ_EEES6_PlJS6_EEE10hipError_tPvRmT3_T4_T5_T6_T7_T9_mT8_P12ihipStream_tbDpT10_ENKUlT_T0_E_clISt17integral_constantIbLb1EES1E_IbLb0EEEEDaS1A_S1B_EUlS1A_E_NS1_11comp_targetILNS1_3genE5ELNS1_11target_archE942ELNS1_3gpuE9ELNS1_3repE0EEENS1_30default_config_static_selectorELNS0_4arch9wavefront6targetE1EEEvT1_
	.globl	_ZN7rocprim17ROCPRIM_400000_NS6detail17trampoline_kernelINS0_14default_configENS1_25partition_config_selectorILNS1_17partition_subalgoE2EsNS0_10empty_typeEbEEZZNS1_14partition_implILS5_2ELb0ES3_jN6thrust23THRUST_200600_302600_NS6detail15normal_iteratorINSA_7pointerIsNSA_11hip_rocprim3tagENSA_11use_defaultESG_EEEEPS6_NSA_18transform_iteratorINSA_8identityIsEENSC_INSA_10device_ptrIsEEEESG_SG_EENS0_5tupleIJPsSJ_EEENSR_IJSJ_SJ_EEES6_PlJS6_EEE10hipError_tPvRmT3_T4_T5_T6_T7_T9_mT8_P12ihipStream_tbDpT10_ENKUlT_T0_E_clISt17integral_constantIbLb1EES1E_IbLb0EEEEDaS1A_S1B_EUlS1A_E_NS1_11comp_targetILNS1_3genE5ELNS1_11target_archE942ELNS1_3gpuE9ELNS1_3repE0EEENS1_30default_config_static_selectorELNS0_4arch9wavefront6targetE1EEEvT1_
	.p2align	8
	.type	_ZN7rocprim17ROCPRIM_400000_NS6detail17trampoline_kernelINS0_14default_configENS1_25partition_config_selectorILNS1_17partition_subalgoE2EsNS0_10empty_typeEbEEZZNS1_14partition_implILS5_2ELb0ES3_jN6thrust23THRUST_200600_302600_NS6detail15normal_iteratorINSA_7pointerIsNSA_11hip_rocprim3tagENSA_11use_defaultESG_EEEEPS6_NSA_18transform_iteratorINSA_8identityIsEENSC_INSA_10device_ptrIsEEEESG_SG_EENS0_5tupleIJPsSJ_EEENSR_IJSJ_SJ_EEES6_PlJS6_EEE10hipError_tPvRmT3_T4_T5_T6_T7_T9_mT8_P12ihipStream_tbDpT10_ENKUlT_T0_E_clISt17integral_constantIbLb1EES1E_IbLb0EEEEDaS1A_S1B_EUlS1A_E_NS1_11comp_targetILNS1_3genE5ELNS1_11target_archE942ELNS1_3gpuE9ELNS1_3repE0EEENS1_30default_config_static_selectorELNS0_4arch9wavefront6targetE1EEEvT1_,@function
_ZN7rocprim17ROCPRIM_400000_NS6detail17trampoline_kernelINS0_14default_configENS1_25partition_config_selectorILNS1_17partition_subalgoE2EsNS0_10empty_typeEbEEZZNS1_14partition_implILS5_2ELb0ES3_jN6thrust23THRUST_200600_302600_NS6detail15normal_iteratorINSA_7pointerIsNSA_11hip_rocprim3tagENSA_11use_defaultESG_EEEEPS6_NSA_18transform_iteratorINSA_8identityIsEENSC_INSA_10device_ptrIsEEEESG_SG_EENS0_5tupleIJPsSJ_EEENSR_IJSJ_SJ_EEES6_PlJS6_EEE10hipError_tPvRmT3_T4_T5_T6_T7_T9_mT8_P12ihipStream_tbDpT10_ENKUlT_T0_E_clISt17integral_constantIbLb1EES1E_IbLb0EEEEDaS1A_S1B_EUlS1A_E_NS1_11comp_targetILNS1_3genE5ELNS1_11target_archE942ELNS1_3gpuE9ELNS1_3repE0EEENS1_30default_config_static_selectorELNS0_4arch9wavefront6targetE1EEEvT1_: ; @_ZN7rocprim17ROCPRIM_400000_NS6detail17trampoline_kernelINS0_14default_configENS1_25partition_config_selectorILNS1_17partition_subalgoE2EsNS0_10empty_typeEbEEZZNS1_14partition_implILS5_2ELb0ES3_jN6thrust23THRUST_200600_302600_NS6detail15normal_iteratorINSA_7pointerIsNSA_11hip_rocprim3tagENSA_11use_defaultESG_EEEEPS6_NSA_18transform_iteratorINSA_8identityIsEENSC_INSA_10device_ptrIsEEEESG_SG_EENS0_5tupleIJPsSJ_EEENSR_IJSJ_SJ_EEES6_PlJS6_EEE10hipError_tPvRmT3_T4_T5_T6_T7_T9_mT8_P12ihipStream_tbDpT10_ENKUlT_T0_E_clISt17integral_constantIbLb1EES1E_IbLb0EEEEDaS1A_S1B_EUlS1A_E_NS1_11comp_targetILNS1_3genE5ELNS1_11target_archE942ELNS1_3gpuE9ELNS1_3repE0EEENS1_30default_config_static_selectorELNS0_4arch9wavefront6targetE1EEEvT1_
; %bb.0:
	.section	.rodata,"a",@progbits
	.p2align	6, 0x0
	.amdhsa_kernel _ZN7rocprim17ROCPRIM_400000_NS6detail17trampoline_kernelINS0_14default_configENS1_25partition_config_selectorILNS1_17partition_subalgoE2EsNS0_10empty_typeEbEEZZNS1_14partition_implILS5_2ELb0ES3_jN6thrust23THRUST_200600_302600_NS6detail15normal_iteratorINSA_7pointerIsNSA_11hip_rocprim3tagENSA_11use_defaultESG_EEEEPS6_NSA_18transform_iteratorINSA_8identityIsEENSC_INSA_10device_ptrIsEEEESG_SG_EENS0_5tupleIJPsSJ_EEENSR_IJSJ_SJ_EEES6_PlJS6_EEE10hipError_tPvRmT3_T4_T5_T6_T7_T9_mT8_P12ihipStream_tbDpT10_ENKUlT_T0_E_clISt17integral_constantIbLb1EES1E_IbLb0EEEEDaS1A_S1B_EUlS1A_E_NS1_11comp_targetILNS1_3genE5ELNS1_11target_archE942ELNS1_3gpuE9ELNS1_3repE0EEENS1_30default_config_static_selectorELNS0_4arch9wavefront6targetE1EEEvT1_
		.amdhsa_group_segment_fixed_size 0
		.amdhsa_private_segment_fixed_size 0
		.amdhsa_kernarg_size 128
		.amdhsa_user_sgpr_count 6
		.amdhsa_user_sgpr_private_segment_buffer 1
		.amdhsa_user_sgpr_dispatch_ptr 0
		.amdhsa_user_sgpr_queue_ptr 0
		.amdhsa_user_sgpr_kernarg_segment_ptr 1
		.amdhsa_user_sgpr_dispatch_id 0
		.amdhsa_user_sgpr_flat_scratch_init 0
		.amdhsa_user_sgpr_kernarg_preload_length 0
		.amdhsa_user_sgpr_kernarg_preload_offset 0
		.amdhsa_user_sgpr_private_segment_size 0
		.amdhsa_uses_dynamic_stack 0
		.amdhsa_system_sgpr_private_segment_wavefront_offset 0
		.amdhsa_system_sgpr_workgroup_id_x 1
		.amdhsa_system_sgpr_workgroup_id_y 0
		.amdhsa_system_sgpr_workgroup_id_z 0
		.amdhsa_system_sgpr_workgroup_info 0
		.amdhsa_system_vgpr_workitem_id 0
		.amdhsa_next_free_vgpr 1
		.amdhsa_next_free_sgpr 0
		.amdhsa_accum_offset 4
		.amdhsa_reserve_vcc 0
		.amdhsa_reserve_flat_scratch 0
		.amdhsa_float_round_mode_32 0
		.amdhsa_float_round_mode_16_64 0
		.amdhsa_float_denorm_mode_32 3
		.amdhsa_float_denorm_mode_16_64 3
		.amdhsa_dx10_clamp 1
		.amdhsa_ieee_mode 1
		.amdhsa_fp16_overflow 0
		.amdhsa_tg_split 0
		.amdhsa_exception_fp_ieee_invalid_op 0
		.amdhsa_exception_fp_denorm_src 0
		.amdhsa_exception_fp_ieee_div_zero 0
		.amdhsa_exception_fp_ieee_overflow 0
		.amdhsa_exception_fp_ieee_underflow 0
		.amdhsa_exception_fp_ieee_inexact 0
		.amdhsa_exception_int_div_zero 0
	.end_amdhsa_kernel
	.section	.text._ZN7rocprim17ROCPRIM_400000_NS6detail17trampoline_kernelINS0_14default_configENS1_25partition_config_selectorILNS1_17partition_subalgoE2EsNS0_10empty_typeEbEEZZNS1_14partition_implILS5_2ELb0ES3_jN6thrust23THRUST_200600_302600_NS6detail15normal_iteratorINSA_7pointerIsNSA_11hip_rocprim3tagENSA_11use_defaultESG_EEEEPS6_NSA_18transform_iteratorINSA_8identityIsEENSC_INSA_10device_ptrIsEEEESG_SG_EENS0_5tupleIJPsSJ_EEENSR_IJSJ_SJ_EEES6_PlJS6_EEE10hipError_tPvRmT3_T4_T5_T6_T7_T9_mT8_P12ihipStream_tbDpT10_ENKUlT_T0_E_clISt17integral_constantIbLb1EES1E_IbLb0EEEEDaS1A_S1B_EUlS1A_E_NS1_11comp_targetILNS1_3genE5ELNS1_11target_archE942ELNS1_3gpuE9ELNS1_3repE0EEENS1_30default_config_static_selectorELNS0_4arch9wavefront6targetE1EEEvT1_,"axG",@progbits,_ZN7rocprim17ROCPRIM_400000_NS6detail17trampoline_kernelINS0_14default_configENS1_25partition_config_selectorILNS1_17partition_subalgoE2EsNS0_10empty_typeEbEEZZNS1_14partition_implILS5_2ELb0ES3_jN6thrust23THRUST_200600_302600_NS6detail15normal_iteratorINSA_7pointerIsNSA_11hip_rocprim3tagENSA_11use_defaultESG_EEEEPS6_NSA_18transform_iteratorINSA_8identityIsEENSC_INSA_10device_ptrIsEEEESG_SG_EENS0_5tupleIJPsSJ_EEENSR_IJSJ_SJ_EEES6_PlJS6_EEE10hipError_tPvRmT3_T4_T5_T6_T7_T9_mT8_P12ihipStream_tbDpT10_ENKUlT_T0_E_clISt17integral_constantIbLb1EES1E_IbLb0EEEEDaS1A_S1B_EUlS1A_E_NS1_11comp_targetILNS1_3genE5ELNS1_11target_archE942ELNS1_3gpuE9ELNS1_3repE0EEENS1_30default_config_static_selectorELNS0_4arch9wavefront6targetE1EEEvT1_,comdat
.Lfunc_end562:
	.size	_ZN7rocprim17ROCPRIM_400000_NS6detail17trampoline_kernelINS0_14default_configENS1_25partition_config_selectorILNS1_17partition_subalgoE2EsNS0_10empty_typeEbEEZZNS1_14partition_implILS5_2ELb0ES3_jN6thrust23THRUST_200600_302600_NS6detail15normal_iteratorINSA_7pointerIsNSA_11hip_rocprim3tagENSA_11use_defaultESG_EEEEPS6_NSA_18transform_iteratorINSA_8identityIsEENSC_INSA_10device_ptrIsEEEESG_SG_EENS0_5tupleIJPsSJ_EEENSR_IJSJ_SJ_EEES6_PlJS6_EEE10hipError_tPvRmT3_T4_T5_T6_T7_T9_mT8_P12ihipStream_tbDpT10_ENKUlT_T0_E_clISt17integral_constantIbLb1EES1E_IbLb0EEEEDaS1A_S1B_EUlS1A_E_NS1_11comp_targetILNS1_3genE5ELNS1_11target_archE942ELNS1_3gpuE9ELNS1_3repE0EEENS1_30default_config_static_selectorELNS0_4arch9wavefront6targetE1EEEvT1_, .Lfunc_end562-_ZN7rocprim17ROCPRIM_400000_NS6detail17trampoline_kernelINS0_14default_configENS1_25partition_config_selectorILNS1_17partition_subalgoE2EsNS0_10empty_typeEbEEZZNS1_14partition_implILS5_2ELb0ES3_jN6thrust23THRUST_200600_302600_NS6detail15normal_iteratorINSA_7pointerIsNSA_11hip_rocprim3tagENSA_11use_defaultESG_EEEEPS6_NSA_18transform_iteratorINSA_8identityIsEENSC_INSA_10device_ptrIsEEEESG_SG_EENS0_5tupleIJPsSJ_EEENSR_IJSJ_SJ_EEES6_PlJS6_EEE10hipError_tPvRmT3_T4_T5_T6_T7_T9_mT8_P12ihipStream_tbDpT10_ENKUlT_T0_E_clISt17integral_constantIbLb1EES1E_IbLb0EEEEDaS1A_S1B_EUlS1A_E_NS1_11comp_targetILNS1_3genE5ELNS1_11target_archE942ELNS1_3gpuE9ELNS1_3repE0EEENS1_30default_config_static_selectorELNS0_4arch9wavefront6targetE1EEEvT1_
                                        ; -- End function
	.section	.AMDGPU.csdata,"",@progbits
; Kernel info:
; codeLenInByte = 0
; NumSgprs: 4
; NumVgprs: 0
; NumAgprs: 0
; TotalNumVgprs: 0
; ScratchSize: 0
; MemoryBound: 0
; FloatMode: 240
; IeeeMode: 1
; LDSByteSize: 0 bytes/workgroup (compile time only)
; SGPRBlocks: 0
; VGPRBlocks: 0
; NumSGPRsForWavesPerEU: 4
; NumVGPRsForWavesPerEU: 1
; AccumOffset: 4
; Occupancy: 8
; WaveLimiterHint : 0
; COMPUTE_PGM_RSRC2:SCRATCH_EN: 0
; COMPUTE_PGM_RSRC2:USER_SGPR: 6
; COMPUTE_PGM_RSRC2:TRAP_HANDLER: 0
; COMPUTE_PGM_RSRC2:TGID_X_EN: 1
; COMPUTE_PGM_RSRC2:TGID_Y_EN: 0
; COMPUTE_PGM_RSRC2:TGID_Z_EN: 0
; COMPUTE_PGM_RSRC2:TIDIG_COMP_CNT: 0
; COMPUTE_PGM_RSRC3_GFX90A:ACCUM_OFFSET: 0
; COMPUTE_PGM_RSRC3_GFX90A:TG_SPLIT: 0
	.section	.text._ZN7rocprim17ROCPRIM_400000_NS6detail17trampoline_kernelINS0_14default_configENS1_25partition_config_selectorILNS1_17partition_subalgoE2EsNS0_10empty_typeEbEEZZNS1_14partition_implILS5_2ELb0ES3_jN6thrust23THRUST_200600_302600_NS6detail15normal_iteratorINSA_7pointerIsNSA_11hip_rocprim3tagENSA_11use_defaultESG_EEEEPS6_NSA_18transform_iteratorINSA_8identityIsEENSC_INSA_10device_ptrIsEEEESG_SG_EENS0_5tupleIJPsSJ_EEENSR_IJSJ_SJ_EEES6_PlJS6_EEE10hipError_tPvRmT3_T4_T5_T6_T7_T9_mT8_P12ihipStream_tbDpT10_ENKUlT_T0_E_clISt17integral_constantIbLb1EES1E_IbLb0EEEEDaS1A_S1B_EUlS1A_E_NS1_11comp_targetILNS1_3genE4ELNS1_11target_archE910ELNS1_3gpuE8ELNS1_3repE0EEENS1_30default_config_static_selectorELNS0_4arch9wavefront6targetE1EEEvT1_,"axG",@progbits,_ZN7rocprim17ROCPRIM_400000_NS6detail17trampoline_kernelINS0_14default_configENS1_25partition_config_selectorILNS1_17partition_subalgoE2EsNS0_10empty_typeEbEEZZNS1_14partition_implILS5_2ELb0ES3_jN6thrust23THRUST_200600_302600_NS6detail15normal_iteratorINSA_7pointerIsNSA_11hip_rocprim3tagENSA_11use_defaultESG_EEEEPS6_NSA_18transform_iteratorINSA_8identityIsEENSC_INSA_10device_ptrIsEEEESG_SG_EENS0_5tupleIJPsSJ_EEENSR_IJSJ_SJ_EEES6_PlJS6_EEE10hipError_tPvRmT3_T4_T5_T6_T7_T9_mT8_P12ihipStream_tbDpT10_ENKUlT_T0_E_clISt17integral_constantIbLb1EES1E_IbLb0EEEEDaS1A_S1B_EUlS1A_E_NS1_11comp_targetILNS1_3genE4ELNS1_11target_archE910ELNS1_3gpuE8ELNS1_3repE0EEENS1_30default_config_static_selectorELNS0_4arch9wavefront6targetE1EEEvT1_,comdat
	.protected	_ZN7rocprim17ROCPRIM_400000_NS6detail17trampoline_kernelINS0_14default_configENS1_25partition_config_selectorILNS1_17partition_subalgoE2EsNS0_10empty_typeEbEEZZNS1_14partition_implILS5_2ELb0ES3_jN6thrust23THRUST_200600_302600_NS6detail15normal_iteratorINSA_7pointerIsNSA_11hip_rocprim3tagENSA_11use_defaultESG_EEEEPS6_NSA_18transform_iteratorINSA_8identityIsEENSC_INSA_10device_ptrIsEEEESG_SG_EENS0_5tupleIJPsSJ_EEENSR_IJSJ_SJ_EEES6_PlJS6_EEE10hipError_tPvRmT3_T4_T5_T6_T7_T9_mT8_P12ihipStream_tbDpT10_ENKUlT_T0_E_clISt17integral_constantIbLb1EES1E_IbLb0EEEEDaS1A_S1B_EUlS1A_E_NS1_11comp_targetILNS1_3genE4ELNS1_11target_archE910ELNS1_3gpuE8ELNS1_3repE0EEENS1_30default_config_static_selectorELNS0_4arch9wavefront6targetE1EEEvT1_ ; -- Begin function _ZN7rocprim17ROCPRIM_400000_NS6detail17trampoline_kernelINS0_14default_configENS1_25partition_config_selectorILNS1_17partition_subalgoE2EsNS0_10empty_typeEbEEZZNS1_14partition_implILS5_2ELb0ES3_jN6thrust23THRUST_200600_302600_NS6detail15normal_iteratorINSA_7pointerIsNSA_11hip_rocprim3tagENSA_11use_defaultESG_EEEEPS6_NSA_18transform_iteratorINSA_8identityIsEENSC_INSA_10device_ptrIsEEEESG_SG_EENS0_5tupleIJPsSJ_EEENSR_IJSJ_SJ_EEES6_PlJS6_EEE10hipError_tPvRmT3_T4_T5_T6_T7_T9_mT8_P12ihipStream_tbDpT10_ENKUlT_T0_E_clISt17integral_constantIbLb1EES1E_IbLb0EEEEDaS1A_S1B_EUlS1A_E_NS1_11comp_targetILNS1_3genE4ELNS1_11target_archE910ELNS1_3gpuE8ELNS1_3repE0EEENS1_30default_config_static_selectorELNS0_4arch9wavefront6targetE1EEEvT1_
	.globl	_ZN7rocprim17ROCPRIM_400000_NS6detail17trampoline_kernelINS0_14default_configENS1_25partition_config_selectorILNS1_17partition_subalgoE2EsNS0_10empty_typeEbEEZZNS1_14partition_implILS5_2ELb0ES3_jN6thrust23THRUST_200600_302600_NS6detail15normal_iteratorINSA_7pointerIsNSA_11hip_rocprim3tagENSA_11use_defaultESG_EEEEPS6_NSA_18transform_iteratorINSA_8identityIsEENSC_INSA_10device_ptrIsEEEESG_SG_EENS0_5tupleIJPsSJ_EEENSR_IJSJ_SJ_EEES6_PlJS6_EEE10hipError_tPvRmT3_T4_T5_T6_T7_T9_mT8_P12ihipStream_tbDpT10_ENKUlT_T0_E_clISt17integral_constantIbLb1EES1E_IbLb0EEEEDaS1A_S1B_EUlS1A_E_NS1_11comp_targetILNS1_3genE4ELNS1_11target_archE910ELNS1_3gpuE8ELNS1_3repE0EEENS1_30default_config_static_selectorELNS0_4arch9wavefront6targetE1EEEvT1_
	.p2align	8
	.type	_ZN7rocprim17ROCPRIM_400000_NS6detail17trampoline_kernelINS0_14default_configENS1_25partition_config_selectorILNS1_17partition_subalgoE2EsNS0_10empty_typeEbEEZZNS1_14partition_implILS5_2ELb0ES3_jN6thrust23THRUST_200600_302600_NS6detail15normal_iteratorINSA_7pointerIsNSA_11hip_rocprim3tagENSA_11use_defaultESG_EEEEPS6_NSA_18transform_iteratorINSA_8identityIsEENSC_INSA_10device_ptrIsEEEESG_SG_EENS0_5tupleIJPsSJ_EEENSR_IJSJ_SJ_EEES6_PlJS6_EEE10hipError_tPvRmT3_T4_T5_T6_T7_T9_mT8_P12ihipStream_tbDpT10_ENKUlT_T0_E_clISt17integral_constantIbLb1EES1E_IbLb0EEEEDaS1A_S1B_EUlS1A_E_NS1_11comp_targetILNS1_3genE4ELNS1_11target_archE910ELNS1_3gpuE8ELNS1_3repE0EEENS1_30default_config_static_selectorELNS0_4arch9wavefront6targetE1EEEvT1_,@function
_ZN7rocprim17ROCPRIM_400000_NS6detail17trampoline_kernelINS0_14default_configENS1_25partition_config_selectorILNS1_17partition_subalgoE2EsNS0_10empty_typeEbEEZZNS1_14partition_implILS5_2ELb0ES3_jN6thrust23THRUST_200600_302600_NS6detail15normal_iteratorINSA_7pointerIsNSA_11hip_rocprim3tagENSA_11use_defaultESG_EEEEPS6_NSA_18transform_iteratorINSA_8identityIsEENSC_INSA_10device_ptrIsEEEESG_SG_EENS0_5tupleIJPsSJ_EEENSR_IJSJ_SJ_EEES6_PlJS6_EEE10hipError_tPvRmT3_T4_T5_T6_T7_T9_mT8_P12ihipStream_tbDpT10_ENKUlT_T0_E_clISt17integral_constantIbLb1EES1E_IbLb0EEEEDaS1A_S1B_EUlS1A_E_NS1_11comp_targetILNS1_3genE4ELNS1_11target_archE910ELNS1_3gpuE8ELNS1_3repE0EEENS1_30default_config_static_selectorELNS0_4arch9wavefront6targetE1EEEvT1_: ; @_ZN7rocprim17ROCPRIM_400000_NS6detail17trampoline_kernelINS0_14default_configENS1_25partition_config_selectorILNS1_17partition_subalgoE2EsNS0_10empty_typeEbEEZZNS1_14partition_implILS5_2ELb0ES3_jN6thrust23THRUST_200600_302600_NS6detail15normal_iteratorINSA_7pointerIsNSA_11hip_rocprim3tagENSA_11use_defaultESG_EEEEPS6_NSA_18transform_iteratorINSA_8identityIsEENSC_INSA_10device_ptrIsEEEESG_SG_EENS0_5tupleIJPsSJ_EEENSR_IJSJ_SJ_EEES6_PlJS6_EEE10hipError_tPvRmT3_T4_T5_T6_T7_T9_mT8_P12ihipStream_tbDpT10_ENKUlT_T0_E_clISt17integral_constantIbLb1EES1E_IbLb0EEEEDaS1A_S1B_EUlS1A_E_NS1_11comp_targetILNS1_3genE4ELNS1_11target_archE910ELNS1_3gpuE8ELNS1_3repE0EEENS1_30default_config_static_selectorELNS0_4arch9wavefront6targetE1EEEvT1_
; %bb.0:
	s_load_dwordx4 s[24:27], s[4:5], 0x8
	s_load_dwordx2 s[2:3], s[4:5], 0x20
	s_load_dwordx2 s[28:29], s[4:5], 0x60
	s_load_dwordx4 s[20:23], s[4:5], 0x50
	s_load_dword s0, s[4:5], 0x78
	s_waitcnt lgkmcnt(0)
	s_lshl_b64 s[8:9], s[26:27], 1
	s_add_u32 s7, s24, s8
	s_addc_u32 s12, s25, s9
	s_load_dwordx2 s[30:31], s[22:23], 0x0
	s_add_i32 s10, s0, -1
	s_mulk_i32 s0, 0x1400
	s_add_i32 s1, s0, s26
	s_sub_i32 s33, s28, s1
	s_addk_i32 s33, 0x1400
	s_add_u32 s0, s26, s0
	s_addc_u32 s1, s27, 0
	s_cmp_eq_u32 s6, s10
	v_pk_mov_b32 v[2:3], s[28:29], s[28:29] op_sel:[0,1]
	s_cselect_b64 s[22:23], -1, 0
	s_cmp_lg_u32 s6, s10
	s_mul_i32 s24, s6, 0x1400
	s_mov_b32 s25, 0
	v_cmp_lt_u64_e32 vcc, s[0:1], v[2:3]
	s_cselect_b64 s[0:1], -1, 0
	s_or_b64 s[34:35], s[0:1], vcc
	s_lshl_b64 s[10:11], s[24:25], 1
	s_add_u32 s7, s7, s10
	s_addc_u32 s14, s12, s11
	s_mov_b64 s[0:1], -1
	s_and_b64 vcc, exec, s[34:35]
	v_lshlrev_b32_e32 v1, 1, v0
	s_cbranch_vccz .LBB563_2
; %bb.1:
	v_mov_b32_e32 v3, s14
	v_add_co_u32_e32 v2, vcc, s7, v1
	v_addc_co_u32_e32 v3, vcc, 0, v3, vcc
	v_add_co_u32_e32 v4, vcc, 0x1000, v2
	v_addc_co_u32_e32 v5, vcc, 0, v3, vcc
	flat_load_ushort v6, v[2:3]
	flat_load_ushort v7, v[2:3] offset:512
	flat_load_ushort v8, v[2:3] offset:1024
	;; [unrolled: 1-line block ×7, first 2 shown]
	v_add_co_u32_e32 v2, vcc, 0x2000, v2
	v_addc_co_u32_e32 v3, vcc, 0, v3, vcc
	flat_load_ushort v14, v[4:5]
	flat_load_ushort v15, v[4:5] offset:512
	flat_load_ushort v16, v[4:5] offset:1024
	flat_load_ushort v17, v[4:5] offset:1536
	flat_load_ushort v18, v[4:5] offset:2048
	flat_load_ushort v19, v[4:5] offset:2560
	flat_load_ushort v20, v[4:5] offset:3072
	flat_load_ushort v21, v[4:5] offset:3584
	s_nop 0
	flat_load_ushort v4, v[2:3]
	flat_load_ushort v5, v[2:3] offset:512
	flat_load_ushort v22, v[2:3] offset:1024
	;; [unrolled: 1-line block ×3, first 2 shown]
	s_mov_b64 s[0:1], 0
	s_waitcnt vmcnt(0) lgkmcnt(0)
	ds_write_b16 v1, v6
	ds_write_b16 v1, v7 offset:512
	ds_write_b16 v1, v8 offset:1024
	;; [unrolled: 1-line block ×19, first 2 shown]
	s_waitcnt lgkmcnt(0)
	s_barrier
.LBB563_2:
	s_andn2_b64 vcc, exec, s[0:1]
	v_cmp_gt_u32_e64 s[0:1], s33, v0
	s_cbranch_vccnz .LBB563_44
; %bb.3:
                                        ; implicit-def: $vgpr2
	s_and_saveexec_b64 s[12:13], s[0:1]
	s_cbranch_execz .LBB563_5
; %bb.4:
	v_mov_b32_e32 v3, s14
	v_add_co_u32_e32 v2, vcc, s7, v1
	v_addc_co_u32_e32 v3, vcc, 0, v3, vcc
	flat_load_ushort v2, v[2:3]
.LBB563_5:
	s_or_b64 exec, exec, s[12:13]
	v_or_b32_e32 v3, 0x100, v0
	v_cmp_gt_u32_e32 vcc, s33, v3
                                        ; implicit-def: $vgpr3
	s_and_saveexec_b64 s[0:1], vcc
	s_cbranch_execz .LBB563_7
; %bb.6:
	v_mov_b32_e32 v3, s14
	v_add_co_u32_e32 v4, vcc, s7, v1
	v_addc_co_u32_e32 v5, vcc, 0, v3, vcc
	flat_load_ushort v3, v[4:5] offset:512
.LBB563_7:
	s_or_b64 exec, exec, s[0:1]
	v_or_b32_e32 v4, 0x200, v0
	v_cmp_gt_u32_e32 vcc, s33, v4
                                        ; implicit-def: $vgpr4
	s_and_saveexec_b64 s[0:1], vcc
	s_cbranch_execz .LBB563_9
; %bb.8:
	v_mov_b32_e32 v5, s14
	v_add_co_u32_e32 v4, vcc, s7, v1
	v_addc_co_u32_e32 v5, vcc, 0, v5, vcc
	flat_load_ushort v4, v[4:5] offset:1024
.LBB563_9:
	s_or_b64 exec, exec, s[0:1]
	v_or_b32_e32 v5, 0x300, v0
	v_cmp_gt_u32_e32 vcc, s33, v5
                                        ; implicit-def: $vgpr5
	s_and_saveexec_b64 s[0:1], vcc
	s_cbranch_execz .LBB563_11
; %bb.10:
	v_mov_b32_e32 v5, s14
	v_add_co_u32_e32 v6, vcc, s7, v1
	v_addc_co_u32_e32 v7, vcc, 0, v5, vcc
	flat_load_ushort v5, v[6:7] offset:1536
.LBB563_11:
	s_or_b64 exec, exec, s[0:1]
	v_or_b32_e32 v6, 0x400, v0
	v_cmp_gt_u32_e32 vcc, s33, v6
                                        ; implicit-def: $vgpr6
	s_and_saveexec_b64 s[0:1], vcc
	s_cbranch_execz .LBB563_13
; %bb.12:
	v_mov_b32_e32 v7, s14
	v_add_co_u32_e32 v6, vcc, s7, v1
	v_addc_co_u32_e32 v7, vcc, 0, v7, vcc
	flat_load_ushort v6, v[6:7] offset:2048
.LBB563_13:
	s_or_b64 exec, exec, s[0:1]
	v_or_b32_e32 v7, 0x500, v0
	v_cmp_gt_u32_e32 vcc, s33, v7
                                        ; implicit-def: $vgpr7
	s_and_saveexec_b64 s[0:1], vcc
	s_cbranch_execz .LBB563_15
; %bb.14:
	v_mov_b32_e32 v7, s14
	v_add_co_u32_e32 v8, vcc, s7, v1
	v_addc_co_u32_e32 v9, vcc, 0, v7, vcc
	flat_load_ushort v7, v[8:9] offset:2560
.LBB563_15:
	s_or_b64 exec, exec, s[0:1]
	v_or_b32_e32 v8, 0x600, v0
	v_cmp_gt_u32_e32 vcc, s33, v8
                                        ; implicit-def: $vgpr8
	s_and_saveexec_b64 s[0:1], vcc
	s_cbranch_execz .LBB563_17
; %bb.16:
	v_mov_b32_e32 v9, s14
	v_add_co_u32_e32 v8, vcc, s7, v1
	v_addc_co_u32_e32 v9, vcc, 0, v9, vcc
	flat_load_ushort v8, v[8:9] offset:3072
.LBB563_17:
	s_or_b64 exec, exec, s[0:1]
	v_or_b32_e32 v9, 0x700, v0
	v_cmp_gt_u32_e32 vcc, s33, v9
                                        ; implicit-def: $vgpr9
	s_and_saveexec_b64 s[0:1], vcc
	s_cbranch_execz .LBB563_19
; %bb.18:
	v_mov_b32_e32 v9, s14
	v_add_co_u32_e32 v10, vcc, s7, v1
	v_addc_co_u32_e32 v11, vcc, 0, v9, vcc
	flat_load_ushort v9, v[10:11] offset:3584
.LBB563_19:
	s_or_b64 exec, exec, s[0:1]
	v_or_b32_e32 v11, 0x800, v0
	v_cmp_gt_u32_e32 vcc, s33, v11
                                        ; implicit-def: $vgpr10
	s_and_saveexec_b64 s[0:1], vcc
	s_cbranch_execz .LBB563_21
; %bb.20:
	v_lshlrev_b32_e32 v10, 1, v11
	v_mov_b32_e32 v11, s14
	v_add_co_u32_e32 v10, vcc, s7, v10
	v_addc_co_u32_e32 v11, vcc, 0, v11, vcc
	flat_load_ushort v10, v[10:11]
.LBB563_21:
	s_or_b64 exec, exec, s[0:1]
	v_or_b32_e32 v12, 0x900, v0
	v_cmp_gt_u32_e32 vcc, s33, v12
                                        ; implicit-def: $vgpr11
	s_and_saveexec_b64 s[0:1], vcc
	s_cbranch_execz .LBB563_23
; %bb.22:
	v_lshlrev_b32_e32 v11, 1, v12
	v_mov_b32_e32 v13, s14
	v_add_co_u32_e32 v12, vcc, s7, v11
	v_addc_co_u32_e32 v13, vcc, 0, v13, vcc
	flat_load_ushort v11, v[12:13]
.LBB563_23:
	s_or_b64 exec, exec, s[0:1]
	v_or_b32_e32 v13, 0xa00, v0
	v_cmp_gt_u32_e32 vcc, s33, v13
                                        ; implicit-def: $vgpr12
	s_and_saveexec_b64 s[0:1], vcc
	s_cbranch_execz .LBB563_25
; %bb.24:
	v_lshlrev_b32_e32 v12, 1, v13
	v_mov_b32_e32 v13, s14
	v_add_co_u32_e32 v12, vcc, s7, v12
	v_addc_co_u32_e32 v13, vcc, 0, v13, vcc
	flat_load_ushort v12, v[12:13]
.LBB563_25:
	s_or_b64 exec, exec, s[0:1]
	v_or_b32_e32 v14, 0xb00, v0
	v_cmp_gt_u32_e32 vcc, s33, v14
                                        ; implicit-def: $vgpr13
	s_and_saveexec_b64 s[0:1], vcc
	s_cbranch_execz .LBB563_27
; %bb.26:
	v_lshlrev_b32_e32 v13, 1, v14
	v_mov_b32_e32 v15, s14
	v_add_co_u32_e32 v14, vcc, s7, v13
	v_addc_co_u32_e32 v15, vcc, 0, v15, vcc
	flat_load_ushort v13, v[14:15]
.LBB563_27:
	s_or_b64 exec, exec, s[0:1]
	v_or_b32_e32 v15, 0xc00, v0
	v_cmp_gt_u32_e32 vcc, s33, v15
                                        ; implicit-def: $vgpr14
	s_and_saveexec_b64 s[0:1], vcc
	s_cbranch_execz .LBB563_29
; %bb.28:
	v_lshlrev_b32_e32 v14, 1, v15
	v_mov_b32_e32 v15, s14
	v_add_co_u32_e32 v14, vcc, s7, v14
	v_addc_co_u32_e32 v15, vcc, 0, v15, vcc
	flat_load_ushort v14, v[14:15]
.LBB563_29:
	s_or_b64 exec, exec, s[0:1]
	v_or_b32_e32 v16, 0xd00, v0
	v_cmp_gt_u32_e32 vcc, s33, v16
                                        ; implicit-def: $vgpr15
	s_and_saveexec_b64 s[0:1], vcc
	s_cbranch_execz .LBB563_31
; %bb.30:
	v_lshlrev_b32_e32 v15, 1, v16
	v_mov_b32_e32 v17, s14
	v_add_co_u32_e32 v16, vcc, s7, v15
	v_addc_co_u32_e32 v17, vcc, 0, v17, vcc
	flat_load_ushort v15, v[16:17]
.LBB563_31:
	s_or_b64 exec, exec, s[0:1]
	v_or_b32_e32 v17, 0xe00, v0
	v_cmp_gt_u32_e32 vcc, s33, v17
                                        ; implicit-def: $vgpr16
	s_and_saveexec_b64 s[0:1], vcc
	s_cbranch_execz .LBB563_33
; %bb.32:
	v_lshlrev_b32_e32 v16, 1, v17
	v_mov_b32_e32 v17, s14
	v_add_co_u32_e32 v16, vcc, s7, v16
	v_addc_co_u32_e32 v17, vcc, 0, v17, vcc
	flat_load_ushort v16, v[16:17]
.LBB563_33:
	s_or_b64 exec, exec, s[0:1]
	v_or_b32_e32 v18, 0xf00, v0
	v_cmp_gt_u32_e32 vcc, s33, v18
                                        ; implicit-def: $vgpr17
	s_and_saveexec_b64 s[0:1], vcc
	s_cbranch_execz .LBB563_35
; %bb.34:
	v_lshlrev_b32_e32 v17, 1, v18
	v_mov_b32_e32 v19, s14
	v_add_co_u32_e32 v18, vcc, s7, v17
	v_addc_co_u32_e32 v19, vcc, 0, v19, vcc
	flat_load_ushort v17, v[18:19]
.LBB563_35:
	s_or_b64 exec, exec, s[0:1]
	v_or_b32_e32 v19, 0x1000, v0
	v_cmp_gt_u32_e32 vcc, s33, v19
                                        ; implicit-def: $vgpr18
	s_and_saveexec_b64 s[0:1], vcc
	s_cbranch_execz .LBB563_37
; %bb.36:
	v_lshlrev_b32_e32 v18, 1, v19
	v_mov_b32_e32 v19, s14
	v_add_co_u32_e32 v18, vcc, s7, v18
	v_addc_co_u32_e32 v19, vcc, 0, v19, vcc
	flat_load_ushort v18, v[18:19]
.LBB563_37:
	s_or_b64 exec, exec, s[0:1]
	v_or_b32_e32 v20, 0x1100, v0
	v_cmp_gt_u32_e32 vcc, s33, v20
                                        ; implicit-def: $vgpr19
	s_and_saveexec_b64 s[0:1], vcc
	s_cbranch_execz .LBB563_39
; %bb.38:
	v_lshlrev_b32_e32 v19, 1, v20
	v_mov_b32_e32 v21, s14
	v_add_co_u32_e32 v20, vcc, s7, v19
	v_addc_co_u32_e32 v21, vcc, 0, v21, vcc
	flat_load_ushort v19, v[20:21]
.LBB563_39:
	s_or_b64 exec, exec, s[0:1]
	v_or_b32_e32 v21, 0x1200, v0
	v_cmp_gt_u32_e32 vcc, s33, v21
                                        ; implicit-def: $vgpr20
	s_and_saveexec_b64 s[0:1], vcc
	s_cbranch_execz .LBB563_41
; %bb.40:
	v_lshlrev_b32_e32 v20, 1, v21
	v_mov_b32_e32 v21, s14
	v_add_co_u32_e32 v20, vcc, s7, v20
	v_addc_co_u32_e32 v21, vcc, 0, v21, vcc
	flat_load_ushort v20, v[20:21]
.LBB563_41:
	s_or_b64 exec, exec, s[0:1]
	v_or_b32_e32 v22, 0x1300, v0
	v_cmp_gt_u32_e32 vcc, s33, v22
                                        ; implicit-def: $vgpr21
	s_and_saveexec_b64 s[0:1], vcc
	s_cbranch_execz .LBB563_43
; %bb.42:
	v_lshlrev_b32_e32 v21, 1, v22
	v_mov_b32_e32 v23, s14
	v_add_co_u32_e32 v22, vcc, s7, v21
	v_addc_co_u32_e32 v23, vcc, 0, v23, vcc
	flat_load_ushort v21, v[22:23]
.LBB563_43:
	s_or_b64 exec, exec, s[0:1]
	s_waitcnt vmcnt(0) lgkmcnt(0)
	ds_write_b16 v1, v2
	ds_write_b16 v1, v3 offset:512
	ds_write_b16 v1, v4 offset:1024
	;; [unrolled: 1-line block ×19, first 2 shown]
	s_waitcnt lgkmcnt(0)
	s_barrier
.LBB563_44:
	v_mul_u32_u24_e32 v26, 20, v0
	v_lshlrev_b32_e32 v6, 1, v26
	s_waitcnt lgkmcnt(0)
	ds_read_b64 v[12:13], v6 offset:32
	ds_read2_b64 v[2:5], v6 offset0:2 offset1:3
	ds_read2_b64 v[6:9], v6 offset1:1
	s_add_u32 s0, s2, s8
	s_addc_u32 s1, s3, s9
	s_add_u32 s0, s0, s10
	s_addc_u32 s1, s1, s11
	s_mov_b64 s[2:3], -1
	s_and_b64 vcc, exec, s[34:35]
	s_waitcnt lgkmcnt(0)
	s_barrier
	s_cbranch_vccz .LBB563_46
; %bb.45:
	global_load_ushort v16, v1, s[0:1]
	global_load_ushort v17, v1, s[0:1] offset:512
	global_load_ushort v18, v1, s[0:1] offset:1024
	v_mov_b32_e32 v10, s1
	v_add_co_u32_e32 v14, vcc, s0, v1
	s_movk_i32 s3, 0x2000
	v_addc_co_u32_e32 v15, vcc, 0, v10, vcc
	v_add_co_u32_e32 v10, vcc, s3, v14
	global_load_ushort v19, v1, s[0:1] offset:1536
	global_load_ushort v20, v1, s[0:1] offset:2048
	;; [unrolled: 1-line block ×5, first 2 shown]
	v_addc_co_u32_e32 v11, vcc, 0, v15, vcc
	global_load_ushort v24, v[10:11], off offset:-4096
	s_movk_i32 s2, 0x1000
	v_add_co_u32_e32 v14, vcc, s2, v14
	v_addc_co_u32_e32 v15, vcc, 0, v15, vcc
	global_load_ushort v25, v[14:15], off offset:512
	global_load_ushort v27, v[14:15], off offset:1024
	;; [unrolled: 1-line block ×7, first 2 shown]
	global_load_ushort v33, v[10:11], off
	global_load_ushort v34, v[10:11], off offset:512
	global_load_ushort v35, v[10:11], off offset:1024
	;; [unrolled: 1-line block ×3, first 2 shown]
	s_mov_b64 s[2:3], 0
	s_waitcnt vmcnt(19)
	v_cmp_ne_u16_e32 vcc, 0, v16
	v_cndmask_b32_e64 v10, 0, 1, vcc
	s_waitcnt vmcnt(18)
	v_cmp_ne_u16_e32 vcc, 0, v17
	v_cndmask_b32_e64 v11, 0, 1, vcc
	;; [unrolled: 3-line block ×8, first 2 shown]
	s_waitcnt vmcnt(11)
	v_cmp_ne_u16_e32 vcc, 0, v24
	ds_write_b8 v0, v10
	ds_write_b8 v0, v11 offset:256
	ds_write_b8 v0, v14 offset:512
	ds_write_b8 v0, v15 offset:768
	ds_write_b8 v0, v16 offset:1024
	ds_write_b8 v0, v17 offset:1280
	ds_write_b8 v0, v18 offset:1536
	ds_write_b8 v0, v19 offset:1792
	v_cndmask_b32_e64 v10, 0, 1, vcc
	s_waitcnt vmcnt(10)
	v_cmp_ne_u16_e32 vcc, 0, v25
	v_cndmask_b32_e64 v11, 0, 1, vcc
	s_waitcnt vmcnt(9)
	v_cmp_ne_u16_e32 vcc, 0, v27
	;; [unrolled: 3-line block ×11, first 2 shown]
	v_cndmask_b32_e64 v23, 0, 1, vcc
	ds_write_b8 v0, v10 offset:2048
	ds_write_b8 v0, v11 offset:2304
	;; [unrolled: 1-line block ×12, first 2 shown]
	s_waitcnt lgkmcnt(0)
	s_barrier
.LBB563_46:
	s_load_dwordx2 s[36:37], s[4:5], 0x70
	s_andn2_b64 vcc, exec, s[2:3]
	s_cbranch_vccnz .LBB563_88
; %bb.47:
	v_cmp_gt_u32_e32 vcc, s33, v0
	v_mov_b32_e32 v10, 0
	v_mov_b32_e32 v11, 0
	s_and_saveexec_b64 s[2:3], vcc
	s_cbranch_execz .LBB563_49
; %bb.48:
	global_load_ushort v11, v1, s[0:1]
	s_waitcnt vmcnt(0)
	v_cmp_ne_u16_e32 vcc, 0, v11
	v_cndmask_b32_e64 v11, 0, 1, vcc
.LBB563_49:
	s_or_b64 exec, exec, s[2:3]
	v_or_b32_e32 v14, 0x100, v0
	v_cmp_gt_u32_e32 vcc, s33, v14
	s_and_saveexec_b64 s[2:3], vcc
	s_cbranch_execz .LBB563_51
; %bb.50:
	global_load_ushort v10, v1, s[0:1] offset:512
	s_waitcnt vmcnt(0)
	v_cmp_ne_u16_e32 vcc, 0, v10
	v_cndmask_b32_e64 v10, 0, 1, vcc
.LBB563_51:
	s_or_b64 exec, exec, s[2:3]
	v_or_b32_e32 v14, 0x200, v0
	v_cmp_gt_u32_e32 vcc, s33, v14
	v_mov_b32_e32 v14, 0
	v_mov_b32_e32 v15, 0
	s_and_saveexec_b64 s[2:3], vcc
	s_cbranch_execz .LBB563_53
; %bb.52:
	global_load_ushort v15, v1, s[0:1] offset:1024
	s_waitcnt vmcnt(0)
	v_cmp_ne_u16_e32 vcc, 0, v15
	v_cndmask_b32_e64 v15, 0, 1, vcc
.LBB563_53:
	s_or_b64 exec, exec, s[2:3]
	v_or_b32_e32 v16, 0x300, v0
	v_cmp_gt_u32_e32 vcc, s33, v16
	s_and_saveexec_b64 s[2:3], vcc
	s_cbranch_execz .LBB563_55
; %bb.54:
	global_load_ushort v14, v1, s[0:1] offset:1536
	s_waitcnt vmcnt(0)
	v_cmp_ne_u16_e32 vcc, 0, v14
	v_cndmask_b32_e64 v14, 0, 1, vcc
.LBB563_55:
	s_or_b64 exec, exec, s[2:3]
	v_or_b32_e32 v16, 0x400, v0
	v_cmp_gt_u32_e32 vcc, s33, v16
	v_mov_b32_e32 v16, 0
	v_mov_b32_e32 v17, 0
	s_and_saveexec_b64 s[2:3], vcc
	s_cbranch_execz .LBB563_57
; %bb.56:
	global_load_ushort v17, v1, s[0:1] offset:2048
	s_waitcnt vmcnt(0)
	v_cmp_ne_u16_e32 vcc, 0, v17
	v_cndmask_b32_e64 v17, 0, 1, vcc
.LBB563_57:
	s_or_b64 exec, exec, s[2:3]
	v_or_b32_e32 v18, 0x500, v0
	v_cmp_gt_u32_e32 vcc, s33, v18
	s_and_saveexec_b64 s[2:3], vcc
	s_cbranch_execz .LBB563_59
; %bb.58:
	global_load_ushort v16, v1, s[0:1] offset:2560
	s_waitcnt vmcnt(0)
	v_cmp_ne_u16_e32 vcc, 0, v16
	v_cndmask_b32_e64 v16, 0, 1, vcc
.LBB563_59:
	s_or_b64 exec, exec, s[2:3]
	v_or_b32_e32 v18, 0x600, v0
	v_cmp_gt_u32_e32 vcc, s33, v18
	v_mov_b32_e32 v18, 0
	v_mov_b32_e32 v19, 0
	s_and_saveexec_b64 s[2:3], vcc
	s_cbranch_execz .LBB563_61
; %bb.60:
	global_load_ushort v19, v1, s[0:1] offset:3072
	s_waitcnt vmcnt(0)
	v_cmp_ne_u16_e32 vcc, 0, v19
	v_cndmask_b32_e64 v19, 0, 1, vcc
.LBB563_61:
	s_or_b64 exec, exec, s[2:3]
	v_or_b32_e32 v20, 0x700, v0
	v_cmp_gt_u32_e32 vcc, s33, v20
	s_and_saveexec_b64 s[2:3], vcc
	s_cbranch_execz .LBB563_63
; %bb.62:
	global_load_ushort v18, v1, s[0:1] offset:3584
	s_waitcnt vmcnt(0)
	v_cmp_ne_u16_e32 vcc, 0, v18
	v_cndmask_b32_e64 v18, 0, 1, vcc
.LBB563_63:
	s_or_b64 exec, exec, s[2:3]
	v_or_b32_e32 v22, 0x800, v0
	v_cmp_gt_u32_e32 vcc, s33, v22
	v_mov_b32_e32 v20, 0
	v_mov_b32_e32 v21, 0
	s_and_saveexec_b64 s[2:3], vcc
	s_cbranch_execz .LBB563_65
; %bb.64:
	v_lshlrev_b32_e32 v21, 1, v22
	global_load_ushort v21, v21, s[0:1]
	s_waitcnt vmcnt(0)
	v_cmp_ne_u16_e32 vcc, 0, v21
	v_cndmask_b32_e64 v21, 0, 1, vcc
.LBB563_65:
	s_or_b64 exec, exec, s[2:3]
	v_or_b32_e32 v22, 0x900, v0
	v_cmp_gt_u32_e32 vcc, s33, v22
	s_and_saveexec_b64 s[2:3], vcc
	s_cbranch_execz .LBB563_67
; %bb.66:
	v_lshlrev_b32_e32 v20, 1, v22
	global_load_ushort v20, v20, s[0:1]
	s_waitcnt vmcnt(0)
	v_cmp_ne_u16_e32 vcc, 0, v20
	v_cndmask_b32_e64 v20, 0, 1, vcc
.LBB563_67:
	s_or_b64 exec, exec, s[2:3]
	v_or_b32_e32 v24, 0xa00, v0
	v_cmp_gt_u32_e32 vcc, s33, v24
	v_mov_b32_e32 v22, 0
	v_mov_b32_e32 v23, 0
	s_and_saveexec_b64 s[2:3], vcc
	s_cbranch_execz .LBB563_69
; %bb.68:
	v_lshlrev_b32_e32 v23, 1, v24
	global_load_ushort v23, v23, s[0:1]
	s_waitcnt vmcnt(0)
	v_cmp_ne_u16_e32 vcc, 0, v23
	v_cndmask_b32_e64 v23, 0, 1, vcc
.LBB563_69:
	s_or_b64 exec, exec, s[2:3]
	v_or_b32_e32 v24, 0xb00, v0
	v_cmp_gt_u32_e32 vcc, s33, v24
	s_and_saveexec_b64 s[2:3], vcc
	s_cbranch_execz .LBB563_71
; %bb.70:
	v_lshlrev_b32_e32 v22, 1, v24
	global_load_ushort v22, v22, s[0:1]
	s_waitcnt vmcnt(0)
	v_cmp_ne_u16_e32 vcc, 0, v22
	v_cndmask_b32_e64 v22, 0, 1, vcc
.LBB563_71:
	;; [unrolled: 26-line block ×6, first 2 shown]
	s_or_b64 exec, exec, s[2:3]
	ds_write_b8 v0, v11
	ds_write_b8 v0, v10 offset:256
	ds_write_b8 v0, v15 offset:512
	;; [unrolled: 1-line block ×19, first 2 shown]
	s_waitcnt lgkmcnt(0)
	s_barrier
.LBB563_88:
	s_waitcnt lgkmcnt(0)
	ds_read2_b32 v[16:17], v26 offset1:1
	ds_read2_b32 v[14:15], v26 offset0:2 offset1:3
	ds_read_b32 v28, v26 offset:16
	s_cmp_lg_u32 s6, 0
	v_lshrrev_b32_e32 v47, 6, v0
	s_waitcnt lgkmcnt(2)
	v_lshrrev_b32_e32 v33, 24, v16
	v_bfe_u32 v45, v16, 16, 8
	v_add_u32_sdwa v10, v16, v16 dst_sel:DWORD dst_unused:UNUSED_PAD src0_sel:BYTE_1 src1_sel:BYTE_0
	v_and_b32_e32 v42, 0xff, v17
	v_bfe_u32 v43, v17, 8, 8
	v_add3_u32 v10, v10, v45, v33
	v_lshrrev_b32_e32 v32, 24, v17
	v_bfe_u32 v44, v17, 16, 8
	v_add3_u32 v10, v10, v42, v43
	s_waitcnt lgkmcnt(1)
	v_and_b32_e32 v39, 0xff, v14
	v_bfe_u32 v40, v14, 8, 8
	v_add3_u32 v10, v10, v44, v32
	v_lshrrev_b32_e32 v31, 24, v14
	v_bfe_u32 v41, v14, 16, 8
	v_add3_u32 v10, v10, v39, v40
	v_and_b32_e32 v36, 0xff, v15
	v_bfe_u32 v37, v15, 8, 8
	v_add3_u32 v10, v10, v41, v31
	v_lshrrev_b32_e32 v30, 24, v15
	v_bfe_u32 v38, v15, 16, 8
	v_add3_u32 v10, v10, v36, v37
	s_waitcnt lgkmcnt(0)
	v_and_b32_e32 v34, 0xff, v28
	v_bfe_u32 v35, v28, 8, 8
	v_add3_u32 v10, v10, v38, v30
	v_lshrrev_b32_e32 v27, 24, v28
	v_bfe_u32 v29, v28, 16, 8
	v_add3_u32 v10, v10, v34, v35
	v_add3_u32 v48, v10, v29, v27
	v_mbcnt_lo_u32_b32 v10, -1, 0
	v_mbcnt_hi_u32_b32 v46, -1, v10
	v_and_b32_e32 v10, 15, v46
	v_cmp_eq_u32_e64 s[14:15], 0, v10
	v_cmp_lt_u32_e64 s[12:13], 1, v10
	v_cmp_lt_u32_e64 s[10:11], 3, v10
	;; [unrolled: 1-line block ×3, first 2 shown]
	v_and_b32_e32 v10, 16, v46
	v_cmp_eq_u32_e64 s[18:19], 0, v10
	v_or_b32_e32 v10, 63, v0
	v_cmp_lt_u32_e64 s[0:1], 31, v46
	v_cmp_eq_u32_e64 s[2:3], v10, v0
	s_barrier
	s_cbranch_scc0 .LBB563_119
; %bb.89:
	v_mov_b32_dpp v10, v48 row_shr:1 row_mask:0xf bank_mask:0xf
	v_cndmask_b32_e64 v10, v10, 0, s[14:15]
	v_add_u32_e32 v10, v10, v48
	s_nop 1
	v_mov_b32_dpp v11, v10 row_shr:2 row_mask:0xf bank_mask:0xf
	v_cndmask_b32_e64 v11, 0, v11, s[12:13]
	v_add_u32_e32 v10, v10, v11
	s_nop 1
	;; [unrolled: 4-line block ×4, first 2 shown]
	v_mov_b32_dpp v11, v10 row_bcast:15 row_mask:0xf bank_mask:0xf
	v_cndmask_b32_e64 v11, v11, 0, s[18:19]
	v_add_u32_e32 v10, v10, v11
	s_nop 1
	v_mov_b32_dpp v11, v10 row_bcast:31 row_mask:0xf bank_mask:0xf
	v_cndmask_b32_e64 v11, 0, v11, s[0:1]
	v_add_u32_e32 v10, v10, v11
	s_and_saveexec_b64 s[16:17], s[2:3]
	s_cbranch_execz .LBB563_91
; %bb.90:
	v_lshlrev_b32_e32 v11, 2, v47
	ds_write_b32 v11, v10
.LBB563_91:
	s_or_b64 exec, exec, s[16:17]
	v_cmp_gt_u32_e32 vcc, 4, v0
	s_waitcnt lgkmcnt(0)
	s_barrier
	s_and_saveexec_b64 s[16:17], vcc
	s_cbranch_execz .LBB563_93
; %bb.92:
	v_lshlrev_b32_e32 v11, 2, v0
	ds_read_b32 v18, v11
	v_and_b32_e32 v19, 3, v46
	v_cmp_ne_u32_e32 vcc, 0, v19
	s_waitcnt lgkmcnt(0)
	v_mov_b32_dpp v20, v18 row_shr:1 row_mask:0xf bank_mask:0xf
	v_cndmask_b32_e32 v20, 0, v20, vcc
	v_add_u32_e32 v18, v20, v18
	v_cmp_lt_u32_e32 vcc, 1, v19
	s_nop 0
	v_mov_b32_dpp v20, v18 row_shr:2 row_mask:0xf bank_mask:0xf
	v_cndmask_b32_e32 v19, 0, v20, vcc
	v_add_u32_e32 v18, v18, v19
	ds_write_b32 v11, v18
.LBB563_93:
	s_or_b64 exec, exec, s[16:17]
	v_cmp_gt_u32_e32 vcc, 64, v0
	v_cmp_lt_u32_e64 s[16:17], 63, v0
	s_waitcnt lgkmcnt(0)
	s_barrier
	s_waitcnt lgkmcnt(0)
                                        ; implicit-def: $vgpr49
	s_and_saveexec_b64 s[38:39], s[16:17]
	s_cbranch_execz .LBB563_95
; %bb.94:
	v_lshl_add_u32 v11, v47, 2, -4
	ds_read_b32 v49, v11
	s_waitcnt lgkmcnt(0)
	v_add_u32_e32 v10, v49, v10
.LBB563_95:
	s_or_b64 exec, exec, s[38:39]
	v_add_u32_e32 v11, -1, v46
	v_and_b32_e32 v18, 64, v46
	v_cmp_lt_i32_e64 s[16:17], v11, v18
	v_cndmask_b32_e64 v11, v11, v46, s[16:17]
	v_lshlrev_b32_e32 v11, 2, v11
	ds_bpermute_b32 v50, v11, v10
	v_cmp_eq_u32_e64 s[16:17], 0, v46
	s_and_saveexec_b64 s[38:39], vcc
	s_cbranch_execz .LBB563_118
; %bb.96:
	v_mov_b32_e32 v25, 0
	ds_read_b32 v10, v25 offset:12
	s_and_saveexec_b64 s[40:41], s[16:17]
	s_cbranch_execz .LBB563_98
; %bb.97:
	s_add_i32 s42, s6, 64
	s_mov_b32 s43, 0
	s_lshl_b64 s[42:43], s[42:43], 3
	s_add_u32 s42, s36, s42
	v_mov_b32_e32 v11, 1
	s_addc_u32 s43, s37, s43
	s_waitcnt lgkmcnt(0)
	global_store_dwordx2 v25, v[10:11], s[42:43]
.LBB563_98:
	s_or_b64 exec, exec, s[40:41]
	v_xad_u32 v18, v46, -1, s6
	v_add_u32_e32 v24, 64, v18
	v_lshlrev_b64 v[20:21], 3, v[24:25]
	v_mov_b32_e32 v11, s37
	v_add_co_u32_e32 v20, vcc, s36, v20
	v_addc_co_u32_e32 v21, vcc, v11, v21, vcc
	global_load_dwordx2 v[22:23], v[20:21], off glc
	s_waitcnt vmcnt(0)
	v_cmp_eq_u16_sdwa s[42:43], v23, v25 src0_sel:BYTE_0 src1_sel:DWORD
	s_and_saveexec_b64 s[40:41], s[42:43]
	s_cbranch_execz .LBB563_104
; %bb.99:
	s_mov_b32 s7, 1
	s_mov_b64 s[42:43], 0
	v_mov_b32_e32 v11, 0
.LBB563_100:                            ; =>This Loop Header: Depth=1
                                        ;     Child Loop BB563_101 Depth 2
	s_max_u32 s25, s7, 1
.LBB563_101:                            ;   Parent Loop BB563_100 Depth=1
                                        ; =>  This Inner Loop Header: Depth=2
	s_add_i32 s25, s25, -1
	s_cmp_eq_u32 s25, 0
	s_sleep 1
	s_cbranch_scc0 .LBB563_101
; %bb.102:                              ;   in Loop: Header=BB563_100 Depth=1
	global_load_dwordx2 v[22:23], v[20:21], off glc
	s_cmp_lt_u32 s7, 32
	s_cselect_b64 s[44:45], -1, 0
	s_cmp_lg_u64 s[44:45], 0
	s_addc_u32 s7, s7, 0
	s_waitcnt vmcnt(0)
	v_cmp_ne_u16_sdwa s[44:45], v23, v11 src0_sel:BYTE_0 src1_sel:DWORD
	s_or_b64 s[42:43], s[44:45], s[42:43]
	s_andn2_b64 exec, exec, s[42:43]
	s_cbranch_execnz .LBB563_100
; %bb.103:
	s_or_b64 exec, exec, s[42:43]
.LBB563_104:
	s_or_b64 exec, exec, s[40:41]
	v_and_b32_e32 v52, 63, v46
	v_mov_b32_e32 v51, 2
	v_cmp_ne_u32_e32 vcc, 63, v52
	v_cmp_eq_u16_sdwa s[40:41], v23, v51 src0_sel:BYTE_0 src1_sel:DWORD
	v_lshlrev_b64 v[20:21], v46, -1
	v_addc_co_u32_e32 v24, vcc, 0, v46, vcc
	v_and_b32_e32 v11, s41, v21
	v_lshlrev_b32_e32 v53, 2, v24
	v_or_b32_e32 v11, 0x80000000, v11
	ds_bpermute_b32 v24, v53, v22
	v_and_b32_e32 v19, s40, v20
	v_ffbl_b32_e32 v11, v11
	v_add_u32_e32 v11, 32, v11
	v_ffbl_b32_e32 v19, v19
	v_min_u32_e32 v11, v19, v11
	v_cmp_lt_u32_e32 vcc, v52, v11
	s_waitcnt lgkmcnt(0)
	v_cndmask_b32_e32 v19, 0, v24, vcc
	v_cmp_gt_u32_e32 vcc, 62, v52
	v_add_u32_e32 v19, v19, v22
	v_cndmask_b32_e64 v22, 0, 1, vcc
	v_lshlrev_b32_e32 v22, 1, v22
	v_add_lshl_u32 v54, v22, v46, 2
	ds_bpermute_b32 v22, v54, v19
	v_add_u32_e32 v55, 2, v52
	v_cmp_le_u32_e32 vcc, v55, v11
	v_add_u32_e32 v57, 4, v52
	v_add_u32_e32 v59, 8, v52
	s_waitcnt lgkmcnt(0)
	v_cndmask_b32_e32 v22, 0, v22, vcc
	v_cmp_gt_u32_e32 vcc, 60, v52
	v_add_u32_e32 v19, v19, v22
	v_cndmask_b32_e64 v22, 0, 1, vcc
	v_lshlrev_b32_e32 v22, 2, v22
	v_add_lshl_u32 v56, v22, v46, 2
	ds_bpermute_b32 v22, v56, v19
	v_cmp_le_u32_e32 vcc, v57, v11
	v_add_u32_e32 v61, 16, v52
	v_add_u32_e32 v63, 32, v52
	s_waitcnt lgkmcnt(0)
	v_cndmask_b32_e32 v22, 0, v22, vcc
	v_cmp_gt_u32_e32 vcc, 56, v52
	v_add_u32_e32 v19, v19, v22
	v_cndmask_b32_e64 v22, 0, 1, vcc
	v_lshlrev_b32_e32 v22, 3, v22
	v_add_lshl_u32 v58, v22, v46, 2
	ds_bpermute_b32 v22, v58, v19
	v_cmp_le_u32_e32 vcc, v59, v11
	s_waitcnt lgkmcnt(0)
	v_cndmask_b32_e32 v22, 0, v22, vcc
	v_cmp_gt_u32_e32 vcc, 48, v52
	v_add_u32_e32 v19, v19, v22
	v_cndmask_b32_e64 v22, 0, 1, vcc
	v_lshlrev_b32_e32 v22, 4, v22
	v_add_lshl_u32 v60, v22, v46, 2
	ds_bpermute_b32 v22, v60, v19
	v_cmp_le_u32_e32 vcc, v61, v11
	;; [unrolled: 9-line block ×3, first 2 shown]
	s_waitcnt lgkmcnt(0)
	v_cndmask_b32_e32 v11, 0, v22, vcc
	v_add_u32_e32 v22, v19, v11
	v_mov_b32_e32 v19, 0
	s_branch .LBB563_106
.LBB563_105:                            ;   in Loop: Header=BB563_106 Depth=1
	s_or_b64 exec, exec, s[40:41]
	v_cmp_eq_u16_sdwa s[40:41], v23, v51 src0_sel:BYTE_0 src1_sel:DWORD
	v_and_b32_e32 v24, s41, v21
	v_or_b32_e32 v24, 0x80000000, v24
	ds_bpermute_b32 v64, v53, v22
	v_and_b32_e32 v25, s40, v20
	v_ffbl_b32_e32 v24, v24
	v_add_u32_e32 v24, 32, v24
	v_ffbl_b32_e32 v25, v25
	v_min_u32_e32 v24, v25, v24
	v_cmp_lt_u32_e32 vcc, v52, v24
	s_waitcnt lgkmcnt(0)
	v_cndmask_b32_e32 v25, 0, v64, vcc
	v_add_u32_e32 v22, v25, v22
	ds_bpermute_b32 v25, v54, v22
	v_cmp_le_u32_e32 vcc, v55, v24
	v_subrev_u32_e32 v18, 64, v18
	s_waitcnt lgkmcnt(0)
	v_cndmask_b32_e32 v25, 0, v25, vcc
	v_add_u32_e32 v22, v22, v25
	ds_bpermute_b32 v25, v56, v22
	v_cmp_le_u32_e32 vcc, v57, v24
	s_waitcnt lgkmcnt(0)
	v_cndmask_b32_e32 v25, 0, v25, vcc
	v_add_u32_e32 v22, v22, v25
	ds_bpermute_b32 v25, v58, v22
	v_cmp_le_u32_e32 vcc, v59, v24
	s_waitcnt lgkmcnt(0)
	v_cndmask_b32_e32 v25, 0, v25, vcc
	v_add_u32_e32 v22, v22, v25
	ds_bpermute_b32 v25, v60, v22
	v_cmp_le_u32_e32 vcc, v61, v24
	s_waitcnt lgkmcnt(0)
	v_cndmask_b32_e32 v25, 0, v25, vcc
	v_add_u32_e32 v22, v22, v25
	ds_bpermute_b32 v25, v62, v22
	v_cmp_le_u32_e32 vcc, v63, v24
	s_waitcnt lgkmcnt(0)
	v_cndmask_b32_e32 v24, 0, v25, vcc
	v_add3_u32 v22, v24, v11, v22
.LBB563_106:                            ; =>This Loop Header: Depth=1
                                        ;     Child Loop BB563_109 Depth 2
                                        ;       Child Loop BB563_110 Depth 3
	v_cmp_ne_u16_sdwa s[40:41], v23, v51 src0_sel:BYTE_0 src1_sel:DWORD
	v_cndmask_b32_e64 v11, 0, 1, s[40:41]
	;;#ASMSTART
	;;#ASMEND
	v_cmp_ne_u32_e32 vcc, 0, v11
	s_cmp_lg_u64 vcc, exec
	v_mov_b32_e32 v11, v22
	s_cbranch_scc1 .LBB563_113
; %bb.107:                              ;   in Loop: Header=BB563_106 Depth=1
	v_lshlrev_b64 v[22:23], 3, v[18:19]
	v_mov_b32_e32 v25, s37
	v_add_co_u32_e32 v24, vcc, s36, v22
	v_addc_co_u32_e32 v25, vcc, v25, v23, vcc
	global_load_dwordx2 v[22:23], v[24:25], off glc
	s_waitcnt vmcnt(0)
	v_cmp_eq_u16_sdwa s[42:43], v23, v19 src0_sel:BYTE_0 src1_sel:DWORD
	s_and_saveexec_b64 s[40:41], s[42:43]
	s_cbranch_execz .LBB563_105
; %bb.108:                              ;   in Loop: Header=BB563_106 Depth=1
	s_mov_b32 s7, 1
	s_mov_b64 s[42:43], 0
.LBB563_109:                            ;   Parent Loop BB563_106 Depth=1
                                        ; =>  This Loop Header: Depth=2
                                        ;       Child Loop BB563_110 Depth 3
	s_max_u32 s25, s7, 1
.LBB563_110:                            ;   Parent Loop BB563_106 Depth=1
                                        ;     Parent Loop BB563_109 Depth=2
                                        ; =>    This Inner Loop Header: Depth=3
	s_add_i32 s25, s25, -1
	s_cmp_eq_u32 s25, 0
	s_sleep 1
	s_cbranch_scc0 .LBB563_110
; %bb.111:                              ;   in Loop: Header=BB563_109 Depth=2
	global_load_dwordx2 v[22:23], v[24:25], off glc
	s_cmp_lt_u32 s7, 32
	s_cselect_b64 s[44:45], -1, 0
	s_cmp_lg_u64 s[44:45], 0
	s_addc_u32 s7, s7, 0
	s_waitcnt vmcnt(0)
	v_cmp_ne_u16_sdwa s[44:45], v23, v19 src0_sel:BYTE_0 src1_sel:DWORD
	s_or_b64 s[42:43], s[44:45], s[42:43]
	s_andn2_b64 exec, exec, s[42:43]
	s_cbranch_execnz .LBB563_109
; %bb.112:                              ;   in Loop: Header=BB563_106 Depth=1
	s_or_b64 exec, exec, s[42:43]
	s_branch .LBB563_105
.LBB563_113:                            ;   in Loop: Header=BB563_106 Depth=1
                                        ; implicit-def: $vgpr22
                                        ; implicit-def: $vgpr23
	s_cbranch_execz .LBB563_106
; %bb.114:
	s_and_saveexec_b64 s[40:41], s[16:17]
	s_cbranch_execz .LBB563_116
; %bb.115:
	s_add_i32 s6, s6, 64
	s_mov_b32 s7, 0
	s_lshl_b64 s[6:7], s[6:7], 3
	s_add_u32 s6, s36, s6
	v_add_u32_e32 v18, v11, v10
	v_mov_b32_e32 v19, 2
	s_addc_u32 s7, s37, s7
	v_mov_b32_e32 v20, 0
	global_store_dwordx2 v20, v[18:19], s[6:7]
	ds_write_b64 v20, v[10:11] offset:10240
.LBB563_116:
	s_or_b64 exec, exec, s[40:41]
	v_cmp_eq_u32_e32 vcc, 0, v0
	s_and_b64 exec, exec, vcc
	s_cbranch_execz .LBB563_118
; %bb.117:
	v_mov_b32_e32 v10, 0
	ds_write_b32 v10, v11 offset:12
.LBB563_118:
	s_or_b64 exec, exec, s[38:39]
	v_mov_b32_e32 v10, 0
	s_waitcnt lgkmcnt(0)
	s_barrier
	ds_read_b32 v19, v10 offset:12
	s_waitcnt lgkmcnt(0)
	s_barrier
	ds_read_b64 v[10:11], v10 offset:10240
	v_cndmask_b32_e64 v18, v50, v49, s[16:17]
	v_cmp_ne_u32_e32 vcc, 0, v0
	v_cndmask_b32_e32 v18, 0, v18, vcc
	v_add_u32_e32 v22, v19, v18
	s_load_dwordx2 s[4:5], s[4:5], 0x30
	s_branch .LBB563_129
.LBB563_119:
                                        ; implicit-def: $vgpr11
                                        ; implicit-def: $vgpr22
	s_load_dwordx2 s[4:5], s[4:5], 0x30
	s_cbranch_execz .LBB563_129
; %bb.120:
	s_waitcnt lgkmcnt(0)
	v_mov_b32_dpp v10, v48 row_shr:1 row_mask:0xf bank_mask:0xf
	v_cndmask_b32_e64 v10, v10, 0, s[14:15]
	v_add_u32_e32 v10, v10, v48
	s_nop 1
	v_mov_b32_dpp v11, v10 row_shr:2 row_mask:0xf bank_mask:0xf
	v_cndmask_b32_e64 v11, 0, v11, s[12:13]
	v_add_u32_e32 v10, v10, v11
	s_nop 1
	;; [unrolled: 4-line block ×4, first 2 shown]
	v_mov_b32_dpp v11, v10 row_bcast:15 row_mask:0xf bank_mask:0xf
	v_cndmask_b32_e64 v11, v11, 0, s[18:19]
	v_add_u32_e32 v10, v10, v11
	s_nop 1
	v_mov_b32_dpp v11, v10 row_bcast:31 row_mask:0xf bank_mask:0xf
	v_cndmask_b32_e64 v11, 0, v11, s[0:1]
	v_add_u32_e32 v10, v10, v11
	s_and_saveexec_b64 s[0:1], s[2:3]
	s_cbranch_execz .LBB563_122
; %bb.121:
	v_lshlrev_b32_e32 v11, 2, v47
	ds_write_b32 v11, v10
.LBB563_122:
	s_or_b64 exec, exec, s[0:1]
	v_cmp_gt_u32_e32 vcc, 4, v0
	s_waitcnt lgkmcnt(0)
	s_barrier
	s_and_saveexec_b64 s[0:1], vcc
	s_cbranch_execz .LBB563_124
; %bb.123:
	v_lshlrev_b32_e32 v11, 2, v0
	ds_read_b32 v18, v11
	v_and_b32_e32 v19, 3, v46
	v_cmp_ne_u32_e32 vcc, 0, v19
	s_waitcnt lgkmcnt(0)
	v_mov_b32_dpp v20, v18 row_shr:1 row_mask:0xf bank_mask:0xf
	v_cndmask_b32_e32 v20, 0, v20, vcc
	v_add_u32_e32 v18, v20, v18
	v_cmp_lt_u32_e32 vcc, 1, v19
	s_nop 0
	v_mov_b32_dpp v20, v18 row_shr:2 row_mask:0xf bank_mask:0xf
	v_cndmask_b32_e32 v19, 0, v20, vcc
	v_add_u32_e32 v18, v18, v19
	ds_write_b32 v11, v18
.LBB563_124:
	s_or_b64 exec, exec, s[0:1]
	v_cmp_lt_u32_e32 vcc, 63, v0
	v_mov_b32_e32 v11, 0
	v_mov_b32_e32 v18, 0
	s_waitcnt lgkmcnt(0)
	s_barrier
	s_and_saveexec_b64 s[0:1], vcc
	s_cbranch_execz .LBB563_126
; %bb.125:
	v_lshl_add_u32 v18, v47, 2, -4
	ds_read_b32 v18, v18
.LBB563_126:
	s_or_b64 exec, exec, s[0:1]
	v_add_u32_e32 v19, -1, v46
	v_and_b32_e32 v20, 64, v46
	v_cmp_lt_i32_e32 vcc, v19, v20
	v_cndmask_b32_e32 v19, v19, v46, vcc
	s_waitcnt lgkmcnt(0)
	v_add_u32_e32 v10, v18, v10
	v_lshlrev_b32_e32 v19, 2, v19
	ds_bpermute_b32 v19, v19, v10
	ds_read_b32 v10, v11 offset:12
	v_cmp_eq_u32_e32 vcc, 0, v0
	s_and_saveexec_b64 s[0:1], vcc
	s_cbranch_execz .LBB563_128
; %bb.127:
	v_mov_b32_e32 v20, 0
	v_mov_b32_e32 v11, 2
	s_waitcnt lgkmcnt(0)
	global_store_dwordx2 v20, v[10:11], s[36:37] offset:512
.LBB563_128:
	s_or_b64 exec, exec, s[0:1]
	v_cmp_eq_u32_e64 s[0:1], 0, v46
	s_waitcnt lgkmcnt(1)
	v_cndmask_b32_e64 v18, v19, v18, s[0:1]
	v_mov_b32_e32 v11, 0
	v_cndmask_b32_e64 v22, v18, 0, vcc
	s_waitcnt lgkmcnt(0)
	s_barrier
.LBB563_129:
	v_add_u32_sdwa v24, v22, v16 dst_sel:DWORD dst_unused:UNUSED_PAD src0_sel:DWORD src1_sel:BYTE_0
	s_waitcnt lgkmcnt(0)
	v_add_u32_e32 v26, v10, v26
	v_sub_u32_e32 v22, v22, v11
	v_and_b32_e32 v51, 1, v16
	v_sub_u32_e32 v50, v26, v22
	v_cmp_eq_u32_e32 vcc, 1, v51
	v_cndmask_b32_e32 v22, v50, v22, vcc
	v_lshlrev_b32_e32 v22, 1, v22
	v_lshrrev_b32_e32 v23, 8, v16
	ds_write_b16 v22, v6
	v_sub_u32_e32 v22, v24, v11
	v_add_u32_sdwa v25, v24, v16 dst_sel:DWORD dst_unused:UNUSED_PAD src0_sel:DWORD src1_sel:BYTE_1
	v_sub_u32_e32 v24, v26, v22
	v_and_b32_e32 v23, 1, v23
	v_add_u32_e32 v24, 1, v24
	v_cmp_eq_u32_e32 vcc, 1, v23
	v_cndmask_b32_e32 v22, v24, v22, vcc
	v_lshlrev_b32_e32 v22, 1, v22
	ds_write_b16_d16_hi v22, v6
	v_sub_u32_e32 v6, v25, v11
	v_mov_b32_e32 v23, 1
	v_sub_u32_e32 v22, v26, v6
	v_and_b32_sdwa v16, v23, v16 dst_sel:DWORD dst_unused:UNUSED_PAD src0_sel:DWORD src1_sel:WORD_1
	v_add_u32_e32 v22, 2, v22
	v_cmp_eq_u32_e32 vcc, 1, v16
	v_cndmask_b32_e32 v6, v22, v6, vcc
	v_add_u32_e32 v45, v25, v45
	v_lshlrev_b32_e32 v6, 1, v6
	ds_write_b16 v6, v7
	v_sub_u32_e32 v6, v45, v11
	v_sub_u32_e32 v16, v26, v6
	v_and_b32_e32 v22, 1, v33
	v_add_u32_e32 v16, 3, v16
	v_cmp_eq_u32_e32 vcc, 1, v22
	v_cndmask_b32_e32 v6, v16, v6, vcc
	v_add_u32_e32 v46, v45, v33
	v_lshlrev_b32_e32 v6, 1, v6
	ds_write_b16_d16_hi v6, v7
	v_sub_u32_e32 v6, v46, v11
	v_sub_u32_e32 v7, v26, v6
	v_and_b32_e32 v16, 1, v17
	v_add_u32_e32 v7, 4, v7
	v_cmp_eq_u32_e32 vcc, 1, v16
	v_cndmask_b32_e32 v6, v7, v6, vcc
	v_add_u32_e32 v42, v46, v42
	v_lshlrev_b32_e32 v6, 1, v6
	v_lshrrev_b32_e32 v21, 8, v17
	ds_write_b16 v6, v8
	v_sub_u32_e32 v6, v42, v11
	v_sub_u32_e32 v7, v26, v6
	v_and_b32_e32 v16, 1, v21
	v_add_u32_e32 v7, 5, v7
	v_cmp_eq_u32_e32 vcc, 1, v16
	v_cndmask_b32_e32 v6, v7, v6, vcc
	v_add_u32_e32 v43, v42, v43
	v_lshlrev_b32_e32 v6, 1, v6
	ds_write_b16_d16_hi v6, v8
	v_sub_u32_e32 v6, v43, v11
	v_sub_u32_e32 v7, v26, v6
	v_and_b32_sdwa v8, v23, v17 dst_sel:DWORD dst_unused:UNUSED_PAD src0_sel:DWORD src1_sel:WORD_1
	v_add_u32_e32 v7, 6, v7
	v_cmp_eq_u32_e32 vcc, 1, v8
	v_cndmask_b32_e32 v6, v7, v6, vcc
	v_add_u32_e32 v44, v43, v44
	v_lshlrev_b32_e32 v6, 1, v6
	ds_write_b16 v6, v9
	v_sub_u32_e32 v6, v44, v11
	v_sub_u32_e32 v7, v26, v6
	v_and_b32_e32 v8, 1, v32
	v_add_u32_e32 v7, 7, v7
	v_cmp_eq_u32_e32 vcc, 1, v8
	v_cndmask_b32_e32 v6, v7, v6, vcc
	v_add_u32_e32 v47, v44, v32
	v_lshlrev_b32_e32 v6, 1, v6
	ds_write_b16_d16_hi v6, v9
	v_sub_u32_e32 v6, v47, v11
	v_sub_u32_e32 v7, v26, v6
	v_and_b32_e32 v8, 1, v14
	v_add_u32_e32 v7, 8, v7
	v_cmp_eq_u32_e32 vcc, 1, v8
	v_cndmask_b32_e32 v6, v7, v6, vcc
	v_add_u32_e32 v39, v47, v39
	v_lshlrev_b32_e32 v6, 1, v6
	v_lshrrev_b32_e32 v20, 8, v14
	ds_write_b16 v6, v2
	v_sub_u32_e32 v6, v39, v11
	v_sub_u32_e32 v7, v26, v6
	v_and_b32_e32 v8, 1, v20
	v_add_u32_e32 v7, 9, v7
	v_cmp_eq_u32_e32 vcc, 1, v8
	v_cndmask_b32_e32 v6, v7, v6, vcc
	v_add_u32_e32 v40, v39, v40
	v_lshlrev_b32_e32 v6, 1, v6
	ds_write_b16_d16_hi v6, v2
	v_sub_u32_e32 v2, v40, v11
	;; [unrolled: 37-line block ×4, first 2 shown]
	v_sub_u32_e32 v3, v26, v2
	v_and_b32_sdwa v4, v23, v28 dst_sel:DWORD dst_unused:UNUSED_PAD src0_sel:DWORD src1_sel:WORD_1
	v_add_u32_e32 v3, 18, v3
	v_cmp_eq_u32_e32 vcc, 1, v4
	v_cndmask_b32_e32 v2, v3, v2, vcc
	v_lshlrev_b32_e32 v2, 1, v2
	ds_write_b16 v2, v13
	v_sub_u32_e32 v2, v29, v11
	v_add_u32_e32 v2, v35, v2
	v_sub_u32_e32 v3, v26, v2
	v_and_b32_e32 v4, 1, v27
	v_add_u32_e32 v3, 19, v3
	v_cmp_eq_u32_e32 vcc, 1, v4
	v_cndmask_b32_e32 v2, v3, v2, vcc
	v_lshlrev_b32_e32 v2, 1, v2
	ds_write_b16_d16_hi v2, v13
	s_waitcnt lgkmcnt(0)
	s_barrier
	ds_read_u16 v47, v1
	ds_read_u16 v45, v1 offset:512
	ds_read_u16 v43, v1 offset:1024
	;; [unrolled: 1-line block ×19, first 2 shown]
	s_add_u32 s0, s26, s24
	s_addc_u32 s1, s27, 0
	v_mov_b32_e32 v2, s31
	v_add_co_u32_e32 v1, vcc, s30, v11
	s_sub_u32 s0, s28, s0
	v_addc_co_u32_e32 v4, vcc, 0, v2, vcc
	s_subb_u32 s1, s29, s1
	v_mov_b32_e32 v2, s1
	v_add_co_u32_e32 v3, vcc, s0, v10
	v_addc_co_u32_e32 v2, vcc, 0, v2, vcc
	v_add_co_u32_e64 v7, s[0:1], v3, v1
	v_or_b32_e32 v46, 0x100, v0
	v_or_b32_e32 v44, 0x200, v0
	;; [unrolled: 1-line block ×19, first 2 shown]
	s_andn2_b64 vcc, exec, s[34:35]
	v_addc_co_u32_e64 v8, s[0:1], v2, v4, s[0:1]
	s_cbranch_vccnz .LBB563_211
; %bb.130:
	v_cmp_ge_u32_e32 vcc, v0, v10
                                        ; implicit-def: $vgpr2_vgpr3
	s_and_saveexec_b64 s[0:1], vcc
	s_xor_b64 s[0:1], exec, s[0:1]
; %bb.131:
	v_not_b32_e32 v2, v0
	v_ashrrev_i32_e32 v3, 31, v2
	v_add_co_u32_e32 v2, vcc, v7, v2
	v_addc_co_u32_e32 v3, vcc, v8, v3, vcc
; %bb.132:
	s_andn2_saveexec_b64 s[0:1], s[0:1]
; %bb.133:
	v_add_co_u32_e32 v2, vcc, v1, v0
	v_addc_co_u32_e32 v3, vcc, 0, v4, vcc
; %bb.134:
	s_or_b64 exec, exec, s[0:1]
	v_lshlrev_b64 v[2:3], 1, v[2:3]
	v_mov_b32_e32 v11, s5
	v_add_co_u32_e32 v2, vcc, s4, v2
	v_addc_co_u32_e32 v3, vcc, v11, v3, vcc
	v_cmp_ge_u32_e32 vcc, v46, v10
	s_waitcnt lgkmcnt(14)
	global_store_short v[2:3], v47, off
                                        ; implicit-def: $vgpr2_vgpr3
	s_and_saveexec_b64 s[0:1], vcc
	s_xor_b64 s[0:1], exec, s[0:1]
; %bb.135:
	v_xor_b32_e32 v2, 0xfffffeff, v0
	v_ashrrev_i32_e32 v3, 31, v2
	v_add_co_u32_e32 v2, vcc, v7, v2
	v_addc_co_u32_e32 v3, vcc, v8, v3, vcc
; %bb.136:
	s_andn2_saveexec_b64 s[0:1], s[0:1]
; %bb.137:
	v_add_co_u32_e32 v2, vcc, v1, v46
	v_addc_co_u32_e32 v3, vcc, 0, v4, vcc
; %bb.138:
	s_or_b64 exec, exec, s[0:1]
	v_lshlrev_b64 v[2:3], 1, v[2:3]
	v_mov_b32_e32 v11, s5
	v_add_co_u32_e32 v2, vcc, s4, v2
	v_addc_co_u32_e32 v3, vcc, v11, v3, vcc
	v_cmp_ge_u32_e32 vcc, v44, v10
	global_store_short v[2:3], v45, off
                                        ; implicit-def: $vgpr2_vgpr3
	s_and_saveexec_b64 s[0:1], vcc
	s_xor_b64 s[0:1], exec, s[0:1]
; %bb.139:
	v_xor_b32_e32 v2, 0xfffffdff, v0
	v_ashrrev_i32_e32 v3, 31, v2
	v_add_co_u32_e32 v2, vcc, v7, v2
	v_addc_co_u32_e32 v3, vcc, v8, v3, vcc
; %bb.140:
	s_andn2_saveexec_b64 s[0:1], s[0:1]
; %bb.141:
	v_add_co_u32_e32 v2, vcc, v1, v44
	v_addc_co_u32_e32 v3, vcc, 0, v4, vcc
; %bb.142:
	s_or_b64 exec, exec, s[0:1]
	v_lshlrev_b64 v[2:3], 1, v[2:3]
	v_mov_b32_e32 v11, s5
	v_add_co_u32_e32 v2, vcc, s4, v2
	v_addc_co_u32_e32 v3, vcc, v11, v3, vcc
	v_cmp_ge_u32_e32 vcc, v42, v10
	;; [unrolled: 21-line block ×6, first 2 shown]
	s_waitcnt lgkmcnt(13)
	global_store_short v[2:3], v35, off
                                        ; implicit-def: $vgpr2_vgpr3
	s_and_saveexec_b64 s[0:1], vcc
	s_xor_b64 s[0:1], exec, s[0:1]
; %bb.159:
	v_xor_b32_e32 v2, 0xfffff8ff, v0
	v_ashrrev_i32_e32 v3, 31, v2
	v_add_co_u32_e32 v2, vcc, v7, v2
	v_addc_co_u32_e32 v3, vcc, v8, v3, vcc
; %bb.160:
	s_andn2_saveexec_b64 s[0:1], s[0:1]
; %bb.161:
	v_add_co_u32_e32 v2, vcc, v1, v34
	v_addc_co_u32_e32 v3, vcc, 0, v4, vcc
; %bb.162:
	s_or_b64 exec, exec, s[0:1]
	v_lshlrev_b64 v[2:3], 1, v[2:3]
	v_mov_b32_e32 v11, s5
	v_add_co_u32_e32 v2, vcc, s4, v2
	v_addc_co_u32_e32 v3, vcc, v11, v3, vcc
	v_cmp_ge_u32_e32 vcc, v32, v10
	s_waitcnt lgkmcnt(12)
	global_store_short v[2:3], v33, off
                                        ; implicit-def: $vgpr2_vgpr3
	s_and_saveexec_b64 s[0:1], vcc
	s_xor_b64 s[0:1], exec, s[0:1]
; %bb.163:
	v_xor_b32_e32 v2, 0xfffff7ff, v0
	v_ashrrev_i32_e32 v3, 31, v2
	v_add_co_u32_e32 v2, vcc, v7, v2
	v_addc_co_u32_e32 v3, vcc, v8, v3, vcc
; %bb.164:
	s_andn2_saveexec_b64 s[0:1], s[0:1]
; %bb.165:
	v_add_co_u32_e32 v2, vcc, v1, v32
	v_addc_co_u32_e32 v3, vcc, 0, v4, vcc
; %bb.166:
	s_or_b64 exec, exec, s[0:1]
	v_lshlrev_b64 v[2:3], 1, v[2:3]
	v_mov_b32_e32 v11, s5
	v_add_co_u32_e32 v2, vcc, s4, v2
	v_addc_co_u32_e32 v3, vcc, v11, v3, vcc
	v_cmp_ge_u32_e32 vcc, v30, v10
	;; [unrolled: 22-line block ×12, first 2 shown]
	s_waitcnt lgkmcnt(1)
	global_store_short v[2:3], v9, off
                                        ; implicit-def: $vgpr2_vgpr3
	s_and_saveexec_b64 s[0:1], vcc
	s_xor_b64 s[0:1], exec, s[0:1]
; %bb.207:
	v_xor_b32_e32 v2, 0xffffecff, v0
	v_ashrrev_i32_e32 v3, 31, v2
	v_add_co_u32_e32 v2, vcc, v7, v2
	v_addc_co_u32_e32 v3, vcc, v8, v3, vcc
; %bb.208:
	s_andn2_saveexec_b64 s[0:1], s[0:1]
; %bb.209:
	v_add_co_u32_e32 v2, vcc, v1, v6
	v_addc_co_u32_e32 v3, vcc, 0, v4, vcc
; %bb.210:
	s_or_b64 exec, exec, s[0:1]
	s_mov_b64 s[0:1], -1
	s_branch .LBB563_333
.LBB563_211:
	s_mov_b64 s[0:1], 0
                                        ; implicit-def: $vgpr2_vgpr3
	s_cbranch_execz .LBB563_333
; %bb.212:
	v_cmp_gt_u32_e32 vcc, s33, v0
	s_and_saveexec_b64 s[2:3], vcc
	s_cbranch_execz .LBB563_268
; %bb.213:
	v_cmp_ge_u32_e32 vcc, v0, v10
                                        ; implicit-def: $vgpr2_vgpr3
	s_and_saveexec_b64 s[6:7], vcc
	s_xor_b64 s[6:7], exec, s[6:7]
; %bb.214:
	v_not_b32_e32 v2, v0
	v_ashrrev_i32_e32 v3, 31, v2
	v_add_co_u32_e32 v2, vcc, v7, v2
	v_addc_co_u32_e32 v3, vcc, v8, v3, vcc
; %bb.215:
	s_andn2_saveexec_b64 s[6:7], s[6:7]
; %bb.216:
	v_add_co_u32_e32 v2, vcc, v1, v0
	v_addc_co_u32_e32 v3, vcc, 0, v4, vcc
; %bb.217:
	s_or_b64 exec, exec, s[6:7]
	v_lshlrev_b64 v[2:3], 1, v[2:3]
	v_mov_b32_e32 v11, s5
	v_add_co_u32_e32 v2, vcc, s4, v2
	v_addc_co_u32_e32 v3, vcc, v11, v3, vcc
	s_waitcnt lgkmcnt(14)
	global_store_short v[2:3], v47, off
	s_or_b64 exec, exec, s[2:3]
	v_cmp_gt_u32_e32 vcc, s33, v46
	s_and_saveexec_b64 s[2:3], vcc
	s_cbranch_execnz .LBB563_269
.LBB563_218:
	s_or_b64 exec, exec, s[2:3]
	v_cmp_gt_u32_e32 vcc, s33, v44
	s_and_saveexec_b64 s[2:3], vcc
	s_cbranch_execz .LBB563_274
.LBB563_219:
	v_cmp_ge_u32_e32 vcc, v44, v10
                                        ; implicit-def: $vgpr2_vgpr3
	s_and_saveexec_b64 s[6:7], vcc
	s_xor_b64 s[6:7], exec, s[6:7]
; %bb.220:
	v_xor_b32_e32 v2, 0xfffffdff, v0
	v_ashrrev_i32_e32 v3, 31, v2
	v_add_co_u32_e32 v2, vcc, v7, v2
	v_addc_co_u32_e32 v3, vcc, v8, v3, vcc
                                        ; implicit-def: $vgpr44
; %bb.221:
	s_andn2_saveexec_b64 s[6:7], s[6:7]
; %bb.222:
	v_add_co_u32_e32 v2, vcc, v1, v44
	v_addc_co_u32_e32 v3, vcc, 0, v4, vcc
; %bb.223:
	s_or_b64 exec, exec, s[6:7]
	v_lshlrev_b64 v[2:3], 1, v[2:3]
	v_mov_b32_e32 v11, s5
	v_add_co_u32_e32 v2, vcc, s4, v2
	v_addc_co_u32_e32 v3, vcc, v11, v3, vcc
	s_waitcnt lgkmcnt(14)
	global_store_short v[2:3], v43, off
	s_or_b64 exec, exec, s[2:3]
	v_cmp_gt_u32_e32 vcc, s33, v42
	s_and_saveexec_b64 s[2:3], vcc
	s_cbranch_execnz .LBB563_275
.LBB563_224:
	s_or_b64 exec, exec, s[2:3]
	v_cmp_gt_u32_e32 vcc, s33, v40
	s_and_saveexec_b64 s[2:3], vcc
	s_cbranch_execz .LBB563_280
.LBB563_225:
	v_cmp_ge_u32_e32 vcc, v40, v10
                                        ; implicit-def: $vgpr2_vgpr3
	s_and_saveexec_b64 s[6:7], vcc
	s_xor_b64 s[6:7], exec, s[6:7]
; %bb.226:
	v_xor_b32_e32 v2, 0xfffffbff, v0
	v_ashrrev_i32_e32 v3, 31, v2
	v_add_co_u32_e32 v2, vcc, v7, v2
	v_addc_co_u32_e32 v3, vcc, v8, v3, vcc
                                        ; implicit-def: $vgpr40
; %bb.227:
	s_andn2_saveexec_b64 s[6:7], s[6:7]
; %bb.228:
	v_add_co_u32_e32 v2, vcc, v1, v40
	v_addc_co_u32_e32 v3, vcc, 0, v4, vcc
; %bb.229:
	s_or_b64 exec, exec, s[6:7]
	v_lshlrev_b64 v[2:3], 1, v[2:3]
	v_mov_b32_e32 v11, s5
	v_add_co_u32_e32 v2, vcc, s4, v2
	v_addc_co_u32_e32 v3, vcc, v11, v3, vcc
	s_waitcnt lgkmcnt(14)
	global_store_short v[2:3], v39, off
	s_or_b64 exec, exec, s[2:3]
	v_cmp_gt_u32_e32 vcc, s33, v38
	s_and_saveexec_b64 s[2:3], vcc
	s_cbranch_execnz .LBB563_281
.LBB563_230:
	s_or_b64 exec, exec, s[2:3]
	v_cmp_gt_u32_e32 vcc, s33, v36
	s_and_saveexec_b64 s[2:3], vcc
	s_cbranch_execz .LBB563_286
.LBB563_231:
	v_cmp_ge_u32_e32 vcc, v36, v10
                                        ; implicit-def: $vgpr2_vgpr3
	s_and_saveexec_b64 s[6:7], vcc
	s_xor_b64 s[6:7], exec, s[6:7]
; %bb.232:
	v_xor_b32_e32 v2, 0xfffff9ff, v0
	v_ashrrev_i32_e32 v3, 31, v2
	v_add_co_u32_e32 v2, vcc, v7, v2
	v_addc_co_u32_e32 v3, vcc, v8, v3, vcc
                                        ; implicit-def: $vgpr36
; %bb.233:
	s_andn2_saveexec_b64 s[6:7], s[6:7]
; %bb.234:
	v_add_co_u32_e32 v2, vcc, v1, v36
	v_addc_co_u32_e32 v3, vcc, 0, v4, vcc
; %bb.235:
	s_or_b64 exec, exec, s[6:7]
	v_lshlrev_b64 v[2:3], 1, v[2:3]
	v_mov_b32_e32 v11, s5
	v_add_co_u32_e32 v2, vcc, s4, v2
	v_addc_co_u32_e32 v3, vcc, v11, v3, vcc
	s_waitcnt lgkmcnt(13)
	global_store_short v[2:3], v35, off
	s_or_b64 exec, exec, s[2:3]
	v_cmp_gt_u32_e32 vcc, s33, v34
	s_and_saveexec_b64 s[2:3], vcc
	s_cbranch_execnz .LBB563_287
.LBB563_236:
	s_or_b64 exec, exec, s[2:3]
	v_cmp_gt_u32_e32 vcc, s33, v32
	s_and_saveexec_b64 s[2:3], vcc
	s_cbranch_execz .LBB563_292
.LBB563_237:
	v_cmp_ge_u32_e32 vcc, v32, v10
                                        ; implicit-def: $vgpr2_vgpr3
	s_and_saveexec_b64 s[6:7], vcc
	s_xor_b64 s[6:7], exec, s[6:7]
; %bb.238:
	v_xor_b32_e32 v2, 0xfffff7ff, v0
	v_ashrrev_i32_e32 v3, 31, v2
	v_add_co_u32_e32 v2, vcc, v7, v2
	v_addc_co_u32_e32 v3, vcc, v8, v3, vcc
                                        ; implicit-def: $vgpr32
; %bb.239:
	s_andn2_saveexec_b64 s[6:7], s[6:7]
; %bb.240:
	v_add_co_u32_e32 v2, vcc, v1, v32
	v_addc_co_u32_e32 v3, vcc, 0, v4, vcc
; %bb.241:
	s_or_b64 exec, exec, s[6:7]
	v_lshlrev_b64 v[2:3], 1, v[2:3]
	v_mov_b32_e32 v11, s5
	v_add_co_u32_e32 v2, vcc, s4, v2
	v_addc_co_u32_e32 v3, vcc, v11, v3, vcc
	s_waitcnt lgkmcnt(11)
	global_store_short v[2:3], v31, off
	s_or_b64 exec, exec, s[2:3]
	v_cmp_gt_u32_e32 vcc, s33, v30
	s_and_saveexec_b64 s[2:3], vcc
	s_cbranch_execnz .LBB563_293
.LBB563_242:
	s_or_b64 exec, exec, s[2:3]
	v_cmp_gt_u32_e32 vcc, s33, v28
	s_and_saveexec_b64 s[2:3], vcc
	s_cbranch_execz .LBB563_298
.LBB563_243:
	v_cmp_ge_u32_e32 vcc, v28, v10
                                        ; implicit-def: $vgpr2_vgpr3
	s_and_saveexec_b64 s[6:7], vcc
	s_xor_b64 s[6:7], exec, s[6:7]
; %bb.244:
	v_xor_b32_e32 v2, 0xfffff5ff, v0
	v_ashrrev_i32_e32 v3, 31, v2
	v_add_co_u32_e32 v2, vcc, v7, v2
	v_addc_co_u32_e32 v3, vcc, v8, v3, vcc
                                        ; implicit-def: $vgpr28
; %bb.245:
	s_andn2_saveexec_b64 s[6:7], s[6:7]
; %bb.246:
	v_add_co_u32_e32 v2, vcc, v1, v28
	v_addc_co_u32_e32 v3, vcc, 0, v4, vcc
; %bb.247:
	s_or_b64 exec, exec, s[6:7]
	v_lshlrev_b64 v[2:3], 1, v[2:3]
	v_mov_b32_e32 v11, s5
	v_add_co_u32_e32 v2, vcc, s4, v2
	v_addc_co_u32_e32 v3, vcc, v11, v3, vcc
	s_waitcnt lgkmcnt(9)
	global_store_short v[2:3], v27, off
	s_or_b64 exec, exec, s[2:3]
	v_cmp_gt_u32_e32 vcc, s33, v26
	s_and_saveexec_b64 s[2:3], vcc
	s_cbranch_execnz .LBB563_299
.LBB563_248:
	s_or_b64 exec, exec, s[2:3]
	v_cmp_gt_u32_e32 vcc, s33, v24
	s_and_saveexec_b64 s[2:3], vcc
	s_cbranch_execz .LBB563_304
.LBB563_249:
	v_cmp_ge_u32_e32 vcc, v24, v10
                                        ; implicit-def: $vgpr2_vgpr3
	s_and_saveexec_b64 s[6:7], vcc
	s_xor_b64 s[6:7], exec, s[6:7]
; %bb.250:
	v_xor_b32_e32 v2, 0xfffff3ff, v0
	v_ashrrev_i32_e32 v3, 31, v2
	v_add_co_u32_e32 v2, vcc, v7, v2
	v_addc_co_u32_e32 v3, vcc, v8, v3, vcc
                                        ; implicit-def: $vgpr24
; %bb.251:
	s_andn2_saveexec_b64 s[6:7], s[6:7]
; %bb.252:
	v_add_co_u32_e32 v2, vcc, v1, v24
	v_addc_co_u32_e32 v3, vcc, 0, v4, vcc
; %bb.253:
	s_or_b64 exec, exec, s[6:7]
	v_lshlrev_b64 v[2:3], 1, v[2:3]
	v_mov_b32_e32 v11, s5
	v_add_co_u32_e32 v2, vcc, s4, v2
	v_addc_co_u32_e32 v3, vcc, v11, v3, vcc
	s_waitcnt lgkmcnt(7)
	global_store_short v[2:3], v23, off
	s_or_b64 exec, exec, s[2:3]
	v_cmp_gt_u32_e32 vcc, s33, v22
	s_and_saveexec_b64 s[2:3], vcc
	s_cbranch_execnz .LBB563_305
.LBB563_254:
	s_or_b64 exec, exec, s[2:3]
	v_cmp_gt_u32_e32 vcc, s33, v20
	s_and_saveexec_b64 s[2:3], vcc
	s_cbranch_execz .LBB563_310
.LBB563_255:
	v_cmp_ge_u32_e32 vcc, v20, v10
                                        ; implicit-def: $vgpr2_vgpr3
	s_and_saveexec_b64 s[6:7], vcc
	s_xor_b64 s[6:7], exec, s[6:7]
; %bb.256:
	v_xor_b32_e32 v2, 0xfffff1ff, v0
	v_ashrrev_i32_e32 v3, 31, v2
	v_add_co_u32_e32 v2, vcc, v7, v2
	v_addc_co_u32_e32 v3, vcc, v8, v3, vcc
                                        ; implicit-def: $vgpr20
; %bb.257:
	s_andn2_saveexec_b64 s[6:7], s[6:7]
; %bb.258:
	v_add_co_u32_e32 v2, vcc, v1, v20
	v_addc_co_u32_e32 v3, vcc, 0, v4, vcc
; %bb.259:
	s_or_b64 exec, exec, s[6:7]
	v_lshlrev_b64 v[2:3], 1, v[2:3]
	v_mov_b32_e32 v11, s5
	v_add_co_u32_e32 v2, vcc, s4, v2
	v_addc_co_u32_e32 v3, vcc, v11, v3, vcc
	s_waitcnt lgkmcnt(5)
	global_store_short v[2:3], v19, off
	s_or_b64 exec, exec, s[2:3]
	v_cmp_gt_u32_e32 vcc, s33, v18
	s_and_saveexec_b64 s[2:3], vcc
	s_cbranch_execnz .LBB563_311
.LBB563_260:
	s_or_b64 exec, exec, s[2:3]
	v_cmp_gt_u32_e32 vcc, s33, v16
	s_and_saveexec_b64 s[2:3], vcc
	s_cbranch_execz .LBB563_316
.LBB563_261:
	v_cmp_ge_u32_e32 vcc, v16, v10
                                        ; implicit-def: $vgpr2_vgpr3
	s_and_saveexec_b64 s[6:7], vcc
	s_xor_b64 s[6:7], exec, s[6:7]
; %bb.262:
	v_xor_b32_e32 v2, 0xffffefff, v0
	v_ashrrev_i32_e32 v3, 31, v2
	v_add_co_u32_e32 v2, vcc, v7, v2
	v_addc_co_u32_e32 v3, vcc, v8, v3, vcc
                                        ; implicit-def: $vgpr16
; %bb.263:
	s_andn2_saveexec_b64 s[6:7], s[6:7]
; %bb.264:
	v_add_co_u32_e32 v2, vcc, v1, v16
	v_addc_co_u32_e32 v3, vcc, 0, v4, vcc
; %bb.265:
	s_or_b64 exec, exec, s[6:7]
	v_lshlrev_b64 v[2:3], 1, v[2:3]
	v_mov_b32_e32 v11, s5
	v_add_co_u32_e32 v2, vcc, s4, v2
	v_addc_co_u32_e32 v3, vcc, v11, v3, vcc
	s_waitcnt lgkmcnt(3)
	global_store_short v[2:3], v15, off
	s_or_b64 exec, exec, s[2:3]
	v_cmp_gt_u32_e32 vcc, s33, v14
	s_and_saveexec_b64 s[2:3], vcc
	s_cbranch_execnz .LBB563_317
.LBB563_266:
	s_or_b64 exec, exec, s[2:3]
	v_cmp_gt_u32_e32 vcc, s33, v12
	s_and_saveexec_b64 s[2:3], vcc
	s_cbranch_execnz .LBB563_322
.LBB563_267:
	s_or_b64 exec, exec, s[2:3]
	v_cmp_gt_u32_e32 vcc, s33, v6
                                        ; implicit-def: $vgpr2_vgpr3
	s_and_saveexec_b64 s[2:3], vcc
	s_cbranch_execz .LBB563_332
	s_branch .LBB563_327
.LBB563_268:
	s_or_b64 exec, exec, s[2:3]
	v_cmp_gt_u32_e32 vcc, s33, v46
	s_and_saveexec_b64 s[2:3], vcc
	s_cbranch_execz .LBB563_218
.LBB563_269:
	v_cmp_ge_u32_e32 vcc, v46, v10
                                        ; implicit-def: $vgpr2_vgpr3
	s_and_saveexec_b64 s[6:7], vcc
	s_xor_b64 s[6:7], exec, s[6:7]
; %bb.270:
	v_xor_b32_e32 v2, 0xfffffeff, v0
	v_ashrrev_i32_e32 v3, 31, v2
	v_add_co_u32_e32 v2, vcc, v7, v2
	v_addc_co_u32_e32 v3, vcc, v8, v3, vcc
                                        ; implicit-def: $vgpr46
; %bb.271:
	s_andn2_saveexec_b64 s[6:7], s[6:7]
; %bb.272:
	v_add_co_u32_e32 v2, vcc, v1, v46
	v_addc_co_u32_e32 v3, vcc, 0, v4, vcc
; %bb.273:
	s_or_b64 exec, exec, s[6:7]
	v_lshlrev_b64 v[2:3], 1, v[2:3]
	v_mov_b32_e32 v11, s5
	v_add_co_u32_e32 v2, vcc, s4, v2
	v_addc_co_u32_e32 v3, vcc, v11, v3, vcc
	s_waitcnt lgkmcnt(14)
	global_store_short v[2:3], v45, off
	s_or_b64 exec, exec, s[2:3]
	v_cmp_gt_u32_e32 vcc, s33, v44
	s_and_saveexec_b64 s[2:3], vcc
	s_cbranch_execnz .LBB563_219
.LBB563_274:
	s_or_b64 exec, exec, s[2:3]
	v_cmp_gt_u32_e32 vcc, s33, v42
	s_and_saveexec_b64 s[2:3], vcc
	s_cbranch_execz .LBB563_224
.LBB563_275:
	v_cmp_ge_u32_e32 vcc, v42, v10
                                        ; implicit-def: $vgpr2_vgpr3
	s_and_saveexec_b64 s[6:7], vcc
	s_xor_b64 s[6:7], exec, s[6:7]
; %bb.276:
	v_xor_b32_e32 v2, 0xfffffcff, v0
	v_ashrrev_i32_e32 v3, 31, v2
	v_add_co_u32_e32 v2, vcc, v7, v2
	v_addc_co_u32_e32 v3, vcc, v8, v3, vcc
                                        ; implicit-def: $vgpr42
; %bb.277:
	s_andn2_saveexec_b64 s[6:7], s[6:7]
; %bb.278:
	v_add_co_u32_e32 v2, vcc, v1, v42
	v_addc_co_u32_e32 v3, vcc, 0, v4, vcc
; %bb.279:
	s_or_b64 exec, exec, s[6:7]
	v_lshlrev_b64 v[2:3], 1, v[2:3]
	v_mov_b32_e32 v11, s5
	v_add_co_u32_e32 v2, vcc, s4, v2
	v_addc_co_u32_e32 v3, vcc, v11, v3, vcc
	s_waitcnt lgkmcnt(14)
	global_store_short v[2:3], v41, off
	s_or_b64 exec, exec, s[2:3]
	v_cmp_gt_u32_e32 vcc, s33, v40
	s_and_saveexec_b64 s[2:3], vcc
	s_cbranch_execnz .LBB563_225
.LBB563_280:
	s_or_b64 exec, exec, s[2:3]
	v_cmp_gt_u32_e32 vcc, s33, v38
	s_and_saveexec_b64 s[2:3], vcc
	s_cbranch_execz .LBB563_230
.LBB563_281:
	v_cmp_ge_u32_e32 vcc, v38, v10
                                        ; implicit-def: $vgpr2_vgpr3
	s_and_saveexec_b64 s[6:7], vcc
	s_xor_b64 s[6:7], exec, s[6:7]
; %bb.282:
	v_xor_b32_e32 v2, 0xfffffaff, v0
	v_ashrrev_i32_e32 v3, 31, v2
	v_add_co_u32_e32 v2, vcc, v7, v2
	v_addc_co_u32_e32 v3, vcc, v8, v3, vcc
                                        ; implicit-def: $vgpr38
; %bb.283:
	s_andn2_saveexec_b64 s[6:7], s[6:7]
; %bb.284:
	v_add_co_u32_e32 v2, vcc, v1, v38
	v_addc_co_u32_e32 v3, vcc, 0, v4, vcc
; %bb.285:
	s_or_b64 exec, exec, s[6:7]
	v_lshlrev_b64 v[2:3], 1, v[2:3]
	v_mov_b32_e32 v11, s5
	v_add_co_u32_e32 v2, vcc, s4, v2
	v_addc_co_u32_e32 v3, vcc, v11, v3, vcc
	s_waitcnt lgkmcnt(14)
	global_store_short v[2:3], v37, off
	s_or_b64 exec, exec, s[2:3]
	v_cmp_gt_u32_e32 vcc, s33, v36
	s_and_saveexec_b64 s[2:3], vcc
	s_cbranch_execnz .LBB563_231
.LBB563_286:
	s_or_b64 exec, exec, s[2:3]
	v_cmp_gt_u32_e32 vcc, s33, v34
	s_and_saveexec_b64 s[2:3], vcc
	s_cbranch_execz .LBB563_236
.LBB563_287:
	v_cmp_ge_u32_e32 vcc, v34, v10
                                        ; implicit-def: $vgpr2_vgpr3
	s_and_saveexec_b64 s[6:7], vcc
	s_xor_b64 s[6:7], exec, s[6:7]
; %bb.288:
	v_xor_b32_e32 v2, 0xfffff8ff, v0
	v_ashrrev_i32_e32 v3, 31, v2
	v_add_co_u32_e32 v2, vcc, v7, v2
	v_addc_co_u32_e32 v3, vcc, v8, v3, vcc
                                        ; implicit-def: $vgpr34
; %bb.289:
	s_andn2_saveexec_b64 s[6:7], s[6:7]
; %bb.290:
	v_add_co_u32_e32 v2, vcc, v1, v34
	v_addc_co_u32_e32 v3, vcc, 0, v4, vcc
; %bb.291:
	s_or_b64 exec, exec, s[6:7]
	v_lshlrev_b64 v[2:3], 1, v[2:3]
	v_mov_b32_e32 v11, s5
	v_add_co_u32_e32 v2, vcc, s4, v2
	v_addc_co_u32_e32 v3, vcc, v11, v3, vcc
	s_waitcnt lgkmcnt(12)
	global_store_short v[2:3], v33, off
	s_or_b64 exec, exec, s[2:3]
	v_cmp_gt_u32_e32 vcc, s33, v32
	s_and_saveexec_b64 s[2:3], vcc
	s_cbranch_execnz .LBB563_237
.LBB563_292:
	s_or_b64 exec, exec, s[2:3]
	v_cmp_gt_u32_e32 vcc, s33, v30
	s_and_saveexec_b64 s[2:3], vcc
	s_cbranch_execz .LBB563_242
.LBB563_293:
	v_cmp_ge_u32_e32 vcc, v30, v10
                                        ; implicit-def: $vgpr2_vgpr3
	s_and_saveexec_b64 s[6:7], vcc
	s_xor_b64 s[6:7], exec, s[6:7]
; %bb.294:
	v_xor_b32_e32 v2, 0xfffff6ff, v0
	v_ashrrev_i32_e32 v3, 31, v2
	v_add_co_u32_e32 v2, vcc, v7, v2
	v_addc_co_u32_e32 v3, vcc, v8, v3, vcc
                                        ; implicit-def: $vgpr30
; %bb.295:
	s_andn2_saveexec_b64 s[6:7], s[6:7]
; %bb.296:
	v_add_co_u32_e32 v2, vcc, v1, v30
	v_addc_co_u32_e32 v3, vcc, 0, v4, vcc
; %bb.297:
	s_or_b64 exec, exec, s[6:7]
	v_lshlrev_b64 v[2:3], 1, v[2:3]
	v_mov_b32_e32 v11, s5
	v_add_co_u32_e32 v2, vcc, s4, v2
	v_addc_co_u32_e32 v3, vcc, v11, v3, vcc
	s_waitcnt lgkmcnt(10)
	global_store_short v[2:3], v29, off
	s_or_b64 exec, exec, s[2:3]
	v_cmp_gt_u32_e32 vcc, s33, v28
	s_and_saveexec_b64 s[2:3], vcc
	s_cbranch_execnz .LBB563_243
.LBB563_298:
	s_or_b64 exec, exec, s[2:3]
	v_cmp_gt_u32_e32 vcc, s33, v26
	s_and_saveexec_b64 s[2:3], vcc
	s_cbranch_execz .LBB563_248
.LBB563_299:
	v_cmp_ge_u32_e32 vcc, v26, v10
                                        ; implicit-def: $vgpr2_vgpr3
	s_and_saveexec_b64 s[6:7], vcc
	s_xor_b64 s[6:7], exec, s[6:7]
; %bb.300:
	v_xor_b32_e32 v2, 0xfffff4ff, v0
	v_ashrrev_i32_e32 v3, 31, v2
	v_add_co_u32_e32 v2, vcc, v7, v2
	v_addc_co_u32_e32 v3, vcc, v8, v3, vcc
                                        ; implicit-def: $vgpr26
; %bb.301:
	s_andn2_saveexec_b64 s[6:7], s[6:7]
; %bb.302:
	v_add_co_u32_e32 v2, vcc, v1, v26
	v_addc_co_u32_e32 v3, vcc, 0, v4, vcc
; %bb.303:
	s_or_b64 exec, exec, s[6:7]
	v_lshlrev_b64 v[2:3], 1, v[2:3]
	v_mov_b32_e32 v11, s5
	v_add_co_u32_e32 v2, vcc, s4, v2
	v_addc_co_u32_e32 v3, vcc, v11, v3, vcc
	s_waitcnt lgkmcnt(8)
	global_store_short v[2:3], v25, off
	s_or_b64 exec, exec, s[2:3]
	v_cmp_gt_u32_e32 vcc, s33, v24
	s_and_saveexec_b64 s[2:3], vcc
	s_cbranch_execnz .LBB563_249
.LBB563_304:
	s_or_b64 exec, exec, s[2:3]
	v_cmp_gt_u32_e32 vcc, s33, v22
	s_and_saveexec_b64 s[2:3], vcc
	s_cbranch_execz .LBB563_254
.LBB563_305:
	v_cmp_ge_u32_e32 vcc, v22, v10
                                        ; implicit-def: $vgpr2_vgpr3
	s_and_saveexec_b64 s[6:7], vcc
	s_xor_b64 s[6:7], exec, s[6:7]
; %bb.306:
	v_xor_b32_e32 v2, 0xfffff2ff, v0
	v_ashrrev_i32_e32 v3, 31, v2
	v_add_co_u32_e32 v2, vcc, v7, v2
	v_addc_co_u32_e32 v3, vcc, v8, v3, vcc
                                        ; implicit-def: $vgpr22
; %bb.307:
	s_andn2_saveexec_b64 s[6:7], s[6:7]
; %bb.308:
	v_add_co_u32_e32 v2, vcc, v1, v22
	v_addc_co_u32_e32 v3, vcc, 0, v4, vcc
; %bb.309:
	s_or_b64 exec, exec, s[6:7]
	v_lshlrev_b64 v[2:3], 1, v[2:3]
	v_mov_b32_e32 v11, s5
	v_add_co_u32_e32 v2, vcc, s4, v2
	v_addc_co_u32_e32 v3, vcc, v11, v3, vcc
	s_waitcnt lgkmcnt(6)
	global_store_short v[2:3], v21, off
	s_or_b64 exec, exec, s[2:3]
	v_cmp_gt_u32_e32 vcc, s33, v20
	s_and_saveexec_b64 s[2:3], vcc
	s_cbranch_execnz .LBB563_255
.LBB563_310:
	s_or_b64 exec, exec, s[2:3]
	v_cmp_gt_u32_e32 vcc, s33, v18
	s_and_saveexec_b64 s[2:3], vcc
	s_cbranch_execz .LBB563_260
.LBB563_311:
	v_cmp_ge_u32_e32 vcc, v18, v10
                                        ; implicit-def: $vgpr2_vgpr3
	s_and_saveexec_b64 s[6:7], vcc
	s_xor_b64 s[6:7], exec, s[6:7]
; %bb.312:
	v_xor_b32_e32 v2, 0xfffff0ff, v0
	v_ashrrev_i32_e32 v3, 31, v2
	v_add_co_u32_e32 v2, vcc, v7, v2
	v_addc_co_u32_e32 v3, vcc, v8, v3, vcc
                                        ; implicit-def: $vgpr18
; %bb.313:
	s_andn2_saveexec_b64 s[6:7], s[6:7]
; %bb.314:
	v_add_co_u32_e32 v2, vcc, v1, v18
	v_addc_co_u32_e32 v3, vcc, 0, v4, vcc
; %bb.315:
	s_or_b64 exec, exec, s[6:7]
	v_lshlrev_b64 v[2:3], 1, v[2:3]
	v_mov_b32_e32 v11, s5
	v_add_co_u32_e32 v2, vcc, s4, v2
	v_addc_co_u32_e32 v3, vcc, v11, v3, vcc
	s_waitcnt lgkmcnt(4)
	global_store_short v[2:3], v17, off
	s_or_b64 exec, exec, s[2:3]
	v_cmp_gt_u32_e32 vcc, s33, v16
	s_and_saveexec_b64 s[2:3], vcc
	s_cbranch_execnz .LBB563_261
.LBB563_316:
	s_or_b64 exec, exec, s[2:3]
	v_cmp_gt_u32_e32 vcc, s33, v14
	s_and_saveexec_b64 s[2:3], vcc
	s_cbranch_execz .LBB563_266
.LBB563_317:
	v_cmp_ge_u32_e32 vcc, v14, v10
                                        ; implicit-def: $vgpr2_vgpr3
	s_and_saveexec_b64 s[6:7], vcc
	s_xor_b64 s[6:7], exec, s[6:7]
; %bb.318:
	v_xor_b32_e32 v2, 0xffffeeff, v0
	v_ashrrev_i32_e32 v3, 31, v2
	v_add_co_u32_e32 v2, vcc, v7, v2
	v_addc_co_u32_e32 v3, vcc, v8, v3, vcc
                                        ; implicit-def: $vgpr14
; %bb.319:
	s_andn2_saveexec_b64 s[6:7], s[6:7]
; %bb.320:
	v_add_co_u32_e32 v2, vcc, v1, v14
	v_addc_co_u32_e32 v3, vcc, 0, v4, vcc
; %bb.321:
	s_or_b64 exec, exec, s[6:7]
	v_lshlrev_b64 v[2:3], 1, v[2:3]
	v_mov_b32_e32 v11, s5
	v_add_co_u32_e32 v2, vcc, s4, v2
	v_addc_co_u32_e32 v3, vcc, v11, v3, vcc
	s_waitcnt lgkmcnt(2)
	global_store_short v[2:3], v13, off
	s_or_b64 exec, exec, s[2:3]
	v_cmp_gt_u32_e32 vcc, s33, v12
	s_and_saveexec_b64 s[2:3], vcc
	s_cbranch_execz .LBB563_267
.LBB563_322:
	v_cmp_ge_u32_e32 vcc, v12, v10
                                        ; implicit-def: $vgpr2_vgpr3
	s_and_saveexec_b64 s[6:7], vcc
	s_xor_b64 s[6:7], exec, s[6:7]
; %bb.323:
	v_xor_b32_e32 v2, 0xffffedff, v0
	v_ashrrev_i32_e32 v3, 31, v2
	v_add_co_u32_e32 v2, vcc, v7, v2
	v_addc_co_u32_e32 v3, vcc, v8, v3, vcc
                                        ; implicit-def: $vgpr12
; %bb.324:
	s_andn2_saveexec_b64 s[6:7], s[6:7]
; %bb.325:
	v_add_co_u32_e32 v2, vcc, v1, v12
	v_addc_co_u32_e32 v3, vcc, 0, v4, vcc
; %bb.326:
	s_or_b64 exec, exec, s[6:7]
	v_lshlrev_b64 v[2:3], 1, v[2:3]
	v_mov_b32_e32 v11, s5
	v_add_co_u32_e32 v2, vcc, s4, v2
	v_addc_co_u32_e32 v3, vcc, v11, v3, vcc
	s_waitcnt lgkmcnt(1)
	global_store_short v[2:3], v9, off
	s_or_b64 exec, exec, s[2:3]
	v_cmp_gt_u32_e32 vcc, s33, v6
                                        ; implicit-def: $vgpr2_vgpr3
	s_and_saveexec_b64 s[2:3], vcc
	s_cbranch_execz .LBB563_332
.LBB563_327:
	v_cmp_ge_u32_e32 vcc, v6, v10
                                        ; implicit-def: $vgpr2_vgpr3
	s_and_saveexec_b64 s[6:7], vcc
	s_xor_b64 s[6:7], exec, s[6:7]
; %bb.328:
	v_xor_b32_e32 v2, 0xffffecff, v0
	v_ashrrev_i32_e32 v3, 31, v2
	v_add_co_u32_e32 v2, vcc, v7, v2
	v_addc_co_u32_e32 v3, vcc, v8, v3, vcc
                                        ; implicit-def: $vgpr6
; %bb.329:
	s_andn2_saveexec_b64 s[6:7], s[6:7]
; %bb.330:
	v_add_co_u32_e32 v2, vcc, v1, v6
	v_addc_co_u32_e32 v3, vcc, 0, v4, vcc
; %bb.331:
	s_or_b64 exec, exec, s[6:7]
	s_or_b64 s[0:1], s[0:1], exec
.LBB563_332:
	s_or_b64 exec, exec, s[2:3]
.LBB563_333:
	s_and_saveexec_b64 s[2:3], s[0:1]
	s_cbranch_execz .LBB563_335
; %bb.334:
	v_lshlrev_b64 v[2:3], 1, v[2:3]
	v_mov_b32_e32 v6, s5
	v_add_co_u32_e32 v2, vcc, s4, v2
	v_addc_co_u32_e32 v3, vcc, v6, v3, vcc
	s_waitcnt lgkmcnt(0)
	global_store_short v[2:3], v5, off
.LBB563_335:
	s_or_b64 exec, exec, s[2:3]
	v_cmp_eq_u32_e32 vcc, 0, v0
	s_and_b64 s[0:1], vcc, s[22:23]
	s_and_saveexec_b64 s[2:3], s[0:1]
	s_cbranch_execz .LBB563_337
; %bb.336:
	v_add_co_u32_e32 v0, vcc, v1, v10
	v_mov_b32_e32 v2, 0
	v_addc_co_u32_e32 v1, vcc, 0, v4, vcc
	global_store_dwordx2 v2, v[0:1], s[20:21]
.LBB563_337:
	s_endpgm
	.section	.rodata,"a",@progbits
	.p2align	6, 0x0
	.amdhsa_kernel _ZN7rocprim17ROCPRIM_400000_NS6detail17trampoline_kernelINS0_14default_configENS1_25partition_config_selectorILNS1_17partition_subalgoE2EsNS0_10empty_typeEbEEZZNS1_14partition_implILS5_2ELb0ES3_jN6thrust23THRUST_200600_302600_NS6detail15normal_iteratorINSA_7pointerIsNSA_11hip_rocprim3tagENSA_11use_defaultESG_EEEEPS6_NSA_18transform_iteratorINSA_8identityIsEENSC_INSA_10device_ptrIsEEEESG_SG_EENS0_5tupleIJPsSJ_EEENSR_IJSJ_SJ_EEES6_PlJS6_EEE10hipError_tPvRmT3_T4_T5_T6_T7_T9_mT8_P12ihipStream_tbDpT10_ENKUlT_T0_E_clISt17integral_constantIbLb1EES1E_IbLb0EEEEDaS1A_S1B_EUlS1A_E_NS1_11comp_targetILNS1_3genE4ELNS1_11target_archE910ELNS1_3gpuE8ELNS1_3repE0EEENS1_30default_config_static_selectorELNS0_4arch9wavefront6targetE1EEEvT1_
		.amdhsa_group_segment_fixed_size 10248
		.amdhsa_private_segment_fixed_size 0
		.amdhsa_kernarg_size 128
		.amdhsa_user_sgpr_count 6
		.amdhsa_user_sgpr_private_segment_buffer 1
		.amdhsa_user_sgpr_dispatch_ptr 0
		.amdhsa_user_sgpr_queue_ptr 0
		.amdhsa_user_sgpr_kernarg_segment_ptr 1
		.amdhsa_user_sgpr_dispatch_id 0
		.amdhsa_user_sgpr_flat_scratch_init 0
		.amdhsa_user_sgpr_kernarg_preload_length 0
		.amdhsa_user_sgpr_kernarg_preload_offset 0
		.amdhsa_user_sgpr_private_segment_size 0
		.amdhsa_uses_dynamic_stack 0
		.amdhsa_system_sgpr_private_segment_wavefront_offset 0
		.amdhsa_system_sgpr_workgroup_id_x 1
		.amdhsa_system_sgpr_workgroup_id_y 0
		.amdhsa_system_sgpr_workgroup_id_z 0
		.amdhsa_system_sgpr_workgroup_info 0
		.amdhsa_system_vgpr_workitem_id 0
		.amdhsa_next_free_vgpr 65
		.amdhsa_next_free_sgpr 46
		.amdhsa_accum_offset 68
		.amdhsa_reserve_vcc 1
		.amdhsa_reserve_flat_scratch 0
		.amdhsa_float_round_mode_32 0
		.amdhsa_float_round_mode_16_64 0
		.amdhsa_float_denorm_mode_32 3
		.amdhsa_float_denorm_mode_16_64 3
		.amdhsa_dx10_clamp 1
		.amdhsa_ieee_mode 1
		.amdhsa_fp16_overflow 0
		.amdhsa_tg_split 0
		.amdhsa_exception_fp_ieee_invalid_op 0
		.amdhsa_exception_fp_denorm_src 0
		.amdhsa_exception_fp_ieee_div_zero 0
		.amdhsa_exception_fp_ieee_overflow 0
		.amdhsa_exception_fp_ieee_underflow 0
		.amdhsa_exception_fp_ieee_inexact 0
		.amdhsa_exception_int_div_zero 0
	.end_amdhsa_kernel
	.section	.text._ZN7rocprim17ROCPRIM_400000_NS6detail17trampoline_kernelINS0_14default_configENS1_25partition_config_selectorILNS1_17partition_subalgoE2EsNS0_10empty_typeEbEEZZNS1_14partition_implILS5_2ELb0ES3_jN6thrust23THRUST_200600_302600_NS6detail15normal_iteratorINSA_7pointerIsNSA_11hip_rocprim3tagENSA_11use_defaultESG_EEEEPS6_NSA_18transform_iteratorINSA_8identityIsEENSC_INSA_10device_ptrIsEEEESG_SG_EENS0_5tupleIJPsSJ_EEENSR_IJSJ_SJ_EEES6_PlJS6_EEE10hipError_tPvRmT3_T4_T5_T6_T7_T9_mT8_P12ihipStream_tbDpT10_ENKUlT_T0_E_clISt17integral_constantIbLb1EES1E_IbLb0EEEEDaS1A_S1B_EUlS1A_E_NS1_11comp_targetILNS1_3genE4ELNS1_11target_archE910ELNS1_3gpuE8ELNS1_3repE0EEENS1_30default_config_static_selectorELNS0_4arch9wavefront6targetE1EEEvT1_,"axG",@progbits,_ZN7rocprim17ROCPRIM_400000_NS6detail17trampoline_kernelINS0_14default_configENS1_25partition_config_selectorILNS1_17partition_subalgoE2EsNS0_10empty_typeEbEEZZNS1_14partition_implILS5_2ELb0ES3_jN6thrust23THRUST_200600_302600_NS6detail15normal_iteratorINSA_7pointerIsNSA_11hip_rocprim3tagENSA_11use_defaultESG_EEEEPS6_NSA_18transform_iteratorINSA_8identityIsEENSC_INSA_10device_ptrIsEEEESG_SG_EENS0_5tupleIJPsSJ_EEENSR_IJSJ_SJ_EEES6_PlJS6_EEE10hipError_tPvRmT3_T4_T5_T6_T7_T9_mT8_P12ihipStream_tbDpT10_ENKUlT_T0_E_clISt17integral_constantIbLb1EES1E_IbLb0EEEEDaS1A_S1B_EUlS1A_E_NS1_11comp_targetILNS1_3genE4ELNS1_11target_archE910ELNS1_3gpuE8ELNS1_3repE0EEENS1_30default_config_static_selectorELNS0_4arch9wavefront6targetE1EEEvT1_,comdat
.Lfunc_end563:
	.size	_ZN7rocprim17ROCPRIM_400000_NS6detail17trampoline_kernelINS0_14default_configENS1_25partition_config_selectorILNS1_17partition_subalgoE2EsNS0_10empty_typeEbEEZZNS1_14partition_implILS5_2ELb0ES3_jN6thrust23THRUST_200600_302600_NS6detail15normal_iteratorINSA_7pointerIsNSA_11hip_rocprim3tagENSA_11use_defaultESG_EEEEPS6_NSA_18transform_iteratorINSA_8identityIsEENSC_INSA_10device_ptrIsEEEESG_SG_EENS0_5tupleIJPsSJ_EEENSR_IJSJ_SJ_EEES6_PlJS6_EEE10hipError_tPvRmT3_T4_T5_T6_T7_T9_mT8_P12ihipStream_tbDpT10_ENKUlT_T0_E_clISt17integral_constantIbLb1EES1E_IbLb0EEEEDaS1A_S1B_EUlS1A_E_NS1_11comp_targetILNS1_3genE4ELNS1_11target_archE910ELNS1_3gpuE8ELNS1_3repE0EEENS1_30default_config_static_selectorELNS0_4arch9wavefront6targetE1EEEvT1_, .Lfunc_end563-_ZN7rocprim17ROCPRIM_400000_NS6detail17trampoline_kernelINS0_14default_configENS1_25partition_config_selectorILNS1_17partition_subalgoE2EsNS0_10empty_typeEbEEZZNS1_14partition_implILS5_2ELb0ES3_jN6thrust23THRUST_200600_302600_NS6detail15normal_iteratorINSA_7pointerIsNSA_11hip_rocprim3tagENSA_11use_defaultESG_EEEEPS6_NSA_18transform_iteratorINSA_8identityIsEENSC_INSA_10device_ptrIsEEEESG_SG_EENS0_5tupleIJPsSJ_EEENSR_IJSJ_SJ_EEES6_PlJS6_EEE10hipError_tPvRmT3_T4_T5_T6_T7_T9_mT8_P12ihipStream_tbDpT10_ENKUlT_T0_E_clISt17integral_constantIbLb1EES1E_IbLb0EEEEDaS1A_S1B_EUlS1A_E_NS1_11comp_targetILNS1_3genE4ELNS1_11target_archE910ELNS1_3gpuE8ELNS1_3repE0EEENS1_30default_config_static_selectorELNS0_4arch9wavefront6targetE1EEEvT1_
                                        ; -- End function
	.section	.AMDGPU.csdata,"",@progbits
; Kernel info:
; codeLenInByte = 10992
; NumSgprs: 50
; NumVgprs: 65
; NumAgprs: 0
; TotalNumVgprs: 65
; ScratchSize: 0
; MemoryBound: 0
; FloatMode: 240
; IeeeMode: 1
; LDSByteSize: 10248 bytes/workgroup (compile time only)
; SGPRBlocks: 6
; VGPRBlocks: 8
; NumSGPRsForWavesPerEU: 50
; NumVGPRsForWavesPerEU: 65
; AccumOffset: 68
; Occupancy: 6
; WaveLimiterHint : 1
; COMPUTE_PGM_RSRC2:SCRATCH_EN: 0
; COMPUTE_PGM_RSRC2:USER_SGPR: 6
; COMPUTE_PGM_RSRC2:TRAP_HANDLER: 0
; COMPUTE_PGM_RSRC2:TGID_X_EN: 1
; COMPUTE_PGM_RSRC2:TGID_Y_EN: 0
; COMPUTE_PGM_RSRC2:TGID_Z_EN: 0
; COMPUTE_PGM_RSRC2:TIDIG_COMP_CNT: 0
; COMPUTE_PGM_RSRC3_GFX90A:ACCUM_OFFSET: 16
; COMPUTE_PGM_RSRC3_GFX90A:TG_SPLIT: 0
	.section	.text._ZN7rocprim17ROCPRIM_400000_NS6detail17trampoline_kernelINS0_14default_configENS1_25partition_config_selectorILNS1_17partition_subalgoE2EsNS0_10empty_typeEbEEZZNS1_14partition_implILS5_2ELb0ES3_jN6thrust23THRUST_200600_302600_NS6detail15normal_iteratorINSA_7pointerIsNSA_11hip_rocprim3tagENSA_11use_defaultESG_EEEEPS6_NSA_18transform_iteratorINSA_8identityIsEENSC_INSA_10device_ptrIsEEEESG_SG_EENS0_5tupleIJPsSJ_EEENSR_IJSJ_SJ_EEES6_PlJS6_EEE10hipError_tPvRmT3_T4_T5_T6_T7_T9_mT8_P12ihipStream_tbDpT10_ENKUlT_T0_E_clISt17integral_constantIbLb1EES1E_IbLb0EEEEDaS1A_S1B_EUlS1A_E_NS1_11comp_targetILNS1_3genE3ELNS1_11target_archE908ELNS1_3gpuE7ELNS1_3repE0EEENS1_30default_config_static_selectorELNS0_4arch9wavefront6targetE1EEEvT1_,"axG",@progbits,_ZN7rocprim17ROCPRIM_400000_NS6detail17trampoline_kernelINS0_14default_configENS1_25partition_config_selectorILNS1_17partition_subalgoE2EsNS0_10empty_typeEbEEZZNS1_14partition_implILS5_2ELb0ES3_jN6thrust23THRUST_200600_302600_NS6detail15normal_iteratorINSA_7pointerIsNSA_11hip_rocprim3tagENSA_11use_defaultESG_EEEEPS6_NSA_18transform_iteratorINSA_8identityIsEENSC_INSA_10device_ptrIsEEEESG_SG_EENS0_5tupleIJPsSJ_EEENSR_IJSJ_SJ_EEES6_PlJS6_EEE10hipError_tPvRmT3_T4_T5_T6_T7_T9_mT8_P12ihipStream_tbDpT10_ENKUlT_T0_E_clISt17integral_constantIbLb1EES1E_IbLb0EEEEDaS1A_S1B_EUlS1A_E_NS1_11comp_targetILNS1_3genE3ELNS1_11target_archE908ELNS1_3gpuE7ELNS1_3repE0EEENS1_30default_config_static_selectorELNS0_4arch9wavefront6targetE1EEEvT1_,comdat
	.protected	_ZN7rocprim17ROCPRIM_400000_NS6detail17trampoline_kernelINS0_14default_configENS1_25partition_config_selectorILNS1_17partition_subalgoE2EsNS0_10empty_typeEbEEZZNS1_14partition_implILS5_2ELb0ES3_jN6thrust23THRUST_200600_302600_NS6detail15normal_iteratorINSA_7pointerIsNSA_11hip_rocprim3tagENSA_11use_defaultESG_EEEEPS6_NSA_18transform_iteratorINSA_8identityIsEENSC_INSA_10device_ptrIsEEEESG_SG_EENS0_5tupleIJPsSJ_EEENSR_IJSJ_SJ_EEES6_PlJS6_EEE10hipError_tPvRmT3_T4_T5_T6_T7_T9_mT8_P12ihipStream_tbDpT10_ENKUlT_T0_E_clISt17integral_constantIbLb1EES1E_IbLb0EEEEDaS1A_S1B_EUlS1A_E_NS1_11comp_targetILNS1_3genE3ELNS1_11target_archE908ELNS1_3gpuE7ELNS1_3repE0EEENS1_30default_config_static_selectorELNS0_4arch9wavefront6targetE1EEEvT1_ ; -- Begin function _ZN7rocprim17ROCPRIM_400000_NS6detail17trampoline_kernelINS0_14default_configENS1_25partition_config_selectorILNS1_17partition_subalgoE2EsNS0_10empty_typeEbEEZZNS1_14partition_implILS5_2ELb0ES3_jN6thrust23THRUST_200600_302600_NS6detail15normal_iteratorINSA_7pointerIsNSA_11hip_rocprim3tagENSA_11use_defaultESG_EEEEPS6_NSA_18transform_iteratorINSA_8identityIsEENSC_INSA_10device_ptrIsEEEESG_SG_EENS0_5tupleIJPsSJ_EEENSR_IJSJ_SJ_EEES6_PlJS6_EEE10hipError_tPvRmT3_T4_T5_T6_T7_T9_mT8_P12ihipStream_tbDpT10_ENKUlT_T0_E_clISt17integral_constantIbLb1EES1E_IbLb0EEEEDaS1A_S1B_EUlS1A_E_NS1_11comp_targetILNS1_3genE3ELNS1_11target_archE908ELNS1_3gpuE7ELNS1_3repE0EEENS1_30default_config_static_selectorELNS0_4arch9wavefront6targetE1EEEvT1_
	.globl	_ZN7rocprim17ROCPRIM_400000_NS6detail17trampoline_kernelINS0_14default_configENS1_25partition_config_selectorILNS1_17partition_subalgoE2EsNS0_10empty_typeEbEEZZNS1_14partition_implILS5_2ELb0ES3_jN6thrust23THRUST_200600_302600_NS6detail15normal_iteratorINSA_7pointerIsNSA_11hip_rocprim3tagENSA_11use_defaultESG_EEEEPS6_NSA_18transform_iteratorINSA_8identityIsEENSC_INSA_10device_ptrIsEEEESG_SG_EENS0_5tupleIJPsSJ_EEENSR_IJSJ_SJ_EEES6_PlJS6_EEE10hipError_tPvRmT3_T4_T5_T6_T7_T9_mT8_P12ihipStream_tbDpT10_ENKUlT_T0_E_clISt17integral_constantIbLb1EES1E_IbLb0EEEEDaS1A_S1B_EUlS1A_E_NS1_11comp_targetILNS1_3genE3ELNS1_11target_archE908ELNS1_3gpuE7ELNS1_3repE0EEENS1_30default_config_static_selectorELNS0_4arch9wavefront6targetE1EEEvT1_
	.p2align	8
	.type	_ZN7rocprim17ROCPRIM_400000_NS6detail17trampoline_kernelINS0_14default_configENS1_25partition_config_selectorILNS1_17partition_subalgoE2EsNS0_10empty_typeEbEEZZNS1_14partition_implILS5_2ELb0ES3_jN6thrust23THRUST_200600_302600_NS6detail15normal_iteratorINSA_7pointerIsNSA_11hip_rocprim3tagENSA_11use_defaultESG_EEEEPS6_NSA_18transform_iteratorINSA_8identityIsEENSC_INSA_10device_ptrIsEEEESG_SG_EENS0_5tupleIJPsSJ_EEENSR_IJSJ_SJ_EEES6_PlJS6_EEE10hipError_tPvRmT3_T4_T5_T6_T7_T9_mT8_P12ihipStream_tbDpT10_ENKUlT_T0_E_clISt17integral_constantIbLb1EES1E_IbLb0EEEEDaS1A_S1B_EUlS1A_E_NS1_11comp_targetILNS1_3genE3ELNS1_11target_archE908ELNS1_3gpuE7ELNS1_3repE0EEENS1_30default_config_static_selectorELNS0_4arch9wavefront6targetE1EEEvT1_,@function
_ZN7rocprim17ROCPRIM_400000_NS6detail17trampoline_kernelINS0_14default_configENS1_25partition_config_selectorILNS1_17partition_subalgoE2EsNS0_10empty_typeEbEEZZNS1_14partition_implILS5_2ELb0ES3_jN6thrust23THRUST_200600_302600_NS6detail15normal_iteratorINSA_7pointerIsNSA_11hip_rocprim3tagENSA_11use_defaultESG_EEEEPS6_NSA_18transform_iteratorINSA_8identityIsEENSC_INSA_10device_ptrIsEEEESG_SG_EENS0_5tupleIJPsSJ_EEENSR_IJSJ_SJ_EEES6_PlJS6_EEE10hipError_tPvRmT3_T4_T5_T6_T7_T9_mT8_P12ihipStream_tbDpT10_ENKUlT_T0_E_clISt17integral_constantIbLb1EES1E_IbLb0EEEEDaS1A_S1B_EUlS1A_E_NS1_11comp_targetILNS1_3genE3ELNS1_11target_archE908ELNS1_3gpuE7ELNS1_3repE0EEENS1_30default_config_static_selectorELNS0_4arch9wavefront6targetE1EEEvT1_: ; @_ZN7rocprim17ROCPRIM_400000_NS6detail17trampoline_kernelINS0_14default_configENS1_25partition_config_selectorILNS1_17partition_subalgoE2EsNS0_10empty_typeEbEEZZNS1_14partition_implILS5_2ELb0ES3_jN6thrust23THRUST_200600_302600_NS6detail15normal_iteratorINSA_7pointerIsNSA_11hip_rocprim3tagENSA_11use_defaultESG_EEEEPS6_NSA_18transform_iteratorINSA_8identityIsEENSC_INSA_10device_ptrIsEEEESG_SG_EENS0_5tupleIJPsSJ_EEENSR_IJSJ_SJ_EEES6_PlJS6_EEE10hipError_tPvRmT3_T4_T5_T6_T7_T9_mT8_P12ihipStream_tbDpT10_ENKUlT_T0_E_clISt17integral_constantIbLb1EES1E_IbLb0EEEEDaS1A_S1B_EUlS1A_E_NS1_11comp_targetILNS1_3genE3ELNS1_11target_archE908ELNS1_3gpuE7ELNS1_3repE0EEENS1_30default_config_static_selectorELNS0_4arch9wavefront6targetE1EEEvT1_
; %bb.0:
	.section	.rodata,"a",@progbits
	.p2align	6, 0x0
	.amdhsa_kernel _ZN7rocprim17ROCPRIM_400000_NS6detail17trampoline_kernelINS0_14default_configENS1_25partition_config_selectorILNS1_17partition_subalgoE2EsNS0_10empty_typeEbEEZZNS1_14partition_implILS5_2ELb0ES3_jN6thrust23THRUST_200600_302600_NS6detail15normal_iteratorINSA_7pointerIsNSA_11hip_rocprim3tagENSA_11use_defaultESG_EEEEPS6_NSA_18transform_iteratorINSA_8identityIsEENSC_INSA_10device_ptrIsEEEESG_SG_EENS0_5tupleIJPsSJ_EEENSR_IJSJ_SJ_EEES6_PlJS6_EEE10hipError_tPvRmT3_T4_T5_T6_T7_T9_mT8_P12ihipStream_tbDpT10_ENKUlT_T0_E_clISt17integral_constantIbLb1EES1E_IbLb0EEEEDaS1A_S1B_EUlS1A_E_NS1_11comp_targetILNS1_3genE3ELNS1_11target_archE908ELNS1_3gpuE7ELNS1_3repE0EEENS1_30default_config_static_selectorELNS0_4arch9wavefront6targetE1EEEvT1_
		.amdhsa_group_segment_fixed_size 0
		.amdhsa_private_segment_fixed_size 0
		.amdhsa_kernarg_size 128
		.amdhsa_user_sgpr_count 6
		.amdhsa_user_sgpr_private_segment_buffer 1
		.amdhsa_user_sgpr_dispatch_ptr 0
		.amdhsa_user_sgpr_queue_ptr 0
		.amdhsa_user_sgpr_kernarg_segment_ptr 1
		.amdhsa_user_sgpr_dispatch_id 0
		.amdhsa_user_sgpr_flat_scratch_init 0
		.amdhsa_user_sgpr_kernarg_preload_length 0
		.amdhsa_user_sgpr_kernarg_preload_offset 0
		.amdhsa_user_sgpr_private_segment_size 0
		.amdhsa_uses_dynamic_stack 0
		.amdhsa_system_sgpr_private_segment_wavefront_offset 0
		.amdhsa_system_sgpr_workgroup_id_x 1
		.amdhsa_system_sgpr_workgroup_id_y 0
		.amdhsa_system_sgpr_workgroup_id_z 0
		.amdhsa_system_sgpr_workgroup_info 0
		.amdhsa_system_vgpr_workitem_id 0
		.amdhsa_next_free_vgpr 1
		.amdhsa_next_free_sgpr 0
		.amdhsa_accum_offset 4
		.amdhsa_reserve_vcc 0
		.amdhsa_reserve_flat_scratch 0
		.amdhsa_float_round_mode_32 0
		.amdhsa_float_round_mode_16_64 0
		.amdhsa_float_denorm_mode_32 3
		.amdhsa_float_denorm_mode_16_64 3
		.amdhsa_dx10_clamp 1
		.amdhsa_ieee_mode 1
		.amdhsa_fp16_overflow 0
		.amdhsa_tg_split 0
		.amdhsa_exception_fp_ieee_invalid_op 0
		.amdhsa_exception_fp_denorm_src 0
		.amdhsa_exception_fp_ieee_div_zero 0
		.amdhsa_exception_fp_ieee_overflow 0
		.amdhsa_exception_fp_ieee_underflow 0
		.amdhsa_exception_fp_ieee_inexact 0
		.amdhsa_exception_int_div_zero 0
	.end_amdhsa_kernel
	.section	.text._ZN7rocprim17ROCPRIM_400000_NS6detail17trampoline_kernelINS0_14default_configENS1_25partition_config_selectorILNS1_17partition_subalgoE2EsNS0_10empty_typeEbEEZZNS1_14partition_implILS5_2ELb0ES3_jN6thrust23THRUST_200600_302600_NS6detail15normal_iteratorINSA_7pointerIsNSA_11hip_rocprim3tagENSA_11use_defaultESG_EEEEPS6_NSA_18transform_iteratorINSA_8identityIsEENSC_INSA_10device_ptrIsEEEESG_SG_EENS0_5tupleIJPsSJ_EEENSR_IJSJ_SJ_EEES6_PlJS6_EEE10hipError_tPvRmT3_T4_T5_T6_T7_T9_mT8_P12ihipStream_tbDpT10_ENKUlT_T0_E_clISt17integral_constantIbLb1EES1E_IbLb0EEEEDaS1A_S1B_EUlS1A_E_NS1_11comp_targetILNS1_3genE3ELNS1_11target_archE908ELNS1_3gpuE7ELNS1_3repE0EEENS1_30default_config_static_selectorELNS0_4arch9wavefront6targetE1EEEvT1_,"axG",@progbits,_ZN7rocprim17ROCPRIM_400000_NS6detail17trampoline_kernelINS0_14default_configENS1_25partition_config_selectorILNS1_17partition_subalgoE2EsNS0_10empty_typeEbEEZZNS1_14partition_implILS5_2ELb0ES3_jN6thrust23THRUST_200600_302600_NS6detail15normal_iteratorINSA_7pointerIsNSA_11hip_rocprim3tagENSA_11use_defaultESG_EEEEPS6_NSA_18transform_iteratorINSA_8identityIsEENSC_INSA_10device_ptrIsEEEESG_SG_EENS0_5tupleIJPsSJ_EEENSR_IJSJ_SJ_EEES6_PlJS6_EEE10hipError_tPvRmT3_T4_T5_T6_T7_T9_mT8_P12ihipStream_tbDpT10_ENKUlT_T0_E_clISt17integral_constantIbLb1EES1E_IbLb0EEEEDaS1A_S1B_EUlS1A_E_NS1_11comp_targetILNS1_3genE3ELNS1_11target_archE908ELNS1_3gpuE7ELNS1_3repE0EEENS1_30default_config_static_selectorELNS0_4arch9wavefront6targetE1EEEvT1_,comdat
.Lfunc_end564:
	.size	_ZN7rocprim17ROCPRIM_400000_NS6detail17trampoline_kernelINS0_14default_configENS1_25partition_config_selectorILNS1_17partition_subalgoE2EsNS0_10empty_typeEbEEZZNS1_14partition_implILS5_2ELb0ES3_jN6thrust23THRUST_200600_302600_NS6detail15normal_iteratorINSA_7pointerIsNSA_11hip_rocprim3tagENSA_11use_defaultESG_EEEEPS6_NSA_18transform_iteratorINSA_8identityIsEENSC_INSA_10device_ptrIsEEEESG_SG_EENS0_5tupleIJPsSJ_EEENSR_IJSJ_SJ_EEES6_PlJS6_EEE10hipError_tPvRmT3_T4_T5_T6_T7_T9_mT8_P12ihipStream_tbDpT10_ENKUlT_T0_E_clISt17integral_constantIbLb1EES1E_IbLb0EEEEDaS1A_S1B_EUlS1A_E_NS1_11comp_targetILNS1_3genE3ELNS1_11target_archE908ELNS1_3gpuE7ELNS1_3repE0EEENS1_30default_config_static_selectorELNS0_4arch9wavefront6targetE1EEEvT1_, .Lfunc_end564-_ZN7rocprim17ROCPRIM_400000_NS6detail17trampoline_kernelINS0_14default_configENS1_25partition_config_selectorILNS1_17partition_subalgoE2EsNS0_10empty_typeEbEEZZNS1_14partition_implILS5_2ELb0ES3_jN6thrust23THRUST_200600_302600_NS6detail15normal_iteratorINSA_7pointerIsNSA_11hip_rocprim3tagENSA_11use_defaultESG_EEEEPS6_NSA_18transform_iteratorINSA_8identityIsEENSC_INSA_10device_ptrIsEEEESG_SG_EENS0_5tupleIJPsSJ_EEENSR_IJSJ_SJ_EEES6_PlJS6_EEE10hipError_tPvRmT3_T4_T5_T6_T7_T9_mT8_P12ihipStream_tbDpT10_ENKUlT_T0_E_clISt17integral_constantIbLb1EES1E_IbLb0EEEEDaS1A_S1B_EUlS1A_E_NS1_11comp_targetILNS1_3genE3ELNS1_11target_archE908ELNS1_3gpuE7ELNS1_3repE0EEENS1_30default_config_static_selectorELNS0_4arch9wavefront6targetE1EEEvT1_
                                        ; -- End function
	.section	.AMDGPU.csdata,"",@progbits
; Kernel info:
; codeLenInByte = 0
; NumSgprs: 4
; NumVgprs: 0
; NumAgprs: 0
; TotalNumVgprs: 0
; ScratchSize: 0
; MemoryBound: 0
; FloatMode: 240
; IeeeMode: 1
; LDSByteSize: 0 bytes/workgroup (compile time only)
; SGPRBlocks: 0
; VGPRBlocks: 0
; NumSGPRsForWavesPerEU: 4
; NumVGPRsForWavesPerEU: 1
; AccumOffset: 4
; Occupancy: 8
; WaveLimiterHint : 0
; COMPUTE_PGM_RSRC2:SCRATCH_EN: 0
; COMPUTE_PGM_RSRC2:USER_SGPR: 6
; COMPUTE_PGM_RSRC2:TRAP_HANDLER: 0
; COMPUTE_PGM_RSRC2:TGID_X_EN: 1
; COMPUTE_PGM_RSRC2:TGID_Y_EN: 0
; COMPUTE_PGM_RSRC2:TGID_Z_EN: 0
; COMPUTE_PGM_RSRC2:TIDIG_COMP_CNT: 0
; COMPUTE_PGM_RSRC3_GFX90A:ACCUM_OFFSET: 0
; COMPUTE_PGM_RSRC3_GFX90A:TG_SPLIT: 0
	.section	.text._ZN7rocprim17ROCPRIM_400000_NS6detail17trampoline_kernelINS0_14default_configENS1_25partition_config_selectorILNS1_17partition_subalgoE2EsNS0_10empty_typeEbEEZZNS1_14partition_implILS5_2ELb0ES3_jN6thrust23THRUST_200600_302600_NS6detail15normal_iteratorINSA_7pointerIsNSA_11hip_rocprim3tagENSA_11use_defaultESG_EEEEPS6_NSA_18transform_iteratorINSA_8identityIsEENSC_INSA_10device_ptrIsEEEESG_SG_EENS0_5tupleIJPsSJ_EEENSR_IJSJ_SJ_EEES6_PlJS6_EEE10hipError_tPvRmT3_T4_T5_T6_T7_T9_mT8_P12ihipStream_tbDpT10_ENKUlT_T0_E_clISt17integral_constantIbLb1EES1E_IbLb0EEEEDaS1A_S1B_EUlS1A_E_NS1_11comp_targetILNS1_3genE2ELNS1_11target_archE906ELNS1_3gpuE6ELNS1_3repE0EEENS1_30default_config_static_selectorELNS0_4arch9wavefront6targetE1EEEvT1_,"axG",@progbits,_ZN7rocprim17ROCPRIM_400000_NS6detail17trampoline_kernelINS0_14default_configENS1_25partition_config_selectorILNS1_17partition_subalgoE2EsNS0_10empty_typeEbEEZZNS1_14partition_implILS5_2ELb0ES3_jN6thrust23THRUST_200600_302600_NS6detail15normal_iteratorINSA_7pointerIsNSA_11hip_rocprim3tagENSA_11use_defaultESG_EEEEPS6_NSA_18transform_iteratorINSA_8identityIsEENSC_INSA_10device_ptrIsEEEESG_SG_EENS0_5tupleIJPsSJ_EEENSR_IJSJ_SJ_EEES6_PlJS6_EEE10hipError_tPvRmT3_T4_T5_T6_T7_T9_mT8_P12ihipStream_tbDpT10_ENKUlT_T0_E_clISt17integral_constantIbLb1EES1E_IbLb0EEEEDaS1A_S1B_EUlS1A_E_NS1_11comp_targetILNS1_3genE2ELNS1_11target_archE906ELNS1_3gpuE6ELNS1_3repE0EEENS1_30default_config_static_selectorELNS0_4arch9wavefront6targetE1EEEvT1_,comdat
	.protected	_ZN7rocprim17ROCPRIM_400000_NS6detail17trampoline_kernelINS0_14default_configENS1_25partition_config_selectorILNS1_17partition_subalgoE2EsNS0_10empty_typeEbEEZZNS1_14partition_implILS5_2ELb0ES3_jN6thrust23THRUST_200600_302600_NS6detail15normal_iteratorINSA_7pointerIsNSA_11hip_rocprim3tagENSA_11use_defaultESG_EEEEPS6_NSA_18transform_iteratorINSA_8identityIsEENSC_INSA_10device_ptrIsEEEESG_SG_EENS0_5tupleIJPsSJ_EEENSR_IJSJ_SJ_EEES6_PlJS6_EEE10hipError_tPvRmT3_T4_T5_T6_T7_T9_mT8_P12ihipStream_tbDpT10_ENKUlT_T0_E_clISt17integral_constantIbLb1EES1E_IbLb0EEEEDaS1A_S1B_EUlS1A_E_NS1_11comp_targetILNS1_3genE2ELNS1_11target_archE906ELNS1_3gpuE6ELNS1_3repE0EEENS1_30default_config_static_selectorELNS0_4arch9wavefront6targetE1EEEvT1_ ; -- Begin function _ZN7rocprim17ROCPRIM_400000_NS6detail17trampoline_kernelINS0_14default_configENS1_25partition_config_selectorILNS1_17partition_subalgoE2EsNS0_10empty_typeEbEEZZNS1_14partition_implILS5_2ELb0ES3_jN6thrust23THRUST_200600_302600_NS6detail15normal_iteratorINSA_7pointerIsNSA_11hip_rocprim3tagENSA_11use_defaultESG_EEEEPS6_NSA_18transform_iteratorINSA_8identityIsEENSC_INSA_10device_ptrIsEEEESG_SG_EENS0_5tupleIJPsSJ_EEENSR_IJSJ_SJ_EEES6_PlJS6_EEE10hipError_tPvRmT3_T4_T5_T6_T7_T9_mT8_P12ihipStream_tbDpT10_ENKUlT_T0_E_clISt17integral_constantIbLb1EES1E_IbLb0EEEEDaS1A_S1B_EUlS1A_E_NS1_11comp_targetILNS1_3genE2ELNS1_11target_archE906ELNS1_3gpuE6ELNS1_3repE0EEENS1_30default_config_static_selectorELNS0_4arch9wavefront6targetE1EEEvT1_
	.globl	_ZN7rocprim17ROCPRIM_400000_NS6detail17trampoline_kernelINS0_14default_configENS1_25partition_config_selectorILNS1_17partition_subalgoE2EsNS0_10empty_typeEbEEZZNS1_14partition_implILS5_2ELb0ES3_jN6thrust23THRUST_200600_302600_NS6detail15normal_iteratorINSA_7pointerIsNSA_11hip_rocprim3tagENSA_11use_defaultESG_EEEEPS6_NSA_18transform_iteratorINSA_8identityIsEENSC_INSA_10device_ptrIsEEEESG_SG_EENS0_5tupleIJPsSJ_EEENSR_IJSJ_SJ_EEES6_PlJS6_EEE10hipError_tPvRmT3_T4_T5_T6_T7_T9_mT8_P12ihipStream_tbDpT10_ENKUlT_T0_E_clISt17integral_constantIbLb1EES1E_IbLb0EEEEDaS1A_S1B_EUlS1A_E_NS1_11comp_targetILNS1_3genE2ELNS1_11target_archE906ELNS1_3gpuE6ELNS1_3repE0EEENS1_30default_config_static_selectorELNS0_4arch9wavefront6targetE1EEEvT1_
	.p2align	8
	.type	_ZN7rocprim17ROCPRIM_400000_NS6detail17trampoline_kernelINS0_14default_configENS1_25partition_config_selectorILNS1_17partition_subalgoE2EsNS0_10empty_typeEbEEZZNS1_14partition_implILS5_2ELb0ES3_jN6thrust23THRUST_200600_302600_NS6detail15normal_iteratorINSA_7pointerIsNSA_11hip_rocprim3tagENSA_11use_defaultESG_EEEEPS6_NSA_18transform_iteratorINSA_8identityIsEENSC_INSA_10device_ptrIsEEEESG_SG_EENS0_5tupleIJPsSJ_EEENSR_IJSJ_SJ_EEES6_PlJS6_EEE10hipError_tPvRmT3_T4_T5_T6_T7_T9_mT8_P12ihipStream_tbDpT10_ENKUlT_T0_E_clISt17integral_constantIbLb1EES1E_IbLb0EEEEDaS1A_S1B_EUlS1A_E_NS1_11comp_targetILNS1_3genE2ELNS1_11target_archE906ELNS1_3gpuE6ELNS1_3repE0EEENS1_30default_config_static_selectorELNS0_4arch9wavefront6targetE1EEEvT1_,@function
_ZN7rocprim17ROCPRIM_400000_NS6detail17trampoline_kernelINS0_14default_configENS1_25partition_config_selectorILNS1_17partition_subalgoE2EsNS0_10empty_typeEbEEZZNS1_14partition_implILS5_2ELb0ES3_jN6thrust23THRUST_200600_302600_NS6detail15normal_iteratorINSA_7pointerIsNSA_11hip_rocprim3tagENSA_11use_defaultESG_EEEEPS6_NSA_18transform_iteratorINSA_8identityIsEENSC_INSA_10device_ptrIsEEEESG_SG_EENS0_5tupleIJPsSJ_EEENSR_IJSJ_SJ_EEES6_PlJS6_EEE10hipError_tPvRmT3_T4_T5_T6_T7_T9_mT8_P12ihipStream_tbDpT10_ENKUlT_T0_E_clISt17integral_constantIbLb1EES1E_IbLb0EEEEDaS1A_S1B_EUlS1A_E_NS1_11comp_targetILNS1_3genE2ELNS1_11target_archE906ELNS1_3gpuE6ELNS1_3repE0EEENS1_30default_config_static_selectorELNS0_4arch9wavefront6targetE1EEEvT1_: ; @_ZN7rocprim17ROCPRIM_400000_NS6detail17trampoline_kernelINS0_14default_configENS1_25partition_config_selectorILNS1_17partition_subalgoE2EsNS0_10empty_typeEbEEZZNS1_14partition_implILS5_2ELb0ES3_jN6thrust23THRUST_200600_302600_NS6detail15normal_iteratorINSA_7pointerIsNSA_11hip_rocprim3tagENSA_11use_defaultESG_EEEEPS6_NSA_18transform_iteratorINSA_8identityIsEENSC_INSA_10device_ptrIsEEEESG_SG_EENS0_5tupleIJPsSJ_EEENSR_IJSJ_SJ_EEES6_PlJS6_EEE10hipError_tPvRmT3_T4_T5_T6_T7_T9_mT8_P12ihipStream_tbDpT10_ENKUlT_T0_E_clISt17integral_constantIbLb1EES1E_IbLb0EEEEDaS1A_S1B_EUlS1A_E_NS1_11comp_targetILNS1_3genE2ELNS1_11target_archE906ELNS1_3gpuE6ELNS1_3repE0EEENS1_30default_config_static_selectorELNS0_4arch9wavefront6targetE1EEEvT1_
; %bb.0:
	.section	.rodata,"a",@progbits
	.p2align	6, 0x0
	.amdhsa_kernel _ZN7rocprim17ROCPRIM_400000_NS6detail17trampoline_kernelINS0_14default_configENS1_25partition_config_selectorILNS1_17partition_subalgoE2EsNS0_10empty_typeEbEEZZNS1_14partition_implILS5_2ELb0ES3_jN6thrust23THRUST_200600_302600_NS6detail15normal_iteratorINSA_7pointerIsNSA_11hip_rocprim3tagENSA_11use_defaultESG_EEEEPS6_NSA_18transform_iteratorINSA_8identityIsEENSC_INSA_10device_ptrIsEEEESG_SG_EENS0_5tupleIJPsSJ_EEENSR_IJSJ_SJ_EEES6_PlJS6_EEE10hipError_tPvRmT3_T4_T5_T6_T7_T9_mT8_P12ihipStream_tbDpT10_ENKUlT_T0_E_clISt17integral_constantIbLb1EES1E_IbLb0EEEEDaS1A_S1B_EUlS1A_E_NS1_11comp_targetILNS1_3genE2ELNS1_11target_archE906ELNS1_3gpuE6ELNS1_3repE0EEENS1_30default_config_static_selectorELNS0_4arch9wavefront6targetE1EEEvT1_
		.amdhsa_group_segment_fixed_size 0
		.amdhsa_private_segment_fixed_size 0
		.amdhsa_kernarg_size 128
		.amdhsa_user_sgpr_count 6
		.amdhsa_user_sgpr_private_segment_buffer 1
		.amdhsa_user_sgpr_dispatch_ptr 0
		.amdhsa_user_sgpr_queue_ptr 0
		.amdhsa_user_sgpr_kernarg_segment_ptr 1
		.amdhsa_user_sgpr_dispatch_id 0
		.amdhsa_user_sgpr_flat_scratch_init 0
		.amdhsa_user_sgpr_kernarg_preload_length 0
		.amdhsa_user_sgpr_kernarg_preload_offset 0
		.amdhsa_user_sgpr_private_segment_size 0
		.amdhsa_uses_dynamic_stack 0
		.amdhsa_system_sgpr_private_segment_wavefront_offset 0
		.amdhsa_system_sgpr_workgroup_id_x 1
		.amdhsa_system_sgpr_workgroup_id_y 0
		.amdhsa_system_sgpr_workgroup_id_z 0
		.amdhsa_system_sgpr_workgroup_info 0
		.amdhsa_system_vgpr_workitem_id 0
		.amdhsa_next_free_vgpr 1
		.amdhsa_next_free_sgpr 0
		.amdhsa_accum_offset 4
		.amdhsa_reserve_vcc 0
		.amdhsa_reserve_flat_scratch 0
		.amdhsa_float_round_mode_32 0
		.amdhsa_float_round_mode_16_64 0
		.amdhsa_float_denorm_mode_32 3
		.amdhsa_float_denorm_mode_16_64 3
		.amdhsa_dx10_clamp 1
		.amdhsa_ieee_mode 1
		.amdhsa_fp16_overflow 0
		.amdhsa_tg_split 0
		.amdhsa_exception_fp_ieee_invalid_op 0
		.amdhsa_exception_fp_denorm_src 0
		.amdhsa_exception_fp_ieee_div_zero 0
		.amdhsa_exception_fp_ieee_overflow 0
		.amdhsa_exception_fp_ieee_underflow 0
		.amdhsa_exception_fp_ieee_inexact 0
		.amdhsa_exception_int_div_zero 0
	.end_amdhsa_kernel
	.section	.text._ZN7rocprim17ROCPRIM_400000_NS6detail17trampoline_kernelINS0_14default_configENS1_25partition_config_selectorILNS1_17partition_subalgoE2EsNS0_10empty_typeEbEEZZNS1_14partition_implILS5_2ELb0ES3_jN6thrust23THRUST_200600_302600_NS6detail15normal_iteratorINSA_7pointerIsNSA_11hip_rocprim3tagENSA_11use_defaultESG_EEEEPS6_NSA_18transform_iteratorINSA_8identityIsEENSC_INSA_10device_ptrIsEEEESG_SG_EENS0_5tupleIJPsSJ_EEENSR_IJSJ_SJ_EEES6_PlJS6_EEE10hipError_tPvRmT3_T4_T5_T6_T7_T9_mT8_P12ihipStream_tbDpT10_ENKUlT_T0_E_clISt17integral_constantIbLb1EES1E_IbLb0EEEEDaS1A_S1B_EUlS1A_E_NS1_11comp_targetILNS1_3genE2ELNS1_11target_archE906ELNS1_3gpuE6ELNS1_3repE0EEENS1_30default_config_static_selectorELNS0_4arch9wavefront6targetE1EEEvT1_,"axG",@progbits,_ZN7rocprim17ROCPRIM_400000_NS6detail17trampoline_kernelINS0_14default_configENS1_25partition_config_selectorILNS1_17partition_subalgoE2EsNS0_10empty_typeEbEEZZNS1_14partition_implILS5_2ELb0ES3_jN6thrust23THRUST_200600_302600_NS6detail15normal_iteratorINSA_7pointerIsNSA_11hip_rocprim3tagENSA_11use_defaultESG_EEEEPS6_NSA_18transform_iteratorINSA_8identityIsEENSC_INSA_10device_ptrIsEEEESG_SG_EENS0_5tupleIJPsSJ_EEENSR_IJSJ_SJ_EEES6_PlJS6_EEE10hipError_tPvRmT3_T4_T5_T6_T7_T9_mT8_P12ihipStream_tbDpT10_ENKUlT_T0_E_clISt17integral_constantIbLb1EES1E_IbLb0EEEEDaS1A_S1B_EUlS1A_E_NS1_11comp_targetILNS1_3genE2ELNS1_11target_archE906ELNS1_3gpuE6ELNS1_3repE0EEENS1_30default_config_static_selectorELNS0_4arch9wavefront6targetE1EEEvT1_,comdat
.Lfunc_end565:
	.size	_ZN7rocprim17ROCPRIM_400000_NS6detail17trampoline_kernelINS0_14default_configENS1_25partition_config_selectorILNS1_17partition_subalgoE2EsNS0_10empty_typeEbEEZZNS1_14partition_implILS5_2ELb0ES3_jN6thrust23THRUST_200600_302600_NS6detail15normal_iteratorINSA_7pointerIsNSA_11hip_rocprim3tagENSA_11use_defaultESG_EEEEPS6_NSA_18transform_iteratorINSA_8identityIsEENSC_INSA_10device_ptrIsEEEESG_SG_EENS0_5tupleIJPsSJ_EEENSR_IJSJ_SJ_EEES6_PlJS6_EEE10hipError_tPvRmT3_T4_T5_T6_T7_T9_mT8_P12ihipStream_tbDpT10_ENKUlT_T0_E_clISt17integral_constantIbLb1EES1E_IbLb0EEEEDaS1A_S1B_EUlS1A_E_NS1_11comp_targetILNS1_3genE2ELNS1_11target_archE906ELNS1_3gpuE6ELNS1_3repE0EEENS1_30default_config_static_selectorELNS0_4arch9wavefront6targetE1EEEvT1_, .Lfunc_end565-_ZN7rocprim17ROCPRIM_400000_NS6detail17trampoline_kernelINS0_14default_configENS1_25partition_config_selectorILNS1_17partition_subalgoE2EsNS0_10empty_typeEbEEZZNS1_14partition_implILS5_2ELb0ES3_jN6thrust23THRUST_200600_302600_NS6detail15normal_iteratorINSA_7pointerIsNSA_11hip_rocprim3tagENSA_11use_defaultESG_EEEEPS6_NSA_18transform_iteratorINSA_8identityIsEENSC_INSA_10device_ptrIsEEEESG_SG_EENS0_5tupleIJPsSJ_EEENSR_IJSJ_SJ_EEES6_PlJS6_EEE10hipError_tPvRmT3_T4_T5_T6_T7_T9_mT8_P12ihipStream_tbDpT10_ENKUlT_T0_E_clISt17integral_constantIbLb1EES1E_IbLb0EEEEDaS1A_S1B_EUlS1A_E_NS1_11comp_targetILNS1_3genE2ELNS1_11target_archE906ELNS1_3gpuE6ELNS1_3repE0EEENS1_30default_config_static_selectorELNS0_4arch9wavefront6targetE1EEEvT1_
                                        ; -- End function
	.section	.AMDGPU.csdata,"",@progbits
; Kernel info:
; codeLenInByte = 0
; NumSgprs: 4
; NumVgprs: 0
; NumAgprs: 0
; TotalNumVgprs: 0
; ScratchSize: 0
; MemoryBound: 0
; FloatMode: 240
; IeeeMode: 1
; LDSByteSize: 0 bytes/workgroup (compile time only)
; SGPRBlocks: 0
; VGPRBlocks: 0
; NumSGPRsForWavesPerEU: 4
; NumVGPRsForWavesPerEU: 1
; AccumOffset: 4
; Occupancy: 8
; WaveLimiterHint : 0
; COMPUTE_PGM_RSRC2:SCRATCH_EN: 0
; COMPUTE_PGM_RSRC2:USER_SGPR: 6
; COMPUTE_PGM_RSRC2:TRAP_HANDLER: 0
; COMPUTE_PGM_RSRC2:TGID_X_EN: 1
; COMPUTE_PGM_RSRC2:TGID_Y_EN: 0
; COMPUTE_PGM_RSRC2:TGID_Z_EN: 0
; COMPUTE_PGM_RSRC2:TIDIG_COMP_CNT: 0
; COMPUTE_PGM_RSRC3_GFX90A:ACCUM_OFFSET: 0
; COMPUTE_PGM_RSRC3_GFX90A:TG_SPLIT: 0
	.section	.text._ZN7rocprim17ROCPRIM_400000_NS6detail17trampoline_kernelINS0_14default_configENS1_25partition_config_selectorILNS1_17partition_subalgoE2EsNS0_10empty_typeEbEEZZNS1_14partition_implILS5_2ELb0ES3_jN6thrust23THRUST_200600_302600_NS6detail15normal_iteratorINSA_7pointerIsNSA_11hip_rocprim3tagENSA_11use_defaultESG_EEEEPS6_NSA_18transform_iteratorINSA_8identityIsEENSC_INSA_10device_ptrIsEEEESG_SG_EENS0_5tupleIJPsSJ_EEENSR_IJSJ_SJ_EEES6_PlJS6_EEE10hipError_tPvRmT3_T4_T5_T6_T7_T9_mT8_P12ihipStream_tbDpT10_ENKUlT_T0_E_clISt17integral_constantIbLb1EES1E_IbLb0EEEEDaS1A_S1B_EUlS1A_E_NS1_11comp_targetILNS1_3genE10ELNS1_11target_archE1200ELNS1_3gpuE4ELNS1_3repE0EEENS1_30default_config_static_selectorELNS0_4arch9wavefront6targetE1EEEvT1_,"axG",@progbits,_ZN7rocprim17ROCPRIM_400000_NS6detail17trampoline_kernelINS0_14default_configENS1_25partition_config_selectorILNS1_17partition_subalgoE2EsNS0_10empty_typeEbEEZZNS1_14partition_implILS5_2ELb0ES3_jN6thrust23THRUST_200600_302600_NS6detail15normal_iteratorINSA_7pointerIsNSA_11hip_rocprim3tagENSA_11use_defaultESG_EEEEPS6_NSA_18transform_iteratorINSA_8identityIsEENSC_INSA_10device_ptrIsEEEESG_SG_EENS0_5tupleIJPsSJ_EEENSR_IJSJ_SJ_EEES6_PlJS6_EEE10hipError_tPvRmT3_T4_T5_T6_T7_T9_mT8_P12ihipStream_tbDpT10_ENKUlT_T0_E_clISt17integral_constantIbLb1EES1E_IbLb0EEEEDaS1A_S1B_EUlS1A_E_NS1_11comp_targetILNS1_3genE10ELNS1_11target_archE1200ELNS1_3gpuE4ELNS1_3repE0EEENS1_30default_config_static_selectorELNS0_4arch9wavefront6targetE1EEEvT1_,comdat
	.protected	_ZN7rocprim17ROCPRIM_400000_NS6detail17trampoline_kernelINS0_14default_configENS1_25partition_config_selectorILNS1_17partition_subalgoE2EsNS0_10empty_typeEbEEZZNS1_14partition_implILS5_2ELb0ES3_jN6thrust23THRUST_200600_302600_NS6detail15normal_iteratorINSA_7pointerIsNSA_11hip_rocprim3tagENSA_11use_defaultESG_EEEEPS6_NSA_18transform_iteratorINSA_8identityIsEENSC_INSA_10device_ptrIsEEEESG_SG_EENS0_5tupleIJPsSJ_EEENSR_IJSJ_SJ_EEES6_PlJS6_EEE10hipError_tPvRmT3_T4_T5_T6_T7_T9_mT8_P12ihipStream_tbDpT10_ENKUlT_T0_E_clISt17integral_constantIbLb1EES1E_IbLb0EEEEDaS1A_S1B_EUlS1A_E_NS1_11comp_targetILNS1_3genE10ELNS1_11target_archE1200ELNS1_3gpuE4ELNS1_3repE0EEENS1_30default_config_static_selectorELNS0_4arch9wavefront6targetE1EEEvT1_ ; -- Begin function _ZN7rocprim17ROCPRIM_400000_NS6detail17trampoline_kernelINS0_14default_configENS1_25partition_config_selectorILNS1_17partition_subalgoE2EsNS0_10empty_typeEbEEZZNS1_14partition_implILS5_2ELb0ES3_jN6thrust23THRUST_200600_302600_NS6detail15normal_iteratorINSA_7pointerIsNSA_11hip_rocprim3tagENSA_11use_defaultESG_EEEEPS6_NSA_18transform_iteratorINSA_8identityIsEENSC_INSA_10device_ptrIsEEEESG_SG_EENS0_5tupleIJPsSJ_EEENSR_IJSJ_SJ_EEES6_PlJS6_EEE10hipError_tPvRmT3_T4_T5_T6_T7_T9_mT8_P12ihipStream_tbDpT10_ENKUlT_T0_E_clISt17integral_constantIbLb1EES1E_IbLb0EEEEDaS1A_S1B_EUlS1A_E_NS1_11comp_targetILNS1_3genE10ELNS1_11target_archE1200ELNS1_3gpuE4ELNS1_3repE0EEENS1_30default_config_static_selectorELNS0_4arch9wavefront6targetE1EEEvT1_
	.globl	_ZN7rocprim17ROCPRIM_400000_NS6detail17trampoline_kernelINS0_14default_configENS1_25partition_config_selectorILNS1_17partition_subalgoE2EsNS0_10empty_typeEbEEZZNS1_14partition_implILS5_2ELb0ES3_jN6thrust23THRUST_200600_302600_NS6detail15normal_iteratorINSA_7pointerIsNSA_11hip_rocprim3tagENSA_11use_defaultESG_EEEEPS6_NSA_18transform_iteratorINSA_8identityIsEENSC_INSA_10device_ptrIsEEEESG_SG_EENS0_5tupleIJPsSJ_EEENSR_IJSJ_SJ_EEES6_PlJS6_EEE10hipError_tPvRmT3_T4_T5_T6_T7_T9_mT8_P12ihipStream_tbDpT10_ENKUlT_T0_E_clISt17integral_constantIbLb1EES1E_IbLb0EEEEDaS1A_S1B_EUlS1A_E_NS1_11comp_targetILNS1_3genE10ELNS1_11target_archE1200ELNS1_3gpuE4ELNS1_3repE0EEENS1_30default_config_static_selectorELNS0_4arch9wavefront6targetE1EEEvT1_
	.p2align	8
	.type	_ZN7rocprim17ROCPRIM_400000_NS6detail17trampoline_kernelINS0_14default_configENS1_25partition_config_selectorILNS1_17partition_subalgoE2EsNS0_10empty_typeEbEEZZNS1_14partition_implILS5_2ELb0ES3_jN6thrust23THRUST_200600_302600_NS6detail15normal_iteratorINSA_7pointerIsNSA_11hip_rocprim3tagENSA_11use_defaultESG_EEEEPS6_NSA_18transform_iteratorINSA_8identityIsEENSC_INSA_10device_ptrIsEEEESG_SG_EENS0_5tupleIJPsSJ_EEENSR_IJSJ_SJ_EEES6_PlJS6_EEE10hipError_tPvRmT3_T4_T5_T6_T7_T9_mT8_P12ihipStream_tbDpT10_ENKUlT_T0_E_clISt17integral_constantIbLb1EES1E_IbLb0EEEEDaS1A_S1B_EUlS1A_E_NS1_11comp_targetILNS1_3genE10ELNS1_11target_archE1200ELNS1_3gpuE4ELNS1_3repE0EEENS1_30default_config_static_selectorELNS0_4arch9wavefront6targetE1EEEvT1_,@function
_ZN7rocprim17ROCPRIM_400000_NS6detail17trampoline_kernelINS0_14default_configENS1_25partition_config_selectorILNS1_17partition_subalgoE2EsNS0_10empty_typeEbEEZZNS1_14partition_implILS5_2ELb0ES3_jN6thrust23THRUST_200600_302600_NS6detail15normal_iteratorINSA_7pointerIsNSA_11hip_rocprim3tagENSA_11use_defaultESG_EEEEPS6_NSA_18transform_iteratorINSA_8identityIsEENSC_INSA_10device_ptrIsEEEESG_SG_EENS0_5tupleIJPsSJ_EEENSR_IJSJ_SJ_EEES6_PlJS6_EEE10hipError_tPvRmT3_T4_T5_T6_T7_T9_mT8_P12ihipStream_tbDpT10_ENKUlT_T0_E_clISt17integral_constantIbLb1EES1E_IbLb0EEEEDaS1A_S1B_EUlS1A_E_NS1_11comp_targetILNS1_3genE10ELNS1_11target_archE1200ELNS1_3gpuE4ELNS1_3repE0EEENS1_30default_config_static_selectorELNS0_4arch9wavefront6targetE1EEEvT1_: ; @_ZN7rocprim17ROCPRIM_400000_NS6detail17trampoline_kernelINS0_14default_configENS1_25partition_config_selectorILNS1_17partition_subalgoE2EsNS0_10empty_typeEbEEZZNS1_14partition_implILS5_2ELb0ES3_jN6thrust23THRUST_200600_302600_NS6detail15normal_iteratorINSA_7pointerIsNSA_11hip_rocprim3tagENSA_11use_defaultESG_EEEEPS6_NSA_18transform_iteratorINSA_8identityIsEENSC_INSA_10device_ptrIsEEEESG_SG_EENS0_5tupleIJPsSJ_EEENSR_IJSJ_SJ_EEES6_PlJS6_EEE10hipError_tPvRmT3_T4_T5_T6_T7_T9_mT8_P12ihipStream_tbDpT10_ENKUlT_T0_E_clISt17integral_constantIbLb1EES1E_IbLb0EEEEDaS1A_S1B_EUlS1A_E_NS1_11comp_targetILNS1_3genE10ELNS1_11target_archE1200ELNS1_3gpuE4ELNS1_3repE0EEENS1_30default_config_static_selectorELNS0_4arch9wavefront6targetE1EEEvT1_
; %bb.0:
	.section	.rodata,"a",@progbits
	.p2align	6, 0x0
	.amdhsa_kernel _ZN7rocprim17ROCPRIM_400000_NS6detail17trampoline_kernelINS0_14default_configENS1_25partition_config_selectorILNS1_17partition_subalgoE2EsNS0_10empty_typeEbEEZZNS1_14partition_implILS5_2ELb0ES3_jN6thrust23THRUST_200600_302600_NS6detail15normal_iteratorINSA_7pointerIsNSA_11hip_rocprim3tagENSA_11use_defaultESG_EEEEPS6_NSA_18transform_iteratorINSA_8identityIsEENSC_INSA_10device_ptrIsEEEESG_SG_EENS0_5tupleIJPsSJ_EEENSR_IJSJ_SJ_EEES6_PlJS6_EEE10hipError_tPvRmT3_T4_T5_T6_T7_T9_mT8_P12ihipStream_tbDpT10_ENKUlT_T0_E_clISt17integral_constantIbLb1EES1E_IbLb0EEEEDaS1A_S1B_EUlS1A_E_NS1_11comp_targetILNS1_3genE10ELNS1_11target_archE1200ELNS1_3gpuE4ELNS1_3repE0EEENS1_30default_config_static_selectorELNS0_4arch9wavefront6targetE1EEEvT1_
		.amdhsa_group_segment_fixed_size 0
		.amdhsa_private_segment_fixed_size 0
		.amdhsa_kernarg_size 128
		.amdhsa_user_sgpr_count 6
		.amdhsa_user_sgpr_private_segment_buffer 1
		.amdhsa_user_sgpr_dispatch_ptr 0
		.amdhsa_user_sgpr_queue_ptr 0
		.amdhsa_user_sgpr_kernarg_segment_ptr 1
		.amdhsa_user_sgpr_dispatch_id 0
		.amdhsa_user_sgpr_flat_scratch_init 0
		.amdhsa_user_sgpr_kernarg_preload_length 0
		.amdhsa_user_sgpr_kernarg_preload_offset 0
		.amdhsa_user_sgpr_private_segment_size 0
		.amdhsa_uses_dynamic_stack 0
		.amdhsa_system_sgpr_private_segment_wavefront_offset 0
		.amdhsa_system_sgpr_workgroup_id_x 1
		.amdhsa_system_sgpr_workgroup_id_y 0
		.amdhsa_system_sgpr_workgroup_id_z 0
		.amdhsa_system_sgpr_workgroup_info 0
		.amdhsa_system_vgpr_workitem_id 0
		.amdhsa_next_free_vgpr 1
		.amdhsa_next_free_sgpr 0
		.amdhsa_accum_offset 4
		.amdhsa_reserve_vcc 0
		.amdhsa_reserve_flat_scratch 0
		.amdhsa_float_round_mode_32 0
		.amdhsa_float_round_mode_16_64 0
		.amdhsa_float_denorm_mode_32 3
		.amdhsa_float_denorm_mode_16_64 3
		.amdhsa_dx10_clamp 1
		.amdhsa_ieee_mode 1
		.amdhsa_fp16_overflow 0
		.amdhsa_tg_split 0
		.amdhsa_exception_fp_ieee_invalid_op 0
		.amdhsa_exception_fp_denorm_src 0
		.amdhsa_exception_fp_ieee_div_zero 0
		.amdhsa_exception_fp_ieee_overflow 0
		.amdhsa_exception_fp_ieee_underflow 0
		.amdhsa_exception_fp_ieee_inexact 0
		.amdhsa_exception_int_div_zero 0
	.end_amdhsa_kernel
	.section	.text._ZN7rocprim17ROCPRIM_400000_NS6detail17trampoline_kernelINS0_14default_configENS1_25partition_config_selectorILNS1_17partition_subalgoE2EsNS0_10empty_typeEbEEZZNS1_14partition_implILS5_2ELb0ES3_jN6thrust23THRUST_200600_302600_NS6detail15normal_iteratorINSA_7pointerIsNSA_11hip_rocprim3tagENSA_11use_defaultESG_EEEEPS6_NSA_18transform_iteratorINSA_8identityIsEENSC_INSA_10device_ptrIsEEEESG_SG_EENS0_5tupleIJPsSJ_EEENSR_IJSJ_SJ_EEES6_PlJS6_EEE10hipError_tPvRmT3_T4_T5_T6_T7_T9_mT8_P12ihipStream_tbDpT10_ENKUlT_T0_E_clISt17integral_constantIbLb1EES1E_IbLb0EEEEDaS1A_S1B_EUlS1A_E_NS1_11comp_targetILNS1_3genE10ELNS1_11target_archE1200ELNS1_3gpuE4ELNS1_3repE0EEENS1_30default_config_static_selectorELNS0_4arch9wavefront6targetE1EEEvT1_,"axG",@progbits,_ZN7rocprim17ROCPRIM_400000_NS6detail17trampoline_kernelINS0_14default_configENS1_25partition_config_selectorILNS1_17partition_subalgoE2EsNS0_10empty_typeEbEEZZNS1_14partition_implILS5_2ELb0ES3_jN6thrust23THRUST_200600_302600_NS6detail15normal_iteratorINSA_7pointerIsNSA_11hip_rocprim3tagENSA_11use_defaultESG_EEEEPS6_NSA_18transform_iteratorINSA_8identityIsEENSC_INSA_10device_ptrIsEEEESG_SG_EENS0_5tupleIJPsSJ_EEENSR_IJSJ_SJ_EEES6_PlJS6_EEE10hipError_tPvRmT3_T4_T5_T6_T7_T9_mT8_P12ihipStream_tbDpT10_ENKUlT_T0_E_clISt17integral_constantIbLb1EES1E_IbLb0EEEEDaS1A_S1B_EUlS1A_E_NS1_11comp_targetILNS1_3genE10ELNS1_11target_archE1200ELNS1_3gpuE4ELNS1_3repE0EEENS1_30default_config_static_selectorELNS0_4arch9wavefront6targetE1EEEvT1_,comdat
.Lfunc_end566:
	.size	_ZN7rocprim17ROCPRIM_400000_NS6detail17trampoline_kernelINS0_14default_configENS1_25partition_config_selectorILNS1_17partition_subalgoE2EsNS0_10empty_typeEbEEZZNS1_14partition_implILS5_2ELb0ES3_jN6thrust23THRUST_200600_302600_NS6detail15normal_iteratorINSA_7pointerIsNSA_11hip_rocprim3tagENSA_11use_defaultESG_EEEEPS6_NSA_18transform_iteratorINSA_8identityIsEENSC_INSA_10device_ptrIsEEEESG_SG_EENS0_5tupleIJPsSJ_EEENSR_IJSJ_SJ_EEES6_PlJS6_EEE10hipError_tPvRmT3_T4_T5_T6_T7_T9_mT8_P12ihipStream_tbDpT10_ENKUlT_T0_E_clISt17integral_constantIbLb1EES1E_IbLb0EEEEDaS1A_S1B_EUlS1A_E_NS1_11comp_targetILNS1_3genE10ELNS1_11target_archE1200ELNS1_3gpuE4ELNS1_3repE0EEENS1_30default_config_static_selectorELNS0_4arch9wavefront6targetE1EEEvT1_, .Lfunc_end566-_ZN7rocprim17ROCPRIM_400000_NS6detail17trampoline_kernelINS0_14default_configENS1_25partition_config_selectorILNS1_17partition_subalgoE2EsNS0_10empty_typeEbEEZZNS1_14partition_implILS5_2ELb0ES3_jN6thrust23THRUST_200600_302600_NS6detail15normal_iteratorINSA_7pointerIsNSA_11hip_rocprim3tagENSA_11use_defaultESG_EEEEPS6_NSA_18transform_iteratorINSA_8identityIsEENSC_INSA_10device_ptrIsEEEESG_SG_EENS0_5tupleIJPsSJ_EEENSR_IJSJ_SJ_EEES6_PlJS6_EEE10hipError_tPvRmT3_T4_T5_T6_T7_T9_mT8_P12ihipStream_tbDpT10_ENKUlT_T0_E_clISt17integral_constantIbLb1EES1E_IbLb0EEEEDaS1A_S1B_EUlS1A_E_NS1_11comp_targetILNS1_3genE10ELNS1_11target_archE1200ELNS1_3gpuE4ELNS1_3repE0EEENS1_30default_config_static_selectorELNS0_4arch9wavefront6targetE1EEEvT1_
                                        ; -- End function
	.section	.AMDGPU.csdata,"",@progbits
; Kernel info:
; codeLenInByte = 0
; NumSgprs: 4
; NumVgprs: 0
; NumAgprs: 0
; TotalNumVgprs: 0
; ScratchSize: 0
; MemoryBound: 0
; FloatMode: 240
; IeeeMode: 1
; LDSByteSize: 0 bytes/workgroup (compile time only)
; SGPRBlocks: 0
; VGPRBlocks: 0
; NumSGPRsForWavesPerEU: 4
; NumVGPRsForWavesPerEU: 1
; AccumOffset: 4
; Occupancy: 8
; WaveLimiterHint : 0
; COMPUTE_PGM_RSRC2:SCRATCH_EN: 0
; COMPUTE_PGM_RSRC2:USER_SGPR: 6
; COMPUTE_PGM_RSRC2:TRAP_HANDLER: 0
; COMPUTE_PGM_RSRC2:TGID_X_EN: 1
; COMPUTE_PGM_RSRC2:TGID_Y_EN: 0
; COMPUTE_PGM_RSRC2:TGID_Z_EN: 0
; COMPUTE_PGM_RSRC2:TIDIG_COMP_CNT: 0
; COMPUTE_PGM_RSRC3_GFX90A:ACCUM_OFFSET: 0
; COMPUTE_PGM_RSRC3_GFX90A:TG_SPLIT: 0
	.section	.text._ZN7rocprim17ROCPRIM_400000_NS6detail17trampoline_kernelINS0_14default_configENS1_25partition_config_selectorILNS1_17partition_subalgoE2EsNS0_10empty_typeEbEEZZNS1_14partition_implILS5_2ELb0ES3_jN6thrust23THRUST_200600_302600_NS6detail15normal_iteratorINSA_7pointerIsNSA_11hip_rocprim3tagENSA_11use_defaultESG_EEEEPS6_NSA_18transform_iteratorINSA_8identityIsEENSC_INSA_10device_ptrIsEEEESG_SG_EENS0_5tupleIJPsSJ_EEENSR_IJSJ_SJ_EEES6_PlJS6_EEE10hipError_tPvRmT3_T4_T5_T6_T7_T9_mT8_P12ihipStream_tbDpT10_ENKUlT_T0_E_clISt17integral_constantIbLb1EES1E_IbLb0EEEEDaS1A_S1B_EUlS1A_E_NS1_11comp_targetILNS1_3genE9ELNS1_11target_archE1100ELNS1_3gpuE3ELNS1_3repE0EEENS1_30default_config_static_selectorELNS0_4arch9wavefront6targetE1EEEvT1_,"axG",@progbits,_ZN7rocprim17ROCPRIM_400000_NS6detail17trampoline_kernelINS0_14default_configENS1_25partition_config_selectorILNS1_17partition_subalgoE2EsNS0_10empty_typeEbEEZZNS1_14partition_implILS5_2ELb0ES3_jN6thrust23THRUST_200600_302600_NS6detail15normal_iteratorINSA_7pointerIsNSA_11hip_rocprim3tagENSA_11use_defaultESG_EEEEPS6_NSA_18transform_iteratorINSA_8identityIsEENSC_INSA_10device_ptrIsEEEESG_SG_EENS0_5tupleIJPsSJ_EEENSR_IJSJ_SJ_EEES6_PlJS6_EEE10hipError_tPvRmT3_T4_T5_T6_T7_T9_mT8_P12ihipStream_tbDpT10_ENKUlT_T0_E_clISt17integral_constantIbLb1EES1E_IbLb0EEEEDaS1A_S1B_EUlS1A_E_NS1_11comp_targetILNS1_3genE9ELNS1_11target_archE1100ELNS1_3gpuE3ELNS1_3repE0EEENS1_30default_config_static_selectorELNS0_4arch9wavefront6targetE1EEEvT1_,comdat
	.protected	_ZN7rocprim17ROCPRIM_400000_NS6detail17trampoline_kernelINS0_14default_configENS1_25partition_config_selectorILNS1_17partition_subalgoE2EsNS0_10empty_typeEbEEZZNS1_14partition_implILS5_2ELb0ES3_jN6thrust23THRUST_200600_302600_NS6detail15normal_iteratorINSA_7pointerIsNSA_11hip_rocprim3tagENSA_11use_defaultESG_EEEEPS6_NSA_18transform_iteratorINSA_8identityIsEENSC_INSA_10device_ptrIsEEEESG_SG_EENS0_5tupleIJPsSJ_EEENSR_IJSJ_SJ_EEES6_PlJS6_EEE10hipError_tPvRmT3_T4_T5_T6_T7_T9_mT8_P12ihipStream_tbDpT10_ENKUlT_T0_E_clISt17integral_constantIbLb1EES1E_IbLb0EEEEDaS1A_S1B_EUlS1A_E_NS1_11comp_targetILNS1_3genE9ELNS1_11target_archE1100ELNS1_3gpuE3ELNS1_3repE0EEENS1_30default_config_static_selectorELNS0_4arch9wavefront6targetE1EEEvT1_ ; -- Begin function _ZN7rocprim17ROCPRIM_400000_NS6detail17trampoline_kernelINS0_14default_configENS1_25partition_config_selectorILNS1_17partition_subalgoE2EsNS0_10empty_typeEbEEZZNS1_14partition_implILS5_2ELb0ES3_jN6thrust23THRUST_200600_302600_NS6detail15normal_iteratorINSA_7pointerIsNSA_11hip_rocprim3tagENSA_11use_defaultESG_EEEEPS6_NSA_18transform_iteratorINSA_8identityIsEENSC_INSA_10device_ptrIsEEEESG_SG_EENS0_5tupleIJPsSJ_EEENSR_IJSJ_SJ_EEES6_PlJS6_EEE10hipError_tPvRmT3_T4_T5_T6_T7_T9_mT8_P12ihipStream_tbDpT10_ENKUlT_T0_E_clISt17integral_constantIbLb1EES1E_IbLb0EEEEDaS1A_S1B_EUlS1A_E_NS1_11comp_targetILNS1_3genE9ELNS1_11target_archE1100ELNS1_3gpuE3ELNS1_3repE0EEENS1_30default_config_static_selectorELNS0_4arch9wavefront6targetE1EEEvT1_
	.globl	_ZN7rocprim17ROCPRIM_400000_NS6detail17trampoline_kernelINS0_14default_configENS1_25partition_config_selectorILNS1_17partition_subalgoE2EsNS0_10empty_typeEbEEZZNS1_14partition_implILS5_2ELb0ES3_jN6thrust23THRUST_200600_302600_NS6detail15normal_iteratorINSA_7pointerIsNSA_11hip_rocprim3tagENSA_11use_defaultESG_EEEEPS6_NSA_18transform_iteratorINSA_8identityIsEENSC_INSA_10device_ptrIsEEEESG_SG_EENS0_5tupleIJPsSJ_EEENSR_IJSJ_SJ_EEES6_PlJS6_EEE10hipError_tPvRmT3_T4_T5_T6_T7_T9_mT8_P12ihipStream_tbDpT10_ENKUlT_T0_E_clISt17integral_constantIbLb1EES1E_IbLb0EEEEDaS1A_S1B_EUlS1A_E_NS1_11comp_targetILNS1_3genE9ELNS1_11target_archE1100ELNS1_3gpuE3ELNS1_3repE0EEENS1_30default_config_static_selectorELNS0_4arch9wavefront6targetE1EEEvT1_
	.p2align	8
	.type	_ZN7rocprim17ROCPRIM_400000_NS6detail17trampoline_kernelINS0_14default_configENS1_25partition_config_selectorILNS1_17partition_subalgoE2EsNS0_10empty_typeEbEEZZNS1_14partition_implILS5_2ELb0ES3_jN6thrust23THRUST_200600_302600_NS6detail15normal_iteratorINSA_7pointerIsNSA_11hip_rocprim3tagENSA_11use_defaultESG_EEEEPS6_NSA_18transform_iteratorINSA_8identityIsEENSC_INSA_10device_ptrIsEEEESG_SG_EENS0_5tupleIJPsSJ_EEENSR_IJSJ_SJ_EEES6_PlJS6_EEE10hipError_tPvRmT3_T4_T5_T6_T7_T9_mT8_P12ihipStream_tbDpT10_ENKUlT_T0_E_clISt17integral_constantIbLb1EES1E_IbLb0EEEEDaS1A_S1B_EUlS1A_E_NS1_11comp_targetILNS1_3genE9ELNS1_11target_archE1100ELNS1_3gpuE3ELNS1_3repE0EEENS1_30default_config_static_selectorELNS0_4arch9wavefront6targetE1EEEvT1_,@function
_ZN7rocprim17ROCPRIM_400000_NS6detail17trampoline_kernelINS0_14default_configENS1_25partition_config_selectorILNS1_17partition_subalgoE2EsNS0_10empty_typeEbEEZZNS1_14partition_implILS5_2ELb0ES3_jN6thrust23THRUST_200600_302600_NS6detail15normal_iteratorINSA_7pointerIsNSA_11hip_rocprim3tagENSA_11use_defaultESG_EEEEPS6_NSA_18transform_iteratorINSA_8identityIsEENSC_INSA_10device_ptrIsEEEESG_SG_EENS0_5tupleIJPsSJ_EEENSR_IJSJ_SJ_EEES6_PlJS6_EEE10hipError_tPvRmT3_T4_T5_T6_T7_T9_mT8_P12ihipStream_tbDpT10_ENKUlT_T0_E_clISt17integral_constantIbLb1EES1E_IbLb0EEEEDaS1A_S1B_EUlS1A_E_NS1_11comp_targetILNS1_3genE9ELNS1_11target_archE1100ELNS1_3gpuE3ELNS1_3repE0EEENS1_30default_config_static_selectorELNS0_4arch9wavefront6targetE1EEEvT1_: ; @_ZN7rocprim17ROCPRIM_400000_NS6detail17trampoline_kernelINS0_14default_configENS1_25partition_config_selectorILNS1_17partition_subalgoE2EsNS0_10empty_typeEbEEZZNS1_14partition_implILS5_2ELb0ES3_jN6thrust23THRUST_200600_302600_NS6detail15normal_iteratorINSA_7pointerIsNSA_11hip_rocprim3tagENSA_11use_defaultESG_EEEEPS6_NSA_18transform_iteratorINSA_8identityIsEENSC_INSA_10device_ptrIsEEEESG_SG_EENS0_5tupleIJPsSJ_EEENSR_IJSJ_SJ_EEES6_PlJS6_EEE10hipError_tPvRmT3_T4_T5_T6_T7_T9_mT8_P12ihipStream_tbDpT10_ENKUlT_T0_E_clISt17integral_constantIbLb1EES1E_IbLb0EEEEDaS1A_S1B_EUlS1A_E_NS1_11comp_targetILNS1_3genE9ELNS1_11target_archE1100ELNS1_3gpuE3ELNS1_3repE0EEENS1_30default_config_static_selectorELNS0_4arch9wavefront6targetE1EEEvT1_
; %bb.0:
	.section	.rodata,"a",@progbits
	.p2align	6, 0x0
	.amdhsa_kernel _ZN7rocprim17ROCPRIM_400000_NS6detail17trampoline_kernelINS0_14default_configENS1_25partition_config_selectorILNS1_17partition_subalgoE2EsNS0_10empty_typeEbEEZZNS1_14partition_implILS5_2ELb0ES3_jN6thrust23THRUST_200600_302600_NS6detail15normal_iteratorINSA_7pointerIsNSA_11hip_rocprim3tagENSA_11use_defaultESG_EEEEPS6_NSA_18transform_iteratorINSA_8identityIsEENSC_INSA_10device_ptrIsEEEESG_SG_EENS0_5tupleIJPsSJ_EEENSR_IJSJ_SJ_EEES6_PlJS6_EEE10hipError_tPvRmT3_T4_T5_T6_T7_T9_mT8_P12ihipStream_tbDpT10_ENKUlT_T0_E_clISt17integral_constantIbLb1EES1E_IbLb0EEEEDaS1A_S1B_EUlS1A_E_NS1_11comp_targetILNS1_3genE9ELNS1_11target_archE1100ELNS1_3gpuE3ELNS1_3repE0EEENS1_30default_config_static_selectorELNS0_4arch9wavefront6targetE1EEEvT1_
		.amdhsa_group_segment_fixed_size 0
		.amdhsa_private_segment_fixed_size 0
		.amdhsa_kernarg_size 128
		.amdhsa_user_sgpr_count 6
		.amdhsa_user_sgpr_private_segment_buffer 1
		.amdhsa_user_sgpr_dispatch_ptr 0
		.amdhsa_user_sgpr_queue_ptr 0
		.amdhsa_user_sgpr_kernarg_segment_ptr 1
		.amdhsa_user_sgpr_dispatch_id 0
		.amdhsa_user_sgpr_flat_scratch_init 0
		.amdhsa_user_sgpr_kernarg_preload_length 0
		.amdhsa_user_sgpr_kernarg_preload_offset 0
		.amdhsa_user_sgpr_private_segment_size 0
		.amdhsa_uses_dynamic_stack 0
		.amdhsa_system_sgpr_private_segment_wavefront_offset 0
		.amdhsa_system_sgpr_workgroup_id_x 1
		.amdhsa_system_sgpr_workgroup_id_y 0
		.amdhsa_system_sgpr_workgroup_id_z 0
		.amdhsa_system_sgpr_workgroup_info 0
		.amdhsa_system_vgpr_workitem_id 0
		.amdhsa_next_free_vgpr 1
		.amdhsa_next_free_sgpr 0
		.amdhsa_accum_offset 4
		.amdhsa_reserve_vcc 0
		.amdhsa_reserve_flat_scratch 0
		.amdhsa_float_round_mode_32 0
		.amdhsa_float_round_mode_16_64 0
		.amdhsa_float_denorm_mode_32 3
		.amdhsa_float_denorm_mode_16_64 3
		.amdhsa_dx10_clamp 1
		.amdhsa_ieee_mode 1
		.amdhsa_fp16_overflow 0
		.amdhsa_tg_split 0
		.amdhsa_exception_fp_ieee_invalid_op 0
		.amdhsa_exception_fp_denorm_src 0
		.amdhsa_exception_fp_ieee_div_zero 0
		.amdhsa_exception_fp_ieee_overflow 0
		.amdhsa_exception_fp_ieee_underflow 0
		.amdhsa_exception_fp_ieee_inexact 0
		.amdhsa_exception_int_div_zero 0
	.end_amdhsa_kernel
	.section	.text._ZN7rocprim17ROCPRIM_400000_NS6detail17trampoline_kernelINS0_14default_configENS1_25partition_config_selectorILNS1_17partition_subalgoE2EsNS0_10empty_typeEbEEZZNS1_14partition_implILS5_2ELb0ES3_jN6thrust23THRUST_200600_302600_NS6detail15normal_iteratorINSA_7pointerIsNSA_11hip_rocprim3tagENSA_11use_defaultESG_EEEEPS6_NSA_18transform_iteratorINSA_8identityIsEENSC_INSA_10device_ptrIsEEEESG_SG_EENS0_5tupleIJPsSJ_EEENSR_IJSJ_SJ_EEES6_PlJS6_EEE10hipError_tPvRmT3_T4_T5_T6_T7_T9_mT8_P12ihipStream_tbDpT10_ENKUlT_T0_E_clISt17integral_constantIbLb1EES1E_IbLb0EEEEDaS1A_S1B_EUlS1A_E_NS1_11comp_targetILNS1_3genE9ELNS1_11target_archE1100ELNS1_3gpuE3ELNS1_3repE0EEENS1_30default_config_static_selectorELNS0_4arch9wavefront6targetE1EEEvT1_,"axG",@progbits,_ZN7rocprim17ROCPRIM_400000_NS6detail17trampoline_kernelINS0_14default_configENS1_25partition_config_selectorILNS1_17partition_subalgoE2EsNS0_10empty_typeEbEEZZNS1_14partition_implILS5_2ELb0ES3_jN6thrust23THRUST_200600_302600_NS6detail15normal_iteratorINSA_7pointerIsNSA_11hip_rocprim3tagENSA_11use_defaultESG_EEEEPS6_NSA_18transform_iteratorINSA_8identityIsEENSC_INSA_10device_ptrIsEEEESG_SG_EENS0_5tupleIJPsSJ_EEENSR_IJSJ_SJ_EEES6_PlJS6_EEE10hipError_tPvRmT3_T4_T5_T6_T7_T9_mT8_P12ihipStream_tbDpT10_ENKUlT_T0_E_clISt17integral_constantIbLb1EES1E_IbLb0EEEEDaS1A_S1B_EUlS1A_E_NS1_11comp_targetILNS1_3genE9ELNS1_11target_archE1100ELNS1_3gpuE3ELNS1_3repE0EEENS1_30default_config_static_selectorELNS0_4arch9wavefront6targetE1EEEvT1_,comdat
.Lfunc_end567:
	.size	_ZN7rocprim17ROCPRIM_400000_NS6detail17trampoline_kernelINS0_14default_configENS1_25partition_config_selectorILNS1_17partition_subalgoE2EsNS0_10empty_typeEbEEZZNS1_14partition_implILS5_2ELb0ES3_jN6thrust23THRUST_200600_302600_NS6detail15normal_iteratorINSA_7pointerIsNSA_11hip_rocprim3tagENSA_11use_defaultESG_EEEEPS6_NSA_18transform_iteratorINSA_8identityIsEENSC_INSA_10device_ptrIsEEEESG_SG_EENS0_5tupleIJPsSJ_EEENSR_IJSJ_SJ_EEES6_PlJS6_EEE10hipError_tPvRmT3_T4_T5_T6_T7_T9_mT8_P12ihipStream_tbDpT10_ENKUlT_T0_E_clISt17integral_constantIbLb1EES1E_IbLb0EEEEDaS1A_S1B_EUlS1A_E_NS1_11comp_targetILNS1_3genE9ELNS1_11target_archE1100ELNS1_3gpuE3ELNS1_3repE0EEENS1_30default_config_static_selectorELNS0_4arch9wavefront6targetE1EEEvT1_, .Lfunc_end567-_ZN7rocprim17ROCPRIM_400000_NS6detail17trampoline_kernelINS0_14default_configENS1_25partition_config_selectorILNS1_17partition_subalgoE2EsNS0_10empty_typeEbEEZZNS1_14partition_implILS5_2ELb0ES3_jN6thrust23THRUST_200600_302600_NS6detail15normal_iteratorINSA_7pointerIsNSA_11hip_rocprim3tagENSA_11use_defaultESG_EEEEPS6_NSA_18transform_iteratorINSA_8identityIsEENSC_INSA_10device_ptrIsEEEESG_SG_EENS0_5tupleIJPsSJ_EEENSR_IJSJ_SJ_EEES6_PlJS6_EEE10hipError_tPvRmT3_T4_T5_T6_T7_T9_mT8_P12ihipStream_tbDpT10_ENKUlT_T0_E_clISt17integral_constantIbLb1EES1E_IbLb0EEEEDaS1A_S1B_EUlS1A_E_NS1_11comp_targetILNS1_3genE9ELNS1_11target_archE1100ELNS1_3gpuE3ELNS1_3repE0EEENS1_30default_config_static_selectorELNS0_4arch9wavefront6targetE1EEEvT1_
                                        ; -- End function
	.section	.AMDGPU.csdata,"",@progbits
; Kernel info:
; codeLenInByte = 0
; NumSgprs: 4
; NumVgprs: 0
; NumAgprs: 0
; TotalNumVgprs: 0
; ScratchSize: 0
; MemoryBound: 0
; FloatMode: 240
; IeeeMode: 1
; LDSByteSize: 0 bytes/workgroup (compile time only)
; SGPRBlocks: 0
; VGPRBlocks: 0
; NumSGPRsForWavesPerEU: 4
; NumVGPRsForWavesPerEU: 1
; AccumOffset: 4
; Occupancy: 8
; WaveLimiterHint : 0
; COMPUTE_PGM_RSRC2:SCRATCH_EN: 0
; COMPUTE_PGM_RSRC2:USER_SGPR: 6
; COMPUTE_PGM_RSRC2:TRAP_HANDLER: 0
; COMPUTE_PGM_RSRC2:TGID_X_EN: 1
; COMPUTE_PGM_RSRC2:TGID_Y_EN: 0
; COMPUTE_PGM_RSRC2:TGID_Z_EN: 0
; COMPUTE_PGM_RSRC2:TIDIG_COMP_CNT: 0
; COMPUTE_PGM_RSRC3_GFX90A:ACCUM_OFFSET: 0
; COMPUTE_PGM_RSRC3_GFX90A:TG_SPLIT: 0
	.section	.text._ZN7rocprim17ROCPRIM_400000_NS6detail17trampoline_kernelINS0_14default_configENS1_25partition_config_selectorILNS1_17partition_subalgoE2EsNS0_10empty_typeEbEEZZNS1_14partition_implILS5_2ELb0ES3_jN6thrust23THRUST_200600_302600_NS6detail15normal_iteratorINSA_7pointerIsNSA_11hip_rocprim3tagENSA_11use_defaultESG_EEEEPS6_NSA_18transform_iteratorINSA_8identityIsEENSC_INSA_10device_ptrIsEEEESG_SG_EENS0_5tupleIJPsSJ_EEENSR_IJSJ_SJ_EEES6_PlJS6_EEE10hipError_tPvRmT3_T4_T5_T6_T7_T9_mT8_P12ihipStream_tbDpT10_ENKUlT_T0_E_clISt17integral_constantIbLb1EES1E_IbLb0EEEEDaS1A_S1B_EUlS1A_E_NS1_11comp_targetILNS1_3genE8ELNS1_11target_archE1030ELNS1_3gpuE2ELNS1_3repE0EEENS1_30default_config_static_selectorELNS0_4arch9wavefront6targetE1EEEvT1_,"axG",@progbits,_ZN7rocprim17ROCPRIM_400000_NS6detail17trampoline_kernelINS0_14default_configENS1_25partition_config_selectorILNS1_17partition_subalgoE2EsNS0_10empty_typeEbEEZZNS1_14partition_implILS5_2ELb0ES3_jN6thrust23THRUST_200600_302600_NS6detail15normal_iteratorINSA_7pointerIsNSA_11hip_rocprim3tagENSA_11use_defaultESG_EEEEPS6_NSA_18transform_iteratorINSA_8identityIsEENSC_INSA_10device_ptrIsEEEESG_SG_EENS0_5tupleIJPsSJ_EEENSR_IJSJ_SJ_EEES6_PlJS6_EEE10hipError_tPvRmT3_T4_T5_T6_T7_T9_mT8_P12ihipStream_tbDpT10_ENKUlT_T0_E_clISt17integral_constantIbLb1EES1E_IbLb0EEEEDaS1A_S1B_EUlS1A_E_NS1_11comp_targetILNS1_3genE8ELNS1_11target_archE1030ELNS1_3gpuE2ELNS1_3repE0EEENS1_30default_config_static_selectorELNS0_4arch9wavefront6targetE1EEEvT1_,comdat
	.protected	_ZN7rocprim17ROCPRIM_400000_NS6detail17trampoline_kernelINS0_14default_configENS1_25partition_config_selectorILNS1_17partition_subalgoE2EsNS0_10empty_typeEbEEZZNS1_14partition_implILS5_2ELb0ES3_jN6thrust23THRUST_200600_302600_NS6detail15normal_iteratorINSA_7pointerIsNSA_11hip_rocprim3tagENSA_11use_defaultESG_EEEEPS6_NSA_18transform_iteratorINSA_8identityIsEENSC_INSA_10device_ptrIsEEEESG_SG_EENS0_5tupleIJPsSJ_EEENSR_IJSJ_SJ_EEES6_PlJS6_EEE10hipError_tPvRmT3_T4_T5_T6_T7_T9_mT8_P12ihipStream_tbDpT10_ENKUlT_T0_E_clISt17integral_constantIbLb1EES1E_IbLb0EEEEDaS1A_S1B_EUlS1A_E_NS1_11comp_targetILNS1_3genE8ELNS1_11target_archE1030ELNS1_3gpuE2ELNS1_3repE0EEENS1_30default_config_static_selectorELNS0_4arch9wavefront6targetE1EEEvT1_ ; -- Begin function _ZN7rocprim17ROCPRIM_400000_NS6detail17trampoline_kernelINS0_14default_configENS1_25partition_config_selectorILNS1_17partition_subalgoE2EsNS0_10empty_typeEbEEZZNS1_14partition_implILS5_2ELb0ES3_jN6thrust23THRUST_200600_302600_NS6detail15normal_iteratorINSA_7pointerIsNSA_11hip_rocprim3tagENSA_11use_defaultESG_EEEEPS6_NSA_18transform_iteratorINSA_8identityIsEENSC_INSA_10device_ptrIsEEEESG_SG_EENS0_5tupleIJPsSJ_EEENSR_IJSJ_SJ_EEES6_PlJS6_EEE10hipError_tPvRmT3_T4_T5_T6_T7_T9_mT8_P12ihipStream_tbDpT10_ENKUlT_T0_E_clISt17integral_constantIbLb1EES1E_IbLb0EEEEDaS1A_S1B_EUlS1A_E_NS1_11comp_targetILNS1_3genE8ELNS1_11target_archE1030ELNS1_3gpuE2ELNS1_3repE0EEENS1_30default_config_static_selectorELNS0_4arch9wavefront6targetE1EEEvT1_
	.globl	_ZN7rocprim17ROCPRIM_400000_NS6detail17trampoline_kernelINS0_14default_configENS1_25partition_config_selectorILNS1_17partition_subalgoE2EsNS0_10empty_typeEbEEZZNS1_14partition_implILS5_2ELb0ES3_jN6thrust23THRUST_200600_302600_NS6detail15normal_iteratorINSA_7pointerIsNSA_11hip_rocprim3tagENSA_11use_defaultESG_EEEEPS6_NSA_18transform_iteratorINSA_8identityIsEENSC_INSA_10device_ptrIsEEEESG_SG_EENS0_5tupleIJPsSJ_EEENSR_IJSJ_SJ_EEES6_PlJS6_EEE10hipError_tPvRmT3_T4_T5_T6_T7_T9_mT8_P12ihipStream_tbDpT10_ENKUlT_T0_E_clISt17integral_constantIbLb1EES1E_IbLb0EEEEDaS1A_S1B_EUlS1A_E_NS1_11comp_targetILNS1_3genE8ELNS1_11target_archE1030ELNS1_3gpuE2ELNS1_3repE0EEENS1_30default_config_static_selectorELNS0_4arch9wavefront6targetE1EEEvT1_
	.p2align	8
	.type	_ZN7rocprim17ROCPRIM_400000_NS6detail17trampoline_kernelINS0_14default_configENS1_25partition_config_selectorILNS1_17partition_subalgoE2EsNS0_10empty_typeEbEEZZNS1_14partition_implILS5_2ELb0ES3_jN6thrust23THRUST_200600_302600_NS6detail15normal_iteratorINSA_7pointerIsNSA_11hip_rocprim3tagENSA_11use_defaultESG_EEEEPS6_NSA_18transform_iteratorINSA_8identityIsEENSC_INSA_10device_ptrIsEEEESG_SG_EENS0_5tupleIJPsSJ_EEENSR_IJSJ_SJ_EEES6_PlJS6_EEE10hipError_tPvRmT3_T4_T5_T6_T7_T9_mT8_P12ihipStream_tbDpT10_ENKUlT_T0_E_clISt17integral_constantIbLb1EES1E_IbLb0EEEEDaS1A_S1B_EUlS1A_E_NS1_11comp_targetILNS1_3genE8ELNS1_11target_archE1030ELNS1_3gpuE2ELNS1_3repE0EEENS1_30default_config_static_selectorELNS0_4arch9wavefront6targetE1EEEvT1_,@function
_ZN7rocprim17ROCPRIM_400000_NS6detail17trampoline_kernelINS0_14default_configENS1_25partition_config_selectorILNS1_17partition_subalgoE2EsNS0_10empty_typeEbEEZZNS1_14partition_implILS5_2ELb0ES3_jN6thrust23THRUST_200600_302600_NS6detail15normal_iteratorINSA_7pointerIsNSA_11hip_rocprim3tagENSA_11use_defaultESG_EEEEPS6_NSA_18transform_iteratorINSA_8identityIsEENSC_INSA_10device_ptrIsEEEESG_SG_EENS0_5tupleIJPsSJ_EEENSR_IJSJ_SJ_EEES6_PlJS6_EEE10hipError_tPvRmT3_T4_T5_T6_T7_T9_mT8_P12ihipStream_tbDpT10_ENKUlT_T0_E_clISt17integral_constantIbLb1EES1E_IbLb0EEEEDaS1A_S1B_EUlS1A_E_NS1_11comp_targetILNS1_3genE8ELNS1_11target_archE1030ELNS1_3gpuE2ELNS1_3repE0EEENS1_30default_config_static_selectorELNS0_4arch9wavefront6targetE1EEEvT1_: ; @_ZN7rocprim17ROCPRIM_400000_NS6detail17trampoline_kernelINS0_14default_configENS1_25partition_config_selectorILNS1_17partition_subalgoE2EsNS0_10empty_typeEbEEZZNS1_14partition_implILS5_2ELb0ES3_jN6thrust23THRUST_200600_302600_NS6detail15normal_iteratorINSA_7pointerIsNSA_11hip_rocprim3tagENSA_11use_defaultESG_EEEEPS6_NSA_18transform_iteratorINSA_8identityIsEENSC_INSA_10device_ptrIsEEEESG_SG_EENS0_5tupleIJPsSJ_EEENSR_IJSJ_SJ_EEES6_PlJS6_EEE10hipError_tPvRmT3_T4_T5_T6_T7_T9_mT8_P12ihipStream_tbDpT10_ENKUlT_T0_E_clISt17integral_constantIbLb1EES1E_IbLb0EEEEDaS1A_S1B_EUlS1A_E_NS1_11comp_targetILNS1_3genE8ELNS1_11target_archE1030ELNS1_3gpuE2ELNS1_3repE0EEENS1_30default_config_static_selectorELNS0_4arch9wavefront6targetE1EEEvT1_
; %bb.0:
	.section	.rodata,"a",@progbits
	.p2align	6, 0x0
	.amdhsa_kernel _ZN7rocprim17ROCPRIM_400000_NS6detail17trampoline_kernelINS0_14default_configENS1_25partition_config_selectorILNS1_17partition_subalgoE2EsNS0_10empty_typeEbEEZZNS1_14partition_implILS5_2ELb0ES3_jN6thrust23THRUST_200600_302600_NS6detail15normal_iteratorINSA_7pointerIsNSA_11hip_rocprim3tagENSA_11use_defaultESG_EEEEPS6_NSA_18transform_iteratorINSA_8identityIsEENSC_INSA_10device_ptrIsEEEESG_SG_EENS0_5tupleIJPsSJ_EEENSR_IJSJ_SJ_EEES6_PlJS6_EEE10hipError_tPvRmT3_T4_T5_T6_T7_T9_mT8_P12ihipStream_tbDpT10_ENKUlT_T0_E_clISt17integral_constantIbLb1EES1E_IbLb0EEEEDaS1A_S1B_EUlS1A_E_NS1_11comp_targetILNS1_3genE8ELNS1_11target_archE1030ELNS1_3gpuE2ELNS1_3repE0EEENS1_30default_config_static_selectorELNS0_4arch9wavefront6targetE1EEEvT1_
		.amdhsa_group_segment_fixed_size 0
		.amdhsa_private_segment_fixed_size 0
		.amdhsa_kernarg_size 128
		.amdhsa_user_sgpr_count 6
		.amdhsa_user_sgpr_private_segment_buffer 1
		.amdhsa_user_sgpr_dispatch_ptr 0
		.amdhsa_user_sgpr_queue_ptr 0
		.amdhsa_user_sgpr_kernarg_segment_ptr 1
		.amdhsa_user_sgpr_dispatch_id 0
		.amdhsa_user_sgpr_flat_scratch_init 0
		.amdhsa_user_sgpr_kernarg_preload_length 0
		.amdhsa_user_sgpr_kernarg_preload_offset 0
		.amdhsa_user_sgpr_private_segment_size 0
		.amdhsa_uses_dynamic_stack 0
		.amdhsa_system_sgpr_private_segment_wavefront_offset 0
		.amdhsa_system_sgpr_workgroup_id_x 1
		.amdhsa_system_sgpr_workgroup_id_y 0
		.amdhsa_system_sgpr_workgroup_id_z 0
		.amdhsa_system_sgpr_workgroup_info 0
		.amdhsa_system_vgpr_workitem_id 0
		.amdhsa_next_free_vgpr 1
		.amdhsa_next_free_sgpr 0
		.amdhsa_accum_offset 4
		.amdhsa_reserve_vcc 0
		.amdhsa_reserve_flat_scratch 0
		.amdhsa_float_round_mode_32 0
		.amdhsa_float_round_mode_16_64 0
		.amdhsa_float_denorm_mode_32 3
		.amdhsa_float_denorm_mode_16_64 3
		.amdhsa_dx10_clamp 1
		.amdhsa_ieee_mode 1
		.amdhsa_fp16_overflow 0
		.amdhsa_tg_split 0
		.amdhsa_exception_fp_ieee_invalid_op 0
		.amdhsa_exception_fp_denorm_src 0
		.amdhsa_exception_fp_ieee_div_zero 0
		.amdhsa_exception_fp_ieee_overflow 0
		.amdhsa_exception_fp_ieee_underflow 0
		.amdhsa_exception_fp_ieee_inexact 0
		.amdhsa_exception_int_div_zero 0
	.end_amdhsa_kernel
	.section	.text._ZN7rocprim17ROCPRIM_400000_NS6detail17trampoline_kernelINS0_14default_configENS1_25partition_config_selectorILNS1_17partition_subalgoE2EsNS0_10empty_typeEbEEZZNS1_14partition_implILS5_2ELb0ES3_jN6thrust23THRUST_200600_302600_NS6detail15normal_iteratorINSA_7pointerIsNSA_11hip_rocprim3tagENSA_11use_defaultESG_EEEEPS6_NSA_18transform_iteratorINSA_8identityIsEENSC_INSA_10device_ptrIsEEEESG_SG_EENS0_5tupleIJPsSJ_EEENSR_IJSJ_SJ_EEES6_PlJS6_EEE10hipError_tPvRmT3_T4_T5_T6_T7_T9_mT8_P12ihipStream_tbDpT10_ENKUlT_T0_E_clISt17integral_constantIbLb1EES1E_IbLb0EEEEDaS1A_S1B_EUlS1A_E_NS1_11comp_targetILNS1_3genE8ELNS1_11target_archE1030ELNS1_3gpuE2ELNS1_3repE0EEENS1_30default_config_static_selectorELNS0_4arch9wavefront6targetE1EEEvT1_,"axG",@progbits,_ZN7rocprim17ROCPRIM_400000_NS6detail17trampoline_kernelINS0_14default_configENS1_25partition_config_selectorILNS1_17partition_subalgoE2EsNS0_10empty_typeEbEEZZNS1_14partition_implILS5_2ELb0ES3_jN6thrust23THRUST_200600_302600_NS6detail15normal_iteratorINSA_7pointerIsNSA_11hip_rocprim3tagENSA_11use_defaultESG_EEEEPS6_NSA_18transform_iteratorINSA_8identityIsEENSC_INSA_10device_ptrIsEEEESG_SG_EENS0_5tupleIJPsSJ_EEENSR_IJSJ_SJ_EEES6_PlJS6_EEE10hipError_tPvRmT3_T4_T5_T6_T7_T9_mT8_P12ihipStream_tbDpT10_ENKUlT_T0_E_clISt17integral_constantIbLb1EES1E_IbLb0EEEEDaS1A_S1B_EUlS1A_E_NS1_11comp_targetILNS1_3genE8ELNS1_11target_archE1030ELNS1_3gpuE2ELNS1_3repE0EEENS1_30default_config_static_selectorELNS0_4arch9wavefront6targetE1EEEvT1_,comdat
.Lfunc_end568:
	.size	_ZN7rocprim17ROCPRIM_400000_NS6detail17trampoline_kernelINS0_14default_configENS1_25partition_config_selectorILNS1_17partition_subalgoE2EsNS0_10empty_typeEbEEZZNS1_14partition_implILS5_2ELb0ES3_jN6thrust23THRUST_200600_302600_NS6detail15normal_iteratorINSA_7pointerIsNSA_11hip_rocprim3tagENSA_11use_defaultESG_EEEEPS6_NSA_18transform_iteratorINSA_8identityIsEENSC_INSA_10device_ptrIsEEEESG_SG_EENS0_5tupleIJPsSJ_EEENSR_IJSJ_SJ_EEES6_PlJS6_EEE10hipError_tPvRmT3_T4_T5_T6_T7_T9_mT8_P12ihipStream_tbDpT10_ENKUlT_T0_E_clISt17integral_constantIbLb1EES1E_IbLb0EEEEDaS1A_S1B_EUlS1A_E_NS1_11comp_targetILNS1_3genE8ELNS1_11target_archE1030ELNS1_3gpuE2ELNS1_3repE0EEENS1_30default_config_static_selectorELNS0_4arch9wavefront6targetE1EEEvT1_, .Lfunc_end568-_ZN7rocprim17ROCPRIM_400000_NS6detail17trampoline_kernelINS0_14default_configENS1_25partition_config_selectorILNS1_17partition_subalgoE2EsNS0_10empty_typeEbEEZZNS1_14partition_implILS5_2ELb0ES3_jN6thrust23THRUST_200600_302600_NS6detail15normal_iteratorINSA_7pointerIsNSA_11hip_rocprim3tagENSA_11use_defaultESG_EEEEPS6_NSA_18transform_iteratorINSA_8identityIsEENSC_INSA_10device_ptrIsEEEESG_SG_EENS0_5tupleIJPsSJ_EEENSR_IJSJ_SJ_EEES6_PlJS6_EEE10hipError_tPvRmT3_T4_T5_T6_T7_T9_mT8_P12ihipStream_tbDpT10_ENKUlT_T0_E_clISt17integral_constantIbLb1EES1E_IbLb0EEEEDaS1A_S1B_EUlS1A_E_NS1_11comp_targetILNS1_3genE8ELNS1_11target_archE1030ELNS1_3gpuE2ELNS1_3repE0EEENS1_30default_config_static_selectorELNS0_4arch9wavefront6targetE1EEEvT1_
                                        ; -- End function
	.section	.AMDGPU.csdata,"",@progbits
; Kernel info:
; codeLenInByte = 0
; NumSgprs: 4
; NumVgprs: 0
; NumAgprs: 0
; TotalNumVgprs: 0
; ScratchSize: 0
; MemoryBound: 0
; FloatMode: 240
; IeeeMode: 1
; LDSByteSize: 0 bytes/workgroup (compile time only)
; SGPRBlocks: 0
; VGPRBlocks: 0
; NumSGPRsForWavesPerEU: 4
; NumVGPRsForWavesPerEU: 1
; AccumOffset: 4
; Occupancy: 8
; WaveLimiterHint : 0
; COMPUTE_PGM_RSRC2:SCRATCH_EN: 0
; COMPUTE_PGM_RSRC2:USER_SGPR: 6
; COMPUTE_PGM_RSRC2:TRAP_HANDLER: 0
; COMPUTE_PGM_RSRC2:TGID_X_EN: 1
; COMPUTE_PGM_RSRC2:TGID_Y_EN: 0
; COMPUTE_PGM_RSRC2:TGID_Z_EN: 0
; COMPUTE_PGM_RSRC2:TIDIG_COMP_CNT: 0
; COMPUTE_PGM_RSRC3_GFX90A:ACCUM_OFFSET: 0
; COMPUTE_PGM_RSRC3_GFX90A:TG_SPLIT: 0
	.section	.text._ZN7rocprim17ROCPRIM_400000_NS6detail17trampoline_kernelINS0_14default_configENS1_25partition_config_selectorILNS1_17partition_subalgoE2EsNS0_10empty_typeEbEEZZNS1_14partition_implILS5_2ELb0ES3_jN6thrust23THRUST_200600_302600_NS6detail15normal_iteratorINSA_7pointerIsNSA_11hip_rocprim3tagENSA_11use_defaultESG_EEEEPS6_NSA_18transform_iteratorINSA_8identityIsEENSC_INSA_10device_ptrIsEEEESG_SG_EENS0_5tupleIJPsSJ_EEENSR_IJSJ_SJ_EEES6_PlJS6_EEE10hipError_tPvRmT3_T4_T5_T6_T7_T9_mT8_P12ihipStream_tbDpT10_ENKUlT_T0_E_clISt17integral_constantIbLb0EES1E_IbLb1EEEEDaS1A_S1B_EUlS1A_E_NS1_11comp_targetILNS1_3genE0ELNS1_11target_archE4294967295ELNS1_3gpuE0ELNS1_3repE0EEENS1_30default_config_static_selectorELNS0_4arch9wavefront6targetE1EEEvT1_,"axG",@progbits,_ZN7rocprim17ROCPRIM_400000_NS6detail17trampoline_kernelINS0_14default_configENS1_25partition_config_selectorILNS1_17partition_subalgoE2EsNS0_10empty_typeEbEEZZNS1_14partition_implILS5_2ELb0ES3_jN6thrust23THRUST_200600_302600_NS6detail15normal_iteratorINSA_7pointerIsNSA_11hip_rocprim3tagENSA_11use_defaultESG_EEEEPS6_NSA_18transform_iteratorINSA_8identityIsEENSC_INSA_10device_ptrIsEEEESG_SG_EENS0_5tupleIJPsSJ_EEENSR_IJSJ_SJ_EEES6_PlJS6_EEE10hipError_tPvRmT3_T4_T5_T6_T7_T9_mT8_P12ihipStream_tbDpT10_ENKUlT_T0_E_clISt17integral_constantIbLb0EES1E_IbLb1EEEEDaS1A_S1B_EUlS1A_E_NS1_11comp_targetILNS1_3genE0ELNS1_11target_archE4294967295ELNS1_3gpuE0ELNS1_3repE0EEENS1_30default_config_static_selectorELNS0_4arch9wavefront6targetE1EEEvT1_,comdat
	.protected	_ZN7rocprim17ROCPRIM_400000_NS6detail17trampoline_kernelINS0_14default_configENS1_25partition_config_selectorILNS1_17partition_subalgoE2EsNS0_10empty_typeEbEEZZNS1_14partition_implILS5_2ELb0ES3_jN6thrust23THRUST_200600_302600_NS6detail15normal_iteratorINSA_7pointerIsNSA_11hip_rocprim3tagENSA_11use_defaultESG_EEEEPS6_NSA_18transform_iteratorINSA_8identityIsEENSC_INSA_10device_ptrIsEEEESG_SG_EENS0_5tupleIJPsSJ_EEENSR_IJSJ_SJ_EEES6_PlJS6_EEE10hipError_tPvRmT3_T4_T5_T6_T7_T9_mT8_P12ihipStream_tbDpT10_ENKUlT_T0_E_clISt17integral_constantIbLb0EES1E_IbLb1EEEEDaS1A_S1B_EUlS1A_E_NS1_11comp_targetILNS1_3genE0ELNS1_11target_archE4294967295ELNS1_3gpuE0ELNS1_3repE0EEENS1_30default_config_static_selectorELNS0_4arch9wavefront6targetE1EEEvT1_ ; -- Begin function _ZN7rocprim17ROCPRIM_400000_NS6detail17trampoline_kernelINS0_14default_configENS1_25partition_config_selectorILNS1_17partition_subalgoE2EsNS0_10empty_typeEbEEZZNS1_14partition_implILS5_2ELb0ES3_jN6thrust23THRUST_200600_302600_NS6detail15normal_iteratorINSA_7pointerIsNSA_11hip_rocprim3tagENSA_11use_defaultESG_EEEEPS6_NSA_18transform_iteratorINSA_8identityIsEENSC_INSA_10device_ptrIsEEEESG_SG_EENS0_5tupleIJPsSJ_EEENSR_IJSJ_SJ_EEES6_PlJS6_EEE10hipError_tPvRmT3_T4_T5_T6_T7_T9_mT8_P12ihipStream_tbDpT10_ENKUlT_T0_E_clISt17integral_constantIbLb0EES1E_IbLb1EEEEDaS1A_S1B_EUlS1A_E_NS1_11comp_targetILNS1_3genE0ELNS1_11target_archE4294967295ELNS1_3gpuE0ELNS1_3repE0EEENS1_30default_config_static_selectorELNS0_4arch9wavefront6targetE1EEEvT1_
	.globl	_ZN7rocprim17ROCPRIM_400000_NS6detail17trampoline_kernelINS0_14default_configENS1_25partition_config_selectorILNS1_17partition_subalgoE2EsNS0_10empty_typeEbEEZZNS1_14partition_implILS5_2ELb0ES3_jN6thrust23THRUST_200600_302600_NS6detail15normal_iteratorINSA_7pointerIsNSA_11hip_rocprim3tagENSA_11use_defaultESG_EEEEPS6_NSA_18transform_iteratorINSA_8identityIsEENSC_INSA_10device_ptrIsEEEESG_SG_EENS0_5tupleIJPsSJ_EEENSR_IJSJ_SJ_EEES6_PlJS6_EEE10hipError_tPvRmT3_T4_T5_T6_T7_T9_mT8_P12ihipStream_tbDpT10_ENKUlT_T0_E_clISt17integral_constantIbLb0EES1E_IbLb1EEEEDaS1A_S1B_EUlS1A_E_NS1_11comp_targetILNS1_3genE0ELNS1_11target_archE4294967295ELNS1_3gpuE0ELNS1_3repE0EEENS1_30default_config_static_selectorELNS0_4arch9wavefront6targetE1EEEvT1_
	.p2align	8
	.type	_ZN7rocprim17ROCPRIM_400000_NS6detail17trampoline_kernelINS0_14default_configENS1_25partition_config_selectorILNS1_17partition_subalgoE2EsNS0_10empty_typeEbEEZZNS1_14partition_implILS5_2ELb0ES3_jN6thrust23THRUST_200600_302600_NS6detail15normal_iteratorINSA_7pointerIsNSA_11hip_rocprim3tagENSA_11use_defaultESG_EEEEPS6_NSA_18transform_iteratorINSA_8identityIsEENSC_INSA_10device_ptrIsEEEESG_SG_EENS0_5tupleIJPsSJ_EEENSR_IJSJ_SJ_EEES6_PlJS6_EEE10hipError_tPvRmT3_T4_T5_T6_T7_T9_mT8_P12ihipStream_tbDpT10_ENKUlT_T0_E_clISt17integral_constantIbLb0EES1E_IbLb1EEEEDaS1A_S1B_EUlS1A_E_NS1_11comp_targetILNS1_3genE0ELNS1_11target_archE4294967295ELNS1_3gpuE0ELNS1_3repE0EEENS1_30default_config_static_selectorELNS0_4arch9wavefront6targetE1EEEvT1_,@function
_ZN7rocprim17ROCPRIM_400000_NS6detail17trampoline_kernelINS0_14default_configENS1_25partition_config_selectorILNS1_17partition_subalgoE2EsNS0_10empty_typeEbEEZZNS1_14partition_implILS5_2ELb0ES3_jN6thrust23THRUST_200600_302600_NS6detail15normal_iteratorINSA_7pointerIsNSA_11hip_rocprim3tagENSA_11use_defaultESG_EEEEPS6_NSA_18transform_iteratorINSA_8identityIsEENSC_INSA_10device_ptrIsEEEESG_SG_EENS0_5tupleIJPsSJ_EEENSR_IJSJ_SJ_EEES6_PlJS6_EEE10hipError_tPvRmT3_T4_T5_T6_T7_T9_mT8_P12ihipStream_tbDpT10_ENKUlT_T0_E_clISt17integral_constantIbLb0EES1E_IbLb1EEEEDaS1A_S1B_EUlS1A_E_NS1_11comp_targetILNS1_3genE0ELNS1_11target_archE4294967295ELNS1_3gpuE0ELNS1_3repE0EEENS1_30default_config_static_selectorELNS0_4arch9wavefront6targetE1EEEvT1_: ; @_ZN7rocprim17ROCPRIM_400000_NS6detail17trampoline_kernelINS0_14default_configENS1_25partition_config_selectorILNS1_17partition_subalgoE2EsNS0_10empty_typeEbEEZZNS1_14partition_implILS5_2ELb0ES3_jN6thrust23THRUST_200600_302600_NS6detail15normal_iteratorINSA_7pointerIsNSA_11hip_rocprim3tagENSA_11use_defaultESG_EEEEPS6_NSA_18transform_iteratorINSA_8identityIsEENSC_INSA_10device_ptrIsEEEESG_SG_EENS0_5tupleIJPsSJ_EEENSR_IJSJ_SJ_EEES6_PlJS6_EEE10hipError_tPvRmT3_T4_T5_T6_T7_T9_mT8_P12ihipStream_tbDpT10_ENKUlT_T0_E_clISt17integral_constantIbLb0EES1E_IbLb1EEEEDaS1A_S1B_EUlS1A_E_NS1_11comp_targetILNS1_3genE0ELNS1_11target_archE4294967295ELNS1_3gpuE0ELNS1_3repE0EEENS1_30default_config_static_selectorELNS0_4arch9wavefront6targetE1EEEvT1_
; %bb.0:
	.section	.rodata,"a",@progbits
	.p2align	6, 0x0
	.amdhsa_kernel _ZN7rocprim17ROCPRIM_400000_NS6detail17trampoline_kernelINS0_14default_configENS1_25partition_config_selectorILNS1_17partition_subalgoE2EsNS0_10empty_typeEbEEZZNS1_14partition_implILS5_2ELb0ES3_jN6thrust23THRUST_200600_302600_NS6detail15normal_iteratorINSA_7pointerIsNSA_11hip_rocprim3tagENSA_11use_defaultESG_EEEEPS6_NSA_18transform_iteratorINSA_8identityIsEENSC_INSA_10device_ptrIsEEEESG_SG_EENS0_5tupleIJPsSJ_EEENSR_IJSJ_SJ_EEES6_PlJS6_EEE10hipError_tPvRmT3_T4_T5_T6_T7_T9_mT8_P12ihipStream_tbDpT10_ENKUlT_T0_E_clISt17integral_constantIbLb0EES1E_IbLb1EEEEDaS1A_S1B_EUlS1A_E_NS1_11comp_targetILNS1_3genE0ELNS1_11target_archE4294967295ELNS1_3gpuE0ELNS1_3repE0EEENS1_30default_config_static_selectorELNS0_4arch9wavefront6targetE1EEEvT1_
		.amdhsa_group_segment_fixed_size 0
		.amdhsa_private_segment_fixed_size 0
		.amdhsa_kernarg_size 144
		.amdhsa_user_sgpr_count 6
		.amdhsa_user_sgpr_private_segment_buffer 1
		.amdhsa_user_sgpr_dispatch_ptr 0
		.amdhsa_user_sgpr_queue_ptr 0
		.amdhsa_user_sgpr_kernarg_segment_ptr 1
		.amdhsa_user_sgpr_dispatch_id 0
		.amdhsa_user_sgpr_flat_scratch_init 0
		.amdhsa_user_sgpr_kernarg_preload_length 0
		.amdhsa_user_sgpr_kernarg_preload_offset 0
		.amdhsa_user_sgpr_private_segment_size 0
		.amdhsa_uses_dynamic_stack 0
		.amdhsa_system_sgpr_private_segment_wavefront_offset 0
		.amdhsa_system_sgpr_workgroup_id_x 1
		.amdhsa_system_sgpr_workgroup_id_y 0
		.amdhsa_system_sgpr_workgroup_id_z 0
		.amdhsa_system_sgpr_workgroup_info 0
		.amdhsa_system_vgpr_workitem_id 0
		.amdhsa_next_free_vgpr 1
		.amdhsa_next_free_sgpr 0
		.amdhsa_accum_offset 4
		.amdhsa_reserve_vcc 0
		.amdhsa_reserve_flat_scratch 0
		.amdhsa_float_round_mode_32 0
		.amdhsa_float_round_mode_16_64 0
		.amdhsa_float_denorm_mode_32 3
		.amdhsa_float_denorm_mode_16_64 3
		.amdhsa_dx10_clamp 1
		.amdhsa_ieee_mode 1
		.amdhsa_fp16_overflow 0
		.amdhsa_tg_split 0
		.amdhsa_exception_fp_ieee_invalid_op 0
		.amdhsa_exception_fp_denorm_src 0
		.amdhsa_exception_fp_ieee_div_zero 0
		.amdhsa_exception_fp_ieee_overflow 0
		.amdhsa_exception_fp_ieee_underflow 0
		.amdhsa_exception_fp_ieee_inexact 0
		.amdhsa_exception_int_div_zero 0
	.end_amdhsa_kernel
	.section	.text._ZN7rocprim17ROCPRIM_400000_NS6detail17trampoline_kernelINS0_14default_configENS1_25partition_config_selectorILNS1_17partition_subalgoE2EsNS0_10empty_typeEbEEZZNS1_14partition_implILS5_2ELb0ES3_jN6thrust23THRUST_200600_302600_NS6detail15normal_iteratorINSA_7pointerIsNSA_11hip_rocprim3tagENSA_11use_defaultESG_EEEEPS6_NSA_18transform_iteratorINSA_8identityIsEENSC_INSA_10device_ptrIsEEEESG_SG_EENS0_5tupleIJPsSJ_EEENSR_IJSJ_SJ_EEES6_PlJS6_EEE10hipError_tPvRmT3_T4_T5_T6_T7_T9_mT8_P12ihipStream_tbDpT10_ENKUlT_T0_E_clISt17integral_constantIbLb0EES1E_IbLb1EEEEDaS1A_S1B_EUlS1A_E_NS1_11comp_targetILNS1_3genE0ELNS1_11target_archE4294967295ELNS1_3gpuE0ELNS1_3repE0EEENS1_30default_config_static_selectorELNS0_4arch9wavefront6targetE1EEEvT1_,"axG",@progbits,_ZN7rocprim17ROCPRIM_400000_NS6detail17trampoline_kernelINS0_14default_configENS1_25partition_config_selectorILNS1_17partition_subalgoE2EsNS0_10empty_typeEbEEZZNS1_14partition_implILS5_2ELb0ES3_jN6thrust23THRUST_200600_302600_NS6detail15normal_iteratorINSA_7pointerIsNSA_11hip_rocprim3tagENSA_11use_defaultESG_EEEEPS6_NSA_18transform_iteratorINSA_8identityIsEENSC_INSA_10device_ptrIsEEEESG_SG_EENS0_5tupleIJPsSJ_EEENSR_IJSJ_SJ_EEES6_PlJS6_EEE10hipError_tPvRmT3_T4_T5_T6_T7_T9_mT8_P12ihipStream_tbDpT10_ENKUlT_T0_E_clISt17integral_constantIbLb0EES1E_IbLb1EEEEDaS1A_S1B_EUlS1A_E_NS1_11comp_targetILNS1_3genE0ELNS1_11target_archE4294967295ELNS1_3gpuE0ELNS1_3repE0EEENS1_30default_config_static_selectorELNS0_4arch9wavefront6targetE1EEEvT1_,comdat
.Lfunc_end569:
	.size	_ZN7rocprim17ROCPRIM_400000_NS6detail17trampoline_kernelINS0_14default_configENS1_25partition_config_selectorILNS1_17partition_subalgoE2EsNS0_10empty_typeEbEEZZNS1_14partition_implILS5_2ELb0ES3_jN6thrust23THRUST_200600_302600_NS6detail15normal_iteratorINSA_7pointerIsNSA_11hip_rocprim3tagENSA_11use_defaultESG_EEEEPS6_NSA_18transform_iteratorINSA_8identityIsEENSC_INSA_10device_ptrIsEEEESG_SG_EENS0_5tupleIJPsSJ_EEENSR_IJSJ_SJ_EEES6_PlJS6_EEE10hipError_tPvRmT3_T4_T5_T6_T7_T9_mT8_P12ihipStream_tbDpT10_ENKUlT_T0_E_clISt17integral_constantIbLb0EES1E_IbLb1EEEEDaS1A_S1B_EUlS1A_E_NS1_11comp_targetILNS1_3genE0ELNS1_11target_archE4294967295ELNS1_3gpuE0ELNS1_3repE0EEENS1_30default_config_static_selectorELNS0_4arch9wavefront6targetE1EEEvT1_, .Lfunc_end569-_ZN7rocprim17ROCPRIM_400000_NS6detail17trampoline_kernelINS0_14default_configENS1_25partition_config_selectorILNS1_17partition_subalgoE2EsNS0_10empty_typeEbEEZZNS1_14partition_implILS5_2ELb0ES3_jN6thrust23THRUST_200600_302600_NS6detail15normal_iteratorINSA_7pointerIsNSA_11hip_rocprim3tagENSA_11use_defaultESG_EEEEPS6_NSA_18transform_iteratorINSA_8identityIsEENSC_INSA_10device_ptrIsEEEESG_SG_EENS0_5tupleIJPsSJ_EEENSR_IJSJ_SJ_EEES6_PlJS6_EEE10hipError_tPvRmT3_T4_T5_T6_T7_T9_mT8_P12ihipStream_tbDpT10_ENKUlT_T0_E_clISt17integral_constantIbLb0EES1E_IbLb1EEEEDaS1A_S1B_EUlS1A_E_NS1_11comp_targetILNS1_3genE0ELNS1_11target_archE4294967295ELNS1_3gpuE0ELNS1_3repE0EEENS1_30default_config_static_selectorELNS0_4arch9wavefront6targetE1EEEvT1_
                                        ; -- End function
	.section	.AMDGPU.csdata,"",@progbits
; Kernel info:
; codeLenInByte = 0
; NumSgprs: 4
; NumVgprs: 0
; NumAgprs: 0
; TotalNumVgprs: 0
; ScratchSize: 0
; MemoryBound: 0
; FloatMode: 240
; IeeeMode: 1
; LDSByteSize: 0 bytes/workgroup (compile time only)
; SGPRBlocks: 0
; VGPRBlocks: 0
; NumSGPRsForWavesPerEU: 4
; NumVGPRsForWavesPerEU: 1
; AccumOffset: 4
; Occupancy: 8
; WaveLimiterHint : 0
; COMPUTE_PGM_RSRC2:SCRATCH_EN: 0
; COMPUTE_PGM_RSRC2:USER_SGPR: 6
; COMPUTE_PGM_RSRC2:TRAP_HANDLER: 0
; COMPUTE_PGM_RSRC2:TGID_X_EN: 1
; COMPUTE_PGM_RSRC2:TGID_Y_EN: 0
; COMPUTE_PGM_RSRC2:TGID_Z_EN: 0
; COMPUTE_PGM_RSRC2:TIDIG_COMP_CNT: 0
; COMPUTE_PGM_RSRC3_GFX90A:ACCUM_OFFSET: 0
; COMPUTE_PGM_RSRC3_GFX90A:TG_SPLIT: 0
	.section	.text._ZN7rocprim17ROCPRIM_400000_NS6detail17trampoline_kernelINS0_14default_configENS1_25partition_config_selectorILNS1_17partition_subalgoE2EsNS0_10empty_typeEbEEZZNS1_14partition_implILS5_2ELb0ES3_jN6thrust23THRUST_200600_302600_NS6detail15normal_iteratorINSA_7pointerIsNSA_11hip_rocprim3tagENSA_11use_defaultESG_EEEEPS6_NSA_18transform_iteratorINSA_8identityIsEENSC_INSA_10device_ptrIsEEEESG_SG_EENS0_5tupleIJPsSJ_EEENSR_IJSJ_SJ_EEES6_PlJS6_EEE10hipError_tPvRmT3_T4_T5_T6_T7_T9_mT8_P12ihipStream_tbDpT10_ENKUlT_T0_E_clISt17integral_constantIbLb0EES1E_IbLb1EEEEDaS1A_S1B_EUlS1A_E_NS1_11comp_targetILNS1_3genE5ELNS1_11target_archE942ELNS1_3gpuE9ELNS1_3repE0EEENS1_30default_config_static_selectorELNS0_4arch9wavefront6targetE1EEEvT1_,"axG",@progbits,_ZN7rocprim17ROCPRIM_400000_NS6detail17trampoline_kernelINS0_14default_configENS1_25partition_config_selectorILNS1_17partition_subalgoE2EsNS0_10empty_typeEbEEZZNS1_14partition_implILS5_2ELb0ES3_jN6thrust23THRUST_200600_302600_NS6detail15normal_iteratorINSA_7pointerIsNSA_11hip_rocprim3tagENSA_11use_defaultESG_EEEEPS6_NSA_18transform_iteratorINSA_8identityIsEENSC_INSA_10device_ptrIsEEEESG_SG_EENS0_5tupleIJPsSJ_EEENSR_IJSJ_SJ_EEES6_PlJS6_EEE10hipError_tPvRmT3_T4_T5_T6_T7_T9_mT8_P12ihipStream_tbDpT10_ENKUlT_T0_E_clISt17integral_constantIbLb0EES1E_IbLb1EEEEDaS1A_S1B_EUlS1A_E_NS1_11comp_targetILNS1_3genE5ELNS1_11target_archE942ELNS1_3gpuE9ELNS1_3repE0EEENS1_30default_config_static_selectorELNS0_4arch9wavefront6targetE1EEEvT1_,comdat
	.protected	_ZN7rocprim17ROCPRIM_400000_NS6detail17trampoline_kernelINS0_14default_configENS1_25partition_config_selectorILNS1_17partition_subalgoE2EsNS0_10empty_typeEbEEZZNS1_14partition_implILS5_2ELb0ES3_jN6thrust23THRUST_200600_302600_NS6detail15normal_iteratorINSA_7pointerIsNSA_11hip_rocprim3tagENSA_11use_defaultESG_EEEEPS6_NSA_18transform_iteratorINSA_8identityIsEENSC_INSA_10device_ptrIsEEEESG_SG_EENS0_5tupleIJPsSJ_EEENSR_IJSJ_SJ_EEES6_PlJS6_EEE10hipError_tPvRmT3_T4_T5_T6_T7_T9_mT8_P12ihipStream_tbDpT10_ENKUlT_T0_E_clISt17integral_constantIbLb0EES1E_IbLb1EEEEDaS1A_S1B_EUlS1A_E_NS1_11comp_targetILNS1_3genE5ELNS1_11target_archE942ELNS1_3gpuE9ELNS1_3repE0EEENS1_30default_config_static_selectorELNS0_4arch9wavefront6targetE1EEEvT1_ ; -- Begin function _ZN7rocprim17ROCPRIM_400000_NS6detail17trampoline_kernelINS0_14default_configENS1_25partition_config_selectorILNS1_17partition_subalgoE2EsNS0_10empty_typeEbEEZZNS1_14partition_implILS5_2ELb0ES3_jN6thrust23THRUST_200600_302600_NS6detail15normal_iteratorINSA_7pointerIsNSA_11hip_rocprim3tagENSA_11use_defaultESG_EEEEPS6_NSA_18transform_iteratorINSA_8identityIsEENSC_INSA_10device_ptrIsEEEESG_SG_EENS0_5tupleIJPsSJ_EEENSR_IJSJ_SJ_EEES6_PlJS6_EEE10hipError_tPvRmT3_T4_T5_T6_T7_T9_mT8_P12ihipStream_tbDpT10_ENKUlT_T0_E_clISt17integral_constantIbLb0EES1E_IbLb1EEEEDaS1A_S1B_EUlS1A_E_NS1_11comp_targetILNS1_3genE5ELNS1_11target_archE942ELNS1_3gpuE9ELNS1_3repE0EEENS1_30default_config_static_selectorELNS0_4arch9wavefront6targetE1EEEvT1_
	.globl	_ZN7rocprim17ROCPRIM_400000_NS6detail17trampoline_kernelINS0_14default_configENS1_25partition_config_selectorILNS1_17partition_subalgoE2EsNS0_10empty_typeEbEEZZNS1_14partition_implILS5_2ELb0ES3_jN6thrust23THRUST_200600_302600_NS6detail15normal_iteratorINSA_7pointerIsNSA_11hip_rocprim3tagENSA_11use_defaultESG_EEEEPS6_NSA_18transform_iteratorINSA_8identityIsEENSC_INSA_10device_ptrIsEEEESG_SG_EENS0_5tupleIJPsSJ_EEENSR_IJSJ_SJ_EEES6_PlJS6_EEE10hipError_tPvRmT3_T4_T5_T6_T7_T9_mT8_P12ihipStream_tbDpT10_ENKUlT_T0_E_clISt17integral_constantIbLb0EES1E_IbLb1EEEEDaS1A_S1B_EUlS1A_E_NS1_11comp_targetILNS1_3genE5ELNS1_11target_archE942ELNS1_3gpuE9ELNS1_3repE0EEENS1_30default_config_static_selectorELNS0_4arch9wavefront6targetE1EEEvT1_
	.p2align	8
	.type	_ZN7rocprim17ROCPRIM_400000_NS6detail17trampoline_kernelINS0_14default_configENS1_25partition_config_selectorILNS1_17partition_subalgoE2EsNS0_10empty_typeEbEEZZNS1_14partition_implILS5_2ELb0ES3_jN6thrust23THRUST_200600_302600_NS6detail15normal_iteratorINSA_7pointerIsNSA_11hip_rocprim3tagENSA_11use_defaultESG_EEEEPS6_NSA_18transform_iteratorINSA_8identityIsEENSC_INSA_10device_ptrIsEEEESG_SG_EENS0_5tupleIJPsSJ_EEENSR_IJSJ_SJ_EEES6_PlJS6_EEE10hipError_tPvRmT3_T4_T5_T6_T7_T9_mT8_P12ihipStream_tbDpT10_ENKUlT_T0_E_clISt17integral_constantIbLb0EES1E_IbLb1EEEEDaS1A_S1B_EUlS1A_E_NS1_11comp_targetILNS1_3genE5ELNS1_11target_archE942ELNS1_3gpuE9ELNS1_3repE0EEENS1_30default_config_static_selectorELNS0_4arch9wavefront6targetE1EEEvT1_,@function
_ZN7rocprim17ROCPRIM_400000_NS6detail17trampoline_kernelINS0_14default_configENS1_25partition_config_selectorILNS1_17partition_subalgoE2EsNS0_10empty_typeEbEEZZNS1_14partition_implILS5_2ELb0ES3_jN6thrust23THRUST_200600_302600_NS6detail15normal_iteratorINSA_7pointerIsNSA_11hip_rocprim3tagENSA_11use_defaultESG_EEEEPS6_NSA_18transform_iteratorINSA_8identityIsEENSC_INSA_10device_ptrIsEEEESG_SG_EENS0_5tupleIJPsSJ_EEENSR_IJSJ_SJ_EEES6_PlJS6_EEE10hipError_tPvRmT3_T4_T5_T6_T7_T9_mT8_P12ihipStream_tbDpT10_ENKUlT_T0_E_clISt17integral_constantIbLb0EES1E_IbLb1EEEEDaS1A_S1B_EUlS1A_E_NS1_11comp_targetILNS1_3genE5ELNS1_11target_archE942ELNS1_3gpuE9ELNS1_3repE0EEENS1_30default_config_static_selectorELNS0_4arch9wavefront6targetE1EEEvT1_: ; @_ZN7rocprim17ROCPRIM_400000_NS6detail17trampoline_kernelINS0_14default_configENS1_25partition_config_selectorILNS1_17partition_subalgoE2EsNS0_10empty_typeEbEEZZNS1_14partition_implILS5_2ELb0ES3_jN6thrust23THRUST_200600_302600_NS6detail15normal_iteratorINSA_7pointerIsNSA_11hip_rocprim3tagENSA_11use_defaultESG_EEEEPS6_NSA_18transform_iteratorINSA_8identityIsEENSC_INSA_10device_ptrIsEEEESG_SG_EENS0_5tupleIJPsSJ_EEENSR_IJSJ_SJ_EEES6_PlJS6_EEE10hipError_tPvRmT3_T4_T5_T6_T7_T9_mT8_P12ihipStream_tbDpT10_ENKUlT_T0_E_clISt17integral_constantIbLb0EES1E_IbLb1EEEEDaS1A_S1B_EUlS1A_E_NS1_11comp_targetILNS1_3genE5ELNS1_11target_archE942ELNS1_3gpuE9ELNS1_3repE0EEENS1_30default_config_static_selectorELNS0_4arch9wavefront6targetE1EEEvT1_
; %bb.0:
	.section	.rodata,"a",@progbits
	.p2align	6, 0x0
	.amdhsa_kernel _ZN7rocprim17ROCPRIM_400000_NS6detail17trampoline_kernelINS0_14default_configENS1_25partition_config_selectorILNS1_17partition_subalgoE2EsNS0_10empty_typeEbEEZZNS1_14partition_implILS5_2ELb0ES3_jN6thrust23THRUST_200600_302600_NS6detail15normal_iteratorINSA_7pointerIsNSA_11hip_rocprim3tagENSA_11use_defaultESG_EEEEPS6_NSA_18transform_iteratorINSA_8identityIsEENSC_INSA_10device_ptrIsEEEESG_SG_EENS0_5tupleIJPsSJ_EEENSR_IJSJ_SJ_EEES6_PlJS6_EEE10hipError_tPvRmT3_T4_T5_T6_T7_T9_mT8_P12ihipStream_tbDpT10_ENKUlT_T0_E_clISt17integral_constantIbLb0EES1E_IbLb1EEEEDaS1A_S1B_EUlS1A_E_NS1_11comp_targetILNS1_3genE5ELNS1_11target_archE942ELNS1_3gpuE9ELNS1_3repE0EEENS1_30default_config_static_selectorELNS0_4arch9wavefront6targetE1EEEvT1_
		.amdhsa_group_segment_fixed_size 0
		.amdhsa_private_segment_fixed_size 0
		.amdhsa_kernarg_size 144
		.amdhsa_user_sgpr_count 6
		.amdhsa_user_sgpr_private_segment_buffer 1
		.amdhsa_user_sgpr_dispatch_ptr 0
		.amdhsa_user_sgpr_queue_ptr 0
		.amdhsa_user_sgpr_kernarg_segment_ptr 1
		.amdhsa_user_sgpr_dispatch_id 0
		.amdhsa_user_sgpr_flat_scratch_init 0
		.amdhsa_user_sgpr_kernarg_preload_length 0
		.amdhsa_user_sgpr_kernarg_preload_offset 0
		.amdhsa_user_sgpr_private_segment_size 0
		.amdhsa_uses_dynamic_stack 0
		.amdhsa_system_sgpr_private_segment_wavefront_offset 0
		.amdhsa_system_sgpr_workgroup_id_x 1
		.amdhsa_system_sgpr_workgroup_id_y 0
		.amdhsa_system_sgpr_workgroup_id_z 0
		.amdhsa_system_sgpr_workgroup_info 0
		.amdhsa_system_vgpr_workitem_id 0
		.amdhsa_next_free_vgpr 1
		.amdhsa_next_free_sgpr 0
		.amdhsa_accum_offset 4
		.amdhsa_reserve_vcc 0
		.amdhsa_reserve_flat_scratch 0
		.amdhsa_float_round_mode_32 0
		.amdhsa_float_round_mode_16_64 0
		.amdhsa_float_denorm_mode_32 3
		.amdhsa_float_denorm_mode_16_64 3
		.amdhsa_dx10_clamp 1
		.amdhsa_ieee_mode 1
		.amdhsa_fp16_overflow 0
		.amdhsa_tg_split 0
		.amdhsa_exception_fp_ieee_invalid_op 0
		.amdhsa_exception_fp_denorm_src 0
		.amdhsa_exception_fp_ieee_div_zero 0
		.amdhsa_exception_fp_ieee_overflow 0
		.amdhsa_exception_fp_ieee_underflow 0
		.amdhsa_exception_fp_ieee_inexact 0
		.amdhsa_exception_int_div_zero 0
	.end_amdhsa_kernel
	.section	.text._ZN7rocprim17ROCPRIM_400000_NS6detail17trampoline_kernelINS0_14default_configENS1_25partition_config_selectorILNS1_17partition_subalgoE2EsNS0_10empty_typeEbEEZZNS1_14partition_implILS5_2ELb0ES3_jN6thrust23THRUST_200600_302600_NS6detail15normal_iteratorINSA_7pointerIsNSA_11hip_rocprim3tagENSA_11use_defaultESG_EEEEPS6_NSA_18transform_iteratorINSA_8identityIsEENSC_INSA_10device_ptrIsEEEESG_SG_EENS0_5tupleIJPsSJ_EEENSR_IJSJ_SJ_EEES6_PlJS6_EEE10hipError_tPvRmT3_T4_T5_T6_T7_T9_mT8_P12ihipStream_tbDpT10_ENKUlT_T0_E_clISt17integral_constantIbLb0EES1E_IbLb1EEEEDaS1A_S1B_EUlS1A_E_NS1_11comp_targetILNS1_3genE5ELNS1_11target_archE942ELNS1_3gpuE9ELNS1_3repE0EEENS1_30default_config_static_selectorELNS0_4arch9wavefront6targetE1EEEvT1_,"axG",@progbits,_ZN7rocprim17ROCPRIM_400000_NS6detail17trampoline_kernelINS0_14default_configENS1_25partition_config_selectorILNS1_17partition_subalgoE2EsNS0_10empty_typeEbEEZZNS1_14partition_implILS5_2ELb0ES3_jN6thrust23THRUST_200600_302600_NS6detail15normal_iteratorINSA_7pointerIsNSA_11hip_rocprim3tagENSA_11use_defaultESG_EEEEPS6_NSA_18transform_iteratorINSA_8identityIsEENSC_INSA_10device_ptrIsEEEESG_SG_EENS0_5tupleIJPsSJ_EEENSR_IJSJ_SJ_EEES6_PlJS6_EEE10hipError_tPvRmT3_T4_T5_T6_T7_T9_mT8_P12ihipStream_tbDpT10_ENKUlT_T0_E_clISt17integral_constantIbLb0EES1E_IbLb1EEEEDaS1A_S1B_EUlS1A_E_NS1_11comp_targetILNS1_3genE5ELNS1_11target_archE942ELNS1_3gpuE9ELNS1_3repE0EEENS1_30default_config_static_selectorELNS0_4arch9wavefront6targetE1EEEvT1_,comdat
.Lfunc_end570:
	.size	_ZN7rocprim17ROCPRIM_400000_NS6detail17trampoline_kernelINS0_14default_configENS1_25partition_config_selectorILNS1_17partition_subalgoE2EsNS0_10empty_typeEbEEZZNS1_14partition_implILS5_2ELb0ES3_jN6thrust23THRUST_200600_302600_NS6detail15normal_iteratorINSA_7pointerIsNSA_11hip_rocprim3tagENSA_11use_defaultESG_EEEEPS6_NSA_18transform_iteratorINSA_8identityIsEENSC_INSA_10device_ptrIsEEEESG_SG_EENS0_5tupleIJPsSJ_EEENSR_IJSJ_SJ_EEES6_PlJS6_EEE10hipError_tPvRmT3_T4_T5_T6_T7_T9_mT8_P12ihipStream_tbDpT10_ENKUlT_T0_E_clISt17integral_constantIbLb0EES1E_IbLb1EEEEDaS1A_S1B_EUlS1A_E_NS1_11comp_targetILNS1_3genE5ELNS1_11target_archE942ELNS1_3gpuE9ELNS1_3repE0EEENS1_30default_config_static_selectorELNS0_4arch9wavefront6targetE1EEEvT1_, .Lfunc_end570-_ZN7rocprim17ROCPRIM_400000_NS6detail17trampoline_kernelINS0_14default_configENS1_25partition_config_selectorILNS1_17partition_subalgoE2EsNS0_10empty_typeEbEEZZNS1_14partition_implILS5_2ELb0ES3_jN6thrust23THRUST_200600_302600_NS6detail15normal_iteratorINSA_7pointerIsNSA_11hip_rocprim3tagENSA_11use_defaultESG_EEEEPS6_NSA_18transform_iteratorINSA_8identityIsEENSC_INSA_10device_ptrIsEEEESG_SG_EENS0_5tupleIJPsSJ_EEENSR_IJSJ_SJ_EEES6_PlJS6_EEE10hipError_tPvRmT3_T4_T5_T6_T7_T9_mT8_P12ihipStream_tbDpT10_ENKUlT_T0_E_clISt17integral_constantIbLb0EES1E_IbLb1EEEEDaS1A_S1B_EUlS1A_E_NS1_11comp_targetILNS1_3genE5ELNS1_11target_archE942ELNS1_3gpuE9ELNS1_3repE0EEENS1_30default_config_static_selectorELNS0_4arch9wavefront6targetE1EEEvT1_
                                        ; -- End function
	.section	.AMDGPU.csdata,"",@progbits
; Kernel info:
; codeLenInByte = 0
; NumSgprs: 4
; NumVgprs: 0
; NumAgprs: 0
; TotalNumVgprs: 0
; ScratchSize: 0
; MemoryBound: 0
; FloatMode: 240
; IeeeMode: 1
; LDSByteSize: 0 bytes/workgroup (compile time only)
; SGPRBlocks: 0
; VGPRBlocks: 0
; NumSGPRsForWavesPerEU: 4
; NumVGPRsForWavesPerEU: 1
; AccumOffset: 4
; Occupancy: 8
; WaveLimiterHint : 0
; COMPUTE_PGM_RSRC2:SCRATCH_EN: 0
; COMPUTE_PGM_RSRC2:USER_SGPR: 6
; COMPUTE_PGM_RSRC2:TRAP_HANDLER: 0
; COMPUTE_PGM_RSRC2:TGID_X_EN: 1
; COMPUTE_PGM_RSRC2:TGID_Y_EN: 0
; COMPUTE_PGM_RSRC2:TGID_Z_EN: 0
; COMPUTE_PGM_RSRC2:TIDIG_COMP_CNT: 0
; COMPUTE_PGM_RSRC3_GFX90A:ACCUM_OFFSET: 0
; COMPUTE_PGM_RSRC3_GFX90A:TG_SPLIT: 0
	.section	.text._ZN7rocprim17ROCPRIM_400000_NS6detail17trampoline_kernelINS0_14default_configENS1_25partition_config_selectorILNS1_17partition_subalgoE2EsNS0_10empty_typeEbEEZZNS1_14partition_implILS5_2ELb0ES3_jN6thrust23THRUST_200600_302600_NS6detail15normal_iteratorINSA_7pointerIsNSA_11hip_rocprim3tagENSA_11use_defaultESG_EEEEPS6_NSA_18transform_iteratorINSA_8identityIsEENSC_INSA_10device_ptrIsEEEESG_SG_EENS0_5tupleIJPsSJ_EEENSR_IJSJ_SJ_EEES6_PlJS6_EEE10hipError_tPvRmT3_T4_T5_T6_T7_T9_mT8_P12ihipStream_tbDpT10_ENKUlT_T0_E_clISt17integral_constantIbLb0EES1E_IbLb1EEEEDaS1A_S1B_EUlS1A_E_NS1_11comp_targetILNS1_3genE4ELNS1_11target_archE910ELNS1_3gpuE8ELNS1_3repE0EEENS1_30default_config_static_selectorELNS0_4arch9wavefront6targetE1EEEvT1_,"axG",@progbits,_ZN7rocprim17ROCPRIM_400000_NS6detail17trampoline_kernelINS0_14default_configENS1_25partition_config_selectorILNS1_17partition_subalgoE2EsNS0_10empty_typeEbEEZZNS1_14partition_implILS5_2ELb0ES3_jN6thrust23THRUST_200600_302600_NS6detail15normal_iteratorINSA_7pointerIsNSA_11hip_rocprim3tagENSA_11use_defaultESG_EEEEPS6_NSA_18transform_iteratorINSA_8identityIsEENSC_INSA_10device_ptrIsEEEESG_SG_EENS0_5tupleIJPsSJ_EEENSR_IJSJ_SJ_EEES6_PlJS6_EEE10hipError_tPvRmT3_T4_T5_T6_T7_T9_mT8_P12ihipStream_tbDpT10_ENKUlT_T0_E_clISt17integral_constantIbLb0EES1E_IbLb1EEEEDaS1A_S1B_EUlS1A_E_NS1_11comp_targetILNS1_3genE4ELNS1_11target_archE910ELNS1_3gpuE8ELNS1_3repE0EEENS1_30default_config_static_selectorELNS0_4arch9wavefront6targetE1EEEvT1_,comdat
	.protected	_ZN7rocprim17ROCPRIM_400000_NS6detail17trampoline_kernelINS0_14default_configENS1_25partition_config_selectorILNS1_17partition_subalgoE2EsNS0_10empty_typeEbEEZZNS1_14partition_implILS5_2ELb0ES3_jN6thrust23THRUST_200600_302600_NS6detail15normal_iteratorINSA_7pointerIsNSA_11hip_rocprim3tagENSA_11use_defaultESG_EEEEPS6_NSA_18transform_iteratorINSA_8identityIsEENSC_INSA_10device_ptrIsEEEESG_SG_EENS0_5tupleIJPsSJ_EEENSR_IJSJ_SJ_EEES6_PlJS6_EEE10hipError_tPvRmT3_T4_T5_T6_T7_T9_mT8_P12ihipStream_tbDpT10_ENKUlT_T0_E_clISt17integral_constantIbLb0EES1E_IbLb1EEEEDaS1A_S1B_EUlS1A_E_NS1_11comp_targetILNS1_3genE4ELNS1_11target_archE910ELNS1_3gpuE8ELNS1_3repE0EEENS1_30default_config_static_selectorELNS0_4arch9wavefront6targetE1EEEvT1_ ; -- Begin function _ZN7rocprim17ROCPRIM_400000_NS6detail17trampoline_kernelINS0_14default_configENS1_25partition_config_selectorILNS1_17partition_subalgoE2EsNS0_10empty_typeEbEEZZNS1_14partition_implILS5_2ELb0ES3_jN6thrust23THRUST_200600_302600_NS6detail15normal_iteratorINSA_7pointerIsNSA_11hip_rocprim3tagENSA_11use_defaultESG_EEEEPS6_NSA_18transform_iteratorINSA_8identityIsEENSC_INSA_10device_ptrIsEEEESG_SG_EENS0_5tupleIJPsSJ_EEENSR_IJSJ_SJ_EEES6_PlJS6_EEE10hipError_tPvRmT3_T4_T5_T6_T7_T9_mT8_P12ihipStream_tbDpT10_ENKUlT_T0_E_clISt17integral_constantIbLb0EES1E_IbLb1EEEEDaS1A_S1B_EUlS1A_E_NS1_11comp_targetILNS1_3genE4ELNS1_11target_archE910ELNS1_3gpuE8ELNS1_3repE0EEENS1_30default_config_static_selectorELNS0_4arch9wavefront6targetE1EEEvT1_
	.globl	_ZN7rocprim17ROCPRIM_400000_NS6detail17trampoline_kernelINS0_14default_configENS1_25partition_config_selectorILNS1_17partition_subalgoE2EsNS0_10empty_typeEbEEZZNS1_14partition_implILS5_2ELb0ES3_jN6thrust23THRUST_200600_302600_NS6detail15normal_iteratorINSA_7pointerIsNSA_11hip_rocprim3tagENSA_11use_defaultESG_EEEEPS6_NSA_18transform_iteratorINSA_8identityIsEENSC_INSA_10device_ptrIsEEEESG_SG_EENS0_5tupleIJPsSJ_EEENSR_IJSJ_SJ_EEES6_PlJS6_EEE10hipError_tPvRmT3_T4_T5_T6_T7_T9_mT8_P12ihipStream_tbDpT10_ENKUlT_T0_E_clISt17integral_constantIbLb0EES1E_IbLb1EEEEDaS1A_S1B_EUlS1A_E_NS1_11comp_targetILNS1_3genE4ELNS1_11target_archE910ELNS1_3gpuE8ELNS1_3repE0EEENS1_30default_config_static_selectorELNS0_4arch9wavefront6targetE1EEEvT1_
	.p2align	8
	.type	_ZN7rocprim17ROCPRIM_400000_NS6detail17trampoline_kernelINS0_14default_configENS1_25partition_config_selectorILNS1_17partition_subalgoE2EsNS0_10empty_typeEbEEZZNS1_14partition_implILS5_2ELb0ES3_jN6thrust23THRUST_200600_302600_NS6detail15normal_iteratorINSA_7pointerIsNSA_11hip_rocprim3tagENSA_11use_defaultESG_EEEEPS6_NSA_18transform_iteratorINSA_8identityIsEENSC_INSA_10device_ptrIsEEEESG_SG_EENS0_5tupleIJPsSJ_EEENSR_IJSJ_SJ_EEES6_PlJS6_EEE10hipError_tPvRmT3_T4_T5_T6_T7_T9_mT8_P12ihipStream_tbDpT10_ENKUlT_T0_E_clISt17integral_constantIbLb0EES1E_IbLb1EEEEDaS1A_S1B_EUlS1A_E_NS1_11comp_targetILNS1_3genE4ELNS1_11target_archE910ELNS1_3gpuE8ELNS1_3repE0EEENS1_30default_config_static_selectorELNS0_4arch9wavefront6targetE1EEEvT1_,@function
_ZN7rocprim17ROCPRIM_400000_NS6detail17trampoline_kernelINS0_14default_configENS1_25partition_config_selectorILNS1_17partition_subalgoE2EsNS0_10empty_typeEbEEZZNS1_14partition_implILS5_2ELb0ES3_jN6thrust23THRUST_200600_302600_NS6detail15normal_iteratorINSA_7pointerIsNSA_11hip_rocprim3tagENSA_11use_defaultESG_EEEEPS6_NSA_18transform_iteratorINSA_8identityIsEENSC_INSA_10device_ptrIsEEEESG_SG_EENS0_5tupleIJPsSJ_EEENSR_IJSJ_SJ_EEES6_PlJS6_EEE10hipError_tPvRmT3_T4_T5_T6_T7_T9_mT8_P12ihipStream_tbDpT10_ENKUlT_T0_E_clISt17integral_constantIbLb0EES1E_IbLb1EEEEDaS1A_S1B_EUlS1A_E_NS1_11comp_targetILNS1_3genE4ELNS1_11target_archE910ELNS1_3gpuE8ELNS1_3repE0EEENS1_30default_config_static_selectorELNS0_4arch9wavefront6targetE1EEEvT1_: ; @_ZN7rocprim17ROCPRIM_400000_NS6detail17trampoline_kernelINS0_14default_configENS1_25partition_config_selectorILNS1_17partition_subalgoE2EsNS0_10empty_typeEbEEZZNS1_14partition_implILS5_2ELb0ES3_jN6thrust23THRUST_200600_302600_NS6detail15normal_iteratorINSA_7pointerIsNSA_11hip_rocprim3tagENSA_11use_defaultESG_EEEEPS6_NSA_18transform_iteratorINSA_8identityIsEENSC_INSA_10device_ptrIsEEEESG_SG_EENS0_5tupleIJPsSJ_EEENSR_IJSJ_SJ_EEES6_PlJS6_EEE10hipError_tPvRmT3_T4_T5_T6_T7_T9_mT8_P12ihipStream_tbDpT10_ENKUlT_T0_E_clISt17integral_constantIbLb0EES1E_IbLb1EEEEDaS1A_S1B_EUlS1A_E_NS1_11comp_targetILNS1_3genE4ELNS1_11target_archE910ELNS1_3gpuE8ELNS1_3repE0EEENS1_30default_config_static_selectorELNS0_4arch9wavefront6targetE1EEEvT1_
; %bb.0:
	s_load_dwordx2 s[6:7], s[4:5], 0x20
	s_load_dwordx2 s[24:25], s[4:5], 0x30
	;; [unrolled: 1-line block ×3, first 2 shown]
	s_load_dwordx4 s[20:23], s[4:5], 0x50
	s_load_dwordx2 s[34:35], s[4:5], 0x70
	v_cmp_eq_u32_e64 s[0:1], 0, v0
	s_and_saveexec_b64 s[2:3], s[0:1]
	s_cbranch_execz .LBB571_4
; %bb.1:
	s_mov_b64 s[10:11], exec
	v_mbcnt_lo_u32_b32 v1, s10, 0
	v_mbcnt_hi_u32_b32 v1, s11, v1
	v_cmp_eq_u32_e32 vcc, 0, v1
                                        ; implicit-def: $vgpr2
	s_and_saveexec_b64 s[8:9], vcc
	s_cbranch_execz .LBB571_3
; %bb.2:
	s_load_dwordx2 s[12:13], s[4:5], 0x80
	s_bcnt1_i32_b64 s10, s[10:11]
	v_mov_b32_e32 v2, 0
	v_mov_b32_e32 v3, s10
	s_waitcnt lgkmcnt(0)
	global_atomic_add v2, v2, v3, s[12:13] glc
.LBB571_3:
	s_or_b64 exec, exec, s[8:9]
	s_waitcnt vmcnt(0)
	v_readfirstlane_b32 s8, v2
	v_add_u32_e32 v1, s8, v1
	v_mov_b32_e32 v2, 0
	ds_write_b32 v2, v1
.LBB571_4:
	s_or_b64 exec, exec, s[2:3]
	v_mov_b32_e32 v1, 0
	s_load_dwordx4 s[16:19], s[4:5], 0x8
	s_load_dword s2, s[4:5], 0x78
	s_waitcnt lgkmcnt(0)
	s_barrier
	ds_read_b32 v2, v1
	s_waitcnt lgkmcnt(0)
	s_barrier
	global_load_dwordx2 v[12:13], v1, s[22:23]
	s_lshl_b64 s[4:5], s[18:19], 1
	s_add_u32 s10, s16, s4
	s_addc_u32 s11, s17, s5
	s_add_i32 s8, s2, -1
	s_mulk_i32 s2, 0x1400
	s_add_i32 s3, s2, s18
	s_sub_i32 s33, s26, s3
	s_addk_i32 s33, 0x1400
	s_add_u32 s2, s18, s2
	v_readfirstlane_b32 s42, v2
	s_addc_u32 s3, s19, 0
	s_cmp_eq_u32 s42, s8
	v_pk_mov_b32 v[2:3], s[26:27], s[26:27] op_sel:[0,1]
	s_cselect_b64 s[22:23], -1, 0
	s_cmp_lg_u32 s42, s8
	s_mul_i32 s28, s42, 0x1400
	s_mov_b32 s29, 0
	v_cmp_lt_u64_e32 vcc, s[2:3], v[2:3]
	s_cselect_b64 s[2:3], -1, 0
	s_or_b64 s[30:31], vcc, s[2:3]
	s_lshl_b64 s[8:9], s[28:29], 1
	s_add_u32 s12, s10, s8
	s_addc_u32 s13, s11, s9
	s_mov_b64 s[2:3], -1
	s_and_b64 vcc, exec, s[30:31]
	v_lshlrev_b32_e32 v1, 1, v0
	s_cbranch_vccz .LBB571_6
; %bb.5:
	v_mov_b32_e32 v3, s13
	v_add_co_u32_e32 v2, vcc, s12, v1
	v_addc_co_u32_e32 v3, vcc, 0, v3, vcc
	v_add_co_u32_e32 v4, vcc, 0x1000, v2
	v_addc_co_u32_e32 v5, vcc, 0, v3, vcc
	flat_load_ushort v6, v[2:3]
	flat_load_ushort v7, v[2:3] offset:512
	flat_load_ushort v8, v[2:3] offset:1024
	;; [unrolled: 1-line block ×7, first 2 shown]
	v_add_co_u32_e32 v2, vcc, 0x2000, v2
	v_addc_co_u32_e32 v3, vcc, 0, v3, vcc
	flat_load_ushort v16, v[4:5]
	flat_load_ushort v17, v[4:5] offset:512
	flat_load_ushort v18, v[4:5] offset:1024
	;; [unrolled: 1-line block ×7, first 2 shown]
	s_nop 0
	flat_load_ushort v4, v[2:3]
	flat_load_ushort v5, v[2:3] offset:512
	flat_load_ushort v24, v[2:3] offset:1024
	;; [unrolled: 1-line block ×3, first 2 shown]
	s_mov_b64 s[2:3], 0
	s_waitcnt vmcnt(0) lgkmcnt(0)
	ds_write_b16 v1, v6
	ds_write_b16 v1, v7 offset:512
	ds_write_b16 v1, v8 offset:1024
	;; [unrolled: 1-line block ×19, first 2 shown]
	s_waitcnt lgkmcnt(0)
	s_barrier
.LBB571_6:
	s_andn2_b64 vcc, exec, s[2:3]
	v_cmp_gt_u32_e64 s[2:3], s33, v0
	s_cbranch_vccnz .LBB571_48
; %bb.7:
                                        ; implicit-def: $vgpr2
	s_and_saveexec_b64 s[10:11], s[2:3]
	s_cbranch_execz .LBB571_9
; %bb.8:
	v_mov_b32_e32 v3, s13
	v_add_co_u32_e32 v2, vcc, s12, v1
	v_addc_co_u32_e32 v3, vcc, 0, v3, vcc
	flat_load_ushort v2, v[2:3]
.LBB571_9:
	s_or_b64 exec, exec, s[10:11]
	v_or_b32_e32 v3, 0x100, v0
	v_cmp_gt_u32_e32 vcc, s33, v3
                                        ; implicit-def: $vgpr3
	s_and_saveexec_b64 s[2:3], vcc
	s_cbranch_execz .LBB571_11
; %bb.10:
	v_mov_b32_e32 v3, s13
	v_add_co_u32_e32 v4, vcc, s12, v1
	v_addc_co_u32_e32 v5, vcc, 0, v3, vcc
	flat_load_ushort v3, v[4:5] offset:512
.LBB571_11:
	s_or_b64 exec, exec, s[2:3]
	v_or_b32_e32 v4, 0x200, v0
	v_cmp_gt_u32_e32 vcc, s33, v4
                                        ; implicit-def: $vgpr4
	s_and_saveexec_b64 s[2:3], vcc
	s_cbranch_execz .LBB571_13
; %bb.12:
	v_mov_b32_e32 v5, s13
	v_add_co_u32_e32 v4, vcc, s12, v1
	v_addc_co_u32_e32 v5, vcc, 0, v5, vcc
	flat_load_ushort v4, v[4:5] offset:1024
.LBB571_13:
	s_or_b64 exec, exec, s[2:3]
	v_or_b32_e32 v5, 0x300, v0
	v_cmp_gt_u32_e32 vcc, s33, v5
                                        ; implicit-def: $vgpr5
	s_and_saveexec_b64 s[2:3], vcc
	s_cbranch_execz .LBB571_15
; %bb.14:
	v_mov_b32_e32 v5, s13
	v_add_co_u32_e32 v6, vcc, s12, v1
	v_addc_co_u32_e32 v7, vcc, 0, v5, vcc
	flat_load_ushort v5, v[6:7] offset:1536
.LBB571_15:
	s_or_b64 exec, exec, s[2:3]
	v_or_b32_e32 v6, 0x400, v0
	v_cmp_gt_u32_e32 vcc, s33, v6
                                        ; implicit-def: $vgpr6
	s_and_saveexec_b64 s[2:3], vcc
	s_cbranch_execz .LBB571_17
; %bb.16:
	v_mov_b32_e32 v7, s13
	v_add_co_u32_e32 v6, vcc, s12, v1
	v_addc_co_u32_e32 v7, vcc, 0, v7, vcc
	flat_load_ushort v6, v[6:7] offset:2048
.LBB571_17:
	s_or_b64 exec, exec, s[2:3]
	v_or_b32_e32 v7, 0x500, v0
	v_cmp_gt_u32_e32 vcc, s33, v7
                                        ; implicit-def: $vgpr7
	s_and_saveexec_b64 s[2:3], vcc
	s_cbranch_execz .LBB571_19
; %bb.18:
	v_mov_b32_e32 v7, s13
	v_add_co_u32_e32 v8, vcc, s12, v1
	v_addc_co_u32_e32 v9, vcc, 0, v7, vcc
	flat_load_ushort v7, v[8:9] offset:2560
.LBB571_19:
	s_or_b64 exec, exec, s[2:3]
	v_or_b32_e32 v8, 0x600, v0
	v_cmp_gt_u32_e32 vcc, s33, v8
                                        ; implicit-def: $vgpr8
	s_and_saveexec_b64 s[2:3], vcc
	s_cbranch_execz .LBB571_21
; %bb.20:
	v_mov_b32_e32 v9, s13
	v_add_co_u32_e32 v8, vcc, s12, v1
	v_addc_co_u32_e32 v9, vcc, 0, v9, vcc
	flat_load_ushort v8, v[8:9] offset:3072
.LBB571_21:
	s_or_b64 exec, exec, s[2:3]
	v_or_b32_e32 v9, 0x700, v0
	v_cmp_gt_u32_e32 vcc, s33, v9
                                        ; implicit-def: $vgpr9
	s_and_saveexec_b64 s[2:3], vcc
	s_cbranch_execz .LBB571_23
; %bb.22:
	v_mov_b32_e32 v9, s13
	v_add_co_u32_e32 v10, vcc, s12, v1
	v_addc_co_u32_e32 v11, vcc, 0, v9, vcc
	flat_load_ushort v9, v[10:11] offset:3584
.LBB571_23:
	s_or_b64 exec, exec, s[2:3]
	v_or_b32_e32 v11, 0x800, v0
	v_cmp_gt_u32_e32 vcc, s33, v11
                                        ; implicit-def: $vgpr10
	s_and_saveexec_b64 s[2:3], vcc
	s_cbranch_execz .LBB571_25
; %bb.24:
	v_lshlrev_b32_e32 v10, 1, v11
	v_mov_b32_e32 v11, s13
	v_add_co_u32_e32 v10, vcc, s12, v10
	v_addc_co_u32_e32 v11, vcc, 0, v11, vcc
	flat_load_ushort v10, v[10:11]
.LBB571_25:
	s_or_b64 exec, exec, s[2:3]
	v_or_b32_e32 v14, 0x900, v0
	v_cmp_gt_u32_e32 vcc, s33, v14
                                        ; implicit-def: $vgpr11
	s_and_saveexec_b64 s[2:3], vcc
	s_cbranch_execz .LBB571_27
; %bb.26:
	v_lshlrev_b32_e32 v11, 1, v14
	v_mov_b32_e32 v15, s13
	v_add_co_u32_e32 v14, vcc, s12, v11
	v_addc_co_u32_e32 v15, vcc, 0, v15, vcc
	flat_load_ushort v11, v[14:15]
.LBB571_27:
	s_or_b64 exec, exec, s[2:3]
	v_or_b32_e32 v15, 0xa00, v0
	v_cmp_gt_u32_e32 vcc, s33, v15
                                        ; implicit-def: $vgpr14
	s_and_saveexec_b64 s[2:3], vcc
	s_cbranch_execz .LBB571_29
; %bb.28:
	v_lshlrev_b32_e32 v14, 1, v15
	v_mov_b32_e32 v15, s13
	v_add_co_u32_e32 v14, vcc, s12, v14
	v_addc_co_u32_e32 v15, vcc, 0, v15, vcc
	flat_load_ushort v14, v[14:15]
.LBB571_29:
	s_or_b64 exec, exec, s[2:3]
	v_or_b32_e32 v16, 0xb00, v0
	v_cmp_gt_u32_e32 vcc, s33, v16
                                        ; implicit-def: $vgpr15
	s_and_saveexec_b64 s[2:3], vcc
	s_cbranch_execz .LBB571_31
; %bb.30:
	v_lshlrev_b32_e32 v15, 1, v16
	v_mov_b32_e32 v17, s13
	v_add_co_u32_e32 v16, vcc, s12, v15
	v_addc_co_u32_e32 v17, vcc, 0, v17, vcc
	flat_load_ushort v15, v[16:17]
.LBB571_31:
	s_or_b64 exec, exec, s[2:3]
	v_or_b32_e32 v17, 0xc00, v0
	v_cmp_gt_u32_e32 vcc, s33, v17
                                        ; implicit-def: $vgpr16
	s_and_saveexec_b64 s[2:3], vcc
	s_cbranch_execz .LBB571_33
; %bb.32:
	v_lshlrev_b32_e32 v16, 1, v17
	v_mov_b32_e32 v17, s13
	v_add_co_u32_e32 v16, vcc, s12, v16
	v_addc_co_u32_e32 v17, vcc, 0, v17, vcc
	flat_load_ushort v16, v[16:17]
.LBB571_33:
	s_or_b64 exec, exec, s[2:3]
	v_or_b32_e32 v18, 0xd00, v0
	v_cmp_gt_u32_e32 vcc, s33, v18
                                        ; implicit-def: $vgpr17
	s_and_saveexec_b64 s[2:3], vcc
	s_cbranch_execz .LBB571_35
; %bb.34:
	v_lshlrev_b32_e32 v17, 1, v18
	v_mov_b32_e32 v19, s13
	v_add_co_u32_e32 v18, vcc, s12, v17
	v_addc_co_u32_e32 v19, vcc, 0, v19, vcc
	flat_load_ushort v17, v[18:19]
.LBB571_35:
	s_or_b64 exec, exec, s[2:3]
	v_or_b32_e32 v19, 0xe00, v0
	v_cmp_gt_u32_e32 vcc, s33, v19
                                        ; implicit-def: $vgpr18
	s_and_saveexec_b64 s[2:3], vcc
	s_cbranch_execz .LBB571_37
; %bb.36:
	v_lshlrev_b32_e32 v18, 1, v19
	v_mov_b32_e32 v19, s13
	v_add_co_u32_e32 v18, vcc, s12, v18
	v_addc_co_u32_e32 v19, vcc, 0, v19, vcc
	flat_load_ushort v18, v[18:19]
.LBB571_37:
	s_or_b64 exec, exec, s[2:3]
	v_or_b32_e32 v20, 0xf00, v0
	v_cmp_gt_u32_e32 vcc, s33, v20
                                        ; implicit-def: $vgpr19
	s_and_saveexec_b64 s[2:3], vcc
	s_cbranch_execz .LBB571_39
; %bb.38:
	v_lshlrev_b32_e32 v19, 1, v20
	v_mov_b32_e32 v21, s13
	v_add_co_u32_e32 v20, vcc, s12, v19
	v_addc_co_u32_e32 v21, vcc, 0, v21, vcc
	flat_load_ushort v19, v[20:21]
.LBB571_39:
	s_or_b64 exec, exec, s[2:3]
	v_or_b32_e32 v21, 0x1000, v0
	v_cmp_gt_u32_e32 vcc, s33, v21
                                        ; implicit-def: $vgpr20
	s_and_saveexec_b64 s[2:3], vcc
	s_cbranch_execz .LBB571_41
; %bb.40:
	v_lshlrev_b32_e32 v20, 1, v21
	v_mov_b32_e32 v21, s13
	v_add_co_u32_e32 v20, vcc, s12, v20
	v_addc_co_u32_e32 v21, vcc, 0, v21, vcc
	flat_load_ushort v20, v[20:21]
.LBB571_41:
	s_or_b64 exec, exec, s[2:3]
	v_or_b32_e32 v22, 0x1100, v0
	v_cmp_gt_u32_e32 vcc, s33, v22
                                        ; implicit-def: $vgpr21
	s_and_saveexec_b64 s[2:3], vcc
	s_cbranch_execz .LBB571_43
; %bb.42:
	v_lshlrev_b32_e32 v21, 1, v22
	v_mov_b32_e32 v23, s13
	v_add_co_u32_e32 v22, vcc, s12, v21
	v_addc_co_u32_e32 v23, vcc, 0, v23, vcc
	flat_load_ushort v21, v[22:23]
.LBB571_43:
	s_or_b64 exec, exec, s[2:3]
	v_or_b32_e32 v23, 0x1200, v0
	v_cmp_gt_u32_e32 vcc, s33, v23
                                        ; implicit-def: $vgpr22
	s_and_saveexec_b64 s[2:3], vcc
	s_cbranch_execz .LBB571_45
; %bb.44:
	v_lshlrev_b32_e32 v22, 1, v23
	v_mov_b32_e32 v23, s13
	v_add_co_u32_e32 v22, vcc, s12, v22
	v_addc_co_u32_e32 v23, vcc, 0, v23, vcc
	flat_load_ushort v22, v[22:23]
.LBB571_45:
	s_or_b64 exec, exec, s[2:3]
	v_or_b32_e32 v24, 0x1300, v0
	v_cmp_gt_u32_e32 vcc, s33, v24
                                        ; implicit-def: $vgpr23
	s_and_saveexec_b64 s[2:3], vcc
	s_cbranch_execz .LBB571_47
; %bb.46:
	v_lshlrev_b32_e32 v23, 1, v24
	v_mov_b32_e32 v25, s13
	v_add_co_u32_e32 v24, vcc, s12, v23
	v_addc_co_u32_e32 v25, vcc, 0, v25, vcc
	flat_load_ushort v23, v[24:25]
.LBB571_47:
	s_or_b64 exec, exec, s[2:3]
	s_waitcnt vmcnt(0) lgkmcnt(0)
	ds_write_b16 v1, v2
	ds_write_b16 v1, v3 offset:512
	ds_write_b16 v1, v4 offset:1024
	ds_write_b16 v1, v5 offset:1536
	ds_write_b16 v1, v6 offset:2048
	ds_write_b16 v1, v7 offset:2560
	ds_write_b16 v1, v8 offset:3072
	ds_write_b16 v1, v9 offset:3584
	ds_write_b16 v1, v10 offset:4096
	ds_write_b16 v1, v11 offset:4608
	ds_write_b16 v1, v14 offset:5120
	ds_write_b16 v1, v15 offset:5632
	ds_write_b16 v1, v16 offset:6144
	ds_write_b16 v1, v17 offset:6656
	ds_write_b16 v1, v18 offset:7168
	ds_write_b16 v1, v19 offset:7680
	ds_write_b16 v1, v20 offset:8192
	ds_write_b16 v1, v21 offset:8704
	ds_write_b16 v1, v22 offset:9216
	ds_write_b16 v1, v23 offset:9728
	s_waitcnt lgkmcnt(0)
	s_barrier
.LBB571_48:
	v_mul_u32_u24_e32 v28, 20, v0
	v_lshlrev_b32_e32 v6, 1, v28
	ds_read_b64 v[14:15], v6 offset:32
	ds_read2_b64 v[2:5], v6 offset0:2 offset1:3
	ds_read2_b64 v[6:9], v6 offset1:1
	s_add_u32 s2, s6, s4
	s_addc_u32 s3, s7, s5
	s_add_u32 s2, s2, s8
	s_addc_u32 s3, s3, s9
	s_mov_b64 s[4:5], -1
	s_and_b64 vcc, exec, s[30:31]
	s_waitcnt lgkmcnt(0)
	s_barrier
	s_cbranch_vccz .LBB571_50
; %bb.49:
	global_load_ushort v18, v1, s[2:3]
	global_load_ushort v19, v1, s[2:3] offset:512
	global_load_ushort v20, v1, s[2:3] offset:1024
	v_mov_b32_e32 v10, s3
	v_add_co_u32_e32 v16, vcc, s2, v1
	s_movk_i32 s5, 0x2000
	v_addc_co_u32_e32 v17, vcc, 0, v10, vcc
	v_add_co_u32_e32 v10, vcc, s5, v16
	global_load_ushort v21, v1, s[2:3] offset:1536
	global_load_ushort v22, v1, s[2:3] offset:2048
	;; [unrolled: 1-line block ×5, first 2 shown]
	v_addc_co_u32_e32 v11, vcc, 0, v17, vcc
	global_load_ushort v26, v[10:11], off offset:-4096
	s_movk_i32 s4, 0x1000
	v_add_co_u32_e32 v16, vcc, s4, v16
	v_addc_co_u32_e32 v17, vcc, 0, v17, vcc
	global_load_ushort v27, v[16:17], off offset:512
	global_load_ushort v29, v[16:17], off offset:1024
	;; [unrolled: 1-line block ×7, first 2 shown]
	global_load_ushort v35, v[10:11], off
	global_load_ushort v36, v[10:11], off offset:512
	global_load_ushort v37, v[10:11], off offset:1024
	;; [unrolled: 1-line block ×3, first 2 shown]
	s_mov_b64 s[4:5], 0
	s_waitcnt vmcnt(19)
	v_cmp_ne_u16_e32 vcc, 0, v18
	v_cndmask_b32_e64 v10, 0, 1, vcc
	s_waitcnt vmcnt(18)
	v_cmp_ne_u16_e32 vcc, 0, v19
	v_cndmask_b32_e64 v11, 0, 1, vcc
	;; [unrolled: 3-line block ×8, first 2 shown]
	s_waitcnt vmcnt(11)
	v_cmp_ne_u16_e32 vcc, 0, v26
	ds_write_b8 v0, v10
	ds_write_b8 v0, v11 offset:256
	ds_write_b8 v0, v16 offset:512
	;; [unrolled: 1-line block ×7, first 2 shown]
	v_cndmask_b32_e64 v10, 0, 1, vcc
	s_waitcnt vmcnt(10)
	v_cmp_ne_u16_e32 vcc, 0, v27
	v_cndmask_b32_e64 v11, 0, 1, vcc
	s_waitcnt vmcnt(9)
	v_cmp_ne_u16_e32 vcc, 0, v29
	;; [unrolled: 3-line block ×11, first 2 shown]
	v_cndmask_b32_e64 v25, 0, 1, vcc
	ds_write_b8 v0, v10 offset:2048
	ds_write_b8 v0, v11 offset:2304
	;; [unrolled: 1-line block ×12, first 2 shown]
	s_waitcnt lgkmcnt(0)
	s_barrier
.LBB571_50:
	s_andn2_b64 vcc, exec, s[4:5]
	s_cbranch_vccnz .LBB571_92
; %bb.51:
	v_cmp_gt_u32_e32 vcc, s33, v0
	v_mov_b32_e32 v10, 0
	v_mov_b32_e32 v11, 0
	s_and_saveexec_b64 s[4:5], vcc
	s_cbranch_execz .LBB571_53
; %bb.52:
	global_load_ushort v11, v1, s[2:3]
	s_waitcnt vmcnt(0)
	v_cmp_ne_u16_e32 vcc, 0, v11
	v_cndmask_b32_e64 v11, 0, 1, vcc
.LBB571_53:
	s_or_b64 exec, exec, s[4:5]
	v_or_b32_e32 v16, 0x100, v0
	v_cmp_gt_u32_e32 vcc, s33, v16
	s_and_saveexec_b64 s[4:5], vcc
	s_cbranch_execz .LBB571_55
; %bb.54:
	global_load_ushort v10, v1, s[2:3] offset:512
	s_waitcnt vmcnt(0)
	v_cmp_ne_u16_e32 vcc, 0, v10
	v_cndmask_b32_e64 v10, 0, 1, vcc
.LBB571_55:
	s_or_b64 exec, exec, s[4:5]
	v_or_b32_e32 v16, 0x200, v0
	v_cmp_gt_u32_e32 vcc, s33, v16
	v_mov_b32_e32 v16, 0
	v_mov_b32_e32 v17, 0
	s_and_saveexec_b64 s[4:5], vcc
	s_cbranch_execz .LBB571_57
; %bb.56:
	global_load_ushort v17, v1, s[2:3] offset:1024
	s_waitcnt vmcnt(0)
	v_cmp_ne_u16_e32 vcc, 0, v17
	v_cndmask_b32_e64 v17, 0, 1, vcc
.LBB571_57:
	s_or_b64 exec, exec, s[4:5]
	v_or_b32_e32 v18, 0x300, v0
	v_cmp_gt_u32_e32 vcc, s33, v18
	s_and_saveexec_b64 s[4:5], vcc
	s_cbranch_execz .LBB571_59
; %bb.58:
	global_load_ushort v16, v1, s[2:3] offset:1536
	s_waitcnt vmcnt(0)
	v_cmp_ne_u16_e32 vcc, 0, v16
	v_cndmask_b32_e64 v16, 0, 1, vcc
.LBB571_59:
	s_or_b64 exec, exec, s[4:5]
	v_or_b32_e32 v18, 0x400, v0
	v_cmp_gt_u32_e32 vcc, s33, v18
	v_mov_b32_e32 v18, 0
	v_mov_b32_e32 v19, 0
	s_and_saveexec_b64 s[4:5], vcc
	s_cbranch_execz .LBB571_61
; %bb.60:
	global_load_ushort v19, v1, s[2:3] offset:2048
	s_waitcnt vmcnt(0)
	v_cmp_ne_u16_e32 vcc, 0, v19
	v_cndmask_b32_e64 v19, 0, 1, vcc
.LBB571_61:
	;; [unrolled: 24-line block ×3, first 2 shown]
	s_or_b64 exec, exec, s[4:5]
	v_or_b32_e32 v22, 0x700, v0
	v_cmp_gt_u32_e32 vcc, s33, v22
	s_and_saveexec_b64 s[4:5], vcc
	s_cbranch_execz .LBB571_67
; %bb.66:
	global_load_ushort v20, v1, s[2:3] offset:3584
	s_waitcnt vmcnt(0)
	v_cmp_ne_u16_e32 vcc, 0, v20
	v_cndmask_b32_e64 v20, 0, 1, vcc
.LBB571_67:
	s_or_b64 exec, exec, s[4:5]
	v_or_b32_e32 v24, 0x800, v0
	v_cmp_gt_u32_e32 vcc, s33, v24
	v_mov_b32_e32 v22, 0
	v_mov_b32_e32 v23, 0
	s_and_saveexec_b64 s[4:5], vcc
	s_cbranch_execz .LBB571_69
; %bb.68:
	v_lshlrev_b32_e32 v23, 1, v24
	global_load_ushort v23, v23, s[2:3]
	s_waitcnt vmcnt(0)
	v_cmp_ne_u16_e32 vcc, 0, v23
	v_cndmask_b32_e64 v23, 0, 1, vcc
.LBB571_69:
	s_or_b64 exec, exec, s[4:5]
	v_or_b32_e32 v24, 0x900, v0
	v_cmp_gt_u32_e32 vcc, s33, v24
	s_and_saveexec_b64 s[4:5], vcc
	s_cbranch_execz .LBB571_71
; %bb.70:
	v_lshlrev_b32_e32 v22, 1, v24
	global_load_ushort v22, v22, s[2:3]
	s_waitcnt vmcnt(0)
	v_cmp_ne_u16_e32 vcc, 0, v22
	v_cndmask_b32_e64 v22, 0, 1, vcc
.LBB571_71:
	s_or_b64 exec, exec, s[4:5]
	v_or_b32_e32 v26, 0xa00, v0
	v_cmp_gt_u32_e32 vcc, s33, v26
	v_mov_b32_e32 v24, 0
	v_mov_b32_e32 v25, 0
	s_and_saveexec_b64 s[4:5], vcc
	s_cbranch_execz .LBB571_73
; %bb.72:
	v_lshlrev_b32_e32 v25, 1, v26
	global_load_ushort v25, v25, s[2:3]
	s_waitcnt vmcnt(0)
	v_cmp_ne_u16_e32 vcc, 0, v25
	v_cndmask_b32_e64 v25, 0, 1, vcc
.LBB571_73:
	s_or_b64 exec, exec, s[4:5]
	v_or_b32_e32 v26, 0xb00, v0
	v_cmp_gt_u32_e32 vcc, s33, v26
	s_and_saveexec_b64 s[4:5], vcc
	s_cbranch_execz .LBB571_75
; %bb.74:
	v_lshlrev_b32_e32 v24, 1, v26
	global_load_ushort v24, v24, s[2:3]
	s_waitcnt vmcnt(0)
	v_cmp_ne_u16_e32 vcc, 0, v24
	v_cndmask_b32_e64 v24, 0, 1, vcc
.LBB571_75:
	;; [unrolled: 26-line block ×6, first 2 shown]
	s_or_b64 exec, exec, s[4:5]
	ds_write_b8 v0, v11
	ds_write_b8 v0, v10 offset:256
	ds_write_b8 v0, v17 offset:512
	;; [unrolled: 1-line block ×19, first 2 shown]
	s_waitcnt lgkmcnt(0)
	s_barrier
.LBB571_92:
	ds_read2_b32 v[18:19], v28 offset1:1
	ds_read2_b32 v[16:17], v28 offset0:2 offset1:3
	ds_read_b32 v30, v28 offset:16
	s_cmp_lg_u32 s42, 0
	v_lshrrev_b32_e32 v49, 6, v0
	s_waitcnt lgkmcnt(2)
	v_lshrrev_b32_e32 v35, 24, v18
	v_bfe_u32 v47, v18, 16, 8
	v_add_u32_sdwa v10, v18, v18 dst_sel:DWORD dst_unused:UNUSED_PAD src0_sel:BYTE_1 src1_sel:BYTE_0
	v_and_b32_e32 v44, 0xff, v19
	v_bfe_u32 v45, v19, 8, 8
	v_add3_u32 v10, v10, v47, v35
	v_lshrrev_b32_e32 v34, 24, v19
	v_bfe_u32 v46, v19, 16, 8
	v_add3_u32 v10, v10, v44, v45
	s_waitcnt lgkmcnt(1)
	v_and_b32_e32 v41, 0xff, v16
	v_bfe_u32 v42, v16, 8, 8
	v_add3_u32 v10, v10, v46, v34
	v_lshrrev_b32_e32 v33, 24, v16
	v_bfe_u32 v43, v16, 16, 8
	v_add3_u32 v10, v10, v41, v42
	v_and_b32_e32 v38, 0xff, v17
	v_bfe_u32 v39, v17, 8, 8
	v_add3_u32 v10, v10, v43, v33
	v_lshrrev_b32_e32 v32, 24, v17
	v_bfe_u32 v40, v17, 16, 8
	v_add3_u32 v10, v10, v38, v39
	s_waitcnt lgkmcnt(0)
	v_and_b32_e32 v36, 0xff, v30
	v_bfe_u32 v37, v30, 8, 8
	v_add3_u32 v10, v10, v40, v32
	v_lshrrev_b32_e32 v29, 24, v30
	v_bfe_u32 v31, v30, 16, 8
	v_add3_u32 v10, v10, v36, v37
	v_add3_u32 v50, v10, v31, v29
	v_mbcnt_lo_u32_b32 v10, -1, 0
	v_mbcnt_hi_u32_b32 v48, -1, v10
	v_and_b32_e32 v10, 15, v48
	v_cmp_eq_u32_e64 s[14:15], 0, v10
	v_cmp_lt_u32_e64 s[12:13], 1, v10
	v_cmp_lt_u32_e64 s[10:11], 3, v10
	;; [unrolled: 1-line block ×3, first 2 shown]
	v_and_b32_e32 v10, 16, v48
	v_cmp_eq_u32_e64 s[6:7], 0, v10
	v_or_b32_e32 v10, 63, v0
	v_cmp_lt_u32_e64 s[2:3], 31, v48
	v_cmp_eq_u32_e64 s[4:5], v10, v0
	s_barrier
	s_cbranch_scc0 .LBB571_119
; %bb.93:
	v_mov_b32_dpp v10, v50 row_shr:1 row_mask:0xf bank_mask:0xf
	v_cndmask_b32_e64 v10, v10, 0, s[14:15]
	v_add_u32_e32 v10, v10, v50
	s_nop 1
	v_mov_b32_dpp v11, v10 row_shr:2 row_mask:0xf bank_mask:0xf
	v_cndmask_b32_e64 v11, 0, v11, s[12:13]
	v_add_u32_e32 v10, v10, v11
	s_nop 1
	;; [unrolled: 4-line block ×4, first 2 shown]
	v_mov_b32_dpp v11, v10 row_bcast:15 row_mask:0xf bank_mask:0xf
	v_cndmask_b32_e64 v11, v11, 0, s[6:7]
	v_add_u32_e32 v10, v10, v11
	s_nop 1
	v_mov_b32_dpp v11, v10 row_bcast:31 row_mask:0xf bank_mask:0xf
	v_cndmask_b32_e64 v11, 0, v11, s[2:3]
	v_add_u32_e32 v10, v10, v11
	s_and_saveexec_b64 s[16:17], s[4:5]
	s_cbranch_execz .LBB571_95
; %bb.94:
	v_lshlrev_b32_e32 v11, 2, v49
	ds_write_b32 v11, v10
.LBB571_95:
	s_or_b64 exec, exec, s[16:17]
	v_cmp_gt_u32_e32 vcc, 4, v0
	s_waitcnt lgkmcnt(0)
	s_barrier
	s_and_saveexec_b64 s[16:17], vcc
	s_cbranch_execz .LBB571_97
; %bb.96:
	v_lshlrev_b32_e32 v11, 2, v0
	ds_read_b32 v20, v11
	v_and_b32_e32 v21, 3, v48
	v_cmp_ne_u32_e32 vcc, 0, v21
	s_waitcnt lgkmcnt(0)
	v_mov_b32_dpp v22, v20 row_shr:1 row_mask:0xf bank_mask:0xf
	v_cndmask_b32_e32 v22, 0, v22, vcc
	v_add_u32_e32 v20, v22, v20
	v_cmp_lt_u32_e32 vcc, 1, v21
	s_nop 0
	v_mov_b32_dpp v22, v20 row_shr:2 row_mask:0xf bank_mask:0xf
	v_cndmask_b32_e32 v21, 0, v22, vcc
	v_add_u32_e32 v20, v20, v21
	ds_write_b32 v11, v20
.LBB571_97:
	s_or_b64 exec, exec, s[16:17]
	v_cmp_gt_u32_e32 vcc, 64, v0
	v_cmp_lt_u32_e64 s[16:17], 63, v0
	s_waitcnt lgkmcnt(0)
	s_barrier
	s_waitcnt lgkmcnt(0)
                                        ; implicit-def: $vgpr51
	s_and_saveexec_b64 s[36:37], s[16:17]
	s_cbranch_execz .LBB571_99
; %bb.98:
	v_lshl_add_u32 v11, v49, 2, -4
	ds_read_b32 v51, v11
	s_waitcnt lgkmcnt(0)
	v_add_u32_e32 v10, v51, v10
.LBB571_99:
	s_or_b64 exec, exec, s[36:37]
	v_add_u32_e32 v11, -1, v48
	v_and_b32_e32 v20, 64, v48
	v_cmp_lt_i32_e64 s[16:17], v11, v20
	v_cndmask_b32_e64 v11, v11, v48, s[16:17]
	v_lshlrev_b32_e32 v11, 2, v11
	ds_bpermute_b32 v52, v11, v10
	v_cmp_eq_u32_e64 s[16:17], 0, v48
	s_and_saveexec_b64 s[36:37], vcc
	s_cbranch_execz .LBB571_118
; %bb.100:
	v_mov_b32_e32 v25, 0
	ds_read_b32 v10, v25 offset:12
	s_and_saveexec_b64 s[38:39], s[16:17]
	s_cbranch_execz .LBB571_102
; %bb.101:
	s_add_i32 s40, s42, 64
	s_mov_b32 s41, 0
	s_lshl_b64 s[40:41], s[40:41], 3
	s_add_u32 s40, s34, s40
	v_mov_b32_e32 v11, 1
	s_addc_u32 s41, s35, s41
	s_waitcnt lgkmcnt(0)
	global_store_dwordx2 v25, v[10:11], s[40:41]
.LBB571_102:
	s_or_b64 exec, exec, s[38:39]
	v_xad_u32 v20, v48, -1, s42
	v_add_u32_e32 v24, 64, v20
	v_lshlrev_b64 v[22:23], 3, v[24:25]
	v_mov_b32_e32 v11, s35
	v_add_co_u32_e32 v26, vcc, s34, v22
	v_addc_co_u32_e32 v27, vcc, v11, v23, vcc
	global_load_dwordx2 v[22:23], v[26:27], off glc
	s_waitcnt vmcnt(0)
	v_cmp_eq_u16_sdwa s[40:41], v23, v25 src0_sel:BYTE_0 src1_sel:DWORD
	s_and_saveexec_b64 s[38:39], s[40:41]
	s_cbranch_execz .LBB571_106
; %bb.103:
	s_mov_b64 s[40:41], 0
	v_mov_b32_e32 v11, 0
.LBB571_104:                            ; =>This Inner Loop Header: Depth=1
	global_load_dwordx2 v[22:23], v[26:27], off glc
	s_waitcnt vmcnt(0)
	v_cmp_ne_u16_sdwa s[44:45], v23, v11 src0_sel:BYTE_0 src1_sel:DWORD
	s_or_b64 s[40:41], s[44:45], s[40:41]
	s_andn2_b64 exec, exec, s[40:41]
	s_cbranch_execnz .LBB571_104
; %bb.105:
	s_or_b64 exec, exec, s[40:41]
.LBB571_106:
	s_or_b64 exec, exec, s[38:39]
	v_and_b32_e32 v54, 63, v48
	v_mov_b32_e32 v53, 2
	v_cmp_ne_u32_e32 vcc, 63, v54
	v_cmp_eq_u16_sdwa s[38:39], v23, v53 src0_sel:BYTE_0 src1_sel:DWORD
	v_lshlrev_b64 v[24:25], v48, -1
	v_addc_co_u32_e32 v26, vcc, 0, v48, vcc
	v_and_b32_e32 v11, s39, v25
	v_lshlrev_b32_e32 v55, 2, v26
	v_or_b32_e32 v11, 0x80000000, v11
	ds_bpermute_b32 v26, v55, v22
	v_and_b32_e32 v21, s38, v24
	v_ffbl_b32_e32 v11, v11
	v_add_u32_e32 v11, 32, v11
	v_ffbl_b32_e32 v21, v21
	v_min_u32_e32 v11, v21, v11
	v_cmp_lt_u32_e32 vcc, v54, v11
	s_waitcnt lgkmcnt(0)
	v_cndmask_b32_e32 v21, 0, v26, vcc
	v_cmp_gt_u32_e32 vcc, 62, v54
	v_add_u32_e32 v21, v21, v22
	v_cndmask_b32_e64 v22, 0, 1, vcc
	v_lshlrev_b32_e32 v22, 1, v22
	v_add_lshl_u32 v56, v22, v48, 2
	ds_bpermute_b32 v22, v56, v21
	v_add_u32_e32 v57, 2, v54
	v_cmp_le_u32_e32 vcc, v57, v11
	v_add_u32_e32 v59, 4, v54
	v_add_u32_e32 v61, 8, v54
	s_waitcnt lgkmcnt(0)
	v_cndmask_b32_e32 v22, 0, v22, vcc
	v_cmp_gt_u32_e32 vcc, 60, v54
	v_add_u32_e32 v21, v21, v22
	v_cndmask_b32_e64 v22, 0, 1, vcc
	v_lshlrev_b32_e32 v22, 2, v22
	v_add_lshl_u32 v58, v22, v48, 2
	ds_bpermute_b32 v22, v58, v21
	v_cmp_le_u32_e32 vcc, v59, v11
	v_add_u32_e32 v63, 16, v54
	v_add_u32_e32 v65, 32, v54
	s_waitcnt lgkmcnt(0)
	v_cndmask_b32_e32 v22, 0, v22, vcc
	v_cmp_gt_u32_e32 vcc, 56, v54
	v_add_u32_e32 v21, v21, v22
	v_cndmask_b32_e64 v22, 0, 1, vcc
	v_lshlrev_b32_e32 v22, 3, v22
	v_add_lshl_u32 v60, v22, v48, 2
	ds_bpermute_b32 v22, v60, v21
	v_cmp_le_u32_e32 vcc, v61, v11
	s_waitcnt lgkmcnt(0)
	v_cndmask_b32_e32 v22, 0, v22, vcc
	v_cmp_gt_u32_e32 vcc, 48, v54
	v_add_u32_e32 v21, v21, v22
	v_cndmask_b32_e64 v22, 0, 1, vcc
	v_lshlrev_b32_e32 v22, 4, v22
	v_add_lshl_u32 v62, v22, v48, 2
	ds_bpermute_b32 v22, v62, v21
	v_cmp_le_u32_e32 vcc, v63, v11
	;; [unrolled: 9-line block ×3, first 2 shown]
	s_waitcnt lgkmcnt(0)
	v_cndmask_b32_e32 v11, 0, v22, vcc
	v_add_u32_e32 v22, v21, v11
	v_mov_b32_e32 v21, 0
	s_branch .LBB571_108
.LBB571_107:                            ;   in Loop: Header=BB571_108 Depth=1
	s_or_b64 exec, exec, s[38:39]
	v_cmp_eq_u16_sdwa s[38:39], v23, v53 src0_sel:BYTE_0 src1_sel:DWORD
	v_and_b32_e32 v26, s39, v25
	v_or_b32_e32 v26, 0x80000000, v26
	ds_bpermute_b32 v66, v55, v22
	v_and_b32_e32 v27, s38, v24
	v_ffbl_b32_e32 v26, v26
	v_add_u32_e32 v26, 32, v26
	v_ffbl_b32_e32 v27, v27
	v_min_u32_e32 v26, v27, v26
	v_cmp_lt_u32_e32 vcc, v54, v26
	s_waitcnt lgkmcnt(0)
	v_cndmask_b32_e32 v27, 0, v66, vcc
	v_add_u32_e32 v22, v27, v22
	ds_bpermute_b32 v27, v56, v22
	v_cmp_le_u32_e32 vcc, v57, v26
	v_subrev_u32_e32 v20, 64, v20
	s_waitcnt lgkmcnt(0)
	v_cndmask_b32_e32 v27, 0, v27, vcc
	v_add_u32_e32 v22, v22, v27
	ds_bpermute_b32 v27, v58, v22
	v_cmp_le_u32_e32 vcc, v59, v26
	s_waitcnt lgkmcnt(0)
	v_cndmask_b32_e32 v27, 0, v27, vcc
	v_add_u32_e32 v22, v22, v27
	ds_bpermute_b32 v27, v60, v22
	v_cmp_le_u32_e32 vcc, v61, v26
	;; [unrolled: 5-line block ×4, first 2 shown]
	s_waitcnt lgkmcnt(0)
	v_cndmask_b32_e32 v26, 0, v27, vcc
	v_add3_u32 v22, v26, v11, v22
.LBB571_108:                            ; =>This Loop Header: Depth=1
                                        ;     Child Loop BB571_111 Depth 2
	v_cmp_ne_u16_sdwa s[38:39], v23, v53 src0_sel:BYTE_0 src1_sel:DWORD
	v_cndmask_b32_e64 v11, 0, 1, s[38:39]
	;;#ASMSTART
	;;#ASMEND
	v_cmp_ne_u32_e32 vcc, 0, v11
	s_cmp_lg_u64 vcc, exec
	v_mov_b32_e32 v11, v22
	s_cbranch_scc1 .LBB571_113
; %bb.109:                              ;   in Loop: Header=BB571_108 Depth=1
	v_lshlrev_b64 v[22:23], 3, v[20:21]
	v_mov_b32_e32 v27, s35
	v_add_co_u32_e32 v26, vcc, s34, v22
	v_addc_co_u32_e32 v27, vcc, v27, v23, vcc
	global_load_dwordx2 v[22:23], v[26:27], off glc
	s_waitcnt vmcnt(0)
	v_cmp_eq_u16_sdwa s[40:41], v23, v21 src0_sel:BYTE_0 src1_sel:DWORD
	s_and_saveexec_b64 s[38:39], s[40:41]
	s_cbranch_execz .LBB571_107
; %bb.110:                              ;   in Loop: Header=BB571_108 Depth=1
	s_mov_b64 s[40:41], 0
.LBB571_111:                            ;   Parent Loop BB571_108 Depth=1
                                        ; =>  This Inner Loop Header: Depth=2
	global_load_dwordx2 v[22:23], v[26:27], off glc
	s_waitcnt vmcnt(0)
	v_cmp_ne_u16_sdwa s[44:45], v23, v21 src0_sel:BYTE_0 src1_sel:DWORD
	s_or_b64 s[40:41], s[44:45], s[40:41]
	s_andn2_b64 exec, exec, s[40:41]
	s_cbranch_execnz .LBB571_111
; %bb.112:                              ;   in Loop: Header=BB571_108 Depth=1
	s_or_b64 exec, exec, s[40:41]
	s_branch .LBB571_107
.LBB571_113:                            ;   in Loop: Header=BB571_108 Depth=1
                                        ; implicit-def: $vgpr22
                                        ; implicit-def: $vgpr23
	s_cbranch_execz .LBB571_108
; %bb.114:
	s_and_saveexec_b64 s[38:39], s[16:17]
	s_cbranch_execz .LBB571_116
; %bb.115:
	s_add_i32 s40, s42, 64
	s_mov_b32 s41, 0
	s_lshl_b64 s[40:41], s[40:41], 3
	s_add_u32 s40, s34, s40
	v_add_u32_e32 v20, v11, v10
	v_mov_b32_e32 v21, 2
	s_addc_u32 s41, s35, s41
	v_mov_b32_e32 v22, 0
	global_store_dwordx2 v22, v[20:21], s[40:41]
	ds_write_b64 v22, v[10:11] offset:10240
.LBB571_116:
	s_or_b64 exec, exec, s[38:39]
	s_and_b64 exec, exec, s[0:1]
	s_cbranch_execz .LBB571_118
; %bb.117:
	v_mov_b32_e32 v10, 0
	ds_write_b32 v10, v11 offset:12
.LBB571_118:
	s_or_b64 exec, exec, s[36:37]
	v_mov_b32_e32 v10, 0
	s_waitcnt lgkmcnt(0)
	s_barrier
	ds_read_b32 v20, v10 offset:12
	s_waitcnt lgkmcnt(0)
	s_barrier
	ds_read_b64 v[10:11], v10 offset:10240
	v_cndmask_b32_e64 v21, v52, v51, s[16:17]
	v_cndmask_b32_e64 v21, v21, 0, s[0:1]
	v_add_u32_e32 v24, v20, v21
	s_branch .LBB571_129
.LBB571_119:
                                        ; implicit-def: $vgpr11
                                        ; implicit-def: $vgpr24
	s_cbranch_execz .LBB571_129
; %bb.120:
	s_waitcnt lgkmcnt(0)
	v_mov_b32_dpp v10, v50 row_shr:1 row_mask:0xf bank_mask:0xf
	v_cndmask_b32_e64 v10, v10, 0, s[14:15]
	v_add_u32_e32 v10, v10, v50
	s_nop 1
	v_mov_b32_dpp v11, v10 row_shr:2 row_mask:0xf bank_mask:0xf
	v_cndmask_b32_e64 v11, 0, v11, s[12:13]
	v_add_u32_e32 v10, v10, v11
	s_nop 1
	v_mov_b32_dpp v11, v10 row_shr:4 row_mask:0xf bank_mask:0xf
	v_cndmask_b32_e64 v11, 0, v11, s[10:11]
	v_add_u32_e32 v10, v10, v11
	s_nop 1
	v_mov_b32_dpp v11, v10 row_shr:8 row_mask:0xf bank_mask:0xf
	v_cndmask_b32_e64 v11, 0, v11, s[8:9]
	v_add_u32_e32 v10, v10, v11
	s_nop 1
	v_mov_b32_dpp v11, v10 row_bcast:15 row_mask:0xf bank_mask:0xf
	v_cndmask_b32_e64 v11, v11, 0, s[6:7]
	v_add_u32_e32 v10, v10, v11
	s_nop 1
	v_mov_b32_dpp v11, v10 row_bcast:31 row_mask:0xf bank_mask:0xf
	v_cndmask_b32_e64 v11, 0, v11, s[2:3]
	v_add_u32_e32 v10, v10, v11
	s_and_saveexec_b64 s[2:3], s[4:5]
	s_cbranch_execz .LBB571_122
; %bb.121:
	v_lshlrev_b32_e32 v11, 2, v49
	ds_write_b32 v11, v10
.LBB571_122:
	s_or_b64 exec, exec, s[2:3]
	v_cmp_gt_u32_e32 vcc, 4, v0
	s_waitcnt lgkmcnt(0)
	s_barrier
	s_and_saveexec_b64 s[2:3], vcc
	s_cbranch_execz .LBB571_124
; %bb.123:
	v_lshlrev_b32_e32 v11, 2, v0
	ds_read_b32 v20, v11
	v_and_b32_e32 v21, 3, v48
	v_cmp_ne_u32_e32 vcc, 0, v21
	s_waitcnt lgkmcnt(0)
	v_mov_b32_dpp v22, v20 row_shr:1 row_mask:0xf bank_mask:0xf
	v_cndmask_b32_e32 v22, 0, v22, vcc
	v_add_u32_e32 v20, v22, v20
	v_cmp_lt_u32_e32 vcc, 1, v21
	s_nop 0
	v_mov_b32_dpp v22, v20 row_shr:2 row_mask:0xf bank_mask:0xf
	v_cndmask_b32_e32 v21, 0, v22, vcc
	v_add_u32_e32 v20, v20, v21
	ds_write_b32 v11, v20
.LBB571_124:
	s_or_b64 exec, exec, s[2:3]
	v_cmp_lt_u32_e32 vcc, 63, v0
	v_mov_b32_e32 v11, 0
	v_mov_b32_e32 v20, 0
	s_waitcnt lgkmcnt(0)
	s_barrier
	s_and_saveexec_b64 s[2:3], vcc
	s_cbranch_execz .LBB571_126
; %bb.125:
	v_lshl_add_u32 v20, v49, 2, -4
	ds_read_b32 v20, v20
.LBB571_126:
	s_or_b64 exec, exec, s[2:3]
	v_add_u32_e32 v21, -1, v48
	v_and_b32_e32 v22, 64, v48
	v_cmp_lt_i32_e32 vcc, v21, v22
	v_cndmask_b32_e32 v21, v21, v48, vcc
	s_waitcnt lgkmcnt(0)
	v_add_u32_e32 v10, v20, v10
	v_lshlrev_b32_e32 v21, 2, v21
	ds_bpermute_b32 v21, v21, v10
	ds_read_b32 v10, v11 offset:12
	s_and_saveexec_b64 s[2:3], s[0:1]
	s_cbranch_execz .LBB571_128
; %bb.127:
	v_mov_b32_e32 v22, 0
	v_mov_b32_e32 v11, 2
	s_waitcnt lgkmcnt(0)
	global_store_dwordx2 v22, v[10:11], s[34:35] offset:512
.LBB571_128:
	s_or_b64 exec, exec, s[2:3]
	v_cmp_eq_u32_e32 vcc, 0, v48
	s_waitcnt lgkmcnt(1)
	v_cndmask_b32_e32 v20, v21, v20, vcc
	v_mov_b32_e32 v11, 0
	v_cndmask_b32_e64 v24, v20, 0, s[0:1]
	s_waitcnt lgkmcnt(0)
	s_barrier
.LBB571_129:
	v_add_u32_sdwa v26, v24, v18 dst_sel:DWORD dst_unused:UNUSED_PAD src0_sel:DWORD src1_sel:BYTE_0
	s_waitcnt lgkmcnt(0)
	v_add_u32_e32 v28, v10, v28
	v_sub_u32_e32 v24, v24, v11
	v_and_b32_e32 v53, 1, v18
	v_sub_u32_e32 v52, v28, v24
	v_cmp_eq_u32_e32 vcc, 1, v53
	v_cndmask_b32_e32 v24, v52, v24, vcc
	v_lshlrev_b32_e32 v24, 1, v24
	v_lshrrev_b32_e32 v25, 8, v18
	ds_write_b16 v24, v6
	v_sub_u32_e32 v24, v26, v11
	v_add_u32_sdwa v27, v26, v18 dst_sel:DWORD dst_unused:UNUSED_PAD src0_sel:DWORD src1_sel:BYTE_1
	v_sub_u32_e32 v26, v28, v24
	v_and_b32_e32 v25, 1, v25
	v_add_u32_e32 v26, 1, v26
	v_cmp_eq_u32_e32 vcc, 1, v25
	v_cndmask_b32_e32 v24, v26, v24, vcc
	v_lshlrev_b32_e32 v24, 1, v24
	ds_write_b16_d16_hi v24, v6
	v_sub_u32_e32 v6, v27, v11
	v_mov_b32_e32 v25, 1
	v_sub_u32_e32 v24, v28, v6
	v_and_b32_sdwa v18, v25, v18 dst_sel:DWORD dst_unused:UNUSED_PAD src0_sel:DWORD src1_sel:WORD_1
	v_add_u32_e32 v24, 2, v24
	v_cmp_eq_u32_e32 vcc, 1, v18
	v_cndmask_b32_e32 v6, v24, v6, vcc
	v_add_u32_e32 v47, v27, v47
	v_lshlrev_b32_e32 v6, 1, v6
	ds_write_b16 v6, v7
	v_sub_u32_e32 v6, v47, v11
	v_sub_u32_e32 v18, v28, v6
	v_and_b32_e32 v24, 1, v35
	v_add_u32_e32 v18, 3, v18
	v_cmp_eq_u32_e32 vcc, 1, v24
	v_cndmask_b32_e32 v6, v18, v6, vcc
	v_add_u32_e32 v48, v47, v35
	v_lshlrev_b32_e32 v6, 1, v6
	ds_write_b16_d16_hi v6, v7
	v_sub_u32_e32 v6, v48, v11
	v_sub_u32_e32 v7, v28, v6
	v_and_b32_e32 v18, 1, v19
	v_add_u32_e32 v7, 4, v7
	v_cmp_eq_u32_e32 vcc, 1, v18
	v_cndmask_b32_e32 v6, v7, v6, vcc
	v_add_u32_e32 v44, v48, v44
	v_lshlrev_b32_e32 v6, 1, v6
	v_lshrrev_b32_e32 v23, 8, v19
	ds_write_b16 v6, v8
	v_sub_u32_e32 v6, v44, v11
	v_sub_u32_e32 v7, v28, v6
	v_and_b32_e32 v18, 1, v23
	v_add_u32_e32 v7, 5, v7
	v_cmp_eq_u32_e32 vcc, 1, v18
	v_cndmask_b32_e32 v6, v7, v6, vcc
	v_add_u32_e32 v45, v44, v45
	v_lshlrev_b32_e32 v6, 1, v6
	ds_write_b16_d16_hi v6, v8
	v_sub_u32_e32 v6, v45, v11
	v_sub_u32_e32 v7, v28, v6
	v_and_b32_sdwa v8, v25, v19 dst_sel:DWORD dst_unused:UNUSED_PAD src0_sel:DWORD src1_sel:WORD_1
	v_add_u32_e32 v7, 6, v7
	v_cmp_eq_u32_e32 vcc, 1, v8
	v_cndmask_b32_e32 v6, v7, v6, vcc
	v_add_u32_e32 v46, v45, v46
	v_lshlrev_b32_e32 v6, 1, v6
	ds_write_b16 v6, v9
	v_sub_u32_e32 v6, v46, v11
	v_sub_u32_e32 v7, v28, v6
	v_and_b32_e32 v8, 1, v34
	v_add_u32_e32 v7, 7, v7
	v_cmp_eq_u32_e32 vcc, 1, v8
	v_cndmask_b32_e32 v6, v7, v6, vcc
	v_add_u32_e32 v49, v46, v34
	v_lshlrev_b32_e32 v6, 1, v6
	ds_write_b16_d16_hi v6, v9
	v_sub_u32_e32 v6, v49, v11
	v_sub_u32_e32 v7, v28, v6
	v_and_b32_e32 v8, 1, v16
	v_add_u32_e32 v7, 8, v7
	v_cmp_eq_u32_e32 vcc, 1, v8
	v_cndmask_b32_e32 v6, v7, v6, vcc
	v_add_u32_e32 v41, v49, v41
	v_lshlrev_b32_e32 v6, 1, v6
	v_lshrrev_b32_e32 v22, 8, v16
	ds_write_b16 v6, v2
	v_sub_u32_e32 v6, v41, v11
	v_sub_u32_e32 v7, v28, v6
	v_and_b32_e32 v8, 1, v22
	v_add_u32_e32 v7, 9, v7
	v_cmp_eq_u32_e32 vcc, 1, v8
	v_cndmask_b32_e32 v6, v7, v6, vcc
	v_add_u32_e32 v42, v41, v42
	v_lshlrev_b32_e32 v6, 1, v6
	ds_write_b16_d16_hi v6, v2
	v_sub_u32_e32 v2, v42, v11
	;; [unrolled: 37-line block ×4, first 2 shown]
	v_sub_u32_e32 v3, v28, v2
	v_and_b32_sdwa v4, v25, v30 dst_sel:DWORD dst_unused:UNUSED_PAD src0_sel:DWORD src1_sel:WORD_1
	v_add_u32_e32 v3, 18, v3
	v_cmp_eq_u32_e32 vcc, 1, v4
	v_cndmask_b32_e32 v2, v3, v2, vcc
	v_lshlrev_b32_e32 v2, 1, v2
	ds_write_b16 v2, v15
	v_sub_u32_e32 v2, v31, v11
	v_add_u32_e32 v2, v37, v2
	v_sub_u32_e32 v3, v28, v2
	v_and_b32_e32 v4, 1, v29
	v_add_u32_e32 v3, 19, v3
	v_cmp_eq_u32_e32 vcc, 1, v4
	v_cndmask_b32_e32 v2, v3, v2, vcc
	v_lshlrev_b32_e32 v2, 1, v2
	ds_write_b16_d16_hi v2, v15
	s_waitcnt lgkmcnt(0)
	s_barrier
	ds_read_u16 v49, v1
	ds_read_u16 v47, v1 offset:512
	ds_read_u16 v45, v1 offset:1024
	;; [unrolled: 1-line block ×19, first 2 shown]
	s_add_u32 s2, s18, s28
	s_addc_u32 s3, s19, 0
	s_waitcnt vmcnt(0)
	v_add_co_u32_e32 v1, vcc, v12, v11
	s_sub_u32 s2, s26, s2
	v_addc_co_u32_e32 v4, vcc, 0, v13, vcc
	s_subb_u32 s3, s27, s3
	v_mov_b32_e32 v2, s3
	v_add_co_u32_e32 v3, vcc, s2, v10
	v_addc_co_u32_e32 v2, vcc, 0, v2, vcc
	v_add_co_u32_e64 v7, s[2:3], v3, v1
	v_or_b32_e32 v48, 0x100, v0
	v_or_b32_e32 v46, 0x200, v0
	;; [unrolled: 1-line block ×19, first 2 shown]
	s_andn2_b64 vcc, exec, s[30:31]
	v_addc_co_u32_e64 v8, s[2:3], v2, v4, s[2:3]
	s_cbranch_vccnz .LBB571_214
; %bb.130:
	v_cmp_ge_u32_e32 vcc, v0, v10
                                        ; implicit-def: $vgpr2_vgpr3
	s_and_saveexec_b64 s[2:3], vcc
	s_xor_b64 s[2:3], exec, s[2:3]
; %bb.131:
	v_not_b32_e32 v2, v0
	v_ashrrev_i32_e32 v3, 31, v2
	v_add_co_u32_e32 v2, vcc, v7, v2
	v_addc_co_u32_e32 v3, vcc, v8, v3, vcc
; %bb.132:
	s_andn2_saveexec_b64 s[2:3], s[2:3]
; %bb.133:
	v_add_co_u32_e32 v2, vcc, v1, v0
	v_addc_co_u32_e32 v3, vcc, 0, v4, vcc
; %bb.134:
	s_or_b64 exec, exec, s[2:3]
	v_lshlrev_b64 v[2:3], 1, v[2:3]
	v_mov_b32_e32 v11, s25
	v_add_co_u32_e32 v2, vcc, s24, v2
	v_addc_co_u32_e32 v3, vcc, v11, v3, vcc
	v_cmp_ge_u32_e32 vcc, v48, v10
	s_waitcnt lgkmcnt(14)
	global_store_short v[2:3], v49, off
                                        ; implicit-def: $vgpr2_vgpr3
	s_and_saveexec_b64 s[2:3], vcc
	s_xor_b64 s[2:3], exec, s[2:3]
; %bb.135:
	v_xor_b32_e32 v2, 0xfffffeff, v0
	v_ashrrev_i32_e32 v3, 31, v2
	v_add_co_u32_e32 v2, vcc, v7, v2
	v_addc_co_u32_e32 v3, vcc, v8, v3, vcc
; %bb.136:
	s_andn2_saveexec_b64 s[2:3], s[2:3]
; %bb.137:
	v_add_co_u32_e32 v2, vcc, v1, v48
	v_addc_co_u32_e32 v3, vcc, 0, v4, vcc
; %bb.138:
	s_or_b64 exec, exec, s[2:3]
	v_lshlrev_b64 v[2:3], 1, v[2:3]
	v_mov_b32_e32 v11, s25
	v_add_co_u32_e32 v2, vcc, s24, v2
	v_addc_co_u32_e32 v3, vcc, v11, v3, vcc
	v_cmp_ge_u32_e32 vcc, v46, v10
	global_store_short v[2:3], v47, off
                                        ; implicit-def: $vgpr2_vgpr3
	s_and_saveexec_b64 s[2:3], vcc
	s_xor_b64 s[2:3], exec, s[2:3]
; %bb.139:
	v_xor_b32_e32 v2, 0xfffffdff, v0
	v_ashrrev_i32_e32 v3, 31, v2
	v_add_co_u32_e32 v2, vcc, v7, v2
	v_addc_co_u32_e32 v3, vcc, v8, v3, vcc
; %bb.140:
	s_andn2_saveexec_b64 s[2:3], s[2:3]
; %bb.141:
	v_add_co_u32_e32 v2, vcc, v1, v46
	v_addc_co_u32_e32 v3, vcc, 0, v4, vcc
; %bb.142:
	s_or_b64 exec, exec, s[2:3]
	v_lshlrev_b64 v[2:3], 1, v[2:3]
	v_mov_b32_e32 v11, s25
	v_add_co_u32_e32 v2, vcc, s24, v2
	v_addc_co_u32_e32 v3, vcc, v11, v3, vcc
	v_cmp_ge_u32_e32 vcc, v44, v10
	;; [unrolled: 21-line block ×6, first 2 shown]
	s_waitcnt lgkmcnt(13)
	global_store_short v[2:3], v37, off
                                        ; implicit-def: $vgpr2_vgpr3
	s_and_saveexec_b64 s[2:3], vcc
	s_xor_b64 s[2:3], exec, s[2:3]
; %bb.159:
	v_xor_b32_e32 v2, 0xfffff8ff, v0
	v_ashrrev_i32_e32 v3, 31, v2
	v_add_co_u32_e32 v2, vcc, v7, v2
	v_addc_co_u32_e32 v3, vcc, v8, v3, vcc
; %bb.160:
	s_andn2_saveexec_b64 s[2:3], s[2:3]
; %bb.161:
	v_add_co_u32_e32 v2, vcc, v1, v36
	v_addc_co_u32_e32 v3, vcc, 0, v4, vcc
; %bb.162:
	s_or_b64 exec, exec, s[2:3]
	v_lshlrev_b64 v[2:3], 1, v[2:3]
	v_mov_b32_e32 v11, s25
	v_add_co_u32_e32 v2, vcc, s24, v2
	v_addc_co_u32_e32 v3, vcc, v11, v3, vcc
	v_cmp_ge_u32_e32 vcc, v34, v10
	s_waitcnt lgkmcnt(12)
	global_store_short v[2:3], v35, off
                                        ; implicit-def: $vgpr2_vgpr3
	s_and_saveexec_b64 s[2:3], vcc
	s_xor_b64 s[2:3], exec, s[2:3]
; %bb.163:
	v_xor_b32_e32 v2, 0xfffff7ff, v0
	v_ashrrev_i32_e32 v3, 31, v2
	v_add_co_u32_e32 v2, vcc, v7, v2
	v_addc_co_u32_e32 v3, vcc, v8, v3, vcc
; %bb.164:
	s_andn2_saveexec_b64 s[2:3], s[2:3]
; %bb.165:
	v_add_co_u32_e32 v2, vcc, v1, v34
	v_addc_co_u32_e32 v3, vcc, 0, v4, vcc
; %bb.166:
	s_or_b64 exec, exec, s[2:3]
	v_lshlrev_b64 v[2:3], 1, v[2:3]
	v_mov_b32_e32 v11, s25
	v_add_co_u32_e32 v2, vcc, s24, v2
	v_addc_co_u32_e32 v3, vcc, v11, v3, vcc
	v_cmp_ge_u32_e32 vcc, v32, v10
	;; [unrolled: 22-line block ×12, first 2 shown]
	s_waitcnt lgkmcnt(1)
	global_store_short v[2:3], v9, off
                                        ; implicit-def: $vgpr2_vgpr3
	s_and_saveexec_b64 s[2:3], vcc
	s_xor_b64 s[2:3], exec, s[2:3]
; %bb.207:
	v_xor_b32_e32 v2, 0xffffecff, v0
	v_ashrrev_i32_e32 v3, 31, v2
	v_add_co_u32_e32 v2, vcc, v7, v2
	v_addc_co_u32_e32 v3, vcc, v8, v3, vcc
; %bb.208:
	s_andn2_saveexec_b64 s[2:3], s[2:3]
; %bb.209:
	v_add_co_u32_e32 v2, vcc, v1, v6
	v_addc_co_u32_e32 v3, vcc, 0, v4, vcc
; %bb.210:
	s_or_b64 exec, exec, s[2:3]
	s_mov_b64 s[2:3], -1
.LBB571_211:
	s_and_saveexec_b64 s[4:5], s[2:3]
	s_cbranch_execz .LBB571_272
.LBB571_212:
	v_lshlrev_b64 v[2:3], 1, v[2:3]
	v_mov_b32_e32 v0, s25
	v_add_co_u32_e32 v2, vcc, s24, v2
	v_addc_co_u32_e32 v3, vcc, v0, v3, vcc
	s_waitcnt lgkmcnt(0)
	global_store_short v[2:3], v5, off
	s_or_b64 exec, exec, s[4:5]
	s_and_b64 s[0:1], s[0:1], s[22:23]
	s_and_saveexec_b64 s[2:3], s[0:1]
	s_cbranch_execnz .LBB571_273
.LBB571_213:
	s_endpgm
.LBB571_214:
	s_mov_b64 s[2:3], 0
                                        ; implicit-def: $vgpr2_vgpr3
	s_cbranch_execz .LBB571_211
; %bb.215:
	v_cmp_gt_u32_e32 vcc, s33, v0
	s_and_saveexec_b64 s[4:5], vcc
	s_cbranch_execz .LBB571_274
; %bb.216:
	v_cmp_ge_u32_e32 vcc, v0, v10
                                        ; implicit-def: $vgpr2_vgpr3
	s_and_saveexec_b64 s[6:7], vcc
	s_xor_b64 s[6:7], exec, s[6:7]
; %bb.217:
	v_not_b32_e32 v2, v0
	v_ashrrev_i32_e32 v3, 31, v2
	v_add_co_u32_e32 v2, vcc, v7, v2
	v_addc_co_u32_e32 v3, vcc, v8, v3, vcc
; %bb.218:
	s_andn2_saveexec_b64 s[6:7], s[6:7]
; %bb.219:
	v_add_co_u32_e32 v2, vcc, v1, v0
	v_addc_co_u32_e32 v3, vcc, 0, v4, vcc
; %bb.220:
	s_or_b64 exec, exec, s[6:7]
	v_lshlrev_b64 v[2:3], 1, v[2:3]
	v_mov_b32_e32 v11, s25
	v_add_co_u32_e32 v2, vcc, s24, v2
	v_addc_co_u32_e32 v3, vcc, v11, v3, vcc
	s_waitcnt lgkmcnt(14)
	global_store_short v[2:3], v49, off
	s_or_b64 exec, exec, s[4:5]
	v_cmp_gt_u32_e32 vcc, s33, v48
	s_and_saveexec_b64 s[4:5], vcc
	s_cbranch_execnz .LBB571_275
.LBB571_221:
	s_or_b64 exec, exec, s[4:5]
	v_cmp_gt_u32_e32 vcc, s33, v46
	s_and_saveexec_b64 s[4:5], vcc
	s_cbranch_execz .LBB571_280
.LBB571_222:
	v_cmp_ge_u32_e32 vcc, v46, v10
                                        ; implicit-def: $vgpr2_vgpr3
	s_and_saveexec_b64 s[6:7], vcc
	s_xor_b64 s[6:7], exec, s[6:7]
; %bb.223:
	v_xor_b32_e32 v2, 0xfffffdff, v0
	v_ashrrev_i32_e32 v3, 31, v2
	v_add_co_u32_e32 v2, vcc, v7, v2
	v_addc_co_u32_e32 v3, vcc, v8, v3, vcc
                                        ; implicit-def: $vgpr46
; %bb.224:
	s_andn2_saveexec_b64 s[6:7], s[6:7]
; %bb.225:
	v_add_co_u32_e32 v2, vcc, v1, v46
	v_addc_co_u32_e32 v3, vcc, 0, v4, vcc
; %bb.226:
	s_or_b64 exec, exec, s[6:7]
	v_lshlrev_b64 v[2:3], 1, v[2:3]
	v_mov_b32_e32 v11, s25
	v_add_co_u32_e32 v2, vcc, s24, v2
	v_addc_co_u32_e32 v3, vcc, v11, v3, vcc
	s_waitcnt lgkmcnt(14)
	global_store_short v[2:3], v45, off
	s_or_b64 exec, exec, s[4:5]
	v_cmp_gt_u32_e32 vcc, s33, v44
	s_and_saveexec_b64 s[4:5], vcc
	s_cbranch_execnz .LBB571_281
.LBB571_227:
	s_or_b64 exec, exec, s[4:5]
	v_cmp_gt_u32_e32 vcc, s33, v42
	s_and_saveexec_b64 s[4:5], vcc
	s_cbranch_execz .LBB571_286
.LBB571_228:
	v_cmp_ge_u32_e32 vcc, v42, v10
                                        ; implicit-def: $vgpr2_vgpr3
	s_and_saveexec_b64 s[6:7], vcc
	s_xor_b64 s[6:7], exec, s[6:7]
; %bb.229:
	v_xor_b32_e32 v2, 0xfffffbff, v0
	v_ashrrev_i32_e32 v3, 31, v2
	v_add_co_u32_e32 v2, vcc, v7, v2
	v_addc_co_u32_e32 v3, vcc, v8, v3, vcc
                                        ; implicit-def: $vgpr42
; %bb.230:
	s_andn2_saveexec_b64 s[6:7], s[6:7]
; %bb.231:
	v_add_co_u32_e32 v2, vcc, v1, v42
	v_addc_co_u32_e32 v3, vcc, 0, v4, vcc
; %bb.232:
	s_or_b64 exec, exec, s[6:7]
	v_lshlrev_b64 v[2:3], 1, v[2:3]
	v_mov_b32_e32 v11, s25
	v_add_co_u32_e32 v2, vcc, s24, v2
	v_addc_co_u32_e32 v3, vcc, v11, v3, vcc
	s_waitcnt lgkmcnt(14)
	global_store_short v[2:3], v41, off
	s_or_b64 exec, exec, s[4:5]
	v_cmp_gt_u32_e32 vcc, s33, v40
	s_and_saveexec_b64 s[4:5], vcc
	s_cbranch_execnz .LBB571_287
.LBB571_233:
	s_or_b64 exec, exec, s[4:5]
	v_cmp_gt_u32_e32 vcc, s33, v38
	s_and_saveexec_b64 s[4:5], vcc
	s_cbranch_execz .LBB571_292
.LBB571_234:
	v_cmp_ge_u32_e32 vcc, v38, v10
                                        ; implicit-def: $vgpr2_vgpr3
	s_and_saveexec_b64 s[6:7], vcc
	s_xor_b64 s[6:7], exec, s[6:7]
; %bb.235:
	v_xor_b32_e32 v2, 0xfffff9ff, v0
	v_ashrrev_i32_e32 v3, 31, v2
	v_add_co_u32_e32 v2, vcc, v7, v2
	v_addc_co_u32_e32 v3, vcc, v8, v3, vcc
                                        ; implicit-def: $vgpr38
; %bb.236:
	s_andn2_saveexec_b64 s[6:7], s[6:7]
; %bb.237:
	v_add_co_u32_e32 v2, vcc, v1, v38
	v_addc_co_u32_e32 v3, vcc, 0, v4, vcc
; %bb.238:
	s_or_b64 exec, exec, s[6:7]
	v_lshlrev_b64 v[2:3], 1, v[2:3]
	v_mov_b32_e32 v11, s25
	v_add_co_u32_e32 v2, vcc, s24, v2
	v_addc_co_u32_e32 v3, vcc, v11, v3, vcc
	s_waitcnt lgkmcnt(13)
	global_store_short v[2:3], v37, off
	s_or_b64 exec, exec, s[4:5]
	v_cmp_gt_u32_e32 vcc, s33, v36
	s_and_saveexec_b64 s[4:5], vcc
	s_cbranch_execnz .LBB571_293
.LBB571_239:
	s_or_b64 exec, exec, s[4:5]
	v_cmp_gt_u32_e32 vcc, s33, v34
	s_and_saveexec_b64 s[4:5], vcc
	s_cbranch_execz .LBB571_298
.LBB571_240:
	v_cmp_ge_u32_e32 vcc, v34, v10
                                        ; implicit-def: $vgpr2_vgpr3
	s_and_saveexec_b64 s[6:7], vcc
	s_xor_b64 s[6:7], exec, s[6:7]
; %bb.241:
	v_xor_b32_e32 v2, 0xfffff7ff, v0
	v_ashrrev_i32_e32 v3, 31, v2
	v_add_co_u32_e32 v2, vcc, v7, v2
	v_addc_co_u32_e32 v3, vcc, v8, v3, vcc
                                        ; implicit-def: $vgpr34
; %bb.242:
	s_andn2_saveexec_b64 s[6:7], s[6:7]
; %bb.243:
	v_add_co_u32_e32 v2, vcc, v1, v34
	v_addc_co_u32_e32 v3, vcc, 0, v4, vcc
; %bb.244:
	s_or_b64 exec, exec, s[6:7]
	v_lshlrev_b64 v[2:3], 1, v[2:3]
	v_mov_b32_e32 v11, s25
	v_add_co_u32_e32 v2, vcc, s24, v2
	v_addc_co_u32_e32 v3, vcc, v11, v3, vcc
	s_waitcnt lgkmcnt(11)
	global_store_short v[2:3], v33, off
	s_or_b64 exec, exec, s[4:5]
	v_cmp_gt_u32_e32 vcc, s33, v32
	s_and_saveexec_b64 s[4:5], vcc
	s_cbranch_execnz .LBB571_299
.LBB571_245:
	s_or_b64 exec, exec, s[4:5]
	v_cmp_gt_u32_e32 vcc, s33, v30
	s_and_saveexec_b64 s[4:5], vcc
	s_cbranch_execz .LBB571_304
.LBB571_246:
	v_cmp_ge_u32_e32 vcc, v30, v10
                                        ; implicit-def: $vgpr2_vgpr3
	s_and_saveexec_b64 s[6:7], vcc
	s_xor_b64 s[6:7], exec, s[6:7]
; %bb.247:
	v_xor_b32_e32 v2, 0xfffff5ff, v0
	v_ashrrev_i32_e32 v3, 31, v2
	v_add_co_u32_e32 v2, vcc, v7, v2
	v_addc_co_u32_e32 v3, vcc, v8, v3, vcc
                                        ; implicit-def: $vgpr30
; %bb.248:
	s_andn2_saveexec_b64 s[6:7], s[6:7]
; %bb.249:
	v_add_co_u32_e32 v2, vcc, v1, v30
	v_addc_co_u32_e32 v3, vcc, 0, v4, vcc
; %bb.250:
	s_or_b64 exec, exec, s[6:7]
	v_lshlrev_b64 v[2:3], 1, v[2:3]
	v_mov_b32_e32 v11, s25
	v_add_co_u32_e32 v2, vcc, s24, v2
	v_addc_co_u32_e32 v3, vcc, v11, v3, vcc
	s_waitcnt lgkmcnt(9)
	global_store_short v[2:3], v29, off
	s_or_b64 exec, exec, s[4:5]
	v_cmp_gt_u32_e32 vcc, s33, v28
	s_and_saveexec_b64 s[4:5], vcc
	s_cbranch_execnz .LBB571_305
.LBB571_251:
	s_or_b64 exec, exec, s[4:5]
	v_cmp_gt_u32_e32 vcc, s33, v26
	s_and_saveexec_b64 s[4:5], vcc
	s_cbranch_execz .LBB571_310
.LBB571_252:
	v_cmp_ge_u32_e32 vcc, v26, v10
                                        ; implicit-def: $vgpr2_vgpr3
	s_and_saveexec_b64 s[6:7], vcc
	s_xor_b64 s[6:7], exec, s[6:7]
; %bb.253:
	v_xor_b32_e32 v2, 0xfffff3ff, v0
	v_ashrrev_i32_e32 v3, 31, v2
	v_add_co_u32_e32 v2, vcc, v7, v2
	v_addc_co_u32_e32 v3, vcc, v8, v3, vcc
                                        ; implicit-def: $vgpr26
; %bb.254:
	s_andn2_saveexec_b64 s[6:7], s[6:7]
; %bb.255:
	v_add_co_u32_e32 v2, vcc, v1, v26
	v_addc_co_u32_e32 v3, vcc, 0, v4, vcc
; %bb.256:
	s_or_b64 exec, exec, s[6:7]
	v_lshlrev_b64 v[2:3], 1, v[2:3]
	v_mov_b32_e32 v11, s25
	v_add_co_u32_e32 v2, vcc, s24, v2
	v_addc_co_u32_e32 v3, vcc, v11, v3, vcc
	s_waitcnt lgkmcnt(7)
	global_store_short v[2:3], v25, off
	s_or_b64 exec, exec, s[4:5]
	v_cmp_gt_u32_e32 vcc, s33, v24
	s_and_saveexec_b64 s[4:5], vcc
	s_cbranch_execnz .LBB571_311
.LBB571_257:
	s_or_b64 exec, exec, s[4:5]
	v_cmp_gt_u32_e32 vcc, s33, v22
	s_and_saveexec_b64 s[4:5], vcc
	s_cbranch_execz .LBB571_316
.LBB571_258:
	v_cmp_ge_u32_e32 vcc, v22, v10
                                        ; implicit-def: $vgpr2_vgpr3
	s_and_saveexec_b64 s[6:7], vcc
	s_xor_b64 s[6:7], exec, s[6:7]
; %bb.259:
	v_xor_b32_e32 v2, 0xfffff1ff, v0
	v_ashrrev_i32_e32 v3, 31, v2
	v_add_co_u32_e32 v2, vcc, v7, v2
	v_addc_co_u32_e32 v3, vcc, v8, v3, vcc
                                        ; implicit-def: $vgpr22
; %bb.260:
	s_andn2_saveexec_b64 s[6:7], s[6:7]
; %bb.261:
	v_add_co_u32_e32 v2, vcc, v1, v22
	v_addc_co_u32_e32 v3, vcc, 0, v4, vcc
; %bb.262:
	s_or_b64 exec, exec, s[6:7]
	v_lshlrev_b64 v[2:3], 1, v[2:3]
	v_mov_b32_e32 v11, s25
	v_add_co_u32_e32 v2, vcc, s24, v2
	v_addc_co_u32_e32 v3, vcc, v11, v3, vcc
	s_waitcnt lgkmcnt(5)
	global_store_short v[2:3], v21, off
	s_or_b64 exec, exec, s[4:5]
	v_cmp_gt_u32_e32 vcc, s33, v20
	s_and_saveexec_b64 s[4:5], vcc
	s_cbranch_execnz .LBB571_317
.LBB571_263:
	s_or_b64 exec, exec, s[4:5]
	v_cmp_gt_u32_e32 vcc, s33, v18
	s_and_saveexec_b64 s[4:5], vcc
	s_cbranch_execz .LBB571_322
.LBB571_264:
	v_cmp_ge_u32_e32 vcc, v18, v10
                                        ; implicit-def: $vgpr2_vgpr3
	s_and_saveexec_b64 s[6:7], vcc
	s_xor_b64 s[6:7], exec, s[6:7]
; %bb.265:
	v_xor_b32_e32 v2, 0xffffefff, v0
	v_ashrrev_i32_e32 v3, 31, v2
	v_add_co_u32_e32 v2, vcc, v7, v2
	v_addc_co_u32_e32 v3, vcc, v8, v3, vcc
                                        ; implicit-def: $vgpr18
; %bb.266:
	s_andn2_saveexec_b64 s[6:7], s[6:7]
; %bb.267:
	v_add_co_u32_e32 v2, vcc, v1, v18
	v_addc_co_u32_e32 v3, vcc, 0, v4, vcc
; %bb.268:
	s_or_b64 exec, exec, s[6:7]
	v_lshlrev_b64 v[2:3], 1, v[2:3]
	v_mov_b32_e32 v11, s25
	v_add_co_u32_e32 v2, vcc, s24, v2
	v_addc_co_u32_e32 v3, vcc, v11, v3, vcc
	s_waitcnt lgkmcnt(3)
	global_store_short v[2:3], v17, off
	s_or_b64 exec, exec, s[4:5]
	v_cmp_gt_u32_e32 vcc, s33, v16
	s_and_saveexec_b64 s[4:5], vcc
	s_cbranch_execnz .LBB571_323
.LBB571_269:
	s_or_b64 exec, exec, s[4:5]
	v_cmp_gt_u32_e32 vcc, s33, v14
	s_and_saveexec_b64 s[4:5], vcc
	s_cbranch_execnz .LBB571_328
.LBB571_270:
	s_or_b64 exec, exec, s[4:5]
	v_cmp_gt_u32_e32 vcc, s33, v6
                                        ; implicit-def: $vgpr2_vgpr3
	s_and_saveexec_b64 s[4:5], vcc
	s_cbranch_execnz .LBB571_333
.LBB571_271:
	s_or_b64 exec, exec, s[4:5]
	s_and_saveexec_b64 s[4:5], s[2:3]
	s_cbranch_execnz .LBB571_212
.LBB571_272:
	s_or_b64 exec, exec, s[4:5]
	s_and_b64 s[0:1], s[0:1], s[22:23]
	s_and_saveexec_b64 s[2:3], s[0:1]
	s_cbranch_execz .LBB571_213
.LBB571_273:
	v_add_co_u32_e32 v0, vcc, v1, v10
	v_mov_b32_e32 v2, 0
	v_addc_co_u32_e32 v1, vcc, 0, v4, vcc
	global_store_dwordx2 v2, v[0:1], s[20:21]
	s_endpgm
.LBB571_274:
	s_or_b64 exec, exec, s[4:5]
	v_cmp_gt_u32_e32 vcc, s33, v48
	s_and_saveexec_b64 s[4:5], vcc
	s_cbranch_execz .LBB571_221
.LBB571_275:
	v_cmp_ge_u32_e32 vcc, v48, v10
                                        ; implicit-def: $vgpr2_vgpr3
	s_and_saveexec_b64 s[6:7], vcc
	s_xor_b64 s[6:7], exec, s[6:7]
; %bb.276:
	v_xor_b32_e32 v2, 0xfffffeff, v0
	v_ashrrev_i32_e32 v3, 31, v2
	v_add_co_u32_e32 v2, vcc, v7, v2
	v_addc_co_u32_e32 v3, vcc, v8, v3, vcc
                                        ; implicit-def: $vgpr48
; %bb.277:
	s_andn2_saveexec_b64 s[6:7], s[6:7]
; %bb.278:
	v_add_co_u32_e32 v2, vcc, v1, v48
	v_addc_co_u32_e32 v3, vcc, 0, v4, vcc
; %bb.279:
	s_or_b64 exec, exec, s[6:7]
	v_lshlrev_b64 v[2:3], 1, v[2:3]
	v_mov_b32_e32 v11, s25
	v_add_co_u32_e32 v2, vcc, s24, v2
	v_addc_co_u32_e32 v3, vcc, v11, v3, vcc
	s_waitcnt lgkmcnt(14)
	global_store_short v[2:3], v47, off
	s_or_b64 exec, exec, s[4:5]
	v_cmp_gt_u32_e32 vcc, s33, v46
	s_and_saveexec_b64 s[4:5], vcc
	s_cbranch_execnz .LBB571_222
.LBB571_280:
	s_or_b64 exec, exec, s[4:5]
	v_cmp_gt_u32_e32 vcc, s33, v44
	s_and_saveexec_b64 s[4:5], vcc
	s_cbranch_execz .LBB571_227
.LBB571_281:
	v_cmp_ge_u32_e32 vcc, v44, v10
                                        ; implicit-def: $vgpr2_vgpr3
	s_and_saveexec_b64 s[6:7], vcc
	s_xor_b64 s[6:7], exec, s[6:7]
; %bb.282:
	v_xor_b32_e32 v2, 0xfffffcff, v0
	v_ashrrev_i32_e32 v3, 31, v2
	v_add_co_u32_e32 v2, vcc, v7, v2
	v_addc_co_u32_e32 v3, vcc, v8, v3, vcc
                                        ; implicit-def: $vgpr44
; %bb.283:
	s_andn2_saveexec_b64 s[6:7], s[6:7]
; %bb.284:
	v_add_co_u32_e32 v2, vcc, v1, v44
	v_addc_co_u32_e32 v3, vcc, 0, v4, vcc
; %bb.285:
	s_or_b64 exec, exec, s[6:7]
	v_lshlrev_b64 v[2:3], 1, v[2:3]
	v_mov_b32_e32 v11, s25
	v_add_co_u32_e32 v2, vcc, s24, v2
	v_addc_co_u32_e32 v3, vcc, v11, v3, vcc
	s_waitcnt lgkmcnt(14)
	global_store_short v[2:3], v43, off
	s_or_b64 exec, exec, s[4:5]
	v_cmp_gt_u32_e32 vcc, s33, v42
	s_and_saveexec_b64 s[4:5], vcc
	s_cbranch_execnz .LBB571_228
.LBB571_286:
	s_or_b64 exec, exec, s[4:5]
	v_cmp_gt_u32_e32 vcc, s33, v40
	s_and_saveexec_b64 s[4:5], vcc
	s_cbranch_execz .LBB571_233
.LBB571_287:
	v_cmp_ge_u32_e32 vcc, v40, v10
                                        ; implicit-def: $vgpr2_vgpr3
	s_and_saveexec_b64 s[6:7], vcc
	s_xor_b64 s[6:7], exec, s[6:7]
; %bb.288:
	v_xor_b32_e32 v2, 0xfffffaff, v0
	v_ashrrev_i32_e32 v3, 31, v2
	v_add_co_u32_e32 v2, vcc, v7, v2
	v_addc_co_u32_e32 v3, vcc, v8, v3, vcc
                                        ; implicit-def: $vgpr40
; %bb.289:
	s_andn2_saveexec_b64 s[6:7], s[6:7]
; %bb.290:
	v_add_co_u32_e32 v2, vcc, v1, v40
	v_addc_co_u32_e32 v3, vcc, 0, v4, vcc
; %bb.291:
	s_or_b64 exec, exec, s[6:7]
	v_lshlrev_b64 v[2:3], 1, v[2:3]
	v_mov_b32_e32 v11, s25
	v_add_co_u32_e32 v2, vcc, s24, v2
	v_addc_co_u32_e32 v3, vcc, v11, v3, vcc
	s_waitcnt lgkmcnt(14)
	global_store_short v[2:3], v39, off
	s_or_b64 exec, exec, s[4:5]
	v_cmp_gt_u32_e32 vcc, s33, v38
	s_and_saveexec_b64 s[4:5], vcc
	s_cbranch_execnz .LBB571_234
.LBB571_292:
	s_or_b64 exec, exec, s[4:5]
	v_cmp_gt_u32_e32 vcc, s33, v36
	s_and_saveexec_b64 s[4:5], vcc
	s_cbranch_execz .LBB571_239
.LBB571_293:
	v_cmp_ge_u32_e32 vcc, v36, v10
                                        ; implicit-def: $vgpr2_vgpr3
	s_and_saveexec_b64 s[6:7], vcc
	s_xor_b64 s[6:7], exec, s[6:7]
; %bb.294:
	v_xor_b32_e32 v2, 0xfffff8ff, v0
	v_ashrrev_i32_e32 v3, 31, v2
	v_add_co_u32_e32 v2, vcc, v7, v2
	v_addc_co_u32_e32 v3, vcc, v8, v3, vcc
                                        ; implicit-def: $vgpr36
; %bb.295:
	s_andn2_saveexec_b64 s[6:7], s[6:7]
; %bb.296:
	v_add_co_u32_e32 v2, vcc, v1, v36
	v_addc_co_u32_e32 v3, vcc, 0, v4, vcc
; %bb.297:
	s_or_b64 exec, exec, s[6:7]
	v_lshlrev_b64 v[2:3], 1, v[2:3]
	v_mov_b32_e32 v11, s25
	v_add_co_u32_e32 v2, vcc, s24, v2
	v_addc_co_u32_e32 v3, vcc, v11, v3, vcc
	s_waitcnt lgkmcnt(12)
	global_store_short v[2:3], v35, off
	s_or_b64 exec, exec, s[4:5]
	v_cmp_gt_u32_e32 vcc, s33, v34
	s_and_saveexec_b64 s[4:5], vcc
	s_cbranch_execnz .LBB571_240
.LBB571_298:
	s_or_b64 exec, exec, s[4:5]
	v_cmp_gt_u32_e32 vcc, s33, v32
	s_and_saveexec_b64 s[4:5], vcc
	s_cbranch_execz .LBB571_245
.LBB571_299:
	v_cmp_ge_u32_e32 vcc, v32, v10
                                        ; implicit-def: $vgpr2_vgpr3
	s_and_saveexec_b64 s[6:7], vcc
	s_xor_b64 s[6:7], exec, s[6:7]
; %bb.300:
	v_xor_b32_e32 v2, 0xfffff6ff, v0
	v_ashrrev_i32_e32 v3, 31, v2
	v_add_co_u32_e32 v2, vcc, v7, v2
	v_addc_co_u32_e32 v3, vcc, v8, v3, vcc
                                        ; implicit-def: $vgpr32
; %bb.301:
	s_andn2_saveexec_b64 s[6:7], s[6:7]
; %bb.302:
	v_add_co_u32_e32 v2, vcc, v1, v32
	v_addc_co_u32_e32 v3, vcc, 0, v4, vcc
; %bb.303:
	s_or_b64 exec, exec, s[6:7]
	v_lshlrev_b64 v[2:3], 1, v[2:3]
	v_mov_b32_e32 v11, s25
	v_add_co_u32_e32 v2, vcc, s24, v2
	v_addc_co_u32_e32 v3, vcc, v11, v3, vcc
	s_waitcnt lgkmcnt(10)
	global_store_short v[2:3], v31, off
	s_or_b64 exec, exec, s[4:5]
	v_cmp_gt_u32_e32 vcc, s33, v30
	s_and_saveexec_b64 s[4:5], vcc
	s_cbranch_execnz .LBB571_246
.LBB571_304:
	s_or_b64 exec, exec, s[4:5]
	v_cmp_gt_u32_e32 vcc, s33, v28
	s_and_saveexec_b64 s[4:5], vcc
	s_cbranch_execz .LBB571_251
.LBB571_305:
	v_cmp_ge_u32_e32 vcc, v28, v10
                                        ; implicit-def: $vgpr2_vgpr3
	s_and_saveexec_b64 s[6:7], vcc
	s_xor_b64 s[6:7], exec, s[6:7]
; %bb.306:
	v_xor_b32_e32 v2, 0xfffff4ff, v0
	v_ashrrev_i32_e32 v3, 31, v2
	v_add_co_u32_e32 v2, vcc, v7, v2
	v_addc_co_u32_e32 v3, vcc, v8, v3, vcc
                                        ; implicit-def: $vgpr28
; %bb.307:
	s_andn2_saveexec_b64 s[6:7], s[6:7]
; %bb.308:
	v_add_co_u32_e32 v2, vcc, v1, v28
	v_addc_co_u32_e32 v3, vcc, 0, v4, vcc
; %bb.309:
	s_or_b64 exec, exec, s[6:7]
	v_lshlrev_b64 v[2:3], 1, v[2:3]
	v_mov_b32_e32 v11, s25
	v_add_co_u32_e32 v2, vcc, s24, v2
	v_addc_co_u32_e32 v3, vcc, v11, v3, vcc
	s_waitcnt lgkmcnt(8)
	global_store_short v[2:3], v27, off
	s_or_b64 exec, exec, s[4:5]
	v_cmp_gt_u32_e32 vcc, s33, v26
	s_and_saveexec_b64 s[4:5], vcc
	s_cbranch_execnz .LBB571_252
.LBB571_310:
	s_or_b64 exec, exec, s[4:5]
	v_cmp_gt_u32_e32 vcc, s33, v24
	s_and_saveexec_b64 s[4:5], vcc
	s_cbranch_execz .LBB571_257
.LBB571_311:
	v_cmp_ge_u32_e32 vcc, v24, v10
                                        ; implicit-def: $vgpr2_vgpr3
	s_and_saveexec_b64 s[6:7], vcc
	s_xor_b64 s[6:7], exec, s[6:7]
; %bb.312:
	v_xor_b32_e32 v2, 0xfffff2ff, v0
	v_ashrrev_i32_e32 v3, 31, v2
	v_add_co_u32_e32 v2, vcc, v7, v2
	v_addc_co_u32_e32 v3, vcc, v8, v3, vcc
                                        ; implicit-def: $vgpr24
; %bb.313:
	s_andn2_saveexec_b64 s[6:7], s[6:7]
; %bb.314:
	v_add_co_u32_e32 v2, vcc, v1, v24
	v_addc_co_u32_e32 v3, vcc, 0, v4, vcc
; %bb.315:
	s_or_b64 exec, exec, s[6:7]
	v_lshlrev_b64 v[2:3], 1, v[2:3]
	v_mov_b32_e32 v11, s25
	v_add_co_u32_e32 v2, vcc, s24, v2
	v_addc_co_u32_e32 v3, vcc, v11, v3, vcc
	s_waitcnt lgkmcnt(6)
	global_store_short v[2:3], v23, off
	s_or_b64 exec, exec, s[4:5]
	v_cmp_gt_u32_e32 vcc, s33, v22
	s_and_saveexec_b64 s[4:5], vcc
	s_cbranch_execnz .LBB571_258
.LBB571_316:
	s_or_b64 exec, exec, s[4:5]
	v_cmp_gt_u32_e32 vcc, s33, v20
	s_and_saveexec_b64 s[4:5], vcc
	s_cbranch_execz .LBB571_263
.LBB571_317:
	v_cmp_ge_u32_e32 vcc, v20, v10
                                        ; implicit-def: $vgpr2_vgpr3
	s_and_saveexec_b64 s[6:7], vcc
	s_xor_b64 s[6:7], exec, s[6:7]
; %bb.318:
	v_xor_b32_e32 v2, 0xfffff0ff, v0
	v_ashrrev_i32_e32 v3, 31, v2
	v_add_co_u32_e32 v2, vcc, v7, v2
	v_addc_co_u32_e32 v3, vcc, v8, v3, vcc
                                        ; implicit-def: $vgpr20
; %bb.319:
	s_andn2_saveexec_b64 s[6:7], s[6:7]
; %bb.320:
	v_add_co_u32_e32 v2, vcc, v1, v20
	v_addc_co_u32_e32 v3, vcc, 0, v4, vcc
; %bb.321:
	s_or_b64 exec, exec, s[6:7]
	v_lshlrev_b64 v[2:3], 1, v[2:3]
	v_mov_b32_e32 v11, s25
	v_add_co_u32_e32 v2, vcc, s24, v2
	v_addc_co_u32_e32 v3, vcc, v11, v3, vcc
	s_waitcnt lgkmcnt(4)
	global_store_short v[2:3], v19, off
	s_or_b64 exec, exec, s[4:5]
	v_cmp_gt_u32_e32 vcc, s33, v18
	s_and_saveexec_b64 s[4:5], vcc
	s_cbranch_execnz .LBB571_264
.LBB571_322:
	s_or_b64 exec, exec, s[4:5]
	v_cmp_gt_u32_e32 vcc, s33, v16
	s_and_saveexec_b64 s[4:5], vcc
	s_cbranch_execz .LBB571_269
.LBB571_323:
	v_cmp_ge_u32_e32 vcc, v16, v10
                                        ; implicit-def: $vgpr2_vgpr3
	s_and_saveexec_b64 s[6:7], vcc
	s_xor_b64 s[6:7], exec, s[6:7]
; %bb.324:
	v_xor_b32_e32 v2, 0xffffeeff, v0
	v_ashrrev_i32_e32 v3, 31, v2
	v_add_co_u32_e32 v2, vcc, v7, v2
	v_addc_co_u32_e32 v3, vcc, v8, v3, vcc
                                        ; implicit-def: $vgpr16
; %bb.325:
	s_andn2_saveexec_b64 s[6:7], s[6:7]
; %bb.326:
	v_add_co_u32_e32 v2, vcc, v1, v16
	v_addc_co_u32_e32 v3, vcc, 0, v4, vcc
; %bb.327:
	s_or_b64 exec, exec, s[6:7]
	v_lshlrev_b64 v[2:3], 1, v[2:3]
	v_mov_b32_e32 v11, s25
	v_add_co_u32_e32 v2, vcc, s24, v2
	v_addc_co_u32_e32 v3, vcc, v11, v3, vcc
	s_waitcnt lgkmcnt(2)
	global_store_short v[2:3], v15, off
	s_or_b64 exec, exec, s[4:5]
	v_cmp_gt_u32_e32 vcc, s33, v14
	s_and_saveexec_b64 s[4:5], vcc
	s_cbranch_execz .LBB571_270
.LBB571_328:
	v_cmp_ge_u32_e32 vcc, v14, v10
                                        ; implicit-def: $vgpr2_vgpr3
	s_and_saveexec_b64 s[6:7], vcc
	s_xor_b64 s[6:7], exec, s[6:7]
; %bb.329:
	v_xor_b32_e32 v2, 0xffffedff, v0
	v_ashrrev_i32_e32 v3, 31, v2
	v_add_co_u32_e32 v2, vcc, v7, v2
	v_addc_co_u32_e32 v3, vcc, v8, v3, vcc
                                        ; implicit-def: $vgpr14
; %bb.330:
	s_andn2_saveexec_b64 s[6:7], s[6:7]
; %bb.331:
	v_add_co_u32_e32 v2, vcc, v1, v14
	v_addc_co_u32_e32 v3, vcc, 0, v4, vcc
; %bb.332:
	s_or_b64 exec, exec, s[6:7]
	v_lshlrev_b64 v[2:3], 1, v[2:3]
	v_mov_b32_e32 v11, s25
	v_add_co_u32_e32 v2, vcc, s24, v2
	v_addc_co_u32_e32 v3, vcc, v11, v3, vcc
	s_waitcnt lgkmcnt(1)
	global_store_short v[2:3], v9, off
	s_or_b64 exec, exec, s[4:5]
	v_cmp_gt_u32_e32 vcc, s33, v6
                                        ; implicit-def: $vgpr2_vgpr3
	s_and_saveexec_b64 s[4:5], vcc
	s_cbranch_execz .LBB571_271
.LBB571_333:
	v_cmp_ge_u32_e32 vcc, v6, v10
                                        ; implicit-def: $vgpr2_vgpr3
	s_and_saveexec_b64 s[6:7], vcc
	s_xor_b64 s[6:7], exec, s[6:7]
; %bb.334:
	v_xor_b32_e32 v0, 0xffffecff, v0
	v_ashrrev_i32_e32 v3, 31, v0
	v_add_co_u32_e32 v2, vcc, v7, v0
	v_addc_co_u32_e32 v3, vcc, v8, v3, vcc
                                        ; implicit-def: $vgpr6
; %bb.335:
	s_andn2_saveexec_b64 s[6:7], s[6:7]
; %bb.336:
	v_add_co_u32_e32 v2, vcc, v1, v6
	v_addc_co_u32_e32 v3, vcc, 0, v4, vcc
; %bb.337:
	s_or_b64 exec, exec, s[6:7]
	s_or_b64 s[2:3], s[2:3], exec
	s_or_b64 exec, exec, s[4:5]
	s_and_saveexec_b64 s[4:5], s[2:3]
	s_cbranch_execnz .LBB571_212
	s_branch .LBB571_272
	.section	.rodata,"a",@progbits
	.p2align	6, 0x0
	.amdhsa_kernel _ZN7rocprim17ROCPRIM_400000_NS6detail17trampoline_kernelINS0_14default_configENS1_25partition_config_selectorILNS1_17partition_subalgoE2EsNS0_10empty_typeEbEEZZNS1_14partition_implILS5_2ELb0ES3_jN6thrust23THRUST_200600_302600_NS6detail15normal_iteratorINSA_7pointerIsNSA_11hip_rocprim3tagENSA_11use_defaultESG_EEEEPS6_NSA_18transform_iteratorINSA_8identityIsEENSC_INSA_10device_ptrIsEEEESG_SG_EENS0_5tupleIJPsSJ_EEENSR_IJSJ_SJ_EEES6_PlJS6_EEE10hipError_tPvRmT3_T4_T5_T6_T7_T9_mT8_P12ihipStream_tbDpT10_ENKUlT_T0_E_clISt17integral_constantIbLb0EES1E_IbLb1EEEEDaS1A_S1B_EUlS1A_E_NS1_11comp_targetILNS1_3genE4ELNS1_11target_archE910ELNS1_3gpuE8ELNS1_3repE0EEENS1_30default_config_static_selectorELNS0_4arch9wavefront6targetE1EEEvT1_
		.amdhsa_group_segment_fixed_size 10248
		.amdhsa_private_segment_fixed_size 0
		.amdhsa_kernarg_size 144
		.amdhsa_user_sgpr_count 6
		.amdhsa_user_sgpr_private_segment_buffer 1
		.amdhsa_user_sgpr_dispatch_ptr 0
		.amdhsa_user_sgpr_queue_ptr 0
		.amdhsa_user_sgpr_kernarg_segment_ptr 1
		.amdhsa_user_sgpr_dispatch_id 0
		.amdhsa_user_sgpr_flat_scratch_init 0
		.amdhsa_user_sgpr_kernarg_preload_length 0
		.amdhsa_user_sgpr_kernarg_preload_offset 0
		.amdhsa_user_sgpr_private_segment_size 0
		.amdhsa_uses_dynamic_stack 0
		.amdhsa_system_sgpr_private_segment_wavefront_offset 0
		.amdhsa_system_sgpr_workgroup_id_x 1
		.amdhsa_system_sgpr_workgroup_id_y 0
		.amdhsa_system_sgpr_workgroup_id_z 0
		.amdhsa_system_sgpr_workgroup_info 0
		.amdhsa_system_vgpr_workitem_id 0
		.amdhsa_next_free_vgpr 67
		.amdhsa_next_free_sgpr 46
		.amdhsa_accum_offset 68
		.amdhsa_reserve_vcc 1
		.amdhsa_reserve_flat_scratch 0
		.amdhsa_float_round_mode_32 0
		.amdhsa_float_round_mode_16_64 0
		.amdhsa_float_denorm_mode_32 3
		.amdhsa_float_denorm_mode_16_64 3
		.amdhsa_dx10_clamp 1
		.amdhsa_ieee_mode 1
		.amdhsa_fp16_overflow 0
		.amdhsa_tg_split 0
		.amdhsa_exception_fp_ieee_invalid_op 0
		.amdhsa_exception_fp_denorm_src 0
		.amdhsa_exception_fp_ieee_div_zero 0
		.amdhsa_exception_fp_ieee_overflow 0
		.amdhsa_exception_fp_ieee_underflow 0
		.amdhsa_exception_fp_ieee_inexact 0
		.amdhsa_exception_int_div_zero 0
	.end_amdhsa_kernel
	.section	.text._ZN7rocprim17ROCPRIM_400000_NS6detail17trampoline_kernelINS0_14default_configENS1_25partition_config_selectorILNS1_17partition_subalgoE2EsNS0_10empty_typeEbEEZZNS1_14partition_implILS5_2ELb0ES3_jN6thrust23THRUST_200600_302600_NS6detail15normal_iteratorINSA_7pointerIsNSA_11hip_rocprim3tagENSA_11use_defaultESG_EEEEPS6_NSA_18transform_iteratorINSA_8identityIsEENSC_INSA_10device_ptrIsEEEESG_SG_EENS0_5tupleIJPsSJ_EEENSR_IJSJ_SJ_EEES6_PlJS6_EEE10hipError_tPvRmT3_T4_T5_T6_T7_T9_mT8_P12ihipStream_tbDpT10_ENKUlT_T0_E_clISt17integral_constantIbLb0EES1E_IbLb1EEEEDaS1A_S1B_EUlS1A_E_NS1_11comp_targetILNS1_3genE4ELNS1_11target_archE910ELNS1_3gpuE8ELNS1_3repE0EEENS1_30default_config_static_selectorELNS0_4arch9wavefront6targetE1EEEvT1_,"axG",@progbits,_ZN7rocprim17ROCPRIM_400000_NS6detail17trampoline_kernelINS0_14default_configENS1_25partition_config_selectorILNS1_17partition_subalgoE2EsNS0_10empty_typeEbEEZZNS1_14partition_implILS5_2ELb0ES3_jN6thrust23THRUST_200600_302600_NS6detail15normal_iteratorINSA_7pointerIsNSA_11hip_rocprim3tagENSA_11use_defaultESG_EEEEPS6_NSA_18transform_iteratorINSA_8identityIsEENSC_INSA_10device_ptrIsEEEESG_SG_EENS0_5tupleIJPsSJ_EEENSR_IJSJ_SJ_EEES6_PlJS6_EEE10hipError_tPvRmT3_T4_T5_T6_T7_T9_mT8_P12ihipStream_tbDpT10_ENKUlT_T0_E_clISt17integral_constantIbLb0EES1E_IbLb1EEEEDaS1A_S1B_EUlS1A_E_NS1_11comp_targetILNS1_3genE4ELNS1_11target_archE910ELNS1_3gpuE8ELNS1_3repE0EEENS1_30default_config_static_selectorELNS0_4arch9wavefront6targetE1EEEvT1_,comdat
.Lfunc_end571:
	.size	_ZN7rocprim17ROCPRIM_400000_NS6detail17trampoline_kernelINS0_14default_configENS1_25partition_config_selectorILNS1_17partition_subalgoE2EsNS0_10empty_typeEbEEZZNS1_14partition_implILS5_2ELb0ES3_jN6thrust23THRUST_200600_302600_NS6detail15normal_iteratorINSA_7pointerIsNSA_11hip_rocprim3tagENSA_11use_defaultESG_EEEEPS6_NSA_18transform_iteratorINSA_8identityIsEENSC_INSA_10device_ptrIsEEEESG_SG_EENS0_5tupleIJPsSJ_EEENSR_IJSJ_SJ_EEES6_PlJS6_EEE10hipError_tPvRmT3_T4_T5_T6_T7_T9_mT8_P12ihipStream_tbDpT10_ENKUlT_T0_E_clISt17integral_constantIbLb0EES1E_IbLb1EEEEDaS1A_S1B_EUlS1A_E_NS1_11comp_targetILNS1_3genE4ELNS1_11target_archE910ELNS1_3gpuE8ELNS1_3repE0EEENS1_30default_config_static_selectorELNS0_4arch9wavefront6targetE1EEEvT1_, .Lfunc_end571-_ZN7rocprim17ROCPRIM_400000_NS6detail17trampoline_kernelINS0_14default_configENS1_25partition_config_selectorILNS1_17partition_subalgoE2EsNS0_10empty_typeEbEEZZNS1_14partition_implILS5_2ELb0ES3_jN6thrust23THRUST_200600_302600_NS6detail15normal_iteratorINSA_7pointerIsNSA_11hip_rocprim3tagENSA_11use_defaultESG_EEEEPS6_NSA_18transform_iteratorINSA_8identityIsEENSC_INSA_10device_ptrIsEEEESG_SG_EENS0_5tupleIJPsSJ_EEENSR_IJSJ_SJ_EEES6_PlJS6_EEE10hipError_tPvRmT3_T4_T5_T6_T7_T9_mT8_P12ihipStream_tbDpT10_ENKUlT_T0_E_clISt17integral_constantIbLb0EES1E_IbLb1EEEEDaS1A_S1B_EUlS1A_E_NS1_11comp_targetILNS1_3genE4ELNS1_11target_archE910ELNS1_3gpuE8ELNS1_3repE0EEENS1_30default_config_static_selectorELNS0_4arch9wavefront6targetE1EEEvT1_
                                        ; -- End function
	.section	.AMDGPU.csdata,"",@progbits
; Kernel info:
; codeLenInByte = 11052
; NumSgprs: 50
; NumVgprs: 67
; NumAgprs: 0
; TotalNumVgprs: 67
; ScratchSize: 0
; MemoryBound: 0
; FloatMode: 240
; IeeeMode: 1
; LDSByteSize: 10248 bytes/workgroup (compile time only)
; SGPRBlocks: 6
; VGPRBlocks: 8
; NumSGPRsForWavesPerEU: 50
; NumVGPRsForWavesPerEU: 67
; AccumOffset: 68
; Occupancy: 6
; WaveLimiterHint : 1
; COMPUTE_PGM_RSRC2:SCRATCH_EN: 0
; COMPUTE_PGM_RSRC2:USER_SGPR: 6
; COMPUTE_PGM_RSRC2:TRAP_HANDLER: 0
; COMPUTE_PGM_RSRC2:TGID_X_EN: 1
; COMPUTE_PGM_RSRC2:TGID_Y_EN: 0
; COMPUTE_PGM_RSRC2:TGID_Z_EN: 0
; COMPUTE_PGM_RSRC2:TIDIG_COMP_CNT: 0
; COMPUTE_PGM_RSRC3_GFX90A:ACCUM_OFFSET: 16
; COMPUTE_PGM_RSRC3_GFX90A:TG_SPLIT: 0
	.section	.text._ZN7rocprim17ROCPRIM_400000_NS6detail17trampoline_kernelINS0_14default_configENS1_25partition_config_selectorILNS1_17partition_subalgoE2EsNS0_10empty_typeEbEEZZNS1_14partition_implILS5_2ELb0ES3_jN6thrust23THRUST_200600_302600_NS6detail15normal_iteratorINSA_7pointerIsNSA_11hip_rocprim3tagENSA_11use_defaultESG_EEEEPS6_NSA_18transform_iteratorINSA_8identityIsEENSC_INSA_10device_ptrIsEEEESG_SG_EENS0_5tupleIJPsSJ_EEENSR_IJSJ_SJ_EEES6_PlJS6_EEE10hipError_tPvRmT3_T4_T5_T6_T7_T9_mT8_P12ihipStream_tbDpT10_ENKUlT_T0_E_clISt17integral_constantIbLb0EES1E_IbLb1EEEEDaS1A_S1B_EUlS1A_E_NS1_11comp_targetILNS1_3genE3ELNS1_11target_archE908ELNS1_3gpuE7ELNS1_3repE0EEENS1_30default_config_static_selectorELNS0_4arch9wavefront6targetE1EEEvT1_,"axG",@progbits,_ZN7rocprim17ROCPRIM_400000_NS6detail17trampoline_kernelINS0_14default_configENS1_25partition_config_selectorILNS1_17partition_subalgoE2EsNS0_10empty_typeEbEEZZNS1_14partition_implILS5_2ELb0ES3_jN6thrust23THRUST_200600_302600_NS6detail15normal_iteratorINSA_7pointerIsNSA_11hip_rocprim3tagENSA_11use_defaultESG_EEEEPS6_NSA_18transform_iteratorINSA_8identityIsEENSC_INSA_10device_ptrIsEEEESG_SG_EENS0_5tupleIJPsSJ_EEENSR_IJSJ_SJ_EEES6_PlJS6_EEE10hipError_tPvRmT3_T4_T5_T6_T7_T9_mT8_P12ihipStream_tbDpT10_ENKUlT_T0_E_clISt17integral_constantIbLb0EES1E_IbLb1EEEEDaS1A_S1B_EUlS1A_E_NS1_11comp_targetILNS1_3genE3ELNS1_11target_archE908ELNS1_3gpuE7ELNS1_3repE0EEENS1_30default_config_static_selectorELNS0_4arch9wavefront6targetE1EEEvT1_,comdat
	.protected	_ZN7rocprim17ROCPRIM_400000_NS6detail17trampoline_kernelINS0_14default_configENS1_25partition_config_selectorILNS1_17partition_subalgoE2EsNS0_10empty_typeEbEEZZNS1_14partition_implILS5_2ELb0ES3_jN6thrust23THRUST_200600_302600_NS6detail15normal_iteratorINSA_7pointerIsNSA_11hip_rocprim3tagENSA_11use_defaultESG_EEEEPS6_NSA_18transform_iteratorINSA_8identityIsEENSC_INSA_10device_ptrIsEEEESG_SG_EENS0_5tupleIJPsSJ_EEENSR_IJSJ_SJ_EEES6_PlJS6_EEE10hipError_tPvRmT3_T4_T5_T6_T7_T9_mT8_P12ihipStream_tbDpT10_ENKUlT_T0_E_clISt17integral_constantIbLb0EES1E_IbLb1EEEEDaS1A_S1B_EUlS1A_E_NS1_11comp_targetILNS1_3genE3ELNS1_11target_archE908ELNS1_3gpuE7ELNS1_3repE0EEENS1_30default_config_static_selectorELNS0_4arch9wavefront6targetE1EEEvT1_ ; -- Begin function _ZN7rocprim17ROCPRIM_400000_NS6detail17trampoline_kernelINS0_14default_configENS1_25partition_config_selectorILNS1_17partition_subalgoE2EsNS0_10empty_typeEbEEZZNS1_14partition_implILS5_2ELb0ES3_jN6thrust23THRUST_200600_302600_NS6detail15normal_iteratorINSA_7pointerIsNSA_11hip_rocprim3tagENSA_11use_defaultESG_EEEEPS6_NSA_18transform_iteratorINSA_8identityIsEENSC_INSA_10device_ptrIsEEEESG_SG_EENS0_5tupleIJPsSJ_EEENSR_IJSJ_SJ_EEES6_PlJS6_EEE10hipError_tPvRmT3_T4_T5_T6_T7_T9_mT8_P12ihipStream_tbDpT10_ENKUlT_T0_E_clISt17integral_constantIbLb0EES1E_IbLb1EEEEDaS1A_S1B_EUlS1A_E_NS1_11comp_targetILNS1_3genE3ELNS1_11target_archE908ELNS1_3gpuE7ELNS1_3repE0EEENS1_30default_config_static_selectorELNS0_4arch9wavefront6targetE1EEEvT1_
	.globl	_ZN7rocprim17ROCPRIM_400000_NS6detail17trampoline_kernelINS0_14default_configENS1_25partition_config_selectorILNS1_17partition_subalgoE2EsNS0_10empty_typeEbEEZZNS1_14partition_implILS5_2ELb0ES3_jN6thrust23THRUST_200600_302600_NS6detail15normal_iteratorINSA_7pointerIsNSA_11hip_rocprim3tagENSA_11use_defaultESG_EEEEPS6_NSA_18transform_iteratorINSA_8identityIsEENSC_INSA_10device_ptrIsEEEESG_SG_EENS0_5tupleIJPsSJ_EEENSR_IJSJ_SJ_EEES6_PlJS6_EEE10hipError_tPvRmT3_T4_T5_T6_T7_T9_mT8_P12ihipStream_tbDpT10_ENKUlT_T0_E_clISt17integral_constantIbLb0EES1E_IbLb1EEEEDaS1A_S1B_EUlS1A_E_NS1_11comp_targetILNS1_3genE3ELNS1_11target_archE908ELNS1_3gpuE7ELNS1_3repE0EEENS1_30default_config_static_selectorELNS0_4arch9wavefront6targetE1EEEvT1_
	.p2align	8
	.type	_ZN7rocprim17ROCPRIM_400000_NS6detail17trampoline_kernelINS0_14default_configENS1_25partition_config_selectorILNS1_17partition_subalgoE2EsNS0_10empty_typeEbEEZZNS1_14partition_implILS5_2ELb0ES3_jN6thrust23THRUST_200600_302600_NS6detail15normal_iteratorINSA_7pointerIsNSA_11hip_rocprim3tagENSA_11use_defaultESG_EEEEPS6_NSA_18transform_iteratorINSA_8identityIsEENSC_INSA_10device_ptrIsEEEESG_SG_EENS0_5tupleIJPsSJ_EEENSR_IJSJ_SJ_EEES6_PlJS6_EEE10hipError_tPvRmT3_T4_T5_T6_T7_T9_mT8_P12ihipStream_tbDpT10_ENKUlT_T0_E_clISt17integral_constantIbLb0EES1E_IbLb1EEEEDaS1A_S1B_EUlS1A_E_NS1_11comp_targetILNS1_3genE3ELNS1_11target_archE908ELNS1_3gpuE7ELNS1_3repE0EEENS1_30default_config_static_selectorELNS0_4arch9wavefront6targetE1EEEvT1_,@function
_ZN7rocprim17ROCPRIM_400000_NS6detail17trampoline_kernelINS0_14default_configENS1_25partition_config_selectorILNS1_17partition_subalgoE2EsNS0_10empty_typeEbEEZZNS1_14partition_implILS5_2ELb0ES3_jN6thrust23THRUST_200600_302600_NS6detail15normal_iteratorINSA_7pointerIsNSA_11hip_rocprim3tagENSA_11use_defaultESG_EEEEPS6_NSA_18transform_iteratorINSA_8identityIsEENSC_INSA_10device_ptrIsEEEESG_SG_EENS0_5tupleIJPsSJ_EEENSR_IJSJ_SJ_EEES6_PlJS6_EEE10hipError_tPvRmT3_T4_T5_T6_T7_T9_mT8_P12ihipStream_tbDpT10_ENKUlT_T0_E_clISt17integral_constantIbLb0EES1E_IbLb1EEEEDaS1A_S1B_EUlS1A_E_NS1_11comp_targetILNS1_3genE3ELNS1_11target_archE908ELNS1_3gpuE7ELNS1_3repE0EEENS1_30default_config_static_selectorELNS0_4arch9wavefront6targetE1EEEvT1_: ; @_ZN7rocprim17ROCPRIM_400000_NS6detail17trampoline_kernelINS0_14default_configENS1_25partition_config_selectorILNS1_17partition_subalgoE2EsNS0_10empty_typeEbEEZZNS1_14partition_implILS5_2ELb0ES3_jN6thrust23THRUST_200600_302600_NS6detail15normal_iteratorINSA_7pointerIsNSA_11hip_rocprim3tagENSA_11use_defaultESG_EEEEPS6_NSA_18transform_iteratorINSA_8identityIsEENSC_INSA_10device_ptrIsEEEESG_SG_EENS0_5tupleIJPsSJ_EEENSR_IJSJ_SJ_EEES6_PlJS6_EEE10hipError_tPvRmT3_T4_T5_T6_T7_T9_mT8_P12ihipStream_tbDpT10_ENKUlT_T0_E_clISt17integral_constantIbLb0EES1E_IbLb1EEEEDaS1A_S1B_EUlS1A_E_NS1_11comp_targetILNS1_3genE3ELNS1_11target_archE908ELNS1_3gpuE7ELNS1_3repE0EEENS1_30default_config_static_selectorELNS0_4arch9wavefront6targetE1EEEvT1_
; %bb.0:
	.section	.rodata,"a",@progbits
	.p2align	6, 0x0
	.amdhsa_kernel _ZN7rocprim17ROCPRIM_400000_NS6detail17trampoline_kernelINS0_14default_configENS1_25partition_config_selectorILNS1_17partition_subalgoE2EsNS0_10empty_typeEbEEZZNS1_14partition_implILS5_2ELb0ES3_jN6thrust23THRUST_200600_302600_NS6detail15normal_iteratorINSA_7pointerIsNSA_11hip_rocprim3tagENSA_11use_defaultESG_EEEEPS6_NSA_18transform_iteratorINSA_8identityIsEENSC_INSA_10device_ptrIsEEEESG_SG_EENS0_5tupleIJPsSJ_EEENSR_IJSJ_SJ_EEES6_PlJS6_EEE10hipError_tPvRmT3_T4_T5_T6_T7_T9_mT8_P12ihipStream_tbDpT10_ENKUlT_T0_E_clISt17integral_constantIbLb0EES1E_IbLb1EEEEDaS1A_S1B_EUlS1A_E_NS1_11comp_targetILNS1_3genE3ELNS1_11target_archE908ELNS1_3gpuE7ELNS1_3repE0EEENS1_30default_config_static_selectorELNS0_4arch9wavefront6targetE1EEEvT1_
		.amdhsa_group_segment_fixed_size 0
		.amdhsa_private_segment_fixed_size 0
		.amdhsa_kernarg_size 144
		.amdhsa_user_sgpr_count 6
		.amdhsa_user_sgpr_private_segment_buffer 1
		.amdhsa_user_sgpr_dispatch_ptr 0
		.amdhsa_user_sgpr_queue_ptr 0
		.amdhsa_user_sgpr_kernarg_segment_ptr 1
		.amdhsa_user_sgpr_dispatch_id 0
		.amdhsa_user_sgpr_flat_scratch_init 0
		.amdhsa_user_sgpr_kernarg_preload_length 0
		.amdhsa_user_sgpr_kernarg_preload_offset 0
		.amdhsa_user_sgpr_private_segment_size 0
		.amdhsa_uses_dynamic_stack 0
		.amdhsa_system_sgpr_private_segment_wavefront_offset 0
		.amdhsa_system_sgpr_workgroup_id_x 1
		.amdhsa_system_sgpr_workgroup_id_y 0
		.amdhsa_system_sgpr_workgroup_id_z 0
		.amdhsa_system_sgpr_workgroup_info 0
		.amdhsa_system_vgpr_workitem_id 0
		.amdhsa_next_free_vgpr 1
		.amdhsa_next_free_sgpr 0
		.amdhsa_accum_offset 4
		.amdhsa_reserve_vcc 0
		.amdhsa_reserve_flat_scratch 0
		.amdhsa_float_round_mode_32 0
		.amdhsa_float_round_mode_16_64 0
		.amdhsa_float_denorm_mode_32 3
		.amdhsa_float_denorm_mode_16_64 3
		.amdhsa_dx10_clamp 1
		.amdhsa_ieee_mode 1
		.amdhsa_fp16_overflow 0
		.amdhsa_tg_split 0
		.amdhsa_exception_fp_ieee_invalid_op 0
		.amdhsa_exception_fp_denorm_src 0
		.amdhsa_exception_fp_ieee_div_zero 0
		.amdhsa_exception_fp_ieee_overflow 0
		.amdhsa_exception_fp_ieee_underflow 0
		.amdhsa_exception_fp_ieee_inexact 0
		.amdhsa_exception_int_div_zero 0
	.end_amdhsa_kernel
	.section	.text._ZN7rocprim17ROCPRIM_400000_NS6detail17trampoline_kernelINS0_14default_configENS1_25partition_config_selectorILNS1_17partition_subalgoE2EsNS0_10empty_typeEbEEZZNS1_14partition_implILS5_2ELb0ES3_jN6thrust23THRUST_200600_302600_NS6detail15normal_iteratorINSA_7pointerIsNSA_11hip_rocprim3tagENSA_11use_defaultESG_EEEEPS6_NSA_18transform_iteratorINSA_8identityIsEENSC_INSA_10device_ptrIsEEEESG_SG_EENS0_5tupleIJPsSJ_EEENSR_IJSJ_SJ_EEES6_PlJS6_EEE10hipError_tPvRmT3_T4_T5_T6_T7_T9_mT8_P12ihipStream_tbDpT10_ENKUlT_T0_E_clISt17integral_constantIbLb0EES1E_IbLb1EEEEDaS1A_S1B_EUlS1A_E_NS1_11comp_targetILNS1_3genE3ELNS1_11target_archE908ELNS1_3gpuE7ELNS1_3repE0EEENS1_30default_config_static_selectorELNS0_4arch9wavefront6targetE1EEEvT1_,"axG",@progbits,_ZN7rocprim17ROCPRIM_400000_NS6detail17trampoline_kernelINS0_14default_configENS1_25partition_config_selectorILNS1_17partition_subalgoE2EsNS0_10empty_typeEbEEZZNS1_14partition_implILS5_2ELb0ES3_jN6thrust23THRUST_200600_302600_NS6detail15normal_iteratorINSA_7pointerIsNSA_11hip_rocprim3tagENSA_11use_defaultESG_EEEEPS6_NSA_18transform_iteratorINSA_8identityIsEENSC_INSA_10device_ptrIsEEEESG_SG_EENS0_5tupleIJPsSJ_EEENSR_IJSJ_SJ_EEES6_PlJS6_EEE10hipError_tPvRmT3_T4_T5_T6_T7_T9_mT8_P12ihipStream_tbDpT10_ENKUlT_T0_E_clISt17integral_constantIbLb0EES1E_IbLb1EEEEDaS1A_S1B_EUlS1A_E_NS1_11comp_targetILNS1_3genE3ELNS1_11target_archE908ELNS1_3gpuE7ELNS1_3repE0EEENS1_30default_config_static_selectorELNS0_4arch9wavefront6targetE1EEEvT1_,comdat
.Lfunc_end572:
	.size	_ZN7rocprim17ROCPRIM_400000_NS6detail17trampoline_kernelINS0_14default_configENS1_25partition_config_selectorILNS1_17partition_subalgoE2EsNS0_10empty_typeEbEEZZNS1_14partition_implILS5_2ELb0ES3_jN6thrust23THRUST_200600_302600_NS6detail15normal_iteratorINSA_7pointerIsNSA_11hip_rocprim3tagENSA_11use_defaultESG_EEEEPS6_NSA_18transform_iteratorINSA_8identityIsEENSC_INSA_10device_ptrIsEEEESG_SG_EENS0_5tupleIJPsSJ_EEENSR_IJSJ_SJ_EEES6_PlJS6_EEE10hipError_tPvRmT3_T4_T5_T6_T7_T9_mT8_P12ihipStream_tbDpT10_ENKUlT_T0_E_clISt17integral_constantIbLb0EES1E_IbLb1EEEEDaS1A_S1B_EUlS1A_E_NS1_11comp_targetILNS1_3genE3ELNS1_11target_archE908ELNS1_3gpuE7ELNS1_3repE0EEENS1_30default_config_static_selectorELNS0_4arch9wavefront6targetE1EEEvT1_, .Lfunc_end572-_ZN7rocprim17ROCPRIM_400000_NS6detail17trampoline_kernelINS0_14default_configENS1_25partition_config_selectorILNS1_17partition_subalgoE2EsNS0_10empty_typeEbEEZZNS1_14partition_implILS5_2ELb0ES3_jN6thrust23THRUST_200600_302600_NS6detail15normal_iteratorINSA_7pointerIsNSA_11hip_rocprim3tagENSA_11use_defaultESG_EEEEPS6_NSA_18transform_iteratorINSA_8identityIsEENSC_INSA_10device_ptrIsEEEESG_SG_EENS0_5tupleIJPsSJ_EEENSR_IJSJ_SJ_EEES6_PlJS6_EEE10hipError_tPvRmT3_T4_T5_T6_T7_T9_mT8_P12ihipStream_tbDpT10_ENKUlT_T0_E_clISt17integral_constantIbLb0EES1E_IbLb1EEEEDaS1A_S1B_EUlS1A_E_NS1_11comp_targetILNS1_3genE3ELNS1_11target_archE908ELNS1_3gpuE7ELNS1_3repE0EEENS1_30default_config_static_selectorELNS0_4arch9wavefront6targetE1EEEvT1_
                                        ; -- End function
	.section	.AMDGPU.csdata,"",@progbits
; Kernel info:
; codeLenInByte = 0
; NumSgprs: 4
; NumVgprs: 0
; NumAgprs: 0
; TotalNumVgprs: 0
; ScratchSize: 0
; MemoryBound: 0
; FloatMode: 240
; IeeeMode: 1
; LDSByteSize: 0 bytes/workgroup (compile time only)
; SGPRBlocks: 0
; VGPRBlocks: 0
; NumSGPRsForWavesPerEU: 4
; NumVGPRsForWavesPerEU: 1
; AccumOffset: 4
; Occupancy: 8
; WaveLimiterHint : 0
; COMPUTE_PGM_RSRC2:SCRATCH_EN: 0
; COMPUTE_PGM_RSRC2:USER_SGPR: 6
; COMPUTE_PGM_RSRC2:TRAP_HANDLER: 0
; COMPUTE_PGM_RSRC2:TGID_X_EN: 1
; COMPUTE_PGM_RSRC2:TGID_Y_EN: 0
; COMPUTE_PGM_RSRC2:TGID_Z_EN: 0
; COMPUTE_PGM_RSRC2:TIDIG_COMP_CNT: 0
; COMPUTE_PGM_RSRC3_GFX90A:ACCUM_OFFSET: 0
; COMPUTE_PGM_RSRC3_GFX90A:TG_SPLIT: 0
	.section	.text._ZN7rocprim17ROCPRIM_400000_NS6detail17trampoline_kernelINS0_14default_configENS1_25partition_config_selectorILNS1_17partition_subalgoE2EsNS0_10empty_typeEbEEZZNS1_14partition_implILS5_2ELb0ES3_jN6thrust23THRUST_200600_302600_NS6detail15normal_iteratorINSA_7pointerIsNSA_11hip_rocprim3tagENSA_11use_defaultESG_EEEEPS6_NSA_18transform_iteratorINSA_8identityIsEENSC_INSA_10device_ptrIsEEEESG_SG_EENS0_5tupleIJPsSJ_EEENSR_IJSJ_SJ_EEES6_PlJS6_EEE10hipError_tPvRmT3_T4_T5_T6_T7_T9_mT8_P12ihipStream_tbDpT10_ENKUlT_T0_E_clISt17integral_constantIbLb0EES1E_IbLb1EEEEDaS1A_S1B_EUlS1A_E_NS1_11comp_targetILNS1_3genE2ELNS1_11target_archE906ELNS1_3gpuE6ELNS1_3repE0EEENS1_30default_config_static_selectorELNS0_4arch9wavefront6targetE1EEEvT1_,"axG",@progbits,_ZN7rocprim17ROCPRIM_400000_NS6detail17trampoline_kernelINS0_14default_configENS1_25partition_config_selectorILNS1_17partition_subalgoE2EsNS0_10empty_typeEbEEZZNS1_14partition_implILS5_2ELb0ES3_jN6thrust23THRUST_200600_302600_NS6detail15normal_iteratorINSA_7pointerIsNSA_11hip_rocprim3tagENSA_11use_defaultESG_EEEEPS6_NSA_18transform_iteratorINSA_8identityIsEENSC_INSA_10device_ptrIsEEEESG_SG_EENS0_5tupleIJPsSJ_EEENSR_IJSJ_SJ_EEES6_PlJS6_EEE10hipError_tPvRmT3_T4_T5_T6_T7_T9_mT8_P12ihipStream_tbDpT10_ENKUlT_T0_E_clISt17integral_constantIbLb0EES1E_IbLb1EEEEDaS1A_S1B_EUlS1A_E_NS1_11comp_targetILNS1_3genE2ELNS1_11target_archE906ELNS1_3gpuE6ELNS1_3repE0EEENS1_30default_config_static_selectorELNS0_4arch9wavefront6targetE1EEEvT1_,comdat
	.protected	_ZN7rocprim17ROCPRIM_400000_NS6detail17trampoline_kernelINS0_14default_configENS1_25partition_config_selectorILNS1_17partition_subalgoE2EsNS0_10empty_typeEbEEZZNS1_14partition_implILS5_2ELb0ES3_jN6thrust23THRUST_200600_302600_NS6detail15normal_iteratorINSA_7pointerIsNSA_11hip_rocprim3tagENSA_11use_defaultESG_EEEEPS6_NSA_18transform_iteratorINSA_8identityIsEENSC_INSA_10device_ptrIsEEEESG_SG_EENS0_5tupleIJPsSJ_EEENSR_IJSJ_SJ_EEES6_PlJS6_EEE10hipError_tPvRmT3_T4_T5_T6_T7_T9_mT8_P12ihipStream_tbDpT10_ENKUlT_T0_E_clISt17integral_constantIbLb0EES1E_IbLb1EEEEDaS1A_S1B_EUlS1A_E_NS1_11comp_targetILNS1_3genE2ELNS1_11target_archE906ELNS1_3gpuE6ELNS1_3repE0EEENS1_30default_config_static_selectorELNS0_4arch9wavefront6targetE1EEEvT1_ ; -- Begin function _ZN7rocprim17ROCPRIM_400000_NS6detail17trampoline_kernelINS0_14default_configENS1_25partition_config_selectorILNS1_17partition_subalgoE2EsNS0_10empty_typeEbEEZZNS1_14partition_implILS5_2ELb0ES3_jN6thrust23THRUST_200600_302600_NS6detail15normal_iteratorINSA_7pointerIsNSA_11hip_rocprim3tagENSA_11use_defaultESG_EEEEPS6_NSA_18transform_iteratorINSA_8identityIsEENSC_INSA_10device_ptrIsEEEESG_SG_EENS0_5tupleIJPsSJ_EEENSR_IJSJ_SJ_EEES6_PlJS6_EEE10hipError_tPvRmT3_T4_T5_T6_T7_T9_mT8_P12ihipStream_tbDpT10_ENKUlT_T0_E_clISt17integral_constantIbLb0EES1E_IbLb1EEEEDaS1A_S1B_EUlS1A_E_NS1_11comp_targetILNS1_3genE2ELNS1_11target_archE906ELNS1_3gpuE6ELNS1_3repE0EEENS1_30default_config_static_selectorELNS0_4arch9wavefront6targetE1EEEvT1_
	.globl	_ZN7rocprim17ROCPRIM_400000_NS6detail17trampoline_kernelINS0_14default_configENS1_25partition_config_selectorILNS1_17partition_subalgoE2EsNS0_10empty_typeEbEEZZNS1_14partition_implILS5_2ELb0ES3_jN6thrust23THRUST_200600_302600_NS6detail15normal_iteratorINSA_7pointerIsNSA_11hip_rocprim3tagENSA_11use_defaultESG_EEEEPS6_NSA_18transform_iteratorINSA_8identityIsEENSC_INSA_10device_ptrIsEEEESG_SG_EENS0_5tupleIJPsSJ_EEENSR_IJSJ_SJ_EEES6_PlJS6_EEE10hipError_tPvRmT3_T4_T5_T6_T7_T9_mT8_P12ihipStream_tbDpT10_ENKUlT_T0_E_clISt17integral_constantIbLb0EES1E_IbLb1EEEEDaS1A_S1B_EUlS1A_E_NS1_11comp_targetILNS1_3genE2ELNS1_11target_archE906ELNS1_3gpuE6ELNS1_3repE0EEENS1_30default_config_static_selectorELNS0_4arch9wavefront6targetE1EEEvT1_
	.p2align	8
	.type	_ZN7rocprim17ROCPRIM_400000_NS6detail17trampoline_kernelINS0_14default_configENS1_25partition_config_selectorILNS1_17partition_subalgoE2EsNS0_10empty_typeEbEEZZNS1_14partition_implILS5_2ELb0ES3_jN6thrust23THRUST_200600_302600_NS6detail15normal_iteratorINSA_7pointerIsNSA_11hip_rocprim3tagENSA_11use_defaultESG_EEEEPS6_NSA_18transform_iteratorINSA_8identityIsEENSC_INSA_10device_ptrIsEEEESG_SG_EENS0_5tupleIJPsSJ_EEENSR_IJSJ_SJ_EEES6_PlJS6_EEE10hipError_tPvRmT3_T4_T5_T6_T7_T9_mT8_P12ihipStream_tbDpT10_ENKUlT_T0_E_clISt17integral_constantIbLb0EES1E_IbLb1EEEEDaS1A_S1B_EUlS1A_E_NS1_11comp_targetILNS1_3genE2ELNS1_11target_archE906ELNS1_3gpuE6ELNS1_3repE0EEENS1_30default_config_static_selectorELNS0_4arch9wavefront6targetE1EEEvT1_,@function
_ZN7rocprim17ROCPRIM_400000_NS6detail17trampoline_kernelINS0_14default_configENS1_25partition_config_selectorILNS1_17partition_subalgoE2EsNS0_10empty_typeEbEEZZNS1_14partition_implILS5_2ELb0ES3_jN6thrust23THRUST_200600_302600_NS6detail15normal_iteratorINSA_7pointerIsNSA_11hip_rocprim3tagENSA_11use_defaultESG_EEEEPS6_NSA_18transform_iteratorINSA_8identityIsEENSC_INSA_10device_ptrIsEEEESG_SG_EENS0_5tupleIJPsSJ_EEENSR_IJSJ_SJ_EEES6_PlJS6_EEE10hipError_tPvRmT3_T4_T5_T6_T7_T9_mT8_P12ihipStream_tbDpT10_ENKUlT_T0_E_clISt17integral_constantIbLb0EES1E_IbLb1EEEEDaS1A_S1B_EUlS1A_E_NS1_11comp_targetILNS1_3genE2ELNS1_11target_archE906ELNS1_3gpuE6ELNS1_3repE0EEENS1_30default_config_static_selectorELNS0_4arch9wavefront6targetE1EEEvT1_: ; @_ZN7rocprim17ROCPRIM_400000_NS6detail17trampoline_kernelINS0_14default_configENS1_25partition_config_selectorILNS1_17partition_subalgoE2EsNS0_10empty_typeEbEEZZNS1_14partition_implILS5_2ELb0ES3_jN6thrust23THRUST_200600_302600_NS6detail15normal_iteratorINSA_7pointerIsNSA_11hip_rocprim3tagENSA_11use_defaultESG_EEEEPS6_NSA_18transform_iteratorINSA_8identityIsEENSC_INSA_10device_ptrIsEEEESG_SG_EENS0_5tupleIJPsSJ_EEENSR_IJSJ_SJ_EEES6_PlJS6_EEE10hipError_tPvRmT3_T4_T5_T6_T7_T9_mT8_P12ihipStream_tbDpT10_ENKUlT_T0_E_clISt17integral_constantIbLb0EES1E_IbLb1EEEEDaS1A_S1B_EUlS1A_E_NS1_11comp_targetILNS1_3genE2ELNS1_11target_archE906ELNS1_3gpuE6ELNS1_3repE0EEENS1_30default_config_static_selectorELNS0_4arch9wavefront6targetE1EEEvT1_
; %bb.0:
	.section	.rodata,"a",@progbits
	.p2align	6, 0x0
	.amdhsa_kernel _ZN7rocprim17ROCPRIM_400000_NS6detail17trampoline_kernelINS0_14default_configENS1_25partition_config_selectorILNS1_17partition_subalgoE2EsNS0_10empty_typeEbEEZZNS1_14partition_implILS5_2ELb0ES3_jN6thrust23THRUST_200600_302600_NS6detail15normal_iteratorINSA_7pointerIsNSA_11hip_rocprim3tagENSA_11use_defaultESG_EEEEPS6_NSA_18transform_iteratorINSA_8identityIsEENSC_INSA_10device_ptrIsEEEESG_SG_EENS0_5tupleIJPsSJ_EEENSR_IJSJ_SJ_EEES6_PlJS6_EEE10hipError_tPvRmT3_T4_T5_T6_T7_T9_mT8_P12ihipStream_tbDpT10_ENKUlT_T0_E_clISt17integral_constantIbLb0EES1E_IbLb1EEEEDaS1A_S1B_EUlS1A_E_NS1_11comp_targetILNS1_3genE2ELNS1_11target_archE906ELNS1_3gpuE6ELNS1_3repE0EEENS1_30default_config_static_selectorELNS0_4arch9wavefront6targetE1EEEvT1_
		.amdhsa_group_segment_fixed_size 0
		.amdhsa_private_segment_fixed_size 0
		.amdhsa_kernarg_size 144
		.amdhsa_user_sgpr_count 6
		.amdhsa_user_sgpr_private_segment_buffer 1
		.amdhsa_user_sgpr_dispatch_ptr 0
		.amdhsa_user_sgpr_queue_ptr 0
		.amdhsa_user_sgpr_kernarg_segment_ptr 1
		.amdhsa_user_sgpr_dispatch_id 0
		.amdhsa_user_sgpr_flat_scratch_init 0
		.amdhsa_user_sgpr_kernarg_preload_length 0
		.amdhsa_user_sgpr_kernarg_preload_offset 0
		.amdhsa_user_sgpr_private_segment_size 0
		.amdhsa_uses_dynamic_stack 0
		.amdhsa_system_sgpr_private_segment_wavefront_offset 0
		.amdhsa_system_sgpr_workgroup_id_x 1
		.amdhsa_system_sgpr_workgroup_id_y 0
		.amdhsa_system_sgpr_workgroup_id_z 0
		.amdhsa_system_sgpr_workgroup_info 0
		.amdhsa_system_vgpr_workitem_id 0
		.amdhsa_next_free_vgpr 1
		.amdhsa_next_free_sgpr 0
		.amdhsa_accum_offset 4
		.amdhsa_reserve_vcc 0
		.amdhsa_reserve_flat_scratch 0
		.amdhsa_float_round_mode_32 0
		.amdhsa_float_round_mode_16_64 0
		.amdhsa_float_denorm_mode_32 3
		.amdhsa_float_denorm_mode_16_64 3
		.amdhsa_dx10_clamp 1
		.amdhsa_ieee_mode 1
		.amdhsa_fp16_overflow 0
		.amdhsa_tg_split 0
		.amdhsa_exception_fp_ieee_invalid_op 0
		.amdhsa_exception_fp_denorm_src 0
		.amdhsa_exception_fp_ieee_div_zero 0
		.amdhsa_exception_fp_ieee_overflow 0
		.amdhsa_exception_fp_ieee_underflow 0
		.amdhsa_exception_fp_ieee_inexact 0
		.amdhsa_exception_int_div_zero 0
	.end_amdhsa_kernel
	.section	.text._ZN7rocprim17ROCPRIM_400000_NS6detail17trampoline_kernelINS0_14default_configENS1_25partition_config_selectorILNS1_17partition_subalgoE2EsNS0_10empty_typeEbEEZZNS1_14partition_implILS5_2ELb0ES3_jN6thrust23THRUST_200600_302600_NS6detail15normal_iteratorINSA_7pointerIsNSA_11hip_rocprim3tagENSA_11use_defaultESG_EEEEPS6_NSA_18transform_iteratorINSA_8identityIsEENSC_INSA_10device_ptrIsEEEESG_SG_EENS0_5tupleIJPsSJ_EEENSR_IJSJ_SJ_EEES6_PlJS6_EEE10hipError_tPvRmT3_T4_T5_T6_T7_T9_mT8_P12ihipStream_tbDpT10_ENKUlT_T0_E_clISt17integral_constantIbLb0EES1E_IbLb1EEEEDaS1A_S1B_EUlS1A_E_NS1_11comp_targetILNS1_3genE2ELNS1_11target_archE906ELNS1_3gpuE6ELNS1_3repE0EEENS1_30default_config_static_selectorELNS0_4arch9wavefront6targetE1EEEvT1_,"axG",@progbits,_ZN7rocprim17ROCPRIM_400000_NS6detail17trampoline_kernelINS0_14default_configENS1_25partition_config_selectorILNS1_17partition_subalgoE2EsNS0_10empty_typeEbEEZZNS1_14partition_implILS5_2ELb0ES3_jN6thrust23THRUST_200600_302600_NS6detail15normal_iteratorINSA_7pointerIsNSA_11hip_rocprim3tagENSA_11use_defaultESG_EEEEPS6_NSA_18transform_iteratorINSA_8identityIsEENSC_INSA_10device_ptrIsEEEESG_SG_EENS0_5tupleIJPsSJ_EEENSR_IJSJ_SJ_EEES6_PlJS6_EEE10hipError_tPvRmT3_T4_T5_T6_T7_T9_mT8_P12ihipStream_tbDpT10_ENKUlT_T0_E_clISt17integral_constantIbLb0EES1E_IbLb1EEEEDaS1A_S1B_EUlS1A_E_NS1_11comp_targetILNS1_3genE2ELNS1_11target_archE906ELNS1_3gpuE6ELNS1_3repE0EEENS1_30default_config_static_selectorELNS0_4arch9wavefront6targetE1EEEvT1_,comdat
.Lfunc_end573:
	.size	_ZN7rocprim17ROCPRIM_400000_NS6detail17trampoline_kernelINS0_14default_configENS1_25partition_config_selectorILNS1_17partition_subalgoE2EsNS0_10empty_typeEbEEZZNS1_14partition_implILS5_2ELb0ES3_jN6thrust23THRUST_200600_302600_NS6detail15normal_iteratorINSA_7pointerIsNSA_11hip_rocprim3tagENSA_11use_defaultESG_EEEEPS6_NSA_18transform_iteratorINSA_8identityIsEENSC_INSA_10device_ptrIsEEEESG_SG_EENS0_5tupleIJPsSJ_EEENSR_IJSJ_SJ_EEES6_PlJS6_EEE10hipError_tPvRmT3_T4_T5_T6_T7_T9_mT8_P12ihipStream_tbDpT10_ENKUlT_T0_E_clISt17integral_constantIbLb0EES1E_IbLb1EEEEDaS1A_S1B_EUlS1A_E_NS1_11comp_targetILNS1_3genE2ELNS1_11target_archE906ELNS1_3gpuE6ELNS1_3repE0EEENS1_30default_config_static_selectorELNS0_4arch9wavefront6targetE1EEEvT1_, .Lfunc_end573-_ZN7rocprim17ROCPRIM_400000_NS6detail17trampoline_kernelINS0_14default_configENS1_25partition_config_selectorILNS1_17partition_subalgoE2EsNS0_10empty_typeEbEEZZNS1_14partition_implILS5_2ELb0ES3_jN6thrust23THRUST_200600_302600_NS6detail15normal_iteratorINSA_7pointerIsNSA_11hip_rocprim3tagENSA_11use_defaultESG_EEEEPS6_NSA_18transform_iteratorINSA_8identityIsEENSC_INSA_10device_ptrIsEEEESG_SG_EENS0_5tupleIJPsSJ_EEENSR_IJSJ_SJ_EEES6_PlJS6_EEE10hipError_tPvRmT3_T4_T5_T6_T7_T9_mT8_P12ihipStream_tbDpT10_ENKUlT_T0_E_clISt17integral_constantIbLb0EES1E_IbLb1EEEEDaS1A_S1B_EUlS1A_E_NS1_11comp_targetILNS1_3genE2ELNS1_11target_archE906ELNS1_3gpuE6ELNS1_3repE0EEENS1_30default_config_static_selectorELNS0_4arch9wavefront6targetE1EEEvT1_
                                        ; -- End function
	.section	.AMDGPU.csdata,"",@progbits
; Kernel info:
; codeLenInByte = 0
; NumSgprs: 4
; NumVgprs: 0
; NumAgprs: 0
; TotalNumVgprs: 0
; ScratchSize: 0
; MemoryBound: 0
; FloatMode: 240
; IeeeMode: 1
; LDSByteSize: 0 bytes/workgroup (compile time only)
; SGPRBlocks: 0
; VGPRBlocks: 0
; NumSGPRsForWavesPerEU: 4
; NumVGPRsForWavesPerEU: 1
; AccumOffset: 4
; Occupancy: 8
; WaveLimiterHint : 0
; COMPUTE_PGM_RSRC2:SCRATCH_EN: 0
; COMPUTE_PGM_RSRC2:USER_SGPR: 6
; COMPUTE_PGM_RSRC2:TRAP_HANDLER: 0
; COMPUTE_PGM_RSRC2:TGID_X_EN: 1
; COMPUTE_PGM_RSRC2:TGID_Y_EN: 0
; COMPUTE_PGM_RSRC2:TGID_Z_EN: 0
; COMPUTE_PGM_RSRC2:TIDIG_COMP_CNT: 0
; COMPUTE_PGM_RSRC3_GFX90A:ACCUM_OFFSET: 0
; COMPUTE_PGM_RSRC3_GFX90A:TG_SPLIT: 0
	.section	.text._ZN7rocprim17ROCPRIM_400000_NS6detail17trampoline_kernelINS0_14default_configENS1_25partition_config_selectorILNS1_17partition_subalgoE2EsNS0_10empty_typeEbEEZZNS1_14partition_implILS5_2ELb0ES3_jN6thrust23THRUST_200600_302600_NS6detail15normal_iteratorINSA_7pointerIsNSA_11hip_rocprim3tagENSA_11use_defaultESG_EEEEPS6_NSA_18transform_iteratorINSA_8identityIsEENSC_INSA_10device_ptrIsEEEESG_SG_EENS0_5tupleIJPsSJ_EEENSR_IJSJ_SJ_EEES6_PlJS6_EEE10hipError_tPvRmT3_T4_T5_T6_T7_T9_mT8_P12ihipStream_tbDpT10_ENKUlT_T0_E_clISt17integral_constantIbLb0EES1E_IbLb1EEEEDaS1A_S1B_EUlS1A_E_NS1_11comp_targetILNS1_3genE10ELNS1_11target_archE1200ELNS1_3gpuE4ELNS1_3repE0EEENS1_30default_config_static_selectorELNS0_4arch9wavefront6targetE1EEEvT1_,"axG",@progbits,_ZN7rocprim17ROCPRIM_400000_NS6detail17trampoline_kernelINS0_14default_configENS1_25partition_config_selectorILNS1_17partition_subalgoE2EsNS0_10empty_typeEbEEZZNS1_14partition_implILS5_2ELb0ES3_jN6thrust23THRUST_200600_302600_NS6detail15normal_iteratorINSA_7pointerIsNSA_11hip_rocprim3tagENSA_11use_defaultESG_EEEEPS6_NSA_18transform_iteratorINSA_8identityIsEENSC_INSA_10device_ptrIsEEEESG_SG_EENS0_5tupleIJPsSJ_EEENSR_IJSJ_SJ_EEES6_PlJS6_EEE10hipError_tPvRmT3_T4_T5_T6_T7_T9_mT8_P12ihipStream_tbDpT10_ENKUlT_T0_E_clISt17integral_constantIbLb0EES1E_IbLb1EEEEDaS1A_S1B_EUlS1A_E_NS1_11comp_targetILNS1_3genE10ELNS1_11target_archE1200ELNS1_3gpuE4ELNS1_3repE0EEENS1_30default_config_static_selectorELNS0_4arch9wavefront6targetE1EEEvT1_,comdat
	.protected	_ZN7rocprim17ROCPRIM_400000_NS6detail17trampoline_kernelINS0_14default_configENS1_25partition_config_selectorILNS1_17partition_subalgoE2EsNS0_10empty_typeEbEEZZNS1_14partition_implILS5_2ELb0ES3_jN6thrust23THRUST_200600_302600_NS6detail15normal_iteratorINSA_7pointerIsNSA_11hip_rocprim3tagENSA_11use_defaultESG_EEEEPS6_NSA_18transform_iteratorINSA_8identityIsEENSC_INSA_10device_ptrIsEEEESG_SG_EENS0_5tupleIJPsSJ_EEENSR_IJSJ_SJ_EEES6_PlJS6_EEE10hipError_tPvRmT3_T4_T5_T6_T7_T9_mT8_P12ihipStream_tbDpT10_ENKUlT_T0_E_clISt17integral_constantIbLb0EES1E_IbLb1EEEEDaS1A_S1B_EUlS1A_E_NS1_11comp_targetILNS1_3genE10ELNS1_11target_archE1200ELNS1_3gpuE4ELNS1_3repE0EEENS1_30default_config_static_selectorELNS0_4arch9wavefront6targetE1EEEvT1_ ; -- Begin function _ZN7rocprim17ROCPRIM_400000_NS6detail17trampoline_kernelINS0_14default_configENS1_25partition_config_selectorILNS1_17partition_subalgoE2EsNS0_10empty_typeEbEEZZNS1_14partition_implILS5_2ELb0ES3_jN6thrust23THRUST_200600_302600_NS6detail15normal_iteratorINSA_7pointerIsNSA_11hip_rocprim3tagENSA_11use_defaultESG_EEEEPS6_NSA_18transform_iteratorINSA_8identityIsEENSC_INSA_10device_ptrIsEEEESG_SG_EENS0_5tupleIJPsSJ_EEENSR_IJSJ_SJ_EEES6_PlJS6_EEE10hipError_tPvRmT3_T4_T5_T6_T7_T9_mT8_P12ihipStream_tbDpT10_ENKUlT_T0_E_clISt17integral_constantIbLb0EES1E_IbLb1EEEEDaS1A_S1B_EUlS1A_E_NS1_11comp_targetILNS1_3genE10ELNS1_11target_archE1200ELNS1_3gpuE4ELNS1_3repE0EEENS1_30default_config_static_selectorELNS0_4arch9wavefront6targetE1EEEvT1_
	.globl	_ZN7rocprim17ROCPRIM_400000_NS6detail17trampoline_kernelINS0_14default_configENS1_25partition_config_selectorILNS1_17partition_subalgoE2EsNS0_10empty_typeEbEEZZNS1_14partition_implILS5_2ELb0ES3_jN6thrust23THRUST_200600_302600_NS6detail15normal_iteratorINSA_7pointerIsNSA_11hip_rocprim3tagENSA_11use_defaultESG_EEEEPS6_NSA_18transform_iteratorINSA_8identityIsEENSC_INSA_10device_ptrIsEEEESG_SG_EENS0_5tupleIJPsSJ_EEENSR_IJSJ_SJ_EEES6_PlJS6_EEE10hipError_tPvRmT3_T4_T5_T6_T7_T9_mT8_P12ihipStream_tbDpT10_ENKUlT_T0_E_clISt17integral_constantIbLb0EES1E_IbLb1EEEEDaS1A_S1B_EUlS1A_E_NS1_11comp_targetILNS1_3genE10ELNS1_11target_archE1200ELNS1_3gpuE4ELNS1_3repE0EEENS1_30default_config_static_selectorELNS0_4arch9wavefront6targetE1EEEvT1_
	.p2align	8
	.type	_ZN7rocprim17ROCPRIM_400000_NS6detail17trampoline_kernelINS0_14default_configENS1_25partition_config_selectorILNS1_17partition_subalgoE2EsNS0_10empty_typeEbEEZZNS1_14partition_implILS5_2ELb0ES3_jN6thrust23THRUST_200600_302600_NS6detail15normal_iteratorINSA_7pointerIsNSA_11hip_rocprim3tagENSA_11use_defaultESG_EEEEPS6_NSA_18transform_iteratorINSA_8identityIsEENSC_INSA_10device_ptrIsEEEESG_SG_EENS0_5tupleIJPsSJ_EEENSR_IJSJ_SJ_EEES6_PlJS6_EEE10hipError_tPvRmT3_T4_T5_T6_T7_T9_mT8_P12ihipStream_tbDpT10_ENKUlT_T0_E_clISt17integral_constantIbLb0EES1E_IbLb1EEEEDaS1A_S1B_EUlS1A_E_NS1_11comp_targetILNS1_3genE10ELNS1_11target_archE1200ELNS1_3gpuE4ELNS1_3repE0EEENS1_30default_config_static_selectorELNS0_4arch9wavefront6targetE1EEEvT1_,@function
_ZN7rocprim17ROCPRIM_400000_NS6detail17trampoline_kernelINS0_14default_configENS1_25partition_config_selectorILNS1_17partition_subalgoE2EsNS0_10empty_typeEbEEZZNS1_14partition_implILS5_2ELb0ES3_jN6thrust23THRUST_200600_302600_NS6detail15normal_iteratorINSA_7pointerIsNSA_11hip_rocprim3tagENSA_11use_defaultESG_EEEEPS6_NSA_18transform_iteratorINSA_8identityIsEENSC_INSA_10device_ptrIsEEEESG_SG_EENS0_5tupleIJPsSJ_EEENSR_IJSJ_SJ_EEES6_PlJS6_EEE10hipError_tPvRmT3_T4_T5_T6_T7_T9_mT8_P12ihipStream_tbDpT10_ENKUlT_T0_E_clISt17integral_constantIbLb0EES1E_IbLb1EEEEDaS1A_S1B_EUlS1A_E_NS1_11comp_targetILNS1_3genE10ELNS1_11target_archE1200ELNS1_3gpuE4ELNS1_3repE0EEENS1_30default_config_static_selectorELNS0_4arch9wavefront6targetE1EEEvT1_: ; @_ZN7rocprim17ROCPRIM_400000_NS6detail17trampoline_kernelINS0_14default_configENS1_25partition_config_selectorILNS1_17partition_subalgoE2EsNS0_10empty_typeEbEEZZNS1_14partition_implILS5_2ELb0ES3_jN6thrust23THRUST_200600_302600_NS6detail15normal_iteratorINSA_7pointerIsNSA_11hip_rocprim3tagENSA_11use_defaultESG_EEEEPS6_NSA_18transform_iteratorINSA_8identityIsEENSC_INSA_10device_ptrIsEEEESG_SG_EENS0_5tupleIJPsSJ_EEENSR_IJSJ_SJ_EEES6_PlJS6_EEE10hipError_tPvRmT3_T4_T5_T6_T7_T9_mT8_P12ihipStream_tbDpT10_ENKUlT_T0_E_clISt17integral_constantIbLb0EES1E_IbLb1EEEEDaS1A_S1B_EUlS1A_E_NS1_11comp_targetILNS1_3genE10ELNS1_11target_archE1200ELNS1_3gpuE4ELNS1_3repE0EEENS1_30default_config_static_selectorELNS0_4arch9wavefront6targetE1EEEvT1_
; %bb.0:
	.section	.rodata,"a",@progbits
	.p2align	6, 0x0
	.amdhsa_kernel _ZN7rocprim17ROCPRIM_400000_NS6detail17trampoline_kernelINS0_14default_configENS1_25partition_config_selectorILNS1_17partition_subalgoE2EsNS0_10empty_typeEbEEZZNS1_14partition_implILS5_2ELb0ES3_jN6thrust23THRUST_200600_302600_NS6detail15normal_iteratorINSA_7pointerIsNSA_11hip_rocprim3tagENSA_11use_defaultESG_EEEEPS6_NSA_18transform_iteratorINSA_8identityIsEENSC_INSA_10device_ptrIsEEEESG_SG_EENS0_5tupleIJPsSJ_EEENSR_IJSJ_SJ_EEES6_PlJS6_EEE10hipError_tPvRmT3_T4_T5_T6_T7_T9_mT8_P12ihipStream_tbDpT10_ENKUlT_T0_E_clISt17integral_constantIbLb0EES1E_IbLb1EEEEDaS1A_S1B_EUlS1A_E_NS1_11comp_targetILNS1_3genE10ELNS1_11target_archE1200ELNS1_3gpuE4ELNS1_3repE0EEENS1_30default_config_static_selectorELNS0_4arch9wavefront6targetE1EEEvT1_
		.amdhsa_group_segment_fixed_size 0
		.amdhsa_private_segment_fixed_size 0
		.amdhsa_kernarg_size 144
		.amdhsa_user_sgpr_count 6
		.amdhsa_user_sgpr_private_segment_buffer 1
		.amdhsa_user_sgpr_dispatch_ptr 0
		.amdhsa_user_sgpr_queue_ptr 0
		.amdhsa_user_sgpr_kernarg_segment_ptr 1
		.amdhsa_user_sgpr_dispatch_id 0
		.amdhsa_user_sgpr_flat_scratch_init 0
		.amdhsa_user_sgpr_kernarg_preload_length 0
		.amdhsa_user_sgpr_kernarg_preload_offset 0
		.amdhsa_user_sgpr_private_segment_size 0
		.amdhsa_uses_dynamic_stack 0
		.amdhsa_system_sgpr_private_segment_wavefront_offset 0
		.amdhsa_system_sgpr_workgroup_id_x 1
		.amdhsa_system_sgpr_workgroup_id_y 0
		.amdhsa_system_sgpr_workgroup_id_z 0
		.amdhsa_system_sgpr_workgroup_info 0
		.amdhsa_system_vgpr_workitem_id 0
		.amdhsa_next_free_vgpr 1
		.amdhsa_next_free_sgpr 0
		.amdhsa_accum_offset 4
		.amdhsa_reserve_vcc 0
		.amdhsa_reserve_flat_scratch 0
		.amdhsa_float_round_mode_32 0
		.amdhsa_float_round_mode_16_64 0
		.amdhsa_float_denorm_mode_32 3
		.amdhsa_float_denorm_mode_16_64 3
		.amdhsa_dx10_clamp 1
		.amdhsa_ieee_mode 1
		.amdhsa_fp16_overflow 0
		.amdhsa_tg_split 0
		.amdhsa_exception_fp_ieee_invalid_op 0
		.amdhsa_exception_fp_denorm_src 0
		.amdhsa_exception_fp_ieee_div_zero 0
		.amdhsa_exception_fp_ieee_overflow 0
		.amdhsa_exception_fp_ieee_underflow 0
		.amdhsa_exception_fp_ieee_inexact 0
		.amdhsa_exception_int_div_zero 0
	.end_amdhsa_kernel
	.section	.text._ZN7rocprim17ROCPRIM_400000_NS6detail17trampoline_kernelINS0_14default_configENS1_25partition_config_selectorILNS1_17partition_subalgoE2EsNS0_10empty_typeEbEEZZNS1_14partition_implILS5_2ELb0ES3_jN6thrust23THRUST_200600_302600_NS6detail15normal_iteratorINSA_7pointerIsNSA_11hip_rocprim3tagENSA_11use_defaultESG_EEEEPS6_NSA_18transform_iteratorINSA_8identityIsEENSC_INSA_10device_ptrIsEEEESG_SG_EENS0_5tupleIJPsSJ_EEENSR_IJSJ_SJ_EEES6_PlJS6_EEE10hipError_tPvRmT3_T4_T5_T6_T7_T9_mT8_P12ihipStream_tbDpT10_ENKUlT_T0_E_clISt17integral_constantIbLb0EES1E_IbLb1EEEEDaS1A_S1B_EUlS1A_E_NS1_11comp_targetILNS1_3genE10ELNS1_11target_archE1200ELNS1_3gpuE4ELNS1_3repE0EEENS1_30default_config_static_selectorELNS0_4arch9wavefront6targetE1EEEvT1_,"axG",@progbits,_ZN7rocprim17ROCPRIM_400000_NS6detail17trampoline_kernelINS0_14default_configENS1_25partition_config_selectorILNS1_17partition_subalgoE2EsNS0_10empty_typeEbEEZZNS1_14partition_implILS5_2ELb0ES3_jN6thrust23THRUST_200600_302600_NS6detail15normal_iteratorINSA_7pointerIsNSA_11hip_rocprim3tagENSA_11use_defaultESG_EEEEPS6_NSA_18transform_iteratorINSA_8identityIsEENSC_INSA_10device_ptrIsEEEESG_SG_EENS0_5tupleIJPsSJ_EEENSR_IJSJ_SJ_EEES6_PlJS6_EEE10hipError_tPvRmT3_T4_T5_T6_T7_T9_mT8_P12ihipStream_tbDpT10_ENKUlT_T0_E_clISt17integral_constantIbLb0EES1E_IbLb1EEEEDaS1A_S1B_EUlS1A_E_NS1_11comp_targetILNS1_3genE10ELNS1_11target_archE1200ELNS1_3gpuE4ELNS1_3repE0EEENS1_30default_config_static_selectorELNS0_4arch9wavefront6targetE1EEEvT1_,comdat
.Lfunc_end574:
	.size	_ZN7rocprim17ROCPRIM_400000_NS6detail17trampoline_kernelINS0_14default_configENS1_25partition_config_selectorILNS1_17partition_subalgoE2EsNS0_10empty_typeEbEEZZNS1_14partition_implILS5_2ELb0ES3_jN6thrust23THRUST_200600_302600_NS6detail15normal_iteratorINSA_7pointerIsNSA_11hip_rocprim3tagENSA_11use_defaultESG_EEEEPS6_NSA_18transform_iteratorINSA_8identityIsEENSC_INSA_10device_ptrIsEEEESG_SG_EENS0_5tupleIJPsSJ_EEENSR_IJSJ_SJ_EEES6_PlJS6_EEE10hipError_tPvRmT3_T4_T5_T6_T7_T9_mT8_P12ihipStream_tbDpT10_ENKUlT_T0_E_clISt17integral_constantIbLb0EES1E_IbLb1EEEEDaS1A_S1B_EUlS1A_E_NS1_11comp_targetILNS1_3genE10ELNS1_11target_archE1200ELNS1_3gpuE4ELNS1_3repE0EEENS1_30default_config_static_selectorELNS0_4arch9wavefront6targetE1EEEvT1_, .Lfunc_end574-_ZN7rocprim17ROCPRIM_400000_NS6detail17trampoline_kernelINS0_14default_configENS1_25partition_config_selectorILNS1_17partition_subalgoE2EsNS0_10empty_typeEbEEZZNS1_14partition_implILS5_2ELb0ES3_jN6thrust23THRUST_200600_302600_NS6detail15normal_iteratorINSA_7pointerIsNSA_11hip_rocprim3tagENSA_11use_defaultESG_EEEEPS6_NSA_18transform_iteratorINSA_8identityIsEENSC_INSA_10device_ptrIsEEEESG_SG_EENS0_5tupleIJPsSJ_EEENSR_IJSJ_SJ_EEES6_PlJS6_EEE10hipError_tPvRmT3_T4_T5_T6_T7_T9_mT8_P12ihipStream_tbDpT10_ENKUlT_T0_E_clISt17integral_constantIbLb0EES1E_IbLb1EEEEDaS1A_S1B_EUlS1A_E_NS1_11comp_targetILNS1_3genE10ELNS1_11target_archE1200ELNS1_3gpuE4ELNS1_3repE0EEENS1_30default_config_static_selectorELNS0_4arch9wavefront6targetE1EEEvT1_
                                        ; -- End function
	.section	.AMDGPU.csdata,"",@progbits
; Kernel info:
; codeLenInByte = 0
; NumSgprs: 4
; NumVgprs: 0
; NumAgprs: 0
; TotalNumVgprs: 0
; ScratchSize: 0
; MemoryBound: 0
; FloatMode: 240
; IeeeMode: 1
; LDSByteSize: 0 bytes/workgroup (compile time only)
; SGPRBlocks: 0
; VGPRBlocks: 0
; NumSGPRsForWavesPerEU: 4
; NumVGPRsForWavesPerEU: 1
; AccumOffset: 4
; Occupancy: 8
; WaveLimiterHint : 0
; COMPUTE_PGM_RSRC2:SCRATCH_EN: 0
; COMPUTE_PGM_RSRC2:USER_SGPR: 6
; COMPUTE_PGM_RSRC2:TRAP_HANDLER: 0
; COMPUTE_PGM_RSRC2:TGID_X_EN: 1
; COMPUTE_PGM_RSRC2:TGID_Y_EN: 0
; COMPUTE_PGM_RSRC2:TGID_Z_EN: 0
; COMPUTE_PGM_RSRC2:TIDIG_COMP_CNT: 0
; COMPUTE_PGM_RSRC3_GFX90A:ACCUM_OFFSET: 0
; COMPUTE_PGM_RSRC3_GFX90A:TG_SPLIT: 0
	.section	.text._ZN7rocprim17ROCPRIM_400000_NS6detail17trampoline_kernelINS0_14default_configENS1_25partition_config_selectorILNS1_17partition_subalgoE2EsNS0_10empty_typeEbEEZZNS1_14partition_implILS5_2ELb0ES3_jN6thrust23THRUST_200600_302600_NS6detail15normal_iteratorINSA_7pointerIsNSA_11hip_rocprim3tagENSA_11use_defaultESG_EEEEPS6_NSA_18transform_iteratorINSA_8identityIsEENSC_INSA_10device_ptrIsEEEESG_SG_EENS0_5tupleIJPsSJ_EEENSR_IJSJ_SJ_EEES6_PlJS6_EEE10hipError_tPvRmT3_T4_T5_T6_T7_T9_mT8_P12ihipStream_tbDpT10_ENKUlT_T0_E_clISt17integral_constantIbLb0EES1E_IbLb1EEEEDaS1A_S1B_EUlS1A_E_NS1_11comp_targetILNS1_3genE9ELNS1_11target_archE1100ELNS1_3gpuE3ELNS1_3repE0EEENS1_30default_config_static_selectorELNS0_4arch9wavefront6targetE1EEEvT1_,"axG",@progbits,_ZN7rocprim17ROCPRIM_400000_NS6detail17trampoline_kernelINS0_14default_configENS1_25partition_config_selectorILNS1_17partition_subalgoE2EsNS0_10empty_typeEbEEZZNS1_14partition_implILS5_2ELb0ES3_jN6thrust23THRUST_200600_302600_NS6detail15normal_iteratorINSA_7pointerIsNSA_11hip_rocprim3tagENSA_11use_defaultESG_EEEEPS6_NSA_18transform_iteratorINSA_8identityIsEENSC_INSA_10device_ptrIsEEEESG_SG_EENS0_5tupleIJPsSJ_EEENSR_IJSJ_SJ_EEES6_PlJS6_EEE10hipError_tPvRmT3_T4_T5_T6_T7_T9_mT8_P12ihipStream_tbDpT10_ENKUlT_T0_E_clISt17integral_constantIbLb0EES1E_IbLb1EEEEDaS1A_S1B_EUlS1A_E_NS1_11comp_targetILNS1_3genE9ELNS1_11target_archE1100ELNS1_3gpuE3ELNS1_3repE0EEENS1_30default_config_static_selectorELNS0_4arch9wavefront6targetE1EEEvT1_,comdat
	.protected	_ZN7rocprim17ROCPRIM_400000_NS6detail17trampoline_kernelINS0_14default_configENS1_25partition_config_selectorILNS1_17partition_subalgoE2EsNS0_10empty_typeEbEEZZNS1_14partition_implILS5_2ELb0ES3_jN6thrust23THRUST_200600_302600_NS6detail15normal_iteratorINSA_7pointerIsNSA_11hip_rocprim3tagENSA_11use_defaultESG_EEEEPS6_NSA_18transform_iteratorINSA_8identityIsEENSC_INSA_10device_ptrIsEEEESG_SG_EENS0_5tupleIJPsSJ_EEENSR_IJSJ_SJ_EEES6_PlJS6_EEE10hipError_tPvRmT3_T4_T5_T6_T7_T9_mT8_P12ihipStream_tbDpT10_ENKUlT_T0_E_clISt17integral_constantIbLb0EES1E_IbLb1EEEEDaS1A_S1B_EUlS1A_E_NS1_11comp_targetILNS1_3genE9ELNS1_11target_archE1100ELNS1_3gpuE3ELNS1_3repE0EEENS1_30default_config_static_selectorELNS0_4arch9wavefront6targetE1EEEvT1_ ; -- Begin function _ZN7rocprim17ROCPRIM_400000_NS6detail17trampoline_kernelINS0_14default_configENS1_25partition_config_selectorILNS1_17partition_subalgoE2EsNS0_10empty_typeEbEEZZNS1_14partition_implILS5_2ELb0ES3_jN6thrust23THRUST_200600_302600_NS6detail15normal_iteratorINSA_7pointerIsNSA_11hip_rocprim3tagENSA_11use_defaultESG_EEEEPS6_NSA_18transform_iteratorINSA_8identityIsEENSC_INSA_10device_ptrIsEEEESG_SG_EENS0_5tupleIJPsSJ_EEENSR_IJSJ_SJ_EEES6_PlJS6_EEE10hipError_tPvRmT3_T4_T5_T6_T7_T9_mT8_P12ihipStream_tbDpT10_ENKUlT_T0_E_clISt17integral_constantIbLb0EES1E_IbLb1EEEEDaS1A_S1B_EUlS1A_E_NS1_11comp_targetILNS1_3genE9ELNS1_11target_archE1100ELNS1_3gpuE3ELNS1_3repE0EEENS1_30default_config_static_selectorELNS0_4arch9wavefront6targetE1EEEvT1_
	.globl	_ZN7rocprim17ROCPRIM_400000_NS6detail17trampoline_kernelINS0_14default_configENS1_25partition_config_selectorILNS1_17partition_subalgoE2EsNS0_10empty_typeEbEEZZNS1_14partition_implILS5_2ELb0ES3_jN6thrust23THRUST_200600_302600_NS6detail15normal_iteratorINSA_7pointerIsNSA_11hip_rocprim3tagENSA_11use_defaultESG_EEEEPS6_NSA_18transform_iteratorINSA_8identityIsEENSC_INSA_10device_ptrIsEEEESG_SG_EENS0_5tupleIJPsSJ_EEENSR_IJSJ_SJ_EEES6_PlJS6_EEE10hipError_tPvRmT3_T4_T5_T6_T7_T9_mT8_P12ihipStream_tbDpT10_ENKUlT_T0_E_clISt17integral_constantIbLb0EES1E_IbLb1EEEEDaS1A_S1B_EUlS1A_E_NS1_11comp_targetILNS1_3genE9ELNS1_11target_archE1100ELNS1_3gpuE3ELNS1_3repE0EEENS1_30default_config_static_selectorELNS0_4arch9wavefront6targetE1EEEvT1_
	.p2align	8
	.type	_ZN7rocprim17ROCPRIM_400000_NS6detail17trampoline_kernelINS0_14default_configENS1_25partition_config_selectorILNS1_17partition_subalgoE2EsNS0_10empty_typeEbEEZZNS1_14partition_implILS5_2ELb0ES3_jN6thrust23THRUST_200600_302600_NS6detail15normal_iteratorINSA_7pointerIsNSA_11hip_rocprim3tagENSA_11use_defaultESG_EEEEPS6_NSA_18transform_iteratorINSA_8identityIsEENSC_INSA_10device_ptrIsEEEESG_SG_EENS0_5tupleIJPsSJ_EEENSR_IJSJ_SJ_EEES6_PlJS6_EEE10hipError_tPvRmT3_T4_T5_T6_T7_T9_mT8_P12ihipStream_tbDpT10_ENKUlT_T0_E_clISt17integral_constantIbLb0EES1E_IbLb1EEEEDaS1A_S1B_EUlS1A_E_NS1_11comp_targetILNS1_3genE9ELNS1_11target_archE1100ELNS1_3gpuE3ELNS1_3repE0EEENS1_30default_config_static_selectorELNS0_4arch9wavefront6targetE1EEEvT1_,@function
_ZN7rocprim17ROCPRIM_400000_NS6detail17trampoline_kernelINS0_14default_configENS1_25partition_config_selectorILNS1_17partition_subalgoE2EsNS0_10empty_typeEbEEZZNS1_14partition_implILS5_2ELb0ES3_jN6thrust23THRUST_200600_302600_NS6detail15normal_iteratorINSA_7pointerIsNSA_11hip_rocprim3tagENSA_11use_defaultESG_EEEEPS6_NSA_18transform_iteratorINSA_8identityIsEENSC_INSA_10device_ptrIsEEEESG_SG_EENS0_5tupleIJPsSJ_EEENSR_IJSJ_SJ_EEES6_PlJS6_EEE10hipError_tPvRmT3_T4_T5_T6_T7_T9_mT8_P12ihipStream_tbDpT10_ENKUlT_T0_E_clISt17integral_constantIbLb0EES1E_IbLb1EEEEDaS1A_S1B_EUlS1A_E_NS1_11comp_targetILNS1_3genE9ELNS1_11target_archE1100ELNS1_3gpuE3ELNS1_3repE0EEENS1_30default_config_static_selectorELNS0_4arch9wavefront6targetE1EEEvT1_: ; @_ZN7rocprim17ROCPRIM_400000_NS6detail17trampoline_kernelINS0_14default_configENS1_25partition_config_selectorILNS1_17partition_subalgoE2EsNS0_10empty_typeEbEEZZNS1_14partition_implILS5_2ELb0ES3_jN6thrust23THRUST_200600_302600_NS6detail15normal_iteratorINSA_7pointerIsNSA_11hip_rocprim3tagENSA_11use_defaultESG_EEEEPS6_NSA_18transform_iteratorINSA_8identityIsEENSC_INSA_10device_ptrIsEEEESG_SG_EENS0_5tupleIJPsSJ_EEENSR_IJSJ_SJ_EEES6_PlJS6_EEE10hipError_tPvRmT3_T4_T5_T6_T7_T9_mT8_P12ihipStream_tbDpT10_ENKUlT_T0_E_clISt17integral_constantIbLb0EES1E_IbLb1EEEEDaS1A_S1B_EUlS1A_E_NS1_11comp_targetILNS1_3genE9ELNS1_11target_archE1100ELNS1_3gpuE3ELNS1_3repE0EEENS1_30default_config_static_selectorELNS0_4arch9wavefront6targetE1EEEvT1_
; %bb.0:
	.section	.rodata,"a",@progbits
	.p2align	6, 0x0
	.amdhsa_kernel _ZN7rocprim17ROCPRIM_400000_NS6detail17trampoline_kernelINS0_14default_configENS1_25partition_config_selectorILNS1_17partition_subalgoE2EsNS0_10empty_typeEbEEZZNS1_14partition_implILS5_2ELb0ES3_jN6thrust23THRUST_200600_302600_NS6detail15normal_iteratorINSA_7pointerIsNSA_11hip_rocprim3tagENSA_11use_defaultESG_EEEEPS6_NSA_18transform_iteratorINSA_8identityIsEENSC_INSA_10device_ptrIsEEEESG_SG_EENS0_5tupleIJPsSJ_EEENSR_IJSJ_SJ_EEES6_PlJS6_EEE10hipError_tPvRmT3_T4_T5_T6_T7_T9_mT8_P12ihipStream_tbDpT10_ENKUlT_T0_E_clISt17integral_constantIbLb0EES1E_IbLb1EEEEDaS1A_S1B_EUlS1A_E_NS1_11comp_targetILNS1_3genE9ELNS1_11target_archE1100ELNS1_3gpuE3ELNS1_3repE0EEENS1_30default_config_static_selectorELNS0_4arch9wavefront6targetE1EEEvT1_
		.amdhsa_group_segment_fixed_size 0
		.amdhsa_private_segment_fixed_size 0
		.amdhsa_kernarg_size 144
		.amdhsa_user_sgpr_count 6
		.amdhsa_user_sgpr_private_segment_buffer 1
		.amdhsa_user_sgpr_dispatch_ptr 0
		.amdhsa_user_sgpr_queue_ptr 0
		.amdhsa_user_sgpr_kernarg_segment_ptr 1
		.amdhsa_user_sgpr_dispatch_id 0
		.amdhsa_user_sgpr_flat_scratch_init 0
		.amdhsa_user_sgpr_kernarg_preload_length 0
		.amdhsa_user_sgpr_kernarg_preload_offset 0
		.amdhsa_user_sgpr_private_segment_size 0
		.amdhsa_uses_dynamic_stack 0
		.amdhsa_system_sgpr_private_segment_wavefront_offset 0
		.amdhsa_system_sgpr_workgroup_id_x 1
		.amdhsa_system_sgpr_workgroup_id_y 0
		.amdhsa_system_sgpr_workgroup_id_z 0
		.amdhsa_system_sgpr_workgroup_info 0
		.amdhsa_system_vgpr_workitem_id 0
		.amdhsa_next_free_vgpr 1
		.amdhsa_next_free_sgpr 0
		.amdhsa_accum_offset 4
		.amdhsa_reserve_vcc 0
		.amdhsa_reserve_flat_scratch 0
		.amdhsa_float_round_mode_32 0
		.amdhsa_float_round_mode_16_64 0
		.amdhsa_float_denorm_mode_32 3
		.amdhsa_float_denorm_mode_16_64 3
		.amdhsa_dx10_clamp 1
		.amdhsa_ieee_mode 1
		.amdhsa_fp16_overflow 0
		.amdhsa_tg_split 0
		.amdhsa_exception_fp_ieee_invalid_op 0
		.amdhsa_exception_fp_denorm_src 0
		.amdhsa_exception_fp_ieee_div_zero 0
		.amdhsa_exception_fp_ieee_overflow 0
		.amdhsa_exception_fp_ieee_underflow 0
		.amdhsa_exception_fp_ieee_inexact 0
		.amdhsa_exception_int_div_zero 0
	.end_amdhsa_kernel
	.section	.text._ZN7rocprim17ROCPRIM_400000_NS6detail17trampoline_kernelINS0_14default_configENS1_25partition_config_selectorILNS1_17partition_subalgoE2EsNS0_10empty_typeEbEEZZNS1_14partition_implILS5_2ELb0ES3_jN6thrust23THRUST_200600_302600_NS6detail15normal_iteratorINSA_7pointerIsNSA_11hip_rocprim3tagENSA_11use_defaultESG_EEEEPS6_NSA_18transform_iteratorINSA_8identityIsEENSC_INSA_10device_ptrIsEEEESG_SG_EENS0_5tupleIJPsSJ_EEENSR_IJSJ_SJ_EEES6_PlJS6_EEE10hipError_tPvRmT3_T4_T5_T6_T7_T9_mT8_P12ihipStream_tbDpT10_ENKUlT_T0_E_clISt17integral_constantIbLb0EES1E_IbLb1EEEEDaS1A_S1B_EUlS1A_E_NS1_11comp_targetILNS1_3genE9ELNS1_11target_archE1100ELNS1_3gpuE3ELNS1_3repE0EEENS1_30default_config_static_selectorELNS0_4arch9wavefront6targetE1EEEvT1_,"axG",@progbits,_ZN7rocprim17ROCPRIM_400000_NS6detail17trampoline_kernelINS0_14default_configENS1_25partition_config_selectorILNS1_17partition_subalgoE2EsNS0_10empty_typeEbEEZZNS1_14partition_implILS5_2ELb0ES3_jN6thrust23THRUST_200600_302600_NS6detail15normal_iteratorINSA_7pointerIsNSA_11hip_rocprim3tagENSA_11use_defaultESG_EEEEPS6_NSA_18transform_iteratorINSA_8identityIsEENSC_INSA_10device_ptrIsEEEESG_SG_EENS0_5tupleIJPsSJ_EEENSR_IJSJ_SJ_EEES6_PlJS6_EEE10hipError_tPvRmT3_T4_T5_T6_T7_T9_mT8_P12ihipStream_tbDpT10_ENKUlT_T0_E_clISt17integral_constantIbLb0EES1E_IbLb1EEEEDaS1A_S1B_EUlS1A_E_NS1_11comp_targetILNS1_3genE9ELNS1_11target_archE1100ELNS1_3gpuE3ELNS1_3repE0EEENS1_30default_config_static_selectorELNS0_4arch9wavefront6targetE1EEEvT1_,comdat
.Lfunc_end575:
	.size	_ZN7rocprim17ROCPRIM_400000_NS6detail17trampoline_kernelINS0_14default_configENS1_25partition_config_selectorILNS1_17partition_subalgoE2EsNS0_10empty_typeEbEEZZNS1_14partition_implILS5_2ELb0ES3_jN6thrust23THRUST_200600_302600_NS6detail15normal_iteratorINSA_7pointerIsNSA_11hip_rocprim3tagENSA_11use_defaultESG_EEEEPS6_NSA_18transform_iteratorINSA_8identityIsEENSC_INSA_10device_ptrIsEEEESG_SG_EENS0_5tupleIJPsSJ_EEENSR_IJSJ_SJ_EEES6_PlJS6_EEE10hipError_tPvRmT3_T4_T5_T6_T7_T9_mT8_P12ihipStream_tbDpT10_ENKUlT_T0_E_clISt17integral_constantIbLb0EES1E_IbLb1EEEEDaS1A_S1B_EUlS1A_E_NS1_11comp_targetILNS1_3genE9ELNS1_11target_archE1100ELNS1_3gpuE3ELNS1_3repE0EEENS1_30default_config_static_selectorELNS0_4arch9wavefront6targetE1EEEvT1_, .Lfunc_end575-_ZN7rocprim17ROCPRIM_400000_NS6detail17trampoline_kernelINS0_14default_configENS1_25partition_config_selectorILNS1_17partition_subalgoE2EsNS0_10empty_typeEbEEZZNS1_14partition_implILS5_2ELb0ES3_jN6thrust23THRUST_200600_302600_NS6detail15normal_iteratorINSA_7pointerIsNSA_11hip_rocprim3tagENSA_11use_defaultESG_EEEEPS6_NSA_18transform_iteratorINSA_8identityIsEENSC_INSA_10device_ptrIsEEEESG_SG_EENS0_5tupleIJPsSJ_EEENSR_IJSJ_SJ_EEES6_PlJS6_EEE10hipError_tPvRmT3_T4_T5_T6_T7_T9_mT8_P12ihipStream_tbDpT10_ENKUlT_T0_E_clISt17integral_constantIbLb0EES1E_IbLb1EEEEDaS1A_S1B_EUlS1A_E_NS1_11comp_targetILNS1_3genE9ELNS1_11target_archE1100ELNS1_3gpuE3ELNS1_3repE0EEENS1_30default_config_static_selectorELNS0_4arch9wavefront6targetE1EEEvT1_
                                        ; -- End function
	.section	.AMDGPU.csdata,"",@progbits
; Kernel info:
; codeLenInByte = 0
; NumSgprs: 4
; NumVgprs: 0
; NumAgprs: 0
; TotalNumVgprs: 0
; ScratchSize: 0
; MemoryBound: 0
; FloatMode: 240
; IeeeMode: 1
; LDSByteSize: 0 bytes/workgroup (compile time only)
; SGPRBlocks: 0
; VGPRBlocks: 0
; NumSGPRsForWavesPerEU: 4
; NumVGPRsForWavesPerEU: 1
; AccumOffset: 4
; Occupancy: 8
; WaveLimiterHint : 0
; COMPUTE_PGM_RSRC2:SCRATCH_EN: 0
; COMPUTE_PGM_RSRC2:USER_SGPR: 6
; COMPUTE_PGM_RSRC2:TRAP_HANDLER: 0
; COMPUTE_PGM_RSRC2:TGID_X_EN: 1
; COMPUTE_PGM_RSRC2:TGID_Y_EN: 0
; COMPUTE_PGM_RSRC2:TGID_Z_EN: 0
; COMPUTE_PGM_RSRC2:TIDIG_COMP_CNT: 0
; COMPUTE_PGM_RSRC3_GFX90A:ACCUM_OFFSET: 0
; COMPUTE_PGM_RSRC3_GFX90A:TG_SPLIT: 0
	.section	.text._ZN7rocprim17ROCPRIM_400000_NS6detail17trampoline_kernelINS0_14default_configENS1_25partition_config_selectorILNS1_17partition_subalgoE2EsNS0_10empty_typeEbEEZZNS1_14partition_implILS5_2ELb0ES3_jN6thrust23THRUST_200600_302600_NS6detail15normal_iteratorINSA_7pointerIsNSA_11hip_rocprim3tagENSA_11use_defaultESG_EEEEPS6_NSA_18transform_iteratorINSA_8identityIsEENSC_INSA_10device_ptrIsEEEESG_SG_EENS0_5tupleIJPsSJ_EEENSR_IJSJ_SJ_EEES6_PlJS6_EEE10hipError_tPvRmT3_T4_T5_T6_T7_T9_mT8_P12ihipStream_tbDpT10_ENKUlT_T0_E_clISt17integral_constantIbLb0EES1E_IbLb1EEEEDaS1A_S1B_EUlS1A_E_NS1_11comp_targetILNS1_3genE8ELNS1_11target_archE1030ELNS1_3gpuE2ELNS1_3repE0EEENS1_30default_config_static_selectorELNS0_4arch9wavefront6targetE1EEEvT1_,"axG",@progbits,_ZN7rocprim17ROCPRIM_400000_NS6detail17trampoline_kernelINS0_14default_configENS1_25partition_config_selectorILNS1_17partition_subalgoE2EsNS0_10empty_typeEbEEZZNS1_14partition_implILS5_2ELb0ES3_jN6thrust23THRUST_200600_302600_NS6detail15normal_iteratorINSA_7pointerIsNSA_11hip_rocprim3tagENSA_11use_defaultESG_EEEEPS6_NSA_18transform_iteratorINSA_8identityIsEENSC_INSA_10device_ptrIsEEEESG_SG_EENS0_5tupleIJPsSJ_EEENSR_IJSJ_SJ_EEES6_PlJS6_EEE10hipError_tPvRmT3_T4_T5_T6_T7_T9_mT8_P12ihipStream_tbDpT10_ENKUlT_T0_E_clISt17integral_constantIbLb0EES1E_IbLb1EEEEDaS1A_S1B_EUlS1A_E_NS1_11comp_targetILNS1_3genE8ELNS1_11target_archE1030ELNS1_3gpuE2ELNS1_3repE0EEENS1_30default_config_static_selectorELNS0_4arch9wavefront6targetE1EEEvT1_,comdat
	.protected	_ZN7rocprim17ROCPRIM_400000_NS6detail17trampoline_kernelINS0_14default_configENS1_25partition_config_selectorILNS1_17partition_subalgoE2EsNS0_10empty_typeEbEEZZNS1_14partition_implILS5_2ELb0ES3_jN6thrust23THRUST_200600_302600_NS6detail15normal_iteratorINSA_7pointerIsNSA_11hip_rocprim3tagENSA_11use_defaultESG_EEEEPS6_NSA_18transform_iteratorINSA_8identityIsEENSC_INSA_10device_ptrIsEEEESG_SG_EENS0_5tupleIJPsSJ_EEENSR_IJSJ_SJ_EEES6_PlJS6_EEE10hipError_tPvRmT3_T4_T5_T6_T7_T9_mT8_P12ihipStream_tbDpT10_ENKUlT_T0_E_clISt17integral_constantIbLb0EES1E_IbLb1EEEEDaS1A_S1B_EUlS1A_E_NS1_11comp_targetILNS1_3genE8ELNS1_11target_archE1030ELNS1_3gpuE2ELNS1_3repE0EEENS1_30default_config_static_selectorELNS0_4arch9wavefront6targetE1EEEvT1_ ; -- Begin function _ZN7rocprim17ROCPRIM_400000_NS6detail17trampoline_kernelINS0_14default_configENS1_25partition_config_selectorILNS1_17partition_subalgoE2EsNS0_10empty_typeEbEEZZNS1_14partition_implILS5_2ELb0ES3_jN6thrust23THRUST_200600_302600_NS6detail15normal_iteratorINSA_7pointerIsNSA_11hip_rocprim3tagENSA_11use_defaultESG_EEEEPS6_NSA_18transform_iteratorINSA_8identityIsEENSC_INSA_10device_ptrIsEEEESG_SG_EENS0_5tupleIJPsSJ_EEENSR_IJSJ_SJ_EEES6_PlJS6_EEE10hipError_tPvRmT3_T4_T5_T6_T7_T9_mT8_P12ihipStream_tbDpT10_ENKUlT_T0_E_clISt17integral_constantIbLb0EES1E_IbLb1EEEEDaS1A_S1B_EUlS1A_E_NS1_11comp_targetILNS1_3genE8ELNS1_11target_archE1030ELNS1_3gpuE2ELNS1_3repE0EEENS1_30default_config_static_selectorELNS0_4arch9wavefront6targetE1EEEvT1_
	.globl	_ZN7rocprim17ROCPRIM_400000_NS6detail17trampoline_kernelINS0_14default_configENS1_25partition_config_selectorILNS1_17partition_subalgoE2EsNS0_10empty_typeEbEEZZNS1_14partition_implILS5_2ELb0ES3_jN6thrust23THRUST_200600_302600_NS6detail15normal_iteratorINSA_7pointerIsNSA_11hip_rocprim3tagENSA_11use_defaultESG_EEEEPS6_NSA_18transform_iteratorINSA_8identityIsEENSC_INSA_10device_ptrIsEEEESG_SG_EENS0_5tupleIJPsSJ_EEENSR_IJSJ_SJ_EEES6_PlJS6_EEE10hipError_tPvRmT3_T4_T5_T6_T7_T9_mT8_P12ihipStream_tbDpT10_ENKUlT_T0_E_clISt17integral_constantIbLb0EES1E_IbLb1EEEEDaS1A_S1B_EUlS1A_E_NS1_11comp_targetILNS1_3genE8ELNS1_11target_archE1030ELNS1_3gpuE2ELNS1_3repE0EEENS1_30default_config_static_selectorELNS0_4arch9wavefront6targetE1EEEvT1_
	.p2align	8
	.type	_ZN7rocprim17ROCPRIM_400000_NS6detail17trampoline_kernelINS0_14default_configENS1_25partition_config_selectorILNS1_17partition_subalgoE2EsNS0_10empty_typeEbEEZZNS1_14partition_implILS5_2ELb0ES3_jN6thrust23THRUST_200600_302600_NS6detail15normal_iteratorINSA_7pointerIsNSA_11hip_rocprim3tagENSA_11use_defaultESG_EEEEPS6_NSA_18transform_iteratorINSA_8identityIsEENSC_INSA_10device_ptrIsEEEESG_SG_EENS0_5tupleIJPsSJ_EEENSR_IJSJ_SJ_EEES6_PlJS6_EEE10hipError_tPvRmT3_T4_T5_T6_T7_T9_mT8_P12ihipStream_tbDpT10_ENKUlT_T0_E_clISt17integral_constantIbLb0EES1E_IbLb1EEEEDaS1A_S1B_EUlS1A_E_NS1_11comp_targetILNS1_3genE8ELNS1_11target_archE1030ELNS1_3gpuE2ELNS1_3repE0EEENS1_30default_config_static_selectorELNS0_4arch9wavefront6targetE1EEEvT1_,@function
_ZN7rocprim17ROCPRIM_400000_NS6detail17trampoline_kernelINS0_14default_configENS1_25partition_config_selectorILNS1_17partition_subalgoE2EsNS0_10empty_typeEbEEZZNS1_14partition_implILS5_2ELb0ES3_jN6thrust23THRUST_200600_302600_NS6detail15normal_iteratorINSA_7pointerIsNSA_11hip_rocprim3tagENSA_11use_defaultESG_EEEEPS6_NSA_18transform_iteratorINSA_8identityIsEENSC_INSA_10device_ptrIsEEEESG_SG_EENS0_5tupleIJPsSJ_EEENSR_IJSJ_SJ_EEES6_PlJS6_EEE10hipError_tPvRmT3_T4_T5_T6_T7_T9_mT8_P12ihipStream_tbDpT10_ENKUlT_T0_E_clISt17integral_constantIbLb0EES1E_IbLb1EEEEDaS1A_S1B_EUlS1A_E_NS1_11comp_targetILNS1_3genE8ELNS1_11target_archE1030ELNS1_3gpuE2ELNS1_3repE0EEENS1_30default_config_static_selectorELNS0_4arch9wavefront6targetE1EEEvT1_: ; @_ZN7rocprim17ROCPRIM_400000_NS6detail17trampoline_kernelINS0_14default_configENS1_25partition_config_selectorILNS1_17partition_subalgoE2EsNS0_10empty_typeEbEEZZNS1_14partition_implILS5_2ELb0ES3_jN6thrust23THRUST_200600_302600_NS6detail15normal_iteratorINSA_7pointerIsNSA_11hip_rocprim3tagENSA_11use_defaultESG_EEEEPS6_NSA_18transform_iteratorINSA_8identityIsEENSC_INSA_10device_ptrIsEEEESG_SG_EENS0_5tupleIJPsSJ_EEENSR_IJSJ_SJ_EEES6_PlJS6_EEE10hipError_tPvRmT3_T4_T5_T6_T7_T9_mT8_P12ihipStream_tbDpT10_ENKUlT_T0_E_clISt17integral_constantIbLb0EES1E_IbLb1EEEEDaS1A_S1B_EUlS1A_E_NS1_11comp_targetILNS1_3genE8ELNS1_11target_archE1030ELNS1_3gpuE2ELNS1_3repE0EEENS1_30default_config_static_selectorELNS0_4arch9wavefront6targetE1EEEvT1_
; %bb.0:
	.section	.rodata,"a",@progbits
	.p2align	6, 0x0
	.amdhsa_kernel _ZN7rocprim17ROCPRIM_400000_NS6detail17trampoline_kernelINS0_14default_configENS1_25partition_config_selectorILNS1_17partition_subalgoE2EsNS0_10empty_typeEbEEZZNS1_14partition_implILS5_2ELb0ES3_jN6thrust23THRUST_200600_302600_NS6detail15normal_iteratorINSA_7pointerIsNSA_11hip_rocprim3tagENSA_11use_defaultESG_EEEEPS6_NSA_18transform_iteratorINSA_8identityIsEENSC_INSA_10device_ptrIsEEEESG_SG_EENS0_5tupleIJPsSJ_EEENSR_IJSJ_SJ_EEES6_PlJS6_EEE10hipError_tPvRmT3_T4_T5_T6_T7_T9_mT8_P12ihipStream_tbDpT10_ENKUlT_T0_E_clISt17integral_constantIbLb0EES1E_IbLb1EEEEDaS1A_S1B_EUlS1A_E_NS1_11comp_targetILNS1_3genE8ELNS1_11target_archE1030ELNS1_3gpuE2ELNS1_3repE0EEENS1_30default_config_static_selectorELNS0_4arch9wavefront6targetE1EEEvT1_
		.amdhsa_group_segment_fixed_size 0
		.amdhsa_private_segment_fixed_size 0
		.amdhsa_kernarg_size 144
		.amdhsa_user_sgpr_count 6
		.amdhsa_user_sgpr_private_segment_buffer 1
		.amdhsa_user_sgpr_dispatch_ptr 0
		.amdhsa_user_sgpr_queue_ptr 0
		.amdhsa_user_sgpr_kernarg_segment_ptr 1
		.amdhsa_user_sgpr_dispatch_id 0
		.amdhsa_user_sgpr_flat_scratch_init 0
		.amdhsa_user_sgpr_kernarg_preload_length 0
		.amdhsa_user_sgpr_kernarg_preload_offset 0
		.amdhsa_user_sgpr_private_segment_size 0
		.amdhsa_uses_dynamic_stack 0
		.amdhsa_system_sgpr_private_segment_wavefront_offset 0
		.amdhsa_system_sgpr_workgroup_id_x 1
		.amdhsa_system_sgpr_workgroup_id_y 0
		.amdhsa_system_sgpr_workgroup_id_z 0
		.amdhsa_system_sgpr_workgroup_info 0
		.amdhsa_system_vgpr_workitem_id 0
		.amdhsa_next_free_vgpr 1
		.amdhsa_next_free_sgpr 0
		.amdhsa_accum_offset 4
		.amdhsa_reserve_vcc 0
		.amdhsa_reserve_flat_scratch 0
		.amdhsa_float_round_mode_32 0
		.amdhsa_float_round_mode_16_64 0
		.amdhsa_float_denorm_mode_32 3
		.amdhsa_float_denorm_mode_16_64 3
		.amdhsa_dx10_clamp 1
		.amdhsa_ieee_mode 1
		.amdhsa_fp16_overflow 0
		.amdhsa_tg_split 0
		.amdhsa_exception_fp_ieee_invalid_op 0
		.amdhsa_exception_fp_denorm_src 0
		.amdhsa_exception_fp_ieee_div_zero 0
		.amdhsa_exception_fp_ieee_overflow 0
		.amdhsa_exception_fp_ieee_underflow 0
		.amdhsa_exception_fp_ieee_inexact 0
		.amdhsa_exception_int_div_zero 0
	.end_amdhsa_kernel
	.section	.text._ZN7rocprim17ROCPRIM_400000_NS6detail17trampoline_kernelINS0_14default_configENS1_25partition_config_selectorILNS1_17partition_subalgoE2EsNS0_10empty_typeEbEEZZNS1_14partition_implILS5_2ELb0ES3_jN6thrust23THRUST_200600_302600_NS6detail15normal_iteratorINSA_7pointerIsNSA_11hip_rocprim3tagENSA_11use_defaultESG_EEEEPS6_NSA_18transform_iteratorINSA_8identityIsEENSC_INSA_10device_ptrIsEEEESG_SG_EENS0_5tupleIJPsSJ_EEENSR_IJSJ_SJ_EEES6_PlJS6_EEE10hipError_tPvRmT3_T4_T5_T6_T7_T9_mT8_P12ihipStream_tbDpT10_ENKUlT_T0_E_clISt17integral_constantIbLb0EES1E_IbLb1EEEEDaS1A_S1B_EUlS1A_E_NS1_11comp_targetILNS1_3genE8ELNS1_11target_archE1030ELNS1_3gpuE2ELNS1_3repE0EEENS1_30default_config_static_selectorELNS0_4arch9wavefront6targetE1EEEvT1_,"axG",@progbits,_ZN7rocprim17ROCPRIM_400000_NS6detail17trampoline_kernelINS0_14default_configENS1_25partition_config_selectorILNS1_17partition_subalgoE2EsNS0_10empty_typeEbEEZZNS1_14partition_implILS5_2ELb0ES3_jN6thrust23THRUST_200600_302600_NS6detail15normal_iteratorINSA_7pointerIsNSA_11hip_rocprim3tagENSA_11use_defaultESG_EEEEPS6_NSA_18transform_iteratorINSA_8identityIsEENSC_INSA_10device_ptrIsEEEESG_SG_EENS0_5tupleIJPsSJ_EEENSR_IJSJ_SJ_EEES6_PlJS6_EEE10hipError_tPvRmT3_T4_T5_T6_T7_T9_mT8_P12ihipStream_tbDpT10_ENKUlT_T0_E_clISt17integral_constantIbLb0EES1E_IbLb1EEEEDaS1A_S1B_EUlS1A_E_NS1_11comp_targetILNS1_3genE8ELNS1_11target_archE1030ELNS1_3gpuE2ELNS1_3repE0EEENS1_30default_config_static_selectorELNS0_4arch9wavefront6targetE1EEEvT1_,comdat
.Lfunc_end576:
	.size	_ZN7rocprim17ROCPRIM_400000_NS6detail17trampoline_kernelINS0_14default_configENS1_25partition_config_selectorILNS1_17partition_subalgoE2EsNS0_10empty_typeEbEEZZNS1_14partition_implILS5_2ELb0ES3_jN6thrust23THRUST_200600_302600_NS6detail15normal_iteratorINSA_7pointerIsNSA_11hip_rocprim3tagENSA_11use_defaultESG_EEEEPS6_NSA_18transform_iteratorINSA_8identityIsEENSC_INSA_10device_ptrIsEEEESG_SG_EENS0_5tupleIJPsSJ_EEENSR_IJSJ_SJ_EEES6_PlJS6_EEE10hipError_tPvRmT3_T4_T5_T6_T7_T9_mT8_P12ihipStream_tbDpT10_ENKUlT_T0_E_clISt17integral_constantIbLb0EES1E_IbLb1EEEEDaS1A_S1B_EUlS1A_E_NS1_11comp_targetILNS1_3genE8ELNS1_11target_archE1030ELNS1_3gpuE2ELNS1_3repE0EEENS1_30default_config_static_selectorELNS0_4arch9wavefront6targetE1EEEvT1_, .Lfunc_end576-_ZN7rocprim17ROCPRIM_400000_NS6detail17trampoline_kernelINS0_14default_configENS1_25partition_config_selectorILNS1_17partition_subalgoE2EsNS0_10empty_typeEbEEZZNS1_14partition_implILS5_2ELb0ES3_jN6thrust23THRUST_200600_302600_NS6detail15normal_iteratorINSA_7pointerIsNSA_11hip_rocprim3tagENSA_11use_defaultESG_EEEEPS6_NSA_18transform_iteratorINSA_8identityIsEENSC_INSA_10device_ptrIsEEEESG_SG_EENS0_5tupleIJPsSJ_EEENSR_IJSJ_SJ_EEES6_PlJS6_EEE10hipError_tPvRmT3_T4_T5_T6_T7_T9_mT8_P12ihipStream_tbDpT10_ENKUlT_T0_E_clISt17integral_constantIbLb0EES1E_IbLb1EEEEDaS1A_S1B_EUlS1A_E_NS1_11comp_targetILNS1_3genE8ELNS1_11target_archE1030ELNS1_3gpuE2ELNS1_3repE0EEENS1_30default_config_static_selectorELNS0_4arch9wavefront6targetE1EEEvT1_
                                        ; -- End function
	.section	.AMDGPU.csdata,"",@progbits
; Kernel info:
; codeLenInByte = 0
; NumSgprs: 4
; NumVgprs: 0
; NumAgprs: 0
; TotalNumVgprs: 0
; ScratchSize: 0
; MemoryBound: 0
; FloatMode: 240
; IeeeMode: 1
; LDSByteSize: 0 bytes/workgroup (compile time only)
; SGPRBlocks: 0
; VGPRBlocks: 0
; NumSGPRsForWavesPerEU: 4
; NumVGPRsForWavesPerEU: 1
; AccumOffset: 4
; Occupancy: 8
; WaveLimiterHint : 0
; COMPUTE_PGM_RSRC2:SCRATCH_EN: 0
; COMPUTE_PGM_RSRC2:USER_SGPR: 6
; COMPUTE_PGM_RSRC2:TRAP_HANDLER: 0
; COMPUTE_PGM_RSRC2:TGID_X_EN: 1
; COMPUTE_PGM_RSRC2:TGID_Y_EN: 0
; COMPUTE_PGM_RSRC2:TGID_Z_EN: 0
; COMPUTE_PGM_RSRC2:TIDIG_COMP_CNT: 0
; COMPUTE_PGM_RSRC3_GFX90A:ACCUM_OFFSET: 0
; COMPUTE_PGM_RSRC3_GFX90A:TG_SPLIT: 0
	.section	.text._ZN7rocprim17ROCPRIM_400000_NS6detail17trampoline_kernelINS0_14default_configENS1_25partition_config_selectorILNS1_17partition_subalgoE1ExNS0_10empty_typeEbEEZZNS1_14partition_implILS5_1ELb0ES3_jN6thrust23THRUST_200600_302600_NS6detail15normal_iteratorINSA_10device_ptrIxEEEEPS6_NSA_18transform_iteratorINSA_8identityIxEESF_NSA_11use_defaultESK_EENS0_5tupleIJSF_SF_EEENSM_IJSG_SG_EEES6_PlJS6_EEE10hipError_tPvRmT3_T4_T5_T6_T7_T9_mT8_P12ihipStream_tbDpT10_ENKUlT_T0_E_clISt17integral_constantIbLb0EES19_EEDaS14_S15_EUlS14_E_NS1_11comp_targetILNS1_3genE0ELNS1_11target_archE4294967295ELNS1_3gpuE0ELNS1_3repE0EEENS1_30default_config_static_selectorELNS0_4arch9wavefront6targetE1EEEvT1_,"axG",@progbits,_ZN7rocprim17ROCPRIM_400000_NS6detail17trampoline_kernelINS0_14default_configENS1_25partition_config_selectorILNS1_17partition_subalgoE1ExNS0_10empty_typeEbEEZZNS1_14partition_implILS5_1ELb0ES3_jN6thrust23THRUST_200600_302600_NS6detail15normal_iteratorINSA_10device_ptrIxEEEEPS6_NSA_18transform_iteratorINSA_8identityIxEESF_NSA_11use_defaultESK_EENS0_5tupleIJSF_SF_EEENSM_IJSG_SG_EEES6_PlJS6_EEE10hipError_tPvRmT3_T4_T5_T6_T7_T9_mT8_P12ihipStream_tbDpT10_ENKUlT_T0_E_clISt17integral_constantIbLb0EES19_EEDaS14_S15_EUlS14_E_NS1_11comp_targetILNS1_3genE0ELNS1_11target_archE4294967295ELNS1_3gpuE0ELNS1_3repE0EEENS1_30default_config_static_selectorELNS0_4arch9wavefront6targetE1EEEvT1_,comdat
	.protected	_ZN7rocprim17ROCPRIM_400000_NS6detail17trampoline_kernelINS0_14default_configENS1_25partition_config_selectorILNS1_17partition_subalgoE1ExNS0_10empty_typeEbEEZZNS1_14partition_implILS5_1ELb0ES3_jN6thrust23THRUST_200600_302600_NS6detail15normal_iteratorINSA_10device_ptrIxEEEEPS6_NSA_18transform_iteratorINSA_8identityIxEESF_NSA_11use_defaultESK_EENS0_5tupleIJSF_SF_EEENSM_IJSG_SG_EEES6_PlJS6_EEE10hipError_tPvRmT3_T4_T5_T6_T7_T9_mT8_P12ihipStream_tbDpT10_ENKUlT_T0_E_clISt17integral_constantIbLb0EES19_EEDaS14_S15_EUlS14_E_NS1_11comp_targetILNS1_3genE0ELNS1_11target_archE4294967295ELNS1_3gpuE0ELNS1_3repE0EEENS1_30default_config_static_selectorELNS0_4arch9wavefront6targetE1EEEvT1_ ; -- Begin function _ZN7rocprim17ROCPRIM_400000_NS6detail17trampoline_kernelINS0_14default_configENS1_25partition_config_selectorILNS1_17partition_subalgoE1ExNS0_10empty_typeEbEEZZNS1_14partition_implILS5_1ELb0ES3_jN6thrust23THRUST_200600_302600_NS6detail15normal_iteratorINSA_10device_ptrIxEEEEPS6_NSA_18transform_iteratorINSA_8identityIxEESF_NSA_11use_defaultESK_EENS0_5tupleIJSF_SF_EEENSM_IJSG_SG_EEES6_PlJS6_EEE10hipError_tPvRmT3_T4_T5_T6_T7_T9_mT8_P12ihipStream_tbDpT10_ENKUlT_T0_E_clISt17integral_constantIbLb0EES19_EEDaS14_S15_EUlS14_E_NS1_11comp_targetILNS1_3genE0ELNS1_11target_archE4294967295ELNS1_3gpuE0ELNS1_3repE0EEENS1_30default_config_static_selectorELNS0_4arch9wavefront6targetE1EEEvT1_
	.globl	_ZN7rocprim17ROCPRIM_400000_NS6detail17trampoline_kernelINS0_14default_configENS1_25partition_config_selectorILNS1_17partition_subalgoE1ExNS0_10empty_typeEbEEZZNS1_14partition_implILS5_1ELb0ES3_jN6thrust23THRUST_200600_302600_NS6detail15normal_iteratorINSA_10device_ptrIxEEEEPS6_NSA_18transform_iteratorINSA_8identityIxEESF_NSA_11use_defaultESK_EENS0_5tupleIJSF_SF_EEENSM_IJSG_SG_EEES6_PlJS6_EEE10hipError_tPvRmT3_T4_T5_T6_T7_T9_mT8_P12ihipStream_tbDpT10_ENKUlT_T0_E_clISt17integral_constantIbLb0EES19_EEDaS14_S15_EUlS14_E_NS1_11comp_targetILNS1_3genE0ELNS1_11target_archE4294967295ELNS1_3gpuE0ELNS1_3repE0EEENS1_30default_config_static_selectorELNS0_4arch9wavefront6targetE1EEEvT1_
	.p2align	8
	.type	_ZN7rocprim17ROCPRIM_400000_NS6detail17trampoline_kernelINS0_14default_configENS1_25partition_config_selectorILNS1_17partition_subalgoE1ExNS0_10empty_typeEbEEZZNS1_14partition_implILS5_1ELb0ES3_jN6thrust23THRUST_200600_302600_NS6detail15normal_iteratorINSA_10device_ptrIxEEEEPS6_NSA_18transform_iteratorINSA_8identityIxEESF_NSA_11use_defaultESK_EENS0_5tupleIJSF_SF_EEENSM_IJSG_SG_EEES6_PlJS6_EEE10hipError_tPvRmT3_T4_T5_T6_T7_T9_mT8_P12ihipStream_tbDpT10_ENKUlT_T0_E_clISt17integral_constantIbLb0EES19_EEDaS14_S15_EUlS14_E_NS1_11comp_targetILNS1_3genE0ELNS1_11target_archE4294967295ELNS1_3gpuE0ELNS1_3repE0EEENS1_30default_config_static_selectorELNS0_4arch9wavefront6targetE1EEEvT1_,@function
_ZN7rocprim17ROCPRIM_400000_NS6detail17trampoline_kernelINS0_14default_configENS1_25partition_config_selectorILNS1_17partition_subalgoE1ExNS0_10empty_typeEbEEZZNS1_14partition_implILS5_1ELb0ES3_jN6thrust23THRUST_200600_302600_NS6detail15normal_iteratorINSA_10device_ptrIxEEEEPS6_NSA_18transform_iteratorINSA_8identityIxEESF_NSA_11use_defaultESK_EENS0_5tupleIJSF_SF_EEENSM_IJSG_SG_EEES6_PlJS6_EEE10hipError_tPvRmT3_T4_T5_T6_T7_T9_mT8_P12ihipStream_tbDpT10_ENKUlT_T0_E_clISt17integral_constantIbLb0EES19_EEDaS14_S15_EUlS14_E_NS1_11comp_targetILNS1_3genE0ELNS1_11target_archE4294967295ELNS1_3gpuE0ELNS1_3repE0EEENS1_30default_config_static_selectorELNS0_4arch9wavefront6targetE1EEEvT1_: ; @_ZN7rocprim17ROCPRIM_400000_NS6detail17trampoline_kernelINS0_14default_configENS1_25partition_config_selectorILNS1_17partition_subalgoE1ExNS0_10empty_typeEbEEZZNS1_14partition_implILS5_1ELb0ES3_jN6thrust23THRUST_200600_302600_NS6detail15normal_iteratorINSA_10device_ptrIxEEEEPS6_NSA_18transform_iteratorINSA_8identityIxEESF_NSA_11use_defaultESK_EENS0_5tupleIJSF_SF_EEENSM_IJSG_SG_EEES6_PlJS6_EEE10hipError_tPvRmT3_T4_T5_T6_T7_T9_mT8_P12ihipStream_tbDpT10_ENKUlT_T0_E_clISt17integral_constantIbLb0EES19_EEDaS14_S15_EUlS14_E_NS1_11comp_targetILNS1_3genE0ELNS1_11target_archE4294967295ELNS1_3gpuE0ELNS1_3repE0EEENS1_30default_config_static_selectorELNS0_4arch9wavefront6targetE1EEEvT1_
; %bb.0:
	.section	.rodata,"a",@progbits
	.p2align	6, 0x0
	.amdhsa_kernel _ZN7rocprim17ROCPRIM_400000_NS6detail17trampoline_kernelINS0_14default_configENS1_25partition_config_selectorILNS1_17partition_subalgoE1ExNS0_10empty_typeEbEEZZNS1_14partition_implILS5_1ELb0ES3_jN6thrust23THRUST_200600_302600_NS6detail15normal_iteratorINSA_10device_ptrIxEEEEPS6_NSA_18transform_iteratorINSA_8identityIxEESF_NSA_11use_defaultESK_EENS0_5tupleIJSF_SF_EEENSM_IJSG_SG_EEES6_PlJS6_EEE10hipError_tPvRmT3_T4_T5_T6_T7_T9_mT8_P12ihipStream_tbDpT10_ENKUlT_T0_E_clISt17integral_constantIbLb0EES19_EEDaS14_S15_EUlS14_E_NS1_11comp_targetILNS1_3genE0ELNS1_11target_archE4294967295ELNS1_3gpuE0ELNS1_3repE0EEENS1_30default_config_static_selectorELNS0_4arch9wavefront6targetE1EEEvT1_
		.amdhsa_group_segment_fixed_size 0
		.amdhsa_private_segment_fixed_size 0
		.amdhsa_kernarg_size 128
		.amdhsa_user_sgpr_count 6
		.amdhsa_user_sgpr_private_segment_buffer 1
		.amdhsa_user_sgpr_dispatch_ptr 0
		.amdhsa_user_sgpr_queue_ptr 0
		.amdhsa_user_sgpr_kernarg_segment_ptr 1
		.amdhsa_user_sgpr_dispatch_id 0
		.amdhsa_user_sgpr_flat_scratch_init 0
		.amdhsa_user_sgpr_kernarg_preload_length 0
		.amdhsa_user_sgpr_kernarg_preload_offset 0
		.amdhsa_user_sgpr_private_segment_size 0
		.amdhsa_uses_dynamic_stack 0
		.amdhsa_system_sgpr_private_segment_wavefront_offset 0
		.amdhsa_system_sgpr_workgroup_id_x 1
		.amdhsa_system_sgpr_workgroup_id_y 0
		.amdhsa_system_sgpr_workgroup_id_z 0
		.amdhsa_system_sgpr_workgroup_info 0
		.amdhsa_system_vgpr_workitem_id 0
		.amdhsa_next_free_vgpr 1
		.amdhsa_next_free_sgpr 0
		.amdhsa_accum_offset 4
		.amdhsa_reserve_vcc 0
		.amdhsa_reserve_flat_scratch 0
		.amdhsa_float_round_mode_32 0
		.amdhsa_float_round_mode_16_64 0
		.amdhsa_float_denorm_mode_32 3
		.amdhsa_float_denorm_mode_16_64 3
		.amdhsa_dx10_clamp 1
		.amdhsa_ieee_mode 1
		.amdhsa_fp16_overflow 0
		.amdhsa_tg_split 0
		.amdhsa_exception_fp_ieee_invalid_op 0
		.amdhsa_exception_fp_denorm_src 0
		.amdhsa_exception_fp_ieee_div_zero 0
		.amdhsa_exception_fp_ieee_overflow 0
		.amdhsa_exception_fp_ieee_underflow 0
		.amdhsa_exception_fp_ieee_inexact 0
		.amdhsa_exception_int_div_zero 0
	.end_amdhsa_kernel
	.section	.text._ZN7rocprim17ROCPRIM_400000_NS6detail17trampoline_kernelINS0_14default_configENS1_25partition_config_selectorILNS1_17partition_subalgoE1ExNS0_10empty_typeEbEEZZNS1_14partition_implILS5_1ELb0ES3_jN6thrust23THRUST_200600_302600_NS6detail15normal_iteratorINSA_10device_ptrIxEEEEPS6_NSA_18transform_iteratorINSA_8identityIxEESF_NSA_11use_defaultESK_EENS0_5tupleIJSF_SF_EEENSM_IJSG_SG_EEES6_PlJS6_EEE10hipError_tPvRmT3_T4_T5_T6_T7_T9_mT8_P12ihipStream_tbDpT10_ENKUlT_T0_E_clISt17integral_constantIbLb0EES19_EEDaS14_S15_EUlS14_E_NS1_11comp_targetILNS1_3genE0ELNS1_11target_archE4294967295ELNS1_3gpuE0ELNS1_3repE0EEENS1_30default_config_static_selectorELNS0_4arch9wavefront6targetE1EEEvT1_,"axG",@progbits,_ZN7rocprim17ROCPRIM_400000_NS6detail17trampoline_kernelINS0_14default_configENS1_25partition_config_selectorILNS1_17partition_subalgoE1ExNS0_10empty_typeEbEEZZNS1_14partition_implILS5_1ELb0ES3_jN6thrust23THRUST_200600_302600_NS6detail15normal_iteratorINSA_10device_ptrIxEEEEPS6_NSA_18transform_iteratorINSA_8identityIxEESF_NSA_11use_defaultESK_EENS0_5tupleIJSF_SF_EEENSM_IJSG_SG_EEES6_PlJS6_EEE10hipError_tPvRmT3_T4_T5_T6_T7_T9_mT8_P12ihipStream_tbDpT10_ENKUlT_T0_E_clISt17integral_constantIbLb0EES19_EEDaS14_S15_EUlS14_E_NS1_11comp_targetILNS1_3genE0ELNS1_11target_archE4294967295ELNS1_3gpuE0ELNS1_3repE0EEENS1_30default_config_static_selectorELNS0_4arch9wavefront6targetE1EEEvT1_,comdat
.Lfunc_end577:
	.size	_ZN7rocprim17ROCPRIM_400000_NS6detail17trampoline_kernelINS0_14default_configENS1_25partition_config_selectorILNS1_17partition_subalgoE1ExNS0_10empty_typeEbEEZZNS1_14partition_implILS5_1ELb0ES3_jN6thrust23THRUST_200600_302600_NS6detail15normal_iteratorINSA_10device_ptrIxEEEEPS6_NSA_18transform_iteratorINSA_8identityIxEESF_NSA_11use_defaultESK_EENS0_5tupleIJSF_SF_EEENSM_IJSG_SG_EEES6_PlJS6_EEE10hipError_tPvRmT3_T4_T5_T6_T7_T9_mT8_P12ihipStream_tbDpT10_ENKUlT_T0_E_clISt17integral_constantIbLb0EES19_EEDaS14_S15_EUlS14_E_NS1_11comp_targetILNS1_3genE0ELNS1_11target_archE4294967295ELNS1_3gpuE0ELNS1_3repE0EEENS1_30default_config_static_selectorELNS0_4arch9wavefront6targetE1EEEvT1_, .Lfunc_end577-_ZN7rocprim17ROCPRIM_400000_NS6detail17trampoline_kernelINS0_14default_configENS1_25partition_config_selectorILNS1_17partition_subalgoE1ExNS0_10empty_typeEbEEZZNS1_14partition_implILS5_1ELb0ES3_jN6thrust23THRUST_200600_302600_NS6detail15normal_iteratorINSA_10device_ptrIxEEEEPS6_NSA_18transform_iteratorINSA_8identityIxEESF_NSA_11use_defaultESK_EENS0_5tupleIJSF_SF_EEENSM_IJSG_SG_EEES6_PlJS6_EEE10hipError_tPvRmT3_T4_T5_T6_T7_T9_mT8_P12ihipStream_tbDpT10_ENKUlT_T0_E_clISt17integral_constantIbLb0EES19_EEDaS14_S15_EUlS14_E_NS1_11comp_targetILNS1_3genE0ELNS1_11target_archE4294967295ELNS1_3gpuE0ELNS1_3repE0EEENS1_30default_config_static_selectorELNS0_4arch9wavefront6targetE1EEEvT1_
                                        ; -- End function
	.section	.AMDGPU.csdata,"",@progbits
; Kernel info:
; codeLenInByte = 0
; NumSgprs: 4
; NumVgprs: 0
; NumAgprs: 0
; TotalNumVgprs: 0
; ScratchSize: 0
; MemoryBound: 0
; FloatMode: 240
; IeeeMode: 1
; LDSByteSize: 0 bytes/workgroup (compile time only)
; SGPRBlocks: 0
; VGPRBlocks: 0
; NumSGPRsForWavesPerEU: 4
; NumVGPRsForWavesPerEU: 1
; AccumOffset: 4
; Occupancy: 8
; WaveLimiterHint : 0
; COMPUTE_PGM_RSRC2:SCRATCH_EN: 0
; COMPUTE_PGM_RSRC2:USER_SGPR: 6
; COMPUTE_PGM_RSRC2:TRAP_HANDLER: 0
; COMPUTE_PGM_RSRC2:TGID_X_EN: 1
; COMPUTE_PGM_RSRC2:TGID_Y_EN: 0
; COMPUTE_PGM_RSRC2:TGID_Z_EN: 0
; COMPUTE_PGM_RSRC2:TIDIG_COMP_CNT: 0
; COMPUTE_PGM_RSRC3_GFX90A:ACCUM_OFFSET: 0
; COMPUTE_PGM_RSRC3_GFX90A:TG_SPLIT: 0
	.section	.text._ZN7rocprim17ROCPRIM_400000_NS6detail17trampoline_kernelINS0_14default_configENS1_25partition_config_selectorILNS1_17partition_subalgoE1ExNS0_10empty_typeEbEEZZNS1_14partition_implILS5_1ELb0ES3_jN6thrust23THRUST_200600_302600_NS6detail15normal_iteratorINSA_10device_ptrIxEEEEPS6_NSA_18transform_iteratorINSA_8identityIxEESF_NSA_11use_defaultESK_EENS0_5tupleIJSF_SF_EEENSM_IJSG_SG_EEES6_PlJS6_EEE10hipError_tPvRmT3_T4_T5_T6_T7_T9_mT8_P12ihipStream_tbDpT10_ENKUlT_T0_E_clISt17integral_constantIbLb0EES19_EEDaS14_S15_EUlS14_E_NS1_11comp_targetILNS1_3genE5ELNS1_11target_archE942ELNS1_3gpuE9ELNS1_3repE0EEENS1_30default_config_static_selectorELNS0_4arch9wavefront6targetE1EEEvT1_,"axG",@progbits,_ZN7rocprim17ROCPRIM_400000_NS6detail17trampoline_kernelINS0_14default_configENS1_25partition_config_selectorILNS1_17partition_subalgoE1ExNS0_10empty_typeEbEEZZNS1_14partition_implILS5_1ELb0ES3_jN6thrust23THRUST_200600_302600_NS6detail15normal_iteratorINSA_10device_ptrIxEEEEPS6_NSA_18transform_iteratorINSA_8identityIxEESF_NSA_11use_defaultESK_EENS0_5tupleIJSF_SF_EEENSM_IJSG_SG_EEES6_PlJS6_EEE10hipError_tPvRmT3_T4_T5_T6_T7_T9_mT8_P12ihipStream_tbDpT10_ENKUlT_T0_E_clISt17integral_constantIbLb0EES19_EEDaS14_S15_EUlS14_E_NS1_11comp_targetILNS1_3genE5ELNS1_11target_archE942ELNS1_3gpuE9ELNS1_3repE0EEENS1_30default_config_static_selectorELNS0_4arch9wavefront6targetE1EEEvT1_,comdat
	.protected	_ZN7rocprim17ROCPRIM_400000_NS6detail17trampoline_kernelINS0_14default_configENS1_25partition_config_selectorILNS1_17partition_subalgoE1ExNS0_10empty_typeEbEEZZNS1_14partition_implILS5_1ELb0ES3_jN6thrust23THRUST_200600_302600_NS6detail15normal_iteratorINSA_10device_ptrIxEEEEPS6_NSA_18transform_iteratorINSA_8identityIxEESF_NSA_11use_defaultESK_EENS0_5tupleIJSF_SF_EEENSM_IJSG_SG_EEES6_PlJS6_EEE10hipError_tPvRmT3_T4_T5_T6_T7_T9_mT8_P12ihipStream_tbDpT10_ENKUlT_T0_E_clISt17integral_constantIbLb0EES19_EEDaS14_S15_EUlS14_E_NS1_11comp_targetILNS1_3genE5ELNS1_11target_archE942ELNS1_3gpuE9ELNS1_3repE0EEENS1_30default_config_static_selectorELNS0_4arch9wavefront6targetE1EEEvT1_ ; -- Begin function _ZN7rocprim17ROCPRIM_400000_NS6detail17trampoline_kernelINS0_14default_configENS1_25partition_config_selectorILNS1_17partition_subalgoE1ExNS0_10empty_typeEbEEZZNS1_14partition_implILS5_1ELb0ES3_jN6thrust23THRUST_200600_302600_NS6detail15normal_iteratorINSA_10device_ptrIxEEEEPS6_NSA_18transform_iteratorINSA_8identityIxEESF_NSA_11use_defaultESK_EENS0_5tupleIJSF_SF_EEENSM_IJSG_SG_EEES6_PlJS6_EEE10hipError_tPvRmT3_T4_T5_T6_T7_T9_mT8_P12ihipStream_tbDpT10_ENKUlT_T0_E_clISt17integral_constantIbLb0EES19_EEDaS14_S15_EUlS14_E_NS1_11comp_targetILNS1_3genE5ELNS1_11target_archE942ELNS1_3gpuE9ELNS1_3repE0EEENS1_30default_config_static_selectorELNS0_4arch9wavefront6targetE1EEEvT1_
	.globl	_ZN7rocprim17ROCPRIM_400000_NS6detail17trampoline_kernelINS0_14default_configENS1_25partition_config_selectorILNS1_17partition_subalgoE1ExNS0_10empty_typeEbEEZZNS1_14partition_implILS5_1ELb0ES3_jN6thrust23THRUST_200600_302600_NS6detail15normal_iteratorINSA_10device_ptrIxEEEEPS6_NSA_18transform_iteratorINSA_8identityIxEESF_NSA_11use_defaultESK_EENS0_5tupleIJSF_SF_EEENSM_IJSG_SG_EEES6_PlJS6_EEE10hipError_tPvRmT3_T4_T5_T6_T7_T9_mT8_P12ihipStream_tbDpT10_ENKUlT_T0_E_clISt17integral_constantIbLb0EES19_EEDaS14_S15_EUlS14_E_NS1_11comp_targetILNS1_3genE5ELNS1_11target_archE942ELNS1_3gpuE9ELNS1_3repE0EEENS1_30default_config_static_selectorELNS0_4arch9wavefront6targetE1EEEvT1_
	.p2align	8
	.type	_ZN7rocprim17ROCPRIM_400000_NS6detail17trampoline_kernelINS0_14default_configENS1_25partition_config_selectorILNS1_17partition_subalgoE1ExNS0_10empty_typeEbEEZZNS1_14partition_implILS5_1ELb0ES3_jN6thrust23THRUST_200600_302600_NS6detail15normal_iteratorINSA_10device_ptrIxEEEEPS6_NSA_18transform_iteratorINSA_8identityIxEESF_NSA_11use_defaultESK_EENS0_5tupleIJSF_SF_EEENSM_IJSG_SG_EEES6_PlJS6_EEE10hipError_tPvRmT3_T4_T5_T6_T7_T9_mT8_P12ihipStream_tbDpT10_ENKUlT_T0_E_clISt17integral_constantIbLb0EES19_EEDaS14_S15_EUlS14_E_NS1_11comp_targetILNS1_3genE5ELNS1_11target_archE942ELNS1_3gpuE9ELNS1_3repE0EEENS1_30default_config_static_selectorELNS0_4arch9wavefront6targetE1EEEvT1_,@function
_ZN7rocprim17ROCPRIM_400000_NS6detail17trampoline_kernelINS0_14default_configENS1_25partition_config_selectorILNS1_17partition_subalgoE1ExNS0_10empty_typeEbEEZZNS1_14partition_implILS5_1ELb0ES3_jN6thrust23THRUST_200600_302600_NS6detail15normal_iteratorINSA_10device_ptrIxEEEEPS6_NSA_18transform_iteratorINSA_8identityIxEESF_NSA_11use_defaultESK_EENS0_5tupleIJSF_SF_EEENSM_IJSG_SG_EEES6_PlJS6_EEE10hipError_tPvRmT3_T4_T5_T6_T7_T9_mT8_P12ihipStream_tbDpT10_ENKUlT_T0_E_clISt17integral_constantIbLb0EES19_EEDaS14_S15_EUlS14_E_NS1_11comp_targetILNS1_3genE5ELNS1_11target_archE942ELNS1_3gpuE9ELNS1_3repE0EEENS1_30default_config_static_selectorELNS0_4arch9wavefront6targetE1EEEvT1_: ; @_ZN7rocprim17ROCPRIM_400000_NS6detail17trampoline_kernelINS0_14default_configENS1_25partition_config_selectorILNS1_17partition_subalgoE1ExNS0_10empty_typeEbEEZZNS1_14partition_implILS5_1ELb0ES3_jN6thrust23THRUST_200600_302600_NS6detail15normal_iteratorINSA_10device_ptrIxEEEEPS6_NSA_18transform_iteratorINSA_8identityIxEESF_NSA_11use_defaultESK_EENS0_5tupleIJSF_SF_EEENSM_IJSG_SG_EEES6_PlJS6_EEE10hipError_tPvRmT3_T4_T5_T6_T7_T9_mT8_P12ihipStream_tbDpT10_ENKUlT_T0_E_clISt17integral_constantIbLb0EES19_EEDaS14_S15_EUlS14_E_NS1_11comp_targetILNS1_3genE5ELNS1_11target_archE942ELNS1_3gpuE9ELNS1_3repE0EEENS1_30default_config_static_selectorELNS0_4arch9wavefront6targetE1EEEvT1_
; %bb.0:
	.section	.rodata,"a",@progbits
	.p2align	6, 0x0
	.amdhsa_kernel _ZN7rocprim17ROCPRIM_400000_NS6detail17trampoline_kernelINS0_14default_configENS1_25partition_config_selectorILNS1_17partition_subalgoE1ExNS0_10empty_typeEbEEZZNS1_14partition_implILS5_1ELb0ES3_jN6thrust23THRUST_200600_302600_NS6detail15normal_iteratorINSA_10device_ptrIxEEEEPS6_NSA_18transform_iteratorINSA_8identityIxEESF_NSA_11use_defaultESK_EENS0_5tupleIJSF_SF_EEENSM_IJSG_SG_EEES6_PlJS6_EEE10hipError_tPvRmT3_T4_T5_T6_T7_T9_mT8_P12ihipStream_tbDpT10_ENKUlT_T0_E_clISt17integral_constantIbLb0EES19_EEDaS14_S15_EUlS14_E_NS1_11comp_targetILNS1_3genE5ELNS1_11target_archE942ELNS1_3gpuE9ELNS1_3repE0EEENS1_30default_config_static_selectorELNS0_4arch9wavefront6targetE1EEEvT1_
		.amdhsa_group_segment_fixed_size 0
		.amdhsa_private_segment_fixed_size 0
		.amdhsa_kernarg_size 128
		.amdhsa_user_sgpr_count 6
		.amdhsa_user_sgpr_private_segment_buffer 1
		.amdhsa_user_sgpr_dispatch_ptr 0
		.amdhsa_user_sgpr_queue_ptr 0
		.amdhsa_user_sgpr_kernarg_segment_ptr 1
		.amdhsa_user_sgpr_dispatch_id 0
		.amdhsa_user_sgpr_flat_scratch_init 0
		.amdhsa_user_sgpr_kernarg_preload_length 0
		.amdhsa_user_sgpr_kernarg_preload_offset 0
		.amdhsa_user_sgpr_private_segment_size 0
		.amdhsa_uses_dynamic_stack 0
		.amdhsa_system_sgpr_private_segment_wavefront_offset 0
		.amdhsa_system_sgpr_workgroup_id_x 1
		.amdhsa_system_sgpr_workgroup_id_y 0
		.amdhsa_system_sgpr_workgroup_id_z 0
		.amdhsa_system_sgpr_workgroup_info 0
		.amdhsa_system_vgpr_workitem_id 0
		.amdhsa_next_free_vgpr 1
		.amdhsa_next_free_sgpr 0
		.amdhsa_accum_offset 4
		.amdhsa_reserve_vcc 0
		.amdhsa_reserve_flat_scratch 0
		.amdhsa_float_round_mode_32 0
		.amdhsa_float_round_mode_16_64 0
		.amdhsa_float_denorm_mode_32 3
		.amdhsa_float_denorm_mode_16_64 3
		.amdhsa_dx10_clamp 1
		.amdhsa_ieee_mode 1
		.amdhsa_fp16_overflow 0
		.amdhsa_tg_split 0
		.amdhsa_exception_fp_ieee_invalid_op 0
		.amdhsa_exception_fp_denorm_src 0
		.amdhsa_exception_fp_ieee_div_zero 0
		.amdhsa_exception_fp_ieee_overflow 0
		.amdhsa_exception_fp_ieee_underflow 0
		.amdhsa_exception_fp_ieee_inexact 0
		.amdhsa_exception_int_div_zero 0
	.end_amdhsa_kernel
	.section	.text._ZN7rocprim17ROCPRIM_400000_NS6detail17trampoline_kernelINS0_14default_configENS1_25partition_config_selectorILNS1_17partition_subalgoE1ExNS0_10empty_typeEbEEZZNS1_14partition_implILS5_1ELb0ES3_jN6thrust23THRUST_200600_302600_NS6detail15normal_iteratorINSA_10device_ptrIxEEEEPS6_NSA_18transform_iteratorINSA_8identityIxEESF_NSA_11use_defaultESK_EENS0_5tupleIJSF_SF_EEENSM_IJSG_SG_EEES6_PlJS6_EEE10hipError_tPvRmT3_T4_T5_T6_T7_T9_mT8_P12ihipStream_tbDpT10_ENKUlT_T0_E_clISt17integral_constantIbLb0EES19_EEDaS14_S15_EUlS14_E_NS1_11comp_targetILNS1_3genE5ELNS1_11target_archE942ELNS1_3gpuE9ELNS1_3repE0EEENS1_30default_config_static_selectorELNS0_4arch9wavefront6targetE1EEEvT1_,"axG",@progbits,_ZN7rocprim17ROCPRIM_400000_NS6detail17trampoline_kernelINS0_14default_configENS1_25partition_config_selectorILNS1_17partition_subalgoE1ExNS0_10empty_typeEbEEZZNS1_14partition_implILS5_1ELb0ES3_jN6thrust23THRUST_200600_302600_NS6detail15normal_iteratorINSA_10device_ptrIxEEEEPS6_NSA_18transform_iteratorINSA_8identityIxEESF_NSA_11use_defaultESK_EENS0_5tupleIJSF_SF_EEENSM_IJSG_SG_EEES6_PlJS6_EEE10hipError_tPvRmT3_T4_T5_T6_T7_T9_mT8_P12ihipStream_tbDpT10_ENKUlT_T0_E_clISt17integral_constantIbLb0EES19_EEDaS14_S15_EUlS14_E_NS1_11comp_targetILNS1_3genE5ELNS1_11target_archE942ELNS1_3gpuE9ELNS1_3repE0EEENS1_30default_config_static_selectorELNS0_4arch9wavefront6targetE1EEEvT1_,comdat
.Lfunc_end578:
	.size	_ZN7rocprim17ROCPRIM_400000_NS6detail17trampoline_kernelINS0_14default_configENS1_25partition_config_selectorILNS1_17partition_subalgoE1ExNS0_10empty_typeEbEEZZNS1_14partition_implILS5_1ELb0ES3_jN6thrust23THRUST_200600_302600_NS6detail15normal_iteratorINSA_10device_ptrIxEEEEPS6_NSA_18transform_iteratorINSA_8identityIxEESF_NSA_11use_defaultESK_EENS0_5tupleIJSF_SF_EEENSM_IJSG_SG_EEES6_PlJS6_EEE10hipError_tPvRmT3_T4_T5_T6_T7_T9_mT8_P12ihipStream_tbDpT10_ENKUlT_T0_E_clISt17integral_constantIbLb0EES19_EEDaS14_S15_EUlS14_E_NS1_11comp_targetILNS1_3genE5ELNS1_11target_archE942ELNS1_3gpuE9ELNS1_3repE0EEENS1_30default_config_static_selectorELNS0_4arch9wavefront6targetE1EEEvT1_, .Lfunc_end578-_ZN7rocprim17ROCPRIM_400000_NS6detail17trampoline_kernelINS0_14default_configENS1_25partition_config_selectorILNS1_17partition_subalgoE1ExNS0_10empty_typeEbEEZZNS1_14partition_implILS5_1ELb0ES3_jN6thrust23THRUST_200600_302600_NS6detail15normal_iteratorINSA_10device_ptrIxEEEEPS6_NSA_18transform_iteratorINSA_8identityIxEESF_NSA_11use_defaultESK_EENS0_5tupleIJSF_SF_EEENSM_IJSG_SG_EEES6_PlJS6_EEE10hipError_tPvRmT3_T4_T5_T6_T7_T9_mT8_P12ihipStream_tbDpT10_ENKUlT_T0_E_clISt17integral_constantIbLb0EES19_EEDaS14_S15_EUlS14_E_NS1_11comp_targetILNS1_3genE5ELNS1_11target_archE942ELNS1_3gpuE9ELNS1_3repE0EEENS1_30default_config_static_selectorELNS0_4arch9wavefront6targetE1EEEvT1_
                                        ; -- End function
	.section	.AMDGPU.csdata,"",@progbits
; Kernel info:
; codeLenInByte = 0
; NumSgprs: 4
; NumVgprs: 0
; NumAgprs: 0
; TotalNumVgprs: 0
; ScratchSize: 0
; MemoryBound: 0
; FloatMode: 240
; IeeeMode: 1
; LDSByteSize: 0 bytes/workgroup (compile time only)
; SGPRBlocks: 0
; VGPRBlocks: 0
; NumSGPRsForWavesPerEU: 4
; NumVGPRsForWavesPerEU: 1
; AccumOffset: 4
; Occupancy: 8
; WaveLimiterHint : 0
; COMPUTE_PGM_RSRC2:SCRATCH_EN: 0
; COMPUTE_PGM_RSRC2:USER_SGPR: 6
; COMPUTE_PGM_RSRC2:TRAP_HANDLER: 0
; COMPUTE_PGM_RSRC2:TGID_X_EN: 1
; COMPUTE_PGM_RSRC2:TGID_Y_EN: 0
; COMPUTE_PGM_RSRC2:TGID_Z_EN: 0
; COMPUTE_PGM_RSRC2:TIDIG_COMP_CNT: 0
; COMPUTE_PGM_RSRC3_GFX90A:ACCUM_OFFSET: 0
; COMPUTE_PGM_RSRC3_GFX90A:TG_SPLIT: 0
	.section	.text._ZN7rocprim17ROCPRIM_400000_NS6detail17trampoline_kernelINS0_14default_configENS1_25partition_config_selectorILNS1_17partition_subalgoE1ExNS0_10empty_typeEbEEZZNS1_14partition_implILS5_1ELb0ES3_jN6thrust23THRUST_200600_302600_NS6detail15normal_iteratorINSA_10device_ptrIxEEEEPS6_NSA_18transform_iteratorINSA_8identityIxEESF_NSA_11use_defaultESK_EENS0_5tupleIJSF_SF_EEENSM_IJSG_SG_EEES6_PlJS6_EEE10hipError_tPvRmT3_T4_T5_T6_T7_T9_mT8_P12ihipStream_tbDpT10_ENKUlT_T0_E_clISt17integral_constantIbLb0EES19_EEDaS14_S15_EUlS14_E_NS1_11comp_targetILNS1_3genE4ELNS1_11target_archE910ELNS1_3gpuE8ELNS1_3repE0EEENS1_30default_config_static_selectorELNS0_4arch9wavefront6targetE1EEEvT1_,"axG",@progbits,_ZN7rocprim17ROCPRIM_400000_NS6detail17trampoline_kernelINS0_14default_configENS1_25partition_config_selectorILNS1_17partition_subalgoE1ExNS0_10empty_typeEbEEZZNS1_14partition_implILS5_1ELb0ES3_jN6thrust23THRUST_200600_302600_NS6detail15normal_iteratorINSA_10device_ptrIxEEEEPS6_NSA_18transform_iteratorINSA_8identityIxEESF_NSA_11use_defaultESK_EENS0_5tupleIJSF_SF_EEENSM_IJSG_SG_EEES6_PlJS6_EEE10hipError_tPvRmT3_T4_T5_T6_T7_T9_mT8_P12ihipStream_tbDpT10_ENKUlT_T0_E_clISt17integral_constantIbLb0EES19_EEDaS14_S15_EUlS14_E_NS1_11comp_targetILNS1_3genE4ELNS1_11target_archE910ELNS1_3gpuE8ELNS1_3repE0EEENS1_30default_config_static_selectorELNS0_4arch9wavefront6targetE1EEEvT1_,comdat
	.protected	_ZN7rocprim17ROCPRIM_400000_NS6detail17trampoline_kernelINS0_14default_configENS1_25partition_config_selectorILNS1_17partition_subalgoE1ExNS0_10empty_typeEbEEZZNS1_14partition_implILS5_1ELb0ES3_jN6thrust23THRUST_200600_302600_NS6detail15normal_iteratorINSA_10device_ptrIxEEEEPS6_NSA_18transform_iteratorINSA_8identityIxEESF_NSA_11use_defaultESK_EENS0_5tupleIJSF_SF_EEENSM_IJSG_SG_EEES6_PlJS6_EEE10hipError_tPvRmT3_T4_T5_T6_T7_T9_mT8_P12ihipStream_tbDpT10_ENKUlT_T0_E_clISt17integral_constantIbLb0EES19_EEDaS14_S15_EUlS14_E_NS1_11comp_targetILNS1_3genE4ELNS1_11target_archE910ELNS1_3gpuE8ELNS1_3repE0EEENS1_30default_config_static_selectorELNS0_4arch9wavefront6targetE1EEEvT1_ ; -- Begin function _ZN7rocprim17ROCPRIM_400000_NS6detail17trampoline_kernelINS0_14default_configENS1_25partition_config_selectorILNS1_17partition_subalgoE1ExNS0_10empty_typeEbEEZZNS1_14partition_implILS5_1ELb0ES3_jN6thrust23THRUST_200600_302600_NS6detail15normal_iteratorINSA_10device_ptrIxEEEEPS6_NSA_18transform_iteratorINSA_8identityIxEESF_NSA_11use_defaultESK_EENS0_5tupleIJSF_SF_EEENSM_IJSG_SG_EEES6_PlJS6_EEE10hipError_tPvRmT3_T4_T5_T6_T7_T9_mT8_P12ihipStream_tbDpT10_ENKUlT_T0_E_clISt17integral_constantIbLb0EES19_EEDaS14_S15_EUlS14_E_NS1_11comp_targetILNS1_3genE4ELNS1_11target_archE910ELNS1_3gpuE8ELNS1_3repE0EEENS1_30default_config_static_selectorELNS0_4arch9wavefront6targetE1EEEvT1_
	.globl	_ZN7rocprim17ROCPRIM_400000_NS6detail17trampoline_kernelINS0_14default_configENS1_25partition_config_selectorILNS1_17partition_subalgoE1ExNS0_10empty_typeEbEEZZNS1_14partition_implILS5_1ELb0ES3_jN6thrust23THRUST_200600_302600_NS6detail15normal_iteratorINSA_10device_ptrIxEEEEPS6_NSA_18transform_iteratorINSA_8identityIxEESF_NSA_11use_defaultESK_EENS0_5tupleIJSF_SF_EEENSM_IJSG_SG_EEES6_PlJS6_EEE10hipError_tPvRmT3_T4_T5_T6_T7_T9_mT8_P12ihipStream_tbDpT10_ENKUlT_T0_E_clISt17integral_constantIbLb0EES19_EEDaS14_S15_EUlS14_E_NS1_11comp_targetILNS1_3genE4ELNS1_11target_archE910ELNS1_3gpuE8ELNS1_3repE0EEENS1_30default_config_static_selectorELNS0_4arch9wavefront6targetE1EEEvT1_
	.p2align	8
	.type	_ZN7rocprim17ROCPRIM_400000_NS6detail17trampoline_kernelINS0_14default_configENS1_25partition_config_selectorILNS1_17partition_subalgoE1ExNS0_10empty_typeEbEEZZNS1_14partition_implILS5_1ELb0ES3_jN6thrust23THRUST_200600_302600_NS6detail15normal_iteratorINSA_10device_ptrIxEEEEPS6_NSA_18transform_iteratorINSA_8identityIxEESF_NSA_11use_defaultESK_EENS0_5tupleIJSF_SF_EEENSM_IJSG_SG_EEES6_PlJS6_EEE10hipError_tPvRmT3_T4_T5_T6_T7_T9_mT8_P12ihipStream_tbDpT10_ENKUlT_T0_E_clISt17integral_constantIbLb0EES19_EEDaS14_S15_EUlS14_E_NS1_11comp_targetILNS1_3genE4ELNS1_11target_archE910ELNS1_3gpuE8ELNS1_3repE0EEENS1_30default_config_static_selectorELNS0_4arch9wavefront6targetE1EEEvT1_,@function
_ZN7rocprim17ROCPRIM_400000_NS6detail17trampoline_kernelINS0_14default_configENS1_25partition_config_selectorILNS1_17partition_subalgoE1ExNS0_10empty_typeEbEEZZNS1_14partition_implILS5_1ELb0ES3_jN6thrust23THRUST_200600_302600_NS6detail15normal_iteratorINSA_10device_ptrIxEEEEPS6_NSA_18transform_iteratorINSA_8identityIxEESF_NSA_11use_defaultESK_EENS0_5tupleIJSF_SF_EEENSM_IJSG_SG_EEES6_PlJS6_EEE10hipError_tPvRmT3_T4_T5_T6_T7_T9_mT8_P12ihipStream_tbDpT10_ENKUlT_T0_E_clISt17integral_constantIbLb0EES19_EEDaS14_S15_EUlS14_E_NS1_11comp_targetILNS1_3genE4ELNS1_11target_archE910ELNS1_3gpuE8ELNS1_3repE0EEENS1_30default_config_static_selectorELNS0_4arch9wavefront6targetE1EEEvT1_: ; @_ZN7rocprim17ROCPRIM_400000_NS6detail17trampoline_kernelINS0_14default_configENS1_25partition_config_selectorILNS1_17partition_subalgoE1ExNS0_10empty_typeEbEEZZNS1_14partition_implILS5_1ELb0ES3_jN6thrust23THRUST_200600_302600_NS6detail15normal_iteratorINSA_10device_ptrIxEEEEPS6_NSA_18transform_iteratorINSA_8identityIxEESF_NSA_11use_defaultESK_EENS0_5tupleIJSF_SF_EEENSM_IJSG_SG_EEES6_PlJS6_EEE10hipError_tPvRmT3_T4_T5_T6_T7_T9_mT8_P12ihipStream_tbDpT10_ENKUlT_T0_E_clISt17integral_constantIbLb0EES19_EEDaS14_S15_EUlS14_E_NS1_11comp_targetILNS1_3genE4ELNS1_11target_archE910ELNS1_3gpuE8ELNS1_3repE0EEENS1_30default_config_static_selectorELNS0_4arch9wavefront6targetE1EEEvT1_
; %bb.0:
	s_load_dwordx2 s[0:1], s[4:5], 0x60
	s_load_dwordx4 s[24:27], s[4:5], 0x8
	s_load_dwordx2 s[2:3], s[4:5], 0x20
	s_load_dwordx4 s[20:23], s[4:5], 0x50
	s_mul_i32 s10, s6, 0x300
	s_waitcnt lgkmcnt(0)
	v_mov_b32_e32 v3, s1
	s_load_dword s1, s[4:5], 0x78
	s_lshl_b64 s[8:9], s[26:27], 3
	s_add_u32 s7, s24, s8
	s_addc_u32 s12, s25, s9
	v_mov_b32_e32 v2, s0
	s_waitcnt lgkmcnt(0)
	s_add_i32 s13, s1, -1
	s_mulk_i32 s1, 0x300
	s_add_i32 s11, s1, s26
	s_sub_i32 s33, s0, s11
	s_addk_i32 s33, 0x300
	s_add_u32 s0, s26, s1
	s_addc_u32 s1, s27, 0
	s_cmp_eq_u32 s6, s13
	s_load_dwordx2 s[30:31], s[22:23], 0x0
	s_cselect_b64 s[22:23], -1, 0
	s_cmp_lg_u32 s6, s13
	s_mov_b32 s11, 0
	v_cmp_lt_u64_e32 vcc, s[0:1], v[2:3]
	s_cselect_b64 s[0:1], -1, 0
	s_or_b64 s[24:25], s[0:1], vcc
	s_lshl_b64 s[28:29], s[10:11], 3
	s_add_u32 s7, s7, s28
	s_addc_u32 s12, s12, s29
	s_mov_b64 s[0:1], -1
	s_and_b64 vcc, exec, s[24:25]
	v_lshlrev_b32_e32 v1, 3, v0
	v_lshrrev_b32_e32 v10, 2, v0
	s_cbranch_vccz .LBB579_2
; %bb.1:
	v_mov_b32_e32 v3, s12
	v_add_co_u32_e32 v2, vcc, s7, v1
	v_addc_co_u32_e32 v3, vcc, 0, v3, vcc
	v_add_co_u32_e32 v4, vcc, 0x1000, v2
	v_addc_co_u32_e32 v5, vcc, 0, v3, vcc
	flat_load_dwordx2 v[6:7], v[2:3]
	flat_load_dwordx2 v[8:9], v[2:3] offset:1536
	flat_load_dwordx2 v[12:13], v[2:3] offset:3072
	;; [unrolled: 1-line block ×3, first 2 shown]
	v_add_u32_e32 v3, 0xc0, v0
	v_add_u32_e32 v4, 0x180, v0
	;; [unrolled: 1-line block ×3, first 2 shown]
	v_and_b32_e32 v2, 56, v10
	v_lshrrev_b32_e32 v3, 2, v3
	v_lshrrev_b32_e32 v4, 2, v4
	;; [unrolled: 1-line block ×3, first 2 shown]
	v_add_u32_e32 v2, v2, v1
	v_and_b32_e32 v3, 0x78, v3
	v_and_b32_e32 v4, 0xf8, v4
	;; [unrolled: 1-line block ×3, first 2 shown]
	v_add_u32_e32 v3, v3, v1
	v_add_u32_e32 v4, v4, v1
	;; [unrolled: 1-line block ×3, first 2 shown]
	s_mov_b64 s[0:1], 0
	s_waitcnt vmcnt(0) lgkmcnt(0)
	ds_write_b64 v2, v[6:7]
	ds_write_b64 v3, v[8:9] offset:1536
	ds_write_b64 v4, v[12:13] offset:3072
	;; [unrolled: 1-line block ×3, first 2 shown]
	s_waitcnt lgkmcnt(0)
	s_barrier
.LBB579_2:
	s_andn2_b64 vcc, exec, s[0:1]
	v_cmp_gt_u32_e64 s[0:1], s33, v0
	s_cbranch_vccnz .LBB579_12
; %bb.3:
                                        ; implicit-def: $vgpr2_vgpr3_vgpr4_vgpr5_vgpr6_vgpr7_vgpr8_vgpr9
	s_and_saveexec_b64 s[10:11], s[0:1]
	s_cbranch_execz .LBB579_5
; %bb.4:
	v_mov_b32_e32 v3, s12
	v_add_co_u32_e32 v2, vcc, s7, v1
	v_addc_co_u32_e32 v3, vcc, 0, v3, vcc
	flat_load_dwordx2 v[2:3], v[2:3]
.LBB579_5:
	s_or_b64 exec, exec, s[10:11]
	v_add_u32_e32 v11, 0xc0, v0
	v_cmp_gt_u32_e32 vcc, s33, v11
	s_and_saveexec_b64 s[0:1], vcc
	s_cbranch_execz .LBB579_7
; %bb.6:
	v_mov_b32_e32 v5, s12
	v_add_co_u32_e32 v4, vcc, s7, v1
	v_addc_co_u32_e32 v5, vcc, 0, v5, vcc
	flat_load_dwordx2 v[4:5], v[4:5] offset:1536
.LBB579_7:
	s_or_b64 exec, exec, s[0:1]
	v_add_u32_e32 v12, 0x180, v0
	v_cmp_gt_u32_e32 vcc, s33, v12
	s_and_saveexec_b64 s[0:1], vcc
	s_cbranch_execz .LBB579_9
; %bb.8:
	v_mov_b32_e32 v7, s12
	v_add_co_u32_e32 v6, vcc, s7, v1
	v_addc_co_u32_e32 v7, vcc, 0, v7, vcc
	flat_load_dwordx2 v[6:7], v[6:7] offset:3072
.LBB579_9:
	s_or_b64 exec, exec, s[0:1]
	v_add_u32_e32 v13, 0x240, v0
	v_cmp_gt_u32_e32 vcc, s33, v13
	s_and_saveexec_b64 s[0:1], vcc
	s_cbranch_execz .LBB579_11
; %bb.10:
	v_lshlrev_b32_e32 v8, 3, v13
	v_mov_b32_e32 v9, s12
	v_add_co_u32_e32 v8, vcc, s7, v8
	v_addc_co_u32_e32 v9, vcc, 0, v9, vcc
	flat_load_dwordx2 v[8:9], v[8:9]
.LBB579_11:
	s_or_b64 exec, exec, s[0:1]
	v_and_b32_e32 v10, 56, v10
	v_add_u32_e32 v10, v10, v1
	s_waitcnt vmcnt(0) lgkmcnt(0)
	ds_write_b64 v10, v[2:3]
	v_lshrrev_b32_e32 v2, 2, v11
	v_and_b32_e32 v2, 0x78, v2
	v_add_u32_e32 v2, v2, v1
	ds_write_b64 v2, v[4:5] offset:1536
	v_lshrrev_b32_e32 v2, 2, v12
	v_and_b32_e32 v2, 0xf8, v2
	v_add_u32_e32 v2, v2, v1
	ds_write_b64 v2, v[6:7] offset:3072
	;; [unrolled: 4-line block ×3, first 2 shown]
	s_waitcnt lgkmcnt(0)
	s_barrier
.LBB579_12:
	v_lshlrev_b32_e32 v20, 2, v0
	v_lshrrev_b32_e32 v10, 3, v0
	v_add_lshl_u32 v2, v10, v20, 3
	s_waitcnt lgkmcnt(0)
	ds_read2_b64 v[6:9], v2 offset1:1
	ds_read2_b64 v[2:5], v2 offset0:2 offset1:3
	s_add_u32 s0, s2, s8
	s_addc_u32 s1, s3, s9
	s_add_u32 s0, s0, s28
	s_addc_u32 s1, s1, s29
	s_mov_b64 s[2:3], -1
	s_and_b64 vcc, exec, s[24:25]
	v_lshrrev_b32_e32 v11, 5, v0
	s_waitcnt lgkmcnt(0)
	s_barrier
	s_cbranch_vccz .LBB579_14
; %bb.13:
	v_mov_b32_e32 v14, s1
	v_add_co_u32_e32 v18, vcc, s0, v1
	global_load_dwordx2 v[12:13], v1, s[0:1]
	v_addc_co_u32_e32 v19, vcc, 0, v14, vcc
	v_add_co_u32_e32 v18, vcc, 0x1000, v18
	global_load_dwordx2 v[14:15], v1, s[0:1] offset:1536
	global_load_dwordx2 v[16:17], v1, s[0:1] offset:3072
	v_addc_co_u32_e32 v19, vcc, 0, v19, vcc
	global_load_dwordx2 v[18:19], v[18:19], off offset:512
	v_add_u32_e32 v22, 0xc0, v0
	v_add_u32_e32 v23, 0x180, v0
	v_add_u32_e32 v24, 0x240, v0
	v_and_b32_e32 v21, 4, v11
	v_lshrrev_b32_e32 v22, 5, v22
	v_lshrrev_b32_e32 v23, 5, v23
	;; [unrolled: 1-line block ×3, first 2 shown]
	v_add_u32_e32 v21, v21, v0
	v_and_b32_e32 v22, 12, v22
	v_and_b32_e32 v23, 28, v23
	;; [unrolled: 1-line block ×3, first 2 shown]
	v_add_u32_e32 v22, v22, v0
	v_add_u32_e32 v23, v23, v0
	;; [unrolled: 1-line block ×3, first 2 shown]
	s_mov_b64 s[2:3], 0
	s_waitcnt vmcnt(3)
	v_cmp_ne_u64_e32 vcc, 0, v[12:13]
	v_cndmask_b32_e64 v12, 0, 1, vcc
	s_waitcnt vmcnt(2)
	v_cmp_ne_u64_e32 vcc, 0, v[14:15]
	v_cndmask_b32_e64 v13, 0, 1, vcc
	;; [unrolled: 3-line block ×3, first 2 shown]
	s_waitcnt vmcnt(0)
	v_cmp_ne_u64_e32 vcc, 0, v[18:19]
	ds_write_b8 v21, v12
	ds_write_b8 v22, v13 offset:192
	ds_write_b8 v23, v14 offset:384
	v_cndmask_b32_e64 v12, 0, 1, vcc
	ds_write_b8 v24, v12 offset:576
	s_waitcnt lgkmcnt(0)
	s_barrier
.LBB579_14:
	s_load_dwordx2 s[34:35], s[4:5], 0x70
	s_andn2_b64 vcc, exec, s[2:3]
	s_cbranch_vccnz .LBB579_24
; %bb.15:
	v_cmp_gt_u32_e32 vcc, s33, v0
	v_mov_b32_e32 v12, 0
	v_mov_b32_e32 v13, 0
	s_and_saveexec_b64 s[2:3], vcc
	s_cbranch_execz .LBB579_17
; %bb.16:
	global_load_dwordx2 v[14:15], v1, s[0:1]
	s_waitcnt vmcnt(0)
	v_cmp_ne_u64_e32 vcc, 0, v[14:15]
	v_cndmask_b32_e64 v13, 0, 1, vcc
.LBB579_17:
	s_or_b64 exec, exec, s[2:3]
	v_add_u32_e32 v14, 0xc0, v0
	v_cmp_gt_u32_e32 vcc, s33, v14
	s_and_saveexec_b64 s[2:3], vcc
	s_cbranch_execz .LBB579_19
; %bb.18:
	global_load_dwordx2 v[16:17], v1, s[0:1] offset:1536
	s_waitcnt vmcnt(0)
	v_cmp_ne_u64_e32 vcc, 0, v[16:17]
	v_cndmask_b32_e64 v12, 0, 1, vcc
.LBB579_19:
	s_or_b64 exec, exec, s[2:3]
	v_add_u32_e32 v16, 0x180, v0
	v_cmp_gt_u32_e32 vcc, s33, v16
	v_mov_b32_e32 v15, 0
	v_mov_b32_e32 v17, 0
	s_and_saveexec_b64 s[2:3], vcc
	s_cbranch_execz .LBB579_21
; %bb.20:
	global_load_dwordx2 v[18:19], v1, s[0:1] offset:3072
	s_waitcnt vmcnt(0)
	v_cmp_ne_u64_e32 vcc, 0, v[18:19]
	v_cndmask_b32_e64 v17, 0, 1, vcc
.LBB579_21:
	s_or_b64 exec, exec, s[2:3]
	v_add_u32_e32 v18, 0x240, v0
	v_cmp_gt_u32_e32 vcc, s33, v18
	s_and_saveexec_b64 s[2:3], vcc
	s_cbranch_execz .LBB579_23
; %bb.22:
	v_lshlrev_b32_e32 v15, 3, v18
	global_load_dwordx2 v[22:23], v15, s[0:1]
	s_waitcnt vmcnt(0)
	v_cmp_ne_u64_e32 vcc, 0, v[22:23]
	v_cndmask_b32_e64 v15, 0, 1, vcc
.LBB579_23:
	s_or_b64 exec, exec, s[2:3]
	v_and_b32_e32 v11, 4, v11
	v_add_u32_e32 v11, v11, v0
	ds_write_b8 v11, v13
	v_lshrrev_b32_e32 v11, 5, v14
	v_and_b32_e32 v11, 12, v11
	v_add_u32_e32 v11, v11, v0
	ds_write_b8 v11, v12 offset:192
	v_lshrrev_b32_e32 v11, 5, v16
	v_and_b32_e32 v11, 28, v11
	v_add_u32_e32 v11, v11, v0
	ds_write_b8 v11, v17 offset:384
	;; [unrolled: 4-line block ×3, first 2 shown]
	s_waitcnt lgkmcnt(0)
	s_barrier
.LBB579_24:
	v_and_b32_e32 v10, 28, v10
	v_add_u32_e32 v10, v10, v20
	s_waitcnt lgkmcnt(0)
	ds_read_b32 v22, v10
	s_cmp_lg_u32 s6, 0
	v_lshrrev_b32_e32 v25, 6, v0
	s_waitcnt lgkmcnt(0)
	s_barrier
	v_lshrrev_b32_e32 v21, 24, v22
	v_bfe_u32 v23, v22, 16, 8
	v_add_u32_sdwa v10, v22, v22 dst_sel:DWORD dst_unused:UNUSED_PAD src0_sel:BYTE_1 src1_sel:BYTE_0
	v_add3_u32 v26, v10, v23, v21
	v_mbcnt_lo_u32_b32 v10, -1, 0
	v_mbcnt_hi_u32_b32 v24, -1, v10
	v_and_b32_e32 v10, 15, v24
	v_cmp_eq_u32_e64 s[14:15], 0, v10
	v_cmp_lt_u32_e64 s[12:13], 1, v10
	v_cmp_lt_u32_e64 s[10:11], 3, v10
	;; [unrolled: 1-line block ×3, first 2 shown]
	v_and_b32_e32 v10, 16, v24
	v_cmp_eq_u32_e64 s[2:3], 0, v10
	v_and_b32_e32 v10, 0xc0, v0
	v_min_u32_e32 v10, 0x80, v10
	v_or_b32_e32 v10, 63, v10
	v_cmp_lt_u32_e64 s[0:1], 31, v24
	v_cmp_eq_u32_e64 s[18:19], v10, v0
	s_cbranch_scc0 .LBB579_51
; %bb.25:
	v_mov_b32_dpp v10, v26 row_shr:1 row_mask:0xf bank_mask:0xf
	v_cndmask_b32_e64 v10, v10, 0, s[14:15]
	v_add_u32_e32 v10, v10, v26
	s_nop 1
	v_mov_b32_dpp v11, v10 row_shr:2 row_mask:0xf bank_mask:0xf
	v_cndmask_b32_e64 v11, 0, v11, s[12:13]
	v_add_u32_e32 v10, v10, v11
	s_nop 1
	;; [unrolled: 4-line block ×4, first 2 shown]
	v_mov_b32_dpp v11, v10 row_bcast:15 row_mask:0xf bank_mask:0xf
	v_cndmask_b32_e64 v11, v11, 0, s[2:3]
	v_add_u32_e32 v10, v10, v11
	s_nop 1
	v_mov_b32_dpp v11, v10 row_bcast:31 row_mask:0xf bank_mask:0xf
	v_cndmask_b32_e64 v11, 0, v11, s[0:1]
	v_add_u32_e32 v10, v10, v11
	s_and_saveexec_b64 s[16:17], s[18:19]
	s_cbranch_execz .LBB579_27
; %bb.26:
	v_lshlrev_b32_e32 v11, 2, v25
	ds_write_b32 v11, v10
.LBB579_27:
	s_or_b64 exec, exec, s[16:17]
	v_cmp_gt_u32_e32 vcc, 3, v0
	s_waitcnt lgkmcnt(0)
	s_barrier
	s_and_saveexec_b64 s[16:17], vcc
	s_cbranch_execz .LBB579_29
; %bb.28:
	ds_read_b32 v11, v20
	v_and_b32_e32 v12, 3, v24
	v_cmp_ne_u32_e32 vcc, 0, v12
	s_waitcnt lgkmcnt(0)
	v_mov_b32_dpp v13, v11 row_shr:1 row_mask:0xf bank_mask:0xf
	v_cndmask_b32_e32 v13, 0, v13, vcc
	v_add_u32_e32 v11, v13, v11
	v_cmp_lt_u32_e32 vcc, 1, v12
	s_nop 0
	v_mov_b32_dpp v13, v11 row_shr:2 row_mask:0xf bank_mask:0xf
	v_cndmask_b32_e32 v12, 0, v13, vcc
	v_add_u32_e32 v11, v11, v12
	ds_write_b32 v20, v11
.LBB579_29:
	s_or_b64 exec, exec, s[16:17]
	v_cmp_gt_u32_e32 vcc, 64, v0
	v_cmp_lt_u32_e64 s[16:17], 63, v0
	s_waitcnt lgkmcnt(0)
	s_barrier
	s_waitcnt lgkmcnt(0)
                                        ; implicit-def: $vgpr27
	s_and_saveexec_b64 s[36:37], s[16:17]
	s_cbranch_execz .LBB579_31
; %bb.30:
	v_lshl_add_u32 v11, v25, 2, -4
	ds_read_b32 v27, v11
	s_waitcnt lgkmcnt(0)
	v_add_u32_e32 v10, v27, v10
.LBB579_31:
	s_or_b64 exec, exec, s[36:37]
	v_add_u32_e32 v11, -1, v24
	v_and_b32_e32 v12, 64, v24
	v_cmp_lt_i32_e64 s[16:17], v11, v12
	v_cndmask_b32_e64 v11, v11, v24, s[16:17]
	v_lshlrev_b32_e32 v11, 2, v11
	ds_bpermute_b32 v28, v11, v10
	v_cmp_eq_u32_e64 s[16:17], 0, v24
	s_and_saveexec_b64 s[36:37], vcc
	s_cbranch_execz .LBB579_50
; %bb.32:
	v_mov_b32_e32 v17, 0
	ds_read_b32 v10, v17 offset:8
	s_and_saveexec_b64 s[38:39], s[16:17]
	s_cbranch_execz .LBB579_34
; %bb.33:
	s_add_i32 s40, s6, 64
	s_mov_b32 s41, 0
	s_lshl_b64 s[40:41], s[40:41], 3
	s_add_u32 s40, s34, s40
	v_mov_b32_e32 v11, 1
	s_addc_u32 s41, s35, s41
	s_waitcnt lgkmcnt(0)
	global_store_dwordx2 v17, v[10:11], s[40:41]
.LBB579_34:
	s_or_b64 exec, exec, s[38:39]
	v_xad_u32 v12, v24, -1, s6
	v_add_u32_e32 v16, 64, v12
	v_lshlrev_b64 v[14:15], 3, v[16:17]
	v_mov_b32_e32 v11, s35
	v_add_co_u32_e32 v18, vcc, s34, v14
	v_addc_co_u32_e32 v19, vcc, v11, v15, vcc
	global_load_dwordx2 v[14:15], v[18:19], off glc
	s_waitcnt vmcnt(0)
	v_cmp_eq_u16_sdwa s[40:41], v15, v17 src0_sel:BYTE_0 src1_sel:DWORD
	s_and_saveexec_b64 s[38:39], s[40:41]
	s_cbranch_execz .LBB579_38
; %bb.35:
	s_mov_b64 s[40:41], 0
	v_mov_b32_e32 v11, 0
.LBB579_36:                             ; =>This Inner Loop Header: Depth=1
	global_load_dwordx2 v[14:15], v[18:19], off glc
	s_waitcnt vmcnt(0)
	v_cmp_ne_u16_sdwa s[42:43], v15, v11 src0_sel:BYTE_0 src1_sel:DWORD
	s_or_b64 s[40:41], s[42:43], s[40:41]
	s_andn2_b64 exec, exec, s[40:41]
	s_cbranch_execnz .LBB579_36
; %bb.37:
	s_or_b64 exec, exec, s[40:41]
.LBB579_38:
	s_or_b64 exec, exec, s[38:39]
	v_and_b32_e32 v30, 63, v24
	v_mov_b32_e32 v29, 2
	v_cmp_ne_u32_e32 vcc, 63, v30
	v_cmp_eq_u16_sdwa s[38:39], v15, v29 src0_sel:BYTE_0 src1_sel:DWORD
	v_lshlrev_b64 v[16:17], v24, -1
	v_addc_co_u32_e32 v18, vcc, 0, v24, vcc
	v_and_b32_e32 v11, s39, v17
	v_lshlrev_b32_e32 v31, 2, v18
	v_or_b32_e32 v11, 0x80000000, v11
	ds_bpermute_b32 v18, v31, v14
	v_and_b32_e32 v13, s38, v16
	v_ffbl_b32_e32 v11, v11
	v_add_u32_e32 v11, 32, v11
	v_ffbl_b32_e32 v13, v13
	v_min_u32_e32 v11, v13, v11
	v_cmp_lt_u32_e32 vcc, v30, v11
	s_waitcnt lgkmcnt(0)
	v_cndmask_b32_e32 v13, 0, v18, vcc
	v_cmp_gt_u32_e32 vcc, 62, v30
	v_add_u32_e32 v13, v13, v14
	v_cndmask_b32_e64 v14, 0, 1, vcc
	v_lshlrev_b32_e32 v14, 1, v14
	v_add_lshl_u32 v32, v14, v24, 2
	ds_bpermute_b32 v14, v32, v13
	v_add_u32_e32 v33, 2, v30
	v_cmp_le_u32_e32 vcc, v33, v11
	v_add_u32_e32 v35, 4, v30
	v_add_u32_e32 v37, 8, v30
	s_waitcnt lgkmcnt(0)
	v_cndmask_b32_e32 v14, 0, v14, vcc
	v_cmp_gt_u32_e32 vcc, 60, v30
	v_add_u32_e32 v13, v13, v14
	v_cndmask_b32_e64 v14, 0, 1, vcc
	v_lshlrev_b32_e32 v14, 2, v14
	v_add_lshl_u32 v34, v14, v24, 2
	ds_bpermute_b32 v14, v34, v13
	v_cmp_le_u32_e32 vcc, v35, v11
	v_add_u32_e32 v39, 16, v30
	v_add_u32_e32 v41, 32, v30
	s_waitcnt lgkmcnt(0)
	v_cndmask_b32_e32 v14, 0, v14, vcc
	v_cmp_gt_u32_e32 vcc, 56, v30
	v_add_u32_e32 v13, v13, v14
	v_cndmask_b32_e64 v14, 0, 1, vcc
	v_lshlrev_b32_e32 v14, 3, v14
	v_add_lshl_u32 v36, v14, v24, 2
	ds_bpermute_b32 v14, v36, v13
	v_cmp_le_u32_e32 vcc, v37, v11
	s_waitcnt lgkmcnt(0)
	v_cndmask_b32_e32 v14, 0, v14, vcc
	v_cmp_gt_u32_e32 vcc, 48, v30
	v_add_u32_e32 v13, v13, v14
	v_cndmask_b32_e64 v14, 0, 1, vcc
	v_lshlrev_b32_e32 v14, 4, v14
	v_add_lshl_u32 v38, v14, v24, 2
	ds_bpermute_b32 v14, v38, v13
	v_cmp_le_u32_e32 vcc, v39, v11
	;; [unrolled: 9-line block ×3, first 2 shown]
	s_waitcnt lgkmcnt(0)
	v_cndmask_b32_e32 v11, 0, v14, vcc
	v_add_u32_e32 v14, v13, v11
	v_mov_b32_e32 v13, 0
	s_branch .LBB579_40
.LBB579_39:                             ;   in Loop: Header=BB579_40 Depth=1
	s_or_b64 exec, exec, s[38:39]
	v_cmp_eq_u16_sdwa s[38:39], v15, v29 src0_sel:BYTE_0 src1_sel:DWORD
	v_and_b32_e32 v18, s39, v17
	v_or_b32_e32 v18, 0x80000000, v18
	ds_bpermute_b32 v42, v31, v14
	v_and_b32_e32 v19, s38, v16
	v_ffbl_b32_e32 v18, v18
	v_add_u32_e32 v18, 32, v18
	v_ffbl_b32_e32 v19, v19
	v_min_u32_e32 v18, v19, v18
	v_cmp_lt_u32_e32 vcc, v30, v18
	s_waitcnt lgkmcnt(0)
	v_cndmask_b32_e32 v19, 0, v42, vcc
	v_add_u32_e32 v14, v19, v14
	ds_bpermute_b32 v19, v32, v14
	v_cmp_le_u32_e32 vcc, v33, v18
	v_subrev_u32_e32 v12, 64, v12
	s_waitcnt lgkmcnt(0)
	v_cndmask_b32_e32 v19, 0, v19, vcc
	v_add_u32_e32 v14, v14, v19
	ds_bpermute_b32 v19, v34, v14
	v_cmp_le_u32_e32 vcc, v35, v18
	s_waitcnt lgkmcnt(0)
	v_cndmask_b32_e32 v19, 0, v19, vcc
	v_add_u32_e32 v14, v14, v19
	ds_bpermute_b32 v19, v36, v14
	v_cmp_le_u32_e32 vcc, v37, v18
	;; [unrolled: 5-line block ×4, first 2 shown]
	s_waitcnt lgkmcnt(0)
	v_cndmask_b32_e32 v18, 0, v19, vcc
	v_add3_u32 v14, v18, v11, v14
.LBB579_40:                             ; =>This Loop Header: Depth=1
                                        ;     Child Loop BB579_43 Depth 2
	v_cmp_ne_u16_sdwa s[38:39], v15, v29 src0_sel:BYTE_0 src1_sel:DWORD
	v_cndmask_b32_e64 v11, 0, 1, s[38:39]
	;;#ASMSTART
	;;#ASMEND
	v_cmp_ne_u32_e32 vcc, 0, v11
	s_cmp_lg_u64 vcc, exec
	v_mov_b32_e32 v11, v14
	s_cbranch_scc1 .LBB579_45
; %bb.41:                               ;   in Loop: Header=BB579_40 Depth=1
	v_lshlrev_b64 v[14:15], 3, v[12:13]
	v_mov_b32_e32 v19, s35
	v_add_co_u32_e32 v18, vcc, s34, v14
	v_addc_co_u32_e32 v19, vcc, v19, v15, vcc
	global_load_dwordx2 v[14:15], v[18:19], off glc
	s_waitcnt vmcnt(0)
	v_cmp_eq_u16_sdwa s[40:41], v15, v13 src0_sel:BYTE_0 src1_sel:DWORD
	s_and_saveexec_b64 s[38:39], s[40:41]
	s_cbranch_execz .LBB579_39
; %bb.42:                               ;   in Loop: Header=BB579_40 Depth=1
	s_mov_b64 s[40:41], 0
.LBB579_43:                             ;   Parent Loop BB579_40 Depth=1
                                        ; =>  This Inner Loop Header: Depth=2
	global_load_dwordx2 v[14:15], v[18:19], off glc
	s_waitcnt vmcnt(0)
	v_cmp_ne_u16_sdwa s[42:43], v15, v13 src0_sel:BYTE_0 src1_sel:DWORD
	s_or_b64 s[40:41], s[42:43], s[40:41]
	s_andn2_b64 exec, exec, s[40:41]
	s_cbranch_execnz .LBB579_43
; %bb.44:                               ;   in Loop: Header=BB579_40 Depth=1
	s_or_b64 exec, exec, s[40:41]
	s_branch .LBB579_39
.LBB579_45:                             ;   in Loop: Header=BB579_40 Depth=1
                                        ; implicit-def: $vgpr14
                                        ; implicit-def: $vgpr15
	s_cbranch_execz .LBB579_40
; %bb.46:
	s_and_saveexec_b64 s[38:39], s[16:17]
	s_cbranch_execz .LBB579_48
; %bb.47:
	s_add_i32 s6, s6, 64
	s_mov_b32 s7, 0
	s_lshl_b64 s[6:7], s[6:7], 3
	s_add_u32 s6, s34, s6
	v_add_u32_e32 v12, v11, v10
	v_mov_b32_e32 v13, 2
	s_addc_u32 s7, s35, s7
	v_mov_b32_e32 v14, 0
	global_store_dwordx2 v14, v[12:13], s[6:7]
	ds_write_b64 v14, v[10:11] offset:6336
.LBB579_48:
	s_or_b64 exec, exec, s[38:39]
	v_cmp_eq_u32_e32 vcc, 0, v0
	s_and_b64 exec, exec, vcc
	s_cbranch_execz .LBB579_50
; %bb.49:
	v_mov_b32_e32 v10, 0
	ds_write_b32 v10, v11 offset:8
.LBB579_50:
	s_or_b64 exec, exec, s[36:37]
	v_mov_b32_e32 v10, 0
	s_waitcnt lgkmcnt(0)
	s_barrier
	ds_read_b32 v11, v10 offset:8
	v_cndmask_b32_e64 v12, v28, v27, s[16:17]
	v_cmp_ne_u32_e32 vcc, 0, v0
	v_cndmask_b32_e32 v12, 0, v12, vcc
	s_waitcnt lgkmcnt(0)
	v_add_u32_e32 v14, v11, v12
	s_barrier
	ds_read_b64 v[10:11], v10 offset:6336
	v_add_u32_sdwa v15, v14, v22 dst_sel:DWORD dst_unused:UNUSED_PAD src0_sel:DWORD src1_sel:BYTE_0
	v_add_u32_sdwa v13, v15, v22 dst_sel:DWORD dst_unused:UNUSED_PAD src0_sel:DWORD src1_sel:BYTE_1
	v_add_u32_e32 v12, v13, v23
	s_branch .LBB579_61
.LBB579_51:
                                        ; implicit-def: $vgpr11
                                        ; implicit-def: $vgpr12
                                        ; implicit-def: $vgpr13
                                        ; implicit-def: $vgpr15
                                        ; implicit-def: $vgpr14
	s_cbranch_execz .LBB579_61
; %bb.52:
	s_waitcnt lgkmcnt(0)
	v_mov_b32_dpp v10, v26 row_shr:1 row_mask:0xf bank_mask:0xf
	v_cndmask_b32_e64 v10, v10, 0, s[14:15]
	v_add_u32_e32 v10, v10, v26
	s_nop 1
	v_mov_b32_dpp v11, v10 row_shr:2 row_mask:0xf bank_mask:0xf
	v_cndmask_b32_e64 v11, 0, v11, s[12:13]
	v_add_u32_e32 v10, v10, v11
	s_nop 1
	;; [unrolled: 4-line block ×4, first 2 shown]
	v_mov_b32_dpp v11, v10 row_bcast:15 row_mask:0xf bank_mask:0xf
	v_cndmask_b32_e64 v11, v11, 0, s[2:3]
	v_add_u32_e32 v10, v10, v11
	s_nop 1
	v_mov_b32_dpp v11, v10 row_bcast:31 row_mask:0xf bank_mask:0xf
	v_cndmask_b32_e64 v11, 0, v11, s[0:1]
	v_add_u32_e32 v10, v10, v11
	s_and_saveexec_b64 s[0:1], s[18:19]
	s_cbranch_execz .LBB579_54
; %bb.53:
	v_lshlrev_b32_e32 v11, 2, v25
	ds_write_b32 v11, v10
.LBB579_54:
	s_or_b64 exec, exec, s[0:1]
	v_cmp_gt_u32_e32 vcc, 3, v0
	s_waitcnt lgkmcnt(0)
	s_barrier
	s_and_saveexec_b64 s[0:1], vcc
	s_cbranch_execz .LBB579_56
; %bb.55:
	ds_read_b32 v11, v20
	v_and_b32_e32 v12, 3, v24
	v_cmp_ne_u32_e32 vcc, 0, v12
	s_waitcnt lgkmcnt(0)
	v_mov_b32_dpp v13, v11 row_shr:1 row_mask:0xf bank_mask:0xf
	v_cndmask_b32_e32 v13, 0, v13, vcc
	v_add_u32_e32 v11, v13, v11
	v_cmp_lt_u32_e32 vcc, 1, v12
	s_nop 0
	v_mov_b32_dpp v13, v11 row_shr:2 row_mask:0xf bank_mask:0xf
	v_cndmask_b32_e32 v12, 0, v13, vcc
	v_add_u32_e32 v11, v11, v12
	ds_write_b32 v20, v11
.LBB579_56:
	s_or_b64 exec, exec, s[0:1]
	v_cmp_lt_u32_e32 vcc, 63, v0
	v_mov_b32_e32 v11, 0
	v_mov_b32_e32 v12, 0
	s_waitcnt lgkmcnt(0)
	s_barrier
	s_and_saveexec_b64 s[0:1], vcc
	s_cbranch_execz .LBB579_58
; %bb.57:
	v_lshl_add_u32 v12, v25, 2, -4
	ds_read_b32 v12, v12
.LBB579_58:
	s_or_b64 exec, exec, s[0:1]
	v_add_u32_e32 v13, -1, v24
	v_and_b32_e32 v14, 64, v24
	v_cmp_lt_i32_e32 vcc, v13, v14
	v_cndmask_b32_e32 v13, v13, v24, vcc
	s_waitcnt lgkmcnt(0)
	v_add_u32_e32 v10, v12, v10
	v_lshlrev_b32_e32 v13, 2, v13
	ds_bpermute_b32 v13, v13, v10
	ds_read_b32 v10, v11 offset:8
	v_cmp_eq_u32_e32 vcc, 0, v0
	s_and_saveexec_b64 s[0:1], vcc
	s_cbranch_execz .LBB579_60
; %bb.59:
	v_mov_b32_e32 v14, 0
	v_mov_b32_e32 v11, 2
	s_waitcnt lgkmcnt(0)
	global_store_dwordx2 v14, v[10:11], s[34:35] offset:512
.LBB579_60:
	s_or_b64 exec, exec, s[0:1]
	v_cmp_eq_u32_e64 s[0:1], 0, v24
	s_waitcnt lgkmcnt(1)
	v_cndmask_b32_e64 v12, v13, v12, s[0:1]
	v_cndmask_b32_e64 v14, v12, 0, vcc
	v_add_u32_sdwa v15, v14, v22 dst_sel:DWORD dst_unused:UNUSED_PAD src0_sel:DWORD src1_sel:BYTE_0
	v_add_u32_sdwa v13, v15, v22 dst_sel:DWORD dst_unused:UNUSED_PAD src0_sel:DWORD src1_sel:BYTE_1
	v_mov_b32_e32 v11, 0
	v_add_u32_e32 v12, v13, v23
	s_waitcnt lgkmcnt(0)
	s_barrier
.LBB579_61:
	s_waitcnt lgkmcnt(0)
	v_add_u32_e32 v17, v10, v20
	v_sub_u32_e32 v14, v14, v11
	v_and_b32_e32 v19, 1, v22
	v_sub_u32_e32 v18, v17, v14
	v_cmp_eq_u32_e32 vcc, 1, v19
	v_cndmask_b32_e32 v14, v18, v14, vcc
	v_lshlrev_b32_e32 v14, 3, v14
	v_lshrrev_b32_e32 v16, 8, v22
	ds_write_b64 v14, v[6:7]
	v_sub_u32_e32 v6, v15, v11
	v_sub_u32_e32 v7, v17, v6
	v_and_b32_e32 v14, 1, v16
	v_add_u32_e32 v7, 1, v7
	v_cmp_eq_u32_e32 vcc, 1, v14
	v_cndmask_b32_e32 v6, v7, v6, vcc
	v_lshlrev_b32_e32 v6, 3, v6
	ds_write_b64 v6, v[8:9]
	v_sub_u32_e32 v6, v13, v11
	v_mov_b32_e32 v8, 1
	v_sub_u32_e32 v7, v17, v6
	v_and_b32_sdwa v8, v8, v22 dst_sel:DWORD dst_unused:UNUSED_PAD src0_sel:DWORD src1_sel:WORD_1
	v_add_u32_e32 v7, 2, v7
	v_cmp_eq_u32_e32 vcc, 1, v8
	v_cndmask_b32_e32 v6, v7, v6, vcc
	v_lshlrev_b32_e32 v6, 3, v6
	ds_write_b64 v6, v[2:3]
	v_sub_u32_e32 v2, v12, v11
	v_sub_u32_e32 v3, v17, v2
	v_and_b32_e32 v6, 1, v21
	v_add_u32_e32 v3, 3, v3
	v_cmp_eq_u32_e32 vcc, 1, v6
	v_cndmask_b32_e32 v2, v3, v2, vcc
	v_mov_b32_e32 v12, s31
	v_add_co_u32_e32 v20, vcc, s30, v11
	v_addc_co_u32_e32 v21, vcc, 0, v12, vcc
	s_load_dwordx4 s[0:3], s[4:5], 0x30
	v_add_co_u32_e32 v12, vcc, v20, v10
	v_addc_co_u32_e32 v13, vcc, 0, v21, vcc
	v_mov_b32_e32 v11, s27
	v_sub_co_u32_e32 v16, vcc, s26, v12
	v_subb_co_u32_e32 v17, vcc, v11, v13, vcc
	v_lshlrev_b32_e32 v2, 3, v2
	v_lshlrev_b64 v[16:17], 3, v[16:17]
	ds_write_b64 v2, v[4:5]
	s_waitcnt lgkmcnt(0)
	s_barrier
	ds_read2st64_b64 v[6:9], v1 offset1:3
	ds_read2st64_b64 v[2:5], v1 offset0:6 offset1:9
	v_mov_b32_e32 v11, s3
	v_add_co_u32_e32 v16, vcc, s2, v16
	v_addc_co_u32_e32 v17, vcc, v11, v17, vcc
	v_mov_b32_e32 v18, s29
	v_add_co_u32_e32 v11, vcc, s28, v16
	v_lshlrev_b64 v[20:21], 3, v[20:21]
	v_addc_co_u32_e32 v16, vcc, v17, v18, vcc
	v_mov_b32_e32 v18, s1
	v_add_co_u32_e64 v17, s[0:1], s0, v20
	v_add_u32_e32 v19, 0xc0, v0
	v_add_u32_e32 v15, 0x180, v0
	;; [unrolled: 1-line block ×3, first 2 shown]
	s_andn2_b64 vcc, exec, s[24:25]
	v_addc_co_u32_e64 v18, s[0:1], v18, v21, s[0:1]
	s_cbranch_vccnz .LBB579_63
; %bb.62:
	v_cmp_lt_u32_e32 vcc, v0, v10
	v_cndmask_b32_e32 v20, v11, v17, vcc
	v_cndmask_b32_e32 v21, v16, v18, vcc
	v_add_co_u32_e32 v20, vcc, v20, v1
	v_addc_co_u32_e32 v21, vcc, 0, v21, vcc
	v_cmp_lt_u32_e32 vcc, v19, v10
	s_waitcnt lgkmcnt(1)
	global_store_dwordx2 v[20:21], v[6:7], off
	v_cndmask_b32_e32 v20, v11, v17, vcc
	v_cndmask_b32_e32 v21, v16, v18, vcc
	v_add_co_u32_e32 v20, vcc, v20, v1
	v_addc_co_u32_e32 v21, vcc, 0, v21, vcc
	v_cmp_lt_u32_e32 vcc, v15, v10
	global_store_dwordx2 v[20:21], v[8:9], off offset:1536
	v_cndmask_b32_e32 v20, v11, v17, vcc
	v_cndmask_b32_e32 v21, v16, v18, vcc
	v_add_co_u32_e32 v20, vcc, v20, v1
	v_addc_co_u32_e32 v21, vcc, 0, v21, vcc
	s_mov_b64 s[0:1], -1
	s_waitcnt lgkmcnt(0)
	global_store_dwordx2 v[20:21], v[2:3], off offset:3072
	s_cbranch_execz .LBB579_64
	s_branch .LBB579_69
.LBB579_63:
	s_mov_b64 s[0:1], 0
.LBB579_64:
	v_cmp_gt_u32_e32 vcc, s33, v0
	s_and_saveexec_b64 s[0:1], vcc
	s_cbranch_execnz .LBB579_74
; %bb.65:
	s_or_b64 exec, exec, s[0:1]
	v_cmp_gt_u32_e32 vcc, s33, v19
	s_and_saveexec_b64 s[0:1], vcc
	s_cbranch_execnz .LBB579_75
.LBB579_66:
	s_or_b64 exec, exec, s[0:1]
	v_cmp_gt_u32_e32 vcc, s33, v15
	s_and_saveexec_b64 s[0:1], vcc
	s_cbranch_execz .LBB579_68
.LBB579_67:
	v_cmp_lt_u32_e32 vcc, v15, v10
	s_waitcnt lgkmcnt(1)
	v_cndmask_b32_e32 v6, v11, v17, vcc
	v_cndmask_b32_e32 v7, v16, v18, vcc
	v_add_co_u32_e32 v6, vcc, v6, v1
	v_addc_co_u32_e32 v7, vcc, 0, v7, vcc
	s_waitcnt lgkmcnt(0)
	global_store_dwordx2 v[6:7], v[2:3], off offset:3072
.LBB579_68:
	s_or_b64 exec, exec, s[0:1]
	v_cmp_gt_u32_e64 s[0:1], s33, v14
.LBB579_69:
	s_and_saveexec_b64 s[2:3], s[0:1]
	s_cbranch_execz .LBB579_71
; %bb.70:
	v_cmp_lt_u32_e32 vcc, v14, v10
	s_waitcnt lgkmcnt(0)
	v_cndmask_b32_e32 v2, v11, v17, vcc
	v_lshlrev_b32_e32 v3, 3, v14
	v_cndmask_b32_e32 v1, v16, v18, vcc
	v_add_co_u32_e32 v2, vcc, v2, v3
	v_addc_co_u32_e32 v3, vcc, 0, v1, vcc
	global_store_dwordx2 v[2:3], v[4:5], off
.LBB579_71:
	s_or_b64 exec, exec, s[2:3]
	v_cmp_eq_u32_e32 vcc, 0, v0
	s_and_b64 s[0:1], vcc, s[22:23]
	s_and_saveexec_b64 s[2:3], s[0:1]
	s_cbranch_execz .LBB579_73
; %bb.72:
	v_mov_b32_e32 v0, 0
	global_store_dwordx2 v0, v[12:13], s[20:21]
.LBB579_73:
	s_endpgm
.LBB579_74:
	v_cmp_lt_u32_e32 vcc, v0, v10
	v_cndmask_b32_e32 v20, v11, v17, vcc
	v_cndmask_b32_e32 v21, v16, v18, vcc
	v_add_co_u32_e32 v20, vcc, v20, v1
	v_addc_co_u32_e32 v21, vcc, 0, v21, vcc
	s_waitcnt lgkmcnt(1)
	global_store_dwordx2 v[20:21], v[6:7], off
	s_or_b64 exec, exec, s[0:1]
	v_cmp_gt_u32_e32 vcc, s33, v19
	s_and_saveexec_b64 s[0:1], vcc
	s_cbranch_execz .LBB579_66
.LBB579_75:
	v_cmp_lt_u32_e32 vcc, v19, v10
	s_waitcnt lgkmcnt(1)
	v_cndmask_b32_e32 v6, v11, v17, vcc
	v_cndmask_b32_e32 v7, v16, v18, vcc
	v_add_co_u32_e32 v6, vcc, v6, v1
	v_addc_co_u32_e32 v7, vcc, 0, v7, vcc
	global_store_dwordx2 v[6:7], v[8:9], off offset:1536
	s_or_b64 exec, exec, s[0:1]
	v_cmp_gt_u32_e32 vcc, s33, v15
	s_and_saveexec_b64 s[0:1], vcc
	s_cbranch_execnz .LBB579_67
	s_branch .LBB579_68
	.section	.rodata,"a",@progbits
	.p2align	6, 0x0
	.amdhsa_kernel _ZN7rocprim17ROCPRIM_400000_NS6detail17trampoline_kernelINS0_14default_configENS1_25partition_config_selectorILNS1_17partition_subalgoE1ExNS0_10empty_typeEbEEZZNS1_14partition_implILS5_1ELb0ES3_jN6thrust23THRUST_200600_302600_NS6detail15normal_iteratorINSA_10device_ptrIxEEEEPS6_NSA_18transform_iteratorINSA_8identityIxEESF_NSA_11use_defaultESK_EENS0_5tupleIJSF_SF_EEENSM_IJSG_SG_EEES6_PlJS6_EEE10hipError_tPvRmT3_T4_T5_T6_T7_T9_mT8_P12ihipStream_tbDpT10_ENKUlT_T0_E_clISt17integral_constantIbLb0EES19_EEDaS14_S15_EUlS14_E_NS1_11comp_targetILNS1_3genE4ELNS1_11target_archE910ELNS1_3gpuE8ELNS1_3repE0EEENS1_30default_config_static_selectorELNS0_4arch9wavefront6targetE1EEEvT1_
		.amdhsa_group_segment_fixed_size 6344
		.amdhsa_private_segment_fixed_size 0
		.amdhsa_kernarg_size 128
		.amdhsa_user_sgpr_count 6
		.amdhsa_user_sgpr_private_segment_buffer 1
		.amdhsa_user_sgpr_dispatch_ptr 0
		.amdhsa_user_sgpr_queue_ptr 0
		.amdhsa_user_sgpr_kernarg_segment_ptr 1
		.amdhsa_user_sgpr_dispatch_id 0
		.amdhsa_user_sgpr_flat_scratch_init 0
		.amdhsa_user_sgpr_kernarg_preload_length 0
		.amdhsa_user_sgpr_kernarg_preload_offset 0
		.amdhsa_user_sgpr_private_segment_size 0
		.amdhsa_uses_dynamic_stack 0
		.amdhsa_system_sgpr_private_segment_wavefront_offset 0
		.amdhsa_system_sgpr_workgroup_id_x 1
		.amdhsa_system_sgpr_workgroup_id_y 0
		.amdhsa_system_sgpr_workgroup_id_z 0
		.amdhsa_system_sgpr_workgroup_info 0
		.amdhsa_system_vgpr_workitem_id 0
		.amdhsa_next_free_vgpr 43
		.amdhsa_next_free_sgpr 44
		.amdhsa_accum_offset 44
		.amdhsa_reserve_vcc 1
		.amdhsa_reserve_flat_scratch 0
		.amdhsa_float_round_mode_32 0
		.amdhsa_float_round_mode_16_64 0
		.amdhsa_float_denorm_mode_32 3
		.amdhsa_float_denorm_mode_16_64 3
		.amdhsa_dx10_clamp 1
		.amdhsa_ieee_mode 1
		.amdhsa_fp16_overflow 0
		.amdhsa_tg_split 0
		.amdhsa_exception_fp_ieee_invalid_op 0
		.amdhsa_exception_fp_denorm_src 0
		.amdhsa_exception_fp_ieee_div_zero 0
		.amdhsa_exception_fp_ieee_overflow 0
		.amdhsa_exception_fp_ieee_underflow 0
		.amdhsa_exception_fp_ieee_inexact 0
		.amdhsa_exception_int_div_zero 0
	.end_amdhsa_kernel
	.section	.text._ZN7rocprim17ROCPRIM_400000_NS6detail17trampoline_kernelINS0_14default_configENS1_25partition_config_selectorILNS1_17partition_subalgoE1ExNS0_10empty_typeEbEEZZNS1_14partition_implILS5_1ELb0ES3_jN6thrust23THRUST_200600_302600_NS6detail15normal_iteratorINSA_10device_ptrIxEEEEPS6_NSA_18transform_iteratorINSA_8identityIxEESF_NSA_11use_defaultESK_EENS0_5tupleIJSF_SF_EEENSM_IJSG_SG_EEES6_PlJS6_EEE10hipError_tPvRmT3_T4_T5_T6_T7_T9_mT8_P12ihipStream_tbDpT10_ENKUlT_T0_E_clISt17integral_constantIbLb0EES19_EEDaS14_S15_EUlS14_E_NS1_11comp_targetILNS1_3genE4ELNS1_11target_archE910ELNS1_3gpuE8ELNS1_3repE0EEENS1_30default_config_static_selectorELNS0_4arch9wavefront6targetE1EEEvT1_,"axG",@progbits,_ZN7rocprim17ROCPRIM_400000_NS6detail17trampoline_kernelINS0_14default_configENS1_25partition_config_selectorILNS1_17partition_subalgoE1ExNS0_10empty_typeEbEEZZNS1_14partition_implILS5_1ELb0ES3_jN6thrust23THRUST_200600_302600_NS6detail15normal_iteratorINSA_10device_ptrIxEEEEPS6_NSA_18transform_iteratorINSA_8identityIxEESF_NSA_11use_defaultESK_EENS0_5tupleIJSF_SF_EEENSM_IJSG_SG_EEES6_PlJS6_EEE10hipError_tPvRmT3_T4_T5_T6_T7_T9_mT8_P12ihipStream_tbDpT10_ENKUlT_T0_E_clISt17integral_constantIbLb0EES19_EEDaS14_S15_EUlS14_E_NS1_11comp_targetILNS1_3genE4ELNS1_11target_archE910ELNS1_3gpuE8ELNS1_3repE0EEENS1_30default_config_static_selectorELNS0_4arch9wavefront6targetE1EEEvT1_,comdat
.Lfunc_end579:
	.size	_ZN7rocprim17ROCPRIM_400000_NS6detail17trampoline_kernelINS0_14default_configENS1_25partition_config_selectorILNS1_17partition_subalgoE1ExNS0_10empty_typeEbEEZZNS1_14partition_implILS5_1ELb0ES3_jN6thrust23THRUST_200600_302600_NS6detail15normal_iteratorINSA_10device_ptrIxEEEEPS6_NSA_18transform_iteratorINSA_8identityIxEESF_NSA_11use_defaultESK_EENS0_5tupleIJSF_SF_EEENSM_IJSG_SG_EEES6_PlJS6_EEE10hipError_tPvRmT3_T4_T5_T6_T7_T9_mT8_P12ihipStream_tbDpT10_ENKUlT_T0_E_clISt17integral_constantIbLb0EES19_EEDaS14_S15_EUlS14_E_NS1_11comp_targetILNS1_3genE4ELNS1_11target_archE910ELNS1_3gpuE8ELNS1_3repE0EEENS1_30default_config_static_selectorELNS0_4arch9wavefront6targetE1EEEvT1_, .Lfunc_end579-_ZN7rocprim17ROCPRIM_400000_NS6detail17trampoline_kernelINS0_14default_configENS1_25partition_config_selectorILNS1_17partition_subalgoE1ExNS0_10empty_typeEbEEZZNS1_14partition_implILS5_1ELb0ES3_jN6thrust23THRUST_200600_302600_NS6detail15normal_iteratorINSA_10device_ptrIxEEEEPS6_NSA_18transform_iteratorINSA_8identityIxEESF_NSA_11use_defaultESK_EENS0_5tupleIJSF_SF_EEENSM_IJSG_SG_EEES6_PlJS6_EEE10hipError_tPvRmT3_T4_T5_T6_T7_T9_mT8_P12ihipStream_tbDpT10_ENKUlT_T0_E_clISt17integral_constantIbLb0EES19_EEDaS14_S15_EUlS14_E_NS1_11comp_targetILNS1_3genE4ELNS1_11target_archE910ELNS1_3gpuE8ELNS1_3repE0EEENS1_30default_config_static_selectorELNS0_4arch9wavefront6targetE1EEEvT1_
                                        ; -- End function
	.section	.AMDGPU.csdata,"",@progbits
; Kernel info:
; codeLenInByte = 3956
; NumSgprs: 48
; NumVgprs: 43
; NumAgprs: 0
; TotalNumVgprs: 43
; ScratchSize: 0
; MemoryBound: 0
; FloatMode: 240
; IeeeMode: 1
; LDSByteSize: 6344 bytes/workgroup (compile time only)
; SGPRBlocks: 5
; VGPRBlocks: 5
; NumSGPRsForWavesPerEU: 48
; NumVGPRsForWavesPerEU: 43
; AccumOffset: 44
; Occupancy: 8
; WaveLimiterHint : 1
; COMPUTE_PGM_RSRC2:SCRATCH_EN: 0
; COMPUTE_PGM_RSRC2:USER_SGPR: 6
; COMPUTE_PGM_RSRC2:TRAP_HANDLER: 0
; COMPUTE_PGM_RSRC2:TGID_X_EN: 1
; COMPUTE_PGM_RSRC2:TGID_Y_EN: 0
; COMPUTE_PGM_RSRC2:TGID_Z_EN: 0
; COMPUTE_PGM_RSRC2:TIDIG_COMP_CNT: 0
; COMPUTE_PGM_RSRC3_GFX90A:ACCUM_OFFSET: 10
; COMPUTE_PGM_RSRC3_GFX90A:TG_SPLIT: 0
	.section	.text._ZN7rocprim17ROCPRIM_400000_NS6detail17trampoline_kernelINS0_14default_configENS1_25partition_config_selectorILNS1_17partition_subalgoE1ExNS0_10empty_typeEbEEZZNS1_14partition_implILS5_1ELb0ES3_jN6thrust23THRUST_200600_302600_NS6detail15normal_iteratorINSA_10device_ptrIxEEEEPS6_NSA_18transform_iteratorINSA_8identityIxEESF_NSA_11use_defaultESK_EENS0_5tupleIJSF_SF_EEENSM_IJSG_SG_EEES6_PlJS6_EEE10hipError_tPvRmT3_T4_T5_T6_T7_T9_mT8_P12ihipStream_tbDpT10_ENKUlT_T0_E_clISt17integral_constantIbLb0EES19_EEDaS14_S15_EUlS14_E_NS1_11comp_targetILNS1_3genE3ELNS1_11target_archE908ELNS1_3gpuE7ELNS1_3repE0EEENS1_30default_config_static_selectorELNS0_4arch9wavefront6targetE1EEEvT1_,"axG",@progbits,_ZN7rocprim17ROCPRIM_400000_NS6detail17trampoline_kernelINS0_14default_configENS1_25partition_config_selectorILNS1_17partition_subalgoE1ExNS0_10empty_typeEbEEZZNS1_14partition_implILS5_1ELb0ES3_jN6thrust23THRUST_200600_302600_NS6detail15normal_iteratorINSA_10device_ptrIxEEEEPS6_NSA_18transform_iteratorINSA_8identityIxEESF_NSA_11use_defaultESK_EENS0_5tupleIJSF_SF_EEENSM_IJSG_SG_EEES6_PlJS6_EEE10hipError_tPvRmT3_T4_T5_T6_T7_T9_mT8_P12ihipStream_tbDpT10_ENKUlT_T0_E_clISt17integral_constantIbLb0EES19_EEDaS14_S15_EUlS14_E_NS1_11comp_targetILNS1_3genE3ELNS1_11target_archE908ELNS1_3gpuE7ELNS1_3repE0EEENS1_30default_config_static_selectorELNS0_4arch9wavefront6targetE1EEEvT1_,comdat
	.protected	_ZN7rocprim17ROCPRIM_400000_NS6detail17trampoline_kernelINS0_14default_configENS1_25partition_config_selectorILNS1_17partition_subalgoE1ExNS0_10empty_typeEbEEZZNS1_14partition_implILS5_1ELb0ES3_jN6thrust23THRUST_200600_302600_NS6detail15normal_iteratorINSA_10device_ptrIxEEEEPS6_NSA_18transform_iteratorINSA_8identityIxEESF_NSA_11use_defaultESK_EENS0_5tupleIJSF_SF_EEENSM_IJSG_SG_EEES6_PlJS6_EEE10hipError_tPvRmT3_T4_T5_T6_T7_T9_mT8_P12ihipStream_tbDpT10_ENKUlT_T0_E_clISt17integral_constantIbLb0EES19_EEDaS14_S15_EUlS14_E_NS1_11comp_targetILNS1_3genE3ELNS1_11target_archE908ELNS1_3gpuE7ELNS1_3repE0EEENS1_30default_config_static_selectorELNS0_4arch9wavefront6targetE1EEEvT1_ ; -- Begin function _ZN7rocprim17ROCPRIM_400000_NS6detail17trampoline_kernelINS0_14default_configENS1_25partition_config_selectorILNS1_17partition_subalgoE1ExNS0_10empty_typeEbEEZZNS1_14partition_implILS5_1ELb0ES3_jN6thrust23THRUST_200600_302600_NS6detail15normal_iteratorINSA_10device_ptrIxEEEEPS6_NSA_18transform_iteratorINSA_8identityIxEESF_NSA_11use_defaultESK_EENS0_5tupleIJSF_SF_EEENSM_IJSG_SG_EEES6_PlJS6_EEE10hipError_tPvRmT3_T4_T5_T6_T7_T9_mT8_P12ihipStream_tbDpT10_ENKUlT_T0_E_clISt17integral_constantIbLb0EES19_EEDaS14_S15_EUlS14_E_NS1_11comp_targetILNS1_3genE3ELNS1_11target_archE908ELNS1_3gpuE7ELNS1_3repE0EEENS1_30default_config_static_selectorELNS0_4arch9wavefront6targetE1EEEvT1_
	.globl	_ZN7rocprim17ROCPRIM_400000_NS6detail17trampoline_kernelINS0_14default_configENS1_25partition_config_selectorILNS1_17partition_subalgoE1ExNS0_10empty_typeEbEEZZNS1_14partition_implILS5_1ELb0ES3_jN6thrust23THRUST_200600_302600_NS6detail15normal_iteratorINSA_10device_ptrIxEEEEPS6_NSA_18transform_iteratorINSA_8identityIxEESF_NSA_11use_defaultESK_EENS0_5tupleIJSF_SF_EEENSM_IJSG_SG_EEES6_PlJS6_EEE10hipError_tPvRmT3_T4_T5_T6_T7_T9_mT8_P12ihipStream_tbDpT10_ENKUlT_T0_E_clISt17integral_constantIbLb0EES19_EEDaS14_S15_EUlS14_E_NS1_11comp_targetILNS1_3genE3ELNS1_11target_archE908ELNS1_3gpuE7ELNS1_3repE0EEENS1_30default_config_static_selectorELNS0_4arch9wavefront6targetE1EEEvT1_
	.p2align	8
	.type	_ZN7rocprim17ROCPRIM_400000_NS6detail17trampoline_kernelINS0_14default_configENS1_25partition_config_selectorILNS1_17partition_subalgoE1ExNS0_10empty_typeEbEEZZNS1_14partition_implILS5_1ELb0ES3_jN6thrust23THRUST_200600_302600_NS6detail15normal_iteratorINSA_10device_ptrIxEEEEPS6_NSA_18transform_iteratorINSA_8identityIxEESF_NSA_11use_defaultESK_EENS0_5tupleIJSF_SF_EEENSM_IJSG_SG_EEES6_PlJS6_EEE10hipError_tPvRmT3_T4_T5_T6_T7_T9_mT8_P12ihipStream_tbDpT10_ENKUlT_T0_E_clISt17integral_constantIbLb0EES19_EEDaS14_S15_EUlS14_E_NS1_11comp_targetILNS1_3genE3ELNS1_11target_archE908ELNS1_3gpuE7ELNS1_3repE0EEENS1_30default_config_static_selectorELNS0_4arch9wavefront6targetE1EEEvT1_,@function
_ZN7rocprim17ROCPRIM_400000_NS6detail17trampoline_kernelINS0_14default_configENS1_25partition_config_selectorILNS1_17partition_subalgoE1ExNS0_10empty_typeEbEEZZNS1_14partition_implILS5_1ELb0ES3_jN6thrust23THRUST_200600_302600_NS6detail15normal_iteratorINSA_10device_ptrIxEEEEPS6_NSA_18transform_iteratorINSA_8identityIxEESF_NSA_11use_defaultESK_EENS0_5tupleIJSF_SF_EEENSM_IJSG_SG_EEES6_PlJS6_EEE10hipError_tPvRmT3_T4_T5_T6_T7_T9_mT8_P12ihipStream_tbDpT10_ENKUlT_T0_E_clISt17integral_constantIbLb0EES19_EEDaS14_S15_EUlS14_E_NS1_11comp_targetILNS1_3genE3ELNS1_11target_archE908ELNS1_3gpuE7ELNS1_3repE0EEENS1_30default_config_static_selectorELNS0_4arch9wavefront6targetE1EEEvT1_: ; @_ZN7rocprim17ROCPRIM_400000_NS6detail17trampoline_kernelINS0_14default_configENS1_25partition_config_selectorILNS1_17partition_subalgoE1ExNS0_10empty_typeEbEEZZNS1_14partition_implILS5_1ELb0ES3_jN6thrust23THRUST_200600_302600_NS6detail15normal_iteratorINSA_10device_ptrIxEEEEPS6_NSA_18transform_iteratorINSA_8identityIxEESF_NSA_11use_defaultESK_EENS0_5tupleIJSF_SF_EEENSM_IJSG_SG_EEES6_PlJS6_EEE10hipError_tPvRmT3_T4_T5_T6_T7_T9_mT8_P12ihipStream_tbDpT10_ENKUlT_T0_E_clISt17integral_constantIbLb0EES19_EEDaS14_S15_EUlS14_E_NS1_11comp_targetILNS1_3genE3ELNS1_11target_archE908ELNS1_3gpuE7ELNS1_3repE0EEENS1_30default_config_static_selectorELNS0_4arch9wavefront6targetE1EEEvT1_
; %bb.0:
	.section	.rodata,"a",@progbits
	.p2align	6, 0x0
	.amdhsa_kernel _ZN7rocprim17ROCPRIM_400000_NS6detail17trampoline_kernelINS0_14default_configENS1_25partition_config_selectorILNS1_17partition_subalgoE1ExNS0_10empty_typeEbEEZZNS1_14partition_implILS5_1ELb0ES3_jN6thrust23THRUST_200600_302600_NS6detail15normal_iteratorINSA_10device_ptrIxEEEEPS6_NSA_18transform_iteratorINSA_8identityIxEESF_NSA_11use_defaultESK_EENS0_5tupleIJSF_SF_EEENSM_IJSG_SG_EEES6_PlJS6_EEE10hipError_tPvRmT3_T4_T5_T6_T7_T9_mT8_P12ihipStream_tbDpT10_ENKUlT_T0_E_clISt17integral_constantIbLb0EES19_EEDaS14_S15_EUlS14_E_NS1_11comp_targetILNS1_3genE3ELNS1_11target_archE908ELNS1_3gpuE7ELNS1_3repE0EEENS1_30default_config_static_selectorELNS0_4arch9wavefront6targetE1EEEvT1_
		.amdhsa_group_segment_fixed_size 0
		.amdhsa_private_segment_fixed_size 0
		.amdhsa_kernarg_size 128
		.amdhsa_user_sgpr_count 6
		.amdhsa_user_sgpr_private_segment_buffer 1
		.amdhsa_user_sgpr_dispatch_ptr 0
		.amdhsa_user_sgpr_queue_ptr 0
		.amdhsa_user_sgpr_kernarg_segment_ptr 1
		.amdhsa_user_sgpr_dispatch_id 0
		.amdhsa_user_sgpr_flat_scratch_init 0
		.amdhsa_user_sgpr_kernarg_preload_length 0
		.amdhsa_user_sgpr_kernarg_preload_offset 0
		.amdhsa_user_sgpr_private_segment_size 0
		.amdhsa_uses_dynamic_stack 0
		.amdhsa_system_sgpr_private_segment_wavefront_offset 0
		.amdhsa_system_sgpr_workgroup_id_x 1
		.amdhsa_system_sgpr_workgroup_id_y 0
		.amdhsa_system_sgpr_workgroup_id_z 0
		.amdhsa_system_sgpr_workgroup_info 0
		.amdhsa_system_vgpr_workitem_id 0
		.amdhsa_next_free_vgpr 1
		.amdhsa_next_free_sgpr 0
		.amdhsa_accum_offset 4
		.amdhsa_reserve_vcc 0
		.amdhsa_reserve_flat_scratch 0
		.amdhsa_float_round_mode_32 0
		.amdhsa_float_round_mode_16_64 0
		.amdhsa_float_denorm_mode_32 3
		.amdhsa_float_denorm_mode_16_64 3
		.amdhsa_dx10_clamp 1
		.amdhsa_ieee_mode 1
		.amdhsa_fp16_overflow 0
		.amdhsa_tg_split 0
		.amdhsa_exception_fp_ieee_invalid_op 0
		.amdhsa_exception_fp_denorm_src 0
		.amdhsa_exception_fp_ieee_div_zero 0
		.amdhsa_exception_fp_ieee_overflow 0
		.amdhsa_exception_fp_ieee_underflow 0
		.amdhsa_exception_fp_ieee_inexact 0
		.amdhsa_exception_int_div_zero 0
	.end_amdhsa_kernel
	.section	.text._ZN7rocprim17ROCPRIM_400000_NS6detail17trampoline_kernelINS0_14default_configENS1_25partition_config_selectorILNS1_17partition_subalgoE1ExNS0_10empty_typeEbEEZZNS1_14partition_implILS5_1ELb0ES3_jN6thrust23THRUST_200600_302600_NS6detail15normal_iteratorINSA_10device_ptrIxEEEEPS6_NSA_18transform_iteratorINSA_8identityIxEESF_NSA_11use_defaultESK_EENS0_5tupleIJSF_SF_EEENSM_IJSG_SG_EEES6_PlJS6_EEE10hipError_tPvRmT3_T4_T5_T6_T7_T9_mT8_P12ihipStream_tbDpT10_ENKUlT_T0_E_clISt17integral_constantIbLb0EES19_EEDaS14_S15_EUlS14_E_NS1_11comp_targetILNS1_3genE3ELNS1_11target_archE908ELNS1_3gpuE7ELNS1_3repE0EEENS1_30default_config_static_selectorELNS0_4arch9wavefront6targetE1EEEvT1_,"axG",@progbits,_ZN7rocprim17ROCPRIM_400000_NS6detail17trampoline_kernelINS0_14default_configENS1_25partition_config_selectorILNS1_17partition_subalgoE1ExNS0_10empty_typeEbEEZZNS1_14partition_implILS5_1ELb0ES3_jN6thrust23THRUST_200600_302600_NS6detail15normal_iteratorINSA_10device_ptrIxEEEEPS6_NSA_18transform_iteratorINSA_8identityIxEESF_NSA_11use_defaultESK_EENS0_5tupleIJSF_SF_EEENSM_IJSG_SG_EEES6_PlJS6_EEE10hipError_tPvRmT3_T4_T5_T6_T7_T9_mT8_P12ihipStream_tbDpT10_ENKUlT_T0_E_clISt17integral_constantIbLb0EES19_EEDaS14_S15_EUlS14_E_NS1_11comp_targetILNS1_3genE3ELNS1_11target_archE908ELNS1_3gpuE7ELNS1_3repE0EEENS1_30default_config_static_selectorELNS0_4arch9wavefront6targetE1EEEvT1_,comdat
.Lfunc_end580:
	.size	_ZN7rocprim17ROCPRIM_400000_NS6detail17trampoline_kernelINS0_14default_configENS1_25partition_config_selectorILNS1_17partition_subalgoE1ExNS0_10empty_typeEbEEZZNS1_14partition_implILS5_1ELb0ES3_jN6thrust23THRUST_200600_302600_NS6detail15normal_iteratorINSA_10device_ptrIxEEEEPS6_NSA_18transform_iteratorINSA_8identityIxEESF_NSA_11use_defaultESK_EENS0_5tupleIJSF_SF_EEENSM_IJSG_SG_EEES6_PlJS6_EEE10hipError_tPvRmT3_T4_T5_T6_T7_T9_mT8_P12ihipStream_tbDpT10_ENKUlT_T0_E_clISt17integral_constantIbLb0EES19_EEDaS14_S15_EUlS14_E_NS1_11comp_targetILNS1_3genE3ELNS1_11target_archE908ELNS1_3gpuE7ELNS1_3repE0EEENS1_30default_config_static_selectorELNS0_4arch9wavefront6targetE1EEEvT1_, .Lfunc_end580-_ZN7rocprim17ROCPRIM_400000_NS6detail17trampoline_kernelINS0_14default_configENS1_25partition_config_selectorILNS1_17partition_subalgoE1ExNS0_10empty_typeEbEEZZNS1_14partition_implILS5_1ELb0ES3_jN6thrust23THRUST_200600_302600_NS6detail15normal_iteratorINSA_10device_ptrIxEEEEPS6_NSA_18transform_iteratorINSA_8identityIxEESF_NSA_11use_defaultESK_EENS0_5tupleIJSF_SF_EEENSM_IJSG_SG_EEES6_PlJS6_EEE10hipError_tPvRmT3_T4_T5_T6_T7_T9_mT8_P12ihipStream_tbDpT10_ENKUlT_T0_E_clISt17integral_constantIbLb0EES19_EEDaS14_S15_EUlS14_E_NS1_11comp_targetILNS1_3genE3ELNS1_11target_archE908ELNS1_3gpuE7ELNS1_3repE0EEENS1_30default_config_static_selectorELNS0_4arch9wavefront6targetE1EEEvT1_
                                        ; -- End function
	.section	.AMDGPU.csdata,"",@progbits
; Kernel info:
; codeLenInByte = 0
; NumSgprs: 4
; NumVgprs: 0
; NumAgprs: 0
; TotalNumVgprs: 0
; ScratchSize: 0
; MemoryBound: 0
; FloatMode: 240
; IeeeMode: 1
; LDSByteSize: 0 bytes/workgroup (compile time only)
; SGPRBlocks: 0
; VGPRBlocks: 0
; NumSGPRsForWavesPerEU: 4
; NumVGPRsForWavesPerEU: 1
; AccumOffset: 4
; Occupancy: 8
; WaveLimiterHint : 0
; COMPUTE_PGM_RSRC2:SCRATCH_EN: 0
; COMPUTE_PGM_RSRC2:USER_SGPR: 6
; COMPUTE_PGM_RSRC2:TRAP_HANDLER: 0
; COMPUTE_PGM_RSRC2:TGID_X_EN: 1
; COMPUTE_PGM_RSRC2:TGID_Y_EN: 0
; COMPUTE_PGM_RSRC2:TGID_Z_EN: 0
; COMPUTE_PGM_RSRC2:TIDIG_COMP_CNT: 0
; COMPUTE_PGM_RSRC3_GFX90A:ACCUM_OFFSET: 0
; COMPUTE_PGM_RSRC3_GFX90A:TG_SPLIT: 0
	.section	.text._ZN7rocprim17ROCPRIM_400000_NS6detail17trampoline_kernelINS0_14default_configENS1_25partition_config_selectorILNS1_17partition_subalgoE1ExNS0_10empty_typeEbEEZZNS1_14partition_implILS5_1ELb0ES3_jN6thrust23THRUST_200600_302600_NS6detail15normal_iteratorINSA_10device_ptrIxEEEEPS6_NSA_18transform_iteratorINSA_8identityIxEESF_NSA_11use_defaultESK_EENS0_5tupleIJSF_SF_EEENSM_IJSG_SG_EEES6_PlJS6_EEE10hipError_tPvRmT3_T4_T5_T6_T7_T9_mT8_P12ihipStream_tbDpT10_ENKUlT_T0_E_clISt17integral_constantIbLb0EES19_EEDaS14_S15_EUlS14_E_NS1_11comp_targetILNS1_3genE2ELNS1_11target_archE906ELNS1_3gpuE6ELNS1_3repE0EEENS1_30default_config_static_selectorELNS0_4arch9wavefront6targetE1EEEvT1_,"axG",@progbits,_ZN7rocprim17ROCPRIM_400000_NS6detail17trampoline_kernelINS0_14default_configENS1_25partition_config_selectorILNS1_17partition_subalgoE1ExNS0_10empty_typeEbEEZZNS1_14partition_implILS5_1ELb0ES3_jN6thrust23THRUST_200600_302600_NS6detail15normal_iteratorINSA_10device_ptrIxEEEEPS6_NSA_18transform_iteratorINSA_8identityIxEESF_NSA_11use_defaultESK_EENS0_5tupleIJSF_SF_EEENSM_IJSG_SG_EEES6_PlJS6_EEE10hipError_tPvRmT3_T4_T5_T6_T7_T9_mT8_P12ihipStream_tbDpT10_ENKUlT_T0_E_clISt17integral_constantIbLb0EES19_EEDaS14_S15_EUlS14_E_NS1_11comp_targetILNS1_3genE2ELNS1_11target_archE906ELNS1_3gpuE6ELNS1_3repE0EEENS1_30default_config_static_selectorELNS0_4arch9wavefront6targetE1EEEvT1_,comdat
	.protected	_ZN7rocprim17ROCPRIM_400000_NS6detail17trampoline_kernelINS0_14default_configENS1_25partition_config_selectorILNS1_17partition_subalgoE1ExNS0_10empty_typeEbEEZZNS1_14partition_implILS5_1ELb0ES3_jN6thrust23THRUST_200600_302600_NS6detail15normal_iteratorINSA_10device_ptrIxEEEEPS6_NSA_18transform_iteratorINSA_8identityIxEESF_NSA_11use_defaultESK_EENS0_5tupleIJSF_SF_EEENSM_IJSG_SG_EEES6_PlJS6_EEE10hipError_tPvRmT3_T4_T5_T6_T7_T9_mT8_P12ihipStream_tbDpT10_ENKUlT_T0_E_clISt17integral_constantIbLb0EES19_EEDaS14_S15_EUlS14_E_NS1_11comp_targetILNS1_3genE2ELNS1_11target_archE906ELNS1_3gpuE6ELNS1_3repE0EEENS1_30default_config_static_selectorELNS0_4arch9wavefront6targetE1EEEvT1_ ; -- Begin function _ZN7rocprim17ROCPRIM_400000_NS6detail17trampoline_kernelINS0_14default_configENS1_25partition_config_selectorILNS1_17partition_subalgoE1ExNS0_10empty_typeEbEEZZNS1_14partition_implILS5_1ELb0ES3_jN6thrust23THRUST_200600_302600_NS6detail15normal_iteratorINSA_10device_ptrIxEEEEPS6_NSA_18transform_iteratorINSA_8identityIxEESF_NSA_11use_defaultESK_EENS0_5tupleIJSF_SF_EEENSM_IJSG_SG_EEES6_PlJS6_EEE10hipError_tPvRmT3_T4_T5_T6_T7_T9_mT8_P12ihipStream_tbDpT10_ENKUlT_T0_E_clISt17integral_constantIbLb0EES19_EEDaS14_S15_EUlS14_E_NS1_11comp_targetILNS1_3genE2ELNS1_11target_archE906ELNS1_3gpuE6ELNS1_3repE0EEENS1_30default_config_static_selectorELNS0_4arch9wavefront6targetE1EEEvT1_
	.globl	_ZN7rocprim17ROCPRIM_400000_NS6detail17trampoline_kernelINS0_14default_configENS1_25partition_config_selectorILNS1_17partition_subalgoE1ExNS0_10empty_typeEbEEZZNS1_14partition_implILS5_1ELb0ES3_jN6thrust23THRUST_200600_302600_NS6detail15normal_iteratorINSA_10device_ptrIxEEEEPS6_NSA_18transform_iteratorINSA_8identityIxEESF_NSA_11use_defaultESK_EENS0_5tupleIJSF_SF_EEENSM_IJSG_SG_EEES6_PlJS6_EEE10hipError_tPvRmT3_T4_T5_T6_T7_T9_mT8_P12ihipStream_tbDpT10_ENKUlT_T0_E_clISt17integral_constantIbLb0EES19_EEDaS14_S15_EUlS14_E_NS1_11comp_targetILNS1_3genE2ELNS1_11target_archE906ELNS1_3gpuE6ELNS1_3repE0EEENS1_30default_config_static_selectorELNS0_4arch9wavefront6targetE1EEEvT1_
	.p2align	8
	.type	_ZN7rocprim17ROCPRIM_400000_NS6detail17trampoline_kernelINS0_14default_configENS1_25partition_config_selectorILNS1_17partition_subalgoE1ExNS0_10empty_typeEbEEZZNS1_14partition_implILS5_1ELb0ES3_jN6thrust23THRUST_200600_302600_NS6detail15normal_iteratorINSA_10device_ptrIxEEEEPS6_NSA_18transform_iteratorINSA_8identityIxEESF_NSA_11use_defaultESK_EENS0_5tupleIJSF_SF_EEENSM_IJSG_SG_EEES6_PlJS6_EEE10hipError_tPvRmT3_T4_T5_T6_T7_T9_mT8_P12ihipStream_tbDpT10_ENKUlT_T0_E_clISt17integral_constantIbLb0EES19_EEDaS14_S15_EUlS14_E_NS1_11comp_targetILNS1_3genE2ELNS1_11target_archE906ELNS1_3gpuE6ELNS1_3repE0EEENS1_30default_config_static_selectorELNS0_4arch9wavefront6targetE1EEEvT1_,@function
_ZN7rocprim17ROCPRIM_400000_NS6detail17trampoline_kernelINS0_14default_configENS1_25partition_config_selectorILNS1_17partition_subalgoE1ExNS0_10empty_typeEbEEZZNS1_14partition_implILS5_1ELb0ES3_jN6thrust23THRUST_200600_302600_NS6detail15normal_iteratorINSA_10device_ptrIxEEEEPS6_NSA_18transform_iteratorINSA_8identityIxEESF_NSA_11use_defaultESK_EENS0_5tupleIJSF_SF_EEENSM_IJSG_SG_EEES6_PlJS6_EEE10hipError_tPvRmT3_T4_T5_T6_T7_T9_mT8_P12ihipStream_tbDpT10_ENKUlT_T0_E_clISt17integral_constantIbLb0EES19_EEDaS14_S15_EUlS14_E_NS1_11comp_targetILNS1_3genE2ELNS1_11target_archE906ELNS1_3gpuE6ELNS1_3repE0EEENS1_30default_config_static_selectorELNS0_4arch9wavefront6targetE1EEEvT1_: ; @_ZN7rocprim17ROCPRIM_400000_NS6detail17trampoline_kernelINS0_14default_configENS1_25partition_config_selectorILNS1_17partition_subalgoE1ExNS0_10empty_typeEbEEZZNS1_14partition_implILS5_1ELb0ES3_jN6thrust23THRUST_200600_302600_NS6detail15normal_iteratorINSA_10device_ptrIxEEEEPS6_NSA_18transform_iteratorINSA_8identityIxEESF_NSA_11use_defaultESK_EENS0_5tupleIJSF_SF_EEENSM_IJSG_SG_EEES6_PlJS6_EEE10hipError_tPvRmT3_T4_T5_T6_T7_T9_mT8_P12ihipStream_tbDpT10_ENKUlT_T0_E_clISt17integral_constantIbLb0EES19_EEDaS14_S15_EUlS14_E_NS1_11comp_targetILNS1_3genE2ELNS1_11target_archE906ELNS1_3gpuE6ELNS1_3repE0EEENS1_30default_config_static_selectorELNS0_4arch9wavefront6targetE1EEEvT1_
; %bb.0:
	.section	.rodata,"a",@progbits
	.p2align	6, 0x0
	.amdhsa_kernel _ZN7rocprim17ROCPRIM_400000_NS6detail17trampoline_kernelINS0_14default_configENS1_25partition_config_selectorILNS1_17partition_subalgoE1ExNS0_10empty_typeEbEEZZNS1_14partition_implILS5_1ELb0ES3_jN6thrust23THRUST_200600_302600_NS6detail15normal_iteratorINSA_10device_ptrIxEEEEPS6_NSA_18transform_iteratorINSA_8identityIxEESF_NSA_11use_defaultESK_EENS0_5tupleIJSF_SF_EEENSM_IJSG_SG_EEES6_PlJS6_EEE10hipError_tPvRmT3_T4_T5_T6_T7_T9_mT8_P12ihipStream_tbDpT10_ENKUlT_T0_E_clISt17integral_constantIbLb0EES19_EEDaS14_S15_EUlS14_E_NS1_11comp_targetILNS1_3genE2ELNS1_11target_archE906ELNS1_3gpuE6ELNS1_3repE0EEENS1_30default_config_static_selectorELNS0_4arch9wavefront6targetE1EEEvT1_
		.amdhsa_group_segment_fixed_size 0
		.amdhsa_private_segment_fixed_size 0
		.amdhsa_kernarg_size 128
		.amdhsa_user_sgpr_count 6
		.amdhsa_user_sgpr_private_segment_buffer 1
		.amdhsa_user_sgpr_dispatch_ptr 0
		.amdhsa_user_sgpr_queue_ptr 0
		.amdhsa_user_sgpr_kernarg_segment_ptr 1
		.amdhsa_user_sgpr_dispatch_id 0
		.amdhsa_user_sgpr_flat_scratch_init 0
		.amdhsa_user_sgpr_kernarg_preload_length 0
		.amdhsa_user_sgpr_kernarg_preload_offset 0
		.amdhsa_user_sgpr_private_segment_size 0
		.amdhsa_uses_dynamic_stack 0
		.amdhsa_system_sgpr_private_segment_wavefront_offset 0
		.amdhsa_system_sgpr_workgroup_id_x 1
		.amdhsa_system_sgpr_workgroup_id_y 0
		.amdhsa_system_sgpr_workgroup_id_z 0
		.amdhsa_system_sgpr_workgroup_info 0
		.amdhsa_system_vgpr_workitem_id 0
		.amdhsa_next_free_vgpr 1
		.amdhsa_next_free_sgpr 0
		.amdhsa_accum_offset 4
		.amdhsa_reserve_vcc 0
		.amdhsa_reserve_flat_scratch 0
		.amdhsa_float_round_mode_32 0
		.amdhsa_float_round_mode_16_64 0
		.amdhsa_float_denorm_mode_32 3
		.amdhsa_float_denorm_mode_16_64 3
		.amdhsa_dx10_clamp 1
		.amdhsa_ieee_mode 1
		.amdhsa_fp16_overflow 0
		.amdhsa_tg_split 0
		.amdhsa_exception_fp_ieee_invalid_op 0
		.amdhsa_exception_fp_denorm_src 0
		.amdhsa_exception_fp_ieee_div_zero 0
		.amdhsa_exception_fp_ieee_overflow 0
		.amdhsa_exception_fp_ieee_underflow 0
		.amdhsa_exception_fp_ieee_inexact 0
		.amdhsa_exception_int_div_zero 0
	.end_amdhsa_kernel
	.section	.text._ZN7rocprim17ROCPRIM_400000_NS6detail17trampoline_kernelINS0_14default_configENS1_25partition_config_selectorILNS1_17partition_subalgoE1ExNS0_10empty_typeEbEEZZNS1_14partition_implILS5_1ELb0ES3_jN6thrust23THRUST_200600_302600_NS6detail15normal_iteratorINSA_10device_ptrIxEEEEPS6_NSA_18transform_iteratorINSA_8identityIxEESF_NSA_11use_defaultESK_EENS0_5tupleIJSF_SF_EEENSM_IJSG_SG_EEES6_PlJS6_EEE10hipError_tPvRmT3_T4_T5_T6_T7_T9_mT8_P12ihipStream_tbDpT10_ENKUlT_T0_E_clISt17integral_constantIbLb0EES19_EEDaS14_S15_EUlS14_E_NS1_11comp_targetILNS1_3genE2ELNS1_11target_archE906ELNS1_3gpuE6ELNS1_3repE0EEENS1_30default_config_static_selectorELNS0_4arch9wavefront6targetE1EEEvT1_,"axG",@progbits,_ZN7rocprim17ROCPRIM_400000_NS6detail17trampoline_kernelINS0_14default_configENS1_25partition_config_selectorILNS1_17partition_subalgoE1ExNS0_10empty_typeEbEEZZNS1_14partition_implILS5_1ELb0ES3_jN6thrust23THRUST_200600_302600_NS6detail15normal_iteratorINSA_10device_ptrIxEEEEPS6_NSA_18transform_iteratorINSA_8identityIxEESF_NSA_11use_defaultESK_EENS0_5tupleIJSF_SF_EEENSM_IJSG_SG_EEES6_PlJS6_EEE10hipError_tPvRmT3_T4_T5_T6_T7_T9_mT8_P12ihipStream_tbDpT10_ENKUlT_T0_E_clISt17integral_constantIbLb0EES19_EEDaS14_S15_EUlS14_E_NS1_11comp_targetILNS1_3genE2ELNS1_11target_archE906ELNS1_3gpuE6ELNS1_3repE0EEENS1_30default_config_static_selectorELNS0_4arch9wavefront6targetE1EEEvT1_,comdat
.Lfunc_end581:
	.size	_ZN7rocprim17ROCPRIM_400000_NS6detail17trampoline_kernelINS0_14default_configENS1_25partition_config_selectorILNS1_17partition_subalgoE1ExNS0_10empty_typeEbEEZZNS1_14partition_implILS5_1ELb0ES3_jN6thrust23THRUST_200600_302600_NS6detail15normal_iteratorINSA_10device_ptrIxEEEEPS6_NSA_18transform_iteratorINSA_8identityIxEESF_NSA_11use_defaultESK_EENS0_5tupleIJSF_SF_EEENSM_IJSG_SG_EEES6_PlJS6_EEE10hipError_tPvRmT3_T4_T5_T6_T7_T9_mT8_P12ihipStream_tbDpT10_ENKUlT_T0_E_clISt17integral_constantIbLb0EES19_EEDaS14_S15_EUlS14_E_NS1_11comp_targetILNS1_3genE2ELNS1_11target_archE906ELNS1_3gpuE6ELNS1_3repE0EEENS1_30default_config_static_selectorELNS0_4arch9wavefront6targetE1EEEvT1_, .Lfunc_end581-_ZN7rocprim17ROCPRIM_400000_NS6detail17trampoline_kernelINS0_14default_configENS1_25partition_config_selectorILNS1_17partition_subalgoE1ExNS0_10empty_typeEbEEZZNS1_14partition_implILS5_1ELb0ES3_jN6thrust23THRUST_200600_302600_NS6detail15normal_iteratorINSA_10device_ptrIxEEEEPS6_NSA_18transform_iteratorINSA_8identityIxEESF_NSA_11use_defaultESK_EENS0_5tupleIJSF_SF_EEENSM_IJSG_SG_EEES6_PlJS6_EEE10hipError_tPvRmT3_T4_T5_T6_T7_T9_mT8_P12ihipStream_tbDpT10_ENKUlT_T0_E_clISt17integral_constantIbLb0EES19_EEDaS14_S15_EUlS14_E_NS1_11comp_targetILNS1_3genE2ELNS1_11target_archE906ELNS1_3gpuE6ELNS1_3repE0EEENS1_30default_config_static_selectorELNS0_4arch9wavefront6targetE1EEEvT1_
                                        ; -- End function
	.section	.AMDGPU.csdata,"",@progbits
; Kernel info:
; codeLenInByte = 0
; NumSgprs: 4
; NumVgprs: 0
; NumAgprs: 0
; TotalNumVgprs: 0
; ScratchSize: 0
; MemoryBound: 0
; FloatMode: 240
; IeeeMode: 1
; LDSByteSize: 0 bytes/workgroup (compile time only)
; SGPRBlocks: 0
; VGPRBlocks: 0
; NumSGPRsForWavesPerEU: 4
; NumVGPRsForWavesPerEU: 1
; AccumOffset: 4
; Occupancy: 8
; WaveLimiterHint : 0
; COMPUTE_PGM_RSRC2:SCRATCH_EN: 0
; COMPUTE_PGM_RSRC2:USER_SGPR: 6
; COMPUTE_PGM_RSRC2:TRAP_HANDLER: 0
; COMPUTE_PGM_RSRC2:TGID_X_EN: 1
; COMPUTE_PGM_RSRC2:TGID_Y_EN: 0
; COMPUTE_PGM_RSRC2:TGID_Z_EN: 0
; COMPUTE_PGM_RSRC2:TIDIG_COMP_CNT: 0
; COMPUTE_PGM_RSRC3_GFX90A:ACCUM_OFFSET: 0
; COMPUTE_PGM_RSRC3_GFX90A:TG_SPLIT: 0
	.section	.text._ZN7rocprim17ROCPRIM_400000_NS6detail17trampoline_kernelINS0_14default_configENS1_25partition_config_selectorILNS1_17partition_subalgoE1ExNS0_10empty_typeEbEEZZNS1_14partition_implILS5_1ELb0ES3_jN6thrust23THRUST_200600_302600_NS6detail15normal_iteratorINSA_10device_ptrIxEEEEPS6_NSA_18transform_iteratorINSA_8identityIxEESF_NSA_11use_defaultESK_EENS0_5tupleIJSF_SF_EEENSM_IJSG_SG_EEES6_PlJS6_EEE10hipError_tPvRmT3_T4_T5_T6_T7_T9_mT8_P12ihipStream_tbDpT10_ENKUlT_T0_E_clISt17integral_constantIbLb0EES19_EEDaS14_S15_EUlS14_E_NS1_11comp_targetILNS1_3genE10ELNS1_11target_archE1200ELNS1_3gpuE4ELNS1_3repE0EEENS1_30default_config_static_selectorELNS0_4arch9wavefront6targetE1EEEvT1_,"axG",@progbits,_ZN7rocprim17ROCPRIM_400000_NS6detail17trampoline_kernelINS0_14default_configENS1_25partition_config_selectorILNS1_17partition_subalgoE1ExNS0_10empty_typeEbEEZZNS1_14partition_implILS5_1ELb0ES3_jN6thrust23THRUST_200600_302600_NS6detail15normal_iteratorINSA_10device_ptrIxEEEEPS6_NSA_18transform_iteratorINSA_8identityIxEESF_NSA_11use_defaultESK_EENS0_5tupleIJSF_SF_EEENSM_IJSG_SG_EEES6_PlJS6_EEE10hipError_tPvRmT3_T4_T5_T6_T7_T9_mT8_P12ihipStream_tbDpT10_ENKUlT_T0_E_clISt17integral_constantIbLb0EES19_EEDaS14_S15_EUlS14_E_NS1_11comp_targetILNS1_3genE10ELNS1_11target_archE1200ELNS1_3gpuE4ELNS1_3repE0EEENS1_30default_config_static_selectorELNS0_4arch9wavefront6targetE1EEEvT1_,comdat
	.protected	_ZN7rocprim17ROCPRIM_400000_NS6detail17trampoline_kernelINS0_14default_configENS1_25partition_config_selectorILNS1_17partition_subalgoE1ExNS0_10empty_typeEbEEZZNS1_14partition_implILS5_1ELb0ES3_jN6thrust23THRUST_200600_302600_NS6detail15normal_iteratorINSA_10device_ptrIxEEEEPS6_NSA_18transform_iteratorINSA_8identityIxEESF_NSA_11use_defaultESK_EENS0_5tupleIJSF_SF_EEENSM_IJSG_SG_EEES6_PlJS6_EEE10hipError_tPvRmT3_T4_T5_T6_T7_T9_mT8_P12ihipStream_tbDpT10_ENKUlT_T0_E_clISt17integral_constantIbLb0EES19_EEDaS14_S15_EUlS14_E_NS1_11comp_targetILNS1_3genE10ELNS1_11target_archE1200ELNS1_3gpuE4ELNS1_3repE0EEENS1_30default_config_static_selectorELNS0_4arch9wavefront6targetE1EEEvT1_ ; -- Begin function _ZN7rocprim17ROCPRIM_400000_NS6detail17trampoline_kernelINS0_14default_configENS1_25partition_config_selectorILNS1_17partition_subalgoE1ExNS0_10empty_typeEbEEZZNS1_14partition_implILS5_1ELb0ES3_jN6thrust23THRUST_200600_302600_NS6detail15normal_iteratorINSA_10device_ptrIxEEEEPS6_NSA_18transform_iteratorINSA_8identityIxEESF_NSA_11use_defaultESK_EENS0_5tupleIJSF_SF_EEENSM_IJSG_SG_EEES6_PlJS6_EEE10hipError_tPvRmT3_T4_T5_T6_T7_T9_mT8_P12ihipStream_tbDpT10_ENKUlT_T0_E_clISt17integral_constantIbLb0EES19_EEDaS14_S15_EUlS14_E_NS1_11comp_targetILNS1_3genE10ELNS1_11target_archE1200ELNS1_3gpuE4ELNS1_3repE0EEENS1_30default_config_static_selectorELNS0_4arch9wavefront6targetE1EEEvT1_
	.globl	_ZN7rocprim17ROCPRIM_400000_NS6detail17trampoline_kernelINS0_14default_configENS1_25partition_config_selectorILNS1_17partition_subalgoE1ExNS0_10empty_typeEbEEZZNS1_14partition_implILS5_1ELb0ES3_jN6thrust23THRUST_200600_302600_NS6detail15normal_iteratorINSA_10device_ptrIxEEEEPS6_NSA_18transform_iteratorINSA_8identityIxEESF_NSA_11use_defaultESK_EENS0_5tupleIJSF_SF_EEENSM_IJSG_SG_EEES6_PlJS6_EEE10hipError_tPvRmT3_T4_T5_T6_T7_T9_mT8_P12ihipStream_tbDpT10_ENKUlT_T0_E_clISt17integral_constantIbLb0EES19_EEDaS14_S15_EUlS14_E_NS1_11comp_targetILNS1_3genE10ELNS1_11target_archE1200ELNS1_3gpuE4ELNS1_3repE0EEENS1_30default_config_static_selectorELNS0_4arch9wavefront6targetE1EEEvT1_
	.p2align	8
	.type	_ZN7rocprim17ROCPRIM_400000_NS6detail17trampoline_kernelINS0_14default_configENS1_25partition_config_selectorILNS1_17partition_subalgoE1ExNS0_10empty_typeEbEEZZNS1_14partition_implILS5_1ELb0ES3_jN6thrust23THRUST_200600_302600_NS6detail15normal_iteratorINSA_10device_ptrIxEEEEPS6_NSA_18transform_iteratorINSA_8identityIxEESF_NSA_11use_defaultESK_EENS0_5tupleIJSF_SF_EEENSM_IJSG_SG_EEES6_PlJS6_EEE10hipError_tPvRmT3_T4_T5_T6_T7_T9_mT8_P12ihipStream_tbDpT10_ENKUlT_T0_E_clISt17integral_constantIbLb0EES19_EEDaS14_S15_EUlS14_E_NS1_11comp_targetILNS1_3genE10ELNS1_11target_archE1200ELNS1_3gpuE4ELNS1_3repE0EEENS1_30default_config_static_selectorELNS0_4arch9wavefront6targetE1EEEvT1_,@function
_ZN7rocprim17ROCPRIM_400000_NS6detail17trampoline_kernelINS0_14default_configENS1_25partition_config_selectorILNS1_17partition_subalgoE1ExNS0_10empty_typeEbEEZZNS1_14partition_implILS5_1ELb0ES3_jN6thrust23THRUST_200600_302600_NS6detail15normal_iteratorINSA_10device_ptrIxEEEEPS6_NSA_18transform_iteratorINSA_8identityIxEESF_NSA_11use_defaultESK_EENS0_5tupleIJSF_SF_EEENSM_IJSG_SG_EEES6_PlJS6_EEE10hipError_tPvRmT3_T4_T5_T6_T7_T9_mT8_P12ihipStream_tbDpT10_ENKUlT_T0_E_clISt17integral_constantIbLb0EES19_EEDaS14_S15_EUlS14_E_NS1_11comp_targetILNS1_3genE10ELNS1_11target_archE1200ELNS1_3gpuE4ELNS1_3repE0EEENS1_30default_config_static_selectorELNS0_4arch9wavefront6targetE1EEEvT1_: ; @_ZN7rocprim17ROCPRIM_400000_NS6detail17trampoline_kernelINS0_14default_configENS1_25partition_config_selectorILNS1_17partition_subalgoE1ExNS0_10empty_typeEbEEZZNS1_14partition_implILS5_1ELb0ES3_jN6thrust23THRUST_200600_302600_NS6detail15normal_iteratorINSA_10device_ptrIxEEEEPS6_NSA_18transform_iteratorINSA_8identityIxEESF_NSA_11use_defaultESK_EENS0_5tupleIJSF_SF_EEENSM_IJSG_SG_EEES6_PlJS6_EEE10hipError_tPvRmT3_T4_T5_T6_T7_T9_mT8_P12ihipStream_tbDpT10_ENKUlT_T0_E_clISt17integral_constantIbLb0EES19_EEDaS14_S15_EUlS14_E_NS1_11comp_targetILNS1_3genE10ELNS1_11target_archE1200ELNS1_3gpuE4ELNS1_3repE0EEENS1_30default_config_static_selectorELNS0_4arch9wavefront6targetE1EEEvT1_
; %bb.0:
	.section	.rodata,"a",@progbits
	.p2align	6, 0x0
	.amdhsa_kernel _ZN7rocprim17ROCPRIM_400000_NS6detail17trampoline_kernelINS0_14default_configENS1_25partition_config_selectorILNS1_17partition_subalgoE1ExNS0_10empty_typeEbEEZZNS1_14partition_implILS5_1ELb0ES3_jN6thrust23THRUST_200600_302600_NS6detail15normal_iteratorINSA_10device_ptrIxEEEEPS6_NSA_18transform_iteratorINSA_8identityIxEESF_NSA_11use_defaultESK_EENS0_5tupleIJSF_SF_EEENSM_IJSG_SG_EEES6_PlJS6_EEE10hipError_tPvRmT3_T4_T5_T6_T7_T9_mT8_P12ihipStream_tbDpT10_ENKUlT_T0_E_clISt17integral_constantIbLb0EES19_EEDaS14_S15_EUlS14_E_NS1_11comp_targetILNS1_3genE10ELNS1_11target_archE1200ELNS1_3gpuE4ELNS1_3repE0EEENS1_30default_config_static_selectorELNS0_4arch9wavefront6targetE1EEEvT1_
		.amdhsa_group_segment_fixed_size 0
		.amdhsa_private_segment_fixed_size 0
		.amdhsa_kernarg_size 128
		.amdhsa_user_sgpr_count 6
		.amdhsa_user_sgpr_private_segment_buffer 1
		.amdhsa_user_sgpr_dispatch_ptr 0
		.amdhsa_user_sgpr_queue_ptr 0
		.amdhsa_user_sgpr_kernarg_segment_ptr 1
		.amdhsa_user_sgpr_dispatch_id 0
		.amdhsa_user_sgpr_flat_scratch_init 0
		.amdhsa_user_sgpr_kernarg_preload_length 0
		.amdhsa_user_sgpr_kernarg_preload_offset 0
		.amdhsa_user_sgpr_private_segment_size 0
		.amdhsa_uses_dynamic_stack 0
		.amdhsa_system_sgpr_private_segment_wavefront_offset 0
		.amdhsa_system_sgpr_workgroup_id_x 1
		.amdhsa_system_sgpr_workgroup_id_y 0
		.amdhsa_system_sgpr_workgroup_id_z 0
		.amdhsa_system_sgpr_workgroup_info 0
		.amdhsa_system_vgpr_workitem_id 0
		.amdhsa_next_free_vgpr 1
		.amdhsa_next_free_sgpr 0
		.amdhsa_accum_offset 4
		.amdhsa_reserve_vcc 0
		.amdhsa_reserve_flat_scratch 0
		.amdhsa_float_round_mode_32 0
		.amdhsa_float_round_mode_16_64 0
		.amdhsa_float_denorm_mode_32 3
		.amdhsa_float_denorm_mode_16_64 3
		.amdhsa_dx10_clamp 1
		.amdhsa_ieee_mode 1
		.amdhsa_fp16_overflow 0
		.amdhsa_tg_split 0
		.amdhsa_exception_fp_ieee_invalid_op 0
		.amdhsa_exception_fp_denorm_src 0
		.amdhsa_exception_fp_ieee_div_zero 0
		.amdhsa_exception_fp_ieee_overflow 0
		.amdhsa_exception_fp_ieee_underflow 0
		.amdhsa_exception_fp_ieee_inexact 0
		.amdhsa_exception_int_div_zero 0
	.end_amdhsa_kernel
	.section	.text._ZN7rocprim17ROCPRIM_400000_NS6detail17trampoline_kernelINS0_14default_configENS1_25partition_config_selectorILNS1_17partition_subalgoE1ExNS0_10empty_typeEbEEZZNS1_14partition_implILS5_1ELb0ES3_jN6thrust23THRUST_200600_302600_NS6detail15normal_iteratorINSA_10device_ptrIxEEEEPS6_NSA_18transform_iteratorINSA_8identityIxEESF_NSA_11use_defaultESK_EENS0_5tupleIJSF_SF_EEENSM_IJSG_SG_EEES6_PlJS6_EEE10hipError_tPvRmT3_T4_T5_T6_T7_T9_mT8_P12ihipStream_tbDpT10_ENKUlT_T0_E_clISt17integral_constantIbLb0EES19_EEDaS14_S15_EUlS14_E_NS1_11comp_targetILNS1_3genE10ELNS1_11target_archE1200ELNS1_3gpuE4ELNS1_3repE0EEENS1_30default_config_static_selectorELNS0_4arch9wavefront6targetE1EEEvT1_,"axG",@progbits,_ZN7rocprim17ROCPRIM_400000_NS6detail17trampoline_kernelINS0_14default_configENS1_25partition_config_selectorILNS1_17partition_subalgoE1ExNS0_10empty_typeEbEEZZNS1_14partition_implILS5_1ELb0ES3_jN6thrust23THRUST_200600_302600_NS6detail15normal_iteratorINSA_10device_ptrIxEEEEPS6_NSA_18transform_iteratorINSA_8identityIxEESF_NSA_11use_defaultESK_EENS0_5tupleIJSF_SF_EEENSM_IJSG_SG_EEES6_PlJS6_EEE10hipError_tPvRmT3_T4_T5_T6_T7_T9_mT8_P12ihipStream_tbDpT10_ENKUlT_T0_E_clISt17integral_constantIbLb0EES19_EEDaS14_S15_EUlS14_E_NS1_11comp_targetILNS1_3genE10ELNS1_11target_archE1200ELNS1_3gpuE4ELNS1_3repE0EEENS1_30default_config_static_selectorELNS0_4arch9wavefront6targetE1EEEvT1_,comdat
.Lfunc_end582:
	.size	_ZN7rocprim17ROCPRIM_400000_NS6detail17trampoline_kernelINS0_14default_configENS1_25partition_config_selectorILNS1_17partition_subalgoE1ExNS0_10empty_typeEbEEZZNS1_14partition_implILS5_1ELb0ES3_jN6thrust23THRUST_200600_302600_NS6detail15normal_iteratorINSA_10device_ptrIxEEEEPS6_NSA_18transform_iteratorINSA_8identityIxEESF_NSA_11use_defaultESK_EENS0_5tupleIJSF_SF_EEENSM_IJSG_SG_EEES6_PlJS6_EEE10hipError_tPvRmT3_T4_T5_T6_T7_T9_mT8_P12ihipStream_tbDpT10_ENKUlT_T0_E_clISt17integral_constantIbLb0EES19_EEDaS14_S15_EUlS14_E_NS1_11comp_targetILNS1_3genE10ELNS1_11target_archE1200ELNS1_3gpuE4ELNS1_3repE0EEENS1_30default_config_static_selectorELNS0_4arch9wavefront6targetE1EEEvT1_, .Lfunc_end582-_ZN7rocprim17ROCPRIM_400000_NS6detail17trampoline_kernelINS0_14default_configENS1_25partition_config_selectorILNS1_17partition_subalgoE1ExNS0_10empty_typeEbEEZZNS1_14partition_implILS5_1ELb0ES3_jN6thrust23THRUST_200600_302600_NS6detail15normal_iteratorINSA_10device_ptrIxEEEEPS6_NSA_18transform_iteratorINSA_8identityIxEESF_NSA_11use_defaultESK_EENS0_5tupleIJSF_SF_EEENSM_IJSG_SG_EEES6_PlJS6_EEE10hipError_tPvRmT3_T4_T5_T6_T7_T9_mT8_P12ihipStream_tbDpT10_ENKUlT_T0_E_clISt17integral_constantIbLb0EES19_EEDaS14_S15_EUlS14_E_NS1_11comp_targetILNS1_3genE10ELNS1_11target_archE1200ELNS1_3gpuE4ELNS1_3repE0EEENS1_30default_config_static_selectorELNS0_4arch9wavefront6targetE1EEEvT1_
                                        ; -- End function
	.section	.AMDGPU.csdata,"",@progbits
; Kernel info:
; codeLenInByte = 0
; NumSgprs: 4
; NumVgprs: 0
; NumAgprs: 0
; TotalNumVgprs: 0
; ScratchSize: 0
; MemoryBound: 0
; FloatMode: 240
; IeeeMode: 1
; LDSByteSize: 0 bytes/workgroup (compile time only)
; SGPRBlocks: 0
; VGPRBlocks: 0
; NumSGPRsForWavesPerEU: 4
; NumVGPRsForWavesPerEU: 1
; AccumOffset: 4
; Occupancy: 8
; WaveLimiterHint : 0
; COMPUTE_PGM_RSRC2:SCRATCH_EN: 0
; COMPUTE_PGM_RSRC2:USER_SGPR: 6
; COMPUTE_PGM_RSRC2:TRAP_HANDLER: 0
; COMPUTE_PGM_RSRC2:TGID_X_EN: 1
; COMPUTE_PGM_RSRC2:TGID_Y_EN: 0
; COMPUTE_PGM_RSRC2:TGID_Z_EN: 0
; COMPUTE_PGM_RSRC2:TIDIG_COMP_CNT: 0
; COMPUTE_PGM_RSRC3_GFX90A:ACCUM_OFFSET: 0
; COMPUTE_PGM_RSRC3_GFX90A:TG_SPLIT: 0
	.section	.text._ZN7rocprim17ROCPRIM_400000_NS6detail17trampoline_kernelINS0_14default_configENS1_25partition_config_selectorILNS1_17partition_subalgoE1ExNS0_10empty_typeEbEEZZNS1_14partition_implILS5_1ELb0ES3_jN6thrust23THRUST_200600_302600_NS6detail15normal_iteratorINSA_10device_ptrIxEEEEPS6_NSA_18transform_iteratorINSA_8identityIxEESF_NSA_11use_defaultESK_EENS0_5tupleIJSF_SF_EEENSM_IJSG_SG_EEES6_PlJS6_EEE10hipError_tPvRmT3_T4_T5_T6_T7_T9_mT8_P12ihipStream_tbDpT10_ENKUlT_T0_E_clISt17integral_constantIbLb0EES19_EEDaS14_S15_EUlS14_E_NS1_11comp_targetILNS1_3genE9ELNS1_11target_archE1100ELNS1_3gpuE3ELNS1_3repE0EEENS1_30default_config_static_selectorELNS0_4arch9wavefront6targetE1EEEvT1_,"axG",@progbits,_ZN7rocprim17ROCPRIM_400000_NS6detail17trampoline_kernelINS0_14default_configENS1_25partition_config_selectorILNS1_17partition_subalgoE1ExNS0_10empty_typeEbEEZZNS1_14partition_implILS5_1ELb0ES3_jN6thrust23THRUST_200600_302600_NS6detail15normal_iteratorINSA_10device_ptrIxEEEEPS6_NSA_18transform_iteratorINSA_8identityIxEESF_NSA_11use_defaultESK_EENS0_5tupleIJSF_SF_EEENSM_IJSG_SG_EEES6_PlJS6_EEE10hipError_tPvRmT3_T4_T5_T6_T7_T9_mT8_P12ihipStream_tbDpT10_ENKUlT_T0_E_clISt17integral_constantIbLb0EES19_EEDaS14_S15_EUlS14_E_NS1_11comp_targetILNS1_3genE9ELNS1_11target_archE1100ELNS1_3gpuE3ELNS1_3repE0EEENS1_30default_config_static_selectorELNS0_4arch9wavefront6targetE1EEEvT1_,comdat
	.protected	_ZN7rocprim17ROCPRIM_400000_NS6detail17trampoline_kernelINS0_14default_configENS1_25partition_config_selectorILNS1_17partition_subalgoE1ExNS0_10empty_typeEbEEZZNS1_14partition_implILS5_1ELb0ES3_jN6thrust23THRUST_200600_302600_NS6detail15normal_iteratorINSA_10device_ptrIxEEEEPS6_NSA_18transform_iteratorINSA_8identityIxEESF_NSA_11use_defaultESK_EENS0_5tupleIJSF_SF_EEENSM_IJSG_SG_EEES6_PlJS6_EEE10hipError_tPvRmT3_T4_T5_T6_T7_T9_mT8_P12ihipStream_tbDpT10_ENKUlT_T0_E_clISt17integral_constantIbLb0EES19_EEDaS14_S15_EUlS14_E_NS1_11comp_targetILNS1_3genE9ELNS1_11target_archE1100ELNS1_3gpuE3ELNS1_3repE0EEENS1_30default_config_static_selectorELNS0_4arch9wavefront6targetE1EEEvT1_ ; -- Begin function _ZN7rocprim17ROCPRIM_400000_NS6detail17trampoline_kernelINS0_14default_configENS1_25partition_config_selectorILNS1_17partition_subalgoE1ExNS0_10empty_typeEbEEZZNS1_14partition_implILS5_1ELb0ES3_jN6thrust23THRUST_200600_302600_NS6detail15normal_iteratorINSA_10device_ptrIxEEEEPS6_NSA_18transform_iteratorINSA_8identityIxEESF_NSA_11use_defaultESK_EENS0_5tupleIJSF_SF_EEENSM_IJSG_SG_EEES6_PlJS6_EEE10hipError_tPvRmT3_T4_T5_T6_T7_T9_mT8_P12ihipStream_tbDpT10_ENKUlT_T0_E_clISt17integral_constantIbLb0EES19_EEDaS14_S15_EUlS14_E_NS1_11comp_targetILNS1_3genE9ELNS1_11target_archE1100ELNS1_3gpuE3ELNS1_3repE0EEENS1_30default_config_static_selectorELNS0_4arch9wavefront6targetE1EEEvT1_
	.globl	_ZN7rocprim17ROCPRIM_400000_NS6detail17trampoline_kernelINS0_14default_configENS1_25partition_config_selectorILNS1_17partition_subalgoE1ExNS0_10empty_typeEbEEZZNS1_14partition_implILS5_1ELb0ES3_jN6thrust23THRUST_200600_302600_NS6detail15normal_iteratorINSA_10device_ptrIxEEEEPS6_NSA_18transform_iteratorINSA_8identityIxEESF_NSA_11use_defaultESK_EENS0_5tupleIJSF_SF_EEENSM_IJSG_SG_EEES6_PlJS6_EEE10hipError_tPvRmT3_T4_T5_T6_T7_T9_mT8_P12ihipStream_tbDpT10_ENKUlT_T0_E_clISt17integral_constantIbLb0EES19_EEDaS14_S15_EUlS14_E_NS1_11comp_targetILNS1_3genE9ELNS1_11target_archE1100ELNS1_3gpuE3ELNS1_3repE0EEENS1_30default_config_static_selectorELNS0_4arch9wavefront6targetE1EEEvT1_
	.p2align	8
	.type	_ZN7rocprim17ROCPRIM_400000_NS6detail17trampoline_kernelINS0_14default_configENS1_25partition_config_selectorILNS1_17partition_subalgoE1ExNS0_10empty_typeEbEEZZNS1_14partition_implILS5_1ELb0ES3_jN6thrust23THRUST_200600_302600_NS6detail15normal_iteratorINSA_10device_ptrIxEEEEPS6_NSA_18transform_iteratorINSA_8identityIxEESF_NSA_11use_defaultESK_EENS0_5tupleIJSF_SF_EEENSM_IJSG_SG_EEES6_PlJS6_EEE10hipError_tPvRmT3_T4_T5_T6_T7_T9_mT8_P12ihipStream_tbDpT10_ENKUlT_T0_E_clISt17integral_constantIbLb0EES19_EEDaS14_S15_EUlS14_E_NS1_11comp_targetILNS1_3genE9ELNS1_11target_archE1100ELNS1_3gpuE3ELNS1_3repE0EEENS1_30default_config_static_selectorELNS0_4arch9wavefront6targetE1EEEvT1_,@function
_ZN7rocprim17ROCPRIM_400000_NS6detail17trampoline_kernelINS0_14default_configENS1_25partition_config_selectorILNS1_17partition_subalgoE1ExNS0_10empty_typeEbEEZZNS1_14partition_implILS5_1ELb0ES3_jN6thrust23THRUST_200600_302600_NS6detail15normal_iteratorINSA_10device_ptrIxEEEEPS6_NSA_18transform_iteratorINSA_8identityIxEESF_NSA_11use_defaultESK_EENS0_5tupleIJSF_SF_EEENSM_IJSG_SG_EEES6_PlJS6_EEE10hipError_tPvRmT3_T4_T5_T6_T7_T9_mT8_P12ihipStream_tbDpT10_ENKUlT_T0_E_clISt17integral_constantIbLb0EES19_EEDaS14_S15_EUlS14_E_NS1_11comp_targetILNS1_3genE9ELNS1_11target_archE1100ELNS1_3gpuE3ELNS1_3repE0EEENS1_30default_config_static_selectorELNS0_4arch9wavefront6targetE1EEEvT1_: ; @_ZN7rocprim17ROCPRIM_400000_NS6detail17trampoline_kernelINS0_14default_configENS1_25partition_config_selectorILNS1_17partition_subalgoE1ExNS0_10empty_typeEbEEZZNS1_14partition_implILS5_1ELb0ES3_jN6thrust23THRUST_200600_302600_NS6detail15normal_iteratorINSA_10device_ptrIxEEEEPS6_NSA_18transform_iteratorINSA_8identityIxEESF_NSA_11use_defaultESK_EENS0_5tupleIJSF_SF_EEENSM_IJSG_SG_EEES6_PlJS6_EEE10hipError_tPvRmT3_T4_T5_T6_T7_T9_mT8_P12ihipStream_tbDpT10_ENKUlT_T0_E_clISt17integral_constantIbLb0EES19_EEDaS14_S15_EUlS14_E_NS1_11comp_targetILNS1_3genE9ELNS1_11target_archE1100ELNS1_3gpuE3ELNS1_3repE0EEENS1_30default_config_static_selectorELNS0_4arch9wavefront6targetE1EEEvT1_
; %bb.0:
	.section	.rodata,"a",@progbits
	.p2align	6, 0x0
	.amdhsa_kernel _ZN7rocprim17ROCPRIM_400000_NS6detail17trampoline_kernelINS0_14default_configENS1_25partition_config_selectorILNS1_17partition_subalgoE1ExNS0_10empty_typeEbEEZZNS1_14partition_implILS5_1ELb0ES3_jN6thrust23THRUST_200600_302600_NS6detail15normal_iteratorINSA_10device_ptrIxEEEEPS6_NSA_18transform_iteratorINSA_8identityIxEESF_NSA_11use_defaultESK_EENS0_5tupleIJSF_SF_EEENSM_IJSG_SG_EEES6_PlJS6_EEE10hipError_tPvRmT3_T4_T5_T6_T7_T9_mT8_P12ihipStream_tbDpT10_ENKUlT_T0_E_clISt17integral_constantIbLb0EES19_EEDaS14_S15_EUlS14_E_NS1_11comp_targetILNS1_3genE9ELNS1_11target_archE1100ELNS1_3gpuE3ELNS1_3repE0EEENS1_30default_config_static_selectorELNS0_4arch9wavefront6targetE1EEEvT1_
		.amdhsa_group_segment_fixed_size 0
		.amdhsa_private_segment_fixed_size 0
		.amdhsa_kernarg_size 128
		.amdhsa_user_sgpr_count 6
		.amdhsa_user_sgpr_private_segment_buffer 1
		.amdhsa_user_sgpr_dispatch_ptr 0
		.amdhsa_user_sgpr_queue_ptr 0
		.amdhsa_user_sgpr_kernarg_segment_ptr 1
		.amdhsa_user_sgpr_dispatch_id 0
		.amdhsa_user_sgpr_flat_scratch_init 0
		.amdhsa_user_sgpr_kernarg_preload_length 0
		.amdhsa_user_sgpr_kernarg_preload_offset 0
		.amdhsa_user_sgpr_private_segment_size 0
		.amdhsa_uses_dynamic_stack 0
		.amdhsa_system_sgpr_private_segment_wavefront_offset 0
		.amdhsa_system_sgpr_workgroup_id_x 1
		.amdhsa_system_sgpr_workgroup_id_y 0
		.amdhsa_system_sgpr_workgroup_id_z 0
		.amdhsa_system_sgpr_workgroup_info 0
		.amdhsa_system_vgpr_workitem_id 0
		.amdhsa_next_free_vgpr 1
		.amdhsa_next_free_sgpr 0
		.amdhsa_accum_offset 4
		.amdhsa_reserve_vcc 0
		.amdhsa_reserve_flat_scratch 0
		.amdhsa_float_round_mode_32 0
		.amdhsa_float_round_mode_16_64 0
		.amdhsa_float_denorm_mode_32 3
		.amdhsa_float_denorm_mode_16_64 3
		.amdhsa_dx10_clamp 1
		.amdhsa_ieee_mode 1
		.amdhsa_fp16_overflow 0
		.amdhsa_tg_split 0
		.amdhsa_exception_fp_ieee_invalid_op 0
		.amdhsa_exception_fp_denorm_src 0
		.amdhsa_exception_fp_ieee_div_zero 0
		.amdhsa_exception_fp_ieee_overflow 0
		.amdhsa_exception_fp_ieee_underflow 0
		.amdhsa_exception_fp_ieee_inexact 0
		.amdhsa_exception_int_div_zero 0
	.end_amdhsa_kernel
	.section	.text._ZN7rocprim17ROCPRIM_400000_NS6detail17trampoline_kernelINS0_14default_configENS1_25partition_config_selectorILNS1_17partition_subalgoE1ExNS0_10empty_typeEbEEZZNS1_14partition_implILS5_1ELb0ES3_jN6thrust23THRUST_200600_302600_NS6detail15normal_iteratorINSA_10device_ptrIxEEEEPS6_NSA_18transform_iteratorINSA_8identityIxEESF_NSA_11use_defaultESK_EENS0_5tupleIJSF_SF_EEENSM_IJSG_SG_EEES6_PlJS6_EEE10hipError_tPvRmT3_T4_T5_T6_T7_T9_mT8_P12ihipStream_tbDpT10_ENKUlT_T0_E_clISt17integral_constantIbLb0EES19_EEDaS14_S15_EUlS14_E_NS1_11comp_targetILNS1_3genE9ELNS1_11target_archE1100ELNS1_3gpuE3ELNS1_3repE0EEENS1_30default_config_static_selectorELNS0_4arch9wavefront6targetE1EEEvT1_,"axG",@progbits,_ZN7rocprim17ROCPRIM_400000_NS6detail17trampoline_kernelINS0_14default_configENS1_25partition_config_selectorILNS1_17partition_subalgoE1ExNS0_10empty_typeEbEEZZNS1_14partition_implILS5_1ELb0ES3_jN6thrust23THRUST_200600_302600_NS6detail15normal_iteratorINSA_10device_ptrIxEEEEPS6_NSA_18transform_iteratorINSA_8identityIxEESF_NSA_11use_defaultESK_EENS0_5tupleIJSF_SF_EEENSM_IJSG_SG_EEES6_PlJS6_EEE10hipError_tPvRmT3_T4_T5_T6_T7_T9_mT8_P12ihipStream_tbDpT10_ENKUlT_T0_E_clISt17integral_constantIbLb0EES19_EEDaS14_S15_EUlS14_E_NS1_11comp_targetILNS1_3genE9ELNS1_11target_archE1100ELNS1_3gpuE3ELNS1_3repE0EEENS1_30default_config_static_selectorELNS0_4arch9wavefront6targetE1EEEvT1_,comdat
.Lfunc_end583:
	.size	_ZN7rocprim17ROCPRIM_400000_NS6detail17trampoline_kernelINS0_14default_configENS1_25partition_config_selectorILNS1_17partition_subalgoE1ExNS0_10empty_typeEbEEZZNS1_14partition_implILS5_1ELb0ES3_jN6thrust23THRUST_200600_302600_NS6detail15normal_iteratorINSA_10device_ptrIxEEEEPS6_NSA_18transform_iteratorINSA_8identityIxEESF_NSA_11use_defaultESK_EENS0_5tupleIJSF_SF_EEENSM_IJSG_SG_EEES6_PlJS6_EEE10hipError_tPvRmT3_T4_T5_T6_T7_T9_mT8_P12ihipStream_tbDpT10_ENKUlT_T0_E_clISt17integral_constantIbLb0EES19_EEDaS14_S15_EUlS14_E_NS1_11comp_targetILNS1_3genE9ELNS1_11target_archE1100ELNS1_3gpuE3ELNS1_3repE0EEENS1_30default_config_static_selectorELNS0_4arch9wavefront6targetE1EEEvT1_, .Lfunc_end583-_ZN7rocprim17ROCPRIM_400000_NS6detail17trampoline_kernelINS0_14default_configENS1_25partition_config_selectorILNS1_17partition_subalgoE1ExNS0_10empty_typeEbEEZZNS1_14partition_implILS5_1ELb0ES3_jN6thrust23THRUST_200600_302600_NS6detail15normal_iteratorINSA_10device_ptrIxEEEEPS6_NSA_18transform_iteratorINSA_8identityIxEESF_NSA_11use_defaultESK_EENS0_5tupleIJSF_SF_EEENSM_IJSG_SG_EEES6_PlJS6_EEE10hipError_tPvRmT3_T4_T5_T6_T7_T9_mT8_P12ihipStream_tbDpT10_ENKUlT_T0_E_clISt17integral_constantIbLb0EES19_EEDaS14_S15_EUlS14_E_NS1_11comp_targetILNS1_3genE9ELNS1_11target_archE1100ELNS1_3gpuE3ELNS1_3repE0EEENS1_30default_config_static_selectorELNS0_4arch9wavefront6targetE1EEEvT1_
                                        ; -- End function
	.section	.AMDGPU.csdata,"",@progbits
; Kernel info:
; codeLenInByte = 0
; NumSgprs: 4
; NumVgprs: 0
; NumAgprs: 0
; TotalNumVgprs: 0
; ScratchSize: 0
; MemoryBound: 0
; FloatMode: 240
; IeeeMode: 1
; LDSByteSize: 0 bytes/workgroup (compile time only)
; SGPRBlocks: 0
; VGPRBlocks: 0
; NumSGPRsForWavesPerEU: 4
; NumVGPRsForWavesPerEU: 1
; AccumOffset: 4
; Occupancy: 8
; WaveLimiterHint : 0
; COMPUTE_PGM_RSRC2:SCRATCH_EN: 0
; COMPUTE_PGM_RSRC2:USER_SGPR: 6
; COMPUTE_PGM_RSRC2:TRAP_HANDLER: 0
; COMPUTE_PGM_RSRC2:TGID_X_EN: 1
; COMPUTE_PGM_RSRC2:TGID_Y_EN: 0
; COMPUTE_PGM_RSRC2:TGID_Z_EN: 0
; COMPUTE_PGM_RSRC2:TIDIG_COMP_CNT: 0
; COMPUTE_PGM_RSRC3_GFX90A:ACCUM_OFFSET: 0
; COMPUTE_PGM_RSRC3_GFX90A:TG_SPLIT: 0
	.section	.text._ZN7rocprim17ROCPRIM_400000_NS6detail17trampoline_kernelINS0_14default_configENS1_25partition_config_selectorILNS1_17partition_subalgoE1ExNS0_10empty_typeEbEEZZNS1_14partition_implILS5_1ELb0ES3_jN6thrust23THRUST_200600_302600_NS6detail15normal_iteratorINSA_10device_ptrIxEEEEPS6_NSA_18transform_iteratorINSA_8identityIxEESF_NSA_11use_defaultESK_EENS0_5tupleIJSF_SF_EEENSM_IJSG_SG_EEES6_PlJS6_EEE10hipError_tPvRmT3_T4_T5_T6_T7_T9_mT8_P12ihipStream_tbDpT10_ENKUlT_T0_E_clISt17integral_constantIbLb0EES19_EEDaS14_S15_EUlS14_E_NS1_11comp_targetILNS1_3genE8ELNS1_11target_archE1030ELNS1_3gpuE2ELNS1_3repE0EEENS1_30default_config_static_selectorELNS0_4arch9wavefront6targetE1EEEvT1_,"axG",@progbits,_ZN7rocprim17ROCPRIM_400000_NS6detail17trampoline_kernelINS0_14default_configENS1_25partition_config_selectorILNS1_17partition_subalgoE1ExNS0_10empty_typeEbEEZZNS1_14partition_implILS5_1ELb0ES3_jN6thrust23THRUST_200600_302600_NS6detail15normal_iteratorINSA_10device_ptrIxEEEEPS6_NSA_18transform_iteratorINSA_8identityIxEESF_NSA_11use_defaultESK_EENS0_5tupleIJSF_SF_EEENSM_IJSG_SG_EEES6_PlJS6_EEE10hipError_tPvRmT3_T4_T5_T6_T7_T9_mT8_P12ihipStream_tbDpT10_ENKUlT_T0_E_clISt17integral_constantIbLb0EES19_EEDaS14_S15_EUlS14_E_NS1_11comp_targetILNS1_3genE8ELNS1_11target_archE1030ELNS1_3gpuE2ELNS1_3repE0EEENS1_30default_config_static_selectorELNS0_4arch9wavefront6targetE1EEEvT1_,comdat
	.protected	_ZN7rocprim17ROCPRIM_400000_NS6detail17trampoline_kernelINS0_14default_configENS1_25partition_config_selectorILNS1_17partition_subalgoE1ExNS0_10empty_typeEbEEZZNS1_14partition_implILS5_1ELb0ES3_jN6thrust23THRUST_200600_302600_NS6detail15normal_iteratorINSA_10device_ptrIxEEEEPS6_NSA_18transform_iteratorINSA_8identityIxEESF_NSA_11use_defaultESK_EENS0_5tupleIJSF_SF_EEENSM_IJSG_SG_EEES6_PlJS6_EEE10hipError_tPvRmT3_T4_T5_T6_T7_T9_mT8_P12ihipStream_tbDpT10_ENKUlT_T0_E_clISt17integral_constantIbLb0EES19_EEDaS14_S15_EUlS14_E_NS1_11comp_targetILNS1_3genE8ELNS1_11target_archE1030ELNS1_3gpuE2ELNS1_3repE0EEENS1_30default_config_static_selectorELNS0_4arch9wavefront6targetE1EEEvT1_ ; -- Begin function _ZN7rocprim17ROCPRIM_400000_NS6detail17trampoline_kernelINS0_14default_configENS1_25partition_config_selectorILNS1_17partition_subalgoE1ExNS0_10empty_typeEbEEZZNS1_14partition_implILS5_1ELb0ES3_jN6thrust23THRUST_200600_302600_NS6detail15normal_iteratorINSA_10device_ptrIxEEEEPS6_NSA_18transform_iteratorINSA_8identityIxEESF_NSA_11use_defaultESK_EENS0_5tupleIJSF_SF_EEENSM_IJSG_SG_EEES6_PlJS6_EEE10hipError_tPvRmT3_T4_T5_T6_T7_T9_mT8_P12ihipStream_tbDpT10_ENKUlT_T0_E_clISt17integral_constantIbLb0EES19_EEDaS14_S15_EUlS14_E_NS1_11comp_targetILNS1_3genE8ELNS1_11target_archE1030ELNS1_3gpuE2ELNS1_3repE0EEENS1_30default_config_static_selectorELNS0_4arch9wavefront6targetE1EEEvT1_
	.globl	_ZN7rocprim17ROCPRIM_400000_NS6detail17trampoline_kernelINS0_14default_configENS1_25partition_config_selectorILNS1_17partition_subalgoE1ExNS0_10empty_typeEbEEZZNS1_14partition_implILS5_1ELb0ES3_jN6thrust23THRUST_200600_302600_NS6detail15normal_iteratorINSA_10device_ptrIxEEEEPS6_NSA_18transform_iteratorINSA_8identityIxEESF_NSA_11use_defaultESK_EENS0_5tupleIJSF_SF_EEENSM_IJSG_SG_EEES6_PlJS6_EEE10hipError_tPvRmT3_T4_T5_T6_T7_T9_mT8_P12ihipStream_tbDpT10_ENKUlT_T0_E_clISt17integral_constantIbLb0EES19_EEDaS14_S15_EUlS14_E_NS1_11comp_targetILNS1_3genE8ELNS1_11target_archE1030ELNS1_3gpuE2ELNS1_3repE0EEENS1_30default_config_static_selectorELNS0_4arch9wavefront6targetE1EEEvT1_
	.p2align	8
	.type	_ZN7rocprim17ROCPRIM_400000_NS6detail17trampoline_kernelINS0_14default_configENS1_25partition_config_selectorILNS1_17partition_subalgoE1ExNS0_10empty_typeEbEEZZNS1_14partition_implILS5_1ELb0ES3_jN6thrust23THRUST_200600_302600_NS6detail15normal_iteratorINSA_10device_ptrIxEEEEPS6_NSA_18transform_iteratorINSA_8identityIxEESF_NSA_11use_defaultESK_EENS0_5tupleIJSF_SF_EEENSM_IJSG_SG_EEES6_PlJS6_EEE10hipError_tPvRmT3_T4_T5_T6_T7_T9_mT8_P12ihipStream_tbDpT10_ENKUlT_T0_E_clISt17integral_constantIbLb0EES19_EEDaS14_S15_EUlS14_E_NS1_11comp_targetILNS1_3genE8ELNS1_11target_archE1030ELNS1_3gpuE2ELNS1_3repE0EEENS1_30default_config_static_selectorELNS0_4arch9wavefront6targetE1EEEvT1_,@function
_ZN7rocprim17ROCPRIM_400000_NS6detail17trampoline_kernelINS0_14default_configENS1_25partition_config_selectorILNS1_17partition_subalgoE1ExNS0_10empty_typeEbEEZZNS1_14partition_implILS5_1ELb0ES3_jN6thrust23THRUST_200600_302600_NS6detail15normal_iteratorINSA_10device_ptrIxEEEEPS6_NSA_18transform_iteratorINSA_8identityIxEESF_NSA_11use_defaultESK_EENS0_5tupleIJSF_SF_EEENSM_IJSG_SG_EEES6_PlJS6_EEE10hipError_tPvRmT3_T4_T5_T6_T7_T9_mT8_P12ihipStream_tbDpT10_ENKUlT_T0_E_clISt17integral_constantIbLb0EES19_EEDaS14_S15_EUlS14_E_NS1_11comp_targetILNS1_3genE8ELNS1_11target_archE1030ELNS1_3gpuE2ELNS1_3repE0EEENS1_30default_config_static_selectorELNS0_4arch9wavefront6targetE1EEEvT1_: ; @_ZN7rocprim17ROCPRIM_400000_NS6detail17trampoline_kernelINS0_14default_configENS1_25partition_config_selectorILNS1_17partition_subalgoE1ExNS0_10empty_typeEbEEZZNS1_14partition_implILS5_1ELb0ES3_jN6thrust23THRUST_200600_302600_NS6detail15normal_iteratorINSA_10device_ptrIxEEEEPS6_NSA_18transform_iteratorINSA_8identityIxEESF_NSA_11use_defaultESK_EENS0_5tupleIJSF_SF_EEENSM_IJSG_SG_EEES6_PlJS6_EEE10hipError_tPvRmT3_T4_T5_T6_T7_T9_mT8_P12ihipStream_tbDpT10_ENKUlT_T0_E_clISt17integral_constantIbLb0EES19_EEDaS14_S15_EUlS14_E_NS1_11comp_targetILNS1_3genE8ELNS1_11target_archE1030ELNS1_3gpuE2ELNS1_3repE0EEENS1_30default_config_static_selectorELNS0_4arch9wavefront6targetE1EEEvT1_
; %bb.0:
	.section	.rodata,"a",@progbits
	.p2align	6, 0x0
	.amdhsa_kernel _ZN7rocprim17ROCPRIM_400000_NS6detail17trampoline_kernelINS0_14default_configENS1_25partition_config_selectorILNS1_17partition_subalgoE1ExNS0_10empty_typeEbEEZZNS1_14partition_implILS5_1ELb0ES3_jN6thrust23THRUST_200600_302600_NS6detail15normal_iteratorINSA_10device_ptrIxEEEEPS6_NSA_18transform_iteratorINSA_8identityIxEESF_NSA_11use_defaultESK_EENS0_5tupleIJSF_SF_EEENSM_IJSG_SG_EEES6_PlJS6_EEE10hipError_tPvRmT3_T4_T5_T6_T7_T9_mT8_P12ihipStream_tbDpT10_ENKUlT_T0_E_clISt17integral_constantIbLb0EES19_EEDaS14_S15_EUlS14_E_NS1_11comp_targetILNS1_3genE8ELNS1_11target_archE1030ELNS1_3gpuE2ELNS1_3repE0EEENS1_30default_config_static_selectorELNS0_4arch9wavefront6targetE1EEEvT1_
		.amdhsa_group_segment_fixed_size 0
		.amdhsa_private_segment_fixed_size 0
		.amdhsa_kernarg_size 128
		.amdhsa_user_sgpr_count 6
		.amdhsa_user_sgpr_private_segment_buffer 1
		.amdhsa_user_sgpr_dispatch_ptr 0
		.amdhsa_user_sgpr_queue_ptr 0
		.amdhsa_user_sgpr_kernarg_segment_ptr 1
		.amdhsa_user_sgpr_dispatch_id 0
		.amdhsa_user_sgpr_flat_scratch_init 0
		.amdhsa_user_sgpr_kernarg_preload_length 0
		.amdhsa_user_sgpr_kernarg_preload_offset 0
		.amdhsa_user_sgpr_private_segment_size 0
		.amdhsa_uses_dynamic_stack 0
		.amdhsa_system_sgpr_private_segment_wavefront_offset 0
		.amdhsa_system_sgpr_workgroup_id_x 1
		.amdhsa_system_sgpr_workgroup_id_y 0
		.amdhsa_system_sgpr_workgroup_id_z 0
		.amdhsa_system_sgpr_workgroup_info 0
		.amdhsa_system_vgpr_workitem_id 0
		.amdhsa_next_free_vgpr 1
		.amdhsa_next_free_sgpr 0
		.amdhsa_accum_offset 4
		.amdhsa_reserve_vcc 0
		.amdhsa_reserve_flat_scratch 0
		.amdhsa_float_round_mode_32 0
		.amdhsa_float_round_mode_16_64 0
		.amdhsa_float_denorm_mode_32 3
		.amdhsa_float_denorm_mode_16_64 3
		.amdhsa_dx10_clamp 1
		.amdhsa_ieee_mode 1
		.amdhsa_fp16_overflow 0
		.amdhsa_tg_split 0
		.amdhsa_exception_fp_ieee_invalid_op 0
		.amdhsa_exception_fp_denorm_src 0
		.amdhsa_exception_fp_ieee_div_zero 0
		.amdhsa_exception_fp_ieee_overflow 0
		.amdhsa_exception_fp_ieee_underflow 0
		.amdhsa_exception_fp_ieee_inexact 0
		.amdhsa_exception_int_div_zero 0
	.end_amdhsa_kernel
	.section	.text._ZN7rocprim17ROCPRIM_400000_NS6detail17trampoline_kernelINS0_14default_configENS1_25partition_config_selectorILNS1_17partition_subalgoE1ExNS0_10empty_typeEbEEZZNS1_14partition_implILS5_1ELb0ES3_jN6thrust23THRUST_200600_302600_NS6detail15normal_iteratorINSA_10device_ptrIxEEEEPS6_NSA_18transform_iteratorINSA_8identityIxEESF_NSA_11use_defaultESK_EENS0_5tupleIJSF_SF_EEENSM_IJSG_SG_EEES6_PlJS6_EEE10hipError_tPvRmT3_T4_T5_T6_T7_T9_mT8_P12ihipStream_tbDpT10_ENKUlT_T0_E_clISt17integral_constantIbLb0EES19_EEDaS14_S15_EUlS14_E_NS1_11comp_targetILNS1_3genE8ELNS1_11target_archE1030ELNS1_3gpuE2ELNS1_3repE0EEENS1_30default_config_static_selectorELNS0_4arch9wavefront6targetE1EEEvT1_,"axG",@progbits,_ZN7rocprim17ROCPRIM_400000_NS6detail17trampoline_kernelINS0_14default_configENS1_25partition_config_selectorILNS1_17partition_subalgoE1ExNS0_10empty_typeEbEEZZNS1_14partition_implILS5_1ELb0ES3_jN6thrust23THRUST_200600_302600_NS6detail15normal_iteratorINSA_10device_ptrIxEEEEPS6_NSA_18transform_iteratorINSA_8identityIxEESF_NSA_11use_defaultESK_EENS0_5tupleIJSF_SF_EEENSM_IJSG_SG_EEES6_PlJS6_EEE10hipError_tPvRmT3_T4_T5_T6_T7_T9_mT8_P12ihipStream_tbDpT10_ENKUlT_T0_E_clISt17integral_constantIbLb0EES19_EEDaS14_S15_EUlS14_E_NS1_11comp_targetILNS1_3genE8ELNS1_11target_archE1030ELNS1_3gpuE2ELNS1_3repE0EEENS1_30default_config_static_selectorELNS0_4arch9wavefront6targetE1EEEvT1_,comdat
.Lfunc_end584:
	.size	_ZN7rocprim17ROCPRIM_400000_NS6detail17trampoline_kernelINS0_14default_configENS1_25partition_config_selectorILNS1_17partition_subalgoE1ExNS0_10empty_typeEbEEZZNS1_14partition_implILS5_1ELb0ES3_jN6thrust23THRUST_200600_302600_NS6detail15normal_iteratorINSA_10device_ptrIxEEEEPS6_NSA_18transform_iteratorINSA_8identityIxEESF_NSA_11use_defaultESK_EENS0_5tupleIJSF_SF_EEENSM_IJSG_SG_EEES6_PlJS6_EEE10hipError_tPvRmT3_T4_T5_T6_T7_T9_mT8_P12ihipStream_tbDpT10_ENKUlT_T0_E_clISt17integral_constantIbLb0EES19_EEDaS14_S15_EUlS14_E_NS1_11comp_targetILNS1_3genE8ELNS1_11target_archE1030ELNS1_3gpuE2ELNS1_3repE0EEENS1_30default_config_static_selectorELNS0_4arch9wavefront6targetE1EEEvT1_, .Lfunc_end584-_ZN7rocprim17ROCPRIM_400000_NS6detail17trampoline_kernelINS0_14default_configENS1_25partition_config_selectorILNS1_17partition_subalgoE1ExNS0_10empty_typeEbEEZZNS1_14partition_implILS5_1ELb0ES3_jN6thrust23THRUST_200600_302600_NS6detail15normal_iteratorINSA_10device_ptrIxEEEEPS6_NSA_18transform_iteratorINSA_8identityIxEESF_NSA_11use_defaultESK_EENS0_5tupleIJSF_SF_EEENSM_IJSG_SG_EEES6_PlJS6_EEE10hipError_tPvRmT3_T4_T5_T6_T7_T9_mT8_P12ihipStream_tbDpT10_ENKUlT_T0_E_clISt17integral_constantIbLb0EES19_EEDaS14_S15_EUlS14_E_NS1_11comp_targetILNS1_3genE8ELNS1_11target_archE1030ELNS1_3gpuE2ELNS1_3repE0EEENS1_30default_config_static_selectorELNS0_4arch9wavefront6targetE1EEEvT1_
                                        ; -- End function
	.section	.AMDGPU.csdata,"",@progbits
; Kernel info:
; codeLenInByte = 0
; NumSgprs: 4
; NumVgprs: 0
; NumAgprs: 0
; TotalNumVgprs: 0
; ScratchSize: 0
; MemoryBound: 0
; FloatMode: 240
; IeeeMode: 1
; LDSByteSize: 0 bytes/workgroup (compile time only)
; SGPRBlocks: 0
; VGPRBlocks: 0
; NumSGPRsForWavesPerEU: 4
; NumVGPRsForWavesPerEU: 1
; AccumOffset: 4
; Occupancy: 8
; WaveLimiterHint : 0
; COMPUTE_PGM_RSRC2:SCRATCH_EN: 0
; COMPUTE_PGM_RSRC2:USER_SGPR: 6
; COMPUTE_PGM_RSRC2:TRAP_HANDLER: 0
; COMPUTE_PGM_RSRC2:TGID_X_EN: 1
; COMPUTE_PGM_RSRC2:TGID_Y_EN: 0
; COMPUTE_PGM_RSRC2:TGID_Z_EN: 0
; COMPUTE_PGM_RSRC2:TIDIG_COMP_CNT: 0
; COMPUTE_PGM_RSRC3_GFX90A:ACCUM_OFFSET: 0
; COMPUTE_PGM_RSRC3_GFX90A:TG_SPLIT: 0
	.section	.text._ZN7rocprim17ROCPRIM_400000_NS6detail17trampoline_kernelINS0_14default_configENS1_25partition_config_selectorILNS1_17partition_subalgoE1ExNS0_10empty_typeEbEEZZNS1_14partition_implILS5_1ELb0ES3_jN6thrust23THRUST_200600_302600_NS6detail15normal_iteratorINSA_10device_ptrIxEEEEPS6_NSA_18transform_iteratorINSA_8identityIxEESF_NSA_11use_defaultESK_EENS0_5tupleIJSF_SF_EEENSM_IJSG_SG_EEES6_PlJS6_EEE10hipError_tPvRmT3_T4_T5_T6_T7_T9_mT8_P12ihipStream_tbDpT10_ENKUlT_T0_E_clISt17integral_constantIbLb1EES19_EEDaS14_S15_EUlS14_E_NS1_11comp_targetILNS1_3genE0ELNS1_11target_archE4294967295ELNS1_3gpuE0ELNS1_3repE0EEENS1_30default_config_static_selectorELNS0_4arch9wavefront6targetE1EEEvT1_,"axG",@progbits,_ZN7rocprim17ROCPRIM_400000_NS6detail17trampoline_kernelINS0_14default_configENS1_25partition_config_selectorILNS1_17partition_subalgoE1ExNS0_10empty_typeEbEEZZNS1_14partition_implILS5_1ELb0ES3_jN6thrust23THRUST_200600_302600_NS6detail15normal_iteratorINSA_10device_ptrIxEEEEPS6_NSA_18transform_iteratorINSA_8identityIxEESF_NSA_11use_defaultESK_EENS0_5tupleIJSF_SF_EEENSM_IJSG_SG_EEES6_PlJS6_EEE10hipError_tPvRmT3_T4_T5_T6_T7_T9_mT8_P12ihipStream_tbDpT10_ENKUlT_T0_E_clISt17integral_constantIbLb1EES19_EEDaS14_S15_EUlS14_E_NS1_11comp_targetILNS1_3genE0ELNS1_11target_archE4294967295ELNS1_3gpuE0ELNS1_3repE0EEENS1_30default_config_static_selectorELNS0_4arch9wavefront6targetE1EEEvT1_,comdat
	.protected	_ZN7rocprim17ROCPRIM_400000_NS6detail17trampoline_kernelINS0_14default_configENS1_25partition_config_selectorILNS1_17partition_subalgoE1ExNS0_10empty_typeEbEEZZNS1_14partition_implILS5_1ELb0ES3_jN6thrust23THRUST_200600_302600_NS6detail15normal_iteratorINSA_10device_ptrIxEEEEPS6_NSA_18transform_iteratorINSA_8identityIxEESF_NSA_11use_defaultESK_EENS0_5tupleIJSF_SF_EEENSM_IJSG_SG_EEES6_PlJS6_EEE10hipError_tPvRmT3_T4_T5_T6_T7_T9_mT8_P12ihipStream_tbDpT10_ENKUlT_T0_E_clISt17integral_constantIbLb1EES19_EEDaS14_S15_EUlS14_E_NS1_11comp_targetILNS1_3genE0ELNS1_11target_archE4294967295ELNS1_3gpuE0ELNS1_3repE0EEENS1_30default_config_static_selectorELNS0_4arch9wavefront6targetE1EEEvT1_ ; -- Begin function _ZN7rocprim17ROCPRIM_400000_NS6detail17trampoline_kernelINS0_14default_configENS1_25partition_config_selectorILNS1_17partition_subalgoE1ExNS0_10empty_typeEbEEZZNS1_14partition_implILS5_1ELb0ES3_jN6thrust23THRUST_200600_302600_NS6detail15normal_iteratorINSA_10device_ptrIxEEEEPS6_NSA_18transform_iteratorINSA_8identityIxEESF_NSA_11use_defaultESK_EENS0_5tupleIJSF_SF_EEENSM_IJSG_SG_EEES6_PlJS6_EEE10hipError_tPvRmT3_T4_T5_T6_T7_T9_mT8_P12ihipStream_tbDpT10_ENKUlT_T0_E_clISt17integral_constantIbLb1EES19_EEDaS14_S15_EUlS14_E_NS1_11comp_targetILNS1_3genE0ELNS1_11target_archE4294967295ELNS1_3gpuE0ELNS1_3repE0EEENS1_30default_config_static_selectorELNS0_4arch9wavefront6targetE1EEEvT1_
	.globl	_ZN7rocprim17ROCPRIM_400000_NS6detail17trampoline_kernelINS0_14default_configENS1_25partition_config_selectorILNS1_17partition_subalgoE1ExNS0_10empty_typeEbEEZZNS1_14partition_implILS5_1ELb0ES3_jN6thrust23THRUST_200600_302600_NS6detail15normal_iteratorINSA_10device_ptrIxEEEEPS6_NSA_18transform_iteratorINSA_8identityIxEESF_NSA_11use_defaultESK_EENS0_5tupleIJSF_SF_EEENSM_IJSG_SG_EEES6_PlJS6_EEE10hipError_tPvRmT3_T4_T5_T6_T7_T9_mT8_P12ihipStream_tbDpT10_ENKUlT_T0_E_clISt17integral_constantIbLb1EES19_EEDaS14_S15_EUlS14_E_NS1_11comp_targetILNS1_3genE0ELNS1_11target_archE4294967295ELNS1_3gpuE0ELNS1_3repE0EEENS1_30default_config_static_selectorELNS0_4arch9wavefront6targetE1EEEvT1_
	.p2align	8
	.type	_ZN7rocprim17ROCPRIM_400000_NS6detail17trampoline_kernelINS0_14default_configENS1_25partition_config_selectorILNS1_17partition_subalgoE1ExNS0_10empty_typeEbEEZZNS1_14partition_implILS5_1ELb0ES3_jN6thrust23THRUST_200600_302600_NS6detail15normal_iteratorINSA_10device_ptrIxEEEEPS6_NSA_18transform_iteratorINSA_8identityIxEESF_NSA_11use_defaultESK_EENS0_5tupleIJSF_SF_EEENSM_IJSG_SG_EEES6_PlJS6_EEE10hipError_tPvRmT3_T4_T5_T6_T7_T9_mT8_P12ihipStream_tbDpT10_ENKUlT_T0_E_clISt17integral_constantIbLb1EES19_EEDaS14_S15_EUlS14_E_NS1_11comp_targetILNS1_3genE0ELNS1_11target_archE4294967295ELNS1_3gpuE0ELNS1_3repE0EEENS1_30default_config_static_selectorELNS0_4arch9wavefront6targetE1EEEvT1_,@function
_ZN7rocprim17ROCPRIM_400000_NS6detail17trampoline_kernelINS0_14default_configENS1_25partition_config_selectorILNS1_17partition_subalgoE1ExNS0_10empty_typeEbEEZZNS1_14partition_implILS5_1ELb0ES3_jN6thrust23THRUST_200600_302600_NS6detail15normal_iteratorINSA_10device_ptrIxEEEEPS6_NSA_18transform_iteratorINSA_8identityIxEESF_NSA_11use_defaultESK_EENS0_5tupleIJSF_SF_EEENSM_IJSG_SG_EEES6_PlJS6_EEE10hipError_tPvRmT3_T4_T5_T6_T7_T9_mT8_P12ihipStream_tbDpT10_ENKUlT_T0_E_clISt17integral_constantIbLb1EES19_EEDaS14_S15_EUlS14_E_NS1_11comp_targetILNS1_3genE0ELNS1_11target_archE4294967295ELNS1_3gpuE0ELNS1_3repE0EEENS1_30default_config_static_selectorELNS0_4arch9wavefront6targetE1EEEvT1_: ; @_ZN7rocprim17ROCPRIM_400000_NS6detail17trampoline_kernelINS0_14default_configENS1_25partition_config_selectorILNS1_17partition_subalgoE1ExNS0_10empty_typeEbEEZZNS1_14partition_implILS5_1ELb0ES3_jN6thrust23THRUST_200600_302600_NS6detail15normal_iteratorINSA_10device_ptrIxEEEEPS6_NSA_18transform_iteratorINSA_8identityIxEESF_NSA_11use_defaultESK_EENS0_5tupleIJSF_SF_EEENSM_IJSG_SG_EEES6_PlJS6_EEE10hipError_tPvRmT3_T4_T5_T6_T7_T9_mT8_P12ihipStream_tbDpT10_ENKUlT_T0_E_clISt17integral_constantIbLb1EES19_EEDaS14_S15_EUlS14_E_NS1_11comp_targetILNS1_3genE0ELNS1_11target_archE4294967295ELNS1_3gpuE0ELNS1_3repE0EEENS1_30default_config_static_selectorELNS0_4arch9wavefront6targetE1EEEvT1_
; %bb.0:
	.section	.rodata,"a",@progbits
	.p2align	6, 0x0
	.amdhsa_kernel _ZN7rocprim17ROCPRIM_400000_NS6detail17trampoline_kernelINS0_14default_configENS1_25partition_config_selectorILNS1_17partition_subalgoE1ExNS0_10empty_typeEbEEZZNS1_14partition_implILS5_1ELb0ES3_jN6thrust23THRUST_200600_302600_NS6detail15normal_iteratorINSA_10device_ptrIxEEEEPS6_NSA_18transform_iteratorINSA_8identityIxEESF_NSA_11use_defaultESK_EENS0_5tupleIJSF_SF_EEENSM_IJSG_SG_EEES6_PlJS6_EEE10hipError_tPvRmT3_T4_T5_T6_T7_T9_mT8_P12ihipStream_tbDpT10_ENKUlT_T0_E_clISt17integral_constantIbLb1EES19_EEDaS14_S15_EUlS14_E_NS1_11comp_targetILNS1_3genE0ELNS1_11target_archE4294967295ELNS1_3gpuE0ELNS1_3repE0EEENS1_30default_config_static_selectorELNS0_4arch9wavefront6targetE1EEEvT1_
		.amdhsa_group_segment_fixed_size 0
		.amdhsa_private_segment_fixed_size 0
		.amdhsa_kernarg_size 144
		.amdhsa_user_sgpr_count 6
		.amdhsa_user_sgpr_private_segment_buffer 1
		.amdhsa_user_sgpr_dispatch_ptr 0
		.amdhsa_user_sgpr_queue_ptr 0
		.amdhsa_user_sgpr_kernarg_segment_ptr 1
		.amdhsa_user_sgpr_dispatch_id 0
		.amdhsa_user_sgpr_flat_scratch_init 0
		.amdhsa_user_sgpr_kernarg_preload_length 0
		.amdhsa_user_sgpr_kernarg_preload_offset 0
		.amdhsa_user_sgpr_private_segment_size 0
		.amdhsa_uses_dynamic_stack 0
		.amdhsa_system_sgpr_private_segment_wavefront_offset 0
		.amdhsa_system_sgpr_workgroup_id_x 1
		.amdhsa_system_sgpr_workgroup_id_y 0
		.amdhsa_system_sgpr_workgroup_id_z 0
		.amdhsa_system_sgpr_workgroup_info 0
		.amdhsa_system_vgpr_workitem_id 0
		.amdhsa_next_free_vgpr 1
		.amdhsa_next_free_sgpr 0
		.amdhsa_accum_offset 4
		.amdhsa_reserve_vcc 0
		.amdhsa_reserve_flat_scratch 0
		.amdhsa_float_round_mode_32 0
		.amdhsa_float_round_mode_16_64 0
		.amdhsa_float_denorm_mode_32 3
		.amdhsa_float_denorm_mode_16_64 3
		.amdhsa_dx10_clamp 1
		.amdhsa_ieee_mode 1
		.amdhsa_fp16_overflow 0
		.amdhsa_tg_split 0
		.amdhsa_exception_fp_ieee_invalid_op 0
		.amdhsa_exception_fp_denorm_src 0
		.amdhsa_exception_fp_ieee_div_zero 0
		.amdhsa_exception_fp_ieee_overflow 0
		.amdhsa_exception_fp_ieee_underflow 0
		.amdhsa_exception_fp_ieee_inexact 0
		.amdhsa_exception_int_div_zero 0
	.end_amdhsa_kernel
	.section	.text._ZN7rocprim17ROCPRIM_400000_NS6detail17trampoline_kernelINS0_14default_configENS1_25partition_config_selectorILNS1_17partition_subalgoE1ExNS0_10empty_typeEbEEZZNS1_14partition_implILS5_1ELb0ES3_jN6thrust23THRUST_200600_302600_NS6detail15normal_iteratorINSA_10device_ptrIxEEEEPS6_NSA_18transform_iteratorINSA_8identityIxEESF_NSA_11use_defaultESK_EENS0_5tupleIJSF_SF_EEENSM_IJSG_SG_EEES6_PlJS6_EEE10hipError_tPvRmT3_T4_T5_T6_T7_T9_mT8_P12ihipStream_tbDpT10_ENKUlT_T0_E_clISt17integral_constantIbLb1EES19_EEDaS14_S15_EUlS14_E_NS1_11comp_targetILNS1_3genE0ELNS1_11target_archE4294967295ELNS1_3gpuE0ELNS1_3repE0EEENS1_30default_config_static_selectorELNS0_4arch9wavefront6targetE1EEEvT1_,"axG",@progbits,_ZN7rocprim17ROCPRIM_400000_NS6detail17trampoline_kernelINS0_14default_configENS1_25partition_config_selectorILNS1_17partition_subalgoE1ExNS0_10empty_typeEbEEZZNS1_14partition_implILS5_1ELb0ES3_jN6thrust23THRUST_200600_302600_NS6detail15normal_iteratorINSA_10device_ptrIxEEEEPS6_NSA_18transform_iteratorINSA_8identityIxEESF_NSA_11use_defaultESK_EENS0_5tupleIJSF_SF_EEENSM_IJSG_SG_EEES6_PlJS6_EEE10hipError_tPvRmT3_T4_T5_T6_T7_T9_mT8_P12ihipStream_tbDpT10_ENKUlT_T0_E_clISt17integral_constantIbLb1EES19_EEDaS14_S15_EUlS14_E_NS1_11comp_targetILNS1_3genE0ELNS1_11target_archE4294967295ELNS1_3gpuE0ELNS1_3repE0EEENS1_30default_config_static_selectorELNS0_4arch9wavefront6targetE1EEEvT1_,comdat
.Lfunc_end585:
	.size	_ZN7rocprim17ROCPRIM_400000_NS6detail17trampoline_kernelINS0_14default_configENS1_25partition_config_selectorILNS1_17partition_subalgoE1ExNS0_10empty_typeEbEEZZNS1_14partition_implILS5_1ELb0ES3_jN6thrust23THRUST_200600_302600_NS6detail15normal_iteratorINSA_10device_ptrIxEEEEPS6_NSA_18transform_iteratorINSA_8identityIxEESF_NSA_11use_defaultESK_EENS0_5tupleIJSF_SF_EEENSM_IJSG_SG_EEES6_PlJS6_EEE10hipError_tPvRmT3_T4_T5_T6_T7_T9_mT8_P12ihipStream_tbDpT10_ENKUlT_T0_E_clISt17integral_constantIbLb1EES19_EEDaS14_S15_EUlS14_E_NS1_11comp_targetILNS1_3genE0ELNS1_11target_archE4294967295ELNS1_3gpuE0ELNS1_3repE0EEENS1_30default_config_static_selectorELNS0_4arch9wavefront6targetE1EEEvT1_, .Lfunc_end585-_ZN7rocprim17ROCPRIM_400000_NS6detail17trampoline_kernelINS0_14default_configENS1_25partition_config_selectorILNS1_17partition_subalgoE1ExNS0_10empty_typeEbEEZZNS1_14partition_implILS5_1ELb0ES3_jN6thrust23THRUST_200600_302600_NS6detail15normal_iteratorINSA_10device_ptrIxEEEEPS6_NSA_18transform_iteratorINSA_8identityIxEESF_NSA_11use_defaultESK_EENS0_5tupleIJSF_SF_EEENSM_IJSG_SG_EEES6_PlJS6_EEE10hipError_tPvRmT3_T4_T5_T6_T7_T9_mT8_P12ihipStream_tbDpT10_ENKUlT_T0_E_clISt17integral_constantIbLb1EES19_EEDaS14_S15_EUlS14_E_NS1_11comp_targetILNS1_3genE0ELNS1_11target_archE4294967295ELNS1_3gpuE0ELNS1_3repE0EEENS1_30default_config_static_selectorELNS0_4arch9wavefront6targetE1EEEvT1_
                                        ; -- End function
	.section	.AMDGPU.csdata,"",@progbits
; Kernel info:
; codeLenInByte = 0
; NumSgprs: 4
; NumVgprs: 0
; NumAgprs: 0
; TotalNumVgprs: 0
; ScratchSize: 0
; MemoryBound: 0
; FloatMode: 240
; IeeeMode: 1
; LDSByteSize: 0 bytes/workgroup (compile time only)
; SGPRBlocks: 0
; VGPRBlocks: 0
; NumSGPRsForWavesPerEU: 4
; NumVGPRsForWavesPerEU: 1
; AccumOffset: 4
; Occupancy: 8
; WaveLimiterHint : 0
; COMPUTE_PGM_RSRC2:SCRATCH_EN: 0
; COMPUTE_PGM_RSRC2:USER_SGPR: 6
; COMPUTE_PGM_RSRC2:TRAP_HANDLER: 0
; COMPUTE_PGM_RSRC2:TGID_X_EN: 1
; COMPUTE_PGM_RSRC2:TGID_Y_EN: 0
; COMPUTE_PGM_RSRC2:TGID_Z_EN: 0
; COMPUTE_PGM_RSRC2:TIDIG_COMP_CNT: 0
; COMPUTE_PGM_RSRC3_GFX90A:ACCUM_OFFSET: 0
; COMPUTE_PGM_RSRC3_GFX90A:TG_SPLIT: 0
	.section	.text._ZN7rocprim17ROCPRIM_400000_NS6detail17trampoline_kernelINS0_14default_configENS1_25partition_config_selectorILNS1_17partition_subalgoE1ExNS0_10empty_typeEbEEZZNS1_14partition_implILS5_1ELb0ES3_jN6thrust23THRUST_200600_302600_NS6detail15normal_iteratorINSA_10device_ptrIxEEEEPS6_NSA_18transform_iteratorINSA_8identityIxEESF_NSA_11use_defaultESK_EENS0_5tupleIJSF_SF_EEENSM_IJSG_SG_EEES6_PlJS6_EEE10hipError_tPvRmT3_T4_T5_T6_T7_T9_mT8_P12ihipStream_tbDpT10_ENKUlT_T0_E_clISt17integral_constantIbLb1EES19_EEDaS14_S15_EUlS14_E_NS1_11comp_targetILNS1_3genE5ELNS1_11target_archE942ELNS1_3gpuE9ELNS1_3repE0EEENS1_30default_config_static_selectorELNS0_4arch9wavefront6targetE1EEEvT1_,"axG",@progbits,_ZN7rocprim17ROCPRIM_400000_NS6detail17trampoline_kernelINS0_14default_configENS1_25partition_config_selectorILNS1_17partition_subalgoE1ExNS0_10empty_typeEbEEZZNS1_14partition_implILS5_1ELb0ES3_jN6thrust23THRUST_200600_302600_NS6detail15normal_iteratorINSA_10device_ptrIxEEEEPS6_NSA_18transform_iteratorINSA_8identityIxEESF_NSA_11use_defaultESK_EENS0_5tupleIJSF_SF_EEENSM_IJSG_SG_EEES6_PlJS6_EEE10hipError_tPvRmT3_T4_T5_T6_T7_T9_mT8_P12ihipStream_tbDpT10_ENKUlT_T0_E_clISt17integral_constantIbLb1EES19_EEDaS14_S15_EUlS14_E_NS1_11comp_targetILNS1_3genE5ELNS1_11target_archE942ELNS1_3gpuE9ELNS1_3repE0EEENS1_30default_config_static_selectorELNS0_4arch9wavefront6targetE1EEEvT1_,comdat
	.protected	_ZN7rocprim17ROCPRIM_400000_NS6detail17trampoline_kernelINS0_14default_configENS1_25partition_config_selectorILNS1_17partition_subalgoE1ExNS0_10empty_typeEbEEZZNS1_14partition_implILS5_1ELb0ES3_jN6thrust23THRUST_200600_302600_NS6detail15normal_iteratorINSA_10device_ptrIxEEEEPS6_NSA_18transform_iteratorINSA_8identityIxEESF_NSA_11use_defaultESK_EENS0_5tupleIJSF_SF_EEENSM_IJSG_SG_EEES6_PlJS6_EEE10hipError_tPvRmT3_T4_T5_T6_T7_T9_mT8_P12ihipStream_tbDpT10_ENKUlT_T0_E_clISt17integral_constantIbLb1EES19_EEDaS14_S15_EUlS14_E_NS1_11comp_targetILNS1_3genE5ELNS1_11target_archE942ELNS1_3gpuE9ELNS1_3repE0EEENS1_30default_config_static_selectorELNS0_4arch9wavefront6targetE1EEEvT1_ ; -- Begin function _ZN7rocprim17ROCPRIM_400000_NS6detail17trampoline_kernelINS0_14default_configENS1_25partition_config_selectorILNS1_17partition_subalgoE1ExNS0_10empty_typeEbEEZZNS1_14partition_implILS5_1ELb0ES3_jN6thrust23THRUST_200600_302600_NS6detail15normal_iteratorINSA_10device_ptrIxEEEEPS6_NSA_18transform_iteratorINSA_8identityIxEESF_NSA_11use_defaultESK_EENS0_5tupleIJSF_SF_EEENSM_IJSG_SG_EEES6_PlJS6_EEE10hipError_tPvRmT3_T4_T5_T6_T7_T9_mT8_P12ihipStream_tbDpT10_ENKUlT_T0_E_clISt17integral_constantIbLb1EES19_EEDaS14_S15_EUlS14_E_NS1_11comp_targetILNS1_3genE5ELNS1_11target_archE942ELNS1_3gpuE9ELNS1_3repE0EEENS1_30default_config_static_selectorELNS0_4arch9wavefront6targetE1EEEvT1_
	.globl	_ZN7rocprim17ROCPRIM_400000_NS6detail17trampoline_kernelINS0_14default_configENS1_25partition_config_selectorILNS1_17partition_subalgoE1ExNS0_10empty_typeEbEEZZNS1_14partition_implILS5_1ELb0ES3_jN6thrust23THRUST_200600_302600_NS6detail15normal_iteratorINSA_10device_ptrIxEEEEPS6_NSA_18transform_iteratorINSA_8identityIxEESF_NSA_11use_defaultESK_EENS0_5tupleIJSF_SF_EEENSM_IJSG_SG_EEES6_PlJS6_EEE10hipError_tPvRmT3_T4_T5_T6_T7_T9_mT8_P12ihipStream_tbDpT10_ENKUlT_T0_E_clISt17integral_constantIbLb1EES19_EEDaS14_S15_EUlS14_E_NS1_11comp_targetILNS1_3genE5ELNS1_11target_archE942ELNS1_3gpuE9ELNS1_3repE0EEENS1_30default_config_static_selectorELNS0_4arch9wavefront6targetE1EEEvT1_
	.p2align	8
	.type	_ZN7rocprim17ROCPRIM_400000_NS6detail17trampoline_kernelINS0_14default_configENS1_25partition_config_selectorILNS1_17partition_subalgoE1ExNS0_10empty_typeEbEEZZNS1_14partition_implILS5_1ELb0ES3_jN6thrust23THRUST_200600_302600_NS6detail15normal_iteratorINSA_10device_ptrIxEEEEPS6_NSA_18transform_iteratorINSA_8identityIxEESF_NSA_11use_defaultESK_EENS0_5tupleIJSF_SF_EEENSM_IJSG_SG_EEES6_PlJS6_EEE10hipError_tPvRmT3_T4_T5_T6_T7_T9_mT8_P12ihipStream_tbDpT10_ENKUlT_T0_E_clISt17integral_constantIbLb1EES19_EEDaS14_S15_EUlS14_E_NS1_11comp_targetILNS1_3genE5ELNS1_11target_archE942ELNS1_3gpuE9ELNS1_3repE0EEENS1_30default_config_static_selectorELNS0_4arch9wavefront6targetE1EEEvT1_,@function
_ZN7rocprim17ROCPRIM_400000_NS6detail17trampoline_kernelINS0_14default_configENS1_25partition_config_selectorILNS1_17partition_subalgoE1ExNS0_10empty_typeEbEEZZNS1_14partition_implILS5_1ELb0ES3_jN6thrust23THRUST_200600_302600_NS6detail15normal_iteratorINSA_10device_ptrIxEEEEPS6_NSA_18transform_iteratorINSA_8identityIxEESF_NSA_11use_defaultESK_EENS0_5tupleIJSF_SF_EEENSM_IJSG_SG_EEES6_PlJS6_EEE10hipError_tPvRmT3_T4_T5_T6_T7_T9_mT8_P12ihipStream_tbDpT10_ENKUlT_T0_E_clISt17integral_constantIbLb1EES19_EEDaS14_S15_EUlS14_E_NS1_11comp_targetILNS1_3genE5ELNS1_11target_archE942ELNS1_3gpuE9ELNS1_3repE0EEENS1_30default_config_static_selectorELNS0_4arch9wavefront6targetE1EEEvT1_: ; @_ZN7rocprim17ROCPRIM_400000_NS6detail17trampoline_kernelINS0_14default_configENS1_25partition_config_selectorILNS1_17partition_subalgoE1ExNS0_10empty_typeEbEEZZNS1_14partition_implILS5_1ELb0ES3_jN6thrust23THRUST_200600_302600_NS6detail15normal_iteratorINSA_10device_ptrIxEEEEPS6_NSA_18transform_iteratorINSA_8identityIxEESF_NSA_11use_defaultESK_EENS0_5tupleIJSF_SF_EEENSM_IJSG_SG_EEES6_PlJS6_EEE10hipError_tPvRmT3_T4_T5_T6_T7_T9_mT8_P12ihipStream_tbDpT10_ENKUlT_T0_E_clISt17integral_constantIbLb1EES19_EEDaS14_S15_EUlS14_E_NS1_11comp_targetILNS1_3genE5ELNS1_11target_archE942ELNS1_3gpuE9ELNS1_3repE0EEENS1_30default_config_static_selectorELNS0_4arch9wavefront6targetE1EEEvT1_
; %bb.0:
	.section	.rodata,"a",@progbits
	.p2align	6, 0x0
	.amdhsa_kernel _ZN7rocprim17ROCPRIM_400000_NS6detail17trampoline_kernelINS0_14default_configENS1_25partition_config_selectorILNS1_17partition_subalgoE1ExNS0_10empty_typeEbEEZZNS1_14partition_implILS5_1ELb0ES3_jN6thrust23THRUST_200600_302600_NS6detail15normal_iteratorINSA_10device_ptrIxEEEEPS6_NSA_18transform_iteratorINSA_8identityIxEESF_NSA_11use_defaultESK_EENS0_5tupleIJSF_SF_EEENSM_IJSG_SG_EEES6_PlJS6_EEE10hipError_tPvRmT3_T4_T5_T6_T7_T9_mT8_P12ihipStream_tbDpT10_ENKUlT_T0_E_clISt17integral_constantIbLb1EES19_EEDaS14_S15_EUlS14_E_NS1_11comp_targetILNS1_3genE5ELNS1_11target_archE942ELNS1_3gpuE9ELNS1_3repE0EEENS1_30default_config_static_selectorELNS0_4arch9wavefront6targetE1EEEvT1_
		.amdhsa_group_segment_fixed_size 0
		.amdhsa_private_segment_fixed_size 0
		.amdhsa_kernarg_size 144
		.amdhsa_user_sgpr_count 6
		.amdhsa_user_sgpr_private_segment_buffer 1
		.amdhsa_user_sgpr_dispatch_ptr 0
		.amdhsa_user_sgpr_queue_ptr 0
		.amdhsa_user_sgpr_kernarg_segment_ptr 1
		.amdhsa_user_sgpr_dispatch_id 0
		.amdhsa_user_sgpr_flat_scratch_init 0
		.amdhsa_user_sgpr_kernarg_preload_length 0
		.amdhsa_user_sgpr_kernarg_preload_offset 0
		.amdhsa_user_sgpr_private_segment_size 0
		.amdhsa_uses_dynamic_stack 0
		.amdhsa_system_sgpr_private_segment_wavefront_offset 0
		.amdhsa_system_sgpr_workgroup_id_x 1
		.amdhsa_system_sgpr_workgroup_id_y 0
		.amdhsa_system_sgpr_workgroup_id_z 0
		.amdhsa_system_sgpr_workgroup_info 0
		.amdhsa_system_vgpr_workitem_id 0
		.amdhsa_next_free_vgpr 1
		.amdhsa_next_free_sgpr 0
		.amdhsa_accum_offset 4
		.amdhsa_reserve_vcc 0
		.amdhsa_reserve_flat_scratch 0
		.amdhsa_float_round_mode_32 0
		.amdhsa_float_round_mode_16_64 0
		.amdhsa_float_denorm_mode_32 3
		.amdhsa_float_denorm_mode_16_64 3
		.amdhsa_dx10_clamp 1
		.amdhsa_ieee_mode 1
		.amdhsa_fp16_overflow 0
		.amdhsa_tg_split 0
		.amdhsa_exception_fp_ieee_invalid_op 0
		.amdhsa_exception_fp_denorm_src 0
		.amdhsa_exception_fp_ieee_div_zero 0
		.amdhsa_exception_fp_ieee_overflow 0
		.amdhsa_exception_fp_ieee_underflow 0
		.amdhsa_exception_fp_ieee_inexact 0
		.amdhsa_exception_int_div_zero 0
	.end_amdhsa_kernel
	.section	.text._ZN7rocprim17ROCPRIM_400000_NS6detail17trampoline_kernelINS0_14default_configENS1_25partition_config_selectorILNS1_17partition_subalgoE1ExNS0_10empty_typeEbEEZZNS1_14partition_implILS5_1ELb0ES3_jN6thrust23THRUST_200600_302600_NS6detail15normal_iteratorINSA_10device_ptrIxEEEEPS6_NSA_18transform_iteratorINSA_8identityIxEESF_NSA_11use_defaultESK_EENS0_5tupleIJSF_SF_EEENSM_IJSG_SG_EEES6_PlJS6_EEE10hipError_tPvRmT3_T4_T5_T6_T7_T9_mT8_P12ihipStream_tbDpT10_ENKUlT_T0_E_clISt17integral_constantIbLb1EES19_EEDaS14_S15_EUlS14_E_NS1_11comp_targetILNS1_3genE5ELNS1_11target_archE942ELNS1_3gpuE9ELNS1_3repE0EEENS1_30default_config_static_selectorELNS0_4arch9wavefront6targetE1EEEvT1_,"axG",@progbits,_ZN7rocprim17ROCPRIM_400000_NS6detail17trampoline_kernelINS0_14default_configENS1_25partition_config_selectorILNS1_17partition_subalgoE1ExNS0_10empty_typeEbEEZZNS1_14partition_implILS5_1ELb0ES3_jN6thrust23THRUST_200600_302600_NS6detail15normal_iteratorINSA_10device_ptrIxEEEEPS6_NSA_18transform_iteratorINSA_8identityIxEESF_NSA_11use_defaultESK_EENS0_5tupleIJSF_SF_EEENSM_IJSG_SG_EEES6_PlJS6_EEE10hipError_tPvRmT3_T4_T5_T6_T7_T9_mT8_P12ihipStream_tbDpT10_ENKUlT_T0_E_clISt17integral_constantIbLb1EES19_EEDaS14_S15_EUlS14_E_NS1_11comp_targetILNS1_3genE5ELNS1_11target_archE942ELNS1_3gpuE9ELNS1_3repE0EEENS1_30default_config_static_selectorELNS0_4arch9wavefront6targetE1EEEvT1_,comdat
.Lfunc_end586:
	.size	_ZN7rocprim17ROCPRIM_400000_NS6detail17trampoline_kernelINS0_14default_configENS1_25partition_config_selectorILNS1_17partition_subalgoE1ExNS0_10empty_typeEbEEZZNS1_14partition_implILS5_1ELb0ES3_jN6thrust23THRUST_200600_302600_NS6detail15normal_iteratorINSA_10device_ptrIxEEEEPS6_NSA_18transform_iteratorINSA_8identityIxEESF_NSA_11use_defaultESK_EENS0_5tupleIJSF_SF_EEENSM_IJSG_SG_EEES6_PlJS6_EEE10hipError_tPvRmT3_T4_T5_T6_T7_T9_mT8_P12ihipStream_tbDpT10_ENKUlT_T0_E_clISt17integral_constantIbLb1EES19_EEDaS14_S15_EUlS14_E_NS1_11comp_targetILNS1_3genE5ELNS1_11target_archE942ELNS1_3gpuE9ELNS1_3repE0EEENS1_30default_config_static_selectorELNS0_4arch9wavefront6targetE1EEEvT1_, .Lfunc_end586-_ZN7rocprim17ROCPRIM_400000_NS6detail17trampoline_kernelINS0_14default_configENS1_25partition_config_selectorILNS1_17partition_subalgoE1ExNS0_10empty_typeEbEEZZNS1_14partition_implILS5_1ELb0ES3_jN6thrust23THRUST_200600_302600_NS6detail15normal_iteratorINSA_10device_ptrIxEEEEPS6_NSA_18transform_iteratorINSA_8identityIxEESF_NSA_11use_defaultESK_EENS0_5tupleIJSF_SF_EEENSM_IJSG_SG_EEES6_PlJS6_EEE10hipError_tPvRmT3_T4_T5_T6_T7_T9_mT8_P12ihipStream_tbDpT10_ENKUlT_T0_E_clISt17integral_constantIbLb1EES19_EEDaS14_S15_EUlS14_E_NS1_11comp_targetILNS1_3genE5ELNS1_11target_archE942ELNS1_3gpuE9ELNS1_3repE0EEENS1_30default_config_static_selectorELNS0_4arch9wavefront6targetE1EEEvT1_
                                        ; -- End function
	.section	.AMDGPU.csdata,"",@progbits
; Kernel info:
; codeLenInByte = 0
; NumSgprs: 4
; NumVgprs: 0
; NumAgprs: 0
; TotalNumVgprs: 0
; ScratchSize: 0
; MemoryBound: 0
; FloatMode: 240
; IeeeMode: 1
; LDSByteSize: 0 bytes/workgroup (compile time only)
; SGPRBlocks: 0
; VGPRBlocks: 0
; NumSGPRsForWavesPerEU: 4
; NumVGPRsForWavesPerEU: 1
; AccumOffset: 4
; Occupancy: 8
; WaveLimiterHint : 0
; COMPUTE_PGM_RSRC2:SCRATCH_EN: 0
; COMPUTE_PGM_RSRC2:USER_SGPR: 6
; COMPUTE_PGM_RSRC2:TRAP_HANDLER: 0
; COMPUTE_PGM_RSRC2:TGID_X_EN: 1
; COMPUTE_PGM_RSRC2:TGID_Y_EN: 0
; COMPUTE_PGM_RSRC2:TGID_Z_EN: 0
; COMPUTE_PGM_RSRC2:TIDIG_COMP_CNT: 0
; COMPUTE_PGM_RSRC3_GFX90A:ACCUM_OFFSET: 0
; COMPUTE_PGM_RSRC3_GFX90A:TG_SPLIT: 0
	.section	.text._ZN7rocprim17ROCPRIM_400000_NS6detail17trampoline_kernelINS0_14default_configENS1_25partition_config_selectorILNS1_17partition_subalgoE1ExNS0_10empty_typeEbEEZZNS1_14partition_implILS5_1ELb0ES3_jN6thrust23THRUST_200600_302600_NS6detail15normal_iteratorINSA_10device_ptrIxEEEEPS6_NSA_18transform_iteratorINSA_8identityIxEESF_NSA_11use_defaultESK_EENS0_5tupleIJSF_SF_EEENSM_IJSG_SG_EEES6_PlJS6_EEE10hipError_tPvRmT3_T4_T5_T6_T7_T9_mT8_P12ihipStream_tbDpT10_ENKUlT_T0_E_clISt17integral_constantIbLb1EES19_EEDaS14_S15_EUlS14_E_NS1_11comp_targetILNS1_3genE4ELNS1_11target_archE910ELNS1_3gpuE8ELNS1_3repE0EEENS1_30default_config_static_selectorELNS0_4arch9wavefront6targetE1EEEvT1_,"axG",@progbits,_ZN7rocprim17ROCPRIM_400000_NS6detail17trampoline_kernelINS0_14default_configENS1_25partition_config_selectorILNS1_17partition_subalgoE1ExNS0_10empty_typeEbEEZZNS1_14partition_implILS5_1ELb0ES3_jN6thrust23THRUST_200600_302600_NS6detail15normal_iteratorINSA_10device_ptrIxEEEEPS6_NSA_18transform_iteratorINSA_8identityIxEESF_NSA_11use_defaultESK_EENS0_5tupleIJSF_SF_EEENSM_IJSG_SG_EEES6_PlJS6_EEE10hipError_tPvRmT3_T4_T5_T6_T7_T9_mT8_P12ihipStream_tbDpT10_ENKUlT_T0_E_clISt17integral_constantIbLb1EES19_EEDaS14_S15_EUlS14_E_NS1_11comp_targetILNS1_3genE4ELNS1_11target_archE910ELNS1_3gpuE8ELNS1_3repE0EEENS1_30default_config_static_selectorELNS0_4arch9wavefront6targetE1EEEvT1_,comdat
	.protected	_ZN7rocprim17ROCPRIM_400000_NS6detail17trampoline_kernelINS0_14default_configENS1_25partition_config_selectorILNS1_17partition_subalgoE1ExNS0_10empty_typeEbEEZZNS1_14partition_implILS5_1ELb0ES3_jN6thrust23THRUST_200600_302600_NS6detail15normal_iteratorINSA_10device_ptrIxEEEEPS6_NSA_18transform_iteratorINSA_8identityIxEESF_NSA_11use_defaultESK_EENS0_5tupleIJSF_SF_EEENSM_IJSG_SG_EEES6_PlJS6_EEE10hipError_tPvRmT3_T4_T5_T6_T7_T9_mT8_P12ihipStream_tbDpT10_ENKUlT_T0_E_clISt17integral_constantIbLb1EES19_EEDaS14_S15_EUlS14_E_NS1_11comp_targetILNS1_3genE4ELNS1_11target_archE910ELNS1_3gpuE8ELNS1_3repE0EEENS1_30default_config_static_selectorELNS0_4arch9wavefront6targetE1EEEvT1_ ; -- Begin function _ZN7rocprim17ROCPRIM_400000_NS6detail17trampoline_kernelINS0_14default_configENS1_25partition_config_selectorILNS1_17partition_subalgoE1ExNS0_10empty_typeEbEEZZNS1_14partition_implILS5_1ELb0ES3_jN6thrust23THRUST_200600_302600_NS6detail15normal_iteratorINSA_10device_ptrIxEEEEPS6_NSA_18transform_iteratorINSA_8identityIxEESF_NSA_11use_defaultESK_EENS0_5tupleIJSF_SF_EEENSM_IJSG_SG_EEES6_PlJS6_EEE10hipError_tPvRmT3_T4_T5_T6_T7_T9_mT8_P12ihipStream_tbDpT10_ENKUlT_T0_E_clISt17integral_constantIbLb1EES19_EEDaS14_S15_EUlS14_E_NS1_11comp_targetILNS1_3genE4ELNS1_11target_archE910ELNS1_3gpuE8ELNS1_3repE0EEENS1_30default_config_static_selectorELNS0_4arch9wavefront6targetE1EEEvT1_
	.globl	_ZN7rocprim17ROCPRIM_400000_NS6detail17trampoline_kernelINS0_14default_configENS1_25partition_config_selectorILNS1_17partition_subalgoE1ExNS0_10empty_typeEbEEZZNS1_14partition_implILS5_1ELb0ES3_jN6thrust23THRUST_200600_302600_NS6detail15normal_iteratorINSA_10device_ptrIxEEEEPS6_NSA_18transform_iteratorINSA_8identityIxEESF_NSA_11use_defaultESK_EENS0_5tupleIJSF_SF_EEENSM_IJSG_SG_EEES6_PlJS6_EEE10hipError_tPvRmT3_T4_T5_T6_T7_T9_mT8_P12ihipStream_tbDpT10_ENKUlT_T0_E_clISt17integral_constantIbLb1EES19_EEDaS14_S15_EUlS14_E_NS1_11comp_targetILNS1_3genE4ELNS1_11target_archE910ELNS1_3gpuE8ELNS1_3repE0EEENS1_30default_config_static_selectorELNS0_4arch9wavefront6targetE1EEEvT1_
	.p2align	8
	.type	_ZN7rocprim17ROCPRIM_400000_NS6detail17trampoline_kernelINS0_14default_configENS1_25partition_config_selectorILNS1_17partition_subalgoE1ExNS0_10empty_typeEbEEZZNS1_14partition_implILS5_1ELb0ES3_jN6thrust23THRUST_200600_302600_NS6detail15normal_iteratorINSA_10device_ptrIxEEEEPS6_NSA_18transform_iteratorINSA_8identityIxEESF_NSA_11use_defaultESK_EENS0_5tupleIJSF_SF_EEENSM_IJSG_SG_EEES6_PlJS6_EEE10hipError_tPvRmT3_T4_T5_T6_T7_T9_mT8_P12ihipStream_tbDpT10_ENKUlT_T0_E_clISt17integral_constantIbLb1EES19_EEDaS14_S15_EUlS14_E_NS1_11comp_targetILNS1_3genE4ELNS1_11target_archE910ELNS1_3gpuE8ELNS1_3repE0EEENS1_30default_config_static_selectorELNS0_4arch9wavefront6targetE1EEEvT1_,@function
_ZN7rocprim17ROCPRIM_400000_NS6detail17trampoline_kernelINS0_14default_configENS1_25partition_config_selectorILNS1_17partition_subalgoE1ExNS0_10empty_typeEbEEZZNS1_14partition_implILS5_1ELb0ES3_jN6thrust23THRUST_200600_302600_NS6detail15normal_iteratorINSA_10device_ptrIxEEEEPS6_NSA_18transform_iteratorINSA_8identityIxEESF_NSA_11use_defaultESK_EENS0_5tupleIJSF_SF_EEENSM_IJSG_SG_EEES6_PlJS6_EEE10hipError_tPvRmT3_T4_T5_T6_T7_T9_mT8_P12ihipStream_tbDpT10_ENKUlT_T0_E_clISt17integral_constantIbLb1EES19_EEDaS14_S15_EUlS14_E_NS1_11comp_targetILNS1_3genE4ELNS1_11target_archE910ELNS1_3gpuE8ELNS1_3repE0EEENS1_30default_config_static_selectorELNS0_4arch9wavefront6targetE1EEEvT1_: ; @_ZN7rocprim17ROCPRIM_400000_NS6detail17trampoline_kernelINS0_14default_configENS1_25partition_config_selectorILNS1_17partition_subalgoE1ExNS0_10empty_typeEbEEZZNS1_14partition_implILS5_1ELb0ES3_jN6thrust23THRUST_200600_302600_NS6detail15normal_iteratorINSA_10device_ptrIxEEEEPS6_NSA_18transform_iteratorINSA_8identityIxEESF_NSA_11use_defaultESK_EENS0_5tupleIJSF_SF_EEENSM_IJSG_SG_EEES6_PlJS6_EEE10hipError_tPvRmT3_T4_T5_T6_T7_T9_mT8_P12ihipStream_tbDpT10_ENKUlT_T0_E_clISt17integral_constantIbLb1EES19_EEDaS14_S15_EUlS14_E_NS1_11comp_targetILNS1_3genE4ELNS1_11target_archE910ELNS1_3gpuE8ELNS1_3repE0EEENS1_30default_config_static_selectorELNS0_4arch9wavefront6targetE1EEEvT1_
; %bb.0:
	s_load_dwordx2 s[6:7], s[4:5], 0x20
	s_load_dwordx4 s[20:23], s[4:5], 0x50
	s_load_dwordx2 s[2:3], s[4:5], 0x60
	s_load_dwordx2 s[30:31], s[4:5], 0x70
	v_cmp_eq_u32_e64 s[0:1], 0, v0
	s_and_saveexec_b64 s[8:9], s[0:1]
	s_cbranch_execz .LBB587_4
; %bb.1:
	s_mov_b64 s[12:13], exec
	v_mbcnt_lo_u32_b32 v1, s12, 0
	v_mbcnt_hi_u32_b32 v1, s13, v1
	v_cmp_eq_u32_e32 vcc, 0, v1
                                        ; implicit-def: $vgpr2
	s_and_saveexec_b64 s[10:11], vcc
	s_cbranch_execz .LBB587_3
; %bb.2:
	s_load_dwordx2 s[14:15], s[4:5], 0x80
	s_bcnt1_i32_b64 s12, s[12:13]
	v_mov_b32_e32 v2, 0
	v_mov_b32_e32 v3, s12
	s_waitcnt lgkmcnt(0)
	global_atomic_add v2, v2, v3, s[14:15] glc
.LBB587_3:
	s_or_b64 exec, exec, s[10:11]
	s_waitcnt vmcnt(0)
	v_readfirstlane_b32 s10, v2
	v_add_u32_e32 v1, s10, v1
	v_mov_b32_e32 v2, 0
	ds_write_b32 v2, v1
.LBB587_4:
	s_or_b64 exec, exec, s[8:9]
	v_mov_b32_e32 v3, 0
	s_load_dwordx4 s[16:19], s[4:5], 0x8
	s_load_dwordx4 s[24:27], s[4:5], 0x30
	s_load_dword s8, s[4:5], 0x78
	s_waitcnt lgkmcnt(0)
	s_barrier
	ds_read_b32 v1, v3
	s_waitcnt lgkmcnt(0)
	s_barrier
	global_load_dwordx2 v[10:11], v3, s[22:23]
	v_mov_b32_e32 v5, s3
	s_lshl_b64 s[4:5], s[18:19], 3
	s_movk_i32 s3, 0x300
	s_add_u32 s9, s16, s4
	v_mul_lo_u32 v2, v1, s3
	s_mul_i32 s3, s8, 0x300
	s_addc_u32 s10, s17, s5
	s_add_i32 s11, s8, -1
	s_add_i32 s8, s3, s18
	s_sub_i32 s33, s2, s8
	s_addk_i32 s33, 0x300
	v_mov_b32_e32 v4, s2
	s_add_u32 s2, s18, s3
	v_readfirstlane_b32 s40, v1
	s_addc_u32 s3, s19, 0
	s_cmp_eq_u32 s40, s11
	s_cselect_b64 s[22:23], -1, 0
	s_cmp_lg_u32 s40, s11
	v_cmp_lt_u64_e32 vcc, s[2:3], v[4:5]
	s_cselect_b64 s[2:3], -1, 0
	v_lshlrev_b64 v[12:13], 3, v[2:3]
	s_or_b64 s[28:29], vcc, s[2:3]
	v_mov_b32_e32 v1, s10
	v_add_co_u32_e32 v14, vcc, s9, v12
	v_addc_co_u32_e32 v15, vcc, v1, v13, vcc
	s_mov_b64 s[2:3], -1
	s_and_b64 vcc, exec, s[28:29]
	v_lshlrev_b32_e32 v24, 3, v0
	v_lshrrev_b32_e32 v1, 2, v0
	s_cbranch_vccz .LBB587_6
; %bb.5:
	v_add_co_u32_e32 v2, vcc, v14, v24
	v_addc_co_u32_e32 v3, vcc, 0, v15, vcc
	v_add_co_u32_e32 v4, vcc, 0x1000, v2
	v_addc_co_u32_e32 v5, vcc, 0, v3, vcc
	flat_load_dwordx2 v[6:7], v[2:3]
	flat_load_dwordx2 v[8:9], v[2:3] offset:1536
	flat_load_dwordx2 v[16:17], v[2:3] offset:3072
	;; [unrolled: 1-line block ×3, first 2 shown]
	v_add_u32_e32 v3, 0xc0, v0
	v_add_u32_e32 v4, 0x180, v0
	;; [unrolled: 1-line block ×3, first 2 shown]
	v_and_b32_e32 v2, 56, v1
	v_lshrrev_b32_e32 v3, 2, v3
	v_lshrrev_b32_e32 v4, 2, v4
	;; [unrolled: 1-line block ×3, first 2 shown]
	v_add_u32_e32 v2, v2, v24
	v_and_b32_e32 v3, 0x78, v3
	v_and_b32_e32 v4, 0xf8, v4
	;; [unrolled: 1-line block ×3, first 2 shown]
	v_add_u32_e32 v3, v3, v24
	v_add_u32_e32 v4, v4, v24
	v_add_u32_e32 v5, v5, v24
	s_mov_b64 s[2:3], 0
	s_waitcnt vmcnt(0) lgkmcnt(0)
	ds_write_b64 v2, v[6:7]
	ds_write_b64 v3, v[8:9] offset:1536
	ds_write_b64 v4, v[16:17] offset:3072
	;; [unrolled: 1-line block ×3, first 2 shown]
	s_waitcnt lgkmcnt(0)
	s_barrier
.LBB587_6:
	s_andn2_b64 vcc, exec, s[2:3]
	v_cmp_gt_u32_e64 s[2:3], s33, v0
	s_cbranch_vccnz .LBB587_16
; %bb.7:
                                        ; implicit-def: $vgpr2_vgpr3_vgpr4_vgpr5_vgpr6_vgpr7_vgpr8_vgpr9
	s_and_saveexec_b64 s[8:9], s[2:3]
	s_cbranch_execz .LBB587_9
; %bb.8:
	v_add_co_u32_e32 v2, vcc, v14, v24
	v_addc_co_u32_e32 v3, vcc, 0, v15, vcc
	flat_load_dwordx2 v[2:3], v[2:3]
.LBB587_9:
	s_or_b64 exec, exec, s[8:9]
	v_add_u32_e32 v16, 0xc0, v0
	v_cmp_gt_u32_e32 vcc, s33, v16
	s_and_saveexec_b64 s[2:3], vcc
	s_cbranch_execz .LBB587_11
; %bb.10:
	v_add_co_u32_e32 v4, vcc, v14, v24
	v_addc_co_u32_e32 v5, vcc, 0, v15, vcc
	flat_load_dwordx2 v[4:5], v[4:5] offset:1536
.LBB587_11:
	s_or_b64 exec, exec, s[2:3]
	v_add_u32_e32 v17, 0x180, v0
	v_cmp_gt_u32_e32 vcc, s33, v17
	s_and_saveexec_b64 s[2:3], vcc
	s_cbranch_execz .LBB587_13
; %bb.12:
	v_add_co_u32_e32 v6, vcc, v14, v24
	v_addc_co_u32_e32 v7, vcc, 0, v15, vcc
	flat_load_dwordx2 v[6:7], v[6:7] offset:3072
.LBB587_13:
	s_or_b64 exec, exec, s[2:3]
	v_add_u32_e32 v18, 0x240, v0
	v_cmp_gt_u32_e32 vcc, s33, v18
	s_and_saveexec_b64 s[2:3], vcc
	s_cbranch_execz .LBB587_15
; %bb.14:
	v_lshlrev_b32_e32 v8, 3, v18
	v_add_co_u32_e32 v8, vcc, v14, v8
	v_addc_co_u32_e32 v9, vcc, 0, v15, vcc
	flat_load_dwordx2 v[8:9], v[8:9]
.LBB587_15:
	s_or_b64 exec, exec, s[2:3]
	v_and_b32_e32 v1, 56, v1
	v_add_u32_e32 v1, v1, v24
	s_waitcnt vmcnt(0) lgkmcnt(0)
	ds_write_b64 v1, v[2:3]
	v_lshrrev_b32_e32 v1, 2, v16
	v_and_b32_e32 v1, 0x78, v1
	v_add_u32_e32 v1, v1, v24
	ds_write_b64 v1, v[4:5] offset:1536
	v_lshrrev_b32_e32 v1, 2, v17
	v_and_b32_e32 v1, 0xf8, v1
	v_add_u32_e32 v1, v1, v24
	ds_write_b64 v1, v[6:7] offset:3072
	;; [unrolled: 4-line block ×3, first 2 shown]
	s_waitcnt lgkmcnt(0)
	s_barrier
.LBB587_16:
	v_lshlrev_b32_e32 v25, 2, v0
	v_lshrrev_b32_e32 v15, 3, v0
	v_add_lshl_u32 v1, v15, v25, 3
	s_add_u32 s2, s6, s4
	ds_read2_b64 v[6:9], v1 offset1:1
	ds_read2_b64 v[2:5], v1 offset0:2 offset1:3
	s_addc_u32 s3, s7, s5
	v_mov_b32_e32 v1, s3
	v_add_co_u32_e32 v14, vcc, s2, v12
	v_addc_co_u32_e32 v1, vcc, v1, v13, vcc
	s_mov_b64 s[2:3], -1
	s_and_b64 vcc, exec, s[28:29]
	v_lshrrev_b32_e32 v16, 5, v0
	s_waitcnt lgkmcnt(0)
	s_barrier
	s_cbranch_vccz .LBB587_18
; %bb.17:
	v_add_co_u32_e32 v17, vcc, v14, v24
	v_readfirstlane_b32 s2, v14
	v_readfirstlane_b32 s3, v1
	v_addc_co_u32_e32 v27, vcc, 0, v1, vcc
	s_nop 3
	global_load_dwordx2 v[18:19], v24, s[2:3]
	global_load_dwordx2 v[20:21], v24, s[2:3] offset:1536
	global_load_dwordx2 v[22:23], v24, s[2:3] offset:3072
	s_movk_i32 s2, 0x1000
	v_add_co_u32_e32 v26, vcc, s2, v17
	v_addc_co_u32_e32 v27, vcc, 0, v27, vcc
	global_load_dwordx2 v[26:27], v[26:27], off offset:512
	v_add_u32_e32 v28, 0xc0, v0
	v_add_u32_e32 v29, 0x180, v0
	;; [unrolled: 1-line block ×3, first 2 shown]
	v_and_b32_e32 v17, 4, v16
	v_lshrrev_b32_e32 v28, 5, v28
	v_lshrrev_b32_e32 v29, 5, v29
	;; [unrolled: 1-line block ×3, first 2 shown]
	v_add_u32_e32 v17, v17, v0
	v_and_b32_e32 v28, 12, v28
	v_and_b32_e32 v29, 28, v29
	;; [unrolled: 1-line block ×3, first 2 shown]
	v_add_u32_e32 v28, v28, v0
	v_add_u32_e32 v29, v29, v0
	;; [unrolled: 1-line block ×3, first 2 shown]
	s_mov_b64 s[2:3], 0
	s_waitcnt vmcnt(3)
	v_cmp_ne_u64_e32 vcc, 0, v[18:19]
	v_cndmask_b32_e64 v18, 0, 1, vcc
	s_waitcnt vmcnt(2)
	v_cmp_ne_u64_e32 vcc, 0, v[20:21]
	v_cndmask_b32_e64 v19, 0, 1, vcc
	;; [unrolled: 3-line block ×3, first 2 shown]
	ds_write_b8 v17, v18
	ds_write_b8 v28, v19 offset:192
	ds_write_b8 v29, v20 offset:384
	s_waitcnt vmcnt(0)
	v_cmp_ne_u64_e32 vcc, 0, v[26:27]
	v_cndmask_b32_e64 v17, 0, 1, vcc
	ds_write_b8 v30, v17 offset:576
	s_waitcnt lgkmcnt(0)
	s_barrier
.LBB587_18:
	s_andn2_b64 vcc, exec, s[2:3]
	s_cbranch_vccnz .LBB587_28
; %bb.19:
	v_cmp_gt_u32_e32 vcc, s33, v0
	v_mov_b32_e32 v17, 0
	v_mov_b32_e32 v18, 0
	s_and_saveexec_b64 s[2:3], vcc
	s_cbranch_execz .LBB587_21
; %bb.20:
	v_readfirstlane_b32 s4, v14
	v_readfirstlane_b32 s5, v1
	s_nop 4
	global_load_dwordx2 v[18:19], v24, s[4:5]
	s_waitcnt vmcnt(0)
	v_cmp_ne_u64_e32 vcc, 0, v[18:19]
	v_cndmask_b32_e64 v18, 0, 1, vcc
.LBB587_21:
	s_or_b64 exec, exec, s[2:3]
	v_add_u32_e32 v19, 0xc0, v0
	v_cmp_gt_u32_e32 vcc, s33, v19
	s_and_saveexec_b64 s[2:3], vcc
	s_cbranch_execz .LBB587_23
; %bb.22:
	v_readfirstlane_b32 s4, v14
	v_readfirstlane_b32 s5, v1
	s_nop 4
	global_load_dwordx2 v[20:21], v24, s[4:5] offset:1536
	s_waitcnt vmcnt(0)
	v_cmp_ne_u64_e32 vcc, 0, v[20:21]
	v_cndmask_b32_e64 v17, 0, 1, vcc
.LBB587_23:
	s_or_b64 exec, exec, s[2:3]
	v_add_u32_e32 v20, 0x180, v0
	v_cmp_gt_u32_e32 vcc, s33, v20
	v_mov_b32_e32 v21, 0
	v_mov_b32_e32 v22, 0
	s_and_saveexec_b64 s[2:3], vcc
	s_cbranch_execz .LBB587_25
; %bb.24:
	v_readfirstlane_b32 s4, v14
	v_readfirstlane_b32 s5, v1
	s_nop 4
	global_load_dwordx2 v[22:23], v24, s[4:5] offset:3072
	s_waitcnt vmcnt(0)
	v_cmp_ne_u64_e32 vcc, 0, v[22:23]
	v_cndmask_b32_e64 v22, 0, 1, vcc
.LBB587_25:
	s_or_b64 exec, exec, s[2:3]
	v_add_u32_e32 v23, 0x240, v0
	v_cmp_gt_u32_e32 vcc, s33, v23
	s_and_saveexec_b64 s[2:3], vcc
	s_cbranch_execz .LBB587_27
; %bb.26:
	v_lshlrev_b32_e32 v21, 3, v23
	v_readfirstlane_b32 s4, v14
	v_readfirstlane_b32 s5, v1
	s_nop 4
	global_load_dwordx2 v[26:27], v21, s[4:5]
	s_waitcnt vmcnt(0)
	v_cmp_ne_u64_e32 vcc, 0, v[26:27]
	v_cndmask_b32_e64 v21, 0, 1, vcc
.LBB587_27:
	s_or_b64 exec, exec, s[2:3]
	v_and_b32_e32 v1, 4, v16
	v_add_u32_e32 v1, v1, v0
	ds_write_b8 v1, v18
	v_lshrrev_b32_e32 v1, 5, v19
	v_and_b32_e32 v1, 12, v1
	v_add_u32_e32 v1, v1, v0
	ds_write_b8 v1, v17 offset:192
	v_lshrrev_b32_e32 v1, 5, v20
	v_and_b32_e32 v1, 28, v1
	v_add_u32_e32 v1, v1, v0
	ds_write_b8 v1, v22 offset:384
	;; [unrolled: 4-line block ×3, first 2 shown]
	s_waitcnt lgkmcnt(0)
	s_barrier
.LBB587_28:
	v_and_b32_e32 v1, 28, v15
	v_add_u32_e32 v1, v1, v25
	ds_read_b32 v26, v1
	s_cmp_lg_u32 s40, 0
	v_lshrrev_b32_e32 v29, 6, v0
	s_waitcnt lgkmcnt(0)
	s_barrier
	v_lshrrev_b32_e32 v1, 24, v26
	v_bfe_u32 v27, v26, 16, 8
	v_add_u32_sdwa v14, v26, v26 dst_sel:DWORD dst_unused:UNUSED_PAD src0_sel:BYTE_1 src1_sel:BYTE_0
	v_add3_u32 v30, v14, v27, v1
	v_mbcnt_lo_u32_b32 v14, -1, 0
	v_mbcnt_hi_u32_b32 v28, -1, v14
	v_and_b32_e32 v14, 15, v28
	v_cmp_eq_u32_e64 s[14:15], 0, v14
	v_cmp_lt_u32_e64 s[12:13], 1, v14
	v_cmp_lt_u32_e64 s[10:11], 3, v14
	;; [unrolled: 1-line block ×3, first 2 shown]
	v_and_b32_e32 v14, 16, v28
	v_cmp_eq_u32_e64 s[4:5], 0, v14
	v_and_b32_e32 v14, 0xc0, v0
	v_min_u32_e32 v14, 0x80, v14
	v_or_b32_e32 v14, 63, v14
	v_cmp_lt_u32_e64 s[2:3], 31, v28
	v_cmp_eq_u32_e64 s[6:7], v14, v0
	s_cbranch_scc0 .LBB587_59
; %bb.29:
	v_mov_b32_dpp v14, v30 row_shr:1 row_mask:0xf bank_mask:0xf
	v_cndmask_b32_e64 v14, v14, 0, s[14:15]
	v_add_u32_e32 v14, v14, v30
	s_nop 1
	v_mov_b32_dpp v15, v14 row_shr:2 row_mask:0xf bank_mask:0xf
	v_cndmask_b32_e64 v15, 0, v15, s[12:13]
	v_add_u32_e32 v14, v14, v15
	s_nop 1
	;; [unrolled: 4-line block ×4, first 2 shown]
	v_mov_b32_dpp v15, v14 row_bcast:15 row_mask:0xf bank_mask:0xf
	v_cndmask_b32_e64 v15, v15, 0, s[4:5]
	v_add_u32_e32 v14, v14, v15
	s_nop 1
	v_mov_b32_dpp v15, v14 row_bcast:31 row_mask:0xf bank_mask:0xf
	v_cndmask_b32_e64 v15, 0, v15, s[2:3]
	v_add_u32_e32 v14, v14, v15
	s_and_saveexec_b64 s[16:17], s[6:7]
	s_cbranch_execz .LBB587_31
; %bb.30:
	v_lshlrev_b32_e32 v15, 2, v29
	ds_write_b32 v15, v14
.LBB587_31:
	s_or_b64 exec, exec, s[16:17]
	v_cmp_gt_u32_e32 vcc, 3, v0
	s_waitcnt lgkmcnt(0)
	s_barrier
	s_and_saveexec_b64 s[16:17], vcc
	s_cbranch_execz .LBB587_33
; %bb.32:
	ds_read_b32 v15, v25
	v_and_b32_e32 v16, 3, v28
	v_cmp_ne_u32_e32 vcc, 0, v16
	s_waitcnt lgkmcnt(0)
	v_mov_b32_dpp v17, v15 row_shr:1 row_mask:0xf bank_mask:0xf
	v_cndmask_b32_e32 v17, 0, v17, vcc
	v_add_u32_e32 v15, v17, v15
	v_cmp_lt_u32_e32 vcc, 1, v16
	s_nop 0
	v_mov_b32_dpp v17, v15 row_shr:2 row_mask:0xf bank_mask:0xf
	v_cndmask_b32_e32 v16, 0, v17, vcc
	v_add_u32_e32 v15, v15, v16
	ds_write_b32 v25, v15
.LBB587_33:
	s_or_b64 exec, exec, s[16:17]
	v_cmp_gt_u32_e32 vcc, 64, v0
	v_cmp_lt_u32_e64 s[16:17], 63, v0
	s_waitcnt lgkmcnt(0)
	s_barrier
	s_waitcnt lgkmcnt(0)
                                        ; implicit-def: $vgpr31
	s_and_saveexec_b64 s[34:35], s[16:17]
	s_cbranch_execz .LBB587_35
; %bb.34:
	v_lshl_add_u32 v15, v29, 2, -4
	ds_read_b32 v31, v15
	s_waitcnt lgkmcnt(0)
	v_add_u32_e32 v14, v31, v14
.LBB587_35:
	s_or_b64 exec, exec, s[34:35]
	v_add_u32_e32 v15, -1, v28
	v_and_b32_e32 v16, 64, v28
	v_cmp_lt_i32_e64 s[16:17], v15, v16
	v_cndmask_b32_e64 v15, v15, v28, s[16:17]
	v_lshlrev_b32_e32 v15, 2, v15
	ds_bpermute_b32 v32, v15, v14
	v_cmp_eq_u32_e64 s[16:17], 0, v28
	s_and_saveexec_b64 s[34:35], vcc
	s_cbranch_execz .LBB587_58
; %bb.36:
	v_mov_b32_e32 v23, 0
	ds_read_b32 v14, v23 offset:8
	s_and_saveexec_b64 s[36:37], s[16:17]
	s_cbranch_execz .LBB587_38
; %bb.37:
	s_add_i32 s38, s40, 64
	s_mov_b32 s39, 0
	s_lshl_b64 s[38:39], s[38:39], 3
	s_add_u32 s38, s30, s38
	v_mov_b32_e32 v15, 1
	s_addc_u32 s39, s31, s39
	s_waitcnt lgkmcnt(0)
	global_store_dwordx2 v23, v[14:15], s[38:39]
.LBB587_38:
	s_or_b64 exec, exec, s[36:37]
	v_xad_u32 v16, v28, -1, s40
	v_add_u32_e32 v22, 64, v16
	v_lshlrev_b64 v[18:19], 3, v[22:23]
	v_mov_b32_e32 v15, s31
	v_add_co_u32_e32 v18, vcc, s30, v18
	v_addc_co_u32_e32 v19, vcc, v15, v19, vcc
	global_load_dwordx2 v[20:21], v[18:19], off glc
	s_waitcnt vmcnt(0)
	v_cmp_eq_u16_sdwa s[38:39], v21, v23 src0_sel:BYTE_0 src1_sel:DWORD
	s_and_saveexec_b64 s[36:37], s[38:39]
	s_cbranch_execz .LBB587_44
; %bb.39:
	s_mov_b32 s41, 1
	s_mov_b64 s[38:39], 0
	v_mov_b32_e32 v15, 0
.LBB587_40:                             ; =>This Loop Header: Depth=1
                                        ;     Child Loop BB587_41 Depth 2
	s_max_u32 s42, s41, 1
.LBB587_41:                             ;   Parent Loop BB587_40 Depth=1
                                        ; =>  This Inner Loop Header: Depth=2
	s_add_i32 s42, s42, -1
	s_cmp_eq_u32 s42, 0
	s_sleep 1
	s_cbranch_scc0 .LBB587_41
; %bb.42:                               ;   in Loop: Header=BB587_40 Depth=1
	global_load_dwordx2 v[20:21], v[18:19], off glc
	s_cmp_lt_u32 s41, 32
	s_cselect_b64 s[42:43], -1, 0
	s_cmp_lg_u64 s[42:43], 0
	s_addc_u32 s41, s41, 0
	s_waitcnt vmcnt(0)
	v_cmp_ne_u16_sdwa s[42:43], v21, v15 src0_sel:BYTE_0 src1_sel:DWORD
	s_or_b64 s[38:39], s[42:43], s[38:39]
	s_andn2_b64 exec, exec, s[38:39]
	s_cbranch_execnz .LBB587_40
; %bb.43:
	s_or_b64 exec, exec, s[38:39]
.LBB587_44:
	s_or_b64 exec, exec, s[36:37]
	v_and_b32_e32 v34, 63, v28
	v_mov_b32_e32 v33, 2
	v_cmp_ne_u32_e32 vcc, 63, v34
	v_cmp_eq_u16_sdwa s[36:37], v21, v33 src0_sel:BYTE_0 src1_sel:DWORD
	v_lshlrev_b64 v[18:19], v28, -1
	v_addc_co_u32_e32 v22, vcc, 0, v28, vcc
	v_and_b32_e32 v15, s37, v19
	v_lshlrev_b32_e32 v35, 2, v22
	v_or_b32_e32 v15, 0x80000000, v15
	ds_bpermute_b32 v22, v35, v20
	v_and_b32_e32 v17, s36, v18
	v_ffbl_b32_e32 v15, v15
	v_add_u32_e32 v15, 32, v15
	v_ffbl_b32_e32 v17, v17
	v_min_u32_e32 v15, v17, v15
	v_cmp_lt_u32_e32 vcc, v34, v15
	s_waitcnt lgkmcnt(0)
	v_cndmask_b32_e32 v17, 0, v22, vcc
	v_cmp_gt_u32_e32 vcc, 62, v34
	v_add_u32_e32 v17, v17, v20
	v_cndmask_b32_e64 v20, 0, 1, vcc
	v_lshlrev_b32_e32 v20, 1, v20
	v_add_lshl_u32 v36, v20, v28, 2
	ds_bpermute_b32 v20, v36, v17
	v_add_u32_e32 v37, 2, v34
	v_cmp_le_u32_e32 vcc, v37, v15
	v_add_u32_e32 v39, 4, v34
	v_add_u32_e32 v41, 8, v34
	s_waitcnt lgkmcnt(0)
	v_cndmask_b32_e32 v20, 0, v20, vcc
	v_cmp_gt_u32_e32 vcc, 60, v34
	v_add_u32_e32 v17, v17, v20
	v_cndmask_b32_e64 v20, 0, 1, vcc
	v_lshlrev_b32_e32 v20, 2, v20
	v_add_lshl_u32 v38, v20, v28, 2
	ds_bpermute_b32 v20, v38, v17
	v_cmp_le_u32_e32 vcc, v39, v15
	v_add_u32_e32 v43, 16, v34
	v_add_u32_e32 v45, 32, v34
	s_waitcnt lgkmcnt(0)
	v_cndmask_b32_e32 v20, 0, v20, vcc
	v_cmp_gt_u32_e32 vcc, 56, v34
	v_add_u32_e32 v17, v17, v20
	v_cndmask_b32_e64 v20, 0, 1, vcc
	v_lshlrev_b32_e32 v20, 3, v20
	v_add_lshl_u32 v40, v20, v28, 2
	ds_bpermute_b32 v20, v40, v17
	v_cmp_le_u32_e32 vcc, v41, v15
	s_waitcnt lgkmcnt(0)
	v_cndmask_b32_e32 v20, 0, v20, vcc
	v_cmp_gt_u32_e32 vcc, 48, v34
	v_add_u32_e32 v17, v17, v20
	v_cndmask_b32_e64 v20, 0, 1, vcc
	v_lshlrev_b32_e32 v20, 4, v20
	v_add_lshl_u32 v42, v20, v28, 2
	ds_bpermute_b32 v20, v42, v17
	v_cmp_le_u32_e32 vcc, v43, v15
	;; [unrolled: 9-line block ×3, first 2 shown]
	s_waitcnt lgkmcnt(0)
	v_cndmask_b32_e32 v15, 0, v20, vcc
	v_add_u32_e32 v20, v17, v15
	v_mov_b32_e32 v17, 0
	s_branch .LBB587_46
.LBB587_45:                             ;   in Loop: Header=BB587_46 Depth=1
	s_or_b64 exec, exec, s[36:37]
	v_cmp_eq_u16_sdwa s[36:37], v21, v33 src0_sel:BYTE_0 src1_sel:DWORD
	v_and_b32_e32 v22, s37, v19
	v_or_b32_e32 v22, 0x80000000, v22
	ds_bpermute_b32 v46, v35, v20
	v_and_b32_e32 v23, s36, v18
	v_ffbl_b32_e32 v22, v22
	v_add_u32_e32 v22, 32, v22
	v_ffbl_b32_e32 v23, v23
	v_min_u32_e32 v22, v23, v22
	v_cmp_lt_u32_e32 vcc, v34, v22
	s_waitcnt lgkmcnt(0)
	v_cndmask_b32_e32 v23, 0, v46, vcc
	v_add_u32_e32 v20, v23, v20
	ds_bpermute_b32 v23, v36, v20
	v_cmp_le_u32_e32 vcc, v37, v22
	v_subrev_u32_e32 v16, 64, v16
	s_waitcnt lgkmcnt(0)
	v_cndmask_b32_e32 v23, 0, v23, vcc
	v_add_u32_e32 v20, v20, v23
	ds_bpermute_b32 v23, v38, v20
	v_cmp_le_u32_e32 vcc, v39, v22
	s_waitcnt lgkmcnt(0)
	v_cndmask_b32_e32 v23, 0, v23, vcc
	v_add_u32_e32 v20, v20, v23
	ds_bpermute_b32 v23, v40, v20
	v_cmp_le_u32_e32 vcc, v41, v22
	;; [unrolled: 5-line block ×4, first 2 shown]
	s_waitcnt lgkmcnt(0)
	v_cndmask_b32_e32 v22, 0, v23, vcc
	v_add3_u32 v20, v22, v15, v20
.LBB587_46:                             ; =>This Loop Header: Depth=1
                                        ;     Child Loop BB587_49 Depth 2
                                        ;       Child Loop BB587_50 Depth 3
	v_cmp_ne_u16_sdwa s[36:37], v21, v33 src0_sel:BYTE_0 src1_sel:DWORD
	v_cndmask_b32_e64 v15, 0, 1, s[36:37]
	;;#ASMSTART
	;;#ASMEND
	v_cmp_ne_u32_e32 vcc, 0, v15
	s_cmp_lg_u64 vcc, exec
	v_mov_b32_e32 v15, v20
	s_cbranch_scc1 .LBB587_53
; %bb.47:                               ;   in Loop: Header=BB587_46 Depth=1
	v_lshlrev_b64 v[20:21], 3, v[16:17]
	v_mov_b32_e32 v23, s31
	v_add_co_u32_e32 v22, vcc, s30, v20
	v_addc_co_u32_e32 v23, vcc, v23, v21, vcc
	global_load_dwordx2 v[20:21], v[22:23], off glc
	s_waitcnt vmcnt(0)
	v_cmp_eq_u16_sdwa s[38:39], v21, v17 src0_sel:BYTE_0 src1_sel:DWORD
	s_and_saveexec_b64 s[36:37], s[38:39]
	s_cbranch_execz .LBB587_45
; %bb.48:                               ;   in Loop: Header=BB587_46 Depth=1
	s_mov_b32 s41, 1
	s_mov_b64 s[38:39], 0
.LBB587_49:                             ;   Parent Loop BB587_46 Depth=1
                                        ; =>  This Loop Header: Depth=2
                                        ;       Child Loop BB587_50 Depth 3
	s_max_u32 s42, s41, 1
.LBB587_50:                             ;   Parent Loop BB587_46 Depth=1
                                        ;     Parent Loop BB587_49 Depth=2
                                        ; =>    This Inner Loop Header: Depth=3
	s_add_i32 s42, s42, -1
	s_cmp_eq_u32 s42, 0
	s_sleep 1
	s_cbranch_scc0 .LBB587_50
; %bb.51:                               ;   in Loop: Header=BB587_49 Depth=2
	global_load_dwordx2 v[20:21], v[22:23], off glc
	s_cmp_lt_u32 s41, 32
	s_cselect_b64 s[42:43], -1, 0
	s_cmp_lg_u64 s[42:43], 0
	s_addc_u32 s41, s41, 0
	s_waitcnt vmcnt(0)
	v_cmp_ne_u16_sdwa s[42:43], v21, v17 src0_sel:BYTE_0 src1_sel:DWORD
	s_or_b64 s[38:39], s[42:43], s[38:39]
	s_andn2_b64 exec, exec, s[38:39]
	s_cbranch_execnz .LBB587_49
; %bb.52:                               ;   in Loop: Header=BB587_46 Depth=1
	s_or_b64 exec, exec, s[38:39]
	s_branch .LBB587_45
.LBB587_53:                             ;   in Loop: Header=BB587_46 Depth=1
                                        ; implicit-def: $vgpr20
                                        ; implicit-def: $vgpr21
	s_cbranch_execz .LBB587_46
; %bb.54:
	s_and_saveexec_b64 s[36:37], s[16:17]
	s_cbranch_execz .LBB587_56
; %bb.55:
	s_add_i32 s38, s40, 64
	s_mov_b32 s39, 0
	s_lshl_b64 s[38:39], s[38:39], 3
	s_add_u32 s38, s30, s38
	v_add_u32_e32 v16, v15, v14
	v_mov_b32_e32 v17, 2
	s_addc_u32 s39, s31, s39
	v_mov_b32_e32 v18, 0
	global_store_dwordx2 v18, v[16:17], s[38:39]
	ds_write_b64 v18, v[14:15] offset:6336
.LBB587_56:
	s_or_b64 exec, exec, s[36:37]
	s_and_b64 exec, exec, s[0:1]
	s_cbranch_execz .LBB587_58
; %bb.57:
	v_mov_b32_e32 v14, 0
	ds_write_b32 v14, v15 offset:8
.LBB587_58:
	s_or_b64 exec, exec, s[34:35]
	v_mov_b32_e32 v14, 0
	s_waitcnt lgkmcnt(0)
	s_barrier
	ds_read_b32 v15, v14 offset:8
	v_cndmask_b32_e64 v16, v32, v31, s[16:17]
	v_cndmask_b32_e64 v16, v16, 0, s[0:1]
	s_waitcnt lgkmcnt(0)
	s_barrier
	v_add_u32_e32 v18, v15, v16
	ds_read_b64 v[14:15], v14 offset:6336
	v_add_u32_sdwa v19, v18, v26 dst_sel:DWORD dst_unused:UNUSED_PAD src0_sel:DWORD src1_sel:BYTE_0
	v_add_u32_sdwa v17, v19, v26 dst_sel:DWORD dst_unused:UNUSED_PAD src0_sel:DWORD src1_sel:BYTE_1
	v_add_u32_e32 v16, v17, v27
	s_branch .LBB587_69
.LBB587_59:
                                        ; implicit-def: $vgpr15
                                        ; implicit-def: $vgpr16
                                        ; implicit-def: $vgpr17
                                        ; implicit-def: $vgpr19
                                        ; implicit-def: $vgpr18
	s_cbranch_execz .LBB587_69
; %bb.60:
	s_waitcnt lgkmcnt(0)
	v_mov_b32_dpp v14, v30 row_shr:1 row_mask:0xf bank_mask:0xf
	v_cndmask_b32_e64 v14, v14, 0, s[14:15]
	v_add_u32_e32 v14, v14, v30
	s_nop 1
	v_mov_b32_dpp v15, v14 row_shr:2 row_mask:0xf bank_mask:0xf
	v_cndmask_b32_e64 v15, 0, v15, s[12:13]
	v_add_u32_e32 v14, v14, v15
	s_nop 1
	;; [unrolled: 4-line block ×4, first 2 shown]
	v_mov_b32_dpp v15, v14 row_bcast:15 row_mask:0xf bank_mask:0xf
	v_cndmask_b32_e64 v15, v15, 0, s[4:5]
	v_add_u32_e32 v14, v14, v15
	s_nop 1
	v_mov_b32_dpp v15, v14 row_bcast:31 row_mask:0xf bank_mask:0xf
	v_cndmask_b32_e64 v15, 0, v15, s[2:3]
	v_add_u32_e32 v14, v14, v15
	s_and_saveexec_b64 s[2:3], s[6:7]
	s_cbranch_execz .LBB587_62
; %bb.61:
	v_lshlrev_b32_e32 v15, 2, v29
	ds_write_b32 v15, v14
.LBB587_62:
	s_or_b64 exec, exec, s[2:3]
	v_cmp_gt_u32_e32 vcc, 3, v0
	s_waitcnt lgkmcnt(0)
	s_barrier
	s_and_saveexec_b64 s[2:3], vcc
	s_cbranch_execz .LBB587_64
; %bb.63:
	ds_read_b32 v15, v25
	v_and_b32_e32 v16, 3, v28
	v_cmp_ne_u32_e32 vcc, 0, v16
	s_waitcnt lgkmcnt(0)
	v_mov_b32_dpp v17, v15 row_shr:1 row_mask:0xf bank_mask:0xf
	v_cndmask_b32_e32 v17, 0, v17, vcc
	v_add_u32_e32 v15, v17, v15
	v_cmp_lt_u32_e32 vcc, 1, v16
	s_nop 0
	v_mov_b32_dpp v17, v15 row_shr:2 row_mask:0xf bank_mask:0xf
	v_cndmask_b32_e32 v16, 0, v17, vcc
	v_add_u32_e32 v15, v15, v16
	ds_write_b32 v25, v15
.LBB587_64:
	s_or_b64 exec, exec, s[2:3]
	v_cmp_lt_u32_e32 vcc, 63, v0
	v_mov_b32_e32 v15, 0
	v_mov_b32_e32 v16, 0
	s_waitcnt lgkmcnt(0)
	s_barrier
	s_and_saveexec_b64 s[2:3], vcc
	s_cbranch_execz .LBB587_66
; %bb.65:
	v_lshl_add_u32 v16, v29, 2, -4
	ds_read_b32 v16, v16
.LBB587_66:
	s_or_b64 exec, exec, s[2:3]
	v_add_u32_e32 v17, -1, v28
	v_and_b32_e32 v18, 64, v28
	v_cmp_lt_i32_e32 vcc, v17, v18
	v_cndmask_b32_e32 v17, v17, v28, vcc
	s_waitcnt lgkmcnt(0)
	v_add_u32_e32 v14, v16, v14
	v_lshlrev_b32_e32 v17, 2, v17
	ds_bpermute_b32 v17, v17, v14
	ds_read_b32 v14, v15 offset:8
	s_and_saveexec_b64 s[2:3], s[0:1]
	s_cbranch_execz .LBB587_68
; %bb.67:
	v_mov_b32_e32 v18, 0
	v_mov_b32_e32 v15, 2
	s_waitcnt lgkmcnt(0)
	global_store_dwordx2 v18, v[14:15], s[30:31] offset:512
.LBB587_68:
	s_or_b64 exec, exec, s[2:3]
	v_cmp_eq_u32_e32 vcc, 0, v28
	s_waitcnt lgkmcnt(1)
	v_cndmask_b32_e32 v16, v17, v16, vcc
	v_cndmask_b32_e64 v18, v16, 0, s[0:1]
	v_add_u32_sdwa v19, v18, v26 dst_sel:DWORD dst_unused:UNUSED_PAD src0_sel:DWORD src1_sel:BYTE_0
	v_add_u32_sdwa v17, v19, v26 dst_sel:DWORD dst_unused:UNUSED_PAD src0_sel:DWORD src1_sel:BYTE_1
	v_mov_b32_e32 v15, 0
	v_add_u32_e32 v16, v17, v27
	s_waitcnt lgkmcnt(0)
	s_barrier
.LBB587_69:
	s_waitcnt lgkmcnt(0)
	v_add_u32_e32 v21, v14, v25
	v_sub_u32_e32 v18, v18, v15
	v_and_b32_e32 v23, 1, v26
	v_sub_u32_e32 v22, v21, v18
	v_cmp_eq_u32_e32 vcc, 1, v23
	v_cndmask_b32_e32 v18, v22, v18, vcc
	v_lshlrev_b32_e32 v18, 3, v18
	v_lshrrev_b32_e32 v20, 8, v26
	ds_write_b64 v18, v[6:7]
	v_sub_u32_e32 v6, v19, v15
	v_sub_u32_e32 v7, v21, v6
	v_and_b32_e32 v18, 1, v20
	v_add_u32_e32 v7, 1, v7
	v_cmp_eq_u32_e32 vcc, 1, v18
	v_cndmask_b32_e32 v6, v7, v6, vcc
	v_lshlrev_b32_e32 v6, 3, v6
	ds_write_b64 v6, v[8:9]
	v_sub_u32_e32 v6, v17, v15
	v_mov_b32_e32 v8, 1
	v_sub_u32_e32 v7, v21, v6
	v_and_b32_sdwa v8, v8, v26 dst_sel:DWORD dst_unused:UNUSED_PAD src0_sel:DWORD src1_sel:WORD_1
	v_add_u32_e32 v7, 2, v7
	v_cmp_eq_u32_e32 vcc, 1, v8
	v_cndmask_b32_e32 v6, v7, v6, vcc
	v_lshlrev_b32_e32 v6, 3, v6
	ds_write_b64 v6, v[2:3]
	v_sub_u32_e32 v2, v16, v15
	v_sub_u32_e32 v3, v21, v2
	v_and_b32_e32 v1, 1, v1
	v_add_u32_e32 v3, 3, v3
	v_cmp_eq_u32_e32 vcc, 1, v1
	v_cndmask_b32_e32 v1, v3, v2, vcc
	s_waitcnt vmcnt(0)
	v_add_co_u32_e32 v20, vcc, v10, v15
	v_addc_co_u32_e32 v21, vcc, 0, v11, vcc
	v_add_co_u32_e32 v10, vcc, v20, v14
	v_addc_co_u32_e32 v11, vcc, 0, v21, vcc
	v_mov_b32_e32 v15, s19
	v_sub_co_u32_e32 v22, vcc, s18, v10
	v_subb_co_u32_e32 v23, vcc, v15, v11, vcc
	v_lshlrev_b32_e32 v1, 3, v1
	v_lshlrev_b64 v[22:23], 3, v[22:23]
	ds_write_b64 v1, v[4:5]
	s_waitcnt lgkmcnt(0)
	s_barrier
	ds_read2st64_b64 v[6:9], v24 offset1:3
	ds_read2st64_b64 v[2:5], v24 offset0:6 offset1:9
	v_mov_b32_e32 v15, s27
	v_add_co_u32_e32 v17, vcc, s26, v22
	v_addc_co_u32_e32 v15, vcc, v15, v23, vcc
	v_add_co_u32_e32 v12, vcc, v17, v12
	v_lshlrev_b64 v[20:21], 3, v[20:21]
	v_addc_co_u32_e32 v13, vcc, v15, v13, vcc
	v_mov_b32_e32 v17, s25
	v_add_co_u32_e64 v15, s[2:3], s24, v20
	v_add_u32_e32 v18, 0xc0, v0
	v_add_u32_e32 v16, 0x180, v0
	;; [unrolled: 1-line block ×3, first 2 shown]
	s_andn2_b64 vcc, exec, s[28:29]
	v_addc_co_u32_e64 v17, s[2:3], v17, v21, s[2:3]
	s_cbranch_vccnz .LBB587_71
; %bb.70:
	v_cmp_lt_u32_e32 vcc, v0, v14
	v_cndmask_b32_e32 v20, v12, v15, vcc
	v_cndmask_b32_e32 v19, v13, v17, vcc
	v_add_co_u32_e32 v20, vcc, v20, v24
	v_addc_co_u32_e32 v21, vcc, 0, v19, vcc
	v_cmp_lt_u32_e32 vcc, v18, v14
	s_waitcnt lgkmcnt(1)
	global_store_dwordx2 v[20:21], v[6:7], off
	v_cndmask_b32_e32 v20, v12, v15, vcc
	v_cndmask_b32_e32 v19, v13, v17, vcc
	v_add_co_u32_e32 v20, vcc, v20, v24
	v_addc_co_u32_e32 v21, vcc, 0, v19, vcc
	v_cmp_lt_u32_e32 vcc, v16, v14
	global_store_dwordx2 v[20:21], v[8:9], off offset:1536
	v_cndmask_b32_e32 v20, v12, v15, vcc
	v_cndmask_b32_e32 v19, v13, v17, vcc
	v_add_co_u32_e32 v20, vcc, v20, v24
	v_addc_co_u32_e32 v21, vcc, 0, v19, vcc
	s_mov_b64 s[2:3], -1
	s_waitcnt lgkmcnt(0)
	global_store_dwordx2 v[20:21], v[2:3], off offset:3072
	s_cbranch_execz .LBB587_72
	s_branch .LBB587_77
.LBB587_71:
	s_mov_b64 s[2:3], 0
.LBB587_72:
	v_cmp_gt_u32_e32 vcc, s33, v0
	s_and_saveexec_b64 s[2:3], vcc
	s_cbranch_execnz .LBB587_82
; %bb.73:
	s_or_b64 exec, exec, s[2:3]
	v_cmp_gt_u32_e32 vcc, s33, v18
	s_and_saveexec_b64 s[2:3], vcc
	s_cbranch_execnz .LBB587_83
.LBB587_74:
	s_or_b64 exec, exec, s[2:3]
	v_cmp_gt_u32_e32 vcc, s33, v16
	s_and_saveexec_b64 s[2:3], vcc
	s_cbranch_execz .LBB587_76
.LBB587_75:
	v_cmp_lt_u32_e32 vcc, v16, v14
	s_waitcnt lgkmcnt(1)
	v_cndmask_b32_e32 v6, v12, v15, vcc
	v_cndmask_b32_e32 v0, v13, v17, vcc
	v_add_co_u32_e32 v6, vcc, v6, v24
	v_addc_co_u32_e32 v7, vcc, 0, v0, vcc
	s_waitcnt lgkmcnt(0)
	global_store_dwordx2 v[6:7], v[2:3], off offset:3072
.LBB587_76:
	s_or_b64 exec, exec, s[2:3]
	v_cmp_gt_u32_e64 s[2:3], s33, v1
.LBB587_77:
	s_and_saveexec_b64 s[4:5], s[2:3]
	s_cbranch_execnz .LBB587_80
; %bb.78:
	s_or_b64 exec, exec, s[4:5]
	s_and_b64 s[0:1], s[0:1], s[22:23]
	s_and_saveexec_b64 s[2:3], s[0:1]
	s_cbranch_execnz .LBB587_81
.LBB587_79:
	s_endpgm
.LBB587_80:
	v_cmp_lt_u32_e32 vcc, v1, v14
	v_cndmask_b32_e32 v0, v12, v15, vcc
	v_lshlrev_b32_e32 v1, 3, v1
	s_waitcnt lgkmcnt(0)
	v_cndmask_b32_e32 v2, v13, v17, vcc
	v_add_co_u32_e32 v0, vcc, v0, v1
	v_addc_co_u32_e32 v1, vcc, 0, v2, vcc
	global_store_dwordx2 v[0:1], v[4:5], off
	s_or_b64 exec, exec, s[4:5]
	s_and_b64 s[0:1], s[0:1], s[22:23]
	s_and_saveexec_b64 s[2:3], s[0:1]
	s_cbranch_execz .LBB587_79
.LBB587_81:
	v_mov_b32_e32 v0, 0
	global_store_dwordx2 v0, v[10:11], s[20:21]
	s_endpgm
.LBB587_82:
	v_cmp_lt_u32_e32 vcc, v0, v14
	v_cndmask_b32_e32 v19, v12, v15, vcc
	v_cndmask_b32_e32 v0, v13, v17, vcc
	v_add_co_u32_e32 v20, vcc, v19, v24
	v_addc_co_u32_e32 v21, vcc, 0, v0, vcc
	s_waitcnt lgkmcnt(1)
	global_store_dwordx2 v[20:21], v[6:7], off
	s_or_b64 exec, exec, s[2:3]
	v_cmp_gt_u32_e32 vcc, s33, v18
	s_and_saveexec_b64 s[2:3], vcc
	s_cbranch_execz .LBB587_74
.LBB587_83:
	v_cmp_lt_u32_e32 vcc, v18, v14
	s_waitcnt lgkmcnt(1)
	v_cndmask_b32_e32 v6, v12, v15, vcc
	v_cndmask_b32_e32 v0, v13, v17, vcc
	v_add_co_u32_e32 v6, vcc, v6, v24
	v_addc_co_u32_e32 v7, vcc, 0, v0, vcc
	global_store_dwordx2 v[6:7], v[8:9], off offset:1536
	s_or_b64 exec, exec, s[2:3]
	v_cmp_gt_u32_e32 vcc, s33, v16
	s_and_saveexec_b64 s[2:3], vcc
	s_cbranch_execnz .LBB587_75
	s_branch .LBB587_76
	.section	.rodata,"a",@progbits
	.p2align	6, 0x0
	.amdhsa_kernel _ZN7rocprim17ROCPRIM_400000_NS6detail17trampoline_kernelINS0_14default_configENS1_25partition_config_selectorILNS1_17partition_subalgoE1ExNS0_10empty_typeEbEEZZNS1_14partition_implILS5_1ELb0ES3_jN6thrust23THRUST_200600_302600_NS6detail15normal_iteratorINSA_10device_ptrIxEEEEPS6_NSA_18transform_iteratorINSA_8identityIxEESF_NSA_11use_defaultESK_EENS0_5tupleIJSF_SF_EEENSM_IJSG_SG_EEES6_PlJS6_EEE10hipError_tPvRmT3_T4_T5_T6_T7_T9_mT8_P12ihipStream_tbDpT10_ENKUlT_T0_E_clISt17integral_constantIbLb1EES19_EEDaS14_S15_EUlS14_E_NS1_11comp_targetILNS1_3genE4ELNS1_11target_archE910ELNS1_3gpuE8ELNS1_3repE0EEENS1_30default_config_static_selectorELNS0_4arch9wavefront6targetE1EEEvT1_
		.amdhsa_group_segment_fixed_size 6344
		.amdhsa_private_segment_fixed_size 0
		.amdhsa_kernarg_size 144
		.amdhsa_user_sgpr_count 6
		.amdhsa_user_sgpr_private_segment_buffer 1
		.amdhsa_user_sgpr_dispatch_ptr 0
		.amdhsa_user_sgpr_queue_ptr 0
		.amdhsa_user_sgpr_kernarg_segment_ptr 1
		.amdhsa_user_sgpr_dispatch_id 0
		.amdhsa_user_sgpr_flat_scratch_init 0
		.amdhsa_user_sgpr_kernarg_preload_length 0
		.amdhsa_user_sgpr_kernarg_preload_offset 0
		.amdhsa_user_sgpr_private_segment_size 0
		.amdhsa_uses_dynamic_stack 0
		.amdhsa_system_sgpr_private_segment_wavefront_offset 0
		.amdhsa_system_sgpr_workgroup_id_x 1
		.amdhsa_system_sgpr_workgroup_id_y 0
		.amdhsa_system_sgpr_workgroup_id_z 0
		.amdhsa_system_sgpr_workgroup_info 0
		.amdhsa_system_vgpr_workitem_id 0
		.amdhsa_next_free_vgpr 47
		.amdhsa_next_free_sgpr 44
		.amdhsa_accum_offset 48
		.amdhsa_reserve_vcc 1
		.amdhsa_reserve_flat_scratch 0
		.amdhsa_float_round_mode_32 0
		.amdhsa_float_round_mode_16_64 0
		.amdhsa_float_denorm_mode_32 3
		.amdhsa_float_denorm_mode_16_64 3
		.amdhsa_dx10_clamp 1
		.amdhsa_ieee_mode 1
		.amdhsa_fp16_overflow 0
		.amdhsa_tg_split 0
		.amdhsa_exception_fp_ieee_invalid_op 0
		.amdhsa_exception_fp_denorm_src 0
		.amdhsa_exception_fp_ieee_div_zero 0
		.amdhsa_exception_fp_ieee_overflow 0
		.amdhsa_exception_fp_ieee_underflow 0
		.amdhsa_exception_fp_ieee_inexact 0
		.amdhsa_exception_int_div_zero 0
	.end_amdhsa_kernel
	.section	.text._ZN7rocprim17ROCPRIM_400000_NS6detail17trampoline_kernelINS0_14default_configENS1_25partition_config_selectorILNS1_17partition_subalgoE1ExNS0_10empty_typeEbEEZZNS1_14partition_implILS5_1ELb0ES3_jN6thrust23THRUST_200600_302600_NS6detail15normal_iteratorINSA_10device_ptrIxEEEEPS6_NSA_18transform_iteratorINSA_8identityIxEESF_NSA_11use_defaultESK_EENS0_5tupleIJSF_SF_EEENSM_IJSG_SG_EEES6_PlJS6_EEE10hipError_tPvRmT3_T4_T5_T6_T7_T9_mT8_P12ihipStream_tbDpT10_ENKUlT_T0_E_clISt17integral_constantIbLb1EES19_EEDaS14_S15_EUlS14_E_NS1_11comp_targetILNS1_3genE4ELNS1_11target_archE910ELNS1_3gpuE8ELNS1_3repE0EEENS1_30default_config_static_selectorELNS0_4arch9wavefront6targetE1EEEvT1_,"axG",@progbits,_ZN7rocprim17ROCPRIM_400000_NS6detail17trampoline_kernelINS0_14default_configENS1_25partition_config_selectorILNS1_17partition_subalgoE1ExNS0_10empty_typeEbEEZZNS1_14partition_implILS5_1ELb0ES3_jN6thrust23THRUST_200600_302600_NS6detail15normal_iteratorINSA_10device_ptrIxEEEEPS6_NSA_18transform_iteratorINSA_8identityIxEESF_NSA_11use_defaultESK_EENS0_5tupleIJSF_SF_EEENSM_IJSG_SG_EEES6_PlJS6_EEE10hipError_tPvRmT3_T4_T5_T6_T7_T9_mT8_P12ihipStream_tbDpT10_ENKUlT_T0_E_clISt17integral_constantIbLb1EES19_EEDaS14_S15_EUlS14_E_NS1_11comp_targetILNS1_3genE4ELNS1_11target_archE910ELNS1_3gpuE8ELNS1_3repE0EEENS1_30default_config_static_selectorELNS0_4arch9wavefront6targetE1EEEvT1_,comdat
.Lfunc_end587:
	.size	_ZN7rocprim17ROCPRIM_400000_NS6detail17trampoline_kernelINS0_14default_configENS1_25partition_config_selectorILNS1_17partition_subalgoE1ExNS0_10empty_typeEbEEZZNS1_14partition_implILS5_1ELb0ES3_jN6thrust23THRUST_200600_302600_NS6detail15normal_iteratorINSA_10device_ptrIxEEEEPS6_NSA_18transform_iteratorINSA_8identityIxEESF_NSA_11use_defaultESK_EENS0_5tupleIJSF_SF_EEENSM_IJSG_SG_EEES6_PlJS6_EEE10hipError_tPvRmT3_T4_T5_T6_T7_T9_mT8_P12ihipStream_tbDpT10_ENKUlT_T0_E_clISt17integral_constantIbLb1EES19_EEDaS14_S15_EUlS14_E_NS1_11comp_targetILNS1_3genE4ELNS1_11target_archE910ELNS1_3gpuE8ELNS1_3repE0EEENS1_30default_config_static_selectorELNS0_4arch9wavefront6targetE1EEEvT1_, .Lfunc_end587-_ZN7rocprim17ROCPRIM_400000_NS6detail17trampoline_kernelINS0_14default_configENS1_25partition_config_selectorILNS1_17partition_subalgoE1ExNS0_10empty_typeEbEEZZNS1_14partition_implILS5_1ELb0ES3_jN6thrust23THRUST_200600_302600_NS6detail15normal_iteratorINSA_10device_ptrIxEEEEPS6_NSA_18transform_iteratorINSA_8identityIxEESF_NSA_11use_defaultESK_EENS0_5tupleIJSF_SF_EEENSM_IJSG_SG_EEES6_PlJS6_EEE10hipError_tPvRmT3_T4_T5_T6_T7_T9_mT8_P12ihipStream_tbDpT10_ENKUlT_T0_E_clISt17integral_constantIbLb1EES19_EEDaS14_S15_EUlS14_E_NS1_11comp_targetILNS1_3genE4ELNS1_11target_archE910ELNS1_3gpuE8ELNS1_3repE0EEENS1_30default_config_static_selectorELNS0_4arch9wavefront6targetE1EEEvT1_
                                        ; -- End function
	.section	.AMDGPU.csdata,"",@progbits
; Kernel info:
; codeLenInByte = 4212
; NumSgprs: 48
; NumVgprs: 47
; NumAgprs: 0
; TotalNumVgprs: 47
; ScratchSize: 0
; MemoryBound: 0
; FloatMode: 240
; IeeeMode: 1
; LDSByteSize: 6344 bytes/workgroup (compile time only)
; SGPRBlocks: 5
; VGPRBlocks: 5
; NumSGPRsForWavesPerEU: 48
; NumVGPRsForWavesPerEU: 47
; AccumOffset: 48
; Occupancy: 8
; WaveLimiterHint : 1
; COMPUTE_PGM_RSRC2:SCRATCH_EN: 0
; COMPUTE_PGM_RSRC2:USER_SGPR: 6
; COMPUTE_PGM_RSRC2:TRAP_HANDLER: 0
; COMPUTE_PGM_RSRC2:TGID_X_EN: 1
; COMPUTE_PGM_RSRC2:TGID_Y_EN: 0
; COMPUTE_PGM_RSRC2:TGID_Z_EN: 0
; COMPUTE_PGM_RSRC2:TIDIG_COMP_CNT: 0
; COMPUTE_PGM_RSRC3_GFX90A:ACCUM_OFFSET: 11
; COMPUTE_PGM_RSRC3_GFX90A:TG_SPLIT: 0
	.section	.text._ZN7rocprim17ROCPRIM_400000_NS6detail17trampoline_kernelINS0_14default_configENS1_25partition_config_selectorILNS1_17partition_subalgoE1ExNS0_10empty_typeEbEEZZNS1_14partition_implILS5_1ELb0ES3_jN6thrust23THRUST_200600_302600_NS6detail15normal_iteratorINSA_10device_ptrIxEEEEPS6_NSA_18transform_iteratorINSA_8identityIxEESF_NSA_11use_defaultESK_EENS0_5tupleIJSF_SF_EEENSM_IJSG_SG_EEES6_PlJS6_EEE10hipError_tPvRmT3_T4_T5_T6_T7_T9_mT8_P12ihipStream_tbDpT10_ENKUlT_T0_E_clISt17integral_constantIbLb1EES19_EEDaS14_S15_EUlS14_E_NS1_11comp_targetILNS1_3genE3ELNS1_11target_archE908ELNS1_3gpuE7ELNS1_3repE0EEENS1_30default_config_static_selectorELNS0_4arch9wavefront6targetE1EEEvT1_,"axG",@progbits,_ZN7rocprim17ROCPRIM_400000_NS6detail17trampoline_kernelINS0_14default_configENS1_25partition_config_selectorILNS1_17partition_subalgoE1ExNS0_10empty_typeEbEEZZNS1_14partition_implILS5_1ELb0ES3_jN6thrust23THRUST_200600_302600_NS6detail15normal_iteratorINSA_10device_ptrIxEEEEPS6_NSA_18transform_iteratorINSA_8identityIxEESF_NSA_11use_defaultESK_EENS0_5tupleIJSF_SF_EEENSM_IJSG_SG_EEES6_PlJS6_EEE10hipError_tPvRmT3_T4_T5_T6_T7_T9_mT8_P12ihipStream_tbDpT10_ENKUlT_T0_E_clISt17integral_constantIbLb1EES19_EEDaS14_S15_EUlS14_E_NS1_11comp_targetILNS1_3genE3ELNS1_11target_archE908ELNS1_3gpuE7ELNS1_3repE0EEENS1_30default_config_static_selectorELNS0_4arch9wavefront6targetE1EEEvT1_,comdat
	.protected	_ZN7rocprim17ROCPRIM_400000_NS6detail17trampoline_kernelINS0_14default_configENS1_25partition_config_selectorILNS1_17partition_subalgoE1ExNS0_10empty_typeEbEEZZNS1_14partition_implILS5_1ELb0ES3_jN6thrust23THRUST_200600_302600_NS6detail15normal_iteratorINSA_10device_ptrIxEEEEPS6_NSA_18transform_iteratorINSA_8identityIxEESF_NSA_11use_defaultESK_EENS0_5tupleIJSF_SF_EEENSM_IJSG_SG_EEES6_PlJS6_EEE10hipError_tPvRmT3_T4_T5_T6_T7_T9_mT8_P12ihipStream_tbDpT10_ENKUlT_T0_E_clISt17integral_constantIbLb1EES19_EEDaS14_S15_EUlS14_E_NS1_11comp_targetILNS1_3genE3ELNS1_11target_archE908ELNS1_3gpuE7ELNS1_3repE0EEENS1_30default_config_static_selectorELNS0_4arch9wavefront6targetE1EEEvT1_ ; -- Begin function _ZN7rocprim17ROCPRIM_400000_NS6detail17trampoline_kernelINS0_14default_configENS1_25partition_config_selectorILNS1_17partition_subalgoE1ExNS0_10empty_typeEbEEZZNS1_14partition_implILS5_1ELb0ES3_jN6thrust23THRUST_200600_302600_NS6detail15normal_iteratorINSA_10device_ptrIxEEEEPS6_NSA_18transform_iteratorINSA_8identityIxEESF_NSA_11use_defaultESK_EENS0_5tupleIJSF_SF_EEENSM_IJSG_SG_EEES6_PlJS6_EEE10hipError_tPvRmT3_T4_T5_T6_T7_T9_mT8_P12ihipStream_tbDpT10_ENKUlT_T0_E_clISt17integral_constantIbLb1EES19_EEDaS14_S15_EUlS14_E_NS1_11comp_targetILNS1_3genE3ELNS1_11target_archE908ELNS1_3gpuE7ELNS1_3repE0EEENS1_30default_config_static_selectorELNS0_4arch9wavefront6targetE1EEEvT1_
	.globl	_ZN7rocprim17ROCPRIM_400000_NS6detail17trampoline_kernelINS0_14default_configENS1_25partition_config_selectorILNS1_17partition_subalgoE1ExNS0_10empty_typeEbEEZZNS1_14partition_implILS5_1ELb0ES3_jN6thrust23THRUST_200600_302600_NS6detail15normal_iteratorINSA_10device_ptrIxEEEEPS6_NSA_18transform_iteratorINSA_8identityIxEESF_NSA_11use_defaultESK_EENS0_5tupleIJSF_SF_EEENSM_IJSG_SG_EEES6_PlJS6_EEE10hipError_tPvRmT3_T4_T5_T6_T7_T9_mT8_P12ihipStream_tbDpT10_ENKUlT_T0_E_clISt17integral_constantIbLb1EES19_EEDaS14_S15_EUlS14_E_NS1_11comp_targetILNS1_3genE3ELNS1_11target_archE908ELNS1_3gpuE7ELNS1_3repE0EEENS1_30default_config_static_selectorELNS0_4arch9wavefront6targetE1EEEvT1_
	.p2align	8
	.type	_ZN7rocprim17ROCPRIM_400000_NS6detail17trampoline_kernelINS0_14default_configENS1_25partition_config_selectorILNS1_17partition_subalgoE1ExNS0_10empty_typeEbEEZZNS1_14partition_implILS5_1ELb0ES3_jN6thrust23THRUST_200600_302600_NS6detail15normal_iteratorINSA_10device_ptrIxEEEEPS6_NSA_18transform_iteratorINSA_8identityIxEESF_NSA_11use_defaultESK_EENS0_5tupleIJSF_SF_EEENSM_IJSG_SG_EEES6_PlJS6_EEE10hipError_tPvRmT3_T4_T5_T6_T7_T9_mT8_P12ihipStream_tbDpT10_ENKUlT_T0_E_clISt17integral_constantIbLb1EES19_EEDaS14_S15_EUlS14_E_NS1_11comp_targetILNS1_3genE3ELNS1_11target_archE908ELNS1_3gpuE7ELNS1_3repE0EEENS1_30default_config_static_selectorELNS0_4arch9wavefront6targetE1EEEvT1_,@function
_ZN7rocprim17ROCPRIM_400000_NS6detail17trampoline_kernelINS0_14default_configENS1_25partition_config_selectorILNS1_17partition_subalgoE1ExNS0_10empty_typeEbEEZZNS1_14partition_implILS5_1ELb0ES3_jN6thrust23THRUST_200600_302600_NS6detail15normal_iteratorINSA_10device_ptrIxEEEEPS6_NSA_18transform_iteratorINSA_8identityIxEESF_NSA_11use_defaultESK_EENS0_5tupleIJSF_SF_EEENSM_IJSG_SG_EEES6_PlJS6_EEE10hipError_tPvRmT3_T4_T5_T6_T7_T9_mT8_P12ihipStream_tbDpT10_ENKUlT_T0_E_clISt17integral_constantIbLb1EES19_EEDaS14_S15_EUlS14_E_NS1_11comp_targetILNS1_3genE3ELNS1_11target_archE908ELNS1_3gpuE7ELNS1_3repE0EEENS1_30default_config_static_selectorELNS0_4arch9wavefront6targetE1EEEvT1_: ; @_ZN7rocprim17ROCPRIM_400000_NS6detail17trampoline_kernelINS0_14default_configENS1_25partition_config_selectorILNS1_17partition_subalgoE1ExNS0_10empty_typeEbEEZZNS1_14partition_implILS5_1ELb0ES3_jN6thrust23THRUST_200600_302600_NS6detail15normal_iteratorINSA_10device_ptrIxEEEEPS6_NSA_18transform_iteratorINSA_8identityIxEESF_NSA_11use_defaultESK_EENS0_5tupleIJSF_SF_EEENSM_IJSG_SG_EEES6_PlJS6_EEE10hipError_tPvRmT3_T4_T5_T6_T7_T9_mT8_P12ihipStream_tbDpT10_ENKUlT_T0_E_clISt17integral_constantIbLb1EES19_EEDaS14_S15_EUlS14_E_NS1_11comp_targetILNS1_3genE3ELNS1_11target_archE908ELNS1_3gpuE7ELNS1_3repE0EEENS1_30default_config_static_selectorELNS0_4arch9wavefront6targetE1EEEvT1_
; %bb.0:
	.section	.rodata,"a",@progbits
	.p2align	6, 0x0
	.amdhsa_kernel _ZN7rocprim17ROCPRIM_400000_NS6detail17trampoline_kernelINS0_14default_configENS1_25partition_config_selectorILNS1_17partition_subalgoE1ExNS0_10empty_typeEbEEZZNS1_14partition_implILS5_1ELb0ES3_jN6thrust23THRUST_200600_302600_NS6detail15normal_iteratorINSA_10device_ptrIxEEEEPS6_NSA_18transform_iteratorINSA_8identityIxEESF_NSA_11use_defaultESK_EENS0_5tupleIJSF_SF_EEENSM_IJSG_SG_EEES6_PlJS6_EEE10hipError_tPvRmT3_T4_T5_T6_T7_T9_mT8_P12ihipStream_tbDpT10_ENKUlT_T0_E_clISt17integral_constantIbLb1EES19_EEDaS14_S15_EUlS14_E_NS1_11comp_targetILNS1_3genE3ELNS1_11target_archE908ELNS1_3gpuE7ELNS1_3repE0EEENS1_30default_config_static_selectorELNS0_4arch9wavefront6targetE1EEEvT1_
		.amdhsa_group_segment_fixed_size 0
		.amdhsa_private_segment_fixed_size 0
		.amdhsa_kernarg_size 144
		.amdhsa_user_sgpr_count 6
		.amdhsa_user_sgpr_private_segment_buffer 1
		.amdhsa_user_sgpr_dispatch_ptr 0
		.amdhsa_user_sgpr_queue_ptr 0
		.amdhsa_user_sgpr_kernarg_segment_ptr 1
		.amdhsa_user_sgpr_dispatch_id 0
		.amdhsa_user_sgpr_flat_scratch_init 0
		.amdhsa_user_sgpr_kernarg_preload_length 0
		.amdhsa_user_sgpr_kernarg_preload_offset 0
		.amdhsa_user_sgpr_private_segment_size 0
		.amdhsa_uses_dynamic_stack 0
		.amdhsa_system_sgpr_private_segment_wavefront_offset 0
		.amdhsa_system_sgpr_workgroup_id_x 1
		.amdhsa_system_sgpr_workgroup_id_y 0
		.amdhsa_system_sgpr_workgroup_id_z 0
		.amdhsa_system_sgpr_workgroup_info 0
		.amdhsa_system_vgpr_workitem_id 0
		.amdhsa_next_free_vgpr 1
		.amdhsa_next_free_sgpr 0
		.amdhsa_accum_offset 4
		.amdhsa_reserve_vcc 0
		.amdhsa_reserve_flat_scratch 0
		.amdhsa_float_round_mode_32 0
		.amdhsa_float_round_mode_16_64 0
		.amdhsa_float_denorm_mode_32 3
		.amdhsa_float_denorm_mode_16_64 3
		.amdhsa_dx10_clamp 1
		.amdhsa_ieee_mode 1
		.amdhsa_fp16_overflow 0
		.amdhsa_tg_split 0
		.amdhsa_exception_fp_ieee_invalid_op 0
		.amdhsa_exception_fp_denorm_src 0
		.amdhsa_exception_fp_ieee_div_zero 0
		.amdhsa_exception_fp_ieee_overflow 0
		.amdhsa_exception_fp_ieee_underflow 0
		.amdhsa_exception_fp_ieee_inexact 0
		.amdhsa_exception_int_div_zero 0
	.end_amdhsa_kernel
	.section	.text._ZN7rocprim17ROCPRIM_400000_NS6detail17trampoline_kernelINS0_14default_configENS1_25partition_config_selectorILNS1_17partition_subalgoE1ExNS0_10empty_typeEbEEZZNS1_14partition_implILS5_1ELb0ES3_jN6thrust23THRUST_200600_302600_NS6detail15normal_iteratorINSA_10device_ptrIxEEEEPS6_NSA_18transform_iteratorINSA_8identityIxEESF_NSA_11use_defaultESK_EENS0_5tupleIJSF_SF_EEENSM_IJSG_SG_EEES6_PlJS6_EEE10hipError_tPvRmT3_T4_T5_T6_T7_T9_mT8_P12ihipStream_tbDpT10_ENKUlT_T0_E_clISt17integral_constantIbLb1EES19_EEDaS14_S15_EUlS14_E_NS1_11comp_targetILNS1_3genE3ELNS1_11target_archE908ELNS1_3gpuE7ELNS1_3repE0EEENS1_30default_config_static_selectorELNS0_4arch9wavefront6targetE1EEEvT1_,"axG",@progbits,_ZN7rocprim17ROCPRIM_400000_NS6detail17trampoline_kernelINS0_14default_configENS1_25partition_config_selectorILNS1_17partition_subalgoE1ExNS0_10empty_typeEbEEZZNS1_14partition_implILS5_1ELb0ES3_jN6thrust23THRUST_200600_302600_NS6detail15normal_iteratorINSA_10device_ptrIxEEEEPS6_NSA_18transform_iteratorINSA_8identityIxEESF_NSA_11use_defaultESK_EENS0_5tupleIJSF_SF_EEENSM_IJSG_SG_EEES6_PlJS6_EEE10hipError_tPvRmT3_T4_T5_T6_T7_T9_mT8_P12ihipStream_tbDpT10_ENKUlT_T0_E_clISt17integral_constantIbLb1EES19_EEDaS14_S15_EUlS14_E_NS1_11comp_targetILNS1_3genE3ELNS1_11target_archE908ELNS1_3gpuE7ELNS1_3repE0EEENS1_30default_config_static_selectorELNS0_4arch9wavefront6targetE1EEEvT1_,comdat
.Lfunc_end588:
	.size	_ZN7rocprim17ROCPRIM_400000_NS6detail17trampoline_kernelINS0_14default_configENS1_25partition_config_selectorILNS1_17partition_subalgoE1ExNS0_10empty_typeEbEEZZNS1_14partition_implILS5_1ELb0ES3_jN6thrust23THRUST_200600_302600_NS6detail15normal_iteratorINSA_10device_ptrIxEEEEPS6_NSA_18transform_iteratorINSA_8identityIxEESF_NSA_11use_defaultESK_EENS0_5tupleIJSF_SF_EEENSM_IJSG_SG_EEES6_PlJS6_EEE10hipError_tPvRmT3_T4_T5_T6_T7_T9_mT8_P12ihipStream_tbDpT10_ENKUlT_T0_E_clISt17integral_constantIbLb1EES19_EEDaS14_S15_EUlS14_E_NS1_11comp_targetILNS1_3genE3ELNS1_11target_archE908ELNS1_3gpuE7ELNS1_3repE0EEENS1_30default_config_static_selectorELNS0_4arch9wavefront6targetE1EEEvT1_, .Lfunc_end588-_ZN7rocprim17ROCPRIM_400000_NS6detail17trampoline_kernelINS0_14default_configENS1_25partition_config_selectorILNS1_17partition_subalgoE1ExNS0_10empty_typeEbEEZZNS1_14partition_implILS5_1ELb0ES3_jN6thrust23THRUST_200600_302600_NS6detail15normal_iteratorINSA_10device_ptrIxEEEEPS6_NSA_18transform_iteratorINSA_8identityIxEESF_NSA_11use_defaultESK_EENS0_5tupleIJSF_SF_EEENSM_IJSG_SG_EEES6_PlJS6_EEE10hipError_tPvRmT3_T4_T5_T6_T7_T9_mT8_P12ihipStream_tbDpT10_ENKUlT_T0_E_clISt17integral_constantIbLb1EES19_EEDaS14_S15_EUlS14_E_NS1_11comp_targetILNS1_3genE3ELNS1_11target_archE908ELNS1_3gpuE7ELNS1_3repE0EEENS1_30default_config_static_selectorELNS0_4arch9wavefront6targetE1EEEvT1_
                                        ; -- End function
	.section	.AMDGPU.csdata,"",@progbits
; Kernel info:
; codeLenInByte = 0
; NumSgprs: 4
; NumVgprs: 0
; NumAgprs: 0
; TotalNumVgprs: 0
; ScratchSize: 0
; MemoryBound: 0
; FloatMode: 240
; IeeeMode: 1
; LDSByteSize: 0 bytes/workgroup (compile time only)
; SGPRBlocks: 0
; VGPRBlocks: 0
; NumSGPRsForWavesPerEU: 4
; NumVGPRsForWavesPerEU: 1
; AccumOffset: 4
; Occupancy: 8
; WaveLimiterHint : 0
; COMPUTE_PGM_RSRC2:SCRATCH_EN: 0
; COMPUTE_PGM_RSRC2:USER_SGPR: 6
; COMPUTE_PGM_RSRC2:TRAP_HANDLER: 0
; COMPUTE_PGM_RSRC2:TGID_X_EN: 1
; COMPUTE_PGM_RSRC2:TGID_Y_EN: 0
; COMPUTE_PGM_RSRC2:TGID_Z_EN: 0
; COMPUTE_PGM_RSRC2:TIDIG_COMP_CNT: 0
; COMPUTE_PGM_RSRC3_GFX90A:ACCUM_OFFSET: 0
; COMPUTE_PGM_RSRC3_GFX90A:TG_SPLIT: 0
	.section	.text._ZN7rocprim17ROCPRIM_400000_NS6detail17trampoline_kernelINS0_14default_configENS1_25partition_config_selectorILNS1_17partition_subalgoE1ExNS0_10empty_typeEbEEZZNS1_14partition_implILS5_1ELb0ES3_jN6thrust23THRUST_200600_302600_NS6detail15normal_iteratorINSA_10device_ptrIxEEEEPS6_NSA_18transform_iteratorINSA_8identityIxEESF_NSA_11use_defaultESK_EENS0_5tupleIJSF_SF_EEENSM_IJSG_SG_EEES6_PlJS6_EEE10hipError_tPvRmT3_T4_T5_T6_T7_T9_mT8_P12ihipStream_tbDpT10_ENKUlT_T0_E_clISt17integral_constantIbLb1EES19_EEDaS14_S15_EUlS14_E_NS1_11comp_targetILNS1_3genE2ELNS1_11target_archE906ELNS1_3gpuE6ELNS1_3repE0EEENS1_30default_config_static_selectorELNS0_4arch9wavefront6targetE1EEEvT1_,"axG",@progbits,_ZN7rocprim17ROCPRIM_400000_NS6detail17trampoline_kernelINS0_14default_configENS1_25partition_config_selectorILNS1_17partition_subalgoE1ExNS0_10empty_typeEbEEZZNS1_14partition_implILS5_1ELb0ES3_jN6thrust23THRUST_200600_302600_NS6detail15normal_iteratorINSA_10device_ptrIxEEEEPS6_NSA_18transform_iteratorINSA_8identityIxEESF_NSA_11use_defaultESK_EENS0_5tupleIJSF_SF_EEENSM_IJSG_SG_EEES6_PlJS6_EEE10hipError_tPvRmT3_T4_T5_T6_T7_T9_mT8_P12ihipStream_tbDpT10_ENKUlT_T0_E_clISt17integral_constantIbLb1EES19_EEDaS14_S15_EUlS14_E_NS1_11comp_targetILNS1_3genE2ELNS1_11target_archE906ELNS1_3gpuE6ELNS1_3repE0EEENS1_30default_config_static_selectorELNS0_4arch9wavefront6targetE1EEEvT1_,comdat
	.protected	_ZN7rocprim17ROCPRIM_400000_NS6detail17trampoline_kernelINS0_14default_configENS1_25partition_config_selectorILNS1_17partition_subalgoE1ExNS0_10empty_typeEbEEZZNS1_14partition_implILS5_1ELb0ES3_jN6thrust23THRUST_200600_302600_NS6detail15normal_iteratorINSA_10device_ptrIxEEEEPS6_NSA_18transform_iteratorINSA_8identityIxEESF_NSA_11use_defaultESK_EENS0_5tupleIJSF_SF_EEENSM_IJSG_SG_EEES6_PlJS6_EEE10hipError_tPvRmT3_T4_T5_T6_T7_T9_mT8_P12ihipStream_tbDpT10_ENKUlT_T0_E_clISt17integral_constantIbLb1EES19_EEDaS14_S15_EUlS14_E_NS1_11comp_targetILNS1_3genE2ELNS1_11target_archE906ELNS1_3gpuE6ELNS1_3repE0EEENS1_30default_config_static_selectorELNS0_4arch9wavefront6targetE1EEEvT1_ ; -- Begin function _ZN7rocprim17ROCPRIM_400000_NS6detail17trampoline_kernelINS0_14default_configENS1_25partition_config_selectorILNS1_17partition_subalgoE1ExNS0_10empty_typeEbEEZZNS1_14partition_implILS5_1ELb0ES3_jN6thrust23THRUST_200600_302600_NS6detail15normal_iteratorINSA_10device_ptrIxEEEEPS6_NSA_18transform_iteratorINSA_8identityIxEESF_NSA_11use_defaultESK_EENS0_5tupleIJSF_SF_EEENSM_IJSG_SG_EEES6_PlJS6_EEE10hipError_tPvRmT3_T4_T5_T6_T7_T9_mT8_P12ihipStream_tbDpT10_ENKUlT_T0_E_clISt17integral_constantIbLb1EES19_EEDaS14_S15_EUlS14_E_NS1_11comp_targetILNS1_3genE2ELNS1_11target_archE906ELNS1_3gpuE6ELNS1_3repE0EEENS1_30default_config_static_selectorELNS0_4arch9wavefront6targetE1EEEvT1_
	.globl	_ZN7rocprim17ROCPRIM_400000_NS6detail17trampoline_kernelINS0_14default_configENS1_25partition_config_selectorILNS1_17partition_subalgoE1ExNS0_10empty_typeEbEEZZNS1_14partition_implILS5_1ELb0ES3_jN6thrust23THRUST_200600_302600_NS6detail15normal_iteratorINSA_10device_ptrIxEEEEPS6_NSA_18transform_iteratorINSA_8identityIxEESF_NSA_11use_defaultESK_EENS0_5tupleIJSF_SF_EEENSM_IJSG_SG_EEES6_PlJS6_EEE10hipError_tPvRmT3_T4_T5_T6_T7_T9_mT8_P12ihipStream_tbDpT10_ENKUlT_T0_E_clISt17integral_constantIbLb1EES19_EEDaS14_S15_EUlS14_E_NS1_11comp_targetILNS1_3genE2ELNS1_11target_archE906ELNS1_3gpuE6ELNS1_3repE0EEENS1_30default_config_static_selectorELNS0_4arch9wavefront6targetE1EEEvT1_
	.p2align	8
	.type	_ZN7rocprim17ROCPRIM_400000_NS6detail17trampoline_kernelINS0_14default_configENS1_25partition_config_selectorILNS1_17partition_subalgoE1ExNS0_10empty_typeEbEEZZNS1_14partition_implILS5_1ELb0ES3_jN6thrust23THRUST_200600_302600_NS6detail15normal_iteratorINSA_10device_ptrIxEEEEPS6_NSA_18transform_iteratorINSA_8identityIxEESF_NSA_11use_defaultESK_EENS0_5tupleIJSF_SF_EEENSM_IJSG_SG_EEES6_PlJS6_EEE10hipError_tPvRmT3_T4_T5_T6_T7_T9_mT8_P12ihipStream_tbDpT10_ENKUlT_T0_E_clISt17integral_constantIbLb1EES19_EEDaS14_S15_EUlS14_E_NS1_11comp_targetILNS1_3genE2ELNS1_11target_archE906ELNS1_3gpuE6ELNS1_3repE0EEENS1_30default_config_static_selectorELNS0_4arch9wavefront6targetE1EEEvT1_,@function
_ZN7rocprim17ROCPRIM_400000_NS6detail17trampoline_kernelINS0_14default_configENS1_25partition_config_selectorILNS1_17partition_subalgoE1ExNS0_10empty_typeEbEEZZNS1_14partition_implILS5_1ELb0ES3_jN6thrust23THRUST_200600_302600_NS6detail15normal_iteratorINSA_10device_ptrIxEEEEPS6_NSA_18transform_iteratorINSA_8identityIxEESF_NSA_11use_defaultESK_EENS0_5tupleIJSF_SF_EEENSM_IJSG_SG_EEES6_PlJS6_EEE10hipError_tPvRmT3_T4_T5_T6_T7_T9_mT8_P12ihipStream_tbDpT10_ENKUlT_T0_E_clISt17integral_constantIbLb1EES19_EEDaS14_S15_EUlS14_E_NS1_11comp_targetILNS1_3genE2ELNS1_11target_archE906ELNS1_3gpuE6ELNS1_3repE0EEENS1_30default_config_static_selectorELNS0_4arch9wavefront6targetE1EEEvT1_: ; @_ZN7rocprim17ROCPRIM_400000_NS6detail17trampoline_kernelINS0_14default_configENS1_25partition_config_selectorILNS1_17partition_subalgoE1ExNS0_10empty_typeEbEEZZNS1_14partition_implILS5_1ELb0ES3_jN6thrust23THRUST_200600_302600_NS6detail15normal_iteratorINSA_10device_ptrIxEEEEPS6_NSA_18transform_iteratorINSA_8identityIxEESF_NSA_11use_defaultESK_EENS0_5tupleIJSF_SF_EEENSM_IJSG_SG_EEES6_PlJS6_EEE10hipError_tPvRmT3_T4_T5_T6_T7_T9_mT8_P12ihipStream_tbDpT10_ENKUlT_T0_E_clISt17integral_constantIbLb1EES19_EEDaS14_S15_EUlS14_E_NS1_11comp_targetILNS1_3genE2ELNS1_11target_archE906ELNS1_3gpuE6ELNS1_3repE0EEENS1_30default_config_static_selectorELNS0_4arch9wavefront6targetE1EEEvT1_
; %bb.0:
	.section	.rodata,"a",@progbits
	.p2align	6, 0x0
	.amdhsa_kernel _ZN7rocprim17ROCPRIM_400000_NS6detail17trampoline_kernelINS0_14default_configENS1_25partition_config_selectorILNS1_17partition_subalgoE1ExNS0_10empty_typeEbEEZZNS1_14partition_implILS5_1ELb0ES3_jN6thrust23THRUST_200600_302600_NS6detail15normal_iteratorINSA_10device_ptrIxEEEEPS6_NSA_18transform_iteratorINSA_8identityIxEESF_NSA_11use_defaultESK_EENS0_5tupleIJSF_SF_EEENSM_IJSG_SG_EEES6_PlJS6_EEE10hipError_tPvRmT3_T4_T5_T6_T7_T9_mT8_P12ihipStream_tbDpT10_ENKUlT_T0_E_clISt17integral_constantIbLb1EES19_EEDaS14_S15_EUlS14_E_NS1_11comp_targetILNS1_3genE2ELNS1_11target_archE906ELNS1_3gpuE6ELNS1_3repE0EEENS1_30default_config_static_selectorELNS0_4arch9wavefront6targetE1EEEvT1_
		.amdhsa_group_segment_fixed_size 0
		.amdhsa_private_segment_fixed_size 0
		.amdhsa_kernarg_size 144
		.amdhsa_user_sgpr_count 6
		.amdhsa_user_sgpr_private_segment_buffer 1
		.amdhsa_user_sgpr_dispatch_ptr 0
		.amdhsa_user_sgpr_queue_ptr 0
		.amdhsa_user_sgpr_kernarg_segment_ptr 1
		.amdhsa_user_sgpr_dispatch_id 0
		.amdhsa_user_sgpr_flat_scratch_init 0
		.amdhsa_user_sgpr_kernarg_preload_length 0
		.amdhsa_user_sgpr_kernarg_preload_offset 0
		.amdhsa_user_sgpr_private_segment_size 0
		.amdhsa_uses_dynamic_stack 0
		.amdhsa_system_sgpr_private_segment_wavefront_offset 0
		.amdhsa_system_sgpr_workgroup_id_x 1
		.amdhsa_system_sgpr_workgroup_id_y 0
		.amdhsa_system_sgpr_workgroup_id_z 0
		.amdhsa_system_sgpr_workgroup_info 0
		.amdhsa_system_vgpr_workitem_id 0
		.amdhsa_next_free_vgpr 1
		.amdhsa_next_free_sgpr 0
		.amdhsa_accum_offset 4
		.amdhsa_reserve_vcc 0
		.amdhsa_reserve_flat_scratch 0
		.amdhsa_float_round_mode_32 0
		.amdhsa_float_round_mode_16_64 0
		.amdhsa_float_denorm_mode_32 3
		.amdhsa_float_denorm_mode_16_64 3
		.amdhsa_dx10_clamp 1
		.amdhsa_ieee_mode 1
		.amdhsa_fp16_overflow 0
		.amdhsa_tg_split 0
		.amdhsa_exception_fp_ieee_invalid_op 0
		.amdhsa_exception_fp_denorm_src 0
		.amdhsa_exception_fp_ieee_div_zero 0
		.amdhsa_exception_fp_ieee_overflow 0
		.amdhsa_exception_fp_ieee_underflow 0
		.amdhsa_exception_fp_ieee_inexact 0
		.amdhsa_exception_int_div_zero 0
	.end_amdhsa_kernel
	.section	.text._ZN7rocprim17ROCPRIM_400000_NS6detail17trampoline_kernelINS0_14default_configENS1_25partition_config_selectorILNS1_17partition_subalgoE1ExNS0_10empty_typeEbEEZZNS1_14partition_implILS5_1ELb0ES3_jN6thrust23THRUST_200600_302600_NS6detail15normal_iteratorINSA_10device_ptrIxEEEEPS6_NSA_18transform_iteratorINSA_8identityIxEESF_NSA_11use_defaultESK_EENS0_5tupleIJSF_SF_EEENSM_IJSG_SG_EEES6_PlJS6_EEE10hipError_tPvRmT3_T4_T5_T6_T7_T9_mT8_P12ihipStream_tbDpT10_ENKUlT_T0_E_clISt17integral_constantIbLb1EES19_EEDaS14_S15_EUlS14_E_NS1_11comp_targetILNS1_3genE2ELNS1_11target_archE906ELNS1_3gpuE6ELNS1_3repE0EEENS1_30default_config_static_selectorELNS0_4arch9wavefront6targetE1EEEvT1_,"axG",@progbits,_ZN7rocprim17ROCPRIM_400000_NS6detail17trampoline_kernelINS0_14default_configENS1_25partition_config_selectorILNS1_17partition_subalgoE1ExNS0_10empty_typeEbEEZZNS1_14partition_implILS5_1ELb0ES3_jN6thrust23THRUST_200600_302600_NS6detail15normal_iteratorINSA_10device_ptrIxEEEEPS6_NSA_18transform_iteratorINSA_8identityIxEESF_NSA_11use_defaultESK_EENS0_5tupleIJSF_SF_EEENSM_IJSG_SG_EEES6_PlJS6_EEE10hipError_tPvRmT3_T4_T5_T6_T7_T9_mT8_P12ihipStream_tbDpT10_ENKUlT_T0_E_clISt17integral_constantIbLb1EES19_EEDaS14_S15_EUlS14_E_NS1_11comp_targetILNS1_3genE2ELNS1_11target_archE906ELNS1_3gpuE6ELNS1_3repE0EEENS1_30default_config_static_selectorELNS0_4arch9wavefront6targetE1EEEvT1_,comdat
.Lfunc_end589:
	.size	_ZN7rocprim17ROCPRIM_400000_NS6detail17trampoline_kernelINS0_14default_configENS1_25partition_config_selectorILNS1_17partition_subalgoE1ExNS0_10empty_typeEbEEZZNS1_14partition_implILS5_1ELb0ES3_jN6thrust23THRUST_200600_302600_NS6detail15normal_iteratorINSA_10device_ptrIxEEEEPS6_NSA_18transform_iteratorINSA_8identityIxEESF_NSA_11use_defaultESK_EENS0_5tupleIJSF_SF_EEENSM_IJSG_SG_EEES6_PlJS6_EEE10hipError_tPvRmT3_T4_T5_T6_T7_T9_mT8_P12ihipStream_tbDpT10_ENKUlT_T0_E_clISt17integral_constantIbLb1EES19_EEDaS14_S15_EUlS14_E_NS1_11comp_targetILNS1_3genE2ELNS1_11target_archE906ELNS1_3gpuE6ELNS1_3repE0EEENS1_30default_config_static_selectorELNS0_4arch9wavefront6targetE1EEEvT1_, .Lfunc_end589-_ZN7rocprim17ROCPRIM_400000_NS6detail17trampoline_kernelINS0_14default_configENS1_25partition_config_selectorILNS1_17partition_subalgoE1ExNS0_10empty_typeEbEEZZNS1_14partition_implILS5_1ELb0ES3_jN6thrust23THRUST_200600_302600_NS6detail15normal_iteratorINSA_10device_ptrIxEEEEPS6_NSA_18transform_iteratorINSA_8identityIxEESF_NSA_11use_defaultESK_EENS0_5tupleIJSF_SF_EEENSM_IJSG_SG_EEES6_PlJS6_EEE10hipError_tPvRmT3_T4_T5_T6_T7_T9_mT8_P12ihipStream_tbDpT10_ENKUlT_T0_E_clISt17integral_constantIbLb1EES19_EEDaS14_S15_EUlS14_E_NS1_11comp_targetILNS1_3genE2ELNS1_11target_archE906ELNS1_3gpuE6ELNS1_3repE0EEENS1_30default_config_static_selectorELNS0_4arch9wavefront6targetE1EEEvT1_
                                        ; -- End function
	.section	.AMDGPU.csdata,"",@progbits
; Kernel info:
; codeLenInByte = 0
; NumSgprs: 4
; NumVgprs: 0
; NumAgprs: 0
; TotalNumVgprs: 0
; ScratchSize: 0
; MemoryBound: 0
; FloatMode: 240
; IeeeMode: 1
; LDSByteSize: 0 bytes/workgroup (compile time only)
; SGPRBlocks: 0
; VGPRBlocks: 0
; NumSGPRsForWavesPerEU: 4
; NumVGPRsForWavesPerEU: 1
; AccumOffset: 4
; Occupancy: 8
; WaveLimiterHint : 0
; COMPUTE_PGM_RSRC2:SCRATCH_EN: 0
; COMPUTE_PGM_RSRC2:USER_SGPR: 6
; COMPUTE_PGM_RSRC2:TRAP_HANDLER: 0
; COMPUTE_PGM_RSRC2:TGID_X_EN: 1
; COMPUTE_PGM_RSRC2:TGID_Y_EN: 0
; COMPUTE_PGM_RSRC2:TGID_Z_EN: 0
; COMPUTE_PGM_RSRC2:TIDIG_COMP_CNT: 0
; COMPUTE_PGM_RSRC3_GFX90A:ACCUM_OFFSET: 0
; COMPUTE_PGM_RSRC3_GFX90A:TG_SPLIT: 0
	.section	.text._ZN7rocprim17ROCPRIM_400000_NS6detail17trampoline_kernelINS0_14default_configENS1_25partition_config_selectorILNS1_17partition_subalgoE1ExNS0_10empty_typeEbEEZZNS1_14partition_implILS5_1ELb0ES3_jN6thrust23THRUST_200600_302600_NS6detail15normal_iteratorINSA_10device_ptrIxEEEEPS6_NSA_18transform_iteratorINSA_8identityIxEESF_NSA_11use_defaultESK_EENS0_5tupleIJSF_SF_EEENSM_IJSG_SG_EEES6_PlJS6_EEE10hipError_tPvRmT3_T4_T5_T6_T7_T9_mT8_P12ihipStream_tbDpT10_ENKUlT_T0_E_clISt17integral_constantIbLb1EES19_EEDaS14_S15_EUlS14_E_NS1_11comp_targetILNS1_3genE10ELNS1_11target_archE1200ELNS1_3gpuE4ELNS1_3repE0EEENS1_30default_config_static_selectorELNS0_4arch9wavefront6targetE1EEEvT1_,"axG",@progbits,_ZN7rocprim17ROCPRIM_400000_NS6detail17trampoline_kernelINS0_14default_configENS1_25partition_config_selectorILNS1_17partition_subalgoE1ExNS0_10empty_typeEbEEZZNS1_14partition_implILS5_1ELb0ES3_jN6thrust23THRUST_200600_302600_NS6detail15normal_iteratorINSA_10device_ptrIxEEEEPS6_NSA_18transform_iteratorINSA_8identityIxEESF_NSA_11use_defaultESK_EENS0_5tupleIJSF_SF_EEENSM_IJSG_SG_EEES6_PlJS6_EEE10hipError_tPvRmT3_T4_T5_T6_T7_T9_mT8_P12ihipStream_tbDpT10_ENKUlT_T0_E_clISt17integral_constantIbLb1EES19_EEDaS14_S15_EUlS14_E_NS1_11comp_targetILNS1_3genE10ELNS1_11target_archE1200ELNS1_3gpuE4ELNS1_3repE0EEENS1_30default_config_static_selectorELNS0_4arch9wavefront6targetE1EEEvT1_,comdat
	.protected	_ZN7rocprim17ROCPRIM_400000_NS6detail17trampoline_kernelINS0_14default_configENS1_25partition_config_selectorILNS1_17partition_subalgoE1ExNS0_10empty_typeEbEEZZNS1_14partition_implILS5_1ELb0ES3_jN6thrust23THRUST_200600_302600_NS6detail15normal_iteratorINSA_10device_ptrIxEEEEPS6_NSA_18transform_iteratorINSA_8identityIxEESF_NSA_11use_defaultESK_EENS0_5tupleIJSF_SF_EEENSM_IJSG_SG_EEES6_PlJS6_EEE10hipError_tPvRmT3_T4_T5_T6_T7_T9_mT8_P12ihipStream_tbDpT10_ENKUlT_T0_E_clISt17integral_constantIbLb1EES19_EEDaS14_S15_EUlS14_E_NS1_11comp_targetILNS1_3genE10ELNS1_11target_archE1200ELNS1_3gpuE4ELNS1_3repE0EEENS1_30default_config_static_selectorELNS0_4arch9wavefront6targetE1EEEvT1_ ; -- Begin function _ZN7rocprim17ROCPRIM_400000_NS6detail17trampoline_kernelINS0_14default_configENS1_25partition_config_selectorILNS1_17partition_subalgoE1ExNS0_10empty_typeEbEEZZNS1_14partition_implILS5_1ELb0ES3_jN6thrust23THRUST_200600_302600_NS6detail15normal_iteratorINSA_10device_ptrIxEEEEPS6_NSA_18transform_iteratorINSA_8identityIxEESF_NSA_11use_defaultESK_EENS0_5tupleIJSF_SF_EEENSM_IJSG_SG_EEES6_PlJS6_EEE10hipError_tPvRmT3_T4_T5_T6_T7_T9_mT8_P12ihipStream_tbDpT10_ENKUlT_T0_E_clISt17integral_constantIbLb1EES19_EEDaS14_S15_EUlS14_E_NS1_11comp_targetILNS1_3genE10ELNS1_11target_archE1200ELNS1_3gpuE4ELNS1_3repE0EEENS1_30default_config_static_selectorELNS0_4arch9wavefront6targetE1EEEvT1_
	.globl	_ZN7rocprim17ROCPRIM_400000_NS6detail17trampoline_kernelINS0_14default_configENS1_25partition_config_selectorILNS1_17partition_subalgoE1ExNS0_10empty_typeEbEEZZNS1_14partition_implILS5_1ELb0ES3_jN6thrust23THRUST_200600_302600_NS6detail15normal_iteratorINSA_10device_ptrIxEEEEPS6_NSA_18transform_iteratorINSA_8identityIxEESF_NSA_11use_defaultESK_EENS0_5tupleIJSF_SF_EEENSM_IJSG_SG_EEES6_PlJS6_EEE10hipError_tPvRmT3_T4_T5_T6_T7_T9_mT8_P12ihipStream_tbDpT10_ENKUlT_T0_E_clISt17integral_constantIbLb1EES19_EEDaS14_S15_EUlS14_E_NS1_11comp_targetILNS1_3genE10ELNS1_11target_archE1200ELNS1_3gpuE4ELNS1_3repE0EEENS1_30default_config_static_selectorELNS0_4arch9wavefront6targetE1EEEvT1_
	.p2align	8
	.type	_ZN7rocprim17ROCPRIM_400000_NS6detail17trampoline_kernelINS0_14default_configENS1_25partition_config_selectorILNS1_17partition_subalgoE1ExNS0_10empty_typeEbEEZZNS1_14partition_implILS5_1ELb0ES3_jN6thrust23THRUST_200600_302600_NS6detail15normal_iteratorINSA_10device_ptrIxEEEEPS6_NSA_18transform_iteratorINSA_8identityIxEESF_NSA_11use_defaultESK_EENS0_5tupleIJSF_SF_EEENSM_IJSG_SG_EEES6_PlJS6_EEE10hipError_tPvRmT3_T4_T5_T6_T7_T9_mT8_P12ihipStream_tbDpT10_ENKUlT_T0_E_clISt17integral_constantIbLb1EES19_EEDaS14_S15_EUlS14_E_NS1_11comp_targetILNS1_3genE10ELNS1_11target_archE1200ELNS1_3gpuE4ELNS1_3repE0EEENS1_30default_config_static_selectorELNS0_4arch9wavefront6targetE1EEEvT1_,@function
_ZN7rocprim17ROCPRIM_400000_NS6detail17trampoline_kernelINS0_14default_configENS1_25partition_config_selectorILNS1_17partition_subalgoE1ExNS0_10empty_typeEbEEZZNS1_14partition_implILS5_1ELb0ES3_jN6thrust23THRUST_200600_302600_NS6detail15normal_iteratorINSA_10device_ptrIxEEEEPS6_NSA_18transform_iteratorINSA_8identityIxEESF_NSA_11use_defaultESK_EENS0_5tupleIJSF_SF_EEENSM_IJSG_SG_EEES6_PlJS6_EEE10hipError_tPvRmT3_T4_T5_T6_T7_T9_mT8_P12ihipStream_tbDpT10_ENKUlT_T0_E_clISt17integral_constantIbLb1EES19_EEDaS14_S15_EUlS14_E_NS1_11comp_targetILNS1_3genE10ELNS1_11target_archE1200ELNS1_3gpuE4ELNS1_3repE0EEENS1_30default_config_static_selectorELNS0_4arch9wavefront6targetE1EEEvT1_: ; @_ZN7rocprim17ROCPRIM_400000_NS6detail17trampoline_kernelINS0_14default_configENS1_25partition_config_selectorILNS1_17partition_subalgoE1ExNS0_10empty_typeEbEEZZNS1_14partition_implILS5_1ELb0ES3_jN6thrust23THRUST_200600_302600_NS6detail15normal_iteratorINSA_10device_ptrIxEEEEPS6_NSA_18transform_iteratorINSA_8identityIxEESF_NSA_11use_defaultESK_EENS0_5tupleIJSF_SF_EEENSM_IJSG_SG_EEES6_PlJS6_EEE10hipError_tPvRmT3_T4_T5_T6_T7_T9_mT8_P12ihipStream_tbDpT10_ENKUlT_T0_E_clISt17integral_constantIbLb1EES19_EEDaS14_S15_EUlS14_E_NS1_11comp_targetILNS1_3genE10ELNS1_11target_archE1200ELNS1_3gpuE4ELNS1_3repE0EEENS1_30default_config_static_selectorELNS0_4arch9wavefront6targetE1EEEvT1_
; %bb.0:
	.section	.rodata,"a",@progbits
	.p2align	6, 0x0
	.amdhsa_kernel _ZN7rocprim17ROCPRIM_400000_NS6detail17trampoline_kernelINS0_14default_configENS1_25partition_config_selectorILNS1_17partition_subalgoE1ExNS0_10empty_typeEbEEZZNS1_14partition_implILS5_1ELb0ES3_jN6thrust23THRUST_200600_302600_NS6detail15normal_iteratorINSA_10device_ptrIxEEEEPS6_NSA_18transform_iteratorINSA_8identityIxEESF_NSA_11use_defaultESK_EENS0_5tupleIJSF_SF_EEENSM_IJSG_SG_EEES6_PlJS6_EEE10hipError_tPvRmT3_T4_T5_T6_T7_T9_mT8_P12ihipStream_tbDpT10_ENKUlT_T0_E_clISt17integral_constantIbLb1EES19_EEDaS14_S15_EUlS14_E_NS1_11comp_targetILNS1_3genE10ELNS1_11target_archE1200ELNS1_3gpuE4ELNS1_3repE0EEENS1_30default_config_static_selectorELNS0_4arch9wavefront6targetE1EEEvT1_
		.amdhsa_group_segment_fixed_size 0
		.amdhsa_private_segment_fixed_size 0
		.amdhsa_kernarg_size 144
		.amdhsa_user_sgpr_count 6
		.amdhsa_user_sgpr_private_segment_buffer 1
		.amdhsa_user_sgpr_dispatch_ptr 0
		.amdhsa_user_sgpr_queue_ptr 0
		.amdhsa_user_sgpr_kernarg_segment_ptr 1
		.amdhsa_user_sgpr_dispatch_id 0
		.amdhsa_user_sgpr_flat_scratch_init 0
		.amdhsa_user_sgpr_kernarg_preload_length 0
		.amdhsa_user_sgpr_kernarg_preload_offset 0
		.amdhsa_user_sgpr_private_segment_size 0
		.amdhsa_uses_dynamic_stack 0
		.amdhsa_system_sgpr_private_segment_wavefront_offset 0
		.amdhsa_system_sgpr_workgroup_id_x 1
		.amdhsa_system_sgpr_workgroup_id_y 0
		.amdhsa_system_sgpr_workgroup_id_z 0
		.amdhsa_system_sgpr_workgroup_info 0
		.amdhsa_system_vgpr_workitem_id 0
		.amdhsa_next_free_vgpr 1
		.amdhsa_next_free_sgpr 0
		.amdhsa_accum_offset 4
		.amdhsa_reserve_vcc 0
		.amdhsa_reserve_flat_scratch 0
		.amdhsa_float_round_mode_32 0
		.amdhsa_float_round_mode_16_64 0
		.amdhsa_float_denorm_mode_32 3
		.amdhsa_float_denorm_mode_16_64 3
		.amdhsa_dx10_clamp 1
		.amdhsa_ieee_mode 1
		.amdhsa_fp16_overflow 0
		.amdhsa_tg_split 0
		.amdhsa_exception_fp_ieee_invalid_op 0
		.amdhsa_exception_fp_denorm_src 0
		.amdhsa_exception_fp_ieee_div_zero 0
		.amdhsa_exception_fp_ieee_overflow 0
		.amdhsa_exception_fp_ieee_underflow 0
		.amdhsa_exception_fp_ieee_inexact 0
		.amdhsa_exception_int_div_zero 0
	.end_amdhsa_kernel
	.section	.text._ZN7rocprim17ROCPRIM_400000_NS6detail17trampoline_kernelINS0_14default_configENS1_25partition_config_selectorILNS1_17partition_subalgoE1ExNS0_10empty_typeEbEEZZNS1_14partition_implILS5_1ELb0ES3_jN6thrust23THRUST_200600_302600_NS6detail15normal_iteratorINSA_10device_ptrIxEEEEPS6_NSA_18transform_iteratorINSA_8identityIxEESF_NSA_11use_defaultESK_EENS0_5tupleIJSF_SF_EEENSM_IJSG_SG_EEES6_PlJS6_EEE10hipError_tPvRmT3_T4_T5_T6_T7_T9_mT8_P12ihipStream_tbDpT10_ENKUlT_T0_E_clISt17integral_constantIbLb1EES19_EEDaS14_S15_EUlS14_E_NS1_11comp_targetILNS1_3genE10ELNS1_11target_archE1200ELNS1_3gpuE4ELNS1_3repE0EEENS1_30default_config_static_selectorELNS0_4arch9wavefront6targetE1EEEvT1_,"axG",@progbits,_ZN7rocprim17ROCPRIM_400000_NS6detail17trampoline_kernelINS0_14default_configENS1_25partition_config_selectorILNS1_17partition_subalgoE1ExNS0_10empty_typeEbEEZZNS1_14partition_implILS5_1ELb0ES3_jN6thrust23THRUST_200600_302600_NS6detail15normal_iteratorINSA_10device_ptrIxEEEEPS6_NSA_18transform_iteratorINSA_8identityIxEESF_NSA_11use_defaultESK_EENS0_5tupleIJSF_SF_EEENSM_IJSG_SG_EEES6_PlJS6_EEE10hipError_tPvRmT3_T4_T5_T6_T7_T9_mT8_P12ihipStream_tbDpT10_ENKUlT_T0_E_clISt17integral_constantIbLb1EES19_EEDaS14_S15_EUlS14_E_NS1_11comp_targetILNS1_3genE10ELNS1_11target_archE1200ELNS1_3gpuE4ELNS1_3repE0EEENS1_30default_config_static_selectorELNS0_4arch9wavefront6targetE1EEEvT1_,comdat
.Lfunc_end590:
	.size	_ZN7rocprim17ROCPRIM_400000_NS6detail17trampoline_kernelINS0_14default_configENS1_25partition_config_selectorILNS1_17partition_subalgoE1ExNS0_10empty_typeEbEEZZNS1_14partition_implILS5_1ELb0ES3_jN6thrust23THRUST_200600_302600_NS6detail15normal_iteratorINSA_10device_ptrIxEEEEPS6_NSA_18transform_iteratorINSA_8identityIxEESF_NSA_11use_defaultESK_EENS0_5tupleIJSF_SF_EEENSM_IJSG_SG_EEES6_PlJS6_EEE10hipError_tPvRmT3_T4_T5_T6_T7_T9_mT8_P12ihipStream_tbDpT10_ENKUlT_T0_E_clISt17integral_constantIbLb1EES19_EEDaS14_S15_EUlS14_E_NS1_11comp_targetILNS1_3genE10ELNS1_11target_archE1200ELNS1_3gpuE4ELNS1_3repE0EEENS1_30default_config_static_selectorELNS0_4arch9wavefront6targetE1EEEvT1_, .Lfunc_end590-_ZN7rocprim17ROCPRIM_400000_NS6detail17trampoline_kernelINS0_14default_configENS1_25partition_config_selectorILNS1_17partition_subalgoE1ExNS0_10empty_typeEbEEZZNS1_14partition_implILS5_1ELb0ES3_jN6thrust23THRUST_200600_302600_NS6detail15normal_iteratorINSA_10device_ptrIxEEEEPS6_NSA_18transform_iteratorINSA_8identityIxEESF_NSA_11use_defaultESK_EENS0_5tupleIJSF_SF_EEENSM_IJSG_SG_EEES6_PlJS6_EEE10hipError_tPvRmT3_T4_T5_T6_T7_T9_mT8_P12ihipStream_tbDpT10_ENKUlT_T0_E_clISt17integral_constantIbLb1EES19_EEDaS14_S15_EUlS14_E_NS1_11comp_targetILNS1_3genE10ELNS1_11target_archE1200ELNS1_3gpuE4ELNS1_3repE0EEENS1_30default_config_static_selectorELNS0_4arch9wavefront6targetE1EEEvT1_
                                        ; -- End function
	.section	.AMDGPU.csdata,"",@progbits
; Kernel info:
; codeLenInByte = 0
; NumSgprs: 4
; NumVgprs: 0
; NumAgprs: 0
; TotalNumVgprs: 0
; ScratchSize: 0
; MemoryBound: 0
; FloatMode: 240
; IeeeMode: 1
; LDSByteSize: 0 bytes/workgroup (compile time only)
; SGPRBlocks: 0
; VGPRBlocks: 0
; NumSGPRsForWavesPerEU: 4
; NumVGPRsForWavesPerEU: 1
; AccumOffset: 4
; Occupancy: 8
; WaveLimiterHint : 0
; COMPUTE_PGM_RSRC2:SCRATCH_EN: 0
; COMPUTE_PGM_RSRC2:USER_SGPR: 6
; COMPUTE_PGM_RSRC2:TRAP_HANDLER: 0
; COMPUTE_PGM_RSRC2:TGID_X_EN: 1
; COMPUTE_PGM_RSRC2:TGID_Y_EN: 0
; COMPUTE_PGM_RSRC2:TGID_Z_EN: 0
; COMPUTE_PGM_RSRC2:TIDIG_COMP_CNT: 0
; COMPUTE_PGM_RSRC3_GFX90A:ACCUM_OFFSET: 0
; COMPUTE_PGM_RSRC3_GFX90A:TG_SPLIT: 0
	.section	.text._ZN7rocprim17ROCPRIM_400000_NS6detail17trampoline_kernelINS0_14default_configENS1_25partition_config_selectorILNS1_17partition_subalgoE1ExNS0_10empty_typeEbEEZZNS1_14partition_implILS5_1ELb0ES3_jN6thrust23THRUST_200600_302600_NS6detail15normal_iteratorINSA_10device_ptrIxEEEEPS6_NSA_18transform_iteratorINSA_8identityIxEESF_NSA_11use_defaultESK_EENS0_5tupleIJSF_SF_EEENSM_IJSG_SG_EEES6_PlJS6_EEE10hipError_tPvRmT3_T4_T5_T6_T7_T9_mT8_P12ihipStream_tbDpT10_ENKUlT_T0_E_clISt17integral_constantIbLb1EES19_EEDaS14_S15_EUlS14_E_NS1_11comp_targetILNS1_3genE9ELNS1_11target_archE1100ELNS1_3gpuE3ELNS1_3repE0EEENS1_30default_config_static_selectorELNS0_4arch9wavefront6targetE1EEEvT1_,"axG",@progbits,_ZN7rocprim17ROCPRIM_400000_NS6detail17trampoline_kernelINS0_14default_configENS1_25partition_config_selectorILNS1_17partition_subalgoE1ExNS0_10empty_typeEbEEZZNS1_14partition_implILS5_1ELb0ES3_jN6thrust23THRUST_200600_302600_NS6detail15normal_iteratorINSA_10device_ptrIxEEEEPS6_NSA_18transform_iteratorINSA_8identityIxEESF_NSA_11use_defaultESK_EENS0_5tupleIJSF_SF_EEENSM_IJSG_SG_EEES6_PlJS6_EEE10hipError_tPvRmT3_T4_T5_T6_T7_T9_mT8_P12ihipStream_tbDpT10_ENKUlT_T0_E_clISt17integral_constantIbLb1EES19_EEDaS14_S15_EUlS14_E_NS1_11comp_targetILNS1_3genE9ELNS1_11target_archE1100ELNS1_3gpuE3ELNS1_3repE0EEENS1_30default_config_static_selectorELNS0_4arch9wavefront6targetE1EEEvT1_,comdat
	.protected	_ZN7rocprim17ROCPRIM_400000_NS6detail17trampoline_kernelINS0_14default_configENS1_25partition_config_selectorILNS1_17partition_subalgoE1ExNS0_10empty_typeEbEEZZNS1_14partition_implILS5_1ELb0ES3_jN6thrust23THRUST_200600_302600_NS6detail15normal_iteratorINSA_10device_ptrIxEEEEPS6_NSA_18transform_iteratorINSA_8identityIxEESF_NSA_11use_defaultESK_EENS0_5tupleIJSF_SF_EEENSM_IJSG_SG_EEES6_PlJS6_EEE10hipError_tPvRmT3_T4_T5_T6_T7_T9_mT8_P12ihipStream_tbDpT10_ENKUlT_T0_E_clISt17integral_constantIbLb1EES19_EEDaS14_S15_EUlS14_E_NS1_11comp_targetILNS1_3genE9ELNS1_11target_archE1100ELNS1_3gpuE3ELNS1_3repE0EEENS1_30default_config_static_selectorELNS0_4arch9wavefront6targetE1EEEvT1_ ; -- Begin function _ZN7rocprim17ROCPRIM_400000_NS6detail17trampoline_kernelINS0_14default_configENS1_25partition_config_selectorILNS1_17partition_subalgoE1ExNS0_10empty_typeEbEEZZNS1_14partition_implILS5_1ELb0ES3_jN6thrust23THRUST_200600_302600_NS6detail15normal_iteratorINSA_10device_ptrIxEEEEPS6_NSA_18transform_iteratorINSA_8identityIxEESF_NSA_11use_defaultESK_EENS0_5tupleIJSF_SF_EEENSM_IJSG_SG_EEES6_PlJS6_EEE10hipError_tPvRmT3_T4_T5_T6_T7_T9_mT8_P12ihipStream_tbDpT10_ENKUlT_T0_E_clISt17integral_constantIbLb1EES19_EEDaS14_S15_EUlS14_E_NS1_11comp_targetILNS1_3genE9ELNS1_11target_archE1100ELNS1_3gpuE3ELNS1_3repE0EEENS1_30default_config_static_selectorELNS0_4arch9wavefront6targetE1EEEvT1_
	.globl	_ZN7rocprim17ROCPRIM_400000_NS6detail17trampoline_kernelINS0_14default_configENS1_25partition_config_selectorILNS1_17partition_subalgoE1ExNS0_10empty_typeEbEEZZNS1_14partition_implILS5_1ELb0ES3_jN6thrust23THRUST_200600_302600_NS6detail15normal_iteratorINSA_10device_ptrIxEEEEPS6_NSA_18transform_iteratorINSA_8identityIxEESF_NSA_11use_defaultESK_EENS0_5tupleIJSF_SF_EEENSM_IJSG_SG_EEES6_PlJS6_EEE10hipError_tPvRmT3_T4_T5_T6_T7_T9_mT8_P12ihipStream_tbDpT10_ENKUlT_T0_E_clISt17integral_constantIbLb1EES19_EEDaS14_S15_EUlS14_E_NS1_11comp_targetILNS1_3genE9ELNS1_11target_archE1100ELNS1_3gpuE3ELNS1_3repE0EEENS1_30default_config_static_selectorELNS0_4arch9wavefront6targetE1EEEvT1_
	.p2align	8
	.type	_ZN7rocprim17ROCPRIM_400000_NS6detail17trampoline_kernelINS0_14default_configENS1_25partition_config_selectorILNS1_17partition_subalgoE1ExNS0_10empty_typeEbEEZZNS1_14partition_implILS5_1ELb0ES3_jN6thrust23THRUST_200600_302600_NS6detail15normal_iteratorINSA_10device_ptrIxEEEEPS6_NSA_18transform_iteratorINSA_8identityIxEESF_NSA_11use_defaultESK_EENS0_5tupleIJSF_SF_EEENSM_IJSG_SG_EEES6_PlJS6_EEE10hipError_tPvRmT3_T4_T5_T6_T7_T9_mT8_P12ihipStream_tbDpT10_ENKUlT_T0_E_clISt17integral_constantIbLb1EES19_EEDaS14_S15_EUlS14_E_NS1_11comp_targetILNS1_3genE9ELNS1_11target_archE1100ELNS1_3gpuE3ELNS1_3repE0EEENS1_30default_config_static_selectorELNS0_4arch9wavefront6targetE1EEEvT1_,@function
_ZN7rocprim17ROCPRIM_400000_NS6detail17trampoline_kernelINS0_14default_configENS1_25partition_config_selectorILNS1_17partition_subalgoE1ExNS0_10empty_typeEbEEZZNS1_14partition_implILS5_1ELb0ES3_jN6thrust23THRUST_200600_302600_NS6detail15normal_iteratorINSA_10device_ptrIxEEEEPS6_NSA_18transform_iteratorINSA_8identityIxEESF_NSA_11use_defaultESK_EENS0_5tupleIJSF_SF_EEENSM_IJSG_SG_EEES6_PlJS6_EEE10hipError_tPvRmT3_T4_T5_T6_T7_T9_mT8_P12ihipStream_tbDpT10_ENKUlT_T0_E_clISt17integral_constantIbLb1EES19_EEDaS14_S15_EUlS14_E_NS1_11comp_targetILNS1_3genE9ELNS1_11target_archE1100ELNS1_3gpuE3ELNS1_3repE0EEENS1_30default_config_static_selectorELNS0_4arch9wavefront6targetE1EEEvT1_: ; @_ZN7rocprim17ROCPRIM_400000_NS6detail17trampoline_kernelINS0_14default_configENS1_25partition_config_selectorILNS1_17partition_subalgoE1ExNS0_10empty_typeEbEEZZNS1_14partition_implILS5_1ELb0ES3_jN6thrust23THRUST_200600_302600_NS6detail15normal_iteratorINSA_10device_ptrIxEEEEPS6_NSA_18transform_iteratorINSA_8identityIxEESF_NSA_11use_defaultESK_EENS0_5tupleIJSF_SF_EEENSM_IJSG_SG_EEES6_PlJS6_EEE10hipError_tPvRmT3_T4_T5_T6_T7_T9_mT8_P12ihipStream_tbDpT10_ENKUlT_T0_E_clISt17integral_constantIbLb1EES19_EEDaS14_S15_EUlS14_E_NS1_11comp_targetILNS1_3genE9ELNS1_11target_archE1100ELNS1_3gpuE3ELNS1_3repE0EEENS1_30default_config_static_selectorELNS0_4arch9wavefront6targetE1EEEvT1_
; %bb.0:
	.section	.rodata,"a",@progbits
	.p2align	6, 0x0
	.amdhsa_kernel _ZN7rocprim17ROCPRIM_400000_NS6detail17trampoline_kernelINS0_14default_configENS1_25partition_config_selectorILNS1_17partition_subalgoE1ExNS0_10empty_typeEbEEZZNS1_14partition_implILS5_1ELb0ES3_jN6thrust23THRUST_200600_302600_NS6detail15normal_iteratorINSA_10device_ptrIxEEEEPS6_NSA_18transform_iteratorINSA_8identityIxEESF_NSA_11use_defaultESK_EENS0_5tupleIJSF_SF_EEENSM_IJSG_SG_EEES6_PlJS6_EEE10hipError_tPvRmT3_T4_T5_T6_T7_T9_mT8_P12ihipStream_tbDpT10_ENKUlT_T0_E_clISt17integral_constantIbLb1EES19_EEDaS14_S15_EUlS14_E_NS1_11comp_targetILNS1_3genE9ELNS1_11target_archE1100ELNS1_3gpuE3ELNS1_3repE0EEENS1_30default_config_static_selectorELNS0_4arch9wavefront6targetE1EEEvT1_
		.amdhsa_group_segment_fixed_size 0
		.amdhsa_private_segment_fixed_size 0
		.amdhsa_kernarg_size 144
		.amdhsa_user_sgpr_count 6
		.amdhsa_user_sgpr_private_segment_buffer 1
		.amdhsa_user_sgpr_dispatch_ptr 0
		.amdhsa_user_sgpr_queue_ptr 0
		.amdhsa_user_sgpr_kernarg_segment_ptr 1
		.amdhsa_user_sgpr_dispatch_id 0
		.amdhsa_user_sgpr_flat_scratch_init 0
		.amdhsa_user_sgpr_kernarg_preload_length 0
		.amdhsa_user_sgpr_kernarg_preload_offset 0
		.amdhsa_user_sgpr_private_segment_size 0
		.amdhsa_uses_dynamic_stack 0
		.amdhsa_system_sgpr_private_segment_wavefront_offset 0
		.amdhsa_system_sgpr_workgroup_id_x 1
		.amdhsa_system_sgpr_workgroup_id_y 0
		.amdhsa_system_sgpr_workgroup_id_z 0
		.amdhsa_system_sgpr_workgroup_info 0
		.amdhsa_system_vgpr_workitem_id 0
		.amdhsa_next_free_vgpr 1
		.amdhsa_next_free_sgpr 0
		.amdhsa_accum_offset 4
		.amdhsa_reserve_vcc 0
		.amdhsa_reserve_flat_scratch 0
		.amdhsa_float_round_mode_32 0
		.amdhsa_float_round_mode_16_64 0
		.amdhsa_float_denorm_mode_32 3
		.amdhsa_float_denorm_mode_16_64 3
		.amdhsa_dx10_clamp 1
		.amdhsa_ieee_mode 1
		.amdhsa_fp16_overflow 0
		.amdhsa_tg_split 0
		.amdhsa_exception_fp_ieee_invalid_op 0
		.amdhsa_exception_fp_denorm_src 0
		.amdhsa_exception_fp_ieee_div_zero 0
		.amdhsa_exception_fp_ieee_overflow 0
		.amdhsa_exception_fp_ieee_underflow 0
		.amdhsa_exception_fp_ieee_inexact 0
		.amdhsa_exception_int_div_zero 0
	.end_amdhsa_kernel
	.section	.text._ZN7rocprim17ROCPRIM_400000_NS6detail17trampoline_kernelINS0_14default_configENS1_25partition_config_selectorILNS1_17partition_subalgoE1ExNS0_10empty_typeEbEEZZNS1_14partition_implILS5_1ELb0ES3_jN6thrust23THRUST_200600_302600_NS6detail15normal_iteratorINSA_10device_ptrIxEEEEPS6_NSA_18transform_iteratorINSA_8identityIxEESF_NSA_11use_defaultESK_EENS0_5tupleIJSF_SF_EEENSM_IJSG_SG_EEES6_PlJS6_EEE10hipError_tPvRmT3_T4_T5_T6_T7_T9_mT8_P12ihipStream_tbDpT10_ENKUlT_T0_E_clISt17integral_constantIbLb1EES19_EEDaS14_S15_EUlS14_E_NS1_11comp_targetILNS1_3genE9ELNS1_11target_archE1100ELNS1_3gpuE3ELNS1_3repE0EEENS1_30default_config_static_selectorELNS0_4arch9wavefront6targetE1EEEvT1_,"axG",@progbits,_ZN7rocprim17ROCPRIM_400000_NS6detail17trampoline_kernelINS0_14default_configENS1_25partition_config_selectorILNS1_17partition_subalgoE1ExNS0_10empty_typeEbEEZZNS1_14partition_implILS5_1ELb0ES3_jN6thrust23THRUST_200600_302600_NS6detail15normal_iteratorINSA_10device_ptrIxEEEEPS6_NSA_18transform_iteratorINSA_8identityIxEESF_NSA_11use_defaultESK_EENS0_5tupleIJSF_SF_EEENSM_IJSG_SG_EEES6_PlJS6_EEE10hipError_tPvRmT3_T4_T5_T6_T7_T9_mT8_P12ihipStream_tbDpT10_ENKUlT_T0_E_clISt17integral_constantIbLb1EES19_EEDaS14_S15_EUlS14_E_NS1_11comp_targetILNS1_3genE9ELNS1_11target_archE1100ELNS1_3gpuE3ELNS1_3repE0EEENS1_30default_config_static_selectorELNS0_4arch9wavefront6targetE1EEEvT1_,comdat
.Lfunc_end591:
	.size	_ZN7rocprim17ROCPRIM_400000_NS6detail17trampoline_kernelINS0_14default_configENS1_25partition_config_selectorILNS1_17partition_subalgoE1ExNS0_10empty_typeEbEEZZNS1_14partition_implILS5_1ELb0ES3_jN6thrust23THRUST_200600_302600_NS6detail15normal_iteratorINSA_10device_ptrIxEEEEPS6_NSA_18transform_iteratorINSA_8identityIxEESF_NSA_11use_defaultESK_EENS0_5tupleIJSF_SF_EEENSM_IJSG_SG_EEES6_PlJS6_EEE10hipError_tPvRmT3_T4_T5_T6_T7_T9_mT8_P12ihipStream_tbDpT10_ENKUlT_T0_E_clISt17integral_constantIbLb1EES19_EEDaS14_S15_EUlS14_E_NS1_11comp_targetILNS1_3genE9ELNS1_11target_archE1100ELNS1_3gpuE3ELNS1_3repE0EEENS1_30default_config_static_selectorELNS0_4arch9wavefront6targetE1EEEvT1_, .Lfunc_end591-_ZN7rocprim17ROCPRIM_400000_NS6detail17trampoline_kernelINS0_14default_configENS1_25partition_config_selectorILNS1_17partition_subalgoE1ExNS0_10empty_typeEbEEZZNS1_14partition_implILS5_1ELb0ES3_jN6thrust23THRUST_200600_302600_NS6detail15normal_iteratorINSA_10device_ptrIxEEEEPS6_NSA_18transform_iteratorINSA_8identityIxEESF_NSA_11use_defaultESK_EENS0_5tupleIJSF_SF_EEENSM_IJSG_SG_EEES6_PlJS6_EEE10hipError_tPvRmT3_T4_T5_T6_T7_T9_mT8_P12ihipStream_tbDpT10_ENKUlT_T0_E_clISt17integral_constantIbLb1EES19_EEDaS14_S15_EUlS14_E_NS1_11comp_targetILNS1_3genE9ELNS1_11target_archE1100ELNS1_3gpuE3ELNS1_3repE0EEENS1_30default_config_static_selectorELNS0_4arch9wavefront6targetE1EEEvT1_
                                        ; -- End function
	.section	.AMDGPU.csdata,"",@progbits
; Kernel info:
; codeLenInByte = 0
; NumSgprs: 4
; NumVgprs: 0
; NumAgprs: 0
; TotalNumVgprs: 0
; ScratchSize: 0
; MemoryBound: 0
; FloatMode: 240
; IeeeMode: 1
; LDSByteSize: 0 bytes/workgroup (compile time only)
; SGPRBlocks: 0
; VGPRBlocks: 0
; NumSGPRsForWavesPerEU: 4
; NumVGPRsForWavesPerEU: 1
; AccumOffset: 4
; Occupancy: 8
; WaveLimiterHint : 0
; COMPUTE_PGM_RSRC2:SCRATCH_EN: 0
; COMPUTE_PGM_RSRC2:USER_SGPR: 6
; COMPUTE_PGM_RSRC2:TRAP_HANDLER: 0
; COMPUTE_PGM_RSRC2:TGID_X_EN: 1
; COMPUTE_PGM_RSRC2:TGID_Y_EN: 0
; COMPUTE_PGM_RSRC2:TGID_Z_EN: 0
; COMPUTE_PGM_RSRC2:TIDIG_COMP_CNT: 0
; COMPUTE_PGM_RSRC3_GFX90A:ACCUM_OFFSET: 0
; COMPUTE_PGM_RSRC3_GFX90A:TG_SPLIT: 0
	.section	.text._ZN7rocprim17ROCPRIM_400000_NS6detail17trampoline_kernelINS0_14default_configENS1_25partition_config_selectorILNS1_17partition_subalgoE1ExNS0_10empty_typeEbEEZZNS1_14partition_implILS5_1ELb0ES3_jN6thrust23THRUST_200600_302600_NS6detail15normal_iteratorINSA_10device_ptrIxEEEEPS6_NSA_18transform_iteratorINSA_8identityIxEESF_NSA_11use_defaultESK_EENS0_5tupleIJSF_SF_EEENSM_IJSG_SG_EEES6_PlJS6_EEE10hipError_tPvRmT3_T4_T5_T6_T7_T9_mT8_P12ihipStream_tbDpT10_ENKUlT_T0_E_clISt17integral_constantIbLb1EES19_EEDaS14_S15_EUlS14_E_NS1_11comp_targetILNS1_3genE8ELNS1_11target_archE1030ELNS1_3gpuE2ELNS1_3repE0EEENS1_30default_config_static_selectorELNS0_4arch9wavefront6targetE1EEEvT1_,"axG",@progbits,_ZN7rocprim17ROCPRIM_400000_NS6detail17trampoline_kernelINS0_14default_configENS1_25partition_config_selectorILNS1_17partition_subalgoE1ExNS0_10empty_typeEbEEZZNS1_14partition_implILS5_1ELb0ES3_jN6thrust23THRUST_200600_302600_NS6detail15normal_iteratorINSA_10device_ptrIxEEEEPS6_NSA_18transform_iteratorINSA_8identityIxEESF_NSA_11use_defaultESK_EENS0_5tupleIJSF_SF_EEENSM_IJSG_SG_EEES6_PlJS6_EEE10hipError_tPvRmT3_T4_T5_T6_T7_T9_mT8_P12ihipStream_tbDpT10_ENKUlT_T0_E_clISt17integral_constantIbLb1EES19_EEDaS14_S15_EUlS14_E_NS1_11comp_targetILNS1_3genE8ELNS1_11target_archE1030ELNS1_3gpuE2ELNS1_3repE0EEENS1_30default_config_static_selectorELNS0_4arch9wavefront6targetE1EEEvT1_,comdat
	.protected	_ZN7rocprim17ROCPRIM_400000_NS6detail17trampoline_kernelINS0_14default_configENS1_25partition_config_selectorILNS1_17partition_subalgoE1ExNS0_10empty_typeEbEEZZNS1_14partition_implILS5_1ELb0ES3_jN6thrust23THRUST_200600_302600_NS6detail15normal_iteratorINSA_10device_ptrIxEEEEPS6_NSA_18transform_iteratorINSA_8identityIxEESF_NSA_11use_defaultESK_EENS0_5tupleIJSF_SF_EEENSM_IJSG_SG_EEES6_PlJS6_EEE10hipError_tPvRmT3_T4_T5_T6_T7_T9_mT8_P12ihipStream_tbDpT10_ENKUlT_T0_E_clISt17integral_constantIbLb1EES19_EEDaS14_S15_EUlS14_E_NS1_11comp_targetILNS1_3genE8ELNS1_11target_archE1030ELNS1_3gpuE2ELNS1_3repE0EEENS1_30default_config_static_selectorELNS0_4arch9wavefront6targetE1EEEvT1_ ; -- Begin function _ZN7rocprim17ROCPRIM_400000_NS6detail17trampoline_kernelINS0_14default_configENS1_25partition_config_selectorILNS1_17partition_subalgoE1ExNS0_10empty_typeEbEEZZNS1_14partition_implILS5_1ELb0ES3_jN6thrust23THRUST_200600_302600_NS6detail15normal_iteratorINSA_10device_ptrIxEEEEPS6_NSA_18transform_iteratorINSA_8identityIxEESF_NSA_11use_defaultESK_EENS0_5tupleIJSF_SF_EEENSM_IJSG_SG_EEES6_PlJS6_EEE10hipError_tPvRmT3_T4_T5_T6_T7_T9_mT8_P12ihipStream_tbDpT10_ENKUlT_T0_E_clISt17integral_constantIbLb1EES19_EEDaS14_S15_EUlS14_E_NS1_11comp_targetILNS1_3genE8ELNS1_11target_archE1030ELNS1_3gpuE2ELNS1_3repE0EEENS1_30default_config_static_selectorELNS0_4arch9wavefront6targetE1EEEvT1_
	.globl	_ZN7rocprim17ROCPRIM_400000_NS6detail17trampoline_kernelINS0_14default_configENS1_25partition_config_selectorILNS1_17partition_subalgoE1ExNS0_10empty_typeEbEEZZNS1_14partition_implILS5_1ELb0ES3_jN6thrust23THRUST_200600_302600_NS6detail15normal_iteratorINSA_10device_ptrIxEEEEPS6_NSA_18transform_iteratorINSA_8identityIxEESF_NSA_11use_defaultESK_EENS0_5tupleIJSF_SF_EEENSM_IJSG_SG_EEES6_PlJS6_EEE10hipError_tPvRmT3_T4_T5_T6_T7_T9_mT8_P12ihipStream_tbDpT10_ENKUlT_T0_E_clISt17integral_constantIbLb1EES19_EEDaS14_S15_EUlS14_E_NS1_11comp_targetILNS1_3genE8ELNS1_11target_archE1030ELNS1_3gpuE2ELNS1_3repE0EEENS1_30default_config_static_selectorELNS0_4arch9wavefront6targetE1EEEvT1_
	.p2align	8
	.type	_ZN7rocprim17ROCPRIM_400000_NS6detail17trampoline_kernelINS0_14default_configENS1_25partition_config_selectorILNS1_17partition_subalgoE1ExNS0_10empty_typeEbEEZZNS1_14partition_implILS5_1ELb0ES3_jN6thrust23THRUST_200600_302600_NS6detail15normal_iteratorINSA_10device_ptrIxEEEEPS6_NSA_18transform_iteratorINSA_8identityIxEESF_NSA_11use_defaultESK_EENS0_5tupleIJSF_SF_EEENSM_IJSG_SG_EEES6_PlJS6_EEE10hipError_tPvRmT3_T4_T5_T6_T7_T9_mT8_P12ihipStream_tbDpT10_ENKUlT_T0_E_clISt17integral_constantIbLb1EES19_EEDaS14_S15_EUlS14_E_NS1_11comp_targetILNS1_3genE8ELNS1_11target_archE1030ELNS1_3gpuE2ELNS1_3repE0EEENS1_30default_config_static_selectorELNS0_4arch9wavefront6targetE1EEEvT1_,@function
_ZN7rocprim17ROCPRIM_400000_NS6detail17trampoline_kernelINS0_14default_configENS1_25partition_config_selectorILNS1_17partition_subalgoE1ExNS0_10empty_typeEbEEZZNS1_14partition_implILS5_1ELb0ES3_jN6thrust23THRUST_200600_302600_NS6detail15normal_iteratorINSA_10device_ptrIxEEEEPS6_NSA_18transform_iteratorINSA_8identityIxEESF_NSA_11use_defaultESK_EENS0_5tupleIJSF_SF_EEENSM_IJSG_SG_EEES6_PlJS6_EEE10hipError_tPvRmT3_T4_T5_T6_T7_T9_mT8_P12ihipStream_tbDpT10_ENKUlT_T0_E_clISt17integral_constantIbLb1EES19_EEDaS14_S15_EUlS14_E_NS1_11comp_targetILNS1_3genE8ELNS1_11target_archE1030ELNS1_3gpuE2ELNS1_3repE0EEENS1_30default_config_static_selectorELNS0_4arch9wavefront6targetE1EEEvT1_: ; @_ZN7rocprim17ROCPRIM_400000_NS6detail17trampoline_kernelINS0_14default_configENS1_25partition_config_selectorILNS1_17partition_subalgoE1ExNS0_10empty_typeEbEEZZNS1_14partition_implILS5_1ELb0ES3_jN6thrust23THRUST_200600_302600_NS6detail15normal_iteratorINSA_10device_ptrIxEEEEPS6_NSA_18transform_iteratorINSA_8identityIxEESF_NSA_11use_defaultESK_EENS0_5tupleIJSF_SF_EEENSM_IJSG_SG_EEES6_PlJS6_EEE10hipError_tPvRmT3_T4_T5_T6_T7_T9_mT8_P12ihipStream_tbDpT10_ENKUlT_T0_E_clISt17integral_constantIbLb1EES19_EEDaS14_S15_EUlS14_E_NS1_11comp_targetILNS1_3genE8ELNS1_11target_archE1030ELNS1_3gpuE2ELNS1_3repE0EEENS1_30default_config_static_selectorELNS0_4arch9wavefront6targetE1EEEvT1_
; %bb.0:
	.section	.rodata,"a",@progbits
	.p2align	6, 0x0
	.amdhsa_kernel _ZN7rocprim17ROCPRIM_400000_NS6detail17trampoline_kernelINS0_14default_configENS1_25partition_config_selectorILNS1_17partition_subalgoE1ExNS0_10empty_typeEbEEZZNS1_14partition_implILS5_1ELb0ES3_jN6thrust23THRUST_200600_302600_NS6detail15normal_iteratorINSA_10device_ptrIxEEEEPS6_NSA_18transform_iteratorINSA_8identityIxEESF_NSA_11use_defaultESK_EENS0_5tupleIJSF_SF_EEENSM_IJSG_SG_EEES6_PlJS6_EEE10hipError_tPvRmT3_T4_T5_T6_T7_T9_mT8_P12ihipStream_tbDpT10_ENKUlT_T0_E_clISt17integral_constantIbLb1EES19_EEDaS14_S15_EUlS14_E_NS1_11comp_targetILNS1_3genE8ELNS1_11target_archE1030ELNS1_3gpuE2ELNS1_3repE0EEENS1_30default_config_static_selectorELNS0_4arch9wavefront6targetE1EEEvT1_
		.amdhsa_group_segment_fixed_size 0
		.amdhsa_private_segment_fixed_size 0
		.amdhsa_kernarg_size 144
		.amdhsa_user_sgpr_count 6
		.amdhsa_user_sgpr_private_segment_buffer 1
		.amdhsa_user_sgpr_dispatch_ptr 0
		.amdhsa_user_sgpr_queue_ptr 0
		.amdhsa_user_sgpr_kernarg_segment_ptr 1
		.amdhsa_user_sgpr_dispatch_id 0
		.amdhsa_user_sgpr_flat_scratch_init 0
		.amdhsa_user_sgpr_kernarg_preload_length 0
		.amdhsa_user_sgpr_kernarg_preload_offset 0
		.amdhsa_user_sgpr_private_segment_size 0
		.amdhsa_uses_dynamic_stack 0
		.amdhsa_system_sgpr_private_segment_wavefront_offset 0
		.amdhsa_system_sgpr_workgroup_id_x 1
		.amdhsa_system_sgpr_workgroup_id_y 0
		.amdhsa_system_sgpr_workgroup_id_z 0
		.amdhsa_system_sgpr_workgroup_info 0
		.amdhsa_system_vgpr_workitem_id 0
		.amdhsa_next_free_vgpr 1
		.amdhsa_next_free_sgpr 0
		.amdhsa_accum_offset 4
		.amdhsa_reserve_vcc 0
		.amdhsa_reserve_flat_scratch 0
		.amdhsa_float_round_mode_32 0
		.amdhsa_float_round_mode_16_64 0
		.amdhsa_float_denorm_mode_32 3
		.amdhsa_float_denorm_mode_16_64 3
		.amdhsa_dx10_clamp 1
		.amdhsa_ieee_mode 1
		.amdhsa_fp16_overflow 0
		.amdhsa_tg_split 0
		.amdhsa_exception_fp_ieee_invalid_op 0
		.amdhsa_exception_fp_denorm_src 0
		.amdhsa_exception_fp_ieee_div_zero 0
		.amdhsa_exception_fp_ieee_overflow 0
		.amdhsa_exception_fp_ieee_underflow 0
		.amdhsa_exception_fp_ieee_inexact 0
		.amdhsa_exception_int_div_zero 0
	.end_amdhsa_kernel
	.section	.text._ZN7rocprim17ROCPRIM_400000_NS6detail17trampoline_kernelINS0_14default_configENS1_25partition_config_selectorILNS1_17partition_subalgoE1ExNS0_10empty_typeEbEEZZNS1_14partition_implILS5_1ELb0ES3_jN6thrust23THRUST_200600_302600_NS6detail15normal_iteratorINSA_10device_ptrIxEEEEPS6_NSA_18transform_iteratorINSA_8identityIxEESF_NSA_11use_defaultESK_EENS0_5tupleIJSF_SF_EEENSM_IJSG_SG_EEES6_PlJS6_EEE10hipError_tPvRmT3_T4_T5_T6_T7_T9_mT8_P12ihipStream_tbDpT10_ENKUlT_T0_E_clISt17integral_constantIbLb1EES19_EEDaS14_S15_EUlS14_E_NS1_11comp_targetILNS1_3genE8ELNS1_11target_archE1030ELNS1_3gpuE2ELNS1_3repE0EEENS1_30default_config_static_selectorELNS0_4arch9wavefront6targetE1EEEvT1_,"axG",@progbits,_ZN7rocprim17ROCPRIM_400000_NS6detail17trampoline_kernelINS0_14default_configENS1_25partition_config_selectorILNS1_17partition_subalgoE1ExNS0_10empty_typeEbEEZZNS1_14partition_implILS5_1ELb0ES3_jN6thrust23THRUST_200600_302600_NS6detail15normal_iteratorINSA_10device_ptrIxEEEEPS6_NSA_18transform_iteratorINSA_8identityIxEESF_NSA_11use_defaultESK_EENS0_5tupleIJSF_SF_EEENSM_IJSG_SG_EEES6_PlJS6_EEE10hipError_tPvRmT3_T4_T5_T6_T7_T9_mT8_P12ihipStream_tbDpT10_ENKUlT_T0_E_clISt17integral_constantIbLb1EES19_EEDaS14_S15_EUlS14_E_NS1_11comp_targetILNS1_3genE8ELNS1_11target_archE1030ELNS1_3gpuE2ELNS1_3repE0EEENS1_30default_config_static_selectorELNS0_4arch9wavefront6targetE1EEEvT1_,comdat
.Lfunc_end592:
	.size	_ZN7rocprim17ROCPRIM_400000_NS6detail17trampoline_kernelINS0_14default_configENS1_25partition_config_selectorILNS1_17partition_subalgoE1ExNS0_10empty_typeEbEEZZNS1_14partition_implILS5_1ELb0ES3_jN6thrust23THRUST_200600_302600_NS6detail15normal_iteratorINSA_10device_ptrIxEEEEPS6_NSA_18transform_iteratorINSA_8identityIxEESF_NSA_11use_defaultESK_EENS0_5tupleIJSF_SF_EEENSM_IJSG_SG_EEES6_PlJS6_EEE10hipError_tPvRmT3_T4_T5_T6_T7_T9_mT8_P12ihipStream_tbDpT10_ENKUlT_T0_E_clISt17integral_constantIbLb1EES19_EEDaS14_S15_EUlS14_E_NS1_11comp_targetILNS1_3genE8ELNS1_11target_archE1030ELNS1_3gpuE2ELNS1_3repE0EEENS1_30default_config_static_selectorELNS0_4arch9wavefront6targetE1EEEvT1_, .Lfunc_end592-_ZN7rocprim17ROCPRIM_400000_NS6detail17trampoline_kernelINS0_14default_configENS1_25partition_config_selectorILNS1_17partition_subalgoE1ExNS0_10empty_typeEbEEZZNS1_14partition_implILS5_1ELb0ES3_jN6thrust23THRUST_200600_302600_NS6detail15normal_iteratorINSA_10device_ptrIxEEEEPS6_NSA_18transform_iteratorINSA_8identityIxEESF_NSA_11use_defaultESK_EENS0_5tupleIJSF_SF_EEENSM_IJSG_SG_EEES6_PlJS6_EEE10hipError_tPvRmT3_T4_T5_T6_T7_T9_mT8_P12ihipStream_tbDpT10_ENKUlT_T0_E_clISt17integral_constantIbLb1EES19_EEDaS14_S15_EUlS14_E_NS1_11comp_targetILNS1_3genE8ELNS1_11target_archE1030ELNS1_3gpuE2ELNS1_3repE0EEENS1_30default_config_static_selectorELNS0_4arch9wavefront6targetE1EEEvT1_
                                        ; -- End function
	.section	.AMDGPU.csdata,"",@progbits
; Kernel info:
; codeLenInByte = 0
; NumSgprs: 4
; NumVgprs: 0
; NumAgprs: 0
; TotalNumVgprs: 0
; ScratchSize: 0
; MemoryBound: 0
; FloatMode: 240
; IeeeMode: 1
; LDSByteSize: 0 bytes/workgroup (compile time only)
; SGPRBlocks: 0
; VGPRBlocks: 0
; NumSGPRsForWavesPerEU: 4
; NumVGPRsForWavesPerEU: 1
; AccumOffset: 4
; Occupancy: 8
; WaveLimiterHint : 0
; COMPUTE_PGM_RSRC2:SCRATCH_EN: 0
; COMPUTE_PGM_RSRC2:USER_SGPR: 6
; COMPUTE_PGM_RSRC2:TRAP_HANDLER: 0
; COMPUTE_PGM_RSRC2:TGID_X_EN: 1
; COMPUTE_PGM_RSRC2:TGID_Y_EN: 0
; COMPUTE_PGM_RSRC2:TGID_Z_EN: 0
; COMPUTE_PGM_RSRC2:TIDIG_COMP_CNT: 0
; COMPUTE_PGM_RSRC3_GFX90A:ACCUM_OFFSET: 0
; COMPUTE_PGM_RSRC3_GFX90A:TG_SPLIT: 0
	.section	.text._ZN7rocprim17ROCPRIM_400000_NS6detail17trampoline_kernelINS0_14default_configENS1_25partition_config_selectorILNS1_17partition_subalgoE1ExNS0_10empty_typeEbEEZZNS1_14partition_implILS5_1ELb0ES3_jN6thrust23THRUST_200600_302600_NS6detail15normal_iteratorINSA_10device_ptrIxEEEEPS6_NSA_18transform_iteratorINSA_8identityIxEESF_NSA_11use_defaultESK_EENS0_5tupleIJSF_SF_EEENSM_IJSG_SG_EEES6_PlJS6_EEE10hipError_tPvRmT3_T4_T5_T6_T7_T9_mT8_P12ihipStream_tbDpT10_ENKUlT_T0_E_clISt17integral_constantIbLb1EES18_IbLb0EEEEDaS14_S15_EUlS14_E_NS1_11comp_targetILNS1_3genE0ELNS1_11target_archE4294967295ELNS1_3gpuE0ELNS1_3repE0EEENS1_30default_config_static_selectorELNS0_4arch9wavefront6targetE1EEEvT1_,"axG",@progbits,_ZN7rocprim17ROCPRIM_400000_NS6detail17trampoline_kernelINS0_14default_configENS1_25partition_config_selectorILNS1_17partition_subalgoE1ExNS0_10empty_typeEbEEZZNS1_14partition_implILS5_1ELb0ES3_jN6thrust23THRUST_200600_302600_NS6detail15normal_iteratorINSA_10device_ptrIxEEEEPS6_NSA_18transform_iteratorINSA_8identityIxEESF_NSA_11use_defaultESK_EENS0_5tupleIJSF_SF_EEENSM_IJSG_SG_EEES6_PlJS6_EEE10hipError_tPvRmT3_T4_T5_T6_T7_T9_mT8_P12ihipStream_tbDpT10_ENKUlT_T0_E_clISt17integral_constantIbLb1EES18_IbLb0EEEEDaS14_S15_EUlS14_E_NS1_11comp_targetILNS1_3genE0ELNS1_11target_archE4294967295ELNS1_3gpuE0ELNS1_3repE0EEENS1_30default_config_static_selectorELNS0_4arch9wavefront6targetE1EEEvT1_,comdat
	.protected	_ZN7rocprim17ROCPRIM_400000_NS6detail17trampoline_kernelINS0_14default_configENS1_25partition_config_selectorILNS1_17partition_subalgoE1ExNS0_10empty_typeEbEEZZNS1_14partition_implILS5_1ELb0ES3_jN6thrust23THRUST_200600_302600_NS6detail15normal_iteratorINSA_10device_ptrIxEEEEPS6_NSA_18transform_iteratorINSA_8identityIxEESF_NSA_11use_defaultESK_EENS0_5tupleIJSF_SF_EEENSM_IJSG_SG_EEES6_PlJS6_EEE10hipError_tPvRmT3_T4_T5_T6_T7_T9_mT8_P12ihipStream_tbDpT10_ENKUlT_T0_E_clISt17integral_constantIbLb1EES18_IbLb0EEEEDaS14_S15_EUlS14_E_NS1_11comp_targetILNS1_3genE0ELNS1_11target_archE4294967295ELNS1_3gpuE0ELNS1_3repE0EEENS1_30default_config_static_selectorELNS0_4arch9wavefront6targetE1EEEvT1_ ; -- Begin function _ZN7rocprim17ROCPRIM_400000_NS6detail17trampoline_kernelINS0_14default_configENS1_25partition_config_selectorILNS1_17partition_subalgoE1ExNS0_10empty_typeEbEEZZNS1_14partition_implILS5_1ELb0ES3_jN6thrust23THRUST_200600_302600_NS6detail15normal_iteratorINSA_10device_ptrIxEEEEPS6_NSA_18transform_iteratorINSA_8identityIxEESF_NSA_11use_defaultESK_EENS0_5tupleIJSF_SF_EEENSM_IJSG_SG_EEES6_PlJS6_EEE10hipError_tPvRmT3_T4_T5_T6_T7_T9_mT8_P12ihipStream_tbDpT10_ENKUlT_T0_E_clISt17integral_constantIbLb1EES18_IbLb0EEEEDaS14_S15_EUlS14_E_NS1_11comp_targetILNS1_3genE0ELNS1_11target_archE4294967295ELNS1_3gpuE0ELNS1_3repE0EEENS1_30default_config_static_selectorELNS0_4arch9wavefront6targetE1EEEvT1_
	.globl	_ZN7rocprim17ROCPRIM_400000_NS6detail17trampoline_kernelINS0_14default_configENS1_25partition_config_selectorILNS1_17partition_subalgoE1ExNS0_10empty_typeEbEEZZNS1_14partition_implILS5_1ELb0ES3_jN6thrust23THRUST_200600_302600_NS6detail15normal_iteratorINSA_10device_ptrIxEEEEPS6_NSA_18transform_iteratorINSA_8identityIxEESF_NSA_11use_defaultESK_EENS0_5tupleIJSF_SF_EEENSM_IJSG_SG_EEES6_PlJS6_EEE10hipError_tPvRmT3_T4_T5_T6_T7_T9_mT8_P12ihipStream_tbDpT10_ENKUlT_T0_E_clISt17integral_constantIbLb1EES18_IbLb0EEEEDaS14_S15_EUlS14_E_NS1_11comp_targetILNS1_3genE0ELNS1_11target_archE4294967295ELNS1_3gpuE0ELNS1_3repE0EEENS1_30default_config_static_selectorELNS0_4arch9wavefront6targetE1EEEvT1_
	.p2align	8
	.type	_ZN7rocprim17ROCPRIM_400000_NS6detail17trampoline_kernelINS0_14default_configENS1_25partition_config_selectorILNS1_17partition_subalgoE1ExNS0_10empty_typeEbEEZZNS1_14partition_implILS5_1ELb0ES3_jN6thrust23THRUST_200600_302600_NS6detail15normal_iteratorINSA_10device_ptrIxEEEEPS6_NSA_18transform_iteratorINSA_8identityIxEESF_NSA_11use_defaultESK_EENS0_5tupleIJSF_SF_EEENSM_IJSG_SG_EEES6_PlJS6_EEE10hipError_tPvRmT3_T4_T5_T6_T7_T9_mT8_P12ihipStream_tbDpT10_ENKUlT_T0_E_clISt17integral_constantIbLb1EES18_IbLb0EEEEDaS14_S15_EUlS14_E_NS1_11comp_targetILNS1_3genE0ELNS1_11target_archE4294967295ELNS1_3gpuE0ELNS1_3repE0EEENS1_30default_config_static_selectorELNS0_4arch9wavefront6targetE1EEEvT1_,@function
_ZN7rocprim17ROCPRIM_400000_NS6detail17trampoline_kernelINS0_14default_configENS1_25partition_config_selectorILNS1_17partition_subalgoE1ExNS0_10empty_typeEbEEZZNS1_14partition_implILS5_1ELb0ES3_jN6thrust23THRUST_200600_302600_NS6detail15normal_iteratorINSA_10device_ptrIxEEEEPS6_NSA_18transform_iteratorINSA_8identityIxEESF_NSA_11use_defaultESK_EENS0_5tupleIJSF_SF_EEENSM_IJSG_SG_EEES6_PlJS6_EEE10hipError_tPvRmT3_T4_T5_T6_T7_T9_mT8_P12ihipStream_tbDpT10_ENKUlT_T0_E_clISt17integral_constantIbLb1EES18_IbLb0EEEEDaS14_S15_EUlS14_E_NS1_11comp_targetILNS1_3genE0ELNS1_11target_archE4294967295ELNS1_3gpuE0ELNS1_3repE0EEENS1_30default_config_static_selectorELNS0_4arch9wavefront6targetE1EEEvT1_: ; @_ZN7rocprim17ROCPRIM_400000_NS6detail17trampoline_kernelINS0_14default_configENS1_25partition_config_selectorILNS1_17partition_subalgoE1ExNS0_10empty_typeEbEEZZNS1_14partition_implILS5_1ELb0ES3_jN6thrust23THRUST_200600_302600_NS6detail15normal_iteratorINSA_10device_ptrIxEEEEPS6_NSA_18transform_iteratorINSA_8identityIxEESF_NSA_11use_defaultESK_EENS0_5tupleIJSF_SF_EEENSM_IJSG_SG_EEES6_PlJS6_EEE10hipError_tPvRmT3_T4_T5_T6_T7_T9_mT8_P12ihipStream_tbDpT10_ENKUlT_T0_E_clISt17integral_constantIbLb1EES18_IbLb0EEEEDaS14_S15_EUlS14_E_NS1_11comp_targetILNS1_3genE0ELNS1_11target_archE4294967295ELNS1_3gpuE0ELNS1_3repE0EEENS1_30default_config_static_selectorELNS0_4arch9wavefront6targetE1EEEvT1_
; %bb.0:
	.section	.rodata,"a",@progbits
	.p2align	6, 0x0
	.amdhsa_kernel _ZN7rocprim17ROCPRIM_400000_NS6detail17trampoline_kernelINS0_14default_configENS1_25partition_config_selectorILNS1_17partition_subalgoE1ExNS0_10empty_typeEbEEZZNS1_14partition_implILS5_1ELb0ES3_jN6thrust23THRUST_200600_302600_NS6detail15normal_iteratorINSA_10device_ptrIxEEEEPS6_NSA_18transform_iteratorINSA_8identityIxEESF_NSA_11use_defaultESK_EENS0_5tupleIJSF_SF_EEENSM_IJSG_SG_EEES6_PlJS6_EEE10hipError_tPvRmT3_T4_T5_T6_T7_T9_mT8_P12ihipStream_tbDpT10_ENKUlT_T0_E_clISt17integral_constantIbLb1EES18_IbLb0EEEEDaS14_S15_EUlS14_E_NS1_11comp_targetILNS1_3genE0ELNS1_11target_archE4294967295ELNS1_3gpuE0ELNS1_3repE0EEENS1_30default_config_static_selectorELNS0_4arch9wavefront6targetE1EEEvT1_
		.amdhsa_group_segment_fixed_size 0
		.amdhsa_private_segment_fixed_size 0
		.amdhsa_kernarg_size 128
		.amdhsa_user_sgpr_count 6
		.amdhsa_user_sgpr_private_segment_buffer 1
		.amdhsa_user_sgpr_dispatch_ptr 0
		.amdhsa_user_sgpr_queue_ptr 0
		.amdhsa_user_sgpr_kernarg_segment_ptr 1
		.amdhsa_user_sgpr_dispatch_id 0
		.amdhsa_user_sgpr_flat_scratch_init 0
		.amdhsa_user_sgpr_kernarg_preload_length 0
		.amdhsa_user_sgpr_kernarg_preload_offset 0
		.amdhsa_user_sgpr_private_segment_size 0
		.amdhsa_uses_dynamic_stack 0
		.amdhsa_system_sgpr_private_segment_wavefront_offset 0
		.amdhsa_system_sgpr_workgroup_id_x 1
		.amdhsa_system_sgpr_workgroup_id_y 0
		.amdhsa_system_sgpr_workgroup_id_z 0
		.amdhsa_system_sgpr_workgroup_info 0
		.amdhsa_system_vgpr_workitem_id 0
		.amdhsa_next_free_vgpr 1
		.amdhsa_next_free_sgpr 0
		.amdhsa_accum_offset 4
		.amdhsa_reserve_vcc 0
		.amdhsa_reserve_flat_scratch 0
		.amdhsa_float_round_mode_32 0
		.amdhsa_float_round_mode_16_64 0
		.amdhsa_float_denorm_mode_32 3
		.amdhsa_float_denorm_mode_16_64 3
		.amdhsa_dx10_clamp 1
		.amdhsa_ieee_mode 1
		.amdhsa_fp16_overflow 0
		.amdhsa_tg_split 0
		.amdhsa_exception_fp_ieee_invalid_op 0
		.amdhsa_exception_fp_denorm_src 0
		.amdhsa_exception_fp_ieee_div_zero 0
		.amdhsa_exception_fp_ieee_overflow 0
		.amdhsa_exception_fp_ieee_underflow 0
		.amdhsa_exception_fp_ieee_inexact 0
		.amdhsa_exception_int_div_zero 0
	.end_amdhsa_kernel
	.section	.text._ZN7rocprim17ROCPRIM_400000_NS6detail17trampoline_kernelINS0_14default_configENS1_25partition_config_selectorILNS1_17partition_subalgoE1ExNS0_10empty_typeEbEEZZNS1_14partition_implILS5_1ELb0ES3_jN6thrust23THRUST_200600_302600_NS6detail15normal_iteratorINSA_10device_ptrIxEEEEPS6_NSA_18transform_iteratorINSA_8identityIxEESF_NSA_11use_defaultESK_EENS0_5tupleIJSF_SF_EEENSM_IJSG_SG_EEES6_PlJS6_EEE10hipError_tPvRmT3_T4_T5_T6_T7_T9_mT8_P12ihipStream_tbDpT10_ENKUlT_T0_E_clISt17integral_constantIbLb1EES18_IbLb0EEEEDaS14_S15_EUlS14_E_NS1_11comp_targetILNS1_3genE0ELNS1_11target_archE4294967295ELNS1_3gpuE0ELNS1_3repE0EEENS1_30default_config_static_selectorELNS0_4arch9wavefront6targetE1EEEvT1_,"axG",@progbits,_ZN7rocprim17ROCPRIM_400000_NS6detail17trampoline_kernelINS0_14default_configENS1_25partition_config_selectorILNS1_17partition_subalgoE1ExNS0_10empty_typeEbEEZZNS1_14partition_implILS5_1ELb0ES3_jN6thrust23THRUST_200600_302600_NS6detail15normal_iteratorINSA_10device_ptrIxEEEEPS6_NSA_18transform_iteratorINSA_8identityIxEESF_NSA_11use_defaultESK_EENS0_5tupleIJSF_SF_EEENSM_IJSG_SG_EEES6_PlJS6_EEE10hipError_tPvRmT3_T4_T5_T6_T7_T9_mT8_P12ihipStream_tbDpT10_ENKUlT_T0_E_clISt17integral_constantIbLb1EES18_IbLb0EEEEDaS14_S15_EUlS14_E_NS1_11comp_targetILNS1_3genE0ELNS1_11target_archE4294967295ELNS1_3gpuE0ELNS1_3repE0EEENS1_30default_config_static_selectorELNS0_4arch9wavefront6targetE1EEEvT1_,comdat
.Lfunc_end593:
	.size	_ZN7rocprim17ROCPRIM_400000_NS6detail17trampoline_kernelINS0_14default_configENS1_25partition_config_selectorILNS1_17partition_subalgoE1ExNS0_10empty_typeEbEEZZNS1_14partition_implILS5_1ELb0ES3_jN6thrust23THRUST_200600_302600_NS6detail15normal_iteratorINSA_10device_ptrIxEEEEPS6_NSA_18transform_iteratorINSA_8identityIxEESF_NSA_11use_defaultESK_EENS0_5tupleIJSF_SF_EEENSM_IJSG_SG_EEES6_PlJS6_EEE10hipError_tPvRmT3_T4_T5_T6_T7_T9_mT8_P12ihipStream_tbDpT10_ENKUlT_T0_E_clISt17integral_constantIbLb1EES18_IbLb0EEEEDaS14_S15_EUlS14_E_NS1_11comp_targetILNS1_3genE0ELNS1_11target_archE4294967295ELNS1_3gpuE0ELNS1_3repE0EEENS1_30default_config_static_selectorELNS0_4arch9wavefront6targetE1EEEvT1_, .Lfunc_end593-_ZN7rocprim17ROCPRIM_400000_NS6detail17trampoline_kernelINS0_14default_configENS1_25partition_config_selectorILNS1_17partition_subalgoE1ExNS0_10empty_typeEbEEZZNS1_14partition_implILS5_1ELb0ES3_jN6thrust23THRUST_200600_302600_NS6detail15normal_iteratorINSA_10device_ptrIxEEEEPS6_NSA_18transform_iteratorINSA_8identityIxEESF_NSA_11use_defaultESK_EENS0_5tupleIJSF_SF_EEENSM_IJSG_SG_EEES6_PlJS6_EEE10hipError_tPvRmT3_T4_T5_T6_T7_T9_mT8_P12ihipStream_tbDpT10_ENKUlT_T0_E_clISt17integral_constantIbLb1EES18_IbLb0EEEEDaS14_S15_EUlS14_E_NS1_11comp_targetILNS1_3genE0ELNS1_11target_archE4294967295ELNS1_3gpuE0ELNS1_3repE0EEENS1_30default_config_static_selectorELNS0_4arch9wavefront6targetE1EEEvT1_
                                        ; -- End function
	.section	.AMDGPU.csdata,"",@progbits
; Kernel info:
; codeLenInByte = 0
; NumSgprs: 4
; NumVgprs: 0
; NumAgprs: 0
; TotalNumVgprs: 0
; ScratchSize: 0
; MemoryBound: 0
; FloatMode: 240
; IeeeMode: 1
; LDSByteSize: 0 bytes/workgroup (compile time only)
; SGPRBlocks: 0
; VGPRBlocks: 0
; NumSGPRsForWavesPerEU: 4
; NumVGPRsForWavesPerEU: 1
; AccumOffset: 4
; Occupancy: 8
; WaveLimiterHint : 0
; COMPUTE_PGM_RSRC2:SCRATCH_EN: 0
; COMPUTE_PGM_RSRC2:USER_SGPR: 6
; COMPUTE_PGM_RSRC2:TRAP_HANDLER: 0
; COMPUTE_PGM_RSRC2:TGID_X_EN: 1
; COMPUTE_PGM_RSRC2:TGID_Y_EN: 0
; COMPUTE_PGM_RSRC2:TGID_Z_EN: 0
; COMPUTE_PGM_RSRC2:TIDIG_COMP_CNT: 0
; COMPUTE_PGM_RSRC3_GFX90A:ACCUM_OFFSET: 0
; COMPUTE_PGM_RSRC3_GFX90A:TG_SPLIT: 0
	.section	.text._ZN7rocprim17ROCPRIM_400000_NS6detail17trampoline_kernelINS0_14default_configENS1_25partition_config_selectorILNS1_17partition_subalgoE1ExNS0_10empty_typeEbEEZZNS1_14partition_implILS5_1ELb0ES3_jN6thrust23THRUST_200600_302600_NS6detail15normal_iteratorINSA_10device_ptrIxEEEEPS6_NSA_18transform_iteratorINSA_8identityIxEESF_NSA_11use_defaultESK_EENS0_5tupleIJSF_SF_EEENSM_IJSG_SG_EEES6_PlJS6_EEE10hipError_tPvRmT3_T4_T5_T6_T7_T9_mT8_P12ihipStream_tbDpT10_ENKUlT_T0_E_clISt17integral_constantIbLb1EES18_IbLb0EEEEDaS14_S15_EUlS14_E_NS1_11comp_targetILNS1_3genE5ELNS1_11target_archE942ELNS1_3gpuE9ELNS1_3repE0EEENS1_30default_config_static_selectorELNS0_4arch9wavefront6targetE1EEEvT1_,"axG",@progbits,_ZN7rocprim17ROCPRIM_400000_NS6detail17trampoline_kernelINS0_14default_configENS1_25partition_config_selectorILNS1_17partition_subalgoE1ExNS0_10empty_typeEbEEZZNS1_14partition_implILS5_1ELb0ES3_jN6thrust23THRUST_200600_302600_NS6detail15normal_iteratorINSA_10device_ptrIxEEEEPS6_NSA_18transform_iteratorINSA_8identityIxEESF_NSA_11use_defaultESK_EENS0_5tupleIJSF_SF_EEENSM_IJSG_SG_EEES6_PlJS6_EEE10hipError_tPvRmT3_T4_T5_T6_T7_T9_mT8_P12ihipStream_tbDpT10_ENKUlT_T0_E_clISt17integral_constantIbLb1EES18_IbLb0EEEEDaS14_S15_EUlS14_E_NS1_11comp_targetILNS1_3genE5ELNS1_11target_archE942ELNS1_3gpuE9ELNS1_3repE0EEENS1_30default_config_static_selectorELNS0_4arch9wavefront6targetE1EEEvT1_,comdat
	.protected	_ZN7rocprim17ROCPRIM_400000_NS6detail17trampoline_kernelINS0_14default_configENS1_25partition_config_selectorILNS1_17partition_subalgoE1ExNS0_10empty_typeEbEEZZNS1_14partition_implILS5_1ELb0ES3_jN6thrust23THRUST_200600_302600_NS6detail15normal_iteratorINSA_10device_ptrIxEEEEPS6_NSA_18transform_iteratorINSA_8identityIxEESF_NSA_11use_defaultESK_EENS0_5tupleIJSF_SF_EEENSM_IJSG_SG_EEES6_PlJS6_EEE10hipError_tPvRmT3_T4_T5_T6_T7_T9_mT8_P12ihipStream_tbDpT10_ENKUlT_T0_E_clISt17integral_constantIbLb1EES18_IbLb0EEEEDaS14_S15_EUlS14_E_NS1_11comp_targetILNS1_3genE5ELNS1_11target_archE942ELNS1_3gpuE9ELNS1_3repE0EEENS1_30default_config_static_selectorELNS0_4arch9wavefront6targetE1EEEvT1_ ; -- Begin function _ZN7rocprim17ROCPRIM_400000_NS6detail17trampoline_kernelINS0_14default_configENS1_25partition_config_selectorILNS1_17partition_subalgoE1ExNS0_10empty_typeEbEEZZNS1_14partition_implILS5_1ELb0ES3_jN6thrust23THRUST_200600_302600_NS6detail15normal_iteratorINSA_10device_ptrIxEEEEPS6_NSA_18transform_iteratorINSA_8identityIxEESF_NSA_11use_defaultESK_EENS0_5tupleIJSF_SF_EEENSM_IJSG_SG_EEES6_PlJS6_EEE10hipError_tPvRmT3_T4_T5_T6_T7_T9_mT8_P12ihipStream_tbDpT10_ENKUlT_T0_E_clISt17integral_constantIbLb1EES18_IbLb0EEEEDaS14_S15_EUlS14_E_NS1_11comp_targetILNS1_3genE5ELNS1_11target_archE942ELNS1_3gpuE9ELNS1_3repE0EEENS1_30default_config_static_selectorELNS0_4arch9wavefront6targetE1EEEvT1_
	.globl	_ZN7rocprim17ROCPRIM_400000_NS6detail17trampoline_kernelINS0_14default_configENS1_25partition_config_selectorILNS1_17partition_subalgoE1ExNS0_10empty_typeEbEEZZNS1_14partition_implILS5_1ELb0ES3_jN6thrust23THRUST_200600_302600_NS6detail15normal_iteratorINSA_10device_ptrIxEEEEPS6_NSA_18transform_iteratorINSA_8identityIxEESF_NSA_11use_defaultESK_EENS0_5tupleIJSF_SF_EEENSM_IJSG_SG_EEES6_PlJS6_EEE10hipError_tPvRmT3_T4_T5_T6_T7_T9_mT8_P12ihipStream_tbDpT10_ENKUlT_T0_E_clISt17integral_constantIbLb1EES18_IbLb0EEEEDaS14_S15_EUlS14_E_NS1_11comp_targetILNS1_3genE5ELNS1_11target_archE942ELNS1_3gpuE9ELNS1_3repE0EEENS1_30default_config_static_selectorELNS0_4arch9wavefront6targetE1EEEvT1_
	.p2align	8
	.type	_ZN7rocprim17ROCPRIM_400000_NS6detail17trampoline_kernelINS0_14default_configENS1_25partition_config_selectorILNS1_17partition_subalgoE1ExNS0_10empty_typeEbEEZZNS1_14partition_implILS5_1ELb0ES3_jN6thrust23THRUST_200600_302600_NS6detail15normal_iteratorINSA_10device_ptrIxEEEEPS6_NSA_18transform_iteratorINSA_8identityIxEESF_NSA_11use_defaultESK_EENS0_5tupleIJSF_SF_EEENSM_IJSG_SG_EEES6_PlJS6_EEE10hipError_tPvRmT3_T4_T5_T6_T7_T9_mT8_P12ihipStream_tbDpT10_ENKUlT_T0_E_clISt17integral_constantIbLb1EES18_IbLb0EEEEDaS14_S15_EUlS14_E_NS1_11comp_targetILNS1_3genE5ELNS1_11target_archE942ELNS1_3gpuE9ELNS1_3repE0EEENS1_30default_config_static_selectorELNS0_4arch9wavefront6targetE1EEEvT1_,@function
_ZN7rocprim17ROCPRIM_400000_NS6detail17trampoline_kernelINS0_14default_configENS1_25partition_config_selectorILNS1_17partition_subalgoE1ExNS0_10empty_typeEbEEZZNS1_14partition_implILS5_1ELb0ES3_jN6thrust23THRUST_200600_302600_NS6detail15normal_iteratorINSA_10device_ptrIxEEEEPS6_NSA_18transform_iteratorINSA_8identityIxEESF_NSA_11use_defaultESK_EENS0_5tupleIJSF_SF_EEENSM_IJSG_SG_EEES6_PlJS6_EEE10hipError_tPvRmT3_T4_T5_T6_T7_T9_mT8_P12ihipStream_tbDpT10_ENKUlT_T0_E_clISt17integral_constantIbLb1EES18_IbLb0EEEEDaS14_S15_EUlS14_E_NS1_11comp_targetILNS1_3genE5ELNS1_11target_archE942ELNS1_3gpuE9ELNS1_3repE0EEENS1_30default_config_static_selectorELNS0_4arch9wavefront6targetE1EEEvT1_: ; @_ZN7rocprim17ROCPRIM_400000_NS6detail17trampoline_kernelINS0_14default_configENS1_25partition_config_selectorILNS1_17partition_subalgoE1ExNS0_10empty_typeEbEEZZNS1_14partition_implILS5_1ELb0ES3_jN6thrust23THRUST_200600_302600_NS6detail15normal_iteratorINSA_10device_ptrIxEEEEPS6_NSA_18transform_iteratorINSA_8identityIxEESF_NSA_11use_defaultESK_EENS0_5tupleIJSF_SF_EEENSM_IJSG_SG_EEES6_PlJS6_EEE10hipError_tPvRmT3_T4_T5_T6_T7_T9_mT8_P12ihipStream_tbDpT10_ENKUlT_T0_E_clISt17integral_constantIbLb1EES18_IbLb0EEEEDaS14_S15_EUlS14_E_NS1_11comp_targetILNS1_3genE5ELNS1_11target_archE942ELNS1_3gpuE9ELNS1_3repE0EEENS1_30default_config_static_selectorELNS0_4arch9wavefront6targetE1EEEvT1_
; %bb.0:
	.section	.rodata,"a",@progbits
	.p2align	6, 0x0
	.amdhsa_kernel _ZN7rocprim17ROCPRIM_400000_NS6detail17trampoline_kernelINS0_14default_configENS1_25partition_config_selectorILNS1_17partition_subalgoE1ExNS0_10empty_typeEbEEZZNS1_14partition_implILS5_1ELb0ES3_jN6thrust23THRUST_200600_302600_NS6detail15normal_iteratorINSA_10device_ptrIxEEEEPS6_NSA_18transform_iteratorINSA_8identityIxEESF_NSA_11use_defaultESK_EENS0_5tupleIJSF_SF_EEENSM_IJSG_SG_EEES6_PlJS6_EEE10hipError_tPvRmT3_T4_T5_T6_T7_T9_mT8_P12ihipStream_tbDpT10_ENKUlT_T0_E_clISt17integral_constantIbLb1EES18_IbLb0EEEEDaS14_S15_EUlS14_E_NS1_11comp_targetILNS1_3genE5ELNS1_11target_archE942ELNS1_3gpuE9ELNS1_3repE0EEENS1_30default_config_static_selectorELNS0_4arch9wavefront6targetE1EEEvT1_
		.amdhsa_group_segment_fixed_size 0
		.amdhsa_private_segment_fixed_size 0
		.amdhsa_kernarg_size 128
		.amdhsa_user_sgpr_count 6
		.amdhsa_user_sgpr_private_segment_buffer 1
		.amdhsa_user_sgpr_dispatch_ptr 0
		.amdhsa_user_sgpr_queue_ptr 0
		.amdhsa_user_sgpr_kernarg_segment_ptr 1
		.amdhsa_user_sgpr_dispatch_id 0
		.amdhsa_user_sgpr_flat_scratch_init 0
		.amdhsa_user_sgpr_kernarg_preload_length 0
		.amdhsa_user_sgpr_kernarg_preload_offset 0
		.amdhsa_user_sgpr_private_segment_size 0
		.amdhsa_uses_dynamic_stack 0
		.amdhsa_system_sgpr_private_segment_wavefront_offset 0
		.amdhsa_system_sgpr_workgroup_id_x 1
		.amdhsa_system_sgpr_workgroup_id_y 0
		.amdhsa_system_sgpr_workgroup_id_z 0
		.amdhsa_system_sgpr_workgroup_info 0
		.amdhsa_system_vgpr_workitem_id 0
		.amdhsa_next_free_vgpr 1
		.amdhsa_next_free_sgpr 0
		.amdhsa_accum_offset 4
		.amdhsa_reserve_vcc 0
		.amdhsa_reserve_flat_scratch 0
		.amdhsa_float_round_mode_32 0
		.amdhsa_float_round_mode_16_64 0
		.amdhsa_float_denorm_mode_32 3
		.amdhsa_float_denorm_mode_16_64 3
		.amdhsa_dx10_clamp 1
		.amdhsa_ieee_mode 1
		.amdhsa_fp16_overflow 0
		.amdhsa_tg_split 0
		.amdhsa_exception_fp_ieee_invalid_op 0
		.amdhsa_exception_fp_denorm_src 0
		.amdhsa_exception_fp_ieee_div_zero 0
		.amdhsa_exception_fp_ieee_overflow 0
		.amdhsa_exception_fp_ieee_underflow 0
		.amdhsa_exception_fp_ieee_inexact 0
		.amdhsa_exception_int_div_zero 0
	.end_amdhsa_kernel
	.section	.text._ZN7rocprim17ROCPRIM_400000_NS6detail17trampoline_kernelINS0_14default_configENS1_25partition_config_selectorILNS1_17partition_subalgoE1ExNS0_10empty_typeEbEEZZNS1_14partition_implILS5_1ELb0ES3_jN6thrust23THRUST_200600_302600_NS6detail15normal_iteratorINSA_10device_ptrIxEEEEPS6_NSA_18transform_iteratorINSA_8identityIxEESF_NSA_11use_defaultESK_EENS0_5tupleIJSF_SF_EEENSM_IJSG_SG_EEES6_PlJS6_EEE10hipError_tPvRmT3_T4_T5_T6_T7_T9_mT8_P12ihipStream_tbDpT10_ENKUlT_T0_E_clISt17integral_constantIbLb1EES18_IbLb0EEEEDaS14_S15_EUlS14_E_NS1_11comp_targetILNS1_3genE5ELNS1_11target_archE942ELNS1_3gpuE9ELNS1_3repE0EEENS1_30default_config_static_selectorELNS0_4arch9wavefront6targetE1EEEvT1_,"axG",@progbits,_ZN7rocprim17ROCPRIM_400000_NS6detail17trampoline_kernelINS0_14default_configENS1_25partition_config_selectorILNS1_17partition_subalgoE1ExNS0_10empty_typeEbEEZZNS1_14partition_implILS5_1ELb0ES3_jN6thrust23THRUST_200600_302600_NS6detail15normal_iteratorINSA_10device_ptrIxEEEEPS6_NSA_18transform_iteratorINSA_8identityIxEESF_NSA_11use_defaultESK_EENS0_5tupleIJSF_SF_EEENSM_IJSG_SG_EEES6_PlJS6_EEE10hipError_tPvRmT3_T4_T5_T6_T7_T9_mT8_P12ihipStream_tbDpT10_ENKUlT_T0_E_clISt17integral_constantIbLb1EES18_IbLb0EEEEDaS14_S15_EUlS14_E_NS1_11comp_targetILNS1_3genE5ELNS1_11target_archE942ELNS1_3gpuE9ELNS1_3repE0EEENS1_30default_config_static_selectorELNS0_4arch9wavefront6targetE1EEEvT1_,comdat
.Lfunc_end594:
	.size	_ZN7rocprim17ROCPRIM_400000_NS6detail17trampoline_kernelINS0_14default_configENS1_25partition_config_selectorILNS1_17partition_subalgoE1ExNS0_10empty_typeEbEEZZNS1_14partition_implILS5_1ELb0ES3_jN6thrust23THRUST_200600_302600_NS6detail15normal_iteratorINSA_10device_ptrIxEEEEPS6_NSA_18transform_iteratorINSA_8identityIxEESF_NSA_11use_defaultESK_EENS0_5tupleIJSF_SF_EEENSM_IJSG_SG_EEES6_PlJS6_EEE10hipError_tPvRmT3_T4_T5_T6_T7_T9_mT8_P12ihipStream_tbDpT10_ENKUlT_T0_E_clISt17integral_constantIbLb1EES18_IbLb0EEEEDaS14_S15_EUlS14_E_NS1_11comp_targetILNS1_3genE5ELNS1_11target_archE942ELNS1_3gpuE9ELNS1_3repE0EEENS1_30default_config_static_selectorELNS0_4arch9wavefront6targetE1EEEvT1_, .Lfunc_end594-_ZN7rocprim17ROCPRIM_400000_NS6detail17trampoline_kernelINS0_14default_configENS1_25partition_config_selectorILNS1_17partition_subalgoE1ExNS0_10empty_typeEbEEZZNS1_14partition_implILS5_1ELb0ES3_jN6thrust23THRUST_200600_302600_NS6detail15normal_iteratorINSA_10device_ptrIxEEEEPS6_NSA_18transform_iteratorINSA_8identityIxEESF_NSA_11use_defaultESK_EENS0_5tupleIJSF_SF_EEENSM_IJSG_SG_EEES6_PlJS6_EEE10hipError_tPvRmT3_T4_T5_T6_T7_T9_mT8_P12ihipStream_tbDpT10_ENKUlT_T0_E_clISt17integral_constantIbLb1EES18_IbLb0EEEEDaS14_S15_EUlS14_E_NS1_11comp_targetILNS1_3genE5ELNS1_11target_archE942ELNS1_3gpuE9ELNS1_3repE0EEENS1_30default_config_static_selectorELNS0_4arch9wavefront6targetE1EEEvT1_
                                        ; -- End function
	.section	.AMDGPU.csdata,"",@progbits
; Kernel info:
; codeLenInByte = 0
; NumSgprs: 4
; NumVgprs: 0
; NumAgprs: 0
; TotalNumVgprs: 0
; ScratchSize: 0
; MemoryBound: 0
; FloatMode: 240
; IeeeMode: 1
; LDSByteSize: 0 bytes/workgroup (compile time only)
; SGPRBlocks: 0
; VGPRBlocks: 0
; NumSGPRsForWavesPerEU: 4
; NumVGPRsForWavesPerEU: 1
; AccumOffset: 4
; Occupancy: 8
; WaveLimiterHint : 0
; COMPUTE_PGM_RSRC2:SCRATCH_EN: 0
; COMPUTE_PGM_RSRC2:USER_SGPR: 6
; COMPUTE_PGM_RSRC2:TRAP_HANDLER: 0
; COMPUTE_PGM_RSRC2:TGID_X_EN: 1
; COMPUTE_PGM_RSRC2:TGID_Y_EN: 0
; COMPUTE_PGM_RSRC2:TGID_Z_EN: 0
; COMPUTE_PGM_RSRC2:TIDIG_COMP_CNT: 0
; COMPUTE_PGM_RSRC3_GFX90A:ACCUM_OFFSET: 0
; COMPUTE_PGM_RSRC3_GFX90A:TG_SPLIT: 0
	.section	.text._ZN7rocprim17ROCPRIM_400000_NS6detail17trampoline_kernelINS0_14default_configENS1_25partition_config_selectorILNS1_17partition_subalgoE1ExNS0_10empty_typeEbEEZZNS1_14partition_implILS5_1ELb0ES3_jN6thrust23THRUST_200600_302600_NS6detail15normal_iteratorINSA_10device_ptrIxEEEEPS6_NSA_18transform_iteratorINSA_8identityIxEESF_NSA_11use_defaultESK_EENS0_5tupleIJSF_SF_EEENSM_IJSG_SG_EEES6_PlJS6_EEE10hipError_tPvRmT3_T4_T5_T6_T7_T9_mT8_P12ihipStream_tbDpT10_ENKUlT_T0_E_clISt17integral_constantIbLb1EES18_IbLb0EEEEDaS14_S15_EUlS14_E_NS1_11comp_targetILNS1_3genE4ELNS1_11target_archE910ELNS1_3gpuE8ELNS1_3repE0EEENS1_30default_config_static_selectorELNS0_4arch9wavefront6targetE1EEEvT1_,"axG",@progbits,_ZN7rocprim17ROCPRIM_400000_NS6detail17trampoline_kernelINS0_14default_configENS1_25partition_config_selectorILNS1_17partition_subalgoE1ExNS0_10empty_typeEbEEZZNS1_14partition_implILS5_1ELb0ES3_jN6thrust23THRUST_200600_302600_NS6detail15normal_iteratorINSA_10device_ptrIxEEEEPS6_NSA_18transform_iteratorINSA_8identityIxEESF_NSA_11use_defaultESK_EENS0_5tupleIJSF_SF_EEENSM_IJSG_SG_EEES6_PlJS6_EEE10hipError_tPvRmT3_T4_T5_T6_T7_T9_mT8_P12ihipStream_tbDpT10_ENKUlT_T0_E_clISt17integral_constantIbLb1EES18_IbLb0EEEEDaS14_S15_EUlS14_E_NS1_11comp_targetILNS1_3genE4ELNS1_11target_archE910ELNS1_3gpuE8ELNS1_3repE0EEENS1_30default_config_static_selectorELNS0_4arch9wavefront6targetE1EEEvT1_,comdat
	.protected	_ZN7rocprim17ROCPRIM_400000_NS6detail17trampoline_kernelINS0_14default_configENS1_25partition_config_selectorILNS1_17partition_subalgoE1ExNS0_10empty_typeEbEEZZNS1_14partition_implILS5_1ELb0ES3_jN6thrust23THRUST_200600_302600_NS6detail15normal_iteratorINSA_10device_ptrIxEEEEPS6_NSA_18transform_iteratorINSA_8identityIxEESF_NSA_11use_defaultESK_EENS0_5tupleIJSF_SF_EEENSM_IJSG_SG_EEES6_PlJS6_EEE10hipError_tPvRmT3_T4_T5_T6_T7_T9_mT8_P12ihipStream_tbDpT10_ENKUlT_T0_E_clISt17integral_constantIbLb1EES18_IbLb0EEEEDaS14_S15_EUlS14_E_NS1_11comp_targetILNS1_3genE4ELNS1_11target_archE910ELNS1_3gpuE8ELNS1_3repE0EEENS1_30default_config_static_selectorELNS0_4arch9wavefront6targetE1EEEvT1_ ; -- Begin function _ZN7rocprim17ROCPRIM_400000_NS6detail17trampoline_kernelINS0_14default_configENS1_25partition_config_selectorILNS1_17partition_subalgoE1ExNS0_10empty_typeEbEEZZNS1_14partition_implILS5_1ELb0ES3_jN6thrust23THRUST_200600_302600_NS6detail15normal_iteratorINSA_10device_ptrIxEEEEPS6_NSA_18transform_iteratorINSA_8identityIxEESF_NSA_11use_defaultESK_EENS0_5tupleIJSF_SF_EEENSM_IJSG_SG_EEES6_PlJS6_EEE10hipError_tPvRmT3_T4_T5_T6_T7_T9_mT8_P12ihipStream_tbDpT10_ENKUlT_T0_E_clISt17integral_constantIbLb1EES18_IbLb0EEEEDaS14_S15_EUlS14_E_NS1_11comp_targetILNS1_3genE4ELNS1_11target_archE910ELNS1_3gpuE8ELNS1_3repE0EEENS1_30default_config_static_selectorELNS0_4arch9wavefront6targetE1EEEvT1_
	.globl	_ZN7rocprim17ROCPRIM_400000_NS6detail17trampoline_kernelINS0_14default_configENS1_25partition_config_selectorILNS1_17partition_subalgoE1ExNS0_10empty_typeEbEEZZNS1_14partition_implILS5_1ELb0ES3_jN6thrust23THRUST_200600_302600_NS6detail15normal_iteratorINSA_10device_ptrIxEEEEPS6_NSA_18transform_iteratorINSA_8identityIxEESF_NSA_11use_defaultESK_EENS0_5tupleIJSF_SF_EEENSM_IJSG_SG_EEES6_PlJS6_EEE10hipError_tPvRmT3_T4_T5_T6_T7_T9_mT8_P12ihipStream_tbDpT10_ENKUlT_T0_E_clISt17integral_constantIbLb1EES18_IbLb0EEEEDaS14_S15_EUlS14_E_NS1_11comp_targetILNS1_3genE4ELNS1_11target_archE910ELNS1_3gpuE8ELNS1_3repE0EEENS1_30default_config_static_selectorELNS0_4arch9wavefront6targetE1EEEvT1_
	.p2align	8
	.type	_ZN7rocprim17ROCPRIM_400000_NS6detail17trampoline_kernelINS0_14default_configENS1_25partition_config_selectorILNS1_17partition_subalgoE1ExNS0_10empty_typeEbEEZZNS1_14partition_implILS5_1ELb0ES3_jN6thrust23THRUST_200600_302600_NS6detail15normal_iteratorINSA_10device_ptrIxEEEEPS6_NSA_18transform_iteratorINSA_8identityIxEESF_NSA_11use_defaultESK_EENS0_5tupleIJSF_SF_EEENSM_IJSG_SG_EEES6_PlJS6_EEE10hipError_tPvRmT3_T4_T5_T6_T7_T9_mT8_P12ihipStream_tbDpT10_ENKUlT_T0_E_clISt17integral_constantIbLb1EES18_IbLb0EEEEDaS14_S15_EUlS14_E_NS1_11comp_targetILNS1_3genE4ELNS1_11target_archE910ELNS1_3gpuE8ELNS1_3repE0EEENS1_30default_config_static_selectorELNS0_4arch9wavefront6targetE1EEEvT1_,@function
_ZN7rocprim17ROCPRIM_400000_NS6detail17trampoline_kernelINS0_14default_configENS1_25partition_config_selectorILNS1_17partition_subalgoE1ExNS0_10empty_typeEbEEZZNS1_14partition_implILS5_1ELb0ES3_jN6thrust23THRUST_200600_302600_NS6detail15normal_iteratorINSA_10device_ptrIxEEEEPS6_NSA_18transform_iteratorINSA_8identityIxEESF_NSA_11use_defaultESK_EENS0_5tupleIJSF_SF_EEENSM_IJSG_SG_EEES6_PlJS6_EEE10hipError_tPvRmT3_T4_T5_T6_T7_T9_mT8_P12ihipStream_tbDpT10_ENKUlT_T0_E_clISt17integral_constantIbLb1EES18_IbLb0EEEEDaS14_S15_EUlS14_E_NS1_11comp_targetILNS1_3genE4ELNS1_11target_archE910ELNS1_3gpuE8ELNS1_3repE0EEENS1_30default_config_static_selectorELNS0_4arch9wavefront6targetE1EEEvT1_: ; @_ZN7rocprim17ROCPRIM_400000_NS6detail17trampoline_kernelINS0_14default_configENS1_25partition_config_selectorILNS1_17partition_subalgoE1ExNS0_10empty_typeEbEEZZNS1_14partition_implILS5_1ELb0ES3_jN6thrust23THRUST_200600_302600_NS6detail15normal_iteratorINSA_10device_ptrIxEEEEPS6_NSA_18transform_iteratorINSA_8identityIxEESF_NSA_11use_defaultESK_EENS0_5tupleIJSF_SF_EEENSM_IJSG_SG_EEES6_PlJS6_EEE10hipError_tPvRmT3_T4_T5_T6_T7_T9_mT8_P12ihipStream_tbDpT10_ENKUlT_T0_E_clISt17integral_constantIbLb1EES18_IbLb0EEEEDaS14_S15_EUlS14_E_NS1_11comp_targetILNS1_3genE4ELNS1_11target_archE910ELNS1_3gpuE8ELNS1_3repE0EEENS1_30default_config_static_selectorELNS0_4arch9wavefront6targetE1EEEvT1_
; %bb.0:
	s_load_dwordx2 s[0:1], s[4:5], 0x60
	s_load_dwordx4 s[24:27], s[4:5], 0x8
	s_load_dwordx2 s[2:3], s[4:5], 0x20
	s_load_dwordx4 s[20:23], s[4:5], 0x50
	s_mul_i32 s10, s6, 0x300
	s_waitcnt lgkmcnt(0)
	v_mov_b32_e32 v3, s1
	s_load_dword s1, s[4:5], 0x78
	s_lshl_b64 s[8:9], s[26:27], 3
	s_add_u32 s7, s24, s8
	s_addc_u32 s12, s25, s9
	v_mov_b32_e32 v2, s0
	s_waitcnt lgkmcnt(0)
	s_add_i32 s13, s1, -1
	s_mulk_i32 s1, 0x300
	s_add_i32 s11, s1, s26
	s_sub_i32 s33, s0, s11
	s_addk_i32 s33, 0x300
	s_add_u32 s0, s26, s1
	s_addc_u32 s1, s27, 0
	s_cmp_eq_u32 s6, s13
	s_load_dwordx2 s[30:31], s[22:23], 0x0
	s_cselect_b64 s[22:23], -1, 0
	s_cmp_lg_u32 s6, s13
	s_mov_b32 s11, 0
	v_cmp_lt_u64_e32 vcc, s[0:1], v[2:3]
	s_cselect_b64 s[0:1], -1, 0
	s_or_b64 s[24:25], s[0:1], vcc
	s_lshl_b64 s[28:29], s[10:11], 3
	s_add_u32 s7, s7, s28
	s_addc_u32 s12, s12, s29
	s_mov_b64 s[0:1], -1
	s_and_b64 vcc, exec, s[24:25]
	v_lshlrev_b32_e32 v1, 3, v0
	v_lshrrev_b32_e32 v10, 2, v0
	s_cbranch_vccz .LBB595_2
; %bb.1:
	v_mov_b32_e32 v3, s12
	v_add_co_u32_e32 v2, vcc, s7, v1
	v_addc_co_u32_e32 v3, vcc, 0, v3, vcc
	v_add_co_u32_e32 v4, vcc, 0x1000, v2
	v_addc_co_u32_e32 v5, vcc, 0, v3, vcc
	flat_load_dwordx2 v[6:7], v[2:3]
	flat_load_dwordx2 v[8:9], v[2:3] offset:1536
	flat_load_dwordx2 v[12:13], v[2:3] offset:3072
	;; [unrolled: 1-line block ×3, first 2 shown]
	v_add_u32_e32 v3, 0xc0, v0
	v_add_u32_e32 v4, 0x180, v0
	;; [unrolled: 1-line block ×3, first 2 shown]
	v_and_b32_e32 v2, 56, v10
	v_lshrrev_b32_e32 v3, 2, v3
	v_lshrrev_b32_e32 v4, 2, v4
	;; [unrolled: 1-line block ×3, first 2 shown]
	v_add_u32_e32 v2, v2, v1
	v_and_b32_e32 v3, 0x78, v3
	v_and_b32_e32 v4, 0xf8, v4
	;; [unrolled: 1-line block ×3, first 2 shown]
	v_add_u32_e32 v3, v3, v1
	v_add_u32_e32 v4, v4, v1
	;; [unrolled: 1-line block ×3, first 2 shown]
	s_mov_b64 s[0:1], 0
	s_waitcnt vmcnt(0) lgkmcnt(0)
	ds_write_b64 v2, v[6:7]
	ds_write_b64 v3, v[8:9] offset:1536
	ds_write_b64 v4, v[12:13] offset:3072
	;; [unrolled: 1-line block ×3, first 2 shown]
	s_waitcnt lgkmcnt(0)
	s_barrier
.LBB595_2:
	s_andn2_b64 vcc, exec, s[0:1]
	v_cmp_gt_u32_e64 s[0:1], s33, v0
	s_cbranch_vccnz .LBB595_12
; %bb.3:
                                        ; implicit-def: $vgpr2_vgpr3_vgpr4_vgpr5_vgpr6_vgpr7_vgpr8_vgpr9
	s_and_saveexec_b64 s[10:11], s[0:1]
	s_cbranch_execz .LBB595_5
; %bb.4:
	v_mov_b32_e32 v3, s12
	v_add_co_u32_e32 v2, vcc, s7, v1
	v_addc_co_u32_e32 v3, vcc, 0, v3, vcc
	flat_load_dwordx2 v[2:3], v[2:3]
.LBB595_5:
	s_or_b64 exec, exec, s[10:11]
	v_add_u32_e32 v11, 0xc0, v0
	v_cmp_gt_u32_e32 vcc, s33, v11
	s_and_saveexec_b64 s[0:1], vcc
	s_cbranch_execz .LBB595_7
; %bb.6:
	v_mov_b32_e32 v5, s12
	v_add_co_u32_e32 v4, vcc, s7, v1
	v_addc_co_u32_e32 v5, vcc, 0, v5, vcc
	flat_load_dwordx2 v[4:5], v[4:5] offset:1536
.LBB595_7:
	s_or_b64 exec, exec, s[0:1]
	v_add_u32_e32 v12, 0x180, v0
	v_cmp_gt_u32_e32 vcc, s33, v12
	s_and_saveexec_b64 s[0:1], vcc
	s_cbranch_execz .LBB595_9
; %bb.8:
	v_mov_b32_e32 v7, s12
	v_add_co_u32_e32 v6, vcc, s7, v1
	v_addc_co_u32_e32 v7, vcc, 0, v7, vcc
	flat_load_dwordx2 v[6:7], v[6:7] offset:3072
.LBB595_9:
	s_or_b64 exec, exec, s[0:1]
	v_add_u32_e32 v13, 0x240, v0
	v_cmp_gt_u32_e32 vcc, s33, v13
	s_and_saveexec_b64 s[0:1], vcc
	s_cbranch_execz .LBB595_11
; %bb.10:
	v_lshlrev_b32_e32 v8, 3, v13
	v_mov_b32_e32 v9, s12
	v_add_co_u32_e32 v8, vcc, s7, v8
	v_addc_co_u32_e32 v9, vcc, 0, v9, vcc
	flat_load_dwordx2 v[8:9], v[8:9]
.LBB595_11:
	s_or_b64 exec, exec, s[0:1]
	v_and_b32_e32 v10, 56, v10
	v_add_u32_e32 v10, v10, v1
	s_waitcnt vmcnt(0) lgkmcnt(0)
	ds_write_b64 v10, v[2:3]
	v_lshrrev_b32_e32 v2, 2, v11
	v_and_b32_e32 v2, 0x78, v2
	v_add_u32_e32 v2, v2, v1
	ds_write_b64 v2, v[4:5] offset:1536
	v_lshrrev_b32_e32 v2, 2, v12
	v_and_b32_e32 v2, 0xf8, v2
	v_add_u32_e32 v2, v2, v1
	ds_write_b64 v2, v[6:7] offset:3072
	;; [unrolled: 4-line block ×3, first 2 shown]
	s_waitcnt lgkmcnt(0)
	s_barrier
.LBB595_12:
	v_lshlrev_b32_e32 v20, 2, v0
	v_lshrrev_b32_e32 v10, 3, v0
	v_add_lshl_u32 v2, v10, v20, 3
	s_waitcnt lgkmcnt(0)
	ds_read2_b64 v[6:9], v2 offset1:1
	ds_read2_b64 v[2:5], v2 offset0:2 offset1:3
	s_add_u32 s0, s2, s8
	s_addc_u32 s1, s3, s9
	s_add_u32 s0, s0, s28
	s_addc_u32 s1, s1, s29
	s_mov_b64 s[2:3], -1
	s_and_b64 vcc, exec, s[24:25]
	v_lshrrev_b32_e32 v11, 5, v0
	s_waitcnt lgkmcnt(0)
	s_barrier
	s_cbranch_vccz .LBB595_14
; %bb.13:
	v_mov_b32_e32 v14, s1
	v_add_co_u32_e32 v18, vcc, s0, v1
	global_load_dwordx2 v[12:13], v1, s[0:1]
	v_addc_co_u32_e32 v19, vcc, 0, v14, vcc
	v_add_co_u32_e32 v18, vcc, 0x1000, v18
	global_load_dwordx2 v[14:15], v1, s[0:1] offset:1536
	global_load_dwordx2 v[16:17], v1, s[0:1] offset:3072
	v_addc_co_u32_e32 v19, vcc, 0, v19, vcc
	global_load_dwordx2 v[18:19], v[18:19], off offset:512
	v_add_u32_e32 v22, 0xc0, v0
	v_add_u32_e32 v23, 0x180, v0
	;; [unrolled: 1-line block ×3, first 2 shown]
	v_and_b32_e32 v21, 4, v11
	v_lshrrev_b32_e32 v22, 5, v22
	v_lshrrev_b32_e32 v23, 5, v23
	;; [unrolled: 1-line block ×3, first 2 shown]
	v_add_u32_e32 v21, v21, v0
	v_and_b32_e32 v22, 12, v22
	v_and_b32_e32 v23, 28, v23
	;; [unrolled: 1-line block ×3, first 2 shown]
	v_add_u32_e32 v22, v22, v0
	v_add_u32_e32 v23, v23, v0
	;; [unrolled: 1-line block ×3, first 2 shown]
	s_mov_b64 s[2:3], 0
	s_waitcnt vmcnt(3)
	v_cmp_ne_u64_e32 vcc, 0, v[12:13]
	v_cndmask_b32_e64 v12, 0, 1, vcc
	s_waitcnt vmcnt(2)
	v_cmp_ne_u64_e32 vcc, 0, v[14:15]
	v_cndmask_b32_e64 v13, 0, 1, vcc
	;; [unrolled: 3-line block ×3, first 2 shown]
	s_waitcnt vmcnt(0)
	v_cmp_ne_u64_e32 vcc, 0, v[18:19]
	ds_write_b8 v21, v12
	ds_write_b8 v22, v13 offset:192
	ds_write_b8 v23, v14 offset:384
	v_cndmask_b32_e64 v12, 0, 1, vcc
	ds_write_b8 v24, v12 offset:576
	s_waitcnt lgkmcnt(0)
	s_barrier
.LBB595_14:
	s_load_dwordx2 s[34:35], s[4:5], 0x70
	s_andn2_b64 vcc, exec, s[2:3]
	s_cbranch_vccnz .LBB595_24
; %bb.15:
	v_cmp_gt_u32_e32 vcc, s33, v0
	v_mov_b32_e32 v12, 0
	v_mov_b32_e32 v13, 0
	s_and_saveexec_b64 s[2:3], vcc
	s_cbranch_execz .LBB595_17
; %bb.16:
	global_load_dwordx2 v[14:15], v1, s[0:1]
	s_waitcnt vmcnt(0)
	v_cmp_ne_u64_e32 vcc, 0, v[14:15]
	v_cndmask_b32_e64 v13, 0, 1, vcc
.LBB595_17:
	s_or_b64 exec, exec, s[2:3]
	v_add_u32_e32 v14, 0xc0, v0
	v_cmp_gt_u32_e32 vcc, s33, v14
	s_and_saveexec_b64 s[2:3], vcc
	s_cbranch_execz .LBB595_19
; %bb.18:
	global_load_dwordx2 v[16:17], v1, s[0:1] offset:1536
	s_waitcnt vmcnt(0)
	v_cmp_ne_u64_e32 vcc, 0, v[16:17]
	v_cndmask_b32_e64 v12, 0, 1, vcc
.LBB595_19:
	s_or_b64 exec, exec, s[2:3]
	v_add_u32_e32 v16, 0x180, v0
	v_cmp_gt_u32_e32 vcc, s33, v16
	v_mov_b32_e32 v15, 0
	v_mov_b32_e32 v17, 0
	s_and_saveexec_b64 s[2:3], vcc
	s_cbranch_execz .LBB595_21
; %bb.20:
	global_load_dwordx2 v[18:19], v1, s[0:1] offset:3072
	s_waitcnt vmcnt(0)
	v_cmp_ne_u64_e32 vcc, 0, v[18:19]
	v_cndmask_b32_e64 v17, 0, 1, vcc
.LBB595_21:
	s_or_b64 exec, exec, s[2:3]
	v_add_u32_e32 v18, 0x240, v0
	v_cmp_gt_u32_e32 vcc, s33, v18
	s_and_saveexec_b64 s[2:3], vcc
	s_cbranch_execz .LBB595_23
; %bb.22:
	v_lshlrev_b32_e32 v15, 3, v18
	global_load_dwordx2 v[22:23], v15, s[0:1]
	s_waitcnt vmcnt(0)
	v_cmp_ne_u64_e32 vcc, 0, v[22:23]
	v_cndmask_b32_e64 v15, 0, 1, vcc
.LBB595_23:
	s_or_b64 exec, exec, s[2:3]
	v_and_b32_e32 v11, 4, v11
	v_add_u32_e32 v11, v11, v0
	ds_write_b8 v11, v13
	v_lshrrev_b32_e32 v11, 5, v14
	v_and_b32_e32 v11, 12, v11
	v_add_u32_e32 v11, v11, v0
	ds_write_b8 v11, v12 offset:192
	v_lshrrev_b32_e32 v11, 5, v16
	v_and_b32_e32 v11, 28, v11
	v_add_u32_e32 v11, v11, v0
	ds_write_b8 v11, v17 offset:384
	;; [unrolled: 4-line block ×3, first 2 shown]
	s_waitcnt lgkmcnt(0)
	s_barrier
.LBB595_24:
	v_and_b32_e32 v10, 28, v10
	v_add_u32_e32 v10, v10, v20
	s_waitcnt lgkmcnt(0)
	ds_read_b32 v22, v10
	s_cmp_lg_u32 s6, 0
	v_lshrrev_b32_e32 v25, 6, v0
	s_waitcnt lgkmcnt(0)
	s_barrier
	v_lshrrev_b32_e32 v21, 24, v22
	v_bfe_u32 v23, v22, 16, 8
	v_add_u32_sdwa v10, v22, v22 dst_sel:DWORD dst_unused:UNUSED_PAD src0_sel:BYTE_1 src1_sel:BYTE_0
	v_add3_u32 v26, v10, v23, v21
	v_mbcnt_lo_u32_b32 v10, -1, 0
	v_mbcnt_hi_u32_b32 v24, -1, v10
	v_and_b32_e32 v10, 15, v24
	v_cmp_eq_u32_e64 s[14:15], 0, v10
	v_cmp_lt_u32_e64 s[12:13], 1, v10
	v_cmp_lt_u32_e64 s[10:11], 3, v10
	;; [unrolled: 1-line block ×3, first 2 shown]
	v_and_b32_e32 v10, 16, v24
	v_cmp_eq_u32_e64 s[2:3], 0, v10
	v_and_b32_e32 v10, 0xc0, v0
	v_min_u32_e32 v10, 0x80, v10
	v_or_b32_e32 v10, 63, v10
	v_cmp_lt_u32_e64 s[0:1], 31, v24
	v_cmp_eq_u32_e64 s[18:19], v10, v0
	s_cbranch_scc0 .LBB595_55
; %bb.25:
	v_mov_b32_dpp v10, v26 row_shr:1 row_mask:0xf bank_mask:0xf
	v_cndmask_b32_e64 v10, v10, 0, s[14:15]
	v_add_u32_e32 v10, v10, v26
	s_nop 1
	v_mov_b32_dpp v11, v10 row_shr:2 row_mask:0xf bank_mask:0xf
	v_cndmask_b32_e64 v11, 0, v11, s[12:13]
	v_add_u32_e32 v10, v10, v11
	s_nop 1
	;; [unrolled: 4-line block ×4, first 2 shown]
	v_mov_b32_dpp v11, v10 row_bcast:15 row_mask:0xf bank_mask:0xf
	v_cndmask_b32_e64 v11, v11, 0, s[2:3]
	v_add_u32_e32 v10, v10, v11
	s_nop 1
	v_mov_b32_dpp v11, v10 row_bcast:31 row_mask:0xf bank_mask:0xf
	v_cndmask_b32_e64 v11, 0, v11, s[0:1]
	v_add_u32_e32 v10, v10, v11
	s_and_saveexec_b64 s[16:17], s[18:19]
	s_cbranch_execz .LBB595_27
; %bb.26:
	v_lshlrev_b32_e32 v11, 2, v25
	ds_write_b32 v11, v10
.LBB595_27:
	s_or_b64 exec, exec, s[16:17]
	v_cmp_gt_u32_e32 vcc, 3, v0
	s_waitcnt lgkmcnt(0)
	s_barrier
	s_and_saveexec_b64 s[16:17], vcc
	s_cbranch_execz .LBB595_29
; %bb.28:
	ds_read_b32 v11, v20
	v_and_b32_e32 v12, 3, v24
	v_cmp_ne_u32_e32 vcc, 0, v12
	s_waitcnt lgkmcnt(0)
	v_mov_b32_dpp v13, v11 row_shr:1 row_mask:0xf bank_mask:0xf
	v_cndmask_b32_e32 v13, 0, v13, vcc
	v_add_u32_e32 v11, v13, v11
	v_cmp_lt_u32_e32 vcc, 1, v12
	s_nop 0
	v_mov_b32_dpp v13, v11 row_shr:2 row_mask:0xf bank_mask:0xf
	v_cndmask_b32_e32 v12, 0, v13, vcc
	v_add_u32_e32 v11, v11, v12
	ds_write_b32 v20, v11
.LBB595_29:
	s_or_b64 exec, exec, s[16:17]
	v_cmp_gt_u32_e32 vcc, 64, v0
	v_cmp_lt_u32_e64 s[16:17], 63, v0
	s_waitcnt lgkmcnt(0)
	s_barrier
	s_waitcnt lgkmcnt(0)
                                        ; implicit-def: $vgpr27
	s_and_saveexec_b64 s[36:37], s[16:17]
	s_cbranch_execz .LBB595_31
; %bb.30:
	v_lshl_add_u32 v11, v25, 2, -4
	ds_read_b32 v27, v11
	s_waitcnt lgkmcnt(0)
	v_add_u32_e32 v10, v27, v10
.LBB595_31:
	s_or_b64 exec, exec, s[36:37]
	v_add_u32_e32 v11, -1, v24
	v_and_b32_e32 v12, 64, v24
	v_cmp_lt_i32_e64 s[16:17], v11, v12
	v_cndmask_b32_e64 v11, v11, v24, s[16:17]
	v_lshlrev_b32_e32 v11, 2, v11
	ds_bpermute_b32 v28, v11, v10
	v_cmp_eq_u32_e64 s[16:17], 0, v24
	s_and_saveexec_b64 s[36:37], vcc
	s_cbranch_execz .LBB595_54
; %bb.32:
	v_mov_b32_e32 v19, 0
	ds_read_b32 v10, v19 offset:8
	s_and_saveexec_b64 s[38:39], s[16:17]
	s_cbranch_execz .LBB595_34
; %bb.33:
	s_add_i32 s40, s6, 64
	s_mov_b32 s41, 0
	s_lshl_b64 s[40:41], s[40:41], 3
	s_add_u32 s40, s34, s40
	v_mov_b32_e32 v11, 1
	s_addc_u32 s41, s35, s41
	s_waitcnt lgkmcnt(0)
	global_store_dwordx2 v19, v[10:11], s[40:41]
.LBB595_34:
	s_or_b64 exec, exec, s[38:39]
	v_xad_u32 v12, v24, -1, s6
	v_add_u32_e32 v18, 64, v12
	v_lshlrev_b64 v[14:15], 3, v[18:19]
	v_mov_b32_e32 v11, s35
	v_add_co_u32_e32 v14, vcc, s34, v14
	v_addc_co_u32_e32 v15, vcc, v11, v15, vcc
	global_load_dwordx2 v[16:17], v[14:15], off glc
	s_waitcnt vmcnt(0)
	v_cmp_eq_u16_sdwa s[40:41], v17, v19 src0_sel:BYTE_0 src1_sel:DWORD
	s_and_saveexec_b64 s[38:39], s[40:41]
	s_cbranch_execz .LBB595_40
; %bb.35:
	s_mov_b32 s7, 1
	s_mov_b64 s[40:41], 0
	v_mov_b32_e32 v11, 0
.LBB595_36:                             ; =>This Loop Header: Depth=1
                                        ;     Child Loop BB595_37 Depth 2
	s_max_u32 s42, s7, 1
.LBB595_37:                             ;   Parent Loop BB595_36 Depth=1
                                        ; =>  This Inner Loop Header: Depth=2
	s_add_i32 s42, s42, -1
	s_cmp_eq_u32 s42, 0
	s_sleep 1
	s_cbranch_scc0 .LBB595_37
; %bb.38:                               ;   in Loop: Header=BB595_36 Depth=1
	global_load_dwordx2 v[16:17], v[14:15], off glc
	s_cmp_lt_u32 s7, 32
	s_cselect_b64 s[42:43], -1, 0
	s_cmp_lg_u64 s[42:43], 0
	s_addc_u32 s7, s7, 0
	s_waitcnt vmcnt(0)
	v_cmp_ne_u16_sdwa s[42:43], v17, v11 src0_sel:BYTE_0 src1_sel:DWORD
	s_or_b64 s[40:41], s[42:43], s[40:41]
	s_andn2_b64 exec, exec, s[40:41]
	s_cbranch_execnz .LBB595_36
; %bb.39:
	s_or_b64 exec, exec, s[40:41]
.LBB595_40:
	s_or_b64 exec, exec, s[38:39]
	v_and_b32_e32 v30, 63, v24
	v_mov_b32_e32 v29, 2
	v_cmp_ne_u32_e32 vcc, 63, v30
	v_cmp_eq_u16_sdwa s[38:39], v17, v29 src0_sel:BYTE_0 src1_sel:DWORD
	v_lshlrev_b64 v[14:15], v24, -1
	v_addc_co_u32_e32 v18, vcc, 0, v24, vcc
	v_and_b32_e32 v11, s39, v15
	v_lshlrev_b32_e32 v31, 2, v18
	v_or_b32_e32 v11, 0x80000000, v11
	ds_bpermute_b32 v18, v31, v16
	v_and_b32_e32 v13, s38, v14
	v_ffbl_b32_e32 v11, v11
	v_add_u32_e32 v11, 32, v11
	v_ffbl_b32_e32 v13, v13
	v_min_u32_e32 v11, v13, v11
	v_cmp_lt_u32_e32 vcc, v30, v11
	s_waitcnt lgkmcnt(0)
	v_cndmask_b32_e32 v13, 0, v18, vcc
	v_cmp_gt_u32_e32 vcc, 62, v30
	v_add_u32_e32 v13, v13, v16
	v_cndmask_b32_e64 v16, 0, 1, vcc
	v_lshlrev_b32_e32 v16, 1, v16
	v_add_lshl_u32 v32, v16, v24, 2
	ds_bpermute_b32 v16, v32, v13
	v_add_u32_e32 v33, 2, v30
	v_cmp_le_u32_e32 vcc, v33, v11
	v_add_u32_e32 v35, 4, v30
	v_add_u32_e32 v37, 8, v30
	s_waitcnt lgkmcnt(0)
	v_cndmask_b32_e32 v16, 0, v16, vcc
	v_cmp_gt_u32_e32 vcc, 60, v30
	v_add_u32_e32 v13, v13, v16
	v_cndmask_b32_e64 v16, 0, 1, vcc
	v_lshlrev_b32_e32 v16, 2, v16
	v_add_lshl_u32 v34, v16, v24, 2
	ds_bpermute_b32 v16, v34, v13
	v_cmp_le_u32_e32 vcc, v35, v11
	v_add_u32_e32 v39, 16, v30
	v_add_u32_e32 v41, 32, v30
	s_waitcnt lgkmcnt(0)
	v_cndmask_b32_e32 v16, 0, v16, vcc
	v_cmp_gt_u32_e32 vcc, 56, v30
	v_add_u32_e32 v13, v13, v16
	v_cndmask_b32_e64 v16, 0, 1, vcc
	v_lshlrev_b32_e32 v16, 3, v16
	v_add_lshl_u32 v36, v16, v24, 2
	ds_bpermute_b32 v16, v36, v13
	v_cmp_le_u32_e32 vcc, v37, v11
	s_waitcnt lgkmcnt(0)
	v_cndmask_b32_e32 v16, 0, v16, vcc
	v_cmp_gt_u32_e32 vcc, 48, v30
	v_add_u32_e32 v13, v13, v16
	v_cndmask_b32_e64 v16, 0, 1, vcc
	v_lshlrev_b32_e32 v16, 4, v16
	v_add_lshl_u32 v38, v16, v24, 2
	ds_bpermute_b32 v16, v38, v13
	v_cmp_le_u32_e32 vcc, v39, v11
	;; [unrolled: 9-line block ×3, first 2 shown]
	s_waitcnt lgkmcnt(0)
	v_cndmask_b32_e32 v11, 0, v16, vcc
	v_add_u32_e32 v16, v13, v11
	v_mov_b32_e32 v13, 0
	s_branch .LBB595_42
.LBB595_41:                             ;   in Loop: Header=BB595_42 Depth=1
	s_or_b64 exec, exec, s[38:39]
	v_cmp_eq_u16_sdwa s[38:39], v17, v29 src0_sel:BYTE_0 src1_sel:DWORD
	v_and_b32_e32 v18, s39, v15
	v_or_b32_e32 v18, 0x80000000, v18
	ds_bpermute_b32 v42, v31, v16
	v_and_b32_e32 v19, s38, v14
	v_ffbl_b32_e32 v18, v18
	v_add_u32_e32 v18, 32, v18
	v_ffbl_b32_e32 v19, v19
	v_min_u32_e32 v18, v19, v18
	v_cmp_lt_u32_e32 vcc, v30, v18
	s_waitcnt lgkmcnt(0)
	v_cndmask_b32_e32 v19, 0, v42, vcc
	v_add_u32_e32 v16, v19, v16
	ds_bpermute_b32 v19, v32, v16
	v_cmp_le_u32_e32 vcc, v33, v18
	v_subrev_u32_e32 v12, 64, v12
	s_waitcnt lgkmcnt(0)
	v_cndmask_b32_e32 v19, 0, v19, vcc
	v_add_u32_e32 v16, v16, v19
	ds_bpermute_b32 v19, v34, v16
	v_cmp_le_u32_e32 vcc, v35, v18
	s_waitcnt lgkmcnt(0)
	v_cndmask_b32_e32 v19, 0, v19, vcc
	v_add_u32_e32 v16, v16, v19
	ds_bpermute_b32 v19, v36, v16
	v_cmp_le_u32_e32 vcc, v37, v18
	;; [unrolled: 5-line block ×4, first 2 shown]
	s_waitcnt lgkmcnt(0)
	v_cndmask_b32_e32 v18, 0, v19, vcc
	v_add3_u32 v16, v18, v11, v16
.LBB595_42:                             ; =>This Loop Header: Depth=1
                                        ;     Child Loop BB595_45 Depth 2
                                        ;       Child Loop BB595_46 Depth 3
	v_cmp_ne_u16_sdwa s[38:39], v17, v29 src0_sel:BYTE_0 src1_sel:DWORD
	v_cndmask_b32_e64 v11, 0, 1, s[38:39]
	;;#ASMSTART
	;;#ASMEND
	v_cmp_ne_u32_e32 vcc, 0, v11
	s_cmp_lg_u64 vcc, exec
	v_mov_b32_e32 v11, v16
	s_cbranch_scc1 .LBB595_49
; %bb.43:                               ;   in Loop: Header=BB595_42 Depth=1
	v_lshlrev_b64 v[16:17], 3, v[12:13]
	v_mov_b32_e32 v19, s35
	v_add_co_u32_e32 v18, vcc, s34, v16
	v_addc_co_u32_e32 v19, vcc, v19, v17, vcc
	global_load_dwordx2 v[16:17], v[18:19], off glc
	s_waitcnt vmcnt(0)
	v_cmp_eq_u16_sdwa s[40:41], v17, v13 src0_sel:BYTE_0 src1_sel:DWORD
	s_and_saveexec_b64 s[38:39], s[40:41]
	s_cbranch_execz .LBB595_41
; %bb.44:                               ;   in Loop: Header=BB595_42 Depth=1
	s_mov_b32 s7, 1
	s_mov_b64 s[40:41], 0
.LBB595_45:                             ;   Parent Loop BB595_42 Depth=1
                                        ; =>  This Loop Header: Depth=2
                                        ;       Child Loop BB595_46 Depth 3
	s_max_u32 s42, s7, 1
.LBB595_46:                             ;   Parent Loop BB595_42 Depth=1
                                        ;     Parent Loop BB595_45 Depth=2
                                        ; =>    This Inner Loop Header: Depth=3
	s_add_i32 s42, s42, -1
	s_cmp_eq_u32 s42, 0
	s_sleep 1
	s_cbranch_scc0 .LBB595_46
; %bb.47:                               ;   in Loop: Header=BB595_45 Depth=2
	global_load_dwordx2 v[16:17], v[18:19], off glc
	s_cmp_lt_u32 s7, 32
	s_cselect_b64 s[42:43], -1, 0
	s_cmp_lg_u64 s[42:43], 0
	s_addc_u32 s7, s7, 0
	s_waitcnt vmcnt(0)
	v_cmp_ne_u16_sdwa s[42:43], v17, v13 src0_sel:BYTE_0 src1_sel:DWORD
	s_or_b64 s[40:41], s[42:43], s[40:41]
	s_andn2_b64 exec, exec, s[40:41]
	s_cbranch_execnz .LBB595_45
; %bb.48:                               ;   in Loop: Header=BB595_42 Depth=1
	s_or_b64 exec, exec, s[40:41]
	s_branch .LBB595_41
.LBB595_49:                             ;   in Loop: Header=BB595_42 Depth=1
                                        ; implicit-def: $vgpr16
                                        ; implicit-def: $vgpr17
	s_cbranch_execz .LBB595_42
; %bb.50:
	s_and_saveexec_b64 s[38:39], s[16:17]
	s_cbranch_execz .LBB595_52
; %bb.51:
	s_add_i32 s6, s6, 64
	s_mov_b32 s7, 0
	s_lshl_b64 s[6:7], s[6:7], 3
	s_add_u32 s6, s34, s6
	v_add_u32_e32 v12, v11, v10
	v_mov_b32_e32 v13, 2
	s_addc_u32 s7, s35, s7
	v_mov_b32_e32 v14, 0
	global_store_dwordx2 v14, v[12:13], s[6:7]
	ds_write_b64 v14, v[10:11] offset:6336
.LBB595_52:
	s_or_b64 exec, exec, s[38:39]
	v_cmp_eq_u32_e32 vcc, 0, v0
	s_and_b64 exec, exec, vcc
	s_cbranch_execz .LBB595_54
; %bb.53:
	v_mov_b32_e32 v10, 0
	ds_write_b32 v10, v11 offset:8
.LBB595_54:
	s_or_b64 exec, exec, s[36:37]
	v_mov_b32_e32 v10, 0
	s_waitcnt lgkmcnt(0)
	s_barrier
	ds_read_b32 v11, v10 offset:8
	v_cndmask_b32_e64 v12, v28, v27, s[16:17]
	v_cmp_ne_u32_e32 vcc, 0, v0
	v_cndmask_b32_e32 v12, 0, v12, vcc
	s_waitcnt lgkmcnt(0)
	v_add_u32_e32 v14, v11, v12
	s_barrier
	ds_read_b64 v[10:11], v10 offset:6336
	v_add_u32_sdwa v15, v14, v22 dst_sel:DWORD dst_unused:UNUSED_PAD src0_sel:DWORD src1_sel:BYTE_0
	v_add_u32_sdwa v13, v15, v22 dst_sel:DWORD dst_unused:UNUSED_PAD src0_sel:DWORD src1_sel:BYTE_1
	v_add_u32_e32 v12, v13, v23
	s_branch .LBB595_65
.LBB595_55:
                                        ; implicit-def: $vgpr11
                                        ; implicit-def: $vgpr12
                                        ; implicit-def: $vgpr13
                                        ; implicit-def: $vgpr15
                                        ; implicit-def: $vgpr14
	s_cbranch_execz .LBB595_65
; %bb.56:
	s_waitcnt lgkmcnt(0)
	v_mov_b32_dpp v10, v26 row_shr:1 row_mask:0xf bank_mask:0xf
	v_cndmask_b32_e64 v10, v10, 0, s[14:15]
	v_add_u32_e32 v10, v10, v26
	s_nop 1
	v_mov_b32_dpp v11, v10 row_shr:2 row_mask:0xf bank_mask:0xf
	v_cndmask_b32_e64 v11, 0, v11, s[12:13]
	v_add_u32_e32 v10, v10, v11
	s_nop 1
	v_mov_b32_dpp v11, v10 row_shr:4 row_mask:0xf bank_mask:0xf
	v_cndmask_b32_e64 v11, 0, v11, s[10:11]
	v_add_u32_e32 v10, v10, v11
	s_nop 1
	v_mov_b32_dpp v11, v10 row_shr:8 row_mask:0xf bank_mask:0xf
	v_cndmask_b32_e64 v11, 0, v11, s[8:9]
	v_add_u32_e32 v10, v10, v11
	s_nop 1
	v_mov_b32_dpp v11, v10 row_bcast:15 row_mask:0xf bank_mask:0xf
	v_cndmask_b32_e64 v11, v11, 0, s[2:3]
	v_add_u32_e32 v10, v10, v11
	s_nop 1
	v_mov_b32_dpp v11, v10 row_bcast:31 row_mask:0xf bank_mask:0xf
	v_cndmask_b32_e64 v11, 0, v11, s[0:1]
	v_add_u32_e32 v10, v10, v11
	s_and_saveexec_b64 s[0:1], s[18:19]
	s_cbranch_execz .LBB595_58
; %bb.57:
	v_lshlrev_b32_e32 v11, 2, v25
	ds_write_b32 v11, v10
.LBB595_58:
	s_or_b64 exec, exec, s[0:1]
	v_cmp_gt_u32_e32 vcc, 3, v0
	s_waitcnt lgkmcnt(0)
	s_barrier
	s_and_saveexec_b64 s[0:1], vcc
	s_cbranch_execz .LBB595_60
; %bb.59:
	ds_read_b32 v11, v20
	v_and_b32_e32 v12, 3, v24
	v_cmp_ne_u32_e32 vcc, 0, v12
	s_waitcnt lgkmcnt(0)
	v_mov_b32_dpp v13, v11 row_shr:1 row_mask:0xf bank_mask:0xf
	v_cndmask_b32_e32 v13, 0, v13, vcc
	v_add_u32_e32 v11, v13, v11
	v_cmp_lt_u32_e32 vcc, 1, v12
	s_nop 0
	v_mov_b32_dpp v13, v11 row_shr:2 row_mask:0xf bank_mask:0xf
	v_cndmask_b32_e32 v12, 0, v13, vcc
	v_add_u32_e32 v11, v11, v12
	ds_write_b32 v20, v11
.LBB595_60:
	s_or_b64 exec, exec, s[0:1]
	v_cmp_lt_u32_e32 vcc, 63, v0
	v_mov_b32_e32 v11, 0
	v_mov_b32_e32 v12, 0
	s_waitcnt lgkmcnt(0)
	s_barrier
	s_and_saveexec_b64 s[0:1], vcc
	s_cbranch_execz .LBB595_62
; %bb.61:
	v_lshl_add_u32 v12, v25, 2, -4
	ds_read_b32 v12, v12
.LBB595_62:
	s_or_b64 exec, exec, s[0:1]
	v_add_u32_e32 v13, -1, v24
	v_and_b32_e32 v14, 64, v24
	v_cmp_lt_i32_e32 vcc, v13, v14
	v_cndmask_b32_e32 v13, v13, v24, vcc
	s_waitcnt lgkmcnt(0)
	v_add_u32_e32 v10, v12, v10
	v_lshlrev_b32_e32 v13, 2, v13
	ds_bpermute_b32 v13, v13, v10
	ds_read_b32 v10, v11 offset:8
	v_cmp_eq_u32_e32 vcc, 0, v0
	s_and_saveexec_b64 s[0:1], vcc
	s_cbranch_execz .LBB595_64
; %bb.63:
	v_mov_b32_e32 v14, 0
	v_mov_b32_e32 v11, 2
	s_waitcnt lgkmcnt(0)
	global_store_dwordx2 v14, v[10:11], s[34:35] offset:512
.LBB595_64:
	s_or_b64 exec, exec, s[0:1]
	v_cmp_eq_u32_e64 s[0:1], 0, v24
	s_waitcnt lgkmcnt(1)
	v_cndmask_b32_e64 v12, v13, v12, s[0:1]
	v_cndmask_b32_e64 v14, v12, 0, vcc
	v_add_u32_sdwa v15, v14, v22 dst_sel:DWORD dst_unused:UNUSED_PAD src0_sel:DWORD src1_sel:BYTE_0
	v_add_u32_sdwa v13, v15, v22 dst_sel:DWORD dst_unused:UNUSED_PAD src0_sel:DWORD src1_sel:BYTE_1
	v_mov_b32_e32 v11, 0
	v_add_u32_e32 v12, v13, v23
	s_waitcnt lgkmcnt(0)
	s_barrier
.LBB595_65:
	s_waitcnt lgkmcnt(0)
	v_add_u32_e32 v17, v10, v20
	v_sub_u32_e32 v14, v14, v11
	v_and_b32_e32 v19, 1, v22
	v_sub_u32_e32 v18, v17, v14
	v_cmp_eq_u32_e32 vcc, 1, v19
	v_cndmask_b32_e32 v14, v18, v14, vcc
	v_lshlrev_b32_e32 v14, 3, v14
	v_lshrrev_b32_e32 v16, 8, v22
	ds_write_b64 v14, v[6:7]
	v_sub_u32_e32 v6, v15, v11
	v_sub_u32_e32 v7, v17, v6
	v_and_b32_e32 v14, 1, v16
	v_add_u32_e32 v7, 1, v7
	v_cmp_eq_u32_e32 vcc, 1, v14
	v_cndmask_b32_e32 v6, v7, v6, vcc
	v_lshlrev_b32_e32 v6, 3, v6
	ds_write_b64 v6, v[8:9]
	v_sub_u32_e32 v6, v13, v11
	v_mov_b32_e32 v8, 1
	v_sub_u32_e32 v7, v17, v6
	v_and_b32_sdwa v8, v8, v22 dst_sel:DWORD dst_unused:UNUSED_PAD src0_sel:DWORD src1_sel:WORD_1
	v_add_u32_e32 v7, 2, v7
	v_cmp_eq_u32_e32 vcc, 1, v8
	v_cndmask_b32_e32 v6, v7, v6, vcc
	v_lshlrev_b32_e32 v6, 3, v6
	ds_write_b64 v6, v[2:3]
	v_sub_u32_e32 v2, v12, v11
	v_sub_u32_e32 v3, v17, v2
	v_and_b32_e32 v6, 1, v21
	v_add_u32_e32 v3, 3, v3
	v_cmp_eq_u32_e32 vcc, 1, v6
	v_cndmask_b32_e32 v2, v3, v2, vcc
	v_mov_b32_e32 v12, s31
	v_add_co_u32_e32 v20, vcc, s30, v11
	v_addc_co_u32_e32 v21, vcc, 0, v12, vcc
	s_load_dwordx4 s[0:3], s[4:5], 0x30
	v_add_co_u32_e32 v12, vcc, v20, v10
	v_addc_co_u32_e32 v13, vcc, 0, v21, vcc
	v_mov_b32_e32 v11, s27
	v_sub_co_u32_e32 v16, vcc, s26, v12
	v_subb_co_u32_e32 v17, vcc, v11, v13, vcc
	v_lshlrev_b32_e32 v2, 3, v2
	v_lshlrev_b64 v[16:17], 3, v[16:17]
	ds_write_b64 v2, v[4:5]
	s_waitcnt lgkmcnt(0)
	s_barrier
	ds_read2st64_b64 v[6:9], v1 offset1:3
	ds_read2st64_b64 v[2:5], v1 offset0:6 offset1:9
	v_mov_b32_e32 v11, s3
	v_add_co_u32_e32 v16, vcc, s2, v16
	v_addc_co_u32_e32 v17, vcc, v11, v17, vcc
	v_mov_b32_e32 v18, s29
	v_add_co_u32_e32 v11, vcc, s28, v16
	v_lshlrev_b64 v[20:21], 3, v[20:21]
	v_addc_co_u32_e32 v16, vcc, v17, v18, vcc
	v_mov_b32_e32 v18, s1
	v_add_co_u32_e64 v17, s[0:1], s0, v20
	v_add_u32_e32 v19, 0xc0, v0
	v_add_u32_e32 v15, 0x180, v0
	;; [unrolled: 1-line block ×3, first 2 shown]
	s_andn2_b64 vcc, exec, s[24:25]
	v_addc_co_u32_e64 v18, s[0:1], v18, v21, s[0:1]
	s_cbranch_vccnz .LBB595_67
; %bb.66:
	v_cmp_lt_u32_e32 vcc, v0, v10
	v_cndmask_b32_e32 v20, v11, v17, vcc
	v_cndmask_b32_e32 v21, v16, v18, vcc
	v_add_co_u32_e32 v20, vcc, v20, v1
	v_addc_co_u32_e32 v21, vcc, 0, v21, vcc
	v_cmp_lt_u32_e32 vcc, v19, v10
	s_waitcnt lgkmcnt(1)
	global_store_dwordx2 v[20:21], v[6:7], off
	v_cndmask_b32_e32 v20, v11, v17, vcc
	v_cndmask_b32_e32 v21, v16, v18, vcc
	v_add_co_u32_e32 v20, vcc, v20, v1
	v_addc_co_u32_e32 v21, vcc, 0, v21, vcc
	v_cmp_lt_u32_e32 vcc, v15, v10
	global_store_dwordx2 v[20:21], v[8:9], off offset:1536
	v_cndmask_b32_e32 v20, v11, v17, vcc
	v_cndmask_b32_e32 v21, v16, v18, vcc
	v_add_co_u32_e32 v20, vcc, v20, v1
	v_addc_co_u32_e32 v21, vcc, 0, v21, vcc
	s_mov_b64 s[0:1], -1
	s_waitcnt lgkmcnt(0)
	global_store_dwordx2 v[20:21], v[2:3], off offset:3072
	s_cbranch_execz .LBB595_68
	s_branch .LBB595_73
.LBB595_67:
	s_mov_b64 s[0:1], 0
.LBB595_68:
	v_cmp_gt_u32_e32 vcc, s33, v0
	s_and_saveexec_b64 s[0:1], vcc
	s_cbranch_execnz .LBB595_78
; %bb.69:
	s_or_b64 exec, exec, s[0:1]
	v_cmp_gt_u32_e32 vcc, s33, v19
	s_and_saveexec_b64 s[0:1], vcc
	s_cbranch_execnz .LBB595_79
.LBB595_70:
	s_or_b64 exec, exec, s[0:1]
	v_cmp_gt_u32_e32 vcc, s33, v15
	s_and_saveexec_b64 s[0:1], vcc
	s_cbranch_execz .LBB595_72
.LBB595_71:
	v_cmp_lt_u32_e32 vcc, v15, v10
	s_waitcnt lgkmcnt(1)
	v_cndmask_b32_e32 v6, v11, v17, vcc
	v_cndmask_b32_e32 v7, v16, v18, vcc
	v_add_co_u32_e32 v6, vcc, v6, v1
	v_addc_co_u32_e32 v7, vcc, 0, v7, vcc
	s_waitcnt lgkmcnt(0)
	global_store_dwordx2 v[6:7], v[2:3], off offset:3072
.LBB595_72:
	s_or_b64 exec, exec, s[0:1]
	v_cmp_gt_u32_e64 s[0:1], s33, v14
.LBB595_73:
	s_and_saveexec_b64 s[2:3], s[0:1]
	s_cbranch_execz .LBB595_75
; %bb.74:
	v_cmp_lt_u32_e32 vcc, v14, v10
	s_waitcnt lgkmcnt(0)
	v_cndmask_b32_e32 v2, v11, v17, vcc
	v_lshlrev_b32_e32 v3, 3, v14
	v_cndmask_b32_e32 v1, v16, v18, vcc
	v_add_co_u32_e32 v2, vcc, v2, v3
	v_addc_co_u32_e32 v3, vcc, 0, v1, vcc
	global_store_dwordx2 v[2:3], v[4:5], off
.LBB595_75:
	s_or_b64 exec, exec, s[2:3]
	v_cmp_eq_u32_e32 vcc, 0, v0
	s_and_b64 s[0:1], vcc, s[22:23]
	s_and_saveexec_b64 s[2:3], s[0:1]
	s_cbranch_execz .LBB595_77
; %bb.76:
	v_mov_b32_e32 v0, 0
	global_store_dwordx2 v0, v[12:13], s[20:21]
.LBB595_77:
	s_endpgm
.LBB595_78:
	v_cmp_lt_u32_e32 vcc, v0, v10
	v_cndmask_b32_e32 v20, v11, v17, vcc
	v_cndmask_b32_e32 v21, v16, v18, vcc
	v_add_co_u32_e32 v20, vcc, v20, v1
	v_addc_co_u32_e32 v21, vcc, 0, v21, vcc
	s_waitcnt lgkmcnt(1)
	global_store_dwordx2 v[20:21], v[6:7], off
	s_or_b64 exec, exec, s[0:1]
	v_cmp_gt_u32_e32 vcc, s33, v19
	s_and_saveexec_b64 s[0:1], vcc
	s_cbranch_execz .LBB595_70
.LBB595_79:
	v_cmp_lt_u32_e32 vcc, v19, v10
	s_waitcnt lgkmcnt(1)
	v_cndmask_b32_e32 v6, v11, v17, vcc
	v_cndmask_b32_e32 v7, v16, v18, vcc
	v_add_co_u32_e32 v6, vcc, v6, v1
	v_addc_co_u32_e32 v7, vcc, 0, v7, vcc
	global_store_dwordx2 v[6:7], v[8:9], off offset:1536
	s_or_b64 exec, exec, s[0:1]
	v_cmp_gt_u32_e32 vcc, s33, v15
	s_and_saveexec_b64 s[0:1], vcc
	s_cbranch_execnz .LBB595_71
	s_branch .LBB595_72
	.section	.rodata,"a",@progbits
	.p2align	6, 0x0
	.amdhsa_kernel _ZN7rocprim17ROCPRIM_400000_NS6detail17trampoline_kernelINS0_14default_configENS1_25partition_config_selectorILNS1_17partition_subalgoE1ExNS0_10empty_typeEbEEZZNS1_14partition_implILS5_1ELb0ES3_jN6thrust23THRUST_200600_302600_NS6detail15normal_iteratorINSA_10device_ptrIxEEEEPS6_NSA_18transform_iteratorINSA_8identityIxEESF_NSA_11use_defaultESK_EENS0_5tupleIJSF_SF_EEENSM_IJSG_SG_EEES6_PlJS6_EEE10hipError_tPvRmT3_T4_T5_T6_T7_T9_mT8_P12ihipStream_tbDpT10_ENKUlT_T0_E_clISt17integral_constantIbLb1EES18_IbLb0EEEEDaS14_S15_EUlS14_E_NS1_11comp_targetILNS1_3genE4ELNS1_11target_archE910ELNS1_3gpuE8ELNS1_3repE0EEENS1_30default_config_static_selectorELNS0_4arch9wavefront6targetE1EEEvT1_
		.amdhsa_group_segment_fixed_size 6344
		.amdhsa_private_segment_fixed_size 0
		.amdhsa_kernarg_size 128
		.amdhsa_user_sgpr_count 6
		.amdhsa_user_sgpr_private_segment_buffer 1
		.amdhsa_user_sgpr_dispatch_ptr 0
		.amdhsa_user_sgpr_queue_ptr 0
		.amdhsa_user_sgpr_kernarg_segment_ptr 1
		.amdhsa_user_sgpr_dispatch_id 0
		.amdhsa_user_sgpr_flat_scratch_init 0
		.amdhsa_user_sgpr_kernarg_preload_length 0
		.amdhsa_user_sgpr_kernarg_preload_offset 0
		.amdhsa_user_sgpr_private_segment_size 0
		.amdhsa_uses_dynamic_stack 0
		.amdhsa_system_sgpr_private_segment_wavefront_offset 0
		.amdhsa_system_sgpr_workgroup_id_x 1
		.amdhsa_system_sgpr_workgroup_id_y 0
		.amdhsa_system_sgpr_workgroup_id_z 0
		.amdhsa_system_sgpr_workgroup_info 0
		.amdhsa_system_vgpr_workitem_id 0
		.amdhsa_next_free_vgpr 43
		.amdhsa_next_free_sgpr 44
		.amdhsa_accum_offset 44
		.amdhsa_reserve_vcc 1
		.amdhsa_reserve_flat_scratch 0
		.amdhsa_float_round_mode_32 0
		.amdhsa_float_round_mode_16_64 0
		.amdhsa_float_denorm_mode_32 3
		.amdhsa_float_denorm_mode_16_64 3
		.amdhsa_dx10_clamp 1
		.amdhsa_ieee_mode 1
		.amdhsa_fp16_overflow 0
		.amdhsa_tg_split 0
		.amdhsa_exception_fp_ieee_invalid_op 0
		.amdhsa_exception_fp_denorm_src 0
		.amdhsa_exception_fp_ieee_div_zero 0
		.amdhsa_exception_fp_ieee_overflow 0
		.amdhsa_exception_fp_ieee_underflow 0
		.amdhsa_exception_fp_ieee_inexact 0
		.amdhsa_exception_int_div_zero 0
	.end_amdhsa_kernel
	.section	.text._ZN7rocprim17ROCPRIM_400000_NS6detail17trampoline_kernelINS0_14default_configENS1_25partition_config_selectorILNS1_17partition_subalgoE1ExNS0_10empty_typeEbEEZZNS1_14partition_implILS5_1ELb0ES3_jN6thrust23THRUST_200600_302600_NS6detail15normal_iteratorINSA_10device_ptrIxEEEEPS6_NSA_18transform_iteratorINSA_8identityIxEESF_NSA_11use_defaultESK_EENS0_5tupleIJSF_SF_EEENSM_IJSG_SG_EEES6_PlJS6_EEE10hipError_tPvRmT3_T4_T5_T6_T7_T9_mT8_P12ihipStream_tbDpT10_ENKUlT_T0_E_clISt17integral_constantIbLb1EES18_IbLb0EEEEDaS14_S15_EUlS14_E_NS1_11comp_targetILNS1_3genE4ELNS1_11target_archE910ELNS1_3gpuE8ELNS1_3repE0EEENS1_30default_config_static_selectorELNS0_4arch9wavefront6targetE1EEEvT1_,"axG",@progbits,_ZN7rocprim17ROCPRIM_400000_NS6detail17trampoline_kernelINS0_14default_configENS1_25partition_config_selectorILNS1_17partition_subalgoE1ExNS0_10empty_typeEbEEZZNS1_14partition_implILS5_1ELb0ES3_jN6thrust23THRUST_200600_302600_NS6detail15normal_iteratorINSA_10device_ptrIxEEEEPS6_NSA_18transform_iteratorINSA_8identityIxEESF_NSA_11use_defaultESK_EENS0_5tupleIJSF_SF_EEENSM_IJSG_SG_EEES6_PlJS6_EEE10hipError_tPvRmT3_T4_T5_T6_T7_T9_mT8_P12ihipStream_tbDpT10_ENKUlT_T0_E_clISt17integral_constantIbLb1EES18_IbLb0EEEEDaS14_S15_EUlS14_E_NS1_11comp_targetILNS1_3genE4ELNS1_11target_archE910ELNS1_3gpuE8ELNS1_3repE0EEENS1_30default_config_static_selectorELNS0_4arch9wavefront6targetE1EEEvT1_,comdat
.Lfunc_end595:
	.size	_ZN7rocprim17ROCPRIM_400000_NS6detail17trampoline_kernelINS0_14default_configENS1_25partition_config_selectorILNS1_17partition_subalgoE1ExNS0_10empty_typeEbEEZZNS1_14partition_implILS5_1ELb0ES3_jN6thrust23THRUST_200600_302600_NS6detail15normal_iteratorINSA_10device_ptrIxEEEEPS6_NSA_18transform_iteratorINSA_8identityIxEESF_NSA_11use_defaultESK_EENS0_5tupleIJSF_SF_EEENSM_IJSG_SG_EEES6_PlJS6_EEE10hipError_tPvRmT3_T4_T5_T6_T7_T9_mT8_P12ihipStream_tbDpT10_ENKUlT_T0_E_clISt17integral_constantIbLb1EES18_IbLb0EEEEDaS14_S15_EUlS14_E_NS1_11comp_targetILNS1_3genE4ELNS1_11target_archE910ELNS1_3gpuE8ELNS1_3repE0EEENS1_30default_config_static_selectorELNS0_4arch9wavefront6targetE1EEEvT1_, .Lfunc_end595-_ZN7rocprim17ROCPRIM_400000_NS6detail17trampoline_kernelINS0_14default_configENS1_25partition_config_selectorILNS1_17partition_subalgoE1ExNS0_10empty_typeEbEEZZNS1_14partition_implILS5_1ELb0ES3_jN6thrust23THRUST_200600_302600_NS6detail15normal_iteratorINSA_10device_ptrIxEEEEPS6_NSA_18transform_iteratorINSA_8identityIxEESF_NSA_11use_defaultESK_EENS0_5tupleIJSF_SF_EEENSM_IJSG_SG_EEES6_PlJS6_EEE10hipError_tPvRmT3_T4_T5_T6_T7_T9_mT8_P12ihipStream_tbDpT10_ENKUlT_T0_E_clISt17integral_constantIbLb1EES18_IbLb0EEEEDaS14_S15_EUlS14_E_NS1_11comp_targetILNS1_3genE4ELNS1_11target_archE910ELNS1_3gpuE8ELNS1_3repE0EEENS1_30default_config_static_selectorELNS0_4arch9wavefront6targetE1EEEvT1_
                                        ; -- End function
	.section	.AMDGPU.csdata,"",@progbits
; Kernel info:
; codeLenInByte = 4036
; NumSgprs: 48
; NumVgprs: 43
; NumAgprs: 0
; TotalNumVgprs: 43
; ScratchSize: 0
; MemoryBound: 0
; FloatMode: 240
; IeeeMode: 1
; LDSByteSize: 6344 bytes/workgroup (compile time only)
; SGPRBlocks: 5
; VGPRBlocks: 5
; NumSGPRsForWavesPerEU: 48
; NumVGPRsForWavesPerEU: 43
; AccumOffset: 44
; Occupancy: 8
; WaveLimiterHint : 1
; COMPUTE_PGM_RSRC2:SCRATCH_EN: 0
; COMPUTE_PGM_RSRC2:USER_SGPR: 6
; COMPUTE_PGM_RSRC2:TRAP_HANDLER: 0
; COMPUTE_PGM_RSRC2:TGID_X_EN: 1
; COMPUTE_PGM_RSRC2:TGID_Y_EN: 0
; COMPUTE_PGM_RSRC2:TGID_Z_EN: 0
; COMPUTE_PGM_RSRC2:TIDIG_COMP_CNT: 0
; COMPUTE_PGM_RSRC3_GFX90A:ACCUM_OFFSET: 10
; COMPUTE_PGM_RSRC3_GFX90A:TG_SPLIT: 0
	.section	.text._ZN7rocprim17ROCPRIM_400000_NS6detail17trampoline_kernelINS0_14default_configENS1_25partition_config_selectorILNS1_17partition_subalgoE1ExNS0_10empty_typeEbEEZZNS1_14partition_implILS5_1ELb0ES3_jN6thrust23THRUST_200600_302600_NS6detail15normal_iteratorINSA_10device_ptrIxEEEEPS6_NSA_18transform_iteratorINSA_8identityIxEESF_NSA_11use_defaultESK_EENS0_5tupleIJSF_SF_EEENSM_IJSG_SG_EEES6_PlJS6_EEE10hipError_tPvRmT3_T4_T5_T6_T7_T9_mT8_P12ihipStream_tbDpT10_ENKUlT_T0_E_clISt17integral_constantIbLb1EES18_IbLb0EEEEDaS14_S15_EUlS14_E_NS1_11comp_targetILNS1_3genE3ELNS1_11target_archE908ELNS1_3gpuE7ELNS1_3repE0EEENS1_30default_config_static_selectorELNS0_4arch9wavefront6targetE1EEEvT1_,"axG",@progbits,_ZN7rocprim17ROCPRIM_400000_NS6detail17trampoline_kernelINS0_14default_configENS1_25partition_config_selectorILNS1_17partition_subalgoE1ExNS0_10empty_typeEbEEZZNS1_14partition_implILS5_1ELb0ES3_jN6thrust23THRUST_200600_302600_NS6detail15normal_iteratorINSA_10device_ptrIxEEEEPS6_NSA_18transform_iteratorINSA_8identityIxEESF_NSA_11use_defaultESK_EENS0_5tupleIJSF_SF_EEENSM_IJSG_SG_EEES6_PlJS6_EEE10hipError_tPvRmT3_T4_T5_T6_T7_T9_mT8_P12ihipStream_tbDpT10_ENKUlT_T0_E_clISt17integral_constantIbLb1EES18_IbLb0EEEEDaS14_S15_EUlS14_E_NS1_11comp_targetILNS1_3genE3ELNS1_11target_archE908ELNS1_3gpuE7ELNS1_3repE0EEENS1_30default_config_static_selectorELNS0_4arch9wavefront6targetE1EEEvT1_,comdat
	.protected	_ZN7rocprim17ROCPRIM_400000_NS6detail17trampoline_kernelINS0_14default_configENS1_25partition_config_selectorILNS1_17partition_subalgoE1ExNS0_10empty_typeEbEEZZNS1_14partition_implILS5_1ELb0ES3_jN6thrust23THRUST_200600_302600_NS6detail15normal_iteratorINSA_10device_ptrIxEEEEPS6_NSA_18transform_iteratorINSA_8identityIxEESF_NSA_11use_defaultESK_EENS0_5tupleIJSF_SF_EEENSM_IJSG_SG_EEES6_PlJS6_EEE10hipError_tPvRmT3_T4_T5_T6_T7_T9_mT8_P12ihipStream_tbDpT10_ENKUlT_T0_E_clISt17integral_constantIbLb1EES18_IbLb0EEEEDaS14_S15_EUlS14_E_NS1_11comp_targetILNS1_3genE3ELNS1_11target_archE908ELNS1_3gpuE7ELNS1_3repE0EEENS1_30default_config_static_selectorELNS0_4arch9wavefront6targetE1EEEvT1_ ; -- Begin function _ZN7rocprim17ROCPRIM_400000_NS6detail17trampoline_kernelINS0_14default_configENS1_25partition_config_selectorILNS1_17partition_subalgoE1ExNS0_10empty_typeEbEEZZNS1_14partition_implILS5_1ELb0ES3_jN6thrust23THRUST_200600_302600_NS6detail15normal_iteratorINSA_10device_ptrIxEEEEPS6_NSA_18transform_iteratorINSA_8identityIxEESF_NSA_11use_defaultESK_EENS0_5tupleIJSF_SF_EEENSM_IJSG_SG_EEES6_PlJS6_EEE10hipError_tPvRmT3_T4_T5_T6_T7_T9_mT8_P12ihipStream_tbDpT10_ENKUlT_T0_E_clISt17integral_constantIbLb1EES18_IbLb0EEEEDaS14_S15_EUlS14_E_NS1_11comp_targetILNS1_3genE3ELNS1_11target_archE908ELNS1_3gpuE7ELNS1_3repE0EEENS1_30default_config_static_selectorELNS0_4arch9wavefront6targetE1EEEvT1_
	.globl	_ZN7rocprim17ROCPRIM_400000_NS6detail17trampoline_kernelINS0_14default_configENS1_25partition_config_selectorILNS1_17partition_subalgoE1ExNS0_10empty_typeEbEEZZNS1_14partition_implILS5_1ELb0ES3_jN6thrust23THRUST_200600_302600_NS6detail15normal_iteratorINSA_10device_ptrIxEEEEPS6_NSA_18transform_iteratorINSA_8identityIxEESF_NSA_11use_defaultESK_EENS0_5tupleIJSF_SF_EEENSM_IJSG_SG_EEES6_PlJS6_EEE10hipError_tPvRmT3_T4_T5_T6_T7_T9_mT8_P12ihipStream_tbDpT10_ENKUlT_T0_E_clISt17integral_constantIbLb1EES18_IbLb0EEEEDaS14_S15_EUlS14_E_NS1_11comp_targetILNS1_3genE3ELNS1_11target_archE908ELNS1_3gpuE7ELNS1_3repE0EEENS1_30default_config_static_selectorELNS0_4arch9wavefront6targetE1EEEvT1_
	.p2align	8
	.type	_ZN7rocprim17ROCPRIM_400000_NS6detail17trampoline_kernelINS0_14default_configENS1_25partition_config_selectorILNS1_17partition_subalgoE1ExNS0_10empty_typeEbEEZZNS1_14partition_implILS5_1ELb0ES3_jN6thrust23THRUST_200600_302600_NS6detail15normal_iteratorINSA_10device_ptrIxEEEEPS6_NSA_18transform_iteratorINSA_8identityIxEESF_NSA_11use_defaultESK_EENS0_5tupleIJSF_SF_EEENSM_IJSG_SG_EEES6_PlJS6_EEE10hipError_tPvRmT3_T4_T5_T6_T7_T9_mT8_P12ihipStream_tbDpT10_ENKUlT_T0_E_clISt17integral_constantIbLb1EES18_IbLb0EEEEDaS14_S15_EUlS14_E_NS1_11comp_targetILNS1_3genE3ELNS1_11target_archE908ELNS1_3gpuE7ELNS1_3repE0EEENS1_30default_config_static_selectorELNS0_4arch9wavefront6targetE1EEEvT1_,@function
_ZN7rocprim17ROCPRIM_400000_NS6detail17trampoline_kernelINS0_14default_configENS1_25partition_config_selectorILNS1_17partition_subalgoE1ExNS0_10empty_typeEbEEZZNS1_14partition_implILS5_1ELb0ES3_jN6thrust23THRUST_200600_302600_NS6detail15normal_iteratorINSA_10device_ptrIxEEEEPS6_NSA_18transform_iteratorINSA_8identityIxEESF_NSA_11use_defaultESK_EENS0_5tupleIJSF_SF_EEENSM_IJSG_SG_EEES6_PlJS6_EEE10hipError_tPvRmT3_T4_T5_T6_T7_T9_mT8_P12ihipStream_tbDpT10_ENKUlT_T0_E_clISt17integral_constantIbLb1EES18_IbLb0EEEEDaS14_S15_EUlS14_E_NS1_11comp_targetILNS1_3genE3ELNS1_11target_archE908ELNS1_3gpuE7ELNS1_3repE0EEENS1_30default_config_static_selectorELNS0_4arch9wavefront6targetE1EEEvT1_: ; @_ZN7rocprim17ROCPRIM_400000_NS6detail17trampoline_kernelINS0_14default_configENS1_25partition_config_selectorILNS1_17partition_subalgoE1ExNS0_10empty_typeEbEEZZNS1_14partition_implILS5_1ELb0ES3_jN6thrust23THRUST_200600_302600_NS6detail15normal_iteratorINSA_10device_ptrIxEEEEPS6_NSA_18transform_iteratorINSA_8identityIxEESF_NSA_11use_defaultESK_EENS0_5tupleIJSF_SF_EEENSM_IJSG_SG_EEES6_PlJS6_EEE10hipError_tPvRmT3_T4_T5_T6_T7_T9_mT8_P12ihipStream_tbDpT10_ENKUlT_T0_E_clISt17integral_constantIbLb1EES18_IbLb0EEEEDaS14_S15_EUlS14_E_NS1_11comp_targetILNS1_3genE3ELNS1_11target_archE908ELNS1_3gpuE7ELNS1_3repE0EEENS1_30default_config_static_selectorELNS0_4arch9wavefront6targetE1EEEvT1_
; %bb.0:
	.section	.rodata,"a",@progbits
	.p2align	6, 0x0
	.amdhsa_kernel _ZN7rocprim17ROCPRIM_400000_NS6detail17trampoline_kernelINS0_14default_configENS1_25partition_config_selectorILNS1_17partition_subalgoE1ExNS0_10empty_typeEbEEZZNS1_14partition_implILS5_1ELb0ES3_jN6thrust23THRUST_200600_302600_NS6detail15normal_iteratorINSA_10device_ptrIxEEEEPS6_NSA_18transform_iteratorINSA_8identityIxEESF_NSA_11use_defaultESK_EENS0_5tupleIJSF_SF_EEENSM_IJSG_SG_EEES6_PlJS6_EEE10hipError_tPvRmT3_T4_T5_T6_T7_T9_mT8_P12ihipStream_tbDpT10_ENKUlT_T0_E_clISt17integral_constantIbLb1EES18_IbLb0EEEEDaS14_S15_EUlS14_E_NS1_11comp_targetILNS1_3genE3ELNS1_11target_archE908ELNS1_3gpuE7ELNS1_3repE0EEENS1_30default_config_static_selectorELNS0_4arch9wavefront6targetE1EEEvT1_
		.amdhsa_group_segment_fixed_size 0
		.amdhsa_private_segment_fixed_size 0
		.amdhsa_kernarg_size 128
		.amdhsa_user_sgpr_count 6
		.amdhsa_user_sgpr_private_segment_buffer 1
		.amdhsa_user_sgpr_dispatch_ptr 0
		.amdhsa_user_sgpr_queue_ptr 0
		.amdhsa_user_sgpr_kernarg_segment_ptr 1
		.amdhsa_user_sgpr_dispatch_id 0
		.amdhsa_user_sgpr_flat_scratch_init 0
		.amdhsa_user_sgpr_kernarg_preload_length 0
		.amdhsa_user_sgpr_kernarg_preload_offset 0
		.amdhsa_user_sgpr_private_segment_size 0
		.amdhsa_uses_dynamic_stack 0
		.amdhsa_system_sgpr_private_segment_wavefront_offset 0
		.amdhsa_system_sgpr_workgroup_id_x 1
		.amdhsa_system_sgpr_workgroup_id_y 0
		.amdhsa_system_sgpr_workgroup_id_z 0
		.amdhsa_system_sgpr_workgroup_info 0
		.amdhsa_system_vgpr_workitem_id 0
		.amdhsa_next_free_vgpr 1
		.amdhsa_next_free_sgpr 0
		.amdhsa_accum_offset 4
		.amdhsa_reserve_vcc 0
		.amdhsa_reserve_flat_scratch 0
		.amdhsa_float_round_mode_32 0
		.amdhsa_float_round_mode_16_64 0
		.amdhsa_float_denorm_mode_32 3
		.amdhsa_float_denorm_mode_16_64 3
		.amdhsa_dx10_clamp 1
		.amdhsa_ieee_mode 1
		.amdhsa_fp16_overflow 0
		.amdhsa_tg_split 0
		.amdhsa_exception_fp_ieee_invalid_op 0
		.amdhsa_exception_fp_denorm_src 0
		.amdhsa_exception_fp_ieee_div_zero 0
		.amdhsa_exception_fp_ieee_overflow 0
		.amdhsa_exception_fp_ieee_underflow 0
		.amdhsa_exception_fp_ieee_inexact 0
		.amdhsa_exception_int_div_zero 0
	.end_amdhsa_kernel
	.section	.text._ZN7rocprim17ROCPRIM_400000_NS6detail17trampoline_kernelINS0_14default_configENS1_25partition_config_selectorILNS1_17partition_subalgoE1ExNS0_10empty_typeEbEEZZNS1_14partition_implILS5_1ELb0ES3_jN6thrust23THRUST_200600_302600_NS6detail15normal_iteratorINSA_10device_ptrIxEEEEPS6_NSA_18transform_iteratorINSA_8identityIxEESF_NSA_11use_defaultESK_EENS0_5tupleIJSF_SF_EEENSM_IJSG_SG_EEES6_PlJS6_EEE10hipError_tPvRmT3_T4_T5_T6_T7_T9_mT8_P12ihipStream_tbDpT10_ENKUlT_T0_E_clISt17integral_constantIbLb1EES18_IbLb0EEEEDaS14_S15_EUlS14_E_NS1_11comp_targetILNS1_3genE3ELNS1_11target_archE908ELNS1_3gpuE7ELNS1_3repE0EEENS1_30default_config_static_selectorELNS0_4arch9wavefront6targetE1EEEvT1_,"axG",@progbits,_ZN7rocprim17ROCPRIM_400000_NS6detail17trampoline_kernelINS0_14default_configENS1_25partition_config_selectorILNS1_17partition_subalgoE1ExNS0_10empty_typeEbEEZZNS1_14partition_implILS5_1ELb0ES3_jN6thrust23THRUST_200600_302600_NS6detail15normal_iteratorINSA_10device_ptrIxEEEEPS6_NSA_18transform_iteratorINSA_8identityIxEESF_NSA_11use_defaultESK_EENS0_5tupleIJSF_SF_EEENSM_IJSG_SG_EEES6_PlJS6_EEE10hipError_tPvRmT3_T4_T5_T6_T7_T9_mT8_P12ihipStream_tbDpT10_ENKUlT_T0_E_clISt17integral_constantIbLb1EES18_IbLb0EEEEDaS14_S15_EUlS14_E_NS1_11comp_targetILNS1_3genE3ELNS1_11target_archE908ELNS1_3gpuE7ELNS1_3repE0EEENS1_30default_config_static_selectorELNS0_4arch9wavefront6targetE1EEEvT1_,comdat
.Lfunc_end596:
	.size	_ZN7rocprim17ROCPRIM_400000_NS6detail17trampoline_kernelINS0_14default_configENS1_25partition_config_selectorILNS1_17partition_subalgoE1ExNS0_10empty_typeEbEEZZNS1_14partition_implILS5_1ELb0ES3_jN6thrust23THRUST_200600_302600_NS6detail15normal_iteratorINSA_10device_ptrIxEEEEPS6_NSA_18transform_iteratorINSA_8identityIxEESF_NSA_11use_defaultESK_EENS0_5tupleIJSF_SF_EEENSM_IJSG_SG_EEES6_PlJS6_EEE10hipError_tPvRmT3_T4_T5_T6_T7_T9_mT8_P12ihipStream_tbDpT10_ENKUlT_T0_E_clISt17integral_constantIbLb1EES18_IbLb0EEEEDaS14_S15_EUlS14_E_NS1_11comp_targetILNS1_3genE3ELNS1_11target_archE908ELNS1_3gpuE7ELNS1_3repE0EEENS1_30default_config_static_selectorELNS0_4arch9wavefront6targetE1EEEvT1_, .Lfunc_end596-_ZN7rocprim17ROCPRIM_400000_NS6detail17trampoline_kernelINS0_14default_configENS1_25partition_config_selectorILNS1_17partition_subalgoE1ExNS0_10empty_typeEbEEZZNS1_14partition_implILS5_1ELb0ES3_jN6thrust23THRUST_200600_302600_NS6detail15normal_iteratorINSA_10device_ptrIxEEEEPS6_NSA_18transform_iteratorINSA_8identityIxEESF_NSA_11use_defaultESK_EENS0_5tupleIJSF_SF_EEENSM_IJSG_SG_EEES6_PlJS6_EEE10hipError_tPvRmT3_T4_T5_T6_T7_T9_mT8_P12ihipStream_tbDpT10_ENKUlT_T0_E_clISt17integral_constantIbLb1EES18_IbLb0EEEEDaS14_S15_EUlS14_E_NS1_11comp_targetILNS1_3genE3ELNS1_11target_archE908ELNS1_3gpuE7ELNS1_3repE0EEENS1_30default_config_static_selectorELNS0_4arch9wavefront6targetE1EEEvT1_
                                        ; -- End function
	.section	.AMDGPU.csdata,"",@progbits
; Kernel info:
; codeLenInByte = 0
; NumSgprs: 4
; NumVgprs: 0
; NumAgprs: 0
; TotalNumVgprs: 0
; ScratchSize: 0
; MemoryBound: 0
; FloatMode: 240
; IeeeMode: 1
; LDSByteSize: 0 bytes/workgroup (compile time only)
; SGPRBlocks: 0
; VGPRBlocks: 0
; NumSGPRsForWavesPerEU: 4
; NumVGPRsForWavesPerEU: 1
; AccumOffset: 4
; Occupancy: 8
; WaveLimiterHint : 0
; COMPUTE_PGM_RSRC2:SCRATCH_EN: 0
; COMPUTE_PGM_RSRC2:USER_SGPR: 6
; COMPUTE_PGM_RSRC2:TRAP_HANDLER: 0
; COMPUTE_PGM_RSRC2:TGID_X_EN: 1
; COMPUTE_PGM_RSRC2:TGID_Y_EN: 0
; COMPUTE_PGM_RSRC2:TGID_Z_EN: 0
; COMPUTE_PGM_RSRC2:TIDIG_COMP_CNT: 0
; COMPUTE_PGM_RSRC3_GFX90A:ACCUM_OFFSET: 0
; COMPUTE_PGM_RSRC3_GFX90A:TG_SPLIT: 0
	.section	.text._ZN7rocprim17ROCPRIM_400000_NS6detail17trampoline_kernelINS0_14default_configENS1_25partition_config_selectorILNS1_17partition_subalgoE1ExNS0_10empty_typeEbEEZZNS1_14partition_implILS5_1ELb0ES3_jN6thrust23THRUST_200600_302600_NS6detail15normal_iteratorINSA_10device_ptrIxEEEEPS6_NSA_18transform_iteratorINSA_8identityIxEESF_NSA_11use_defaultESK_EENS0_5tupleIJSF_SF_EEENSM_IJSG_SG_EEES6_PlJS6_EEE10hipError_tPvRmT3_T4_T5_T6_T7_T9_mT8_P12ihipStream_tbDpT10_ENKUlT_T0_E_clISt17integral_constantIbLb1EES18_IbLb0EEEEDaS14_S15_EUlS14_E_NS1_11comp_targetILNS1_3genE2ELNS1_11target_archE906ELNS1_3gpuE6ELNS1_3repE0EEENS1_30default_config_static_selectorELNS0_4arch9wavefront6targetE1EEEvT1_,"axG",@progbits,_ZN7rocprim17ROCPRIM_400000_NS6detail17trampoline_kernelINS0_14default_configENS1_25partition_config_selectorILNS1_17partition_subalgoE1ExNS0_10empty_typeEbEEZZNS1_14partition_implILS5_1ELb0ES3_jN6thrust23THRUST_200600_302600_NS6detail15normal_iteratorINSA_10device_ptrIxEEEEPS6_NSA_18transform_iteratorINSA_8identityIxEESF_NSA_11use_defaultESK_EENS0_5tupleIJSF_SF_EEENSM_IJSG_SG_EEES6_PlJS6_EEE10hipError_tPvRmT3_T4_T5_T6_T7_T9_mT8_P12ihipStream_tbDpT10_ENKUlT_T0_E_clISt17integral_constantIbLb1EES18_IbLb0EEEEDaS14_S15_EUlS14_E_NS1_11comp_targetILNS1_3genE2ELNS1_11target_archE906ELNS1_3gpuE6ELNS1_3repE0EEENS1_30default_config_static_selectorELNS0_4arch9wavefront6targetE1EEEvT1_,comdat
	.protected	_ZN7rocprim17ROCPRIM_400000_NS6detail17trampoline_kernelINS0_14default_configENS1_25partition_config_selectorILNS1_17partition_subalgoE1ExNS0_10empty_typeEbEEZZNS1_14partition_implILS5_1ELb0ES3_jN6thrust23THRUST_200600_302600_NS6detail15normal_iteratorINSA_10device_ptrIxEEEEPS6_NSA_18transform_iteratorINSA_8identityIxEESF_NSA_11use_defaultESK_EENS0_5tupleIJSF_SF_EEENSM_IJSG_SG_EEES6_PlJS6_EEE10hipError_tPvRmT3_T4_T5_T6_T7_T9_mT8_P12ihipStream_tbDpT10_ENKUlT_T0_E_clISt17integral_constantIbLb1EES18_IbLb0EEEEDaS14_S15_EUlS14_E_NS1_11comp_targetILNS1_3genE2ELNS1_11target_archE906ELNS1_3gpuE6ELNS1_3repE0EEENS1_30default_config_static_selectorELNS0_4arch9wavefront6targetE1EEEvT1_ ; -- Begin function _ZN7rocprim17ROCPRIM_400000_NS6detail17trampoline_kernelINS0_14default_configENS1_25partition_config_selectorILNS1_17partition_subalgoE1ExNS0_10empty_typeEbEEZZNS1_14partition_implILS5_1ELb0ES3_jN6thrust23THRUST_200600_302600_NS6detail15normal_iteratorINSA_10device_ptrIxEEEEPS6_NSA_18transform_iteratorINSA_8identityIxEESF_NSA_11use_defaultESK_EENS0_5tupleIJSF_SF_EEENSM_IJSG_SG_EEES6_PlJS6_EEE10hipError_tPvRmT3_T4_T5_T6_T7_T9_mT8_P12ihipStream_tbDpT10_ENKUlT_T0_E_clISt17integral_constantIbLb1EES18_IbLb0EEEEDaS14_S15_EUlS14_E_NS1_11comp_targetILNS1_3genE2ELNS1_11target_archE906ELNS1_3gpuE6ELNS1_3repE0EEENS1_30default_config_static_selectorELNS0_4arch9wavefront6targetE1EEEvT1_
	.globl	_ZN7rocprim17ROCPRIM_400000_NS6detail17trampoline_kernelINS0_14default_configENS1_25partition_config_selectorILNS1_17partition_subalgoE1ExNS0_10empty_typeEbEEZZNS1_14partition_implILS5_1ELb0ES3_jN6thrust23THRUST_200600_302600_NS6detail15normal_iteratorINSA_10device_ptrIxEEEEPS6_NSA_18transform_iteratorINSA_8identityIxEESF_NSA_11use_defaultESK_EENS0_5tupleIJSF_SF_EEENSM_IJSG_SG_EEES6_PlJS6_EEE10hipError_tPvRmT3_T4_T5_T6_T7_T9_mT8_P12ihipStream_tbDpT10_ENKUlT_T0_E_clISt17integral_constantIbLb1EES18_IbLb0EEEEDaS14_S15_EUlS14_E_NS1_11comp_targetILNS1_3genE2ELNS1_11target_archE906ELNS1_3gpuE6ELNS1_3repE0EEENS1_30default_config_static_selectorELNS0_4arch9wavefront6targetE1EEEvT1_
	.p2align	8
	.type	_ZN7rocprim17ROCPRIM_400000_NS6detail17trampoline_kernelINS0_14default_configENS1_25partition_config_selectorILNS1_17partition_subalgoE1ExNS0_10empty_typeEbEEZZNS1_14partition_implILS5_1ELb0ES3_jN6thrust23THRUST_200600_302600_NS6detail15normal_iteratorINSA_10device_ptrIxEEEEPS6_NSA_18transform_iteratorINSA_8identityIxEESF_NSA_11use_defaultESK_EENS0_5tupleIJSF_SF_EEENSM_IJSG_SG_EEES6_PlJS6_EEE10hipError_tPvRmT3_T4_T5_T6_T7_T9_mT8_P12ihipStream_tbDpT10_ENKUlT_T0_E_clISt17integral_constantIbLb1EES18_IbLb0EEEEDaS14_S15_EUlS14_E_NS1_11comp_targetILNS1_3genE2ELNS1_11target_archE906ELNS1_3gpuE6ELNS1_3repE0EEENS1_30default_config_static_selectorELNS0_4arch9wavefront6targetE1EEEvT1_,@function
_ZN7rocprim17ROCPRIM_400000_NS6detail17trampoline_kernelINS0_14default_configENS1_25partition_config_selectorILNS1_17partition_subalgoE1ExNS0_10empty_typeEbEEZZNS1_14partition_implILS5_1ELb0ES3_jN6thrust23THRUST_200600_302600_NS6detail15normal_iteratorINSA_10device_ptrIxEEEEPS6_NSA_18transform_iteratorINSA_8identityIxEESF_NSA_11use_defaultESK_EENS0_5tupleIJSF_SF_EEENSM_IJSG_SG_EEES6_PlJS6_EEE10hipError_tPvRmT3_T4_T5_T6_T7_T9_mT8_P12ihipStream_tbDpT10_ENKUlT_T0_E_clISt17integral_constantIbLb1EES18_IbLb0EEEEDaS14_S15_EUlS14_E_NS1_11comp_targetILNS1_3genE2ELNS1_11target_archE906ELNS1_3gpuE6ELNS1_3repE0EEENS1_30default_config_static_selectorELNS0_4arch9wavefront6targetE1EEEvT1_: ; @_ZN7rocprim17ROCPRIM_400000_NS6detail17trampoline_kernelINS0_14default_configENS1_25partition_config_selectorILNS1_17partition_subalgoE1ExNS0_10empty_typeEbEEZZNS1_14partition_implILS5_1ELb0ES3_jN6thrust23THRUST_200600_302600_NS6detail15normal_iteratorINSA_10device_ptrIxEEEEPS6_NSA_18transform_iteratorINSA_8identityIxEESF_NSA_11use_defaultESK_EENS0_5tupleIJSF_SF_EEENSM_IJSG_SG_EEES6_PlJS6_EEE10hipError_tPvRmT3_T4_T5_T6_T7_T9_mT8_P12ihipStream_tbDpT10_ENKUlT_T0_E_clISt17integral_constantIbLb1EES18_IbLb0EEEEDaS14_S15_EUlS14_E_NS1_11comp_targetILNS1_3genE2ELNS1_11target_archE906ELNS1_3gpuE6ELNS1_3repE0EEENS1_30default_config_static_selectorELNS0_4arch9wavefront6targetE1EEEvT1_
; %bb.0:
	.section	.rodata,"a",@progbits
	.p2align	6, 0x0
	.amdhsa_kernel _ZN7rocprim17ROCPRIM_400000_NS6detail17trampoline_kernelINS0_14default_configENS1_25partition_config_selectorILNS1_17partition_subalgoE1ExNS0_10empty_typeEbEEZZNS1_14partition_implILS5_1ELb0ES3_jN6thrust23THRUST_200600_302600_NS6detail15normal_iteratorINSA_10device_ptrIxEEEEPS6_NSA_18transform_iteratorINSA_8identityIxEESF_NSA_11use_defaultESK_EENS0_5tupleIJSF_SF_EEENSM_IJSG_SG_EEES6_PlJS6_EEE10hipError_tPvRmT3_T4_T5_T6_T7_T9_mT8_P12ihipStream_tbDpT10_ENKUlT_T0_E_clISt17integral_constantIbLb1EES18_IbLb0EEEEDaS14_S15_EUlS14_E_NS1_11comp_targetILNS1_3genE2ELNS1_11target_archE906ELNS1_3gpuE6ELNS1_3repE0EEENS1_30default_config_static_selectorELNS0_4arch9wavefront6targetE1EEEvT1_
		.amdhsa_group_segment_fixed_size 0
		.amdhsa_private_segment_fixed_size 0
		.amdhsa_kernarg_size 128
		.amdhsa_user_sgpr_count 6
		.amdhsa_user_sgpr_private_segment_buffer 1
		.amdhsa_user_sgpr_dispatch_ptr 0
		.amdhsa_user_sgpr_queue_ptr 0
		.amdhsa_user_sgpr_kernarg_segment_ptr 1
		.amdhsa_user_sgpr_dispatch_id 0
		.amdhsa_user_sgpr_flat_scratch_init 0
		.amdhsa_user_sgpr_kernarg_preload_length 0
		.amdhsa_user_sgpr_kernarg_preload_offset 0
		.amdhsa_user_sgpr_private_segment_size 0
		.amdhsa_uses_dynamic_stack 0
		.amdhsa_system_sgpr_private_segment_wavefront_offset 0
		.amdhsa_system_sgpr_workgroup_id_x 1
		.amdhsa_system_sgpr_workgroup_id_y 0
		.amdhsa_system_sgpr_workgroup_id_z 0
		.amdhsa_system_sgpr_workgroup_info 0
		.amdhsa_system_vgpr_workitem_id 0
		.amdhsa_next_free_vgpr 1
		.amdhsa_next_free_sgpr 0
		.amdhsa_accum_offset 4
		.amdhsa_reserve_vcc 0
		.amdhsa_reserve_flat_scratch 0
		.amdhsa_float_round_mode_32 0
		.amdhsa_float_round_mode_16_64 0
		.amdhsa_float_denorm_mode_32 3
		.amdhsa_float_denorm_mode_16_64 3
		.amdhsa_dx10_clamp 1
		.amdhsa_ieee_mode 1
		.amdhsa_fp16_overflow 0
		.amdhsa_tg_split 0
		.amdhsa_exception_fp_ieee_invalid_op 0
		.amdhsa_exception_fp_denorm_src 0
		.amdhsa_exception_fp_ieee_div_zero 0
		.amdhsa_exception_fp_ieee_overflow 0
		.amdhsa_exception_fp_ieee_underflow 0
		.amdhsa_exception_fp_ieee_inexact 0
		.amdhsa_exception_int_div_zero 0
	.end_amdhsa_kernel
	.section	.text._ZN7rocprim17ROCPRIM_400000_NS6detail17trampoline_kernelINS0_14default_configENS1_25partition_config_selectorILNS1_17partition_subalgoE1ExNS0_10empty_typeEbEEZZNS1_14partition_implILS5_1ELb0ES3_jN6thrust23THRUST_200600_302600_NS6detail15normal_iteratorINSA_10device_ptrIxEEEEPS6_NSA_18transform_iteratorINSA_8identityIxEESF_NSA_11use_defaultESK_EENS0_5tupleIJSF_SF_EEENSM_IJSG_SG_EEES6_PlJS6_EEE10hipError_tPvRmT3_T4_T5_T6_T7_T9_mT8_P12ihipStream_tbDpT10_ENKUlT_T0_E_clISt17integral_constantIbLb1EES18_IbLb0EEEEDaS14_S15_EUlS14_E_NS1_11comp_targetILNS1_3genE2ELNS1_11target_archE906ELNS1_3gpuE6ELNS1_3repE0EEENS1_30default_config_static_selectorELNS0_4arch9wavefront6targetE1EEEvT1_,"axG",@progbits,_ZN7rocprim17ROCPRIM_400000_NS6detail17trampoline_kernelINS0_14default_configENS1_25partition_config_selectorILNS1_17partition_subalgoE1ExNS0_10empty_typeEbEEZZNS1_14partition_implILS5_1ELb0ES3_jN6thrust23THRUST_200600_302600_NS6detail15normal_iteratorINSA_10device_ptrIxEEEEPS6_NSA_18transform_iteratorINSA_8identityIxEESF_NSA_11use_defaultESK_EENS0_5tupleIJSF_SF_EEENSM_IJSG_SG_EEES6_PlJS6_EEE10hipError_tPvRmT3_T4_T5_T6_T7_T9_mT8_P12ihipStream_tbDpT10_ENKUlT_T0_E_clISt17integral_constantIbLb1EES18_IbLb0EEEEDaS14_S15_EUlS14_E_NS1_11comp_targetILNS1_3genE2ELNS1_11target_archE906ELNS1_3gpuE6ELNS1_3repE0EEENS1_30default_config_static_selectorELNS0_4arch9wavefront6targetE1EEEvT1_,comdat
.Lfunc_end597:
	.size	_ZN7rocprim17ROCPRIM_400000_NS6detail17trampoline_kernelINS0_14default_configENS1_25partition_config_selectorILNS1_17partition_subalgoE1ExNS0_10empty_typeEbEEZZNS1_14partition_implILS5_1ELb0ES3_jN6thrust23THRUST_200600_302600_NS6detail15normal_iteratorINSA_10device_ptrIxEEEEPS6_NSA_18transform_iteratorINSA_8identityIxEESF_NSA_11use_defaultESK_EENS0_5tupleIJSF_SF_EEENSM_IJSG_SG_EEES6_PlJS6_EEE10hipError_tPvRmT3_T4_T5_T6_T7_T9_mT8_P12ihipStream_tbDpT10_ENKUlT_T0_E_clISt17integral_constantIbLb1EES18_IbLb0EEEEDaS14_S15_EUlS14_E_NS1_11comp_targetILNS1_3genE2ELNS1_11target_archE906ELNS1_3gpuE6ELNS1_3repE0EEENS1_30default_config_static_selectorELNS0_4arch9wavefront6targetE1EEEvT1_, .Lfunc_end597-_ZN7rocprim17ROCPRIM_400000_NS6detail17trampoline_kernelINS0_14default_configENS1_25partition_config_selectorILNS1_17partition_subalgoE1ExNS0_10empty_typeEbEEZZNS1_14partition_implILS5_1ELb0ES3_jN6thrust23THRUST_200600_302600_NS6detail15normal_iteratorINSA_10device_ptrIxEEEEPS6_NSA_18transform_iteratorINSA_8identityIxEESF_NSA_11use_defaultESK_EENS0_5tupleIJSF_SF_EEENSM_IJSG_SG_EEES6_PlJS6_EEE10hipError_tPvRmT3_T4_T5_T6_T7_T9_mT8_P12ihipStream_tbDpT10_ENKUlT_T0_E_clISt17integral_constantIbLb1EES18_IbLb0EEEEDaS14_S15_EUlS14_E_NS1_11comp_targetILNS1_3genE2ELNS1_11target_archE906ELNS1_3gpuE6ELNS1_3repE0EEENS1_30default_config_static_selectorELNS0_4arch9wavefront6targetE1EEEvT1_
                                        ; -- End function
	.section	.AMDGPU.csdata,"",@progbits
; Kernel info:
; codeLenInByte = 0
; NumSgprs: 4
; NumVgprs: 0
; NumAgprs: 0
; TotalNumVgprs: 0
; ScratchSize: 0
; MemoryBound: 0
; FloatMode: 240
; IeeeMode: 1
; LDSByteSize: 0 bytes/workgroup (compile time only)
; SGPRBlocks: 0
; VGPRBlocks: 0
; NumSGPRsForWavesPerEU: 4
; NumVGPRsForWavesPerEU: 1
; AccumOffset: 4
; Occupancy: 8
; WaveLimiterHint : 0
; COMPUTE_PGM_RSRC2:SCRATCH_EN: 0
; COMPUTE_PGM_RSRC2:USER_SGPR: 6
; COMPUTE_PGM_RSRC2:TRAP_HANDLER: 0
; COMPUTE_PGM_RSRC2:TGID_X_EN: 1
; COMPUTE_PGM_RSRC2:TGID_Y_EN: 0
; COMPUTE_PGM_RSRC2:TGID_Z_EN: 0
; COMPUTE_PGM_RSRC2:TIDIG_COMP_CNT: 0
; COMPUTE_PGM_RSRC3_GFX90A:ACCUM_OFFSET: 0
; COMPUTE_PGM_RSRC3_GFX90A:TG_SPLIT: 0
	.section	.text._ZN7rocprim17ROCPRIM_400000_NS6detail17trampoline_kernelINS0_14default_configENS1_25partition_config_selectorILNS1_17partition_subalgoE1ExNS0_10empty_typeEbEEZZNS1_14partition_implILS5_1ELb0ES3_jN6thrust23THRUST_200600_302600_NS6detail15normal_iteratorINSA_10device_ptrIxEEEEPS6_NSA_18transform_iteratorINSA_8identityIxEESF_NSA_11use_defaultESK_EENS0_5tupleIJSF_SF_EEENSM_IJSG_SG_EEES6_PlJS6_EEE10hipError_tPvRmT3_T4_T5_T6_T7_T9_mT8_P12ihipStream_tbDpT10_ENKUlT_T0_E_clISt17integral_constantIbLb1EES18_IbLb0EEEEDaS14_S15_EUlS14_E_NS1_11comp_targetILNS1_3genE10ELNS1_11target_archE1200ELNS1_3gpuE4ELNS1_3repE0EEENS1_30default_config_static_selectorELNS0_4arch9wavefront6targetE1EEEvT1_,"axG",@progbits,_ZN7rocprim17ROCPRIM_400000_NS6detail17trampoline_kernelINS0_14default_configENS1_25partition_config_selectorILNS1_17partition_subalgoE1ExNS0_10empty_typeEbEEZZNS1_14partition_implILS5_1ELb0ES3_jN6thrust23THRUST_200600_302600_NS6detail15normal_iteratorINSA_10device_ptrIxEEEEPS6_NSA_18transform_iteratorINSA_8identityIxEESF_NSA_11use_defaultESK_EENS0_5tupleIJSF_SF_EEENSM_IJSG_SG_EEES6_PlJS6_EEE10hipError_tPvRmT3_T4_T5_T6_T7_T9_mT8_P12ihipStream_tbDpT10_ENKUlT_T0_E_clISt17integral_constantIbLb1EES18_IbLb0EEEEDaS14_S15_EUlS14_E_NS1_11comp_targetILNS1_3genE10ELNS1_11target_archE1200ELNS1_3gpuE4ELNS1_3repE0EEENS1_30default_config_static_selectorELNS0_4arch9wavefront6targetE1EEEvT1_,comdat
	.protected	_ZN7rocprim17ROCPRIM_400000_NS6detail17trampoline_kernelINS0_14default_configENS1_25partition_config_selectorILNS1_17partition_subalgoE1ExNS0_10empty_typeEbEEZZNS1_14partition_implILS5_1ELb0ES3_jN6thrust23THRUST_200600_302600_NS6detail15normal_iteratorINSA_10device_ptrIxEEEEPS6_NSA_18transform_iteratorINSA_8identityIxEESF_NSA_11use_defaultESK_EENS0_5tupleIJSF_SF_EEENSM_IJSG_SG_EEES6_PlJS6_EEE10hipError_tPvRmT3_T4_T5_T6_T7_T9_mT8_P12ihipStream_tbDpT10_ENKUlT_T0_E_clISt17integral_constantIbLb1EES18_IbLb0EEEEDaS14_S15_EUlS14_E_NS1_11comp_targetILNS1_3genE10ELNS1_11target_archE1200ELNS1_3gpuE4ELNS1_3repE0EEENS1_30default_config_static_selectorELNS0_4arch9wavefront6targetE1EEEvT1_ ; -- Begin function _ZN7rocprim17ROCPRIM_400000_NS6detail17trampoline_kernelINS0_14default_configENS1_25partition_config_selectorILNS1_17partition_subalgoE1ExNS0_10empty_typeEbEEZZNS1_14partition_implILS5_1ELb0ES3_jN6thrust23THRUST_200600_302600_NS6detail15normal_iteratorINSA_10device_ptrIxEEEEPS6_NSA_18transform_iteratorINSA_8identityIxEESF_NSA_11use_defaultESK_EENS0_5tupleIJSF_SF_EEENSM_IJSG_SG_EEES6_PlJS6_EEE10hipError_tPvRmT3_T4_T5_T6_T7_T9_mT8_P12ihipStream_tbDpT10_ENKUlT_T0_E_clISt17integral_constantIbLb1EES18_IbLb0EEEEDaS14_S15_EUlS14_E_NS1_11comp_targetILNS1_3genE10ELNS1_11target_archE1200ELNS1_3gpuE4ELNS1_3repE0EEENS1_30default_config_static_selectorELNS0_4arch9wavefront6targetE1EEEvT1_
	.globl	_ZN7rocprim17ROCPRIM_400000_NS6detail17trampoline_kernelINS0_14default_configENS1_25partition_config_selectorILNS1_17partition_subalgoE1ExNS0_10empty_typeEbEEZZNS1_14partition_implILS5_1ELb0ES3_jN6thrust23THRUST_200600_302600_NS6detail15normal_iteratorINSA_10device_ptrIxEEEEPS6_NSA_18transform_iteratorINSA_8identityIxEESF_NSA_11use_defaultESK_EENS0_5tupleIJSF_SF_EEENSM_IJSG_SG_EEES6_PlJS6_EEE10hipError_tPvRmT3_T4_T5_T6_T7_T9_mT8_P12ihipStream_tbDpT10_ENKUlT_T0_E_clISt17integral_constantIbLb1EES18_IbLb0EEEEDaS14_S15_EUlS14_E_NS1_11comp_targetILNS1_3genE10ELNS1_11target_archE1200ELNS1_3gpuE4ELNS1_3repE0EEENS1_30default_config_static_selectorELNS0_4arch9wavefront6targetE1EEEvT1_
	.p2align	8
	.type	_ZN7rocprim17ROCPRIM_400000_NS6detail17trampoline_kernelINS0_14default_configENS1_25partition_config_selectorILNS1_17partition_subalgoE1ExNS0_10empty_typeEbEEZZNS1_14partition_implILS5_1ELb0ES3_jN6thrust23THRUST_200600_302600_NS6detail15normal_iteratorINSA_10device_ptrIxEEEEPS6_NSA_18transform_iteratorINSA_8identityIxEESF_NSA_11use_defaultESK_EENS0_5tupleIJSF_SF_EEENSM_IJSG_SG_EEES6_PlJS6_EEE10hipError_tPvRmT3_T4_T5_T6_T7_T9_mT8_P12ihipStream_tbDpT10_ENKUlT_T0_E_clISt17integral_constantIbLb1EES18_IbLb0EEEEDaS14_S15_EUlS14_E_NS1_11comp_targetILNS1_3genE10ELNS1_11target_archE1200ELNS1_3gpuE4ELNS1_3repE0EEENS1_30default_config_static_selectorELNS0_4arch9wavefront6targetE1EEEvT1_,@function
_ZN7rocprim17ROCPRIM_400000_NS6detail17trampoline_kernelINS0_14default_configENS1_25partition_config_selectorILNS1_17partition_subalgoE1ExNS0_10empty_typeEbEEZZNS1_14partition_implILS5_1ELb0ES3_jN6thrust23THRUST_200600_302600_NS6detail15normal_iteratorINSA_10device_ptrIxEEEEPS6_NSA_18transform_iteratorINSA_8identityIxEESF_NSA_11use_defaultESK_EENS0_5tupleIJSF_SF_EEENSM_IJSG_SG_EEES6_PlJS6_EEE10hipError_tPvRmT3_T4_T5_T6_T7_T9_mT8_P12ihipStream_tbDpT10_ENKUlT_T0_E_clISt17integral_constantIbLb1EES18_IbLb0EEEEDaS14_S15_EUlS14_E_NS1_11comp_targetILNS1_3genE10ELNS1_11target_archE1200ELNS1_3gpuE4ELNS1_3repE0EEENS1_30default_config_static_selectorELNS0_4arch9wavefront6targetE1EEEvT1_: ; @_ZN7rocprim17ROCPRIM_400000_NS6detail17trampoline_kernelINS0_14default_configENS1_25partition_config_selectorILNS1_17partition_subalgoE1ExNS0_10empty_typeEbEEZZNS1_14partition_implILS5_1ELb0ES3_jN6thrust23THRUST_200600_302600_NS6detail15normal_iteratorINSA_10device_ptrIxEEEEPS6_NSA_18transform_iteratorINSA_8identityIxEESF_NSA_11use_defaultESK_EENS0_5tupleIJSF_SF_EEENSM_IJSG_SG_EEES6_PlJS6_EEE10hipError_tPvRmT3_T4_T5_T6_T7_T9_mT8_P12ihipStream_tbDpT10_ENKUlT_T0_E_clISt17integral_constantIbLb1EES18_IbLb0EEEEDaS14_S15_EUlS14_E_NS1_11comp_targetILNS1_3genE10ELNS1_11target_archE1200ELNS1_3gpuE4ELNS1_3repE0EEENS1_30default_config_static_selectorELNS0_4arch9wavefront6targetE1EEEvT1_
; %bb.0:
	.section	.rodata,"a",@progbits
	.p2align	6, 0x0
	.amdhsa_kernel _ZN7rocprim17ROCPRIM_400000_NS6detail17trampoline_kernelINS0_14default_configENS1_25partition_config_selectorILNS1_17partition_subalgoE1ExNS0_10empty_typeEbEEZZNS1_14partition_implILS5_1ELb0ES3_jN6thrust23THRUST_200600_302600_NS6detail15normal_iteratorINSA_10device_ptrIxEEEEPS6_NSA_18transform_iteratorINSA_8identityIxEESF_NSA_11use_defaultESK_EENS0_5tupleIJSF_SF_EEENSM_IJSG_SG_EEES6_PlJS6_EEE10hipError_tPvRmT3_T4_T5_T6_T7_T9_mT8_P12ihipStream_tbDpT10_ENKUlT_T0_E_clISt17integral_constantIbLb1EES18_IbLb0EEEEDaS14_S15_EUlS14_E_NS1_11comp_targetILNS1_3genE10ELNS1_11target_archE1200ELNS1_3gpuE4ELNS1_3repE0EEENS1_30default_config_static_selectorELNS0_4arch9wavefront6targetE1EEEvT1_
		.amdhsa_group_segment_fixed_size 0
		.amdhsa_private_segment_fixed_size 0
		.amdhsa_kernarg_size 128
		.amdhsa_user_sgpr_count 6
		.amdhsa_user_sgpr_private_segment_buffer 1
		.amdhsa_user_sgpr_dispatch_ptr 0
		.amdhsa_user_sgpr_queue_ptr 0
		.amdhsa_user_sgpr_kernarg_segment_ptr 1
		.amdhsa_user_sgpr_dispatch_id 0
		.amdhsa_user_sgpr_flat_scratch_init 0
		.amdhsa_user_sgpr_kernarg_preload_length 0
		.amdhsa_user_sgpr_kernarg_preload_offset 0
		.amdhsa_user_sgpr_private_segment_size 0
		.amdhsa_uses_dynamic_stack 0
		.amdhsa_system_sgpr_private_segment_wavefront_offset 0
		.amdhsa_system_sgpr_workgroup_id_x 1
		.amdhsa_system_sgpr_workgroup_id_y 0
		.amdhsa_system_sgpr_workgroup_id_z 0
		.amdhsa_system_sgpr_workgroup_info 0
		.amdhsa_system_vgpr_workitem_id 0
		.amdhsa_next_free_vgpr 1
		.amdhsa_next_free_sgpr 0
		.amdhsa_accum_offset 4
		.amdhsa_reserve_vcc 0
		.amdhsa_reserve_flat_scratch 0
		.amdhsa_float_round_mode_32 0
		.amdhsa_float_round_mode_16_64 0
		.amdhsa_float_denorm_mode_32 3
		.amdhsa_float_denorm_mode_16_64 3
		.amdhsa_dx10_clamp 1
		.amdhsa_ieee_mode 1
		.amdhsa_fp16_overflow 0
		.amdhsa_tg_split 0
		.amdhsa_exception_fp_ieee_invalid_op 0
		.amdhsa_exception_fp_denorm_src 0
		.amdhsa_exception_fp_ieee_div_zero 0
		.amdhsa_exception_fp_ieee_overflow 0
		.amdhsa_exception_fp_ieee_underflow 0
		.amdhsa_exception_fp_ieee_inexact 0
		.amdhsa_exception_int_div_zero 0
	.end_amdhsa_kernel
	.section	.text._ZN7rocprim17ROCPRIM_400000_NS6detail17trampoline_kernelINS0_14default_configENS1_25partition_config_selectorILNS1_17partition_subalgoE1ExNS0_10empty_typeEbEEZZNS1_14partition_implILS5_1ELb0ES3_jN6thrust23THRUST_200600_302600_NS6detail15normal_iteratorINSA_10device_ptrIxEEEEPS6_NSA_18transform_iteratorINSA_8identityIxEESF_NSA_11use_defaultESK_EENS0_5tupleIJSF_SF_EEENSM_IJSG_SG_EEES6_PlJS6_EEE10hipError_tPvRmT3_T4_T5_T6_T7_T9_mT8_P12ihipStream_tbDpT10_ENKUlT_T0_E_clISt17integral_constantIbLb1EES18_IbLb0EEEEDaS14_S15_EUlS14_E_NS1_11comp_targetILNS1_3genE10ELNS1_11target_archE1200ELNS1_3gpuE4ELNS1_3repE0EEENS1_30default_config_static_selectorELNS0_4arch9wavefront6targetE1EEEvT1_,"axG",@progbits,_ZN7rocprim17ROCPRIM_400000_NS6detail17trampoline_kernelINS0_14default_configENS1_25partition_config_selectorILNS1_17partition_subalgoE1ExNS0_10empty_typeEbEEZZNS1_14partition_implILS5_1ELb0ES3_jN6thrust23THRUST_200600_302600_NS6detail15normal_iteratorINSA_10device_ptrIxEEEEPS6_NSA_18transform_iteratorINSA_8identityIxEESF_NSA_11use_defaultESK_EENS0_5tupleIJSF_SF_EEENSM_IJSG_SG_EEES6_PlJS6_EEE10hipError_tPvRmT3_T4_T5_T6_T7_T9_mT8_P12ihipStream_tbDpT10_ENKUlT_T0_E_clISt17integral_constantIbLb1EES18_IbLb0EEEEDaS14_S15_EUlS14_E_NS1_11comp_targetILNS1_3genE10ELNS1_11target_archE1200ELNS1_3gpuE4ELNS1_3repE0EEENS1_30default_config_static_selectorELNS0_4arch9wavefront6targetE1EEEvT1_,comdat
.Lfunc_end598:
	.size	_ZN7rocprim17ROCPRIM_400000_NS6detail17trampoline_kernelINS0_14default_configENS1_25partition_config_selectorILNS1_17partition_subalgoE1ExNS0_10empty_typeEbEEZZNS1_14partition_implILS5_1ELb0ES3_jN6thrust23THRUST_200600_302600_NS6detail15normal_iteratorINSA_10device_ptrIxEEEEPS6_NSA_18transform_iteratorINSA_8identityIxEESF_NSA_11use_defaultESK_EENS0_5tupleIJSF_SF_EEENSM_IJSG_SG_EEES6_PlJS6_EEE10hipError_tPvRmT3_T4_T5_T6_T7_T9_mT8_P12ihipStream_tbDpT10_ENKUlT_T0_E_clISt17integral_constantIbLb1EES18_IbLb0EEEEDaS14_S15_EUlS14_E_NS1_11comp_targetILNS1_3genE10ELNS1_11target_archE1200ELNS1_3gpuE4ELNS1_3repE0EEENS1_30default_config_static_selectorELNS0_4arch9wavefront6targetE1EEEvT1_, .Lfunc_end598-_ZN7rocprim17ROCPRIM_400000_NS6detail17trampoline_kernelINS0_14default_configENS1_25partition_config_selectorILNS1_17partition_subalgoE1ExNS0_10empty_typeEbEEZZNS1_14partition_implILS5_1ELb0ES3_jN6thrust23THRUST_200600_302600_NS6detail15normal_iteratorINSA_10device_ptrIxEEEEPS6_NSA_18transform_iteratorINSA_8identityIxEESF_NSA_11use_defaultESK_EENS0_5tupleIJSF_SF_EEENSM_IJSG_SG_EEES6_PlJS6_EEE10hipError_tPvRmT3_T4_T5_T6_T7_T9_mT8_P12ihipStream_tbDpT10_ENKUlT_T0_E_clISt17integral_constantIbLb1EES18_IbLb0EEEEDaS14_S15_EUlS14_E_NS1_11comp_targetILNS1_3genE10ELNS1_11target_archE1200ELNS1_3gpuE4ELNS1_3repE0EEENS1_30default_config_static_selectorELNS0_4arch9wavefront6targetE1EEEvT1_
                                        ; -- End function
	.section	.AMDGPU.csdata,"",@progbits
; Kernel info:
; codeLenInByte = 0
; NumSgprs: 4
; NumVgprs: 0
; NumAgprs: 0
; TotalNumVgprs: 0
; ScratchSize: 0
; MemoryBound: 0
; FloatMode: 240
; IeeeMode: 1
; LDSByteSize: 0 bytes/workgroup (compile time only)
; SGPRBlocks: 0
; VGPRBlocks: 0
; NumSGPRsForWavesPerEU: 4
; NumVGPRsForWavesPerEU: 1
; AccumOffset: 4
; Occupancy: 8
; WaveLimiterHint : 0
; COMPUTE_PGM_RSRC2:SCRATCH_EN: 0
; COMPUTE_PGM_RSRC2:USER_SGPR: 6
; COMPUTE_PGM_RSRC2:TRAP_HANDLER: 0
; COMPUTE_PGM_RSRC2:TGID_X_EN: 1
; COMPUTE_PGM_RSRC2:TGID_Y_EN: 0
; COMPUTE_PGM_RSRC2:TGID_Z_EN: 0
; COMPUTE_PGM_RSRC2:TIDIG_COMP_CNT: 0
; COMPUTE_PGM_RSRC3_GFX90A:ACCUM_OFFSET: 0
; COMPUTE_PGM_RSRC3_GFX90A:TG_SPLIT: 0
	.section	.text._ZN7rocprim17ROCPRIM_400000_NS6detail17trampoline_kernelINS0_14default_configENS1_25partition_config_selectorILNS1_17partition_subalgoE1ExNS0_10empty_typeEbEEZZNS1_14partition_implILS5_1ELb0ES3_jN6thrust23THRUST_200600_302600_NS6detail15normal_iteratorINSA_10device_ptrIxEEEEPS6_NSA_18transform_iteratorINSA_8identityIxEESF_NSA_11use_defaultESK_EENS0_5tupleIJSF_SF_EEENSM_IJSG_SG_EEES6_PlJS6_EEE10hipError_tPvRmT3_T4_T5_T6_T7_T9_mT8_P12ihipStream_tbDpT10_ENKUlT_T0_E_clISt17integral_constantIbLb1EES18_IbLb0EEEEDaS14_S15_EUlS14_E_NS1_11comp_targetILNS1_3genE9ELNS1_11target_archE1100ELNS1_3gpuE3ELNS1_3repE0EEENS1_30default_config_static_selectorELNS0_4arch9wavefront6targetE1EEEvT1_,"axG",@progbits,_ZN7rocprim17ROCPRIM_400000_NS6detail17trampoline_kernelINS0_14default_configENS1_25partition_config_selectorILNS1_17partition_subalgoE1ExNS0_10empty_typeEbEEZZNS1_14partition_implILS5_1ELb0ES3_jN6thrust23THRUST_200600_302600_NS6detail15normal_iteratorINSA_10device_ptrIxEEEEPS6_NSA_18transform_iteratorINSA_8identityIxEESF_NSA_11use_defaultESK_EENS0_5tupleIJSF_SF_EEENSM_IJSG_SG_EEES6_PlJS6_EEE10hipError_tPvRmT3_T4_T5_T6_T7_T9_mT8_P12ihipStream_tbDpT10_ENKUlT_T0_E_clISt17integral_constantIbLb1EES18_IbLb0EEEEDaS14_S15_EUlS14_E_NS1_11comp_targetILNS1_3genE9ELNS1_11target_archE1100ELNS1_3gpuE3ELNS1_3repE0EEENS1_30default_config_static_selectorELNS0_4arch9wavefront6targetE1EEEvT1_,comdat
	.protected	_ZN7rocprim17ROCPRIM_400000_NS6detail17trampoline_kernelINS0_14default_configENS1_25partition_config_selectorILNS1_17partition_subalgoE1ExNS0_10empty_typeEbEEZZNS1_14partition_implILS5_1ELb0ES3_jN6thrust23THRUST_200600_302600_NS6detail15normal_iteratorINSA_10device_ptrIxEEEEPS6_NSA_18transform_iteratorINSA_8identityIxEESF_NSA_11use_defaultESK_EENS0_5tupleIJSF_SF_EEENSM_IJSG_SG_EEES6_PlJS6_EEE10hipError_tPvRmT3_T4_T5_T6_T7_T9_mT8_P12ihipStream_tbDpT10_ENKUlT_T0_E_clISt17integral_constantIbLb1EES18_IbLb0EEEEDaS14_S15_EUlS14_E_NS1_11comp_targetILNS1_3genE9ELNS1_11target_archE1100ELNS1_3gpuE3ELNS1_3repE0EEENS1_30default_config_static_selectorELNS0_4arch9wavefront6targetE1EEEvT1_ ; -- Begin function _ZN7rocprim17ROCPRIM_400000_NS6detail17trampoline_kernelINS0_14default_configENS1_25partition_config_selectorILNS1_17partition_subalgoE1ExNS0_10empty_typeEbEEZZNS1_14partition_implILS5_1ELb0ES3_jN6thrust23THRUST_200600_302600_NS6detail15normal_iteratorINSA_10device_ptrIxEEEEPS6_NSA_18transform_iteratorINSA_8identityIxEESF_NSA_11use_defaultESK_EENS0_5tupleIJSF_SF_EEENSM_IJSG_SG_EEES6_PlJS6_EEE10hipError_tPvRmT3_T4_T5_T6_T7_T9_mT8_P12ihipStream_tbDpT10_ENKUlT_T0_E_clISt17integral_constantIbLb1EES18_IbLb0EEEEDaS14_S15_EUlS14_E_NS1_11comp_targetILNS1_3genE9ELNS1_11target_archE1100ELNS1_3gpuE3ELNS1_3repE0EEENS1_30default_config_static_selectorELNS0_4arch9wavefront6targetE1EEEvT1_
	.globl	_ZN7rocprim17ROCPRIM_400000_NS6detail17trampoline_kernelINS0_14default_configENS1_25partition_config_selectorILNS1_17partition_subalgoE1ExNS0_10empty_typeEbEEZZNS1_14partition_implILS5_1ELb0ES3_jN6thrust23THRUST_200600_302600_NS6detail15normal_iteratorINSA_10device_ptrIxEEEEPS6_NSA_18transform_iteratorINSA_8identityIxEESF_NSA_11use_defaultESK_EENS0_5tupleIJSF_SF_EEENSM_IJSG_SG_EEES6_PlJS6_EEE10hipError_tPvRmT3_T4_T5_T6_T7_T9_mT8_P12ihipStream_tbDpT10_ENKUlT_T0_E_clISt17integral_constantIbLb1EES18_IbLb0EEEEDaS14_S15_EUlS14_E_NS1_11comp_targetILNS1_3genE9ELNS1_11target_archE1100ELNS1_3gpuE3ELNS1_3repE0EEENS1_30default_config_static_selectorELNS0_4arch9wavefront6targetE1EEEvT1_
	.p2align	8
	.type	_ZN7rocprim17ROCPRIM_400000_NS6detail17trampoline_kernelINS0_14default_configENS1_25partition_config_selectorILNS1_17partition_subalgoE1ExNS0_10empty_typeEbEEZZNS1_14partition_implILS5_1ELb0ES3_jN6thrust23THRUST_200600_302600_NS6detail15normal_iteratorINSA_10device_ptrIxEEEEPS6_NSA_18transform_iteratorINSA_8identityIxEESF_NSA_11use_defaultESK_EENS0_5tupleIJSF_SF_EEENSM_IJSG_SG_EEES6_PlJS6_EEE10hipError_tPvRmT3_T4_T5_T6_T7_T9_mT8_P12ihipStream_tbDpT10_ENKUlT_T0_E_clISt17integral_constantIbLb1EES18_IbLb0EEEEDaS14_S15_EUlS14_E_NS1_11comp_targetILNS1_3genE9ELNS1_11target_archE1100ELNS1_3gpuE3ELNS1_3repE0EEENS1_30default_config_static_selectorELNS0_4arch9wavefront6targetE1EEEvT1_,@function
_ZN7rocprim17ROCPRIM_400000_NS6detail17trampoline_kernelINS0_14default_configENS1_25partition_config_selectorILNS1_17partition_subalgoE1ExNS0_10empty_typeEbEEZZNS1_14partition_implILS5_1ELb0ES3_jN6thrust23THRUST_200600_302600_NS6detail15normal_iteratorINSA_10device_ptrIxEEEEPS6_NSA_18transform_iteratorINSA_8identityIxEESF_NSA_11use_defaultESK_EENS0_5tupleIJSF_SF_EEENSM_IJSG_SG_EEES6_PlJS6_EEE10hipError_tPvRmT3_T4_T5_T6_T7_T9_mT8_P12ihipStream_tbDpT10_ENKUlT_T0_E_clISt17integral_constantIbLb1EES18_IbLb0EEEEDaS14_S15_EUlS14_E_NS1_11comp_targetILNS1_3genE9ELNS1_11target_archE1100ELNS1_3gpuE3ELNS1_3repE0EEENS1_30default_config_static_selectorELNS0_4arch9wavefront6targetE1EEEvT1_: ; @_ZN7rocprim17ROCPRIM_400000_NS6detail17trampoline_kernelINS0_14default_configENS1_25partition_config_selectorILNS1_17partition_subalgoE1ExNS0_10empty_typeEbEEZZNS1_14partition_implILS5_1ELb0ES3_jN6thrust23THRUST_200600_302600_NS6detail15normal_iteratorINSA_10device_ptrIxEEEEPS6_NSA_18transform_iteratorINSA_8identityIxEESF_NSA_11use_defaultESK_EENS0_5tupleIJSF_SF_EEENSM_IJSG_SG_EEES6_PlJS6_EEE10hipError_tPvRmT3_T4_T5_T6_T7_T9_mT8_P12ihipStream_tbDpT10_ENKUlT_T0_E_clISt17integral_constantIbLb1EES18_IbLb0EEEEDaS14_S15_EUlS14_E_NS1_11comp_targetILNS1_3genE9ELNS1_11target_archE1100ELNS1_3gpuE3ELNS1_3repE0EEENS1_30default_config_static_selectorELNS0_4arch9wavefront6targetE1EEEvT1_
; %bb.0:
	.section	.rodata,"a",@progbits
	.p2align	6, 0x0
	.amdhsa_kernel _ZN7rocprim17ROCPRIM_400000_NS6detail17trampoline_kernelINS0_14default_configENS1_25partition_config_selectorILNS1_17partition_subalgoE1ExNS0_10empty_typeEbEEZZNS1_14partition_implILS5_1ELb0ES3_jN6thrust23THRUST_200600_302600_NS6detail15normal_iteratorINSA_10device_ptrIxEEEEPS6_NSA_18transform_iteratorINSA_8identityIxEESF_NSA_11use_defaultESK_EENS0_5tupleIJSF_SF_EEENSM_IJSG_SG_EEES6_PlJS6_EEE10hipError_tPvRmT3_T4_T5_T6_T7_T9_mT8_P12ihipStream_tbDpT10_ENKUlT_T0_E_clISt17integral_constantIbLb1EES18_IbLb0EEEEDaS14_S15_EUlS14_E_NS1_11comp_targetILNS1_3genE9ELNS1_11target_archE1100ELNS1_3gpuE3ELNS1_3repE0EEENS1_30default_config_static_selectorELNS0_4arch9wavefront6targetE1EEEvT1_
		.amdhsa_group_segment_fixed_size 0
		.amdhsa_private_segment_fixed_size 0
		.amdhsa_kernarg_size 128
		.amdhsa_user_sgpr_count 6
		.amdhsa_user_sgpr_private_segment_buffer 1
		.amdhsa_user_sgpr_dispatch_ptr 0
		.amdhsa_user_sgpr_queue_ptr 0
		.amdhsa_user_sgpr_kernarg_segment_ptr 1
		.amdhsa_user_sgpr_dispatch_id 0
		.amdhsa_user_sgpr_flat_scratch_init 0
		.amdhsa_user_sgpr_kernarg_preload_length 0
		.amdhsa_user_sgpr_kernarg_preload_offset 0
		.amdhsa_user_sgpr_private_segment_size 0
		.amdhsa_uses_dynamic_stack 0
		.amdhsa_system_sgpr_private_segment_wavefront_offset 0
		.amdhsa_system_sgpr_workgroup_id_x 1
		.amdhsa_system_sgpr_workgroup_id_y 0
		.amdhsa_system_sgpr_workgroup_id_z 0
		.amdhsa_system_sgpr_workgroup_info 0
		.amdhsa_system_vgpr_workitem_id 0
		.amdhsa_next_free_vgpr 1
		.amdhsa_next_free_sgpr 0
		.amdhsa_accum_offset 4
		.amdhsa_reserve_vcc 0
		.amdhsa_reserve_flat_scratch 0
		.amdhsa_float_round_mode_32 0
		.amdhsa_float_round_mode_16_64 0
		.amdhsa_float_denorm_mode_32 3
		.amdhsa_float_denorm_mode_16_64 3
		.amdhsa_dx10_clamp 1
		.amdhsa_ieee_mode 1
		.amdhsa_fp16_overflow 0
		.amdhsa_tg_split 0
		.amdhsa_exception_fp_ieee_invalid_op 0
		.amdhsa_exception_fp_denorm_src 0
		.amdhsa_exception_fp_ieee_div_zero 0
		.amdhsa_exception_fp_ieee_overflow 0
		.amdhsa_exception_fp_ieee_underflow 0
		.amdhsa_exception_fp_ieee_inexact 0
		.amdhsa_exception_int_div_zero 0
	.end_amdhsa_kernel
	.section	.text._ZN7rocprim17ROCPRIM_400000_NS6detail17trampoline_kernelINS0_14default_configENS1_25partition_config_selectorILNS1_17partition_subalgoE1ExNS0_10empty_typeEbEEZZNS1_14partition_implILS5_1ELb0ES3_jN6thrust23THRUST_200600_302600_NS6detail15normal_iteratorINSA_10device_ptrIxEEEEPS6_NSA_18transform_iteratorINSA_8identityIxEESF_NSA_11use_defaultESK_EENS0_5tupleIJSF_SF_EEENSM_IJSG_SG_EEES6_PlJS6_EEE10hipError_tPvRmT3_T4_T5_T6_T7_T9_mT8_P12ihipStream_tbDpT10_ENKUlT_T0_E_clISt17integral_constantIbLb1EES18_IbLb0EEEEDaS14_S15_EUlS14_E_NS1_11comp_targetILNS1_3genE9ELNS1_11target_archE1100ELNS1_3gpuE3ELNS1_3repE0EEENS1_30default_config_static_selectorELNS0_4arch9wavefront6targetE1EEEvT1_,"axG",@progbits,_ZN7rocprim17ROCPRIM_400000_NS6detail17trampoline_kernelINS0_14default_configENS1_25partition_config_selectorILNS1_17partition_subalgoE1ExNS0_10empty_typeEbEEZZNS1_14partition_implILS5_1ELb0ES3_jN6thrust23THRUST_200600_302600_NS6detail15normal_iteratorINSA_10device_ptrIxEEEEPS6_NSA_18transform_iteratorINSA_8identityIxEESF_NSA_11use_defaultESK_EENS0_5tupleIJSF_SF_EEENSM_IJSG_SG_EEES6_PlJS6_EEE10hipError_tPvRmT3_T4_T5_T6_T7_T9_mT8_P12ihipStream_tbDpT10_ENKUlT_T0_E_clISt17integral_constantIbLb1EES18_IbLb0EEEEDaS14_S15_EUlS14_E_NS1_11comp_targetILNS1_3genE9ELNS1_11target_archE1100ELNS1_3gpuE3ELNS1_3repE0EEENS1_30default_config_static_selectorELNS0_4arch9wavefront6targetE1EEEvT1_,comdat
.Lfunc_end599:
	.size	_ZN7rocprim17ROCPRIM_400000_NS6detail17trampoline_kernelINS0_14default_configENS1_25partition_config_selectorILNS1_17partition_subalgoE1ExNS0_10empty_typeEbEEZZNS1_14partition_implILS5_1ELb0ES3_jN6thrust23THRUST_200600_302600_NS6detail15normal_iteratorINSA_10device_ptrIxEEEEPS6_NSA_18transform_iteratorINSA_8identityIxEESF_NSA_11use_defaultESK_EENS0_5tupleIJSF_SF_EEENSM_IJSG_SG_EEES6_PlJS6_EEE10hipError_tPvRmT3_T4_T5_T6_T7_T9_mT8_P12ihipStream_tbDpT10_ENKUlT_T0_E_clISt17integral_constantIbLb1EES18_IbLb0EEEEDaS14_S15_EUlS14_E_NS1_11comp_targetILNS1_3genE9ELNS1_11target_archE1100ELNS1_3gpuE3ELNS1_3repE0EEENS1_30default_config_static_selectorELNS0_4arch9wavefront6targetE1EEEvT1_, .Lfunc_end599-_ZN7rocprim17ROCPRIM_400000_NS6detail17trampoline_kernelINS0_14default_configENS1_25partition_config_selectorILNS1_17partition_subalgoE1ExNS0_10empty_typeEbEEZZNS1_14partition_implILS5_1ELb0ES3_jN6thrust23THRUST_200600_302600_NS6detail15normal_iteratorINSA_10device_ptrIxEEEEPS6_NSA_18transform_iteratorINSA_8identityIxEESF_NSA_11use_defaultESK_EENS0_5tupleIJSF_SF_EEENSM_IJSG_SG_EEES6_PlJS6_EEE10hipError_tPvRmT3_T4_T5_T6_T7_T9_mT8_P12ihipStream_tbDpT10_ENKUlT_T0_E_clISt17integral_constantIbLb1EES18_IbLb0EEEEDaS14_S15_EUlS14_E_NS1_11comp_targetILNS1_3genE9ELNS1_11target_archE1100ELNS1_3gpuE3ELNS1_3repE0EEENS1_30default_config_static_selectorELNS0_4arch9wavefront6targetE1EEEvT1_
                                        ; -- End function
	.section	.AMDGPU.csdata,"",@progbits
; Kernel info:
; codeLenInByte = 0
; NumSgprs: 4
; NumVgprs: 0
; NumAgprs: 0
; TotalNumVgprs: 0
; ScratchSize: 0
; MemoryBound: 0
; FloatMode: 240
; IeeeMode: 1
; LDSByteSize: 0 bytes/workgroup (compile time only)
; SGPRBlocks: 0
; VGPRBlocks: 0
; NumSGPRsForWavesPerEU: 4
; NumVGPRsForWavesPerEU: 1
; AccumOffset: 4
; Occupancy: 8
; WaveLimiterHint : 0
; COMPUTE_PGM_RSRC2:SCRATCH_EN: 0
; COMPUTE_PGM_RSRC2:USER_SGPR: 6
; COMPUTE_PGM_RSRC2:TRAP_HANDLER: 0
; COMPUTE_PGM_RSRC2:TGID_X_EN: 1
; COMPUTE_PGM_RSRC2:TGID_Y_EN: 0
; COMPUTE_PGM_RSRC2:TGID_Z_EN: 0
; COMPUTE_PGM_RSRC2:TIDIG_COMP_CNT: 0
; COMPUTE_PGM_RSRC3_GFX90A:ACCUM_OFFSET: 0
; COMPUTE_PGM_RSRC3_GFX90A:TG_SPLIT: 0
	.section	.text._ZN7rocprim17ROCPRIM_400000_NS6detail17trampoline_kernelINS0_14default_configENS1_25partition_config_selectorILNS1_17partition_subalgoE1ExNS0_10empty_typeEbEEZZNS1_14partition_implILS5_1ELb0ES3_jN6thrust23THRUST_200600_302600_NS6detail15normal_iteratorINSA_10device_ptrIxEEEEPS6_NSA_18transform_iteratorINSA_8identityIxEESF_NSA_11use_defaultESK_EENS0_5tupleIJSF_SF_EEENSM_IJSG_SG_EEES6_PlJS6_EEE10hipError_tPvRmT3_T4_T5_T6_T7_T9_mT8_P12ihipStream_tbDpT10_ENKUlT_T0_E_clISt17integral_constantIbLb1EES18_IbLb0EEEEDaS14_S15_EUlS14_E_NS1_11comp_targetILNS1_3genE8ELNS1_11target_archE1030ELNS1_3gpuE2ELNS1_3repE0EEENS1_30default_config_static_selectorELNS0_4arch9wavefront6targetE1EEEvT1_,"axG",@progbits,_ZN7rocprim17ROCPRIM_400000_NS6detail17trampoline_kernelINS0_14default_configENS1_25partition_config_selectorILNS1_17partition_subalgoE1ExNS0_10empty_typeEbEEZZNS1_14partition_implILS5_1ELb0ES3_jN6thrust23THRUST_200600_302600_NS6detail15normal_iteratorINSA_10device_ptrIxEEEEPS6_NSA_18transform_iteratorINSA_8identityIxEESF_NSA_11use_defaultESK_EENS0_5tupleIJSF_SF_EEENSM_IJSG_SG_EEES6_PlJS6_EEE10hipError_tPvRmT3_T4_T5_T6_T7_T9_mT8_P12ihipStream_tbDpT10_ENKUlT_T0_E_clISt17integral_constantIbLb1EES18_IbLb0EEEEDaS14_S15_EUlS14_E_NS1_11comp_targetILNS1_3genE8ELNS1_11target_archE1030ELNS1_3gpuE2ELNS1_3repE0EEENS1_30default_config_static_selectorELNS0_4arch9wavefront6targetE1EEEvT1_,comdat
	.protected	_ZN7rocprim17ROCPRIM_400000_NS6detail17trampoline_kernelINS0_14default_configENS1_25partition_config_selectorILNS1_17partition_subalgoE1ExNS0_10empty_typeEbEEZZNS1_14partition_implILS5_1ELb0ES3_jN6thrust23THRUST_200600_302600_NS6detail15normal_iteratorINSA_10device_ptrIxEEEEPS6_NSA_18transform_iteratorINSA_8identityIxEESF_NSA_11use_defaultESK_EENS0_5tupleIJSF_SF_EEENSM_IJSG_SG_EEES6_PlJS6_EEE10hipError_tPvRmT3_T4_T5_T6_T7_T9_mT8_P12ihipStream_tbDpT10_ENKUlT_T0_E_clISt17integral_constantIbLb1EES18_IbLb0EEEEDaS14_S15_EUlS14_E_NS1_11comp_targetILNS1_3genE8ELNS1_11target_archE1030ELNS1_3gpuE2ELNS1_3repE0EEENS1_30default_config_static_selectorELNS0_4arch9wavefront6targetE1EEEvT1_ ; -- Begin function _ZN7rocprim17ROCPRIM_400000_NS6detail17trampoline_kernelINS0_14default_configENS1_25partition_config_selectorILNS1_17partition_subalgoE1ExNS0_10empty_typeEbEEZZNS1_14partition_implILS5_1ELb0ES3_jN6thrust23THRUST_200600_302600_NS6detail15normal_iteratorINSA_10device_ptrIxEEEEPS6_NSA_18transform_iteratorINSA_8identityIxEESF_NSA_11use_defaultESK_EENS0_5tupleIJSF_SF_EEENSM_IJSG_SG_EEES6_PlJS6_EEE10hipError_tPvRmT3_T4_T5_T6_T7_T9_mT8_P12ihipStream_tbDpT10_ENKUlT_T0_E_clISt17integral_constantIbLb1EES18_IbLb0EEEEDaS14_S15_EUlS14_E_NS1_11comp_targetILNS1_3genE8ELNS1_11target_archE1030ELNS1_3gpuE2ELNS1_3repE0EEENS1_30default_config_static_selectorELNS0_4arch9wavefront6targetE1EEEvT1_
	.globl	_ZN7rocprim17ROCPRIM_400000_NS6detail17trampoline_kernelINS0_14default_configENS1_25partition_config_selectorILNS1_17partition_subalgoE1ExNS0_10empty_typeEbEEZZNS1_14partition_implILS5_1ELb0ES3_jN6thrust23THRUST_200600_302600_NS6detail15normal_iteratorINSA_10device_ptrIxEEEEPS6_NSA_18transform_iteratorINSA_8identityIxEESF_NSA_11use_defaultESK_EENS0_5tupleIJSF_SF_EEENSM_IJSG_SG_EEES6_PlJS6_EEE10hipError_tPvRmT3_T4_T5_T6_T7_T9_mT8_P12ihipStream_tbDpT10_ENKUlT_T0_E_clISt17integral_constantIbLb1EES18_IbLb0EEEEDaS14_S15_EUlS14_E_NS1_11comp_targetILNS1_3genE8ELNS1_11target_archE1030ELNS1_3gpuE2ELNS1_3repE0EEENS1_30default_config_static_selectorELNS0_4arch9wavefront6targetE1EEEvT1_
	.p2align	8
	.type	_ZN7rocprim17ROCPRIM_400000_NS6detail17trampoline_kernelINS0_14default_configENS1_25partition_config_selectorILNS1_17partition_subalgoE1ExNS0_10empty_typeEbEEZZNS1_14partition_implILS5_1ELb0ES3_jN6thrust23THRUST_200600_302600_NS6detail15normal_iteratorINSA_10device_ptrIxEEEEPS6_NSA_18transform_iteratorINSA_8identityIxEESF_NSA_11use_defaultESK_EENS0_5tupleIJSF_SF_EEENSM_IJSG_SG_EEES6_PlJS6_EEE10hipError_tPvRmT3_T4_T5_T6_T7_T9_mT8_P12ihipStream_tbDpT10_ENKUlT_T0_E_clISt17integral_constantIbLb1EES18_IbLb0EEEEDaS14_S15_EUlS14_E_NS1_11comp_targetILNS1_3genE8ELNS1_11target_archE1030ELNS1_3gpuE2ELNS1_3repE0EEENS1_30default_config_static_selectorELNS0_4arch9wavefront6targetE1EEEvT1_,@function
_ZN7rocprim17ROCPRIM_400000_NS6detail17trampoline_kernelINS0_14default_configENS1_25partition_config_selectorILNS1_17partition_subalgoE1ExNS0_10empty_typeEbEEZZNS1_14partition_implILS5_1ELb0ES3_jN6thrust23THRUST_200600_302600_NS6detail15normal_iteratorINSA_10device_ptrIxEEEEPS6_NSA_18transform_iteratorINSA_8identityIxEESF_NSA_11use_defaultESK_EENS0_5tupleIJSF_SF_EEENSM_IJSG_SG_EEES6_PlJS6_EEE10hipError_tPvRmT3_T4_T5_T6_T7_T9_mT8_P12ihipStream_tbDpT10_ENKUlT_T0_E_clISt17integral_constantIbLb1EES18_IbLb0EEEEDaS14_S15_EUlS14_E_NS1_11comp_targetILNS1_3genE8ELNS1_11target_archE1030ELNS1_3gpuE2ELNS1_3repE0EEENS1_30default_config_static_selectorELNS0_4arch9wavefront6targetE1EEEvT1_: ; @_ZN7rocprim17ROCPRIM_400000_NS6detail17trampoline_kernelINS0_14default_configENS1_25partition_config_selectorILNS1_17partition_subalgoE1ExNS0_10empty_typeEbEEZZNS1_14partition_implILS5_1ELb0ES3_jN6thrust23THRUST_200600_302600_NS6detail15normal_iteratorINSA_10device_ptrIxEEEEPS6_NSA_18transform_iteratorINSA_8identityIxEESF_NSA_11use_defaultESK_EENS0_5tupleIJSF_SF_EEENSM_IJSG_SG_EEES6_PlJS6_EEE10hipError_tPvRmT3_T4_T5_T6_T7_T9_mT8_P12ihipStream_tbDpT10_ENKUlT_T0_E_clISt17integral_constantIbLb1EES18_IbLb0EEEEDaS14_S15_EUlS14_E_NS1_11comp_targetILNS1_3genE8ELNS1_11target_archE1030ELNS1_3gpuE2ELNS1_3repE0EEENS1_30default_config_static_selectorELNS0_4arch9wavefront6targetE1EEEvT1_
; %bb.0:
	.section	.rodata,"a",@progbits
	.p2align	6, 0x0
	.amdhsa_kernel _ZN7rocprim17ROCPRIM_400000_NS6detail17trampoline_kernelINS0_14default_configENS1_25partition_config_selectorILNS1_17partition_subalgoE1ExNS0_10empty_typeEbEEZZNS1_14partition_implILS5_1ELb0ES3_jN6thrust23THRUST_200600_302600_NS6detail15normal_iteratorINSA_10device_ptrIxEEEEPS6_NSA_18transform_iteratorINSA_8identityIxEESF_NSA_11use_defaultESK_EENS0_5tupleIJSF_SF_EEENSM_IJSG_SG_EEES6_PlJS6_EEE10hipError_tPvRmT3_T4_T5_T6_T7_T9_mT8_P12ihipStream_tbDpT10_ENKUlT_T0_E_clISt17integral_constantIbLb1EES18_IbLb0EEEEDaS14_S15_EUlS14_E_NS1_11comp_targetILNS1_3genE8ELNS1_11target_archE1030ELNS1_3gpuE2ELNS1_3repE0EEENS1_30default_config_static_selectorELNS0_4arch9wavefront6targetE1EEEvT1_
		.amdhsa_group_segment_fixed_size 0
		.amdhsa_private_segment_fixed_size 0
		.amdhsa_kernarg_size 128
		.amdhsa_user_sgpr_count 6
		.amdhsa_user_sgpr_private_segment_buffer 1
		.amdhsa_user_sgpr_dispatch_ptr 0
		.amdhsa_user_sgpr_queue_ptr 0
		.amdhsa_user_sgpr_kernarg_segment_ptr 1
		.amdhsa_user_sgpr_dispatch_id 0
		.amdhsa_user_sgpr_flat_scratch_init 0
		.amdhsa_user_sgpr_kernarg_preload_length 0
		.amdhsa_user_sgpr_kernarg_preload_offset 0
		.amdhsa_user_sgpr_private_segment_size 0
		.amdhsa_uses_dynamic_stack 0
		.amdhsa_system_sgpr_private_segment_wavefront_offset 0
		.amdhsa_system_sgpr_workgroup_id_x 1
		.amdhsa_system_sgpr_workgroup_id_y 0
		.amdhsa_system_sgpr_workgroup_id_z 0
		.amdhsa_system_sgpr_workgroup_info 0
		.amdhsa_system_vgpr_workitem_id 0
		.amdhsa_next_free_vgpr 1
		.amdhsa_next_free_sgpr 0
		.amdhsa_accum_offset 4
		.amdhsa_reserve_vcc 0
		.amdhsa_reserve_flat_scratch 0
		.amdhsa_float_round_mode_32 0
		.amdhsa_float_round_mode_16_64 0
		.amdhsa_float_denorm_mode_32 3
		.amdhsa_float_denorm_mode_16_64 3
		.amdhsa_dx10_clamp 1
		.amdhsa_ieee_mode 1
		.amdhsa_fp16_overflow 0
		.amdhsa_tg_split 0
		.amdhsa_exception_fp_ieee_invalid_op 0
		.amdhsa_exception_fp_denorm_src 0
		.amdhsa_exception_fp_ieee_div_zero 0
		.amdhsa_exception_fp_ieee_overflow 0
		.amdhsa_exception_fp_ieee_underflow 0
		.amdhsa_exception_fp_ieee_inexact 0
		.amdhsa_exception_int_div_zero 0
	.end_amdhsa_kernel
	.section	.text._ZN7rocprim17ROCPRIM_400000_NS6detail17trampoline_kernelINS0_14default_configENS1_25partition_config_selectorILNS1_17partition_subalgoE1ExNS0_10empty_typeEbEEZZNS1_14partition_implILS5_1ELb0ES3_jN6thrust23THRUST_200600_302600_NS6detail15normal_iteratorINSA_10device_ptrIxEEEEPS6_NSA_18transform_iteratorINSA_8identityIxEESF_NSA_11use_defaultESK_EENS0_5tupleIJSF_SF_EEENSM_IJSG_SG_EEES6_PlJS6_EEE10hipError_tPvRmT3_T4_T5_T6_T7_T9_mT8_P12ihipStream_tbDpT10_ENKUlT_T0_E_clISt17integral_constantIbLb1EES18_IbLb0EEEEDaS14_S15_EUlS14_E_NS1_11comp_targetILNS1_3genE8ELNS1_11target_archE1030ELNS1_3gpuE2ELNS1_3repE0EEENS1_30default_config_static_selectorELNS0_4arch9wavefront6targetE1EEEvT1_,"axG",@progbits,_ZN7rocprim17ROCPRIM_400000_NS6detail17trampoline_kernelINS0_14default_configENS1_25partition_config_selectorILNS1_17partition_subalgoE1ExNS0_10empty_typeEbEEZZNS1_14partition_implILS5_1ELb0ES3_jN6thrust23THRUST_200600_302600_NS6detail15normal_iteratorINSA_10device_ptrIxEEEEPS6_NSA_18transform_iteratorINSA_8identityIxEESF_NSA_11use_defaultESK_EENS0_5tupleIJSF_SF_EEENSM_IJSG_SG_EEES6_PlJS6_EEE10hipError_tPvRmT3_T4_T5_T6_T7_T9_mT8_P12ihipStream_tbDpT10_ENKUlT_T0_E_clISt17integral_constantIbLb1EES18_IbLb0EEEEDaS14_S15_EUlS14_E_NS1_11comp_targetILNS1_3genE8ELNS1_11target_archE1030ELNS1_3gpuE2ELNS1_3repE0EEENS1_30default_config_static_selectorELNS0_4arch9wavefront6targetE1EEEvT1_,comdat
.Lfunc_end600:
	.size	_ZN7rocprim17ROCPRIM_400000_NS6detail17trampoline_kernelINS0_14default_configENS1_25partition_config_selectorILNS1_17partition_subalgoE1ExNS0_10empty_typeEbEEZZNS1_14partition_implILS5_1ELb0ES3_jN6thrust23THRUST_200600_302600_NS6detail15normal_iteratorINSA_10device_ptrIxEEEEPS6_NSA_18transform_iteratorINSA_8identityIxEESF_NSA_11use_defaultESK_EENS0_5tupleIJSF_SF_EEENSM_IJSG_SG_EEES6_PlJS6_EEE10hipError_tPvRmT3_T4_T5_T6_T7_T9_mT8_P12ihipStream_tbDpT10_ENKUlT_T0_E_clISt17integral_constantIbLb1EES18_IbLb0EEEEDaS14_S15_EUlS14_E_NS1_11comp_targetILNS1_3genE8ELNS1_11target_archE1030ELNS1_3gpuE2ELNS1_3repE0EEENS1_30default_config_static_selectorELNS0_4arch9wavefront6targetE1EEEvT1_, .Lfunc_end600-_ZN7rocprim17ROCPRIM_400000_NS6detail17trampoline_kernelINS0_14default_configENS1_25partition_config_selectorILNS1_17partition_subalgoE1ExNS0_10empty_typeEbEEZZNS1_14partition_implILS5_1ELb0ES3_jN6thrust23THRUST_200600_302600_NS6detail15normal_iteratorINSA_10device_ptrIxEEEEPS6_NSA_18transform_iteratorINSA_8identityIxEESF_NSA_11use_defaultESK_EENS0_5tupleIJSF_SF_EEENSM_IJSG_SG_EEES6_PlJS6_EEE10hipError_tPvRmT3_T4_T5_T6_T7_T9_mT8_P12ihipStream_tbDpT10_ENKUlT_T0_E_clISt17integral_constantIbLb1EES18_IbLb0EEEEDaS14_S15_EUlS14_E_NS1_11comp_targetILNS1_3genE8ELNS1_11target_archE1030ELNS1_3gpuE2ELNS1_3repE0EEENS1_30default_config_static_selectorELNS0_4arch9wavefront6targetE1EEEvT1_
                                        ; -- End function
	.section	.AMDGPU.csdata,"",@progbits
; Kernel info:
; codeLenInByte = 0
; NumSgprs: 4
; NumVgprs: 0
; NumAgprs: 0
; TotalNumVgprs: 0
; ScratchSize: 0
; MemoryBound: 0
; FloatMode: 240
; IeeeMode: 1
; LDSByteSize: 0 bytes/workgroup (compile time only)
; SGPRBlocks: 0
; VGPRBlocks: 0
; NumSGPRsForWavesPerEU: 4
; NumVGPRsForWavesPerEU: 1
; AccumOffset: 4
; Occupancy: 8
; WaveLimiterHint : 0
; COMPUTE_PGM_RSRC2:SCRATCH_EN: 0
; COMPUTE_PGM_RSRC2:USER_SGPR: 6
; COMPUTE_PGM_RSRC2:TRAP_HANDLER: 0
; COMPUTE_PGM_RSRC2:TGID_X_EN: 1
; COMPUTE_PGM_RSRC2:TGID_Y_EN: 0
; COMPUTE_PGM_RSRC2:TGID_Z_EN: 0
; COMPUTE_PGM_RSRC2:TIDIG_COMP_CNT: 0
; COMPUTE_PGM_RSRC3_GFX90A:ACCUM_OFFSET: 0
; COMPUTE_PGM_RSRC3_GFX90A:TG_SPLIT: 0
	.section	.text._ZN7rocprim17ROCPRIM_400000_NS6detail17trampoline_kernelINS0_14default_configENS1_25partition_config_selectorILNS1_17partition_subalgoE1ExNS0_10empty_typeEbEEZZNS1_14partition_implILS5_1ELb0ES3_jN6thrust23THRUST_200600_302600_NS6detail15normal_iteratorINSA_10device_ptrIxEEEEPS6_NSA_18transform_iteratorINSA_8identityIxEESF_NSA_11use_defaultESK_EENS0_5tupleIJSF_SF_EEENSM_IJSG_SG_EEES6_PlJS6_EEE10hipError_tPvRmT3_T4_T5_T6_T7_T9_mT8_P12ihipStream_tbDpT10_ENKUlT_T0_E_clISt17integral_constantIbLb0EES18_IbLb1EEEEDaS14_S15_EUlS14_E_NS1_11comp_targetILNS1_3genE0ELNS1_11target_archE4294967295ELNS1_3gpuE0ELNS1_3repE0EEENS1_30default_config_static_selectorELNS0_4arch9wavefront6targetE1EEEvT1_,"axG",@progbits,_ZN7rocprim17ROCPRIM_400000_NS6detail17trampoline_kernelINS0_14default_configENS1_25partition_config_selectorILNS1_17partition_subalgoE1ExNS0_10empty_typeEbEEZZNS1_14partition_implILS5_1ELb0ES3_jN6thrust23THRUST_200600_302600_NS6detail15normal_iteratorINSA_10device_ptrIxEEEEPS6_NSA_18transform_iteratorINSA_8identityIxEESF_NSA_11use_defaultESK_EENS0_5tupleIJSF_SF_EEENSM_IJSG_SG_EEES6_PlJS6_EEE10hipError_tPvRmT3_T4_T5_T6_T7_T9_mT8_P12ihipStream_tbDpT10_ENKUlT_T0_E_clISt17integral_constantIbLb0EES18_IbLb1EEEEDaS14_S15_EUlS14_E_NS1_11comp_targetILNS1_3genE0ELNS1_11target_archE4294967295ELNS1_3gpuE0ELNS1_3repE0EEENS1_30default_config_static_selectorELNS0_4arch9wavefront6targetE1EEEvT1_,comdat
	.protected	_ZN7rocprim17ROCPRIM_400000_NS6detail17trampoline_kernelINS0_14default_configENS1_25partition_config_selectorILNS1_17partition_subalgoE1ExNS0_10empty_typeEbEEZZNS1_14partition_implILS5_1ELb0ES3_jN6thrust23THRUST_200600_302600_NS6detail15normal_iteratorINSA_10device_ptrIxEEEEPS6_NSA_18transform_iteratorINSA_8identityIxEESF_NSA_11use_defaultESK_EENS0_5tupleIJSF_SF_EEENSM_IJSG_SG_EEES6_PlJS6_EEE10hipError_tPvRmT3_T4_T5_T6_T7_T9_mT8_P12ihipStream_tbDpT10_ENKUlT_T0_E_clISt17integral_constantIbLb0EES18_IbLb1EEEEDaS14_S15_EUlS14_E_NS1_11comp_targetILNS1_3genE0ELNS1_11target_archE4294967295ELNS1_3gpuE0ELNS1_3repE0EEENS1_30default_config_static_selectorELNS0_4arch9wavefront6targetE1EEEvT1_ ; -- Begin function _ZN7rocprim17ROCPRIM_400000_NS6detail17trampoline_kernelINS0_14default_configENS1_25partition_config_selectorILNS1_17partition_subalgoE1ExNS0_10empty_typeEbEEZZNS1_14partition_implILS5_1ELb0ES3_jN6thrust23THRUST_200600_302600_NS6detail15normal_iteratorINSA_10device_ptrIxEEEEPS6_NSA_18transform_iteratorINSA_8identityIxEESF_NSA_11use_defaultESK_EENS0_5tupleIJSF_SF_EEENSM_IJSG_SG_EEES6_PlJS6_EEE10hipError_tPvRmT3_T4_T5_T6_T7_T9_mT8_P12ihipStream_tbDpT10_ENKUlT_T0_E_clISt17integral_constantIbLb0EES18_IbLb1EEEEDaS14_S15_EUlS14_E_NS1_11comp_targetILNS1_3genE0ELNS1_11target_archE4294967295ELNS1_3gpuE0ELNS1_3repE0EEENS1_30default_config_static_selectorELNS0_4arch9wavefront6targetE1EEEvT1_
	.globl	_ZN7rocprim17ROCPRIM_400000_NS6detail17trampoline_kernelINS0_14default_configENS1_25partition_config_selectorILNS1_17partition_subalgoE1ExNS0_10empty_typeEbEEZZNS1_14partition_implILS5_1ELb0ES3_jN6thrust23THRUST_200600_302600_NS6detail15normal_iteratorINSA_10device_ptrIxEEEEPS6_NSA_18transform_iteratorINSA_8identityIxEESF_NSA_11use_defaultESK_EENS0_5tupleIJSF_SF_EEENSM_IJSG_SG_EEES6_PlJS6_EEE10hipError_tPvRmT3_T4_T5_T6_T7_T9_mT8_P12ihipStream_tbDpT10_ENKUlT_T0_E_clISt17integral_constantIbLb0EES18_IbLb1EEEEDaS14_S15_EUlS14_E_NS1_11comp_targetILNS1_3genE0ELNS1_11target_archE4294967295ELNS1_3gpuE0ELNS1_3repE0EEENS1_30default_config_static_selectorELNS0_4arch9wavefront6targetE1EEEvT1_
	.p2align	8
	.type	_ZN7rocprim17ROCPRIM_400000_NS6detail17trampoline_kernelINS0_14default_configENS1_25partition_config_selectorILNS1_17partition_subalgoE1ExNS0_10empty_typeEbEEZZNS1_14partition_implILS5_1ELb0ES3_jN6thrust23THRUST_200600_302600_NS6detail15normal_iteratorINSA_10device_ptrIxEEEEPS6_NSA_18transform_iteratorINSA_8identityIxEESF_NSA_11use_defaultESK_EENS0_5tupleIJSF_SF_EEENSM_IJSG_SG_EEES6_PlJS6_EEE10hipError_tPvRmT3_T4_T5_T6_T7_T9_mT8_P12ihipStream_tbDpT10_ENKUlT_T0_E_clISt17integral_constantIbLb0EES18_IbLb1EEEEDaS14_S15_EUlS14_E_NS1_11comp_targetILNS1_3genE0ELNS1_11target_archE4294967295ELNS1_3gpuE0ELNS1_3repE0EEENS1_30default_config_static_selectorELNS0_4arch9wavefront6targetE1EEEvT1_,@function
_ZN7rocprim17ROCPRIM_400000_NS6detail17trampoline_kernelINS0_14default_configENS1_25partition_config_selectorILNS1_17partition_subalgoE1ExNS0_10empty_typeEbEEZZNS1_14partition_implILS5_1ELb0ES3_jN6thrust23THRUST_200600_302600_NS6detail15normal_iteratorINSA_10device_ptrIxEEEEPS6_NSA_18transform_iteratorINSA_8identityIxEESF_NSA_11use_defaultESK_EENS0_5tupleIJSF_SF_EEENSM_IJSG_SG_EEES6_PlJS6_EEE10hipError_tPvRmT3_T4_T5_T6_T7_T9_mT8_P12ihipStream_tbDpT10_ENKUlT_T0_E_clISt17integral_constantIbLb0EES18_IbLb1EEEEDaS14_S15_EUlS14_E_NS1_11comp_targetILNS1_3genE0ELNS1_11target_archE4294967295ELNS1_3gpuE0ELNS1_3repE0EEENS1_30default_config_static_selectorELNS0_4arch9wavefront6targetE1EEEvT1_: ; @_ZN7rocprim17ROCPRIM_400000_NS6detail17trampoline_kernelINS0_14default_configENS1_25partition_config_selectorILNS1_17partition_subalgoE1ExNS0_10empty_typeEbEEZZNS1_14partition_implILS5_1ELb0ES3_jN6thrust23THRUST_200600_302600_NS6detail15normal_iteratorINSA_10device_ptrIxEEEEPS6_NSA_18transform_iteratorINSA_8identityIxEESF_NSA_11use_defaultESK_EENS0_5tupleIJSF_SF_EEENSM_IJSG_SG_EEES6_PlJS6_EEE10hipError_tPvRmT3_T4_T5_T6_T7_T9_mT8_P12ihipStream_tbDpT10_ENKUlT_T0_E_clISt17integral_constantIbLb0EES18_IbLb1EEEEDaS14_S15_EUlS14_E_NS1_11comp_targetILNS1_3genE0ELNS1_11target_archE4294967295ELNS1_3gpuE0ELNS1_3repE0EEENS1_30default_config_static_selectorELNS0_4arch9wavefront6targetE1EEEvT1_
; %bb.0:
	.section	.rodata,"a",@progbits
	.p2align	6, 0x0
	.amdhsa_kernel _ZN7rocprim17ROCPRIM_400000_NS6detail17trampoline_kernelINS0_14default_configENS1_25partition_config_selectorILNS1_17partition_subalgoE1ExNS0_10empty_typeEbEEZZNS1_14partition_implILS5_1ELb0ES3_jN6thrust23THRUST_200600_302600_NS6detail15normal_iteratorINSA_10device_ptrIxEEEEPS6_NSA_18transform_iteratorINSA_8identityIxEESF_NSA_11use_defaultESK_EENS0_5tupleIJSF_SF_EEENSM_IJSG_SG_EEES6_PlJS6_EEE10hipError_tPvRmT3_T4_T5_T6_T7_T9_mT8_P12ihipStream_tbDpT10_ENKUlT_T0_E_clISt17integral_constantIbLb0EES18_IbLb1EEEEDaS14_S15_EUlS14_E_NS1_11comp_targetILNS1_3genE0ELNS1_11target_archE4294967295ELNS1_3gpuE0ELNS1_3repE0EEENS1_30default_config_static_selectorELNS0_4arch9wavefront6targetE1EEEvT1_
		.amdhsa_group_segment_fixed_size 0
		.amdhsa_private_segment_fixed_size 0
		.amdhsa_kernarg_size 144
		.amdhsa_user_sgpr_count 6
		.amdhsa_user_sgpr_private_segment_buffer 1
		.amdhsa_user_sgpr_dispatch_ptr 0
		.amdhsa_user_sgpr_queue_ptr 0
		.amdhsa_user_sgpr_kernarg_segment_ptr 1
		.amdhsa_user_sgpr_dispatch_id 0
		.amdhsa_user_sgpr_flat_scratch_init 0
		.amdhsa_user_sgpr_kernarg_preload_length 0
		.amdhsa_user_sgpr_kernarg_preload_offset 0
		.amdhsa_user_sgpr_private_segment_size 0
		.amdhsa_uses_dynamic_stack 0
		.amdhsa_system_sgpr_private_segment_wavefront_offset 0
		.amdhsa_system_sgpr_workgroup_id_x 1
		.amdhsa_system_sgpr_workgroup_id_y 0
		.amdhsa_system_sgpr_workgroup_id_z 0
		.amdhsa_system_sgpr_workgroup_info 0
		.amdhsa_system_vgpr_workitem_id 0
		.amdhsa_next_free_vgpr 1
		.amdhsa_next_free_sgpr 0
		.amdhsa_accum_offset 4
		.amdhsa_reserve_vcc 0
		.amdhsa_reserve_flat_scratch 0
		.amdhsa_float_round_mode_32 0
		.amdhsa_float_round_mode_16_64 0
		.amdhsa_float_denorm_mode_32 3
		.amdhsa_float_denorm_mode_16_64 3
		.amdhsa_dx10_clamp 1
		.amdhsa_ieee_mode 1
		.amdhsa_fp16_overflow 0
		.amdhsa_tg_split 0
		.amdhsa_exception_fp_ieee_invalid_op 0
		.amdhsa_exception_fp_denorm_src 0
		.amdhsa_exception_fp_ieee_div_zero 0
		.amdhsa_exception_fp_ieee_overflow 0
		.amdhsa_exception_fp_ieee_underflow 0
		.amdhsa_exception_fp_ieee_inexact 0
		.amdhsa_exception_int_div_zero 0
	.end_amdhsa_kernel
	.section	.text._ZN7rocprim17ROCPRIM_400000_NS6detail17trampoline_kernelINS0_14default_configENS1_25partition_config_selectorILNS1_17partition_subalgoE1ExNS0_10empty_typeEbEEZZNS1_14partition_implILS5_1ELb0ES3_jN6thrust23THRUST_200600_302600_NS6detail15normal_iteratorINSA_10device_ptrIxEEEEPS6_NSA_18transform_iteratorINSA_8identityIxEESF_NSA_11use_defaultESK_EENS0_5tupleIJSF_SF_EEENSM_IJSG_SG_EEES6_PlJS6_EEE10hipError_tPvRmT3_T4_T5_T6_T7_T9_mT8_P12ihipStream_tbDpT10_ENKUlT_T0_E_clISt17integral_constantIbLb0EES18_IbLb1EEEEDaS14_S15_EUlS14_E_NS1_11comp_targetILNS1_3genE0ELNS1_11target_archE4294967295ELNS1_3gpuE0ELNS1_3repE0EEENS1_30default_config_static_selectorELNS0_4arch9wavefront6targetE1EEEvT1_,"axG",@progbits,_ZN7rocprim17ROCPRIM_400000_NS6detail17trampoline_kernelINS0_14default_configENS1_25partition_config_selectorILNS1_17partition_subalgoE1ExNS0_10empty_typeEbEEZZNS1_14partition_implILS5_1ELb0ES3_jN6thrust23THRUST_200600_302600_NS6detail15normal_iteratorINSA_10device_ptrIxEEEEPS6_NSA_18transform_iteratorINSA_8identityIxEESF_NSA_11use_defaultESK_EENS0_5tupleIJSF_SF_EEENSM_IJSG_SG_EEES6_PlJS6_EEE10hipError_tPvRmT3_T4_T5_T6_T7_T9_mT8_P12ihipStream_tbDpT10_ENKUlT_T0_E_clISt17integral_constantIbLb0EES18_IbLb1EEEEDaS14_S15_EUlS14_E_NS1_11comp_targetILNS1_3genE0ELNS1_11target_archE4294967295ELNS1_3gpuE0ELNS1_3repE0EEENS1_30default_config_static_selectorELNS0_4arch9wavefront6targetE1EEEvT1_,comdat
.Lfunc_end601:
	.size	_ZN7rocprim17ROCPRIM_400000_NS6detail17trampoline_kernelINS0_14default_configENS1_25partition_config_selectorILNS1_17partition_subalgoE1ExNS0_10empty_typeEbEEZZNS1_14partition_implILS5_1ELb0ES3_jN6thrust23THRUST_200600_302600_NS6detail15normal_iteratorINSA_10device_ptrIxEEEEPS6_NSA_18transform_iteratorINSA_8identityIxEESF_NSA_11use_defaultESK_EENS0_5tupleIJSF_SF_EEENSM_IJSG_SG_EEES6_PlJS6_EEE10hipError_tPvRmT3_T4_T5_T6_T7_T9_mT8_P12ihipStream_tbDpT10_ENKUlT_T0_E_clISt17integral_constantIbLb0EES18_IbLb1EEEEDaS14_S15_EUlS14_E_NS1_11comp_targetILNS1_3genE0ELNS1_11target_archE4294967295ELNS1_3gpuE0ELNS1_3repE0EEENS1_30default_config_static_selectorELNS0_4arch9wavefront6targetE1EEEvT1_, .Lfunc_end601-_ZN7rocprim17ROCPRIM_400000_NS6detail17trampoline_kernelINS0_14default_configENS1_25partition_config_selectorILNS1_17partition_subalgoE1ExNS0_10empty_typeEbEEZZNS1_14partition_implILS5_1ELb0ES3_jN6thrust23THRUST_200600_302600_NS6detail15normal_iteratorINSA_10device_ptrIxEEEEPS6_NSA_18transform_iteratorINSA_8identityIxEESF_NSA_11use_defaultESK_EENS0_5tupleIJSF_SF_EEENSM_IJSG_SG_EEES6_PlJS6_EEE10hipError_tPvRmT3_T4_T5_T6_T7_T9_mT8_P12ihipStream_tbDpT10_ENKUlT_T0_E_clISt17integral_constantIbLb0EES18_IbLb1EEEEDaS14_S15_EUlS14_E_NS1_11comp_targetILNS1_3genE0ELNS1_11target_archE4294967295ELNS1_3gpuE0ELNS1_3repE0EEENS1_30default_config_static_selectorELNS0_4arch9wavefront6targetE1EEEvT1_
                                        ; -- End function
	.section	.AMDGPU.csdata,"",@progbits
; Kernel info:
; codeLenInByte = 0
; NumSgprs: 4
; NumVgprs: 0
; NumAgprs: 0
; TotalNumVgprs: 0
; ScratchSize: 0
; MemoryBound: 0
; FloatMode: 240
; IeeeMode: 1
; LDSByteSize: 0 bytes/workgroup (compile time only)
; SGPRBlocks: 0
; VGPRBlocks: 0
; NumSGPRsForWavesPerEU: 4
; NumVGPRsForWavesPerEU: 1
; AccumOffset: 4
; Occupancy: 8
; WaveLimiterHint : 0
; COMPUTE_PGM_RSRC2:SCRATCH_EN: 0
; COMPUTE_PGM_RSRC2:USER_SGPR: 6
; COMPUTE_PGM_RSRC2:TRAP_HANDLER: 0
; COMPUTE_PGM_RSRC2:TGID_X_EN: 1
; COMPUTE_PGM_RSRC2:TGID_Y_EN: 0
; COMPUTE_PGM_RSRC2:TGID_Z_EN: 0
; COMPUTE_PGM_RSRC2:TIDIG_COMP_CNT: 0
; COMPUTE_PGM_RSRC3_GFX90A:ACCUM_OFFSET: 0
; COMPUTE_PGM_RSRC3_GFX90A:TG_SPLIT: 0
	.section	.text._ZN7rocprim17ROCPRIM_400000_NS6detail17trampoline_kernelINS0_14default_configENS1_25partition_config_selectorILNS1_17partition_subalgoE1ExNS0_10empty_typeEbEEZZNS1_14partition_implILS5_1ELb0ES3_jN6thrust23THRUST_200600_302600_NS6detail15normal_iteratorINSA_10device_ptrIxEEEEPS6_NSA_18transform_iteratorINSA_8identityIxEESF_NSA_11use_defaultESK_EENS0_5tupleIJSF_SF_EEENSM_IJSG_SG_EEES6_PlJS6_EEE10hipError_tPvRmT3_T4_T5_T6_T7_T9_mT8_P12ihipStream_tbDpT10_ENKUlT_T0_E_clISt17integral_constantIbLb0EES18_IbLb1EEEEDaS14_S15_EUlS14_E_NS1_11comp_targetILNS1_3genE5ELNS1_11target_archE942ELNS1_3gpuE9ELNS1_3repE0EEENS1_30default_config_static_selectorELNS0_4arch9wavefront6targetE1EEEvT1_,"axG",@progbits,_ZN7rocprim17ROCPRIM_400000_NS6detail17trampoline_kernelINS0_14default_configENS1_25partition_config_selectorILNS1_17partition_subalgoE1ExNS0_10empty_typeEbEEZZNS1_14partition_implILS5_1ELb0ES3_jN6thrust23THRUST_200600_302600_NS6detail15normal_iteratorINSA_10device_ptrIxEEEEPS6_NSA_18transform_iteratorINSA_8identityIxEESF_NSA_11use_defaultESK_EENS0_5tupleIJSF_SF_EEENSM_IJSG_SG_EEES6_PlJS6_EEE10hipError_tPvRmT3_T4_T5_T6_T7_T9_mT8_P12ihipStream_tbDpT10_ENKUlT_T0_E_clISt17integral_constantIbLb0EES18_IbLb1EEEEDaS14_S15_EUlS14_E_NS1_11comp_targetILNS1_3genE5ELNS1_11target_archE942ELNS1_3gpuE9ELNS1_3repE0EEENS1_30default_config_static_selectorELNS0_4arch9wavefront6targetE1EEEvT1_,comdat
	.protected	_ZN7rocprim17ROCPRIM_400000_NS6detail17trampoline_kernelINS0_14default_configENS1_25partition_config_selectorILNS1_17partition_subalgoE1ExNS0_10empty_typeEbEEZZNS1_14partition_implILS5_1ELb0ES3_jN6thrust23THRUST_200600_302600_NS6detail15normal_iteratorINSA_10device_ptrIxEEEEPS6_NSA_18transform_iteratorINSA_8identityIxEESF_NSA_11use_defaultESK_EENS0_5tupleIJSF_SF_EEENSM_IJSG_SG_EEES6_PlJS6_EEE10hipError_tPvRmT3_T4_T5_T6_T7_T9_mT8_P12ihipStream_tbDpT10_ENKUlT_T0_E_clISt17integral_constantIbLb0EES18_IbLb1EEEEDaS14_S15_EUlS14_E_NS1_11comp_targetILNS1_3genE5ELNS1_11target_archE942ELNS1_3gpuE9ELNS1_3repE0EEENS1_30default_config_static_selectorELNS0_4arch9wavefront6targetE1EEEvT1_ ; -- Begin function _ZN7rocprim17ROCPRIM_400000_NS6detail17trampoline_kernelINS0_14default_configENS1_25partition_config_selectorILNS1_17partition_subalgoE1ExNS0_10empty_typeEbEEZZNS1_14partition_implILS5_1ELb0ES3_jN6thrust23THRUST_200600_302600_NS6detail15normal_iteratorINSA_10device_ptrIxEEEEPS6_NSA_18transform_iteratorINSA_8identityIxEESF_NSA_11use_defaultESK_EENS0_5tupleIJSF_SF_EEENSM_IJSG_SG_EEES6_PlJS6_EEE10hipError_tPvRmT3_T4_T5_T6_T7_T9_mT8_P12ihipStream_tbDpT10_ENKUlT_T0_E_clISt17integral_constantIbLb0EES18_IbLb1EEEEDaS14_S15_EUlS14_E_NS1_11comp_targetILNS1_3genE5ELNS1_11target_archE942ELNS1_3gpuE9ELNS1_3repE0EEENS1_30default_config_static_selectorELNS0_4arch9wavefront6targetE1EEEvT1_
	.globl	_ZN7rocprim17ROCPRIM_400000_NS6detail17trampoline_kernelINS0_14default_configENS1_25partition_config_selectorILNS1_17partition_subalgoE1ExNS0_10empty_typeEbEEZZNS1_14partition_implILS5_1ELb0ES3_jN6thrust23THRUST_200600_302600_NS6detail15normal_iteratorINSA_10device_ptrIxEEEEPS6_NSA_18transform_iteratorINSA_8identityIxEESF_NSA_11use_defaultESK_EENS0_5tupleIJSF_SF_EEENSM_IJSG_SG_EEES6_PlJS6_EEE10hipError_tPvRmT3_T4_T5_T6_T7_T9_mT8_P12ihipStream_tbDpT10_ENKUlT_T0_E_clISt17integral_constantIbLb0EES18_IbLb1EEEEDaS14_S15_EUlS14_E_NS1_11comp_targetILNS1_3genE5ELNS1_11target_archE942ELNS1_3gpuE9ELNS1_3repE0EEENS1_30default_config_static_selectorELNS0_4arch9wavefront6targetE1EEEvT1_
	.p2align	8
	.type	_ZN7rocprim17ROCPRIM_400000_NS6detail17trampoline_kernelINS0_14default_configENS1_25partition_config_selectorILNS1_17partition_subalgoE1ExNS0_10empty_typeEbEEZZNS1_14partition_implILS5_1ELb0ES3_jN6thrust23THRUST_200600_302600_NS6detail15normal_iteratorINSA_10device_ptrIxEEEEPS6_NSA_18transform_iteratorINSA_8identityIxEESF_NSA_11use_defaultESK_EENS0_5tupleIJSF_SF_EEENSM_IJSG_SG_EEES6_PlJS6_EEE10hipError_tPvRmT3_T4_T5_T6_T7_T9_mT8_P12ihipStream_tbDpT10_ENKUlT_T0_E_clISt17integral_constantIbLb0EES18_IbLb1EEEEDaS14_S15_EUlS14_E_NS1_11comp_targetILNS1_3genE5ELNS1_11target_archE942ELNS1_3gpuE9ELNS1_3repE0EEENS1_30default_config_static_selectorELNS0_4arch9wavefront6targetE1EEEvT1_,@function
_ZN7rocprim17ROCPRIM_400000_NS6detail17trampoline_kernelINS0_14default_configENS1_25partition_config_selectorILNS1_17partition_subalgoE1ExNS0_10empty_typeEbEEZZNS1_14partition_implILS5_1ELb0ES3_jN6thrust23THRUST_200600_302600_NS6detail15normal_iteratorINSA_10device_ptrIxEEEEPS6_NSA_18transform_iteratorINSA_8identityIxEESF_NSA_11use_defaultESK_EENS0_5tupleIJSF_SF_EEENSM_IJSG_SG_EEES6_PlJS6_EEE10hipError_tPvRmT3_T4_T5_T6_T7_T9_mT8_P12ihipStream_tbDpT10_ENKUlT_T0_E_clISt17integral_constantIbLb0EES18_IbLb1EEEEDaS14_S15_EUlS14_E_NS1_11comp_targetILNS1_3genE5ELNS1_11target_archE942ELNS1_3gpuE9ELNS1_3repE0EEENS1_30default_config_static_selectorELNS0_4arch9wavefront6targetE1EEEvT1_: ; @_ZN7rocprim17ROCPRIM_400000_NS6detail17trampoline_kernelINS0_14default_configENS1_25partition_config_selectorILNS1_17partition_subalgoE1ExNS0_10empty_typeEbEEZZNS1_14partition_implILS5_1ELb0ES3_jN6thrust23THRUST_200600_302600_NS6detail15normal_iteratorINSA_10device_ptrIxEEEEPS6_NSA_18transform_iteratorINSA_8identityIxEESF_NSA_11use_defaultESK_EENS0_5tupleIJSF_SF_EEENSM_IJSG_SG_EEES6_PlJS6_EEE10hipError_tPvRmT3_T4_T5_T6_T7_T9_mT8_P12ihipStream_tbDpT10_ENKUlT_T0_E_clISt17integral_constantIbLb0EES18_IbLb1EEEEDaS14_S15_EUlS14_E_NS1_11comp_targetILNS1_3genE5ELNS1_11target_archE942ELNS1_3gpuE9ELNS1_3repE0EEENS1_30default_config_static_selectorELNS0_4arch9wavefront6targetE1EEEvT1_
; %bb.0:
	.section	.rodata,"a",@progbits
	.p2align	6, 0x0
	.amdhsa_kernel _ZN7rocprim17ROCPRIM_400000_NS6detail17trampoline_kernelINS0_14default_configENS1_25partition_config_selectorILNS1_17partition_subalgoE1ExNS0_10empty_typeEbEEZZNS1_14partition_implILS5_1ELb0ES3_jN6thrust23THRUST_200600_302600_NS6detail15normal_iteratorINSA_10device_ptrIxEEEEPS6_NSA_18transform_iteratorINSA_8identityIxEESF_NSA_11use_defaultESK_EENS0_5tupleIJSF_SF_EEENSM_IJSG_SG_EEES6_PlJS6_EEE10hipError_tPvRmT3_T4_T5_T6_T7_T9_mT8_P12ihipStream_tbDpT10_ENKUlT_T0_E_clISt17integral_constantIbLb0EES18_IbLb1EEEEDaS14_S15_EUlS14_E_NS1_11comp_targetILNS1_3genE5ELNS1_11target_archE942ELNS1_3gpuE9ELNS1_3repE0EEENS1_30default_config_static_selectorELNS0_4arch9wavefront6targetE1EEEvT1_
		.amdhsa_group_segment_fixed_size 0
		.amdhsa_private_segment_fixed_size 0
		.amdhsa_kernarg_size 144
		.amdhsa_user_sgpr_count 6
		.amdhsa_user_sgpr_private_segment_buffer 1
		.amdhsa_user_sgpr_dispatch_ptr 0
		.amdhsa_user_sgpr_queue_ptr 0
		.amdhsa_user_sgpr_kernarg_segment_ptr 1
		.amdhsa_user_sgpr_dispatch_id 0
		.amdhsa_user_sgpr_flat_scratch_init 0
		.amdhsa_user_sgpr_kernarg_preload_length 0
		.amdhsa_user_sgpr_kernarg_preload_offset 0
		.amdhsa_user_sgpr_private_segment_size 0
		.amdhsa_uses_dynamic_stack 0
		.amdhsa_system_sgpr_private_segment_wavefront_offset 0
		.amdhsa_system_sgpr_workgroup_id_x 1
		.amdhsa_system_sgpr_workgroup_id_y 0
		.amdhsa_system_sgpr_workgroup_id_z 0
		.amdhsa_system_sgpr_workgroup_info 0
		.amdhsa_system_vgpr_workitem_id 0
		.amdhsa_next_free_vgpr 1
		.amdhsa_next_free_sgpr 0
		.amdhsa_accum_offset 4
		.amdhsa_reserve_vcc 0
		.amdhsa_reserve_flat_scratch 0
		.amdhsa_float_round_mode_32 0
		.amdhsa_float_round_mode_16_64 0
		.amdhsa_float_denorm_mode_32 3
		.amdhsa_float_denorm_mode_16_64 3
		.amdhsa_dx10_clamp 1
		.amdhsa_ieee_mode 1
		.amdhsa_fp16_overflow 0
		.amdhsa_tg_split 0
		.amdhsa_exception_fp_ieee_invalid_op 0
		.amdhsa_exception_fp_denorm_src 0
		.amdhsa_exception_fp_ieee_div_zero 0
		.amdhsa_exception_fp_ieee_overflow 0
		.amdhsa_exception_fp_ieee_underflow 0
		.amdhsa_exception_fp_ieee_inexact 0
		.amdhsa_exception_int_div_zero 0
	.end_amdhsa_kernel
	.section	.text._ZN7rocprim17ROCPRIM_400000_NS6detail17trampoline_kernelINS0_14default_configENS1_25partition_config_selectorILNS1_17partition_subalgoE1ExNS0_10empty_typeEbEEZZNS1_14partition_implILS5_1ELb0ES3_jN6thrust23THRUST_200600_302600_NS6detail15normal_iteratorINSA_10device_ptrIxEEEEPS6_NSA_18transform_iteratorINSA_8identityIxEESF_NSA_11use_defaultESK_EENS0_5tupleIJSF_SF_EEENSM_IJSG_SG_EEES6_PlJS6_EEE10hipError_tPvRmT3_T4_T5_T6_T7_T9_mT8_P12ihipStream_tbDpT10_ENKUlT_T0_E_clISt17integral_constantIbLb0EES18_IbLb1EEEEDaS14_S15_EUlS14_E_NS1_11comp_targetILNS1_3genE5ELNS1_11target_archE942ELNS1_3gpuE9ELNS1_3repE0EEENS1_30default_config_static_selectorELNS0_4arch9wavefront6targetE1EEEvT1_,"axG",@progbits,_ZN7rocprim17ROCPRIM_400000_NS6detail17trampoline_kernelINS0_14default_configENS1_25partition_config_selectorILNS1_17partition_subalgoE1ExNS0_10empty_typeEbEEZZNS1_14partition_implILS5_1ELb0ES3_jN6thrust23THRUST_200600_302600_NS6detail15normal_iteratorINSA_10device_ptrIxEEEEPS6_NSA_18transform_iteratorINSA_8identityIxEESF_NSA_11use_defaultESK_EENS0_5tupleIJSF_SF_EEENSM_IJSG_SG_EEES6_PlJS6_EEE10hipError_tPvRmT3_T4_T5_T6_T7_T9_mT8_P12ihipStream_tbDpT10_ENKUlT_T0_E_clISt17integral_constantIbLb0EES18_IbLb1EEEEDaS14_S15_EUlS14_E_NS1_11comp_targetILNS1_3genE5ELNS1_11target_archE942ELNS1_3gpuE9ELNS1_3repE0EEENS1_30default_config_static_selectorELNS0_4arch9wavefront6targetE1EEEvT1_,comdat
.Lfunc_end602:
	.size	_ZN7rocprim17ROCPRIM_400000_NS6detail17trampoline_kernelINS0_14default_configENS1_25partition_config_selectorILNS1_17partition_subalgoE1ExNS0_10empty_typeEbEEZZNS1_14partition_implILS5_1ELb0ES3_jN6thrust23THRUST_200600_302600_NS6detail15normal_iteratorINSA_10device_ptrIxEEEEPS6_NSA_18transform_iteratorINSA_8identityIxEESF_NSA_11use_defaultESK_EENS0_5tupleIJSF_SF_EEENSM_IJSG_SG_EEES6_PlJS6_EEE10hipError_tPvRmT3_T4_T5_T6_T7_T9_mT8_P12ihipStream_tbDpT10_ENKUlT_T0_E_clISt17integral_constantIbLb0EES18_IbLb1EEEEDaS14_S15_EUlS14_E_NS1_11comp_targetILNS1_3genE5ELNS1_11target_archE942ELNS1_3gpuE9ELNS1_3repE0EEENS1_30default_config_static_selectorELNS0_4arch9wavefront6targetE1EEEvT1_, .Lfunc_end602-_ZN7rocprim17ROCPRIM_400000_NS6detail17trampoline_kernelINS0_14default_configENS1_25partition_config_selectorILNS1_17partition_subalgoE1ExNS0_10empty_typeEbEEZZNS1_14partition_implILS5_1ELb0ES3_jN6thrust23THRUST_200600_302600_NS6detail15normal_iteratorINSA_10device_ptrIxEEEEPS6_NSA_18transform_iteratorINSA_8identityIxEESF_NSA_11use_defaultESK_EENS0_5tupleIJSF_SF_EEENSM_IJSG_SG_EEES6_PlJS6_EEE10hipError_tPvRmT3_T4_T5_T6_T7_T9_mT8_P12ihipStream_tbDpT10_ENKUlT_T0_E_clISt17integral_constantIbLb0EES18_IbLb1EEEEDaS14_S15_EUlS14_E_NS1_11comp_targetILNS1_3genE5ELNS1_11target_archE942ELNS1_3gpuE9ELNS1_3repE0EEENS1_30default_config_static_selectorELNS0_4arch9wavefront6targetE1EEEvT1_
                                        ; -- End function
	.section	.AMDGPU.csdata,"",@progbits
; Kernel info:
; codeLenInByte = 0
; NumSgprs: 4
; NumVgprs: 0
; NumAgprs: 0
; TotalNumVgprs: 0
; ScratchSize: 0
; MemoryBound: 0
; FloatMode: 240
; IeeeMode: 1
; LDSByteSize: 0 bytes/workgroup (compile time only)
; SGPRBlocks: 0
; VGPRBlocks: 0
; NumSGPRsForWavesPerEU: 4
; NumVGPRsForWavesPerEU: 1
; AccumOffset: 4
; Occupancy: 8
; WaveLimiterHint : 0
; COMPUTE_PGM_RSRC2:SCRATCH_EN: 0
; COMPUTE_PGM_RSRC2:USER_SGPR: 6
; COMPUTE_PGM_RSRC2:TRAP_HANDLER: 0
; COMPUTE_PGM_RSRC2:TGID_X_EN: 1
; COMPUTE_PGM_RSRC2:TGID_Y_EN: 0
; COMPUTE_PGM_RSRC2:TGID_Z_EN: 0
; COMPUTE_PGM_RSRC2:TIDIG_COMP_CNT: 0
; COMPUTE_PGM_RSRC3_GFX90A:ACCUM_OFFSET: 0
; COMPUTE_PGM_RSRC3_GFX90A:TG_SPLIT: 0
	.section	.text._ZN7rocprim17ROCPRIM_400000_NS6detail17trampoline_kernelINS0_14default_configENS1_25partition_config_selectorILNS1_17partition_subalgoE1ExNS0_10empty_typeEbEEZZNS1_14partition_implILS5_1ELb0ES3_jN6thrust23THRUST_200600_302600_NS6detail15normal_iteratorINSA_10device_ptrIxEEEEPS6_NSA_18transform_iteratorINSA_8identityIxEESF_NSA_11use_defaultESK_EENS0_5tupleIJSF_SF_EEENSM_IJSG_SG_EEES6_PlJS6_EEE10hipError_tPvRmT3_T4_T5_T6_T7_T9_mT8_P12ihipStream_tbDpT10_ENKUlT_T0_E_clISt17integral_constantIbLb0EES18_IbLb1EEEEDaS14_S15_EUlS14_E_NS1_11comp_targetILNS1_3genE4ELNS1_11target_archE910ELNS1_3gpuE8ELNS1_3repE0EEENS1_30default_config_static_selectorELNS0_4arch9wavefront6targetE1EEEvT1_,"axG",@progbits,_ZN7rocprim17ROCPRIM_400000_NS6detail17trampoline_kernelINS0_14default_configENS1_25partition_config_selectorILNS1_17partition_subalgoE1ExNS0_10empty_typeEbEEZZNS1_14partition_implILS5_1ELb0ES3_jN6thrust23THRUST_200600_302600_NS6detail15normal_iteratorINSA_10device_ptrIxEEEEPS6_NSA_18transform_iteratorINSA_8identityIxEESF_NSA_11use_defaultESK_EENS0_5tupleIJSF_SF_EEENSM_IJSG_SG_EEES6_PlJS6_EEE10hipError_tPvRmT3_T4_T5_T6_T7_T9_mT8_P12ihipStream_tbDpT10_ENKUlT_T0_E_clISt17integral_constantIbLb0EES18_IbLb1EEEEDaS14_S15_EUlS14_E_NS1_11comp_targetILNS1_3genE4ELNS1_11target_archE910ELNS1_3gpuE8ELNS1_3repE0EEENS1_30default_config_static_selectorELNS0_4arch9wavefront6targetE1EEEvT1_,comdat
	.protected	_ZN7rocprim17ROCPRIM_400000_NS6detail17trampoline_kernelINS0_14default_configENS1_25partition_config_selectorILNS1_17partition_subalgoE1ExNS0_10empty_typeEbEEZZNS1_14partition_implILS5_1ELb0ES3_jN6thrust23THRUST_200600_302600_NS6detail15normal_iteratorINSA_10device_ptrIxEEEEPS6_NSA_18transform_iteratorINSA_8identityIxEESF_NSA_11use_defaultESK_EENS0_5tupleIJSF_SF_EEENSM_IJSG_SG_EEES6_PlJS6_EEE10hipError_tPvRmT3_T4_T5_T6_T7_T9_mT8_P12ihipStream_tbDpT10_ENKUlT_T0_E_clISt17integral_constantIbLb0EES18_IbLb1EEEEDaS14_S15_EUlS14_E_NS1_11comp_targetILNS1_3genE4ELNS1_11target_archE910ELNS1_3gpuE8ELNS1_3repE0EEENS1_30default_config_static_selectorELNS0_4arch9wavefront6targetE1EEEvT1_ ; -- Begin function _ZN7rocprim17ROCPRIM_400000_NS6detail17trampoline_kernelINS0_14default_configENS1_25partition_config_selectorILNS1_17partition_subalgoE1ExNS0_10empty_typeEbEEZZNS1_14partition_implILS5_1ELb0ES3_jN6thrust23THRUST_200600_302600_NS6detail15normal_iteratorINSA_10device_ptrIxEEEEPS6_NSA_18transform_iteratorINSA_8identityIxEESF_NSA_11use_defaultESK_EENS0_5tupleIJSF_SF_EEENSM_IJSG_SG_EEES6_PlJS6_EEE10hipError_tPvRmT3_T4_T5_T6_T7_T9_mT8_P12ihipStream_tbDpT10_ENKUlT_T0_E_clISt17integral_constantIbLb0EES18_IbLb1EEEEDaS14_S15_EUlS14_E_NS1_11comp_targetILNS1_3genE4ELNS1_11target_archE910ELNS1_3gpuE8ELNS1_3repE0EEENS1_30default_config_static_selectorELNS0_4arch9wavefront6targetE1EEEvT1_
	.globl	_ZN7rocprim17ROCPRIM_400000_NS6detail17trampoline_kernelINS0_14default_configENS1_25partition_config_selectorILNS1_17partition_subalgoE1ExNS0_10empty_typeEbEEZZNS1_14partition_implILS5_1ELb0ES3_jN6thrust23THRUST_200600_302600_NS6detail15normal_iteratorINSA_10device_ptrIxEEEEPS6_NSA_18transform_iteratorINSA_8identityIxEESF_NSA_11use_defaultESK_EENS0_5tupleIJSF_SF_EEENSM_IJSG_SG_EEES6_PlJS6_EEE10hipError_tPvRmT3_T4_T5_T6_T7_T9_mT8_P12ihipStream_tbDpT10_ENKUlT_T0_E_clISt17integral_constantIbLb0EES18_IbLb1EEEEDaS14_S15_EUlS14_E_NS1_11comp_targetILNS1_3genE4ELNS1_11target_archE910ELNS1_3gpuE8ELNS1_3repE0EEENS1_30default_config_static_selectorELNS0_4arch9wavefront6targetE1EEEvT1_
	.p2align	8
	.type	_ZN7rocprim17ROCPRIM_400000_NS6detail17trampoline_kernelINS0_14default_configENS1_25partition_config_selectorILNS1_17partition_subalgoE1ExNS0_10empty_typeEbEEZZNS1_14partition_implILS5_1ELb0ES3_jN6thrust23THRUST_200600_302600_NS6detail15normal_iteratorINSA_10device_ptrIxEEEEPS6_NSA_18transform_iteratorINSA_8identityIxEESF_NSA_11use_defaultESK_EENS0_5tupleIJSF_SF_EEENSM_IJSG_SG_EEES6_PlJS6_EEE10hipError_tPvRmT3_T4_T5_T6_T7_T9_mT8_P12ihipStream_tbDpT10_ENKUlT_T0_E_clISt17integral_constantIbLb0EES18_IbLb1EEEEDaS14_S15_EUlS14_E_NS1_11comp_targetILNS1_3genE4ELNS1_11target_archE910ELNS1_3gpuE8ELNS1_3repE0EEENS1_30default_config_static_selectorELNS0_4arch9wavefront6targetE1EEEvT1_,@function
_ZN7rocprim17ROCPRIM_400000_NS6detail17trampoline_kernelINS0_14default_configENS1_25partition_config_selectorILNS1_17partition_subalgoE1ExNS0_10empty_typeEbEEZZNS1_14partition_implILS5_1ELb0ES3_jN6thrust23THRUST_200600_302600_NS6detail15normal_iteratorINSA_10device_ptrIxEEEEPS6_NSA_18transform_iteratorINSA_8identityIxEESF_NSA_11use_defaultESK_EENS0_5tupleIJSF_SF_EEENSM_IJSG_SG_EEES6_PlJS6_EEE10hipError_tPvRmT3_T4_T5_T6_T7_T9_mT8_P12ihipStream_tbDpT10_ENKUlT_T0_E_clISt17integral_constantIbLb0EES18_IbLb1EEEEDaS14_S15_EUlS14_E_NS1_11comp_targetILNS1_3genE4ELNS1_11target_archE910ELNS1_3gpuE8ELNS1_3repE0EEENS1_30default_config_static_selectorELNS0_4arch9wavefront6targetE1EEEvT1_: ; @_ZN7rocprim17ROCPRIM_400000_NS6detail17trampoline_kernelINS0_14default_configENS1_25partition_config_selectorILNS1_17partition_subalgoE1ExNS0_10empty_typeEbEEZZNS1_14partition_implILS5_1ELb0ES3_jN6thrust23THRUST_200600_302600_NS6detail15normal_iteratorINSA_10device_ptrIxEEEEPS6_NSA_18transform_iteratorINSA_8identityIxEESF_NSA_11use_defaultESK_EENS0_5tupleIJSF_SF_EEENSM_IJSG_SG_EEES6_PlJS6_EEE10hipError_tPvRmT3_T4_T5_T6_T7_T9_mT8_P12ihipStream_tbDpT10_ENKUlT_T0_E_clISt17integral_constantIbLb0EES18_IbLb1EEEEDaS14_S15_EUlS14_E_NS1_11comp_targetILNS1_3genE4ELNS1_11target_archE910ELNS1_3gpuE8ELNS1_3repE0EEENS1_30default_config_static_selectorELNS0_4arch9wavefront6targetE1EEEvT1_
; %bb.0:
	s_load_dwordx2 s[6:7], s[4:5], 0x20
	s_load_dwordx4 s[20:23], s[4:5], 0x50
	s_load_dwordx2 s[2:3], s[4:5], 0x60
	s_load_dwordx2 s[30:31], s[4:5], 0x70
	v_cmp_eq_u32_e64 s[0:1], 0, v0
	s_and_saveexec_b64 s[8:9], s[0:1]
	s_cbranch_execz .LBB603_4
; %bb.1:
	s_mov_b64 s[12:13], exec
	v_mbcnt_lo_u32_b32 v1, s12, 0
	v_mbcnt_hi_u32_b32 v1, s13, v1
	v_cmp_eq_u32_e32 vcc, 0, v1
                                        ; implicit-def: $vgpr2
	s_and_saveexec_b64 s[10:11], vcc
	s_cbranch_execz .LBB603_3
; %bb.2:
	s_load_dwordx2 s[14:15], s[4:5], 0x80
	s_bcnt1_i32_b64 s12, s[12:13]
	v_mov_b32_e32 v2, 0
	v_mov_b32_e32 v3, s12
	s_waitcnt lgkmcnt(0)
	global_atomic_add v2, v2, v3, s[14:15] glc
.LBB603_3:
	s_or_b64 exec, exec, s[10:11]
	s_waitcnt vmcnt(0)
	v_readfirstlane_b32 s10, v2
	v_add_u32_e32 v1, s10, v1
	v_mov_b32_e32 v2, 0
	ds_write_b32 v2, v1
.LBB603_4:
	s_or_b64 exec, exec, s[8:9]
	v_mov_b32_e32 v3, 0
	s_load_dwordx4 s[16:19], s[4:5], 0x8
	s_load_dwordx4 s[24:27], s[4:5], 0x30
	s_load_dword s8, s[4:5], 0x78
	s_waitcnt lgkmcnt(0)
	s_barrier
	ds_read_b32 v1, v3
	s_waitcnt lgkmcnt(0)
	s_barrier
	global_load_dwordx2 v[10:11], v3, s[22:23]
	v_mov_b32_e32 v5, s3
	s_lshl_b64 s[4:5], s[18:19], 3
	s_movk_i32 s3, 0x300
	s_add_u32 s9, s16, s4
	v_mul_lo_u32 v2, v1, s3
	s_mul_i32 s3, s8, 0x300
	s_addc_u32 s10, s17, s5
	s_add_i32 s11, s8, -1
	s_add_i32 s8, s3, s18
	s_sub_i32 s33, s2, s8
	s_addk_i32 s33, 0x300
	v_mov_b32_e32 v4, s2
	s_add_u32 s2, s18, s3
	v_readfirstlane_b32 s40, v1
	s_addc_u32 s3, s19, 0
	s_cmp_eq_u32 s40, s11
	s_cselect_b64 s[22:23], -1, 0
	s_cmp_lg_u32 s40, s11
	v_cmp_lt_u64_e32 vcc, s[2:3], v[4:5]
	s_cselect_b64 s[2:3], -1, 0
	v_lshlrev_b64 v[12:13], 3, v[2:3]
	s_or_b64 s[28:29], vcc, s[2:3]
	v_mov_b32_e32 v1, s10
	v_add_co_u32_e32 v14, vcc, s9, v12
	v_addc_co_u32_e32 v15, vcc, v1, v13, vcc
	s_mov_b64 s[2:3], -1
	s_and_b64 vcc, exec, s[28:29]
	v_lshlrev_b32_e32 v24, 3, v0
	v_lshrrev_b32_e32 v1, 2, v0
	s_cbranch_vccz .LBB603_6
; %bb.5:
	v_add_co_u32_e32 v2, vcc, v14, v24
	v_addc_co_u32_e32 v3, vcc, 0, v15, vcc
	v_add_co_u32_e32 v4, vcc, 0x1000, v2
	v_addc_co_u32_e32 v5, vcc, 0, v3, vcc
	flat_load_dwordx2 v[6:7], v[2:3]
	flat_load_dwordx2 v[8:9], v[2:3] offset:1536
	flat_load_dwordx2 v[16:17], v[2:3] offset:3072
	;; [unrolled: 1-line block ×3, first 2 shown]
	v_add_u32_e32 v3, 0xc0, v0
	v_add_u32_e32 v4, 0x180, v0
	;; [unrolled: 1-line block ×3, first 2 shown]
	v_and_b32_e32 v2, 56, v1
	v_lshrrev_b32_e32 v3, 2, v3
	v_lshrrev_b32_e32 v4, 2, v4
	;; [unrolled: 1-line block ×3, first 2 shown]
	v_add_u32_e32 v2, v2, v24
	v_and_b32_e32 v3, 0x78, v3
	v_and_b32_e32 v4, 0xf8, v4
	;; [unrolled: 1-line block ×3, first 2 shown]
	v_add_u32_e32 v3, v3, v24
	v_add_u32_e32 v4, v4, v24
	;; [unrolled: 1-line block ×3, first 2 shown]
	s_mov_b64 s[2:3], 0
	s_waitcnt vmcnt(0) lgkmcnt(0)
	ds_write_b64 v2, v[6:7]
	ds_write_b64 v3, v[8:9] offset:1536
	ds_write_b64 v4, v[16:17] offset:3072
	;; [unrolled: 1-line block ×3, first 2 shown]
	s_waitcnt lgkmcnt(0)
	s_barrier
.LBB603_6:
	s_andn2_b64 vcc, exec, s[2:3]
	v_cmp_gt_u32_e64 s[2:3], s33, v0
	s_cbranch_vccnz .LBB603_16
; %bb.7:
                                        ; implicit-def: $vgpr2_vgpr3_vgpr4_vgpr5_vgpr6_vgpr7_vgpr8_vgpr9
	s_and_saveexec_b64 s[8:9], s[2:3]
	s_cbranch_execz .LBB603_9
; %bb.8:
	v_add_co_u32_e32 v2, vcc, v14, v24
	v_addc_co_u32_e32 v3, vcc, 0, v15, vcc
	flat_load_dwordx2 v[2:3], v[2:3]
.LBB603_9:
	s_or_b64 exec, exec, s[8:9]
	v_add_u32_e32 v16, 0xc0, v0
	v_cmp_gt_u32_e32 vcc, s33, v16
	s_and_saveexec_b64 s[2:3], vcc
	s_cbranch_execz .LBB603_11
; %bb.10:
	v_add_co_u32_e32 v4, vcc, v14, v24
	v_addc_co_u32_e32 v5, vcc, 0, v15, vcc
	flat_load_dwordx2 v[4:5], v[4:5] offset:1536
.LBB603_11:
	s_or_b64 exec, exec, s[2:3]
	v_add_u32_e32 v17, 0x180, v0
	v_cmp_gt_u32_e32 vcc, s33, v17
	s_and_saveexec_b64 s[2:3], vcc
	s_cbranch_execz .LBB603_13
; %bb.12:
	v_add_co_u32_e32 v6, vcc, v14, v24
	v_addc_co_u32_e32 v7, vcc, 0, v15, vcc
	flat_load_dwordx2 v[6:7], v[6:7] offset:3072
.LBB603_13:
	s_or_b64 exec, exec, s[2:3]
	v_add_u32_e32 v18, 0x240, v0
	v_cmp_gt_u32_e32 vcc, s33, v18
	s_and_saveexec_b64 s[2:3], vcc
	s_cbranch_execz .LBB603_15
; %bb.14:
	v_lshlrev_b32_e32 v8, 3, v18
	v_add_co_u32_e32 v8, vcc, v14, v8
	v_addc_co_u32_e32 v9, vcc, 0, v15, vcc
	flat_load_dwordx2 v[8:9], v[8:9]
.LBB603_15:
	s_or_b64 exec, exec, s[2:3]
	v_and_b32_e32 v1, 56, v1
	v_add_u32_e32 v1, v1, v24
	s_waitcnt vmcnt(0) lgkmcnt(0)
	ds_write_b64 v1, v[2:3]
	v_lshrrev_b32_e32 v1, 2, v16
	v_and_b32_e32 v1, 0x78, v1
	v_add_u32_e32 v1, v1, v24
	ds_write_b64 v1, v[4:5] offset:1536
	v_lshrrev_b32_e32 v1, 2, v17
	v_and_b32_e32 v1, 0xf8, v1
	v_add_u32_e32 v1, v1, v24
	ds_write_b64 v1, v[6:7] offset:3072
	v_lshrrev_b32_e32 v1, 2, v18
	v_and_b32_e32 v1, 0xf8, v1
	v_add_u32_e32 v1, v1, v24
	ds_write_b64 v1, v[8:9] offset:4608
	s_waitcnt lgkmcnt(0)
	s_barrier
.LBB603_16:
	v_lshlrev_b32_e32 v25, 2, v0
	v_lshrrev_b32_e32 v15, 3, v0
	v_add_lshl_u32 v1, v15, v25, 3
	s_add_u32 s2, s6, s4
	ds_read2_b64 v[6:9], v1 offset1:1
	ds_read2_b64 v[2:5], v1 offset0:2 offset1:3
	s_addc_u32 s3, s7, s5
	v_mov_b32_e32 v1, s3
	v_add_co_u32_e32 v14, vcc, s2, v12
	v_addc_co_u32_e32 v1, vcc, v1, v13, vcc
	s_mov_b64 s[2:3], -1
	s_and_b64 vcc, exec, s[28:29]
	v_lshrrev_b32_e32 v16, 5, v0
	s_waitcnt lgkmcnt(0)
	s_barrier
	s_cbranch_vccz .LBB603_18
; %bb.17:
	v_add_co_u32_e32 v17, vcc, v14, v24
	v_readfirstlane_b32 s2, v14
	v_readfirstlane_b32 s3, v1
	v_addc_co_u32_e32 v27, vcc, 0, v1, vcc
	s_nop 3
	global_load_dwordx2 v[18:19], v24, s[2:3]
	global_load_dwordx2 v[20:21], v24, s[2:3] offset:1536
	global_load_dwordx2 v[22:23], v24, s[2:3] offset:3072
	s_movk_i32 s2, 0x1000
	v_add_co_u32_e32 v26, vcc, s2, v17
	v_addc_co_u32_e32 v27, vcc, 0, v27, vcc
	global_load_dwordx2 v[26:27], v[26:27], off offset:512
	v_add_u32_e32 v28, 0xc0, v0
	v_add_u32_e32 v29, 0x180, v0
	v_add_u32_e32 v30, 0x240, v0
	v_and_b32_e32 v17, 4, v16
	v_lshrrev_b32_e32 v28, 5, v28
	v_lshrrev_b32_e32 v29, 5, v29
	;; [unrolled: 1-line block ×3, first 2 shown]
	v_add_u32_e32 v17, v17, v0
	v_and_b32_e32 v28, 12, v28
	v_and_b32_e32 v29, 28, v29
	;; [unrolled: 1-line block ×3, first 2 shown]
	v_add_u32_e32 v28, v28, v0
	v_add_u32_e32 v29, v29, v0
	;; [unrolled: 1-line block ×3, first 2 shown]
	s_mov_b64 s[2:3], 0
	s_waitcnt vmcnt(3)
	v_cmp_ne_u64_e32 vcc, 0, v[18:19]
	v_cndmask_b32_e64 v18, 0, 1, vcc
	s_waitcnt vmcnt(2)
	v_cmp_ne_u64_e32 vcc, 0, v[20:21]
	v_cndmask_b32_e64 v19, 0, 1, vcc
	;; [unrolled: 3-line block ×3, first 2 shown]
	ds_write_b8 v17, v18
	ds_write_b8 v28, v19 offset:192
	ds_write_b8 v29, v20 offset:384
	s_waitcnt vmcnt(0)
	v_cmp_ne_u64_e32 vcc, 0, v[26:27]
	v_cndmask_b32_e64 v17, 0, 1, vcc
	ds_write_b8 v30, v17 offset:576
	s_waitcnt lgkmcnt(0)
	s_barrier
.LBB603_18:
	s_andn2_b64 vcc, exec, s[2:3]
	s_cbranch_vccnz .LBB603_28
; %bb.19:
	v_cmp_gt_u32_e32 vcc, s33, v0
	v_mov_b32_e32 v17, 0
	v_mov_b32_e32 v18, 0
	s_and_saveexec_b64 s[2:3], vcc
	s_cbranch_execz .LBB603_21
; %bb.20:
	v_readfirstlane_b32 s4, v14
	v_readfirstlane_b32 s5, v1
	s_nop 4
	global_load_dwordx2 v[18:19], v24, s[4:5]
	s_waitcnt vmcnt(0)
	v_cmp_ne_u64_e32 vcc, 0, v[18:19]
	v_cndmask_b32_e64 v18, 0, 1, vcc
.LBB603_21:
	s_or_b64 exec, exec, s[2:3]
	v_add_u32_e32 v19, 0xc0, v0
	v_cmp_gt_u32_e32 vcc, s33, v19
	s_and_saveexec_b64 s[2:3], vcc
	s_cbranch_execz .LBB603_23
; %bb.22:
	v_readfirstlane_b32 s4, v14
	v_readfirstlane_b32 s5, v1
	s_nop 4
	global_load_dwordx2 v[20:21], v24, s[4:5] offset:1536
	s_waitcnt vmcnt(0)
	v_cmp_ne_u64_e32 vcc, 0, v[20:21]
	v_cndmask_b32_e64 v17, 0, 1, vcc
.LBB603_23:
	s_or_b64 exec, exec, s[2:3]
	v_add_u32_e32 v20, 0x180, v0
	v_cmp_gt_u32_e32 vcc, s33, v20
	v_mov_b32_e32 v21, 0
	v_mov_b32_e32 v22, 0
	s_and_saveexec_b64 s[2:3], vcc
	s_cbranch_execz .LBB603_25
; %bb.24:
	v_readfirstlane_b32 s4, v14
	v_readfirstlane_b32 s5, v1
	s_nop 4
	global_load_dwordx2 v[22:23], v24, s[4:5] offset:3072
	s_waitcnt vmcnt(0)
	v_cmp_ne_u64_e32 vcc, 0, v[22:23]
	v_cndmask_b32_e64 v22, 0, 1, vcc
.LBB603_25:
	s_or_b64 exec, exec, s[2:3]
	v_add_u32_e32 v23, 0x240, v0
	v_cmp_gt_u32_e32 vcc, s33, v23
	s_and_saveexec_b64 s[2:3], vcc
	s_cbranch_execz .LBB603_27
; %bb.26:
	v_lshlrev_b32_e32 v21, 3, v23
	v_readfirstlane_b32 s4, v14
	v_readfirstlane_b32 s5, v1
	s_nop 4
	global_load_dwordx2 v[26:27], v21, s[4:5]
	s_waitcnt vmcnt(0)
	v_cmp_ne_u64_e32 vcc, 0, v[26:27]
	v_cndmask_b32_e64 v21, 0, 1, vcc
.LBB603_27:
	s_or_b64 exec, exec, s[2:3]
	v_and_b32_e32 v1, 4, v16
	v_add_u32_e32 v1, v1, v0
	ds_write_b8 v1, v18
	v_lshrrev_b32_e32 v1, 5, v19
	v_and_b32_e32 v1, 12, v1
	v_add_u32_e32 v1, v1, v0
	ds_write_b8 v1, v17 offset:192
	v_lshrrev_b32_e32 v1, 5, v20
	v_and_b32_e32 v1, 28, v1
	v_add_u32_e32 v1, v1, v0
	ds_write_b8 v1, v22 offset:384
	;; [unrolled: 4-line block ×3, first 2 shown]
	s_waitcnt lgkmcnt(0)
	s_barrier
.LBB603_28:
	v_and_b32_e32 v1, 28, v15
	v_add_u32_e32 v1, v1, v25
	ds_read_b32 v26, v1
	s_cmp_lg_u32 s40, 0
	v_lshrrev_b32_e32 v29, 6, v0
	s_waitcnt lgkmcnt(0)
	s_barrier
	v_lshrrev_b32_e32 v1, 24, v26
	v_bfe_u32 v27, v26, 16, 8
	v_add_u32_sdwa v14, v26, v26 dst_sel:DWORD dst_unused:UNUSED_PAD src0_sel:BYTE_1 src1_sel:BYTE_0
	v_add3_u32 v30, v14, v27, v1
	v_mbcnt_lo_u32_b32 v14, -1, 0
	v_mbcnt_hi_u32_b32 v28, -1, v14
	v_and_b32_e32 v14, 15, v28
	v_cmp_eq_u32_e64 s[14:15], 0, v14
	v_cmp_lt_u32_e64 s[12:13], 1, v14
	v_cmp_lt_u32_e64 s[10:11], 3, v14
	;; [unrolled: 1-line block ×3, first 2 shown]
	v_and_b32_e32 v14, 16, v28
	v_cmp_eq_u32_e64 s[4:5], 0, v14
	v_and_b32_e32 v14, 0xc0, v0
	v_min_u32_e32 v14, 0x80, v14
	v_or_b32_e32 v14, 63, v14
	v_cmp_lt_u32_e64 s[2:3], 31, v28
	v_cmp_eq_u32_e64 s[6:7], v14, v0
	s_cbranch_scc0 .LBB603_55
; %bb.29:
	v_mov_b32_dpp v14, v30 row_shr:1 row_mask:0xf bank_mask:0xf
	v_cndmask_b32_e64 v14, v14, 0, s[14:15]
	v_add_u32_e32 v14, v14, v30
	s_nop 1
	v_mov_b32_dpp v15, v14 row_shr:2 row_mask:0xf bank_mask:0xf
	v_cndmask_b32_e64 v15, 0, v15, s[12:13]
	v_add_u32_e32 v14, v14, v15
	s_nop 1
	;; [unrolled: 4-line block ×4, first 2 shown]
	v_mov_b32_dpp v15, v14 row_bcast:15 row_mask:0xf bank_mask:0xf
	v_cndmask_b32_e64 v15, v15, 0, s[4:5]
	v_add_u32_e32 v14, v14, v15
	s_nop 1
	v_mov_b32_dpp v15, v14 row_bcast:31 row_mask:0xf bank_mask:0xf
	v_cndmask_b32_e64 v15, 0, v15, s[2:3]
	v_add_u32_e32 v14, v14, v15
	s_and_saveexec_b64 s[16:17], s[6:7]
	s_cbranch_execz .LBB603_31
; %bb.30:
	v_lshlrev_b32_e32 v15, 2, v29
	ds_write_b32 v15, v14
.LBB603_31:
	s_or_b64 exec, exec, s[16:17]
	v_cmp_gt_u32_e32 vcc, 3, v0
	s_waitcnt lgkmcnt(0)
	s_barrier
	s_and_saveexec_b64 s[16:17], vcc
	s_cbranch_execz .LBB603_33
; %bb.32:
	ds_read_b32 v15, v25
	v_and_b32_e32 v16, 3, v28
	v_cmp_ne_u32_e32 vcc, 0, v16
	s_waitcnt lgkmcnt(0)
	v_mov_b32_dpp v17, v15 row_shr:1 row_mask:0xf bank_mask:0xf
	v_cndmask_b32_e32 v17, 0, v17, vcc
	v_add_u32_e32 v15, v17, v15
	v_cmp_lt_u32_e32 vcc, 1, v16
	s_nop 0
	v_mov_b32_dpp v17, v15 row_shr:2 row_mask:0xf bank_mask:0xf
	v_cndmask_b32_e32 v16, 0, v17, vcc
	v_add_u32_e32 v15, v15, v16
	ds_write_b32 v25, v15
.LBB603_33:
	s_or_b64 exec, exec, s[16:17]
	v_cmp_gt_u32_e32 vcc, 64, v0
	v_cmp_lt_u32_e64 s[16:17], 63, v0
	s_waitcnt lgkmcnt(0)
	s_barrier
	s_waitcnt lgkmcnt(0)
                                        ; implicit-def: $vgpr31
	s_and_saveexec_b64 s[34:35], s[16:17]
	s_cbranch_execz .LBB603_35
; %bb.34:
	v_lshl_add_u32 v15, v29, 2, -4
	ds_read_b32 v31, v15
	s_waitcnt lgkmcnt(0)
	v_add_u32_e32 v14, v31, v14
.LBB603_35:
	s_or_b64 exec, exec, s[34:35]
	v_add_u32_e32 v15, -1, v28
	v_and_b32_e32 v16, 64, v28
	v_cmp_lt_i32_e64 s[16:17], v15, v16
	v_cndmask_b32_e64 v15, v15, v28, s[16:17]
	v_lshlrev_b32_e32 v15, 2, v15
	ds_bpermute_b32 v32, v15, v14
	v_cmp_eq_u32_e64 s[16:17], 0, v28
	s_and_saveexec_b64 s[34:35], vcc
	s_cbranch_execz .LBB603_54
; %bb.36:
	v_mov_b32_e32 v21, 0
	ds_read_b32 v14, v21 offset:8
	s_and_saveexec_b64 s[36:37], s[16:17]
	s_cbranch_execz .LBB603_38
; %bb.37:
	s_add_i32 s38, s40, 64
	s_mov_b32 s39, 0
	s_lshl_b64 s[38:39], s[38:39], 3
	s_add_u32 s38, s30, s38
	v_mov_b32_e32 v15, 1
	s_addc_u32 s39, s31, s39
	s_waitcnt lgkmcnt(0)
	global_store_dwordx2 v21, v[14:15], s[38:39]
.LBB603_38:
	s_or_b64 exec, exec, s[36:37]
	v_xad_u32 v16, v28, -1, s40
	v_add_u32_e32 v20, 64, v16
	v_lshlrev_b64 v[18:19], 3, v[20:21]
	v_mov_b32_e32 v15, s31
	v_add_co_u32_e32 v22, vcc, s30, v18
	v_addc_co_u32_e32 v23, vcc, v15, v19, vcc
	global_load_dwordx2 v[18:19], v[22:23], off glc
	s_waitcnt vmcnt(0)
	v_cmp_eq_u16_sdwa s[38:39], v19, v21 src0_sel:BYTE_0 src1_sel:DWORD
	s_and_saveexec_b64 s[36:37], s[38:39]
	s_cbranch_execz .LBB603_42
; %bb.39:
	s_mov_b64 s[38:39], 0
	v_mov_b32_e32 v15, 0
.LBB603_40:                             ; =>This Inner Loop Header: Depth=1
	global_load_dwordx2 v[18:19], v[22:23], off glc
	s_waitcnt vmcnt(0)
	v_cmp_ne_u16_sdwa s[42:43], v19, v15 src0_sel:BYTE_0 src1_sel:DWORD
	s_or_b64 s[38:39], s[42:43], s[38:39]
	s_andn2_b64 exec, exec, s[38:39]
	s_cbranch_execnz .LBB603_40
; %bb.41:
	s_or_b64 exec, exec, s[38:39]
.LBB603_42:
	s_or_b64 exec, exec, s[36:37]
	v_and_b32_e32 v34, 63, v28
	v_mov_b32_e32 v33, 2
	v_cmp_ne_u32_e32 vcc, 63, v34
	v_cmp_eq_u16_sdwa s[36:37], v19, v33 src0_sel:BYTE_0 src1_sel:DWORD
	v_lshlrev_b64 v[20:21], v28, -1
	v_addc_co_u32_e32 v22, vcc, 0, v28, vcc
	v_and_b32_e32 v15, s37, v21
	v_lshlrev_b32_e32 v35, 2, v22
	v_or_b32_e32 v15, 0x80000000, v15
	ds_bpermute_b32 v22, v35, v18
	v_and_b32_e32 v17, s36, v20
	v_ffbl_b32_e32 v15, v15
	v_add_u32_e32 v15, 32, v15
	v_ffbl_b32_e32 v17, v17
	v_min_u32_e32 v15, v17, v15
	v_cmp_lt_u32_e32 vcc, v34, v15
	s_waitcnt lgkmcnt(0)
	v_cndmask_b32_e32 v17, 0, v22, vcc
	v_cmp_gt_u32_e32 vcc, 62, v34
	v_add_u32_e32 v17, v17, v18
	v_cndmask_b32_e64 v18, 0, 1, vcc
	v_lshlrev_b32_e32 v18, 1, v18
	v_add_lshl_u32 v36, v18, v28, 2
	ds_bpermute_b32 v18, v36, v17
	v_add_u32_e32 v37, 2, v34
	v_cmp_le_u32_e32 vcc, v37, v15
	v_add_u32_e32 v39, 4, v34
	v_add_u32_e32 v41, 8, v34
	s_waitcnt lgkmcnt(0)
	v_cndmask_b32_e32 v18, 0, v18, vcc
	v_cmp_gt_u32_e32 vcc, 60, v34
	v_add_u32_e32 v17, v17, v18
	v_cndmask_b32_e64 v18, 0, 1, vcc
	v_lshlrev_b32_e32 v18, 2, v18
	v_add_lshl_u32 v38, v18, v28, 2
	ds_bpermute_b32 v18, v38, v17
	v_cmp_le_u32_e32 vcc, v39, v15
	v_add_u32_e32 v43, 16, v34
	v_add_u32_e32 v45, 32, v34
	s_waitcnt lgkmcnt(0)
	v_cndmask_b32_e32 v18, 0, v18, vcc
	v_cmp_gt_u32_e32 vcc, 56, v34
	v_add_u32_e32 v17, v17, v18
	v_cndmask_b32_e64 v18, 0, 1, vcc
	v_lshlrev_b32_e32 v18, 3, v18
	v_add_lshl_u32 v40, v18, v28, 2
	ds_bpermute_b32 v18, v40, v17
	v_cmp_le_u32_e32 vcc, v41, v15
	s_waitcnt lgkmcnt(0)
	v_cndmask_b32_e32 v18, 0, v18, vcc
	v_cmp_gt_u32_e32 vcc, 48, v34
	v_add_u32_e32 v17, v17, v18
	v_cndmask_b32_e64 v18, 0, 1, vcc
	v_lshlrev_b32_e32 v18, 4, v18
	v_add_lshl_u32 v42, v18, v28, 2
	ds_bpermute_b32 v18, v42, v17
	v_cmp_le_u32_e32 vcc, v43, v15
	s_waitcnt lgkmcnt(0)
	v_cndmask_b32_e32 v18, 0, v18, vcc
	v_cmp_gt_u32_e32 vcc, 32, v34
	v_add_u32_e32 v17, v17, v18
	v_cndmask_b32_e64 v18, 0, 1, vcc
	v_lshlrev_b32_e32 v18, 5, v18
	v_add_lshl_u32 v44, v18, v28, 2
	ds_bpermute_b32 v18, v44, v17
	v_cmp_le_u32_e32 vcc, v45, v15
	s_waitcnt lgkmcnt(0)
	v_cndmask_b32_e32 v15, 0, v18, vcc
	v_add_u32_e32 v18, v17, v15
	v_mov_b32_e32 v17, 0
	s_branch .LBB603_44
.LBB603_43:                             ;   in Loop: Header=BB603_44 Depth=1
	s_or_b64 exec, exec, s[36:37]
	v_cmp_eq_u16_sdwa s[36:37], v19, v33 src0_sel:BYTE_0 src1_sel:DWORD
	v_and_b32_e32 v22, s37, v21
	v_or_b32_e32 v22, 0x80000000, v22
	ds_bpermute_b32 v46, v35, v18
	v_and_b32_e32 v23, s36, v20
	v_ffbl_b32_e32 v22, v22
	v_add_u32_e32 v22, 32, v22
	v_ffbl_b32_e32 v23, v23
	v_min_u32_e32 v22, v23, v22
	v_cmp_lt_u32_e32 vcc, v34, v22
	s_waitcnt lgkmcnt(0)
	v_cndmask_b32_e32 v23, 0, v46, vcc
	v_add_u32_e32 v18, v23, v18
	ds_bpermute_b32 v23, v36, v18
	v_cmp_le_u32_e32 vcc, v37, v22
	v_subrev_u32_e32 v16, 64, v16
	s_waitcnt lgkmcnt(0)
	v_cndmask_b32_e32 v23, 0, v23, vcc
	v_add_u32_e32 v18, v18, v23
	ds_bpermute_b32 v23, v38, v18
	v_cmp_le_u32_e32 vcc, v39, v22
	s_waitcnt lgkmcnt(0)
	v_cndmask_b32_e32 v23, 0, v23, vcc
	v_add_u32_e32 v18, v18, v23
	ds_bpermute_b32 v23, v40, v18
	v_cmp_le_u32_e32 vcc, v41, v22
	;; [unrolled: 5-line block ×4, first 2 shown]
	s_waitcnt lgkmcnt(0)
	v_cndmask_b32_e32 v22, 0, v23, vcc
	v_add3_u32 v18, v22, v15, v18
.LBB603_44:                             ; =>This Loop Header: Depth=1
                                        ;     Child Loop BB603_47 Depth 2
	v_cmp_ne_u16_sdwa s[36:37], v19, v33 src0_sel:BYTE_0 src1_sel:DWORD
	v_cndmask_b32_e64 v15, 0, 1, s[36:37]
	;;#ASMSTART
	;;#ASMEND
	v_cmp_ne_u32_e32 vcc, 0, v15
	s_cmp_lg_u64 vcc, exec
	v_mov_b32_e32 v15, v18
	s_cbranch_scc1 .LBB603_49
; %bb.45:                               ;   in Loop: Header=BB603_44 Depth=1
	v_lshlrev_b64 v[18:19], 3, v[16:17]
	v_mov_b32_e32 v23, s31
	v_add_co_u32_e32 v22, vcc, s30, v18
	v_addc_co_u32_e32 v23, vcc, v23, v19, vcc
	global_load_dwordx2 v[18:19], v[22:23], off glc
	s_waitcnt vmcnt(0)
	v_cmp_eq_u16_sdwa s[38:39], v19, v17 src0_sel:BYTE_0 src1_sel:DWORD
	s_and_saveexec_b64 s[36:37], s[38:39]
	s_cbranch_execz .LBB603_43
; %bb.46:                               ;   in Loop: Header=BB603_44 Depth=1
	s_mov_b64 s[38:39], 0
.LBB603_47:                             ;   Parent Loop BB603_44 Depth=1
                                        ; =>  This Inner Loop Header: Depth=2
	global_load_dwordx2 v[18:19], v[22:23], off glc
	s_waitcnt vmcnt(0)
	v_cmp_ne_u16_sdwa s[42:43], v19, v17 src0_sel:BYTE_0 src1_sel:DWORD
	s_or_b64 s[38:39], s[42:43], s[38:39]
	s_andn2_b64 exec, exec, s[38:39]
	s_cbranch_execnz .LBB603_47
; %bb.48:                               ;   in Loop: Header=BB603_44 Depth=1
	s_or_b64 exec, exec, s[38:39]
	s_branch .LBB603_43
.LBB603_49:                             ;   in Loop: Header=BB603_44 Depth=1
                                        ; implicit-def: $vgpr18
                                        ; implicit-def: $vgpr19
	s_cbranch_execz .LBB603_44
; %bb.50:
	s_and_saveexec_b64 s[36:37], s[16:17]
	s_cbranch_execz .LBB603_52
; %bb.51:
	s_add_i32 s38, s40, 64
	s_mov_b32 s39, 0
	s_lshl_b64 s[38:39], s[38:39], 3
	s_add_u32 s38, s30, s38
	v_add_u32_e32 v16, v15, v14
	v_mov_b32_e32 v17, 2
	s_addc_u32 s39, s31, s39
	v_mov_b32_e32 v18, 0
	global_store_dwordx2 v18, v[16:17], s[38:39]
	ds_write_b64 v18, v[14:15] offset:6336
.LBB603_52:
	s_or_b64 exec, exec, s[36:37]
	s_and_b64 exec, exec, s[0:1]
	s_cbranch_execz .LBB603_54
; %bb.53:
	v_mov_b32_e32 v14, 0
	ds_write_b32 v14, v15 offset:8
.LBB603_54:
	s_or_b64 exec, exec, s[34:35]
	v_mov_b32_e32 v14, 0
	s_waitcnt lgkmcnt(0)
	s_barrier
	ds_read_b32 v15, v14 offset:8
	v_cndmask_b32_e64 v16, v32, v31, s[16:17]
	v_cndmask_b32_e64 v16, v16, 0, s[0:1]
	s_waitcnt lgkmcnt(0)
	s_barrier
	v_add_u32_e32 v18, v15, v16
	ds_read_b64 v[14:15], v14 offset:6336
	v_add_u32_sdwa v19, v18, v26 dst_sel:DWORD dst_unused:UNUSED_PAD src0_sel:DWORD src1_sel:BYTE_0
	v_add_u32_sdwa v17, v19, v26 dst_sel:DWORD dst_unused:UNUSED_PAD src0_sel:DWORD src1_sel:BYTE_1
	v_add_u32_e32 v16, v17, v27
	s_branch .LBB603_65
.LBB603_55:
                                        ; implicit-def: $vgpr15
                                        ; implicit-def: $vgpr16
                                        ; implicit-def: $vgpr17
                                        ; implicit-def: $vgpr19
                                        ; implicit-def: $vgpr18
	s_cbranch_execz .LBB603_65
; %bb.56:
	s_waitcnt lgkmcnt(0)
	v_mov_b32_dpp v14, v30 row_shr:1 row_mask:0xf bank_mask:0xf
	v_cndmask_b32_e64 v14, v14, 0, s[14:15]
	v_add_u32_e32 v14, v14, v30
	s_nop 1
	v_mov_b32_dpp v15, v14 row_shr:2 row_mask:0xf bank_mask:0xf
	v_cndmask_b32_e64 v15, 0, v15, s[12:13]
	v_add_u32_e32 v14, v14, v15
	s_nop 1
	;; [unrolled: 4-line block ×4, first 2 shown]
	v_mov_b32_dpp v15, v14 row_bcast:15 row_mask:0xf bank_mask:0xf
	v_cndmask_b32_e64 v15, v15, 0, s[4:5]
	v_add_u32_e32 v14, v14, v15
	s_nop 1
	v_mov_b32_dpp v15, v14 row_bcast:31 row_mask:0xf bank_mask:0xf
	v_cndmask_b32_e64 v15, 0, v15, s[2:3]
	v_add_u32_e32 v14, v14, v15
	s_and_saveexec_b64 s[2:3], s[6:7]
	s_cbranch_execz .LBB603_58
; %bb.57:
	v_lshlrev_b32_e32 v15, 2, v29
	ds_write_b32 v15, v14
.LBB603_58:
	s_or_b64 exec, exec, s[2:3]
	v_cmp_gt_u32_e32 vcc, 3, v0
	s_waitcnt lgkmcnt(0)
	s_barrier
	s_and_saveexec_b64 s[2:3], vcc
	s_cbranch_execz .LBB603_60
; %bb.59:
	ds_read_b32 v15, v25
	v_and_b32_e32 v16, 3, v28
	v_cmp_ne_u32_e32 vcc, 0, v16
	s_waitcnt lgkmcnt(0)
	v_mov_b32_dpp v17, v15 row_shr:1 row_mask:0xf bank_mask:0xf
	v_cndmask_b32_e32 v17, 0, v17, vcc
	v_add_u32_e32 v15, v17, v15
	v_cmp_lt_u32_e32 vcc, 1, v16
	s_nop 0
	v_mov_b32_dpp v17, v15 row_shr:2 row_mask:0xf bank_mask:0xf
	v_cndmask_b32_e32 v16, 0, v17, vcc
	v_add_u32_e32 v15, v15, v16
	ds_write_b32 v25, v15
.LBB603_60:
	s_or_b64 exec, exec, s[2:3]
	v_cmp_lt_u32_e32 vcc, 63, v0
	v_mov_b32_e32 v15, 0
	v_mov_b32_e32 v16, 0
	s_waitcnt lgkmcnt(0)
	s_barrier
	s_and_saveexec_b64 s[2:3], vcc
	s_cbranch_execz .LBB603_62
; %bb.61:
	v_lshl_add_u32 v16, v29, 2, -4
	ds_read_b32 v16, v16
.LBB603_62:
	s_or_b64 exec, exec, s[2:3]
	v_add_u32_e32 v17, -1, v28
	v_and_b32_e32 v18, 64, v28
	v_cmp_lt_i32_e32 vcc, v17, v18
	v_cndmask_b32_e32 v17, v17, v28, vcc
	s_waitcnt lgkmcnt(0)
	v_add_u32_e32 v14, v16, v14
	v_lshlrev_b32_e32 v17, 2, v17
	ds_bpermute_b32 v17, v17, v14
	ds_read_b32 v14, v15 offset:8
	s_and_saveexec_b64 s[2:3], s[0:1]
	s_cbranch_execz .LBB603_64
; %bb.63:
	v_mov_b32_e32 v18, 0
	v_mov_b32_e32 v15, 2
	s_waitcnt lgkmcnt(0)
	global_store_dwordx2 v18, v[14:15], s[30:31] offset:512
.LBB603_64:
	s_or_b64 exec, exec, s[2:3]
	v_cmp_eq_u32_e32 vcc, 0, v28
	s_waitcnt lgkmcnt(1)
	v_cndmask_b32_e32 v16, v17, v16, vcc
	v_cndmask_b32_e64 v18, v16, 0, s[0:1]
	v_add_u32_sdwa v19, v18, v26 dst_sel:DWORD dst_unused:UNUSED_PAD src0_sel:DWORD src1_sel:BYTE_0
	v_add_u32_sdwa v17, v19, v26 dst_sel:DWORD dst_unused:UNUSED_PAD src0_sel:DWORD src1_sel:BYTE_1
	v_mov_b32_e32 v15, 0
	v_add_u32_e32 v16, v17, v27
	s_waitcnt lgkmcnt(0)
	s_barrier
.LBB603_65:
	s_waitcnt lgkmcnt(0)
	v_add_u32_e32 v21, v14, v25
	v_sub_u32_e32 v18, v18, v15
	v_and_b32_e32 v23, 1, v26
	v_sub_u32_e32 v22, v21, v18
	v_cmp_eq_u32_e32 vcc, 1, v23
	v_cndmask_b32_e32 v18, v22, v18, vcc
	v_lshlrev_b32_e32 v18, 3, v18
	v_lshrrev_b32_e32 v20, 8, v26
	ds_write_b64 v18, v[6:7]
	v_sub_u32_e32 v6, v19, v15
	v_sub_u32_e32 v7, v21, v6
	v_and_b32_e32 v18, 1, v20
	v_add_u32_e32 v7, 1, v7
	v_cmp_eq_u32_e32 vcc, 1, v18
	v_cndmask_b32_e32 v6, v7, v6, vcc
	v_lshlrev_b32_e32 v6, 3, v6
	ds_write_b64 v6, v[8:9]
	v_sub_u32_e32 v6, v17, v15
	v_mov_b32_e32 v8, 1
	v_sub_u32_e32 v7, v21, v6
	v_and_b32_sdwa v8, v8, v26 dst_sel:DWORD dst_unused:UNUSED_PAD src0_sel:DWORD src1_sel:WORD_1
	v_add_u32_e32 v7, 2, v7
	v_cmp_eq_u32_e32 vcc, 1, v8
	v_cndmask_b32_e32 v6, v7, v6, vcc
	v_lshlrev_b32_e32 v6, 3, v6
	ds_write_b64 v6, v[2:3]
	v_sub_u32_e32 v2, v16, v15
	v_sub_u32_e32 v3, v21, v2
	v_and_b32_e32 v1, 1, v1
	v_add_u32_e32 v3, 3, v3
	v_cmp_eq_u32_e32 vcc, 1, v1
	v_cndmask_b32_e32 v1, v3, v2, vcc
	s_waitcnt vmcnt(0)
	v_add_co_u32_e32 v20, vcc, v10, v15
	v_addc_co_u32_e32 v21, vcc, 0, v11, vcc
	v_add_co_u32_e32 v10, vcc, v20, v14
	v_addc_co_u32_e32 v11, vcc, 0, v21, vcc
	v_mov_b32_e32 v15, s19
	v_sub_co_u32_e32 v22, vcc, s18, v10
	v_subb_co_u32_e32 v23, vcc, v15, v11, vcc
	v_lshlrev_b32_e32 v1, 3, v1
	v_lshlrev_b64 v[22:23], 3, v[22:23]
	ds_write_b64 v1, v[4:5]
	s_waitcnt lgkmcnt(0)
	s_barrier
	ds_read2st64_b64 v[6:9], v24 offset1:3
	ds_read2st64_b64 v[2:5], v24 offset0:6 offset1:9
	v_mov_b32_e32 v15, s27
	v_add_co_u32_e32 v17, vcc, s26, v22
	v_addc_co_u32_e32 v15, vcc, v15, v23, vcc
	v_add_co_u32_e32 v12, vcc, v17, v12
	v_lshlrev_b64 v[20:21], 3, v[20:21]
	v_addc_co_u32_e32 v13, vcc, v15, v13, vcc
	v_mov_b32_e32 v17, s25
	v_add_co_u32_e64 v15, s[2:3], s24, v20
	v_add_u32_e32 v18, 0xc0, v0
	v_add_u32_e32 v16, 0x180, v0
	;; [unrolled: 1-line block ×3, first 2 shown]
	s_andn2_b64 vcc, exec, s[28:29]
	v_addc_co_u32_e64 v17, s[2:3], v17, v21, s[2:3]
	s_cbranch_vccnz .LBB603_67
; %bb.66:
	v_cmp_lt_u32_e32 vcc, v0, v14
	v_cndmask_b32_e32 v20, v12, v15, vcc
	v_cndmask_b32_e32 v19, v13, v17, vcc
	v_add_co_u32_e32 v20, vcc, v20, v24
	v_addc_co_u32_e32 v21, vcc, 0, v19, vcc
	v_cmp_lt_u32_e32 vcc, v18, v14
	s_waitcnt lgkmcnt(1)
	global_store_dwordx2 v[20:21], v[6:7], off
	v_cndmask_b32_e32 v20, v12, v15, vcc
	v_cndmask_b32_e32 v19, v13, v17, vcc
	v_add_co_u32_e32 v20, vcc, v20, v24
	v_addc_co_u32_e32 v21, vcc, 0, v19, vcc
	v_cmp_lt_u32_e32 vcc, v16, v14
	global_store_dwordx2 v[20:21], v[8:9], off offset:1536
	v_cndmask_b32_e32 v20, v12, v15, vcc
	v_cndmask_b32_e32 v19, v13, v17, vcc
	v_add_co_u32_e32 v20, vcc, v20, v24
	v_addc_co_u32_e32 v21, vcc, 0, v19, vcc
	s_mov_b64 s[2:3], -1
	s_waitcnt lgkmcnt(0)
	global_store_dwordx2 v[20:21], v[2:3], off offset:3072
	s_cbranch_execz .LBB603_68
	s_branch .LBB603_73
.LBB603_67:
	s_mov_b64 s[2:3], 0
.LBB603_68:
	v_cmp_gt_u32_e32 vcc, s33, v0
	s_and_saveexec_b64 s[2:3], vcc
	s_cbranch_execnz .LBB603_78
; %bb.69:
	s_or_b64 exec, exec, s[2:3]
	v_cmp_gt_u32_e32 vcc, s33, v18
	s_and_saveexec_b64 s[2:3], vcc
	s_cbranch_execnz .LBB603_79
.LBB603_70:
	s_or_b64 exec, exec, s[2:3]
	v_cmp_gt_u32_e32 vcc, s33, v16
	s_and_saveexec_b64 s[2:3], vcc
	s_cbranch_execz .LBB603_72
.LBB603_71:
	v_cmp_lt_u32_e32 vcc, v16, v14
	s_waitcnt lgkmcnt(1)
	v_cndmask_b32_e32 v6, v12, v15, vcc
	v_cndmask_b32_e32 v0, v13, v17, vcc
	v_add_co_u32_e32 v6, vcc, v6, v24
	v_addc_co_u32_e32 v7, vcc, 0, v0, vcc
	s_waitcnt lgkmcnt(0)
	global_store_dwordx2 v[6:7], v[2:3], off offset:3072
.LBB603_72:
	s_or_b64 exec, exec, s[2:3]
	v_cmp_gt_u32_e64 s[2:3], s33, v1
.LBB603_73:
	s_and_saveexec_b64 s[4:5], s[2:3]
	s_cbranch_execnz .LBB603_76
; %bb.74:
	s_or_b64 exec, exec, s[4:5]
	s_and_b64 s[0:1], s[0:1], s[22:23]
	s_and_saveexec_b64 s[2:3], s[0:1]
	s_cbranch_execnz .LBB603_77
.LBB603_75:
	s_endpgm
.LBB603_76:
	v_cmp_lt_u32_e32 vcc, v1, v14
	v_cndmask_b32_e32 v0, v12, v15, vcc
	v_lshlrev_b32_e32 v1, 3, v1
	s_waitcnt lgkmcnt(0)
	v_cndmask_b32_e32 v2, v13, v17, vcc
	v_add_co_u32_e32 v0, vcc, v0, v1
	v_addc_co_u32_e32 v1, vcc, 0, v2, vcc
	global_store_dwordx2 v[0:1], v[4:5], off
	s_or_b64 exec, exec, s[4:5]
	s_and_b64 s[0:1], s[0:1], s[22:23]
	s_and_saveexec_b64 s[2:3], s[0:1]
	s_cbranch_execz .LBB603_75
.LBB603_77:
	v_mov_b32_e32 v0, 0
	global_store_dwordx2 v0, v[10:11], s[20:21]
	s_endpgm
.LBB603_78:
	v_cmp_lt_u32_e32 vcc, v0, v14
	v_cndmask_b32_e32 v19, v12, v15, vcc
	v_cndmask_b32_e32 v0, v13, v17, vcc
	v_add_co_u32_e32 v20, vcc, v19, v24
	v_addc_co_u32_e32 v21, vcc, 0, v0, vcc
	s_waitcnt lgkmcnt(1)
	global_store_dwordx2 v[20:21], v[6:7], off
	s_or_b64 exec, exec, s[2:3]
	v_cmp_gt_u32_e32 vcc, s33, v18
	s_and_saveexec_b64 s[2:3], vcc
	s_cbranch_execz .LBB603_70
.LBB603_79:
	v_cmp_lt_u32_e32 vcc, v18, v14
	s_waitcnt lgkmcnt(1)
	v_cndmask_b32_e32 v6, v12, v15, vcc
	v_cndmask_b32_e32 v0, v13, v17, vcc
	v_add_co_u32_e32 v6, vcc, v6, v24
	v_addc_co_u32_e32 v7, vcc, 0, v0, vcc
	global_store_dwordx2 v[6:7], v[8:9], off offset:1536
	s_or_b64 exec, exec, s[2:3]
	v_cmp_gt_u32_e32 vcc, s33, v16
	s_and_saveexec_b64 s[2:3], vcc
	s_cbranch_execnz .LBB603_71
	s_branch .LBB603_72
	.section	.rodata,"a",@progbits
	.p2align	6, 0x0
	.amdhsa_kernel _ZN7rocprim17ROCPRIM_400000_NS6detail17trampoline_kernelINS0_14default_configENS1_25partition_config_selectorILNS1_17partition_subalgoE1ExNS0_10empty_typeEbEEZZNS1_14partition_implILS5_1ELb0ES3_jN6thrust23THRUST_200600_302600_NS6detail15normal_iteratorINSA_10device_ptrIxEEEEPS6_NSA_18transform_iteratorINSA_8identityIxEESF_NSA_11use_defaultESK_EENS0_5tupleIJSF_SF_EEENSM_IJSG_SG_EEES6_PlJS6_EEE10hipError_tPvRmT3_T4_T5_T6_T7_T9_mT8_P12ihipStream_tbDpT10_ENKUlT_T0_E_clISt17integral_constantIbLb0EES18_IbLb1EEEEDaS14_S15_EUlS14_E_NS1_11comp_targetILNS1_3genE4ELNS1_11target_archE910ELNS1_3gpuE8ELNS1_3repE0EEENS1_30default_config_static_selectorELNS0_4arch9wavefront6targetE1EEEvT1_
		.amdhsa_group_segment_fixed_size 6344
		.amdhsa_private_segment_fixed_size 0
		.amdhsa_kernarg_size 144
		.amdhsa_user_sgpr_count 6
		.amdhsa_user_sgpr_private_segment_buffer 1
		.amdhsa_user_sgpr_dispatch_ptr 0
		.amdhsa_user_sgpr_queue_ptr 0
		.amdhsa_user_sgpr_kernarg_segment_ptr 1
		.amdhsa_user_sgpr_dispatch_id 0
		.amdhsa_user_sgpr_flat_scratch_init 0
		.amdhsa_user_sgpr_kernarg_preload_length 0
		.amdhsa_user_sgpr_kernarg_preload_offset 0
		.amdhsa_user_sgpr_private_segment_size 0
		.amdhsa_uses_dynamic_stack 0
		.amdhsa_system_sgpr_private_segment_wavefront_offset 0
		.amdhsa_system_sgpr_workgroup_id_x 1
		.amdhsa_system_sgpr_workgroup_id_y 0
		.amdhsa_system_sgpr_workgroup_id_z 0
		.amdhsa_system_sgpr_workgroup_info 0
		.amdhsa_system_vgpr_workitem_id 0
		.amdhsa_next_free_vgpr 47
		.amdhsa_next_free_sgpr 44
		.amdhsa_accum_offset 48
		.amdhsa_reserve_vcc 1
		.amdhsa_reserve_flat_scratch 0
		.amdhsa_float_round_mode_32 0
		.amdhsa_float_round_mode_16_64 0
		.amdhsa_float_denorm_mode_32 3
		.amdhsa_float_denorm_mode_16_64 3
		.amdhsa_dx10_clamp 1
		.amdhsa_ieee_mode 1
		.amdhsa_fp16_overflow 0
		.amdhsa_tg_split 0
		.amdhsa_exception_fp_ieee_invalid_op 0
		.amdhsa_exception_fp_denorm_src 0
		.amdhsa_exception_fp_ieee_div_zero 0
		.amdhsa_exception_fp_ieee_overflow 0
		.amdhsa_exception_fp_ieee_underflow 0
		.amdhsa_exception_fp_ieee_inexact 0
		.amdhsa_exception_int_div_zero 0
	.end_amdhsa_kernel
	.section	.text._ZN7rocprim17ROCPRIM_400000_NS6detail17trampoline_kernelINS0_14default_configENS1_25partition_config_selectorILNS1_17partition_subalgoE1ExNS0_10empty_typeEbEEZZNS1_14partition_implILS5_1ELb0ES3_jN6thrust23THRUST_200600_302600_NS6detail15normal_iteratorINSA_10device_ptrIxEEEEPS6_NSA_18transform_iteratorINSA_8identityIxEESF_NSA_11use_defaultESK_EENS0_5tupleIJSF_SF_EEENSM_IJSG_SG_EEES6_PlJS6_EEE10hipError_tPvRmT3_T4_T5_T6_T7_T9_mT8_P12ihipStream_tbDpT10_ENKUlT_T0_E_clISt17integral_constantIbLb0EES18_IbLb1EEEEDaS14_S15_EUlS14_E_NS1_11comp_targetILNS1_3genE4ELNS1_11target_archE910ELNS1_3gpuE8ELNS1_3repE0EEENS1_30default_config_static_selectorELNS0_4arch9wavefront6targetE1EEEvT1_,"axG",@progbits,_ZN7rocprim17ROCPRIM_400000_NS6detail17trampoline_kernelINS0_14default_configENS1_25partition_config_selectorILNS1_17partition_subalgoE1ExNS0_10empty_typeEbEEZZNS1_14partition_implILS5_1ELb0ES3_jN6thrust23THRUST_200600_302600_NS6detail15normal_iteratorINSA_10device_ptrIxEEEEPS6_NSA_18transform_iteratorINSA_8identityIxEESF_NSA_11use_defaultESK_EENS0_5tupleIJSF_SF_EEENSM_IJSG_SG_EEES6_PlJS6_EEE10hipError_tPvRmT3_T4_T5_T6_T7_T9_mT8_P12ihipStream_tbDpT10_ENKUlT_T0_E_clISt17integral_constantIbLb0EES18_IbLb1EEEEDaS14_S15_EUlS14_E_NS1_11comp_targetILNS1_3genE4ELNS1_11target_archE910ELNS1_3gpuE8ELNS1_3repE0EEENS1_30default_config_static_selectorELNS0_4arch9wavefront6targetE1EEEvT1_,comdat
.Lfunc_end603:
	.size	_ZN7rocprim17ROCPRIM_400000_NS6detail17trampoline_kernelINS0_14default_configENS1_25partition_config_selectorILNS1_17partition_subalgoE1ExNS0_10empty_typeEbEEZZNS1_14partition_implILS5_1ELb0ES3_jN6thrust23THRUST_200600_302600_NS6detail15normal_iteratorINSA_10device_ptrIxEEEEPS6_NSA_18transform_iteratorINSA_8identityIxEESF_NSA_11use_defaultESK_EENS0_5tupleIJSF_SF_EEENSM_IJSG_SG_EEES6_PlJS6_EEE10hipError_tPvRmT3_T4_T5_T6_T7_T9_mT8_P12ihipStream_tbDpT10_ENKUlT_T0_E_clISt17integral_constantIbLb0EES18_IbLb1EEEEDaS14_S15_EUlS14_E_NS1_11comp_targetILNS1_3genE4ELNS1_11target_archE910ELNS1_3gpuE8ELNS1_3repE0EEENS1_30default_config_static_selectorELNS0_4arch9wavefront6targetE1EEEvT1_, .Lfunc_end603-_ZN7rocprim17ROCPRIM_400000_NS6detail17trampoline_kernelINS0_14default_configENS1_25partition_config_selectorILNS1_17partition_subalgoE1ExNS0_10empty_typeEbEEZZNS1_14partition_implILS5_1ELb0ES3_jN6thrust23THRUST_200600_302600_NS6detail15normal_iteratorINSA_10device_ptrIxEEEEPS6_NSA_18transform_iteratorINSA_8identityIxEESF_NSA_11use_defaultESK_EENS0_5tupleIJSF_SF_EEENSM_IJSG_SG_EEES6_PlJS6_EEE10hipError_tPvRmT3_T4_T5_T6_T7_T9_mT8_P12ihipStream_tbDpT10_ENKUlT_T0_E_clISt17integral_constantIbLb0EES18_IbLb1EEEEDaS14_S15_EUlS14_E_NS1_11comp_targetILNS1_3genE4ELNS1_11target_archE910ELNS1_3gpuE8ELNS1_3repE0EEENS1_30default_config_static_selectorELNS0_4arch9wavefront6targetE1EEEvT1_
                                        ; -- End function
	.section	.AMDGPU.csdata,"",@progbits
; Kernel info:
; codeLenInByte = 4132
; NumSgprs: 48
; NumVgprs: 47
; NumAgprs: 0
; TotalNumVgprs: 47
; ScratchSize: 0
; MemoryBound: 0
; FloatMode: 240
; IeeeMode: 1
; LDSByteSize: 6344 bytes/workgroup (compile time only)
; SGPRBlocks: 5
; VGPRBlocks: 5
; NumSGPRsForWavesPerEU: 48
; NumVGPRsForWavesPerEU: 47
; AccumOffset: 48
; Occupancy: 8
; WaveLimiterHint : 1
; COMPUTE_PGM_RSRC2:SCRATCH_EN: 0
; COMPUTE_PGM_RSRC2:USER_SGPR: 6
; COMPUTE_PGM_RSRC2:TRAP_HANDLER: 0
; COMPUTE_PGM_RSRC2:TGID_X_EN: 1
; COMPUTE_PGM_RSRC2:TGID_Y_EN: 0
; COMPUTE_PGM_RSRC2:TGID_Z_EN: 0
; COMPUTE_PGM_RSRC2:TIDIG_COMP_CNT: 0
; COMPUTE_PGM_RSRC3_GFX90A:ACCUM_OFFSET: 11
; COMPUTE_PGM_RSRC3_GFX90A:TG_SPLIT: 0
	.section	.text._ZN7rocprim17ROCPRIM_400000_NS6detail17trampoline_kernelINS0_14default_configENS1_25partition_config_selectorILNS1_17partition_subalgoE1ExNS0_10empty_typeEbEEZZNS1_14partition_implILS5_1ELb0ES3_jN6thrust23THRUST_200600_302600_NS6detail15normal_iteratorINSA_10device_ptrIxEEEEPS6_NSA_18transform_iteratorINSA_8identityIxEESF_NSA_11use_defaultESK_EENS0_5tupleIJSF_SF_EEENSM_IJSG_SG_EEES6_PlJS6_EEE10hipError_tPvRmT3_T4_T5_T6_T7_T9_mT8_P12ihipStream_tbDpT10_ENKUlT_T0_E_clISt17integral_constantIbLb0EES18_IbLb1EEEEDaS14_S15_EUlS14_E_NS1_11comp_targetILNS1_3genE3ELNS1_11target_archE908ELNS1_3gpuE7ELNS1_3repE0EEENS1_30default_config_static_selectorELNS0_4arch9wavefront6targetE1EEEvT1_,"axG",@progbits,_ZN7rocprim17ROCPRIM_400000_NS6detail17trampoline_kernelINS0_14default_configENS1_25partition_config_selectorILNS1_17partition_subalgoE1ExNS0_10empty_typeEbEEZZNS1_14partition_implILS5_1ELb0ES3_jN6thrust23THRUST_200600_302600_NS6detail15normal_iteratorINSA_10device_ptrIxEEEEPS6_NSA_18transform_iteratorINSA_8identityIxEESF_NSA_11use_defaultESK_EENS0_5tupleIJSF_SF_EEENSM_IJSG_SG_EEES6_PlJS6_EEE10hipError_tPvRmT3_T4_T5_T6_T7_T9_mT8_P12ihipStream_tbDpT10_ENKUlT_T0_E_clISt17integral_constantIbLb0EES18_IbLb1EEEEDaS14_S15_EUlS14_E_NS1_11comp_targetILNS1_3genE3ELNS1_11target_archE908ELNS1_3gpuE7ELNS1_3repE0EEENS1_30default_config_static_selectorELNS0_4arch9wavefront6targetE1EEEvT1_,comdat
	.protected	_ZN7rocprim17ROCPRIM_400000_NS6detail17trampoline_kernelINS0_14default_configENS1_25partition_config_selectorILNS1_17partition_subalgoE1ExNS0_10empty_typeEbEEZZNS1_14partition_implILS5_1ELb0ES3_jN6thrust23THRUST_200600_302600_NS6detail15normal_iteratorINSA_10device_ptrIxEEEEPS6_NSA_18transform_iteratorINSA_8identityIxEESF_NSA_11use_defaultESK_EENS0_5tupleIJSF_SF_EEENSM_IJSG_SG_EEES6_PlJS6_EEE10hipError_tPvRmT3_T4_T5_T6_T7_T9_mT8_P12ihipStream_tbDpT10_ENKUlT_T0_E_clISt17integral_constantIbLb0EES18_IbLb1EEEEDaS14_S15_EUlS14_E_NS1_11comp_targetILNS1_3genE3ELNS1_11target_archE908ELNS1_3gpuE7ELNS1_3repE0EEENS1_30default_config_static_selectorELNS0_4arch9wavefront6targetE1EEEvT1_ ; -- Begin function _ZN7rocprim17ROCPRIM_400000_NS6detail17trampoline_kernelINS0_14default_configENS1_25partition_config_selectorILNS1_17partition_subalgoE1ExNS0_10empty_typeEbEEZZNS1_14partition_implILS5_1ELb0ES3_jN6thrust23THRUST_200600_302600_NS6detail15normal_iteratorINSA_10device_ptrIxEEEEPS6_NSA_18transform_iteratorINSA_8identityIxEESF_NSA_11use_defaultESK_EENS0_5tupleIJSF_SF_EEENSM_IJSG_SG_EEES6_PlJS6_EEE10hipError_tPvRmT3_T4_T5_T6_T7_T9_mT8_P12ihipStream_tbDpT10_ENKUlT_T0_E_clISt17integral_constantIbLb0EES18_IbLb1EEEEDaS14_S15_EUlS14_E_NS1_11comp_targetILNS1_3genE3ELNS1_11target_archE908ELNS1_3gpuE7ELNS1_3repE0EEENS1_30default_config_static_selectorELNS0_4arch9wavefront6targetE1EEEvT1_
	.globl	_ZN7rocprim17ROCPRIM_400000_NS6detail17trampoline_kernelINS0_14default_configENS1_25partition_config_selectorILNS1_17partition_subalgoE1ExNS0_10empty_typeEbEEZZNS1_14partition_implILS5_1ELb0ES3_jN6thrust23THRUST_200600_302600_NS6detail15normal_iteratorINSA_10device_ptrIxEEEEPS6_NSA_18transform_iteratorINSA_8identityIxEESF_NSA_11use_defaultESK_EENS0_5tupleIJSF_SF_EEENSM_IJSG_SG_EEES6_PlJS6_EEE10hipError_tPvRmT3_T4_T5_T6_T7_T9_mT8_P12ihipStream_tbDpT10_ENKUlT_T0_E_clISt17integral_constantIbLb0EES18_IbLb1EEEEDaS14_S15_EUlS14_E_NS1_11comp_targetILNS1_3genE3ELNS1_11target_archE908ELNS1_3gpuE7ELNS1_3repE0EEENS1_30default_config_static_selectorELNS0_4arch9wavefront6targetE1EEEvT1_
	.p2align	8
	.type	_ZN7rocprim17ROCPRIM_400000_NS6detail17trampoline_kernelINS0_14default_configENS1_25partition_config_selectorILNS1_17partition_subalgoE1ExNS0_10empty_typeEbEEZZNS1_14partition_implILS5_1ELb0ES3_jN6thrust23THRUST_200600_302600_NS6detail15normal_iteratorINSA_10device_ptrIxEEEEPS6_NSA_18transform_iteratorINSA_8identityIxEESF_NSA_11use_defaultESK_EENS0_5tupleIJSF_SF_EEENSM_IJSG_SG_EEES6_PlJS6_EEE10hipError_tPvRmT3_T4_T5_T6_T7_T9_mT8_P12ihipStream_tbDpT10_ENKUlT_T0_E_clISt17integral_constantIbLb0EES18_IbLb1EEEEDaS14_S15_EUlS14_E_NS1_11comp_targetILNS1_3genE3ELNS1_11target_archE908ELNS1_3gpuE7ELNS1_3repE0EEENS1_30default_config_static_selectorELNS0_4arch9wavefront6targetE1EEEvT1_,@function
_ZN7rocprim17ROCPRIM_400000_NS6detail17trampoline_kernelINS0_14default_configENS1_25partition_config_selectorILNS1_17partition_subalgoE1ExNS0_10empty_typeEbEEZZNS1_14partition_implILS5_1ELb0ES3_jN6thrust23THRUST_200600_302600_NS6detail15normal_iteratorINSA_10device_ptrIxEEEEPS6_NSA_18transform_iteratorINSA_8identityIxEESF_NSA_11use_defaultESK_EENS0_5tupleIJSF_SF_EEENSM_IJSG_SG_EEES6_PlJS6_EEE10hipError_tPvRmT3_T4_T5_T6_T7_T9_mT8_P12ihipStream_tbDpT10_ENKUlT_T0_E_clISt17integral_constantIbLb0EES18_IbLb1EEEEDaS14_S15_EUlS14_E_NS1_11comp_targetILNS1_3genE3ELNS1_11target_archE908ELNS1_3gpuE7ELNS1_3repE0EEENS1_30default_config_static_selectorELNS0_4arch9wavefront6targetE1EEEvT1_: ; @_ZN7rocprim17ROCPRIM_400000_NS6detail17trampoline_kernelINS0_14default_configENS1_25partition_config_selectorILNS1_17partition_subalgoE1ExNS0_10empty_typeEbEEZZNS1_14partition_implILS5_1ELb0ES3_jN6thrust23THRUST_200600_302600_NS6detail15normal_iteratorINSA_10device_ptrIxEEEEPS6_NSA_18transform_iteratorINSA_8identityIxEESF_NSA_11use_defaultESK_EENS0_5tupleIJSF_SF_EEENSM_IJSG_SG_EEES6_PlJS6_EEE10hipError_tPvRmT3_T4_T5_T6_T7_T9_mT8_P12ihipStream_tbDpT10_ENKUlT_T0_E_clISt17integral_constantIbLb0EES18_IbLb1EEEEDaS14_S15_EUlS14_E_NS1_11comp_targetILNS1_3genE3ELNS1_11target_archE908ELNS1_3gpuE7ELNS1_3repE0EEENS1_30default_config_static_selectorELNS0_4arch9wavefront6targetE1EEEvT1_
; %bb.0:
	.section	.rodata,"a",@progbits
	.p2align	6, 0x0
	.amdhsa_kernel _ZN7rocprim17ROCPRIM_400000_NS6detail17trampoline_kernelINS0_14default_configENS1_25partition_config_selectorILNS1_17partition_subalgoE1ExNS0_10empty_typeEbEEZZNS1_14partition_implILS5_1ELb0ES3_jN6thrust23THRUST_200600_302600_NS6detail15normal_iteratorINSA_10device_ptrIxEEEEPS6_NSA_18transform_iteratorINSA_8identityIxEESF_NSA_11use_defaultESK_EENS0_5tupleIJSF_SF_EEENSM_IJSG_SG_EEES6_PlJS6_EEE10hipError_tPvRmT3_T4_T5_T6_T7_T9_mT8_P12ihipStream_tbDpT10_ENKUlT_T0_E_clISt17integral_constantIbLb0EES18_IbLb1EEEEDaS14_S15_EUlS14_E_NS1_11comp_targetILNS1_3genE3ELNS1_11target_archE908ELNS1_3gpuE7ELNS1_3repE0EEENS1_30default_config_static_selectorELNS0_4arch9wavefront6targetE1EEEvT1_
		.amdhsa_group_segment_fixed_size 0
		.amdhsa_private_segment_fixed_size 0
		.amdhsa_kernarg_size 144
		.amdhsa_user_sgpr_count 6
		.amdhsa_user_sgpr_private_segment_buffer 1
		.amdhsa_user_sgpr_dispatch_ptr 0
		.amdhsa_user_sgpr_queue_ptr 0
		.amdhsa_user_sgpr_kernarg_segment_ptr 1
		.amdhsa_user_sgpr_dispatch_id 0
		.amdhsa_user_sgpr_flat_scratch_init 0
		.amdhsa_user_sgpr_kernarg_preload_length 0
		.amdhsa_user_sgpr_kernarg_preload_offset 0
		.amdhsa_user_sgpr_private_segment_size 0
		.amdhsa_uses_dynamic_stack 0
		.amdhsa_system_sgpr_private_segment_wavefront_offset 0
		.amdhsa_system_sgpr_workgroup_id_x 1
		.amdhsa_system_sgpr_workgroup_id_y 0
		.amdhsa_system_sgpr_workgroup_id_z 0
		.amdhsa_system_sgpr_workgroup_info 0
		.amdhsa_system_vgpr_workitem_id 0
		.amdhsa_next_free_vgpr 1
		.amdhsa_next_free_sgpr 0
		.amdhsa_accum_offset 4
		.amdhsa_reserve_vcc 0
		.amdhsa_reserve_flat_scratch 0
		.amdhsa_float_round_mode_32 0
		.amdhsa_float_round_mode_16_64 0
		.amdhsa_float_denorm_mode_32 3
		.amdhsa_float_denorm_mode_16_64 3
		.amdhsa_dx10_clamp 1
		.amdhsa_ieee_mode 1
		.amdhsa_fp16_overflow 0
		.amdhsa_tg_split 0
		.amdhsa_exception_fp_ieee_invalid_op 0
		.amdhsa_exception_fp_denorm_src 0
		.amdhsa_exception_fp_ieee_div_zero 0
		.amdhsa_exception_fp_ieee_overflow 0
		.amdhsa_exception_fp_ieee_underflow 0
		.amdhsa_exception_fp_ieee_inexact 0
		.amdhsa_exception_int_div_zero 0
	.end_amdhsa_kernel
	.section	.text._ZN7rocprim17ROCPRIM_400000_NS6detail17trampoline_kernelINS0_14default_configENS1_25partition_config_selectorILNS1_17partition_subalgoE1ExNS0_10empty_typeEbEEZZNS1_14partition_implILS5_1ELb0ES3_jN6thrust23THRUST_200600_302600_NS6detail15normal_iteratorINSA_10device_ptrIxEEEEPS6_NSA_18transform_iteratorINSA_8identityIxEESF_NSA_11use_defaultESK_EENS0_5tupleIJSF_SF_EEENSM_IJSG_SG_EEES6_PlJS6_EEE10hipError_tPvRmT3_T4_T5_T6_T7_T9_mT8_P12ihipStream_tbDpT10_ENKUlT_T0_E_clISt17integral_constantIbLb0EES18_IbLb1EEEEDaS14_S15_EUlS14_E_NS1_11comp_targetILNS1_3genE3ELNS1_11target_archE908ELNS1_3gpuE7ELNS1_3repE0EEENS1_30default_config_static_selectorELNS0_4arch9wavefront6targetE1EEEvT1_,"axG",@progbits,_ZN7rocprim17ROCPRIM_400000_NS6detail17trampoline_kernelINS0_14default_configENS1_25partition_config_selectorILNS1_17partition_subalgoE1ExNS0_10empty_typeEbEEZZNS1_14partition_implILS5_1ELb0ES3_jN6thrust23THRUST_200600_302600_NS6detail15normal_iteratorINSA_10device_ptrIxEEEEPS6_NSA_18transform_iteratorINSA_8identityIxEESF_NSA_11use_defaultESK_EENS0_5tupleIJSF_SF_EEENSM_IJSG_SG_EEES6_PlJS6_EEE10hipError_tPvRmT3_T4_T5_T6_T7_T9_mT8_P12ihipStream_tbDpT10_ENKUlT_T0_E_clISt17integral_constantIbLb0EES18_IbLb1EEEEDaS14_S15_EUlS14_E_NS1_11comp_targetILNS1_3genE3ELNS1_11target_archE908ELNS1_3gpuE7ELNS1_3repE0EEENS1_30default_config_static_selectorELNS0_4arch9wavefront6targetE1EEEvT1_,comdat
.Lfunc_end604:
	.size	_ZN7rocprim17ROCPRIM_400000_NS6detail17trampoline_kernelINS0_14default_configENS1_25partition_config_selectorILNS1_17partition_subalgoE1ExNS0_10empty_typeEbEEZZNS1_14partition_implILS5_1ELb0ES3_jN6thrust23THRUST_200600_302600_NS6detail15normal_iteratorINSA_10device_ptrIxEEEEPS6_NSA_18transform_iteratorINSA_8identityIxEESF_NSA_11use_defaultESK_EENS0_5tupleIJSF_SF_EEENSM_IJSG_SG_EEES6_PlJS6_EEE10hipError_tPvRmT3_T4_T5_T6_T7_T9_mT8_P12ihipStream_tbDpT10_ENKUlT_T0_E_clISt17integral_constantIbLb0EES18_IbLb1EEEEDaS14_S15_EUlS14_E_NS1_11comp_targetILNS1_3genE3ELNS1_11target_archE908ELNS1_3gpuE7ELNS1_3repE0EEENS1_30default_config_static_selectorELNS0_4arch9wavefront6targetE1EEEvT1_, .Lfunc_end604-_ZN7rocprim17ROCPRIM_400000_NS6detail17trampoline_kernelINS0_14default_configENS1_25partition_config_selectorILNS1_17partition_subalgoE1ExNS0_10empty_typeEbEEZZNS1_14partition_implILS5_1ELb0ES3_jN6thrust23THRUST_200600_302600_NS6detail15normal_iteratorINSA_10device_ptrIxEEEEPS6_NSA_18transform_iteratorINSA_8identityIxEESF_NSA_11use_defaultESK_EENS0_5tupleIJSF_SF_EEENSM_IJSG_SG_EEES6_PlJS6_EEE10hipError_tPvRmT3_T4_T5_T6_T7_T9_mT8_P12ihipStream_tbDpT10_ENKUlT_T0_E_clISt17integral_constantIbLb0EES18_IbLb1EEEEDaS14_S15_EUlS14_E_NS1_11comp_targetILNS1_3genE3ELNS1_11target_archE908ELNS1_3gpuE7ELNS1_3repE0EEENS1_30default_config_static_selectorELNS0_4arch9wavefront6targetE1EEEvT1_
                                        ; -- End function
	.section	.AMDGPU.csdata,"",@progbits
; Kernel info:
; codeLenInByte = 0
; NumSgprs: 4
; NumVgprs: 0
; NumAgprs: 0
; TotalNumVgprs: 0
; ScratchSize: 0
; MemoryBound: 0
; FloatMode: 240
; IeeeMode: 1
; LDSByteSize: 0 bytes/workgroup (compile time only)
; SGPRBlocks: 0
; VGPRBlocks: 0
; NumSGPRsForWavesPerEU: 4
; NumVGPRsForWavesPerEU: 1
; AccumOffset: 4
; Occupancy: 8
; WaveLimiterHint : 0
; COMPUTE_PGM_RSRC2:SCRATCH_EN: 0
; COMPUTE_PGM_RSRC2:USER_SGPR: 6
; COMPUTE_PGM_RSRC2:TRAP_HANDLER: 0
; COMPUTE_PGM_RSRC2:TGID_X_EN: 1
; COMPUTE_PGM_RSRC2:TGID_Y_EN: 0
; COMPUTE_PGM_RSRC2:TGID_Z_EN: 0
; COMPUTE_PGM_RSRC2:TIDIG_COMP_CNT: 0
; COMPUTE_PGM_RSRC3_GFX90A:ACCUM_OFFSET: 0
; COMPUTE_PGM_RSRC3_GFX90A:TG_SPLIT: 0
	.section	.text._ZN7rocprim17ROCPRIM_400000_NS6detail17trampoline_kernelINS0_14default_configENS1_25partition_config_selectorILNS1_17partition_subalgoE1ExNS0_10empty_typeEbEEZZNS1_14partition_implILS5_1ELb0ES3_jN6thrust23THRUST_200600_302600_NS6detail15normal_iteratorINSA_10device_ptrIxEEEEPS6_NSA_18transform_iteratorINSA_8identityIxEESF_NSA_11use_defaultESK_EENS0_5tupleIJSF_SF_EEENSM_IJSG_SG_EEES6_PlJS6_EEE10hipError_tPvRmT3_T4_T5_T6_T7_T9_mT8_P12ihipStream_tbDpT10_ENKUlT_T0_E_clISt17integral_constantIbLb0EES18_IbLb1EEEEDaS14_S15_EUlS14_E_NS1_11comp_targetILNS1_3genE2ELNS1_11target_archE906ELNS1_3gpuE6ELNS1_3repE0EEENS1_30default_config_static_selectorELNS0_4arch9wavefront6targetE1EEEvT1_,"axG",@progbits,_ZN7rocprim17ROCPRIM_400000_NS6detail17trampoline_kernelINS0_14default_configENS1_25partition_config_selectorILNS1_17partition_subalgoE1ExNS0_10empty_typeEbEEZZNS1_14partition_implILS5_1ELb0ES3_jN6thrust23THRUST_200600_302600_NS6detail15normal_iteratorINSA_10device_ptrIxEEEEPS6_NSA_18transform_iteratorINSA_8identityIxEESF_NSA_11use_defaultESK_EENS0_5tupleIJSF_SF_EEENSM_IJSG_SG_EEES6_PlJS6_EEE10hipError_tPvRmT3_T4_T5_T6_T7_T9_mT8_P12ihipStream_tbDpT10_ENKUlT_T0_E_clISt17integral_constantIbLb0EES18_IbLb1EEEEDaS14_S15_EUlS14_E_NS1_11comp_targetILNS1_3genE2ELNS1_11target_archE906ELNS1_3gpuE6ELNS1_3repE0EEENS1_30default_config_static_selectorELNS0_4arch9wavefront6targetE1EEEvT1_,comdat
	.protected	_ZN7rocprim17ROCPRIM_400000_NS6detail17trampoline_kernelINS0_14default_configENS1_25partition_config_selectorILNS1_17partition_subalgoE1ExNS0_10empty_typeEbEEZZNS1_14partition_implILS5_1ELb0ES3_jN6thrust23THRUST_200600_302600_NS6detail15normal_iteratorINSA_10device_ptrIxEEEEPS6_NSA_18transform_iteratorINSA_8identityIxEESF_NSA_11use_defaultESK_EENS0_5tupleIJSF_SF_EEENSM_IJSG_SG_EEES6_PlJS6_EEE10hipError_tPvRmT3_T4_T5_T6_T7_T9_mT8_P12ihipStream_tbDpT10_ENKUlT_T0_E_clISt17integral_constantIbLb0EES18_IbLb1EEEEDaS14_S15_EUlS14_E_NS1_11comp_targetILNS1_3genE2ELNS1_11target_archE906ELNS1_3gpuE6ELNS1_3repE0EEENS1_30default_config_static_selectorELNS0_4arch9wavefront6targetE1EEEvT1_ ; -- Begin function _ZN7rocprim17ROCPRIM_400000_NS6detail17trampoline_kernelINS0_14default_configENS1_25partition_config_selectorILNS1_17partition_subalgoE1ExNS0_10empty_typeEbEEZZNS1_14partition_implILS5_1ELb0ES3_jN6thrust23THRUST_200600_302600_NS6detail15normal_iteratorINSA_10device_ptrIxEEEEPS6_NSA_18transform_iteratorINSA_8identityIxEESF_NSA_11use_defaultESK_EENS0_5tupleIJSF_SF_EEENSM_IJSG_SG_EEES6_PlJS6_EEE10hipError_tPvRmT3_T4_T5_T6_T7_T9_mT8_P12ihipStream_tbDpT10_ENKUlT_T0_E_clISt17integral_constantIbLb0EES18_IbLb1EEEEDaS14_S15_EUlS14_E_NS1_11comp_targetILNS1_3genE2ELNS1_11target_archE906ELNS1_3gpuE6ELNS1_3repE0EEENS1_30default_config_static_selectorELNS0_4arch9wavefront6targetE1EEEvT1_
	.globl	_ZN7rocprim17ROCPRIM_400000_NS6detail17trampoline_kernelINS0_14default_configENS1_25partition_config_selectorILNS1_17partition_subalgoE1ExNS0_10empty_typeEbEEZZNS1_14partition_implILS5_1ELb0ES3_jN6thrust23THRUST_200600_302600_NS6detail15normal_iteratorINSA_10device_ptrIxEEEEPS6_NSA_18transform_iteratorINSA_8identityIxEESF_NSA_11use_defaultESK_EENS0_5tupleIJSF_SF_EEENSM_IJSG_SG_EEES6_PlJS6_EEE10hipError_tPvRmT3_T4_T5_T6_T7_T9_mT8_P12ihipStream_tbDpT10_ENKUlT_T0_E_clISt17integral_constantIbLb0EES18_IbLb1EEEEDaS14_S15_EUlS14_E_NS1_11comp_targetILNS1_3genE2ELNS1_11target_archE906ELNS1_3gpuE6ELNS1_3repE0EEENS1_30default_config_static_selectorELNS0_4arch9wavefront6targetE1EEEvT1_
	.p2align	8
	.type	_ZN7rocprim17ROCPRIM_400000_NS6detail17trampoline_kernelINS0_14default_configENS1_25partition_config_selectorILNS1_17partition_subalgoE1ExNS0_10empty_typeEbEEZZNS1_14partition_implILS5_1ELb0ES3_jN6thrust23THRUST_200600_302600_NS6detail15normal_iteratorINSA_10device_ptrIxEEEEPS6_NSA_18transform_iteratorINSA_8identityIxEESF_NSA_11use_defaultESK_EENS0_5tupleIJSF_SF_EEENSM_IJSG_SG_EEES6_PlJS6_EEE10hipError_tPvRmT3_T4_T5_T6_T7_T9_mT8_P12ihipStream_tbDpT10_ENKUlT_T0_E_clISt17integral_constantIbLb0EES18_IbLb1EEEEDaS14_S15_EUlS14_E_NS1_11comp_targetILNS1_3genE2ELNS1_11target_archE906ELNS1_3gpuE6ELNS1_3repE0EEENS1_30default_config_static_selectorELNS0_4arch9wavefront6targetE1EEEvT1_,@function
_ZN7rocprim17ROCPRIM_400000_NS6detail17trampoline_kernelINS0_14default_configENS1_25partition_config_selectorILNS1_17partition_subalgoE1ExNS0_10empty_typeEbEEZZNS1_14partition_implILS5_1ELb0ES3_jN6thrust23THRUST_200600_302600_NS6detail15normal_iteratorINSA_10device_ptrIxEEEEPS6_NSA_18transform_iteratorINSA_8identityIxEESF_NSA_11use_defaultESK_EENS0_5tupleIJSF_SF_EEENSM_IJSG_SG_EEES6_PlJS6_EEE10hipError_tPvRmT3_T4_T5_T6_T7_T9_mT8_P12ihipStream_tbDpT10_ENKUlT_T0_E_clISt17integral_constantIbLb0EES18_IbLb1EEEEDaS14_S15_EUlS14_E_NS1_11comp_targetILNS1_3genE2ELNS1_11target_archE906ELNS1_3gpuE6ELNS1_3repE0EEENS1_30default_config_static_selectorELNS0_4arch9wavefront6targetE1EEEvT1_: ; @_ZN7rocprim17ROCPRIM_400000_NS6detail17trampoline_kernelINS0_14default_configENS1_25partition_config_selectorILNS1_17partition_subalgoE1ExNS0_10empty_typeEbEEZZNS1_14partition_implILS5_1ELb0ES3_jN6thrust23THRUST_200600_302600_NS6detail15normal_iteratorINSA_10device_ptrIxEEEEPS6_NSA_18transform_iteratorINSA_8identityIxEESF_NSA_11use_defaultESK_EENS0_5tupleIJSF_SF_EEENSM_IJSG_SG_EEES6_PlJS6_EEE10hipError_tPvRmT3_T4_T5_T6_T7_T9_mT8_P12ihipStream_tbDpT10_ENKUlT_T0_E_clISt17integral_constantIbLb0EES18_IbLb1EEEEDaS14_S15_EUlS14_E_NS1_11comp_targetILNS1_3genE2ELNS1_11target_archE906ELNS1_3gpuE6ELNS1_3repE0EEENS1_30default_config_static_selectorELNS0_4arch9wavefront6targetE1EEEvT1_
; %bb.0:
	.section	.rodata,"a",@progbits
	.p2align	6, 0x0
	.amdhsa_kernel _ZN7rocprim17ROCPRIM_400000_NS6detail17trampoline_kernelINS0_14default_configENS1_25partition_config_selectorILNS1_17partition_subalgoE1ExNS0_10empty_typeEbEEZZNS1_14partition_implILS5_1ELb0ES3_jN6thrust23THRUST_200600_302600_NS6detail15normal_iteratorINSA_10device_ptrIxEEEEPS6_NSA_18transform_iteratorINSA_8identityIxEESF_NSA_11use_defaultESK_EENS0_5tupleIJSF_SF_EEENSM_IJSG_SG_EEES6_PlJS6_EEE10hipError_tPvRmT3_T4_T5_T6_T7_T9_mT8_P12ihipStream_tbDpT10_ENKUlT_T0_E_clISt17integral_constantIbLb0EES18_IbLb1EEEEDaS14_S15_EUlS14_E_NS1_11comp_targetILNS1_3genE2ELNS1_11target_archE906ELNS1_3gpuE6ELNS1_3repE0EEENS1_30default_config_static_selectorELNS0_4arch9wavefront6targetE1EEEvT1_
		.amdhsa_group_segment_fixed_size 0
		.amdhsa_private_segment_fixed_size 0
		.amdhsa_kernarg_size 144
		.amdhsa_user_sgpr_count 6
		.amdhsa_user_sgpr_private_segment_buffer 1
		.amdhsa_user_sgpr_dispatch_ptr 0
		.amdhsa_user_sgpr_queue_ptr 0
		.amdhsa_user_sgpr_kernarg_segment_ptr 1
		.amdhsa_user_sgpr_dispatch_id 0
		.amdhsa_user_sgpr_flat_scratch_init 0
		.amdhsa_user_sgpr_kernarg_preload_length 0
		.amdhsa_user_sgpr_kernarg_preload_offset 0
		.amdhsa_user_sgpr_private_segment_size 0
		.amdhsa_uses_dynamic_stack 0
		.amdhsa_system_sgpr_private_segment_wavefront_offset 0
		.amdhsa_system_sgpr_workgroup_id_x 1
		.amdhsa_system_sgpr_workgroup_id_y 0
		.amdhsa_system_sgpr_workgroup_id_z 0
		.amdhsa_system_sgpr_workgroup_info 0
		.amdhsa_system_vgpr_workitem_id 0
		.amdhsa_next_free_vgpr 1
		.amdhsa_next_free_sgpr 0
		.amdhsa_accum_offset 4
		.amdhsa_reserve_vcc 0
		.amdhsa_reserve_flat_scratch 0
		.amdhsa_float_round_mode_32 0
		.amdhsa_float_round_mode_16_64 0
		.amdhsa_float_denorm_mode_32 3
		.amdhsa_float_denorm_mode_16_64 3
		.amdhsa_dx10_clamp 1
		.amdhsa_ieee_mode 1
		.amdhsa_fp16_overflow 0
		.amdhsa_tg_split 0
		.amdhsa_exception_fp_ieee_invalid_op 0
		.amdhsa_exception_fp_denorm_src 0
		.amdhsa_exception_fp_ieee_div_zero 0
		.amdhsa_exception_fp_ieee_overflow 0
		.amdhsa_exception_fp_ieee_underflow 0
		.amdhsa_exception_fp_ieee_inexact 0
		.amdhsa_exception_int_div_zero 0
	.end_amdhsa_kernel
	.section	.text._ZN7rocprim17ROCPRIM_400000_NS6detail17trampoline_kernelINS0_14default_configENS1_25partition_config_selectorILNS1_17partition_subalgoE1ExNS0_10empty_typeEbEEZZNS1_14partition_implILS5_1ELb0ES3_jN6thrust23THRUST_200600_302600_NS6detail15normal_iteratorINSA_10device_ptrIxEEEEPS6_NSA_18transform_iteratorINSA_8identityIxEESF_NSA_11use_defaultESK_EENS0_5tupleIJSF_SF_EEENSM_IJSG_SG_EEES6_PlJS6_EEE10hipError_tPvRmT3_T4_T5_T6_T7_T9_mT8_P12ihipStream_tbDpT10_ENKUlT_T0_E_clISt17integral_constantIbLb0EES18_IbLb1EEEEDaS14_S15_EUlS14_E_NS1_11comp_targetILNS1_3genE2ELNS1_11target_archE906ELNS1_3gpuE6ELNS1_3repE0EEENS1_30default_config_static_selectorELNS0_4arch9wavefront6targetE1EEEvT1_,"axG",@progbits,_ZN7rocprim17ROCPRIM_400000_NS6detail17trampoline_kernelINS0_14default_configENS1_25partition_config_selectorILNS1_17partition_subalgoE1ExNS0_10empty_typeEbEEZZNS1_14partition_implILS5_1ELb0ES3_jN6thrust23THRUST_200600_302600_NS6detail15normal_iteratorINSA_10device_ptrIxEEEEPS6_NSA_18transform_iteratorINSA_8identityIxEESF_NSA_11use_defaultESK_EENS0_5tupleIJSF_SF_EEENSM_IJSG_SG_EEES6_PlJS6_EEE10hipError_tPvRmT3_T4_T5_T6_T7_T9_mT8_P12ihipStream_tbDpT10_ENKUlT_T0_E_clISt17integral_constantIbLb0EES18_IbLb1EEEEDaS14_S15_EUlS14_E_NS1_11comp_targetILNS1_3genE2ELNS1_11target_archE906ELNS1_3gpuE6ELNS1_3repE0EEENS1_30default_config_static_selectorELNS0_4arch9wavefront6targetE1EEEvT1_,comdat
.Lfunc_end605:
	.size	_ZN7rocprim17ROCPRIM_400000_NS6detail17trampoline_kernelINS0_14default_configENS1_25partition_config_selectorILNS1_17partition_subalgoE1ExNS0_10empty_typeEbEEZZNS1_14partition_implILS5_1ELb0ES3_jN6thrust23THRUST_200600_302600_NS6detail15normal_iteratorINSA_10device_ptrIxEEEEPS6_NSA_18transform_iteratorINSA_8identityIxEESF_NSA_11use_defaultESK_EENS0_5tupleIJSF_SF_EEENSM_IJSG_SG_EEES6_PlJS6_EEE10hipError_tPvRmT3_T4_T5_T6_T7_T9_mT8_P12ihipStream_tbDpT10_ENKUlT_T0_E_clISt17integral_constantIbLb0EES18_IbLb1EEEEDaS14_S15_EUlS14_E_NS1_11comp_targetILNS1_3genE2ELNS1_11target_archE906ELNS1_3gpuE6ELNS1_3repE0EEENS1_30default_config_static_selectorELNS0_4arch9wavefront6targetE1EEEvT1_, .Lfunc_end605-_ZN7rocprim17ROCPRIM_400000_NS6detail17trampoline_kernelINS0_14default_configENS1_25partition_config_selectorILNS1_17partition_subalgoE1ExNS0_10empty_typeEbEEZZNS1_14partition_implILS5_1ELb0ES3_jN6thrust23THRUST_200600_302600_NS6detail15normal_iteratorINSA_10device_ptrIxEEEEPS6_NSA_18transform_iteratorINSA_8identityIxEESF_NSA_11use_defaultESK_EENS0_5tupleIJSF_SF_EEENSM_IJSG_SG_EEES6_PlJS6_EEE10hipError_tPvRmT3_T4_T5_T6_T7_T9_mT8_P12ihipStream_tbDpT10_ENKUlT_T0_E_clISt17integral_constantIbLb0EES18_IbLb1EEEEDaS14_S15_EUlS14_E_NS1_11comp_targetILNS1_3genE2ELNS1_11target_archE906ELNS1_3gpuE6ELNS1_3repE0EEENS1_30default_config_static_selectorELNS0_4arch9wavefront6targetE1EEEvT1_
                                        ; -- End function
	.section	.AMDGPU.csdata,"",@progbits
; Kernel info:
; codeLenInByte = 0
; NumSgprs: 4
; NumVgprs: 0
; NumAgprs: 0
; TotalNumVgprs: 0
; ScratchSize: 0
; MemoryBound: 0
; FloatMode: 240
; IeeeMode: 1
; LDSByteSize: 0 bytes/workgroup (compile time only)
; SGPRBlocks: 0
; VGPRBlocks: 0
; NumSGPRsForWavesPerEU: 4
; NumVGPRsForWavesPerEU: 1
; AccumOffset: 4
; Occupancy: 8
; WaveLimiterHint : 0
; COMPUTE_PGM_RSRC2:SCRATCH_EN: 0
; COMPUTE_PGM_RSRC2:USER_SGPR: 6
; COMPUTE_PGM_RSRC2:TRAP_HANDLER: 0
; COMPUTE_PGM_RSRC2:TGID_X_EN: 1
; COMPUTE_PGM_RSRC2:TGID_Y_EN: 0
; COMPUTE_PGM_RSRC2:TGID_Z_EN: 0
; COMPUTE_PGM_RSRC2:TIDIG_COMP_CNT: 0
; COMPUTE_PGM_RSRC3_GFX90A:ACCUM_OFFSET: 0
; COMPUTE_PGM_RSRC3_GFX90A:TG_SPLIT: 0
	.section	.text._ZN7rocprim17ROCPRIM_400000_NS6detail17trampoline_kernelINS0_14default_configENS1_25partition_config_selectorILNS1_17partition_subalgoE1ExNS0_10empty_typeEbEEZZNS1_14partition_implILS5_1ELb0ES3_jN6thrust23THRUST_200600_302600_NS6detail15normal_iteratorINSA_10device_ptrIxEEEEPS6_NSA_18transform_iteratorINSA_8identityIxEESF_NSA_11use_defaultESK_EENS0_5tupleIJSF_SF_EEENSM_IJSG_SG_EEES6_PlJS6_EEE10hipError_tPvRmT3_T4_T5_T6_T7_T9_mT8_P12ihipStream_tbDpT10_ENKUlT_T0_E_clISt17integral_constantIbLb0EES18_IbLb1EEEEDaS14_S15_EUlS14_E_NS1_11comp_targetILNS1_3genE10ELNS1_11target_archE1200ELNS1_3gpuE4ELNS1_3repE0EEENS1_30default_config_static_selectorELNS0_4arch9wavefront6targetE1EEEvT1_,"axG",@progbits,_ZN7rocprim17ROCPRIM_400000_NS6detail17trampoline_kernelINS0_14default_configENS1_25partition_config_selectorILNS1_17partition_subalgoE1ExNS0_10empty_typeEbEEZZNS1_14partition_implILS5_1ELb0ES3_jN6thrust23THRUST_200600_302600_NS6detail15normal_iteratorINSA_10device_ptrIxEEEEPS6_NSA_18transform_iteratorINSA_8identityIxEESF_NSA_11use_defaultESK_EENS0_5tupleIJSF_SF_EEENSM_IJSG_SG_EEES6_PlJS6_EEE10hipError_tPvRmT3_T4_T5_T6_T7_T9_mT8_P12ihipStream_tbDpT10_ENKUlT_T0_E_clISt17integral_constantIbLb0EES18_IbLb1EEEEDaS14_S15_EUlS14_E_NS1_11comp_targetILNS1_3genE10ELNS1_11target_archE1200ELNS1_3gpuE4ELNS1_3repE0EEENS1_30default_config_static_selectorELNS0_4arch9wavefront6targetE1EEEvT1_,comdat
	.protected	_ZN7rocprim17ROCPRIM_400000_NS6detail17trampoline_kernelINS0_14default_configENS1_25partition_config_selectorILNS1_17partition_subalgoE1ExNS0_10empty_typeEbEEZZNS1_14partition_implILS5_1ELb0ES3_jN6thrust23THRUST_200600_302600_NS6detail15normal_iteratorINSA_10device_ptrIxEEEEPS6_NSA_18transform_iteratorINSA_8identityIxEESF_NSA_11use_defaultESK_EENS0_5tupleIJSF_SF_EEENSM_IJSG_SG_EEES6_PlJS6_EEE10hipError_tPvRmT3_T4_T5_T6_T7_T9_mT8_P12ihipStream_tbDpT10_ENKUlT_T0_E_clISt17integral_constantIbLb0EES18_IbLb1EEEEDaS14_S15_EUlS14_E_NS1_11comp_targetILNS1_3genE10ELNS1_11target_archE1200ELNS1_3gpuE4ELNS1_3repE0EEENS1_30default_config_static_selectorELNS0_4arch9wavefront6targetE1EEEvT1_ ; -- Begin function _ZN7rocprim17ROCPRIM_400000_NS6detail17trampoline_kernelINS0_14default_configENS1_25partition_config_selectorILNS1_17partition_subalgoE1ExNS0_10empty_typeEbEEZZNS1_14partition_implILS5_1ELb0ES3_jN6thrust23THRUST_200600_302600_NS6detail15normal_iteratorINSA_10device_ptrIxEEEEPS6_NSA_18transform_iteratorINSA_8identityIxEESF_NSA_11use_defaultESK_EENS0_5tupleIJSF_SF_EEENSM_IJSG_SG_EEES6_PlJS6_EEE10hipError_tPvRmT3_T4_T5_T6_T7_T9_mT8_P12ihipStream_tbDpT10_ENKUlT_T0_E_clISt17integral_constantIbLb0EES18_IbLb1EEEEDaS14_S15_EUlS14_E_NS1_11comp_targetILNS1_3genE10ELNS1_11target_archE1200ELNS1_3gpuE4ELNS1_3repE0EEENS1_30default_config_static_selectorELNS0_4arch9wavefront6targetE1EEEvT1_
	.globl	_ZN7rocprim17ROCPRIM_400000_NS6detail17trampoline_kernelINS0_14default_configENS1_25partition_config_selectorILNS1_17partition_subalgoE1ExNS0_10empty_typeEbEEZZNS1_14partition_implILS5_1ELb0ES3_jN6thrust23THRUST_200600_302600_NS6detail15normal_iteratorINSA_10device_ptrIxEEEEPS6_NSA_18transform_iteratorINSA_8identityIxEESF_NSA_11use_defaultESK_EENS0_5tupleIJSF_SF_EEENSM_IJSG_SG_EEES6_PlJS6_EEE10hipError_tPvRmT3_T4_T5_T6_T7_T9_mT8_P12ihipStream_tbDpT10_ENKUlT_T0_E_clISt17integral_constantIbLb0EES18_IbLb1EEEEDaS14_S15_EUlS14_E_NS1_11comp_targetILNS1_3genE10ELNS1_11target_archE1200ELNS1_3gpuE4ELNS1_3repE0EEENS1_30default_config_static_selectorELNS0_4arch9wavefront6targetE1EEEvT1_
	.p2align	8
	.type	_ZN7rocprim17ROCPRIM_400000_NS6detail17trampoline_kernelINS0_14default_configENS1_25partition_config_selectorILNS1_17partition_subalgoE1ExNS0_10empty_typeEbEEZZNS1_14partition_implILS5_1ELb0ES3_jN6thrust23THRUST_200600_302600_NS6detail15normal_iteratorINSA_10device_ptrIxEEEEPS6_NSA_18transform_iteratorINSA_8identityIxEESF_NSA_11use_defaultESK_EENS0_5tupleIJSF_SF_EEENSM_IJSG_SG_EEES6_PlJS6_EEE10hipError_tPvRmT3_T4_T5_T6_T7_T9_mT8_P12ihipStream_tbDpT10_ENKUlT_T0_E_clISt17integral_constantIbLb0EES18_IbLb1EEEEDaS14_S15_EUlS14_E_NS1_11comp_targetILNS1_3genE10ELNS1_11target_archE1200ELNS1_3gpuE4ELNS1_3repE0EEENS1_30default_config_static_selectorELNS0_4arch9wavefront6targetE1EEEvT1_,@function
_ZN7rocprim17ROCPRIM_400000_NS6detail17trampoline_kernelINS0_14default_configENS1_25partition_config_selectorILNS1_17partition_subalgoE1ExNS0_10empty_typeEbEEZZNS1_14partition_implILS5_1ELb0ES3_jN6thrust23THRUST_200600_302600_NS6detail15normal_iteratorINSA_10device_ptrIxEEEEPS6_NSA_18transform_iteratorINSA_8identityIxEESF_NSA_11use_defaultESK_EENS0_5tupleIJSF_SF_EEENSM_IJSG_SG_EEES6_PlJS6_EEE10hipError_tPvRmT3_T4_T5_T6_T7_T9_mT8_P12ihipStream_tbDpT10_ENKUlT_T0_E_clISt17integral_constantIbLb0EES18_IbLb1EEEEDaS14_S15_EUlS14_E_NS1_11comp_targetILNS1_3genE10ELNS1_11target_archE1200ELNS1_3gpuE4ELNS1_3repE0EEENS1_30default_config_static_selectorELNS0_4arch9wavefront6targetE1EEEvT1_: ; @_ZN7rocprim17ROCPRIM_400000_NS6detail17trampoline_kernelINS0_14default_configENS1_25partition_config_selectorILNS1_17partition_subalgoE1ExNS0_10empty_typeEbEEZZNS1_14partition_implILS5_1ELb0ES3_jN6thrust23THRUST_200600_302600_NS6detail15normal_iteratorINSA_10device_ptrIxEEEEPS6_NSA_18transform_iteratorINSA_8identityIxEESF_NSA_11use_defaultESK_EENS0_5tupleIJSF_SF_EEENSM_IJSG_SG_EEES6_PlJS6_EEE10hipError_tPvRmT3_T4_T5_T6_T7_T9_mT8_P12ihipStream_tbDpT10_ENKUlT_T0_E_clISt17integral_constantIbLb0EES18_IbLb1EEEEDaS14_S15_EUlS14_E_NS1_11comp_targetILNS1_3genE10ELNS1_11target_archE1200ELNS1_3gpuE4ELNS1_3repE0EEENS1_30default_config_static_selectorELNS0_4arch9wavefront6targetE1EEEvT1_
; %bb.0:
	.section	.rodata,"a",@progbits
	.p2align	6, 0x0
	.amdhsa_kernel _ZN7rocprim17ROCPRIM_400000_NS6detail17trampoline_kernelINS0_14default_configENS1_25partition_config_selectorILNS1_17partition_subalgoE1ExNS0_10empty_typeEbEEZZNS1_14partition_implILS5_1ELb0ES3_jN6thrust23THRUST_200600_302600_NS6detail15normal_iteratorINSA_10device_ptrIxEEEEPS6_NSA_18transform_iteratorINSA_8identityIxEESF_NSA_11use_defaultESK_EENS0_5tupleIJSF_SF_EEENSM_IJSG_SG_EEES6_PlJS6_EEE10hipError_tPvRmT3_T4_T5_T6_T7_T9_mT8_P12ihipStream_tbDpT10_ENKUlT_T0_E_clISt17integral_constantIbLb0EES18_IbLb1EEEEDaS14_S15_EUlS14_E_NS1_11comp_targetILNS1_3genE10ELNS1_11target_archE1200ELNS1_3gpuE4ELNS1_3repE0EEENS1_30default_config_static_selectorELNS0_4arch9wavefront6targetE1EEEvT1_
		.amdhsa_group_segment_fixed_size 0
		.amdhsa_private_segment_fixed_size 0
		.amdhsa_kernarg_size 144
		.amdhsa_user_sgpr_count 6
		.amdhsa_user_sgpr_private_segment_buffer 1
		.amdhsa_user_sgpr_dispatch_ptr 0
		.amdhsa_user_sgpr_queue_ptr 0
		.amdhsa_user_sgpr_kernarg_segment_ptr 1
		.amdhsa_user_sgpr_dispatch_id 0
		.amdhsa_user_sgpr_flat_scratch_init 0
		.amdhsa_user_sgpr_kernarg_preload_length 0
		.amdhsa_user_sgpr_kernarg_preload_offset 0
		.amdhsa_user_sgpr_private_segment_size 0
		.amdhsa_uses_dynamic_stack 0
		.amdhsa_system_sgpr_private_segment_wavefront_offset 0
		.amdhsa_system_sgpr_workgroup_id_x 1
		.amdhsa_system_sgpr_workgroup_id_y 0
		.amdhsa_system_sgpr_workgroup_id_z 0
		.amdhsa_system_sgpr_workgroup_info 0
		.amdhsa_system_vgpr_workitem_id 0
		.amdhsa_next_free_vgpr 1
		.amdhsa_next_free_sgpr 0
		.amdhsa_accum_offset 4
		.amdhsa_reserve_vcc 0
		.amdhsa_reserve_flat_scratch 0
		.amdhsa_float_round_mode_32 0
		.amdhsa_float_round_mode_16_64 0
		.amdhsa_float_denorm_mode_32 3
		.amdhsa_float_denorm_mode_16_64 3
		.amdhsa_dx10_clamp 1
		.amdhsa_ieee_mode 1
		.amdhsa_fp16_overflow 0
		.amdhsa_tg_split 0
		.amdhsa_exception_fp_ieee_invalid_op 0
		.amdhsa_exception_fp_denorm_src 0
		.amdhsa_exception_fp_ieee_div_zero 0
		.amdhsa_exception_fp_ieee_overflow 0
		.amdhsa_exception_fp_ieee_underflow 0
		.amdhsa_exception_fp_ieee_inexact 0
		.amdhsa_exception_int_div_zero 0
	.end_amdhsa_kernel
	.section	.text._ZN7rocprim17ROCPRIM_400000_NS6detail17trampoline_kernelINS0_14default_configENS1_25partition_config_selectorILNS1_17partition_subalgoE1ExNS0_10empty_typeEbEEZZNS1_14partition_implILS5_1ELb0ES3_jN6thrust23THRUST_200600_302600_NS6detail15normal_iteratorINSA_10device_ptrIxEEEEPS6_NSA_18transform_iteratorINSA_8identityIxEESF_NSA_11use_defaultESK_EENS0_5tupleIJSF_SF_EEENSM_IJSG_SG_EEES6_PlJS6_EEE10hipError_tPvRmT3_T4_T5_T6_T7_T9_mT8_P12ihipStream_tbDpT10_ENKUlT_T0_E_clISt17integral_constantIbLb0EES18_IbLb1EEEEDaS14_S15_EUlS14_E_NS1_11comp_targetILNS1_3genE10ELNS1_11target_archE1200ELNS1_3gpuE4ELNS1_3repE0EEENS1_30default_config_static_selectorELNS0_4arch9wavefront6targetE1EEEvT1_,"axG",@progbits,_ZN7rocprim17ROCPRIM_400000_NS6detail17trampoline_kernelINS0_14default_configENS1_25partition_config_selectorILNS1_17partition_subalgoE1ExNS0_10empty_typeEbEEZZNS1_14partition_implILS5_1ELb0ES3_jN6thrust23THRUST_200600_302600_NS6detail15normal_iteratorINSA_10device_ptrIxEEEEPS6_NSA_18transform_iteratorINSA_8identityIxEESF_NSA_11use_defaultESK_EENS0_5tupleIJSF_SF_EEENSM_IJSG_SG_EEES6_PlJS6_EEE10hipError_tPvRmT3_T4_T5_T6_T7_T9_mT8_P12ihipStream_tbDpT10_ENKUlT_T0_E_clISt17integral_constantIbLb0EES18_IbLb1EEEEDaS14_S15_EUlS14_E_NS1_11comp_targetILNS1_3genE10ELNS1_11target_archE1200ELNS1_3gpuE4ELNS1_3repE0EEENS1_30default_config_static_selectorELNS0_4arch9wavefront6targetE1EEEvT1_,comdat
.Lfunc_end606:
	.size	_ZN7rocprim17ROCPRIM_400000_NS6detail17trampoline_kernelINS0_14default_configENS1_25partition_config_selectorILNS1_17partition_subalgoE1ExNS0_10empty_typeEbEEZZNS1_14partition_implILS5_1ELb0ES3_jN6thrust23THRUST_200600_302600_NS6detail15normal_iteratorINSA_10device_ptrIxEEEEPS6_NSA_18transform_iteratorINSA_8identityIxEESF_NSA_11use_defaultESK_EENS0_5tupleIJSF_SF_EEENSM_IJSG_SG_EEES6_PlJS6_EEE10hipError_tPvRmT3_T4_T5_T6_T7_T9_mT8_P12ihipStream_tbDpT10_ENKUlT_T0_E_clISt17integral_constantIbLb0EES18_IbLb1EEEEDaS14_S15_EUlS14_E_NS1_11comp_targetILNS1_3genE10ELNS1_11target_archE1200ELNS1_3gpuE4ELNS1_3repE0EEENS1_30default_config_static_selectorELNS0_4arch9wavefront6targetE1EEEvT1_, .Lfunc_end606-_ZN7rocprim17ROCPRIM_400000_NS6detail17trampoline_kernelINS0_14default_configENS1_25partition_config_selectorILNS1_17partition_subalgoE1ExNS0_10empty_typeEbEEZZNS1_14partition_implILS5_1ELb0ES3_jN6thrust23THRUST_200600_302600_NS6detail15normal_iteratorINSA_10device_ptrIxEEEEPS6_NSA_18transform_iteratorINSA_8identityIxEESF_NSA_11use_defaultESK_EENS0_5tupleIJSF_SF_EEENSM_IJSG_SG_EEES6_PlJS6_EEE10hipError_tPvRmT3_T4_T5_T6_T7_T9_mT8_P12ihipStream_tbDpT10_ENKUlT_T0_E_clISt17integral_constantIbLb0EES18_IbLb1EEEEDaS14_S15_EUlS14_E_NS1_11comp_targetILNS1_3genE10ELNS1_11target_archE1200ELNS1_3gpuE4ELNS1_3repE0EEENS1_30default_config_static_selectorELNS0_4arch9wavefront6targetE1EEEvT1_
                                        ; -- End function
	.section	.AMDGPU.csdata,"",@progbits
; Kernel info:
; codeLenInByte = 0
; NumSgprs: 4
; NumVgprs: 0
; NumAgprs: 0
; TotalNumVgprs: 0
; ScratchSize: 0
; MemoryBound: 0
; FloatMode: 240
; IeeeMode: 1
; LDSByteSize: 0 bytes/workgroup (compile time only)
; SGPRBlocks: 0
; VGPRBlocks: 0
; NumSGPRsForWavesPerEU: 4
; NumVGPRsForWavesPerEU: 1
; AccumOffset: 4
; Occupancy: 8
; WaveLimiterHint : 0
; COMPUTE_PGM_RSRC2:SCRATCH_EN: 0
; COMPUTE_PGM_RSRC2:USER_SGPR: 6
; COMPUTE_PGM_RSRC2:TRAP_HANDLER: 0
; COMPUTE_PGM_RSRC2:TGID_X_EN: 1
; COMPUTE_PGM_RSRC2:TGID_Y_EN: 0
; COMPUTE_PGM_RSRC2:TGID_Z_EN: 0
; COMPUTE_PGM_RSRC2:TIDIG_COMP_CNT: 0
; COMPUTE_PGM_RSRC3_GFX90A:ACCUM_OFFSET: 0
; COMPUTE_PGM_RSRC3_GFX90A:TG_SPLIT: 0
	.section	.text._ZN7rocprim17ROCPRIM_400000_NS6detail17trampoline_kernelINS0_14default_configENS1_25partition_config_selectorILNS1_17partition_subalgoE1ExNS0_10empty_typeEbEEZZNS1_14partition_implILS5_1ELb0ES3_jN6thrust23THRUST_200600_302600_NS6detail15normal_iteratorINSA_10device_ptrIxEEEEPS6_NSA_18transform_iteratorINSA_8identityIxEESF_NSA_11use_defaultESK_EENS0_5tupleIJSF_SF_EEENSM_IJSG_SG_EEES6_PlJS6_EEE10hipError_tPvRmT3_T4_T5_T6_T7_T9_mT8_P12ihipStream_tbDpT10_ENKUlT_T0_E_clISt17integral_constantIbLb0EES18_IbLb1EEEEDaS14_S15_EUlS14_E_NS1_11comp_targetILNS1_3genE9ELNS1_11target_archE1100ELNS1_3gpuE3ELNS1_3repE0EEENS1_30default_config_static_selectorELNS0_4arch9wavefront6targetE1EEEvT1_,"axG",@progbits,_ZN7rocprim17ROCPRIM_400000_NS6detail17trampoline_kernelINS0_14default_configENS1_25partition_config_selectorILNS1_17partition_subalgoE1ExNS0_10empty_typeEbEEZZNS1_14partition_implILS5_1ELb0ES3_jN6thrust23THRUST_200600_302600_NS6detail15normal_iteratorINSA_10device_ptrIxEEEEPS6_NSA_18transform_iteratorINSA_8identityIxEESF_NSA_11use_defaultESK_EENS0_5tupleIJSF_SF_EEENSM_IJSG_SG_EEES6_PlJS6_EEE10hipError_tPvRmT3_T4_T5_T6_T7_T9_mT8_P12ihipStream_tbDpT10_ENKUlT_T0_E_clISt17integral_constantIbLb0EES18_IbLb1EEEEDaS14_S15_EUlS14_E_NS1_11comp_targetILNS1_3genE9ELNS1_11target_archE1100ELNS1_3gpuE3ELNS1_3repE0EEENS1_30default_config_static_selectorELNS0_4arch9wavefront6targetE1EEEvT1_,comdat
	.protected	_ZN7rocprim17ROCPRIM_400000_NS6detail17trampoline_kernelINS0_14default_configENS1_25partition_config_selectorILNS1_17partition_subalgoE1ExNS0_10empty_typeEbEEZZNS1_14partition_implILS5_1ELb0ES3_jN6thrust23THRUST_200600_302600_NS6detail15normal_iteratorINSA_10device_ptrIxEEEEPS6_NSA_18transform_iteratorINSA_8identityIxEESF_NSA_11use_defaultESK_EENS0_5tupleIJSF_SF_EEENSM_IJSG_SG_EEES6_PlJS6_EEE10hipError_tPvRmT3_T4_T5_T6_T7_T9_mT8_P12ihipStream_tbDpT10_ENKUlT_T0_E_clISt17integral_constantIbLb0EES18_IbLb1EEEEDaS14_S15_EUlS14_E_NS1_11comp_targetILNS1_3genE9ELNS1_11target_archE1100ELNS1_3gpuE3ELNS1_3repE0EEENS1_30default_config_static_selectorELNS0_4arch9wavefront6targetE1EEEvT1_ ; -- Begin function _ZN7rocprim17ROCPRIM_400000_NS6detail17trampoline_kernelINS0_14default_configENS1_25partition_config_selectorILNS1_17partition_subalgoE1ExNS0_10empty_typeEbEEZZNS1_14partition_implILS5_1ELb0ES3_jN6thrust23THRUST_200600_302600_NS6detail15normal_iteratorINSA_10device_ptrIxEEEEPS6_NSA_18transform_iteratorINSA_8identityIxEESF_NSA_11use_defaultESK_EENS0_5tupleIJSF_SF_EEENSM_IJSG_SG_EEES6_PlJS6_EEE10hipError_tPvRmT3_T4_T5_T6_T7_T9_mT8_P12ihipStream_tbDpT10_ENKUlT_T0_E_clISt17integral_constantIbLb0EES18_IbLb1EEEEDaS14_S15_EUlS14_E_NS1_11comp_targetILNS1_3genE9ELNS1_11target_archE1100ELNS1_3gpuE3ELNS1_3repE0EEENS1_30default_config_static_selectorELNS0_4arch9wavefront6targetE1EEEvT1_
	.globl	_ZN7rocprim17ROCPRIM_400000_NS6detail17trampoline_kernelINS0_14default_configENS1_25partition_config_selectorILNS1_17partition_subalgoE1ExNS0_10empty_typeEbEEZZNS1_14partition_implILS5_1ELb0ES3_jN6thrust23THRUST_200600_302600_NS6detail15normal_iteratorINSA_10device_ptrIxEEEEPS6_NSA_18transform_iteratorINSA_8identityIxEESF_NSA_11use_defaultESK_EENS0_5tupleIJSF_SF_EEENSM_IJSG_SG_EEES6_PlJS6_EEE10hipError_tPvRmT3_T4_T5_T6_T7_T9_mT8_P12ihipStream_tbDpT10_ENKUlT_T0_E_clISt17integral_constantIbLb0EES18_IbLb1EEEEDaS14_S15_EUlS14_E_NS1_11comp_targetILNS1_3genE9ELNS1_11target_archE1100ELNS1_3gpuE3ELNS1_3repE0EEENS1_30default_config_static_selectorELNS0_4arch9wavefront6targetE1EEEvT1_
	.p2align	8
	.type	_ZN7rocprim17ROCPRIM_400000_NS6detail17trampoline_kernelINS0_14default_configENS1_25partition_config_selectorILNS1_17partition_subalgoE1ExNS0_10empty_typeEbEEZZNS1_14partition_implILS5_1ELb0ES3_jN6thrust23THRUST_200600_302600_NS6detail15normal_iteratorINSA_10device_ptrIxEEEEPS6_NSA_18transform_iteratorINSA_8identityIxEESF_NSA_11use_defaultESK_EENS0_5tupleIJSF_SF_EEENSM_IJSG_SG_EEES6_PlJS6_EEE10hipError_tPvRmT3_T4_T5_T6_T7_T9_mT8_P12ihipStream_tbDpT10_ENKUlT_T0_E_clISt17integral_constantIbLb0EES18_IbLb1EEEEDaS14_S15_EUlS14_E_NS1_11comp_targetILNS1_3genE9ELNS1_11target_archE1100ELNS1_3gpuE3ELNS1_3repE0EEENS1_30default_config_static_selectorELNS0_4arch9wavefront6targetE1EEEvT1_,@function
_ZN7rocprim17ROCPRIM_400000_NS6detail17trampoline_kernelINS0_14default_configENS1_25partition_config_selectorILNS1_17partition_subalgoE1ExNS0_10empty_typeEbEEZZNS1_14partition_implILS5_1ELb0ES3_jN6thrust23THRUST_200600_302600_NS6detail15normal_iteratorINSA_10device_ptrIxEEEEPS6_NSA_18transform_iteratorINSA_8identityIxEESF_NSA_11use_defaultESK_EENS0_5tupleIJSF_SF_EEENSM_IJSG_SG_EEES6_PlJS6_EEE10hipError_tPvRmT3_T4_T5_T6_T7_T9_mT8_P12ihipStream_tbDpT10_ENKUlT_T0_E_clISt17integral_constantIbLb0EES18_IbLb1EEEEDaS14_S15_EUlS14_E_NS1_11comp_targetILNS1_3genE9ELNS1_11target_archE1100ELNS1_3gpuE3ELNS1_3repE0EEENS1_30default_config_static_selectorELNS0_4arch9wavefront6targetE1EEEvT1_: ; @_ZN7rocprim17ROCPRIM_400000_NS6detail17trampoline_kernelINS0_14default_configENS1_25partition_config_selectorILNS1_17partition_subalgoE1ExNS0_10empty_typeEbEEZZNS1_14partition_implILS5_1ELb0ES3_jN6thrust23THRUST_200600_302600_NS6detail15normal_iteratorINSA_10device_ptrIxEEEEPS6_NSA_18transform_iteratorINSA_8identityIxEESF_NSA_11use_defaultESK_EENS0_5tupleIJSF_SF_EEENSM_IJSG_SG_EEES6_PlJS6_EEE10hipError_tPvRmT3_T4_T5_T6_T7_T9_mT8_P12ihipStream_tbDpT10_ENKUlT_T0_E_clISt17integral_constantIbLb0EES18_IbLb1EEEEDaS14_S15_EUlS14_E_NS1_11comp_targetILNS1_3genE9ELNS1_11target_archE1100ELNS1_3gpuE3ELNS1_3repE0EEENS1_30default_config_static_selectorELNS0_4arch9wavefront6targetE1EEEvT1_
; %bb.0:
	.section	.rodata,"a",@progbits
	.p2align	6, 0x0
	.amdhsa_kernel _ZN7rocprim17ROCPRIM_400000_NS6detail17trampoline_kernelINS0_14default_configENS1_25partition_config_selectorILNS1_17partition_subalgoE1ExNS0_10empty_typeEbEEZZNS1_14partition_implILS5_1ELb0ES3_jN6thrust23THRUST_200600_302600_NS6detail15normal_iteratorINSA_10device_ptrIxEEEEPS6_NSA_18transform_iteratorINSA_8identityIxEESF_NSA_11use_defaultESK_EENS0_5tupleIJSF_SF_EEENSM_IJSG_SG_EEES6_PlJS6_EEE10hipError_tPvRmT3_T4_T5_T6_T7_T9_mT8_P12ihipStream_tbDpT10_ENKUlT_T0_E_clISt17integral_constantIbLb0EES18_IbLb1EEEEDaS14_S15_EUlS14_E_NS1_11comp_targetILNS1_3genE9ELNS1_11target_archE1100ELNS1_3gpuE3ELNS1_3repE0EEENS1_30default_config_static_selectorELNS0_4arch9wavefront6targetE1EEEvT1_
		.amdhsa_group_segment_fixed_size 0
		.amdhsa_private_segment_fixed_size 0
		.amdhsa_kernarg_size 144
		.amdhsa_user_sgpr_count 6
		.amdhsa_user_sgpr_private_segment_buffer 1
		.amdhsa_user_sgpr_dispatch_ptr 0
		.amdhsa_user_sgpr_queue_ptr 0
		.amdhsa_user_sgpr_kernarg_segment_ptr 1
		.amdhsa_user_sgpr_dispatch_id 0
		.amdhsa_user_sgpr_flat_scratch_init 0
		.amdhsa_user_sgpr_kernarg_preload_length 0
		.amdhsa_user_sgpr_kernarg_preload_offset 0
		.amdhsa_user_sgpr_private_segment_size 0
		.amdhsa_uses_dynamic_stack 0
		.amdhsa_system_sgpr_private_segment_wavefront_offset 0
		.amdhsa_system_sgpr_workgroup_id_x 1
		.amdhsa_system_sgpr_workgroup_id_y 0
		.amdhsa_system_sgpr_workgroup_id_z 0
		.amdhsa_system_sgpr_workgroup_info 0
		.amdhsa_system_vgpr_workitem_id 0
		.amdhsa_next_free_vgpr 1
		.amdhsa_next_free_sgpr 0
		.amdhsa_accum_offset 4
		.amdhsa_reserve_vcc 0
		.amdhsa_reserve_flat_scratch 0
		.amdhsa_float_round_mode_32 0
		.amdhsa_float_round_mode_16_64 0
		.amdhsa_float_denorm_mode_32 3
		.amdhsa_float_denorm_mode_16_64 3
		.amdhsa_dx10_clamp 1
		.amdhsa_ieee_mode 1
		.amdhsa_fp16_overflow 0
		.amdhsa_tg_split 0
		.amdhsa_exception_fp_ieee_invalid_op 0
		.amdhsa_exception_fp_denorm_src 0
		.amdhsa_exception_fp_ieee_div_zero 0
		.amdhsa_exception_fp_ieee_overflow 0
		.amdhsa_exception_fp_ieee_underflow 0
		.amdhsa_exception_fp_ieee_inexact 0
		.amdhsa_exception_int_div_zero 0
	.end_amdhsa_kernel
	.section	.text._ZN7rocprim17ROCPRIM_400000_NS6detail17trampoline_kernelINS0_14default_configENS1_25partition_config_selectorILNS1_17partition_subalgoE1ExNS0_10empty_typeEbEEZZNS1_14partition_implILS5_1ELb0ES3_jN6thrust23THRUST_200600_302600_NS6detail15normal_iteratorINSA_10device_ptrIxEEEEPS6_NSA_18transform_iteratorINSA_8identityIxEESF_NSA_11use_defaultESK_EENS0_5tupleIJSF_SF_EEENSM_IJSG_SG_EEES6_PlJS6_EEE10hipError_tPvRmT3_T4_T5_T6_T7_T9_mT8_P12ihipStream_tbDpT10_ENKUlT_T0_E_clISt17integral_constantIbLb0EES18_IbLb1EEEEDaS14_S15_EUlS14_E_NS1_11comp_targetILNS1_3genE9ELNS1_11target_archE1100ELNS1_3gpuE3ELNS1_3repE0EEENS1_30default_config_static_selectorELNS0_4arch9wavefront6targetE1EEEvT1_,"axG",@progbits,_ZN7rocprim17ROCPRIM_400000_NS6detail17trampoline_kernelINS0_14default_configENS1_25partition_config_selectorILNS1_17partition_subalgoE1ExNS0_10empty_typeEbEEZZNS1_14partition_implILS5_1ELb0ES3_jN6thrust23THRUST_200600_302600_NS6detail15normal_iteratorINSA_10device_ptrIxEEEEPS6_NSA_18transform_iteratorINSA_8identityIxEESF_NSA_11use_defaultESK_EENS0_5tupleIJSF_SF_EEENSM_IJSG_SG_EEES6_PlJS6_EEE10hipError_tPvRmT3_T4_T5_T6_T7_T9_mT8_P12ihipStream_tbDpT10_ENKUlT_T0_E_clISt17integral_constantIbLb0EES18_IbLb1EEEEDaS14_S15_EUlS14_E_NS1_11comp_targetILNS1_3genE9ELNS1_11target_archE1100ELNS1_3gpuE3ELNS1_3repE0EEENS1_30default_config_static_selectorELNS0_4arch9wavefront6targetE1EEEvT1_,comdat
.Lfunc_end607:
	.size	_ZN7rocprim17ROCPRIM_400000_NS6detail17trampoline_kernelINS0_14default_configENS1_25partition_config_selectorILNS1_17partition_subalgoE1ExNS0_10empty_typeEbEEZZNS1_14partition_implILS5_1ELb0ES3_jN6thrust23THRUST_200600_302600_NS6detail15normal_iteratorINSA_10device_ptrIxEEEEPS6_NSA_18transform_iteratorINSA_8identityIxEESF_NSA_11use_defaultESK_EENS0_5tupleIJSF_SF_EEENSM_IJSG_SG_EEES6_PlJS6_EEE10hipError_tPvRmT3_T4_T5_T6_T7_T9_mT8_P12ihipStream_tbDpT10_ENKUlT_T0_E_clISt17integral_constantIbLb0EES18_IbLb1EEEEDaS14_S15_EUlS14_E_NS1_11comp_targetILNS1_3genE9ELNS1_11target_archE1100ELNS1_3gpuE3ELNS1_3repE0EEENS1_30default_config_static_selectorELNS0_4arch9wavefront6targetE1EEEvT1_, .Lfunc_end607-_ZN7rocprim17ROCPRIM_400000_NS6detail17trampoline_kernelINS0_14default_configENS1_25partition_config_selectorILNS1_17partition_subalgoE1ExNS0_10empty_typeEbEEZZNS1_14partition_implILS5_1ELb0ES3_jN6thrust23THRUST_200600_302600_NS6detail15normal_iteratorINSA_10device_ptrIxEEEEPS6_NSA_18transform_iteratorINSA_8identityIxEESF_NSA_11use_defaultESK_EENS0_5tupleIJSF_SF_EEENSM_IJSG_SG_EEES6_PlJS6_EEE10hipError_tPvRmT3_T4_T5_T6_T7_T9_mT8_P12ihipStream_tbDpT10_ENKUlT_T0_E_clISt17integral_constantIbLb0EES18_IbLb1EEEEDaS14_S15_EUlS14_E_NS1_11comp_targetILNS1_3genE9ELNS1_11target_archE1100ELNS1_3gpuE3ELNS1_3repE0EEENS1_30default_config_static_selectorELNS0_4arch9wavefront6targetE1EEEvT1_
                                        ; -- End function
	.section	.AMDGPU.csdata,"",@progbits
; Kernel info:
; codeLenInByte = 0
; NumSgprs: 4
; NumVgprs: 0
; NumAgprs: 0
; TotalNumVgprs: 0
; ScratchSize: 0
; MemoryBound: 0
; FloatMode: 240
; IeeeMode: 1
; LDSByteSize: 0 bytes/workgroup (compile time only)
; SGPRBlocks: 0
; VGPRBlocks: 0
; NumSGPRsForWavesPerEU: 4
; NumVGPRsForWavesPerEU: 1
; AccumOffset: 4
; Occupancy: 8
; WaveLimiterHint : 0
; COMPUTE_PGM_RSRC2:SCRATCH_EN: 0
; COMPUTE_PGM_RSRC2:USER_SGPR: 6
; COMPUTE_PGM_RSRC2:TRAP_HANDLER: 0
; COMPUTE_PGM_RSRC2:TGID_X_EN: 1
; COMPUTE_PGM_RSRC2:TGID_Y_EN: 0
; COMPUTE_PGM_RSRC2:TGID_Z_EN: 0
; COMPUTE_PGM_RSRC2:TIDIG_COMP_CNT: 0
; COMPUTE_PGM_RSRC3_GFX90A:ACCUM_OFFSET: 0
; COMPUTE_PGM_RSRC3_GFX90A:TG_SPLIT: 0
	.section	.text._ZN7rocprim17ROCPRIM_400000_NS6detail17trampoline_kernelINS0_14default_configENS1_25partition_config_selectorILNS1_17partition_subalgoE1ExNS0_10empty_typeEbEEZZNS1_14partition_implILS5_1ELb0ES3_jN6thrust23THRUST_200600_302600_NS6detail15normal_iteratorINSA_10device_ptrIxEEEEPS6_NSA_18transform_iteratorINSA_8identityIxEESF_NSA_11use_defaultESK_EENS0_5tupleIJSF_SF_EEENSM_IJSG_SG_EEES6_PlJS6_EEE10hipError_tPvRmT3_T4_T5_T6_T7_T9_mT8_P12ihipStream_tbDpT10_ENKUlT_T0_E_clISt17integral_constantIbLb0EES18_IbLb1EEEEDaS14_S15_EUlS14_E_NS1_11comp_targetILNS1_3genE8ELNS1_11target_archE1030ELNS1_3gpuE2ELNS1_3repE0EEENS1_30default_config_static_selectorELNS0_4arch9wavefront6targetE1EEEvT1_,"axG",@progbits,_ZN7rocprim17ROCPRIM_400000_NS6detail17trampoline_kernelINS0_14default_configENS1_25partition_config_selectorILNS1_17partition_subalgoE1ExNS0_10empty_typeEbEEZZNS1_14partition_implILS5_1ELb0ES3_jN6thrust23THRUST_200600_302600_NS6detail15normal_iteratorINSA_10device_ptrIxEEEEPS6_NSA_18transform_iteratorINSA_8identityIxEESF_NSA_11use_defaultESK_EENS0_5tupleIJSF_SF_EEENSM_IJSG_SG_EEES6_PlJS6_EEE10hipError_tPvRmT3_T4_T5_T6_T7_T9_mT8_P12ihipStream_tbDpT10_ENKUlT_T0_E_clISt17integral_constantIbLb0EES18_IbLb1EEEEDaS14_S15_EUlS14_E_NS1_11comp_targetILNS1_3genE8ELNS1_11target_archE1030ELNS1_3gpuE2ELNS1_3repE0EEENS1_30default_config_static_selectorELNS0_4arch9wavefront6targetE1EEEvT1_,comdat
	.protected	_ZN7rocprim17ROCPRIM_400000_NS6detail17trampoline_kernelINS0_14default_configENS1_25partition_config_selectorILNS1_17partition_subalgoE1ExNS0_10empty_typeEbEEZZNS1_14partition_implILS5_1ELb0ES3_jN6thrust23THRUST_200600_302600_NS6detail15normal_iteratorINSA_10device_ptrIxEEEEPS6_NSA_18transform_iteratorINSA_8identityIxEESF_NSA_11use_defaultESK_EENS0_5tupleIJSF_SF_EEENSM_IJSG_SG_EEES6_PlJS6_EEE10hipError_tPvRmT3_T4_T5_T6_T7_T9_mT8_P12ihipStream_tbDpT10_ENKUlT_T0_E_clISt17integral_constantIbLb0EES18_IbLb1EEEEDaS14_S15_EUlS14_E_NS1_11comp_targetILNS1_3genE8ELNS1_11target_archE1030ELNS1_3gpuE2ELNS1_3repE0EEENS1_30default_config_static_selectorELNS0_4arch9wavefront6targetE1EEEvT1_ ; -- Begin function _ZN7rocprim17ROCPRIM_400000_NS6detail17trampoline_kernelINS0_14default_configENS1_25partition_config_selectorILNS1_17partition_subalgoE1ExNS0_10empty_typeEbEEZZNS1_14partition_implILS5_1ELb0ES3_jN6thrust23THRUST_200600_302600_NS6detail15normal_iteratorINSA_10device_ptrIxEEEEPS6_NSA_18transform_iteratorINSA_8identityIxEESF_NSA_11use_defaultESK_EENS0_5tupleIJSF_SF_EEENSM_IJSG_SG_EEES6_PlJS6_EEE10hipError_tPvRmT3_T4_T5_T6_T7_T9_mT8_P12ihipStream_tbDpT10_ENKUlT_T0_E_clISt17integral_constantIbLb0EES18_IbLb1EEEEDaS14_S15_EUlS14_E_NS1_11comp_targetILNS1_3genE8ELNS1_11target_archE1030ELNS1_3gpuE2ELNS1_3repE0EEENS1_30default_config_static_selectorELNS0_4arch9wavefront6targetE1EEEvT1_
	.globl	_ZN7rocprim17ROCPRIM_400000_NS6detail17trampoline_kernelINS0_14default_configENS1_25partition_config_selectorILNS1_17partition_subalgoE1ExNS0_10empty_typeEbEEZZNS1_14partition_implILS5_1ELb0ES3_jN6thrust23THRUST_200600_302600_NS6detail15normal_iteratorINSA_10device_ptrIxEEEEPS6_NSA_18transform_iteratorINSA_8identityIxEESF_NSA_11use_defaultESK_EENS0_5tupleIJSF_SF_EEENSM_IJSG_SG_EEES6_PlJS6_EEE10hipError_tPvRmT3_T4_T5_T6_T7_T9_mT8_P12ihipStream_tbDpT10_ENKUlT_T0_E_clISt17integral_constantIbLb0EES18_IbLb1EEEEDaS14_S15_EUlS14_E_NS1_11comp_targetILNS1_3genE8ELNS1_11target_archE1030ELNS1_3gpuE2ELNS1_3repE0EEENS1_30default_config_static_selectorELNS0_4arch9wavefront6targetE1EEEvT1_
	.p2align	8
	.type	_ZN7rocprim17ROCPRIM_400000_NS6detail17trampoline_kernelINS0_14default_configENS1_25partition_config_selectorILNS1_17partition_subalgoE1ExNS0_10empty_typeEbEEZZNS1_14partition_implILS5_1ELb0ES3_jN6thrust23THRUST_200600_302600_NS6detail15normal_iteratorINSA_10device_ptrIxEEEEPS6_NSA_18transform_iteratorINSA_8identityIxEESF_NSA_11use_defaultESK_EENS0_5tupleIJSF_SF_EEENSM_IJSG_SG_EEES6_PlJS6_EEE10hipError_tPvRmT3_T4_T5_T6_T7_T9_mT8_P12ihipStream_tbDpT10_ENKUlT_T0_E_clISt17integral_constantIbLb0EES18_IbLb1EEEEDaS14_S15_EUlS14_E_NS1_11comp_targetILNS1_3genE8ELNS1_11target_archE1030ELNS1_3gpuE2ELNS1_3repE0EEENS1_30default_config_static_selectorELNS0_4arch9wavefront6targetE1EEEvT1_,@function
_ZN7rocprim17ROCPRIM_400000_NS6detail17trampoline_kernelINS0_14default_configENS1_25partition_config_selectorILNS1_17partition_subalgoE1ExNS0_10empty_typeEbEEZZNS1_14partition_implILS5_1ELb0ES3_jN6thrust23THRUST_200600_302600_NS6detail15normal_iteratorINSA_10device_ptrIxEEEEPS6_NSA_18transform_iteratorINSA_8identityIxEESF_NSA_11use_defaultESK_EENS0_5tupleIJSF_SF_EEENSM_IJSG_SG_EEES6_PlJS6_EEE10hipError_tPvRmT3_T4_T5_T6_T7_T9_mT8_P12ihipStream_tbDpT10_ENKUlT_T0_E_clISt17integral_constantIbLb0EES18_IbLb1EEEEDaS14_S15_EUlS14_E_NS1_11comp_targetILNS1_3genE8ELNS1_11target_archE1030ELNS1_3gpuE2ELNS1_3repE0EEENS1_30default_config_static_selectorELNS0_4arch9wavefront6targetE1EEEvT1_: ; @_ZN7rocprim17ROCPRIM_400000_NS6detail17trampoline_kernelINS0_14default_configENS1_25partition_config_selectorILNS1_17partition_subalgoE1ExNS0_10empty_typeEbEEZZNS1_14partition_implILS5_1ELb0ES3_jN6thrust23THRUST_200600_302600_NS6detail15normal_iteratorINSA_10device_ptrIxEEEEPS6_NSA_18transform_iteratorINSA_8identityIxEESF_NSA_11use_defaultESK_EENS0_5tupleIJSF_SF_EEENSM_IJSG_SG_EEES6_PlJS6_EEE10hipError_tPvRmT3_T4_T5_T6_T7_T9_mT8_P12ihipStream_tbDpT10_ENKUlT_T0_E_clISt17integral_constantIbLb0EES18_IbLb1EEEEDaS14_S15_EUlS14_E_NS1_11comp_targetILNS1_3genE8ELNS1_11target_archE1030ELNS1_3gpuE2ELNS1_3repE0EEENS1_30default_config_static_selectorELNS0_4arch9wavefront6targetE1EEEvT1_
; %bb.0:
	.section	.rodata,"a",@progbits
	.p2align	6, 0x0
	.amdhsa_kernel _ZN7rocprim17ROCPRIM_400000_NS6detail17trampoline_kernelINS0_14default_configENS1_25partition_config_selectorILNS1_17partition_subalgoE1ExNS0_10empty_typeEbEEZZNS1_14partition_implILS5_1ELb0ES3_jN6thrust23THRUST_200600_302600_NS6detail15normal_iteratorINSA_10device_ptrIxEEEEPS6_NSA_18transform_iteratorINSA_8identityIxEESF_NSA_11use_defaultESK_EENS0_5tupleIJSF_SF_EEENSM_IJSG_SG_EEES6_PlJS6_EEE10hipError_tPvRmT3_T4_T5_T6_T7_T9_mT8_P12ihipStream_tbDpT10_ENKUlT_T0_E_clISt17integral_constantIbLb0EES18_IbLb1EEEEDaS14_S15_EUlS14_E_NS1_11comp_targetILNS1_3genE8ELNS1_11target_archE1030ELNS1_3gpuE2ELNS1_3repE0EEENS1_30default_config_static_selectorELNS0_4arch9wavefront6targetE1EEEvT1_
		.amdhsa_group_segment_fixed_size 0
		.amdhsa_private_segment_fixed_size 0
		.amdhsa_kernarg_size 144
		.amdhsa_user_sgpr_count 6
		.amdhsa_user_sgpr_private_segment_buffer 1
		.amdhsa_user_sgpr_dispatch_ptr 0
		.amdhsa_user_sgpr_queue_ptr 0
		.amdhsa_user_sgpr_kernarg_segment_ptr 1
		.amdhsa_user_sgpr_dispatch_id 0
		.amdhsa_user_sgpr_flat_scratch_init 0
		.amdhsa_user_sgpr_kernarg_preload_length 0
		.amdhsa_user_sgpr_kernarg_preload_offset 0
		.amdhsa_user_sgpr_private_segment_size 0
		.amdhsa_uses_dynamic_stack 0
		.amdhsa_system_sgpr_private_segment_wavefront_offset 0
		.amdhsa_system_sgpr_workgroup_id_x 1
		.amdhsa_system_sgpr_workgroup_id_y 0
		.amdhsa_system_sgpr_workgroup_id_z 0
		.amdhsa_system_sgpr_workgroup_info 0
		.amdhsa_system_vgpr_workitem_id 0
		.amdhsa_next_free_vgpr 1
		.amdhsa_next_free_sgpr 0
		.amdhsa_accum_offset 4
		.amdhsa_reserve_vcc 0
		.amdhsa_reserve_flat_scratch 0
		.amdhsa_float_round_mode_32 0
		.amdhsa_float_round_mode_16_64 0
		.amdhsa_float_denorm_mode_32 3
		.amdhsa_float_denorm_mode_16_64 3
		.amdhsa_dx10_clamp 1
		.amdhsa_ieee_mode 1
		.amdhsa_fp16_overflow 0
		.amdhsa_tg_split 0
		.amdhsa_exception_fp_ieee_invalid_op 0
		.amdhsa_exception_fp_denorm_src 0
		.amdhsa_exception_fp_ieee_div_zero 0
		.amdhsa_exception_fp_ieee_overflow 0
		.amdhsa_exception_fp_ieee_underflow 0
		.amdhsa_exception_fp_ieee_inexact 0
		.amdhsa_exception_int_div_zero 0
	.end_amdhsa_kernel
	.section	.text._ZN7rocprim17ROCPRIM_400000_NS6detail17trampoline_kernelINS0_14default_configENS1_25partition_config_selectorILNS1_17partition_subalgoE1ExNS0_10empty_typeEbEEZZNS1_14partition_implILS5_1ELb0ES3_jN6thrust23THRUST_200600_302600_NS6detail15normal_iteratorINSA_10device_ptrIxEEEEPS6_NSA_18transform_iteratorINSA_8identityIxEESF_NSA_11use_defaultESK_EENS0_5tupleIJSF_SF_EEENSM_IJSG_SG_EEES6_PlJS6_EEE10hipError_tPvRmT3_T4_T5_T6_T7_T9_mT8_P12ihipStream_tbDpT10_ENKUlT_T0_E_clISt17integral_constantIbLb0EES18_IbLb1EEEEDaS14_S15_EUlS14_E_NS1_11comp_targetILNS1_3genE8ELNS1_11target_archE1030ELNS1_3gpuE2ELNS1_3repE0EEENS1_30default_config_static_selectorELNS0_4arch9wavefront6targetE1EEEvT1_,"axG",@progbits,_ZN7rocprim17ROCPRIM_400000_NS6detail17trampoline_kernelINS0_14default_configENS1_25partition_config_selectorILNS1_17partition_subalgoE1ExNS0_10empty_typeEbEEZZNS1_14partition_implILS5_1ELb0ES3_jN6thrust23THRUST_200600_302600_NS6detail15normal_iteratorINSA_10device_ptrIxEEEEPS6_NSA_18transform_iteratorINSA_8identityIxEESF_NSA_11use_defaultESK_EENS0_5tupleIJSF_SF_EEENSM_IJSG_SG_EEES6_PlJS6_EEE10hipError_tPvRmT3_T4_T5_T6_T7_T9_mT8_P12ihipStream_tbDpT10_ENKUlT_T0_E_clISt17integral_constantIbLb0EES18_IbLb1EEEEDaS14_S15_EUlS14_E_NS1_11comp_targetILNS1_3genE8ELNS1_11target_archE1030ELNS1_3gpuE2ELNS1_3repE0EEENS1_30default_config_static_selectorELNS0_4arch9wavefront6targetE1EEEvT1_,comdat
.Lfunc_end608:
	.size	_ZN7rocprim17ROCPRIM_400000_NS6detail17trampoline_kernelINS0_14default_configENS1_25partition_config_selectorILNS1_17partition_subalgoE1ExNS0_10empty_typeEbEEZZNS1_14partition_implILS5_1ELb0ES3_jN6thrust23THRUST_200600_302600_NS6detail15normal_iteratorINSA_10device_ptrIxEEEEPS6_NSA_18transform_iteratorINSA_8identityIxEESF_NSA_11use_defaultESK_EENS0_5tupleIJSF_SF_EEENSM_IJSG_SG_EEES6_PlJS6_EEE10hipError_tPvRmT3_T4_T5_T6_T7_T9_mT8_P12ihipStream_tbDpT10_ENKUlT_T0_E_clISt17integral_constantIbLb0EES18_IbLb1EEEEDaS14_S15_EUlS14_E_NS1_11comp_targetILNS1_3genE8ELNS1_11target_archE1030ELNS1_3gpuE2ELNS1_3repE0EEENS1_30default_config_static_selectorELNS0_4arch9wavefront6targetE1EEEvT1_, .Lfunc_end608-_ZN7rocprim17ROCPRIM_400000_NS6detail17trampoline_kernelINS0_14default_configENS1_25partition_config_selectorILNS1_17partition_subalgoE1ExNS0_10empty_typeEbEEZZNS1_14partition_implILS5_1ELb0ES3_jN6thrust23THRUST_200600_302600_NS6detail15normal_iteratorINSA_10device_ptrIxEEEEPS6_NSA_18transform_iteratorINSA_8identityIxEESF_NSA_11use_defaultESK_EENS0_5tupleIJSF_SF_EEENSM_IJSG_SG_EEES6_PlJS6_EEE10hipError_tPvRmT3_T4_T5_T6_T7_T9_mT8_P12ihipStream_tbDpT10_ENKUlT_T0_E_clISt17integral_constantIbLb0EES18_IbLb1EEEEDaS14_S15_EUlS14_E_NS1_11comp_targetILNS1_3genE8ELNS1_11target_archE1030ELNS1_3gpuE2ELNS1_3repE0EEENS1_30default_config_static_selectorELNS0_4arch9wavefront6targetE1EEEvT1_
                                        ; -- End function
	.section	.AMDGPU.csdata,"",@progbits
; Kernel info:
; codeLenInByte = 0
; NumSgprs: 4
; NumVgprs: 0
; NumAgprs: 0
; TotalNumVgprs: 0
; ScratchSize: 0
; MemoryBound: 0
; FloatMode: 240
; IeeeMode: 1
; LDSByteSize: 0 bytes/workgroup (compile time only)
; SGPRBlocks: 0
; VGPRBlocks: 0
; NumSGPRsForWavesPerEU: 4
; NumVGPRsForWavesPerEU: 1
; AccumOffset: 4
; Occupancy: 8
; WaveLimiterHint : 0
; COMPUTE_PGM_RSRC2:SCRATCH_EN: 0
; COMPUTE_PGM_RSRC2:USER_SGPR: 6
; COMPUTE_PGM_RSRC2:TRAP_HANDLER: 0
; COMPUTE_PGM_RSRC2:TGID_X_EN: 1
; COMPUTE_PGM_RSRC2:TGID_Y_EN: 0
; COMPUTE_PGM_RSRC2:TGID_Z_EN: 0
; COMPUTE_PGM_RSRC2:TIDIG_COMP_CNT: 0
; COMPUTE_PGM_RSRC3_GFX90A:ACCUM_OFFSET: 0
; COMPUTE_PGM_RSRC3_GFX90A:TG_SPLIT: 0
	.section	.text._ZN7rocprim17ROCPRIM_400000_NS6detail17trampoline_kernelINS0_14default_configENS1_25partition_config_selectorILNS1_17partition_subalgoE1EiNS0_10empty_typeEbEEZZNS1_14partition_implILS5_1ELb0ES3_jN6thrust23THRUST_200600_302600_NS6detail15normal_iteratorINSA_10device_ptrIiEEEEPS6_NSA_18transform_iteratorINSA_8identityIiEESF_NSA_11use_defaultESK_EENS0_5tupleIJSF_SF_EEENSM_IJSG_SG_EEES6_PlJS6_EEE10hipError_tPvRmT3_T4_T5_T6_T7_T9_mT8_P12ihipStream_tbDpT10_ENKUlT_T0_E_clISt17integral_constantIbLb0EES19_EEDaS14_S15_EUlS14_E_NS1_11comp_targetILNS1_3genE0ELNS1_11target_archE4294967295ELNS1_3gpuE0ELNS1_3repE0EEENS1_30default_config_static_selectorELNS0_4arch9wavefront6targetE1EEEvT1_,"axG",@progbits,_ZN7rocprim17ROCPRIM_400000_NS6detail17trampoline_kernelINS0_14default_configENS1_25partition_config_selectorILNS1_17partition_subalgoE1EiNS0_10empty_typeEbEEZZNS1_14partition_implILS5_1ELb0ES3_jN6thrust23THRUST_200600_302600_NS6detail15normal_iteratorINSA_10device_ptrIiEEEEPS6_NSA_18transform_iteratorINSA_8identityIiEESF_NSA_11use_defaultESK_EENS0_5tupleIJSF_SF_EEENSM_IJSG_SG_EEES6_PlJS6_EEE10hipError_tPvRmT3_T4_T5_T6_T7_T9_mT8_P12ihipStream_tbDpT10_ENKUlT_T0_E_clISt17integral_constantIbLb0EES19_EEDaS14_S15_EUlS14_E_NS1_11comp_targetILNS1_3genE0ELNS1_11target_archE4294967295ELNS1_3gpuE0ELNS1_3repE0EEENS1_30default_config_static_selectorELNS0_4arch9wavefront6targetE1EEEvT1_,comdat
	.protected	_ZN7rocprim17ROCPRIM_400000_NS6detail17trampoline_kernelINS0_14default_configENS1_25partition_config_selectorILNS1_17partition_subalgoE1EiNS0_10empty_typeEbEEZZNS1_14partition_implILS5_1ELb0ES3_jN6thrust23THRUST_200600_302600_NS6detail15normal_iteratorINSA_10device_ptrIiEEEEPS6_NSA_18transform_iteratorINSA_8identityIiEESF_NSA_11use_defaultESK_EENS0_5tupleIJSF_SF_EEENSM_IJSG_SG_EEES6_PlJS6_EEE10hipError_tPvRmT3_T4_T5_T6_T7_T9_mT8_P12ihipStream_tbDpT10_ENKUlT_T0_E_clISt17integral_constantIbLb0EES19_EEDaS14_S15_EUlS14_E_NS1_11comp_targetILNS1_3genE0ELNS1_11target_archE4294967295ELNS1_3gpuE0ELNS1_3repE0EEENS1_30default_config_static_selectorELNS0_4arch9wavefront6targetE1EEEvT1_ ; -- Begin function _ZN7rocprim17ROCPRIM_400000_NS6detail17trampoline_kernelINS0_14default_configENS1_25partition_config_selectorILNS1_17partition_subalgoE1EiNS0_10empty_typeEbEEZZNS1_14partition_implILS5_1ELb0ES3_jN6thrust23THRUST_200600_302600_NS6detail15normal_iteratorINSA_10device_ptrIiEEEEPS6_NSA_18transform_iteratorINSA_8identityIiEESF_NSA_11use_defaultESK_EENS0_5tupleIJSF_SF_EEENSM_IJSG_SG_EEES6_PlJS6_EEE10hipError_tPvRmT3_T4_T5_T6_T7_T9_mT8_P12ihipStream_tbDpT10_ENKUlT_T0_E_clISt17integral_constantIbLb0EES19_EEDaS14_S15_EUlS14_E_NS1_11comp_targetILNS1_3genE0ELNS1_11target_archE4294967295ELNS1_3gpuE0ELNS1_3repE0EEENS1_30default_config_static_selectorELNS0_4arch9wavefront6targetE1EEEvT1_
	.globl	_ZN7rocprim17ROCPRIM_400000_NS6detail17trampoline_kernelINS0_14default_configENS1_25partition_config_selectorILNS1_17partition_subalgoE1EiNS0_10empty_typeEbEEZZNS1_14partition_implILS5_1ELb0ES3_jN6thrust23THRUST_200600_302600_NS6detail15normal_iteratorINSA_10device_ptrIiEEEEPS6_NSA_18transform_iteratorINSA_8identityIiEESF_NSA_11use_defaultESK_EENS0_5tupleIJSF_SF_EEENSM_IJSG_SG_EEES6_PlJS6_EEE10hipError_tPvRmT3_T4_T5_T6_T7_T9_mT8_P12ihipStream_tbDpT10_ENKUlT_T0_E_clISt17integral_constantIbLb0EES19_EEDaS14_S15_EUlS14_E_NS1_11comp_targetILNS1_3genE0ELNS1_11target_archE4294967295ELNS1_3gpuE0ELNS1_3repE0EEENS1_30default_config_static_selectorELNS0_4arch9wavefront6targetE1EEEvT1_
	.p2align	8
	.type	_ZN7rocprim17ROCPRIM_400000_NS6detail17trampoline_kernelINS0_14default_configENS1_25partition_config_selectorILNS1_17partition_subalgoE1EiNS0_10empty_typeEbEEZZNS1_14partition_implILS5_1ELb0ES3_jN6thrust23THRUST_200600_302600_NS6detail15normal_iteratorINSA_10device_ptrIiEEEEPS6_NSA_18transform_iteratorINSA_8identityIiEESF_NSA_11use_defaultESK_EENS0_5tupleIJSF_SF_EEENSM_IJSG_SG_EEES6_PlJS6_EEE10hipError_tPvRmT3_T4_T5_T6_T7_T9_mT8_P12ihipStream_tbDpT10_ENKUlT_T0_E_clISt17integral_constantIbLb0EES19_EEDaS14_S15_EUlS14_E_NS1_11comp_targetILNS1_3genE0ELNS1_11target_archE4294967295ELNS1_3gpuE0ELNS1_3repE0EEENS1_30default_config_static_selectorELNS0_4arch9wavefront6targetE1EEEvT1_,@function
_ZN7rocprim17ROCPRIM_400000_NS6detail17trampoline_kernelINS0_14default_configENS1_25partition_config_selectorILNS1_17partition_subalgoE1EiNS0_10empty_typeEbEEZZNS1_14partition_implILS5_1ELb0ES3_jN6thrust23THRUST_200600_302600_NS6detail15normal_iteratorINSA_10device_ptrIiEEEEPS6_NSA_18transform_iteratorINSA_8identityIiEESF_NSA_11use_defaultESK_EENS0_5tupleIJSF_SF_EEENSM_IJSG_SG_EEES6_PlJS6_EEE10hipError_tPvRmT3_T4_T5_T6_T7_T9_mT8_P12ihipStream_tbDpT10_ENKUlT_T0_E_clISt17integral_constantIbLb0EES19_EEDaS14_S15_EUlS14_E_NS1_11comp_targetILNS1_3genE0ELNS1_11target_archE4294967295ELNS1_3gpuE0ELNS1_3repE0EEENS1_30default_config_static_selectorELNS0_4arch9wavefront6targetE1EEEvT1_: ; @_ZN7rocprim17ROCPRIM_400000_NS6detail17trampoline_kernelINS0_14default_configENS1_25partition_config_selectorILNS1_17partition_subalgoE1EiNS0_10empty_typeEbEEZZNS1_14partition_implILS5_1ELb0ES3_jN6thrust23THRUST_200600_302600_NS6detail15normal_iteratorINSA_10device_ptrIiEEEEPS6_NSA_18transform_iteratorINSA_8identityIiEESF_NSA_11use_defaultESK_EENS0_5tupleIJSF_SF_EEENSM_IJSG_SG_EEES6_PlJS6_EEE10hipError_tPvRmT3_T4_T5_T6_T7_T9_mT8_P12ihipStream_tbDpT10_ENKUlT_T0_E_clISt17integral_constantIbLb0EES19_EEDaS14_S15_EUlS14_E_NS1_11comp_targetILNS1_3genE0ELNS1_11target_archE4294967295ELNS1_3gpuE0ELNS1_3repE0EEENS1_30default_config_static_selectorELNS0_4arch9wavefront6targetE1EEEvT1_
; %bb.0:
	.section	.rodata,"a",@progbits
	.p2align	6, 0x0
	.amdhsa_kernel _ZN7rocprim17ROCPRIM_400000_NS6detail17trampoline_kernelINS0_14default_configENS1_25partition_config_selectorILNS1_17partition_subalgoE1EiNS0_10empty_typeEbEEZZNS1_14partition_implILS5_1ELb0ES3_jN6thrust23THRUST_200600_302600_NS6detail15normal_iteratorINSA_10device_ptrIiEEEEPS6_NSA_18transform_iteratorINSA_8identityIiEESF_NSA_11use_defaultESK_EENS0_5tupleIJSF_SF_EEENSM_IJSG_SG_EEES6_PlJS6_EEE10hipError_tPvRmT3_T4_T5_T6_T7_T9_mT8_P12ihipStream_tbDpT10_ENKUlT_T0_E_clISt17integral_constantIbLb0EES19_EEDaS14_S15_EUlS14_E_NS1_11comp_targetILNS1_3genE0ELNS1_11target_archE4294967295ELNS1_3gpuE0ELNS1_3repE0EEENS1_30default_config_static_selectorELNS0_4arch9wavefront6targetE1EEEvT1_
		.amdhsa_group_segment_fixed_size 0
		.amdhsa_private_segment_fixed_size 0
		.amdhsa_kernarg_size 128
		.amdhsa_user_sgpr_count 6
		.amdhsa_user_sgpr_private_segment_buffer 1
		.amdhsa_user_sgpr_dispatch_ptr 0
		.amdhsa_user_sgpr_queue_ptr 0
		.amdhsa_user_sgpr_kernarg_segment_ptr 1
		.amdhsa_user_sgpr_dispatch_id 0
		.amdhsa_user_sgpr_flat_scratch_init 0
		.amdhsa_user_sgpr_kernarg_preload_length 0
		.amdhsa_user_sgpr_kernarg_preload_offset 0
		.amdhsa_user_sgpr_private_segment_size 0
		.amdhsa_uses_dynamic_stack 0
		.amdhsa_system_sgpr_private_segment_wavefront_offset 0
		.amdhsa_system_sgpr_workgroup_id_x 1
		.amdhsa_system_sgpr_workgroup_id_y 0
		.amdhsa_system_sgpr_workgroup_id_z 0
		.amdhsa_system_sgpr_workgroup_info 0
		.amdhsa_system_vgpr_workitem_id 0
		.amdhsa_next_free_vgpr 1
		.amdhsa_next_free_sgpr 0
		.amdhsa_accum_offset 4
		.amdhsa_reserve_vcc 0
		.amdhsa_reserve_flat_scratch 0
		.amdhsa_float_round_mode_32 0
		.amdhsa_float_round_mode_16_64 0
		.amdhsa_float_denorm_mode_32 3
		.amdhsa_float_denorm_mode_16_64 3
		.amdhsa_dx10_clamp 1
		.amdhsa_ieee_mode 1
		.amdhsa_fp16_overflow 0
		.amdhsa_tg_split 0
		.amdhsa_exception_fp_ieee_invalid_op 0
		.amdhsa_exception_fp_denorm_src 0
		.amdhsa_exception_fp_ieee_div_zero 0
		.amdhsa_exception_fp_ieee_overflow 0
		.amdhsa_exception_fp_ieee_underflow 0
		.amdhsa_exception_fp_ieee_inexact 0
		.amdhsa_exception_int_div_zero 0
	.end_amdhsa_kernel
	.section	.text._ZN7rocprim17ROCPRIM_400000_NS6detail17trampoline_kernelINS0_14default_configENS1_25partition_config_selectorILNS1_17partition_subalgoE1EiNS0_10empty_typeEbEEZZNS1_14partition_implILS5_1ELb0ES3_jN6thrust23THRUST_200600_302600_NS6detail15normal_iteratorINSA_10device_ptrIiEEEEPS6_NSA_18transform_iteratorINSA_8identityIiEESF_NSA_11use_defaultESK_EENS0_5tupleIJSF_SF_EEENSM_IJSG_SG_EEES6_PlJS6_EEE10hipError_tPvRmT3_T4_T5_T6_T7_T9_mT8_P12ihipStream_tbDpT10_ENKUlT_T0_E_clISt17integral_constantIbLb0EES19_EEDaS14_S15_EUlS14_E_NS1_11comp_targetILNS1_3genE0ELNS1_11target_archE4294967295ELNS1_3gpuE0ELNS1_3repE0EEENS1_30default_config_static_selectorELNS0_4arch9wavefront6targetE1EEEvT1_,"axG",@progbits,_ZN7rocprim17ROCPRIM_400000_NS6detail17trampoline_kernelINS0_14default_configENS1_25partition_config_selectorILNS1_17partition_subalgoE1EiNS0_10empty_typeEbEEZZNS1_14partition_implILS5_1ELb0ES3_jN6thrust23THRUST_200600_302600_NS6detail15normal_iteratorINSA_10device_ptrIiEEEEPS6_NSA_18transform_iteratorINSA_8identityIiEESF_NSA_11use_defaultESK_EENS0_5tupleIJSF_SF_EEENSM_IJSG_SG_EEES6_PlJS6_EEE10hipError_tPvRmT3_T4_T5_T6_T7_T9_mT8_P12ihipStream_tbDpT10_ENKUlT_T0_E_clISt17integral_constantIbLb0EES19_EEDaS14_S15_EUlS14_E_NS1_11comp_targetILNS1_3genE0ELNS1_11target_archE4294967295ELNS1_3gpuE0ELNS1_3repE0EEENS1_30default_config_static_selectorELNS0_4arch9wavefront6targetE1EEEvT1_,comdat
.Lfunc_end609:
	.size	_ZN7rocprim17ROCPRIM_400000_NS6detail17trampoline_kernelINS0_14default_configENS1_25partition_config_selectorILNS1_17partition_subalgoE1EiNS0_10empty_typeEbEEZZNS1_14partition_implILS5_1ELb0ES3_jN6thrust23THRUST_200600_302600_NS6detail15normal_iteratorINSA_10device_ptrIiEEEEPS6_NSA_18transform_iteratorINSA_8identityIiEESF_NSA_11use_defaultESK_EENS0_5tupleIJSF_SF_EEENSM_IJSG_SG_EEES6_PlJS6_EEE10hipError_tPvRmT3_T4_T5_T6_T7_T9_mT8_P12ihipStream_tbDpT10_ENKUlT_T0_E_clISt17integral_constantIbLb0EES19_EEDaS14_S15_EUlS14_E_NS1_11comp_targetILNS1_3genE0ELNS1_11target_archE4294967295ELNS1_3gpuE0ELNS1_3repE0EEENS1_30default_config_static_selectorELNS0_4arch9wavefront6targetE1EEEvT1_, .Lfunc_end609-_ZN7rocprim17ROCPRIM_400000_NS6detail17trampoline_kernelINS0_14default_configENS1_25partition_config_selectorILNS1_17partition_subalgoE1EiNS0_10empty_typeEbEEZZNS1_14partition_implILS5_1ELb0ES3_jN6thrust23THRUST_200600_302600_NS6detail15normal_iteratorINSA_10device_ptrIiEEEEPS6_NSA_18transform_iteratorINSA_8identityIiEESF_NSA_11use_defaultESK_EENS0_5tupleIJSF_SF_EEENSM_IJSG_SG_EEES6_PlJS6_EEE10hipError_tPvRmT3_T4_T5_T6_T7_T9_mT8_P12ihipStream_tbDpT10_ENKUlT_T0_E_clISt17integral_constantIbLb0EES19_EEDaS14_S15_EUlS14_E_NS1_11comp_targetILNS1_3genE0ELNS1_11target_archE4294967295ELNS1_3gpuE0ELNS1_3repE0EEENS1_30default_config_static_selectorELNS0_4arch9wavefront6targetE1EEEvT1_
                                        ; -- End function
	.section	.AMDGPU.csdata,"",@progbits
; Kernel info:
; codeLenInByte = 0
; NumSgprs: 4
; NumVgprs: 0
; NumAgprs: 0
; TotalNumVgprs: 0
; ScratchSize: 0
; MemoryBound: 0
; FloatMode: 240
; IeeeMode: 1
; LDSByteSize: 0 bytes/workgroup (compile time only)
; SGPRBlocks: 0
; VGPRBlocks: 0
; NumSGPRsForWavesPerEU: 4
; NumVGPRsForWavesPerEU: 1
; AccumOffset: 4
; Occupancy: 8
; WaveLimiterHint : 0
; COMPUTE_PGM_RSRC2:SCRATCH_EN: 0
; COMPUTE_PGM_RSRC2:USER_SGPR: 6
; COMPUTE_PGM_RSRC2:TRAP_HANDLER: 0
; COMPUTE_PGM_RSRC2:TGID_X_EN: 1
; COMPUTE_PGM_RSRC2:TGID_Y_EN: 0
; COMPUTE_PGM_RSRC2:TGID_Z_EN: 0
; COMPUTE_PGM_RSRC2:TIDIG_COMP_CNT: 0
; COMPUTE_PGM_RSRC3_GFX90A:ACCUM_OFFSET: 0
; COMPUTE_PGM_RSRC3_GFX90A:TG_SPLIT: 0
	.section	.text._ZN7rocprim17ROCPRIM_400000_NS6detail17trampoline_kernelINS0_14default_configENS1_25partition_config_selectorILNS1_17partition_subalgoE1EiNS0_10empty_typeEbEEZZNS1_14partition_implILS5_1ELb0ES3_jN6thrust23THRUST_200600_302600_NS6detail15normal_iteratorINSA_10device_ptrIiEEEEPS6_NSA_18transform_iteratorINSA_8identityIiEESF_NSA_11use_defaultESK_EENS0_5tupleIJSF_SF_EEENSM_IJSG_SG_EEES6_PlJS6_EEE10hipError_tPvRmT3_T4_T5_T6_T7_T9_mT8_P12ihipStream_tbDpT10_ENKUlT_T0_E_clISt17integral_constantIbLb0EES19_EEDaS14_S15_EUlS14_E_NS1_11comp_targetILNS1_3genE5ELNS1_11target_archE942ELNS1_3gpuE9ELNS1_3repE0EEENS1_30default_config_static_selectorELNS0_4arch9wavefront6targetE1EEEvT1_,"axG",@progbits,_ZN7rocprim17ROCPRIM_400000_NS6detail17trampoline_kernelINS0_14default_configENS1_25partition_config_selectorILNS1_17partition_subalgoE1EiNS0_10empty_typeEbEEZZNS1_14partition_implILS5_1ELb0ES3_jN6thrust23THRUST_200600_302600_NS6detail15normal_iteratorINSA_10device_ptrIiEEEEPS6_NSA_18transform_iteratorINSA_8identityIiEESF_NSA_11use_defaultESK_EENS0_5tupleIJSF_SF_EEENSM_IJSG_SG_EEES6_PlJS6_EEE10hipError_tPvRmT3_T4_T5_T6_T7_T9_mT8_P12ihipStream_tbDpT10_ENKUlT_T0_E_clISt17integral_constantIbLb0EES19_EEDaS14_S15_EUlS14_E_NS1_11comp_targetILNS1_3genE5ELNS1_11target_archE942ELNS1_3gpuE9ELNS1_3repE0EEENS1_30default_config_static_selectorELNS0_4arch9wavefront6targetE1EEEvT1_,comdat
	.protected	_ZN7rocprim17ROCPRIM_400000_NS6detail17trampoline_kernelINS0_14default_configENS1_25partition_config_selectorILNS1_17partition_subalgoE1EiNS0_10empty_typeEbEEZZNS1_14partition_implILS5_1ELb0ES3_jN6thrust23THRUST_200600_302600_NS6detail15normal_iteratorINSA_10device_ptrIiEEEEPS6_NSA_18transform_iteratorINSA_8identityIiEESF_NSA_11use_defaultESK_EENS0_5tupleIJSF_SF_EEENSM_IJSG_SG_EEES6_PlJS6_EEE10hipError_tPvRmT3_T4_T5_T6_T7_T9_mT8_P12ihipStream_tbDpT10_ENKUlT_T0_E_clISt17integral_constantIbLb0EES19_EEDaS14_S15_EUlS14_E_NS1_11comp_targetILNS1_3genE5ELNS1_11target_archE942ELNS1_3gpuE9ELNS1_3repE0EEENS1_30default_config_static_selectorELNS0_4arch9wavefront6targetE1EEEvT1_ ; -- Begin function _ZN7rocprim17ROCPRIM_400000_NS6detail17trampoline_kernelINS0_14default_configENS1_25partition_config_selectorILNS1_17partition_subalgoE1EiNS0_10empty_typeEbEEZZNS1_14partition_implILS5_1ELb0ES3_jN6thrust23THRUST_200600_302600_NS6detail15normal_iteratorINSA_10device_ptrIiEEEEPS6_NSA_18transform_iteratorINSA_8identityIiEESF_NSA_11use_defaultESK_EENS0_5tupleIJSF_SF_EEENSM_IJSG_SG_EEES6_PlJS6_EEE10hipError_tPvRmT3_T4_T5_T6_T7_T9_mT8_P12ihipStream_tbDpT10_ENKUlT_T0_E_clISt17integral_constantIbLb0EES19_EEDaS14_S15_EUlS14_E_NS1_11comp_targetILNS1_3genE5ELNS1_11target_archE942ELNS1_3gpuE9ELNS1_3repE0EEENS1_30default_config_static_selectorELNS0_4arch9wavefront6targetE1EEEvT1_
	.globl	_ZN7rocprim17ROCPRIM_400000_NS6detail17trampoline_kernelINS0_14default_configENS1_25partition_config_selectorILNS1_17partition_subalgoE1EiNS0_10empty_typeEbEEZZNS1_14partition_implILS5_1ELb0ES3_jN6thrust23THRUST_200600_302600_NS6detail15normal_iteratorINSA_10device_ptrIiEEEEPS6_NSA_18transform_iteratorINSA_8identityIiEESF_NSA_11use_defaultESK_EENS0_5tupleIJSF_SF_EEENSM_IJSG_SG_EEES6_PlJS6_EEE10hipError_tPvRmT3_T4_T5_T6_T7_T9_mT8_P12ihipStream_tbDpT10_ENKUlT_T0_E_clISt17integral_constantIbLb0EES19_EEDaS14_S15_EUlS14_E_NS1_11comp_targetILNS1_3genE5ELNS1_11target_archE942ELNS1_3gpuE9ELNS1_3repE0EEENS1_30default_config_static_selectorELNS0_4arch9wavefront6targetE1EEEvT1_
	.p2align	8
	.type	_ZN7rocprim17ROCPRIM_400000_NS6detail17trampoline_kernelINS0_14default_configENS1_25partition_config_selectorILNS1_17partition_subalgoE1EiNS0_10empty_typeEbEEZZNS1_14partition_implILS5_1ELb0ES3_jN6thrust23THRUST_200600_302600_NS6detail15normal_iteratorINSA_10device_ptrIiEEEEPS6_NSA_18transform_iteratorINSA_8identityIiEESF_NSA_11use_defaultESK_EENS0_5tupleIJSF_SF_EEENSM_IJSG_SG_EEES6_PlJS6_EEE10hipError_tPvRmT3_T4_T5_T6_T7_T9_mT8_P12ihipStream_tbDpT10_ENKUlT_T0_E_clISt17integral_constantIbLb0EES19_EEDaS14_S15_EUlS14_E_NS1_11comp_targetILNS1_3genE5ELNS1_11target_archE942ELNS1_3gpuE9ELNS1_3repE0EEENS1_30default_config_static_selectorELNS0_4arch9wavefront6targetE1EEEvT1_,@function
_ZN7rocprim17ROCPRIM_400000_NS6detail17trampoline_kernelINS0_14default_configENS1_25partition_config_selectorILNS1_17partition_subalgoE1EiNS0_10empty_typeEbEEZZNS1_14partition_implILS5_1ELb0ES3_jN6thrust23THRUST_200600_302600_NS6detail15normal_iteratorINSA_10device_ptrIiEEEEPS6_NSA_18transform_iteratorINSA_8identityIiEESF_NSA_11use_defaultESK_EENS0_5tupleIJSF_SF_EEENSM_IJSG_SG_EEES6_PlJS6_EEE10hipError_tPvRmT3_T4_T5_T6_T7_T9_mT8_P12ihipStream_tbDpT10_ENKUlT_T0_E_clISt17integral_constantIbLb0EES19_EEDaS14_S15_EUlS14_E_NS1_11comp_targetILNS1_3genE5ELNS1_11target_archE942ELNS1_3gpuE9ELNS1_3repE0EEENS1_30default_config_static_selectorELNS0_4arch9wavefront6targetE1EEEvT1_: ; @_ZN7rocprim17ROCPRIM_400000_NS6detail17trampoline_kernelINS0_14default_configENS1_25partition_config_selectorILNS1_17partition_subalgoE1EiNS0_10empty_typeEbEEZZNS1_14partition_implILS5_1ELb0ES3_jN6thrust23THRUST_200600_302600_NS6detail15normal_iteratorINSA_10device_ptrIiEEEEPS6_NSA_18transform_iteratorINSA_8identityIiEESF_NSA_11use_defaultESK_EENS0_5tupleIJSF_SF_EEENSM_IJSG_SG_EEES6_PlJS6_EEE10hipError_tPvRmT3_T4_T5_T6_T7_T9_mT8_P12ihipStream_tbDpT10_ENKUlT_T0_E_clISt17integral_constantIbLb0EES19_EEDaS14_S15_EUlS14_E_NS1_11comp_targetILNS1_3genE5ELNS1_11target_archE942ELNS1_3gpuE9ELNS1_3repE0EEENS1_30default_config_static_selectorELNS0_4arch9wavefront6targetE1EEEvT1_
; %bb.0:
	.section	.rodata,"a",@progbits
	.p2align	6, 0x0
	.amdhsa_kernel _ZN7rocprim17ROCPRIM_400000_NS6detail17trampoline_kernelINS0_14default_configENS1_25partition_config_selectorILNS1_17partition_subalgoE1EiNS0_10empty_typeEbEEZZNS1_14partition_implILS5_1ELb0ES3_jN6thrust23THRUST_200600_302600_NS6detail15normal_iteratorINSA_10device_ptrIiEEEEPS6_NSA_18transform_iteratorINSA_8identityIiEESF_NSA_11use_defaultESK_EENS0_5tupleIJSF_SF_EEENSM_IJSG_SG_EEES6_PlJS6_EEE10hipError_tPvRmT3_T4_T5_T6_T7_T9_mT8_P12ihipStream_tbDpT10_ENKUlT_T0_E_clISt17integral_constantIbLb0EES19_EEDaS14_S15_EUlS14_E_NS1_11comp_targetILNS1_3genE5ELNS1_11target_archE942ELNS1_3gpuE9ELNS1_3repE0EEENS1_30default_config_static_selectorELNS0_4arch9wavefront6targetE1EEEvT1_
		.amdhsa_group_segment_fixed_size 0
		.amdhsa_private_segment_fixed_size 0
		.amdhsa_kernarg_size 128
		.amdhsa_user_sgpr_count 6
		.amdhsa_user_sgpr_private_segment_buffer 1
		.amdhsa_user_sgpr_dispatch_ptr 0
		.amdhsa_user_sgpr_queue_ptr 0
		.amdhsa_user_sgpr_kernarg_segment_ptr 1
		.amdhsa_user_sgpr_dispatch_id 0
		.amdhsa_user_sgpr_flat_scratch_init 0
		.amdhsa_user_sgpr_kernarg_preload_length 0
		.amdhsa_user_sgpr_kernarg_preload_offset 0
		.amdhsa_user_sgpr_private_segment_size 0
		.amdhsa_uses_dynamic_stack 0
		.amdhsa_system_sgpr_private_segment_wavefront_offset 0
		.amdhsa_system_sgpr_workgroup_id_x 1
		.amdhsa_system_sgpr_workgroup_id_y 0
		.amdhsa_system_sgpr_workgroup_id_z 0
		.amdhsa_system_sgpr_workgroup_info 0
		.amdhsa_system_vgpr_workitem_id 0
		.amdhsa_next_free_vgpr 1
		.amdhsa_next_free_sgpr 0
		.amdhsa_accum_offset 4
		.amdhsa_reserve_vcc 0
		.amdhsa_reserve_flat_scratch 0
		.amdhsa_float_round_mode_32 0
		.amdhsa_float_round_mode_16_64 0
		.amdhsa_float_denorm_mode_32 3
		.amdhsa_float_denorm_mode_16_64 3
		.amdhsa_dx10_clamp 1
		.amdhsa_ieee_mode 1
		.amdhsa_fp16_overflow 0
		.amdhsa_tg_split 0
		.amdhsa_exception_fp_ieee_invalid_op 0
		.amdhsa_exception_fp_denorm_src 0
		.amdhsa_exception_fp_ieee_div_zero 0
		.amdhsa_exception_fp_ieee_overflow 0
		.amdhsa_exception_fp_ieee_underflow 0
		.amdhsa_exception_fp_ieee_inexact 0
		.amdhsa_exception_int_div_zero 0
	.end_amdhsa_kernel
	.section	.text._ZN7rocprim17ROCPRIM_400000_NS6detail17trampoline_kernelINS0_14default_configENS1_25partition_config_selectorILNS1_17partition_subalgoE1EiNS0_10empty_typeEbEEZZNS1_14partition_implILS5_1ELb0ES3_jN6thrust23THRUST_200600_302600_NS6detail15normal_iteratorINSA_10device_ptrIiEEEEPS6_NSA_18transform_iteratorINSA_8identityIiEESF_NSA_11use_defaultESK_EENS0_5tupleIJSF_SF_EEENSM_IJSG_SG_EEES6_PlJS6_EEE10hipError_tPvRmT3_T4_T5_T6_T7_T9_mT8_P12ihipStream_tbDpT10_ENKUlT_T0_E_clISt17integral_constantIbLb0EES19_EEDaS14_S15_EUlS14_E_NS1_11comp_targetILNS1_3genE5ELNS1_11target_archE942ELNS1_3gpuE9ELNS1_3repE0EEENS1_30default_config_static_selectorELNS0_4arch9wavefront6targetE1EEEvT1_,"axG",@progbits,_ZN7rocprim17ROCPRIM_400000_NS6detail17trampoline_kernelINS0_14default_configENS1_25partition_config_selectorILNS1_17partition_subalgoE1EiNS0_10empty_typeEbEEZZNS1_14partition_implILS5_1ELb0ES3_jN6thrust23THRUST_200600_302600_NS6detail15normal_iteratorINSA_10device_ptrIiEEEEPS6_NSA_18transform_iteratorINSA_8identityIiEESF_NSA_11use_defaultESK_EENS0_5tupleIJSF_SF_EEENSM_IJSG_SG_EEES6_PlJS6_EEE10hipError_tPvRmT3_T4_T5_T6_T7_T9_mT8_P12ihipStream_tbDpT10_ENKUlT_T0_E_clISt17integral_constantIbLb0EES19_EEDaS14_S15_EUlS14_E_NS1_11comp_targetILNS1_3genE5ELNS1_11target_archE942ELNS1_3gpuE9ELNS1_3repE0EEENS1_30default_config_static_selectorELNS0_4arch9wavefront6targetE1EEEvT1_,comdat
.Lfunc_end610:
	.size	_ZN7rocprim17ROCPRIM_400000_NS6detail17trampoline_kernelINS0_14default_configENS1_25partition_config_selectorILNS1_17partition_subalgoE1EiNS0_10empty_typeEbEEZZNS1_14partition_implILS5_1ELb0ES3_jN6thrust23THRUST_200600_302600_NS6detail15normal_iteratorINSA_10device_ptrIiEEEEPS6_NSA_18transform_iteratorINSA_8identityIiEESF_NSA_11use_defaultESK_EENS0_5tupleIJSF_SF_EEENSM_IJSG_SG_EEES6_PlJS6_EEE10hipError_tPvRmT3_T4_T5_T6_T7_T9_mT8_P12ihipStream_tbDpT10_ENKUlT_T0_E_clISt17integral_constantIbLb0EES19_EEDaS14_S15_EUlS14_E_NS1_11comp_targetILNS1_3genE5ELNS1_11target_archE942ELNS1_3gpuE9ELNS1_3repE0EEENS1_30default_config_static_selectorELNS0_4arch9wavefront6targetE1EEEvT1_, .Lfunc_end610-_ZN7rocprim17ROCPRIM_400000_NS6detail17trampoline_kernelINS0_14default_configENS1_25partition_config_selectorILNS1_17partition_subalgoE1EiNS0_10empty_typeEbEEZZNS1_14partition_implILS5_1ELb0ES3_jN6thrust23THRUST_200600_302600_NS6detail15normal_iteratorINSA_10device_ptrIiEEEEPS6_NSA_18transform_iteratorINSA_8identityIiEESF_NSA_11use_defaultESK_EENS0_5tupleIJSF_SF_EEENSM_IJSG_SG_EEES6_PlJS6_EEE10hipError_tPvRmT3_T4_T5_T6_T7_T9_mT8_P12ihipStream_tbDpT10_ENKUlT_T0_E_clISt17integral_constantIbLb0EES19_EEDaS14_S15_EUlS14_E_NS1_11comp_targetILNS1_3genE5ELNS1_11target_archE942ELNS1_3gpuE9ELNS1_3repE0EEENS1_30default_config_static_selectorELNS0_4arch9wavefront6targetE1EEEvT1_
                                        ; -- End function
	.section	.AMDGPU.csdata,"",@progbits
; Kernel info:
; codeLenInByte = 0
; NumSgprs: 4
; NumVgprs: 0
; NumAgprs: 0
; TotalNumVgprs: 0
; ScratchSize: 0
; MemoryBound: 0
; FloatMode: 240
; IeeeMode: 1
; LDSByteSize: 0 bytes/workgroup (compile time only)
; SGPRBlocks: 0
; VGPRBlocks: 0
; NumSGPRsForWavesPerEU: 4
; NumVGPRsForWavesPerEU: 1
; AccumOffset: 4
; Occupancy: 8
; WaveLimiterHint : 0
; COMPUTE_PGM_RSRC2:SCRATCH_EN: 0
; COMPUTE_PGM_RSRC2:USER_SGPR: 6
; COMPUTE_PGM_RSRC2:TRAP_HANDLER: 0
; COMPUTE_PGM_RSRC2:TGID_X_EN: 1
; COMPUTE_PGM_RSRC2:TGID_Y_EN: 0
; COMPUTE_PGM_RSRC2:TGID_Z_EN: 0
; COMPUTE_PGM_RSRC2:TIDIG_COMP_CNT: 0
; COMPUTE_PGM_RSRC3_GFX90A:ACCUM_OFFSET: 0
; COMPUTE_PGM_RSRC3_GFX90A:TG_SPLIT: 0
	.section	.text._ZN7rocprim17ROCPRIM_400000_NS6detail17trampoline_kernelINS0_14default_configENS1_25partition_config_selectorILNS1_17partition_subalgoE1EiNS0_10empty_typeEbEEZZNS1_14partition_implILS5_1ELb0ES3_jN6thrust23THRUST_200600_302600_NS6detail15normal_iteratorINSA_10device_ptrIiEEEEPS6_NSA_18transform_iteratorINSA_8identityIiEESF_NSA_11use_defaultESK_EENS0_5tupleIJSF_SF_EEENSM_IJSG_SG_EEES6_PlJS6_EEE10hipError_tPvRmT3_T4_T5_T6_T7_T9_mT8_P12ihipStream_tbDpT10_ENKUlT_T0_E_clISt17integral_constantIbLb0EES19_EEDaS14_S15_EUlS14_E_NS1_11comp_targetILNS1_3genE4ELNS1_11target_archE910ELNS1_3gpuE8ELNS1_3repE0EEENS1_30default_config_static_selectorELNS0_4arch9wavefront6targetE1EEEvT1_,"axG",@progbits,_ZN7rocprim17ROCPRIM_400000_NS6detail17trampoline_kernelINS0_14default_configENS1_25partition_config_selectorILNS1_17partition_subalgoE1EiNS0_10empty_typeEbEEZZNS1_14partition_implILS5_1ELb0ES3_jN6thrust23THRUST_200600_302600_NS6detail15normal_iteratorINSA_10device_ptrIiEEEEPS6_NSA_18transform_iteratorINSA_8identityIiEESF_NSA_11use_defaultESK_EENS0_5tupleIJSF_SF_EEENSM_IJSG_SG_EEES6_PlJS6_EEE10hipError_tPvRmT3_T4_T5_T6_T7_T9_mT8_P12ihipStream_tbDpT10_ENKUlT_T0_E_clISt17integral_constantIbLb0EES19_EEDaS14_S15_EUlS14_E_NS1_11comp_targetILNS1_3genE4ELNS1_11target_archE910ELNS1_3gpuE8ELNS1_3repE0EEENS1_30default_config_static_selectorELNS0_4arch9wavefront6targetE1EEEvT1_,comdat
	.protected	_ZN7rocprim17ROCPRIM_400000_NS6detail17trampoline_kernelINS0_14default_configENS1_25partition_config_selectorILNS1_17partition_subalgoE1EiNS0_10empty_typeEbEEZZNS1_14partition_implILS5_1ELb0ES3_jN6thrust23THRUST_200600_302600_NS6detail15normal_iteratorINSA_10device_ptrIiEEEEPS6_NSA_18transform_iteratorINSA_8identityIiEESF_NSA_11use_defaultESK_EENS0_5tupleIJSF_SF_EEENSM_IJSG_SG_EEES6_PlJS6_EEE10hipError_tPvRmT3_T4_T5_T6_T7_T9_mT8_P12ihipStream_tbDpT10_ENKUlT_T0_E_clISt17integral_constantIbLb0EES19_EEDaS14_S15_EUlS14_E_NS1_11comp_targetILNS1_3genE4ELNS1_11target_archE910ELNS1_3gpuE8ELNS1_3repE0EEENS1_30default_config_static_selectorELNS0_4arch9wavefront6targetE1EEEvT1_ ; -- Begin function _ZN7rocprim17ROCPRIM_400000_NS6detail17trampoline_kernelINS0_14default_configENS1_25partition_config_selectorILNS1_17partition_subalgoE1EiNS0_10empty_typeEbEEZZNS1_14partition_implILS5_1ELb0ES3_jN6thrust23THRUST_200600_302600_NS6detail15normal_iteratorINSA_10device_ptrIiEEEEPS6_NSA_18transform_iteratorINSA_8identityIiEESF_NSA_11use_defaultESK_EENS0_5tupleIJSF_SF_EEENSM_IJSG_SG_EEES6_PlJS6_EEE10hipError_tPvRmT3_T4_T5_T6_T7_T9_mT8_P12ihipStream_tbDpT10_ENKUlT_T0_E_clISt17integral_constantIbLb0EES19_EEDaS14_S15_EUlS14_E_NS1_11comp_targetILNS1_3genE4ELNS1_11target_archE910ELNS1_3gpuE8ELNS1_3repE0EEENS1_30default_config_static_selectorELNS0_4arch9wavefront6targetE1EEEvT1_
	.globl	_ZN7rocprim17ROCPRIM_400000_NS6detail17trampoline_kernelINS0_14default_configENS1_25partition_config_selectorILNS1_17partition_subalgoE1EiNS0_10empty_typeEbEEZZNS1_14partition_implILS5_1ELb0ES3_jN6thrust23THRUST_200600_302600_NS6detail15normal_iteratorINSA_10device_ptrIiEEEEPS6_NSA_18transform_iteratorINSA_8identityIiEESF_NSA_11use_defaultESK_EENS0_5tupleIJSF_SF_EEENSM_IJSG_SG_EEES6_PlJS6_EEE10hipError_tPvRmT3_T4_T5_T6_T7_T9_mT8_P12ihipStream_tbDpT10_ENKUlT_T0_E_clISt17integral_constantIbLb0EES19_EEDaS14_S15_EUlS14_E_NS1_11comp_targetILNS1_3genE4ELNS1_11target_archE910ELNS1_3gpuE8ELNS1_3repE0EEENS1_30default_config_static_selectorELNS0_4arch9wavefront6targetE1EEEvT1_
	.p2align	8
	.type	_ZN7rocprim17ROCPRIM_400000_NS6detail17trampoline_kernelINS0_14default_configENS1_25partition_config_selectorILNS1_17partition_subalgoE1EiNS0_10empty_typeEbEEZZNS1_14partition_implILS5_1ELb0ES3_jN6thrust23THRUST_200600_302600_NS6detail15normal_iteratorINSA_10device_ptrIiEEEEPS6_NSA_18transform_iteratorINSA_8identityIiEESF_NSA_11use_defaultESK_EENS0_5tupleIJSF_SF_EEENSM_IJSG_SG_EEES6_PlJS6_EEE10hipError_tPvRmT3_T4_T5_T6_T7_T9_mT8_P12ihipStream_tbDpT10_ENKUlT_T0_E_clISt17integral_constantIbLb0EES19_EEDaS14_S15_EUlS14_E_NS1_11comp_targetILNS1_3genE4ELNS1_11target_archE910ELNS1_3gpuE8ELNS1_3repE0EEENS1_30default_config_static_selectorELNS0_4arch9wavefront6targetE1EEEvT1_,@function
_ZN7rocprim17ROCPRIM_400000_NS6detail17trampoline_kernelINS0_14default_configENS1_25partition_config_selectorILNS1_17partition_subalgoE1EiNS0_10empty_typeEbEEZZNS1_14partition_implILS5_1ELb0ES3_jN6thrust23THRUST_200600_302600_NS6detail15normal_iteratorINSA_10device_ptrIiEEEEPS6_NSA_18transform_iteratorINSA_8identityIiEESF_NSA_11use_defaultESK_EENS0_5tupleIJSF_SF_EEENSM_IJSG_SG_EEES6_PlJS6_EEE10hipError_tPvRmT3_T4_T5_T6_T7_T9_mT8_P12ihipStream_tbDpT10_ENKUlT_T0_E_clISt17integral_constantIbLb0EES19_EEDaS14_S15_EUlS14_E_NS1_11comp_targetILNS1_3genE4ELNS1_11target_archE910ELNS1_3gpuE8ELNS1_3repE0EEENS1_30default_config_static_selectorELNS0_4arch9wavefront6targetE1EEEvT1_: ; @_ZN7rocprim17ROCPRIM_400000_NS6detail17trampoline_kernelINS0_14default_configENS1_25partition_config_selectorILNS1_17partition_subalgoE1EiNS0_10empty_typeEbEEZZNS1_14partition_implILS5_1ELb0ES3_jN6thrust23THRUST_200600_302600_NS6detail15normal_iteratorINSA_10device_ptrIiEEEEPS6_NSA_18transform_iteratorINSA_8identityIiEESF_NSA_11use_defaultESK_EENS0_5tupleIJSF_SF_EEENSM_IJSG_SG_EEES6_PlJS6_EEE10hipError_tPvRmT3_T4_T5_T6_T7_T9_mT8_P12ihipStream_tbDpT10_ENKUlT_T0_E_clISt17integral_constantIbLb0EES19_EEDaS14_S15_EUlS14_E_NS1_11comp_targetILNS1_3genE4ELNS1_11target_archE910ELNS1_3gpuE8ELNS1_3repE0EEENS1_30default_config_static_selectorELNS0_4arch9wavefront6targetE1EEEvT1_
; %bb.0:
	s_load_dwordx2 s[0:1], s[4:5], 0x60
	s_load_dwordx4 s[24:27], s[4:5], 0x8
	s_load_dwordx2 s[2:3], s[4:5], 0x20
	s_load_dwordx4 s[20:23], s[4:5], 0x50
	s_mul_i32 s10, s6, 0x700
	s_waitcnt lgkmcnt(0)
	v_mov_b32_e32 v3, s1
	s_load_dword s1, s[4:5], 0x78
	s_lshl_b64 s[8:9], s[26:27], 2
	s_add_u32 s7, s24, s8
	s_addc_u32 s12, s25, s9
	v_mov_b32_e32 v2, s0
	s_waitcnt lgkmcnt(0)
	s_add_i32 s13, s1, -1
	s_mulk_i32 s1, 0x700
	s_add_i32 s11, s1, s26
	s_sub_i32 s33, s0, s11
	s_addk_i32 s33, 0x700
	s_add_u32 s0, s26, s1
	s_addc_u32 s1, s27, 0
	s_cmp_eq_u32 s6, s13
	s_load_dwordx2 s[30:31], s[22:23], 0x0
	s_cselect_b64 s[22:23], -1, 0
	s_cmp_lg_u32 s6, s13
	s_mov_b32 s11, 0
	v_cmp_lt_u64_e32 vcc, s[0:1], v[2:3]
	s_cselect_b64 s[0:1], -1, 0
	s_or_b64 s[24:25], s[0:1], vcc
	s_lshl_b64 s[28:29], s[10:11], 2
	s_add_u32 s7, s7, s28
	s_addc_u32 s12, s12, s29
	s_mov_b64 s[0:1], -1
	s_and_b64 vcc, exec, s[24:25]
	v_lshlrev_b32_e32 v1, 2, v0
	s_cbranch_vccz .LBB611_2
; %bb.1:
	v_mov_b32_e32 v3, s12
	v_add_co_u32_e32 v2, vcc, s7, v1
	v_addc_co_u32_e32 v3, vcc, 0, v3, vcc
	v_add_co_u32_e32 v4, vcc, 0x1000, v2
	v_addc_co_u32_e32 v5, vcc, 0, v3, vcc
	flat_load_dword v6, v[2:3]
	flat_load_dword v7, v[2:3] offset:1024
	flat_load_dword v8, v[2:3] offset:2048
	;; [unrolled: 1-line block ×3, first 2 shown]
	flat_load_dword v10, v[4:5]
	flat_load_dword v11, v[4:5] offset:1024
	flat_load_dword v12, v[4:5] offset:2048
	s_mov_b64 s[0:1], 0
	s_waitcnt vmcnt(0) lgkmcnt(0)
	ds_write2st64_b32 v1, v6, v7 offset1:4
	ds_write2st64_b32 v1, v8, v9 offset0:8 offset1:12
	ds_write2st64_b32 v1, v10, v11 offset0:16 offset1:20
	ds_write_b32 v1, v12 offset:6144
	s_waitcnt lgkmcnt(0)
	s_barrier
.LBB611_2:
	s_andn2_b64 vcc, exec, s[0:1]
	v_cmp_gt_u32_e64 s[0:1], s33, v0
	s_cbranch_vccnz .LBB611_18
; %bb.3:
                                        ; implicit-def: $vgpr2_vgpr3_vgpr4_vgpr5_vgpr6_vgpr7_vgpr8
	s_and_saveexec_b64 s[10:11], s[0:1]
	s_cbranch_execz .LBB611_5
; %bb.4:
	v_mov_b32_e32 v3, s12
	v_add_co_u32_e32 v2, vcc, s7, v1
	v_addc_co_u32_e32 v3, vcc, 0, v3, vcc
	flat_load_dword v2, v[2:3]
.LBB611_5:
	s_or_b64 exec, exec, s[10:11]
	v_or_b32_e32 v9, 0x100, v0
	v_cmp_gt_u32_e32 vcc, s33, v9
	s_and_saveexec_b64 s[0:1], vcc
	s_cbranch_execz .LBB611_7
; %bb.6:
	v_mov_b32_e32 v3, s12
	v_add_co_u32_e32 v10, vcc, s7, v1
	v_addc_co_u32_e32 v11, vcc, 0, v3, vcc
	flat_load_dword v3, v[10:11] offset:1024
.LBB611_7:
	s_or_b64 exec, exec, s[0:1]
	v_or_b32_e32 v9, 0x200, v0
	v_cmp_gt_u32_e32 vcc, s33, v9
	s_and_saveexec_b64 s[0:1], vcc
	s_cbranch_execz .LBB611_9
; %bb.8:
	v_mov_b32_e32 v4, s12
	v_add_co_u32_e32 v10, vcc, s7, v1
	v_addc_co_u32_e32 v11, vcc, 0, v4, vcc
	flat_load_dword v4, v[10:11] offset:2048
.LBB611_9:
	;; [unrolled: 11-line block ×3, first 2 shown]
	s_or_b64 exec, exec, s[0:1]
	v_or_b32_e32 v9, 0x400, v0
	v_cmp_gt_u32_e32 vcc, s33, v9
	s_and_saveexec_b64 s[0:1], vcc
	s_cbranch_execz .LBB611_13
; %bb.12:
	v_lshlrev_b32_e32 v6, 2, v9
	v_mov_b32_e32 v9, s12
	v_add_co_u32_e32 v10, vcc, s7, v6
	v_addc_co_u32_e32 v11, vcc, 0, v9, vcc
	flat_load_dword v6, v[10:11]
.LBB611_13:
	s_or_b64 exec, exec, s[0:1]
	v_or_b32_e32 v9, 0x500, v0
	v_cmp_gt_u32_e32 vcc, s33, v9
	s_and_saveexec_b64 s[0:1], vcc
	s_cbranch_execz .LBB611_15
; %bb.14:
	v_lshlrev_b32_e32 v7, 2, v9
	v_mov_b32_e32 v9, s12
	v_add_co_u32_e32 v10, vcc, s7, v7
	v_addc_co_u32_e32 v11, vcc, 0, v9, vcc
	flat_load_dword v7, v[10:11]
.LBB611_15:
	;; [unrolled: 12-line block ×3, first 2 shown]
	s_or_b64 exec, exec, s[0:1]
	s_waitcnt vmcnt(0) lgkmcnt(0)
	ds_write2st64_b32 v1, v2, v3 offset1:4
	ds_write2st64_b32 v1, v4, v5 offset0:8 offset1:12
	ds_write2st64_b32 v1, v6, v7 offset0:16 offset1:20
	ds_write_b32 v1, v8 offset:6144
	s_waitcnt lgkmcnt(0)
	s_barrier
.LBB611_18:
	v_mul_u32_u24_e32 v19, 7, v0
	v_lshlrev_b32_e32 v8, 2, v19
	s_waitcnt lgkmcnt(0)
	ds_read2_b32 v[6:7], v8 offset1:1
	ds_read2_b32 v[4:5], v8 offset0:2 offset1:3
	ds_read2_b32 v[2:3], v8 offset0:4 offset1:5
	ds_read_b32 v18, v8 offset:24
	s_add_u32 s0, s2, s8
	s_addc_u32 s1, s3, s9
	s_add_u32 s0, s0, s28
	s_addc_u32 s1, s1, s29
	s_mov_b64 s[2:3], -1
	s_and_b64 vcc, exec, s[24:25]
	s_waitcnt lgkmcnt(0)
	s_barrier
	s_cbranch_vccz .LBB611_20
; %bb.19:
	global_load_dword v12, v1, s[0:1]
	global_load_dword v13, v1, s[0:1] offset:1024
	v_mov_b32_e32 v9, s1
	v_add_co_u32_e32 v10, vcc, s0, v1
	v_addc_co_u32_e32 v9, vcc, 0, v9, vcc
	global_load_dword v14, v1, s[0:1] offset:2048
	global_load_dword v15, v1, s[0:1] offset:3072
	s_movk_i32 s2, 0x1000
	v_add_co_u32_e32 v10, vcc, s2, v10
	v_addc_co_u32_e32 v11, vcc, 0, v9, vcc
	global_load_dword v9, v[10:11], off
	global_load_dword v16, v[10:11], off offset:1024
	global_load_dword v17, v[10:11], off offset:2048
	s_mov_b64 s[2:3], 0
	s_waitcnt vmcnt(6)
	v_cmp_ne_u32_e32 vcc, 0, v12
	v_cndmask_b32_e64 v10, 0, 1, vcc
	s_waitcnt vmcnt(5)
	v_cmp_ne_u32_e32 vcc, 0, v13
	v_cndmask_b32_e64 v11, 0, 1, vcc
	;; [unrolled: 3-line block ×4, first 2 shown]
	ds_write_b8 v0, v10
	ds_write_b8 v0, v11 offset:256
	ds_write_b8 v0, v12 offset:512
	;; [unrolled: 1-line block ×3, first 2 shown]
	s_waitcnt vmcnt(2)
	v_cmp_ne_u32_e32 vcc, 0, v9
	v_cndmask_b32_e64 v9, 0, 1, vcc
	s_waitcnt vmcnt(1)
	v_cmp_ne_u32_e32 vcc, 0, v16
	v_cndmask_b32_e64 v10, 0, 1, vcc
	;; [unrolled: 3-line block ×3, first 2 shown]
	ds_write_b8 v0, v9 offset:1024
	ds_write_b8 v0, v10 offset:1280
	;; [unrolled: 1-line block ×3, first 2 shown]
	s_waitcnt lgkmcnt(0)
	s_barrier
.LBB611_20:
	s_load_dwordx2 s[34:35], s[4:5], 0x70
	s_andn2_b64 vcc, exec, s[2:3]
	s_cbranch_vccnz .LBB611_36
; %bb.21:
	v_cmp_gt_u32_e32 vcc, s33, v0
	v_mov_b32_e32 v9, 0
	v_mov_b32_e32 v10, 0
	s_and_saveexec_b64 s[2:3], vcc
	s_cbranch_execz .LBB611_23
; %bb.22:
	global_load_dword v10, v1, s[0:1]
	s_waitcnt vmcnt(0)
	v_cmp_ne_u32_e32 vcc, 0, v10
	v_cndmask_b32_e64 v10, 0, 1, vcc
.LBB611_23:
	s_or_b64 exec, exec, s[2:3]
	v_or_b32_e32 v11, 0x100, v0
	v_cmp_gt_u32_e32 vcc, s33, v11
	s_and_saveexec_b64 s[2:3], vcc
	s_cbranch_execz .LBB611_25
; %bb.24:
	global_load_dword v9, v1, s[0:1] offset:1024
	s_waitcnt vmcnt(0)
	v_cmp_ne_u32_e32 vcc, 0, v9
	v_cndmask_b32_e64 v9, 0, 1, vcc
.LBB611_25:
	s_or_b64 exec, exec, s[2:3]
	v_or_b32_e32 v11, 0x200, v0
	v_cmp_gt_u32_e32 vcc, s33, v11
	v_mov_b32_e32 v11, 0
	v_mov_b32_e32 v12, 0
	s_and_saveexec_b64 s[2:3], vcc
	s_cbranch_execz .LBB611_27
; %bb.26:
	global_load_dword v12, v1, s[0:1] offset:2048
	s_waitcnt vmcnt(0)
	v_cmp_ne_u32_e32 vcc, 0, v12
	v_cndmask_b32_e64 v12, 0, 1, vcc
.LBB611_27:
	s_or_b64 exec, exec, s[2:3]
	v_or_b32_e32 v13, 0x300, v0
	v_cmp_gt_u32_e32 vcc, s33, v13
	s_and_saveexec_b64 s[2:3], vcc
	s_cbranch_execz .LBB611_29
; %bb.28:
	global_load_dword v11, v1, s[0:1] offset:3072
	s_waitcnt vmcnt(0)
	v_cmp_ne_u32_e32 vcc, 0, v11
	v_cndmask_b32_e64 v11, 0, 1, vcc
.LBB611_29:
	s_or_b64 exec, exec, s[2:3]
	v_or_b32_e32 v15, 0x400, v0
	v_cmp_gt_u32_e32 vcc, s33, v15
	v_mov_b32_e32 v13, 0
	v_mov_b32_e32 v14, 0
	s_and_saveexec_b64 s[2:3], vcc
	s_cbranch_execz .LBB611_31
; %bb.30:
	v_lshlrev_b32_e32 v14, 2, v15
	global_load_dword v14, v14, s[0:1]
	s_waitcnt vmcnt(0)
	v_cmp_ne_u32_e32 vcc, 0, v14
	v_cndmask_b32_e64 v14, 0, 1, vcc
.LBB611_31:
	s_or_b64 exec, exec, s[2:3]
	v_or_b32_e32 v15, 0x500, v0
	v_cmp_gt_u32_e32 vcc, s33, v15
	s_and_saveexec_b64 s[2:3], vcc
	s_cbranch_execz .LBB611_33
; %bb.32:
	v_lshlrev_b32_e32 v13, 2, v15
	global_load_dword v13, v13, s[0:1]
	s_waitcnt vmcnt(0)
	v_cmp_ne_u32_e32 vcc, 0, v13
	v_cndmask_b32_e64 v13, 0, 1, vcc
.LBB611_33:
	s_or_b64 exec, exec, s[2:3]
	v_or_b32_e32 v16, 0x600, v0
	v_cmp_gt_u32_e32 vcc, s33, v16
	v_mov_b32_e32 v15, 0
	s_and_saveexec_b64 s[2:3], vcc
	s_cbranch_execz .LBB611_35
; %bb.34:
	v_lshlrev_b32_e32 v15, 2, v16
	global_load_dword v15, v15, s[0:1]
	s_waitcnt vmcnt(0)
	v_cmp_ne_u32_e32 vcc, 0, v15
	v_cndmask_b32_e64 v15, 0, 1, vcc
.LBB611_35:
	s_or_b64 exec, exec, s[2:3]
	ds_write_b8 v0, v10
	ds_write_b8 v0, v9 offset:256
	ds_write_b8 v0, v12 offset:512
	;; [unrolled: 1-line block ×6, first 2 shown]
	s_waitcnt lgkmcnt(0)
	s_barrier
.LBB611_36:
	s_movk_i32 s0, 0xffeb
	v_mad_i32_i24 v28, v0, s0, v8
	s_waitcnt lgkmcnt(0)
	ds_read_u8 v8, v28
	ds_read_u8 v9, v28 offset:1
	ds_read_u8 v10, v28 offset:2
	;; [unrolled: 1-line block ×6, first 2 shown]
	s_waitcnt lgkmcnt(6)
	v_and_b32_e32 v26, 1, v8
	s_waitcnt lgkmcnt(5)
	v_and_b32_e32 v25, 1, v9
	;; [unrolled: 2-line block ×5, first 2 shown]
	v_add3_u32 v8, v25, v26, v24
	s_waitcnt lgkmcnt(1)
	v_and_b32_e32 v21, 1, v13
	s_waitcnt lgkmcnt(0)
	v_and_b32_e32 v20, 1, v14
	v_add3_u32 v8, v8, v23, v22
	v_add3_u32 v30, v8, v21, v20
	v_mbcnt_lo_u32_b32 v8, -1, 0
	v_mbcnt_hi_u32_b32 v27, -1, v8
	v_and_b32_e32 v8, 15, v27
	v_cmp_eq_u32_e64 s[14:15], 0, v8
	v_cmp_lt_u32_e64 s[12:13], 1, v8
	v_cmp_lt_u32_e64 s[10:11], 3, v8
	;; [unrolled: 1-line block ×3, first 2 shown]
	v_and_b32_e32 v8, 16, v27
	v_cmp_eq_u32_e64 s[18:19], 0, v8
	v_or_b32_e32 v8, 63, v0
	s_cmp_lg_u32 s6, 0
	v_cmp_lt_u32_e64 s[0:1], 31, v27
	v_lshrrev_b32_e32 v29, 6, v0
	v_cmp_eq_u32_e64 s[2:3], v8, v0
	s_barrier
	s_cbranch_scc0 .LBB611_63
; %bb.37:
	v_mov_b32_dpp v8, v30 row_shr:1 row_mask:0xf bank_mask:0xf
	v_cndmask_b32_e64 v8, v8, 0, s[14:15]
	v_add_u32_e32 v8, v8, v30
	s_nop 1
	v_mov_b32_dpp v9, v8 row_shr:2 row_mask:0xf bank_mask:0xf
	v_cndmask_b32_e64 v9, 0, v9, s[12:13]
	v_add_u32_e32 v8, v8, v9
	s_nop 1
	;; [unrolled: 4-line block ×4, first 2 shown]
	v_mov_b32_dpp v9, v8 row_bcast:15 row_mask:0xf bank_mask:0xf
	v_cndmask_b32_e64 v9, v9, 0, s[18:19]
	v_add_u32_e32 v8, v8, v9
	s_nop 1
	v_mov_b32_dpp v9, v8 row_bcast:31 row_mask:0xf bank_mask:0xf
	v_cndmask_b32_e64 v9, 0, v9, s[0:1]
	v_add_u32_e32 v8, v8, v9
	s_and_saveexec_b64 s[16:17], s[2:3]
	s_cbranch_execz .LBB611_39
; %bb.38:
	v_lshlrev_b32_e32 v9, 2, v29
	ds_write_b32 v9, v8
.LBB611_39:
	s_or_b64 exec, exec, s[16:17]
	v_cmp_gt_u32_e32 vcc, 4, v0
	s_waitcnt lgkmcnt(0)
	s_barrier
	s_and_saveexec_b64 s[16:17], vcc
	s_cbranch_execz .LBB611_41
; %bb.40:
	ds_read_b32 v9, v1
	v_and_b32_e32 v10, 3, v27
	v_cmp_ne_u32_e32 vcc, 0, v10
	s_waitcnt lgkmcnt(0)
	v_mov_b32_dpp v11, v9 row_shr:1 row_mask:0xf bank_mask:0xf
	v_cndmask_b32_e32 v11, 0, v11, vcc
	v_add_u32_e32 v9, v11, v9
	v_cmp_lt_u32_e32 vcc, 1, v10
	s_nop 0
	v_mov_b32_dpp v11, v9 row_shr:2 row_mask:0xf bank_mask:0xf
	v_cndmask_b32_e32 v10, 0, v11, vcc
	v_add_u32_e32 v9, v9, v10
	ds_write_b32 v1, v9
.LBB611_41:
	s_or_b64 exec, exec, s[16:17]
	v_cmp_gt_u32_e32 vcc, 64, v0
	v_cmp_lt_u32_e64 s[16:17], 63, v0
	s_waitcnt lgkmcnt(0)
	s_barrier
	s_waitcnt lgkmcnt(0)
                                        ; implicit-def: $vgpr31
	s_and_saveexec_b64 s[36:37], s[16:17]
	s_cbranch_execz .LBB611_43
; %bb.42:
	v_lshl_add_u32 v9, v29, 2, -4
	ds_read_b32 v31, v9
	s_waitcnt lgkmcnt(0)
	v_add_u32_e32 v8, v31, v8
.LBB611_43:
	s_or_b64 exec, exec, s[36:37]
	v_add_u32_e32 v9, -1, v27
	v_and_b32_e32 v10, 64, v27
	v_cmp_lt_i32_e64 s[16:17], v9, v10
	v_cndmask_b32_e64 v9, v9, v27, s[16:17]
	v_lshlrev_b32_e32 v9, 2, v9
	ds_bpermute_b32 v32, v9, v8
	v_cmp_eq_u32_e64 s[16:17], 0, v27
	s_and_saveexec_b64 s[36:37], vcc
	s_cbranch_execz .LBB611_62
; %bb.44:
	v_mov_b32_e32 v15, 0
	ds_read_b32 v8, v15 offset:12
	s_and_saveexec_b64 s[38:39], s[16:17]
	s_cbranch_execz .LBB611_46
; %bb.45:
	s_add_i32 s40, s6, 64
	s_mov_b32 s41, 0
	s_lshl_b64 s[40:41], s[40:41], 3
	s_add_u32 s40, s34, s40
	v_mov_b32_e32 v9, 1
	s_addc_u32 s41, s35, s41
	s_waitcnt lgkmcnt(0)
	global_store_dwordx2 v15, v[8:9], s[40:41]
.LBB611_46:
	s_or_b64 exec, exec, s[38:39]
	v_xad_u32 v10, v27, -1, s6
	v_add_u32_e32 v14, 64, v10
	v_lshlrev_b64 v[12:13], 3, v[14:15]
	v_mov_b32_e32 v9, s35
	v_add_co_u32_e32 v16, vcc, s34, v12
	v_addc_co_u32_e32 v17, vcc, v9, v13, vcc
	global_load_dwordx2 v[12:13], v[16:17], off glc
	s_waitcnt vmcnt(0)
	v_cmp_eq_u16_sdwa s[40:41], v13, v15 src0_sel:BYTE_0 src1_sel:DWORD
	s_and_saveexec_b64 s[38:39], s[40:41]
	s_cbranch_execz .LBB611_50
; %bb.47:
	s_mov_b64 s[40:41], 0
	v_mov_b32_e32 v9, 0
.LBB611_48:                             ; =>This Inner Loop Header: Depth=1
	global_load_dwordx2 v[12:13], v[16:17], off glc
	s_waitcnt vmcnt(0)
	v_cmp_ne_u16_sdwa s[42:43], v13, v9 src0_sel:BYTE_0 src1_sel:DWORD
	s_or_b64 s[40:41], s[42:43], s[40:41]
	s_andn2_b64 exec, exec, s[40:41]
	s_cbranch_execnz .LBB611_48
; %bb.49:
	s_or_b64 exec, exec, s[40:41]
.LBB611_50:
	s_or_b64 exec, exec, s[38:39]
	v_and_b32_e32 v34, 63, v27
	v_mov_b32_e32 v33, 2
	v_cmp_ne_u32_e32 vcc, 63, v34
	v_cmp_eq_u16_sdwa s[38:39], v13, v33 src0_sel:BYTE_0 src1_sel:DWORD
	v_lshlrev_b64 v[14:15], v27, -1
	v_addc_co_u32_e32 v16, vcc, 0, v27, vcc
	v_and_b32_e32 v9, s39, v15
	v_lshlrev_b32_e32 v35, 2, v16
	v_or_b32_e32 v9, 0x80000000, v9
	ds_bpermute_b32 v16, v35, v12
	v_and_b32_e32 v11, s38, v14
	v_ffbl_b32_e32 v9, v9
	v_add_u32_e32 v9, 32, v9
	v_ffbl_b32_e32 v11, v11
	v_min_u32_e32 v9, v11, v9
	v_cmp_lt_u32_e32 vcc, v34, v9
	s_waitcnt lgkmcnt(0)
	v_cndmask_b32_e32 v11, 0, v16, vcc
	v_cmp_gt_u32_e32 vcc, 62, v34
	v_add_u32_e32 v11, v11, v12
	v_cndmask_b32_e64 v12, 0, 1, vcc
	v_lshlrev_b32_e32 v12, 1, v12
	v_add_lshl_u32 v36, v12, v27, 2
	ds_bpermute_b32 v12, v36, v11
	v_add_u32_e32 v37, 2, v34
	v_cmp_le_u32_e32 vcc, v37, v9
	v_add_u32_e32 v39, 4, v34
	v_add_u32_e32 v41, 8, v34
	s_waitcnt lgkmcnt(0)
	v_cndmask_b32_e32 v12, 0, v12, vcc
	v_cmp_gt_u32_e32 vcc, 60, v34
	v_add_u32_e32 v11, v11, v12
	v_cndmask_b32_e64 v12, 0, 1, vcc
	v_lshlrev_b32_e32 v12, 2, v12
	v_add_lshl_u32 v38, v12, v27, 2
	ds_bpermute_b32 v12, v38, v11
	v_cmp_le_u32_e32 vcc, v39, v9
	v_add_u32_e32 v43, 16, v34
	v_add_u32_e32 v45, 32, v34
	s_waitcnt lgkmcnt(0)
	v_cndmask_b32_e32 v12, 0, v12, vcc
	v_cmp_gt_u32_e32 vcc, 56, v34
	v_add_u32_e32 v11, v11, v12
	v_cndmask_b32_e64 v12, 0, 1, vcc
	v_lshlrev_b32_e32 v12, 3, v12
	v_add_lshl_u32 v40, v12, v27, 2
	ds_bpermute_b32 v12, v40, v11
	v_cmp_le_u32_e32 vcc, v41, v9
	s_waitcnt lgkmcnt(0)
	v_cndmask_b32_e32 v12, 0, v12, vcc
	v_cmp_gt_u32_e32 vcc, 48, v34
	v_add_u32_e32 v11, v11, v12
	v_cndmask_b32_e64 v12, 0, 1, vcc
	v_lshlrev_b32_e32 v12, 4, v12
	v_add_lshl_u32 v42, v12, v27, 2
	ds_bpermute_b32 v12, v42, v11
	v_cmp_le_u32_e32 vcc, v43, v9
	s_waitcnt lgkmcnt(0)
	v_cndmask_b32_e32 v12, 0, v12, vcc
	v_cmp_gt_u32_e32 vcc, 32, v34
	v_add_u32_e32 v11, v11, v12
	v_cndmask_b32_e64 v12, 0, 1, vcc
	v_lshlrev_b32_e32 v12, 5, v12
	v_add_lshl_u32 v44, v12, v27, 2
	ds_bpermute_b32 v12, v44, v11
	v_cmp_le_u32_e32 vcc, v45, v9
	s_waitcnt lgkmcnt(0)
	v_cndmask_b32_e32 v9, 0, v12, vcc
	v_add_u32_e32 v12, v11, v9
	v_mov_b32_e32 v11, 0
	s_branch .LBB611_52
.LBB611_51:                             ;   in Loop: Header=BB611_52 Depth=1
	s_or_b64 exec, exec, s[38:39]
	v_cmp_eq_u16_sdwa s[38:39], v13, v33 src0_sel:BYTE_0 src1_sel:DWORD
	v_and_b32_e32 v16, s39, v15
	v_or_b32_e32 v16, 0x80000000, v16
	ds_bpermute_b32 v46, v35, v12
	v_and_b32_e32 v17, s38, v14
	v_ffbl_b32_e32 v16, v16
	v_add_u32_e32 v16, 32, v16
	v_ffbl_b32_e32 v17, v17
	v_min_u32_e32 v16, v17, v16
	v_cmp_lt_u32_e32 vcc, v34, v16
	s_waitcnt lgkmcnt(0)
	v_cndmask_b32_e32 v17, 0, v46, vcc
	v_add_u32_e32 v12, v17, v12
	ds_bpermute_b32 v17, v36, v12
	v_cmp_le_u32_e32 vcc, v37, v16
	v_subrev_u32_e32 v10, 64, v10
	s_waitcnt lgkmcnt(0)
	v_cndmask_b32_e32 v17, 0, v17, vcc
	v_add_u32_e32 v12, v12, v17
	ds_bpermute_b32 v17, v38, v12
	v_cmp_le_u32_e32 vcc, v39, v16
	s_waitcnt lgkmcnt(0)
	v_cndmask_b32_e32 v17, 0, v17, vcc
	v_add_u32_e32 v12, v12, v17
	ds_bpermute_b32 v17, v40, v12
	v_cmp_le_u32_e32 vcc, v41, v16
	;; [unrolled: 5-line block ×4, first 2 shown]
	s_waitcnt lgkmcnt(0)
	v_cndmask_b32_e32 v16, 0, v17, vcc
	v_add3_u32 v12, v16, v9, v12
.LBB611_52:                             ; =>This Loop Header: Depth=1
                                        ;     Child Loop BB611_55 Depth 2
	v_cmp_ne_u16_sdwa s[38:39], v13, v33 src0_sel:BYTE_0 src1_sel:DWORD
	v_cndmask_b32_e64 v9, 0, 1, s[38:39]
	;;#ASMSTART
	;;#ASMEND
	v_cmp_ne_u32_e32 vcc, 0, v9
	s_cmp_lg_u64 vcc, exec
	v_mov_b32_e32 v9, v12
	s_cbranch_scc1 .LBB611_57
; %bb.53:                               ;   in Loop: Header=BB611_52 Depth=1
	v_lshlrev_b64 v[12:13], 3, v[10:11]
	v_mov_b32_e32 v17, s35
	v_add_co_u32_e32 v16, vcc, s34, v12
	v_addc_co_u32_e32 v17, vcc, v17, v13, vcc
	global_load_dwordx2 v[12:13], v[16:17], off glc
	s_waitcnt vmcnt(0)
	v_cmp_eq_u16_sdwa s[40:41], v13, v11 src0_sel:BYTE_0 src1_sel:DWORD
	s_and_saveexec_b64 s[38:39], s[40:41]
	s_cbranch_execz .LBB611_51
; %bb.54:                               ;   in Loop: Header=BB611_52 Depth=1
	s_mov_b64 s[40:41], 0
.LBB611_55:                             ;   Parent Loop BB611_52 Depth=1
                                        ; =>  This Inner Loop Header: Depth=2
	global_load_dwordx2 v[12:13], v[16:17], off glc
	s_waitcnt vmcnt(0)
	v_cmp_ne_u16_sdwa s[42:43], v13, v11 src0_sel:BYTE_0 src1_sel:DWORD
	s_or_b64 s[40:41], s[42:43], s[40:41]
	s_andn2_b64 exec, exec, s[40:41]
	s_cbranch_execnz .LBB611_55
; %bb.56:                               ;   in Loop: Header=BB611_52 Depth=1
	s_or_b64 exec, exec, s[40:41]
	s_branch .LBB611_51
.LBB611_57:                             ;   in Loop: Header=BB611_52 Depth=1
                                        ; implicit-def: $vgpr12
                                        ; implicit-def: $vgpr13
	s_cbranch_execz .LBB611_52
; %bb.58:
	s_and_saveexec_b64 s[38:39], s[16:17]
	s_cbranch_execz .LBB611_60
; %bb.59:
	s_add_i32 s6, s6, 64
	s_mov_b32 s7, 0
	s_lshl_b64 s[6:7], s[6:7], 3
	s_add_u32 s6, s34, s6
	v_add_u32_e32 v10, v9, v8
	v_mov_b32_e32 v11, 2
	s_addc_u32 s7, s35, s7
	v_mov_b32_e32 v12, 0
	global_store_dwordx2 v12, v[10:11], s[6:7]
	ds_write_b64 v12, v[8:9] offset:7168
.LBB611_60:
	s_or_b64 exec, exec, s[38:39]
	v_cmp_eq_u32_e32 vcc, 0, v0
	s_and_b64 exec, exec, vcc
	s_cbranch_execz .LBB611_62
; %bb.61:
	v_mov_b32_e32 v8, 0
	ds_write_b32 v8, v9 offset:12
.LBB611_62:
	s_or_b64 exec, exec, s[36:37]
	v_mov_b32_e32 v8, 0
	s_waitcnt lgkmcnt(0)
	s_barrier
	ds_read_b32 v9, v8 offset:12
	v_cndmask_b32_e64 v10, v32, v31, s[16:17]
	v_cmp_ne_u32_e32 vcc, 0, v0
	v_cndmask_b32_e32 v10, 0, v10, vcc
	s_waitcnt lgkmcnt(0)
	v_add_u32_e32 v16, v9, v10
	v_add_u32_e32 v15, v16, v26
	;; [unrolled: 1-line block ×3, first 2 shown]
	s_barrier
	ds_read_b64 v[8:9], v8 offset:7168
	v_add_u32_e32 v12, v14, v24
	v_add_u32_e32 v13, v12, v23
	;; [unrolled: 1-line block ×4, first 2 shown]
	s_branch .LBB611_73
.LBB611_63:
                                        ; implicit-def: $vgpr9
                                        ; implicit-def: $vgpr10
                                        ; implicit-def: $vgpr11
                                        ; implicit-def: $vgpr13
                                        ; implicit-def: $vgpr12
                                        ; implicit-def: $vgpr14
                                        ; implicit-def: $vgpr15
                                        ; implicit-def: $vgpr16
	s_cbranch_execz .LBB611_73
; %bb.64:
	s_waitcnt lgkmcnt(0)
	v_mov_b32_dpp v8, v30 row_shr:1 row_mask:0xf bank_mask:0xf
	v_cndmask_b32_e64 v8, v8, 0, s[14:15]
	v_add_u32_e32 v8, v8, v30
	s_nop 1
	v_mov_b32_dpp v9, v8 row_shr:2 row_mask:0xf bank_mask:0xf
	v_cndmask_b32_e64 v9, 0, v9, s[12:13]
	v_add_u32_e32 v8, v8, v9
	s_nop 1
	;; [unrolled: 4-line block ×4, first 2 shown]
	v_mov_b32_dpp v9, v8 row_bcast:15 row_mask:0xf bank_mask:0xf
	v_cndmask_b32_e64 v9, v9, 0, s[18:19]
	v_add_u32_e32 v8, v8, v9
	s_nop 1
	v_mov_b32_dpp v9, v8 row_bcast:31 row_mask:0xf bank_mask:0xf
	v_cndmask_b32_e64 v9, 0, v9, s[0:1]
	v_add_u32_e32 v8, v8, v9
	s_and_saveexec_b64 s[0:1], s[2:3]
	s_cbranch_execz .LBB611_66
; %bb.65:
	v_lshlrev_b32_e32 v9, 2, v29
	ds_write_b32 v9, v8
.LBB611_66:
	s_or_b64 exec, exec, s[0:1]
	v_cmp_gt_u32_e32 vcc, 4, v0
	s_waitcnt lgkmcnt(0)
	s_barrier
	s_and_saveexec_b64 s[0:1], vcc
	s_cbranch_execz .LBB611_68
; %bb.67:
	v_mad_i32_i24 v9, v0, -3, v28
	ds_read_b32 v10, v9
	v_and_b32_e32 v11, 3, v27
	v_cmp_ne_u32_e32 vcc, 0, v11
	s_waitcnt lgkmcnt(0)
	v_mov_b32_dpp v12, v10 row_shr:1 row_mask:0xf bank_mask:0xf
	v_cndmask_b32_e32 v12, 0, v12, vcc
	v_add_u32_e32 v10, v12, v10
	v_cmp_lt_u32_e32 vcc, 1, v11
	s_nop 0
	v_mov_b32_dpp v12, v10 row_shr:2 row_mask:0xf bank_mask:0xf
	v_cndmask_b32_e32 v11, 0, v12, vcc
	v_add_u32_e32 v10, v10, v11
	ds_write_b32 v9, v10
.LBB611_68:
	s_or_b64 exec, exec, s[0:1]
	v_cmp_lt_u32_e32 vcc, 63, v0
	v_mov_b32_e32 v9, 0
	v_mov_b32_e32 v10, 0
	s_waitcnt lgkmcnt(0)
	s_barrier
	s_and_saveexec_b64 s[0:1], vcc
	s_cbranch_execz .LBB611_70
; %bb.69:
	v_lshl_add_u32 v10, v29, 2, -4
	ds_read_b32 v10, v10
.LBB611_70:
	s_or_b64 exec, exec, s[0:1]
	v_add_u32_e32 v11, -1, v27
	v_and_b32_e32 v12, 64, v27
	v_cmp_lt_i32_e32 vcc, v11, v12
	v_cndmask_b32_e32 v11, v11, v27, vcc
	s_waitcnt lgkmcnt(0)
	v_add_u32_e32 v8, v10, v8
	v_lshlrev_b32_e32 v11, 2, v11
	ds_bpermute_b32 v11, v11, v8
	ds_read_b32 v8, v9 offset:12
	v_cmp_eq_u32_e32 vcc, 0, v0
	s_and_saveexec_b64 s[0:1], vcc
	s_cbranch_execz .LBB611_72
; %bb.71:
	v_mov_b32_e32 v12, 0
	v_mov_b32_e32 v9, 2
	s_waitcnt lgkmcnt(0)
	global_store_dwordx2 v12, v[8:9], s[34:35] offset:512
.LBB611_72:
	s_or_b64 exec, exec, s[0:1]
	v_cmp_eq_u32_e64 s[0:1], 0, v27
	s_waitcnt lgkmcnt(1)
	v_cndmask_b32_e64 v10, v11, v10, s[0:1]
	v_cndmask_b32_e64 v16, v10, 0, vcc
	v_add_u32_e32 v15, v16, v26
	v_add_u32_e32 v14, v15, v25
	;; [unrolled: 1-line block ×5, first 2 shown]
	v_mov_b32_e32 v9, 0
	v_add_u32_e32 v10, v11, v21
	s_waitcnt lgkmcnt(0)
	s_barrier
.LBB611_73:
	s_waitcnt lgkmcnt(0)
	v_add_u32_e32 v17, v8, v19
	v_sub_u32_e32 v16, v16, v9
	v_sub_u32_e32 v19, v17, v16
	v_cmp_eq_u32_e32 vcc, 1, v26
	v_cndmask_b32_e32 v16, v19, v16, vcc
	v_lshlrev_b32_e32 v16, 2, v16
	ds_write_b32 v16, v6
	v_sub_u32_e32 v6, v15, v9
	v_sub_u32_e32 v15, v17, v6
	v_add_u32_e32 v15, 1, v15
	v_cmp_eq_u32_e32 vcc, 1, v25
	v_cndmask_b32_e32 v6, v15, v6, vcc
	v_lshlrev_b32_e32 v6, 2, v6
	ds_write_b32 v6, v7
	v_sub_u32_e32 v6, v14, v9
	v_sub_u32_e32 v7, v17, v6
	v_add_u32_e32 v7, 2, v7
	;; [unrolled: 7-line block ×6, first 2 shown]
	v_cmp_eq_u32_e32 vcc, 1, v20
	v_cndmask_b32_e32 v2, v3, v2, vcc
	v_lshlrev_b32_e32 v2, 2, v2
	ds_write_b32 v2, v18
	v_mov_b32_e32 v2, s31
	v_add_co_u32_e32 v22, vcc, s30, v9
	v_addc_co_u32_e32 v23, vcc, 0, v2, vcc
	s_load_dwordx4 s[0:3], s[4:5], 0x30
	v_add_co_u32_e32 v2, vcc, v22, v8
	v_addc_co_u32_e32 v3, vcc, 0, v23, vcc
	v_mov_b32_e32 v9, s27
	v_sub_co_u32_e32 v24, vcc, s26, v2
	v_subb_co_u32_e32 v25, vcc, v9, v3, vcc
	v_lshlrev_b64 v[24:25], 2, v[24:25]
	s_waitcnt lgkmcnt(0)
	s_barrier
	ds_read2st64_b32 v[10:11], v1 offset1:4
	ds_read2st64_b32 v[6:7], v1 offset0:8 offset1:12
	ds_read2st64_b32 v[4:5], v1 offset0:16 offset1:20
	ds_read_b32 v12, v1 offset:6144
	v_mov_b32_e32 v9, s3
	v_add_co_u32_e32 v15, vcc, s2, v24
	v_addc_co_u32_e32 v16, vcc, v9, v25, vcc
	v_mov_b32_e32 v18, s29
	v_add_co_u32_e32 v9, vcc, s28, v15
	v_lshlrev_b64 v[22:23], 2, v[22:23]
	v_addc_co_u32_e32 v15, vcc, v16, v18, vcc
	v_mov_b32_e32 v18, s1
	v_add_co_u32_e64 v16, s[0:1], s0, v22
	v_or_b32_e32 v21, 0x100, v0
	v_or_b32_e32 v20, 0x200, v0
	v_or_b32_e32 v19, 0x300, v0
	v_or_b32_e32 v17, 0x400, v0
	v_or_b32_e32 v14, 0x500, v0
	v_or_b32_e32 v13, 0x600, v0
	s_andn2_b64 vcc, exec, s[24:25]
	v_addc_co_u32_e64 v18, s[0:1], v18, v23, s[0:1]
	s_cbranch_vccnz .LBB611_75
; %bb.74:
	v_cmp_gt_u32_e32 vcc, v8, v0
	v_cndmask_b32_e32 v22, v9, v16, vcc
	v_cndmask_b32_e32 v23, v15, v18, vcc
	v_add_co_u32_e32 v22, vcc, v22, v1
	v_addc_co_u32_e32 v23, vcc, 0, v23, vcc
	v_cmp_lt_u32_e32 vcc, v21, v8
	s_waitcnt lgkmcnt(3)
	global_store_dword v[22:23], v10, off
	v_cndmask_b32_e32 v22, v9, v16, vcc
	v_cndmask_b32_e32 v23, v15, v18, vcc
	v_add_co_u32_e32 v22, vcc, v22, v1
	v_addc_co_u32_e32 v23, vcc, 0, v23, vcc
	v_cmp_lt_u32_e32 vcc, v20, v8
	global_store_dword v[22:23], v11, off offset:1024
	v_cndmask_b32_e32 v22, v9, v16, vcc
	v_cndmask_b32_e32 v23, v15, v18, vcc
	v_add_co_u32_e32 v22, vcc, v22, v1
	v_addc_co_u32_e32 v23, vcc, 0, v23, vcc
	v_cmp_lt_u32_e32 vcc, v19, v8
	s_waitcnt lgkmcnt(2)
	global_store_dword v[22:23], v6, off offset:2048
	v_cndmask_b32_e32 v22, v9, v16, vcc
	v_cndmask_b32_e32 v23, v15, v18, vcc
	v_add_co_u32_e32 v22, vcc, v22, v1
	v_addc_co_u32_e32 v23, vcc, 0, v23, vcc
	v_cmp_lt_u32_e32 vcc, v17, v8
	global_store_dword v[22:23], v7, off offset:3072
	v_cndmask_b32_e32 v22, v9, v16, vcc
	v_lshlrev_b32_e32 v24, 2, v17
	v_cndmask_b32_e32 v23, v15, v18, vcc
	v_add_co_u32_e32 v22, vcc, v22, v24
	v_addc_co_u32_e32 v23, vcc, 0, v23, vcc
	v_cmp_lt_u32_e32 vcc, v14, v8
	s_waitcnt lgkmcnt(1)
	global_store_dword v[22:23], v4, off
	v_cndmask_b32_e32 v22, v9, v16, vcc
	v_lshlrev_b32_e32 v24, 2, v14
	v_cndmask_b32_e32 v23, v15, v18, vcc
	v_add_co_u32_e32 v22, vcc, v22, v24
	v_addc_co_u32_e32 v23, vcc, 0, v23, vcc
	s_mov_b64 s[0:1], -1
	global_store_dword v[22:23], v5, off
	s_cbranch_execz .LBB611_76
	s_branch .LBB611_84
.LBB611_75:
	s_mov_b64 s[0:1], 0
.LBB611_76:
	v_cmp_gt_u32_e32 vcc, s33, v0
	s_and_saveexec_b64 s[0:1], vcc
	s_cbranch_execnz .LBB611_89
; %bb.77:
	s_or_b64 exec, exec, s[0:1]
	v_cmp_gt_u32_e32 vcc, s33, v21
	s_and_saveexec_b64 s[0:1], vcc
	s_cbranch_execnz .LBB611_90
.LBB611_78:
	s_or_b64 exec, exec, s[0:1]
	v_cmp_gt_u32_e32 vcc, s33, v20
	s_and_saveexec_b64 s[0:1], vcc
	s_cbranch_execnz .LBB611_91
.LBB611_79:
	s_or_b64 exec, exec, s[0:1]
	v_cmp_gt_u32_e32 vcc, s33, v19
	s_and_saveexec_b64 s[0:1], vcc
	s_cbranch_execnz .LBB611_92
.LBB611_80:
	s_or_b64 exec, exec, s[0:1]
	v_cmp_gt_u32_e32 vcc, s33, v17
	s_and_saveexec_b64 s[0:1], vcc
	s_cbranch_execnz .LBB611_93
.LBB611_81:
	s_or_b64 exec, exec, s[0:1]
	v_cmp_gt_u32_e32 vcc, s33, v14
	s_and_saveexec_b64 s[0:1], vcc
	s_cbranch_execz .LBB611_83
.LBB611_82:
	v_cmp_lt_u32_e32 vcc, v14, v8
	s_waitcnt lgkmcnt(1)
	v_cndmask_b32_e32 v4, v9, v16, vcc
	v_lshlrev_b32_e32 v6, 2, v14
	v_cndmask_b32_e32 v1, v15, v18, vcc
	v_add_co_u32_e32 v6, vcc, v4, v6
	v_addc_co_u32_e32 v7, vcc, 0, v1, vcc
	global_store_dword v[6:7], v5, off
.LBB611_83:
	s_or_b64 exec, exec, s[0:1]
	v_cmp_gt_u32_e64 s[0:1], s33, v13
.LBB611_84:
	s_and_saveexec_b64 s[2:3], s[0:1]
	s_cbranch_execz .LBB611_86
; %bb.85:
	v_cmp_lt_u32_e32 vcc, v13, v8
	s_waitcnt lgkmcnt(1)
	v_cndmask_b32_e32 v4, v9, v16, vcc
	v_lshlrev_b32_e32 v5, 2, v13
	v_cndmask_b32_e32 v1, v15, v18, vcc
	v_add_co_u32_e32 v4, vcc, v4, v5
	v_addc_co_u32_e32 v5, vcc, 0, v1, vcc
	s_waitcnt lgkmcnt(0)
	global_store_dword v[4:5], v12, off
.LBB611_86:
	s_or_b64 exec, exec, s[2:3]
	v_cmp_eq_u32_e32 vcc, 0, v0
	s_and_b64 s[0:1], vcc, s[22:23]
	s_and_saveexec_b64 s[2:3], s[0:1]
	s_cbranch_execz .LBB611_88
; %bb.87:
	v_mov_b32_e32 v0, 0
	global_store_dwordx2 v0, v[2:3], s[20:21]
.LBB611_88:
	s_endpgm
.LBB611_89:
	v_cmp_gt_u32_e32 vcc, v8, v0
	v_cndmask_b32_e32 v22, v9, v16, vcc
	v_cndmask_b32_e32 v23, v15, v18, vcc
	v_add_co_u32_e32 v22, vcc, v22, v1
	v_addc_co_u32_e32 v23, vcc, 0, v23, vcc
	s_waitcnt lgkmcnt(3)
	global_store_dword v[22:23], v10, off
	s_or_b64 exec, exec, s[0:1]
	v_cmp_gt_u32_e32 vcc, s33, v21
	s_and_saveexec_b64 s[0:1], vcc
	s_cbranch_execz .LBB611_78
.LBB611_90:
	v_cmp_lt_u32_e32 vcc, v21, v8
	v_cndmask_b32_e32 v21, v9, v16, vcc
	s_waitcnt lgkmcnt(3)
	v_cndmask_b32_e32 v10, v15, v18, vcc
	v_add_co_u32_e32 v22, vcc, v21, v1
	v_addc_co_u32_e32 v23, vcc, 0, v10, vcc
	global_store_dword v[22:23], v11, off offset:1024
	s_or_b64 exec, exec, s[0:1]
	v_cmp_gt_u32_e32 vcc, s33, v20
	s_and_saveexec_b64 s[0:1], vcc
	s_cbranch_execz .LBB611_79
.LBB611_91:
	v_cmp_lt_u32_e32 vcc, v20, v8
	s_waitcnt lgkmcnt(3)
	v_cndmask_b32_e32 v10, v9, v16, vcc
	v_cndmask_b32_e32 v11, v15, v18, vcc
	v_add_co_u32_e32 v10, vcc, v10, v1
	v_addc_co_u32_e32 v11, vcc, 0, v11, vcc
	s_waitcnt lgkmcnt(2)
	global_store_dword v[10:11], v6, off offset:2048
	s_or_b64 exec, exec, s[0:1]
	v_cmp_gt_u32_e32 vcc, s33, v19
	s_and_saveexec_b64 s[0:1], vcc
	s_cbranch_execz .LBB611_80
.LBB611_92:
	v_cmp_lt_u32_e32 vcc, v19, v8
	s_waitcnt lgkmcnt(3)
	v_cndmask_b32_e32 v10, v9, v16, vcc
	s_waitcnt lgkmcnt(2)
	v_cndmask_b32_e32 v6, v15, v18, vcc
	v_add_co_u32_e32 v10, vcc, v10, v1
	v_addc_co_u32_e32 v11, vcc, 0, v6, vcc
	global_store_dword v[10:11], v7, off offset:3072
	s_or_b64 exec, exec, s[0:1]
	v_cmp_gt_u32_e32 vcc, s33, v17
	s_and_saveexec_b64 s[0:1], vcc
	s_cbranch_execz .LBB611_81
.LBB611_93:
	v_cmp_lt_u32_e32 vcc, v17, v8
	s_waitcnt lgkmcnt(2)
	v_cndmask_b32_e32 v6, v9, v16, vcc
	v_lshlrev_b32_e32 v7, 2, v17
	v_cndmask_b32_e32 v1, v15, v18, vcc
	v_add_co_u32_e32 v6, vcc, v6, v7
	v_addc_co_u32_e32 v7, vcc, 0, v1, vcc
	s_waitcnt lgkmcnt(1)
	global_store_dword v[6:7], v4, off
	s_or_b64 exec, exec, s[0:1]
	v_cmp_gt_u32_e32 vcc, s33, v14
	s_and_saveexec_b64 s[0:1], vcc
	s_cbranch_execnz .LBB611_82
	s_branch .LBB611_83
	.section	.rodata,"a",@progbits
	.p2align	6, 0x0
	.amdhsa_kernel _ZN7rocprim17ROCPRIM_400000_NS6detail17trampoline_kernelINS0_14default_configENS1_25partition_config_selectorILNS1_17partition_subalgoE1EiNS0_10empty_typeEbEEZZNS1_14partition_implILS5_1ELb0ES3_jN6thrust23THRUST_200600_302600_NS6detail15normal_iteratorINSA_10device_ptrIiEEEEPS6_NSA_18transform_iteratorINSA_8identityIiEESF_NSA_11use_defaultESK_EENS0_5tupleIJSF_SF_EEENSM_IJSG_SG_EEES6_PlJS6_EEE10hipError_tPvRmT3_T4_T5_T6_T7_T9_mT8_P12ihipStream_tbDpT10_ENKUlT_T0_E_clISt17integral_constantIbLb0EES19_EEDaS14_S15_EUlS14_E_NS1_11comp_targetILNS1_3genE4ELNS1_11target_archE910ELNS1_3gpuE8ELNS1_3repE0EEENS1_30default_config_static_selectorELNS0_4arch9wavefront6targetE1EEEvT1_
		.amdhsa_group_segment_fixed_size 7176
		.amdhsa_private_segment_fixed_size 0
		.amdhsa_kernarg_size 128
		.amdhsa_user_sgpr_count 6
		.amdhsa_user_sgpr_private_segment_buffer 1
		.amdhsa_user_sgpr_dispatch_ptr 0
		.amdhsa_user_sgpr_queue_ptr 0
		.amdhsa_user_sgpr_kernarg_segment_ptr 1
		.amdhsa_user_sgpr_dispatch_id 0
		.amdhsa_user_sgpr_flat_scratch_init 0
		.amdhsa_user_sgpr_kernarg_preload_length 0
		.amdhsa_user_sgpr_kernarg_preload_offset 0
		.amdhsa_user_sgpr_private_segment_size 0
		.amdhsa_uses_dynamic_stack 0
		.amdhsa_system_sgpr_private_segment_wavefront_offset 0
		.amdhsa_system_sgpr_workgroup_id_x 1
		.amdhsa_system_sgpr_workgroup_id_y 0
		.amdhsa_system_sgpr_workgroup_id_z 0
		.amdhsa_system_sgpr_workgroup_info 0
		.amdhsa_system_vgpr_workitem_id 0
		.amdhsa_next_free_vgpr 47
		.amdhsa_next_free_sgpr 44
		.amdhsa_accum_offset 48
		.amdhsa_reserve_vcc 1
		.amdhsa_reserve_flat_scratch 0
		.amdhsa_float_round_mode_32 0
		.amdhsa_float_round_mode_16_64 0
		.amdhsa_float_denorm_mode_32 3
		.amdhsa_float_denorm_mode_16_64 3
		.amdhsa_dx10_clamp 1
		.amdhsa_ieee_mode 1
		.amdhsa_fp16_overflow 0
		.amdhsa_tg_split 0
		.amdhsa_exception_fp_ieee_invalid_op 0
		.amdhsa_exception_fp_denorm_src 0
		.amdhsa_exception_fp_ieee_div_zero 0
		.amdhsa_exception_fp_ieee_overflow 0
		.amdhsa_exception_fp_ieee_underflow 0
		.amdhsa_exception_fp_ieee_inexact 0
		.amdhsa_exception_int_div_zero 0
	.end_amdhsa_kernel
	.section	.text._ZN7rocprim17ROCPRIM_400000_NS6detail17trampoline_kernelINS0_14default_configENS1_25partition_config_selectorILNS1_17partition_subalgoE1EiNS0_10empty_typeEbEEZZNS1_14partition_implILS5_1ELb0ES3_jN6thrust23THRUST_200600_302600_NS6detail15normal_iteratorINSA_10device_ptrIiEEEEPS6_NSA_18transform_iteratorINSA_8identityIiEESF_NSA_11use_defaultESK_EENS0_5tupleIJSF_SF_EEENSM_IJSG_SG_EEES6_PlJS6_EEE10hipError_tPvRmT3_T4_T5_T6_T7_T9_mT8_P12ihipStream_tbDpT10_ENKUlT_T0_E_clISt17integral_constantIbLb0EES19_EEDaS14_S15_EUlS14_E_NS1_11comp_targetILNS1_3genE4ELNS1_11target_archE910ELNS1_3gpuE8ELNS1_3repE0EEENS1_30default_config_static_selectorELNS0_4arch9wavefront6targetE1EEEvT1_,"axG",@progbits,_ZN7rocprim17ROCPRIM_400000_NS6detail17trampoline_kernelINS0_14default_configENS1_25partition_config_selectorILNS1_17partition_subalgoE1EiNS0_10empty_typeEbEEZZNS1_14partition_implILS5_1ELb0ES3_jN6thrust23THRUST_200600_302600_NS6detail15normal_iteratorINSA_10device_ptrIiEEEEPS6_NSA_18transform_iteratorINSA_8identityIiEESF_NSA_11use_defaultESK_EENS0_5tupleIJSF_SF_EEENSM_IJSG_SG_EEES6_PlJS6_EEE10hipError_tPvRmT3_T4_T5_T6_T7_T9_mT8_P12ihipStream_tbDpT10_ENKUlT_T0_E_clISt17integral_constantIbLb0EES19_EEDaS14_S15_EUlS14_E_NS1_11comp_targetILNS1_3genE4ELNS1_11target_archE910ELNS1_3gpuE8ELNS1_3repE0EEENS1_30default_config_static_selectorELNS0_4arch9wavefront6targetE1EEEvT1_,comdat
.Lfunc_end611:
	.size	_ZN7rocprim17ROCPRIM_400000_NS6detail17trampoline_kernelINS0_14default_configENS1_25partition_config_selectorILNS1_17partition_subalgoE1EiNS0_10empty_typeEbEEZZNS1_14partition_implILS5_1ELb0ES3_jN6thrust23THRUST_200600_302600_NS6detail15normal_iteratorINSA_10device_ptrIiEEEEPS6_NSA_18transform_iteratorINSA_8identityIiEESF_NSA_11use_defaultESK_EENS0_5tupleIJSF_SF_EEENSM_IJSG_SG_EEES6_PlJS6_EEE10hipError_tPvRmT3_T4_T5_T6_T7_T9_mT8_P12ihipStream_tbDpT10_ENKUlT_T0_E_clISt17integral_constantIbLb0EES19_EEDaS14_S15_EUlS14_E_NS1_11comp_targetILNS1_3genE4ELNS1_11target_archE910ELNS1_3gpuE8ELNS1_3repE0EEENS1_30default_config_static_selectorELNS0_4arch9wavefront6targetE1EEEvT1_, .Lfunc_end611-_ZN7rocprim17ROCPRIM_400000_NS6detail17trampoline_kernelINS0_14default_configENS1_25partition_config_selectorILNS1_17partition_subalgoE1EiNS0_10empty_typeEbEEZZNS1_14partition_implILS5_1ELb0ES3_jN6thrust23THRUST_200600_302600_NS6detail15normal_iteratorINSA_10device_ptrIiEEEEPS6_NSA_18transform_iteratorINSA_8identityIiEESF_NSA_11use_defaultESK_EENS0_5tupleIJSF_SF_EEENSM_IJSG_SG_EEES6_PlJS6_EEE10hipError_tPvRmT3_T4_T5_T6_T7_T9_mT8_P12ihipStream_tbDpT10_ENKUlT_T0_E_clISt17integral_constantIbLb0EES19_EEDaS14_S15_EUlS14_E_NS1_11comp_targetILNS1_3genE4ELNS1_11target_archE910ELNS1_3gpuE8ELNS1_3repE0EEENS1_30default_config_static_selectorELNS0_4arch9wavefront6targetE1EEEvT1_
                                        ; -- End function
	.section	.AMDGPU.csdata,"",@progbits
; Kernel info:
; codeLenInByte = 4672
; NumSgprs: 48
; NumVgprs: 47
; NumAgprs: 0
; TotalNumVgprs: 47
; ScratchSize: 0
; MemoryBound: 0
; FloatMode: 240
; IeeeMode: 1
; LDSByteSize: 7176 bytes/workgroup (compile time only)
; SGPRBlocks: 5
; VGPRBlocks: 5
; NumSGPRsForWavesPerEU: 48
; NumVGPRsForWavesPerEU: 47
; AccumOffset: 48
; Occupancy: 8
; WaveLimiterHint : 1
; COMPUTE_PGM_RSRC2:SCRATCH_EN: 0
; COMPUTE_PGM_RSRC2:USER_SGPR: 6
; COMPUTE_PGM_RSRC2:TRAP_HANDLER: 0
; COMPUTE_PGM_RSRC2:TGID_X_EN: 1
; COMPUTE_PGM_RSRC2:TGID_Y_EN: 0
; COMPUTE_PGM_RSRC2:TGID_Z_EN: 0
; COMPUTE_PGM_RSRC2:TIDIG_COMP_CNT: 0
; COMPUTE_PGM_RSRC3_GFX90A:ACCUM_OFFSET: 11
; COMPUTE_PGM_RSRC3_GFX90A:TG_SPLIT: 0
	.section	.text._ZN7rocprim17ROCPRIM_400000_NS6detail17trampoline_kernelINS0_14default_configENS1_25partition_config_selectorILNS1_17partition_subalgoE1EiNS0_10empty_typeEbEEZZNS1_14partition_implILS5_1ELb0ES3_jN6thrust23THRUST_200600_302600_NS6detail15normal_iteratorINSA_10device_ptrIiEEEEPS6_NSA_18transform_iteratorINSA_8identityIiEESF_NSA_11use_defaultESK_EENS0_5tupleIJSF_SF_EEENSM_IJSG_SG_EEES6_PlJS6_EEE10hipError_tPvRmT3_T4_T5_T6_T7_T9_mT8_P12ihipStream_tbDpT10_ENKUlT_T0_E_clISt17integral_constantIbLb0EES19_EEDaS14_S15_EUlS14_E_NS1_11comp_targetILNS1_3genE3ELNS1_11target_archE908ELNS1_3gpuE7ELNS1_3repE0EEENS1_30default_config_static_selectorELNS0_4arch9wavefront6targetE1EEEvT1_,"axG",@progbits,_ZN7rocprim17ROCPRIM_400000_NS6detail17trampoline_kernelINS0_14default_configENS1_25partition_config_selectorILNS1_17partition_subalgoE1EiNS0_10empty_typeEbEEZZNS1_14partition_implILS5_1ELb0ES3_jN6thrust23THRUST_200600_302600_NS6detail15normal_iteratorINSA_10device_ptrIiEEEEPS6_NSA_18transform_iteratorINSA_8identityIiEESF_NSA_11use_defaultESK_EENS0_5tupleIJSF_SF_EEENSM_IJSG_SG_EEES6_PlJS6_EEE10hipError_tPvRmT3_T4_T5_T6_T7_T9_mT8_P12ihipStream_tbDpT10_ENKUlT_T0_E_clISt17integral_constantIbLb0EES19_EEDaS14_S15_EUlS14_E_NS1_11comp_targetILNS1_3genE3ELNS1_11target_archE908ELNS1_3gpuE7ELNS1_3repE0EEENS1_30default_config_static_selectorELNS0_4arch9wavefront6targetE1EEEvT1_,comdat
	.protected	_ZN7rocprim17ROCPRIM_400000_NS6detail17trampoline_kernelINS0_14default_configENS1_25partition_config_selectorILNS1_17partition_subalgoE1EiNS0_10empty_typeEbEEZZNS1_14partition_implILS5_1ELb0ES3_jN6thrust23THRUST_200600_302600_NS6detail15normal_iteratorINSA_10device_ptrIiEEEEPS6_NSA_18transform_iteratorINSA_8identityIiEESF_NSA_11use_defaultESK_EENS0_5tupleIJSF_SF_EEENSM_IJSG_SG_EEES6_PlJS6_EEE10hipError_tPvRmT3_T4_T5_T6_T7_T9_mT8_P12ihipStream_tbDpT10_ENKUlT_T0_E_clISt17integral_constantIbLb0EES19_EEDaS14_S15_EUlS14_E_NS1_11comp_targetILNS1_3genE3ELNS1_11target_archE908ELNS1_3gpuE7ELNS1_3repE0EEENS1_30default_config_static_selectorELNS0_4arch9wavefront6targetE1EEEvT1_ ; -- Begin function _ZN7rocprim17ROCPRIM_400000_NS6detail17trampoline_kernelINS0_14default_configENS1_25partition_config_selectorILNS1_17partition_subalgoE1EiNS0_10empty_typeEbEEZZNS1_14partition_implILS5_1ELb0ES3_jN6thrust23THRUST_200600_302600_NS6detail15normal_iteratorINSA_10device_ptrIiEEEEPS6_NSA_18transform_iteratorINSA_8identityIiEESF_NSA_11use_defaultESK_EENS0_5tupleIJSF_SF_EEENSM_IJSG_SG_EEES6_PlJS6_EEE10hipError_tPvRmT3_T4_T5_T6_T7_T9_mT8_P12ihipStream_tbDpT10_ENKUlT_T0_E_clISt17integral_constantIbLb0EES19_EEDaS14_S15_EUlS14_E_NS1_11comp_targetILNS1_3genE3ELNS1_11target_archE908ELNS1_3gpuE7ELNS1_3repE0EEENS1_30default_config_static_selectorELNS0_4arch9wavefront6targetE1EEEvT1_
	.globl	_ZN7rocprim17ROCPRIM_400000_NS6detail17trampoline_kernelINS0_14default_configENS1_25partition_config_selectorILNS1_17partition_subalgoE1EiNS0_10empty_typeEbEEZZNS1_14partition_implILS5_1ELb0ES3_jN6thrust23THRUST_200600_302600_NS6detail15normal_iteratorINSA_10device_ptrIiEEEEPS6_NSA_18transform_iteratorINSA_8identityIiEESF_NSA_11use_defaultESK_EENS0_5tupleIJSF_SF_EEENSM_IJSG_SG_EEES6_PlJS6_EEE10hipError_tPvRmT3_T4_T5_T6_T7_T9_mT8_P12ihipStream_tbDpT10_ENKUlT_T0_E_clISt17integral_constantIbLb0EES19_EEDaS14_S15_EUlS14_E_NS1_11comp_targetILNS1_3genE3ELNS1_11target_archE908ELNS1_3gpuE7ELNS1_3repE0EEENS1_30default_config_static_selectorELNS0_4arch9wavefront6targetE1EEEvT1_
	.p2align	8
	.type	_ZN7rocprim17ROCPRIM_400000_NS6detail17trampoline_kernelINS0_14default_configENS1_25partition_config_selectorILNS1_17partition_subalgoE1EiNS0_10empty_typeEbEEZZNS1_14partition_implILS5_1ELb0ES3_jN6thrust23THRUST_200600_302600_NS6detail15normal_iteratorINSA_10device_ptrIiEEEEPS6_NSA_18transform_iteratorINSA_8identityIiEESF_NSA_11use_defaultESK_EENS0_5tupleIJSF_SF_EEENSM_IJSG_SG_EEES6_PlJS6_EEE10hipError_tPvRmT3_T4_T5_T6_T7_T9_mT8_P12ihipStream_tbDpT10_ENKUlT_T0_E_clISt17integral_constantIbLb0EES19_EEDaS14_S15_EUlS14_E_NS1_11comp_targetILNS1_3genE3ELNS1_11target_archE908ELNS1_3gpuE7ELNS1_3repE0EEENS1_30default_config_static_selectorELNS0_4arch9wavefront6targetE1EEEvT1_,@function
_ZN7rocprim17ROCPRIM_400000_NS6detail17trampoline_kernelINS0_14default_configENS1_25partition_config_selectorILNS1_17partition_subalgoE1EiNS0_10empty_typeEbEEZZNS1_14partition_implILS5_1ELb0ES3_jN6thrust23THRUST_200600_302600_NS6detail15normal_iteratorINSA_10device_ptrIiEEEEPS6_NSA_18transform_iteratorINSA_8identityIiEESF_NSA_11use_defaultESK_EENS0_5tupleIJSF_SF_EEENSM_IJSG_SG_EEES6_PlJS6_EEE10hipError_tPvRmT3_T4_T5_T6_T7_T9_mT8_P12ihipStream_tbDpT10_ENKUlT_T0_E_clISt17integral_constantIbLb0EES19_EEDaS14_S15_EUlS14_E_NS1_11comp_targetILNS1_3genE3ELNS1_11target_archE908ELNS1_3gpuE7ELNS1_3repE0EEENS1_30default_config_static_selectorELNS0_4arch9wavefront6targetE1EEEvT1_: ; @_ZN7rocprim17ROCPRIM_400000_NS6detail17trampoline_kernelINS0_14default_configENS1_25partition_config_selectorILNS1_17partition_subalgoE1EiNS0_10empty_typeEbEEZZNS1_14partition_implILS5_1ELb0ES3_jN6thrust23THRUST_200600_302600_NS6detail15normal_iteratorINSA_10device_ptrIiEEEEPS6_NSA_18transform_iteratorINSA_8identityIiEESF_NSA_11use_defaultESK_EENS0_5tupleIJSF_SF_EEENSM_IJSG_SG_EEES6_PlJS6_EEE10hipError_tPvRmT3_T4_T5_T6_T7_T9_mT8_P12ihipStream_tbDpT10_ENKUlT_T0_E_clISt17integral_constantIbLb0EES19_EEDaS14_S15_EUlS14_E_NS1_11comp_targetILNS1_3genE3ELNS1_11target_archE908ELNS1_3gpuE7ELNS1_3repE0EEENS1_30default_config_static_selectorELNS0_4arch9wavefront6targetE1EEEvT1_
; %bb.0:
	.section	.rodata,"a",@progbits
	.p2align	6, 0x0
	.amdhsa_kernel _ZN7rocprim17ROCPRIM_400000_NS6detail17trampoline_kernelINS0_14default_configENS1_25partition_config_selectorILNS1_17partition_subalgoE1EiNS0_10empty_typeEbEEZZNS1_14partition_implILS5_1ELb0ES3_jN6thrust23THRUST_200600_302600_NS6detail15normal_iteratorINSA_10device_ptrIiEEEEPS6_NSA_18transform_iteratorINSA_8identityIiEESF_NSA_11use_defaultESK_EENS0_5tupleIJSF_SF_EEENSM_IJSG_SG_EEES6_PlJS6_EEE10hipError_tPvRmT3_T4_T5_T6_T7_T9_mT8_P12ihipStream_tbDpT10_ENKUlT_T0_E_clISt17integral_constantIbLb0EES19_EEDaS14_S15_EUlS14_E_NS1_11comp_targetILNS1_3genE3ELNS1_11target_archE908ELNS1_3gpuE7ELNS1_3repE0EEENS1_30default_config_static_selectorELNS0_4arch9wavefront6targetE1EEEvT1_
		.amdhsa_group_segment_fixed_size 0
		.amdhsa_private_segment_fixed_size 0
		.amdhsa_kernarg_size 128
		.amdhsa_user_sgpr_count 6
		.amdhsa_user_sgpr_private_segment_buffer 1
		.amdhsa_user_sgpr_dispatch_ptr 0
		.amdhsa_user_sgpr_queue_ptr 0
		.amdhsa_user_sgpr_kernarg_segment_ptr 1
		.amdhsa_user_sgpr_dispatch_id 0
		.amdhsa_user_sgpr_flat_scratch_init 0
		.amdhsa_user_sgpr_kernarg_preload_length 0
		.amdhsa_user_sgpr_kernarg_preload_offset 0
		.amdhsa_user_sgpr_private_segment_size 0
		.amdhsa_uses_dynamic_stack 0
		.amdhsa_system_sgpr_private_segment_wavefront_offset 0
		.amdhsa_system_sgpr_workgroup_id_x 1
		.amdhsa_system_sgpr_workgroup_id_y 0
		.amdhsa_system_sgpr_workgroup_id_z 0
		.amdhsa_system_sgpr_workgroup_info 0
		.amdhsa_system_vgpr_workitem_id 0
		.amdhsa_next_free_vgpr 1
		.amdhsa_next_free_sgpr 0
		.amdhsa_accum_offset 4
		.amdhsa_reserve_vcc 0
		.amdhsa_reserve_flat_scratch 0
		.amdhsa_float_round_mode_32 0
		.amdhsa_float_round_mode_16_64 0
		.amdhsa_float_denorm_mode_32 3
		.amdhsa_float_denorm_mode_16_64 3
		.amdhsa_dx10_clamp 1
		.amdhsa_ieee_mode 1
		.amdhsa_fp16_overflow 0
		.amdhsa_tg_split 0
		.amdhsa_exception_fp_ieee_invalid_op 0
		.amdhsa_exception_fp_denorm_src 0
		.amdhsa_exception_fp_ieee_div_zero 0
		.amdhsa_exception_fp_ieee_overflow 0
		.amdhsa_exception_fp_ieee_underflow 0
		.amdhsa_exception_fp_ieee_inexact 0
		.amdhsa_exception_int_div_zero 0
	.end_amdhsa_kernel
	.section	.text._ZN7rocprim17ROCPRIM_400000_NS6detail17trampoline_kernelINS0_14default_configENS1_25partition_config_selectorILNS1_17partition_subalgoE1EiNS0_10empty_typeEbEEZZNS1_14partition_implILS5_1ELb0ES3_jN6thrust23THRUST_200600_302600_NS6detail15normal_iteratorINSA_10device_ptrIiEEEEPS6_NSA_18transform_iteratorINSA_8identityIiEESF_NSA_11use_defaultESK_EENS0_5tupleIJSF_SF_EEENSM_IJSG_SG_EEES6_PlJS6_EEE10hipError_tPvRmT3_T4_T5_T6_T7_T9_mT8_P12ihipStream_tbDpT10_ENKUlT_T0_E_clISt17integral_constantIbLb0EES19_EEDaS14_S15_EUlS14_E_NS1_11comp_targetILNS1_3genE3ELNS1_11target_archE908ELNS1_3gpuE7ELNS1_3repE0EEENS1_30default_config_static_selectorELNS0_4arch9wavefront6targetE1EEEvT1_,"axG",@progbits,_ZN7rocprim17ROCPRIM_400000_NS6detail17trampoline_kernelINS0_14default_configENS1_25partition_config_selectorILNS1_17partition_subalgoE1EiNS0_10empty_typeEbEEZZNS1_14partition_implILS5_1ELb0ES3_jN6thrust23THRUST_200600_302600_NS6detail15normal_iteratorINSA_10device_ptrIiEEEEPS6_NSA_18transform_iteratorINSA_8identityIiEESF_NSA_11use_defaultESK_EENS0_5tupleIJSF_SF_EEENSM_IJSG_SG_EEES6_PlJS6_EEE10hipError_tPvRmT3_T4_T5_T6_T7_T9_mT8_P12ihipStream_tbDpT10_ENKUlT_T0_E_clISt17integral_constantIbLb0EES19_EEDaS14_S15_EUlS14_E_NS1_11comp_targetILNS1_3genE3ELNS1_11target_archE908ELNS1_3gpuE7ELNS1_3repE0EEENS1_30default_config_static_selectorELNS0_4arch9wavefront6targetE1EEEvT1_,comdat
.Lfunc_end612:
	.size	_ZN7rocprim17ROCPRIM_400000_NS6detail17trampoline_kernelINS0_14default_configENS1_25partition_config_selectorILNS1_17partition_subalgoE1EiNS0_10empty_typeEbEEZZNS1_14partition_implILS5_1ELb0ES3_jN6thrust23THRUST_200600_302600_NS6detail15normal_iteratorINSA_10device_ptrIiEEEEPS6_NSA_18transform_iteratorINSA_8identityIiEESF_NSA_11use_defaultESK_EENS0_5tupleIJSF_SF_EEENSM_IJSG_SG_EEES6_PlJS6_EEE10hipError_tPvRmT3_T4_T5_T6_T7_T9_mT8_P12ihipStream_tbDpT10_ENKUlT_T0_E_clISt17integral_constantIbLb0EES19_EEDaS14_S15_EUlS14_E_NS1_11comp_targetILNS1_3genE3ELNS1_11target_archE908ELNS1_3gpuE7ELNS1_3repE0EEENS1_30default_config_static_selectorELNS0_4arch9wavefront6targetE1EEEvT1_, .Lfunc_end612-_ZN7rocprim17ROCPRIM_400000_NS6detail17trampoline_kernelINS0_14default_configENS1_25partition_config_selectorILNS1_17partition_subalgoE1EiNS0_10empty_typeEbEEZZNS1_14partition_implILS5_1ELb0ES3_jN6thrust23THRUST_200600_302600_NS6detail15normal_iteratorINSA_10device_ptrIiEEEEPS6_NSA_18transform_iteratorINSA_8identityIiEESF_NSA_11use_defaultESK_EENS0_5tupleIJSF_SF_EEENSM_IJSG_SG_EEES6_PlJS6_EEE10hipError_tPvRmT3_T4_T5_T6_T7_T9_mT8_P12ihipStream_tbDpT10_ENKUlT_T0_E_clISt17integral_constantIbLb0EES19_EEDaS14_S15_EUlS14_E_NS1_11comp_targetILNS1_3genE3ELNS1_11target_archE908ELNS1_3gpuE7ELNS1_3repE0EEENS1_30default_config_static_selectorELNS0_4arch9wavefront6targetE1EEEvT1_
                                        ; -- End function
	.section	.AMDGPU.csdata,"",@progbits
; Kernel info:
; codeLenInByte = 0
; NumSgprs: 4
; NumVgprs: 0
; NumAgprs: 0
; TotalNumVgprs: 0
; ScratchSize: 0
; MemoryBound: 0
; FloatMode: 240
; IeeeMode: 1
; LDSByteSize: 0 bytes/workgroup (compile time only)
; SGPRBlocks: 0
; VGPRBlocks: 0
; NumSGPRsForWavesPerEU: 4
; NumVGPRsForWavesPerEU: 1
; AccumOffset: 4
; Occupancy: 8
; WaveLimiterHint : 0
; COMPUTE_PGM_RSRC2:SCRATCH_EN: 0
; COMPUTE_PGM_RSRC2:USER_SGPR: 6
; COMPUTE_PGM_RSRC2:TRAP_HANDLER: 0
; COMPUTE_PGM_RSRC2:TGID_X_EN: 1
; COMPUTE_PGM_RSRC2:TGID_Y_EN: 0
; COMPUTE_PGM_RSRC2:TGID_Z_EN: 0
; COMPUTE_PGM_RSRC2:TIDIG_COMP_CNT: 0
; COMPUTE_PGM_RSRC3_GFX90A:ACCUM_OFFSET: 0
; COMPUTE_PGM_RSRC3_GFX90A:TG_SPLIT: 0
	.section	.text._ZN7rocprim17ROCPRIM_400000_NS6detail17trampoline_kernelINS0_14default_configENS1_25partition_config_selectorILNS1_17partition_subalgoE1EiNS0_10empty_typeEbEEZZNS1_14partition_implILS5_1ELb0ES3_jN6thrust23THRUST_200600_302600_NS6detail15normal_iteratorINSA_10device_ptrIiEEEEPS6_NSA_18transform_iteratorINSA_8identityIiEESF_NSA_11use_defaultESK_EENS0_5tupleIJSF_SF_EEENSM_IJSG_SG_EEES6_PlJS6_EEE10hipError_tPvRmT3_T4_T5_T6_T7_T9_mT8_P12ihipStream_tbDpT10_ENKUlT_T0_E_clISt17integral_constantIbLb0EES19_EEDaS14_S15_EUlS14_E_NS1_11comp_targetILNS1_3genE2ELNS1_11target_archE906ELNS1_3gpuE6ELNS1_3repE0EEENS1_30default_config_static_selectorELNS0_4arch9wavefront6targetE1EEEvT1_,"axG",@progbits,_ZN7rocprim17ROCPRIM_400000_NS6detail17trampoline_kernelINS0_14default_configENS1_25partition_config_selectorILNS1_17partition_subalgoE1EiNS0_10empty_typeEbEEZZNS1_14partition_implILS5_1ELb0ES3_jN6thrust23THRUST_200600_302600_NS6detail15normal_iteratorINSA_10device_ptrIiEEEEPS6_NSA_18transform_iteratorINSA_8identityIiEESF_NSA_11use_defaultESK_EENS0_5tupleIJSF_SF_EEENSM_IJSG_SG_EEES6_PlJS6_EEE10hipError_tPvRmT3_T4_T5_T6_T7_T9_mT8_P12ihipStream_tbDpT10_ENKUlT_T0_E_clISt17integral_constantIbLb0EES19_EEDaS14_S15_EUlS14_E_NS1_11comp_targetILNS1_3genE2ELNS1_11target_archE906ELNS1_3gpuE6ELNS1_3repE0EEENS1_30default_config_static_selectorELNS0_4arch9wavefront6targetE1EEEvT1_,comdat
	.protected	_ZN7rocprim17ROCPRIM_400000_NS6detail17trampoline_kernelINS0_14default_configENS1_25partition_config_selectorILNS1_17partition_subalgoE1EiNS0_10empty_typeEbEEZZNS1_14partition_implILS5_1ELb0ES3_jN6thrust23THRUST_200600_302600_NS6detail15normal_iteratorINSA_10device_ptrIiEEEEPS6_NSA_18transform_iteratorINSA_8identityIiEESF_NSA_11use_defaultESK_EENS0_5tupleIJSF_SF_EEENSM_IJSG_SG_EEES6_PlJS6_EEE10hipError_tPvRmT3_T4_T5_T6_T7_T9_mT8_P12ihipStream_tbDpT10_ENKUlT_T0_E_clISt17integral_constantIbLb0EES19_EEDaS14_S15_EUlS14_E_NS1_11comp_targetILNS1_3genE2ELNS1_11target_archE906ELNS1_3gpuE6ELNS1_3repE0EEENS1_30default_config_static_selectorELNS0_4arch9wavefront6targetE1EEEvT1_ ; -- Begin function _ZN7rocprim17ROCPRIM_400000_NS6detail17trampoline_kernelINS0_14default_configENS1_25partition_config_selectorILNS1_17partition_subalgoE1EiNS0_10empty_typeEbEEZZNS1_14partition_implILS5_1ELb0ES3_jN6thrust23THRUST_200600_302600_NS6detail15normal_iteratorINSA_10device_ptrIiEEEEPS6_NSA_18transform_iteratorINSA_8identityIiEESF_NSA_11use_defaultESK_EENS0_5tupleIJSF_SF_EEENSM_IJSG_SG_EEES6_PlJS6_EEE10hipError_tPvRmT3_T4_T5_T6_T7_T9_mT8_P12ihipStream_tbDpT10_ENKUlT_T0_E_clISt17integral_constantIbLb0EES19_EEDaS14_S15_EUlS14_E_NS1_11comp_targetILNS1_3genE2ELNS1_11target_archE906ELNS1_3gpuE6ELNS1_3repE0EEENS1_30default_config_static_selectorELNS0_4arch9wavefront6targetE1EEEvT1_
	.globl	_ZN7rocprim17ROCPRIM_400000_NS6detail17trampoline_kernelINS0_14default_configENS1_25partition_config_selectorILNS1_17partition_subalgoE1EiNS0_10empty_typeEbEEZZNS1_14partition_implILS5_1ELb0ES3_jN6thrust23THRUST_200600_302600_NS6detail15normal_iteratorINSA_10device_ptrIiEEEEPS6_NSA_18transform_iteratorINSA_8identityIiEESF_NSA_11use_defaultESK_EENS0_5tupleIJSF_SF_EEENSM_IJSG_SG_EEES6_PlJS6_EEE10hipError_tPvRmT3_T4_T5_T6_T7_T9_mT8_P12ihipStream_tbDpT10_ENKUlT_T0_E_clISt17integral_constantIbLb0EES19_EEDaS14_S15_EUlS14_E_NS1_11comp_targetILNS1_3genE2ELNS1_11target_archE906ELNS1_3gpuE6ELNS1_3repE0EEENS1_30default_config_static_selectorELNS0_4arch9wavefront6targetE1EEEvT1_
	.p2align	8
	.type	_ZN7rocprim17ROCPRIM_400000_NS6detail17trampoline_kernelINS0_14default_configENS1_25partition_config_selectorILNS1_17partition_subalgoE1EiNS0_10empty_typeEbEEZZNS1_14partition_implILS5_1ELb0ES3_jN6thrust23THRUST_200600_302600_NS6detail15normal_iteratorINSA_10device_ptrIiEEEEPS6_NSA_18transform_iteratorINSA_8identityIiEESF_NSA_11use_defaultESK_EENS0_5tupleIJSF_SF_EEENSM_IJSG_SG_EEES6_PlJS6_EEE10hipError_tPvRmT3_T4_T5_T6_T7_T9_mT8_P12ihipStream_tbDpT10_ENKUlT_T0_E_clISt17integral_constantIbLb0EES19_EEDaS14_S15_EUlS14_E_NS1_11comp_targetILNS1_3genE2ELNS1_11target_archE906ELNS1_3gpuE6ELNS1_3repE0EEENS1_30default_config_static_selectorELNS0_4arch9wavefront6targetE1EEEvT1_,@function
_ZN7rocprim17ROCPRIM_400000_NS6detail17trampoline_kernelINS0_14default_configENS1_25partition_config_selectorILNS1_17partition_subalgoE1EiNS0_10empty_typeEbEEZZNS1_14partition_implILS5_1ELb0ES3_jN6thrust23THRUST_200600_302600_NS6detail15normal_iteratorINSA_10device_ptrIiEEEEPS6_NSA_18transform_iteratorINSA_8identityIiEESF_NSA_11use_defaultESK_EENS0_5tupleIJSF_SF_EEENSM_IJSG_SG_EEES6_PlJS6_EEE10hipError_tPvRmT3_T4_T5_T6_T7_T9_mT8_P12ihipStream_tbDpT10_ENKUlT_T0_E_clISt17integral_constantIbLb0EES19_EEDaS14_S15_EUlS14_E_NS1_11comp_targetILNS1_3genE2ELNS1_11target_archE906ELNS1_3gpuE6ELNS1_3repE0EEENS1_30default_config_static_selectorELNS0_4arch9wavefront6targetE1EEEvT1_: ; @_ZN7rocprim17ROCPRIM_400000_NS6detail17trampoline_kernelINS0_14default_configENS1_25partition_config_selectorILNS1_17partition_subalgoE1EiNS0_10empty_typeEbEEZZNS1_14partition_implILS5_1ELb0ES3_jN6thrust23THRUST_200600_302600_NS6detail15normal_iteratorINSA_10device_ptrIiEEEEPS6_NSA_18transform_iteratorINSA_8identityIiEESF_NSA_11use_defaultESK_EENS0_5tupleIJSF_SF_EEENSM_IJSG_SG_EEES6_PlJS6_EEE10hipError_tPvRmT3_T4_T5_T6_T7_T9_mT8_P12ihipStream_tbDpT10_ENKUlT_T0_E_clISt17integral_constantIbLb0EES19_EEDaS14_S15_EUlS14_E_NS1_11comp_targetILNS1_3genE2ELNS1_11target_archE906ELNS1_3gpuE6ELNS1_3repE0EEENS1_30default_config_static_selectorELNS0_4arch9wavefront6targetE1EEEvT1_
; %bb.0:
	.section	.rodata,"a",@progbits
	.p2align	6, 0x0
	.amdhsa_kernel _ZN7rocprim17ROCPRIM_400000_NS6detail17trampoline_kernelINS0_14default_configENS1_25partition_config_selectorILNS1_17partition_subalgoE1EiNS0_10empty_typeEbEEZZNS1_14partition_implILS5_1ELb0ES3_jN6thrust23THRUST_200600_302600_NS6detail15normal_iteratorINSA_10device_ptrIiEEEEPS6_NSA_18transform_iteratorINSA_8identityIiEESF_NSA_11use_defaultESK_EENS0_5tupleIJSF_SF_EEENSM_IJSG_SG_EEES6_PlJS6_EEE10hipError_tPvRmT3_T4_T5_T6_T7_T9_mT8_P12ihipStream_tbDpT10_ENKUlT_T0_E_clISt17integral_constantIbLb0EES19_EEDaS14_S15_EUlS14_E_NS1_11comp_targetILNS1_3genE2ELNS1_11target_archE906ELNS1_3gpuE6ELNS1_3repE0EEENS1_30default_config_static_selectorELNS0_4arch9wavefront6targetE1EEEvT1_
		.amdhsa_group_segment_fixed_size 0
		.amdhsa_private_segment_fixed_size 0
		.amdhsa_kernarg_size 128
		.amdhsa_user_sgpr_count 6
		.amdhsa_user_sgpr_private_segment_buffer 1
		.amdhsa_user_sgpr_dispatch_ptr 0
		.amdhsa_user_sgpr_queue_ptr 0
		.amdhsa_user_sgpr_kernarg_segment_ptr 1
		.amdhsa_user_sgpr_dispatch_id 0
		.amdhsa_user_sgpr_flat_scratch_init 0
		.amdhsa_user_sgpr_kernarg_preload_length 0
		.amdhsa_user_sgpr_kernarg_preload_offset 0
		.amdhsa_user_sgpr_private_segment_size 0
		.amdhsa_uses_dynamic_stack 0
		.amdhsa_system_sgpr_private_segment_wavefront_offset 0
		.amdhsa_system_sgpr_workgroup_id_x 1
		.amdhsa_system_sgpr_workgroup_id_y 0
		.amdhsa_system_sgpr_workgroup_id_z 0
		.amdhsa_system_sgpr_workgroup_info 0
		.amdhsa_system_vgpr_workitem_id 0
		.amdhsa_next_free_vgpr 1
		.amdhsa_next_free_sgpr 0
		.amdhsa_accum_offset 4
		.amdhsa_reserve_vcc 0
		.amdhsa_reserve_flat_scratch 0
		.amdhsa_float_round_mode_32 0
		.amdhsa_float_round_mode_16_64 0
		.amdhsa_float_denorm_mode_32 3
		.amdhsa_float_denorm_mode_16_64 3
		.amdhsa_dx10_clamp 1
		.amdhsa_ieee_mode 1
		.amdhsa_fp16_overflow 0
		.amdhsa_tg_split 0
		.amdhsa_exception_fp_ieee_invalid_op 0
		.amdhsa_exception_fp_denorm_src 0
		.amdhsa_exception_fp_ieee_div_zero 0
		.amdhsa_exception_fp_ieee_overflow 0
		.amdhsa_exception_fp_ieee_underflow 0
		.amdhsa_exception_fp_ieee_inexact 0
		.amdhsa_exception_int_div_zero 0
	.end_amdhsa_kernel
	.section	.text._ZN7rocprim17ROCPRIM_400000_NS6detail17trampoline_kernelINS0_14default_configENS1_25partition_config_selectorILNS1_17partition_subalgoE1EiNS0_10empty_typeEbEEZZNS1_14partition_implILS5_1ELb0ES3_jN6thrust23THRUST_200600_302600_NS6detail15normal_iteratorINSA_10device_ptrIiEEEEPS6_NSA_18transform_iteratorINSA_8identityIiEESF_NSA_11use_defaultESK_EENS0_5tupleIJSF_SF_EEENSM_IJSG_SG_EEES6_PlJS6_EEE10hipError_tPvRmT3_T4_T5_T6_T7_T9_mT8_P12ihipStream_tbDpT10_ENKUlT_T0_E_clISt17integral_constantIbLb0EES19_EEDaS14_S15_EUlS14_E_NS1_11comp_targetILNS1_3genE2ELNS1_11target_archE906ELNS1_3gpuE6ELNS1_3repE0EEENS1_30default_config_static_selectorELNS0_4arch9wavefront6targetE1EEEvT1_,"axG",@progbits,_ZN7rocprim17ROCPRIM_400000_NS6detail17trampoline_kernelINS0_14default_configENS1_25partition_config_selectorILNS1_17partition_subalgoE1EiNS0_10empty_typeEbEEZZNS1_14partition_implILS5_1ELb0ES3_jN6thrust23THRUST_200600_302600_NS6detail15normal_iteratorINSA_10device_ptrIiEEEEPS6_NSA_18transform_iteratorINSA_8identityIiEESF_NSA_11use_defaultESK_EENS0_5tupleIJSF_SF_EEENSM_IJSG_SG_EEES6_PlJS6_EEE10hipError_tPvRmT3_T4_T5_T6_T7_T9_mT8_P12ihipStream_tbDpT10_ENKUlT_T0_E_clISt17integral_constantIbLb0EES19_EEDaS14_S15_EUlS14_E_NS1_11comp_targetILNS1_3genE2ELNS1_11target_archE906ELNS1_3gpuE6ELNS1_3repE0EEENS1_30default_config_static_selectorELNS0_4arch9wavefront6targetE1EEEvT1_,comdat
.Lfunc_end613:
	.size	_ZN7rocprim17ROCPRIM_400000_NS6detail17trampoline_kernelINS0_14default_configENS1_25partition_config_selectorILNS1_17partition_subalgoE1EiNS0_10empty_typeEbEEZZNS1_14partition_implILS5_1ELb0ES3_jN6thrust23THRUST_200600_302600_NS6detail15normal_iteratorINSA_10device_ptrIiEEEEPS6_NSA_18transform_iteratorINSA_8identityIiEESF_NSA_11use_defaultESK_EENS0_5tupleIJSF_SF_EEENSM_IJSG_SG_EEES6_PlJS6_EEE10hipError_tPvRmT3_T4_T5_T6_T7_T9_mT8_P12ihipStream_tbDpT10_ENKUlT_T0_E_clISt17integral_constantIbLb0EES19_EEDaS14_S15_EUlS14_E_NS1_11comp_targetILNS1_3genE2ELNS1_11target_archE906ELNS1_3gpuE6ELNS1_3repE0EEENS1_30default_config_static_selectorELNS0_4arch9wavefront6targetE1EEEvT1_, .Lfunc_end613-_ZN7rocprim17ROCPRIM_400000_NS6detail17trampoline_kernelINS0_14default_configENS1_25partition_config_selectorILNS1_17partition_subalgoE1EiNS0_10empty_typeEbEEZZNS1_14partition_implILS5_1ELb0ES3_jN6thrust23THRUST_200600_302600_NS6detail15normal_iteratorINSA_10device_ptrIiEEEEPS6_NSA_18transform_iteratorINSA_8identityIiEESF_NSA_11use_defaultESK_EENS0_5tupleIJSF_SF_EEENSM_IJSG_SG_EEES6_PlJS6_EEE10hipError_tPvRmT3_T4_T5_T6_T7_T9_mT8_P12ihipStream_tbDpT10_ENKUlT_T0_E_clISt17integral_constantIbLb0EES19_EEDaS14_S15_EUlS14_E_NS1_11comp_targetILNS1_3genE2ELNS1_11target_archE906ELNS1_3gpuE6ELNS1_3repE0EEENS1_30default_config_static_selectorELNS0_4arch9wavefront6targetE1EEEvT1_
                                        ; -- End function
	.section	.AMDGPU.csdata,"",@progbits
; Kernel info:
; codeLenInByte = 0
; NumSgprs: 4
; NumVgprs: 0
; NumAgprs: 0
; TotalNumVgprs: 0
; ScratchSize: 0
; MemoryBound: 0
; FloatMode: 240
; IeeeMode: 1
; LDSByteSize: 0 bytes/workgroup (compile time only)
; SGPRBlocks: 0
; VGPRBlocks: 0
; NumSGPRsForWavesPerEU: 4
; NumVGPRsForWavesPerEU: 1
; AccumOffset: 4
; Occupancy: 8
; WaveLimiterHint : 0
; COMPUTE_PGM_RSRC2:SCRATCH_EN: 0
; COMPUTE_PGM_RSRC2:USER_SGPR: 6
; COMPUTE_PGM_RSRC2:TRAP_HANDLER: 0
; COMPUTE_PGM_RSRC2:TGID_X_EN: 1
; COMPUTE_PGM_RSRC2:TGID_Y_EN: 0
; COMPUTE_PGM_RSRC2:TGID_Z_EN: 0
; COMPUTE_PGM_RSRC2:TIDIG_COMP_CNT: 0
; COMPUTE_PGM_RSRC3_GFX90A:ACCUM_OFFSET: 0
; COMPUTE_PGM_RSRC3_GFX90A:TG_SPLIT: 0
	.section	.text._ZN7rocprim17ROCPRIM_400000_NS6detail17trampoline_kernelINS0_14default_configENS1_25partition_config_selectorILNS1_17partition_subalgoE1EiNS0_10empty_typeEbEEZZNS1_14partition_implILS5_1ELb0ES3_jN6thrust23THRUST_200600_302600_NS6detail15normal_iteratorINSA_10device_ptrIiEEEEPS6_NSA_18transform_iteratorINSA_8identityIiEESF_NSA_11use_defaultESK_EENS0_5tupleIJSF_SF_EEENSM_IJSG_SG_EEES6_PlJS6_EEE10hipError_tPvRmT3_T4_T5_T6_T7_T9_mT8_P12ihipStream_tbDpT10_ENKUlT_T0_E_clISt17integral_constantIbLb0EES19_EEDaS14_S15_EUlS14_E_NS1_11comp_targetILNS1_3genE10ELNS1_11target_archE1200ELNS1_3gpuE4ELNS1_3repE0EEENS1_30default_config_static_selectorELNS0_4arch9wavefront6targetE1EEEvT1_,"axG",@progbits,_ZN7rocprim17ROCPRIM_400000_NS6detail17trampoline_kernelINS0_14default_configENS1_25partition_config_selectorILNS1_17partition_subalgoE1EiNS0_10empty_typeEbEEZZNS1_14partition_implILS5_1ELb0ES3_jN6thrust23THRUST_200600_302600_NS6detail15normal_iteratorINSA_10device_ptrIiEEEEPS6_NSA_18transform_iteratorINSA_8identityIiEESF_NSA_11use_defaultESK_EENS0_5tupleIJSF_SF_EEENSM_IJSG_SG_EEES6_PlJS6_EEE10hipError_tPvRmT3_T4_T5_T6_T7_T9_mT8_P12ihipStream_tbDpT10_ENKUlT_T0_E_clISt17integral_constantIbLb0EES19_EEDaS14_S15_EUlS14_E_NS1_11comp_targetILNS1_3genE10ELNS1_11target_archE1200ELNS1_3gpuE4ELNS1_3repE0EEENS1_30default_config_static_selectorELNS0_4arch9wavefront6targetE1EEEvT1_,comdat
	.protected	_ZN7rocprim17ROCPRIM_400000_NS6detail17trampoline_kernelINS0_14default_configENS1_25partition_config_selectorILNS1_17partition_subalgoE1EiNS0_10empty_typeEbEEZZNS1_14partition_implILS5_1ELb0ES3_jN6thrust23THRUST_200600_302600_NS6detail15normal_iteratorINSA_10device_ptrIiEEEEPS6_NSA_18transform_iteratorINSA_8identityIiEESF_NSA_11use_defaultESK_EENS0_5tupleIJSF_SF_EEENSM_IJSG_SG_EEES6_PlJS6_EEE10hipError_tPvRmT3_T4_T5_T6_T7_T9_mT8_P12ihipStream_tbDpT10_ENKUlT_T0_E_clISt17integral_constantIbLb0EES19_EEDaS14_S15_EUlS14_E_NS1_11comp_targetILNS1_3genE10ELNS1_11target_archE1200ELNS1_3gpuE4ELNS1_3repE0EEENS1_30default_config_static_selectorELNS0_4arch9wavefront6targetE1EEEvT1_ ; -- Begin function _ZN7rocprim17ROCPRIM_400000_NS6detail17trampoline_kernelINS0_14default_configENS1_25partition_config_selectorILNS1_17partition_subalgoE1EiNS0_10empty_typeEbEEZZNS1_14partition_implILS5_1ELb0ES3_jN6thrust23THRUST_200600_302600_NS6detail15normal_iteratorINSA_10device_ptrIiEEEEPS6_NSA_18transform_iteratorINSA_8identityIiEESF_NSA_11use_defaultESK_EENS0_5tupleIJSF_SF_EEENSM_IJSG_SG_EEES6_PlJS6_EEE10hipError_tPvRmT3_T4_T5_T6_T7_T9_mT8_P12ihipStream_tbDpT10_ENKUlT_T0_E_clISt17integral_constantIbLb0EES19_EEDaS14_S15_EUlS14_E_NS1_11comp_targetILNS1_3genE10ELNS1_11target_archE1200ELNS1_3gpuE4ELNS1_3repE0EEENS1_30default_config_static_selectorELNS0_4arch9wavefront6targetE1EEEvT1_
	.globl	_ZN7rocprim17ROCPRIM_400000_NS6detail17trampoline_kernelINS0_14default_configENS1_25partition_config_selectorILNS1_17partition_subalgoE1EiNS0_10empty_typeEbEEZZNS1_14partition_implILS5_1ELb0ES3_jN6thrust23THRUST_200600_302600_NS6detail15normal_iteratorINSA_10device_ptrIiEEEEPS6_NSA_18transform_iteratorINSA_8identityIiEESF_NSA_11use_defaultESK_EENS0_5tupleIJSF_SF_EEENSM_IJSG_SG_EEES6_PlJS6_EEE10hipError_tPvRmT3_T4_T5_T6_T7_T9_mT8_P12ihipStream_tbDpT10_ENKUlT_T0_E_clISt17integral_constantIbLb0EES19_EEDaS14_S15_EUlS14_E_NS1_11comp_targetILNS1_3genE10ELNS1_11target_archE1200ELNS1_3gpuE4ELNS1_3repE0EEENS1_30default_config_static_selectorELNS0_4arch9wavefront6targetE1EEEvT1_
	.p2align	8
	.type	_ZN7rocprim17ROCPRIM_400000_NS6detail17trampoline_kernelINS0_14default_configENS1_25partition_config_selectorILNS1_17partition_subalgoE1EiNS0_10empty_typeEbEEZZNS1_14partition_implILS5_1ELb0ES3_jN6thrust23THRUST_200600_302600_NS6detail15normal_iteratorINSA_10device_ptrIiEEEEPS6_NSA_18transform_iteratorINSA_8identityIiEESF_NSA_11use_defaultESK_EENS0_5tupleIJSF_SF_EEENSM_IJSG_SG_EEES6_PlJS6_EEE10hipError_tPvRmT3_T4_T5_T6_T7_T9_mT8_P12ihipStream_tbDpT10_ENKUlT_T0_E_clISt17integral_constantIbLb0EES19_EEDaS14_S15_EUlS14_E_NS1_11comp_targetILNS1_3genE10ELNS1_11target_archE1200ELNS1_3gpuE4ELNS1_3repE0EEENS1_30default_config_static_selectorELNS0_4arch9wavefront6targetE1EEEvT1_,@function
_ZN7rocprim17ROCPRIM_400000_NS6detail17trampoline_kernelINS0_14default_configENS1_25partition_config_selectorILNS1_17partition_subalgoE1EiNS0_10empty_typeEbEEZZNS1_14partition_implILS5_1ELb0ES3_jN6thrust23THRUST_200600_302600_NS6detail15normal_iteratorINSA_10device_ptrIiEEEEPS6_NSA_18transform_iteratorINSA_8identityIiEESF_NSA_11use_defaultESK_EENS0_5tupleIJSF_SF_EEENSM_IJSG_SG_EEES6_PlJS6_EEE10hipError_tPvRmT3_T4_T5_T6_T7_T9_mT8_P12ihipStream_tbDpT10_ENKUlT_T0_E_clISt17integral_constantIbLb0EES19_EEDaS14_S15_EUlS14_E_NS1_11comp_targetILNS1_3genE10ELNS1_11target_archE1200ELNS1_3gpuE4ELNS1_3repE0EEENS1_30default_config_static_selectorELNS0_4arch9wavefront6targetE1EEEvT1_: ; @_ZN7rocprim17ROCPRIM_400000_NS6detail17trampoline_kernelINS0_14default_configENS1_25partition_config_selectorILNS1_17partition_subalgoE1EiNS0_10empty_typeEbEEZZNS1_14partition_implILS5_1ELb0ES3_jN6thrust23THRUST_200600_302600_NS6detail15normal_iteratorINSA_10device_ptrIiEEEEPS6_NSA_18transform_iteratorINSA_8identityIiEESF_NSA_11use_defaultESK_EENS0_5tupleIJSF_SF_EEENSM_IJSG_SG_EEES6_PlJS6_EEE10hipError_tPvRmT3_T4_T5_T6_T7_T9_mT8_P12ihipStream_tbDpT10_ENKUlT_T0_E_clISt17integral_constantIbLb0EES19_EEDaS14_S15_EUlS14_E_NS1_11comp_targetILNS1_3genE10ELNS1_11target_archE1200ELNS1_3gpuE4ELNS1_3repE0EEENS1_30default_config_static_selectorELNS0_4arch9wavefront6targetE1EEEvT1_
; %bb.0:
	.section	.rodata,"a",@progbits
	.p2align	6, 0x0
	.amdhsa_kernel _ZN7rocprim17ROCPRIM_400000_NS6detail17trampoline_kernelINS0_14default_configENS1_25partition_config_selectorILNS1_17partition_subalgoE1EiNS0_10empty_typeEbEEZZNS1_14partition_implILS5_1ELb0ES3_jN6thrust23THRUST_200600_302600_NS6detail15normal_iteratorINSA_10device_ptrIiEEEEPS6_NSA_18transform_iteratorINSA_8identityIiEESF_NSA_11use_defaultESK_EENS0_5tupleIJSF_SF_EEENSM_IJSG_SG_EEES6_PlJS6_EEE10hipError_tPvRmT3_T4_T5_T6_T7_T9_mT8_P12ihipStream_tbDpT10_ENKUlT_T0_E_clISt17integral_constantIbLb0EES19_EEDaS14_S15_EUlS14_E_NS1_11comp_targetILNS1_3genE10ELNS1_11target_archE1200ELNS1_3gpuE4ELNS1_3repE0EEENS1_30default_config_static_selectorELNS0_4arch9wavefront6targetE1EEEvT1_
		.amdhsa_group_segment_fixed_size 0
		.amdhsa_private_segment_fixed_size 0
		.amdhsa_kernarg_size 128
		.amdhsa_user_sgpr_count 6
		.amdhsa_user_sgpr_private_segment_buffer 1
		.amdhsa_user_sgpr_dispatch_ptr 0
		.amdhsa_user_sgpr_queue_ptr 0
		.amdhsa_user_sgpr_kernarg_segment_ptr 1
		.amdhsa_user_sgpr_dispatch_id 0
		.amdhsa_user_sgpr_flat_scratch_init 0
		.amdhsa_user_sgpr_kernarg_preload_length 0
		.amdhsa_user_sgpr_kernarg_preload_offset 0
		.amdhsa_user_sgpr_private_segment_size 0
		.amdhsa_uses_dynamic_stack 0
		.amdhsa_system_sgpr_private_segment_wavefront_offset 0
		.amdhsa_system_sgpr_workgroup_id_x 1
		.amdhsa_system_sgpr_workgroup_id_y 0
		.amdhsa_system_sgpr_workgroup_id_z 0
		.amdhsa_system_sgpr_workgroup_info 0
		.amdhsa_system_vgpr_workitem_id 0
		.amdhsa_next_free_vgpr 1
		.amdhsa_next_free_sgpr 0
		.amdhsa_accum_offset 4
		.amdhsa_reserve_vcc 0
		.amdhsa_reserve_flat_scratch 0
		.amdhsa_float_round_mode_32 0
		.amdhsa_float_round_mode_16_64 0
		.amdhsa_float_denorm_mode_32 3
		.amdhsa_float_denorm_mode_16_64 3
		.amdhsa_dx10_clamp 1
		.amdhsa_ieee_mode 1
		.amdhsa_fp16_overflow 0
		.amdhsa_tg_split 0
		.amdhsa_exception_fp_ieee_invalid_op 0
		.amdhsa_exception_fp_denorm_src 0
		.amdhsa_exception_fp_ieee_div_zero 0
		.amdhsa_exception_fp_ieee_overflow 0
		.amdhsa_exception_fp_ieee_underflow 0
		.amdhsa_exception_fp_ieee_inexact 0
		.amdhsa_exception_int_div_zero 0
	.end_amdhsa_kernel
	.section	.text._ZN7rocprim17ROCPRIM_400000_NS6detail17trampoline_kernelINS0_14default_configENS1_25partition_config_selectorILNS1_17partition_subalgoE1EiNS0_10empty_typeEbEEZZNS1_14partition_implILS5_1ELb0ES3_jN6thrust23THRUST_200600_302600_NS6detail15normal_iteratorINSA_10device_ptrIiEEEEPS6_NSA_18transform_iteratorINSA_8identityIiEESF_NSA_11use_defaultESK_EENS0_5tupleIJSF_SF_EEENSM_IJSG_SG_EEES6_PlJS6_EEE10hipError_tPvRmT3_T4_T5_T6_T7_T9_mT8_P12ihipStream_tbDpT10_ENKUlT_T0_E_clISt17integral_constantIbLb0EES19_EEDaS14_S15_EUlS14_E_NS1_11comp_targetILNS1_3genE10ELNS1_11target_archE1200ELNS1_3gpuE4ELNS1_3repE0EEENS1_30default_config_static_selectorELNS0_4arch9wavefront6targetE1EEEvT1_,"axG",@progbits,_ZN7rocprim17ROCPRIM_400000_NS6detail17trampoline_kernelINS0_14default_configENS1_25partition_config_selectorILNS1_17partition_subalgoE1EiNS0_10empty_typeEbEEZZNS1_14partition_implILS5_1ELb0ES3_jN6thrust23THRUST_200600_302600_NS6detail15normal_iteratorINSA_10device_ptrIiEEEEPS6_NSA_18transform_iteratorINSA_8identityIiEESF_NSA_11use_defaultESK_EENS0_5tupleIJSF_SF_EEENSM_IJSG_SG_EEES6_PlJS6_EEE10hipError_tPvRmT3_T4_T5_T6_T7_T9_mT8_P12ihipStream_tbDpT10_ENKUlT_T0_E_clISt17integral_constantIbLb0EES19_EEDaS14_S15_EUlS14_E_NS1_11comp_targetILNS1_3genE10ELNS1_11target_archE1200ELNS1_3gpuE4ELNS1_3repE0EEENS1_30default_config_static_selectorELNS0_4arch9wavefront6targetE1EEEvT1_,comdat
.Lfunc_end614:
	.size	_ZN7rocprim17ROCPRIM_400000_NS6detail17trampoline_kernelINS0_14default_configENS1_25partition_config_selectorILNS1_17partition_subalgoE1EiNS0_10empty_typeEbEEZZNS1_14partition_implILS5_1ELb0ES3_jN6thrust23THRUST_200600_302600_NS6detail15normal_iteratorINSA_10device_ptrIiEEEEPS6_NSA_18transform_iteratorINSA_8identityIiEESF_NSA_11use_defaultESK_EENS0_5tupleIJSF_SF_EEENSM_IJSG_SG_EEES6_PlJS6_EEE10hipError_tPvRmT3_T4_T5_T6_T7_T9_mT8_P12ihipStream_tbDpT10_ENKUlT_T0_E_clISt17integral_constantIbLb0EES19_EEDaS14_S15_EUlS14_E_NS1_11comp_targetILNS1_3genE10ELNS1_11target_archE1200ELNS1_3gpuE4ELNS1_3repE0EEENS1_30default_config_static_selectorELNS0_4arch9wavefront6targetE1EEEvT1_, .Lfunc_end614-_ZN7rocprim17ROCPRIM_400000_NS6detail17trampoline_kernelINS0_14default_configENS1_25partition_config_selectorILNS1_17partition_subalgoE1EiNS0_10empty_typeEbEEZZNS1_14partition_implILS5_1ELb0ES3_jN6thrust23THRUST_200600_302600_NS6detail15normal_iteratorINSA_10device_ptrIiEEEEPS6_NSA_18transform_iteratorINSA_8identityIiEESF_NSA_11use_defaultESK_EENS0_5tupleIJSF_SF_EEENSM_IJSG_SG_EEES6_PlJS6_EEE10hipError_tPvRmT3_T4_T5_T6_T7_T9_mT8_P12ihipStream_tbDpT10_ENKUlT_T0_E_clISt17integral_constantIbLb0EES19_EEDaS14_S15_EUlS14_E_NS1_11comp_targetILNS1_3genE10ELNS1_11target_archE1200ELNS1_3gpuE4ELNS1_3repE0EEENS1_30default_config_static_selectorELNS0_4arch9wavefront6targetE1EEEvT1_
                                        ; -- End function
	.section	.AMDGPU.csdata,"",@progbits
; Kernel info:
; codeLenInByte = 0
; NumSgprs: 4
; NumVgprs: 0
; NumAgprs: 0
; TotalNumVgprs: 0
; ScratchSize: 0
; MemoryBound: 0
; FloatMode: 240
; IeeeMode: 1
; LDSByteSize: 0 bytes/workgroup (compile time only)
; SGPRBlocks: 0
; VGPRBlocks: 0
; NumSGPRsForWavesPerEU: 4
; NumVGPRsForWavesPerEU: 1
; AccumOffset: 4
; Occupancy: 8
; WaveLimiterHint : 0
; COMPUTE_PGM_RSRC2:SCRATCH_EN: 0
; COMPUTE_PGM_RSRC2:USER_SGPR: 6
; COMPUTE_PGM_RSRC2:TRAP_HANDLER: 0
; COMPUTE_PGM_RSRC2:TGID_X_EN: 1
; COMPUTE_PGM_RSRC2:TGID_Y_EN: 0
; COMPUTE_PGM_RSRC2:TGID_Z_EN: 0
; COMPUTE_PGM_RSRC2:TIDIG_COMP_CNT: 0
; COMPUTE_PGM_RSRC3_GFX90A:ACCUM_OFFSET: 0
; COMPUTE_PGM_RSRC3_GFX90A:TG_SPLIT: 0
	.section	.text._ZN7rocprim17ROCPRIM_400000_NS6detail17trampoline_kernelINS0_14default_configENS1_25partition_config_selectorILNS1_17partition_subalgoE1EiNS0_10empty_typeEbEEZZNS1_14partition_implILS5_1ELb0ES3_jN6thrust23THRUST_200600_302600_NS6detail15normal_iteratorINSA_10device_ptrIiEEEEPS6_NSA_18transform_iteratorINSA_8identityIiEESF_NSA_11use_defaultESK_EENS0_5tupleIJSF_SF_EEENSM_IJSG_SG_EEES6_PlJS6_EEE10hipError_tPvRmT3_T4_T5_T6_T7_T9_mT8_P12ihipStream_tbDpT10_ENKUlT_T0_E_clISt17integral_constantIbLb0EES19_EEDaS14_S15_EUlS14_E_NS1_11comp_targetILNS1_3genE9ELNS1_11target_archE1100ELNS1_3gpuE3ELNS1_3repE0EEENS1_30default_config_static_selectorELNS0_4arch9wavefront6targetE1EEEvT1_,"axG",@progbits,_ZN7rocprim17ROCPRIM_400000_NS6detail17trampoline_kernelINS0_14default_configENS1_25partition_config_selectorILNS1_17partition_subalgoE1EiNS0_10empty_typeEbEEZZNS1_14partition_implILS5_1ELb0ES3_jN6thrust23THRUST_200600_302600_NS6detail15normal_iteratorINSA_10device_ptrIiEEEEPS6_NSA_18transform_iteratorINSA_8identityIiEESF_NSA_11use_defaultESK_EENS0_5tupleIJSF_SF_EEENSM_IJSG_SG_EEES6_PlJS6_EEE10hipError_tPvRmT3_T4_T5_T6_T7_T9_mT8_P12ihipStream_tbDpT10_ENKUlT_T0_E_clISt17integral_constantIbLb0EES19_EEDaS14_S15_EUlS14_E_NS1_11comp_targetILNS1_3genE9ELNS1_11target_archE1100ELNS1_3gpuE3ELNS1_3repE0EEENS1_30default_config_static_selectorELNS0_4arch9wavefront6targetE1EEEvT1_,comdat
	.protected	_ZN7rocprim17ROCPRIM_400000_NS6detail17trampoline_kernelINS0_14default_configENS1_25partition_config_selectorILNS1_17partition_subalgoE1EiNS0_10empty_typeEbEEZZNS1_14partition_implILS5_1ELb0ES3_jN6thrust23THRUST_200600_302600_NS6detail15normal_iteratorINSA_10device_ptrIiEEEEPS6_NSA_18transform_iteratorINSA_8identityIiEESF_NSA_11use_defaultESK_EENS0_5tupleIJSF_SF_EEENSM_IJSG_SG_EEES6_PlJS6_EEE10hipError_tPvRmT3_T4_T5_T6_T7_T9_mT8_P12ihipStream_tbDpT10_ENKUlT_T0_E_clISt17integral_constantIbLb0EES19_EEDaS14_S15_EUlS14_E_NS1_11comp_targetILNS1_3genE9ELNS1_11target_archE1100ELNS1_3gpuE3ELNS1_3repE0EEENS1_30default_config_static_selectorELNS0_4arch9wavefront6targetE1EEEvT1_ ; -- Begin function _ZN7rocprim17ROCPRIM_400000_NS6detail17trampoline_kernelINS0_14default_configENS1_25partition_config_selectorILNS1_17partition_subalgoE1EiNS0_10empty_typeEbEEZZNS1_14partition_implILS5_1ELb0ES3_jN6thrust23THRUST_200600_302600_NS6detail15normal_iteratorINSA_10device_ptrIiEEEEPS6_NSA_18transform_iteratorINSA_8identityIiEESF_NSA_11use_defaultESK_EENS0_5tupleIJSF_SF_EEENSM_IJSG_SG_EEES6_PlJS6_EEE10hipError_tPvRmT3_T4_T5_T6_T7_T9_mT8_P12ihipStream_tbDpT10_ENKUlT_T0_E_clISt17integral_constantIbLb0EES19_EEDaS14_S15_EUlS14_E_NS1_11comp_targetILNS1_3genE9ELNS1_11target_archE1100ELNS1_3gpuE3ELNS1_3repE0EEENS1_30default_config_static_selectorELNS0_4arch9wavefront6targetE1EEEvT1_
	.globl	_ZN7rocprim17ROCPRIM_400000_NS6detail17trampoline_kernelINS0_14default_configENS1_25partition_config_selectorILNS1_17partition_subalgoE1EiNS0_10empty_typeEbEEZZNS1_14partition_implILS5_1ELb0ES3_jN6thrust23THRUST_200600_302600_NS6detail15normal_iteratorINSA_10device_ptrIiEEEEPS6_NSA_18transform_iteratorINSA_8identityIiEESF_NSA_11use_defaultESK_EENS0_5tupleIJSF_SF_EEENSM_IJSG_SG_EEES6_PlJS6_EEE10hipError_tPvRmT3_T4_T5_T6_T7_T9_mT8_P12ihipStream_tbDpT10_ENKUlT_T0_E_clISt17integral_constantIbLb0EES19_EEDaS14_S15_EUlS14_E_NS1_11comp_targetILNS1_3genE9ELNS1_11target_archE1100ELNS1_3gpuE3ELNS1_3repE0EEENS1_30default_config_static_selectorELNS0_4arch9wavefront6targetE1EEEvT1_
	.p2align	8
	.type	_ZN7rocprim17ROCPRIM_400000_NS6detail17trampoline_kernelINS0_14default_configENS1_25partition_config_selectorILNS1_17partition_subalgoE1EiNS0_10empty_typeEbEEZZNS1_14partition_implILS5_1ELb0ES3_jN6thrust23THRUST_200600_302600_NS6detail15normal_iteratorINSA_10device_ptrIiEEEEPS6_NSA_18transform_iteratorINSA_8identityIiEESF_NSA_11use_defaultESK_EENS0_5tupleIJSF_SF_EEENSM_IJSG_SG_EEES6_PlJS6_EEE10hipError_tPvRmT3_T4_T5_T6_T7_T9_mT8_P12ihipStream_tbDpT10_ENKUlT_T0_E_clISt17integral_constantIbLb0EES19_EEDaS14_S15_EUlS14_E_NS1_11comp_targetILNS1_3genE9ELNS1_11target_archE1100ELNS1_3gpuE3ELNS1_3repE0EEENS1_30default_config_static_selectorELNS0_4arch9wavefront6targetE1EEEvT1_,@function
_ZN7rocprim17ROCPRIM_400000_NS6detail17trampoline_kernelINS0_14default_configENS1_25partition_config_selectorILNS1_17partition_subalgoE1EiNS0_10empty_typeEbEEZZNS1_14partition_implILS5_1ELb0ES3_jN6thrust23THRUST_200600_302600_NS6detail15normal_iteratorINSA_10device_ptrIiEEEEPS6_NSA_18transform_iteratorINSA_8identityIiEESF_NSA_11use_defaultESK_EENS0_5tupleIJSF_SF_EEENSM_IJSG_SG_EEES6_PlJS6_EEE10hipError_tPvRmT3_T4_T5_T6_T7_T9_mT8_P12ihipStream_tbDpT10_ENKUlT_T0_E_clISt17integral_constantIbLb0EES19_EEDaS14_S15_EUlS14_E_NS1_11comp_targetILNS1_3genE9ELNS1_11target_archE1100ELNS1_3gpuE3ELNS1_3repE0EEENS1_30default_config_static_selectorELNS0_4arch9wavefront6targetE1EEEvT1_: ; @_ZN7rocprim17ROCPRIM_400000_NS6detail17trampoline_kernelINS0_14default_configENS1_25partition_config_selectorILNS1_17partition_subalgoE1EiNS0_10empty_typeEbEEZZNS1_14partition_implILS5_1ELb0ES3_jN6thrust23THRUST_200600_302600_NS6detail15normal_iteratorINSA_10device_ptrIiEEEEPS6_NSA_18transform_iteratorINSA_8identityIiEESF_NSA_11use_defaultESK_EENS0_5tupleIJSF_SF_EEENSM_IJSG_SG_EEES6_PlJS6_EEE10hipError_tPvRmT3_T4_T5_T6_T7_T9_mT8_P12ihipStream_tbDpT10_ENKUlT_T0_E_clISt17integral_constantIbLb0EES19_EEDaS14_S15_EUlS14_E_NS1_11comp_targetILNS1_3genE9ELNS1_11target_archE1100ELNS1_3gpuE3ELNS1_3repE0EEENS1_30default_config_static_selectorELNS0_4arch9wavefront6targetE1EEEvT1_
; %bb.0:
	.section	.rodata,"a",@progbits
	.p2align	6, 0x0
	.amdhsa_kernel _ZN7rocprim17ROCPRIM_400000_NS6detail17trampoline_kernelINS0_14default_configENS1_25partition_config_selectorILNS1_17partition_subalgoE1EiNS0_10empty_typeEbEEZZNS1_14partition_implILS5_1ELb0ES3_jN6thrust23THRUST_200600_302600_NS6detail15normal_iteratorINSA_10device_ptrIiEEEEPS6_NSA_18transform_iteratorINSA_8identityIiEESF_NSA_11use_defaultESK_EENS0_5tupleIJSF_SF_EEENSM_IJSG_SG_EEES6_PlJS6_EEE10hipError_tPvRmT3_T4_T5_T6_T7_T9_mT8_P12ihipStream_tbDpT10_ENKUlT_T0_E_clISt17integral_constantIbLb0EES19_EEDaS14_S15_EUlS14_E_NS1_11comp_targetILNS1_3genE9ELNS1_11target_archE1100ELNS1_3gpuE3ELNS1_3repE0EEENS1_30default_config_static_selectorELNS0_4arch9wavefront6targetE1EEEvT1_
		.amdhsa_group_segment_fixed_size 0
		.amdhsa_private_segment_fixed_size 0
		.amdhsa_kernarg_size 128
		.amdhsa_user_sgpr_count 6
		.amdhsa_user_sgpr_private_segment_buffer 1
		.amdhsa_user_sgpr_dispatch_ptr 0
		.amdhsa_user_sgpr_queue_ptr 0
		.amdhsa_user_sgpr_kernarg_segment_ptr 1
		.amdhsa_user_sgpr_dispatch_id 0
		.amdhsa_user_sgpr_flat_scratch_init 0
		.amdhsa_user_sgpr_kernarg_preload_length 0
		.amdhsa_user_sgpr_kernarg_preload_offset 0
		.amdhsa_user_sgpr_private_segment_size 0
		.amdhsa_uses_dynamic_stack 0
		.amdhsa_system_sgpr_private_segment_wavefront_offset 0
		.amdhsa_system_sgpr_workgroup_id_x 1
		.amdhsa_system_sgpr_workgroup_id_y 0
		.amdhsa_system_sgpr_workgroup_id_z 0
		.amdhsa_system_sgpr_workgroup_info 0
		.amdhsa_system_vgpr_workitem_id 0
		.amdhsa_next_free_vgpr 1
		.amdhsa_next_free_sgpr 0
		.amdhsa_accum_offset 4
		.amdhsa_reserve_vcc 0
		.amdhsa_reserve_flat_scratch 0
		.amdhsa_float_round_mode_32 0
		.amdhsa_float_round_mode_16_64 0
		.amdhsa_float_denorm_mode_32 3
		.amdhsa_float_denorm_mode_16_64 3
		.amdhsa_dx10_clamp 1
		.amdhsa_ieee_mode 1
		.amdhsa_fp16_overflow 0
		.amdhsa_tg_split 0
		.amdhsa_exception_fp_ieee_invalid_op 0
		.amdhsa_exception_fp_denorm_src 0
		.amdhsa_exception_fp_ieee_div_zero 0
		.amdhsa_exception_fp_ieee_overflow 0
		.amdhsa_exception_fp_ieee_underflow 0
		.amdhsa_exception_fp_ieee_inexact 0
		.amdhsa_exception_int_div_zero 0
	.end_amdhsa_kernel
	.section	.text._ZN7rocprim17ROCPRIM_400000_NS6detail17trampoline_kernelINS0_14default_configENS1_25partition_config_selectorILNS1_17partition_subalgoE1EiNS0_10empty_typeEbEEZZNS1_14partition_implILS5_1ELb0ES3_jN6thrust23THRUST_200600_302600_NS6detail15normal_iteratorINSA_10device_ptrIiEEEEPS6_NSA_18transform_iteratorINSA_8identityIiEESF_NSA_11use_defaultESK_EENS0_5tupleIJSF_SF_EEENSM_IJSG_SG_EEES6_PlJS6_EEE10hipError_tPvRmT3_T4_T5_T6_T7_T9_mT8_P12ihipStream_tbDpT10_ENKUlT_T0_E_clISt17integral_constantIbLb0EES19_EEDaS14_S15_EUlS14_E_NS1_11comp_targetILNS1_3genE9ELNS1_11target_archE1100ELNS1_3gpuE3ELNS1_3repE0EEENS1_30default_config_static_selectorELNS0_4arch9wavefront6targetE1EEEvT1_,"axG",@progbits,_ZN7rocprim17ROCPRIM_400000_NS6detail17trampoline_kernelINS0_14default_configENS1_25partition_config_selectorILNS1_17partition_subalgoE1EiNS0_10empty_typeEbEEZZNS1_14partition_implILS5_1ELb0ES3_jN6thrust23THRUST_200600_302600_NS6detail15normal_iteratorINSA_10device_ptrIiEEEEPS6_NSA_18transform_iteratorINSA_8identityIiEESF_NSA_11use_defaultESK_EENS0_5tupleIJSF_SF_EEENSM_IJSG_SG_EEES6_PlJS6_EEE10hipError_tPvRmT3_T4_T5_T6_T7_T9_mT8_P12ihipStream_tbDpT10_ENKUlT_T0_E_clISt17integral_constantIbLb0EES19_EEDaS14_S15_EUlS14_E_NS1_11comp_targetILNS1_3genE9ELNS1_11target_archE1100ELNS1_3gpuE3ELNS1_3repE0EEENS1_30default_config_static_selectorELNS0_4arch9wavefront6targetE1EEEvT1_,comdat
.Lfunc_end615:
	.size	_ZN7rocprim17ROCPRIM_400000_NS6detail17trampoline_kernelINS0_14default_configENS1_25partition_config_selectorILNS1_17partition_subalgoE1EiNS0_10empty_typeEbEEZZNS1_14partition_implILS5_1ELb0ES3_jN6thrust23THRUST_200600_302600_NS6detail15normal_iteratorINSA_10device_ptrIiEEEEPS6_NSA_18transform_iteratorINSA_8identityIiEESF_NSA_11use_defaultESK_EENS0_5tupleIJSF_SF_EEENSM_IJSG_SG_EEES6_PlJS6_EEE10hipError_tPvRmT3_T4_T5_T6_T7_T9_mT8_P12ihipStream_tbDpT10_ENKUlT_T0_E_clISt17integral_constantIbLb0EES19_EEDaS14_S15_EUlS14_E_NS1_11comp_targetILNS1_3genE9ELNS1_11target_archE1100ELNS1_3gpuE3ELNS1_3repE0EEENS1_30default_config_static_selectorELNS0_4arch9wavefront6targetE1EEEvT1_, .Lfunc_end615-_ZN7rocprim17ROCPRIM_400000_NS6detail17trampoline_kernelINS0_14default_configENS1_25partition_config_selectorILNS1_17partition_subalgoE1EiNS0_10empty_typeEbEEZZNS1_14partition_implILS5_1ELb0ES3_jN6thrust23THRUST_200600_302600_NS6detail15normal_iteratorINSA_10device_ptrIiEEEEPS6_NSA_18transform_iteratorINSA_8identityIiEESF_NSA_11use_defaultESK_EENS0_5tupleIJSF_SF_EEENSM_IJSG_SG_EEES6_PlJS6_EEE10hipError_tPvRmT3_T4_T5_T6_T7_T9_mT8_P12ihipStream_tbDpT10_ENKUlT_T0_E_clISt17integral_constantIbLb0EES19_EEDaS14_S15_EUlS14_E_NS1_11comp_targetILNS1_3genE9ELNS1_11target_archE1100ELNS1_3gpuE3ELNS1_3repE0EEENS1_30default_config_static_selectorELNS0_4arch9wavefront6targetE1EEEvT1_
                                        ; -- End function
	.section	.AMDGPU.csdata,"",@progbits
; Kernel info:
; codeLenInByte = 0
; NumSgprs: 4
; NumVgprs: 0
; NumAgprs: 0
; TotalNumVgprs: 0
; ScratchSize: 0
; MemoryBound: 0
; FloatMode: 240
; IeeeMode: 1
; LDSByteSize: 0 bytes/workgroup (compile time only)
; SGPRBlocks: 0
; VGPRBlocks: 0
; NumSGPRsForWavesPerEU: 4
; NumVGPRsForWavesPerEU: 1
; AccumOffset: 4
; Occupancy: 8
; WaveLimiterHint : 0
; COMPUTE_PGM_RSRC2:SCRATCH_EN: 0
; COMPUTE_PGM_RSRC2:USER_SGPR: 6
; COMPUTE_PGM_RSRC2:TRAP_HANDLER: 0
; COMPUTE_PGM_RSRC2:TGID_X_EN: 1
; COMPUTE_PGM_RSRC2:TGID_Y_EN: 0
; COMPUTE_PGM_RSRC2:TGID_Z_EN: 0
; COMPUTE_PGM_RSRC2:TIDIG_COMP_CNT: 0
; COMPUTE_PGM_RSRC3_GFX90A:ACCUM_OFFSET: 0
; COMPUTE_PGM_RSRC3_GFX90A:TG_SPLIT: 0
	.section	.text._ZN7rocprim17ROCPRIM_400000_NS6detail17trampoline_kernelINS0_14default_configENS1_25partition_config_selectorILNS1_17partition_subalgoE1EiNS0_10empty_typeEbEEZZNS1_14partition_implILS5_1ELb0ES3_jN6thrust23THRUST_200600_302600_NS6detail15normal_iteratorINSA_10device_ptrIiEEEEPS6_NSA_18transform_iteratorINSA_8identityIiEESF_NSA_11use_defaultESK_EENS0_5tupleIJSF_SF_EEENSM_IJSG_SG_EEES6_PlJS6_EEE10hipError_tPvRmT3_T4_T5_T6_T7_T9_mT8_P12ihipStream_tbDpT10_ENKUlT_T0_E_clISt17integral_constantIbLb0EES19_EEDaS14_S15_EUlS14_E_NS1_11comp_targetILNS1_3genE8ELNS1_11target_archE1030ELNS1_3gpuE2ELNS1_3repE0EEENS1_30default_config_static_selectorELNS0_4arch9wavefront6targetE1EEEvT1_,"axG",@progbits,_ZN7rocprim17ROCPRIM_400000_NS6detail17trampoline_kernelINS0_14default_configENS1_25partition_config_selectorILNS1_17partition_subalgoE1EiNS0_10empty_typeEbEEZZNS1_14partition_implILS5_1ELb0ES3_jN6thrust23THRUST_200600_302600_NS6detail15normal_iteratorINSA_10device_ptrIiEEEEPS6_NSA_18transform_iteratorINSA_8identityIiEESF_NSA_11use_defaultESK_EENS0_5tupleIJSF_SF_EEENSM_IJSG_SG_EEES6_PlJS6_EEE10hipError_tPvRmT3_T4_T5_T6_T7_T9_mT8_P12ihipStream_tbDpT10_ENKUlT_T0_E_clISt17integral_constantIbLb0EES19_EEDaS14_S15_EUlS14_E_NS1_11comp_targetILNS1_3genE8ELNS1_11target_archE1030ELNS1_3gpuE2ELNS1_3repE0EEENS1_30default_config_static_selectorELNS0_4arch9wavefront6targetE1EEEvT1_,comdat
	.protected	_ZN7rocprim17ROCPRIM_400000_NS6detail17trampoline_kernelINS0_14default_configENS1_25partition_config_selectorILNS1_17partition_subalgoE1EiNS0_10empty_typeEbEEZZNS1_14partition_implILS5_1ELb0ES3_jN6thrust23THRUST_200600_302600_NS6detail15normal_iteratorINSA_10device_ptrIiEEEEPS6_NSA_18transform_iteratorINSA_8identityIiEESF_NSA_11use_defaultESK_EENS0_5tupleIJSF_SF_EEENSM_IJSG_SG_EEES6_PlJS6_EEE10hipError_tPvRmT3_T4_T5_T6_T7_T9_mT8_P12ihipStream_tbDpT10_ENKUlT_T0_E_clISt17integral_constantIbLb0EES19_EEDaS14_S15_EUlS14_E_NS1_11comp_targetILNS1_3genE8ELNS1_11target_archE1030ELNS1_3gpuE2ELNS1_3repE0EEENS1_30default_config_static_selectorELNS0_4arch9wavefront6targetE1EEEvT1_ ; -- Begin function _ZN7rocprim17ROCPRIM_400000_NS6detail17trampoline_kernelINS0_14default_configENS1_25partition_config_selectorILNS1_17partition_subalgoE1EiNS0_10empty_typeEbEEZZNS1_14partition_implILS5_1ELb0ES3_jN6thrust23THRUST_200600_302600_NS6detail15normal_iteratorINSA_10device_ptrIiEEEEPS6_NSA_18transform_iteratorINSA_8identityIiEESF_NSA_11use_defaultESK_EENS0_5tupleIJSF_SF_EEENSM_IJSG_SG_EEES6_PlJS6_EEE10hipError_tPvRmT3_T4_T5_T6_T7_T9_mT8_P12ihipStream_tbDpT10_ENKUlT_T0_E_clISt17integral_constantIbLb0EES19_EEDaS14_S15_EUlS14_E_NS1_11comp_targetILNS1_3genE8ELNS1_11target_archE1030ELNS1_3gpuE2ELNS1_3repE0EEENS1_30default_config_static_selectorELNS0_4arch9wavefront6targetE1EEEvT1_
	.globl	_ZN7rocprim17ROCPRIM_400000_NS6detail17trampoline_kernelINS0_14default_configENS1_25partition_config_selectorILNS1_17partition_subalgoE1EiNS0_10empty_typeEbEEZZNS1_14partition_implILS5_1ELb0ES3_jN6thrust23THRUST_200600_302600_NS6detail15normal_iteratorINSA_10device_ptrIiEEEEPS6_NSA_18transform_iteratorINSA_8identityIiEESF_NSA_11use_defaultESK_EENS0_5tupleIJSF_SF_EEENSM_IJSG_SG_EEES6_PlJS6_EEE10hipError_tPvRmT3_T4_T5_T6_T7_T9_mT8_P12ihipStream_tbDpT10_ENKUlT_T0_E_clISt17integral_constantIbLb0EES19_EEDaS14_S15_EUlS14_E_NS1_11comp_targetILNS1_3genE8ELNS1_11target_archE1030ELNS1_3gpuE2ELNS1_3repE0EEENS1_30default_config_static_selectorELNS0_4arch9wavefront6targetE1EEEvT1_
	.p2align	8
	.type	_ZN7rocprim17ROCPRIM_400000_NS6detail17trampoline_kernelINS0_14default_configENS1_25partition_config_selectorILNS1_17partition_subalgoE1EiNS0_10empty_typeEbEEZZNS1_14partition_implILS5_1ELb0ES3_jN6thrust23THRUST_200600_302600_NS6detail15normal_iteratorINSA_10device_ptrIiEEEEPS6_NSA_18transform_iteratorINSA_8identityIiEESF_NSA_11use_defaultESK_EENS0_5tupleIJSF_SF_EEENSM_IJSG_SG_EEES6_PlJS6_EEE10hipError_tPvRmT3_T4_T5_T6_T7_T9_mT8_P12ihipStream_tbDpT10_ENKUlT_T0_E_clISt17integral_constantIbLb0EES19_EEDaS14_S15_EUlS14_E_NS1_11comp_targetILNS1_3genE8ELNS1_11target_archE1030ELNS1_3gpuE2ELNS1_3repE0EEENS1_30default_config_static_selectorELNS0_4arch9wavefront6targetE1EEEvT1_,@function
_ZN7rocprim17ROCPRIM_400000_NS6detail17trampoline_kernelINS0_14default_configENS1_25partition_config_selectorILNS1_17partition_subalgoE1EiNS0_10empty_typeEbEEZZNS1_14partition_implILS5_1ELb0ES3_jN6thrust23THRUST_200600_302600_NS6detail15normal_iteratorINSA_10device_ptrIiEEEEPS6_NSA_18transform_iteratorINSA_8identityIiEESF_NSA_11use_defaultESK_EENS0_5tupleIJSF_SF_EEENSM_IJSG_SG_EEES6_PlJS6_EEE10hipError_tPvRmT3_T4_T5_T6_T7_T9_mT8_P12ihipStream_tbDpT10_ENKUlT_T0_E_clISt17integral_constantIbLb0EES19_EEDaS14_S15_EUlS14_E_NS1_11comp_targetILNS1_3genE8ELNS1_11target_archE1030ELNS1_3gpuE2ELNS1_3repE0EEENS1_30default_config_static_selectorELNS0_4arch9wavefront6targetE1EEEvT1_: ; @_ZN7rocprim17ROCPRIM_400000_NS6detail17trampoline_kernelINS0_14default_configENS1_25partition_config_selectorILNS1_17partition_subalgoE1EiNS0_10empty_typeEbEEZZNS1_14partition_implILS5_1ELb0ES3_jN6thrust23THRUST_200600_302600_NS6detail15normal_iteratorINSA_10device_ptrIiEEEEPS6_NSA_18transform_iteratorINSA_8identityIiEESF_NSA_11use_defaultESK_EENS0_5tupleIJSF_SF_EEENSM_IJSG_SG_EEES6_PlJS6_EEE10hipError_tPvRmT3_T4_T5_T6_T7_T9_mT8_P12ihipStream_tbDpT10_ENKUlT_T0_E_clISt17integral_constantIbLb0EES19_EEDaS14_S15_EUlS14_E_NS1_11comp_targetILNS1_3genE8ELNS1_11target_archE1030ELNS1_3gpuE2ELNS1_3repE0EEENS1_30default_config_static_selectorELNS0_4arch9wavefront6targetE1EEEvT1_
; %bb.0:
	.section	.rodata,"a",@progbits
	.p2align	6, 0x0
	.amdhsa_kernel _ZN7rocprim17ROCPRIM_400000_NS6detail17trampoline_kernelINS0_14default_configENS1_25partition_config_selectorILNS1_17partition_subalgoE1EiNS0_10empty_typeEbEEZZNS1_14partition_implILS5_1ELb0ES3_jN6thrust23THRUST_200600_302600_NS6detail15normal_iteratorINSA_10device_ptrIiEEEEPS6_NSA_18transform_iteratorINSA_8identityIiEESF_NSA_11use_defaultESK_EENS0_5tupleIJSF_SF_EEENSM_IJSG_SG_EEES6_PlJS6_EEE10hipError_tPvRmT3_T4_T5_T6_T7_T9_mT8_P12ihipStream_tbDpT10_ENKUlT_T0_E_clISt17integral_constantIbLb0EES19_EEDaS14_S15_EUlS14_E_NS1_11comp_targetILNS1_3genE8ELNS1_11target_archE1030ELNS1_3gpuE2ELNS1_3repE0EEENS1_30default_config_static_selectorELNS0_4arch9wavefront6targetE1EEEvT1_
		.amdhsa_group_segment_fixed_size 0
		.amdhsa_private_segment_fixed_size 0
		.amdhsa_kernarg_size 128
		.amdhsa_user_sgpr_count 6
		.amdhsa_user_sgpr_private_segment_buffer 1
		.amdhsa_user_sgpr_dispatch_ptr 0
		.amdhsa_user_sgpr_queue_ptr 0
		.amdhsa_user_sgpr_kernarg_segment_ptr 1
		.amdhsa_user_sgpr_dispatch_id 0
		.amdhsa_user_sgpr_flat_scratch_init 0
		.amdhsa_user_sgpr_kernarg_preload_length 0
		.amdhsa_user_sgpr_kernarg_preload_offset 0
		.amdhsa_user_sgpr_private_segment_size 0
		.amdhsa_uses_dynamic_stack 0
		.amdhsa_system_sgpr_private_segment_wavefront_offset 0
		.amdhsa_system_sgpr_workgroup_id_x 1
		.amdhsa_system_sgpr_workgroup_id_y 0
		.amdhsa_system_sgpr_workgroup_id_z 0
		.amdhsa_system_sgpr_workgroup_info 0
		.amdhsa_system_vgpr_workitem_id 0
		.amdhsa_next_free_vgpr 1
		.amdhsa_next_free_sgpr 0
		.amdhsa_accum_offset 4
		.amdhsa_reserve_vcc 0
		.amdhsa_reserve_flat_scratch 0
		.amdhsa_float_round_mode_32 0
		.amdhsa_float_round_mode_16_64 0
		.amdhsa_float_denorm_mode_32 3
		.amdhsa_float_denorm_mode_16_64 3
		.amdhsa_dx10_clamp 1
		.amdhsa_ieee_mode 1
		.amdhsa_fp16_overflow 0
		.amdhsa_tg_split 0
		.amdhsa_exception_fp_ieee_invalid_op 0
		.amdhsa_exception_fp_denorm_src 0
		.amdhsa_exception_fp_ieee_div_zero 0
		.amdhsa_exception_fp_ieee_overflow 0
		.amdhsa_exception_fp_ieee_underflow 0
		.amdhsa_exception_fp_ieee_inexact 0
		.amdhsa_exception_int_div_zero 0
	.end_amdhsa_kernel
	.section	.text._ZN7rocprim17ROCPRIM_400000_NS6detail17trampoline_kernelINS0_14default_configENS1_25partition_config_selectorILNS1_17partition_subalgoE1EiNS0_10empty_typeEbEEZZNS1_14partition_implILS5_1ELb0ES3_jN6thrust23THRUST_200600_302600_NS6detail15normal_iteratorINSA_10device_ptrIiEEEEPS6_NSA_18transform_iteratorINSA_8identityIiEESF_NSA_11use_defaultESK_EENS0_5tupleIJSF_SF_EEENSM_IJSG_SG_EEES6_PlJS6_EEE10hipError_tPvRmT3_T4_T5_T6_T7_T9_mT8_P12ihipStream_tbDpT10_ENKUlT_T0_E_clISt17integral_constantIbLb0EES19_EEDaS14_S15_EUlS14_E_NS1_11comp_targetILNS1_3genE8ELNS1_11target_archE1030ELNS1_3gpuE2ELNS1_3repE0EEENS1_30default_config_static_selectorELNS0_4arch9wavefront6targetE1EEEvT1_,"axG",@progbits,_ZN7rocprim17ROCPRIM_400000_NS6detail17trampoline_kernelINS0_14default_configENS1_25partition_config_selectorILNS1_17partition_subalgoE1EiNS0_10empty_typeEbEEZZNS1_14partition_implILS5_1ELb0ES3_jN6thrust23THRUST_200600_302600_NS6detail15normal_iteratorINSA_10device_ptrIiEEEEPS6_NSA_18transform_iteratorINSA_8identityIiEESF_NSA_11use_defaultESK_EENS0_5tupleIJSF_SF_EEENSM_IJSG_SG_EEES6_PlJS6_EEE10hipError_tPvRmT3_T4_T5_T6_T7_T9_mT8_P12ihipStream_tbDpT10_ENKUlT_T0_E_clISt17integral_constantIbLb0EES19_EEDaS14_S15_EUlS14_E_NS1_11comp_targetILNS1_3genE8ELNS1_11target_archE1030ELNS1_3gpuE2ELNS1_3repE0EEENS1_30default_config_static_selectorELNS0_4arch9wavefront6targetE1EEEvT1_,comdat
.Lfunc_end616:
	.size	_ZN7rocprim17ROCPRIM_400000_NS6detail17trampoline_kernelINS0_14default_configENS1_25partition_config_selectorILNS1_17partition_subalgoE1EiNS0_10empty_typeEbEEZZNS1_14partition_implILS5_1ELb0ES3_jN6thrust23THRUST_200600_302600_NS6detail15normal_iteratorINSA_10device_ptrIiEEEEPS6_NSA_18transform_iteratorINSA_8identityIiEESF_NSA_11use_defaultESK_EENS0_5tupleIJSF_SF_EEENSM_IJSG_SG_EEES6_PlJS6_EEE10hipError_tPvRmT3_T4_T5_T6_T7_T9_mT8_P12ihipStream_tbDpT10_ENKUlT_T0_E_clISt17integral_constantIbLb0EES19_EEDaS14_S15_EUlS14_E_NS1_11comp_targetILNS1_3genE8ELNS1_11target_archE1030ELNS1_3gpuE2ELNS1_3repE0EEENS1_30default_config_static_selectorELNS0_4arch9wavefront6targetE1EEEvT1_, .Lfunc_end616-_ZN7rocprim17ROCPRIM_400000_NS6detail17trampoline_kernelINS0_14default_configENS1_25partition_config_selectorILNS1_17partition_subalgoE1EiNS0_10empty_typeEbEEZZNS1_14partition_implILS5_1ELb0ES3_jN6thrust23THRUST_200600_302600_NS6detail15normal_iteratorINSA_10device_ptrIiEEEEPS6_NSA_18transform_iteratorINSA_8identityIiEESF_NSA_11use_defaultESK_EENS0_5tupleIJSF_SF_EEENSM_IJSG_SG_EEES6_PlJS6_EEE10hipError_tPvRmT3_T4_T5_T6_T7_T9_mT8_P12ihipStream_tbDpT10_ENKUlT_T0_E_clISt17integral_constantIbLb0EES19_EEDaS14_S15_EUlS14_E_NS1_11comp_targetILNS1_3genE8ELNS1_11target_archE1030ELNS1_3gpuE2ELNS1_3repE0EEENS1_30default_config_static_selectorELNS0_4arch9wavefront6targetE1EEEvT1_
                                        ; -- End function
	.section	.AMDGPU.csdata,"",@progbits
; Kernel info:
; codeLenInByte = 0
; NumSgprs: 4
; NumVgprs: 0
; NumAgprs: 0
; TotalNumVgprs: 0
; ScratchSize: 0
; MemoryBound: 0
; FloatMode: 240
; IeeeMode: 1
; LDSByteSize: 0 bytes/workgroup (compile time only)
; SGPRBlocks: 0
; VGPRBlocks: 0
; NumSGPRsForWavesPerEU: 4
; NumVGPRsForWavesPerEU: 1
; AccumOffset: 4
; Occupancy: 8
; WaveLimiterHint : 0
; COMPUTE_PGM_RSRC2:SCRATCH_EN: 0
; COMPUTE_PGM_RSRC2:USER_SGPR: 6
; COMPUTE_PGM_RSRC2:TRAP_HANDLER: 0
; COMPUTE_PGM_RSRC2:TGID_X_EN: 1
; COMPUTE_PGM_RSRC2:TGID_Y_EN: 0
; COMPUTE_PGM_RSRC2:TGID_Z_EN: 0
; COMPUTE_PGM_RSRC2:TIDIG_COMP_CNT: 0
; COMPUTE_PGM_RSRC3_GFX90A:ACCUM_OFFSET: 0
; COMPUTE_PGM_RSRC3_GFX90A:TG_SPLIT: 0
	.section	.text._ZN7rocprim17ROCPRIM_400000_NS6detail17trampoline_kernelINS0_14default_configENS1_25partition_config_selectorILNS1_17partition_subalgoE1EiNS0_10empty_typeEbEEZZNS1_14partition_implILS5_1ELb0ES3_jN6thrust23THRUST_200600_302600_NS6detail15normal_iteratorINSA_10device_ptrIiEEEEPS6_NSA_18transform_iteratorINSA_8identityIiEESF_NSA_11use_defaultESK_EENS0_5tupleIJSF_SF_EEENSM_IJSG_SG_EEES6_PlJS6_EEE10hipError_tPvRmT3_T4_T5_T6_T7_T9_mT8_P12ihipStream_tbDpT10_ENKUlT_T0_E_clISt17integral_constantIbLb1EES19_EEDaS14_S15_EUlS14_E_NS1_11comp_targetILNS1_3genE0ELNS1_11target_archE4294967295ELNS1_3gpuE0ELNS1_3repE0EEENS1_30default_config_static_selectorELNS0_4arch9wavefront6targetE1EEEvT1_,"axG",@progbits,_ZN7rocprim17ROCPRIM_400000_NS6detail17trampoline_kernelINS0_14default_configENS1_25partition_config_selectorILNS1_17partition_subalgoE1EiNS0_10empty_typeEbEEZZNS1_14partition_implILS5_1ELb0ES3_jN6thrust23THRUST_200600_302600_NS6detail15normal_iteratorINSA_10device_ptrIiEEEEPS6_NSA_18transform_iteratorINSA_8identityIiEESF_NSA_11use_defaultESK_EENS0_5tupleIJSF_SF_EEENSM_IJSG_SG_EEES6_PlJS6_EEE10hipError_tPvRmT3_T4_T5_T6_T7_T9_mT8_P12ihipStream_tbDpT10_ENKUlT_T0_E_clISt17integral_constantIbLb1EES19_EEDaS14_S15_EUlS14_E_NS1_11comp_targetILNS1_3genE0ELNS1_11target_archE4294967295ELNS1_3gpuE0ELNS1_3repE0EEENS1_30default_config_static_selectorELNS0_4arch9wavefront6targetE1EEEvT1_,comdat
	.protected	_ZN7rocprim17ROCPRIM_400000_NS6detail17trampoline_kernelINS0_14default_configENS1_25partition_config_selectorILNS1_17partition_subalgoE1EiNS0_10empty_typeEbEEZZNS1_14partition_implILS5_1ELb0ES3_jN6thrust23THRUST_200600_302600_NS6detail15normal_iteratorINSA_10device_ptrIiEEEEPS6_NSA_18transform_iteratorINSA_8identityIiEESF_NSA_11use_defaultESK_EENS0_5tupleIJSF_SF_EEENSM_IJSG_SG_EEES6_PlJS6_EEE10hipError_tPvRmT3_T4_T5_T6_T7_T9_mT8_P12ihipStream_tbDpT10_ENKUlT_T0_E_clISt17integral_constantIbLb1EES19_EEDaS14_S15_EUlS14_E_NS1_11comp_targetILNS1_3genE0ELNS1_11target_archE4294967295ELNS1_3gpuE0ELNS1_3repE0EEENS1_30default_config_static_selectorELNS0_4arch9wavefront6targetE1EEEvT1_ ; -- Begin function _ZN7rocprim17ROCPRIM_400000_NS6detail17trampoline_kernelINS0_14default_configENS1_25partition_config_selectorILNS1_17partition_subalgoE1EiNS0_10empty_typeEbEEZZNS1_14partition_implILS5_1ELb0ES3_jN6thrust23THRUST_200600_302600_NS6detail15normal_iteratorINSA_10device_ptrIiEEEEPS6_NSA_18transform_iteratorINSA_8identityIiEESF_NSA_11use_defaultESK_EENS0_5tupleIJSF_SF_EEENSM_IJSG_SG_EEES6_PlJS6_EEE10hipError_tPvRmT3_T4_T5_T6_T7_T9_mT8_P12ihipStream_tbDpT10_ENKUlT_T0_E_clISt17integral_constantIbLb1EES19_EEDaS14_S15_EUlS14_E_NS1_11comp_targetILNS1_3genE0ELNS1_11target_archE4294967295ELNS1_3gpuE0ELNS1_3repE0EEENS1_30default_config_static_selectorELNS0_4arch9wavefront6targetE1EEEvT1_
	.globl	_ZN7rocprim17ROCPRIM_400000_NS6detail17trampoline_kernelINS0_14default_configENS1_25partition_config_selectorILNS1_17partition_subalgoE1EiNS0_10empty_typeEbEEZZNS1_14partition_implILS5_1ELb0ES3_jN6thrust23THRUST_200600_302600_NS6detail15normal_iteratorINSA_10device_ptrIiEEEEPS6_NSA_18transform_iteratorINSA_8identityIiEESF_NSA_11use_defaultESK_EENS0_5tupleIJSF_SF_EEENSM_IJSG_SG_EEES6_PlJS6_EEE10hipError_tPvRmT3_T4_T5_T6_T7_T9_mT8_P12ihipStream_tbDpT10_ENKUlT_T0_E_clISt17integral_constantIbLb1EES19_EEDaS14_S15_EUlS14_E_NS1_11comp_targetILNS1_3genE0ELNS1_11target_archE4294967295ELNS1_3gpuE0ELNS1_3repE0EEENS1_30default_config_static_selectorELNS0_4arch9wavefront6targetE1EEEvT1_
	.p2align	8
	.type	_ZN7rocprim17ROCPRIM_400000_NS6detail17trampoline_kernelINS0_14default_configENS1_25partition_config_selectorILNS1_17partition_subalgoE1EiNS0_10empty_typeEbEEZZNS1_14partition_implILS5_1ELb0ES3_jN6thrust23THRUST_200600_302600_NS6detail15normal_iteratorINSA_10device_ptrIiEEEEPS6_NSA_18transform_iteratorINSA_8identityIiEESF_NSA_11use_defaultESK_EENS0_5tupleIJSF_SF_EEENSM_IJSG_SG_EEES6_PlJS6_EEE10hipError_tPvRmT3_T4_T5_T6_T7_T9_mT8_P12ihipStream_tbDpT10_ENKUlT_T0_E_clISt17integral_constantIbLb1EES19_EEDaS14_S15_EUlS14_E_NS1_11comp_targetILNS1_3genE0ELNS1_11target_archE4294967295ELNS1_3gpuE0ELNS1_3repE0EEENS1_30default_config_static_selectorELNS0_4arch9wavefront6targetE1EEEvT1_,@function
_ZN7rocprim17ROCPRIM_400000_NS6detail17trampoline_kernelINS0_14default_configENS1_25partition_config_selectorILNS1_17partition_subalgoE1EiNS0_10empty_typeEbEEZZNS1_14partition_implILS5_1ELb0ES3_jN6thrust23THRUST_200600_302600_NS6detail15normal_iteratorINSA_10device_ptrIiEEEEPS6_NSA_18transform_iteratorINSA_8identityIiEESF_NSA_11use_defaultESK_EENS0_5tupleIJSF_SF_EEENSM_IJSG_SG_EEES6_PlJS6_EEE10hipError_tPvRmT3_T4_T5_T6_T7_T9_mT8_P12ihipStream_tbDpT10_ENKUlT_T0_E_clISt17integral_constantIbLb1EES19_EEDaS14_S15_EUlS14_E_NS1_11comp_targetILNS1_3genE0ELNS1_11target_archE4294967295ELNS1_3gpuE0ELNS1_3repE0EEENS1_30default_config_static_selectorELNS0_4arch9wavefront6targetE1EEEvT1_: ; @_ZN7rocprim17ROCPRIM_400000_NS6detail17trampoline_kernelINS0_14default_configENS1_25partition_config_selectorILNS1_17partition_subalgoE1EiNS0_10empty_typeEbEEZZNS1_14partition_implILS5_1ELb0ES3_jN6thrust23THRUST_200600_302600_NS6detail15normal_iteratorINSA_10device_ptrIiEEEEPS6_NSA_18transform_iteratorINSA_8identityIiEESF_NSA_11use_defaultESK_EENS0_5tupleIJSF_SF_EEENSM_IJSG_SG_EEES6_PlJS6_EEE10hipError_tPvRmT3_T4_T5_T6_T7_T9_mT8_P12ihipStream_tbDpT10_ENKUlT_T0_E_clISt17integral_constantIbLb1EES19_EEDaS14_S15_EUlS14_E_NS1_11comp_targetILNS1_3genE0ELNS1_11target_archE4294967295ELNS1_3gpuE0ELNS1_3repE0EEENS1_30default_config_static_selectorELNS0_4arch9wavefront6targetE1EEEvT1_
; %bb.0:
	.section	.rodata,"a",@progbits
	.p2align	6, 0x0
	.amdhsa_kernel _ZN7rocprim17ROCPRIM_400000_NS6detail17trampoline_kernelINS0_14default_configENS1_25partition_config_selectorILNS1_17partition_subalgoE1EiNS0_10empty_typeEbEEZZNS1_14partition_implILS5_1ELb0ES3_jN6thrust23THRUST_200600_302600_NS6detail15normal_iteratorINSA_10device_ptrIiEEEEPS6_NSA_18transform_iteratorINSA_8identityIiEESF_NSA_11use_defaultESK_EENS0_5tupleIJSF_SF_EEENSM_IJSG_SG_EEES6_PlJS6_EEE10hipError_tPvRmT3_T4_T5_T6_T7_T9_mT8_P12ihipStream_tbDpT10_ENKUlT_T0_E_clISt17integral_constantIbLb1EES19_EEDaS14_S15_EUlS14_E_NS1_11comp_targetILNS1_3genE0ELNS1_11target_archE4294967295ELNS1_3gpuE0ELNS1_3repE0EEENS1_30default_config_static_selectorELNS0_4arch9wavefront6targetE1EEEvT1_
		.amdhsa_group_segment_fixed_size 0
		.amdhsa_private_segment_fixed_size 0
		.amdhsa_kernarg_size 144
		.amdhsa_user_sgpr_count 6
		.amdhsa_user_sgpr_private_segment_buffer 1
		.amdhsa_user_sgpr_dispatch_ptr 0
		.amdhsa_user_sgpr_queue_ptr 0
		.amdhsa_user_sgpr_kernarg_segment_ptr 1
		.amdhsa_user_sgpr_dispatch_id 0
		.amdhsa_user_sgpr_flat_scratch_init 0
		.amdhsa_user_sgpr_kernarg_preload_length 0
		.amdhsa_user_sgpr_kernarg_preload_offset 0
		.amdhsa_user_sgpr_private_segment_size 0
		.amdhsa_uses_dynamic_stack 0
		.amdhsa_system_sgpr_private_segment_wavefront_offset 0
		.amdhsa_system_sgpr_workgroup_id_x 1
		.amdhsa_system_sgpr_workgroup_id_y 0
		.amdhsa_system_sgpr_workgroup_id_z 0
		.amdhsa_system_sgpr_workgroup_info 0
		.amdhsa_system_vgpr_workitem_id 0
		.amdhsa_next_free_vgpr 1
		.amdhsa_next_free_sgpr 0
		.amdhsa_accum_offset 4
		.amdhsa_reserve_vcc 0
		.amdhsa_reserve_flat_scratch 0
		.amdhsa_float_round_mode_32 0
		.amdhsa_float_round_mode_16_64 0
		.amdhsa_float_denorm_mode_32 3
		.amdhsa_float_denorm_mode_16_64 3
		.amdhsa_dx10_clamp 1
		.amdhsa_ieee_mode 1
		.amdhsa_fp16_overflow 0
		.amdhsa_tg_split 0
		.amdhsa_exception_fp_ieee_invalid_op 0
		.amdhsa_exception_fp_denorm_src 0
		.amdhsa_exception_fp_ieee_div_zero 0
		.amdhsa_exception_fp_ieee_overflow 0
		.amdhsa_exception_fp_ieee_underflow 0
		.amdhsa_exception_fp_ieee_inexact 0
		.amdhsa_exception_int_div_zero 0
	.end_amdhsa_kernel
	.section	.text._ZN7rocprim17ROCPRIM_400000_NS6detail17trampoline_kernelINS0_14default_configENS1_25partition_config_selectorILNS1_17partition_subalgoE1EiNS0_10empty_typeEbEEZZNS1_14partition_implILS5_1ELb0ES3_jN6thrust23THRUST_200600_302600_NS6detail15normal_iteratorINSA_10device_ptrIiEEEEPS6_NSA_18transform_iteratorINSA_8identityIiEESF_NSA_11use_defaultESK_EENS0_5tupleIJSF_SF_EEENSM_IJSG_SG_EEES6_PlJS6_EEE10hipError_tPvRmT3_T4_T5_T6_T7_T9_mT8_P12ihipStream_tbDpT10_ENKUlT_T0_E_clISt17integral_constantIbLb1EES19_EEDaS14_S15_EUlS14_E_NS1_11comp_targetILNS1_3genE0ELNS1_11target_archE4294967295ELNS1_3gpuE0ELNS1_3repE0EEENS1_30default_config_static_selectorELNS0_4arch9wavefront6targetE1EEEvT1_,"axG",@progbits,_ZN7rocprim17ROCPRIM_400000_NS6detail17trampoline_kernelINS0_14default_configENS1_25partition_config_selectorILNS1_17partition_subalgoE1EiNS0_10empty_typeEbEEZZNS1_14partition_implILS5_1ELb0ES3_jN6thrust23THRUST_200600_302600_NS6detail15normal_iteratorINSA_10device_ptrIiEEEEPS6_NSA_18transform_iteratorINSA_8identityIiEESF_NSA_11use_defaultESK_EENS0_5tupleIJSF_SF_EEENSM_IJSG_SG_EEES6_PlJS6_EEE10hipError_tPvRmT3_T4_T5_T6_T7_T9_mT8_P12ihipStream_tbDpT10_ENKUlT_T0_E_clISt17integral_constantIbLb1EES19_EEDaS14_S15_EUlS14_E_NS1_11comp_targetILNS1_3genE0ELNS1_11target_archE4294967295ELNS1_3gpuE0ELNS1_3repE0EEENS1_30default_config_static_selectorELNS0_4arch9wavefront6targetE1EEEvT1_,comdat
.Lfunc_end617:
	.size	_ZN7rocprim17ROCPRIM_400000_NS6detail17trampoline_kernelINS0_14default_configENS1_25partition_config_selectorILNS1_17partition_subalgoE1EiNS0_10empty_typeEbEEZZNS1_14partition_implILS5_1ELb0ES3_jN6thrust23THRUST_200600_302600_NS6detail15normal_iteratorINSA_10device_ptrIiEEEEPS6_NSA_18transform_iteratorINSA_8identityIiEESF_NSA_11use_defaultESK_EENS0_5tupleIJSF_SF_EEENSM_IJSG_SG_EEES6_PlJS6_EEE10hipError_tPvRmT3_T4_T5_T6_T7_T9_mT8_P12ihipStream_tbDpT10_ENKUlT_T0_E_clISt17integral_constantIbLb1EES19_EEDaS14_S15_EUlS14_E_NS1_11comp_targetILNS1_3genE0ELNS1_11target_archE4294967295ELNS1_3gpuE0ELNS1_3repE0EEENS1_30default_config_static_selectorELNS0_4arch9wavefront6targetE1EEEvT1_, .Lfunc_end617-_ZN7rocprim17ROCPRIM_400000_NS6detail17trampoline_kernelINS0_14default_configENS1_25partition_config_selectorILNS1_17partition_subalgoE1EiNS0_10empty_typeEbEEZZNS1_14partition_implILS5_1ELb0ES3_jN6thrust23THRUST_200600_302600_NS6detail15normal_iteratorINSA_10device_ptrIiEEEEPS6_NSA_18transform_iteratorINSA_8identityIiEESF_NSA_11use_defaultESK_EENS0_5tupleIJSF_SF_EEENSM_IJSG_SG_EEES6_PlJS6_EEE10hipError_tPvRmT3_T4_T5_T6_T7_T9_mT8_P12ihipStream_tbDpT10_ENKUlT_T0_E_clISt17integral_constantIbLb1EES19_EEDaS14_S15_EUlS14_E_NS1_11comp_targetILNS1_3genE0ELNS1_11target_archE4294967295ELNS1_3gpuE0ELNS1_3repE0EEENS1_30default_config_static_selectorELNS0_4arch9wavefront6targetE1EEEvT1_
                                        ; -- End function
	.section	.AMDGPU.csdata,"",@progbits
; Kernel info:
; codeLenInByte = 0
; NumSgprs: 4
; NumVgprs: 0
; NumAgprs: 0
; TotalNumVgprs: 0
; ScratchSize: 0
; MemoryBound: 0
; FloatMode: 240
; IeeeMode: 1
; LDSByteSize: 0 bytes/workgroup (compile time only)
; SGPRBlocks: 0
; VGPRBlocks: 0
; NumSGPRsForWavesPerEU: 4
; NumVGPRsForWavesPerEU: 1
; AccumOffset: 4
; Occupancy: 8
; WaveLimiterHint : 0
; COMPUTE_PGM_RSRC2:SCRATCH_EN: 0
; COMPUTE_PGM_RSRC2:USER_SGPR: 6
; COMPUTE_PGM_RSRC2:TRAP_HANDLER: 0
; COMPUTE_PGM_RSRC2:TGID_X_EN: 1
; COMPUTE_PGM_RSRC2:TGID_Y_EN: 0
; COMPUTE_PGM_RSRC2:TGID_Z_EN: 0
; COMPUTE_PGM_RSRC2:TIDIG_COMP_CNT: 0
; COMPUTE_PGM_RSRC3_GFX90A:ACCUM_OFFSET: 0
; COMPUTE_PGM_RSRC3_GFX90A:TG_SPLIT: 0
	.section	.text._ZN7rocprim17ROCPRIM_400000_NS6detail17trampoline_kernelINS0_14default_configENS1_25partition_config_selectorILNS1_17partition_subalgoE1EiNS0_10empty_typeEbEEZZNS1_14partition_implILS5_1ELb0ES3_jN6thrust23THRUST_200600_302600_NS6detail15normal_iteratorINSA_10device_ptrIiEEEEPS6_NSA_18transform_iteratorINSA_8identityIiEESF_NSA_11use_defaultESK_EENS0_5tupleIJSF_SF_EEENSM_IJSG_SG_EEES6_PlJS6_EEE10hipError_tPvRmT3_T4_T5_T6_T7_T9_mT8_P12ihipStream_tbDpT10_ENKUlT_T0_E_clISt17integral_constantIbLb1EES19_EEDaS14_S15_EUlS14_E_NS1_11comp_targetILNS1_3genE5ELNS1_11target_archE942ELNS1_3gpuE9ELNS1_3repE0EEENS1_30default_config_static_selectorELNS0_4arch9wavefront6targetE1EEEvT1_,"axG",@progbits,_ZN7rocprim17ROCPRIM_400000_NS6detail17trampoline_kernelINS0_14default_configENS1_25partition_config_selectorILNS1_17partition_subalgoE1EiNS0_10empty_typeEbEEZZNS1_14partition_implILS5_1ELb0ES3_jN6thrust23THRUST_200600_302600_NS6detail15normal_iteratorINSA_10device_ptrIiEEEEPS6_NSA_18transform_iteratorINSA_8identityIiEESF_NSA_11use_defaultESK_EENS0_5tupleIJSF_SF_EEENSM_IJSG_SG_EEES6_PlJS6_EEE10hipError_tPvRmT3_T4_T5_T6_T7_T9_mT8_P12ihipStream_tbDpT10_ENKUlT_T0_E_clISt17integral_constantIbLb1EES19_EEDaS14_S15_EUlS14_E_NS1_11comp_targetILNS1_3genE5ELNS1_11target_archE942ELNS1_3gpuE9ELNS1_3repE0EEENS1_30default_config_static_selectorELNS0_4arch9wavefront6targetE1EEEvT1_,comdat
	.protected	_ZN7rocprim17ROCPRIM_400000_NS6detail17trampoline_kernelINS0_14default_configENS1_25partition_config_selectorILNS1_17partition_subalgoE1EiNS0_10empty_typeEbEEZZNS1_14partition_implILS5_1ELb0ES3_jN6thrust23THRUST_200600_302600_NS6detail15normal_iteratorINSA_10device_ptrIiEEEEPS6_NSA_18transform_iteratorINSA_8identityIiEESF_NSA_11use_defaultESK_EENS0_5tupleIJSF_SF_EEENSM_IJSG_SG_EEES6_PlJS6_EEE10hipError_tPvRmT3_T4_T5_T6_T7_T9_mT8_P12ihipStream_tbDpT10_ENKUlT_T0_E_clISt17integral_constantIbLb1EES19_EEDaS14_S15_EUlS14_E_NS1_11comp_targetILNS1_3genE5ELNS1_11target_archE942ELNS1_3gpuE9ELNS1_3repE0EEENS1_30default_config_static_selectorELNS0_4arch9wavefront6targetE1EEEvT1_ ; -- Begin function _ZN7rocprim17ROCPRIM_400000_NS6detail17trampoline_kernelINS0_14default_configENS1_25partition_config_selectorILNS1_17partition_subalgoE1EiNS0_10empty_typeEbEEZZNS1_14partition_implILS5_1ELb0ES3_jN6thrust23THRUST_200600_302600_NS6detail15normal_iteratorINSA_10device_ptrIiEEEEPS6_NSA_18transform_iteratorINSA_8identityIiEESF_NSA_11use_defaultESK_EENS0_5tupleIJSF_SF_EEENSM_IJSG_SG_EEES6_PlJS6_EEE10hipError_tPvRmT3_T4_T5_T6_T7_T9_mT8_P12ihipStream_tbDpT10_ENKUlT_T0_E_clISt17integral_constantIbLb1EES19_EEDaS14_S15_EUlS14_E_NS1_11comp_targetILNS1_3genE5ELNS1_11target_archE942ELNS1_3gpuE9ELNS1_3repE0EEENS1_30default_config_static_selectorELNS0_4arch9wavefront6targetE1EEEvT1_
	.globl	_ZN7rocprim17ROCPRIM_400000_NS6detail17trampoline_kernelINS0_14default_configENS1_25partition_config_selectorILNS1_17partition_subalgoE1EiNS0_10empty_typeEbEEZZNS1_14partition_implILS5_1ELb0ES3_jN6thrust23THRUST_200600_302600_NS6detail15normal_iteratorINSA_10device_ptrIiEEEEPS6_NSA_18transform_iteratorINSA_8identityIiEESF_NSA_11use_defaultESK_EENS0_5tupleIJSF_SF_EEENSM_IJSG_SG_EEES6_PlJS6_EEE10hipError_tPvRmT3_T4_T5_T6_T7_T9_mT8_P12ihipStream_tbDpT10_ENKUlT_T0_E_clISt17integral_constantIbLb1EES19_EEDaS14_S15_EUlS14_E_NS1_11comp_targetILNS1_3genE5ELNS1_11target_archE942ELNS1_3gpuE9ELNS1_3repE0EEENS1_30default_config_static_selectorELNS0_4arch9wavefront6targetE1EEEvT1_
	.p2align	8
	.type	_ZN7rocprim17ROCPRIM_400000_NS6detail17trampoline_kernelINS0_14default_configENS1_25partition_config_selectorILNS1_17partition_subalgoE1EiNS0_10empty_typeEbEEZZNS1_14partition_implILS5_1ELb0ES3_jN6thrust23THRUST_200600_302600_NS6detail15normal_iteratorINSA_10device_ptrIiEEEEPS6_NSA_18transform_iteratorINSA_8identityIiEESF_NSA_11use_defaultESK_EENS0_5tupleIJSF_SF_EEENSM_IJSG_SG_EEES6_PlJS6_EEE10hipError_tPvRmT3_T4_T5_T6_T7_T9_mT8_P12ihipStream_tbDpT10_ENKUlT_T0_E_clISt17integral_constantIbLb1EES19_EEDaS14_S15_EUlS14_E_NS1_11comp_targetILNS1_3genE5ELNS1_11target_archE942ELNS1_3gpuE9ELNS1_3repE0EEENS1_30default_config_static_selectorELNS0_4arch9wavefront6targetE1EEEvT1_,@function
_ZN7rocprim17ROCPRIM_400000_NS6detail17trampoline_kernelINS0_14default_configENS1_25partition_config_selectorILNS1_17partition_subalgoE1EiNS0_10empty_typeEbEEZZNS1_14partition_implILS5_1ELb0ES3_jN6thrust23THRUST_200600_302600_NS6detail15normal_iteratorINSA_10device_ptrIiEEEEPS6_NSA_18transform_iteratorINSA_8identityIiEESF_NSA_11use_defaultESK_EENS0_5tupleIJSF_SF_EEENSM_IJSG_SG_EEES6_PlJS6_EEE10hipError_tPvRmT3_T4_T5_T6_T7_T9_mT8_P12ihipStream_tbDpT10_ENKUlT_T0_E_clISt17integral_constantIbLb1EES19_EEDaS14_S15_EUlS14_E_NS1_11comp_targetILNS1_3genE5ELNS1_11target_archE942ELNS1_3gpuE9ELNS1_3repE0EEENS1_30default_config_static_selectorELNS0_4arch9wavefront6targetE1EEEvT1_: ; @_ZN7rocprim17ROCPRIM_400000_NS6detail17trampoline_kernelINS0_14default_configENS1_25partition_config_selectorILNS1_17partition_subalgoE1EiNS0_10empty_typeEbEEZZNS1_14partition_implILS5_1ELb0ES3_jN6thrust23THRUST_200600_302600_NS6detail15normal_iteratorINSA_10device_ptrIiEEEEPS6_NSA_18transform_iteratorINSA_8identityIiEESF_NSA_11use_defaultESK_EENS0_5tupleIJSF_SF_EEENSM_IJSG_SG_EEES6_PlJS6_EEE10hipError_tPvRmT3_T4_T5_T6_T7_T9_mT8_P12ihipStream_tbDpT10_ENKUlT_T0_E_clISt17integral_constantIbLb1EES19_EEDaS14_S15_EUlS14_E_NS1_11comp_targetILNS1_3genE5ELNS1_11target_archE942ELNS1_3gpuE9ELNS1_3repE0EEENS1_30default_config_static_selectorELNS0_4arch9wavefront6targetE1EEEvT1_
; %bb.0:
	.section	.rodata,"a",@progbits
	.p2align	6, 0x0
	.amdhsa_kernel _ZN7rocprim17ROCPRIM_400000_NS6detail17trampoline_kernelINS0_14default_configENS1_25partition_config_selectorILNS1_17partition_subalgoE1EiNS0_10empty_typeEbEEZZNS1_14partition_implILS5_1ELb0ES3_jN6thrust23THRUST_200600_302600_NS6detail15normal_iteratorINSA_10device_ptrIiEEEEPS6_NSA_18transform_iteratorINSA_8identityIiEESF_NSA_11use_defaultESK_EENS0_5tupleIJSF_SF_EEENSM_IJSG_SG_EEES6_PlJS6_EEE10hipError_tPvRmT3_T4_T5_T6_T7_T9_mT8_P12ihipStream_tbDpT10_ENKUlT_T0_E_clISt17integral_constantIbLb1EES19_EEDaS14_S15_EUlS14_E_NS1_11comp_targetILNS1_3genE5ELNS1_11target_archE942ELNS1_3gpuE9ELNS1_3repE0EEENS1_30default_config_static_selectorELNS0_4arch9wavefront6targetE1EEEvT1_
		.amdhsa_group_segment_fixed_size 0
		.amdhsa_private_segment_fixed_size 0
		.amdhsa_kernarg_size 144
		.amdhsa_user_sgpr_count 6
		.amdhsa_user_sgpr_private_segment_buffer 1
		.amdhsa_user_sgpr_dispatch_ptr 0
		.amdhsa_user_sgpr_queue_ptr 0
		.amdhsa_user_sgpr_kernarg_segment_ptr 1
		.amdhsa_user_sgpr_dispatch_id 0
		.amdhsa_user_sgpr_flat_scratch_init 0
		.amdhsa_user_sgpr_kernarg_preload_length 0
		.amdhsa_user_sgpr_kernarg_preload_offset 0
		.amdhsa_user_sgpr_private_segment_size 0
		.amdhsa_uses_dynamic_stack 0
		.amdhsa_system_sgpr_private_segment_wavefront_offset 0
		.amdhsa_system_sgpr_workgroup_id_x 1
		.amdhsa_system_sgpr_workgroup_id_y 0
		.amdhsa_system_sgpr_workgroup_id_z 0
		.amdhsa_system_sgpr_workgroup_info 0
		.amdhsa_system_vgpr_workitem_id 0
		.amdhsa_next_free_vgpr 1
		.amdhsa_next_free_sgpr 0
		.amdhsa_accum_offset 4
		.amdhsa_reserve_vcc 0
		.amdhsa_reserve_flat_scratch 0
		.amdhsa_float_round_mode_32 0
		.amdhsa_float_round_mode_16_64 0
		.amdhsa_float_denorm_mode_32 3
		.amdhsa_float_denorm_mode_16_64 3
		.amdhsa_dx10_clamp 1
		.amdhsa_ieee_mode 1
		.amdhsa_fp16_overflow 0
		.amdhsa_tg_split 0
		.amdhsa_exception_fp_ieee_invalid_op 0
		.amdhsa_exception_fp_denorm_src 0
		.amdhsa_exception_fp_ieee_div_zero 0
		.amdhsa_exception_fp_ieee_overflow 0
		.amdhsa_exception_fp_ieee_underflow 0
		.amdhsa_exception_fp_ieee_inexact 0
		.amdhsa_exception_int_div_zero 0
	.end_amdhsa_kernel
	.section	.text._ZN7rocprim17ROCPRIM_400000_NS6detail17trampoline_kernelINS0_14default_configENS1_25partition_config_selectorILNS1_17partition_subalgoE1EiNS0_10empty_typeEbEEZZNS1_14partition_implILS5_1ELb0ES3_jN6thrust23THRUST_200600_302600_NS6detail15normal_iteratorINSA_10device_ptrIiEEEEPS6_NSA_18transform_iteratorINSA_8identityIiEESF_NSA_11use_defaultESK_EENS0_5tupleIJSF_SF_EEENSM_IJSG_SG_EEES6_PlJS6_EEE10hipError_tPvRmT3_T4_T5_T6_T7_T9_mT8_P12ihipStream_tbDpT10_ENKUlT_T0_E_clISt17integral_constantIbLb1EES19_EEDaS14_S15_EUlS14_E_NS1_11comp_targetILNS1_3genE5ELNS1_11target_archE942ELNS1_3gpuE9ELNS1_3repE0EEENS1_30default_config_static_selectorELNS0_4arch9wavefront6targetE1EEEvT1_,"axG",@progbits,_ZN7rocprim17ROCPRIM_400000_NS6detail17trampoline_kernelINS0_14default_configENS1_25partition_config_selectorILNS1_17partition_subalgoE1EiNS0_10empty_typeEbEEZZNS1_14partition_implILS5_1ELb0ES3_jN6thrust23THRUST_200600_302600_NS6detail15normal_iteratorINSA_10device_ptrIiEEEEPS6_NSA_18transform_iteratorINSA_8identityIiEESF_NSA_11use_defaultESK_EENS0_5tupleIJSF_SF_EEENSM_IJSG_SG_EEES6_PlJS6_EEE10hipError_tPvRmT3_T4_T5_T6_T7_T9_mT8_P12ihipStream_tbDpT10_ENKUlT_T0_E_clISt17integral_constantIbLb1EES19_EEDaS14_S15_EUlS14_E_NS1_11comp_targetILNS1_3genE5ELNS1_11target_archE942ELNS1_3gpuE9ELNS1_3repE0EEENS1_30default_config_static_selectorELNS0_4arch9wavefront6targetE1EEEvT1_,comdat
.Lfunc_end618:
	.size	_ZN7rocprim17ROCPRIM_400000_NS6detail17trampoline_kernelINS0_14default_configENS1_25partition_config_selectorILNS1_17partition_subalgoE1EiNS0_10empty_typeEbEEZZNS1_14partition_implILS5_1ELb0ES3_jN6thrust23THRUST_200600_302600_NS6detail15normal_iteratorINSA_10device_ptrIiEEEEPS6_NSA_18transform_iteratorINSA_8identityIiEESF_NSA_11use_defaultESK_EENS0_5tupleIJSF_SF_EEENSM_IJSG_SG_EEES6_PlJS6_EEE10hipError_tPvRmT3_T4_T5_T6_T7_T9_mT8_P12ihipStream_tbDpT10_ENKUlT_T0_E_clISt17integral_constantIbLb1EES19_EEDaS14_S15_EUlS14_E_NS1_11comp_targetILNS1_3genE5ELNS1_11target_archE942ELNS1_3gpuE9ELNS1_3repE0EEENS1_30default_config_static_selectorELNS0_4arch9wavefront6targetE1EEEvT1_, .Lfunc_end618-_ZN7rocprim17ROCPRIM_400000_NS6detail17trampoline_kernelINS0_14default_configENS1_25partition_config_selectorILNS1_17partition_subalgoE1EiNS0_10empty_typeEbEEZZNS1_14partition_implILS5_1ELb0ES3_jN6thrust23THRUST_200600_302600_NS6detail15normal_iteratorINSA_10device_ptrIiEEEEPS6_NSA_18transform_iteratorINSA_8identityIiEESF_NSA_11use_defaultESK_EENS0_5tupleIJSF_SF_EEENSM_IJSG_SG_EEES6_PlJS6_EEE10hipError_tPvRmT3_T4_T5_T6_T7_T9_mT8_P12ihipStream_tbDpT10_ENKUlT_T0_E_clISt17integral_constantIbLb1EES19_EEDaS14_S15_EUlS14_E_NS1_11comp_targetILNS1_3genE5ELNS1_11target_archE942ELNS1_3gpuE9ELNS1_3repE0EEENS1_30default_config_static_selectorELNS0_4arch9wavefront6targetE1EEEvT1_
                                        ; -- End function
	.section	.AMDGPU.csdata,"",@progbits
; Kernel info:
; codeLenInByte = 0
; NumSgprs: 4
; NumVgprs: 0
; NumAgprs: 0
; TotalNumVgprs: 0
; ScratchSize: 0
; MemoryBound: 0
; FloatMode: 240
; IeeeMode: 1
; LDSByteSize: 0 bytes/workgroup (compile time only)
; SGPRBlocks: 0
; VGPRBlocks: 0
; NumSGPRsForWavesPerEU: 4
; NumVGPRsForWavesPerEU: 1
; AccumOffset: 4
; Occupancy: 8
; WaveLimiterHint : 0
; COMPUTE_PGM_RSRC2:SCRATCH_EN: 0
; COMPUTE_PGM_RSRC2:USER_SGPR: 6
; COMPUTE_PGM_RSRC2:TRAP_HANDLER: 0
; COMPUTE_PGM_RSRC2:TGID_X_EN: 1
; COMPUTE_PGM_RSRC2:TGID_Y_EN: 0
; COMPUTE_PGM_RSRC2:TGID_Z_EN: 0
; COMPUTE_PGM_RSRC2:TIDIG_COMP_CNT: 0
; COMPUTE_PGM_RSRC3_GFX90A:ACCUM_OFFSET: 0
; COMPUTE_PGM_RSRC3_GFX90A:TG_SPLIT: 0
	.section	.text._ZN7rocprim17ROCPRIM_400000_NS6detail17trampoline_kernelINS0_14default_configENS1_25partition_config_selectorILNS1_17partition_subalgoE1EiNS0_10empty_typeEbEEZZNS1_14partition_implILS5_1ELb0ES3_jN6thrust23THRUST_200600_302600_NS6detail15normal_iteratorINSA_10device_ptrIiEEEEPS6_NSA_18transform_iteratorINSA_8identityIiEESF_NSA_11use_defaultESK_EENS0_5tupleIJSF_SF_EEENSM_IJSG_SG_EEES6_PlJS6_EEE10hipError_tPvRmT3_T4_T5_T6_T7_T9_mT8_P12ihipStream_tbDpT10_ENKUlT_T0_E_clISt17integral_constantIbLb1EES19_EEDaS14_S15_EUlS14_E_NS1_11comp_targetILNS1_3genE4ELNS1_11target_archE910ELNS1_3gpuE8ELNS1_3repE0EEENS1_30default_config_static_selectorELNS0_4arch9wavefront6targetE1EEEvT1_,"axG",@progbits,_ZN7rocprim17ROCPRIM_400000_NS6detail17trampoline_kernelINS0_14default_configENS1_25partition_config_selectorILNS1_17partition_subalgoE1EiNS0_10empty_typeEbEEZZNS1_14partition_implILS5_1ELb0ES3_jN6thrust23THRUST_200600_302600_NS6detail15normal_iteratorINSA_10device_ptrIiEEEEPS6_NSA_18transform_iteratorINSA_8identityIiEESF_NSA_11use_defaultESK_EENS0_5tupleIJSF_SF_EEENSM_IJSG_SG_EEES6_PlJS6_EEE10hipError_tPvRmT3_T4_T5_T6_T7_T9_mT8_P12ihipStream_tbDpT10_ENKUlT_T0_E_clISt17integral_constantIbLb1EES19_EEDaS14_S15_EUlS14_E_NS1_11comp_targetILNS1_3genE4ELNS1_11target_archE910ELNS1_3gpuE8ELNS1_3repE0EEENS1_30default_config_static_selectorELNS0_4arch9wavefront6targetE1EEEvT1_,comdat
	.protected	_ZN7rocprim17ROCPRIM_400000_NS6detail17trampoline_kernelINS0_14default_configENS1_25partition_config_selectorILNS1_17partition_subalgoE1EiNS0_10empty_typeEbEEZZNS1_14partition_implILS5_1ELb0ES3_jN6thrust23THRUST_200600_302600_NS6detail15normal_iteratorINSA_10device_ptrIiEEEEPS6_NSA_18transform_iteratorINSA_8identityIiEESF_NSA_11use_defaultESK_EENS0_5tupleIJSF_SF_EEENSM_IJSG_SG_EEES6_PlJS6_EEE10hipError_tPvRmT3_T4_T5_T6_T7_T9_mT8_P12ihipStream_tbDpT10_ENKUlT_T0_E_clISt17integral_constantIbLb1EES19_EEDaS14_S15_EUlS14_E_NS1_11comp_targetILNS1_3genE4ELNS1_11target_archE910ELNS1_3gpuE8ELNS1_3repE0EEENS1_30default_config_static_selectorELNS0_4arch9wavefront6targetE1EEEvT1_ ; -- Begin function _ZN7rocprim17ROCPRIM_400000_NS6detail17trampoline_kernelINS0_14default_configENS1_25partition_config_selectorILNS1_17partition_subalgoE1EiNS0_10empty_typeEbEEZZNS1_14partition_implILS5_1ELb0ES3_jN6thrust23THRUST_200600_302600_NS6detail15normal_iteratorINSA_10device_ptrIiEEEEPS6_NSA_18transform_iteratorINSA_8identityIiEESF_NSA_11use_defaultESK_EENS0_5tupleIJSF_SF_EEENSM_IJSG_SG_EEES6_PlJS6_EEE10hipError_tPvRmT3_T4_T5_T6_T7_T9_mT8_P12ihipStream_tbDpT10_ENKUlT_T0_E_clISt17integral_constantIbLb1EES19_EEDaS14_S15_EUlS14_E_NS1_11comp_targetILNS1_3genE4ELNS1_11target_archE910ELNS1_3gpuE8ELNS1_3repE0EEENS1_30default_config_static_selectorELNS0_4arch9wavefront6targetE1EEEvT1_
	.globl	_ZN7rocprim17ROCPRIM_400000_NS6detail17trampoline_kernelINS0_14default_configENS1_25partition_config_selectorILNS1_17partition_subalgoE1EiNS0_10empty_typeEbEEZZNS1_14partition_implILS5_1ELb0ES3_jN6thrust23THRUST_200600_302600_NS6detail15normal_iteratorINSA_10device_ptrIiEEEEPS6_NSA_18transform_iteratorINSA_8identityIiEESF_NSA_11use_defaultESK_EENS0_5tupleIJSF_SF_EEENSM_IJSG_SG_EEES6_PlJS6_EEE10hipError_tPvRmT3_T4_T5_T6_T7_T9_mT8_P12ihipStream_tbDpT10_ENKUlT_T0_E_clISt17integral_constantIbLb1EES19_EEDaS14_S15_EUlS14_E_NS1_11comp_targetILNS1_3genE4ELNS1_11target_archE910ELNS1_3gpuE8ELNS1_3repE0EEENS1_30default_config_static_selectorELNS0_4arch9wavefront6targetE1EEEvT1_
	.p2align	8
	.type	_ZN7rocprim17ROCPRIM_400000_NS6detail17trampoline_kernelINS0_14default_configENS1_25partition_config_selectorILNS1_17partition_subalgoE1EiNS0_10empty_typeEbEEZZNS1_14partition_implILS5_1ELb0ES3_jN6thrust23THRUST_200600_302600_NS6detail15normal_iteratorINSA_10device_ptrIiEEEEPS6_NSA_18transform_iteratorINSA_8identityIiEESF_NSA_11use_defaultESK_EENS0_5tupleIJSF_SF_EEENSM_IJSG_SG_EEES6_PlJS6_EEE10hipError_tPvRmT3_T4_T5_T6_T7_T9_mT8_P12ihipStream_tbDpT10_ENKUlT_T0_E_clISt17integral_constantIbLb1EES19_EEDaS14_S15_EUlS14_E_NS1_11comp_targetILNS1_3genE4ELNS1_11target_archE910ELNS1_3gpuE8ELNS1_3repE0EEENS1_30default_config_static_selectorELNS0_4arch9wavefront6targetE1EEEvT1_,@function
_ZN7rocprim17ROCPRIM_400000_NS6detail17trampoline_kernelINS0_14default_configENS1_25partition_config_selectorILNS1_17partition_subalgoE1EiNS0_10empty_typeEbEEZZNS1_14partition_implILS5_1ELb0ES3_jN6thrust23THRUST_200600_302600_NS6detail15normal_iteratorINSA_10device_ptrIiEEEEPS6_NSA_18transform_iteratorINSA_8identityIiEESF_NSA_11use_defaultESK_EENS0_5tupleIJSF_SF_EEENSM_IJSG_SG_EEES6_PlJS6_EEE10hipError_tPvRmT3_T4_T5_T6_T7_T9_mT8_P12ihipStream_tbDpT10_ENKUlT_T0_E_clISt17integral_constantIbLb1EES19_EEDaS14_S15_EUlS14_E_NS1_11comp_targetILNS1_3genE4ELNS1_11target_archE910ELNS1_3gpuE8ELNS1_3repE0EEENS1_30default_config_static_selectorELNS0_4arch9wavefront6targetE1EEEvT1_: ; @_ZN7rocprim17ROCPRIM_400000_NS6detail17trampoline_kernelINS0_14default_configENS1_25partition_config_selectorILNS1_17partition_subalgoE1EiNS0_10empty_typeEbEEZZNS1_14partition_implILS5_1ELb0ES3_jN6thrust23THRUST_200600_302600_NS6detail15normal_iteratorINSA_10device_ptrIiEEEEPS6_NSA_18transform_iteratorINSA_8identityIiEESF_NSA_11use_defaultESK_EENS0_5tupleIJSF_SF_EEENSM_IJSG_SG_EEES6_PlJS6_EEE10hipError_tPvRmT3_T4_T5_T6_T7_T9_mT8_P12ihipStream_tbDpT10_ENKUlT_T0_E_clISt17integral_constantIbLb1EES19_EEDaS14_S15_EUlS14_E_NS1_11comp_targetILNS1_3genE4ELNS1_11target_archE910ELNS1_3gpuE8ELNS1_3repE0EEENS1_30default_config_static_selectorELNS0_4arch9wavefront6targetE1EEEvT1_
; %bb.0:
	s_load_dwordx2 s[6:7], s[4:5], 0x20
	s_load_dwordx4 s[20:23], s[4:5], 0x50
	s_load_dwordx2 s[2:3], s[4:5], 0x60
	s_load_dwordx2 s[30:31], s[4:5], 0x70
	v_cmp_eq_u32_e64 s[0:1], 0, v0
	s_and_saveexec_b64 s[8:9], s[0:1]
	s_cbranch_execz .LBB619_4
; %bb.1:
	s_mov_b64 s[12:13], exec
	v_mbcnt_lo_u32_b32 v1, s12, 0
	v_mbcnt_hi_u32_b32 v1, s13, v1
	v_cmp_eq_u32_e32 vcc, 0, v1
                                        ; implicit-def: $vgpr2
	s_and_saveexec_b64 s[10:11], vcc
	s_cbranch_execz .LBB619_3
; %bb.2:
	s_load_dwordx2 s[14:15], s[4:5], 0x80
	s_bcnt1_i32_b64 s12, s[12:13]
	v_mov_b32_e32 v2, 0
	v_mov_b32_e32 v3, s12
	s_waitcnt lgkmcnt(0)
	global_atomic_add v2, v2, v3, s[14:15] glc
.LBB619_3:
	s_or_b64 exec, exec, s[10:11]
	s_waitcnt vmcnt(0)
	v_readfirstlane_b32 s10, v2
	v_add_u32_e32 v1, s10, v1
	v_mov_b32_e32 v2, 0
	ds_write_b32 v2, v1
.LBB619_4:
	s_or_b64 exec, exec, s[8:9]
	v_mov_b32_e32 v3, 0
	s_load_dwordx4 s[16:19], s[4:5], 0x8
	s_load_dwordx4 s[24:27], s[4:5], 0x30
	s_load_dword s8, s[4:5], 0x78
	s_waitcnt lgkmcnt(0)
	s_barrier
	ds_read_b32 v1, v3
	s_waitcnt lgkmcnt(0)
	s_barrier
	global_load_dwordx2 v[10:11], v3, s[22:23]
	v_mov_b32_e32 v5, s3
	s_lshl_b64 s[4:5], s[18:19], 2
	s_movk_i32 s3, 0x700
	s_add_u32 s9, s16, s4
	v_mul_lo_u32 v2, v1, s3
	s_mul_i32 s3, s8, 0x700
	s_addc_u32 s10, s17, s5
	s_add_i32 s11, s8, -1
	s_add_i32 s8, s3, s18
	s_sub_i32 s33, s2, s8
	s_addk_i32 s33, 0x700
	v_mov_b32_e32 v4, s2
	s_add_u32 s2, s18, s3
	v_readfirstlane_b32 s40, v1
	s_addc_u32 s3, s19, 0
	s_cmp_eq_u32 s40, s11
	s_cselect_b64 s[22:23], -1, 0
	s_cmp_lg_u32 s40, s11
	v_cmp_lt_u64_e32 vcc, s[2:3], v[4:5]
	s_cselect_b64 s[2:3], -1, 0
	v_lshlrev_b64 v[12:13], 2, v[2:3]
	s_or_b64 s[28:29], vcc, s[2:3]
	v_mov_b32_e32 v2, s10
	v_add_co_u32_e32 v1, vcc, s9, v12
	v_addc_co_u32_e32 v9, vcc, v2, v13, vcc
	s_mov_b64 s[2:3], -1
	s_and_b64 vcc, exec, s[28:29]
	v_lshlrev_b32_e32 v22, 2, v0
	s_cbranch_vccz .LBB619_6
; %bb.5:
	v_add_co_u32_e32 v2, vcc, v1, v22
	v_addc_co_u32_e32 v3, vcc, 0, v9, vcc
	v_add_co_u32_e32 v4, vcc, 0x1000, v2
	v_addc_co_u32_e32 v5, vcc, 0, v3, vcc
	flat_load_dword v6, v[2:3]
	flat_load_dword v7, v[2:3] offset:1024
	flat_load_dword v8, v[2:3] offset:2048
	;; [unrolled: 1-line block ×3, first 2 shown]
	flat_load_dword v15, v[4:5]
	flat_load_dword v16, v[4:5] offset:1024
	flat_load_dword v17, v[4:5] offset:2048
	s_mov_b64 s[2:3], 0
	s_waitcnt vmcnt(0) lgkmcnt(0)
	ds_write2st64_b32 v22, v6, v7 offset1:4
	ds_write2st64_b32 v22, v8, v14 offset0:8 offset1:12
	ds_write2st64_b32 v22, v15, v16 offset0:16 offset1:20
	ds_write_b32 v22, v17 offset:6144
	s_waitcnt lgkmcnt(0)
	s_barrier
.LBB619_6:
	s_andn2_b64 vcc, exec, s[2:3]
	v_cmp_gt_u32_e64 s[2:3], s33, v0
	s_cbranch_vccnz .LBB619_22
; %bb.7:
                                        ; implicit-def: $vgpr2_vgpr3_vgpr4_vgpr5_vgpr6_vgpr7_vgpr8
	s_and_saveexec_b64 s[8:9], s[2:3]
	s_cbranch_execz .LBB619_9
; %bb.8:
	v_add_co_u32_e32 v2, vcc, v1, v22
	v_addc_co_u32_e32 v3, vcc, 0, v9, vcc
	flat_load_dword v2, v[2:3]
.LBB619_9:
	s_or_b64 exec, exec, s[8:9]
	v_or_b32_e32 v14, 0x100, v0
	v_cmp_gt_u32_e32 vcc, s33, v14
	s_and_saveexec_b64 s[2:3], vcc
	s_cbranch_execz .LBB619_11
; %bb.10:
	v_add_co_u32_e32 v14, vcc, v1, v22
	v_addc_co_u32_e32 v15, vcc, 0, v9, vcc
	flat_load_dword v3, v[14:15] offset:1024
.LBB619_11:
	s_or_b64 exec, exec, s[2:3]
	v_or_b32_e32 v14, 0x200, v0
	v_cmp_gt_u32_e32 vcc, s33, v14
	s_and_saveexec_b64 s[2:3], vcc
	s_cbranch_execz .LBB619_13
; %bb.12:
	v_add_co_u32_e32 v14, vcc, v1, v22
	v_addc_co_u32_e32 v15, vcc, 0, v9, vcc
	flat_load_dword v4, v[14:15] offset:2048
.LBB619_13:
	;; [unrolled: 10-line block ×3, first 2 shown]
	s_or_b64 exec, exec, s[2:3]
	v_or_b32_e32 v14, 0x400, v0
	v_cmp_gt_u32_e32 vcc, s33, v14
	s_and_saveexec_b64 s[2:3], vcc
	s_cbranch_execz .LBB619_17
; %bb.16:
	v_lshlrev_b32_e32 v6, 2, v14
	v_add_co_u32_e32 v14, vcc, v1, v6
	v_addc_co_u32_e32 v15, vcc, 0, v9, vcc
	flat_load_dword v6, v[14:15]
.LBB619_17:
	s_or_b64 exec, exec, s[2:3]
	v_or_b32_e32 v14, 0x500, v0
	v_cmp_gt_u32_e32 vcc, s33, v14
	s_and_saveexec_b64 s[2:3], vcc
	s_cbranch_execz .LBB619_19
; %bb.18:
	v_lshlrev_b32_e32 v7, 2, v14
	v_add_co_u32_e32 v14, vcc, v1, v7
	v_addc_co_u32_e32 v15, vcc, 0, v9, vcc
	flat_load_dword v7, v[14:15]
.LBB619_19:
	;; [unrolled: 11-line block ×3, first 2 shown]
	s_or_b64 exec, exec, s[2:3]
	s_waitcnt vmcnt(0) lgkmcnt(0)
	ds_write2st64_b32 v22, v2, v3 offset1:4
	ds_write2st64_b32 v22, v4, v5 offset0:8 offset1:12
	ds_write2st64_b32 v22, v6, v7 offset0:16 offset1:20
	ds_write_b32 v22, v8 offset:6144
	s_waitcnt lgkmcnt(0)
	s_barrier
.LBB619_22:
	v_mul_u32_u24_e32 v24, 7, v0
	v_lshlrev_b32_e32 v9, 2, v24
	ds_read2_b32 v[6:7], v9 offset1:1
	ds_read2_b32 v[4:5], v9 offset0:2 offset1:3
	ds_read2_b32 v[2:3], v9 offset0:4 offset1:5
	ds_read_b32 v23, v9 offset:24
	s_add_u32 s2, s6, s4
	s_addc_u32 s3, s7, s5
	v_mov_b32_e32 v1, s3
	v_add_co_u32_e32 v8, vcc, s2, v12
	v_addc_co_u32_e32 v1, vcc, v1, v13, vcc
	s_mov_b64 s[2:3], -1
	s_and_b64 vcc, exec, s[28:29]
	s_waitcnt lgkmcnt(0)
	s_barrier
	s_cbranch_vccz .LBB619_24
; %bb.23:
	v_add_co_u32_e32 v14, vcc, v8, v22
	v_readfirstlane_b32 s2, v8
	v_readfirstlane_b32 s3, v1
	v_addc_co_u32_e32 v15, vcc, 0, v1, vcc
	s_nop 3
	global_load_dword v16, v22, s[2:3]
	global_load_dword v17, v22, s[2:3] offset:1024
	global_load_dword v18, v22, s[2:3] offset:2048
	;; [unrolled: 1-line block ×3, first 2 shown]
	s_movk_i32 s2, 0x1000
	v_add_co_u32_e32 v14, vcc, s2, v14
	v_addc_co_u32_e32 v15, vcc, 0, v15, vcc
	global_load_dword v20, v[14:15], off
	global_load_dword v21, v[14:15], off offset:1024
	global_load_dword v25, v[14:15], off offset:2048
	s_mov_b64 s[2:3], 0
	s_waitcnt vmcnt(6)
	v_cmp_ne_u32_e32 vcc, 0, v16
	v_cndmask_b32_e64 v14, 0, 1, vcc
	s_waitcnt vmcnt(5)
	v_cmp_ne_u32_e32 vcc, 0, v17
	v_cndmask_b32_e64 v15, 0, 1, vcc
	;; [unrolled: 3-line block ×7, first 2 shown]
	ds_write_b8 v0, v14
	ds_write_b8 v0, v15 offset:256
	ds_write_b8 v0, v16 offset:512
	;; [unrolled: 1-line block ×6, first 2 shown]
	s_waitcnt lgkmcnt(0)
	s_barrier
.LBB619_24:
	s_andn2_b64 vcc, exec, s[2:3]
	s_cbranch_vccnz .LBB619_40
; %bb.25:
	v_cmp_gt_u32_e32 vcc, s33, v0
	v_mov_b32_e32 v14, 0
	v_mov_b32_e32 v15, 0
	s_and_saveexec_b64 s[2:3], vcc
	s_cbranch_execz .LBB619_27
; %bb.26:
	v_readfirstlane_b32 s4, v8
	v_readfirstlane_b32 s5, v1
	s_nop 4
	global_load_dword v15, v22, s[4:5]
	s_waitcnt vmcnt(0)
	v_cmp_ne_u32_e32 vcc, 0, v15
	v_cndmask_b32_e64 v15, 0, 1, vcc
.LBB619_27:
	s_or_b64 exec, exec, s[2:3]
	v_or_b32_e32 v16, 0x100, v0
	v_cmp_gt_u32_e32 vcc, s33, v16
	s_and_saveexec_b64 s[2:3], vcc
	s_cbranch_execz .LBB619_29
; %bb.28:
	v_readfirstlane_b32 s4, v8
	v_readfirstlane_b32 s5, v1
	s_nop 4
	global_load_dword v14, v22, s[4:5] offset:1024
	s_waitcnt vmcnt(0)
	v_cmp_ne_u32_e32 vcc, 0, v14
	v_cndmask_b32_e64 v14, 0, 1, vcc
.LBB619_29:
	s_or_b64 exec, exec, s[2:3]
	v_or_b32_e32 v16, 0x200, v0
	v_cmp_gt_u32_e32 vcc, s33, v16
	v_mov_b32_e32 v16, 0
	v_mov_b32_e32 v17, 0
	s_and_saveexec_b64 s[2:3], vcc
	s_cbranch_execz .LBB619_31
; %bb.30:
	v_readfirstlane_b32 s4, v8
	v_readfirstlane_b32 s5, v1
	s_nop 4
	global_load_dword v17, v22, s[4:5] offset:2048
	s_waitcnt vmcnt(0)
	v_cmp_ne_u32_e32 vcc, 0, v17
	v_cndmask_b32_e64 v17, 0, 1, vcc
.LBB619_31:
	s_or_b64 exec, exec, s[2:3]
	v_or_b32_e32 v18, 0x300, v0
	v_cmp_gt_u32_e32 vcc, s33, v18
	s_and_saveexec_b64 s[2:3], vcc
	s_cbranch_execz .LBB619_33
; %bb.32:
	v_readfirstlane_b32 s4, v8
	v_readfirstlane_b32 s5, v1
	s_nop 4
	global_load_dword v16, v22, s[4:5] offset:3072
	s_waitcnt vmcnt(0)
	v_cmp_ne_u32_e32 vcc, 0, v16
	v_cndmask_b32_e64 v16, 0, 1, vcc
.LBB619_33:
	s_or_b64 exec, exec, s[2:3]
	v_or_b32_e32 v20, 0x400, v0
	v_cmp_gt_u32_e32 vcc, s33, v20
	v_mov_b32_e32 v18, 0
	v_mov_b32_e32 v19, 0
	s_and_saveexec_b64 s[2:3], vcc
	s_cbranch_execz .LBB619_35
; %bb.34:
	v_lshlrev_b32_e32 v19, 2, v20
	v_readfirstlane_b32 s4, v8
	v_readfirstlane_b32 s5, v1
	s_nop 4
	global_load_dword v19, v19, s[4:5]
	s_waitcnt vmcnt(0)
	v_cmp_ne_u32_e32 vcc, 0, v19
	v_cndmask_b32_e64 v19, 0, 1, vcc
.LBB619_35:
	s_or_b64 exec, exec, s[2:3]
	v_or_b32_e32 v20, 0x500, v0
	v_cmp_gt_u32_e32 vcc, s33, v20
	s_and_saveexec_b64 s[2:3], vcc
	s_cbranch_execz .LBB619_37
; %bb.36:
	v_lshlrev_b32_e32 v18, 2, v20
	v_readfirstlane_b32 s4, v8
	v_readfirstlane_b32 s5, v1
	s_nop 4
	global_load_dword v18, v18, s[4:5]
	s_waitcnt vmcnt(0)
	v_cmp_ne_u32_e32 vcc, 0, v18
	v_cndmask_b32_e64 v18, 0, 1, vcc
.LBB619_37:
	s_or_b64 exec, exec, s[2:3]
	v_or_b32_e32 v21, 0x600, v0
	v_cmp_gt_u32_e32 vcc, s33, v21
	v_mov_b32_e32 v20, 0
	s_and_saveexec_b64 s[2:3], vcc
	s_cbranch_execz .LBB619_39
; %bb.38:
	v_lshlrev_b32_e32 v20, 2, v21
	v_readfirstlane_b32 s4, v8
	v_readfirstlane_b32 s5, v1
	s_nop 4
	global_load_dword v1, v20, s[4:5]
	s_waitcnt vmcnt(0)
	v_cmp_ne_u32_e32 vcc, 0, v1
	v_cndmask_b32_e64 v20, 0, 1, vcc
.LBB619_39:
	s_or_b64 exec, exec, s[2:3]
	ds_write_b8 v0, v15
	ds_write_b8 v0, v14 offset:256
	ds_write_b8 v0, v17 offset:512
	;; [unrolled: 1-line block ×6, first 2 shown]
	s_waitcnt lgkmcnt(0)
	s_barrier
.LBB619_40:
	s_movk_i32 s2, 0xffeb
	v_mad_i32_i24 v32, v0, s2, v9
	ds_read_u8 v1, v32
	ds_read_u8 v8, v32 offset:1
	ds_read_u8 v9, v32 offset:2
	;; [unrolled: 1-line block ×6, first 2 shown]
	s_waitcnt lgkmcnt(6)
	v_and_b32_e32 v30, 1, v1
	s_waitcnt lgkmcnt(5)
	v_and_b32_e32 v29, 1, v8
	;; [unrolled: 2-line block ×5, first 2 shown]
	v_add3_u32 v8, v29, v30, v28
	s_waitcnt lgkmcnt(1)
	v_and_b32_e32 v25, 1, v16
	s_waitcnt lgkmcnt(0)
	v_and_b32_e32 v1, 1, v17
	v_add3_u32 v8, v8, v27, v26
	v_add3_u32 v34, v8, v25, v1
	v_mbcnt_lo_u32_b32 v8, -1, 0
	v_mbcnt_hi_u32_b32 v31, -1, v8
	v_and_b32_e32 v8, 15, v31
	v_cmp_eq_u32_e64 s[14:15], 0, v8
	v_cmp_lt_u32_e64 s[12:13], 1, v8
	v_cmp_lt_u32_e64 s[10:11], 3, v8
	;; [unrolled: 1-line block ×3, first 2 shown]
	v_and_b32_e32 v8, 16, v31
	v_cmp_eq_u32_e64 s[6:7], 0, v8
	v_or_b32_e32 v8, 63, v0
	s_cmp_lg_u32 s40, 0
	v_cmp_lt_u32_e64 s[2:3], 31, v31
	v_lshrrev_b32_e32 v33, 6, v0
	v_cmp_eq_u32_e64 s[4:5], v8, v0
	s_barrier
	s_cbranch_scc0 .LBB619_71
; %bb.41:
	v_mov_b32_dpp v8, v34 row_shr:1 row_mask:0xf bank_mask:0xf
	v_cndmask_b32_e64 v8, v8, 0, s[14:15]
	v_add_u32_e32 v8, v8, v34
	s_nop 1
	v_mov_b32_dpp v9, v8 row_shr:2 row_mask:0xf bank_mask:0xf
	v_cndmask_b32_e64 v9, 0, v9, s[12:13]
	v_add_u32_e32 v8, v8, v9
	s_nop 1
	;; [unrolled: 4-line block ×4, first 2 shown]
	v_mov_b32_dpp v9, v8 row_bcast:15 row_mask:0xf bank_mask:0xf
	v_cndmask_b32_e64 v9, v9, 0, s[6:7]
	v_add_u32_e32 v8, v8, v9
	s_nop 1
	v_mov_b32_dpp v9, v8 row_bcast:31 row_mask:0xf bank_mask:0xf
	v_cndmask_b32_e64 v9, 0, v9, s[2:3]
	v_add_u32_e32 v8, v8, v9
	s_and_saveexec_b64 s[16:17], s[4:5]
	s_cbranch_execz .LBB619_43
; %bb.42:
	v_lshlrev_b32_e32 v9, 2, v33
	ds_write_b32 v9, v8
.LBB619_43:
	s_or_b64 exec, exec, s[16:17]
	v_cmp_gt_u32_e32 vcc, 4, v0
	s_waitcnt lgkmcnt(0)
	s_barrier
	s_and_saveexec_b64 s[16:17], vcc
	s_cbranch_execz .LBB619_45
; %bb.44:
	ds_read_b32 v9, v22
	v_and_b32_e32 v14, 3, v31
	v_cmp_ne_u32_e32 vcc, 0, v14
	s_waitcnt lgkmcnt(0)
	v_mov_b32_dpp v15, v9 row_shr:1 row_mask:0xf bank_mask:0xf
	v_cndmask_b32_e32 v15, 0, v15, vcc
	v_add_u32_e32 v9, v15, v9
	v_cmp_lt_u32_e32 vcc, 1, v14
	s_nop 0
	v_mov_b32_dpp v15, v9 row_shr:2 row_mask:0xf bank_mask:0xf
	v_cndmask_b32_e32 v14, 0, v15, vcc
	v_add_u32_e32 v9, v9, v14
	ds_write_b32 v22, v9
.LBB619_45:
	s_or_b64 exec, exec, s[16:17]
	v_cmp_gt_u32_e32 vcc, 64, v0
	v_cmp_lt_u32_e64 s[16:17], 63, v0
	s_waitcnt lgkmcnt(0)
	s_barrier
	s_waitcnt lgkmcnt(0)
                                        ; implicit-def: $vgpr35
	s_and_saveexec_b64 s[34:35], s[16:17]
	s_cbranch_execz .LBB619_47
; %bb.46:
	v_lshl_add_u32 v9, v33, 2, -4
	ds_read_b32 v35, v9
	s_waitcnt lgkmcnt(0)
	v_add_u32_e32 v8, v35, v8
.LBB619_47:
	s_or_b64 exec, exec, s[34:35]
	v_add_u32_e32 v9, -1, v31
	v_and_b32_e32 v14, 64, v31
	v_cmp_lt_i32_e64 s[16:17], v9, v14
	v_cndmask_b32_e64 v9, v9, v31, s[16:17]
	v_lshlrev_b32_e32 v9, 2, v9
	ds_bpermute_b32 v36, v9, v8
	v_cmp_eq_u32_e64 s[16:17], 0, v31
	s_and_saveexec_b64 s[34:35], vcc
	s_cbranch_execz .LBB619_70
; %bb.48:
	v_mov_b32_e32 v21, 0
	ds_read_b32 v8, v21 offset:12
	s_and_saveexec_b64 s[36:37], s[16:17]
	s_cbranch_execz .LBB619_50
; %bb.49:
	s_add_i32 s38, s40, 64
	s_mov_b32 s39, 0
	s_lshl_b64 s[38:39], s[38:39], 3
	s_add_u32 s38, s30, s38
	v_mov_b32_e32 v9, 1
	s_addc_u32 s39, s31, s39
	s_waitcnt lgkmcnt(0)
	global_store_dwordx2 v21, v[8:9], s[38:39]
.LBB619_50:
	s_or_b64 exec, exec, s[36:37]
	v_xad_u32 v14, v31, -1, s40
	v_add_u32_e32 v20, 64, v14
	v_lshlrev_b64 v[16:17], 3, v[20:21]
	v_mov_b32_e32 v9, s31
	v_add_co_u32_e32 v16, vcc, s30, v16
	v_addc_co_u32_e32 v17, vcc, v9, v17, vcc
	global_load_dwordx2 v[18:19], v[16:17], off glc
	s_waitcnt vmcnt(0)
	v_cmp_eq_u16_sdwa s[38:39], v19, v21 src0_sel:BYTE_0 src1_sel:DWORD
	s_and_saveexec_b64 s[36:37], s[38:39]
	s_cbranch_execz .LBB619_56
; %bb.51:
	s_mov_b32 s41, 1
	s_mov_b64 s[38:39], 0
	v_mov_b32_e32 v9, 0
.LBB619_52:                             ; =>This Loop Header: Depth=1
                                        ;     Child Loop BB619_53 Depth 2
	s_max_u32 s42, s41, 1
.LBB619_53:                             ;   Parent Loop BB619_52 Depth=1
                                        ; =>  This Inner Loop Header: Depth=2
	s_add_i32 s42, s42, -1
	s_cmp_eq_u32 s42, 0
	s_sleep 1
	s_cbranch_scc0 .LBB619_53
; %bb.54:                               ;   in Loop: Header=BB619_52 Depth=1
	global_load_dwordx2 v[18:19], v[16:17], off glc
	s_cmp_lt_u32 s41, 32
	s_cselect_b64 s[42:43], -1, 0
	s_cmp_lg_u64 s[42:43], 0
	s_addc_u32 s41, s41, 0
	s_waitcnt vmcnt(0)
	v_cmp_ne_u16_sdwa s[42:43], v19, v9 src0_sel:BYTE_0 src1_sel:DWORD
	s_or_b64 s[38:39], s[42:43], s[38:39]
	s_andn2_b64 exec, exec, s[38:39]
	s_cbranch_execnz .LBB619_52
; %bb.55:
	s_or_b64 exec, exec, s[38:39]
.LBB619_56:
	s_or_b64 exec, exec, s[36:37]
	v_and_b32_e32 v38, 63, v31
	v_mov_b32_e32 v37, 2
	v_cmp_ne_u32_e32 vcc, 63, v38
	v_cmp_eq_u16_sdwa s[36:37], v19, v37 src0_sel:BYTE_0 src1_sel:DWORD
	v_lshlrev_b64 v[16:17], v31, -1
	v_addc_co_u32_e32 v20, vcc, 0, v31, vcc
	v_and_b32_e32 v9, s37, v17
	v_lshlrev_b32_e32 v39, 2, v20
	v_or_b32_e32 v9, 0x80000000, v9
	ds_bpermute_b32 v20, v39, v18
	v_and_b32_e32 v15, s36, v16
	v_ffbl_b32_e32 v9, v9
	v_add_u32_e32 v9, 32, v9
	v_ffbl_b32_e32 v15, v15
	v_min_u32_e32 v9, v15, v9
	v_cmp_lt_u32_e32 vcc, v38, v9
	s_waitcnt lgkmcnt(0)
	v_cndmask_b32_e32 v15, 0, v20, vcc
	v_cmp_gt_u32_e32 vcc, 62, v38
	v_add_u32_e32 v15, v15, v18
	v_cndmask_b32_e64 v18, 0, 1, vcc
	v_lshlrev_b32_e32 v18, 1, v18
	v_add_lshl_u32 v40, v18, v31, 2
	ds_bpermute_b32 v18, v40, v15
	v_add_u32_e32 v41, 2, v38
	v_cmp_le_u32_e32 vcc, v41, v9
	v_add_u32_e32 v43, 4, v38
	v_add_u32_e32 v45, 8, v38
	s_waitcnt lgkmcnt(0)
	v_cndmask_b32_e32 v18, 0, v18, vcc
	v_cmp_gt_u32_e32 vcc, 60, v38
	v_add_u32_e32 v15, v15, v18
	v_cndmask_b32_e64 v18, 0, 1, vcc
	v_lshlrev_b32_e32 v18, 2, v18
	v_add_lshl_u32 v42, v18, v31, 2
	ds_bpermute_b32 v18, v42, v15
	v_cmp_le_u32_e32 vcc, v43, v9
	v_add_u32_e32 v47, 16, v38
	v_add_u32_e32 v49, 32, v38
	s_waitcnt lgkmcnt(0)
	v_cndmask_b32_e32 v18, 0, v18, vcc
	v_cmp_gt_u32_e32 vcc, 56, v38
	v_add_u32_e32 v15, v15, v18
	v_cndmask_b32_e64 v18, 0, 1, vcc
	v_lshlrev_b32_e32 v18, 3, v18
	v_add_lshl_u32 v44, v18, v31, 2
	ds_bpermute_b32 v18, v44, v15
	v_cmp_le_u32_e32 vcc, v45, v9
	s_waitcnt lgkmcnt(0)
	v_cndmask_b32_e32 v18, 0, v18, vcc
	v_cmp_gt_u32_e32 vcc, 48, v38
	v_add_u32_e32 v15, v15, v18
	v_cndmask_b32_e64 v18, 0, 1, vcc
	v_lshlrev_b32_e32 v18, 4, v18
	v_add_lshl_u32 v46, v18, v31, 2
	ds_bpermute_b32 v18, v46, v15
	v_cmp_le_u32_e32 vcc, v47, v9
	;; [unrolled: 9-line block ×3, first 2 shown]
	s_waitcnt lgkmcnt(0)
	v_cndmask_b32_e32 v9, 0, v18, vcc
	v_add_u32_e32 v18, v15, v9
	v_mov_b32_e32 v15, 0
	s_branch .LBB619_58
.LBB619_57:                             ;   in Loop: Header=BB619_58 Depth=1
	s_or_b64 exec, exec, s[36:37]
	v_cmp_eq_u16_sdwa s[36:37], v19, v37 src0_sel:BYTE_0 src1_sel:DWORD
	v_and_b32_e32 v20, s37, v17
	v_or_b32_e32 v20, 0x80000000, v20
	ds_bpermute_b32 v50, v39, v18
	v_and_b32_e32 v21, s36, v16
	v_ffbl_b32_e32 v20, v20
	v_add_u32_e32 v20, 32, v20
	v_ffbl_b32_e32 v21, v21
	v_min_u32_e32 v20, v21, v20
	v_cmp_lt_u32_e32 vcc, v38, v20
	s_waitcnt lgkmcnt(0)
	v_cndmask_b32_e32 v21, 0, v50, vcc
	v_add_u32_e32 v18, v21, v18
	ds_bpermute_b32 v21, v40, v18
	v_cmp_le_u32_e32 vcc, v41, v20
	v_subrev_u32_e32 v14, 64, v14
	s_waitcnt lgkmcnt(0)
	v_cndmask_b32_e32 v21, 0, v21, vcc
	v_add_u32_e32 v18, v18, v21
	ds_bpermute_b32 v21, v42, v18
	v_cmp_le_u32_e32 vcc, v43, v20
	s_waitcnt lgkmcnt(0)
	v_cndmask_b32_e32 v21, 0, v21, vcc
	v_add_u32_e32 v18, v18, v21
	ds_bpermute_b32 v21, v44, v18
	v_cmp_le_u32_e32 vcc, v45, v20
	;; [unrolled: 5-line block ×4, first 2 shown]
	s_waitcnt lgkmcnt(0)
	v_cndmask_b32_e32 v20, 0, v21, vcc
	v_add3_u32 v18, v20, v9, v18
.LBB619_58:                             ; =>This Loop Header: Depth=1
                                        ;     Child Loop BB619_61 Depth 2
                                        ;       Child Loop BB619_62 Depth 3
	v_cmp_ne_u16_sdwa s[36:37], v19, v37 src0_sel:BYTE_0 src1_sel:DWORD
	v_cndmask_b32_e64 v9, 0, 1, s[36:37]
	;;#ASMSTART
	;;#ASMEND
	v_cmp_ne_u32_e32 vcc, 0, v9
	s_cmp_lg_u64 vcc, exec
	v_mov_b32_e32 v9, v18
	s_cbranch_scc1 .LBB619_65
; %bb.59:                               ;   in Loop: Header=BB619_58 Depth=1
	v_lshlrev_b64 v[18:19], 3, v[14:15]
	v_mov_b32_e32 v21, s31
	v_add_co_u32_e32 v20, vcc, s30, v18
	v_addc_co_u32_e32 v21, vcc, v21, v19, vcc
	global_load_dwordx2 v[18:19], v[20:21], off glc
	s_waitcnt vmcnt(0)
	v_cmp_eq_u16_sdwa s[38:39], v19, v15 src0_sel:BYTE_0 src1_sel:DWORD
	s_and_saveexec_b64 s[36:37], s[38:39]
	s_cbranch_execz .LBB619_57
; %bb.60:                               ;   in Loop: Header=BB619_58 Depth=1
	s_mov_b32 s41, 1
	s_mov_b64 s[38:39], 0
.LBB619_61:                             ;   Parent Loop BB619_58 Depth=1
                                        ; =>  This Loop Header: Depth=2
                                        ;       Child Loop BB619_62 Depth 3
	s_max_u32 s42, s41, 1
.LBB619_62:                             ;   Parent Loop BB619_58 Depth=1
                                        ;     Parent Loop BB619_61 Depth=2
                                        ; =>    This Inner Loop Header: Depth=3
	s_add_i32 s42, s42, -1
	s_cmp_eq_u32 s42, 0
	s_sleep 1
	s_cbranch_scc0 .LBB619_62
; %bb.63:                               ;   in Loop: Header=BB619_61 Depth=2
	global_load_dwordx2 v[18:19], v[20:21], off glc
	s_cmp_lt_u32 s41, 32
	s_cselect_b64 s[42:43], -1, 0
	s_cmp_lg_u64 s[42:43], 0
	s_addc_u32 s41, s41, 0
	s_waitcnt vmcnt(0)
	v_cmp_ne_u16_sdwa s[42:43], v19, v15 src0_sel:BYTE_0 src1_sel:DWORD
	s_or_b64 s[38:39], s[42:43], s[38:39]
	s_andn2_b64 exec, exec, s[38:39]
	s_cbranch_execnz .LBB619_61
; %bb.64:                               ;   in Loop: Header=BB619_58 Depth=1
	s_or_b64 exec, exec, s[38:39]
	s_branch .LBB619_57
.LBB619_65:                             ;   in Loop: Header=BB619_58 Depth=1
                                        ; implicit-def: $vgpr18
                                        ; implicit-def: $vgpr19
	s_cbranch_execz .LBB619_58
; %bb.66:
	s_and_saveexec_b64 s[36:37], s[16:17]
	s_cbranch_execz .LBB619_68
; %bb.67:
	s_add_i32 s38, s40, 64
	s_mov_b32 s39, 0
	s_lshl_b64 s[38:39], s[38:39], 3
	s_add_u32 s38, s30, s38
	v_add_u32_e32 v14, v9, v8
	v_mov_b32_e32 v15, 2
	s_addc_u32 s39, s31, s39
	v_mov_b32_e32 v16, 0
	global_store_dwordx2 v16, v[14:15], s[38:39]
	ds_write_b64 v16, v[8:9] offset:7168
.LBB619_68:
	s_or_b64 exec, exec, s[36:37]
	s_and_b64 exec, exec, s[0:1]
	s_cbranch_execz .LBB619_70
; %bb.69:
	v_mov_b32_e32 v8, 0
	ds_write_b32 v8, v9 offset:12
.LBB619_70:
	s_or_b64 exec, exec, s[34:35]
	v_mov_b32_e32 v8, 0
	s_waitcnt lgkmcnt(0)
	s_barrier
	ds_read_b32 v9, v8 offset:12
	v_cndmask_b32_e64 v14, v36, v35, s[16:17]
	v_cndmask_b32_e64 v14, v14, 0, s[0:1]
	s_waitcnt lgkmcnt(0)
	s_barrier
	v_add_u32_e32 v20, v9, v14
	v_add_u32_e32 v19, v20, v30
	;; [unrolled: 1-line block ×3, first 2 shown]
	ds_read_b64 v[8:9], v8 offset:7168
	v_add_u32_e32 v16, v18, v28
	v_add_u32_e32 v17, v16, v27
	v_add_u32_e32 v15, v17, v26
	v_add_u32_e32 v14, v15, v25
	s_branch .LBB619_81
.LBB619_71:
                                        ; implicit-def: $vgpr9
                                        ; implicit-def: $vgpr14
                                        ; implicit-def: $vgpr15
                                        ; implicit-def: $vgpr17
                                        ; implicit-def: $vgpr16
                                        ; implicit-def: $vgpr18
                                        ; implicit-def: $vgpr19
                                        ; implicit-def: $vgpr20
	s_cbranch_execz .LBB619_81
; %bb.72:
	s_waitcnt lgkmcnt(0)
	v_mov_b32_dpp v8, v34 row_shr:1 row_mask:0xf bank_mask:0xf
	v_cndmask_b32_e64 v8, v8, 0, s[14:15]
	v_add_u32_e32 v8, v8, v34
	s_nop 1
	v_mov_b32_dpp v9, v8 row_shr:2 row_mask:0xf bank_mask:0xf
	v_cndmask_b32_e64 v9, 0, v9, s[12:13]
	v_add_u32_e32 v8, v8, v9
	s_nop 1
	;; [unrolled: 4-line block ×4, first 2 shown]
	v_mov_b32_dpp v9, v8 row_bcast:15 row_mask:0xf bank_mask:0xf
	v_cndmask_b32_e64 v9, v9, 0, s[6:7]
	v_add_u32_e32 v8, v8, v9
	s_nop 1
	v_mov_b32_dpp v9, v8 row_bcast:31 row_mask:0xf bank_mask:0xf
	v_cndmask_b32_e64 v9, 0, v9, s[2:3]
	v_add_u32_e32 v8, v8, v9
	s_and_saveexec_b64 s[2:3], s[4:5]
	s_cbranch_execz .LBB619_74
; %bb.73:
	v_lshlrev_b32_e32 v9, 2, v33
	ds_write_b32 v9, v8
.LBB619_74:
	s_or_b64 exec, exec, s[2:3]
	v_cmp_gt_u32_e32 vcc, 4, v0
	s_waitcnt lgkmcnt(0)
	s_barrier
	s_and_saveexec_b64 s[2:3], vcc
	s_cbranch_execz .LBB619_76
; %bb.75:
	v_mad_i32_i24 v9, v0, -3, v32
	ds_read_b32 v14, v9
	v_and_b32_e32 v15, 3, v31
	v_cmp_ne_u32_e32 vcc, 0, v15
	s_waitcnt lgkmcnt(0)
	v_mov_b32_dpp v16, v14 row_shr:1 row_mask:0xf bank_mask:0xf
	v_cndmask_b32_e32 v16, 0, v16, vcc
	v_add_u32_e32 v14, v16, v14
	v_cmp_lt_u32_e32 vcc, 1, v15
	s_nop 0
	v_mov_b32_dpp v16, v14 row_shr:2 row_mask:0xf bank_mask:0xf
	v_cndmask_b32_e32 v15, 0, v16, vcc
	v_add_u32_e32 v14, v14, v15
	ds_write_b32 v9, v14
.LBB619_76:
	s_or_b64 exec, exec, s[2:3]
	v_cmp_lt_u32_e32 vcc, 63, v0
	v_mov_b32_e32 v9, 0
	v_mov_b32_e32 v14, 0
	s_waitcnt lgkmcnt(0)
	s_barrier
	s_and_saveexec_b64 s[2:3], vcc
	s_cbranch_execz .LBB619_78
; %bb.77:
	v_lshl_add_u32 v14, v33, 2, -4
	ds_read_b32 v14, v14
.LBB619_78:
	s_or_b64 exec, exec, s[2:3]
	v_add_u32_e32 v15, -1, v31
	v_and_b32_e32 v16, 64, v31
	v_cmp_lt_i32_e32 vcc, v15, v16
	v_cndmask_b32_e32 v15, v15, v31, vcc
	s_waitcnt lgkmcnt(0)
	v_add_u32_e32 v8, v14, v8
	v_lshlrev_b32_e32 v15, 2, v15
	ds_bpermute_b32 v15, v15, v8
	ds_read_b32 v8, v9 offset:12
	s_and_saveexec_b64 s[2:3], s[0:1]
	s_cbranch_execz .LBB619_80
; %bb.79:
	v_mov_b32_e32 v16, 0
	v_mov_b32_e32 v9, 2
	s_waitcnt lgkmcnt(0)
	global_store_dwordx2 v16, v[8:9], s[30:31] offset:512
.LBB619_80:
	s_or_b64 exec, exec, s[2:3]
	v_cmp_eq_u32_e32 vcc, 0, v31
	s_waitcnt lgkmcnt(1)
	v_cndmask_b32_e32 v14, v15, v14, vcc
	v_cndmask_b32_e64 v20, v14, 0, s[0:1]
	v_add_u32_e32 v19, v20, v30
	v_add_u32_e32 v18, v19, v29
	;; [unrolled: 1-line block ×5, first 2 shown]
	v_mov_b32_e32 v9, 0
	v_add_u32_e32 v14, v15, v25
	s_waitcnt lgkmcnt(0)
	s_barrier
.LBB619_81:
	s_waitcnt lgkmcnt(0)
	v_add_u32_e32 v21, v8, v24
	v_sub_u32_e32 v20, v20, v9
	v_sub_u32_e32 v24, v21, v20
	v_cmp_eq_u32_e32 vcc, 1, v30
	v_cndmask_b32_e32 v20, v24, v20, vcc
	v_lshlrev_b32_e32 v20, 2, v20
	ds_write_b32 v20, v6
	v_sub_u32_e32 v6, v19, v9
	v_sub_u32_e32 v19, v21, v6
	v_add_u32_e32 v19, 1, v19
	v_cmp_eq_u32_e32 vcc, 1, v29
	v_cndmask_b32_e32 v6, v19, v6, vcc
	v_lshlrev_b32_e32 v6, 2, v6
	ds_write_b32 v6, v7
	v_sub_u32_e32 v6, v18, v9
	v_sub_u32_e32 v7, v21, v6
	v_add_u32_e32 v7, 2, v7
	v_cmp_eq_u32_e32 vcc, 1, v28
	v_cndmask_b32_e32 v6, v7, v6, vcc
	v_lshlrev_b32_e32 v6, 2, v6
	ds_write_b32 v6, v4
	v_sub_u32_e32 v4, v16, v9
	v_sub_u32_e32 v6, v21, v4
	v_add_u32_e32 v6, 3, v6
	v_cmp_eq_u32_e32 vcc, 1, v27
	v_cndmask_b32_e32 v4, v6, v4, vcc
	v_lshlrev_b32_e32 v4, 2, v4
	ds_write_b32 v4, v5
	v_sub_u32_e32 v4, v17, v9
	v_sub_u32_e32 v5, v21, v4
	v_add_u32_e32 v5, 4, v5
	v_cmp_eq_u32_e32 vcc, 1, v26
	v_cndmask_b32_e32 v4, v5, v4, vcc
	v_lshlrev_b32_e32 v4, 2, v4
	ds_write_b32 v4, v2
	v_sub_u32_e32 v2, v15, v9
	v_sub_u32_e32 v4, v21, v2
	v_add_u32_e32 v4, 5, v4
	v_cmp_eq_u32_e32 vcc, 1, v25
	v_cndmask_b32_e32 v2, v4, v2, vcc
	v_lshlrev_b32_e32 v2, 2, v2
	ds_write_b32 v2, v3
	v_sub_u32_e32 v2, v14, v9
	v_sub_u32_e32 v3, v21, v2
	v_add_u32_e32 v3, 6, v3
	v_cmp_eq_u32_e32 vcc, 1, v1
	v_cndmask_b32_e32 v1, v3, v2, vcc
	s_waitcnt vmcnt(0)
	v_add_co_u32_e32 v24, vcc, v10, v9
	v_addc_co_u32_e32 v25, vcc, 0, v11, vcc
	v_add_co_u32_e32 v2, vcc, v24, v8
	v_addc_co_u32_e32 v3, vcc, 0, v25, vcc
	v_mov_b32_e32 v9, s19
	v_sub_co_u32_e32 v10, vcc, s18, v2
	v_subb_co_u32_e32 v11, vcc, v9, v3, vcc
	v_lshlrev_b64 v[10:11], 2, v[10:11]
	v_lshlrev_b32_e32 v1, 2, v1
	v_mov_b32_e32 v9, s27
	v_add_co_u32_e32 v10, vcc, s26, v10
	ds_write_b32 v1, v23
	s_waitcnt lgkmcnt(0)
	s_barrier
	ds_read2st64_b32 v[14:15], v22 offset1:4
	ds_read2st64_b32 v[6:7], v22 offset0:8 offset1:12
	ds_read2st64_b32 v[4:5], v22 offset0:16 offset1:20
	ds_read_b32 v1, v22 offset:6144
	v_addc_co_u32_e32 v11, vcc, v9, v11, vcc
	v_add_co_u32_e32 v9, vcc, v10, v12
	v_addc_co_u32_e32 v10, vcc, v11, v13, vcc
	v_lshlrev_b64 v[12:13], 2, v[24:25]
	v_mov_b32_e32 v23, s25
	v_add_co_u32_e64 v11, s[2:3], s24, v12
	v_or_b32_e32 v21, 0x100, v0
	v_or_b32_e32 v20, 0x200, v0
	;; [unrolled: 1-line block ×6, first 2 shown]
	s_andn2_b64 vcc, exec, s[28:29]
	v_addc_co_u32_e64 v12, s[2:3], v23, v13, s[2:3]
	s_cbranch_vccnz .LBB619_83
; %bb.82:
	v_cmp_gt_u32_e32 vcc, v8, v0
	v_cndmask_b32_e32 v23, v9, v11, vcc
	v_cndmask_b32_e32 v13, v10, v12, vcc
	v_add_co_u32_e32 v24, vcc, v23, v22
	v_addc_co_u32_e32 v25, vcc, 0, v13, vcc
	v_cmp_lt_u32_e32 vcc, v21, v8
	v_cndmask_b32_e32 v23, v9, v11, vcc
	s_waitcnt lgkmcnt(3)
	global_store_dword v[24:25], v14, off
	v_cndmask_b32_e32 v13, v10, v12, vcc
	v_add_co_u32_e32 v24, vcc, v23, v22
	v_addc_co_u32_e32 v25, vcc, 0, v13, vcc
	v_cmp_lt_u32_e32 vcc, v20, v8
	v_cndmask_b32_e32 v23, v9, v11, vcc
	global_store_dword v[24:25], v15, off offset:1024
	v_cndmask_b32_e32 v13, v10, v12, vcc
	v_add_co_u32_e32 v24, vcc, v23, v22
	v_addc_co_u32_e32 v25, vcc, 0, v13, vcc
	v_cmp_lt_u32_e32 vcc, v19, v8
	v_cndmask_b32_e32 v23, v9, v11, vcc
	s_waitcnt lgkmcnt(2)
	global_store_dword v[24:25], v6, off offset:2048
	v_cndmask_b32_e32 v13, v10, v12, vcc
	v_add_co_u32_e32 v24, vcc, v23, v22
	v_addc_co_u32_e32 v25, vcc, 0, v13, vcc
	v_cmp_lt_u32_e32 vcc, v18, v8
	global_store_dword v[24:25], v7, off offset:3072
	v_cndmask_b32_e32 v23, v9, v11, vcc
	v_lshlrev_b32_e32 v24, 2, v18
	v_cndmask_b32_e32 v13, v10, v12, vcc
	v_add_co_u32_e32 v24, vcc, v23, v24
	v_addc_co_u32_e32 v25, vcc, 0, v13, vcc
	v_cmp_lt_u32_e32 vcc, v17, v8
	s_waitcnt lgkmcnt(1)
	global_store_dword v[24:25], v4, off
	v_cndmask_b32_e32 v23, v9, v11, vcc
	v_lshlrev_b32_e32 v24, 2, v17
	v_cndmask_b32_e32 v13, v10, v12, vcc
	v_add_co_u32_e32 v24, vcc, v23, v24
	v_addc_co_u32_e32 v25, vcc, 0, v13, vcc
	s_mov_b64 s[2:3], -1
	global_store_dword v[24:25], v5, off
	s_cbranch_execz .LBB619_84
	s_branch .LBB619_92
.LBB619_83:
	s_mov_b64 s[2:3], 0
.LBB619_84:
	v_cmp_gt_u32_e32 vcc, s33, v0
	s_and_saveexec_b64 s[2:3], vcc
	s_cbranch_execnz .LBB619_97
; %bb.85:
	s_or_b64 exec, exec, s[2:3]
	v_cmp_gt_u32_e32 vcc, s33, v21
	s_and_saveexec_b64 s[2:3], vcc
	s_cbranch_execnz .LBB619_98
.LBB619_86:
	s_or_b64 exec, exec, s[2:3]
	v_cmp_gt_u32_e32 vcc, s33, v20
	s_and_saveexec_b64 s[2:3], vcc
	s_cbranch_execnz .LBB619_99
.LBB619_87:
	s_or_b64 exec, exec, s[2:3]
	v_cmp_gt_u32_e32 vcc, s33, v19
	s_and_saveexec_b64 s[2:3], vcc
	s_cbranch_execnz .LBB619_100
.LBB619_88:
	s_or_b64 exec, exec, s[2:3]
	v_cmp_gt_u32_e32 vcc, s33, v18
	s_and_saveexec_b64 s[2:3], vcc
	s_cbranch_execnz .LBB619_101
.LBB619_89:
	s_or_b64 exec, exec, s[2:3]
	v_cmp_gt_u32_e32 vcc, s33, v17
	s_and_saveexec_b64 s[2:3], vcc
	s_cbranch_execz .LBB619_91
.LBB619_90:
	v_cmp_lt_u32_e32 vcc, v17, v8
	s_waitcnt lgkmcnt(1)
	v_cndmask_b32_e32 v4, v9, v11, vcc
	v_lshlrev_b32_e32 v6, 2, v17
	v_cndmask_b32_e32 v0, v10, v12, vcc
	v_add_co_u32_e32 v6, vcc, v4, v6
	v_addc_co_u32_e32 v7, vcc, 0, v0, vcc
	global_store_dword v[6:7], v5, off
.LBB619_91:
	s_or_b64 exec, exec, s[2:3]
	v_cmp_gt_u32_e64 s[2:3], s33, v16
.LBB619_92:
	s_and_saveexec_b64 s[4:5], s[2:3]
	s_cbranch_execnz .LBB619_95
; %bb.93:
	s_or_b64 exec, exec, s[4:5]
	s_and_b64 s[0:1], s[0:1], s[22:23]
	s_and_saveexec_b64 s[2:3], s[0:1]
	s_cbranch_execnz .LBB619_96
.LBB619_94:
	s_endpgm
.LBB619_95:
	v_cmp_lt_u32_e32 vcc, v16, v8
	s_waitcnt lgkmcnt(1)
	v_cndmask_b32_e32 v4, v9, v11, vcc
	v_lshlrev_b32_e32 v5, 2, v16
	v_cndmask_b32_e32 v0, v10, v12, vcc
	v_add_co_u32_e32 v4, vcc, v4, v5
	v_addc_co_u32_e32 v5, vcc, 0, v0, vcc
	s_waitcnt lgkmcnt(0)
	global_store_dword v[4:5], v1, off
	s_or_b64 exec, exec, s[4:5]
	s_and_b64 s[0:1], s[0:1], s[22:23]
	s_and_saveexec_b64 s[2:3], s[0:1]
	s_cbranch_execz .LBB619_94
.LBB619_96:
	v_mov_b32_e32 v0, 0
	global_store_dwordx2 v0, v[2:3], s[20:21]
	s_endpgm
.LBB619_97:
	v_cmp_gt_u32_e32 vcc, v8, v0
	v_cndmask_b32_e32 v13, v9, v11, vcc
	v_cndmask_b32_e32 v0, v10, v12, vcc
	v_add_co_u32_e32 v24, vcc, v13, v22
	v_addc_co_u32_e32 v25, vcc, 0, v0, vcc
	s_waitcnt lgkmcnt(3)
	global_store_dword v[24:25], v14, off
	s_or_b64 exec, exec, s[2:3]
	v_cmp_gt_u32_e32 vcc, s33, v21
	s_and_saveexec_b64 s[2:3], vcc
	s_cbranch_execz .LBB619_86
.LBB619_98:
	v_cmp_lt_u32_e32 vcc, v21, v8
	v_cndmask_b32_e32 v13, v9, v11, vcc
	v_cndmask_b32_e32 v0, v10, v12, vcc
	v_add_co_u32_e32 v24, vcc, v13, v22
	v_addc_co_u32_e32 v25, vcc, 0, v0, vcc
	s_waitcnt lgkmcnt(3)
	global_store_dword v[24:25], v15, off offset:1024
	s_or_b64 exec, exec, s[2:3]
	v_cmp_gt_u32_e32 vcc, s33, v20
	s_and_saveexec_b64 s[2:3], vcc
	s_cbranch_execz .LBB619_87
.LBB619_99:
	v_cmp_lt_u32_e32 vcc, v20, v8
	v_cndmask_b32_e32 v13, v9, v11, vcc
	v_cndmask_b32_e32 v0, v10, v12, vcc
	s_waitcnt lgkmcnt(3)
	v_add_co_u32_e32 v14, vcc, v13, v22
	v_addc_co_u32_e32 v15, vcc, 0, v0, vcc
	s_waitcnt lgkmcnt(2)
	global_store_dword v[14:15], v6, off offset:2048
	s_or_b64 exec, exec, s[2:3]
	v_cmp_gt_u32_e32 vcc, s33, v19
	s_and_saveexec_b64 s[2:3], vcc
	s_cbranch_execz .LBB619_88
.LBB619_100:
	v_cmp_lt_u32_e32 vcc, v19, v8
	s_waitcnt lgkmcnt(2)
	v_cndmask_b32_e32 v6, v9, v11, vcc
	v_cndmask_b32_e32 v0, v10, v12, vcc
	v_add_co_u32_e32 v14, vcc, v6, v22
	v_addc_co_u32_e32 v15, vcc, 0, v0, vcc
	global_store_dword v[14:15], v7, off offset:3072
	s_or_b64 exec, exec, s[2:3]
	v_cmp_gt_u32_e32 vcc, s33, v18
	s_and_saveexec_b64 s[2:3], vcc
	s_cbranch_execz .LBB619_89
.LBB619_101:
	v_cmp_lt_u32_e32 vcc, v18, v8
	s_waitcnt lgkmcnt(2)
	v_cndmask_b32_e32 v6, v9, v11, vcc
	v_lshlrev_b32_e32 v7, 2, v18
	v_cndmask_b32_e32 v0, v10, v12, vcc
	v_add_co_u32_e32 v6, vcc, v6, v7
	v_addc_co_u32_e32 v7, vcc, 0, v0, vcc
	s_waitcnt lgkmcnt(1)
	global_store_dword v[6:7], v4, off
	s_or_b64 exec, exec, s[2:3]
	v_cmp_gt_u32_e32 vcc, s33, v17
	s_and_saveexec_b64 s[2:3], vcc
	s_cbranch_execnz .LBB619_90
	s_branch .LBB619_91
	.section	.rodata,"a",@progbits
	.p2align	6, 0x0
	.amdhsa_kernel _ZN7rocprim17ROCPRIM_400000_NS6detail17trampoline_kernelINS0_14default_configENS1_25partition_config_selectorILNS1_17partition_subalgoE1EiNS0_10empty_typeEbEEZZNS1_14partition_implILS5_1ELb0ES3_jN6thrust23THRUST_200600_302600_NS6detail15normal_iteratorINSA_10device_ptrIiEEEEPS6_NSA_18transform_iteratorINSA_8identityIiEESF_NSA_11use_defaultESK_EENS0_5tupleIJSF_SF_EEENSM_IJSG_SG_EEES6_PlJS6_EEE10hipError_tPvRmT3_T4_T5_T6_T7_T9_mT8_P12ihipStream_tbDpT10_ENKUlT_T0_E_clISt17integral_constantIbLb1EES19_EEDaS14_S15_EUlS14_E_NS1_11comp_targetILNS1_3genE4ELNS1_11target_archE910ELNS1_3gpuE8ELNS1_3repE0EEENS1_30default_config_static_selectorELNS0_4arch9wavefront6targetE1EEEvT1_
		.amdhsa_group_segment_fixed_size 7176
		.amdhsa_private_segment_fixed_size 0
		.amdhsa_kernarg_size 144
		.amdhsa_user_sgpr_count 6
		.amdhsa_user_sgpr_private_segment_buffer 1
		.amdhsa_user_sgpr_dispatch_ptr 0
		.amdhsa_user_sgpr_queue_ptr 0
		.amdhsa_user_sgpr_kernarg_segment_ptr 1
		.amdhsa_user_sgpr_dispatch_id 0
		.amdhsa_user_sgpr_flat_scratch_init 0
		.amdhsa_user_sgpr_kernarg_preload_length 0
		.amdhsa_user_sgpr_kernarg_preload_offset 0
		.amdhsa_user_sgpr_private_segment_size 0
		.amdhsa_uses_dynamic_stack 0
		.amdhsa_system_sgpr_private_segment_wavefront_offset 0
		.amdhsa_system_sgpr_workgroup_id_x 1
		.amdhsa_system_sgpr_workgroup_id_y 0
		.amdhsa_system_sgpr_workgroup_id_z 0
		.amdhsa_system_sgpr_workgroup_info 0
		.amdhsa_system_vgpr_workitem_id 0
		.amdhsa_next_free_vgpr 51
		.amdhsa_next_free_sgpr 44
		.amdhsa_accum_offset 52
		.amdhsa_reserve_vcc 1
		.amdhsa_reserve_flat_scratch 0
		.amdhsa_float_round_mode_32 0
		.amdhsa_float_round_mode_16_64 0
		.amdhsa_float_denorm_mode_32 3
		.amdhsa_float_denorm_mode_16_64 3
		.amdhsa_dx10_clamp 1
		.amdhsa_ieee_mode 1
		.amdhsa_fp16_overflow 0
		.amdhsa_tg_split 0
		.amdhsa_exception_fp_ieee_invalid_op 0
		.amdhsa_exception_fp_denorm_src 0
		.amdhsa_exception_fp_ieee_div_zero 0
		.amdhsa_exception_fp_ieee_overflow 0
		.amdhsa_exception_fp_ieee_underflow 0
		.amdhsa_exception_fp_ieee_inexact 0
		.amdhsa_exception_int_div_zero 0
	.end_amdhsa_kernel
	.section	.text._ZN7rocprim17ROCPRIM_400000_NS6detail17trampoline_kernelINS0_14default_configENS1_25partition_config_selectorILNS1_17partition_subalgoE1EiNS0_10empty_typeEbEEZZNS1_14partition_implILS5_1ELb0ES3_jN6thrust23THRUST_200600_302600_NS6detail15normal_iteratorINSA_10device_ptrIiEEEEPS6_NSA_18transform_iteratorINSA_8identityIiEESF_NSA_11use_defaultESK_EENS0_5tupleIJSF_SF_EEENSM_IJSG_SG_EEES6_PlJS6_EEE10hipError_tPvRmT3_T4_T5_T6_T7_T9_mT8_P12ihipStream_tbDpT10_ENKUlT_T0_E_clISt17integral_constantIbLb1EES19_EEDaS14_S15_EUlS14_E_NS1_11comp_targetILNS1_3genE4ELNS1_11target_archE910ELNS1_3gpuE8ELNS1_3repE0EEENS1_30default_config_static_selectorELNS0_4arch9wavefront6targetE1EEEvT1_,"axG",@progbits,_ZN7rocprim17ROCPRIM_400000_NS6detail17trampoline_kernelINS0_14default_configENS1_25partition_config_selectorILNS1_17partition_subalgoE1EiNS0_10empty_typeEbEEZZNS1_14partition_implILS5_1ELb0ES3_jN6thrust23THRUST_200600_302600_NS6detail15normal_iteratorINSA_10device_ptrIiEEEEPS6_NSA_18transform_iteratorINSA_8identityIiEESF_NSA_11use_defaultESK_EENS0_5tupleIJSF_SF_EEENSM_IJSG_SG_EEES6_PlJS6_EEE10hipError_tPvRmT3_T4_T5_T6_T7_T9_mT8_P12ihipStream_tbDpT10_ENKUlT_T0_E_clISt17integral_constantIbLb1EES19_EEDaS14_S15_EUlS14_E_NS1_11comp_targetILNS1_3genE4ELNS1_11target_archE910ELNS1_3gpuE8ELNS1_3repE0EEENS1_30default_config_static_selectorELNS0_4arch9wavefront6targetE1EEEvT1_,comdat
.Lfunc_end619:
	.size	_ZN7rocprim17ROCPRIM_400000_NS6detail17trampoline_kernelINS0_14default_configENS1_25partition_config_selectorILNS1_17partition_subalgoE1EiNS0_10empty_typeEbEEZZNS1_14partition_implILS5_1ELb0ES3_jN6thrust23THRUST_200600_302600_NS6detail15normal_iteratorINSA_10device_ptrIiEEEEPS6_NSA_18transform_iteratorINSA_8identityIiEESF_NSA_11use_defaultESK_EENS0_5tupleIJSF_SF_EEENSM_IJSG_SG_EEES6_PlJS6_EEE10hipError_tPvRmT3_T4_T5_T6_T7_T9_mT8_P12ihipStream_tbDpT10_ENKUlT_T0_E_clISt17integral_constantIbLb1EES19_EEDaS14_S15_EUlS14_E_NS1_11comp_targetILNS1_3genE4ELNS1_11target_archE910ELNS1_3gpuE8ELNS1_3repE0EEENS1_30default_config_static_selectorELNS0_4arch9wavefront6targetE1EEEvT1_, .Lfunc_end619-_ZN7rocprim17ROCPRIM_400000_NS6detail17trampoline_kernelINS0_14default_configENS1_25partition_config_selectorILNS1_17partition_subalgoE1EiNS0_10empty_typeEbEEZZNS1_14partition_implILS5_1ELb0ES3_jN6thrust23THRUST_200600_302600_NS6detail15normal_iteratorINSA_10device_ptrIiEEEEPS6_NSA_18transform_iteratorINSA_8identityIiEESF_NSA_11use_defaultESK_EENS0_5tupleIJSF_SF_EEENSM_IJSG_SG_EEES6_PlJS6_EEE10hipError_tPvRmT3_T4_T5_T6_T7_T9_mT8_P12ihipStream_tbDpT10_ENKUlT_T0_E_clISt17integral_constantIbLb1EES19_EEDaS14_S15_EUlS14_E_NS1_11comp_targetILNS1_3genE4ELNS1_11target_archE910ELNS1_3gpuE8ELNS1_3repE0EEENS1_30default_config_static_selectorELNS0_4arch9wavefront6targetE1EEEvT1_
                                        ; -- End function
	.section	.AMDGPU.csdata,"",@progbits
; Kernel info:
; codeLenInByte = 4948
; NumSgprs: 48
; NumVgprs: 51
; NumAgprs: 0
; TotalNumVgprs: 51
; ScratchSize: 0
; MemoryBound: 0
; FloatMode: 240
; IeeeMode: 1
; LDSByteSize: 7176 bytes/workgroup (compile time only)
; SGPRBlocks: 5
; VGPRBlocks: 6
; NumSGPRsForWavesPerEU: 48
; NumVGPRsForWavesPerEU: 51
; AccumOffset: 52
; Occupancy: 8
; WaveLimiterHint : 1
; COMPUTE_PGM_RSRC2:SCRATCH_EN: 0
; COMPUTE_PGM_RSRC2:USER_SGPR: 6
; COMPUTE_PGM_RSRC2:TRAP_HANDLER: 0
; COMPUTE_PGM_RSRC2:TGID_X_EN: 1
; COMPUTE_PGM_RSRC2:TGID_Y_EN: 0
; COMPUTE_PGM_RSRC2:TGID_Z_EN: 0
; COMPUTE_PGM_RSRC2:TIDIG_COMP_CNT: 0
; COMPUTE_PGM_RSRC3_GFX90A:ACCUM_OFFSET: 12
; COMPUTE_PGM_RSRC3_GFX90A:TG_SPLIT: 0
	.section	.text._ZN7rocprim17ROCPRIM_400000_NS6detail17trampoline_kernelINS0_14default_configENS1_25partition_config_selectorILNS1_17partition_subalgoE1EiNS0_10empty_typeEbEEZZNS1_14partition_implILS5_1ELb0ES3_jN6thrust23THRUST_200600_302600_NS6detail15normal_iteratorINSA_10device_ptrIiEEEEPS6_NSA_18transform_iteratorINSA_8identityIiEESF_NSA_11use_defaultESK_EENS0_5tupleIJSF_SF_EEENSM_IJSG_SG_EEES6_PlJS6_EEE10hipError_tPvRmT3_T4_T5_T6_T7_T9_mT8_P12ihipStream_tbDpT10_ENKUlT_T0_E_clISt17integral_constantIbLb1EES19_EEDaS14_S15_EUlS14_E_NS1_11comp_targetILNS1_3genE3ELNS1_11target_archE908ELNS1_3gpuE7ELNS1_3repE0EEENS1_30default_config_static_selectorELNS0_4arch9wavefront6targetE1EEEvT1_,"axG",@progbits,_ZN7rocprim17ROCPRIM_400000_NS6detail17trampoline_kernelINS0_14default_configENS1_25partition_config_selectorILNS1_17partition_subalgoE1EiNS0_10empty_typeEbEEZZNS1_14partition_implILS5_1ELb0ES3_jN6thrust23THRUST_200600_302600_NS6detail15normal_iteratorINSA_10device_ptrIiEEEEPS6_NSA_18transform_iteratorINSA_8identityIiEESF_NSA_11use_defaultESK_EENS0_5tupleIJSF_SF_EEENSM_IJSG_SG_EEES6_PlJS6_EEE10hipError_tPvRmT3_T4_T5_T6_T7_T9_mT8_P12ihipStream_tbDpT10_ENKUlT_T0_E_clISt17integral_constantIbLb1EES19_EEDaS14_S15_EUlS14_E_NS1_11comp_targetILNS1_3genE3ELNS1_11target_archE908ELNS1_3gpuE7ELNS1_3repE0EEENS1_30default_config_static_selectorELNS0_4arch9wavefront6targetE1EEEvT1_,comdat
	.protected	_ZN7rocprim17ROCPRIM_400000_NS6detail17trampoline_kernelINS0_14default_configENS1_25partition_config_selectorILNS1_17partition_subalgoE1EiNS0_10empty_typeEbEEZZNS1_14partition_implILS5_1ELb0ES3_jN6thrust23THRUST_200600_302600_NS6detail15normal_iteratorINSA_10device_ptrIiEEEEPS6_NSA_18transform_iteratorINSA_8identityIiEESF_NSA_11use_defaultESK_EENS0_5tupleIJSF_SF_EEENSM_IJSG_SG_EEES6_PlJS6_EEE10hipError_tPvRmT3_T4_T5_T6_T7_T9_mT8_P12ihipStream_tbDpT10_ENKUlT_T0_E_clISt17integral_constantIbLb1EES19_EEDaS14_S15_EUlS14_E_NS1_11comp_targetILNS1_3genE3ELNS1_11target_archE908ELNS1_3gpuE7ELNS1_3repE0EEENS1_30default_config_static_selectorELNS0_4arch9wavefront6targetE1EEEvT1_ ; -- Begin function _ZN7rocprim17ROCPRIM_400000_NS6detail17trampoline_kernelINS0_14default_configENS1_25partition_config_selectorILNS1_17partition_subalgoE1EiNS0_10empty_typeEbEEZZNS1_14partition_implILS5_1ELb0ES3_jN6thrust23THRUST_200600_302600_NS6detail15normal_iteratorINSA_10device_ptrIiEEEEPS6_NSA_18transform_iteratorINSA_8identityIiEESF_NSA_11use_defaultESK_EENS0_5tupleIJSF_SF_EEENSM_IJSG_SG_EEES6_PlJS6_EEE10hipError_tPvRmT3_T4_T5_T6_T7_T9_mT8_P12ihipStream_tbDpT10_ENKUlT_T0_E_clISt17integral_constantIbLb1EES19_EEDaS14_S15_EUlS14_E_NS1_11comp_targetILNS1_3genE3ELNS1_11target_archE908ELNS1_3gpuE7ELNS1_3repE0EEENS1_30default_config_static_selectorELNS0_4arch9wavefront6targetE1EEEvT1_
	.globl	_ZN7rocprim17ROCPRIM_400000_NS6detail17trampoline_kernelINS0_14default_configENS1_25partition_config_selectorILNS1_17partition_subalgoE1EiNS0_10empty_typeEbEEZZNS1_14partition_implILS5_1ELb0ES3_jN6thrust23THRUST_200600_302600_NS6detail15normal_iteratorINSA_10device_ptrIiEEEEPS6_NSA_18transform_iteratorINSA_8identityIiEESF_NSA_11use_defaultESK_EENS0_5tupleIJSF_SF_EEENSM_IJSG_SG_EEES6_PlJS6_EEE10hipError_tPvRmT3_T4_T5_T6_T7_T9_mT8_P12ihipStream_tbDpT10_ENKUlT_T0_E_clISt17integral_constantIbLb1EES19_EEDaS14_S15_EUlS14_E_NS1_11comp_targetILNS1_3genE3ELNS1_11target_archE908ELNS1_3gpuE7ELNS1_3repE0EEENS1_30default_config_static_selectorELNS0_4arch9wavefront6targetE1EEEvT1_
	.p2align	8
	.type	_ZN7rocprim17ROCPRIM_400000_NS6detail17trampoline_kernelINS0_14default_configENS1_25partition_config_selectorILNS1_17partition_subalgoE1EiNS0_10empty_typeEbEEZZNS1_14partition_implILS5_1ELb0ES3_jN6thrust23THRUST_200600_302600_NS6detail15normal_iteratorINSA_10device_ptrIiEEEEPS6_NSA_18transform_iteratorINSA_8identityIiEESF_NSA_11use_defaultESK_EENS0_5tupleIJSF_SF_EEENSM_IJSG_SG_EEES6_PlJS6_EEE10hipError_tPvRmT3_T4_T5_T6_T7_T9_mT8_P12ihipStream_tbDpT10_ENKUlT_T0_E_clISt17integral_constantIbLb1EES19_EEDaS14_S15_EUlS14_E_NS1_11comp_targetILNS1_3genE3ELNS1_11target_archE908ELNS1_3gpuE7ELNS1_3repE0EEENS1_30default_config_static_selectorELNS0_4arch9wavefront6targetE1EEEvT1_,@function
_ZN7rocprim17ROCPRIM_400000_NS6detail17trampoline_kernelINS0_14default_configENS1_25partition_config_selectorILNS1_17partition_subalgoE1EiNS0_10empty_typeEbEEZZNS1_14partition_implILS5_1ELb0ES3_jN6thrust23THRUST_200600_302600_NS6detail15normal_iteratorINSA_10device_ptrIiEEEEPS6_NSA_18transform_iteratorINSA_8identityIiEESF_NSA_11use_defaultESK_EENS0_5tupleIJSF_SF_EEENSM_IJSG_SG_EEES6_PlJS6_EEE10hipError_tPvRmT3_T4_T5_T6_T7_T9_mT8_P12ihipStream_tbDpT10_ENKUlT_T0_E_clISt17integral_constantIbLb1EES19_EEDaS14_S15_EUlS14_E_NS1_11comp_targetILNS1_3genE3ELNS1_11target_archE908ELNS1_3gpuE7ELNS1_3repE0EEENS1_30default_config_static_selectorELNS0_4arch9wavefront6targetE1EEEvT1_: ; @_ZN7rocprim17ROCPRIM_400000_NS6detail17trampoline_kernelINS0_14default_configENS1_25partition_config_selectorILNS1_17partition_subalgoE1EiNS0_10empty_typeEbEEZZNS1_14partition_implILS5_1ELb0ES3_jN6thrust23THRUST_200600_302600_NS6detail15normal_iteratorINSA_10device_ptrIiEEEEPS6_NSA_18transform_iteratorINSA_8identityIiEESF_NSA_11use_defaultESK_EENS0_5tupleIJSF_SF_EEENSM_IJSG_SG_EEES6_PlJS6_EEE10hipError_tPvRmT3_T4_T5_T6_T7_T9_mT8_P12ihipStream_tbDpT10_ENKUlT_T0_E_clISt17integral_constantIbLb1EES19_EEDaS14_S15_EUlS14_E_NS1_11comp_targetILNS1_3genE3ELNS1_11target_archE908ELNS1_3gpuE7ELNS1_3repE0EEENS1_30default_config_static_selectorELNS0_4arch9wavefront6targetE1EEEvT1_
; %bb.0:
	.section	.rodata,"a",@progbits
	.p2align	6, 0x0
	.amdhsa_kernel _ZN7rocprim17ROCPRIM_400000_NS6detail17trampoline_kernelINS0_14default_configENS1_25partition_config_selectorILNS1_17partition_subalgoE1EiNS0_10empty_typeEbEEZZNS1_14partition_implILS5_1ELb0ES3_jN6thrust23THRUST_200600_302600_NS6detail15normal_iteratorINSA_10device_ptrIiEEEEPS6_NSA_18transform_iteratorINSA_8identityIiEESF_NSA_11use_defaultESK_EENS0_5tupleIJSF_SF_EEENSM_IJSG_SG_EEES6_PlJS6_EEE10hipError_tPvRmT3_T4_T5_T6_T7_T9_mT8_P12ihipStream_tbDpT10_ENKUlT_T0_E_clISt17integral_constantIbLb1EES19_EEDaS14_S15_EUlS14_E_NS1_11comp_targetILNS1_3genE3ELNS1_11target_archE908ELNS1_3gpuE7ELNS1_3repE0EEENS1_30default_config_static_selectorELNS0_4arch9wavefront6targetE1EEEvT1_
		.amdhsa_group_segment_fixed_size 0
		.amdhsa_private_segment_fixed_size 0
		.amdhsa_kernarg_size 144
		.amdhsa_user_sgpr_count 6
		.amdhsa_user_sgpr_private_segment_buffer 1
		.amdhsa_user_sgpr_dispatch_ptr 0
		.amdhsa_user_sgpr_queue_ptr 0
		.amdhsa_user_sgpr_kernarg_segment_ptr 1
		.amdhsa_user_sgpr_dispatch_id 0
		.amdhsa_user_sgpr_flat_scratch_init 0
		.amdhsa_user_sgpr_kernarg_preload_length 0
		.amdhsa_user_sgpr_kernarg_preload_offset 0
		.amdhsa_user_sgpr_private_segment_size 0
		.amdhsa_uses_dynamic_stack 0
		.amdhsa_system_sgpr_private_segment_wavefront_offset 0
		.amdhsa_system_sgpr_workgroup_id_x 1
		.amdhsa_system_sgpr_workgroup_id_y 0
		.amdhsa_system_sgpr_workgroup_id_z 0
		.amdhsa_system_sgpr_workgroup_info 0
		.amdhsa_system_vgpr_workitem_id 0
		.amdhsa_next_free_vgpr 1
		.amdhsa_next_free_sgpr 0
		.amdhsa_accum_offset 4
		.amdhsa_reserve_vcc 0
		.amdhsa_reserve_flat_scratch 0
		.amdhsa_float_round_mode_32 0
		.amdhsa_float_round_mode_16_64 0
		.amdhsa_float_denorm_mode_32 3
		.amdhsa_float_denorm_mode_16_64 3
		.amdhsa_dx10_clamp 1
		.amdhsa_ieee_mode 1
		.amdhsa_fp16_overflow 0
		.amdhsa_tg_split 0
		.amdhsa_exception_fp_ieee_invalid_op 0
		.amdhsa_exception_fp_denorm_src 0
		.amdhsa_exception_fp_ieee_div_zero 0
		.amdhsa_exception_fp_ieee_overflow 0
		.amdhsa_exception_fp_ieee_underflow 0
		.amdhsa_exception_fp_ieee_inexact 0
		.amdhsa_exception_int_div_zero 0
	.end_amdhsa_kernel
	.section	.text._ZN7rocprim17ROCPRIM_400000_NS6detail17trampoline_kernelINS0_14default_configENS1_25partition_config_selectorILNS1_17partition_subalgoE1EiNS0_10empty_typeEbEEZZNS1_14partition_implILS5_1ELb0ES3_jN6thrust23THRUST_200600_302600_NS6detail15normal_iteratorINSA_10device_ptrIiEEEEPS6_NSA_18transform_iteratorINSA_8identityIiEESF_NSA_11use_defaultESK_EENS0_5tupleIJSF_SF_EEENSM_IJSG_SG_EEES6_PlJS6_EEE10hipError_tPvRmT3_T4_T5_T6_T7_T9_mT8_P12ihipStream_tbDpT10_ENKUlT_T0_E_clISt17integral_constantIbLb1EES19_EEDaS14_S15_EUlS14_E_NS1_11comp_targetILNS1_3genE3ELNS1_11target_archE908ELNS1_3gpuE7ELNS1_3repE0EEENS1_30default_config_static_selectorELNS0_4arch9wavefront6targetE1EEEvT1_,"axG",@progbits,_ZN7rocprim17ROCPRIM_400000_NS6detail17trampoline_kernelINS0_14default_configENS1_25partition_config_selectorILNS1_17partition_subalgoE1EiNS0_10empty_typeEbEEZZNS1_14partition_implILS5_1ELb0ES3_jN6thrust23THRUST_200600_302600_NS6detail15normal_iteratorINSA_10device_ptrIiEEEEPS6_NSA_18transform_iteratorINSA_8identityIiEESF_NSA_11use_defaultESK_EENS0_5tupleIJSF_SF_EEENSM_IJSG_SG_EEES6_PlJS6_EEE10hipError_tPvRmT3_T4_T5_T6_T7_T9_mT8_P12ihipStream_tbDpT10_ENKUlT_T0_E_clISt17integral_constantIbLb1EES19_EEDaS14_S15_EUlS14_E_NS1_11comp_targetILNS1_3genE3ELNS1_11target_archE908ELNS1_3gpuE7ELNS1_3repE0EEENS1_30default_config_static_selectorELNS0_4arch9wavefront6targetE1EEEvT1_,comdat
.Lfunc_end620:
	.size	_ZN7rocprim17ROCPRIM_400000_NS6detail17trampoline_kernelINS0_14default_configENS1_25partition_config_selectorILNS1_17partition_subalgoE1EiNS0_10empty_typeEbEEZZNS1_14partition_implILS5_1ELb0ES3_jN6thrust23THRUST_200600_302600_NS6detail15normal_iteratorINSA_10device_ptrIiEEEEPS6_NSA_18transform_iteratorINSA_8identityIiEESF_NSA_11use_defaultESK_EENS0_5tupleIJSF_SF_EEENSM_IJSG_SG_EEES6_PlJS6_EEE10hipError_tPvRmT3_T4_T5_T6_T7_T9_mT8_P12ihipStream_tbDpT10_ENKUlT_T0_E_clISt17integral_constantIbLb1EES19_EEDaS14_S15_EUlS14_E_NS1_11comp_targetILNS1_3genE3ELNS1_11target_archE908ELNS1_3gpuE7ELNS1_3repE0EEENS1_30default_config_static_selectorELNS0_4arch9wavefront6targetE1EEEvT1_, .Lfunc_end620-_ZN7rocprim17ROCPRIM_400000_NS6detail17trampoline_kernelINS0_14default_configENS1_25partition_config_selectorILNS1_17partition_subalgoE1EiNS0_10empty_typeEbEEZZNS1_14partition_implILS5_1ELb0ES3_jN6thrust23THRUST_200600_302600_NS6detail15normal_iteratorINSA_10device_ptrIiEEEEPS6_NSA_18transform_iteratorINSA_8identityIiEESF_NSA_11use_defaultESK_EENS0_5tupleIJSF_SF_EEENSM_IJSG_SG_EEES6_PlJS6_EEE10hipError_tPvRmT3_T4_T5_T6_T7_T9_mT8_P12ihipStream_tbDpT10_ENKUlT_T0_E_clISt17integral_constantIbLb1EES19_EEDaS14_S15_EUlS14_E_NS1_11comp_targetILNS1_3genE3ELNS1_11target_archE908ELNS1_3gpuE7ELNS1_3repE0EEENS1_30default_config_static_selectorELNS0_4arch9wavefront6targetE1EEEvT1_
                                        ; -- End function
	.section	.AMDGPU.csdata,"",@progbits
; Kernel info:
; codeLenInByte = 0
; NumSgprs: 4
; NumVgprs: 0
; NumAgprs: 0
; TotalNumVgprs: 0
; ScratchSize: 0
; MemoryBound: 0
; FloatMode: 240
; IeeeMode: 1
; LDSByteSize: 0 bytes/workgroup (compile time only)
; SGPRBlocks: 0
; VGPRBlocks: 0
; NumSGPRsForWavesPerEU: 4
; NumVGPRsForWavesPerEU: 1
; AccumOffset: 4
; Occupancy: 8
; WaveLimiterHint : 0
; COMPUTE_PGM_RSRC2:SCRATCH_EN: 0
; COMPUTE_PGM_RSRC2:USER_SGPR: 6
; COMPUTE_PGM_RSRC2:TRAP_HANDLER: 0
; COMPUTE_PGM_RSRC2:TGID_X_EN: 1
; COMPUTE_PGM_RSRC2:TGID_Y_EN: 0
; COMPUTE_PGM_RSRC2:TGID_Z_EN: 0
; COMPUTE_PGM_RSRC2:TIDIG_COMP_CNT: 0
; COMPUTE_PGM_RSRC3_GFX90A:ACCUM_OFFSET: 0
; COMPUTE_PGM_RSRC3_GFX90A:TG_SPLIT: 0
	.section	.text._ZN7rocprim17ROCPRIM_400000_NS6detail17trampoline_kernelINS0_14default_configENS1_25partition_config_selectorILNS1_17partition_subalgoE1EiNS0_10empty_typeEbEEZZNS1_14partition_implILS5_1ELb0ES3_jN6thrust23THRUST_200600_302600_NS6detail15normal_iteratorINSA_10device_ptrIiEEEEPS6_NSA_18transform_iteratorINSA_8identityIiEESF_NSA_11use_defaultESK_EENS0_5tupleIJSF_SF_EEENSM_IJSG_SG_EEES6_PlJS6_EEE10hipError_tPvRmT3_T4_T5_T6_T7_T9_mT8_P12ihipStream_tbDpT10_ENKUlT_T0_E_clISt17integral_constantIbLb1EES19_EEDaS14_S15_EUlS14_E_NS1_11comp_targetILNS1_3genE2ELNS1_11target_archE906ELNS1_3gpuE6ELNS1_3repE0EEENS1_30default_config_static_selectorELNS0_4arch9wavefront6targetE1EEEvT1_,"axG",@progbits,_ZN7rocprim17ROCPRIM_400000_NS6detail17trampoline_kernelINS0_14default_configENS1_25partition_config_selectorILNS1_17partition_subalgoE1EiNS0_10empty_typeEbEEZZNS1_14partition_implILS5_1ELb0ES3_jN6thrust23THRUST_200600_302600_NS6detail15normal_iteratorINSA_10device_ptrIiEEEEPS6_NSA_18transform_iteratorINSA_8identityIiEESF_NSA_11use_defaultESK_EENS0_5tupleIJSF_SF_EEENSM_IJSG_SG_EEES6_PlJS6_EEE10hipError_tPvRmT3_T4_T5_T6_T7_T9_mT8_P12ihipStream_tbDpT10_ENKUlT_T0_E_clISt17integral_constantIbLb1EES19_EEDaS14_S15_EUlS14_E_NS1_11comp_targetILNS1_3genE2ELNS1_11target_archE906ELNS1_3gpuE6ELNS1_3repE0EEENS1_30default_config_static_selectorELNS0_4arch9wavefront6targetE1EEEvT1_,comdat
	.protected	_ZN7rocprim17ROCPRIM_400000_NS6detail17trampoline_kernelINS0_14default_configENS1_25partition_config_selectorILNS1_17partition_subalgoE1EiNS0_10empty_typeEbEEZZNS1_14partition_implILS5_1ELb0ES3_jN6thrust23THRUST_200600_302600_NS6detail15normal_iteratorINSA_10device_ptrIiEEEEPS6_NSA_18transform_iteratorINSA_8identityIiEESF_NSA_11use_defaultESK_EENS0_5tupleIJSF_SF_EEENSM_IJSG_SG_EEES6_PlJS6_EEE10hipError_tPvRmT3_T4_T5_T6_T7_T9_mT8_P12ihipStream_tbDpT10_ENKUlT_T0_E_clISt17integral_constantIbLb1EES19_EEDaS14_S15_EUlS14_E_NS1_11comp_targetILNS1_3genE2ELNS1_11target_archE906ELNS1_3gpuE6ELNS1_3repE0EEENS1_30default_config_static_selectorELNS0_4arch9wavefront6targetE1EEEvT1_ ; -- Begin function _ZN7rocprim17ROCPRIM_400000_NS6detail17trampoline_kernelINS0_14default_configENS1_25partition_config_selectorILNS1_17partition_subalgoE1EiNS0_10empty_typeEbEEZZNS1_14partition_implILS5_1ELb0ES3_jN6thrust23THRUST_200600_302600_NS6detail15normal_iteratorINSA_10device_ptrIiEEEEPS6_NSA_18transform_iteratorINSA_8identityIiEESF_NSA_11use_defaultESK_EENS0_5tupleIJSF_SF_EEENSM_IJSG_SG_EEES6_PlJS6_EEE10hipError_tPvRmT3_T4_T5_T6_T7_T9_mT8_P12ihipStream_tbDpT10_ENKUlT_T0_E_clISt17integral_constantIbLb1EES19_EEDaS14_S15_EUlS14_E_NS1_11comp_targetILNS1_3genE2ELNS1_11target_archE906ELNS1_3gpuE6ELNS1_3repE0EEENS1_30default_config_static_selectorELNS0_4arch9wavefront6targetE1EEEvT1_
	.globl	_ZN7rocprim17ROCPRIM_400000_NS6detail17trampoline_kernelINS0_14default_configENS1_25partition_config_selectorILNS1_17partition_subalgoE1EiNS0_10empty_typeEbEEZZNS1_14partition_implILS5_1ELb0ES3_jN6thrust23THRUST_200600_302600_NS6detail15normal_iteratorINSA_10device_ptrIiEEEEPS6_NSA_18transform_iteratorINSA_8identityIiEESF_NSA_11use_defaultESK_EENS0_5tupleIJSF_SF_EEENSM_IJSG_SG_EEES6_PlJS6_EEE10hipError_tPvRmT3_T4_T5_T6_T7_T9_mT8_P12ihipStream_tbDpT10_ENKUlT_T0_E_clISt17integral_constantIbLb1EES19_EEDaS14_S15_EUlS14_E_NS1_11comp_targetILNS1_3genE2ELNS1_11target_archE906ELNS1_3gpuE6ELNS1_3repE0EEENS1_30default_config_static_selectorELNS0_4arch9wavefront6targetE1EEEvT1_
	.p2align	8
	.type	_ZN7rocprim17ROCPRIM_400000_NS6detail17trampoline_kernelINS0_14default_configENS1_25partition_config_selectorILNS1_17partition_subalgoE1EiNS0_10empty_typeEbEEZZNS1_14partition_implILS5_1ELb0ES3_jN6thrust23THRUST_200600_302600_NS6detail15normal_iteratorINSA_10device_ptrIiEEEEPS6_NSA_18transform_iteratorINSA_8identityIiEESF_NSA_11use_defaultESK_EENS0_5tupleIJSF_SF_EEENSM_IJSG_SG_EEES6_PlJS6_EEE10hipError_tPvRmT3_T4_T5_T6_T7_T9_mT8_P12ihipStream_tbDpT10_ENKUlT_T0_E_clISt17integral_constantIbLb1EES19_EEDaS14_S15_EUlS14_E_NS1_11comp_targetILNS1_3genE2ELNS1_11target_archE906ELNS1_3gpuE6ELNS1_3repE0EEENS1_30default_config_static_selectorELNS0_4arch9wavefront6targetE1EEEvT1_,@function
_ZN7rocprim17ROCPRIM_400000_NS6detail17trampoline_kernelINS0_14default_configENS1_25partition_config_selectorILNS1_17partition_subalgoE1EiNS0_10empty_typeEbEEZZNS1_14partition_implILS5_1ELb0ES3_jN6thrust23THRUST_200600_302600_NS6detail15normal_iteratorINSA_10device_ptrIiEEEEPS6_NSA_18transform_iteratorINSA_8identityIiEESF_NSA_11use_defaultESK_EENS0_5tupleIJSF_SF_EEENSM_IJSG_SG_EEES6_PlJS6_EEE10hipError_tPvRmT3_T4_T5_T6_T7_T9_mT8_P12ihipStream_tbDpT10_ENKUlT_T0_E_clISt17integral_constantIbLb1EES19_EEDaS14_S15_EUlS14_E_NS1_11comp_targetILNS1_3genE2ELNS1_11target_archE906ELNS1_3gpuE6ELNS1_3repE0EEENS1_30default_config_static_selectorELNS0_4arch9wavefront6targetE1EEEvT1_: ; @_ZN7rocprim17ROCPRIM_400000_NS6detail17trampoline_kernelINS0_14default_configENS1_25partition_config_selectorILNS1_17partition_subalgoE1EiNS0_10empty_typeEbEEZZNS1_14partition_implILS5_1ELb0ES3_jN6thrust23THRUST_200600_302600_NS6detail15normal_iteratorINSA_10device_ptrIiEEEEPS6_NSA_18transform_iteratorINSA_8identityIiEESF_NSA_11use_defaultESK_EENS0_5tupleIJSF_SF_EEENSM_IJSG_SG_EEES6_PlJS6_EEE10hipError_tPvRmT3_T4_T5_T6_T7_T9_mT8_P12ihipStream_tbDpT10_ENKUlT_T0_E_clISt17integral_constantIbLb1EES19_EEDaS14_S15_EUlS14_E_NS1_11comp_targetILNS1_3genE2ELNS1_11target_archE906ELNS1_3gpuE6ELNS1_3repE0EEENS1_30default_config_static_selectorELNS0_4arch9wavefront6targetE1EEEvT1_
; %bb.0:
	.section	.rodata,"a",@progbits
	.p2align	6, 0x0
	.amdhsa_kernel _ZN7rocprim17ROCPRIM_400000_NS6detail17trampoline_kernelINS0_14default_configENS1_25partition_config_selectorILNS1_17partition_subalgoE1EiNS0_10empty_typeEbEEZZNS1_14partition_implILS5_1ELb0ES3_jN6thrust23THRUST_200600_302600_NS6detail15normal_iteratorINSA_10device_ptrIiEEEEPS6_NSA_18transform_iteratorINSA_8identityIiEESF_NSA_11use_defaultESK_EENS0_5tupleIJSF_SF_EEENSM_IJSG_SG_EEES6_PlJS6_EEE10hipError_tPvRmT3_T4_T5_T6_T7_T9_mT8_P12ihipStream_tbDpT10_ENKUlT_T0_E_clISt17integral_constantIbLb1EES19_EEDaS14_S15_EUlS14_E_NS1_11comp_targetILNS1_3genE2ELNS1_11target_archE906ELNS1_3gpuE6ELNS1_3repE0EEENS1_30default_config_static_selectorELNS0_4arch9wavefront6targetE1EEEvT1_
		.amdhsa_group_segment_fixed_size 0
		.amdhsa_private_segment_fixed_size 0
		.amdhsa_kernarg_size 144
		.amdhsa_user_sgpr_count 6
		.amdhsa_user_sgpr_private_segment_buffer 1
		.amdhsa_user_sgpr_dispatch_ptr 0
		.amdhsa_user_sgpr_queue_ptr 0
		.amdhsa_user_sgpr_kernarg_segment_ptr 1
		.amdhsa_user_sgpr_dispatch_id 0
		.amdhsa_user_sgpr_flat_scratch_init 0
		.amdhsa_user_sgpr_kernarg_preload_length 0
		.amdhsa_user_sgpr_kernarg_preload_offset 0
		.amdhsa_user_sgpr_private_segment_size 0
		.amdhsa_uses_dynamic_stack 0
		.amdhsa_system_sgpr_private_segment_wavefront_offset 0
		.amdhsa_system_sgpr_workgroup_id_x 1
		.amdhsa_system_sgpr_workgroup_id_y 0
		.amdhsa_system_sgpr_workgroup_id_z 0
		.amdhsa_system_sgpr_workgroup_info 0
		.amdhsa_system_vgpr_workitem_id 0
		.amdhsa_next_free_vgpr 1
		.amdhsa_next_free_sgpr 0
		.amdhsa_accum_offset 4
		.amdhsa_reserve_vcc 0
		.amdhsa_reserve_flat_scratch 0
		.amdhsa_float_round_mode_32 0
		.amdhsa_float_round_mode_16_64 0
		.amdhsa_float_denorm_mode_32 3
		.amdhsa_float_denorm_mode_16_64 3
		.amdhsa_dx10_clamp 1
		.amdhsa_ieee_mode 1
		.amdhsa_fp16_overflow 0
		.amdhsa_tg_split 0
		.amdhsa_exception_fp_ieee_invalid_op 0
		.amdhsa_exception_fp_denorm_src 0
		.amdhsa_exception_fp_ieee_div_zero 0
		.amdhsa_exception_fp_ieee_overflow 0
		.amdhsa_exception_fp_ieee_underflow 0
		.amdhsa_exception_fp_ieee_inexact 0
		.amdhsa_exception_int_div_zero 0
	.end_amdhsa_kernel
	.section	.text._ZN7rocprim17ROCPRIM_400000_NS6detail17trampoline_kernelINS0_14default_configENS1_25partition_config_selectorILNS1_17partition_subalgoE1EiNS0_10empty_typeEbEEZZNS1_14partition_implILS5_1ELb0ES3_jN6thrust23THRUST_200600_302600_NS6detail15normal_iteratorINSA_10device_ptrIiEEEEPS6_NSA_18transform_iteratorINSA_8identityIiEESF_NSA_11use_defaultESK_EENS0_5tupleIJSF_SF_EEENSM_IJSG_SG_EEES6_PlJS6_EEE10hipError_tPvRmT3_T4_T5_T6_T7_T9_mT8_P12ihipStream_tbDpT10_ENKUlT_T0_E_clISt17integral_constantIbLb1EES19_EEDaS14_S15_EUlS14_E_NS1_11comp_targetILNS1_3genE2ELNS1_11target_archE906ELNS1_3gpuE6ELNS1_3repE0EEENS1_30default_config_static_selectorELNS0_4arch9wavefront6targetE1EEEvT1_,"axG",@progbits,_ZN7rocprim17ROCPRIM_400000_NS6detail17trampoline_kernelINS0_14default_configENS1_25partition_config_selectorILNS1_17partition_subalgoE1EiNS0_10empty_typeEbEEZZNS1_14partition_implILS5_1ELb0ES3_jN6thrust23THRUST_200600_302600_NS6detail15normal_iteratorINSA_10device_ptrIiEEEEPS6_NSA_18transform_iteratorINSA_8identityIiEESF_NSA_11use_defaultESK_EENS0_5tupleIJSF_SF_EEENSM_IJSG_SG_EEES6_PlJS6_EEE10hipError_tPvRmT3_T4_T5_T6_T7_T9_mT8_P12ihipStream_tbDpT10_ENKUlT_T0_E_clISt17integral_constantIbLb1EES19_EEDaS14_S15_EUlS14_E_NS1_11comp_targetILNS1_3genE2ELNS1_11target_archE906ELNS1_3gpuE6ELNS1_3repE0EEENS1_30default_config_static_selectorELNS0_4arch9wavefront6targetE1EEEvT1_,comdat
.Lfunc_end621:
	.size	_ZN7rocprim17ROCPRIM_400000_NS6detail17trampoline_kernelINS0_14default_configENS1_25partition_config_selectorILNS1_17partition_subalgoE1EiNS0_10empty_typeEbEEZZNS1_14partition_implILS5_1ELb0ES3_jN6thrust23THRUST_200600_302600_NS6detail15normal_iteratorINSA_10device_ptrIiEEEEPS6_NSA_18transform_iteratorINSA_8identityIiEESF_NSA_11use_defaultESK_EENS0_5tupleIJSF_SF_EEENSM_IJSG_SG_EEES6_PlJS6_EEE10hipError_tPvRmT3_T4_T5_T6_T7_T9_mT8_P12ihipStream_tbDpT10_ENKUlT_T0_E_clISt17integral_constantIbLb1EES19_EEDaS14_S15_EUlS14_E_NS1_11comp_targetILNS1_3genE2ELNS1_11target_archE906ELNS1_3gpuE6ELNS1_3repE0EEENS1_30default_config_static_selectorELNS0_4arch9wavefront6targetE1EEEvT1_, .Lfunc_end621-_ZN7rocprim17ROCPRIM_400000_NS6detail17trampoline_kernelINS0_14default_configENS1_25partition_config_selectorILNS1_17partition_subalgoE1EiNS0_10empty_typeEbEEZZNS1_14partition_implILS5_1ELb0ES3_jN6thrust23THRUST_200600_302600_NS6detail15normal_iteratorINSA_10device_ptrIiEEEEPS6_NSA_18transform_iteratorINSA_8identityIiEESF_NSA_11use_defaultESK_EENS0_5tupleIJSF_SF_EEENSM_IJSG_SG_EEES6_PlJS6_EEE10hipError_tPvRmT3_T4_T5_T6_T7_T9_mT8_P12ihipStream_tbDpT10_ENKUlT_T0_E_clISt17integral_constantIbLb1EES19_EEDaS14_S15_EUlS14_E_NS1_11comp_targetILNS1_3genE2ELNS1_11target_archE906ELNS1_3gpuE6ELNS1_3repE0EEENS1_30default_config_static_selectorELNS0_4arch9wavefront6targetE1EEEvT1_
                                        ; -- End function
	.section	.AMDGPU.csdata,"",@progbits
; Kernel info:
; codeLenInByte = 0
; NumSgprs: 4
; NumVgprs: 0
; NumAgprs: 0
; TotalNumVgprs: 0
; ScratchSize: 0
; MemoryBound: 0
; FloatMode: 240
; IeeeMode: 1
; LDSByteSize: 0 bytes/workgroup (compile time only)
; SGPRBlocks: 0
; VGPRBlocks: 0
; NumSGPRsForWavesPerEU: 4
; NumVGPRsForWavesPerEU: 1
; AccumOffset: 4
; Occupancy: 8
; WaveLimiterHint : 0
; COMPUTE_PGM_RSRC2:SCRATCH_EN: 0
; COMPUTE_PGM_RSRC2:USER_SGPR: 6
; COMPUTE_PGM_RSRC2:TRAP_HANDLER: 0
; COMPUTE_PGM_RSRC2:TGID_X_EN: 1
; COMPUTE_PGM_RSRC2:TGID_Y_EN: 0
; COMPUTE_PGM_RSRC2:TGID_Z_EN: 0
; COMPUTE_PGM_RSRC2:TIDIG_COMP_CNT: 0
; COMPUTE_PGM_RSRC3_GFX90A:ACCUM_OFFSET: 0
; COMPUTE_PGM_RSRC3_GFX90A:TG_SPLIT: 0
	.section	.text._ZN7rocprim17ROCPRIM_400000_NS6detail17trampoline_kernelINS0_14default_configENS1_25partition_config_selectorILNS1_17partition_subalgoE1EiNS0_10empty_typeEbEEZZNS1_14partition_implILS5_1ELb0ES3_jN6thrust23THRUST_200600_302600_NS6detail15normal_iteratorINSA_10device_ptrIiEEEEPS6_NSA_18transform_iteratorINSA_8identityIiEESF_NSA_11use_defaultESK_EENS0_5tupleIJSF_SF_EEENSM_IJSG_SG_EEES6_PlJS6_EEE10hipError_tPvRmT3_T4_T5_T6_T7_T9_mT8_P12ihipStream_tbDpT10_ENKUlT_T0_E_clISt17integral_constantIbLb1EES19_EEDaS14_S15_EUlS14_E_NS1_11comp_targetILNS1_3genE10ELNS1_11target_archE1200ELNS1_3gpuE4ELNS1_3repE0EEENS1_30default_config_static_selectorELNS0_4arch9wavefront6targetE1EEEvT1_,"axG",@progbits,_ZN7rocprim17ROCPRIM_400000_NS6detail17trampoline_kernelINS0_14default_configENS1_25partition_config_selectorILNS1_17partition_subalgoE1EiNS0_10empty_typeEbEEZZNS1_14partition_implILS5_1ELb0ES3_jN6thrust23THRUST_200600_302600_NS6detail15normal_iteratorINSA_10device_ptrIiEEEEPS6_NSA_18transform_iteratorINSA_8identityIiEESF_NSA_11use_defaultESK_EENS0_5tupleIJSF_SF_EEENSM_IJSG_SG_EEES6_PlJS6_EEE10hipError_tPvRmT3_T4_T5_T6_T7_T9_mT8_P12ihipStream_tbDpT10_ENKUlT_T0_E_clISt17integral_constantIbLb1EES19_EEDaS14_S15_EUlS14_E_NS1_11comp_targetILNS1_3genE10ELNS1_11target_archE1200ELNS1_3gpuE4ELNS1_3repE0EEENS1_30default_config_static_selectorELNS0_4arch9wavefront6targetE1EEEvT1_,comdat
	.protected	_ZN7rocprim17ROCPRIM_400000_NS6detail17trampoline_kernelINS0_14default_configENS1_25partition_config_selectorILNS1_17partition_subalgoE1EiNS0_10empty_typeEbEEZZNS1_14partition_implILS5_1ELb0ES3_jN6thrust23THRUST_200600_302600_NS6detail15normal_iteratorINSA_10device_ptrIiEEEEPS6_NSA_18transform_iteratorINSA_8identityIiEESF_NSA_11use_defaultESK_EENS0_5tupleIJSF_SF_EEENSM_IJSG_SG_EEES6_PlJS6_EEE10hipError_tPvRmT3_T4_T5_T6_T7_T9_mT8_P12ihipStream_tbDpT10_ENKUlT_T0_E_clISt17integral_constantIbLb1EES19_EEDaS14_S15_EUlS14_E_NS1_11comp_targetILNS1_3genE10ELNS1_11target_archE1200ELNS1_3gpuE4ELNS1_3repE0EEENS1_30default_config_static_selectorELNS0_4arch9wavefront6targetE1EEEvT1_ ; -- Begin function _ZN7rocprim17ROCPRIM_400000_NS6detail17trampoline_kernelINS0_14default_configENS1_25partition_config_selectorILNS1_17partition_subalgoE1EiNS0_10empty_typeEbEEZZNS1_14partition_implILS5_1ELb0ES3_jN6thrust23THRUST_200600_302600_NS6detail15normal_iteratorINSA_10device_ptrIiEEEEPS6_NSA_18transform_iteratorINSA_8identityIiEESF_NSA_11use_defaultESK_EENS0_5tupleIJSF_SF_EEENSM_IJSG_SG_EEES6_PlJS6_EEE10hipError_tPvRmT3_T4_T5_T6_T7_T9_mT8_P12ihipStream_tbDpT10_ENKUlT_T0_E_clISt17integral_constantIbLb1EES19_EEDaS14_S15_EUlS14_E_NS1_11comp_targetILNS1_3genE10ELNS1_11target_archE1200ELNS1_3gpuE4ELNS1_3repE0EEENS1_30default_config_static_selectorELNS0_4arch9wavefront6targetE1EEEvT1_
	.globl	_ZN7rocprim17ROCPRIM_400000_NS6detail17trampoline_kernelINS0_14default_configENS1_25partition_config_selectorILNS1_17partition_subalgoE1EiNS0_10empty_typeEbEEZZNS1_14partition_implILS5_1ELb0ES3_jN6thrust23THRUST_200600_302600_NS6detail15normal_iteratorINSA_10device_ptrIiEEEEPS6_NSA_18transform_iteratorINSA_8identityIiEESF_NSA_11use_defaultESK_EENS0_5tupleIJSF_SF_EEENSM_IJSG_SG_EEES6_PlJS6_EEE10hipError_tPvRmT3_T4_T5_T6_T7_T9_mT8_P12ihipStream_tbDpT10_ENKUlT_T0_E_clISt17integral_constantIbLb1EES19_EEDaS14_S15_EUlS14_E_NS1_11comp_targetILNS1_3genE10ELNS1_11target_archE1200ELNS1_3gpuE4ELNS1_3repE0EEENS1_30default_config_static_selectorELNS0_4arch9wavefront6targetE1EEEvT1_
	.p2align	8
	.type	_ZN7rocprim17ROCPRIM_400000_NS6detail17trampoline_kernelINS0_14default_configENS1_25partition_config_selectorILNS1_17partition_subalgoE1EiNS0_10empty_typeEbEEZZNS1_14partition_implILS5_1ELb0ES3_jN6thrust23THRUST_200600_302600_NS6detail15normal_iteratorINSA_10device_ptrIiEEEEPS6_NSA_18transform_iteratorINSA_8identityIiEESF_NSA_11use_defaultESK_EENS0_5tupleIJSF_SF_EEENSM_IJSG_SG_EEES6_PlJS6_EEE10hipError_tPvRmT3_T4_T5_T6_T7_T9_mT8_P12ihipStream_tbDpT10_ENKUlT_T0_E_clISt17integral_constantIbLb1EES19_EEDaS14_S15_EUlS14_E_NS1_11comp_targetILNS1_3genE10ELNS1_11target_archE1200ELNS1_3gpuE4ELNS1_3repE0EEENS1_30default_config_static_selectorELNS0_4arch9wavefront6targetE1EEEvT1_,@function
_ZN7rocprim17ROCPRIM_400000_NS6detail17trampoline_kernelINS0_14default_configENS1_25partition_config_selectorILNS1_17partition_subalgoE1EiNS0_10empty_typeEbEEZZNS1_14partition_implILS5_1ELb0ES3_jN6thrust23THRUST_200600_302600_NS6detail15normal_iteratorINSA_10device_ptrIiEEEEPS6_NSA_18transform_iteratorINSA_8identityIiEESF_NSA_11use_defaultESK_EENS0_5tupleIJSF_SF_EEENSM_IJSG_SG_EEES6_PlJS6_EEE10hipError_tPvRmT3_T4_T5_T6_T7_T9_mT8_P12ihipStream_tbDpT10_ENKUlT_T0_E_clISt17integral_constantIbLb1EES19_EEDaS14_S15_EUlS14_E_NS1_11comp_targetILNS1_3genE10ELNS1_11target_archE1200ELNS1_3gpuE4ELNS1_3repE0EEENS1_30default_config_static_selectorELNS0_4arch9wavefront6targetE1EEEvT1_: ; @_ZN7rocprim17ROCPRIM_400000_NS6detail17trampoline_kernelINS0_14default_configENS1_25partition_config_selectorILNS1_17partition_subalgoE1EiNS0_10empty_typeEbEEZZNS1_14partition_implILS5_1ELb0ES3_jN6thrust23THRUST_200600_302600_NS6detail15normal_iteratorINSA_10device_ptrIiEEEEPS6_NSA_18transform_iteratorINSA_8identityIiEESF_NSA_11use_defaultESK_EENS0_5tupleIJSF_SF_EEENSM_IJSG_SG_EEES6_PlJS6_EEE10hipError_tPvRmT3_T4_T5_T6_T7_T9_mT8_P12ihipStream_tbDpT10_ENKUlT_T0_E_clISt17integral_constantIbLb1EES19_EEDaS14_S15_EUlS14_E_NS1_11comp_targetILNS1_3genE10ELNS1_11target_archE1200ELNS1_3gpuE4ELNS1_3repE0EEENS1_30default_config_static_selectorELNS0_4arch9wavefront6targetE1EEEvT1_
; %bb.0:
	.section	.rodata,"a",@progbits
	.p2align	6, 0x0
	.amdhsa_kernel _ZN7rocprim17ROCPRIM_400000_NS6detail17trampoline_kernelINS0_14default_configENS1_25partition_config_selectorILNS1_17partition_subalgoE1EiNS0_10empty_typeEbEEZZNS1_14partition_implILS5_1ELb0ES3_jN6thrust23THRUST_200600_302600_NS6detail15normal_iteratorINSA_10device_ptrIiEEEEPS6_NSA_18transform_iteratorINSA_8identityIiEESF_NSA_11use_defaultESK_EENS0_5tupleIJSF_SF_EEENSM_IJSG_SG_EEES6_PlJS6_EEE10hipError_tPvRmT3_T4_T5_T6_T7_T9_mT8_P12ihipStream_tbDpT10_ENKUlT_T0_E_clISt17integral_constantIbLb1EES19_EEDaS14_S15_EUlS14_E_NS1_11comp_targetILNS1_3genE10ELNS1_11target_archE1200ELNS1_3gpuE4ELNS1_3repE0EEENS1_30default_config_static_selectorELNS0_4arch9wavefront6targetE1EEEvT1_
		.amdhsa_group_segment_fixed_size 0
		.amdhsa_private_segment_fixed_size 0
		.amdhsa_kernarg_size 144
		.amdhsa_user_sgpr_count 6
		.amdhsa_user_sgpr_private_segment_buffer 1
		.amdhsa_user_sgpr_dispatch_ptr 0
		.amdhsa_user_sgpr_queue_ptr 0
		.amdhsa_user_sgpr_kernarg_segment_ptr 1
		.amdhsa_user_sgpr_dispatch_id 0
		.amdhsa_user_sgpr_flat_scratch_init 0
		.amdhsa_user_sgpr_kernarg_preload_length 0
		.amdhsa_user_sgpr_kernarg_preload_offset 0
		.amdhsa_user_sgpr_private_segment_size 0
		.amdhsa_uses_dynamic_stack 0
		.amdhsa_system_sgpr_private_segment_wavefront_offset 0
		.amdhsa_system_sgpr_workgroup_id_x 1
		.amdhsa_system_sgpr_workgroup_id_y 0
		.amdhsa_system_sgpr_workgroup_id_z 0
		.amdhsa_system_sgpr_workgroup_info 0
		.amdhsa_system_vgpr_workitem_id 0
		.amdhsa_next_free_vgpr 1
		.amdhsa_next_free_sgpr 0
		.amdhsa_accum_offset 4
		.amdhsa_reserve_vcc 0
		.amdhsa_reserve_flat_scratch 0
		.amdhsa_float_round_mode_32 0
		.amdhsa_float_round_mode_16_64 0
		.amdhsa_float_denorm_mode_32 3
		.amdhsa_float_denorm_mode_16_64 3
		.amdhsa_dx10_clamp 1
		.amdhsa_ieee_mode 1
		.amdhsa_fp16_overflow 0
		.amdhsa_tg_split 0
		.amdhsa_exception_fp_ieee_invalid_op 0
		.amdhsa_exception_fp_denorm_src 0
		.amdhsa_exception_fp_ieee_div_zero 0
		.amdhsa_exception_fp_ieee_overflow 0
		.amdhsa_exception_fp_ieee_underflow 0
		.amdhsa_exception_fp_ieee_inexact 0
		.amdhsa_exception_int_div_zero 0
	.end_amdhsa_kernel
	.section	.text._ZN7rocprim17ROCPRIM_400000_NS6detail17trampoline_kernelINS0_14default_configENS1_25partition_config_selectorILNS1_17partition_subalgoE1EiNS0_10empty_typeEbEEZZNS1_14partition_implILS5_1ELb0ES3_jN6thrust23THRUST_200600_302600_NS6detail15normal_iteratorINSA_10device_ptrIiEEEEPS6_NSA_18transform_iteratorINSA_8identityIiEESF_NSA_11use_defaultESK_EENS0_5tupleIJSF_SF_EEENSM_IJSG_SG_EEES6_PlJS6_EEE10hipError_tPvRmT3_T4_T5_T6_T7_T9_mT8_P12ihipStream_tbDpT10_ENKUlT_T0_E_clISt17integral_constantIbLb1EES19_EEDaS14_S15_EUlS14_E_NS1_11comp_targetILNS1_3genE10ELNS1_11target_archE1200ELNS1_3gpuE4ELNS1_3repE0EEENS1_30default_config_static_selectorELNS0_4arch9wavefront6targetE1EEEvT1_,"axG",@progbits,_ZN7rocprim17ROCPRIM_400000_NS6detail17trampoline_kernelINS0_14default_configENS1_25partition_config_selectorILNS1_17partition_subalgoE1EiNS0_10empty_typeEbEEZZNS1_14partition_implILS5_1ELb0ES3_jN6thrust23THRUST_200600_302600_NS6detail15normal_iteratorINSA_10device_ptrIiEEEEPS6_NSA_18transform_iteratorINSA_8identityIiEESF_NSA_11use_defaultESK_EENS0_5tupleIJSF_SF_EEENSM_IJSG_SG_EEES6_PlJS6_EEE10hipError_tPvRmT3_T4_T5_T6_T7_T9_mT8_P12ihipStream_tbDpT10_ENKUlT_T0_E_clISt17integral_constantIbLb1EES19_EEDaS14_S15_EUlS14_E_NS1_11comp_targetILNS1_3genE10ELNS1_11target_archE1200ELNS1_3gpuE4ELNS1_3repE0EEENS1_30default_config_static_selectorELNS0_4arch9wavefront6targetE1EEEvT1_,comdat
.Lfunc_end622:
	.size	_ZN7rocprim17ROCPRIM_400000_NS6detail17trampoline_kernelINS0_14default_configENS1_25partition_config_selectorILNS1_17partition_subalgoE1EiNS0_10empty_typeEbEEZZNS1_14partition_implILS5_1ELb0ES3_jN6thrust23THRUST_200600_302600_NS6detail15normal_iteratorINSA_10device_ptrIiEEEEPS6_NSA_18transform_iteratorINSA_8identityIiEESF_NSA_11use_defaultESK_EENS0_5tupleIJSF_SF_EEENSM_IJSG_SG_EEES6_PlJS6_EEE10hipError_tPvRmT3_T4_T5_T6_T7_T9_mT8_P12ihipStream_tbDpT10_ENKUlT_T0_E_clISt17integral_constantIbLb1EES19_EEDaS14_S15_EUlS14_E_NS1_11comp_targetILNS1_3genE10ELNS1_11target_archE1200ELNS1_3gpuE4ELNS1_3repE0EEENS1_30default_config_static_selectorELNS0_4arch9wavefront6targetE1EEEvT1_, .Lfunc_end622-_ZN7rocprim17ROCPRIM_400000_NS6detail17trampoline_kernelINS0_14default_configENS1_25partition_config_selectorILNS1_17partition_subalgoE1EiNS0_10empty_typeEbEEZZNS1_14partition_implILS5_1ELb0ES3_jN6thrust23THRUST_200600_302600_NS6detail15normal_iteratorINSA_10device_ptrIiEEEEPS6_NSA_18transform_iteratorINSA_8identityIiEESF_NSA_11use_defaultESK_EENS0_5tupleIJSF_SF_EEENSM_IJSG_SG_EEES6_PlJS6_EEE10hipError_tPvRmT3_T4_T5_T6_T7_T9_mT8_P12ihipStream_tbDpT10_ENKUlT_T0_E_clISt17integral_constantIbLb1EES19_EEDaS14_S15_EUlS14_E_NS1_11comp_targetILNS1_3genE10ELNS1_11target_archE1200ELNS1_3gpuE4ELNS1_3repE0EEENS1_30default_config_static_selectorELNS0_4arch9wavefront6targetE1EEEvT1_
                                        ; -- End function
	.section	.AMDGPU.csdata,"",@progbits
; Kernel info:
; codeLenInByte = 0
; NumSgprs: 4
; NumVgprs: 0
; NumAgprs: 0
; TotalNumVgprs: 0
; ScratchSize: 0
; MemoryBound: 0
; FloatMode: 240
; IeeeMode: 1
; LDSByteSize: 0 bytes/workgroup (compile time only)
; SGPRBlocks: 0
; VGPRBlocks: 0
; NumSGPRsForWavesPerEU: 4
; NumVGPRsForWavesPerEU: 1
; AccumOffset: 4
; Occupancy: 8
; WaveLimiterHint : 0
; COMPUTE_PGM_RSRC2:SCRATCH_EN: 0
; COMPUTE_PGM_RSRC2:USER_SGPR: 6
; COMPUTE_PGM_RSRC2:TRAP_HANDLER: 0
; COMPUTE_PGM_RSRC2:TGID_X_EN: 1
; COMPUTE_PGM_RSRC2:TGID_Y_EN: 0
; COMPUTE_PGM_RSRC2:TGID_Z_EN: 0
; COMPUTE_PGM_RSRC2:TIDIG_COMP_CNT: 0
; COMPUTE_PGM_RSRC3_GFX90A:ACCUM_OFFSET: 0
; COMPUTE_PGM_RSRC3_GFX90A:TG_SPLIT: 0
	.section	.text._ZN7rocprim17ROCPRIM_400000_NS6detail17trampoline_kernelINS0_14default_configENS1_25partition_config_selectorILNS1_17partition_subalgoE1EiNS0_10empty_typeEbEEZZNS1_14partition_implILS5_1ELb0ES3_jN6thrust23THRUST_200600_302600_NS6detail15normal_iteratorINSA_10device_ptrIiEEEEPS6_NSA_18transform_iteratorINSA_8identityIiEESF_NSA_11use_defaultESK_EENS0_5tupleIJSF_SF_EEENSM_IJSG_SG_EEES6_PlJS6_EEE10hipError_tPvRmT3_T4_T5_T6_T7_T9_mT8_P12ihipStream_tbDpT10_ENKUlT_T0_E_clISt17integral_constantIbLb1EES19_EEDaS14_S15_EUlS14_E_NS1_11comp_targetILNS1_3genE9ELNS1_11target_archE1100ELNS1_3gpuE3ELNS1_3repE0EEENS1_30default_config_static_selectorELNS0_4arch9wavefront6targetE1EEEvT1_,"axG",@progbits,_ZN7rocprim17ROCPRIM_400000_NS6detail17trampoline_kernelINS0_14default_configENS1_25partition_config_selectorILNS1_17partition_subalgoE1EiNS0_10empty_typeEbEEZZNS1_14partition_implILS5_1ELb0ES3_jN6thrust23THRUST_200600_302600_NS6detail15normal_iteratorINSA_10device_ptrIiEEEEPS6_NSA_18transform_iteratorINSA_8identityIiEESF_NSA_11use_defaultESK_EENS0_5tupleIJSF_SF_EEENSM_IJSG_SG_EEES6_PlJS6_EEE10hipError_tPvRmT3_T4_T5_T6_T7_T9_mT8_P12ihipStream_tbDpT10_ENKUlT_T0_E_clISt17integral_constantIbLb1EES19_EEDaS14_S15_EUlS14_E_NS1_11comp_targetILNS1_3genE9ELNS1_11target_archE1100ELNS1_3gpuE3ELNS1_3repE0EEENS1_30default_config_static_selectorELNS0_4arch9wavefront6targetE1EEEvT1_,comdat
	.protected	_ZN7rocprim17ROCPRIM_400000_NS6detail17trampoline_kernelINS0_14default_configENS1_25partition_config_selectorILNS1_17partition_subalgoE1EiNS0_10empty_typeEbEEZZNS1_14partition_implILS5_1ELb0ES3_jN6thrust23THRUST_200600_302600_NS6detail15normal_iteratorINSA_10device_ptrIiEEEEPS6_NSA_18transform_iteratorINSA_8identityIiEESF_NSA_11use_defaultESK_EENS0_5tupleIJSF_SF_EEENSM_IJSG_SG_EEES6_PlJS6_EEE10hipError_tPvRmT3_T4_T5_T6_T7_T9_mT8_P12ihipStream_tbDpT10_ENKUlT_T0_E_clISt17integral_constantIbLb1EES19_EEDaS14_S15_EUlS14_E_NS1_11comp_targetILNS1_3genE9ELNS1_11target_archE1100ELNS1_3gpuE3ELNS1_3repE0EEENS1_30default_config_static_selectorELNS0_4arch9wavefront6targetE1EEEvT1_ ; -- Begin function _ZN7rocprim17ROCPRIM_400000_NS6detail17trampoline_kernelINS0_14default_configENS1_25partition_config_selectorILNS1_17partition_subalgoE1EiNS0_10empty_typeEbEEZZNS1_14partition_implILS5_1ELb0ES3_jN6thrust23THRUST_200600_302600_NS6detail15normal_iteratorINSA_10device_ptrIiEEEEPS6_NSA_18transform_iteratorINSA_8identityIiEESF_NSA_11use_defaultESK_EENS0_5tupleIJSF_SF_EEENSM_IJSG_SG_EEES6_PlJS6_EEE10hipError_tPvRmT3_T4_T5_T6_T7_T9_mT8_P12ihipStream_tbDpT10_ENKUlT_T0_E_clISt17integral_constantIbLb1EES19_EEDaS14_S15_EUlS14_E_NS1_11comp_targetILNS1_3genE9ELNS1_11target_archE1100ELNS1_3gpuE3ELNS1_3repE0EEENS1_30default_config_static_selectorELNS0_4arch9wavefront6targetE1EEEvT1_
	.globl	_ZN7rocprim17ROCPRIM_400000_NS6detail17trampoline_kernelINS0_14default_configENS1_25partition_config_selectorILNS1_17partition_subalgoE1EiNS0_10empty_typeEbEEZZNS1_14partition_implILS5_1ELb0ES3_jN6thrust23THRUST_200600_302600_NS6detail15normal_iteratorINSA_10device_ptrIiEEEEPS6_NSA_18transform_iteratorINSA_8identityIiEESF_NSA_11use_defaultESK_EENS0_5tupleIJSF_SF_EEENSM_IJSG_SG_EEES6_PlJS6_EEE10hipError_tPvRmT3_T4_T5_T6_T7_T9_mT8_P12ihipStream_tbDpT10_ENKUlT_T0_E_clISt17integral_constantIbLb1EES19_EEDaS14_S15_EUlS14_E_NS1_11comp_targetILNS1_3genE9ELNS1_11target_archE1100ELNS1_3gpuE3ELNS1_3repE0EEENS1_30default_config_static_selectorELNS0_4arch9wavefront6targetE1EEEvT1_
	.p2align	8
	.type	_ZN7rocprim17ROCPRIM_400000_NS6detail17trampoline_kernelINS0_14default_configENS1_25partition_config_selectorILNS1_17partition_subalgoE1EiNS0_10empty_typeEbEEZZNS1_14partition_implILS5_1ELb0ES3_jN6thrust23THRUST_200600_302600_NS6detail15normal_iteratorINSA_10device_ptrIiEEEEPS6_NSA_18transform_iteratorINSA_8identityIiEESF_NSA_11use_defaultESK_EENS0_5tupleIJSF_SF_EEENSM_IJSG_SG_EEES6_PlJS6_EEE10hipError_tPvRmT3_T4_T5_T6_T7_T9_mT8_P12ihipStream_tbDpT10_ENKUlT_T0_E_clISt17integral_constantIbLb1EES19_EEDaS14_S15_EUlS14_E_NS1_11comp_targetILNS1_3genE9ELNS1_11target_archE1100ELNS1_3gpuE3ELNS1_3repE0EEENS1_30default_config_static_selectorELNS0_4arch9wavefront6targetE1EEEvT1_,@function
_ZN7rocprim17ROCPRIM_400000_NS6detail17trampoline_kernelINS0_14default_configENS1_25partition_config_selectorILNS1_17partition_subalgoE1EiNS0_10empty_typeEbEEZZNS1_14partition_implILS5_1ELb0ES3_jN6thrust23THRUST_200600_302600_NS6detail15normal_iteratorINSA_10device_ptrIiEEEEPS6_NSA_18transform_iteratorINSA_8identityIiEESF_NSA_11use_defaultESK_EENS0_5tupleIJSF_SF_EEENSM_IJSG_SG_EEES6_PlJS6_EEE10hipError_tPvRmT3_T4_T5_T6_T7_T9_mT8_P12ihipStream_tbDpT10_ENKUlT_T0_E_clISt17integral_constantIbLb1EES19_EEDaS14_S15_EUlS14_E_NS1_11comp_targetILNS1_3genE9ELNS1_11target_archE1100ELNS1_3gpuE3ELNS1_3repE0EEENS1_30default_config_static_selectorELNS0_4arch9wavefront6targetE1EEEvT1_: ; @_ZN7rocprim17ROCPRIM_400000_NS6detail17trampoline_kernelINS0_14default_configENS1_25partition_config_selectorILNS1_17partition_subalgoE1EiNS0_10empty_typeEbEEZZNS1_14partition_implILS5_1ELb0ES3_jN6thrust23THRUST_200600_302600_NS6detail15normal_iteratorINSA_10device_ptrIiEEEEPS6_NSA_18transform_iteratorINSA_8identityIiEESF_NSA_11use_defaultESK_EENS0_5tupleIJSF_SF_EEENSM_IJSG_SG_EEES6_PlJS6_EEE10hipError_tPvRmT3_T4_T5_T6_T7_T9_mT8_P12ihipStream_tbDpT10_ENKUlT_T0_E_clISt17integral_constantIbLb1EES19_EEDaS14_S15_EUlS14_E_NS1_11comp_targetILNS1_3genE9ELNS1_11target_archE1100ELNS1_3gpuE3ELNS1_3repE0EEENS1_30default_config_static_selectorELNS0_4arch9wavefront6targetE1EEEvT1_
; %bb.0:
	.section	.rodata,"a",@progbits
	.p2align	6, 0x0
	.amdhsa_kernel _ZN7rocprim17ROCPRIM_400000_NS6detail17trampoline_kernelINS0_14default_configENS1_25partition_config_selectorILNS1_17partition_subalgoE1EiNS0_10empty_typeEbEEZZNS1_14partition_implILS5_1ELb0ES3_jN6thrust23THRUST_200600_302600_NS6detail15normal_iteratorINSA_10device_ptrIiEEEEPS6_NSA_18transform_iteratorINSA_8identityIiEESF_NSA_11use_defaultESK_EENS0_5tupleIJSF_SF_EEENSM_IJSG_SG_EEES6_PlJS6_EEE10hipError_tPvRmT3_T4_T5_T6_T7_T9_mT8_P12ihipStream_tbDpT10_ENKUlT_T0_E_clISt17integral_constantIbLb1EES19_EEDaS14_S15_EUlS14_E_NS1_11comp_targetILNS1_3genE9ELNS1_11target_archE1100ELNS1_3gpuE3ELNS1_3repE0EEENS1_30default_config_static_selectorELNS0_4arch9wavefront6targetE1EEEvT1_
		.amdhsa_group_segment_fixed_size 0
		.amdhsa_private_segment_fixed_size 0
		.amdhsa_kernarg_size 144
		.amdhsa_user_sgpr_count 6
		.amdhsa_user_sgpr_private_segment_buffer 1
		.amdhsa_user_sgpr_dispatch_ptr 0
		.amdhsa_user_sgpr_queue_ptr 0
		.amdhsa_user_sgpr_kernarg_segment_ptr 1
		.amdhsa_user_sgpr_dispatch_id 0
		.amdhsa_user_sgpr_flat_scratch_init 0
		.amdhsa_user_sgpr_kernarg_preload_length 0
		.amdhsa_user_sgpr_kernarg_preload_offset 0
		.amdhsa_user_sgpr_private_segment_size 0
		.amdhsa_uses_dynamic_stack 0
		.amdhsa_system_sgpr_private_segment_wavefront_offset 0
		.amdhsa_system_sgpr_workgroup_id_x 1
		.amdhsa_system_sgpr_workgroup_id_y 0
		.amdhsa_system_sgpr_workgroup_id_z 0
		.amdhsa_system_sgpr_workgroup_info 0
		.amdhsa_system_vgpr_workitem_id 0
		.amdhsa_next_free_vgpr 1
		.amdhsa_next_free_sgpr 0
		.amdhsa_accum_offset 4
		.amdhsa_reserve_vcc 0
		.amdhsa_reserve_flat_scratch 0
		.amdhsa_float_round_mode_32 0
		.amdhsa_float_round_mode_16_64 0
		.amdhsa_float_denorm_mode_32 3
		.amdhsa_float_denorm_mode_16_64 3
		.amdhsa_dx10_clamp 1
		.amdhsa_ieee_mode 1
		.amdhsa_fp16_overflow 0
		.amdhsa_tg_split 0
		.amdhsa_exception_fp_ieee_invalid_op 0
		.amdhsa_exception_fp_denorm_src 0
		.amdhsa_exception_fp_ieee_div_zero 0
		.amdhsa_exception_fp_ieee_overflow 0
		.amdhsa_exception_fp_ieee_underflow 0
		.amdhsa_exception_fp_ieee_inexact 0
		.amdhsa_exception_int_div_zero 0
	.end_amdhsa_kernel
	.section	.text._ZN7rocprim17ROCPRIM_400000_NS6detail17trampoline_kernelINS0_14default_configENS1_25partition_config_selectorILNS1_17partition_subalgoE1EiNS0_10empty_typeEbEEZZNS1_14partition_implILS5_1ELb0ES3_jN6thrust23THRUST_200600_302600_NS6detail15normal_iteratorINSA_10device_ptrIiEEEEPS6_NSA_18transform_iteratorINSA_8identityIiEESF_NSA_11use_defaultESK_EENS0_5tupleIJSF_SF_EEENSM_IJSG_SG_EEES6_PlJS6_EEE10hipError_tPvRmT3_T4_T5_T6_T7_T9_mT8_P12ihipStream_tbDpT10_ENKUlT_T0_E_clISt17integral_constantIbLb1EES19_EEDaS14_S15_EUlS14_E_NS1_11comp_targetILNS1_3genE9ELNS1_11target_archE1100ELNS1_3gpuE3ELNS1_3repE0EEENS1_30default_config_static_selectorELNS0_4arch9wavefront6targetE1EEEvT1_,"axG",@progbits,_ZN7rocprim17ROCPRIM_400000_NS6detail17trampoline_kernelINS0_14default_configENS1_25partition_config_selectorILNS1_17partition_subalgoE1EiNS0_10empty_typeEbEEZZNS1_14partition_implILS5_1ELb0ES3_jN6thrust23THRUST_200600_302600_NS6detail15normal_iteratorINSA_10device_ptrIiEEEEPS6_NSA_18transform_iteratorINSA_8identityIiEESF_NSA_11use_defaultESK_EENS0_5tupleIJSF_SF_EEENSM_IJSG_SG_EEES6_PlJS6_EEE10hipError_tPvRmT3_T4_T5_T6_T7_T9_mT8_P12ihipStream_tbDpT10_ENKUlT_T0_E_clISt17integral_constantIbLb1EES19_EEDaS14_S15_EUlS14_E_NS1_11comp_targetILNS1_3genE9ELNS1_11target_archE1100ELNS1_3gpuE3ELNS1_3repE0EEENS1_30default_config_static_selectorELNS0_4arch9wavefront6targetE1EEEvT1_,comdat
.Lfunc_end623:
	.size	_ZN7rocprim17ROCPRIM_400000_NS6detail17trampoline_kernelINS0_14default_configENS1_25partition_config_selectorILNS1_17partition_subalgoE1EiNS0_10empty_typeEbEEZZNS1_14partition_implILS5_1ELb0ES3_jN6thrust23THRUST_200600_302600_NS6detail15normal_iteratorINSA_10device_ptrIiEEEEPS6_NSA_18transform_iteratorINSA_8identityIiEESF_NSA_11use_defaultESK_EENS0_5tupleIJSF_SF_EEENSM_IJSG_SG_EEES6_PlJS6_EEE10hipError_tPvRmT3_T4_T5_T6_T7_T9_mT8_P12ihipStream_tbDpT10_ENKUlT_T0_E_clISt17integral_constantIbLb1EES19_EEDaS14_S15_EUlS14_E_NS1_11comp_targetILNS1_3genE9ELNS1_11target_archE1100ELNS1_3gpuE3ELNS1_3repE0EEENS1_30default_config_static_selectorELNS0_4arch9wavefront6targetE1EEEvT1_, .Lfunc_end623-_ZN7rocprim17ROCPRIM_400000_NS6detail17trampoline_kernelINS0_14default_configENS1_25partition_config_selectorILNS1_17partition_subalgoE1EiNS0_10empty_typeEbEEZZNS1_14partition_implILS5_1ELb0ES3_jN6thrust23THRUST_200600_302600_NS6detail15normal_iteratorINSA_10device_ptrIiEEEEPS6_NSA_18transform_iteratorINSA_8identityIiEESF_NSA_11use_defaultESK_EENS0_5tupleIJSF_SF_EEENSM_IJSG_SG_EEES6_PlJS6_EEE10hipError_tPvRmT3_T4_T5_T6_T7_T9_mT8_P12ihipStream_tbDpT10_ENKUlT_T0_E_clISt17integral_constantIbLb1EES19_EEDaS14_S15_EUlS14_E_NS1_11comp_targetILNS1_3genE9ELNS1_11target_archE1100ELNS1_3gpuE3ELNS1_3repE0EEENS1_30default_config_static_selectorELNS0_4arch9wavefront6targetE1EEEvT1_
                                        ; -- End function
	.section	.AMDGPU.csdata,"",@progbits
; Kernel info:
; codeLenInByte = 0
; NumSgprs: 4
; NumVgprs: 0
; NumAgprs: 0
; TotalNumVgprs: 0
; ScratchSize: 0
; MemoryBound: 0
; FloatMode: 240
; IeeeMode: 1
; LDSByteSize: 0 bytes/workgroup (compile time only)
; SGPRBlocks: 0
; VGPRBlocks: 0
; NumSGPRsForWavesPerEU: 4
; NumVGPRsForWavesPerEU: 1
; AccumOffset: 4
; Occupancy: 8
; WaveLimiterHint : 0
; COMPUTE_PGM_RSRC2:SCRATCH_EN: 0
; COMPUTE_PGM_RSRC2:USER_SGPR: 6
; COMPUTE_PGM_RSRC2:TRAP_HANDLER: 0
; COMPUTE_PGM_RSRC2:TGID_X_EN: 1
; COMPUTE_PGM_RSRC2:TGID_Y_EN: 0
; COMPUTE_PGM_RSRC2:TGID_Z_EN: 0
; COMPUTE_PGM_RSRC2:TIDIG_COMP_CNT: 0
; COMPUTE_PGM_RSRC3_GFX90A:ACCUM_OFFSET: 0
; COMPUTE_PGM_RSRC3_GFX90A:TG_SPLIT: 0
	.section	.text._ZN7rocprim17ROCPRIM_400000_NS6detail17trampoline_kernelINS0_14default_configENS1_25partition_config_selectorILNS1_17partition_subalgoE1EiNS0_10empty_typeEbEEZZNS1_14partition_implILS5_1ELb0ES3_jN6thrust23THRUST_200600_302600_NS6detail15normal_iteratorINSA_10device_ptrIiEEEEPS6_NSA_18transform_iteratorINSA_8identityIiEESF_NSA_11use_defaultESK_EENS0_5tupleIJSF_SF_EEENSM_IJSG_SG_EEES6_PlJS6_EEE10hipError_tPvRmT3_T4_T5_T6_T7_T9_mT8_P12ihipStream_tbDpT10_ENKUlT_T0_E_clISt17integral_constantIbLb1EES19_EEDaS14_S15_EUlS14_E_NS1_11comp_targetILNS1_3genE8ELNS1_11target_archE1030ELNS1_3gpuE2ELNS1_3repE0EEENS1_30default_config_static_selectorELNS0_4arch9wavefront6targetE1EEEvT1_,"axG",@progbits,_ZN7rocprim17ROCPRIM_400000_NS6detail17trampoline_kernelINS0_14default_configENS1_25partition_config_selectorILNS1_17partition_subalgoE1EiNS0_10empty_typeEbEEZZNS1_14partition_implILS5_1ELb0ES3_jN6thrust23THRUST_200600_302600_NS6detail15normal_iteratorINSA_10device_ptrIiEEEEPS6_NSA_18transform_iteratorINSA_8identityIiEESF_NSA_11use_defaultESK_EENS0_5tupleIJSF_SF_EEENSM_IJSG_SG_EEES6_PlJS6_EEE10hipError_tPvRmT3_T4_T5_T6_T7_T9_mT8_P12ihipStream_tbDpT10_ENKUlT_T0_E_clISt17integral_constantIbLb1EES19_EEDaS14_S15_EUlS14_E_NS1_11comp_targetILNS1_3genE8ELNS1_11target_archE1030ELNS1_3gpuE2ELNS1_3repE0EEENS1_30default_config_static_selectorELNS0_4arch9wavefront6targetE1EEEvT1_,comdat
	.protected	_ZN7rocprim17ROCPRIM_400000_NS6detail17trampoline_kernelINS0_14default_configENS1_25partition_config_selectorILNS1_17partition_subalgoE1EiNS0_10empty_typeEbEEZZNS1_14partition_implILS5_1ELb0ES3_jN6thrust23THRUST_200600_302600_NS6detail15normal_iteratorINSA_10device_ptrIiEEEEPS6_NSA_18transform_iteratorINSA_8identityIiEESF_NSA_11use_defaultESK_EENS0_5tupleIJSF_SF_EEENSM_IJSG_SG_EEES6_PlJS6_EEE10hipError_tPvRmT3_T4_T5_T6_T7_T9_mT8_P12ihipStream_tbDpT10_ENKUlT_T0_E_clISt17integral_constantIbLb1EES19_EEDaS14_S15_EUlS14_E_NS1_11comp_targetILNS1_3genE8ELNS1_11target_archE1030ELNS1_3gpuE2ELNS1_3repE0EEENS1_30default_config_static_selectorELNS0_4arch9wavefront6targetE1EEEvT1_ ; -- Begin function _ZN7rocprim17ROCPRIM_400000_NS6detail17trampoline_kernelINS0_14default_configENS1_25partition_config_selectorILNS1_17partition_subalgoE1EiNS0_10empty_typeEbEEZZNS1_14partition_implILS5_1ELb0ES3_jN6thrust23THRUST_200600_302600_NS6detail15normal_iteratorINSA_10device_ptrIiEEEEPS6_NSA_18transform_iteratorINSA_8identityIiEESF_NSA_11use_defaultESK_EENS0_5tupleIJSF_SF_EEENSM_IJSG_SG_EEES6_PlJS6_EEE10hipError_tPvRmT3_T4_T5_T6_T7_T9_mT8_P12ihipStream_tbDpT10_ENKUlT_T0_E_clISt17integral_constantIbLb1EES19_EEDaS14_S15_EUlS14_E_NS1_11comp_targetILNS1_3genE8ELNS1_11target_archE1030ELNS1_3gpuE2ELNS1_3repE0EEENS1_30default_config_static_selectorELNS0_4arch9wavefront6targetE1EEEvT1_
	.globl	_ZN7rocprim17ROCPRIM_400000_NS6detail17trampoline_kernelINS0_14default_configENS1_25partition_config_selectorILNS1_17partition_subalgoE1EiNS0_10empty_typeEbEEZZNS1_14partition_implILS5_1ELb0ES3_jN6thrust23THRUST_200600_302600_NS6detail15normal_iteratorINSA_10device_ptrIiEEEEPS6_NSA_18transform_iteratorINSA_8identityIiEESF_NSA_11use_defaultESK_EENS0_5tupleIJSF_SF_EEENSM_IJSG_SG_EEES6_PlJS6_EEE10hipError_tPvRmT3_T4_T5_T6_T7_T9_mT8_P12ihipStream_tbDpT10_ENKUlT_T0_E_clISt17integral_constantIbLb1EES19_EEDaS14_S15_EUlS14_E_NS1_11comp_targetILNS1_3genE8ELNS1_11target_archE1030ELNS1_3gpuE2ELNS1_3repE0EEENS1_30default_config_static_selectorELNS0_4arch9wavefront6targetE1EEEvT1_
	.p2align	8
	.type	_ZN7rocprim17ROCPRIM_400000_NS6detail17trampoline_kernelINS0_14default_configENS1_25partition_config_selectorILNS1_17partition_subalgoE1EiNS0_10empty_typeEbEEZZNS1_14partition_implILS5_1ELb0ES3_jN6thrust23THRUST_200600_302600_NS6detail15normal_iteratorINSA_10device_ptrIiEEEEPS6_NSA_18transform_iteratorINSA_8identityIiEESF_NSA_11use_defaultESK_EENS0_5tupleIJSF_SF_EEENSM_IJSG_SG_EEES6_PlJS6_EEE10hipError_tPvRmT3_T4_T5_T6_T7_T9_mT8_P12ihipStream_tbDpT10_ENKUlT_T0_E_clISt17integral_constantIbLb1EES19_EEDaS14_S15_EUlS14_E_NS1_11comp_targetILNS1_3genE8ELNS1_11target_archE1030ELNS1_3gpuE2ELNS1_3repE0EEENS1_30default_config_static_selectorELNS0_4arch9wavefront6targetE1EEEvT1_,@function
_ZN7rocprim17ROCPRIM_400000_NS6detail17trampoline_kernelINS0_14default_configENS1_25partition_config_selectorILNS1_17partition_subalgoE1EiNS0_10empty_typeEbEEZZNS1_14partition_implILS5_1ELb0ES3_jN6thrust23THRUST_200600_302600_NS6detail15normal_iteratorINSA_10device_ptrIiEEEEPS6_NSA_18transform_iteratorINSA_8identityIiEESF_NSA_11use_defaultESK_EENS0_5tupleIJSF_SF_EEENSM_IJSG_SG_EEES6_PlJS6_EEE10hipError_tPvRmT3_T4_T5_T6_T7_T9_mT8_P12ihipStream_tbDpT10_ENKUlT_T0_E_clISt17integral_constantIbLb1EES19_EEDaS14_S15_EUlS14_E_NS1_11comp_targetILNS1_3genE8ELNS1_11target_archE1030ELNS1_3gpuE2ELNS1_3repE0EEENS1_30default_config_static_selectorELNS0_4arch9wavefront6targetE1EEEvT1_: ; @_ZN7rocprim17ROCPRIM_400000_NS6detail17trampoline_kernelINS0_14default_configENS1_25partition_config_selectorILNS1_17partition_subalgoE1EiNS0_10empty_typeEbEEZZNS1_14partition_implILS5_1ELb0ES3_jN6thrust23THRUST_200600_302600_NS6detail15normal_iteratorINSA_10device_ptrIiEEEEPS6_NSA_18transform_iteratorINSA_8identityIiEESF_NSA_11use_defaultESK_EENS0_5tupleIJSF_SF_EEENSM_IJSG_SG_EEES6_PlJS6_EEE10hipError_tPvRmT3_T4_T5_T6_T7_T9_mT8_P12ihipStream_tbDpT10_ENKUlT_T0_E_clISt17integral_constantIbLb1EES19_EEDaS14_S15_EUlS14_E_NS1_11comp_targetILNS1_3genE8ELNS1_11target_archE1030ELNS1_3gpuE2ELNS1_3repE0EEENS1_30default_config_static_selectorELNS0_4arch9wavefront6targetE1EEEvT1_
; %bb.0:
	.section	.rodata,"a",@progbits
	.p2align	6, 0x0
	.amdhsa_kernel _ZN7rocprim17ROCPRIM_400000_NS6detail17trampoline_kernelINS0_14default_configENS1_25partition_config_selectorILNS1_17partition_subalgoE1EiNS0_10empty_typeEbEEZZNS1_14partition_implILS5_1ELb0ES3_jN6thrust23THRUST_200600_302600_NS6detail15normal_iteratorINSA_10device_ptrIiEEEEPS6_NSA_18transform_iteratorINSA_8identityIiEESF_NSA_11use_defaultESK_EENS0_5tupleIJSF_SF_EEENSM_IJSG_SG_EEES6_PlJS6_EEE10hipError_tPvRmT3_T4_T5_T6_T7_T9_mT8_P12ihipStream_tbDpT10_ENKUlT_T0_E_clISt17integral_constantIbLb1EES19_EEDaS14_S15_EUlS14_E_NS1_11comp_targetILNS1_3genE8ELNS1_11target_archE1030ELNS1_3gpuE2ELNS1_3repE0EEENS1_30default_config_static_selectorELNS0_4arch9wavefront6targetE1EEEvT1_
		.amdhsa_group_segment_fixed_size 0
		.amdhsa_private_segment_fixed_size 0
		.amdhsa_kernarg_size 144
		.amdhsa_user_sgpr_count 6
		.amdhsa_user_sgpr_private_segment_buffer 1
		.amdhsa_user_sgpr_dispatch_ptr 0
		.amdhsa_user_sgpr_queue_ptr 0
		.amdhsa_user_sgpr_kernarg_segment_ptr 1
		.amdhsa_user_sgpr_dispatch_id 0
		.amdhsa_user_sgpr_flat_scratch_init 0
		.amdhsa_user_sgpr_kernarg_preload_length 0
		.amdhsa_user_sgpr_kernarg_preload_offset 0
		.amdhsa_user_sgpr_private_segment_size 0
		.amdhsa_uses_dynamic_stack 0
		.amdhsa_system_sgpr_private_segment_wavefront_offset 0
		.amdhsa_system_sgpr_workgroup_id_x 1
		.amdhsa_system_sgpr_workgroup_id_y 0
		.amdhsa_system_sgpr_workgroup_id_z 0
		.amdhsa_system_sgpr_workgroup_info 0
		.amdhsa_system_vgpr_workitem_id 0
		.amdhsa_next_free_vgpr 1
		.amdhsa_next_free_sgpr 0
		.amdhsa_accum_offset 4
		.amdhsa_reserve_vcc 0
		.amdhsa_reserve_flat_scratch 0
		.amdhsa_float_round_mode_32 0
		.amdhsa_float_round_mode_16_64 0
		.amdhsa_float_denorm_mode_32 3
		.amdhsa_float_denorm_mode_16_64 3
		.amdhsa_dx10_clamp 1
		.amdhsa_ieee_mode 1
		.amdhsa_fp16_overflow 0
		.amdhsa_tg_split 0
		.amdhsa_exception_fp_ieee_invalid_op 0
		.amdhsa_exception_fp_denorm_src 0
		.amdhsa_exception_fp_ieee_div_zero 0
		.amdhsa_exception_fp_ieee_overflow 0
		.amdhsa_exception_fp_ieee_underflow 0
		.amdhsa_exception_fp_ieee_inexact 0
		.amdhsa_exception_int_div_zero 0
	.end_amdhsa_kernel
	.section	.text._ZN7rocprim17ROCPRIM_400000_NS6detail17trampoline_kernelINS0_14default_configENS1_25partition_config_selectorILNS1_17partition_subalgoE1EiNS0_10empty_typeEbEEZZNS1_14partition_implILS5_1ELb0ES3_jN6thrust23THRUST_200600_302600_NS6detail15normal_iteratorINSA_10device_ptrIiEEEEPS6_NSA_18transform_iteratorINSA_8identityIiEESF_NSA_11use_defaultESK_EENS0_5tupleIJSF_SF_EEENSM_IJSG_SG_EEES6_PlJS6_EEE10hipError_tPvRmT3_T4_T5_T6_T7_T9_mT8_P12ihipStream_tbDpT10_ENKUlT_T0_E_clISt17integral_constantIbLb1EES19_EEDaS14_S15_EUlS14_E_NS1_11comp_targetILNS1_3genE8ELNS1_11target_archE1030ELNS1_3gpuE2ELNS1_3repE0EEENS1_30default_config_static_selectorELNS0_4arch9wavefront6targetE1EEEvT1_,"axG",@progbits,_ZN7rocprim17ROCPRIM_400000_NS6detail17trampoline_kernelINS0_14default_configENS1_25partition_config_selectorILNS1_17partition_subalgoE1EiNS0_10empty_typeEbEEZZNS1_14partition_implILS5_1ELb0ES3_jN6thrust23THRUST_200600_302600_NS6detail15normal_iteratorINSA_10device_ptrIiEEEEPS6_NSA_18transform_iteratorINSA_8identityIiEESF_NSA_11use_defaultESK_EENS0_5tupleIJSF_SF_EEENSM_IJSG_SG_EEES6_PlJS6_EEE10hipError_tPvRmT3_T4_T5_T6_T7_T9_mT8_P12ihipStream_tbDpT10_ENKUlT_T0_E_clISt17integral_constantIbLb1EES19_EEDaS14_S15_EUlS14_E_NS1_11comp_targetILNS1_3genE8ELNS1_11target_archE1030ELNS1_3gpuE2ELNS1_3repE0EEENS1_30default_config_static_selectorELNS0_4arch9wavefront6targetE1EEEvT1_,comdat
.Lfunc_end624:
	.size	_ZN7rocprim17ROCPRIM_400000_NS6detail17trampoline_kernelINS0_14default_configENS1_25partition_config_selectorILNS1_17partition_subalgoE1EiNS0_10empty_typeEbEEZZNS1_14partition_implILS5_1ELb0ES3_jN6thrust23THRUST_200600_302600_NS6detail15normal_iteratorINSA_10device_ptrIiEEEEPS6_NSA_18transform_iteratorINSA_8identityIiEESF_NSA_11use_defaultESK_EENS0_5tupleIJSF_SF_EEENSM_IJSG_SG_EEES6_PlJS6_EEE10hipError_tPvRmT3_T4_T5_T6_T7_T9_mT8_P12ihipStream_tbDpT10_ENKUlT_T0_E_clISt17integral_constantIbLb1EES19_EEDaS14_S15_EUlS14_E_NS1_11comp_targetILNS1_3genE8ELNS1_11target_archE1030ELNS1_3gpuE2ELNS1_3repE0EEENS1_30default_config_static_selectorELNS0_4arch9wavefront6targetE1EEEvT1_, .Lfunc_end624-_ZN7rocprim17ROCPRIM_400000_NS6detail17trampoline_kernelINS0_14default_configENS1_25partition_config_selectorILNS1_17partition_subalgoE1EiNS0_10empty_typeEbEEZZNS1_14partition_implILS5_1ELb0ES3_jN6thrust23THRUST_200600_302600_NS6detail15normal_iteratorINSA_10device_ptrIiEEEEPS6_NSA_18transform_iteratorINSA_8identityIiEESF_NSA_11use_defaultESK_EENS0_5tupleIJSF_SF_EEENSM_IJSG_SG_EEES6_PlJS6_EEE10hipError_tPvRmT3_T4_T5_T6_T7_T9_mT8_P12ihipStream_tbDpT10_ENKUlT_T0_E_clISt17integral_constantIbLb1EES19_EEDaS14_S15_EUlS14_E_NS1_11comp_targetILNS1_3genE8ELNS1_11target_archE1030ELNS1_3gpuE2ELNS1_3repE0EEENS1_30default_config_static_selectorELNS0_4arch9wavefront6targetE1EEEvT1_
                                        ; -- End function
	.section	.AMDGPU.csdata,"",@progbits
; Kernel info:
; codeLenInByte = 0
; NumSgprs: 4
; NumVgprs: 0
; NumAgprs: 0
; TotalNumVgprs: 0
; ScratchSize: 0
; MemoryBound: 0
; FloatMode: 240
; IeeeMode: 1
; LDSByteSize: 0 bytes/workgroup (compile time only)
; SGPRBlocks: 0
; VGPRBlocks: 0
; NumSGPRsForWavesPerEU: 4
; NumVGPRsForWavesPerEU: 1
; AccumOffset: 4
; Occupancy: 8
; WaveLimiterHint : 0
; COMPUTE_PGM_RSRC2:SCRATCH_EN: 0
; COMPUTE_PGM_RSRC2:USER_SGPR: 6
; COMPUTE_PGM_RSRC2:TRAP_HANDLER: 0
; COMPUTE_PGM_RSRC2:TGID_X_EN: 1
; COMPUTE_PGM_RSRC2:TGID_Y_EN: 0
; COMPUTE_PGM_RSRC2:TGID_Z_EN: 0
; COMPUTE_PGM_RSRC2:TIDIG_COMP_CNT: 0
; COMPUTE_PGM_RSRC3_GFX90A:ACCUM_OFFSET: 0
; COMPUTE_PGM_RSRC3_GFX90A:TG_SPLIT: 0
	.section	.text._ZN7rocprim17ROCPRIM_400000_NS6detail17trampoline_kernelINS0_14default_configENS1_25partition_config_selectorILNS1_17partition_subalgoE1EiNS0_10empty_typeEbEEZZNS1_14partition_implILS5_1ELb0ES3_jN6thrust23THRUST_200600_302600_NS6detail15normal_iteratorINSA_10device_ptrIiEEEEPS6_NSA_18transform_iteratorINSA_8identityIiEESF_NSA_11use_defaultESK_EENS0_5tupleIJSF_SF_EEENSM_IJSG_SG_EEES6_PlJS6_EEE10hipError_tPvRmT3_T4_T5_T6_T7_T9_mT8_P12ihipStream_tbDpT10_ENKUlT_T0_E_clISt17integral_constantIbLb1EES18_IbLb0EEEEDaS14_S15_EUlS14_E_NS1_11comp_targetILNS1_3genE0ELNS1_11target_archE4294967295ELNS1_3gpuE0ELNS1_3repE0EEENS1_30default_config_static_selectorELNS0_4arch9wavefront6targetE1EEEvT1_,"axG",@progbits,_ZN7rocprim17ROCPRIM_400000_NS6detail17trampoline_kernelINS0_14default_configENS1_25partition_config_selectorILNS1_17partition_subalgoE1EiNS0_10empty_typeEbEEZZNS1_14partition_implILS5_1ELb0ES3_jN6thrust23THRUST_200600_302600_NS6detail15normal_iteratorINSA_10device_ptrIiEEEEPS6_NSA_18transform_iteratorINSA_8identityIiEESF_NSA_11use_defaultESK_EENS0_5tupleIJSF_SF_EEENSM_IJSG_SG_EEES6_PlJS6_EEE10hipError_tPvRmT3_T4_T5_T6_T7_T9_mT8_P12ihipStream_tbDpT10_ENKUlT_T0_E_clISt17integral_constantIbLb1EES18_IbLb0EEEEDaS14_S15_EUlS14_E_NS1_11comp_targetILNS1_3genE0ELNS1_11target_archE4294967295ELNS1_3gpuE0ELNS1_3repE0EEENS1_30default_config_static_selectorELNS0_4arch9wavefront6targetE1EEEvT1_,comdat
	.protected	_ZN7rocprim17ROCPRIM_400000_NS6detail17trampoline_kernelINS0_14default_configENS1_25partition_config_selectorILNS1_17partition_subalgoE1EiNS0_10empty_typeEbEEZZNS1_14partition_implILS5_1ELb0ES3_jN6thrust23THRUST_200600_302600_NS6detail15normal_iteratorINSA_10device_ptrIiEEEEPS6_NSA_18transform_iteratorINSA_8identityIiEESF_NSA_11use_defaultESK_EENS0_5tupleIJSF_SF_EEENSM_IJSG_SG_EEES6_PlJS6_EEE10hipError_tPvRmT3_T4_T5_T6_T7_T9_mT8_P12ihipStream_tbDpT10_ENKUlT_T0_E_clISt17integral_constantIbLb1EES18_IbLb0EEEEDaS14_S15_EUlS14_E_NS1_11comp_targetILNS1_3genE0ELNS1_11target_archE4294967295ELNS1_3gpuE0ELNS1_3repE0EEENS1_30default_config_static_selectorELNS0_4arch9wavefront6targetE1EEEvT1_ ; -- Begin function _ZN7rocprim17ROCPRIM_400000_NS6detail17trampoline_kernelINS0_14default_configENS1_25partition_config_selectorILNS1_17partition_subalgoE1EiNS0_10empty_typeEbEEZZNS1_14partition_implILS5_1ELb0ES3_jN6thrust23THRUST_200600_302600_NS6detail15normal_iteratorINSA_10device_ptrIiEEEEPS6_NSA_18transform_iteratorINSA_8identityIiEESF_NSA_11use_defaultESK_EENS0_5tupleIJSF_SF_EEENSM_IJSG_SG_EEES6_PlJS6_EEE10hipError_tPvRmT3_T4_T5_T6_T7_T9_mT8_P12ihipStream_tbDpT10_ENKUlT_T0_E_clISt17integral_constantIbLb1EES18_IbLb0EEEEDaS14_S15_EUlS14_E_NS1_11comp_targetILNS1_3genE0ELNS1_11target_archE4294967295ELNS1_3gpuE0ELNS1_3repE0EEENS1_30default_config_static_selectorELNS0_4arch9wavefront6targetE1EEEvT1_
	.globl	_ZN7rocprim17ROCPRIM_400000_NS6detail17trampoline_kernelINS0_14default_configENS1_25partition_config_selectorILNS1_17partition_subalgoE1EiNS0_10empty_typeEbEEZZNS1_14partition_implILS5_1ELb0ES3_jN6thrust23THRUST_200600_302600_NS6detail15normal_iteratorINSA_10device_ptrIiEEEEPS6_NSA_18transform_iteratorINSA_8identityIiEESF_NSA_11use_defaultESK_EENS0_5tupleIJSF_SF_EEENSM_IJSG_SG_EEES6_PlJS6_EEE10hipError_tPvRmT3_T4_T5_T6_T7_T9_mT8_P12ihipStream_tbDpT10_ENKUlT_T0_E_clISt17integral_constantIbLb1EES18_IbLb0EEEEDaS14_S15_EUlS14_E_NS1_11comp_targetILNS1_3genE0ELNS1_11target_archE4294967295ELNS1_3gpuE0ELNS1_3repE0EEENS1_30default_config_static_selectorELNS0_4arch9wavefront6targetE1EEEvT1_
	.p2align	8
	.type	_ZN7rocprim17ROCPRIM_400000_NS6detail17trampoline_kernelINS0_14default_configENS1_25partition_config_selectorILNS1_17partition_subalgoE1EiNS0_10empty_typeEbEEZZNS1_14partition_implILS5_1ELb0ES3_jN6thrust23THRUST_200600_302600_NS6detail15normal_iteratorINSA_10device_ptrIiEEEEPS6_NSA_18transform_iteratorINSA_8identityIiEESF_NSA_11use_defaultESK_EENS0_5tupleIJSF_SF_EEENSM_IJSG_SG_EEES6_PlJS6_EEE10hipError_tPvRmT3_T4_T5_T6_T7_T9_mT8_P12ihipStream_tbDpT10_ENKUlT_T0_E_clISt17integral_constantIbLb1EES18_IbLb0EEEEDaS14_S15_EUlS14_E_NS1_11comp_targetILNS1_3genE0ELNS1_11target_archE4294967295ELNS1_3gpuE0ELNS1_3repE0EEENS1_30default_config_static_selectorELNS0_4arch9wavefront6targetE1EEEvT1_,@function
_ZN7rocprim17ROCPRIM_400000_NS6detail17trampoline_kernelINS0_14default_configENS1_25partition_config_selectorILNS1_17partition_subalgoE1EiNS0_10empty_typeEbEEZZNS1_14partition_implILS5_1ELb0ES3_jN6thrust23THRUST_200600_302600_NS6detail15normal_iteratorINSA_10device_ptrIiEEEEPS6_NSA_18transform_iteratorINSA_8identityIiEESF_NSA_11use_defaultESK_EENS0_5tupleIJSF_SF_EEENSM_IJSG_SG_EEES6_PlJS6_EEE10hipError_tPvRmT3_T4_T5_T6_T7_T9_mT8_P12ihipStream_tbDpT10_ENKUlT_T0_E_clISt17integral_constantIbLb1EES18_IbLb0EEEEDaS14_S15_EUlS14_E_NS1_11comp_targetILNS1_3genE0ELNS1_11target_archE4294967295ELNS1_3gpuE0ELNS1_3repE0EEENS1_30default_config_static_selectorELNS0_4arch9wavefront6targetE1EEEvT1_: ; @_ZN7rocprim17ROCPRIM_400000_NS6detail17trampoline_kernelINS0_14default_configENS1_25partition_config_selectorILNS1_17partition_subalgoE1EiNS0_10empty_typeEbEEZZNS1_14partition_implILS5_1ELb0ES3_jN6thrust23THRUST_200600_302600_NS6detail15normal_iteratorINSA_10device_ptrIiEEEEPS6_NSA_18transform_iteratorINSA_8identityIiEESF_NSA_11use_defaultESK_EENS0_5tupleIJSF_SF_EEENSM_IJSG_SG_EEES6_PlJS6_EEE10hipError_tPvRmT3_T4_T5_T6_T7_T9_mT8_P12ihipStream_tbDpT10_ENKUlT_T0_E_clISt17integral_constantIbLb1EES18_IbLb0EEEEDaS14_S15_EUlS14_E_NS1_11comp_targetILNS1_3genE0ELNS1_11target_archE4294967295ELNS1_3gpuE0ELNS1_3repE0EEENS1_30default_config_static_selectorELNS0_4arch9wavefront6targetE1EEEvT1_
; %bb.0:
	.section	.rodata,"a",@progbits
	.p2align	6, 0x0
	.amdhsa_kernel _ZN7rocprim17ROCPRIM_400000_NS6detail17trampoline_kernelINS0_14default_configENS1_25partition_config_selectorILNS1_17partition_subalgoE1EiNS0_10empty_typeEbEEZZNS1_14partition_implILS5_1ELb0ES3_jN6thrust23THRUST_200600_302600_NS6detail15normal_iteratorINSA_10device_ptrIiEEEEPS6_NSA_18transform_iteratorINSA_8identityIiEESF_NSA_11use_defaultESK_EENS0_5tupleIJSF_SF_EEENSM_IJSG_SG_EEES6_PlJS6_EEE10hipError_tPvRmT3_T4_T5_T6_T7_T9_mT8_P12ihipStream_tbDpT10_ENKUlT_T0_E_clISt17integral_constantIbLb1EES18_IbLb0EEEEDaS14_S15_EUlS14_E_NS1_11comp_targetILNS1_3genE0ELNS1_11target_archE4294967295ELNS1_3gpuE0ELNS1_3repE0EEENS1_30default_config_static_selectorELNS0_4arch9wavefront6targetE1EEEvT1_
		.amdhsa_group_segment_fixed_size 0
		.amdhsa_private_segment_fixed_size 0
		.amdhsa_kernarg_size 128
		.amdhsa_user_sgpr_count 6
		.amdhsa_user_sgpr_private_segment_buffer 1
		.amdhsa_user_sgpr_dispatch_ptr 0
		.amdhsa_user_sgpr_queue_ptr 0
		.amdhsa_user_sgpr_kernarg_segment_ptr 1
		.amdhsa_user_sgpr_dispatch_id 0
		.amdhsa_user_sgpr_flat_scratch_init 0
		.amdhsa_user_sgpr_kernarg_preload_length 0
		.amdhsa_user_sgpr_kernarg_preload_offset 0
		.amdhsa_user_sgpr_private_segment_size 0
		.amdhsa_uses_dynamic_stack 0
		.amdhsa_system_sgpr_private_segment_wavefront_offset 0
		.amdhsa_system_sgpr_workgroup_id_x 1
		.amdhsa_system_sgpr_workgroup_id_y 0
		.amdhsa_system_sgpr_workgroup_id_z 0
		.amdhsa_system_sgpr_workgroup_info 0
		.amdhsa_system_vgpr_workitem_id 0
		.amdhsa_next_free_vgpr 1
		.amdhsa_next_free_sgpr 0
		.amdhsa_accum_offset 4
		.amdhsa_reserve_vcc 0
		.amdhsa_reserve_flat_scratch 0
		.amdhsa_float_round_mode_32 0
		.amdhsa_float_round_mode_16_64 0
		.amdhsa_float_denorm_mode_32 3
		.amdhsa_float_denorm_mode_16_64 3
		.amdhsa_dx10_clamp 1
		.amdhsa_ieee_mode 1
		.amdhsa_fp16_overflow 0
		.amdhsa_tg_split 0
		.amdhsa_exception_fp_ieee_invalid_op 0
		.amdhsa_exception_fp_denorm_src 0
		.amdhsa_exception_fp_ieee_div_zero 0
		.amdhsa_exception_fp_ieee_overflow 0
		.amdhsa_exception_fp_ieee_underflow 0
		.amdhsa_exception_fp_ieee_inexact 0
		.amdhsa_exception_int_div_zero 0
	.end_amdhsa_kernel
	.section	.text._ZN7rocprim17ROCPRIM_400000_NS6detail17trampoline_kernelINS0_14default_configENS1_25partition_config_selectorILNS1_17partition_subalgoE1EiNS0_10empty_typeEbEEZZNS1_14partition_implILS5_1ELb0ES3_jN6thrust23THRUST_200600_302600_NS6detail15normal_iteratorINSA_10device_ptrIiEEEEPS6_NSA_18transform_iteratorINSA_8identityIiEESF_NSA_11use_defaultESK_EENS0_5tupleIJSF_SF_EEENSM_IJSG_SG_EEES6_PlJS6_EEE10hipError_tPvRmT3_T4_T5_T6_T7_T9_mT8_P12ihipStream_tbDpT10_ENKUlT_T0_E_clISt17integral_constantIbLb1EES18_IbLb0EEEEDaS14_S15_EUlS14_E_NS1_11comp_targetILNS1_3genE0ELNS1_11target_archE4294967295ELNS1_3gpuE0ELNS1_3repE0EEENS1_30default_config_static_selectorELNS0_4arch9wavefront6targetE1EEEvT1_,"axG",@progbits,_ZN7rocprim17ROCPRIM_400000_NS6detail17trampoline_kernelINS0_14default_configENS1_25partition_config_selectorILNS1_17partition_subalgoE1EiNS0_10empty_typeEbEEZZNS1_14partition_implILS5_1ELb0ES3_jN6thrust23THRUST_200600_302600_NS6detail15normal_iteratorINSA_10device_ptrIiEEEEPS6_NSA_18transform_iteratorINSA_8identityIiEESF_NSA_11use_defaultESK_EENS0_5tupleIJSF_SF_EEENSM_IJSG_SG_EEES6_PlJS6_EEE10hipError_tPvRmT3_T4_T5_T6_T7_T9_mT8_P12ihipStream_tbDpT10_ENKUlT_T0_E_clISt17integral_constantIbLb1EES18_IbLb0EEEEDaS14_S15_EUlS14_E_NS1_11comp_targetILNS1_3genE0ELNS1_11target_archE4294967295ELNS1_3gpuE0ELNS1_3repE0EEENS1_30default_config_static_selectorELNS0_4arch9wavefront6targetE1EEEvT1_,comdat
.Lfunc_end625:
	.size	_ZN7rocprim17ROCPRIM_400000_NS6detail17trampoline_kernelINS0_14default_configENS1_25partition_config_selectorILNS1_17partition_subalgoE1EiNS0_10empty_typeEbEEZZNS1_14partition_implILS5_1ELb0ES3_jN6thrust23THRUST_200600_302600_NS6detail15normal_iteratorINSA_10device_ptrIiEEEEPS6_NSA_18transform_iteratorINSA_8identityIiEESF_NSA_11use_defaultESK_EENS0_5tupleIJSF_SF_EEENSM_IJSG_SG_EEES6_PlJS6_EEE10hipError_tPvRmT3_T4_T5_T6_T7_T9_mT8_P12ihipStream_tbDpT10_ENKUlT_T0_E_clISt17integral_constantIbLb1EES18_IbLb0EEEEDaS14_S15_EUlS14_E_NS1_11comp_targetILNS1_3genE0ELNS1_11target_archE4294967295ELNS1_3gpuE0ELNS1_3repE0EEENS1_30default_config_static_selectorELNS0_4arch9wavefront6targetE1EEEvT1_, .Lfunc_end625-_ZN7rocprim17ROCPRIM_400000_NS6detail17trampoline_kernelINS0_14default_configENS1_25partition_config_selectorILNS1_17partition_subalgoE1EiNS0_10empty_typeEbEEZZNS1_14partition_implILS5_1ELb0ES3_jN6thrust23THRUST_200600_302600_NS6detail15normal_iteratorINSA_10device_ptrIiEEEEPS6_NSA_18transform_iteratorINSA_8identityIiEESF_NSA_11use_defaultESK_EENS0_5tupleIJSF_SF_EEENSM_IJSG_SG_EEES6_PlJS6_EEE10hipError_tPvRmT3_T4_T5_T6_T7_T9_mT8_P12ihipStream_tbDpT10_ENKUlT_T0_E_clISt17integral_constantIbLb1EES18_IbLb0EEEEDaS14_S15_EUlS14_E_NS1_11comp_targetILNS1_3genE0ELNS1_11target_archE4294967295ELNS1_3gpuE0ELNS1_3repE0EEENS1_30default_config_static_selectorELNS0_4arch9wavefront6targetE1EEEvT1_
                                        ; -- End function
	.section	.AMDGPU.csdata,"",@progbits
; Kernel info:
; codeLenInByte = 0
; NumSgprs: 4
; NumVgprs: 0
; NumAgprs: 0
; TotalNumVgprs: 0
; ScratchSize: 0
; MemoryBound: 0
; FloatMode: 240
; IeeeMode: 1
; LDSByteSize: 0 bytes/workgroup (compile time only)
; SGPRBlocks: 0
; VGPRBlocks: 0
; NumSGPRsForWavesPerEU: 4
; NumVGPRsForWavesPerEU: 1
; AccumOffset: 4
; Occupancy: 8
; WaveLimiterHint : 0
; COMPUTE_PGM_RSRC2:SCRATCH_EN: 0
; COMPUTE_PGM_RSRC2:USER_SGPR: 6
; COMPUTE_PGM_RSRC2:TRAP_HANDLER: 0
; COMPUTE_PGM_RSRC2:TGID_X_EN: 1
; COMPUTE_PGM_RSRC2:TGID_Y_EN: 0
; COMPUTE_PGM_RSRC2:TGID_Z_EN: 0
; COMPUTE_PGM_RSRC2:TIDIG_COMP_CNT: 0
; COMPUTE_PGM_RSRC3_GFX90A:ACCUM_OFFSET: 0
; COMPUTE_PGM_RSRC3_GFX90A:TG_SPLIT: 0
	.section	.text._ZN7rocprim17ROCPRIM_400000_NS6detail17trampoline_kernelINS0_14default_configENS1_25partition_config_selectorILNS1_17partition_subalgoE1EiNS0_10empty_typeEbEEZZNS1_14partition_implILS5_1ELb0ES3_jN6thrust23THRUST_200600_302600_NS6detail15normal_iteratorINSA_10device_ptrIiEEEEPS6_NSA_18transform_iteratorINSA_8identityIiEESF_NSA_11use_defaultESK_EENS0_5tupleIJSF_SF_EEENSM_IJSG_SG_EEES6_PlJS6_EEE10hipError_tPvRmT3_T4_T5_T6_T7_T9_mT8_P12ihipStream_tbDpT10_ENKUlT_T0_E_clISt17integral_constantIbLb1EES18_IbLb0EEEEDaS14_S15_EUlS14_E_NS1_11comp_targetILNS1_3genE5ELNS1_11target_archE942ELNS1_3gpuE9ELNS1_3repE0EEENS1_30default_config_static_selectorELNS0_4arch9wavefront6targetE1EEEvT1_,"axG",@progbits,_ZN7rocprim17ROCPRIM_400000_NS6detail17trampoline_kernelINS0_14default_configENS1_25partition_config_selectorILNS1_17partition_subalgoE1EiNS0_10empty_typeEbEEZZNS1_14partition_implILS5_1ELb0ES3_jN6thrust23THRUST_200600_302600_NS6detail15normal_iteratorINSA_10device_ptrIiEEEEPS6_NSA_18transform_iteratorINSA_8identityIiEESF_NSA_11use_defaultESK_EENS0_5tupleIJSF_SF_EEENSM_IJSG_SG_EEES6_PlJS6_EEE10hipError_tPvRmT3_T4_T5_T6_T7_T9_mT8_P12ihipStream_tbDpT10_ENKUlT_T0_E_clISt17integral_constantIbLb1EES18_IbLb0EEEEDaS14_S15_EUlS14_E_NS1_11comp_targetILNS1_3genE5ELNS1_11target_archE942ELNS1_3gpuE9ELNS1_3repE0EEENS1_30default_config_static_selectorELNS0_4arch9wavefront6targetE1EEEvT1_,comdat
	.protected	_ZN7rocprim17ROCPRIM_400000_NS6detail17trampoline_kernelINS0_14default_configENS1_25partition_config_selectorILNS1_17partition_subalgoE1EiNS0_10empty_typeEbEEZZNS1_14partition_implILS5_1ELb0ES3_jN6thrust23THRUST_200600_302600_NS6detail15normal_iteratorINSA_10device_ptrIiEEEEPS6_NSA_18transform_iteratorINSA_8identityIiEESF_NSA_11use_defaultESK_EENS0_5tupleIJSF_SF_EEENSM_IJSG_SG_EEES6_PlJS6_EEE10hipError_tPvRmT3_T4_T5_T6_T7_T9_mT8_P12ihipStream_tbDpT10_ENKUlT_T0_E_clISt17integral_constantIbLb1EES18_IbLb0EEEEDaS14_S15_EUlS14_E_NS1_11comp_targetILNS1_3genE5ELNS1_11target_archE942ELNS1_3gpuE9ELNS1_3repE0EEENS1_30default_config_static_selectorELNS0_4arch9wavefront6targetE1EEEvT1_ ; -- Begin function _ZN7rocprim17ROCPRIM_400000_NS6detail17trampoline_kernelINS0_14default_configENS1_25partition_config_selectorILNS1_17partition_subalgoE1EiNS0_10empty_typeEbEEZZNS1_14partition_implILS5_1ELb0ES3_jN6thrust23THRUST_200600_302600_NS6detail15normal_iteratorINSA_10device_ptrIiEEEEPS6_NSA_18transform_iteratorINSA_8identityIiEESF_NSA_11use_defaultESK_EENS0_5tupleIJSF_SF_EEENSM_IJSG_SG_EEES6_PlJS6_EEE10hipError_tPvRmT3_T4_T5_T6_T7_T9_mT8_P12ihipStream_tbDpT10_ENKUlT_T0_E_clISt17integral_constantIbLb1EES18_IbLb0EEEEDaS14_S15_EUlS14_E_NS1_11comp_targetILNS1_3genE5ELNS1_11target_archE942ELNS1_3gpuE9ELNS1_3repE0EEENS1_30default_config_static_selectorELNS0_4arch9wavefront6targetE1EEEvT1_
	.globl	_ZN7rocprim17ROCPRIM_400000_NS6detail17trampoline_kernelINS0_14default_configENS1_25partition_config_selectorILNS1_17partition_subalgoE1EiNS0_10empty_typeEbEEZZNS1_14partition_implILS5_1ELb0ES3_jN6thrust23THRUST_200600_302600_NS6detail15normal_iteratorINSA_10device_ptrIiEEEEPS6_NSA_18transform_iteratorINSA_8identityIiEESF_NSA_11use_defaultESK_EENS0_5tupleIJSF_SF_EEENSM_IJSG_SG_EEES6_PlJS6_EEE10hipError_tPvRmT3_T4_T5_T6_T7_T9_mT8_P12ihipStream_tbDpT10_ENKUlT_T0_E_clISt17integral_constantIbLb1EES18_IbLb0EEEEDaS14_S15_EUlS14_E_NS1_11comp_targetILNS1_3genE5ELNS1_11target_archE942ELNS1_3gpuE9ELNS1_3repE0EEENS1_30default_config_static_selectorELNS0_4arch9wavefront6targetE1EEEvT1_
	.p2align	8
	.type	_ZN7rocprim17ROCPRIM_400000_NS6detail17trampoline_kernelINS0_14default_configENS1_25partition_config_selectorILNS1_17partition_subalgoE1EiNS0_10empty_typeEbEEZZNS1_14partition_implILS5_1ELb0ES3_jN6thrust23THRUST_200600_302600_NS6detail15normal_iteratorINSA_10device_ptrIiEEEEPS6_NSA_18transform_iteratorINSA_8identityIiEESF_NSA_11use_defaultESK_EENS0_5tupleIJSF_SF_EEENSM_IJSG_SG_EEES6_PlJS6_EEE10hipError_tPvRmT3_T4_T5_T6_T7_T9_mT8_P12ihipStream_tbDpT10_ENKUlT_T0_E_clISt17integral_constantIbLb1EES18_IbLb0EEEEDaS14_S15_EUlS14_E_NS1_11comp_targetILNS1_3genE5ELNS1_11target_archE942ELNS1_3gpuE9ELNS1_3repE0EEENS1_30default_config_static_selectorELNS0_4arch9wavefront6targetE1EEEvT1_,@function
_ZN7rocprim17ROCPRIM_400000_NS6detail17trampoline_kernelINS0_14default_configENS1_25partition_config_selectorILNS1_17partition_subalgoE1EiNS0_10empty_typeEbEEZZNS1_14partition_implILS5_1ELb0ES3_jN6thrust23THRUST_200600_302600_NS6detail15normal_iteratorINSA_10device_ptrIiEEEEPS6_NSA_18transform_iteratorINSA_8identityIiEESF_NSA_11use_defaultESK_EENS0_5tupleIJSF_SF_EEENSM_IJSG_SG_EEES6_PlJS6_EEE10hipError_tPvRmT3_T4_T5_T6_T7_T9_mT8_P12ihipStream_tbDpT10_ENKUlT_T0_E_clISt17integral_constantIbLb1EES18_IbLb0EEEEDaS14_S15_EUlS14_E_NS1_11comp_targetILNS1_3genE5ELNS1_11target_archE942ELNS1_3gpuE9ELNS1_3repE0EEENS1_30default_config_static_selectorELNS0_4arch9wavefront6targetE1EEEvT1_: ; @_ZN7rocprim17ROCPRIM_400000_NS6detail17trampoline_kernelINS0_14default_configENS1_25partition_config_selectorILNS1_17partition_subalgoE1EiNS0_10empty_typeEbEEZZNS1_14partition_implILS5_1ELb0ES3_jN6thrust23THRUST_200600_302600_NS6detail15normal_iteratorINSA_10device_ptrIiEEEEPS6_NSA_18transform_iteratorINSA_8identityIiEESF_NSA_11use_defaultESK_EENS0_5tupleIJSF_SF_EEENSM_IJSG_SG_EEES6_PlJS6_EEE10hipError_tPvRmT3_T4_T5_T6_T7_T9_mT8_P12ihipStream_tbDpT10_ENKUlT_T0_E_clISt17integral_constantIbLb1EES18_IbLb0EEEEDaS14_S15_EUlS14_E_NS1_11comp_targetILNS1_3genE5ELNS1_11target_archE942ELNS1_3gpuE9ELNS1_3repE0EEENS1_30default_config_static_selectorELNS0_4arch9wavefront6targetE1EEEvT1_
; %bb.0:
	.section	.rodata,"a",@progbits
	.p2align	6, 0x0
	.amdhsa_kernel _ZN7rocprim17ROCPRIM_400000_NS6detail17trampoline_kernelINS0_14default_configENS1_25partition_config_selectorILNS1_17partition_subalgoE1EiNS0_10empty_typeEbEEZZNS1_14partition_implILS5_1ELb0ES3_jN6thrust23THRUST_200600_302600_NS6detail15normal_iteratorINSA_10device_ptrIiEEEEPS6_NSA_18transform_iteratorINSA_8identityIiEESF_NSA_11use_defaultESK_EENS0_5tupleIJSF_SF_EEENSM_IJSG_SG_EEES6_PlJS6_EEE10hipError_tPvRmT3_T4_T5_T6_T7_T9_mT8_P12ihipStream_tbDpT10_ENKUlT_T0_E_clISt17integral_constantIbLb1EES18_IbLb0EEEEDaS14_S15_EUlS14_E_NS1_11comp_targetILNS1_3genE5ELNS1_11target_archE942ELNS1_3gpuE9ELNS1_3repE0EEENS1_30default_config_static_selectorELNS0_4arch9wavefront6targetE1EEEvT1_
		.amdhsa_group_segment_fixed_size 0
		.amdhsa_private_segment_fixed_size 0
		.amdhsa_kernarg_size 128
		.amdhsa_user_sgpr_count 6
		.amdhsa_user_sgpr_private_segment_buffer 1
		.amdhsa_user_sgpr_dispatch_ptr 0
		.amdhsa_user_sgpr_queue_ptr 0
		.amdhsa_user_sgpr_kernarg_segment_ptr 1
		.amdhsa_user_sgpr_dispatch_id 0
		.amdhsa_user_sgpr_flat_scratch_init 0
		.amdhsa_user_sgpr_kernarg_preload_length 0
		.amdhsa_user_sgpr_kernarg_preload_offset 0
		.amdhsa_user_sgpr_private_segment_size 0
		.amdhsa_uses_dynamic_stack 0
		.amdhsa_system_sgpr_private_segment_wavefront_offset 0
		.amdhsa_system_sgpr_workgroup_id_x 1
		.amdhsa_system_sgpr_workgroup_id_y 0
		.amdhsa_system_sgpr_workgroup_id_z 0
		.amdhsa_system_sgpr_workgroup_info 0
		.amdhsa_system_vgpr_workitem_id 0
		.amdhsa_next_free_vgpr 1
		.amdhsa_next_free_sgpr 0
		.amdhsa_accum_offset 4
		.amdhsa_reserve_vcc 0
		.amdhsa_reserve_flat_scratch 0
		.amdhsa_float_round_mode_32 0
		.amdhsa_float_round_mode_16_64 0
		.amdhsa_float_denorm_mode_32 3
		.amdhsa_float_denorm_mode_16_64 3
		.amdhsa_dx10_clamp 1
		.amdhsa_ieee_mode 1
		.amdhsa_fp16_overflow 0
		.amdhsa_tg_split 0
		.amdhsa_exception_fp_ieee_invalid_op 0
		.amdhsa_exception_fp_denorm_src 0
		.amdhsa_exception_fp_ieee_div_zero 0
		.amdhsa_exception_fp_ieee_overflow 0
		.amdhsa_exception_fp_ieee_underflow 0
		.amdhsa_exception_fp_ieee_inexact 0
		.amdhsa_exception_int_div_zero 0
	.end_amdhsa_kernel
	.section	.text._ZN7rocprim17ROCPRIM_400000_NS6detail17trampoline_kernelINS0_14default_configENS1_25partition_config_selectorILNS1_17partition_subalgoE1EiNS0_10empty_typeEbEEZZNS1_14partition_implILS5_1ELb0ES3_jN6thrust23THRUST_200600_302600_NS6detail15normal_iteratorINSA_10device_ptrIiEEEEPS6_NSA_18transform_iteratorINSA_8identityIiEESF_NSA_11use_defaultESK_EENS0_5tupleIJSF_SF_EEENSM_IJSG_SG_EEES6_PlJS6_EEE10hipError_tPvRmT3_T4_T5_T6_T7_T9_mT8_P12ihipStream_tbDpT10_ENKUlT_T0_E_clISt17integral_constantIbLb1EES18_IbLb0EEEEDaS14_S15_EUlS14_E_NS1_11comp_targetILNS1_3genE5ELNS1_11target_archE942ELNS1_3gpuE9ELNS1_3repE0EEENS1_30default_config_static_selectorELNS0_4arch9wavefront6targetE1EEEvT1_,"axG",@progbits,_ZN7rocprim17ROCPRIM_400000_NS6detail17trampoline_kernelINS0_14default_configENS1_25partition_config_selectorILNS1_17partition_subalgoE1EiNS0_10empty_typeEbEEZZNS1_14partition_implILS5_1ELb0ES3_jN6thrust23THRUST_200600_302600_NS6detail15normal_iteratorINSA_10device_ptrIiEEEEPS6_NSA_18transform_iteratorINSA_8identityIiEESF_NSA_11use_defaultESK_EENS0_5tupleIJSF_SF_EEENSM_IJSG_SG_EEES6_PlJS6_EEE10hipError_tPvRmT3_T4_T5_T6_T7_T9_mT8_P12ihipStream_tbDpT10_ENKUlT_T0_E_clISt17integral_constantIbLb1EES18_IbLb0EEEEDaS14_S15_EUlS14_E_NS1_11comp_targetILNS1_3genE5ELNS1_11target_archE942ELNS1_3gpuE9ELNS1_3repE0EEENS1_30default_config_static_selectorELNS0_4arch9wavefront6targetE1EEEvT1_,comdat
.Lfunc_end626:
	.size	_ZN7rocprim17ROCPRIM_400000_NS6detail17trampoline_kernelINS0_14default_configENS1_25partition_config_selectorILNS1_17partition_subalgoE1EiNS0_10empty_typeEbEEZZNS1_14partition_implILS5_1ELb0ES3_jN6thrust23THRUST_200600_302600_NS6detail15normal_iteratorINSA_10device_ptrIiEEEEPS6_NSA_18transform_iteratorINSA_8identityIiEESF_NSA_11use_defaultESK_EENS0_5tupleIJSF_SF_EEENSM_IJSG_SG_EEES6_PlJS6_EEE10hipError_tPvRmT3_T4_T5_T6_T7_T9_mT8_P12ihipStream_tbDpT10_ENKUlT_T0_E_clISt17integral_constantIbLb1EES18_IbLb0EEEEDaS14_S15_EUlS14_E_NS1_11comp_targetILNS1_3genE5ELNS1_11target_archE942ELNS1_3gpuE9ELNS1_3repE0EEENS1_30default_config_static_selectorELNS0_4arch9wavefront6targetE1EEEvT1_, .Lfunc_end626-_ZN7rocprim17ROCPRIM_400000_NS6detail17trampoline_kernelINS0_14default_configENS1_25partition_config_selectorILNS1_17partition_subalgoE1EiNS0_10empty_typeEbEEZZNS1_14partition_implILS5_1ELb0ES3_jN6thrust23THRUST_200600_302600_NS6detail15normal_iteratorINSA_10device_ptrIiEEEEPS6_NSA_18transform_iteratorINSA_8identityIiEESF_NSA_11use_defaultESK_EENS0_5tupleIJSF_SF_EEENSM_IJSG_SG_EEES6_PlJS6_EEE10hipError_tPvRmT3_T4_T5_T6_T7_T9_mT8_P12ihipStream_tbDpT10_ENKUlT_T0_E_clISt17integral_constantIbLb1EES18_IbLb0EEEEDaS14_S15_EUlS14_E_NS1_11comp_targetILNS1_3genE5ELNS1_11target_archE942ELNS1_3gpuE9ELNS1_3repE0EEENS1_30default_config_static_selectorELNS0_4arch9wavefront6targetE1EEEvT1_
                                        ; -- End function
	.section	.AMDGPU.csdata,"",@progbits
; Kernel info:
; codeLenInByte = 0
; NumSgprs: 4
; NumVgprs: 0
; NumAgprs: 0
; TotalNumVgprs: 0
; ScratchSize: 0
; MemoryBound: 0
; FloatMode: 240
; IeeeMode: 1
; LDSByteSize: 0 bytes/workgroup (compile time only)
; SGPRBlocks: 0
; VGPRBlocks: 0
; NumSGPRsForWavesPerEU: 4
; NumVGPRsForWavesPerEU: 1
; AccumOffset: 4
; Occupancy: 8
; WaveLimiterHint : 0
; COMPUTE_PGM_RSRC2:SCRATCH_EN: 0
; COMPUTE_PGM_RSRC2:USER_SGPR: 6
; COMPUTE_PGM_RSRC2:TRAP_HANDLER: 0
; COMPUTE_PGM_RSRC2:TGID_X_EN: 1
; COMPUTE_PGM_RSRC2:TGID_Y_EN: 0
; COMPUTE_PGM_RSRC2:TGID_Z_EN: 0
; COMPUTE_PGM_RSRC2:TIDIG_COMP_CNT: 0
; COMPUTE_PGM_RSRC3_GFX90A:ACCUM_OFFSET: 0
; COMPUTE_PGM_RSRC3_GFX90A:TG_SPLIT: 0
	.section	.text._ZN7rocprim17ROCPRIM_400000_NS6detail17trampoline_kernelINS0_14default_configENS1_25partition_config_selectorILNS1_17partition_subalgoE1EiNS0_10empty_typeEbEEZZNS1_14partition_implILS5_1ELb0ES3_jN6thrust23THRUST_200600_302600_NS6detail15normal_iteratorINSA_10device_ptrIiEEEEPS6_NSA_18transform_iteratorINSA_8identityIiEESF_NSA_11use_defaultESK_EENS0_5tupleIJSF_SF_EEENSM_IJSG_SG_EEES6_PlJS6_EEE10hipError_tPvRmT3_T4_T5_T6_T7_T9_mT8_P12ihipStream_tbDpT10_ENKUlT_T0_E_clISt17integral_constantIbLb1EES18_IbLb0EEEEDaS14_S15_EUlS14_E_NS1_11comp_targetILNS1_3genE4ELNS1_11target_archE910ELNS1_3gpuE8ELNS1_3repE0EEENS1_30default_config_static_selectorELNS0_4arch9wavefront6targetE1EEEvT1_,"axG",@progbits,_ZN7rocprim17ROCPRIM_400000_NS6detail17trampoline_kernelINS0_14default_configENS1_25partition_config_selectorILNS1_17partition_subalgoE1EiNS0_10empty_typeEbEEZZNS1_14partition_implILS5_1ELb0ES3_jN6thrust23THRUST_200600_302600_NS6detail15normal_iteratorINSA_10device_ptrIiEEEEPS6_NSA_18transform_iteratorINSA_8identityIiEESF_NSA_11use_defaultESK_EENS0_5tupleIJSF_SF_EEENSM_IJSG_SG_EEES6_PlJS6_EEE10hipError_tPvRmT3_T4_T5_T6_T7_T9_mT8_P12ihipStream_tbDpT10_ENKUlT_T0_E_clISt17integral_constantIbLb1EES18_IbLb0EEEEDaS14_S15_EUlS14_E_NS1_11comp_targetILNS1_3genE4ELNS1_11target_archE910ELNS1_3gpuE8ELNS1_3repE0EEENS1_30default_config_static_selectorELNS0_4arch9wavefront6targetE1EEEvT1_,comdat
	.protected	_ZN7rocprim17ROCPRIM_400000_NS6detail17trampoline_kernelINS0_14default_configENS1_25partition_config_selectorILNS1_17partition_subalgoE1EiNS0_10empty_typeEbEEZZNS1_14partition_implILS5_1ELb0ES3_jN6thrust23THRUST_200600_302600_NS6detail15normal_iteratorINSA_10device_ptrIiEEEEPS6_NSA_18transform_iteratorINSA_8identityIiEESF_NSA_11use_defaultESK_EENS0_5tupleIJSF_SF_EEENSM_IJSG_SG_EEES6_PlJS6_EEE10hipError_tPvRmT3_T4_T5_T6_T7_T9_mT8_P12ihipStream_tbDpT10_ENKUlT_T0_E_clISt17integral_constantIbLb1EES18_IbLb0EEEEDaS14_S15_EUlS14_E_NS1_11comp_targetILNS1_3genE4ELNS1_11target_archE910ELNS1_3gpuE8ELNS1_3repE0EEENS1_30default_config_static_selectorELNS0_4arch9wavefront6targetE1EEEvT1_ ; -- Begin function _ZN7rocprim17ROCPRIM_400000_NS6detail17trampoline_kernelINS0_14default_configENS1_25partition_config_selectorILNS1_17partition_subalgoE1EiNS0_10empty_typeEbEEZZNS1_14partition_implILS5_1ELb0ES3_jN6thrust23THRUST_200600_302600_NS6detail15normal_iteratorINSA_10device_ptrIiEEEEPS6_NSA_18transform_iteratorINSA_8identityIiEESF_NSA_11use_defaultESK_EENS0_5tupleIJSF_SF_EEENSM_IJSG_SG_EEES6_PlJS6_EEE10hipError_tPvRmT3_T4_T5_T6_T7_T9_mT8_P12ihipStream_tbDpT10_ENKUlT_T0_E_clISt17integral_constantIbLb1EES18_IbLb0EEEEDaS14_S15_EUlS14_E_NS1_11comp_targetILNS1_3genE4ELNS1_11target_archE910ELNS1_3gpuE8ELNS1_3repE0EEENS1_30default_config_static_selectorELNS0_4arch9wavefront6targetE1EEEvT1_
	.globl	_ZN7rocprim17ROCPRIM_400000_NS6detail17trampoline_kernelINS0_14default_configENS1_25partition_config_selectorILNS1_17partition_subalgoE1EiNS0_10empty_typeEbEEZZNS1_14partition_implILS5_1ELb0ES3_jN6thrust23THRUST_200600_302600_NS6detail15normal_iteratorINSA_10device_ptrIiEEEEPS6_NSA_18transform_iteratorINSA_8identityIiEESF_NSA_11use_defaultESK_EENS0_5tupleIJSF_SF_EEENSM_IJSG_SG_EEES6_PlJS6_EEE10hipError_tPvRmT3_T4_T5_T6_T7_T9_mT8_P12ihipStream_tbDpT10_ENKUlT_T0_E_clISt17integral_constantIbLb1EES18_IbLb0EEEEDaS14_S15_EUlS14_E_NS1_11comp_targetILNS1_3genE4ELNS1_11target_archE910ELNS1_3gpuE8ELNS1_3repE0EEENS1_30default_config_static_selectorELNS0_4arch9wavefront6targetE1EEEvT1_
	.p2align	8
	.type	_ZN7rocprim17ROCPRIM_400000_NS6detail17trampoline_kernelINS0_14default_configENS1_25partition_config_selectorILNS1_17partition_subalgoE1EiNS0_10empty_typeEbEEZZNS1_14partition_implILS5_1ELb0ES3_jN6thrust23THRUST_200600_302600_NS6detail15normal_iteratorINSA_10device_ptrIiEEEEPS6_NSA_18transform_iteratorINSA_8identityIiEESF_NSA_11use_defaultESK_EENS0_5tupleIJSF_SF_EEENSM_IJSG_SG_EEES6_PlJS6_EEE10hipError_tPvRmT3_T4_T5_T6_T7_T9_mT8_P12ihipStream_tbDpT10_ENKUlT_T0_E_clISt17integral_constantIbLb1EES18_IbLb0EEEEDaS14_S15_EUlS14_E_NS1_11comp_targetILNS1_3genE4ELNS1_11target_archE910ELNS1_3gpuE8ELNS1_3repE0EEENS1_30default_config_static_selectorELNS0_4arch9wavefront6targetE1EEEvT1_,@function
_ZN7rocprim17ROCPRIM_400000_NS6detail17trampoline_kernelINS0_14default_configENS1_25partition_config_selectorILNS1_17partition_subalgoE1EiNS0_10empty_typeEbEEZZNS1_14partition_implILS5_1ELb0ES3_jN6thrust23THRUST_200600_302600_NS6detail15normal_iteratorINSA_10device_ptrIiEEEEPS6_NSA_18transform_iteratorINSA_8identityIiEESF_NSA_11use_defaultESK_EENS0_5tupleIJSF_SF_EEENSM_IJSG_SG_EEES6_PlJS6_EEE10hipError_tPvRmT3_T4_T5_T6_T7_T9_mT8_P12ihipStream_tbDpT10_ENKUlT_T0_E_clISt17integral_constantIbLb1EES18_IbLb0EEEEDaS14_S15_EUlS14_E_NS1_11comp_targetILNS1_3genE4ELNS1_11target_archE910ELNS1_3gpuE8ELNS1_3repE0EEENS1_30default_config_static_selectorELNS0_4arch9wavefront6targetE1EEEvT1_: ; @_ZN7rocprim17ROCPRIM_400000_NS6detail17trampoline_kernelINS0_14default_configENS1_25partition_config_selectorILNS1_17partition_subalgoE1EiNS0_10empty_typeEbEEZZNS1_14partition_implILS5_1ELb0ES3_jN6thrust23THRUST_200600_302600_NS6detail15normal_iteratorINSA_10device_ptrIiEEEEPS6_NSA_18transform_iteratorINSA_8identityIiEESF_NSA_11use_defaultESK_EENS0_5tupleIJSF_SF_EEENSM_IJSG_SG_EEES6_PlJS6_EEE10hipError_tPvRmT3_T4_T5_T6_T7_T9_mT8_P12ihipStream_tbDpT10_ENKUlT_T0_E_clISt17integral_constantIbLb1EES18_IbLb0EEEEDaS14_S15_EUlS14_E_NS1_11comp_targetILNS1_3genE4ELNS1_11target_archE910ELNS1_3gpuE8ELNS1_3repE0EEENS1_30default_config_static_selectorELNS0_4arch9wavefront6targetE1EEEvT1_
; %bb.0:
	s_load_dwordx2 s[0:1], s[4:5], 0x60
	s_load_dwordx4 s[24:27], s[4:5], 0x8
	s_load_dwordx2 s[2:3], s[4:5], 0x20
	s_load_dwordx4 s[20:23], s[4:5], 0x50
	s_mul_i32 s10, s6, 0x700
	s_waitcnt lgkmcnt(0)
	v_mov_b32_e32 v3, s1
	s_load_dword s1, s[4:5], 0x78
	s_lshl_b64 s[8:9], s[26:27], 2
	s_add_u32 s7, s24, s8
	s_addc_u32 s12, s25, s9
	v_mov_b32_e32 v2, s0
	s_waitcnt lgkmcnt(0)
	s_add_i32 s13, s1, -1
	s_mulk_i32 s1, 0x700
	s_add_i32 s11, s1, s26
	s_sub_i32 s33, s0, s11
	s_addk_i32 s33, 0x700
	s_add_u32 s0, s26, s1
	s_addc_u32 s1, s27, 0
	s_cmp_eq_u32 s6, s13
	s_load_dwordx2 s[30:31], s[22:23], 0x0
	s_cselect_b64 s[22:23], -1, 0
	s_cmp_lg_u32 s6, s13
	s_mov_b32 s11, 0
	v_cmp_lt_u64_e32 vcc, s[0:1], v[2:3]
	s_cselect_b64 s[0:1], -1, 0
	s_or_b64 s[24:25], s[0:1], vcc
	s_lshl_b64 s[28:29], s[10:11], 2
	s_add_u32 s7, s7, s28
	s_addc_u32 s12, s12, s29
	s_mov_b64 s[0:1], -1
	s_and_b64 vcc, exec, s[24:25]
	v_lshlrev_b32_e32 v1, 2, v0
	s_cbranch_vccz .LBB627_2
; %bb.1:
	v_mov_b32_e32 v3, s12
	v_add_co_u32_e32 v2, vcc, s7, v1
	v_addc_co_u32_e32 v3, vcc, 0, v3, vcc
	v_add_co_u32_e32 v4, vcc, 0x1000, v2
	v_addc_co_u32_e32 v5, vcc, 0, v3, vcc
	flat_load_dword v6, v[2:3]
	flat_load_dword v7, v[2:3] offset:1024
	flat_load_dword v8, v[2:3] offset:2048
	;; [unrolled: 1-line block ×3, first 2 shown]
	flat_load_dword v10, v[4:5]
	flat_load_dword v11, v[4:5] offset:1024
	flat_load_dword v12, v[4:5] offset:2048
	s_mov_b64 s[0:1], 0
	s_waitcnt vmcnt(0) lgkmcnt(0)
	ds_write2st64_b32 v1, v6, v7 offset1:4
	ds_write2st64_b32 v1, v8, v9 offset0:8 offset1:12
	ds_write2st64_b32 v1, v10, v11 offset0:16 offset1:20
	ds_write_b32 v1, v12 offset:6144
	s_waitcnt lgkmcnt(0)
	s_barrier
.LBB627_2:
	s_andn2_b64 vcc, exec, s[0:1]
	v_cmp_gt_u32_e64 s[0:1], s33, v0
	s_cbranch_vccnz .LBB627_18
; %bb.3:
                                        ; implicit-def: $vgpr2_vgpr3_vgpr4_vgpr5_vgpr6_vgpr7_vgpr8
	s_and_saveexec_b64 s[10:11], s[0:1]
	s_cbranch_execz .LBB627_5
; %bb.4:
	v_mov_b32_e32 v3, s12
	v_add_co_u32_e32 v2, vcc, s7, v1
	v_addc_co_u32_e32 v3, vcc, 0, v3, vcc
	flat_load_dword v2, v[2:3]
.LBB627_5:
	s_or_b64 exec, exec, s[10:11]
	v_or_b32_e32 v9, 0x100, v0
	v_cmp_gt_u32_e32 vcc, s33, v9
	s_and_saveexec_b64 s[0:1], vcc
	s_cbranch_execz .LBB627_7
; %bb.6:
	v_mov_b32_e32 v3, s12
	v_add_co_u32_e32 v10, vcc, s7, v1
	v_addc_co_u32_e32 v11, vcc, 0, v3, vcc
	flat_load_dword v3, v[10:11] offset:1024
.LBB627_7:
	s_or_b64 exec, exec, s[0:1]
	v_or_b32_e32 v9, 0x200, v0
	v_cmp_gt_u32_e32 vcc, s33, v9
	s_and_saveexec_b64 s[0:1], vcc
	s_cbranch_execz .LBB627_9
; %bb.8:
	v_mov_b32_e32 v4, s12
	v_add_co_u32_e32 v10, vcc, s7, v1
	v_addc_co_u32_e32 v11, vcc, 0, v4, vcc
	flat_load_dword v4, v[10:11] offset:2048
.LBB627_9:
	;; [unrolled: 11-line block ×3, first 2 shown]
	s_or_b64 exec, exec, s[0:1]
	v_or_b32_e32 v9, 0x400, v0
	v_cmp_gt_u32_e32 vcc, s33, v9
	s_and_saveexec_b64 s[0:1], vcc
	s_cbranch_execz .LBB627_13
; %bb.12:
	v_lshlrev_b32_e32 v6, 2, v9
	v_mov_b32_e32 v9, s12
	v_add_co_u32_e32 v10, vcc, s7, v6
	v_addc_co_u32_e32 v11, vcc, 0, v9, vcc
	flat_load_dword v6, v[10:11]
.LBB627_13:
	s_or_b64 exec, exec, s[0:1]
	v_or_b32_e32 v9, 0x500, v0
	v_cmp_gt_u32_e32 vcc, s33, v9
	s_and_saveexec_b64 s[0:1], vcc
	s_cbranch_execz .LBB627_15
; %bb.14:
	v_lshlrev_b32_e32 v7, 2, v9
	v_mov_b32_e32 v9, s12
	v_add_co_u32_e32 v10, vcc, s7, v7
	v_addc_co_u32_e32 v11, vcc, 0, v9, vcc
	flat_load_dword v7, v[10:11]
.LBB627_15:
	;; [unrolled: 12-line block ×3, first 2 shown]
	s_or_b64 exec, exec, s[0:1]
	s_waitcnt vmcnt(0) lgkmcnt(0)
	ds_write2st64_b32 v1, v2, v3 offset1:4
	ds_write2st64_b32 v1, v4, v5 offset0:8 offset1:12
	ds_write2st64_b32 v1, v6, v7 offset0:16 offset1:20
	ds_write_b32 v1, v8 offset:6144
	s_waitcnt lgkmcnt(0)
	s_barrier
.LBB627_18:
	v_mul_u32_u24_e32 v19, 7, v0
	v_lshlrev_b32_e32 v8, 2, v19
	s_waitcnt lgkmcnt(0)
	ds_read2_b32 v[6:7], v8 offset1:1
	ds_read2_b32 v[4:5], v8 offset0:2 offset1:3
	ds_read2_b32 v[2:3], v8 offset0:4 offset1:5
	ds_read_b32 v18, v8 offset:24
	s_add_u32 s0, s2, s8
	s_addc_u32 s1, s3, s9
	s_add_u32 s0, s0, s28
	s_addc_u32 s1, s1, s29
	s_mov_b64 s[2:3], -1
	s_and_b64 vcc, exec, s[24:25]
	s_waitcnt lgkmcnt(0)
	s_barrier
	s_cbranch_vccz .LBB627_20
; %bb.19:
	global_load_dword v12, v1, s[0:1]
	global_load_dword v13, v1, s[0:1] offset:1024
	v_mov_b32_e32 v9, s1
	v_add_co_u32_e32 v10, vcc, s0, v1
	v_addc_co_u32_e32 v9, vcc, 0, v9, vcc
	global_load_dword v14, v1, s[0:1] offset:2048
	global_load_dword v15, v1, s[0:1] offset:3072
	s_movk_i32 s2, 0x1000
	v_add_co_u32_e32 v10, vcc, s2, v10
	v_addc_co_u32_e32 v11, vcc, 0, v9, vcc
	global_load_dword v9, v[10:11], off
	global_load_dword v16, v[10:11], off offset:1024
	global_load_dword v17, v[10:11], off offset:2048
	s_mov_b64 s[2:3], 0
	s_waitcnt vmcnt(6)
	v_cmp_ne_u32_e32 vcc, 0, v12
	v_cndmask_b32_e64 v10, 0, 1, vcc
	s_waitcnt vmcnt(5)
	v_cmp_ne_u32_e32 vcc, 0, v13
	v_cndmask_b32_e64 v11, 0, 1, vcc
	;; [unrolled: 3-line block ×4, first 2 shown]
	ds_write_b8 v0, v10
	ds_write_b8 v0, v11 offset:256
	ds_write_b8 v0, v12 offset:512
	;; [unrolled: 1-line block ×3, first 2 shown]
	s_waitcnt vmcnt(2)
	v_cmp_ne_u32_e32 vcc, 0, v9
	v_cndmask_b32_e64 v9, 0, 1, vcc
	s_waitcnt vmcnt(1)
	v_cmp_ne_u32_e32 vcc, 0, v16
	v_cndmask_b32_e64 v10, 0, 1, vcc
	s_waitcnt vmcnt(0)
	v_cmp_ne_u32_e32 vcc, 0, v17
	v_cndmask_b32_e64 v11, 0, 1, vcc
	ds_write_b8 v0, v9 offset:1024
	ds_write_b8 v0, v10 offset:1280
	;; [unrolled: 1-line block ×3, first 2 shown]
	s_waitcnt lgkmcnt(0)
	s_barrier
.LBB627_20:
	s_load_dwordx2 s[34:35], s[4:5], 0x70
	s_andn2_b64 vcc, exec, s[2:3]
	s_cbranch_vccnz .LBB627_36
; %bb.21:
	v_cmp_gt_u32_e32 vcc, s33, v0
	v_mov_b32_e32 v9, 0
	v_mov_b32_e32 v10, 0
	s_and_saveexec_b64 s[2:3], vcc
	s_cbranch_execz .LBB627_23
; %bb.22:
	global_load_dword v10, v1, s[0:1]
	s_waitcnt vmcnt(0)
	v_cmp_ne_u32_e32 vcc, 0, v10
	v_cndmask_b32_e64 v10, 0, 1, vcc
.LBB627_23:
	s_or_b64 exec, exec, s[2:3]
	v_or_b32_e32 v11, 0x100, v0
	v_cmp_gt_u32_e32 vcc, s33, v11
	s_and_saveexec_b64 s[2:3], vcc
	s_cbranch_execz .LBB627_25
; %bb.24:
	global_load_dword v9, v1, s[0:1] offset:1024
	s_waitcnt vmcnt(0)
	v_cmp_ne_u32_e32 vcc, 0, v9
	v_cndmask_b32_e64 v9, 0, 1, vcc
.LBB627_25:
	s_or_b64 exec, exec, s[2:3]
	v_or_b32_e32 v11, 0x200, v0
	v_cmp_gt_u32_e32 vcc, s33, v11
	v_mov_b32_e32 v11, 0
	v_mov_b32_e32 v12, 0
	s_and_saveexec_b64 s[2:3], vcc
	s_cbranch_execz .LBB627_27
; %bb.26:
	global_load_dword v12, v1, s[0:1] offset:2048
	s_waitcnt vmcnt(0)
	v_cmp_ne_u32_e32 vcc, 0, v12
	v_cndmask_b32_e64 v12, 0, 1, vcc
.LBB627_27:
	s_or_b64 exec, exec, s[2:3]
	v_or_b32_e32 v13, 0x300, v0
	v_cmp_gt_u32_e32 vcc, s33, v13
	s_and_saveexec_b64 s[2:3], vcc
	s_cbranch_execz .LBB627_29
; %bb.28:
	global_load_dword v11, v1, s[0:1] offset:3072
	s_waitcnt vmcnt(0)
	v_cmp_ne_u32_e32 vcc, 0, v11
	v_cndmask_b32_e64 v11, 0, 1, vcc
.LBB627_29:
	s_or_b64 exec, exec, s[2:3]
	v_or_b32_e32 v15, 0x400, v0
	v_cmp_gt_u32_e32 vcc, s33, v15
	v_mov_b32_e32 v13, 0
	v_mov_b32_e32 v14, 0
	s_and_saveexec_b64 s[2:3], vcc
	s_cbranch_execz .LBB627_31
; %bb.30:
	v_lshlrev_b32_e32 v14, 2, v15
	global_load_dword v14, v14, s[0:1]
	s_waitcnt vmcnt(0)
	v_cmp_ne_u32_e32 vcc, 0, v14
	v_cndmask_b32_e64 v14, 0, 1, vcc
.LBB627_31:
	s_or_b64 exec, exec, s[2:3]
	v_or_b32_e32 v15, 0x500, v0
	v_cmp_gt_u32_e32 vcc, s33, v15
	s_and_saveexec_b64 s[2:3], vcc
	s_cbranch_execz .LBB627_33
; %bb.32:
	v_lshlrev_b32_e32 v13, 2, v15
	global_load_dword v13, v13, s[0:1]
	s_waitcnt vmcnt(0)
	v_cmp_ne_u32_e32 vcc, 0, v13
	v_cndmask_b32_e64 v13, 0, 1, vcc
.LBB627_33:
	s_or_b64 exec, exec, s[2:3]
	v_or_b32_e32 v16, 0x600, v0
	v_cmp_gt_u32_e32 vcc, s33, v16
	v_mov_b32_e32 v15, 0
	s_and_saveexec_b64 s[2:3], vcc
	s_cbranch_execz .LBB627_35
; %bb.34:
	v_lshlrev_b32_e32 v15, 2, v16
	global_load_dword v15, v15, s[0:1]
	s_waitcnt vmcnt(0)
	v_cmp_ne_u32_e32 vcc, 0, v15
	v_cndmask_b32_e64 v15, 0, 1, vcc
.LBB627_35:
	s_or_b64 exec, exec, s[2:3]
	ds_write_b8 v0, v10
	ds_write_b8 v0, v9 offset:256
	ds_write_b8 v0, v12 offset:512
	ds_write_b8 v0, v11 offset:768
	ds_write_b8 v0, v14 offset:1024
	ds_write_b8 v0, v13 offset:1280
	ds_write_b8 v0, v15 offset:1536
	s_waitcnt lgkmcnt(0)
	s_barrier
.LBB627_36:
	s_movk_i32 s0, 0xffeb
	v_mad_i32_i24 v28, v0, s0, v8
	s_waitcnt lgkmcnt(0)
	ds_read_u8 v8, v28
	ds_read_u8 v9, v28 offset:1
	ds_read_u8 v10, v28 offset:2
	;; [unrolled: 1-line block ×6, first 2 shown]
	s_waitcnt lgkmcnt(6)
	v_and_b32_e32 v26, 1, v8
	s_waitcnt lgkmcnt(5)
	v_and_b32_e32 v25, 1, v9
	;; [unrolled: 2-line block ×5, first 2 shown]
	v_add3_u32 v8, v25, v26, v24
	s_waitcnt lgkmcnt(1)
	v_and_b32_e32 v21, 1, v13
	s_waitcnt lgkmcnt(0)
	v_and_b32_e32 v20, 1, v14
	v_add3_u32 v8, v8, v23, v22
	v_add3_u32 v30, v8, v21, v20
	v_mbcnt_lo_u32_b32 v8, -1, 0
	v_mbcnt_hi_u32_b32 v27, -1, v8
	v_and_b32_e32 v8, 15, v27
	v_cmp_eq_u32_e64 s[14:15], 0, v8
	v_cmp_lt_u32_e64 s[12:13], 1, v8
	v_cmp_lt_u32_e64 s[10:11], 3, v8
	;; [unrolled: 1-line block ×3, first 2 shown]
	v_and_b32_e32 v8, 16, v27
	v_cmp_eq_u32_e64 s[18:19], 0, v8
	v_or_b32_e32 v8, 63, v0
	s_cmp_lg_u32 s6, 0
	v_cmp_lt_u32_e64 s[0:1], 31, v27
	v_lshrrev_b32_e32 v29, 6, v0
	v_cmp_eq_u32_e64 s[2:3], v8, v0
	s_barrier
	s_cbranch_scc0 .LBB627_67
; %bb.37:
	v_mov_b32_dpp v8, v30 row_shr:1 row_mask:0xf bank_mask:0xf
	v_cndmask_b32_e64 v8, v8, 0, s[14:15]
	v_add_u32_e32 v8, v8, v30
	s_nop 1
	v_mov_b32_dpp v9, v8 row_shr:2 row_mask:0xf bank_mask:0xf
	v_cndmask_b32_e64 v9, 0, v9, s[12:13]
	v_add_u32_e32 v8, v8, v9
	s_nop 1
	;; [unrolled: 4-line block ×4, first 2 shown]
	v_mov_b32_dpp v9, v8 row_bcast:15 row_mask:0xf bank_mask:0xf
	v_cndmask_b32_e64 v9, v9, 0, s[18:19]
	v_add_u32_e32 v8, v8, v9
	s_nop 1
	v_mov_b32_dpp v9, v8 row_bcast:31 row_mask:0xf bank_mask:0xf
	v_cndmask_b32_e64 v9, 0, v9, s[0:1]
	v_add_u32_e32 v8, v8, v9
	s_and_saveexec_b64 s[16:17], s[2:3]
	s_cbranch_execz .LBB627_39
; %bb.38:
	v_lshlrev_b32_e32 v9, 2, v29
	ds_write_b32 v9, v8
.LBB627_39:
	s_or_b64 exec, exec, s[16:17]
	v_cmp_gt_u32_e32 vcc, 4, v0
	s_waitcnt lgkmcnt(0)
	s_barrier
	s_and_saveexec_b64 s[16:17], vcc
	s_cbranch_execz .LBB627_41
; %bb.40:
	ds_read_b32 v9, v1
	v_and_b32_e32 v10, 3, v27
	v_cmp_ne_u32_e32 vcc, 0, v10
	s_waitcnt lgkmcnt(0)
	v_mov_b32_dpp v11, v9 row_shr:1 row_mask:0xf bank_mask:0xf
	v_cndmask_b32_e32 v11, 0, v11, vcc
	v_add_u32_e32 v9, v11, v9
	v_cmp_lt_u32_e32 vcc, 1, v10
	s_nop 0
	v_mov_b32_dpp v11, v9 row_shr:2 row_mask:0xf bank_mask:0xf
	v_cndmask_b32_e32 v10, 0, v11, vcc
	v_add_u32_e32 v9, v9, v10
	ds_write_b32 v1, v9
.LBB627_41:
	s_or_b64 exec, exec, s[16:17]
	v_cmp_gt_u32_e32 vcc, 64, v0
	v_cmp_lt_u32_e64 s[16:17], 63, v0
	s_waitcnt lgkmcnt(0)
	s_barrier
	s_waitcnt lgkmcnt(0)
                                        ; implicit-def: $vgpr31
	s_and_saveexec_b64 s[36:37], s[16:17]
	s_cbranch_execz .LBB627_43
; %bb.42:
	v_lshl_add_u32 v9, v29, 2, -4
	ds_read_b32 v31, v9
	s_waitcnt lgkmcnt(0)
	v_add_u32_e32 v8, v31, v8
.LBB627_43:
	s_or_b64 exec, exec, s[36:37]
	v_add_u32_e32 v9, -1, v27
	v_and_b32_e32 v10, 64, v27
	v_cmp_lt_i32_e64 s[16:17], v9, v10
	v_cndmask_b32_e64 v9, v9, v27, s[16:17]
	v_lshlrev_b32_e32 v9, 2, v9
	ds_bpermute_b32 v32, v9, v8
	v_cmp_eq_u32_e64 s[16:17], 0, v27
	s_and_saveexec_b64 s[36:37], vcc
	s_cbranch_execz .LBB627_66
; %bb.44:
	v_mov_b32_e32 v17, 0
	ds_read_b32 v8, v17 offset:12
	s_and_saveexec_b64 s[38:39], s[16:17]
	s_cbranch_execz .LBB627_46
; %bb.45:
	s_add_i32 s40, s6, 64
	s_mov_b32 s41, 0
	s_lshl_b64 s[40:41], s[40:41], 3
	s_add_u32 s40, s34, s40
	v_mov_b32_e32 v9, 1
	s_addc_u32 s41, s35, s41
	s_waitcnt lgkmcnt(0)
	global_store_dwordx2 v17, v[8:9], s[40:41]
.LBB627_46:
	s_or_b64 exec, exec, s[38:39]
	v_xad_u32 v10, v27, -1, s6
	v_add_u32_e32 v16, 64, v10
	v_lshlrev_b64 v[12:13], 3, v[16:17]
	v_mov_b32_e32 v9, s35
	v_add_co_u32_e32 v12, vcc, s34, v12
	v_addc_co_u32_e32 v13, vcc, v9, v13, vcc
	global_load_dwordx2 v[14:15], v[12:13], off glc
	s_waitcnt vmcnt(0)
	v_cmp_eq_u16_sdwa s[40:41], v15, v17 src0_sel:BYTE_0 src1_sel:DWORD
	s_and_saveexec_b64 s[38:39], s[40:41]
	s_cbranch_execz .LBB627_52
; %bb.47:
	s_mov_b32 s7, 1
	s_mov_b64 s[40:41], 0
	v_mov_b32_e32 v9, 0
.LBB627_48:                             ; =>This Loop Header: Depth=1
                                        ;     Child Loop BB627_49 Depth 2
	s_max_u32 s42, s7, 1
.LBB627_49:                             ;   Parent Loop BB627_48 Depth=1
                                        ; =>  This Inner Loop Header: Depth=2
	s_add_i32 s42, s42, -1
	s_cmp_eq_u32 s42, 0
	s_sleep 1
	s_cbranch_scc0 .LBB627_49
; %bb.50:                               ;   in Loop: Header=BB627_48 Depth=1
	global_load_dwordx2 v[14:15], v[12:13], off glc
	s_cmp_lt_u32 s7, 32
	s_cselect_b64 s[42:43], -1, 0
	s_cmp_lg_u64 s[42:43], 0
	s_addc_u32 s7, s7, 0
	s_waitcnt vmcnt(0)
	v_cmp_ne_u16_sdwa s[42:43], v15, v9 src0_sel:BYTE_0 src1_sel:DWORD
	s_or_b64 s[40:41], s[42:43], s[40:41]
	s_andn2_b64 exec, exec, s[40:41]
	s_cbranch_execnz .LBB627_48
; %bb.51:
	s_or_b64 exec, exec, s[40:41]
.LBB627_52:
	s_or_b64 exec, exec, s[38:39]
	v_and_b32_e32 v34, 63, v27
	v_mov_b32_e32 v33, 2
	v_cmp_ne_u32_e32 vcc, 63, v34
	v_cmp_eq_u16_sdwa s[38:39], v15, v33 src0_sel:BYTE_0 src1_sel:DWORD
	v_lshlrev_b64 v[12:13], v27, -1
	v_addc_co_u32_e32 v16, vcc, 0, v27, vcc
	v_and_b32_e32 v9, s39, v13
	v_lshlrev_b32_e32 v35, 2, v16
	v_or_b32_e32 v9, 0x80000000, v9
	ds_bpermute_b32 v16, v35, v14
	v_and_b32_e32 v11, s38, v12
	v_ffbl_b32_e32 v9, v9
	v_add_u32_e32 v9, 32, v9
	v_ffbl_b32_e32 v11, v11
	v_min_u32_e32 v9, v11, v9
	v_cmp_lt_u32_e32 vcc, v34, v9
	s_waitcnt lgkmcnt(0)
	v_cndmask_b32_e32 v11, 0, v16, vcc
	v_cmp_gt_u32_e32 vcc, 62, v34
	v_add_u32_e32 v11, v11, v14
	v_cndmask_b32_e64 v14, 0, 1, vcc
	v_lshlrev_b32_e32 v14, 1, v14
	v_add_lshl_u32 v36, v14, v27, 2
	ds_bpermute_b32 v14, v36, v11
	v_add_u32_e32 v37, 2, v34
	v_cmp_le_u32_e32 vcc, v37, v9
	v_add_u32_e32 v39, 4, v34
	v_add_u32_e32 v41, 8, v34
	s_waitcnt lgkmcnt(0)
	v_cndmask_b32_e32 v14, 0, v14, vcc
	v_cmp_gt_u32_e32 vcc, 60, v34
	v_add_u32_e32 v11, v11, v14
	v_cndmask_b32_e64 v14, 0, 1, vcc
	v_lshlrev_b32_e32 v14, 2, v14
	v_add_lshl_u32 v38, v14, v27, 2
	ds_bpermute_b32 v14, v38, v11
	v_cmp_le_u32_e32 vcc, v39, v9
	v_add_u32_e32 v43, 16, v34
	v_add_u32_e32 v45, 32, v34
	s_waitcnt lgkmcnt(0)
	v_cndmask_b32_e32 v14, 0, v14, vcc
	v_cmp_gt_u32_e32 vcc, 56, v34
	v_add_u32_e32 v11, v11, v14
	v_cndmask_b32_e64 v14, 0, 1, vcc
	v_lshlrev_b32_e32 v14, 3, v14
	v_add_lshl_u32 v40, v14, v27, 2
	ds_bpermute_b32 v14, v40, v11
	v_cmp_le_u32_e32 vcc, v41, v9
	s_waitcnt lgkmcnt(0)
	v_cndmask_b32_e32 v14, 0, v14, vcc
	v_cmp_gt_u32_e32 vcc, 48, v34
	v_add_u32_e32 v11, v11, v14
	v_cndmask_b32_e64 v14, 0, 1, vcc
	v_lshlrev_b32_e32 v14, 4, v14
	v_add_lshl_u32 v42, v14, v27, 2
	ds_bpermute_b32 v14, v42, v11
	v_cmp_le_u32_e32 vcc, v43, v9
	;; [unrolled: 9-line block ×3, first 2 shown]
	s_waitcnt lgkmcnt(0)
	v_cndmask_b32_e32 v9, 0, v14, vcc
	v_add_u32_e32 v14, v11, v9
	v_mov_b32_e32 v11, 0
	s_branch .LBB627_54
.LBB627_53:                             ;   in Loop: Header=BB627_54 Depth=1
	s_or_b64 exec, exec, s[38:39]
	v_cmp_eq_u16_sdwa s[38:39], v15, v33 src0_sel:BYTE_0 src1_sel:DWORD
	v_and_b32_e32 v16, s39, v13
	v_or_b32_e32 v16, 0x80000000, v16
	ds_bpermute_b32 v46, v35, v14
	v_and_b32_e32 v17, s38, v12
	v_ffbl_b32_e32 v16, v16
	v_add_u32_e32 v16, 32, v16
	v_ffbl_b32_e32 v17, v17
	v_min_u32_e32 v16, v17, v16
	v_cmp_lt_u32_e32 vcc, v34, v16
	s_waitcnt lgkmcnt(0)
	v_cndmask_b32_e32 v17, 0, v46, vcc
	v_add_u32_e32 v14, v17, v14
	ds_bpermute_b32 v17, v36, v14
	v_cmp_le_u32_e32 vcc, v37, v16
	v_subrev_u32_e32 v10, 64, v10
	s_waitcnt lgkmcnt(0)
	v_cndmask_b32_e32 v17, 0, v17, vcc
	v_add_u32_e32 v14, v14, v17
	ds_bpermute_b32 v17, v38, v14
	v_cmp_le_u32_e32 vcc, v39, v16
	s_waitcnt lgkmcnt(0)
	v_cndmask_b32_e32 v17, 0, v17, vcc
	v_add_u32_e32 v14, v14, v17
	ds_bpermute_b32 v17, v40, v14
	v_cmp_le_u32_e32 vcc, v41, v16
	;; [unrolled: 5-line block ×4, first 2 shown]
	s_waitcnt lgkmcnt(0)
	v_cndmask_b32_e32 v16, 0, v17, vcc
	v_add3_u32 v14, v16, v9, v14
.LBB627_54:                             ; =>This Loop Header: Depth=1
                                        ;     Child Loop BB627_57 Depth 2
                                        ;       Child Loop BB627_58 Depth 3
	v_cmp_ne_u16_sdwa s[38:39], v15, v33 src0_sel:BYTE_0 src1_sel:DWORD
	v_cndmask_b32_e64 v9, 0, 1, s[38:39]
	;;#ASMSTART
	;;#ASMEND
	v_cmp_ne_u32_e32 vcc, 0, v9
	s_cmp_lg_u64 vcc, exec
	v_mov_b32_e32 v9, v14
	s_cbranch_scc1 .LBB627_61
; %bb.55:                               ;   in Loop: Header=BB627_54 Depth=1
	v_lshlrev_b64 v[14:15], 3, v[10:11]
	v_mov_b32_e32 v17, s35
	v_add_co_u32_e32 v16, vcc, s34, v14
	v_addc_co_u32_e32 v17, vcc, v17, v15, vcc
	global_load_dwordx2 v[14:15], v[16:17], off glc
	s_waitcnt vmcnt(0)
	v_cmp_eq_u16_sdwa s[40:41], v15, v11 src0_sel:BYTE_0 src1_sel:DWORD
	s_and_saveexec_b64 s[38:39], s[40:41]
	s_cbranch_execz .LBB627_53
; %bb.56:                               ;   in Loop: Header=BB627_54 Depth=1
	s_mov_b32 s7, 1
	s_mov_b64 s[40:41], 0
.LBB627_57:                             ;   Parent Loop BB627_54 Depth=1
                                        ; =>  This Loop Header: Depth=2
                                        ;       Child Loop BB627_58 Depth 3
	s_max_u32 s42, s7, 1
.LBB627_58:                             ;   Parent Loop BB627_54 Depth=1
                                        ;     Parent Loop BB627_57 Depth=2
                                        ; =>    This Inner Loop Header: Depth=3
	s_add_i32 s42, s42, -1
	s_cmp_eq_u32 s42, 0
	s_sleep 1
	s_cbranch_scc0 .LBB627_58
; %bb.59:                               ;   in Loop: Header=BB627_57 Depth=2
	global_load_dwordx2 v[14:15], v[16:17], off glc
	s_cmp_lt_u32 s7, 32
	s_cselect_b64 s[42:43], -1, 0
	s_cmp_lg_u64 s[42:43], 0
	s_addc_u32 s7, s7, 0
	s_waitcnt vmcnt(0)
	v_cmp_ne_u16_sdwa s[42:43], v15, v11 src0_sel:BYTE_0 src1_sel:DWORD
	s_or_b64 s[40:41], s[42:43], s[40:41]
	s_andn2_b64 exec, exec, s[40:41]
	s_cbranch_execnz .LBB627_57
; %bb.60:                               ;   in Loop: Header=BB627_54 Depth=1
	s_or_b64 exec, exec, s[40:41]
	s_branch .LBB627_53
.LBB627_61:                             ;   in Loop: Header=BB627_54 Depth=1
                                        ; implicit-def: $vgpr14
                                        ; implicit-def: $vgpr15
	s_cbranch_execz .LBB627_54
; %bb.62:
	s_and_saveexec_b64 s[38:39], s[16:17]
	s_cbranch_execz .LBB627_64
; %bb.63:
	s_add_i32 s6, s6, 64
	s_mov_b32 s7, 0
	s_lshl_b64 s[6:7], s[6:7], 3
	s_add_u32 s6, s34, s6
	v_add_u32_e32 v10, v9, v8
	v_mov_b32_e32 v11, 2
	s_addc_u32 s7, s35, s7
	v_mov_b32_e32 v12, 0
	global_store_dwordx2 v12, v[10:11], s[6:7]
	ds_write_b64 v12, v[8:9] offset:7168
.LBB627_64:
	s_or_b64 exec, exec, s[38:39]
	v_cmp_eq_u32_e32 vcc, 0, v0
	s_and_b64 exec, exec, vcc
	s_cbranch_execz .LBB627_66
; %bb.65:
	v_mov_b32_e32 v8, 0
	ds_write_b32 v8, v9 offset:12
.LBB627_66:
	s_or_b64 exec, exec, s[36:37]
	v_mov_b32_e32 v8, 0
	s_waitcnt lgkmcnt(0)
	s_barrier
	ds_read_b32 v9, v8 offset:12
	v_cndmask_b32_e64 v10, v32, v31, s[16:17]
	v_cmp_ne_u32_e32 vcc, 0, v0
	v_cndmask_b32_e32 v10, 0, v10, vcc
	s_waitcnt lgkmcnt(0)
	v_add_u32_e32 v16, v9, v10
	v_add_u32_e32 v15, v16, v26
	v_add_u32_e32 v14, v15, v25
	s_barrier
	ds_read_b64 v[8:9], v8 offset:7168
	v_add_u32_e32 v12, v14, v24
	v_add_u32_e32 v13, v12, v23
	;; [unrolled: 1-line block ×4, first 2 shown]
	s_branch .LBB627_77
.LBB627_67:
                                        ; implicit-def: $vgpr9
                                        ; implicit-def: $vgpr10
                                        ; implicit-def: $vgpr11
                                        ; implicit-def: $vgpr13
                                        ; implicit-def: $vgpr12
                                        ; implicit-def: $vgpr14
                                        ; implicit-def: $vgpr15
                                        ; implicit-def: $vgpr16
	s_cbranch_execz .LBB627_77
; %bb.68:
	s_waitcnt lgkmcnt(0)
	v_mov_b32_dpp v8, v30 row_shr:1 row_mask:0xf bank_mask:0xf
	v_cndmask_b32_e64 v8, v8, 0, s[14:15]
	v_add_u32_e32 v8, v8, v30
	s_nop 1
	v_mov_b32_dpp v9, v8 row_shr:2 row_mask:0xf bank_mask:0xf
	v_cndmask_b32_e64 v9, 0, v9, s[12:13]
	v_add_u32_e32 v8, v8, v9
	s_nop 1
	v_mov_b32_dpp v9, v8 row_shr:4 row_mask:0xf bank_mask:0xf
	v_cndmask_b32_e64 v9, 0, v9, s[10:11]
	v_add_u32_e32 v8, v8, v9
	s_nop 1
	v_mov_b32_dpp v9, v8 row_shr:8 row_mask:0xf bank_mask:0xf
	v_cndmask_b32_e64 v9, 0, v9, s[8:9]
	v_add_u32_e32 v8, v8, v9
	s_nop 1
	v_mov_b32_dpp v9, v8 row_bcast:15 row_mask:0xf bank_mask:0xf
	v_cndmask_b32_e64 v9, v9, 0, s[18:19]
	v_add_u32_e32 v8, v8, v9
	s_nop 1
	v_mov_b32_dpp v9, v8 row_bcast:31 row_mask:0xf bank_mask:0xf
	v_cndmask_b32_e64 v9, 0, v9, s[0:1]
	v_add_u32_e32 v8, v8, v9
	s_and_saveexec_b64 s[0:1], s[2:3]
	s_cbranch_execz .LBB627_70
; %bb.69:
	v_lshlrev_b32_e32 v9, 2, v29
	ds_write_b32 v9, v8
.LBB627_70:
	s_or_b64 exec, exec, s[0:1]
	v_cmp_gt_u32_e32 vcc, 4, v0
	s_waitcnt lgkmcnt(0)
	s_barrier
	s_and_saveexec_b64 s[0:1], vcc
	s_cbranch_execz .LBB627_72
; %bb.71:
	v_mad_i32_i24 v9, v0, -3, v28
	ds_read_b32 v10, v9
	v_and_b32_e32 v11, 3, v27
	v_cmp_ne_u32_e32 vcc, 0, v11
	s_waitcnt lgkmcnt(0)
	v_mov_b32_dpp v12, v10 row_shr:1 row_mask:0xf bank_mask:0xf
	v_cndmask_b32_e32 v12, 0, v12, vcc
	v_add_u32_e32 v10, v12, v10
	v_cmp_lt_u32_e32 vcc, 1, v11
	s_nop 0
	v_mov_b32_dpp v12, v10 row_shr:2 row_mask:0xf bank_mask:0xf
	v_cndmask_b32_e32 v11, 0, v12, vcc
	v_add_u32_e32 v10, v10, v11
	ds_write_b32 v9, v10
.LBB627_72:
	s_or_b64 exec, exec, s[0:1]
	v_cmp_lt_u32_e32 vcc, 63, v0
	v_mov_b32_e32 v9, 0
	v_mov_b32_e32 v10, 0
	s_waitcnt lgkmcnt(0)
	s_barrier
	s_and_saveexec_b64 s[0:1], vcc
	s_cbranch_execz .LBB627_74
; %bb.73:
	v_lshl_add_u32 v10, v29, 2, -4
	ds_read_b32 v10, v10
.LBB627_74:
	s_or_b64 exec, exec, s[0:1]
	v_add_u32_e32 v11, -1, v27
	v_and_b32_e32 v12, 64, v27
	v_cmp_lt_i32_e32 vcc, v11, v12
	v_cndmask_b32_e32 v11, v11, v27, vcc
	s_waitcnt lgkmcnt(0)
	v_add_u32_e32 v8, v10, v8
	v_lshlrev_b32_e32 v11, 2, v11
	ds_bpermute_b32 v11, v11, v8
	ds_read_b32 v8, v9 offset:12
	v_cmp_eq_u32_e32 vcc, 0, v0
	s_and_saveexec_b64 s[0:1], vcc
	s_cbranch_execz .LBB627_76
; %bb.75:
	v_mov_b32_e32 v12, 0
	v_mov_b32_e32 v9, 2
	s_waitcnt lgkmcnt(0)
	global_store_dwordx2 v12, v[8:9], s[34:35] offset:512
.LBB627_76:
	s_or_b64 exec, exec, s[0:1]
	v_cmp_eq_u32_e64 s[0:1], 0, v27
	s_waitcnt lgkmcnt(1)
	v_cndmask_b32_e64 v10, v11, v10, s[0:1]
	v_cndmask_b32_e64 v16, v10, 0, vcc
	v_add_u32_e32 v15, v16, v26
	v_add_u32_e32 v14, v15, v25
	;; [unrolled: 1-line block ×5, first 2 shown]
	v_mov_b32_e32 v9, 0
	v_add_u32_e32 v10, v11, v21
	s_waitcnt lgkmcnt(0)
	s_barrier
.LBB627_77:
	s_waitcnt lgkmcnt(0)
	v_add_u32_e32 v17, v8, v19
	v_sub_u32_e32 v16, v16, v9
	v_sub_u32_e32 v19, v17, v16
	v_cmp_eq_u32_e32 vcc, 1, v26
	v_cndmask_b32_e32 v16, v19, v16, vcc
	v_lshlrev_b32_e32 v16, 2, v16
	ds_write_b32 v16, v6
	v_sub_u32_e32 v6, v15, v9
	v_sub_u32_e32 v15, v17, v6
	v_add_u32_e32 v15, 1, v15
	v_cmp_eq_u32_e32 vcc, 1, v25
	v_cndmask_b32_e32 v6, v15, v6, vcc
	v_lshlrev_b32_e32 v6, 2, v6
	ds_write_b32 v6, v7
	v_sub_u32_e32 v6, v14, v9
	v_sub_u32_e32 v7, v17, v6
	v_add_u32_e32 v7, 2, v7
	;; [unrolled: 7-line block ×6, first 2 shown]
	v_cmp_eq_u32_e32 vcc, 1, v20
	v_cndmask_b32_e32 v2, v3, v2, vcc
	v_lshlrev_b32_e32 v2, 2, v2
	ds_write_b32 v2, v18
	v_mov_b32_e32 v2, s31
	v_add_co_u32_e32 v22, vcc, s30, v9
	v_addc_co_u32_e32 v23, vcc, 0, v2, vcc
	s_load_dwordx4 s[0:3], s[4:5], 0x30
	v_add_co_u32_e32 v2, vcc, v22, v8
	v_addc_co_u32_e32 v3, vcc, 0, v23, vcc
	v_mov_b32_e32 v9, s27
	v_sub_co_u32_e32 v24, vcc, s26, v2
	v_subb_co_u32_e32 v25, vcc, v9, v3, vcc
	v_lshlrev_b64 v[24:25], 2, v[24:25]
	s_waitcnt lgkmcnt(0)
	s_barrier
	ds_read2st64_b32 v[10:11], v1 offset1:4
	ds_read2st64_b32 v[6:7], v1 offset0:8 offset1:12
	ds_read2st64_b32 v[4:5], v1 offset0:16 offset1:20
	ds_read_b32 v12, v1 offset:6144
	v_mov_b32_e32 v9, s3
	v_add_co_u32_e32 v15, vcc, s2, v24
	v_addc_co_u32_e32 v16, vcc, v9, v25, vcc
	v_mov_b32_e32 v18, s29
	v_add_co_u32_e32 v9, vcc, s28, v15
	v_lshlrev_b64 v[22:23], 2, v[22:23]
	v_addc_co_u32_e32 v15, vcc, v16, v18, vcc
	v_mov_b32_e32 v18, s1
	v_add_co_u32_e64 v16, s[0:1], s0, v22
	v_or_b32_e32 v21, 0x100, v0
	v_or_b32_e32 v20, 0x200, v0
	;; [unrolled: 1-line block ×6, first 2 shown]
	s_andn2_b64 vcc, exec, s[24:25]
	v_addc_co_u32_e64 v18, s[0:1], v18, v23, s[0:1]
	s_cbranch_vccnz .LBB627_79
; %bb.78:
	v_cmp_gt_u32_e32 vcc, v8, v0
	v_cndmask_b32_e32 v22, v9, v16, vcc
	v_cndmask_b32_e32 v23, v15, v18, vcc
	v_add_co_u32_e32 v22, vcc, v22, v1
	v_addc_co_u32_e32 v23, vcc, 0, v23, vcc
	v_cmp_lt_u32_e32 vcc, v21, v8
	s_waitcnt lgkmcnt(3)
	global_store_dword v[22:23], v10, off
	v_cndmask_b32_e32 v22, v9, v16, vcc
	v_cndmask_b32_e32 v23, v15, v18, vcc
	v_add_co_u32_e32 v22, vcc, v22, v1
	v_addc_co_u32_e32 v23, vcc, 0, v23, vcc
	v_cmp_lt_u32_e32 vcc, v20, v8
	global_store_dword v[22:23], v11, off offset:1024
	v_cndmask_b32_e32 v22, v9, v16, vcc
	v_cndmask_b32_e32 v23, v15, v18, vcc
	v_add_co_u32_e32 v22, vcc, v22, v1
	v_addc_co_u32_e32 v23, vcc, 0, v23, vcc
	v_cmp_lt_u32_e32 vcc, v19, v8
	s_waitcnt lgkmcnt(2)
	global_store_dword v[22:23], v6, off offset:2048
	v_cndmask_b32_e32 v22, v9, v16, vcc
	v_cndmask_b32_e32 v23, v15, v18, vcc
	v_add_co_u32_e32 v22, vcc, v22, v1
	v_addc_co_u32_e32 v23, vcc, 0, v23, vcc
	v_cmp_lt_u32_e32 vcc, v17, v8
	global_store_dword v[22:23], v7, off offset:3072
	v_cndmask_b32_e32 v22, v9, v16, vcc
	v_lshlrev_b32_e32 v24, 2, v17
	v_cndmask_b32_e32 v23, v15, v18, vcc
	v_add_co_u32_e32 v22, vcc, v22, v24
	v_addc_co_u32_e32 v23, vcc, 0, v23, vcc
	v_cmp_lt_u32_e32 vcc, v14, v8
	s_waitcnt lgkmcnt(1)
	global_store_dword v[22:23], v4, off
	v_cndmask_b32_e32 v22, v9, v16, vcc
	v_lshlrev_b32_e32 v24, 2, v14
	v_cndmask_b32_e32 v23, v15, v18, vcc
	v_add_co_u32_e32 v22, vcc, v22, v24
	v_addc_co_u32_e32 v23, vcc, 0, v23, vcc
	s_mov_b64 s[0:1], -1
	global_store_dword v[22:23], v5, off
	s_cbranch_execz .LBB627_80
	s_branch .LBB627_88
.LBB627_79:
	s_mov_b64 s[0:1], 0
.LBB627_80:
	v_cmp_gt_u32_e32 vcc, s33, v0
	s_and_saveexec_b64 s[0:1], vcc
	s_cbranch_execnz .LBB627_93
; %bb.81:
	s_or_b64 exec, exec, s[0:1]
	v_cmp_gt_u32_e32 vcc, s33, v21
	s_and_saveexec_b64 s[0:1], vcc
	s_cbranch_execnz .LBB627_94
.LBB627_82:
	s_or_b64 exec, exec, s[0:1]
	v_cmp_gt_u32_e32 vcc, s33, v20
	s_and_saveexec_b64 s[0:1], vcc
	s_cbranch_execnz .LBB627_95
.LBB627_83:
	s_or_b64 exec, exec, s[0:1]
	v_cmp_gt_u32_e32 vcc, s33, v19
	s_and_saveexec_b64 s[0:1], vcc
	s_cbranch_execnz .LBB627_96
.LBB627_84:
	s_or_b64 exec, exec, s[0:1]
	v_cmp_gt_u32_e32 vcc, s33, v17
	s_and_saveexec_b64 s[0:1], vcc
	s_cbranch_execnz .LBB627_97
.LBB627_85:
	s_or_b64 exec, exec, s[0:1]
	v_cmp_gt_u32_e32 vcc, s33, v14
	s_and_saveexec_b64 s[0:1], vcc
	s_cbranch_execz .LBB627_87
.LBB627_86:
	v_cmp_lt_u32_e32 vcc, v14, v8
	s_waitcnt lgkmcnt(1)
	v_cndmask_b32_e32 v4, v9, v16, vcc
	v_lshlrev_b32_e32 v6, 2, v14
	v_cndmask_b32_e32 v1, v15, v18, vcc
	v_add_co_u32_e32 v6, vcc, v4, v6
	v_addc_co_u32_e32 v7, vcc, 0, v1, vcc
	global_store_dword v[6:7], v5, off
.LBB627_87:
	s_or_b64 exec, exec, s[0:1]
	v_cmp_gt_u32_e64 s[0:1], s33, v13
.LBB627_88:
	s_and_saveexec_b64 s[2:3], s[0:1]
	s_cbranch_execz .LBB627_90
; %bb.89:
	v_cmp_lt_u32_e32 vcc, v13, v8
	s_waitcnt lgkmcnt(1)
	v_cndmask_b32_e32 v4, v9, v16, vcc
	v_lshlrev_b32_e32 v5, 2, v13
	v_cndmask_b32_e32 v1, v15, v18, vcc
	v_add_co_u32_e32 v4, vcc, v4, v5
	v_addc_co_u32_e32 v5, vcc, 0, v1, vcc
	s_waitcnt lgkmcnt(0)
	global_store_dword v[4:5], v12, off
.LBB627_90:
	s_or_b64 exec, exec, s[2:3]
	v_cmp_eq_u32_e32 vcc, 0, v0
	s_and_b64 s[0:1], vcc, s[22:23]
	s_and_saveexec_b64 s[2:3], s[0:1]
	s_cbranch_execz .LBB627_92
; %bb.91:
	v_mov_b32_e32 v0, 0
	global_store_dwordx2 v0, v[2:3], s[20:21]
.LBB627_92:
	s_endpgm
.LBB627_93:
	v_cmp_gt_u32_e32 vcc, v8, v0
	v_cndmask_b32_e32 v22, v9, v16, vcc
	v_cndmask_b32_e32 v23, v15, v18, vcc
	v_add_co_u32_e32 v22, vcc, v22, v1
	v_addc_co_u32_e32 v23, vcc, 0, v23, vcc
	s_waitcnt lgkmcnt(3)
	global_store_dword v[22:23], v10, off
	s_or_b64 exec, exec, s[0:1]
	v_cmp_gt_u32_e32 vcc, s33, v21
	s_and_saveexec_b64 s[0:1], vcc
	s_cbranch_execz .LBB627_82
.LBB627_94:
	v_cmp_lt_u32_e32 vcc, v21, v8
	v_cndmask_b32_e32 v21, v9, v16, vcc
	s_waitcnt lgkmcnt(3)
	v_cndmask_b32_e32 v10, v15, v18, vcc
	v_add_co_u32_e32 v22, vcc, v21, v1
	v_addc_co_u32_e32 v23, vcc, 0, v10, vcc
	global_store_dword v[22:23], v11, off offset:1024
	s_or_b64 exec, exec, s[0:1]
	v_cmp_gt_u32_e32 vcc, s33, v20
	s_and_saveexec_b64 s[0:1], vcc
	s_cbranch_execz .LBB627_83
.LBB627_95:
	v_cmp_lt_u32_e32 vcc, v20, v8
	s_waitcnt lgkmcnt(3)
	v_cndmask_b32_e32 v10, v9, v16, vcc
	v_cndmask_b32_e32 v11, v15, v18, vcc
	v_add_co_u32_e32 v10, vcc, v10, v1
	v_addc_co_u32_e32 v11, vcc, 0, v11, vcc
	s_waitcnt lgkmcnt(2)
	global_store_dword v[10:11], v6, off offset:2048
	s_or_b64 exec, exec, s[0:1]
	v_cmp_gt_u32_e32 vcc, s33, v19
	s_and_saveexec_b64 s[0:1], vcc
	s_cbranch_execz .LBB627_84
.LBB627_96:
	v_cmp_lt_u32_e32 vcc, v19, v8
	s_waitcnt lgkmcnt(3)
	v_cndmask_b32_e32 v10, v9, v16, vcc
	s_waitcnt lgkmcnt(2)
	v_cndmask_b32_e32 v6, v15, v18, vcc
	v_add_co_u32_e32 v10, vcc, v10, v1
	v_addc_co_u32_e32 v11, vcc, 0, v6, vcc
	global_store_dword v[10:11], v7, off offset:3072
	s_or_b64 exec, exec, s[0:1]
	v_cmp_gt_u32_e32 vcc, s33, v17
	s_and_saveexec_b64 s[0:1], vcc
	s_cbranch_execz .LBB627_85
.LBB627_97:
	v_cmp_lt_u32_e32 vcc, v17, v8
	s_waitcnt lgkmcnt(2)
	v_cndmask_b32_e32 v6, v9, v16, vcc
	v_lshlrev_b32_e32 v7, 2, v17
	v_cndmask_b32_e32 v1, v15, v18, vcc
	v_add_co_u32_e32 v6, vcc, v6, v7
	v_addc_co_u32_e32 v7, vcc, 0, v1, vcc
	s_waitcnt lgkmcnt(1)
	global_store_dword v[6:7], v4, off
	s_or_b64 exec, exec, s[0:1]
	v_cmp_gt_u32_e32 vcc, s33, v14
	s_and_saveexec_b64 s[0:1], vcc
	s_cbranch_execnz .LBB627_86
	s_branch .LBB627_87
	.section	.rodata,"a",@progbits
	.p2align	6, 0x0
	.amdhsa_kernel _ZN7rocprim17ROCPRIM_400000_NS6detail17trampoline_kernelINS0_14default_configENS1_25partition_config_selectorILNS1_17partition_subalgoE1EiNS0_10empty_typeEbEEZZNS1_14partition_implILS5_1ELb0ES3_jN6thrust23THRUST_200600_302600_NS6detail15normal_iteratorINSA_10device_ptrIiEEEEPS6_NSA_18transform_iteratorINSA_8identityIiEESF_NSA_11use_defaultESK_EENS0_5tupleIJSF_SF_EEENSM_IJSG_SG_EEES6_PlJS6_EEE10hipError_tPvRmT3_T4_T5_T6_T7_T9_mT8_P12ihipStream_tbDpT10_ENKUlT_T0_E_clISt17integral_constantIbLb1EES18_IbLb0EEEEDaS14_S15_EUlS14_E_NS1_11comp_targetILNS1_3genE4ELNS1_11target_archE910ELNS1_3gpuE8ELNS1_3repE0EEENS1_30default_config_static_selectorELNS0_4arch9wavefront6targetE1EEEvT1_
		.amdhsa_group_segment_fixed_size 7176
		.amdhsa_private_segment_fixed_size 0
		.amdhsa_kernarg_size 128
		.amdhsa_user_sgpr_count 6
		.amdhsa_user_sgpr_private_segment_buffer 1
		.amdhsa_user_sgpr_dispatch_ptr 0
		.amdhsa_user_sgpr_queue_ptr 0
		.amdhsa_user_sgpr_kernarg_segment_ptr 1
		.amdhsa_user_sgpr_dispatch_id 0
		.amdhsa_user_sgpr_flat_scratch_init 0
		.amdhsa_user_sgpr_kernarg_preload_length 0
		.amdhsa_user_sgpr_kernarg_preload_offset 0
		.amdhsa_user_sgpr_private_segment_size 0
		.amdhsa_uses_dynamic_stack 0
		.amdhsa_system_sgpr_private_segment_wavefront_offset 0
		.amdhsa_system_sgpr_workgroup_id_x 1
		.amdhsa_system_sgpr_workgroup_id_y 0
		.amdhsa_system_sgpr_workgroup_id_z 0
		.amdhsa_system_sgpr_workgroup_info 0
		.amdhsa_system_vgpr_workitem_id 0
		.amdhsa_next_free_vgpr 47
		.amdhsa_next_free_sgpr 44
		.amdhsa_accum_offset 48
		.amdhsa_reserve_vcc 1
		.amdhsa_reserve_flat_scratch 0
		.amdhsa_float_round_mode_32 0
		.amdhsa_float_round_mode_16_64 0
		.amdhsa_float_denorm_mode_32 3
		.amdhsa_float_denorm_mode_16_64 3
		.amdhsa_dx10_clamp 1
		.amdhsa_ieee_mode 1
		.amdhsa_fp16_overflow 0
		.amdhsa_tg_split 0
		.amdhsa_exception_fp_ieee_invalid_op 0
		.amdhsa_exception_fp_denorm_src 0
		.amdhsa_exception_fp_ieee_div_zero 0
		.amdhsa_exception_fp_ieee_overflow 0
		.amdhsa_exception_fp_ieee_underflow 0
		.amdhsa_exception_fp_ieee_inexact 0
		.amdhsa_exception_int_div_zero 0
	.end_amdhsa_kernel
	.section	.text._ZN7rocprim17ROCPRIM_400000_NS6detail17trampoline_kernelINS0_14default_configENS1_25partition_config_selectorILNS1_17partition_subalgoE1EiNS0_10empty_typeEbEEZZNS1_14partition_implILS5_1ELb0ES3_jN6thrust23THRUST_200600_302600_NS6detail15normal_iteratorINSA_10device_ptrIiEEEEPS6_NSA_18transform_iteratorINSA_8identityIiEESF_NSA_11use_defaultESK_EENS0_5tupleIJSF_SF_EEENSM_IJSG_SG_EEES6_PlJS6_EEE10hipError_tPvRmT3_T4_T5_T6_T7_T9_mT8_P12ihipStream_tbDpT10_ENKUlT_T0_E_clISt17integral_constantIbLb1EES18_IbLb0EEEEDaS14_S15_EUlS14_E_NS1_11comp_targetILNS1_3genE4ELNS1_11target_archE910ELNS1_3gpuE8ELNS1_3repE0EEENS1_30default_config_static_selectorELNS0_4arch9wavefront6targetE1EEEvT1_,"axG",@progbits,_ZN7rocprim17ROCPRIM_400000_NS6detail17trampoline_kernelINS0_14default_configENS1_25partition_config_selectorILNS1_17partition_subalgoE1EiNS0_10empty_typeEbEEZZNS1_14partition_implILS5_1ELb0ES3_jN6thrust23THRUST_200600_302600_NS6detail15normal_iteratorINSA_10device_ptrIiEEEEPS6_NSA_18transform_iteratorINSA_8identityIiEESF_NSA_11use_defaultESK_EENS0_5tupleIJSF_SF_EEENSM_IJSG_SG_EEES6_PlJS6_EEE10hipError_tPvRmT3_T4_T5_T6_T7_T9_mT8_P12ihipStream_tbDpT10_ENKUlT_T0_E_clISt17integral_constantIbLb1EES18_IbLb0EEEEDaS14_S15_EUlS14_E_NS1_11comp_targetILNS1_3genE4ELNS1_11target_archE910ELNS1_3gpuE8ELNS1_3repE0EEENS1_30default_config_static_selectorELNS0_4arch9wavefront6targetE1EEEvT1_,comdat
.Lfunc_end627:
	.size	_ZN7rocprim17ROCPRIM_400000_NS6detail17trampoline_kernelINS0_14default_configENS1_25partition_config_selectorILNS1_17partition_subalgoE1EiNS0_10empty_typeEbEEZZNS1_14partition_implILS5_1ELb0ES3_jN6thrust23THRUST_200600_302600_NS6detail15normal_iteratorINSA_10device_ptrIiEEEEPS6_NSA_18transform_iteratorINSA_8identityIiEESF_NSA_11use_defaultESK_EENS0_5tupleIJSF_SF_EEENSM_IJSG_SG_EEES6_PlJS6_EEE10hipError_tPvRmT3_T4_T5_T6_T7_T9_mT8_P12ihipStream_tbDpT10_ENKUlT_T0_E_clISt17integral_constantIbLb1EES18_IbLb0EEEEDaS14_S15_EUlS14_E_NS1_11comp_targetILNS1_3genE4ELNS1_11target_archE910ELNS1_3gpuE8ELNS1_3repE0EEENS1_30default_config_static_selectorELNS0_4arch9wavefront6targetE1EEEvT1_, .Lfunc_end627-_ZN7rocprim17ROCPRIM_400000_NS6detail17trampoline_kernelINS0_14default_configENS1_25partition_config_selectorILNS1_17partition_subalgoE1EiNS0_10empty_typeEbEEZZNS1_14partition_implILS5_1ELb0ES3_jN6thrust23THRUST_200600_302600_NS6detail15normal_iteratorINSA_10device_ptrIiEEEEPS6_NSA_18transform_iteratorINSA_8identityIiEESF_NSA_11use_defaultESK_EENS0_5tupleIJSF_SF_EEENSM_IJSG_SG_EEES6_PlJS6_EEE10hipError_tPvRmT3_T4_T5_T6_T7_T9_mT8_P12ihipStream_tbDpT10_ENKUlT_T0_E_clISt17integral_constantIbLb1EES18_IbLb0EEEEDaS14_S15_EUlS14_E_NS1_11comp_targetILNS1_3genE4ELNS1_11target_archE910ELNS1_3gpuE8ELNS1_3repE0EEENS1_30default_config_static_selectorELNS0_4arch9wavefront6targetE1EEEvT1_
                                        ; -- End function
	.section	.AMDGPU.csdata,"",@progbits
; Kernel info:
; codeLenInByte = 4752
; NumSgprs: 48
; NumVgprs: 47
; NumAgprs: 0
; TotalNumVgprs: 47
; ScratchSize: 0
; MemoryBound: 0
; FloatMode: 240
; IeeeMode: 1
; LDSByteSize: 7176 bytes/workgroup (compile time only)
; SGPRBlocks: 5
; VGPRBlocks: 5
; NumSGPRsForWavesPerEU: 48
; NumVGPRsForWavesPerEU: 47
; AccumOffset: 48
; Occupancy: 8
; WaveLimiterHint : 1
; COMPUTE_PGM_RSRC2:SCRATCH_EN: 0
; COMPUTE_PGM_RSRC2:USER_SGPR: 6
; COMPUTE_PGM_RSRC2:TRAP_HANDLER: 0
; COMPUTE_PGM_RSRC2:TGID_X_EN: 1
; COMPUTE_PGM_RSRC2:TGID_Y_EN: 0
; COMPUTE_PGM_RSRC2:TGID_Z_EN: 0
; COMPUTE_PGM_RSRC2:TIDIG_COMP_CNT: 0
; COMPUTE_PGM_RSRC3_GFX90A:ACCUM_OFFSET: 11
; COMPUTE_PGM_RSRC3_GFX90A:TG_SPLIT: 0
	.section	.text._ZN7rocprim17ROCPRIM_400000_NS6detail17trampoline_kernelINS0_14default_configENS1_25partition_config_selectorILNS1_17partition_subalgoE1EiNS0_10empty_typeEbEEZZNS1_14partition_implILS5_1ELb0ES3_jN6thrust23THRUST_200600_302600_NS6detail15normal_iteratorINSA_10device_ptrIiEEEEPS6_NSA_18transform_iteratorINSA_8identityIiEESF_NSA_11use_defaultESK_EENS0_5tupleIJSF_SF_EEENSM_IJSG_SG_EEES6_PlJS6_EEE10hipError_tPvRmT3_T4_T5_T6_T7_T9_mT8_P12ihipStream_tbDpT10_ENKUlT_T0_E_clISt17integral_constantIbLb1EES18_IbLb0EEEEDaS14_S15_EUlS14_E_NS1_11comp_targetILNS1_3genE3ELNS1_11target_archE908ELNS1_3gpuE7ELNS1_3repE0EEENS1_30default_config_static_selectorELNS0_4arch9wavefront6targetE1EEEvT1_,"axG",@progbits,_ZN7rocprim17ROCPRIM_400000_NS6detail17trampoline_kernelINS0_14default_configENS1_25partition_config_selectorILNS1_17partition_subalgoE1EiNS0_10empty_typeEbEEZZNS1_14partition_implILS5_1ELb0ES3_jN6thrust23THRUST_200600_302600_NS6detail15normal_iteratorINSA_10device_ptrIiEEEEPS6_NSA_18transform_iteratorINSA_8identityIiEESF_NSA_11use_defaultESK_EENS0_5tupleIJSF_SF_EEENSM_IJSG_SG_EEES6_PlJS6_EEE10hipError_tPvRmT3_T4_T5_T6_T7_T9_mT8_P12ihipStream_tbDpT10_ENKUlT_T0_E_clISt17integral_constantIbLb1EES18_IbLb0EEEEDaS14_S15_EUlS14_E_NS1_11comp_targetILNS1_3genE3ELNS1_11target_archE908ELNS1_3gpuE7ELNS1_3repE0EEENS1_30default_config_static_selectorELNS0_4arch9wavefront6targetE1EEEvT1_,comdat
	.protected	_ZN7rocprim17ROCPRIM_400000_NS6detail17trampoline_kernelINS0_14default_configENS1_25partition_config_selectorILNS1_17partition_subalgoE1EiNS0_10empty_typeEbEEZZNS1_14partition_implILS5_1ELb0ES3_jN6thrust23THRUST_200600_302600_NS6detail15normal_iteratorINSA_10device_ptrIiEEEEPS6_NSA_18transform_iteratorINSA_8identityIiEESF_NSA_11use_defaultESK_EENS0_5tupleIJSF_SF_EEENSM_IJSG_SG_EEES6_PlJS6_EEE10hipError_tPvRmT3_T4_T5_T6_T7_T9_mT8_P12ihipStream_tbDpT10_ENKUlT_T0_E_clISt17integral_constantIbLb1EES18_IbLb0EEEEDaS14_S15_EUlS14_E_NS1_11comp_targetILNS1_3genE3ELNS1_11target_archE908ELNS1_3gpuE7ELNS1_3repE0EEENS1_30default_config_static_selectorELNS0_4arch9wavefront6targetE1EEEvT1_ ; -- Begin function _ZN7rocprim17ROCPRIM_400000_NS6detail17trampoline_kernelINS0_14default_configENS1_25partition_config_selectorILNS1_17partition_subalgoE1EiNS0_10empty_typeEbEEZZNS1_14partition_implILS5_1ELb0ES3_jN6thrust23THRUST_200600_302600_NS6detail15normal_iteratorINSA_10device_ptrIiEEEEPS6_NSA_18transform_iteratorINSA_8identityIiEESF_NSA_11use_defaultESK_EENS0_5tupleIJSF_SF_EEENSM_IJSG_SG_EEES6_PlJS6_EEE10hipError_tPvRmT3_T4_T5_T6_T7_T9_mT8_P12ihipStream_tbDpT10_ENKUlT_T0_E_clISt17integral_constantIbLb1EES18_IbLb0EEEEDaS14_S15_EUlS14_E_NS1_11comp_targetILNS1_3genE3ELNS1_11target_archE908ELNS1_3gpuE7ELNS1_3repE0EEENS1_30default_config_static_selectorELNS0_4arch9wavefront6targetE1EEEvT1_
	.globl	_ZN7rocprim17ROCPRIM_400000_NS6detail17trampoline_kernelINS0_14default_configENS1_25partition_config_selectorILNS1_17partition_subalgoE1EiNS0_10empty_typeEbEEZZNS1_14partition_implILS5_1ELb0ES3_jN6thrust23THRUST_200600_302600_NS6detail15normal_iteratorINSA_10device_ptrIiEEEEPS6_NSA_18transform_iteratorINSA_8identityIiEESF_NSA_11use_defaultESK_EENS0_5tupleIJSF_SF_EEENSM_IJSG_SG_EEES6_PlJS6_EEE10hipError_tPvRmT3_T4_T5_T6_T7_T9_mT8_P12ihipStream_tbDpT10_ENKUlT_T0_E_clISt17integral_constantIbLb1EES18_IbLb0EEEEDaS14_S15_EUlS14_E_NS1_11comp_targetILNS1_3genE3ELNS1_11target_archE908ELNS1_3gpuE7ELNS1_3repE0EEENS1_30default_config_static_selectorELNS0_4arch9wavefront6targetE1EEEvT1_
	.p2align	8
	.type	_ZN7rocprim17ROCPRIM_400000_NS6detail17trampoline_kernelINS0_14default_configENS1_25partition_config_selectorILNS1_17partition_subalgoE1EiNS0_10empty_typeEbEEZZNS1_14partition_implILS5_1ELb0ES3_jN6thrust23THRUST_200600_302600_NS6detail15normal_iteratorINSA_10device_ptrIiEEEEPS6_NSA_18transform_iteratorINSA_8identityIiEESF_NSA_11use_defaultESK_EENS0_5tupleIJSF_SF_EEENSM_IJSG_SG_EEES6_PlJS6_EEE10hipError_tPvRmT3_T4_T5_T6_T7_T9_mT8_P12ihipStream_tbDpT10_ENKUlT_T0_E_clISt17integral_constantIbLb1EES18_IbLb0EEEEDaS14_S15_EUlS14_E_NS1_11comp_targetILNS1_3genE3ELNS1_11target_archE908ELNS1_3gpuE7ELNS1_3repE0EEENS1_30default_config_static_selectorELNS0_4arch9wavefront6targetE1EEEvT1_,@function
_ZN7rocprim17ROCPRIM_400000_NS6detail17trampoline_kernelINS0_14default_configENS1_25partition_config_selectorILNS1_17partition_subalgoE1EiNS0_10empty_typeEbEEZZNS1_14partition_implILS5_1ELb0ES3_jN6thrust23THRUST_200600_302600_NS6detail15normal_iteratorINSA_10device_ptrIiEEEEPS6_NSA_18transform_iteratorINSA_8identityIiEESF_NSA_11use_defaultESK_EENS0_5tupleIJSF_SF_EEENSM_IJSG_SG_EEES6_PlJS6_EEE10hipError_tPvRmT3_T4_T5_T6_T7_T9_mT8_P12ihipStream_tbDpT10_ENKUlT_T0_E_clISt17integral_constantIbLb1EES18_IbLb0EEEEDaS14_S15_EUlS14_E_NS1_11comp_targetILNS1_3genE3ELNS1_11target_archE908ELNS1_3gpuE7ELNS1_3repE0EEENS1_30default_config_static_selectorELNS0_4arch9wavefront6targetE1EEEvT1_: ; @_ZN7rocprim17ROCPRIM_400000_NS6detail17trampoline_kernelINS0_14default_configENS1_25partition_config_selectorILNS1_17partition_subalgoE1EiNS0_10empty_typeEbEEZZNS1_14partition_implILS5_1ELb0ES3_jN6thrust23THRUST_200600_302600_NS6detail15normal_iteratorINSA_10device_ptrIiEEEEPS6_NSA_18transform_iteratorINSA_8identityIiEESF_NSA_11use_defaultESK_EENS0_5tupleIJSF_SF_EEENSM_IJSG_SG_EEES6_PlJS6_EEE10hipError_tPvRmT3_T4_T5_T6_T7_T9_mT8_P12ihipStream_tbDpT10_ENKUlT_T0_E_clISt17integral_constantIbLb1EES18_IbLb0EEEEDaS14_S15_EUlS14_E_NS1_11comp_targetILNS1_3genE3ELNS1_11target_archE908ELNS1_3gpuE7ELNS1_3repE0EEENS1_30default_config_static_selectorELNS0_4arch9wavefront6targetE1EEEvT1_
; %bb.0:
	.section	.rodata,"a",@progbits
	.p2align	6, 0x0
	.amdhsa_kernel _ZN7rocprim17ROCPRIM_400000_NS6detail17trampoline_kernelINS0_14default_configENS1_25partition_config_selectorILNS1_17partition_subalgoE1EiNS0_10empty_typeEbEEZZNS1_14partition_implILS5_1ELb0ES3_jN6thrust23THRUST_200600_302600_NS6detail15normal_iteratorINSA_10device_ptrIiEEEEPS6_NSA_18transform_iteratorINSA_8identityIiEESF_NSA_11use_defaultESK_EENS0_5tupleIJSF_SF_EEENSM_IJSG_SG_EEES6_PlJS6_EEE10hipError_tPvRmT3_T4_T5_T6_T7_T9_mT8_P12ihipStream_tbDpT10_ENKUlT_T0_E_clISt17integral_constantIbLb1EES18_IbLb0EEEEDaS14_S15_EUlS14_E_NS1_11comp_targetILNS1_3genE3ELNS1_11target_archE908ELNS1_3gpuE7ELNS1_3repE0EEENS1_30default_config_static_selectorELNS0_4arch9wavefront6targetE1EEEvT1_
		.amdhsa_group_segment_fixed_size 0
		.amdhsa_private_segment_fixed_size 0
		.amdhsa_kernarg_size 128
		.amdhsa_user_sgpr_count 6
		.amdhsa_user_sgpr_private_segment_buffer 1
		.amdhsa_user_sgpr_dispatch_ptr 0
		.amdhsa_user_sgpr_queue_ptr 0
		.amdhsa_user_sgpr_kernarg_segment_ptr 1
		.amdhsa_user_sgpr_dispatch_id 0
		.amdhsa_user_sgpr_flat_scratch_init 0
		.amdhsa_user_sgpr_kernarg_preload_length 0
		.amdhsa_user_sgpr_kernarg_preload_offset 0
		.amdhsa_user_sgpr_private_segment_size 0
		.amdhsa_uses_dynamic_stack 0
		.amdhsa_system_sgpr_private_segment_wavefront_offset 0
		.amdhsa_system_sgpr_workgroup_id_x 1
		.amdhsa_system_sgpr_workgroup_id_y 0
		.amdhsa_system_sgpr_workgroup_id_z 0
		.amdhsa_system_sgpr_workgroup_info 0
		.amdhsa_system_vgpr_workitem_id 0
		.amdhsa_next_free_vgpr 1
		.amdhsa_next_free_sgpr 0
		.amdhsa_accum_offset 4
		.amdhsa_reserve_vcc 0
		.amdhsa_reserve_flat_scratch 0
		.amdhsa_float_round_mode_32 0
		.amdhsa_float_round_mode_16_64 0
		.amdhsa_float_denorm_mode_32 3
		.amdhsa_float_denorm_mode_16_64 3
		.amdhsa_dx10_clamp 1
		.amdhsa_ieee_mode 1
		.amdhsa_fp16_overflow 0
		.amdhsa_tg_split 0
		.amdhsa_exception_fp_ieee_invalid_op 0
		.amdhsa_exception_fp_denorm_src 0
		.amdhsa_exception_fp_ieee_div_zero 0
		.amdhsa_exception_fp_ieee_overflow 0
		.amdhsa_exception_fp_ieee_underflow 0
		.amdhsa_exception_fp_ieee_inexact 0
		.amdhsa_exception_int_div_zero 0
	.end_amdhsa_kernel
	.section	.text._ZN7rocprim17ROCPRIM_400000_NS6detail17trampoline_kernelINS0_14default_configENS1_25partition_config_selectorILNS1_17partition_subalgoE1EiNS0_10empty_typeEbEEZZNS1_14partition_implILS5_1ELb0ES3_jN6thrust23THRUST_200600_302600_NS6detail15normal_iteratorINSA_10device_ptrIiEEEEPS6_NSA_18transform_iteratorINSA_8identityIiEESF_NSA_11use_defaultESK_EENS0_5tupleIJSF_SF_EEENSM_IJSG_SG_EEES6_PlJS6_EEE10hipError_tPvRmT3_T4_T5_T6_T7_T9_mT8_P12ihipStream_tbDpT10_ENKUlT_T0_E_clISt17integral_constantIbLb1EES18_IbLb0EEEEDaS14_S15_EUlS14_E_NS1_11comp_targetILNS1_3genE3ELNS1_11target_archE908ELNS1_3gpuE7ELNS1_3repE0EEENS1_30default_config_static_selectorELNS0_4arch9wavefront6targetE1EEEvT1_,"axG",@progbits,_ZN7rocprim17ROCPRIM_400000_NS6detail17trampoline_kernelINS0_14default_configENS1_25partition_config_selectorILNS1_17partition_subalgoE1EiNS0_10empty_typeEbEEZZNS1_14partition_implILS5_1ELb0ES3_jN6thrust23THRUST_200600_302600_NS6detail15normal_iteratorINSA_10device_ptrIiEEEEPS6_NSA_18transform_iteratorINSA_8identityIiEESF_NSA_11use_defaultESK_EENS0_5tupleIJSF_SF_EEENSM_IJSG_SG_EEES6_PlJS6_EEE10hipError_tPvRmT3_T4_T5_T6_T7_T9_mT8_P12ihipStream_tbDpT10_ENKUlT_T0_E_clISt17integral_constantIbLb1EES18_IbLb0EEEEDaS14_S15_EUlS14_E_NS1_11comp_targetILNS1_3genE3ELNS1_11target_archE908ELNS1_3gpuE7ELNS1_3repE0EEENS1_30default_config_static_selectorELNS0_4arch9wavefront6targetE1EEEvT1_,comdat
.Lfunc_end628:
	.size	_ZN7rocprim17ROCPRIM_400000_NS6detail17trampoline_kernelINS0_14default_configENS1_25partition_config_selectorILNS1_17partition_subalgoE1EiNS0_10empty_typeEbEEZZNS1_14partition_implILS5_1ELb0ES3_jN6thrust23THRUST_200600_302600_NS6detail15normal_iteratorINSA_10device_ptrIiEEEEPS6_NSA_18transform_iteratorINSA_8identityIiEESF_NSA_11use_defaultESK_EENS0_5tupleIJSF_SF_EEENSM_IJSG_SG_EEES6_PlJS6_EEE10hipError_tPvRmT3_T4_T5_T6_T7_T9_mT8_P12ihipStream_tbDpT10_ENKUlT_T0_E_clISt17integral_constantIbLb1EES18_IbLb0EEEEDaS14_S15_EUlS14_E_NS1_11comp_targetILNS1_3genE3ELNS1_11target_archE908ELNS1_3gpuE7ELNS1_3repE0EEENS1_30default_config_static_selectorELNS0_4arch9wavefront6targetE1EEEvT1_, .Lfunc_end628-_ZN7rocprim17ROCPRIM_400000_NS6detail17trampoline_kernelINS0_14default_configENS1_25partition_config_selectorILNS1_17partition_subalgoE1EiNS0_10empty_typeEbEEZZNS1_14partition_implILS5_1ELb0ES3_jN6thrust23THRUST_200600_302600_NS6detail15normal_iteratorINSA_10device_ptrIiEEEEPS6_NSA_18transform_iteratorINSA_8identityIiEESF_NSA_11use_defaultESK_EENS0_5tupleIJSF_SF_EEENSM_IJSG_SG_EEES6_PlJS6_EEE10hipError_tPvRmT3_T4_T5_T6_T7_T9_mT8_P12ihipStream_tbDpT10_ENKUlT_T0_E_clISt17integral_constantIbLb1EES18_IbLb0EEEEDaS14_S15_EUlS14_E_NS1_11comp_targetILNS1_3genE3ELNS1_11target_archE908ELNS1_3gpuE7ELNS1_3repE0EEENS1_30default_config_static_selectorELNS0_4arch9wavefront6targetE1EEEvT1_
                                        ; -- End function
	.section	.AMDGPU.csdata,"",@progbits
; Kernel info:
; codeLenInByte = 0
; NumSgprs: 4
; NumVgprs: 0
; NumAgprs: 0
; TotalNumVgprs: 0
; ScratchSize: 0
; MemoryBound: 0
; FloatMode: 240
; IeeeMode: 1
; LDSByteSize: 0 bytes/workgroup (compile time only)
; SGPRBlocks: 0
; VGPRBlocks: 0
; NumSGPRsForWavesPerEU: 4
; NumVGPRsForWavesPerEU: 1
; AccumOffset: 4
; Occupancy: 8
; WaveLimiterHint : 0
; COMPUTE_PGM_RSRC2:SCRATCH_EN: 0
; COMPUTE_PGM_RSRC2:USER_SGPR: 6
; COMPUTE_PGM_RSRC2:TRAP_HANDLER: 0
; COMPUTE_PGM_RSRC2:TGID_X_EN: 1
; COMPUTE_PGM_RSRC2:TGID_Y_EN: 0
; COMPUTE_PGM_RSRC2:TGID_Z_EN: 0
; COMPUTE_PGM_RSRC2:TIDIG_COMP_CNT: 0
; COMPUTE_PGM_RSRC3_GFX90A:ACCUM_OFFSET: 0
; COMPUTE_PGM_RSRC3_GFX90A:TG_SPLIT: 0
	.section	.text._ZN7rocprim17ROCPRIM_400000_NS6detail17trampoline_kernelINS0_14default_configENS1_25partition_config_selectorILNS1_17partition_subalgoE1EiNS0_10empty_typeEbEEZZNS1_14partition_implILS5_1ELb0ES3_jN6thrust23THRUST_200600_302600_NS6detail15normal_iteratorINSA_10device_ptrIiEEEEPS6_NSA_18transform_iteratorINSA_8identityIiEESF_NSA_11use_defaultESK_EENS0_5tupleIJSF_SF_EEENSM_IJSG_SG_EEES6_PlJS6_EEE10hipError_tPvRmT3_T4_T5_T6_T7_T9_mT8_P12ihipStream_tbDpT10_ENKUlT_T0_E_clISt17integral_constantIbLb1EES18_IbLb0EEEEDaS14_S15_EUlS14_E_NS1_11comp_targetILNS1_3genE2ELNS1_11target_archE906ELNS1_3gpuE6ELNS1_3repE0EEENS1_30default_config_static_selectorELNS0_4arch9wavefront6targetE1EEEvT1_,"axG",@progbits,_ZN7rocprim17ROCPRIM_400000_NS6detail17trampoline_kernelINS0_14default_configENS1_25partition_config_selectorILNS1_17partition_subalgoE1EiNS0_10empty_typeEbEEZZNS1_14partition_implILS5_1ELb0ES3_jN6thrust23THRUST_200600_302600_NS6detail15normal_iteratorINSA_10device_ptrIiEEEEPS6_NSA_18transform_iteratorINSA_8identityIiEESF_NSA_11use_defaultESK_EENS0_5tupleIJSF_SF_EEENSM_IJSG_SG_EEES6_PlJS6_EEE10hipError_tPvRmT3_T4_T5_T6_T7_T9_mT8_P12ihipStream_tbDpT10_ENKUlT_T0_E_clISt17integral_constantIbLb1EES18_IbLb0EEEEDaS14_S15_EUlS14_E_NS1_11comp_targetILNS1_3genE2ELNS1_11target_archE906ELNS1_3gpuE6ELNS1_3repE0EEENS1_30default_config_static_selectorELNS0_4arch9wavefront6targetE1EEEvT1_,comdat
	.protected	_ZN7rocprim17ROCPRIM_400000_NS6detail17trampoline_kernelINS0_14default_configENS1_25partition_config_selectorILNS1_17partition_subalgoE1EiNS0_10empty_typeEbEEZZNS1_14partition_implILS5_1ELb0ES3_jN6thrust23THRUST_200600_302600_NS6detail15normal_iteratorINSA_10device_ptrIiEEEEPS6_NSA_18transform_iteratorINSA_8identityIiEESF_NSA_11use_defaultESK_EENS0_5tupleIJSF_SF_EEENSM_IJSG_SG_EEES6_PlJS6_EEE10hipError_tPvRmT3_T4_T5_T6_T7_T9_mT8_P12ihipStream_tbDpT10_ENKUlT_T0_E_clISt17integral_constantIbLb1EES18_IbLb0EEEEDaS14_S15_EUlS14_E_NS1_11comp_targetILNS1_3genE2ELNS1_11target_archE906ELNS1_3gpuE6ELNS1_3repE0EEENS1_30default_config_static_selectorELNS0_4arch9wavefront6targetE1EEEvT1_ ; -- Begin function _ZN7rocprim17ROCPRIM_400000_NS6detail17trampoline_kernelINS0_14default_configENS1_25partition_config_selectorILNS1_17partition_subalgoE1EiNS0_10empty_typeEbEEZZNS1_14partition_implILS5_1ELb0ES3_jN6thrust23THRUST_200600_302600_NS6detail15normal_iteratorINSA_10device_ptrIiEEEEPS6_NSA_18transform_iteratorINSA_8identityIiEESF_NSA_11use_defaultESK_EENS0_5tupleIJSF_SF_EEENSM_IJSG_SG_EEES6_PlJS6_EEE10hipError_tPvRmT3_T4_T5_T6_T7_T9_mT8_P12ihipStream_tbDpT10_ENKUlT_T0_E_clISt17integral_constantIbLb1EES18_IbLb0EEEEDaS14_S15_EUlS14_E_NS1_11comp_targetILNS1_3genE2ELNS1_11target_archE906ELNS1_3gpuE6ELNS1_3repE0EEENS1_30default_config_static_selectorELNS0_4arch9wavefront6targetE1EEEvT1_
	.globl	_ZN7rocprim17ROCPRIM_400000_NS6detail17trampoline_kernelINS0_14default_configENS1_25partition_config_selectorILNS1_17partition_subalgoE1EiNS0_10empty_typeEbEEZZNS1_14partition_implILS5_1ELb0ES3_jN6thrust23THRUST_200600_302600_NS6detail15normal_iteratorINSA_10device_ptrIiEEEEPS6_NSA_18transform_iteratorINSA_8identityIiEESF_NSA_11use_defaultESK_EENS0_5tupleIJSF_SF_EEENSM_IJSG_SG_EEES6_PlJS6_EEE10hipError_tPvRmT3_T4_T5_T6_T7_T9_mT8_P12ihipStream_tbDpT10_ENKUlT_T0_E_clISt17integral_constantIbLb1EES18_IbLb0EEEEDaS14_S15_EUlS14_E_NS1_11comp_targetILNS1_3genE2ELNS1_11target_archE906ELNS1_3gpuE6ELNS1_3repE0EEENS1_30default_config_static_selectorELNS0_4arch9wavefront6targetE1EEEvT1_
	.p2align	8
	.type	_ZN7rocprim17ROCPRIM_400000_NS6detail17trampoline_kernelINS0_14default_configENS1_25partition_config_selectorILNS1_17partition_subalgoE1EiNS0_10empty_typeEbEEZZNS1_14partition_implILS5_1ELb0ES3_jN6thrust23THRUST_200600_302600_NS6detail15normal_iteratorINSA_10device_ptrIiEEEEPS6_NSA_18transform_iteratorINSA_8identityIiEESF_NSA_11use_defaultESK_EENS0_5tupleIJSF_SF_EEENSM_IJSG_SG_EEES6_PlJS6_EEE10hipError_tPvRmT3_T4_T5_T6_T7_T9_mT8_P12ihipStream_tbDpT10_ENKUlT_T0_E_clISt17integral_constantIbLb1EES18_IbLb0EEEEDaS14_S15_EUlS14_E_NS1_11comp_targetILNS1_3genE2ELNS1_11target_archE906ELNS1_3gpuE6ELNS1_3repE0EEENS1_30default_config_static_selectorELNS0_4arch9wavefront6targetE1EEEvT1_,@function
_ZN7rocprim17ROCPRIM_400000_NS6detail17trampoline_kernelINS0_14default_configENS1_25partition_config_selectorILNS1_17partition_subalgoE1EiNS0_10empty_typeEbEEZZNS1_14partition_implILS5_1ELb0ES3_jN6thrust23THRUST_200600_302600_NS6detail15normal_iteratorINSA_10device_ptrIiEEEEPS6_NSA_18transform_iteratorINSA_8identityIiEESF_NSA_11use_defaultESK_EENS0_5tupleIJSF_SF_EEENSM_IJSG_SG_EEES6_PlJS6_EEE10hipError_tPvRmT3_T4_T5_T6_T7_T9_mT8_P12ihipStream_tbDpT10_ENKUlT_T0_E_clISt17integral_constantIbLb1EES18_IbLb0EEEEDaS14_S15_EUlS14_E_NS1_11comp_targetILNS1_3genE2ELNS1_11target_archE906ELNS1_3gpuE6ELNS1_3repE0EEENS1_30default_config_static_selectorELNS0_4arch9wavefront6targetE1EEEvT1_: ; @_ZN7rocprim17ROCPRIM_400000_NS6detail17trampoline_kernelINS0_14default_configENS1_25partition_config_selectorILNS1_17partition_subalgoE1EiNS0_10empty_typeEbEEZZNS1_14partition_implILS5_1ELb0ES3_jN6thrust23THRUST_200600_302600_NS6detail15normal_iteratorINSA_10device_ptrIiEEEEPS6_NSA_18transform_iteratorINSA_8identityIiEESF_NSA_11use_defaultESK_EENS0_5tupleIJSF_SF_EEENSM_IJSG_SG_EEES6_PlJS6_EEE10hipError_tPvRmT3_T4_T5_T6_T7_T9_mT8_P12ihipStream_tbDpT10_ENKUlT_T0_E_clISt17integral_constantIbLb1EES18_IbLb0EEEEDaS14_S15_EUlS14_E_NS1_11comp_targetILNS1_3genE2ELNS1_11target_archE906ELNS1_3gpuE6ELNS1_3repE0EEENS1_30default_config_static_selectorELNS0_4arch9wavefront6targetE1EEEvT1_
; %bb.0:
	.section	.rodata,"a",@progbits
	.p2align	6, 0x0
	.amdhsa_kernel _ZN7rocprim17ROCPRIM_400000_NS6detail17trampoline_kernelINS0_14default_configENS1_25partition_config_selectorILNS1_17partition_subalgoE1EiNS0_10empty_typeEbEEZZNS1_14partition_implILS5_1ELb0ES3_jN6thrust23THRUST_200600_302600_NS6detail15normal_iteratorINSA_10device_ptrIiEEEEPS6_NSA_18transform_iteratorINSA_8identityIiEESF_NSA_11use_defaultESK_EENS0_5tupleIJSF_SF_EEENSM_IJSG_SG_EEES6_PlJS6_EEE10hipError_tPvRmT3_T4_T5_T6_T7_T9_mT8_P12ihipStream_tbDpT10_ENKUlT_T0_E_clISt17integral_constantIbLb1EES18_IbLb0EEEEDaS14_S15_EUlS14_E_NS1_11comp_targetILNS1_3genE2ELNS1_11target_archE906ELNS1_3gpuE6ELNS1_3repE0EEENS1_30default_config_static_selectorELNS0_4arch9wavefront6targetE1EEEvT1_
		.amdhsa_group_segment_fixed_size 0
		.amdhsa_private_segment_fixed_size 0
		.amdhsa_kernarg_size 128
		.amdhsa_user_sgpr_count 6
		.amdhsa_user_sgpr_private_segment_buffer 1
		.amdhsa_user_sgpr_dispatch_ptr 0
		.amdhsa_user_sgpr_queue_ptr 0
		.amdhsa_user_sgpr_kernarg_segment_ptr 1
		.amdhsa_user_sgpr_dispatch_id 0
		.amdhsa_user_sgpr_flat_scratch_init 0
		.amdhsa_user_sgpr_kernarg_preload_length 0
		.amdhsa_user_sgpr_kernarg_preload_offset 0
		.amdhsa_user_sgpr_private_segment_size 0
		.amdhsa_uses_dynamic_stack 0
		.amdhsa_system_sgpr_private_segment_wavefront_offset 0
		.amdhsa_system_sgpr_workgroup_id_x 1
		.amdhsa_system_sgpr_workgroup_id_y 0
		.amdhsa_system_sgpr_workgroup_id_z 0
		.amdhsa_system_sgpr_workgroup_info 0
		.amdhsa_system_vgpr_workitem_id 0
		.amdhsa_next_free_vgpr 1
		.amdhsa_next_free_sgpr 0
		.amdhsa_accum_offset 4
		.amdhsa_reserve_vcc 0
		.amdhsa_reserve_flat_scratch 0
		.amdhsa_float_round_mode_32 0
		.amdhsa_float_round_mode_16_64 0
		.amdhsa_float_denorm_mode_32 3
		.amdhsa_float_denorm_mode_16_64 3
		.amdhsa_dx10_clamp 1
		.amdhsa_ieee_mode 1
		.amdhsa_fp16_overflow 0
		.amdhsa_tg_split 0
		.amdhsa_exception_fp_ieee_invalid_op 0
		.amdhsa_exception_fp_denorm_src 0
		.amdhsa_exception_fp_ieee_div_zero 0
		.amdhsa_exception_fp_ieee_overflow 0
		.amdhsa_exception_fp_ieee_underflow 0
		.amdhsa_exception_fp_ieee_inexact 0
		.amdhsa_exception_int_div_zero 0
	.end_amdhsa_kernel
	.section	.text._ZN7rocprim17ROCPRIM_400000_NS6detail17trampoline_kernelINS0_14default_configENS1_25partition_config_selectorILNS1_17partition_subalgoE1EiNS0_10empty_typeEbEEZZNS1_14partition_implILS5_1ELb0ES3_jN6thrust23THRUST_200600_302600_NS6detail15normal_iteratorINSA_10device_ptrIiEEEEPS6_NSA_18transform_iteratorINSA_8identityIiEESF_NSA_11use_defaultESK_EENS0_5tupleIJSF_SF_EEENSM_IJSG_SG_EEES6_PlJS6_EEE10hipError_tPvRmT3_T4_T5_T6_T7_T9_mT8_P12ihipStream_tbDpT10_ENKUlT_T0_E_clISt17integral_constantIbLb1EES18_IbLb0EEEEDaS14_S15_EUlS14_E_NS1_11comp_targetILNS1_3genE2ELNS1_11target_archE906ELNS1_3gpuE6ELNS1_3repE0EEENS1_30default_config_static_selectorELNS0_4arch9wavefront6targetE1EEEvT1_,"axG",@progbits,_ZN7rocprim17ROCPRIM_400000_NS6detail17trampoline_kernelINS0_14default_configENS1_25partition_config_selectorILNS1_17partition_subalgoE1EiNS0_10empty_typeEbEEZZNS1_14partition_implILS5_1ELb0ES3_jN6thrust23THRUST_200600_302600_NS6detail15normal_iteratorINSA_10device_ptrIiEEEEPS6_NSA_18transform_iteratorINSA_8identityIiEESF_NSA_11use_defaultESK_EENS0_5tupleIJSF_SF_EEENSM_IJSG_SG_EEES6_PlJS6_EEE10hipError_tPvRmT3_T4_T5_T6_T7_T9_mT8_P12ihipStream_tbDpT10_ENKUlT_T0_E_clISt17integral_constantIbLb1EES18_IbLb0EEEEDaS14_S15_EUlS14_E_NS1_11comp_targetILNS1_3genE2ELNS1_11target_archE906ELNS1_3gpuE6ELNS1_3repE0EEENS1_30default_config_static_selectorELNS0_4arch9wavefront6targetE1EEEvT1_,comdat
.Lfunc_end629:
	.size	_ZN7rocprim17ROCPRIM_400000_NS6detail17trampoline_kernelINS0_14default_configENS1_25partition_config_selectorILNS1_17partition_subalgoE1EiNS0_10empty_typeEbEEZZNS1_14partition_implILS5_1ELb0ES3_jN6thrust23THRUST_200600_302600_NS6detail15normal_iteratorINSA_10device_ptrIiEEEEPS6_NSA_18transform_iteratorINSA_8identityIiEESF_NSA_11use_defaultESK_EENS0_5tupleIJSF_SF_EEENSM_IJSG_SG_EEES6_PlJS6_EEE10hipError_tPvRmT3_T4_T5_T6_T7_T9_mT8_P12ihipStream_tbDpT10_ENKUlT_T0_E_clISt17integral_constantIbLb1EES18_IbLb0EEEEDaS14_S15_EUlS14_E_NS1_11comp_targetILNS1_3genE2ELNS1_11target_archE906ELNS1_3gpuE6ELNS1_3repE0EEENS1_30default_config_static_selectorELNS0_4arch9wavefront6targetE1EEEvT1_, .Lfunc_end629-_ZN7rocprim17ROCPRIM_400000_NS6detail17trampoline_kernelINS0_14default_configENS1_25partition_config_selectorILNS1_17partition_subalgoE1EiNS0_10empty_typeEbEEZZNS1_14partition_implILS5_1ELb0ES3_jN6thrust23THRUST_200600_302600_NS6detail15normal_iteratorINSA_10device_ptrIiEEEEPS6_NSA_18transform_iteratorINSA_8identityIiEESF_NSA_11use_defaultESK_EENS0_5tupleIJSF_SF_EEENSM_IJSG_SG_EEES6_PlJS6_EEE10hipError_tPvRmT3_T4_T5_T6_T7_T9_mT8_P12ihipStream_tbDpT10_ENKUlT_T0_E_clISt17integral_constantIbLb1EES18_IbLb0EEEEDaS14_S15_EUlS14_E_NS1_11comp_targetILNS1_3genE2ELNS1_11target_archE906ELNS1_3gpuE6ELNS1_3repE0EEENS1_30default_config_static_selectorELNS0_4arch9wavefront6targetE1EEEvT1_
                                        ; -- End function
	.section	.AMDGPU.csdata,"",@progbits
; Kernel info:
; codeLenInByte = 0
; NumSgprs: 4
; NumVgprs: 0
; NumAgprs: 0
; TotalNumVgprs: 0
; ScratchSize: 0
; MemoryBound: 0
; FloatMode: 240
; IeeeMode: 1
; LDSByteSize: 0 bytes/workgroup (compile time only)
; SGPRBlocks: 0
; VGPRBlocks: 0
; NumSGPRsForWavesPerEU: 4
; NumVGPRsForWavesPerEU: 1
; AccumOffset: 4
; Occupancy: 8
; WaveLimiterHint : 0
; COMPUTE_PGM_RSRC2:SCRATCH_EN: 0
; COMPUTE_PGM_RSRC2:USER_SGPR: 6
; COMPUTE_PGM_RSRC2:TRAP_HANDLER: 0
; COMPUTE_PGM_RSRC2:TGID_X_EN: 1
; COMPUTE_PGM_RSRC2:TGID_Y_EN: 0
; COMPUTE_PGM_RSRC2:TGID_Z_EN: 0
; COMPUTE_PGM_RSRC2:TIDIG_COMP_CNT: 0
; COMPUTE_PGM_RSRC3_GFX90A:ACCUM_OFFSET: 0
; COMPUTE_PGM_RSRC3_GFX90A:TG_SPLIT: 0
	.section	.text._ZN7rocprim17ROCPRIM_400000_NS6detail17trampoline_kernelINS0_14default_configENS1_25partition_config_selectorILNS1_17partition_subalgoE1EiNS0_10empty_typeEbEEZZNS1_14partition_implILS5_1ELb0ES3_jN6thrust23THRUST_200600_302600_NS6detail15normal_iteratorINSA_10device_ptrIiEEEEPS6_NSA_18transform_iteratorINSA_8identityIiEESF_NSA_11use_defaultESK_EENS0_5tupleIJSF_SF_EEENSM_IJSG_SG_EEES6_PlJS6_EEE10hipError_tPvRmT3_T4_T5_T6_T7_T9_mT8_P12ihipStream_tbDpT10_ENKUlT_T0_E_clISt17integral_constantIbLb1EES18_IbLb0EEEEDaS14_S15_EUlS14_E_NS1_11comp_targetILNS1_3genE10ELNS1_11target_archE1200ELNS1_3gpuE4ELNS1_3repE0EEENS1_30default_config_static_selectorELNS0_4arch9wavefront6targetE1EEEvT1_,"axG",@progbits,_ZN7rocprim17ROCPRIM_400000_NS6detail17trampoline_kernelINS0_14default_configENS1_25partition_config_selectorILNS1_17partition_subalgoE1EiNS0_10empty_typeEbEEZZNS1_14partition_implILS5_1ELb0ES3_jN6thrust23THRUST_200600_302600_NS6detail15normal_iteratorINSA_10device_ptrIiEEEEPS6_NSA_18transform_iteratorINSA_8identityIiEESF_NSA_11use_defaultESK_EENS0_5tupleIJSF_SF_EEENSM_IJSG_SG_EEES6_PlJS6_EEE10hipError_tPvRmT3_T4_T5_T6_T7_T9_mT8_P12ihipStream_tbDpT10_ENKUlT_T0_E_clISt17integral_constantIbLb1EES18_IbLb0EEEEDaS14_S15_EUlS14_E_NS1_11comp_targetILNS1_3genE10ELNS1_11target_archE1200ELNS1_3gpuE4ELNS1_3repE0EEENS1_30default_config_static_selectorELNS0_4arch9wavefront6targetE1EEEvT1_,comdat
	.protected	_ZN7rocprim17ROCPRIM_400000_NS6detail17trampoline_kernelINS0_14default_configENS1_25partition_config_selectorILNS1_17partition_subalgoE1EiNS0_10empty_typeEbEEZZNS1_14partition_implILS5_1ELb0ES3_jN6thrust23THRUST_200600_302600_NS6detail15normal_iteratorINSA_10device_ptrIiEEEEPS6_NSA_18transform_iteratorINSA_8identityIiEESF_NSA_11use_defaultESK_EENS0_5tupleIJSF_SF_EEENSM_IJSG_SG_EEES6_PlJS6_EEE10hipError_tPvRmT3_T4_T5_T6_T7_T9_mT8_P12ihipStream_tbDpT10_ENKUlT_T0_E_clISt17integral_constantIbLb1EES18_IbLb0EEEEDaS14_S15_EUlS14_E_NS1_11comp_targetILNS1_3genE10ELNS1_11target_archE1200ELNS1_3gpuE4ELNS1_3repE0EEENS1_30default_config_static_selectorELNS0_4arch9wavefront6targetE1EEEvT1_ ; -- Begin function _ZN7rocprim17ROCPRIM_400000_NS6detail17trampoline_kernelINS0_14default_configENS1_25partition_config_selectorILNS1_17partition_subalgoE1EiNS0_10empty_typeEbEEZZNS1_14partition_implILS5_1ELb0ES3_jN6thrust23THRUST_200600_302600_NS6detail15normal_iteratorINSA_10device_ptrIiEEEEPS6_NSA_18transform_iteratorINSA_8identityIiEESF_NSA_11use_defaultESK_EENS0_5tupleIJSF_SF_EEENSM_IJSG_SG_EEES6_PlJS6_EEE10hipError_tPvRmT3_T4_T5_T6_T7_T9_mT8_P12ihipStream_tbDpT10_ENKUlT_T0_E_clISt17integral_constantIbLb1EES18_IbLb0EEEEDaS14_S15_EUlS14_E_NS1_11comp_targetILNS1_3genE10ELNS1_11target_archE1200ELNS1_3gpuE4ELNS1_3repE0EEENS1_30default_config_static_selectorELNS0_4arch9wavefront6targetE1EEEvT1_
	.globl	_ZN7rocprim17ROCPRIM_400000_NS6detail17trampoline_kernelINS0_14default_configENS1_25partition_config_selectorILNS1_17partition_subalgoE1EiNS0_10empty_typeEbEEZZNS1_14partition_implILS5_1ELb0ES3_jN6thrust23THRUST_200600_302600_NS6detail15normal_iteratorINSA_10device_ptrIiEEEEPS6_NSA_18transform_iteratorINSA_8identityIiEESF_NSA_11use_defaultESK_EENS0_5tupleIJSF_SF_EEENSM_IJSG_SG_EEES6_PlJS6_EEE10hipError_tPvRmT3_T4_T5_T6_T7_T9_mT8_P12ihipStream_tbDpT10_ENKUlT_T0_E_clISt17integral_constantIbLb1EES18_IbLb0EEEEDaS14_S15_EUlS14_E_NS1_11comp_targetILNS1_3genE10ELNS1_11target_archE1200ELNS1_3gpuE4ELNS1_3repE0EEENS1_30default_config_static_selectorELNS0_4arch9wavefront6targetE1EEEvT1_
	.p2align	8
	.type	_ZN7rocprim17ROCPRIM_400000_NS6detail17trampoline_kernelINS0_14default_configENS1_25partition_config_selectorILNS1_17partition_subalgoE1EiNS0_10empty_typeEbEEZZNS1_14partition_implILS5_1ELb0ES3_jN6thrust23THRUST_200600_302600_NS6detail15normal_iteratorINSA_10device_ptrIiEEEEPS6_NSA_18transform_iteratorINSA_8identityIiEESF_NSA_11use_defaultESK_EENS0_5tupleIJSF_SF_EEENSM_IJSG_SG_EEES6_PlJS6_EEE10hipError_tPvRmT3_T4_T5_T6_T7_T9_mT8_P12ihipStream_tbDpT10_ENKUlT_T0_E_clISt17integral_constantIbLb1EES18_IbLb0EEEEDaS14_S15_EUlS14_E_NS1_11comp_targetILNS1_3genE10ELNS1_11target_archE1200ELNS1_3gpuE4ELNS1_3repE0EEENS1_30default_config_static_selectorELNS0_4arch9wavefront6targetE1EEEvT1_,@function
_ZN7rocprim17ROCPRIM_400000_NS6detail17trampoline_kernelINS0_14default_configENS1_25partition_config_selectorILNS1_17partition_subalgoE1EiNS0_10empty_typeEbEEZZNS1_14partition_implILS5_1ELb0ES3_jN6thrust23THRUST_200600_302600_NS6detail15normal_iteratorINSA_10device_ptrIiEEEEPS6_NSA_18transform_iteratorINSA_8identityIiEESF_NSA_11use_defaultESK_EENS0_5tupleIJSF_SF_EEENSM_IJSG_SG_EEES6_PlJS6_EEE10hipError_tPvRmT3_T4_T5_T6_T7_T9_mT8_P12ihipStream_tbDpT10_ENKUlT_T0_E_clISt17integral_constantIbLb1EES18_IbLb0EEEEDaS14_S15_EUlS14_E_NS1_11comp_targetILNS1_3genE10ELNS1_11target_archE1200ELNS1_3gpuE4ELNS1_3repE0EEENS1_30default_config_static_selectorELNS0_4arch9wavefront6targetE1EEEvT1_: ; @_ZN7rocprim17ROCPRIM_400000_NS6detail17trampoline_kernelINS0_14default_configENS1_25partition_config_selectorILNS1_17partition_subalgoE1EiNS0_10empty_typeEbEEZZNS1_14partition_implILS5_1ELb0ES3_jN6thrust23THRUST_200600_302600_NS6detail15normal_iteratorINSA_10device_ptrIiEEEEPS6_NSA_18transform_iteratorINSA_8identityIiEESF_NSA_11use_defaultESK_EENS0_5tupleIJSF_SF_EEENSM_IJSG_SG_EEES6_PlJS6_EEE10hipError_tPvRmT3_T4_T5_T6_T7_T9_mT8_P12ihipStream_tbDpT10_ENKUlT_T0_E_clISt17integral_constantIbLb1EES18_IbLb0EEEEDaS14_S15_EUlS14_E_NS1_11comp_targetILNS1_3genE10ELNS1_11target_archE1200ELNS1_3gpuE4ELNS1_3repE0EEENS1_30default_config_static_selectorELNS0_4arch9wavefront6targetE1EEEvT1_
; %bb.0:
	.section	.rodata,"a",@progbits
	.p2align	6, 0x0
	.amdhsa_kernel _ZN7rocprim17ROCPRIM_400000_NS6detail17trampoline_kernelINS0_14default_configENS1_25partition_config_selectorILNS1_17partition_subalgoE1EiNS0_10empty_typeEbEEZZNS1_14partition_implILS5_1ELb0ES3_jN6thrust23THRUST_200600_302600_NS6detail15normal_iteratorINSA_10device_ptrIiEEEEPS6_NSA_18transform_iteratorINSA_8identityIiEESF_NSA_11use_defaultESK_EENS0_5tupleIJSF_SF_EEENSM_IJSG_SG_EEES6_PlJS6_EEE10hipError_tPvRmT3_T4_T5_T6_T7_T9_mT8_P12ihipStream_tbDpT10_ENKUlT_T0_E_clISt17integral_constantIbLb1EES18_IbLb0EEEEDaS14_S15_EUlS14_E_NS1_11comp_targetILNS1_3genE10ELNS1_11target_archE1200ELNS1_3gpuE4ELNS1_3repE0EEENS1_30default_config_static_selectorELNS0_4arch9wavefront6targetE1EEEvT1_
		.amdhsa_group_segment_fixed_size 0
		.amdhsa_private_segment_fixed_size 0
		.amdhsa_kernarg_size 128
		.amdhsa_user_sgpr_count 6
		.amdhsa_user_sgpr_private_segment_buffer 1
		.amdhsa_user_sgpr_dispatch_ptr 0
		.amdhsa_user_sgpr_queue_ptr 0
		.amdhsa_user_sgpr_kernarg_segment_ptr 1
		.amdhsa_user_sgpr_dispatch_id 0
		.amdhsa_user_sgpr_flat_scratch_init 0
		.amdhsa_user_sgpr_kernarg_preload_length 0
		.amdhsa_user_sgpr_kernarg_preload_offset 0
		.amdhsa_user_sgpr_private_segment_size 0
		.amdhsa_uses_dynamic_stack 0
		.amdhsa_system_sgpr_private_segment_wavefront_offset 0
		.amdhsa_system_sgpr_workgroup_id_x 1
		.amdhsa_system_sgpr_workgroup_id_y 0
		.amdhsa_system_sgpr_workgroup_id_z 0
		.amdhsa_system_sgpr_workgroup_info 0
		.amdhsa_system_vgpr_workitem_id 0
		.amdhsa_next_free_vgpr 1
		.amdhsa_next_free_sgpr 0
		.amdhsa_accum_offset 4
		.amdhsa_reserve_vcc 0
		.amdhsa_reserve_flat_scratch 0
		.amdhsa_float_round_mode_32 0
		.amdhsa_float_round_mode_16_64 0
		.amdhsa_float_denorm_mode_32 3
		.amdhsa_float_denorm_mode_16_64 3
		.amdhsa_dx10_clamp 1
		.amdhsa_ieee_mode 1
		.amdhsa_fp16_overflow 0
		.amdhsa_tg_split 0
		.amdhsa_exception_fp_ieee_invalid_op 0
		.amdhsa_exception_fp_denorm_src 0
		.amdhsa_exception_fp_ieee_div_zero 0
		.amdhsa_exception_fp_ieee_overflow 0
		.amdhsa_exception_fp_ieee_underflow 0
		.amdhsa_exception_fp_ieee_inexact 0
		.amdhsa_exception_int_div_zero 0
	.end_amdhsa_kernel
	.section	.text._ZN7rocprim17ROCPRIM_400000_NS6detail17trampoline_kernelINS0_14default_configENS1_25partition_config_selectorILNS1_17partition_subalgoE1EiNS0_10empty_typeEbEEZZNS1_14partition_implILS5_1ELb0ES3_jN6thrust23THRUST_200600_302600_NS6detail15normal_iteratorINSA_10device_ptrIiEEEEPS6_NSA_18transform_iteratorINSA_8identityIiEESF_NSA_11use_defaultESK_EENS0_5tupleIJSF_SF_EEENSM_IJSG_SG_EEES6_PlJS6_EEE10hipError_tPvRmT3_T4_T5_T6_T7_T9_mT8_P12ihipStream_tbDpT10_ENKUlT_T0_E_clISt17integral_constantIbLb1EES18_IbLb0EEEEDaS14_S15_EUlS14_E_NS1_11comp_targetILNS1_3genE10ELNS1_11target_archE1200ELNS1_3gpuE4ELNS1_3repE0EEENS1_30default_config_static_selectorELNS0_4arch9wavefront6targetE1EEEvT1_,"axG",@progbits,_ZN7rocprim17ROCPRIM_400000_NS6detail17trampoline_kernelINS0_14default_configENS1_25partition_config_selectorILNS1_17partition_subalgoE1EiNS0_10empty_typeEbEEZZNS1_14partition_implILS5_1ELb0ES3_jN6thrust23THRUST_200600_302600_NS6detail15normal_iteratorINSA_10device_ptrIiEEEEPS6_NSA_18transform_iteratorINSA_8identityIiEESF_NSA_11use_defaultESK_EENS0_5tupleIJSF_SF_EEENSM_IJSG_SG_EEES6_PlJS6_EEE10hipError_tPvRmT3_T4_T5_T6_T7_T9_mT8_P12ihipStream_tbDpT10_ENKUlT_T0_E_clISt17integral_constantIbLb1EES18_IbLb0EEEEDaS14_S15_EUlS14_E_NS1_11comp_targetILNS1_3genE10ELNS1_11target_archE1200ELNS1_3gpuE4ELNS1_3repE0EEENS1_30default_config_static_selectorELNS0_4arch9wavefront6targetE1EEEvT1_,comdat
.Lfunc_end630:
	.size	_ZN7rocprim17ROCPRIM_400000_NS6detail17trampoline_kernelINS0_14default_configENS1_25partition_config_selectorILNS1_17partition_subalgoE1EiNS0_10empty_typeEbEEZZNS1_14partition_implILS5_1ELb0ES3_jN6thrust23THRUST_200600_302600_NS6detail15normal_iteratorINSA_10device_ptrIiEEEEPS6_NSA_18transform_iteratorINSA_8identityIiEESF_NSA_11use_defaultESK_EENS0_5tupleIJSF_SF_EEENSM_IJSG_SG_EEES6_PlJS6_EEE10hipError_tPvRmT3_T4_T5_T6_T7_T9_mT8_P12ihipStream_tbDpT10_ENKUlT_T0_E_clISt17integral_constantIbLb1EES18_IbLb0EEEEDaS14_S15_EUlS14_E_NS1_11comp_targetILNS1_3genE10ELNS1_11target_archE1200ELNS1_3gpuE4ELNS1_3repE0EEENS1_30default_config_static_selectorELNS0_4arch9wavefront6targetE1EEEvT1_, .Lfunc_end630-_ZN7rocprim17ROCPRIM_400000_NS6detail17trampoline_kernelINS0_14default_configENS1_25partition_config_selectorILNS1_17partition_subalgoE1EiNS0_10empty_typeEbEEZZNS1_14partition_implILS5_1ELb0ES3_jN6thrust23THRUST_200600_302600_NS6detail15normal_iteratorINSA_10device_ptrIiEEEEPS6_NSA_18transform_iteratorINSA_8identityIiEESF_NSA_11use_defaultESK_EENS0_5tupleIJSF_SF_EEENSM_IJSG_SG_EEES6_PlJS6_EEE10hipError_tPvRmT3_T4_T5_T6_T7_T9_mT8_P12ihipStream_tbDpT10_ENKUlT_T0_E_clISt17integral_constantIbLb1EES18_IbLb0EEEEDaS14_S15_EUlS14_E_NS1_11comp_targetILNS1_3genE10ELNS1_11target_archE1200ELNS1_3gpuE4ELNS1_3repE0EEENS1_30default_config_static_selectorELNS0_4arch9wavefront6targetE1EEEvT1_
                                        ; -- End function
	.section	.AMDGPU.csdata,"",@progbits
; Kernel info:
; codeLenInByte = 0
; NumSgprs: 4
; NumVgprs: 0
; NumAgprs: 0
; TotalNumVgprs: 0
; ScratchSize: 0
; MemoryBound: 0
; FloatMode: 240
; IeeeMode: 1
; LDSByteSize: 0 bytes/workgroup (compile time only)
; SGPRBlocks: 0
; VGPRBlocks: 0
; NumSGPRsForWavesPerEU: 4
; NumVGPRsForWavesPerEU: 1
; AccumOffset: 4
; Occupancy: 8
; WaveLimiterHint : 0
; COMPUTE_PGM_RSRC2:SCRATCH_EN: 0
; COMPUTE_PGM_RSRC2:USER_SGPR: 6
; COMPUTE_PGM_RSRC2:TRAP_HANDLER: 0
; COMPUTE_PGM_RSRC2:TGID_X_EN: 1
; COMPUTE_PGM_RSRC2:TGID_Y_EN: 0
; COMPUTE_PGM_RSRC2:TGID_Z_EN: 0
; COMPUTE_PGM_RSRC2:TIDIG_COMP_CNT: 0
; COMPUTE_PGM_RSRC3_GFX90A:ACCUM_OFFSET: 0
; COMPUTE_PGM_RSRC3_GFX90A:TG_SPLIT: 0
	.section	.text._ZN7rocprim17ROCPRIM_400000_NS6detail17trampoline_kernelINS0_14default_configENS1_25partition_config_selectorILNS1_17partition_subalgoE1EiNS0_10empty_typeEbEEZZNS1_14partition_implILS5_1ELb0ES3_jN6thrust23THRUST_200600_302600_NS6detail15normal_iteratorINSA_10device_ptrIiEEEEPS6_NSA_18transform_iteratorINSA_8identityIiEESF_NSA_11use_defaultESK_EENS0_5tupleIJSF_SF_EEENSM_IJSG_SG_EEES6_PlJS6_EEE10hipError_tPvRmT3_T4_T5_T6_T7_T9_mT8_P12ihipStream_tbDpT10_ENKUlT_T0_E_clISt17integral_constantIbLb1EES18_IbLb0EEEEDaS14_S15_EUlS14_E_NS1_11comp_targetILNS1_3genE9ELNS1_11target_archE1100ELNS1_3gpuE3ELNS1_3repE0EEENS1_30default_config_static_selectorELNS0_4arch9wavefront6targetE1EEEvT1_,"axG",@progbits,_ZN7rocprim17ROCPRIM_400000_NS6detail17trampoline_kernelINS0_14default_configENS1_25partition_config_selectorILNS1_17partition_subalgoE1EiNS0_10empty_typeEbEEZZNS1_14partition_implILS5_1ELb0ES3_jN6thrust23THRUST_200600_302600_NS6detail15normal_iteratorINSA_10device_ptrIiEEEEPS6_NSA_18transform_iteratorINSA_8identityIiEESF_NSA_11use_defaultESK_EENS0_5tupleIJSF_SF_EEENSM_IJSG_SG_EEES6_PlJS6_EEE10hipError_tPvRmT3_T4_T5_T6_T7_T9_mT8_P12ihipStream_tbDpT10_ENKUlT_T0_E_clISt17integral_constantIbLb1EES18_IbLb0EEEEDaS14_S15_EUlS14_E_NS1_11comp_targetILNS1_3genE9ELNS1_11target_archE1100ELNS1_3gpuE3ELNS1_3repE0EEENS1_30default_config_static_selectorELNS0_4arch9wavefront6targetE1EEEvT1_,comdat
	.protected	_ZN7rocprim17ROCPRIM_400000_NS6detail17trampoline_kernelINS0_14default_configENS1_25partition_config_selectorILNS1_17partition_subalgoE1EiNS0_10empty_typeEbEEZZNS1_14partition_implILS5_1ELb0ES3_jN6thrust23THRUST_200600_302600_NS6detail15normal_iteratorINSA_10device_ptrIiEEEEPS6_NSA_18transform_iteratorINSA_8identityIiEESF_NSA_11use_defaultESK_EENS0_5tupleIJSF_SF_EEENSM_IJSG_SG_EEES6_PlJS6_EEE10hipError_tPvRmT3_T4_T5_T6_T7_T9_mT8_P12ihipStream_tbDpT10_ENKUlT_T0_E_clISt17integral_constantIbLb1EES18_IbLb0EEEEDaS14_S15_EUlS14_E_NS1_11comp_targetILNS1_3genE9ELNS1_11target_archE1100ELNS1_3gpuE3ELNS1_3repE0EEENS1_30default_config_static_selectorELNS0_4arch9wavefront6targetE1EEEvT1_ ; -- Begin function _ZN7rocprim17ROCPRIM_400000_NS6detail17trampoline_kernelINS0_14default_configENS1_25partition_config_selectorILNS1_17partition_subalgoE1EiNS0_10empty_typeEbEEZZNS1_14partition_implILS5_1ELb0ES3_jN6thrust23THRUST_200600_302600_NS6detail15normal_iteratorINSA_10device_ptrIiEEEEPS6_NSA_18transform_iteratorINSA_8identityIiEESF_NSA_11use_defaultESK_EENS0_5tupleIJSF_SF_EEENSM_IJSG_SG_EEES6_PlJS6_EEE10hipError_tPvRmT3_T4_T5_T6_T7_T9_mT8_P12ihipStream_tbDpT10_ENKUlT_T0_E_clISt17integral_constantIbLb1EES18_IbLb0EEEEDaS14_S15_EUlS14_E_NS1_11comp_targetILNS1_3genE9ELNS1_11target_archE1100ELNS1_3gpuE3ELNS1_3repE0EEENS1_30default_config_static_selectorELNS0_4arch9wavefront6targetE1EEEvT1_
	.globl	_ZN7rocprim17ROCPRIM_400000_NS6detail17trampoline_kernelINS0_14default_configENS1_25partition_config_selectorILNS1_17partition_subalgoE1EiNS0_10empty_typeEbEEZZNS1_14partition_implILS5_1ELb0ES3_jN6thrust23THRUST_200600_302600_NS6detail15normal_iteratorINSA_10device_ptrIiEEEEPS6_NSA_18transform_iteratorINSA_8identityIiEESF_NSA_11use_defaultESK_EENS0_5tupleIJSF_SF_EEENSM_IJSG_SG_EEES6_PlJS6_EEE10hipError_tPvRmT3_T4_T5_T6_T7_T9_mT8_P12ihipStream_tbDpT10_ENKUlT_T0_E_clISt17integral_constantIbLb1EES18_IbLb0EEEEDaS14_S15_EUlS14_E_NS1_11comp_targetILNS1_3genE9ELNS1_11target_archE1100ELNS1_3gpuE3ELNS1_3repE0EEENS1_30default_config_static_selectorELNS0_4arch9wavefront6targetE1EEEvT1_
	.p2align	8
	.type	_ZN7rocprim17ROCPRIM_400000_NS6detail17trampoline_kernelINS0_14default_configENS1_25partition_config_selectorILNS1_17partition_subalgoE1EiNS0_10empty_typeEbEEZZNS1_14partition_implILS5_1ELb0ES3_jN6thrust23THRUST_200600_302600_NS6detail15normal_iteratorINSA_10device_ptrIiEEEEPS6_NSA_18transform_iteratorINSA_8identityIiEESF_NSA_11use_defaultESK_EENS0_5tupleIJSF_SF_EEENSM_IJSG_SG_EEES6_PlJS6_EEE10hipError_tPvRmT3_T4_T5_T6_T7_T9_mT8_P12ihipStream_tbDpT10_ENKUlT_T0_E_clISt17integral_constantIbLb1EES18_IbLb0EEEEDaS14_S15_EUlS14_E_NS1_11comp_targetILNS1_3genE9ELNS1_11target_archE1100ELNS1_3gpuE3ELNS1_3repE0EEENS1_30default_config_static_selectorELNS0_4arch9wavefront6targetE1EEEvT1_,@function
_ZN7rocprim17ROCPRIM_400000_NS6detail17trampoline_kernelINS0_14default_configENS1_25partition_config_selectorILNS1_17partition_subalgoE1EiNS0_10empty_typeEbEEZZNS1_14partition_implILS5_1ELb0ES3_jN6thrust23THRUST_200600_302600_NS6detail15normal_iteratorINSA_10device_ptrIiEEEEPS6_NSA_18transform_iteratorINSA_8identityIiEESF_NSA_11use_defaultESK_EENS0_5tupleIJSF_SF_EEENSM_IJSG_SG_EEES6_PlJS6_EEE10hipError_tPvRmT3_T4_T5_T6_T7_T9_mT8_P12ihipStream_tbDpT10_ENKUlT_T0_E_clISt17integral_constantIbLb1EES18_IbLb0EEEEDaS14_S15_EUlS14_E_NS1_11comp_targetILNS1_3genE9ELNS1_11target_archE1100ELNS1_3gpuE3ELNS1_3repE0EEENS1_30default_config_static_selectorELNS0_4arch9wavefront6targetE1EEEvT1_: ; @_ZN7rocprim17ROCPRIM_400000_NS6detail17trampoline_kernelINS0_14default_configENS1_25partition_config_selectorILNS1_17partition_subalgoE1EiNS0_10empty_typeEbEEZZNS1_14partition_implILS5_1ELb0ES3_jN6thrust23THRUST_200600_302600_NS6detail15normal_iteratorINSA_10device_ptrIiEEEEPS6_NSA_18transform_iteratorINSA_8identityIiEESF_NSA_11use_defaultESK_EENS0_5tupleIJSF_SF_EEENSM_IJSG_SG_EEES6_PlJS6_EEE10hipError_tPvRmT3_T4_T5_T6_T7_T9_mT8_P12ihipStream_tbDpT10_ENKUlT_T0_E_clISt17integral_constantIbLb1EES18_IbLb0EEEEDaS14_S15_EUlS14_E_NS1_11comp_targetILNS1_3genE9ELNS1_11target_archE1100ELNS1_3gpuE3ELNS1_3repE0EEENS1_30default_config_static_selectorELNS0_4arch9wavefront6targetE1EEEvT1_
; %bb.0:
	.section	.rodata,"a",@progbits
	.p2align	6, 0x0
	.amdhsa_kernel _ZN7rocprim17ROCPRIM_400000_NS6detail17trampoline_kernelINS0_14default_configENS1_25partition_config_selectorILNS1_17partition_subalgoE1EiNS0_10empty_typeEbEEZZNS1_14partition_implILS5_1ELb0ES3_jN6thrust23THRUST_200600_302600_NS6detail15normal_iteratorINSA_10device_ptrIiEEEEPS6_NSA_18transform_iteratorINSA_8identityIiEESF_NSA_11use_defaultESK_EENS0_5tupleIJSF_SF_EEENSM_IJSG_SG_EEES6_PlJS6_EEE10hipError_tPvRmT3_T4_T5_T6_T7_T9_mT8_P12ihipStream_tbDpT10_ENKUlT_T0_E_clISt17integral_constantIbLb1EES18_IbLb0EEEEDaS14_S15_EUlS14_E_NS1_11comp_targetILNS1_3genE9ELNS1_11target_archE1100ELNS1_3gpuE3ELNS1_3repE0EEENS1_30default_config_static_selectorELNS0_4arch9wavefront6targetE1EEEvT1_
		.amdhsa_group_segment_fixed_size 0
		.amdhsa_private_segment_fixed_size 0
		.amdhsa_kernarg_size 128
		.amdhsa_user_sgpr_count 6
		.amdhsa_user_sgpr_private_segment_buffer 1
		.amdhsa_user_sgpr_dispatch_ptr 0
		.amdhsa_user_sgpr_queue_ptr 0
		.amdhsa_user_sgpr_kernarg_segment_ptr 1
		.amdhsa_user_sgpr_dispatch_id 0
		.amdhsa_user_sgpr_flat_scratch_init 0
		.amdhsa_user_sgpr_kernarg_preload_length 0
		.amdhsa_user_sgpr_kernarg_preload_offset 0
		.amdhsa_user_sgpr_private_segment_size 0
		.amdhsa_uses_dynamic_stack 0
		.amdhsa_system_sgpr_private_segment_wavefront_offset 0
		.amdhsa_system_sgpr_workgroup_id_x 1
		.amdhsa_system_sgpr_workgroup_id_y 0
		.amdhsa_system_sgpr_workgroup_id_z 0
		.amdhsa_system_sgpr_workgroup_info 0
		.amdhsa_system_vgpr_workitem_id 0
		.amdhsa_next_free_vgpr 1
		.amdhsa_next_free_sgpr 0
		.amdhsa_accum_offset 4
		.amdhsa_reserve_vcc 0
		.amdhsa_reserve_flat_scratch 0
		.amdhsa_float_round_mode_32 0
		.amdhsa_float_round_mode_16_64 0
		.amdhsa_float_denorm_mode_32 3
		.amdhsa_float_denorm_mode_16_64 3
		.amdhsa_dx10_clamp 1
		.amdhsa_ieee_mode 1
		.amdhsa_fp16_overflow 0
		.amdhsa_tg_split 0
		.amdhsa_exception_fp_ieee_invalid_op 0
		.amdhsa_exception_fp_denorm_src 0
		.amdhsa_exception_fp_ieee_div_zero 0
		.amdhsa_exception_fp_ieee_overflow 0
		.amdhsa_exception_fp_ieee_underflow 0
		.amdhsa_exception_fp_ieee_inexact 0
		.amdhsa_exception_int_div_zero 0
	.end_amdhsa_kernel
	.section	.text._ZN7rocprim17ROCPRIM_400000_NS6detail17trampoline_kernelINS0_14default_configENS1_25partition_config_selectorILNS1_17partition_subalgoE1EiNS0_10empty_typeEbEEZZNS1_14partition_implILS5_1ELb0ES3_jN6thrust23THRUST_200600_302600_NS6detail15normal_iteratorINSA_10device_ptrIiEEEEPS6_NSA_18transform_iteratorINSA_8identityIiEESF_NSA_11use_defaultESK_EENS0_5tupleIJSF_SF_EEENSM_IJSG_SG_EEES6_PlJS6_EEE10hipError_tPvRmT3_T4_T5_T6_T7_T9_mT8_P12ihipStream_tbDpT10_ENKUlT_T0_E_clISt17integral_constantIbLb1EES18_IbLb0EEEEDaS14_S15_EUlS14_E_NS1_11comp_targetILNS1_3genE9ELNS1_11target_archE1100ELNS1_3gpuE3ELNS1_3repE0EEENS1_30default_config_static_selectorELNS0_4arch9wavefront6targetE1EEEvT1_,"axG",@progbits,_ZN7rocprim17ROCPRIM_400000_NS6detail17trampoline_kernelINS0_14default_configENS1_25partition_config_selectorILNS1_17partition_subalgoE1EiNS0_10empty_typeEbEEZZNS1_14partition_implILS5_1ELb0ES3_jN6thrust23THRUST_200600_302600_NS6detail15normal_iteratorINSA_10device_ptrIiEEEEPS6_NSA_18transform_iteratorINSA_8identityIiEESF_NSA_11use_defaultESK_EENS0_5tupleIJSF_SF_EEENSM_IJSG_SG_EEES6_PlJS6_EEE10hipError_tPvRmT3_T4_T5_T6_T7_T9_mT8_P12ihipStream_tbDpT10_ENKUlT_T0_E_clISt17integral_constantIbLb1EES18_IbLb0EEEEDaS14_S15_EUlS14_E_NS1_11comp_targetILNS1_3genE9ELNS1_11target_archE1100ELNS1_3gpuE3ELNS1_3repE0EEENS1_30default_config_static_selectorELNS0_4arch9wavefront6targetE1EEEvT1_,comdat
.Lfunc_end631:
	.size	_ZN7rocprim17ROCPRIM_400000_NS6detail17trampoline_kernelINS0_14default_configENS1_25partition_config_selectorILNS1_17partition_subalgoE1EiNS0_10empty_typeEbEEZZNS1_14partition_implILS5_1ELb0ES3_jN6thrust23THRUST_200600_302600_NS6detail15normal_iteratorINSA_10device_ptrIiEEEEPS6_NSA_18transform_iteratorINSA_8identityIiEESF_NSA_11use_defaultESK_EENS0_5tupleIJSF_SF_EEENSM_IJSG_SG_EEES6_PlJS6_EEE10hipError_tPvRmT3_T4_T5_T6_T7_T9_mT8_P12ihipStream_tbDpT10_ENKUlT_T0_E_clISt17integral_constantIbLb1EES18_IbLb0EEEEDaS14_S15_EUlS14_E_NS1_11comp_targetILNS1_3genE9ELNS1_11target_archE1100ELNS1_3gpuE3ELNS1_3repE0EEENS1_30default_config_static_selectorELNS0_4arch9wavefront6targetE1EEEvT1_, .Lfunc_end631-_ZN7rocprim17ROCPRIM_400000_NS6detail17trampoline_kernelINS0_14default_configENS1_25partition_config_selectorILNS1_17partition_subalgoE1EiNS0_10empty_typeEbEEZZNS1_14partition_implILS5_1ELb0ES3_jN6thrust23THRUST_200600_302600_NS6detail15normal_iteratorINSA_10device_ptrIiEEEEPS6_NSA_18transform_iteratorINSA_8identityIiEESF_NSA_11use_defaultESK_EENS0_5tupleIJSF_SF_EEENSM_IJSG_SG_EEES6_PlJS6_EEE10hipError_tPvRmT3_T4_T5_T6_T7_T9_mT8_P12ihipStream_tbDpT10_ENKUlT_T0_E_clISt17integral_constantIbLb1EES18_IbLb0EEEEDaS14_S15_EUlS14_E_NS1_11comp_targetILNS1_3genE9ELNS1_11target_archE1100ELNS1_3gpuE3ELNS1_3repE0EEENS1_30default_config_static_selectorELNS0_4arch9wavefront6targetE1EEEvT1_
                                        ; -- End function
	.section	.AMDGPU.csdata,"",@progbits
; Kernel info:
; codeLenInByte = 0
; NumSgprs: 4
; NumVgprs: 0
; NumAgprs: 0
; TotalNumVgprs: 0
; ScratchSize: 0
; MemoryBound: 0
; FloatMode: 240
; IeeeMode: 1
; LDSByteSize: 0 bytes/workgroup (compile time only)
; SGPRBlocks: 0
; VGPRBlocks: 0
; NumSGPRsForWavesPerEU: 4
; NumVGPRsForWavesPerEU: 1
; AccumOffset: 4
; Occupancy: 8
; WaveLimiterHint : 0
; COMPUTE_PGM_RSRC2:SCRATCH_EN: 0
; COMPUTE_PGM_RSRC2:USER_SGPR: 6
; COMPUTE_PGM_RSRC2:TRAP_HANDLER: 0
; COMPUTE_PGM_RSRC2:TGID_X_EN: 1
; COMPUTE_PGM_RSRC2:TGID_Y_EN: 0
; COMPUTE_PGM_RSRC2:TGID_Z_EN: 0
; COMPUTE_PGM_RSRC2:TIDIG_COMP_CNT: 0
; COMPUTE_PGM_RSRC3_GFX90A:ACCUM_OFFSET: 0
; COMPUTE_PGM_RSRC3_GFX90A:TG_SPLIT: 0
	.section	.text._ZN7rocprim17ROCPRIM_400000_NS6detail17trampoline_kernelINS0_14default_configENS1_25partition_config_selectorILNS1_17partition_subalgoE1EiNS0_10empty_typeEbEEZZNS1_14partition_implILS5_1ELb0ES3_jN6thrust23THRUST_200600_302600_NS6detail15normal_iteratorINSA_10device_ptrIiEEEEPS6_NSA_18transform_iteratorINSA_8identityIiEESF_NSA_11use_defaultESK_EENS0_5tupleIJSF_SF_EEENSM_IJSG_SG_EEES6_PlJS6_EEE10hipError_tPvRmT3_T4_T5_T6_T7_T9_mT8_P12ihipStream_tbDpT10_ENKUlT_T0_E_clISt17integral_constantIbLb1EES18_IbLb0EEEEDaS14_S15_EUlS14_E_NS1_11comp_targetILNS1_3genE8ELNS1_11target_archE1030ELNS1_3gpuE2ELNS1_3repE0EEENS1_30default_config_static_selectorELNS0_4arch9wavefront6targetE1EEEvT1_,"axG",@progbits,_ZN7rocprim17ROCPRIM_400000_NS6detail17trampoline_kernelINS0_14default_configENS1_25partition_config_selectorILNS1_17partition_subalgoE1EiNS0_10empty_typeEbEEZZNS1_14partition_implILS5_1ELb0ES3_jN6thrust23THRUST_200600_302600_NS6detail15normal_iteratorINSA_10device_ptrIiEEEEPS6_NSA_18transform_iteratorINSA_8identityIiEESF_NSA_11use_defaultESK_EENS0_5tupleIJSF_SF_EEENSM_IJSG_SG_EEES6_PlJS6_EEE10hipError_tPvRmT3_T4_T5_T6_T7_T9_mT8_P12ihipStream_tbDpT10_ENKUlT_T0_E_clISt17integral_constantIbLb1EES18_IbLb0EEEEDaS14_S15_EUlS14_E_NS1_11comp_targetILNS1_3genE8ELNS1_11target_archE1030ELNS1_3gpuE2ELNS1_3repE0EEENS1_30default_config_static_selectorELNS0_4arch9wavefront6targetE1EEEvT1_,comdat
	.protected	_ZN7rocprim17ROCPRIM_400000_NS6detail17trampoline_kernelINS0_14default_configENS1_25partition_config_selectorILNS1_17partition_subalgoE1EiNS0_10empty_typeEbEEZZNS1_14partition_implILS5_1ELb0ES3_jN6thrust23THRUST_200600_302600_NS6detail15normal_iteratorINSA_10device_ptrIiEEEEPS6_NSA_18transform_iteratorINSA_8identityIiEESF_NSA_11use_defaultESK_EENS0_5tupleIJSF_SF_EEENSM_IJSG_SG_EEES6_PlJS6_EEE10hipError_tPvRmT3_T4_T5_T6_T7_T9_mT8_P12ihipStream_tbDpT10_ENKUlT_T0_E_clISt17integral_constantIbLb1EES18_IbLb0EEEEDaS14_S15_EUlS14_E_NS1_11comp_targetILNS1_3genE8ELNS1_11target_archE1030ELNS1_3gpuE2ELNS1_3repE0EEENS1_30default_config_static_selectorELNS0_4arch9wavefront6targetE1EEEvT1_ ; -- Begin function _ZN7rocprim17ROCPRIM_400000_NS6detail17trampoline_kernelINS0_14default_configENS1_25partition_config_selectorILNS1_17partition_subalgoE1EiNS0_10empty_typeEbEEZZNS1_14partition_implILS5_1ELb0ES3_jN6thrust23THRUST_200600_302600_NS6detail15normal_iteratorINSA_10device_ptrIiEEEEPS6_NSA_18transform_iteratorINSA_8identityIiEESF_NSA_11use_defaultESK_EENS0_5tupleIJSF_SF_EEENSM_IJSG_SG_EEES6_PlJS6_EEE10hipError_tPvRmT3_T4_T5_T6_T7_T9_mT8_P12ihipStream_tbDpT10_ENKUlT_T0_E_clISt17integral_constantIbLb1EES18_IbLb0EEEEDaS14_S15_EUlS14_E_NS1_11comp_targetILNS1_3genE8ELNS1_11target_archE1030ELNS1_3gpuE2ELNS1_3repE0EEENS1_30default_config_static_selectorELNS0_4arch9wavefront6targetE1EEEvT1_
	.globl	_ZN7rocprim17ROCPRIM_400000_NS6detail17trampoline_kernelINS0_14default_configENS1_25partition_config_selectorILNS1_17partition_subalgoE1EiNS0_10empty_typeEbEEZZNS1_14partition_implILS5_1ELb0ES3_jN6thrust23THRUST_200600_302600_NS6detail15normal_iteratorINSA_10device_ptrIiEEEEPS6_NSA_18transform_iteratorINSA_8identityIiEESF_NSA_11use_defaultESK_EENS0_5tupleIJSF_SF_EEENSM_IJSG_SG_EEES6_PlJS6_EEE10hipError_tPvRmT3_T4_T5_T6_T7_T9_mT8_P12ihipStream_tbDpT10_ENKUlT_T0_E_clISt17integral_constantIbLb1EES18_IbLb0EEEEDaS14_S15_EUlS14_E_NS1_11comp_targetILNS1_3genE8ELNS1_11target_archE1030ELNS1_3gpuE2ELNS1_3repE0EEENS1_30default_config_static_selectorELNS0_4arch9wavefront6targetE1EEEvT1_
	.p2align	8
	.type	_ZN7rocprim17ROCPRIM_400000_NS6detail17trampoline_kernelINS0_14default_configENS1_25partition_config_selectorILNS1_17partition_subalgoE1EiNS0_10empty_typeEbEEZZNS1_14partition_implILS5_1ELb0ES3_jN6thrust23THRUST_200600_302600_NS6detail15normal_iteratorINSA_10device_ptrIiEEEEPS6_NSA_18transform_iteratorINSA_8identityIiEESF_NSA_11use_defaultESK_EENS0_5tupleIJSF_SF_EEENSM_IJSG_SG_EEES6_PlJS6_EEE10hipError_tPvRmT3_T4_T5_T6_T7_T9_mT8_P12ihipStream_tbDpT10_ENKUlT_T0_E_clISt17integral_constantIbLb1EES18_IbLb0EEEEDaS14_S15_EUlS14_E_NS1_11comp_targetILNS1_3genE8ELNS1_11target_archE1030ELNS1_3gpuE2ELNS1_3repE0EEENS1_30default_config_static_selectorELNS0_4arch9wavefront6targetE1EEEvT1_,@function
_ZN7rocprim17ROCPRIM_400000_NS6detail17trampoline_kernelINS0_14default_configENS1_25partition_config_selectorILNS1_17partition_subalgoE1EiNS0_10empty_typeEbEEZZNS1_14partition_implILS5_1ELb0ES3_jN6thrust23THRUST_200600_302600_NS6detail15normal_iteratorINSA_10device_ptrIiEEEEPS6_NSA_18transform_iteratorINSA_8identityIiEESF_NSA_11use_defaultESK_EENS0_5tupleIJSF_SF_EEENSM_IJSG_SG_EEES6_PlJS6_EEE10hipError_tPvRmT3_T4_T5_T6_T7_T9_mT8_P12ihipStream_tbDpT10_ENKUlT_T0_E_clISt17integral_constantIbLb1EES18_IbLb0EEEEDaS14_S15_EUlS14_E_NS1_11comp_targetILNS1_3genE8ELNS1_11target_archE1030ELNS1_3gpuE2ELNS1_3repE0EEENS1_30default_config_static_selectorELNS0_4arch9wavefront6targetE1EEEvT1_: ; @_ZN7rocprim17ROCPRIM_400000_NS6detail17trampoline_kernelINS0_14default_configENS1_25partition_config_selectorILNS1_17partition_subalgoE1EiNS0_10empty_typeEbEEZZNS1_14partition_implILS5_1ELb0ES3_jN6thrust23THRUST_200600_302600_NS6detail15normal_iteratorINSA_10device_ptrIiEEEEPS6_NSA_18transform_iteratorINSA_8identityIiEESF_NSA_11use_defaultESK_EENS0_5tupleIJSF_SF_EEENSM_IJSG_SG_EEES6_PlJS6_EEE10hipError_tPvRmT3_T4_T5_T6_T7_T9_mT8_P12ihipStream_tbDpT10_ENKUlT_T0_E_clISt17integral_constantIbLb1EES18_IbLb0EEEEDaS14_S15_EUlS14_E_NS1_11comp_targetILNS1_3genE8ELNS1_11target_archE1030ELNS1_3gpuE2ELNS1_3repE0EEENS1_30default_config_static_selectorELNS0_4arch9wavefront6targetE1EEEvT1_
; %bb.0:
	.section	.rodata,"a",@progbits
	.p2align	6, 0x0
	.amdhsa_kernel _ZN7rocprim17ROCPRIM_400000_NS6detail17trampoline_kernelINS0_14default_configENS1_25partition_config_selectorILNS1_17partition_subalgoE1EiNS0_10empty_typeEbEEZZNS1_14partition_implILS5_1ELb0ES3_jN6thrust23THRUST_200600_302600_NS6detail15normal_iteratorINSA_10device_ptrIiEEEEPS6_NSA_18transform_iteratorINSA_8identityIiEESF_NSA_11use_defaultESK_EENS0_5tupleIJSF_SF_EEENSM_IJSG_SG_EEES6_PlJS6_EEE10hipError_tPvRmT3_T4_T5_T6_T7_T9_mT8_P12ihipStream_tbDpT10_ENKUlT_T0_E_clISt17integral_constantIbLb1EES18_IbLb0EEEEDaS14_S15_EUlS14_E_NS1_11comp_targetILNS1_3genE8ELNS1_11target_archE1030ELNS1_3gpuE2ELNS1_3repE0EEENS1_30default_config_static_selectorELNS0_4arch9wavefront6targetE1EEEvT1_
		.amdhsa_group_segment_fixed_size 0
		.amdhsa_private_segment_fixed_size 0
		.amdhsa_kernarg_size 128
		.amdhsa_user_sgpr_count 6
		.amdhsa_user_sgpr_private_segment_buffer 1
		.amdhsa_user_sgpr_dispatch_ptr 0
		.amdhsa_user_sgpr_queue_ptr 0
		.amdhsa_user_sgpr_kernarg_segment_ptr 1
		.amdhsa_user_sgpr_dispatch_id 0
		.amdhsa_user_sgpr_flat_scratch_init 0
		.amdhsa_user_sgpr_kernarg_preload_length 0
		.amdhsa_user_sgpr_kernarg_preload_offset 0
		.amdhsa_user_sgpr_private_segment_size 0
		.amdhsa_uses_dynamic_stack 0
		.amdhsa_system_sgpr_private_segment_wavefront_offset 0
		.amdhsa_system_sgpr_workgroup_id_x 1
		.amdhsa_system_sgpr_workgroup_id_y 0
		.amdhsa_system_sgpr_workgroup_id_z 0
		.amdhsa_system_sgpr_workgroup_info 0
		.amdhsa_system_vgpr_workitem_id 0
		.amdhsa_next_free_vgpr 1
		.amdhsa_next_free_sgpr 0
		.amdhsa_accum_offset 4
		.amdhsa_reserve_vcc 0
		.amdhsa_reserve_flat_scratch 0
		.amdhsa_float_round_mode_32 0
		.amdhsa_float_round_mode_16_64 0
		.amdhsa_float_denorm_mode_32 3
		.amdhsa_float_denorm_mode_16_64 3
		.amdhsa_dx10_clamp 1
		.amdhsa_ieee_mode 1
		.amdhsa_fp16_overflow 0
		.amdhsa_tg_split 0
		.amdhsa_exception_fp_ieee_invalid_op 0
		.amdhsa_exception_fp_denorm_src 0
		.amdhsa_exception_fp_ieee_div_zero 0
		.amdhsa_exception_fp_ieee_overflow 0
		.amdhsa_exception_fp_ieee_underflow 0
		.amdhsa_exception_fp_ieee_inexact 0
		.amdhsa_exception_int_div_zero 0
	.end_amdhsa_kernel
	.section	.text._ZN7rocprim17ROCPRIM_400000_NS6detail17trampoline_kernelINS0_14default_configENS1_25partition_config_selectorILNS1_17partition_subalgoE1EiNS0_10empty_typeEbEEZZNS1_14partition_implILS5_1ELb0ES3_jN6thrust23THRUST_200600_302600_NS6detail15normal_iteratorINSA_10device_ptrIiEEEEPS6_NSA_18transform_iteratorINSA_8identityIiEESF_NSA_11use_defaultESK_EENS0_5tupleIJSF_SF_EEENSM_IJSG_SG_EEES6_PlJS6_EEE10hipError_tPvRmT3_T4_T5_T6_T7_T9_mT8_P12ihipStream_tbDpT10_ENKUlT_T0_E_clISt17integral_constantIbLb1EES18_IbLb0EEEEDaS14_S15_EUlS14_E_NS1_11comp_targetILNS1_3genE8ELNS1_11target_archE1030ELNS1_3gpuE2ELNS1_3repE0EEENS1_30default_config_static_selectorELNS0_4arch9wavefront6targetE1EEEvT1_,"axG",@progbits,_ZN7rocprim17ROCPRIM_400000_NS6detail17trampoline_kernelINS0_14default_configENS1_25partition_config_selectorILNS1_17partition_subalgoE1EiNS0_10empty_typeEbEEZZNS1_14partition_implILS5_1ELb0ES3_jN6thrust23THRUST_200600_302600_NS6detail15normal_iteratorINSA_10device_ptrIiEEEEPS6_NSA_18transform_iteratorINSA_8identityIiEESF_NSA_11use_defaultESK_EENS0_5tupleIJSF_SF_EEENSM_IJSG_SG_EEES6_PlJS6_EEE10hipError_tPvRmT3_T4_T5_T6_T7_T9_mT8_P12ihipStream_tbDpT10_ENKUlT_T0_E_clISt17integral_constantIbLb1EES18_IbLb0EEEEDaS14_S15_EUlS14_E_NS1_11comp_targetILNS1_3genE8ELNS1_11target_archE1030ELNS1_3gpuE2ELNS1_3repE0EEENS1_30default_config_static_selectorELNS0_4arch9wavefront6targetE1EEEvT1_,comdat
.Lfunc_end632:
	.size	_ZN7rocprim17ROCPRIM_400000_NS6detail17trampoline_kernelINS0_14default_configENS1_25partition_config_selectorILNS1_17partition_subalgoE1EiNS0_10empty_typeEbEEZZNS1_14partition_implILS5_1ELb0ES3_jN6thrust23THRUST_200600_302600_NS6detail15normal_iteratorINSA_10device_ptrIiEEEEPS6_NSA_18transform_iteratorINSA_8identityIiEESF_NSA_11use_defaultESK_EENS0_5tupleIJSF_SF_EEENSM_IJSG_SG_EEES6_PlJS6_EEE10hipError_tPvRmT3_T4_T5_T6_T7_T9_mT8_P12ihipStream_tbDpT10_ENKUlT_T0_E_clISt17integral_constantIbLb1EES18_IbLb0EEEEDaS14_S15_EUlS14_E_NS1_11comp_targetILNS1_3genE8ELNS1_11target_archE1030ELNS1_3gpuE2ELNS1_3repE0EEENS1_30default_config_static_selectorELNS0_4arch9wavefront6targetE1EEEvT1_, .Lfunc_end632-_ZN7rocprim17ROCPRIM_400000_NS6detail17trampoline_kernelINS0_14default_configENS1_25partition_config_selectorILNS1_17partition_subalgoE1EiNS0_10empty_typeEbEEZZNS1_14partition_implILS5_1ELb0ES3_jN6thrust23THRUST_200600_302600_NS6detail15normal_iteratorINSA_10device_ptrIiEEEEPS6_NSA_18transform_iteratorINSA_8identityIiEESF_NSA_11use_defaultESK_EENS0_5tupleIJSF_SF_EEENSM_IJSG_SG_EEES6_PlJS6_EEE10hipError_tPvRmT3_T4_T5_T6_T7_T9_mT8_P12ihipStream_tbDpT10_ENKUlT_T0_E_clISt17integral_constantIbLb1EES18_IbLb0EEEEDaS14_S15_EUlS14_E_NS1_11comp_targetILNS1_3genE8ELNS1_11target_archE1030ELNS1_3gpuE2ELNS1_3repE0EEENS1_30default_config_static_selectorELNS0_4arch9wavefront6targetE1EEEvT1_
                                        ; -- End function
	.section	.AMDGPU.csdata,"",@progbits
; Kernel info:
; codeLenInByte = 0
; NumSgprs: 4
; NumVgprs: 0
; NumAgprs: 0
; TotalNumVgprs: 0
; ScratchSize: 0
; MemoryBound: 0
; FloatMode: 240
; IeeeMode: 1
; LDSByteSize: 0 bytes/workgroup (compile time only)
; SGPRBlocks: 0
; VGPRBlocks: 0
; NumSGPRsForWavesPerEU: 4
; NumVGPRsForWavesPerEU: 1
; AccumOffset: 4
; Occupancy: 8
; WaveLimiterHint : 0
; COMPUTE_PGM_RSRC2:SCRATCH_EN: 0
; COMPUTE_PGM_RSRC2:USER_SGPR: 6
; COMPUTE_PGM_RSRC2:TRAP_HANDLER: 0
; COMPUTE_PGM_RSRC2:TGID_X_EN: 1
; COMPUTE_PGM_RSRC2:TGID_Y_EN: 0
; COMPUTE_PGM_RSRC2:TGID_Z_EN: 0
; COMPUTE_PGM_RSRC2:TIDIG_COMP_CNT: 0
; COMPUTE_PGM_RSRC3_GFX90A:ACCUM_OFFSET: 0
; COMPUTE_PGM_RSRC3_GFX90A:TG_SPLIT: 0
	.section	.text._ZN7rocprim17ROCPRIM_400000_NS6detail17trampoline_kernelINS0_14default_configENS1_25partition_config_selectorILNS1_17partition_subalgoE1EiNS0_10empty_typeEbEEZZNS1_14partition_implILS5_1ELb0ES3_jN6thrust23THRUST_200600_302600_NS6detail15normal_iteratorINSA_10device_ptrIiEEEEPS6_NSA_18transform_iteratorINSA_8identityIiEESF_NSA_11use_defaultESK_EENS0_5tupleIJSF_SF_EEENSM_IJSG_SG_EEES6_PlJS6_EEE10hipError_tPvRmT3_T4_T5_T6_T7_T9_mT8_P12ihipStream_tbDpT10_ENKUlT_T0_E_clISt17integral_constantIbLb0EES18_IbLb1EEEEDaS14_S15_EUlS14_E_NS1_11comp_targetILNS1_3genE0ELNS1_11target_archE4294967295ELNS1_3gpuE0ELNS1_3repE0EEENS1_30default_config_static_selectorELNS0_4arch9wavefront6targetE1EEEvT1_,"axG",@progbits,_ZN7rocprim17ROCPRIM_400000_NS6detail17trampoline_kernelINS0_14default_configENS1_25partition_config_selectorILNS1_17partition_subalgoE1EiNS0_10empty_typeEbEEZZNS1_14partition_implILS5_1ELb0ES3_jN6thrust23THRUST_200600_302600_NS6detail15normal_iteratorINSA_10device_ptrIiEEEEPS6_NSA_18transform_iteratorINSA_8identityIiEESF_NSA_11use_defaultESK_EENS0_5tupleIJSF_SF_EEENSM_IJSG_SG_EEES6_PlJS6_EEE10hipError_tPvRmT3_T4_T5_T6_T7_T9_mT8_P12ihipStream_tbDpT10_ENKUlT_T0_E_clISt17integral_constantIbLb0EES18_IbLb1EEEEDaS14_S15_EUlS14_E_NS1_11comp_targetILNS1_3genE0ELNS1_11target_archE4294967295ELNS1_3gpuE0ELNS1_3repE0EEENS1_30default_config_static_selectorELNS0_4arch9wavefront6targetE1EEEvT1_,comdat
	.protected	_ZN7rocprim17ROCPRIM_400000_NS6detail17trampoline_kernelINS0_14default_configENS1_25partition_config_selectorILNS1_17partition_subalgoE1EiNS0_10empty_typeEbEEZZNS1_14partition_implILS5_1ELb0ES3_jN6thrust23THRUST_200600_302600_NS6detail15normal_iteratorINSA_10device_ptrIiEEEEPS6_NSA_18transform_iteratorINSA_8identityIiEESF_NSA_11use_defaultESK_EENS0_5tupleIJSF_SF_EEENSM_IJSG_SG_EEES6_PlJS6_EEE10hipError_tPvRmT3_T4_T5_T6_T7_T9_mT8_P12ihipStream_tbDpT10_ENKUlT_T0_E_clISt17integral_constantIbLb0EES18_IbLb1EEEEDaS14_S15_EUlS14_E_NS1_11comp_targetILNS1_3genE0ELNS1_11target_archE4294967295ELNS1_3gpuE0ELNS1_3repE0EEENS1_30default_config_static_selectorELNS0_4arch9wavefront6targetE1EEEvT1_ ; -- Begin function _ZN7rocprim17ROCPRIM_400000_NS6detail17trampoline_kernelINS0_14default_configENS1_25partition_config_selectorILNS1_17partition_subalgoE1EiNS0_10empty_typeEbEEZZNS1_14partition_implILS5_1ELb0ES3_jN6thrust23THRUST_200600_302600_NS6detail15normal_iteratorINSA_10device_ptrIiEEEEPS6_NSA_18transform_iteratorINSA_8identityIiEESF_NSA_11use_defaultESK_EENS0_5tupleIJSF_SF_EEENSM_IJSG_SG_EEES6_PlJS6_EEE10hipError_tPvRmT3_T4_T5_T6_T7_T9_mT8_P12ihipStream_tbDpT10_ENKUlT_T0_E_clISt17integral_constantIbLb0EES18_IbLb1EEEEDaS14_S15_EUlS14_E_NS1_11comp_targetILNS1_3genE0ELNS1_11target_archE4294967295ELNS1_3gpuE0ELNS1_3repE0EEENS1_30default_config_static_selectorELNS0_4arch9wavefront6targetE1EEEvT1_
	.globl	_ZN7rocprim17ROCPRIM_400000_NS6detail17trampoline_kernelINS0_14default_configENS1_25partition_config_selectorILNS1_17partition_subalgoE1EiNS0_10empty_typeEbEEZZNS1_14partition_implILS5_1ELb0ES3_jN6thrust23THRUST_200600_302600_NS6detail15normal_iteratorINSA_10device_ptrIiEEEEPS6_NSA_18transform_iteratorINSA_8identityIiEESF_NSA_11use_defaultESK_EENS0_5tupleIJSF_SF_EEENSM_IJSG_SG_EEES6_PlJS6_EEE10hipError_tPvRmT3_T4_T5_T6_T7_T9_mT8_P12ihipStream_tbDpT10_ENKUlT_T0_E_clISt17integral_constantIbLb0EES18_IbLb1EEEEDaS14_S15_EUlS14_E_NS1_11comp_targetILNS1_3genE0ELNS1_11target_archE4294967295ELNS1_3gpuE0ELNS1_3repE0EEENS1_30default_config_static_selectorELNS0_4arch9wavefront6targetE1EEEvT1_
	.p2align	8
	.type	_ZN7rocprim17ROCPRIM_400000_NS6detail17trampoline_kernelINS0_14default_configENS1_25partition_config_selectorILNS1_17partition_subalgoE1EiNS0_10empty_typeEbEEZZNS1_14partition_implILS5_1ELb0ES3_jN6thrust23THRUST_200600_302600_NS6detail15normal_iteratorINSA_10device_ptrIiEEEEPS6_NSA_18transform_iteratorINSA_8identityIiEESF_NSA_11use_defaultESK_EENS0_5tupleIJSF_SF_EEENSM_IJSG_SG_EEES6_PlJS6_EEE10hipError_tPvRmT3_T4_T5_T6_T7_T9_mT8_P12ihipStream_tbDpT10_ENKUlT_T0_E_clISt17integral_constantIbLb0EES18_IbLb1EEEEDaS14_S15_EUlS14_E_NS1_11comp_targetILNS1_3genE0ELNS1_11target_archE4294967295ELNS1_3gpuE0ELNS1_3repE0EEENS1_30default_config_static_selectorELNS0_4arch9wavefront6targetE1EEEvT1_,@function
_ZN7rocprim17ROCPRIM_400000_NS6detail17trampoline_kernelINS0_14default_configENS1_25partition_config_selectorILNS1_17partition_subalgoE1EiNS0_10empty_typeEbEEZZNS1_14partition_implILS5_1ELb0ES3_jN6thrust23THRUST_200600_302600_NS6detail15normal_iteratorINSA_10device_ptrIiEEEEPS6_NSA_18transform_iteratorINSA_8identityIiEESF_NSA_11use_defaultESK_EENS0_5tupleIJSF_SF_EEENSM_IJSG_SG_EEES6_PlJS6_EEE10hipError_tPvRmT3_T4_T5_T6_T7_T9_mT8_P12ihipStream_tbDpT10_ENKUlT_T0_E_clISt17integral_constantIbLb0EES18_IbLb1EEEEDaS14_S15_EUlS14_E_NS1_11comp_targetILNS1_3genE0ELNS1_11target_archE4294967295ELNS1_3gpuE0ELNS1_3repE0EEENS1_30default_config_static_selectorELNS0_4arch9wavefront6targetE1EEEvT1_: ; @_ZN7rocprim17ROCPRIM_400000_NS6detail17trampoline_kernelINS0_14default_configENS1_25partition_config_selectorILNS1_17partition_subalgoE1EiNS0_10empty_typeEbEEZZNS1_14partition_implILS5_1ELb0ES3_jN6thrust23THRUST_200600_302600_NS6detail15normal_iteratorINSA_10device_ptrIiEEEEPS6_NSA_18transform_iteratorINSA_8identityIiEESF_NSA_11use_defaultESK_EENS0_5tupleIJSF_SF_EEENSM_IJSG_SG_EEES6_PlJS6_EEE10hipError_tPvRmT3_T4_T5_T6_T7_T9_mT8_P12ihipStream_tbDpT10_ENKUlT_T0_E_clISt17integral_constantIbLb0EES18_IbLb1EEEEDaS14_S15_EUlS14_E_NS1_11comp_targetILNS1_3genE0ELNS1_11target_archE4294967295ELNS1_3gpuE0ELNS1_3repE0EEENS1_30default_config_static_selectorELNS0_4arch9wavefront6targetE1EEEvT1_
; %bb.0:
	.section	.rodata,"a",@progbits
	.p2align	6, 0x0
	.amdhsa_kernel _ZN7rocprim17ROCPRIM_400000_NS6detail17trampoline_kernelINS0_14default_configENS1_25partition_config_selectorILNS1_17partition_subalgoE1EiNS0_10empty_typeEbEEZZNS1_14partition_implILS5_1ELb0ES3_jN6thrust23THRUST_200600_302600_NS6detail15normal_iteratorINSA_10device_ptrIiEEEEPS6_NSA_18transform_iteratorINSA_8identityIiEESF_NSA_11use_defaultESK_EENS0_5tupleIJSF_SF_EEENSM_IJSG_SG_EEES6_PlJS6_EEE10hipError_tPvRmT3_T4_T5_T6_T7_T9_mT8_P12ihipStream_tbDpT10_ENKUlT_T0_E_clISt17integral_constantIbLb0EES18_IbLb1EEEEDaS14_S15_EUlS14_E_NS1_11comp_targetILNS1_3genE0ELNS1_11target_archE4294967295ELNS1_3gpuE0ELNS1_3repE0EEENS1_30default_config_static_selectorELNS0_4arch9wavefront6targetE1EEEvT1_
		.amdhsa_group_segment_fixed_size 0
		.amdhsa_private_segment_fixed_size 0
		.amdhsa_kernarg_size 144
		.amdhsa_user_sgpr_count 6
		.amdhsa_user_sgpr_private_segment_buffer 1
		.amdhsa_user_sgpr_dispatch_ptr 0
		.amdhsa_user_sgpr_queue_ptr 0
		.amdhsa_user_sgpr_kernarg_segment_ptr 1
		.amdhsa_user_sgpr_dispatch_id 0
		.amdhsa_user_sgpr_flat_scratch_init 0
		.amdhsa_user_sgpr_kernarg_preload_length 0
		.amdhsa_user_sgpr_kernarg_preload_offset 0
		.amdhsa_user_sgpr_private_segment_size 0
		.amdhsa_uses_dynamic_stack 0
		.amdhsa_system_sgpr_private_segment_wavefront_offset 0
		.amdhsa_system_sgpr_workgroup_id_x 1
		.amdhsa_system_sgpr_workgroup_id_y 0
		.amdhsa_system_sgpr_workgroup_id_z 0
		.amdhsa_system_sgpr_workgroup_info 0
		.amdhsa_system_vgpr_workitem_id 0
		.amdhsa_next_free_vgpr 1
		.amdhsa_next_free_sgpr 0
		.amdhsa_accum_offset 4
		.amdhsa_reserve_vcc 0
		.amdhsa_reserve_flat_scratch 0
		.amdhsa_float_round_mode_32 0
		.amdhsa_float_round_mode_16_64 0
		.amdhsa_float_denorm_mode_32 3
		.amdhsa_float_denorm_mode_16_64 3
		.amdhsa_dx10_clamp 1
		.amdhsa_ieee_mode 1
		.amdhsa_fp16_overflow 0
		.amdhsa_tg_split 0
		.amdhsa_exception_fp_ieee_invalid_op 0
		.amdhsa_exception_fp_denorm_src 0
		.amdhsa_exception_fp_ieee_div_zero 0
		.amdhsa_exception_fp_ieee_overflow 0
		.amdhsa_exception_fp_ieee_underflow 0
		.amdhsa_exception_fp_ieee_inexact 0
		.amdhsa_exception_int_div_zero 0
	.end_amdhsa_kernel
	.section	.text._ZN7rocprim17ROCPRIM_400000_NS6detail17trampoline_kernelINS0_14default_configENS1_25partition_config_selectorILNS1_17partition_subalgoE1EiNS0_10empty_typeEbEEZZNS1_14partition_implILS5_1ELb0ES3_jN6thrust23THRUST_200600_302600_NS6detail15normal_iteratorINSA_10device_ptrIiEEEEPS6_NSA_18transform_iteratorINSA_8identityIiEESF_NSA_11use_defaultESK_EENS0_5tupleIJSF_SF_EEENSM_IJSG_SG_EEES6_PlJS6_EEE10hipError_tPvRmT3_T4_T5_T6_T7_T9_mT8_P12ihipStream_tbDpT10_ENKUlT_T0_E_clISt17integral_constantIbLb0EES18_IbLb1EEEEDaS14_S15_EUlS14_E_NS1_11comp_targetILNS1_3genE0ELNS1_11target_archE4294967295ELNS1_3gpuE0ELNS1_3repE0EEENS1_30default_config_static_selectorELNS0_4arch9wavefront6targetE1EEEvT1_,"axG",@progbits,_ZN7rocprim17ROCPRIM_400000_NS6detail17trampoline_kernelINS0_14default_configENS1_25partition_config_selectorILNS1_17partition_subalgoE1EiNS0_10empty_typeEbEEZZNS1_14partition_implILS5_1ELb0ES3_jN6thrust23THRUST_200600_302600_NS6detail15normal_iteratorINSA_10device_ptrIiEEEEPS6_NSA_18transform_iteratorINSA_8identityIiEESF_NSA_11use_defaultESK_EENS0_5tupleIJSF_SF_EEENSM_IJSG_SG_EEES6_PlJS6_EEE10hipError_tPvRmT3_T4_T5_T6_T7_T9_mT8_P12ihipStream_tbDpT10_ENKUlT_T0_E_clISt17integral_constantIbLb0EES18_IbLb1EEEEDaS14_S15_EUlS14_E_NS1_11comp_targetILNS1_3genE0ELNS1_11target_archE4294967295ELNS1_3gpuE0ELNS1_3repE0EEENS1_30default_config_static_selectorELNS0_4arch9wavefront6targetE1EEEvT1_,comdat
.Lfunc_end633:
	.size	_ZN7rocprim17ROCPRIM_400000_NS6detail17trampoline_kernelINS0_14default_configENS1_25partition_config_selectorILNS1_17partition_subalgoE1EiNS0_10empty_typeEbEEZZNS1_14partition_implILS5_1ELb0ES3_jN6thrust23THRUST_200600_302600_NS6detail15normal_iteratorINSA_10device_ptrIiEEEEPS6_NSA_18transform_iteratorINSA_8identityIiEESF_NSA_11use_defaultESK_EENS0_5tupleIJSF_SF_EEENSM_IJSG_SG_EEES6_PlJS6_EEE10hipError_tPvRmT3_T4_T5_T6_T7_T9_mT8_P12ihipStream_tbDpT10_ENKUlT_T0_E_clISt17integral_constantIbLb0EES18_IbLb1EEEEDaS14_S15_EUlS14_E_NS1_11comp_targetILNS1_3genE0ELNS1_11target_archE4294967295ELNS1_3gpuE0ELNS1_3repE0EEENS1_30default_config_static_selectorELNS0_4arch9wavefront6targetE1EEEvT1_, .Lfunc_end633-_ZN7rocprim17ROCPRIM_400000_NS6detail17trampoline_kernelINS0_14default_configENS1_25partition_config_selectorILNS1_17partition_subalgoE1EiNS0_10empty_typeEbEEZZNS1_14partition_implILS5_1ELb0ES3_jN6thrust23THRUST_200600_302600_NS6detail15normal_iteratorINSA_10device_ptrIiEEEEPS6_NSA_18transform_iteratorINSA_8identityIiEESF_NSA_11use_defaultESK_EENS0_5tupleIJSF_SF_EEENSM_IJSG_SG_EEES6_PlJS6_EEE10hipError_tPvRmT3_T4_T5_T6_T7_T9_mT8_P12ihipStream_tbDpT10_ENKUlT_T0_E_clISt17integral_constantIbLb0EES18_IbLb1EEEEDaS14_S15_EUlS14_E_NS1_11comp_targetILNS1_3genE0ELNS1_11target_archE4294967295ELNS1_3gpuE0ELNS1_3repE0EEENS1_30default_config_static_selectorELNS0_4arch9wavefront6targetE1EEEvT1_
                                        ; -- End function
	.section	.AMDGPU.csdata,"",@progbits
; Kernel info:
; codeLenInByte = 0
; NumSgprs: 4
; NumVgprs: 0
; NumAgprs: 0
; TotalNumVgprs: 0
; ScratchSize: 0
; MemoryBound: 0
; FloatMode: 240
; IeeeMode: 1
; LDSByteSize: 0 bytes/workgroup (compile time only)
; SGPRBlocks: 0
; VGPRBlocks: 0
; NumSGPRsForWavesPerEU: 4
; NumVGPRsForWavesPerEU: 1
; AccumOffset: 4
; Occupancy: 8
; WaveLimiterHint : 0
; COMPUTE_PGM_RSRC2:SCRATCH_EN: 0
; COMPUTE_PGM_RSRC2:USER_SGPR: 6
; COMPUTE_PGM_RSRC2:TRAP_HANDLER: 0
; COMPUTE_PGM_RSRC2:TGID_X_EN: 1
; COMPUTE_PGM_RSRC2:TGID_Y_EN: 0
; COMPUTE_PGM_RSRC2:TGID_Z_EN: 0
; COMPUTE_PGM_RSRC2:TIDIG_COMP_CNT: 0
; COMPUTE_PGM_RSRC3_GFX90A:ACCUM_OFFSET: 0
; COMPUTE_PGM_RSRC3_GFX90A:TG_SPLIT: 0
	.section	.text._ZN7rocprim17ROCPRIM_400000_NS6detail17trampoline_kernelINS0_14default_configENS1_25partition_config_selectorILNS1_17partition_subalgoE1EiNS0_10empty_typeEbEEZZNS1_14partition_implILS5_1ELb0ES3_jN6thrust23THRUST_200600_302600_NS6detail15normal_iteratorINSA_10device_ptrIiEEEEPS6_NSA_18transform_iteratorINSA_8identityIiEESF_NSA_11use_defaultESK_EENS0_5tupleIJSF_SF_EEENSM_IJSG_SG_EEES6_PlJS6_EEE10hipError_tPvRmT3_T4_T5_T6_T7_T9_mT8_P12ihipStream_tbDpT10_ENKUlT_T0_E_clISt17integral_constantIbLb0EES18_IbLb1EEEEDaS14_S15_EUlS14_E_NS1_11comp_targetILNS1_3genE5ELNS1_11target_archE942ELNS1_3gpuE9ELNS1_3repE0EEENS1_30default_config_static_selectorELNS0_4arch9wavefront6targetE1EEEvT1_,"axG",@progbits,_ZN7rocprim17ROCPRIM_400000_NS6detail17trampoline_kernelINS0_14default_configENS1_25partition_config_selectorILNS1_17partition_subalgoE1EiNS0_10empty_typeEbEEZZNS1_14partition_implILS5_1ELb0ES3_jN6thrust23THRUST_200600_302600_NS6detail15normal_iteratorINSA_10device_ptrIiEEEEPS6_NSA_18transform_iteratorINSA_8identityIiEESF_NSA_11use_defaultESK_EENS0_5tupleIJSF_SF_EEENSM_IJSG_SG_EEES6_PlJS6_EEE10hipError_tPvRmT3_T4_T5_T6_T7_T9_mT8_P12ihipStream_tbDpT10_ENKUlT_T0_E_clISt17integral_constantIbLb0EES18_IbLb1EEEEDaS14_S15_EUlS14_E_NS1_11comp_targetILNS1_3genE5ELNS1_11target_archE942ELNS1_3gpuE9ELNS1_3repE0EEENS1_30default_config_static_selectorELNS0_4arch9wavefront6targetE1EEEvT1_,comdat
	.protected	_ZN7rocprim17ROCPRIM_400000_NS6detail17trampoline_kernelINS0_14default_configENS1_25partition_config_selectorILNS1_17partition_subalgoE1EiNS0_10empty_typeEbEEZZNS1_14partition_implILS5_1ELb0ES3_jN6thrust23THRUST_200600_302600_NS6detail15normal_iteratorINSA_10device_ptrIiEEEEPS6_NSA_18transform_iteratorINSA_8identityIiEESF_NSA_11use_defaultESK_EENS0_5tupleIJSF_SF_EEENSM_IJSG_SG_EEES6_PlJS6_EEE10hipError_tPvRmT3_T4_T5_T6_T7_T9_mT8_P12ihipStream_tbDpT10_ENKUlT_T0_E_clISt17integral_constantIbLb0EES18_IbLb1EEEEDaS14_S15_EUlS14_E_NS1_11comp_targetILNS1_3genE5ELNS1_11target_archE942ELNS1_3gpuE9ELNS1_3repE0EEENS1_30default_config_static_selectorELNS0_4arch9wavefront6targetE1EEEvT1_ ; -- Begin function _ZN7rocprim17ROCPRIM_400000_NS6detail17trampoline_kernelINS0_14default_configENS1_25partition_config_selectorILNS1_17partition_subalgoE1EiNS0_10empty_typeEbEEZZNS1_14partition_implILS5_1ELb0ES3_jN6thrust23THRUST_200600_302600_NS6detail15normal_iteratorINSA_10device_ptrIiEEEEPS6_NSA_18transform_iteratorINSA_8identityIiEESF_NSA_11use_defaultESK_EENS0_5tupleIJSF_SF_EEENSM_IJSG_SG_EEES6_PlJS6_EEE10hipError_tPvRmT3_T4_T5_T6_T7_T9_mT8_P12ihipStream_tbDpT10_ENKUlT_T0_E_clISt17integral_constantIbLb0EES18_IbLb1EEEEDaS14_S15_EUlS14_E_NS1_11comp_targetILNS1_3genE5ELNS1_11target_archE942ELNS1_3gpuE9ELNS1_3repE0EEENS1_30default_config_static_selectorELNS0_4arch9wavefront6targetE1EEEvT1_
	.globl	_ZN7rocprim17ROCPRIM_400000_NS6detail17trampoline_kernelINS0_14default_configENS1_25partition_config_selectorILNS1_17partition_subalgoE1EiNS0_10empty_typeEbEEZZNS1_14partition_implILS5_1ELb0ES3_jN6thrust23THRUST_200600_302600_NS6detail15normal_iteratorINSA_10device_ptrIiEEEEPS6_NSA_18transform_iteratorINSA_8identityIiEESF_NSA_11use_defaultESK_EENS0_5tupleIJSF_SF_EEENSM_IJSG_SG_EEES6_PlJS6_EEE10hipError_tPvRmT3_T4_T5_T6_T7_T9_mT8_P12ihipStream_tbDpT10_ENKUlT_T0_E_clISt17integral_constantIbLb0EES18_IbLb1EEEEDaS14_S15_EUlS14_E_NS1_11comp_targetILNS1_3genE5ELNS1_11target_archE942ELNS1_3gpuE9ELNS1_3repE0EEENS1_30default_config_static_selectorELNS0_4arch9wavefront6targetE1EEEvT1_
	.p2align	8
	.type	_ZN7rocprim17ROCPRIM_400000_NS6detail17trampoline_kernelINS0_14default_configENS1_25partition_config_selectorILNS1_17partition_subalgoE1EiNS0_10empty_typeEbEEZZNS1_14partition_implILS5_1ELb0ES3_jN6thrust23THRUST_200600_302600_NS6detail15normal_iteratorINSA_10device_ptrIiEEEEPS6_NSA_18transform_iteratorINSA_8identityIiEESF_NSA_11use_defaultESK_EENS0_5tupleIJSF_SF_EEENSM_IJSG_SG_EEES6_PlJS6_EEE10hipError_tPvRmT3_T4_T5_T6_T7_T9_mT8_P12ihipStream_tbDpT10_ENKUlT_T0_E_clISt17integral_constantIbLb0EES18_IbLb1EEEEDaS14_S15_EUlS14_E_NS1_11comp_targetILNS1_3genE5ELNS1_11target_archE942ELNS1_3gpuE9ELNS1_3repE0EEENS1_30default_config_static_selectorELNS0_4arch9wavefront6targetE1EEEvT1_,@function
_ZN7rocprim17ROCPRIM_400000_NS6detail17trampoline_kernelINS0_14default_configENS1_25partition_config_selectorILNS1_17partition_subalgoE1EiNS0_10empty_typeEbEEZZNS1_14partition_implILS5_1ELb0ES3_jN6thrust23THRUST_200600_302600_NS6detail15normal_iteratorINSA_10device_ptrIiEEEEPS6_NSA_18transform_iteratorINSA_8identityIiEESF_NSA_11use_defaultESK_EENS0_5tupleIJSF_SF_EEENSM_IJSG_SG_EEES6_PlJS6_EEE10hipError_tPvRmT3_T4_T5_T6_T7_T9_mT8_P12ihipStream_tbDpT10_ENKUlT_T0_E_clISt17integral_constantIbLb0EES18_IbLb1EEEEDaS14_S15_EUlS14_E_NS1_11comp_targetILNS1_3genE5ELNS1_11target_archE942ELNS1_3gpuE9ELNS1_3repE0EEENS1_30default_config_static_selectorELNS0_4arch9wavefront6targetE1EEEvT1_: ; @_ZN7rocprim17ROCPRIM_400000_NS6detail17trampoline_kernelINS0_14default_configENS1_25partition_config_selectorILNS1_17partition_subalgoE1EiNS0_10empty_typeEbEEZZNS1_14partition_implILS5_1ELb0ES3_jN6thrust23THRUST_200600_302600_NS6detail15normal_iteratorINSA_10device_ptrIiEEEEPS6_NSA_18transform_iteratorINSA_8identityIiEESF_NSA_11use_defaultESK_EENS0_5tupleIJSF_SF_EEENSM_IJSG_SG_EEES6_PlJS6_EEE10hipError_tPvRmT3_T4_T5_T6_T7_T9_mT8_P12ihipStream_tbDpT10_ENKUlT_T0_E_clISt17integral_constantIbLb0EES18_IbLb1EEEEDaS14_S15_EUlS14_E_NS1_11comp_targetILNS1_3genE5ELNS1_11target_archE942ELNS1_3gpuE9ELNS1_3repE0EEENS1_30default_config_static_selectorELNS0_4arch9wavefront6targetE1EEEvT1_
; %bb.0:
	.section	.rodata,"a",@progbits
	.p2align	6, 0x0
	.amdhsa_kernel _ZN7rocprim17ROCPRIM_400000_NS6detail17trampoline_kernelINS0_14default_configENS1_25partition_config_selectorILNS1_17partition_subalgoE1EiNS0_10empty_typeEbEEZZNS1_14partition_implILS5_1ELb0ES3_jN6thrust23THRUST_200600_302600_NS6detail15normal_iteratorINSA_10device_ptrIiEEEEPS6_NSA_18transform_iteratorINSA_8identityIiEESF_NSA_11use_defaultESK_EENS0_5tupleIJSF_SF_EEENSM_IJSG_SG_EEES6_PlJS6_EEE10hipError_tPvRmT3_T4_T5_T6_T7_T9_mT8_P12ihipStream_tbDpT10_ENKUlT_T0_E_clISt17integral_constantIbLb0EES18_IbLb1EEEEDaS14_S15_EUlS14_E_NS1_11comp_targetILNS1_3genE5ELNS1_11target_archE942ELNS1_3gpuE9ELNS1_3repE0EEENS1_30default_config_static_selectorELNS0_4arch9wavefront6targetE1EEEvT1_
		.amdhsa_group_segment_fixed_size 0
		.amdhsa_private_segment_fixed_size 0
		.amdhsa_kernarg_size 144
		.amdhsa_user_sgpr_count 6
		.amdhsa_user_sgpr_private_segment_buffer 1
		.amdhsa_user_sgpr_dispatch_ptr 0
		.amdhsa_user_sgpr_queue_ptr 0
		.amdhsa_user_sgpr_kernarg_segment_ptr 1
		.amdhsa_user_sgpr_dispatch_id 0
		.amdhsa_user_sgpr_flat_scratch_init 0
		.amdhsa_user_sgpr_kernarg_preload_length 0
		.amdhsa_user_sgpr_kernarg_preload_offset 0
		.amdhsa_user_sgpr_private_segment_size 0
		.amdhsa_uses_dynamic_stack 0
		.amdhsa_system_sgpr_private_segment_wavefront_offset 0
		.amdhsa_system_sgpr_workgroup_id_x 1
		.amdhsa_system_sgpr_workgroup_id_y 0
		.amdhsa_system_sgpr_workgroup_id_z 0
		.amdhsa_system_sgpr_workgroup_info 0
		.amdhsa_system_vgpr_workitem_id 0
		.amdhsa_next_free_vgpr 1
		.amdhsa_next_free_sgpr 0
		.amdhsa_accum_offset 4
		.amdhsa_reserve_vcc 0
		.amdhsa_reserve_flat_scratch 0
		.amdhsa_float_round_mode_32 0
		.amdhsa_float_round_mode_16_64 0
		.amdhsa_float_denorm_mode_32 3
		.amdhsa_float_denorm_mode_16_64 3
		.amdhsa_dx10_clamp 1
		.amdhsa_ieee_mode 1
		.amdhsa_fp16_overflow 0
		.amdhsa_tg_split 0
		.amdhsa_exception_fp_ieee_invalid_op 0
		.amdhsa_exception_fp_denorm_src 0
		.amdhsa_exception_fp_ieee_div_zero 0
		.amdhsa_exception_fp_ieee_overflow 0
		.amdhsa_exception_fp_ieee_underflow 0
		.amdhsa_exception_fp_ieee_inexact 0
		.amdhsa_exception_int_div_zero 0
	.end_amdhsa_kernel
	.section	.text._ZN7rocprim17ROCPRIM_400000_NS6detail17trampoline_kernelINS0_14default_configENS1_25partition_config_selectorILNS1_17partition_subalgoE1EiNS0_10empty_typeEbEEZZNS1_14partition_implILS5_1ELb0ES3_jN6thrust23THRUST_200600_302600_NS6detail15normal_iteratorINSA_10device_ptrIiEEEEPS6_NSA_18transform_iteratorINSA_8identityIiEESF_NSA_11use_defaultESK_EENS0_5tupleIJSF_SF_EEENSM_IJSG_SG_EEES6_PlJS6_EEE10hipError_tPvRmT3_T4_T5_T6_T7_T9_mT8_P12ihipStream_tbDpT10_ENKUlT_T0_E_clISt17integral_constantIbLb0EES18_IbLb1EEEEDaS14_S15_EUlS14_E_NS1_11comp_targetILNS1_3genE5ELNS1_11target_archE942ELNS1_3gpuE9ELNS1_3repE0EEENS1_30default_config_static_selectorELNS0_4arch9wavefront6targetE1EEEvT1_,"axG",@progbits,_ZN7rocprim17ROCPRIM_400000_NS6detail17trampoline_kernelINS0_14default_configENS1_25partition_config_selectorILNS1_17partition_subalgoE1EiNS0_10empty_typeEbEEZZNS1_14partition_implILS5_1ELb0ES3_jN6thrust23THRUST_200600_302600_NS6detail15normal_iteratorINSA_10device_ptrIiEEEEPS6_NSA_18transform_iteratorINSA_8identityIiEESF_NSA_11use_defaultESK_EENS0_5tupleIJSF_SF_EEENSM_IJSG_SG_EEES6_PlJS6_EEE10hipError_tPvRmT3_T4_T5_T6_T7_T9_mT8_P12ihipStream_tbDpT10_ENKUlT_T0_E_clISt17integral_constantIbLb0EES18_IbLb1EEEEDaS14_S15_EUlS14_E_NS1_11comp_targetILNS1_3genE5ELNS1_11target_archE942ELNS1_3gpuE9ELNS1_3repE0EEENS1_30default_config_static_selectorELNS0_4arch9wavefront6targetE1EEEvT1_,comdat
.Lfunc_end634:
	.size	_ZN7rocprim17ROCPRIM_400000_NS6detail17trampoline_kernelINS0_14default_configENS1_25partition_config_selectorILNS1_17partition_subalgoE1EiNS0_10empty_typeEbEEZZNS1_14partition_implILS5_1ELb0ES3_jN6thrust23THRUST_200600_302600_NS6detail15normal_iteratorINSA_10device_ptrIiEEEEPS6_NSA_18transform_iteratorINSA_8identityIiEESF_NSA_11use_defaultESK_EENS0_5tupleIJSF_SF_EEENSM_IJSG_SG_EEES6_PlJS6_EEE10hipError_tPvRmT3_T4_T5_T6_T7_T9_mT8_P12ihipStream_tbDpT10_ENKUlT_T0_E_clISt17integral_constantIbLb0EES18_IbLb1EEEEDaS14_S15_EUlS14_E_NS1_11comp_targetILNS1_3genE5ELNS1_11target_archE942ELNS1_3gpuE9ELNS1_3repE0EEENS1_30default_config_static_selectorELNS0_4arch9wavefront6targetE1EEEvT1_, .Lfunc_end634-_ZN7rocprim17ROCPRIM_400000_NS6detail17trampoline_kernelINS0_14default_configENS1_25partition_config_selectorILNS1_17partition_subalgoE1EiNS0_10empty_typeEbEEZZNS1_14partition_implILS5_1ELb0ES3_jN6thrust23THRUST_200600_302600_NS6detail15normal_iteratorINSA_10device_ptrIiEEEEPS6_NSA_18transform_iteratorINSA_8identityIiEESF_NSA_11use_defaultESK_EENS0_5tupleIJSF_SF_EEENSM_IJSG_SG_EEES6_PlJS6_EEE10hipError_tPvRmT3_T4_T5_T6_T7_T9_mT8_P12ihipStream_tbDpT10_ENKUlT_T0_E_clISt17integral_constantIbLb0EES18_IbLb1EEEEDaS14_S15_EUlS14_E_NS1_11comp_targetILNS1_3genE5ELNS1_11target_archE942ELNS1_3gpuE9ELNS1_3repE0EEENS1_30default_config_static_selectorELNS0_4arch9wavefront6targetE1EEEvT1_
                                        ; -- End function
	.section	.AMDGPU.csdata,"",@progbits
; Kernel info:
; codeLenInByte = 0
; NumSgprs: 4
; NumVgprs: 0
; NumAgprs: 0
; TotalNumVgprs: 0
; ScratchSize: 0
; MemoryBound: 0
; FloatMode: 240
; IeeeMode: 1
; LDSByteSize: 0 bytes/workgroup (compile time only)
; SGPRBlocks: 0
; VGPRBlocks: 0
; NumSGPRsForWavesPerEU: 4
; NumVGPRsForWavesPerEU: 1
; AccumOffset: 4
; Occupancy: 8
; WaveLimiterHint : 0
; COMPUTE_PGM_RSRC2:SCRATCH_EN: 0
; COMPUTE_PGM_RSRC2:USER_SGPR: 6
; COMPUTE_PGM_RSRC2:TRAP_HANDLER: 0
; COMPUTE_PGM_RSRC2:TGID_X_EN: 1
; COMPUTE_PGM_RSRC2:TGID_Y_EN: 0
; COMPUTE_PGM_RSRC2:TGID_Z_EN: 0
; COMPUTE_PGM_RSRC2:TIDIG_COMP_CNT: 0
; COMPUTE_PGM_RSRC3_GFX90A:ACCUM_OFFSET: 0
; COMPUTE_PGM_RSRC3_GFX90A:TG_SPLIT: 0
	.section	.text._ZN7rocprim17ROCPRIM_400000_NS6detail17trampoline_kernelINS0_14default_configENS1_25partition_config_selectorILNS1_17partition_subalgoE1EiNS0_10empty_typeEbEEZZNS1_14partition_implILS5_1ELb0ES3_jN6thrust23THRUST_200600_302600_NS6detail15normal_iteratorINSA_10device_ptrIiEEEEPS6_NSA_18transform_iteratorINSA_8identityIiEESF_NSA_11use_defaultESK_EENS0_5tupleIJSF_SF_EEENSM_IJSG_SG_EEES6_PlJS6_EEE10hipError_tPvRmT3_T4_T5_T6_T7_T9_mT8_P12ihipStream_tbDpT10_ENKUlT_T0_E_clISt17integral_constantIbLb0EES18_IbLb1EEEEDaS14_S15_EUlS14_E_NS1_11comp_targetILNS1_3genE4ELNS1_11target_archE910ELNS1_3gpuE8ELNS1_3repE0EEENS1_30default_config_static_selectorELNS0_4arch9wavefront6targetE1EEEvT1_,"axG",@progbits,_ZN7rocprim17ROCPRIM_400000_NS6detail17trampoline_kernelINS0_14default_configENS1_25partition_config_selectorILNS1_17partition_subalgoE1EiNS0_10empty_typeEbEEZZNS1_14partition_implILS5_1ELb0ES3_jN6thrust23THRUST_200600_302600_NS6detail15normal_iteratorINSA_10device_ptrIiEEEEPS6_NSA_18transform_iteratorINSA_8identityIiEESF_NSA_11use_defaultESK_EENS0_5tupleIJSF_SF_EEENSM_IJSG_SG_EEES6_PlJS6_EEE10hipError_tPvRmT3_T4_T5_T6_T7_T9_mT8_P12ihipStream_tbDpT10_ENKUlT_T0_E_clISt17integral_constantIbLb0EES18_IbLb1EEEEDaS14_S15_EUlS14_E_NS1_11comp_targetILNS1_3genE4ELNS1_11target_archE910ELNS1_3gpuE8ELNS1_3repE0EEENS1_30default_config_static_selectorELNS0_4arch9wavefront6targetE1EEEvT1_,comdat
	.protected	_ZN7rocprim17ROCPRIM_400000_NS6detail17trampoline_kernelINS0_14default_configENS1_25partition_config_selectorILNS1_17partition_subalgoE1EiNS0_10empty_typeEbEEZZNS1_14partition_implILS5_1ELb0ES3_jN6thrust23THRUST_200600_302600_NS6detail15normal_iteratorINSA_10device_ptrIiEEEEPS6_NSA_18transform_iteratorINSA_8identityIiEESF_NSA_11use_defaultESK_EENS0_5tupleIJSF_SF_EEENSM_IJSG_SG_EEES6_PlJS6_EEE10hipError_tPvRmT3_T4_T5_T6_T7_T9_mT8_P12ihipStream_tbDpT10_ENKUlT_T0_E_clISt17integral_constantIbLb0EES18_IbLb1EEEEDaS14_S15_EUlS14_E_NS1_11comp_targetILNS1_3genE4ELNS1_11target_archE910ELNS1_3gpuE8ELNS1_3repE0EEENS1_30default_config_static_selectorELNS0_4arch9wavefront6targetE1EEEvT1_ ; -- Begin function _ZN7rocprim17ROCPRIM_400000_NS6detail17trampoline_kernelINS0_14default_configENS1_25partition_config_selectorILNS1_17partition_subalgoE1EiNS0_10empty_typeEbEEZZNS1_14partition_implILS5_1ELb0ES3_jN6thrust23THRUST_200600_302600_NS6detail15normal_iteratorINSA_10device_ptrIiEEEEPS6_NSA_18transform_iteratorINSA_8identityIiEESF_NSA_11use_defaultESK_EENS0_5tupleIJSF_SF_EEENSM_IJSG_SG_EEES6_PlJS6_EEE10hipError_tPvRmT3_T4_T5_T6_T7_T9_mT8_P12ihipStream_tbDpT10_ENKUlT_T0_E_clISt17integral_constantIbLb0EES18_IbLb1EEEEDaS14_S15_EUlS14_E_NS1_11comp_targetILNS1_3genE4ELNS1_11target_archE910ELNS1_3gpuE8ELNS1_3repE0EEENS1_30default_config_static_selectorELNS0_4arch9wavefront6targetE1EEEvT1_
	.globl	_ZN7rocprim17ROCPRIM_400000_NS6detail17trampoline_kernelINS0_14default_configENS1_25partition_config_selectorILNS1_17partition_subalgoE1EiNS0_10empty_typeEbEEZZNS1_14partition_implILS5_1ELb0ES3_jN6thrust23THRUST_200600_302600_NS6detail15normal_iteratorINSA_10device_ptrIiEEEEPS6_NSA_18transform_iteratorINSA_8identityIiEESF_NSA_11use_defaultESK_EENS0_5tupleIJSF_SF_EEENSM_IJSG_SG_EEES6_PlJS6_EEE10hipError_tPvRmT3_T4_T5_T6_T7_T9_mT8_P12ihipStream_tbDpT10_ENKUlT_T0_E_clISt17integral_constantIbLb0EES18_IbLb1EEEEDaS14_S15_EUlS14_E_NS1_11comp_targetILNS1_3genE4ELNS1_11target_archE910ELNS1_3gpuE8ELNS1_3repE0EEENS1_30default_config_static_selectorELNS0_4arch9wavefront6targetE1EEEvT1_
	.p2align	8
	.type	_ZN7rocprim17ROCPRIM_400000_NS6detail17trampoline_kernelINS0_14default_configENS1_25partition_config_selectorILNS1_17partition_subalgoE1EiNS0_10empty_typeEbEEZZNS1_14partition_implILS5_1ELb0ES3_jN6thrust23THRUST_200600_302600_NS6detail15normal_iteratorINSA_10device_ptrIiEEEEPS6_NSA_18transform_iteratorINSA_8identityIiEESF_NSA_11use_defaultESK_EENS0_5tupleIJSF_SF_EEENSM_IJSG_SG_EEES6_PlJS6_EEE10hipError_tPvRmT3_T4_T5_T6_T7_T9_mT8_P12ihipStream_tbDpT10_ENKUlT_T0_E_clISt17integral_constantIbLb0EES18_IbLb1EEEEDaS14_S15_EUlS14_E_NS1_11comp_targetILNS1_3genE4ELNS1_11target_archE910ELNS1_3gpuE8ELNS1_3repE0EEENS1_30default_config_static_selectorELNS0_4arch9wavefront6targetE1EEEvT1_,@function
_ZN7rocprim17ROCPRIM_400000_NS6detail17trampoline_kernelINS0_14default_configENS1_25partition_config_selectorILNS1_17partition_subalgoE1EiNS0_10empty_typeEbEEZZNS1_14partition_implILS5_1ELb0ES3_jN6thrust23THRUST_200600_302600_NS6detail15normal_iteratorINSA_10device_ptrIiEEEEPS6_NSA_18transform_iteratorINSA_8identityIiEESF_NSA_11use_defaultESK_EENS0_5tupleIJSF_SF_EEENSM_IJSG_SG_EEES6_PlJS6_EEE10hipError_tPvRmT3_T4_T5_T6_T7_T9_mT8_P12ihipStream_tbDpT10_ENKUlT_T0_E_clISt17integral_constantIbLb0EES18_IbLb1EEEEDaS14_S15_EUlS14_E_NS1_11comp_targetILNS1_3genE4ELNS1_11target_archE910ELNS1_3gpuE8ELNS1_3repE0EEENS1_30default_config_static_selectorELNS0_4arch9wavefront6targetE1EEEvT1_: ; @_ZN7rocprim17ROCPRIM_400000_NS6detail17trampoline_kernelINS0_14default_configENS1_25partition_config_selectorILNS1_17partition_subalgoE1EiNS0_10empty_typeEbEEZZNS1_14partition_implILS5_1ELb0ES3_jN6thrust23THRUST_200600_302600_NS6detail15normal_iteratorINSA_10device_ptrIiEEEEPS6_NSA_18transform_iteratorINSA_8identityIiEESF_NSA_11use_defaultESK_EENS0_5tupleIJSF_SF_EEENSM_IJSG_SG_EEES6_PlJS6_EEE10hipError_tPvRmT3_T4_T5_T6_T7_T9_mT8_P12ihipStream_tbDpT10_ENKUlT_T0_E_clISt17integral_constantIbLb0EES18_IbLb1EEEEDaS14_S15_EUlS14_E_NS1_11comp_targetILNS1_3genE4ELNS1_11target_archE910ELNS1_3gpuE8ELNS1_3repE0EEENS1_30default_config_static_selectorELNS0_4arch9wavefront6targetE1EEEvT1_
; %bb.0:
	s_load_dwordx2 s[6:7], s[4:5], 0x20
	s_load_dwordx4 s[20:23], s[4:5], 0x50
	s_load_dwordx2 s[2:3], s[4:5], 0x60
	s_load_dwordx2 s[30:31], s[4:5], 0x70
	v_cmp_eq_u32_e64 s[0:1], 0, v0
	s_and_saveexec_b64 s[8:9], s[0:1]
	s_cbranch_execz .LBB635_4
; %bb.1:
	s_mov_b64 s[12:13], exec
	v_mbcnt_lo_u32_b32 v1, s12, 0
	v_mbcnt_hi_u32_b32 v1, s13, v1
	v_cmp_eq_u32_e32 vcc, 0, v1
                                        ; implicit-def: $vgpr2
	s_and_saveexec_b64 s[10:11], vcc
	s_cbranch_execz .LBB635_3
; %bb.2:
	s_load_dwordx2 s[14:15], s[4:5], 0x80
	s_bcnt1_i32_b64 s12, s[12:13]
	v_mov_b32_e32 v2, 0
	v_mov_b32_e32 v3, s12
	s_waitcnt lgkmcnt(0)
	global_atomic_add v2, v2, v3, s[14:15] glc
.LBB635_3:
	s_or_b64 exec, exec, s[10:11]
	s_waitcnt vmcnt(0)
	v_readfirstlane_b32 s10, v2
	v_add_u32_e32 v1, s10, v1
	v_mov_b32_e32 v2, 0
	ds_write_b32 v2, v1
.LBB635_4:
	s_or_b64 exec, exec, s[8:9]
	v_mov_b32_e32 v3, 0
	s_load_dwordx4 s[16:19], s[4:5], 0x8
	s_load_dwordx4 s[24:27], s[4:5], 0x30
	s_load_dword s8, s[4:5], 0x78
	s_waitcnt lgkmcnt(0)
	s_barrier
	ds_read_b32 v1, v3
	s_waitcnt lgkmcnt(0)
	s_barrier
	global_load_dwordx2 v[10:11], v3, s[22:23]
	v_mov_b32_e32 v5, s3
	s_lshl_b64 s[4:5], s[18:19], 2
	s_movk_i32 s3, 0x700
	s_add_u32 s9, s16, s4
	v_mul_lo_u32 v2, v1, s3
	s_mul_i32 s3, s8, 0x700
	s_addc_u32 s10, s17, s5
	s_add_i32 s11, s8, -1
	s_add_i32 s8, s3, s18
	s_sub_i32 s33, s2, s8
	s_addk_i32 s33, 0x700
	v_mov_b32_e32 v4, s2
	s_add_u32 s2, s18, s3
	v_readfirstlane_b32 s40, v1
	s_addc_u32 s3, s19, 0
	s_cmp_eq_u32 s40, s11
	s_cselect_b64 s[22:23], -1, 0
	s_cmp_lg_u32 s40, s11
	v_cmp_lt_u64_e32 vcc, s[2:3], v[4:5]
	s_cselect_b64 s[2:3], -1, 0
	v_lshlrev_b64 v[12:13], 2, v[2:3]
	s_or_b64 s[28:29], vcc, s[2:3]
	v_mov_b32_e32 v2, s10
	v_add_co_u32_e32 v1, vcc, s9, v12
	v_addc_co_u32_e32 v9, vcc, v2, v13, vcc
	s_mov_b64 s[2:3], -1
	s_and_b64 vcc, exec, s[28:29]
	v_lshlrev_b32_e32 v22, 2, v0
	s_cbranch_vccz .LBB635_6
; %bb.5:
	v_add_co_u32_e32 v2, vcc, v1, v22
	v_addc_co_u32_e32 v3, vcc, 0, v9, vcc
	v_add_co_u32_e32 v4, vcc, 0x1000, v2
	v_addc_co_u32_e32 v5, vcc, 0, v3, vcc
	flat_load_dword v6, v[2:3]
	flat_load_dword v7, v[2:3] offset:1024
	flat_load_dword v8, v[2:3] offset:2048
	;; [unrolled: 1-line block ×3, first 2 shown]
	flat_load_dword v15, v[4:5]
	flat_load_dword v16, v[4:5] offset:1024
	flat_load_dword v17, v[4:5] offset:2048
	s_mov_b64 s[2:3], 0
	s_waitcnt vmcnt(0) lgkmcnt(0)
	ds_write2st64_b32 v22, v6, v7 offset1:4
	ds_write2st64_b32 v22, v8, v14 offset0:8 offset1:12
	ds_write2st64_b32 v22, v15, v16 offset0:16 offset1:20
	ds_write_b32 v22, v17 offset:6144
	s_waitcnt lgkmcnt(0)
	s_barrier
.LBB635_6:
	s_andn2_b64 vcc, exec, s[2:3]
	v_cmp_gt_u32_e64 s[2:3], s33, v0
	s_cbranch_vccnz .LBB635_22
; %bb.7:
                                        ; implicit-def: $vgpr2_vgpr3_vgpr4_vgpr5_vgpr6_vgpr7_vgpr8
	s_and_saveexec_b64 s[8:9], s[2:3]
	s_cbranch_execz .LBB635_9
; %bb.8:
	v_add_co_u32_e32 v2, vcc, v1, v22
	v_addc_co_u32_e32 v3, vcc, 0, v9, vcc
	flat_load_dword v2, v[2:3]
.LBB635_9:
	s_or_b64 exec, exec, s[8:9]
	v_or_b32_e32 v14, 0x100, v0
	v_cmp_gt_u32_e32 vcc, s33, v14
	s_and_saveexec_b64 s[2:3], vcc
	s_cbranch_execz .LBB635_11
; %bb.10:
	v_add_co_u32_e32 v14, vcc, v1, v22
	v_addc_co_u32_e32 v15, vcc, 0, v9, vcc
	flat_load_dword v3, v[14:15] offset:1024
.LBB635_11:
	s_or_b64 exec, exec, s[2:3]
	v_or_b32_e32 v14, 0x200, v0
	v_cmp_gt_u32_e32 vcc, s33, v14
	s_and_saveexec_b64 s[2:3], vcc
	s_cbranch_execz .LBB635_13
; %bb.12:
	v_add_co_u32_e32 v14, vcc, v1, v22
	v_addc_co_u32_e32 v15, vcc, 0, v9, vcc
	flat_load_dword v4, v[14:15] offset:2048
.LBB635_13:
	;; [unrolled: 10-line block ×3, first 2 shown]
	s_or_b64 exec, exec, s[2:3]
	v_or_b32_e32 v14, 0x400, v0
	v_cmp_gt_u32_e32 vcc, s33, v14
	s_and_saveexec_b64 s[2:3], vcc
	s_cbranch_execz .LBB635_17
; %bb.16:
	v_lshlrev_b32_e32 v6, 2, v14
	v_add_co_u32_e32 v14, vcc, v1, v6
	v_addc_co_u32_e32 v15, vcc, 0, v9, vcc
	flat_load_dword v6, v[14:15]
.LBB635_17:
	s_or_b64 exec, exec, s[2:3]
	v_or_b32_e32 v14, 0x500, v0
	v_cmp_gt_u32_e32 vcc, s33, v14
	s_and_saveexec_b64 s[2:3], vcc
	s_cbranch_execz .LBB635_19
; %bb.18:
	v_lshlrev_b32_e32 v7, 2, v14
	v_add_co_u32_e32 v14, vcc, v1, v7
	v_addc_co_u32_e32 v15, vcc, 0, v9, vcc
	flat_load_dword v7, v[14:15]
.LBB635_19:
	;; [unrolled: 11-line block ×3, first 2 shown]
	s_or_b64 exec, exec, s[2:3]
	s_waitcnt vmcnt(0) lgkmcnt(0)
	ds_write2st64_b32 v22, v2, v3 offset1:4
	ds_write2st64_b32 v22, v4, v5 offset0:8 offset1:12
	ds_write2st64_b32 v22, v6, v7 offset0:16 offset1:20
	ds_write_b32 v22, v8 offset:6144
	s_waitcnt lgkmcnt(0)
	s_barrier
.LBB635_22:
	v_mul_u32_u24_e32 v24, 7, v0
	v_lshlrev_b32_e32 v9, 2, v24
	ds_read2_b32 v[6:7], v9 offset1:1
	ds_read2_b32 v[4:5], v9 offset0:2 offset1:3
	ds_read2_b32 v[2:3], v9 offset0:4 offset1:5
	ds_read_b32 v23, v9 offset:24
	s_add_u32 s2, s6, s4
	s_addc_u32 s3, s7, s5
	v_mov_b32_e32 v1, s3
	v_add_co_u32_e32 v8, vcc, s2, v12
	v_addc_co_u32_e32 v1, vcc, v1, v13, vcc
	s_mov_b64 s[2:3], -1
	s_and_b64 vcc, exec, s[28:29]
	s_waitcnt lgkmcnt(0)
	s_barrier
	s_cbranch_vccz .LBB635_24
; %bb.23:
	v_add_co_u32_e32 v14, vcc, v8, v22
	v_readfirstlane_b32 s2, v8
	v_readfirstlane_b32 s3, v1
	v_addc_co_u32_e32 v15, vcc, 0, v1, vcc
	s_nop 3
	global_load_dword v16, v22, s[2:3]
	global_load_dword v17, v22, s[2:3] offset:1024
	global_load_dword v18, v22, s[2:3] offset:2048
	;; [unrolled: 1-line block ×3, first 2 shown]
	s_movk_i32 s2, 0x1000
	v_add_co_u32_e32 v14, vcc, s2, v14
	v_addc_co_u32_e32 v15, vcc, 0, v15, vcc
	global_load_dword v20, v[14:15], off
	global_load_dword v21, v[14:15], off offset:1024
	global_load_dword v25, v[14:15], off offset:2048
	s_mov_b64 s[2:3], 0
	s_waitcnt vmcnt(6)
	v_cmp_ne_u32_e32 vcc, 0, v16
	v_cndmask_b32_e64 v14, 0, 1, vcc
	s_waitcnt vmcnt(5)
	v_cmp_ne_u32_e32 vcc, 0, v17
	v_cndmask_b32_e64 v15, 0, 1, vcc
	;; [unrolled: 3-line block ×7, first 2 shown]
	ds_write_b8 v0, v14
	ds_write_b8 v0, v15 offset:256
	ds_write_b8 v0, v16 offset:512
	;; [unrolled: 1-line block ×6, first 2 shown]
	s_waitcnt lgkmcnt(0)
	s_barrier
.LBB635_24:
	s_andn2_b64 vcc, exec, s[2:3]
	s_cbranch_vccnz .LBB635_40
; %bb.25:
	v_cmp_gt_u32_e32 vcc, s33, v0
	v_mov_b32_e32 v14, 0
	v_mov_b32_e32 v15, 0
	s_and_saveexec_b64 s[2:3], vcc
	s_cbranch_execz .LBB635_27
; %bb.26:
	v_readfirstlane_b32 s4, v8
	v_readfirstlane_b32 s5, v1
	s_nop 4
	global_load_dword v15, v22, s[4:5]
	s_waitcnt vmcnt(0)
	v_cmp_ne_u32_e32 vcc, 0, v15
	v_cndmask_b32_e64 v15, 0, 1, vcc
.LBB635_27:
	s_or_b64 exec, exec, s[2:3]
	v_or_b32_e32 v16, 0x100, v0
	v_cmp_gt_u32_e32 vcc, s33, v16
	s_and_saveexec_b64 s[2:3], vcc
	s_cbranch_execz .LBB635_29
; %bb.28:
	v_readfirstlane_b32 s4, v8
	v_readfirstlane_b32 s5, v1
	s_nop 4
	global_load_dword v14, v22, s[4:5] offset:1024
	s_waitcnt vmcnt(0)
	v_cmp_ne_u32_e32 vcc, 0, v14
	v_cndmask_b32_e64 v14, 0, 1, vcc
.LBB635_29:
	s_or_b64 exec, exec, s[2:3]
	v_or_b32_e32 v16, 0x200, v0
	v_cmp_gt_u32_e32 vcc, s33, v16
	v_mov_b32_e32 v16, 0
	v_mov_b32_e32 v17, 0
	s_and_saveexec_b64 s[2:3], vcc
	s_cbranch_execz .LBB635_31
; %bb.30:
	v_readfirstlane_b32 s4, v8
	v_readfirstlane_b32 s5, v1
	s_nop 4
	global_load_dword v17, v22, s[4:5] offset:2048
	s_waitcnt vmcnt(0)
	v_cmp_ne_u32_e32 vcc, 0, v17
	v_cndmask_b32_e64 v17, 0, 1, vcc
.LBB635_31:
	s_or_b64 exec, exec, s[2:3]
	v_or_b32_e32 v18, 0x300, v0
	v_cmp_gt_u32_e32 vcc, s33, v18
	s_and_saveexec_b64 s[2:3], vcc
	s_cbranch_execz .LBB635_33
; %bb.32:
	v_readfirstlane_b32 s4, v8
	v_readfirstlane_b32 s5, v1
	s_nop 4
	global_load_dword v16, v22, s[4:5] offset:3072
	s_waitcnt vmcnt(0)
	v_cmp_ne_u32_e32 vcc, 0, v16
	v_cndmask_b32_e64 v16, 0, 1, vcc
.LBB635_33:
	s_or_b64 exec, exec, s[2:3]
	v_or_b32_e32 v20, 0x400, v0
	v_cmp_gt_u32_e32 vcc, s33, v20
	v_mov_b32_e32 v18, 0
	v_mov_b32_e32 v19, 0
	s_and_saveexec_b64 s[2:3], vcc
	s_cbranch_execz .LBB635_35
; %bb.34:
	v_lshlrev_b32_e32 v19, 2, v20
	v_readfirstlane_b32 s4, v8
	v_readfirstlane_b32 s5, v1
	s_nop 4
	global_load_dword v19, v19, s[4:5]
	s_waitcnt vmcnt(0)
	v_cmp_ne_u32_e32 vcc, 0, v19
	v_cndmask_b32_e64 v19, 0, 1, vcc
.LBB635_35:
	s_or_b64 exec, exec, s[2:3]
	v_or_b32_e32 v20, 0x500, v0
	v_cmp_gt_u32_e32 vcc, s33, v20
	s_and_saveexec_b64 s[2:3], vcc
	s_cbranch_execz .LBB635_37
; %bb.36:
	v_lshlrev_b32_e32 v18, 2, v20
	v_readfirstlane_b32 s4, v8
	v_readfirstlane_b32 s5, v1
	s_nop 4
	global_load_dword v18, v18, s[4:5]
	s_waitcnt vmcnt(0)
	v_cmp_ne_u32_e32 vcc, 0, v18
	v_cndmask_b32_e64 v18, 0, 1, vcc
.LBB635_37:
	s_or_b64 exec, exec, s[2:3]
	v_or_b32_e32 v21, 0x600, v0
	v_cmp_gt_u32_e32 vcc, s33, v21
	v_mov_b32_e32 v20, 0
	s_and_saveexec_b64 s[2:3], vcc
	s_cbranch_execz .LBB635_39
; %bb.38:
	v_lshlrev_b32_e32 v20, 2, v21
	v_readfirstlane_b32 s4, v8
	v_readfirstlane_b32 s5, v1
	s_nop 4
	global_load_dword v1, v20, s[4:5]
	s_waitcnt vmcnt(0)
	v_cmp_ne_u32_e32 vcc, 0, v1
	v_cndmask_b32_e64 v20, 0, 1, vcc
.LBB635_39:
	s_or_b64 exec, exec, s[2:3]
	ds_write_b8 v0, v15
	ds_write_b8 v0, v14 offset:256
	ds_write_b8 v0, v17 offset:512
	;; [unrolled: 1-line block ×6, first 2 shown]
	s_waitcnt lgkmcnt(0)
	s_barrier
.LBB635_40:
	s_movk_i32 s2, 0xffeb
	v_mad_i32_i24 v32, v0, s2, v9
	ds_read_u8 v1, v32
	ds_read_u8 v8, v32 offset:1
	ds_read_u8 v9, v32 offset:2
	;; [unrolled: 1-line block ×6, first 2 shown]
	s_waitcnt lgkmcnt(6)
	v_and_b32_e32 v30, 1, v1
	s_waitcnt lgkmcnt(5)
	v_and_b32_e32 v29, 1, v8
	;; [unrolled: 2-line block ×5, first 2 shown]
	v_add3_u32 v8, v29, v30, v28
	s_waitcnt lgkmcnt(1)
	v_and_b32_e32 v25, 1, v16
	s_waitcnt lgkmcnt(0)
	v_and_b32_e32 v1, 1, v17
	v_add3_u32 v8, v8, v27, v26
	v_add3_u32 v34, v8, v25, v1
	v_mbcnt_lo_u32_b32 v8, -1, 0
	v_mbcnt_hi_u32_b32 v31, -1, v8
	v_and_b32_e32 v8, 15, v31
	v_cmp_eq_u32_e64 s[14:15], 0, v8
	v_cmp_lt_u32_e64 s[12:13], 1, v8
	v_cmp_lt_u32_e64 s[10:11], 3, v8
	;; [unrolled: 1-line block ×3, first 2 shown]
	v_and_b32_e32 v8, 16, v31
	v_cmp_eq_u32_e64 s[6:7], 0, v8
	v_or_b32_e32 v8, 63, v0
	s_cmp_lg_u32 s40, 0
	v_cmp_lt_u32_e64 s[2:3], 31, v31
	v_lshrrev_b32_e32 v33, 6, v0
	v_cmp_eq_u32_e64 s[4:5], v8, v0
	s_barrier
	s_cbranch_scc0 .LBB635_67
; %bb.41:
	v_mov_b32_dpp v8, v34 row_shr:1 row_mask:0xf bank_mask:0xf
	v_cndmask_b32_e64 v8, v8, 0, s[14:15]
	v_add_u32_e32 v8, v8, v34
	s_nop 1
	v_mov_b32_dpp v9, v8 row_shr:2 row_mask:0xf bank_mask:0xf
	v_cndmask_b32_e64 v9, 0, v9, s[12:13]
	v_add_u32_e32 v8, v8, v9
	s_nop 1
	;; [unrolled: 4-line block ×4, first 2 shown]
	v_mov_b32_dpp v9, v8 row_bcast:15 row_mask:0xf bank_mask:0xf
	v_cndmask_b32_e64 v9, v9, 0, s[6:7]
	v_add_u32_e32 v8, v8, v9
	s_nop 1
	v_mov_b32_dpp v9, v8 row_bcast:31 row_mask:0xf bank_mask:0xf
	v_cndmask_b32_e64 v9, 0, v9, s[2:3]
	v_add_u32_e32 v8, v8, v9
	s_and_saveexec_b64 s[16:17], s[4:5]
	s_cbranch_execz .LBB635_43
; %bb.42:
	v_lshlrev_b32_e32 v9, 2, v33
	ds_write_b32 v9, v8
.LBB635_43:
	s_or_b64 exec, exec, s[16:17]
	v_cmp_gt_u32_e32 vcc, 4, v0
	s_waitcnt lgkmcnt(0)
	s_barrier
	s_and_saveexec_b64 s[16:17], vcc
	s_cbranch_execz .LBB635_45
; %bb.44:
	ds_read_b32 v9, v22
	v_and_b32_e32 v14, 3, v31
	v_cmp_ne_u32_e32 vcc, 0, v14
	s_waitcnt lgkmcnt(0)
	v_mov_b32_dpp v15, v9 row_shr:1 row_mask:0xf bank_mask:0xf
	v_cndmask_b32_e32 v15, 0, v15, vcc
	v_add_u32_e32 v9, v15, v9
	v_cmp_lt_u32_e32 vcc, 1, v14
	s_nop 0
	v_mov_b32_dpp v15, v9 row_shr:2 row_mask:0xf bank_mask:0xf
	v_cndmask_b32_e32 v14, 0, v15, vcc
	v_add_u32_e32 v9, v9, v14
	ds_write_b32 v22, v9
.LBB635_45:
	s_or_b64 exec, exec, s[16:17]
	v_cmp_gt_u32_e32 vcc, 64, v0
	v_cmp_lt_u32_e64 s[16:17], 63, v0
	s_waitcnt lgkmcnt(0)
	s_barrier
	s_waitcnt lgkmcnt(0)
                                        ; implicit-def: $vgpr35
	s_and_saveexec_b64 s[34:35], s[16:17]
	s_cbranch_execz .LBB635_47
; %bb.46:
	v_lshl_add_u32 v9, v33, 2, -4
	ds_read_b32 v35, v9
	s_waitcnt lgkmcnt(0)
	v_add_u32_e32 v8, v35, v8
.LBB635_47:
	s_or_b64 exec, exec, s[34:35]
	v_add_u32_e32 v9, -1, v31
	v_and_b32_e32 v14, 64, v31
	v_cmp_lt_i32_e64 s[16:17], v9, v14
	v_cndmask_b32_e64 v9, v9, v31, s[16:17]
	v_lshlrev_b32_e32 v9, 2, v9
	ds_bpermute_b32 v36, v9, v8
	v_cmp_eq_u32_e64 s[16:17], 0, v31
	s_and_saveexec_b64 s[34:35], vcc
	s_cbranch_execz .LBB635_66
; %bb.48:
	v_mov_b32_e32 v19, 0
	ds_read_b32 v8, v19 offset:12
	s_and_saveexec_b64 s[36:37], s[16:17]
	s_cbranch_execz .LBB635_50
; %bb.49:
	s_add_i32 s38, s40, 64
	s_mov_b32 s39, 0
	s_lshl_b64 s[38:39], s[38:39], 3
	s_add_u32 s38, s30, s38
	v_mov_b32_e32 v9, 1
	s_addc_u32 s39, s31, s39
	s_waitcnt lgkmcnt(0)
	global_store_dwordx2 v19, v[8:9], s[38:39]
.LBB635_50:
	s_or_b64 exec, exec, s[36:37]
	v_xad_u32 v14, v31, -1, s40
	v_add_u32_e32 v18, 64, v14
	v_lshlrev_b64 v[16:17], 3, v[18:19]
	v_mov_b32_e32 v9, s31
	v_add_co_u32_e32 v20, vcc, s30, v16
	v_addc_co_u32_e32 v21, vcc, v9, v17, vcc
	global_load_dwordx2 v[16:17], v[20:21], off glc
	s_waitcnt vmcnt(0)
	v_cmp_eq_u16_sdwa s[38:39], v17, v19 src0_sel:BYTE_0 src1_sel:DWORD
	s_and_saveexec_b64 s[36:37], s[38:39]
	s_cbranch_execz .LBB635_54
; %bb.51:
	s_mov_b64 s[38:39], 0
	v_mov_b32_e32 v9, 0
.LBB635_52:                             ; =>This Inner Loop Header: Depth=1
	global_load_dwordx2 v[16:17], v[20:21], off glc
	s_waitcnt vmcnt(0)
	v_cmp_ne_u16_sdwa s[42:43], v17, v9 src0_sel:BYTE_0 src1_sel:DWORD
	s_or_b64 s[38:39], s[42:43], s[38:39]
	s_andn2_b64 exec, exec, s[38:39]
	s_cbranch_execnz .LBB635_52
; %bb.53:
	s_or_b64 exec, exec, s[38:39]
.LBB635_54:
	s_or_b64 exec, exec, s[36:37]
	v_and_b32_e32 v38, 63, v31
	v_mov_b32_e32 v37, 2
	v_cmp_ne_u32_e32 vcc, 63, v38
	v_cmp_eq_u16_sdwa s[36:37], v17, v37 src0_sel:BYTE_0 src1_sel:DWORD
	v_lshlrev_b64 v[18:19], v31, -1
	v_addc_co_u32_e32 v20, vcc, 0, v31, vcc
	v_and_b32_e32 v9, s37, v19
	v_lshlrev_b32_e32 v39, 2, v20
	v_or_b32_e32 v9, 0x80000000, v9
	ds_bpermute_b32 v20, v39, v16
	v_and_b32_e32 v15, s36, v18
	v_ffbl_b32_e32 v9, v9
	v_add_u32_e32 v9, 32, v9
	v_ffbl_b32_e32 v15, v15
	v_min_u32_e32 v9, v15, v9
	v_cmp_lt_u32_e32 vcc, v38, v9
	s_waitcnt lgkmcnt(0)
	v_cndmask_b32_e32 v15, 0, v20, vcc
	v_cmp_gt_u32_e32 vcc, 62, v38
	v_add_u32_e32 v15, v15, v16
	v_cndmask_b32_e64 v16, 0, 1, vcc
	v_lshlrev_b32_e32 v16, 1, v16
	v_add_lshl_u32 v40, v16, v31, 2
	ds_bpermute_b32 v16, v40, v15
	v_add_u32_e32 v41, 2, v38
	v_cmp_le_u32_e32 vcc, v41, v9
	v_add_u32_e32 v43, 4, v38
	v_add_u32_e32 v45, 8, v38
	s_waitcnt lgkmcnt(0)
	v_cndmask_b32_e32 v16, 0, v16, vcc
	v_cmp_gt_u32_e32 vcc, 60, v38
	v_add_u32_e32 v15, v15, v16
	v_cndmask_b32_e64 v16, 0, 1, vcc
	v_lshlrev_b32_e32 v16, 2, v16
	v_add_lshl_u32 v42, v16, v31, 2
	ds_bpermute_b32 v16, v42, v15
	v_cmp_le_u32_e32 vcc, v43, v9
	v_add_u32_e32 v47, 16, v38
	v_add_u32_e32 v49, 32, v38
	s_waitcnt lgkmcnt(0)
	v_cndmask_b32_e32 v16, 0, v16, vcc
	v_cmp_gt_u32_e32 vcc, 56, v38
	v_add_u32_e32 v15, v15, v16
	v_cndmask_b32_e64 v16, 0, 1, vcc
	v_lshlrev_b32_e32 v16, 3, v16
	v_add_lshl_u32 v44, v16, v31, 2
	ds_bpermute_b32 v16, v44, v15
	v_cmp_le_u32_e32 vcc, v45, v9
	s_waitcnt lgkmcnt(0)
	v_cndmask_b32_e32 v16, 0, v16, vcc
	v_cmp_gt_u32_e32 vcc, 48, v38
	v_add_u32_e32 v15, v15, v16
	v_cndmask_b32_e64 v16, 0, 1, vcc
	v_lshlrev_b32_e32 v16, 4, v16
	v_add_lshl_u32 v46, v16, v31, 2
	ds_bpermute_b32 v16, v46, v15
	v_cmp_le_u32_e32 vcc, v47, v9
	;; [unrolled: 9-line block ×3, first 2 shown]
	s_waitcnt lgkmcnt(0)
	v_cndmask_b32_e32 v9, 0, v16, vcc
	v_add_u32_e32 v16, v15, v9
	v_mov_b32_e32 v15, 0
	s_branch .LBB635_56
.LBB635_55:                             ;   in Loop: Header=BB635_56 Depth=1
	s_or_b64 exec, exec, s[36:37]
	v_cmp_eq_u16_sdwa s[36:37], v17, v37 src0_sel:BYTE_0 src1_sel:DWORD
	v_and_b32_e32 v20, s37, v19
	v_or_b32_e32 v20, 0x80000000, v20
	ds_bpermute_b32 v50, v39, v16
	v_and_b32_e32 v21, s36, v18
	v_ffbl_b32_e32 v20, v20
	v_add_u32_e32 v20, 32, v20
	v_ffbl_b32_e32 v21, v21
	v_min_u32_e32 v20, v21, v20
	v_cmp_lt_u32_e32 vcc, v38, v20
	s_waitcnt lgkmcnt(0)
	v_cndmask_b32_e32 v21, 0, v50, vcc
	v_add_u32_e32 v16, v21, v16
	ds_bpermute_b32 v21, v40, v16
	v_cmp_le_u32_e32 vcc, v41, v20
	v_subrev_u32_e32 v14, 64, v14
	s_waitcnt lgkmcnt(0)
	v_cndmask_b32_e32 v21, 0, v21, vcc
	v_add_u32_e32 v16, v16, v21
	ds_bpermute_b32 v21, v42, v16
	v_cmp_le_u32_e32 vcc, v43, v20
	s_waitcnt lgkmcnt(0)
	v_cndmask_b32_e32 v21, 0, v21, vcc
	v_add_u32_e32 v16, v16, v21
	ds_bpermute_b32 v21, v44, v16
	v_cmp_le_u32_e32 vcc, v45, v20
	s_waitcnt lgkmcnt(0)
	v_cndmask_b32_e32 v21, 0, v21, vcc
	v_add_u32_e32 v16, v16, v21
	ds_bpermute_b32 v21, v46, v16
	v_cmp_le_u32_e32 vcc, v47, v20
	s_waitcnt lgkmcnt(0)
	v_cndmask_b32_e32 v21, 0, v21, vcc
	v_add_u32_e32 v16, v16, v21
	ds_bpermute_b32 v21, v48, v16
	v_cmp_le_u32_e32 vcc, v49, v20
	s_waitcnt lgkmcnt(0)
	v_cndmask_b32_e32 v20, 0, v21, vcc
	v_add3_u32 v16, v20, v9, v16
.LBB635_56:                             ; =>This Loop Header: Depth=1
                                        ;     Child Loop BB635_59 Depth 2
	v_cmp_ne_u16_sdwa s[36:37], v17, v37 src0_sel:BYTE_0 src1_sel:DWORD
	v_cndmask_b32_e64 v9, 0, 1, s[36:37]
	;;#ASMSTART
	;;#ASMEND
	v_cmp_ne_u32_e32 vcc, 0, v9
	s_cmp_lg_u64 vcc, exec
	v_mov_b32_e32 v9, v16
	s_cbranch_scc1 .LBB635_61
; %bb.57:                               ;   in Loop: Header=BB635_56 Depth=1
	v_lshlrev_b64 v[16:17], 3, v[14:15]
	v_mov_b32_e32 v21, s31
	v_add_co_u32_e32 v20, vcc, s30, v16
	v_addc_co_u32_e32 v21, vcc, v21, v17, vcc
	global_load_dwordx2 v[16:17], v[20:21], off glc
	s_waitcnt vmcnt(0)
	v_cmp_eq_u16_sdwa s[38:39], v17, v15 src0_sel:BYTE_0 src1_sel:DWORD
	s_and_saveexec_b64 s[36:37], s[38:39]
	s_cbranch_execz .LBB635_55
; %bb.58:                               ;   in Loop: Header=BB635_56 Depth=1
	s_mov_b64 s[38:39], 0
.LBB635_59:                             ;   Parent Loop BB635_56 Depth=1
                                        ; =>  This Inner Loop Header: Depth=2
	global_load_dwordx2 v[16:17], v[20:21], off glc
	s_waitcnt vmcnt(0)
	v_cmp_ne_u16_sdwa s[42:43], v17, v15 src0_sel:BYTE_0 src1_sel:DWORD
	s_or_b64 s[38:39], s[42:43], s[38:39]
	s_andn2_b64 exec, exec, s[38:39]
	s_cbranch_execnz .LBB635_59
; %bb.60:                               ;   in Loop: Header=BB635_56 Depth=1
	s_or_b64 exec, exec, s[38:39]
	s_branch .LBB635_55
.LBB635_61:                             ;   in Loop: Header=BB635_56 Depth=1
                                        ; implicit-def: $vgpr16
                                        ; implicit-def: $vgpr17
	s_cbranch_execz .LBB635_56
; %bb.62:
	s_and_saveexec_b64 s[36:37], s[16:17]
	s_cbranch_execz .LBB635_64
; %bb.63:
	s_add_i32 s38, s40, 64
	s_mov_b32 s39, 0
	s_lshl_b64 s[38:39], s[38:39], 3
	s_add_u32 s38, s30, s38
	v_add_u32_e32 v14, v9, v8
	v_mov_b32_e32 v15, 2
	s_addc_u32 s39, s31, s39
	v_mov_b32_e32 v16, 0
	global_store_dwordx2 v16, v[14:15], s[38:39]
	ds_write_b64 v16, v[8:9] offset:7168
.LBB635_64:
	s_or_b64 exec, exec, s[36:37]
	s_and_b64 exec, exec, s[0:1]
	s_cbranch_execz .LBB635_66
; %bb.65:
	v_mov_b32_e32 v8, 0
	ds_write_b32 v8, v9 offset:12
.LBB635_66:
	s_or_b64 exec, exec, s[34:35]
	v_mov_b32_e32 v8, 0
	s_waitcnt lgkmcnt(0)
	s_barrier
	ds_read_b32 v9, v8 offset:12
	v_cndmask_b32_e64 v14, v36, v35, s[16:17]
	v_cndmask_b32_e64 v14, v14, 0, s[0:1]
	s_waitcnt lgkmcnt(0)
	s_barrier
	v_add_u32_e32 v20, v9, v14
	v_add_u32_e32 v19, v20, v30
	;; [unrolled: 1-line block ×3, first 2 shown]
	ds_read_b64 v[8:9], v8 offset:7168
	v_add_u32_e32 v16, v18, v28
	v_add_u32_e32 v17, v16, v27
	;; [unrolled: 1-line block ×4, first 2 shown]
	s_branch .LBB635_77
.LBB635_67:
                                        ; implicit-def: $vgpr9
                                        ; implicit-def: $vgpr14
                                        ; implicit-def: $vgpr15
                                        ; implicit-def: $vgpr17
                                        ; implicit-def: $vgpr16
                                        ; implicit-def: $vgpr18
                                        ; implicit-def: $vgpr19
                                        ; implicit-def: $vgpr20
	s_cbranch_execz .LBB635_77
; %bb.68:
	s_waitcnt lgkmcnt(0)
	v_mov_b32_dpp v8, v34 row_shr:1 row_mask:0xf bank_mask:0xf
	v_cndmask_b32_e64 v8, v8, 0, s[14:15]
	v_add_u32_e32 v8, v8, v34
	s_nop 1
	v_mov_b32_dpp v9, v8 row_shr:2 row_mask:0xf bank_mask:0xf
	v_cndmask_b32_e64 v9, 0, v9, s[12:13]
	v_add_u32_e32 v8, v8, v9
	s_nop 1
	v_mov_b32_dpp v9, v8 row_shr:4 row_mask:0xf bank_mask:0xf
	v_cndmask_b32_e64 v9, 0, v9, s[10:11]
	v_add_u32_e32 v8, v8, v9
	s_nop 1
	v_mov_b32_dpp v9, v8 row_shr:8 row_mask:0xf bank_mask:0xf
	v_cndmask_b32_e64 v9, 0, v9, s[8:9]
	v_add_u32_e32 v8, v8, v9
	s_nop 1
	v_mov_b32_dpp v9, v8 row_bcast:15 row_mask:0xf bank_mask:0xf
	v_cndmask_b32_e64 v9, v9, 0, s[6:7]
	v_add_u32_e32 v8, v8, v9
	s_nop 1
	v_mov_b32_dpp v9, v8 row_bcast:31 row_mask:0xf bank_mask:0xf
	v_cndmask_b32_e64 v9, 0, v9, s[2:3]
	v_add_u32_e32 v8, v8, v9
	s_and_saveexec_b64 s[2:3], s[4:5]
	s_cbranch_execz .LBB635_70
; %bb.69:
	v_lshlrev_b32_e32 v9, 2, v33
	ds_write_b32 v9, v8
.LBB635_70:
	s_or_b64 exec, exec, s[2:3]
	v_cmp_gt_u32_e32 vcc, 4, v0
	s_waitcnt lgkmcnt(0)
	s_barrier
	s_and_saveexec_b64 s[2:3], vcc
	s_cbranch_execz .LBB635_72
; %bb.71:
	v_mad_i32_i24 v9, v0, -3, v32
	ds_read_b32 v14, v9
	v_and_b32_e32 v15, 3, v31
	v_cmp_ne_u32_e32 vcc, 0, v15
	s_waitcnt lgkmcnt(0)
	v_mov_b32_dpp v16, v14 row_shr:1 row_mask:0xf bank_mask:0xf
	v_cndmask_b32_e32 v16, 0, v16, vcc
	v_add_u32_e32 v14, v16, v14
	v_cmp_lt_u32_e32 vcc, 1, v15
	s_nop 0
	v_mov_b32_dpp v16, v14 row_shr:2 row_mask:0xf bank_mask:0xf
	v_cndmask_b32_e32 v15, 0, v16, vcc
	v_add_u32_e32 v14, v14, v15
	ds_write_b32 v9, v14
.LBB635_72:
	s_or_b64 exec, exec, s[2:3]
	v_cmp_lt_u32_e32 vcc, 63, v0
	v_mov_b32_e32 v9, 0
	v_mov_b32_e32 v14, 0
	s_waitcnt lgkmcnt(0)
	s_barrier
	s_and_saveexec_b64 s[2:3], vcc
	s_cbranch_execz .LBB635_74
; %bb.73:
	v_lshl_add_u32 v14, v33, 2, -4
	ds_read_b32 v14, v14
.LBB635_74:
	s_or_b64 exec, exec, s[2:3]
	v_add_u32_e32 v15, -1, v31
	v_and_b32_e32 v16, 64, v31
	v_cmp_lt_i32_e32 vcc, v15, v16
	v_cndmask_b32_e32 v15, v15, v31, vcc
	s_waitcnt lgkmcnt(0)
	v_add_u32_e32 v8, v14, v8
	v_lshlrev_b32_e32 v15, 2, v15
	ds_bpermute_b32 v15, v15, v8
	ds_read_b32 v8, v9 offset:12
	s_and_saveexec_b64 s[2:3], s[0:1]
	s_cbranch_execz .LBB635_76
; %bb.75:
	v_mov_b32_e32 v16, 0
	v_mov_b32_e32 v9, 2
	s_waitcnt lgkmcnt(0)
	global_store_dwordx2 v16, v[8:9], s[30:31] offset:512
.LBB635_76:
	s_or_b64 exec, exec, s[2:3]
	v_cmp_eq_u32_e32 vcc, 0, v31
	s_waitcnt lgkmcnt(1)
	v_cndmask_b32_e32 v14, v15, v14, vcc
	v_cndmask_b32_e64 v20, v14, 0, s[0:1]
	v_add_u32_e32 v19, v20, v30
	v_add_u32_e32 v18, v19, v29
	;; [unrolled: 1-line block ×5, first 2 shown]
	v_mov_b32_e32 v9, 0
	v_add_u32_e32 v14, v15, v25
	s_waitcnt lgkmcnt(0)
	s_barrier
.LBB635_77:
	s_waitcnt lgkmcnt(0)
	v_add_u32_e32 v21, v8, v24
	v_sub_u32_e32 v20, v20, v9
	v_sub_u32_e32 v24, v21, v20
	v_cmp_eq_u32_e32 vcc, 1, v30
	v_cndmask_b32_e32 v20, v24, v20, vcc
	v_lshlrev_b32_e32 v20, 2, v20
	ds_write_b32 v20, v6
	v_sub_u32_e32 v6, v19, v9
	v_sub_u32_e32 v19, v21, v6
	v_add_u32_e32 v19, 1, v19
	v_cmp_eq_u32_e32 vcc, 1, v29
	v_cndmask_b32_e32 v6, v19, v6, vcc
	v_lshlrev_b32_e32 v6, 2, v6
	ds_write_b32 v6, v7
	v_sub_u32_e32 v6, v18, v9
	v_sub_u32_e32 v7, v21, v6
	v_add_u32_e32 v7, 2, v7
	;; [unrolled: 7-line block ×6, first 2 shown]
	v_cmp_eq_u32_e32 vcc, 1, v1
	v_cndmask_b32_e32 v1, v3, v2, vcc
	s_waitcnt vmcnt(0)
	v_add_co_u32_e32 v24, vcc, v10, v9
	v_addc_co_u32_e32 v25, vcc, 0, v11, vcc
	v_add_co_u32_e32 v2, vcc, v24, v8
	v_addc_co_u32_e32 v3, vcc, 0, v25, vcc
	v_mov_b32_e32 v9, s19
	v_sub_co_u32_e32 v10, vcc, s18, v2
	v_subb_co_u32_e32 v11, vcc, v9, v3, vcc
	v_lshlrev_b64 v[10:11], 2, v[10:11]
	v_lshlrev_b32_e32 v1, 2, v1
	v_mov_b32_e32 v9, s27
	v_add_co_u32_e32 v10, vcc, s26, v10
	ds_write_b32 v1, v23
	s_waitcnt lgkmcnt(0)
	s_barrier
	ds_read2st64_b32 v[14:15], v22 offset1:4
	ds_read2st64_b32 v[6:7], v22 offset0:8 offset1:12
	ds_read2st64_b32 v[4:5], v22 offset0:16 offset1:20
	ds_read_b32 v1, v22 offset:6144
	v_addc_co_u32_e32 v11, vcc, v9, v11, vcc
	v_add_co_u32_e32 v9, vcc, v10, v12
	v_addc_co_u32_e32 v10, vcc, v11, v13, vcc
	v_lshlrev_b64 v[12:13], 2, v[24:25]
	v_mov_b32_e32 v23, s25
	v_add_co_u32_e64 v11, s[2:3], s24, v12
	v_or_b32_e32 v21, 0x100, v0
	v_or_b32_e32 v20, 0x200, v0
	;; [unrolled: 1-line block ×6, first 2 shown]
	s_andn2_b64 vcc, exec, s[28:29]
	v_addc_co_u32_e64 v12, s[2:3], v23, v13, s[2:3]
	s_cbranch_vccnz .LBB635_79
; %bb.78:
	v_cmp_gt_u32_e32 vcc, v8, v0
	v_cndmask_b32_e32 v23, v9, v11, vcc
	v_cndmask_b32_e32 v13, v10, v12, vcc
	v_add_co_u32_e32 v24, vcc, v23, v22
	v_addc_co_u32_e32 v25, vcc, 0, v13, vcc
	v_cmp_lt_u32_e32 vcc, v21, v8
	v_cndmask_b32_e32 v23, v9, v11, vcc
	s_waitcnt lgkmcnt(3)
	global_store_dword v[24:25], v14, off
	v_cndmask_b32_e32 v13, v10, v12, vcc
	v_add_co_u32_e32 v24, vcc, v23, v22
	v_addc_co_u32_e32 v25, vcc, 0, v13, vcc
	v_cmp_lt_u32_e32 vcc, v20, v8
	v_cndmask_b32_e32 v23, v9, v11, vcc
	global_store_dword v[24:25], v15, off offset:1024
	v_cndmask_b32_e32 v13, v10, v12, vcc
	v_add_co_u32_e32 v24, vcc, v23, v22
	v_addc_co_u32_e32 v25, vcc, 0, v13, vcc
	v_cmp_lt_u32_e32 vcc, v19, v8
	v_cndmask_b32_e32 v23, v9, v11, vcc
	s_waitcnt lgkmcnt(2)
	global_store_dword v[24:25], v6, off offset:2048
	v_cndmask_b32_e32 v13, v10, v12, vcc
	v_add_co_u32_e32 v24, vcc, v23, v22
	v_addc_co_u32_e32 v25, vcc, 0, v13, vcc
	v_cmp_lt_u32_e32 vcc, v18, v8
	global_store_dword v[24:25], v7, off offset:3072
	v_cndmask_b32_e32 v23, v9, v11, vcc
	v_lshlrev_b32_e32 v24, 2, v18
	v_cndmask_b32_e32 v13, v10, v12, vcc
	v_add_co_u32_e32 v24, vcc, v23, v24
	v_addc_co_u32_e32 v25, vcc, 0, v13, vcc
	v_cmp_lt_u32_e32 vcc, v17, v8
	s_waitcnt lgkmcnt(1)
	global_store_dword v[24:25], v4, off
	v_cndmask_b32_e32 v23, v9, v11, vcc
	v_lshlrev_b32_e32 v24, 2, v17
	v_cndmask_b32_e32 v13, v10, v12, vcc
	v_add_co_u32_e32 v24, vcc, v23, v24
	v_addc_co_u32_e32 v25, vcc, 0, v13, vcc
	s_mov_b64 s[2:3], -1
	global_store_dword v[24:25], v5, off
	s_cbranch_execz .LBB635_80
	s_branch .LBB635_88
.LBB635_79:
	s_mov_b64 s[2:3], 0
.LBB635_80:
	v_cmp_gt_u32_e32 vcc, s33, v0
	s_and_saveexec_b64 s[2:3], vcc
	s_cbranch_execnz .LBB635_93
; %bb.81:
	s_or_b64 exec, exec, s[2:3]
	v_cmp_gt_u32_e32 vcc, s33, v21
	s_and_saveexec_b64 s[2:3], vcc
	s_cbranch_execnz .LBB635_94
.LBB635_82:
	s_or_b64 exec, exec, s[2:3]
	v_cmp_gt_u32_e32 vcc, s33, v20
	s_and_saveexec_b64 s[2:3], vcc
	s_cbranch_execnz .LBB635_95
.LBB635_83:
	s_or_b64 exec, exec, s[2:3]
	v_cmp_gt_u32_e32 vcc, s33, v19
	s_and_saveexec_b64 s[2:3], vcc
	s_cbranch_execnz .LBB635_96
.LBB635_84:
	s_or_b64 exec, exec, s[2:3]
	v_cmp_gt_u32_e32 vcc, s33, v18
	s_and_saveexec_b64 s[2:3], vcc
	s_cbranch_execnz .LBB635_97
.LBB635_85:
	s_or_b64 exec, exec, s[2:3]
	v_cmp_gt_u32_e32 vcc, s33, v17
	s_and_saveexec_b64 s[2:3], vcc
	s_cbranch_execz .LBB635_87
.LBB635_86:
	v_cmp_lt_u32_e32 vcc, v17, v8
	s_waitcnt lgkmcnt(1)
	v_cndmask_b32_e32 v4, v9, v11, vcc
	v_lshlrev_b32_e32 v6, 2, v17
	v_cndmask_b32_e32 v0, v10, v12, vcc
	v_add_co_u32_e32 v6, vcc, v4, v6
	v_addc_co_u32_e32 v7, vcc, 0, v0, vcc
	global_store_dword v[6:7], v5, off
.LBB635_87:
	s_or_b64 exec, exec, s[2:3]
	v_cmp_gt_u32_e64 s[2:3], s33, v16
.LBB635_88:
	s_and_saveexec_b64 s[4:5], s[2:3]
	s_cbranch_execnz .LBB635_91
; %bb.89:
	s_or_b64 exec, exec, s[4:5]
	s_and_b64 s[0:1], s[0:1], s[22:23]
	s_and_saveexec_b64 s[2:3], s[0:1]
	s_cbranch_execnz .LBB635_92
.LBB635_90:
	s_endpgm
.LBB635_91:
	v_cmp_lt_u32_e32 vcc, v16, v8
	s_waitcnt lgkmcnt(1)
	v_cndmask_b32_e32 v4, v9, v11, vcc
	v_lshlrev_b32_e32 v5, 2, v16
	v_cndmask_b32_e32 v0, v10, v12, vcc
	v_add_co_u32_e32 v4, vcc, v4, v5
	v_addc_co_u32_e32 v5, vcc, 0, v0, vcc
	s_waitcnt lgkmcnt(0)
	global_store_dword v[4:5], v1, off
	s_or_b64 exec, exec, s[4:5]
	s_and_b64 s[0:1], s[0:1], s[22:23]
	s_and_saveexec_b64 s[2:3], s[0:1]
	s_cbranch_execz .LBB635_90
.LBB635_92:
	v_mov_b32_e32 v0, 0
	global_store_dwordx2 v0, v[2:3], s[20:21]
	s_endpgm
.LBB635_93:
	v_cmp_gt_u32_e32 vcc, v8, v0
	v_cndmask_b32_e32 v13, v9, v11, vcc
	v_cndmask_b32_e32 v0, v10, v12, vcc
	v_add_co_u32_e32 v24, vcc, v13, v22
	v_addc_co_u32_e32 v25, vcc, 0, v0, vcc
	s_waitcnt lgkmcnt(3)
	global_store_dword v[24:25], v14, off
	s_or_b64 exec, exec, s[2:3]
	v_cmp_gt_u32_e32 vcc, s33, v21
	s_and_saveexec_b64 s[2:3], vcc
	s_cbranch_execz .LBB635_82
.LBB635_94:
	v_cmp_lt_u32_e32 vcc, v21, v8
	v_cndmask_b32_e32 v13, v9, v11, vcc
	v_cndmask_b32_e32 v0, v10, v12, vcc
	v_add_co_u32_e32 v24, vcc, v13, v22
	v_addc_co_u32_e32 v25, vcc, 0, v0, vcc
	s_waitcnt lgkmcnt(3)
	global_store_dword v[24:25], v15, off offset:1024
	s_or_b64 exec, exec, s[2:3]
	v_cmp_gt_u32_e32 vcc, s33, v20
	s_and_saveexec_b64 s[2:3], vcc
	s_cbranch_execz .LBB635_83
.LBB635_95:
	v_cmp_lt_u32_e32 vcc, v20, v8
	v_cndmask_b32_e32 v13, v9, v11, vcc
	v_cndmask_b32_e32 v0, v10, v12, vcc
	s_waitcnt lgkmcnt(3)
	v_add_co_u32_e32 v14, vcc, v13, v22
	v_addc_co_u32_e32 v15, vcc, 0, v0, vcc
	s_waitcnt lgkmcnt(2)
	global_store_dword v[14:15], v6, off offset:2048
	s_or_b64 exec, exec, s[2:3]
	v_cmp_gt_u32_e32 vcc, s33, v19
	s_and_saveexec_b64 s[2:3], vcc
	s_cbranch_execz .LBB635_84
.LBB635_96:
	v_cmp_lt_u32_e32 vcc, v19, v8
	s_waitcnt lgkmcnt(2)
	v_cndmask_b32_e32 v6, v9, v11, vcc
	v_cndmask_b32_e32 v0, v10, v12, vcc
	v_add_co_u32_e32 v14, vcc, v6, v22
	v_addc_co_u32_e32 v15, vcc, 0, v0, vcc
	global_store_dword v[14:15], v7, off offset:3072
	s_or_b64 exec, exec, s[2:3]
	v_cmp_gt_u32_e32 vcc, s33, v18
	s_and_saveexec_b64 s[2:3], vcc
	s_cbranch_execz .LBB635_85
.LBB635_97:
	v_cmp_lt_u32_e32 vcc, v18, v8
	s_waitcnt lgkmcnt(2)
	v_cndmask_b32_e32 v6, v9, v11, vcc
	v_lshlrev_b32_e32 v7, 2, v18
	v_cndmask_b32_e32 v0, v10, v12, vcc
	v_add_co_u32_e32 v6, vcc, v6, v7
	v_addc_co_u32_e32 v7, vcc, 0, v0, vcc
	s_waitcnt lgkmcnt(1)
	global_store_dword v[6:7], v4, off
	s_or_b64 exec, exec, s[2:3]
	v_cmp_gt_u32_e32 vcc, s33, v17
	s_and_saveexec_b64 s[2:3], vcc
	s_cbranch_execnz .LBB635_86
	s_branch .LBB635_87
	.section	.rodata,"a",@progbits
	.p2align	6, 0x0
	.amdhsa_kernel _ZN7rocprim17ROCPRIM_400000_NS6detail17trampoline_kernelINS0_14default_configENS1_25partition_config_selectorILNS1_17partition_subalgoE1EiNS0_10empty_typeEbEEZZNS1_14partition_implILS5_1ELb0ES3_jN6thrust23THRUST_200600_302600_NS6detail15normal_iteratorINSA_10device_ptrIiEEEEPS6_NSA_18transform_iteratorINSA_8identityIiEESF_NSA_11use_defaultESK_EENS0_5tupleIJSF_SF_EEENSM_IJSG_SG_EEES6_PlJS6_EEE10hipError_tPvRmT3_T4_T5_T6_T7_T9_mT8_P12ihipStream_tbDpT10_ENKUlT_T0_E_clISt17integral_constantIbLb0EES18_IbLb1EEEEDaS14_S15_EUlS14_E_NS1_11comp_targetILNS1_3genE4ELNS1_11target_archE910ELNS1_3gpuE8ELNS1_3repE0EEENS1_30default_config_static_selectorELNS0_4arch9wavefront6targetE1EEEvT1_
		.amdhsa_group_segment_fixed_size 7176
		.amdhsa_private_segment_fixed_size 0
		.amdhsa_kernarg_size 144
		.amdhsa_user_sgpr_count 6
		.amdhsa_user_sgpr_private_segment_buffer 1
		.amdhsa_user_sgpr_dispatch_ptr 0
		.amdhsa_user_sgpr_queue_ptr 0
		.amdhsa_user_sgpr_kernarg_segment_ptr 1
		.amdhsa_user_sgpr_dispatch_id 0
		.amdhsa_user_sgpr_flat_scratch_init 0
		.amdhsa_user_sgpr_kernarg_preload_length 0
		.amdhsa_user_sgpr_kernarg_preload_offset 0
		.amdhsa_user_sgpr_private_segment_size 0
		.amdhsa_uses_dynamic_stack 0
		.amdhsa_system_sgpr_private_segment_wavefront_offset 0
		.amdhsa_system_sgpr_workgroup_id_x 1
		.amdhsa_system_sgpr_workgroup_id_y 0
		.amdhsa_system_sgpr_workgroup_id_z 0
		.amdhsa_system_sgpr_workgroup_info 0
		.amdhsa_system_vgpr_workitem_id 0
		.amdhsa_next_free_vgpr 51
		.amdhsa_next_free_sgpr 44
		.amdhsa_accum_offset 52
		.amdhsa_reserve_vcc 1
		.amdhsa_reserve_flat_scratch 0
		.amdhsa_float_round_mode_32 0
		.amdhsa_float_round_mode_16_64 0
		.amdhsa_float_denorm_mode_32 3
		.amdhsa_float_denorm_mode_16_64 3
		.amdhsa_dx10_clamp 1
		.amdhsa_ieee_mode 1
		.amdhsa_fp16_overflow 0
		.amdhsa_tg_split 0
		.amdhsa_exception_fp_ieee_invalid_op 0
		.amdhsa_exception_fp_denorm_src 0
		.amdhsa_exception_fp_ieee_div_zero 0
		.amdhsa_exception_fp_ieee_overflow 0
		.amdhsa_exception_fp_ieee_underflow 0
		.amdhsa_exception_fp_ieee_inexact 0
		.amdhsa_exception_int_div_zero 0
	.end_amdhsa_kernel
	.section	.text._ZN7rocprim17ROCPRIM_400000_NS6detail17trampoline_kernelINS0_14default_configENS1_25partition_config_selectorILNS1_17partition_subalgoE1EiNS0_10empty_typeEbEEZZNS1_14partition_implILS5_1ELb0ES3_jN6thrust23THRUST_200600_302600_NS6detail15normal_iteratorINSA_10device_ptrIiEEEEPS6_NSA_18transform_iteratorINSA_8identityIiEESF_NSA_11use_defaultESK_EENS0_5tupleIJSF_SF_EEENSM_IJSG_SG_EEES6_PlJS6_EEE10hipError_tPvRmT3_T4_T5_T6_T7_T9_mT8_P12ihipStream_tbDpT10_ENKUlT_T0_E_clISt17integral_constantIbLb0EES18_IbLb1EEEEDaS14_S15_EUlS14_E_NS1_11comp_targetILNS1_3genE4ELNS1_11target_archE910ELNS1_3gpuE8ELNS1_3repE0EEENS1_30default_config_static_selectorELNS0_4arch9wavefront6targetE1EEEvT1_,"axG",@progbits,_ZN7rocprim17ROCPRIM_400000_NS6detail17trampoline_kernelINS0_14default_configENS1_25partition_config_selectorILNS1_17partition_subalgoE1EiNS0_10empty_typeEbEEZZNS1_14partition_implILS5_1ELb0ES3_jN6thrust23THRUST_200600_302600_NS6detail15normal_iteratorINSA_10device_ptrIiEEEEPS6_NSA_18transform_iteratorINSA_8identityIiEESF_NSA_11use_defaultESK_EENS0_5tupleIJSF_SF_EEENSM_IJSG_SG_EEES6_PlJS6_EEE10hipError_tPvRmT3_T4_T5_T6_T7_T9_mT8_P12ihipStream_tbDpT10_ENKUlT_T0_E_clISt17integral_constantIbLb0EES18_IbLb1EEEEDaS14_S15_EUlS14_E_NS1_11comp_targetILNS1_3genE4ELNS1_11target_archE910ELNS1_3gpuE8ELNS1_3repE0EEENS1_30default_config_static_selectorELNS0_4arch9wavefront6targetE1EEEvT1_,comdat
.Lfunc_end635:
	.size	_ZN7rocprim17ROCPRIM_400000_NS6detail17trampoline_kernelINS0_14default_configENS1_25partition_config_selectorILNS1_17partition_subalgoE1EiNS0_10empty_typeEbEEZZNS1_14partition_implILS5_1ELb0ES3_jN6thrust23THRUST_200600_302600_NS6detail15normal_iteratorINSA_10device_ptrIiEEEEPS6_NSA_18transform_iteratorINSA_8identityIiEESF_NSA_11use_defaultESK_EENS0_5tupleIJSF_SF_EEENSM_IJSG_SG_EEES6_PlJS6_EEE10hipError_tPvRmT3_T4_T5_T6_T7_T9_mT8_P12ihipStream_tbDpT10_ENKUlT_T0_E_clISt17integral_constantIbLb0EES18_IbLb1EEEEDaS14_S15_EUlS14_E_NS1_11comp_targetILNS1_3genE4ELNS1_11target_archE910ELNS1_3gpuE8ELNS1_3repE0EEENS1_30default_config_static_selectorELNS0_4arch9wavefront6targetE1EEEvT1_, .Lfunc_end635-_ZN7rocprim17ROCPRIM_400000_NS6detail17trampoline_kernelINS0_14default_configENS1_25partition_config_selectorILNS1_17partition_subalgoE1EiNS0_10empty_typeEbEEZZNS1_14partition_implILS5_1ELb0ES3_jN6thrust23THRUST_200600_302600_NS6detail15normal_iteratorINSA_10device_ptrIiEEEEPS6_NSA_18transform_iteratorINSA_8identityIiEESF_NSA_11use_defaultESK_EENS0_5tupleIJSF_SF_EEENSM_IJSG_SG_EEES6_PlJS6_EEE10hipError_tPvRmT3_T4_T5_T6_T7_T9_mT8_P12ihipStream_tbDpT10_ENKUlT_T0_E_clISt17integral_constantIbLb0EES18_IbLb1EEEEDaS14_S15_EUlS14_E_NS1_11comp_targetILNS1_3genE4ELNS1_11target_archE910ELNS1_3gpuE8ELNS1_3repE0EEENS1_30default_config_static_selectorELNS0_4arch9wavefront6targetE1EEEvT1_
                                        ; -- End function
	.section	.AMDGPU.csdata,"",@progbits
; Kernel info:
; codeLenInByte = 4868
; NumSgprs: 48
; NumVgprs: 51
; NumAgprs: 0
; TotalNumVgprs: 51
; ScratchSize: 0
; MemoryBound: 0
; FloatMode: 240
; IeeeMode: 1
; LDSByteSize: 7176 bytes/workgroup (compile time only)
; SGPRBlocks: 5
; VGPRBlocks: 6
; NumSGPRsForWavesPerEU: 48
; NumVGPRsForWavesPerEU: 51
; AccumOffset: 52
; Occupancy: 8
; WaveLimiterHint : 1
; COMPUTE_PGM_RSRC2:SCRATCH_EN: 0
; COMPUTE_PGM_RSRC2:USER_SGPR: 6
; COMPUTE_PGM_RSRC2:TRAP_HANDLER: 0
; COMPUTE_PGM_RSRC2:TGID_X_EN: 1
; COMPUTE_PGM_RSRC2:TGID_Y_EN: 0
; COMPUTE_PGM_RSRC2:TGID_Z_EN: 0
; COMPUTE_PGM_RSRC2:TIDIG_COMP_CNT: 0
; COMPUTE_PGM_RSRC3_GFX90A:ACCUM_OFFSET: 12
; COMPUTE_PGM_RSRC3_GFX90A:TG_SPLIT: 0
	.section	.text._ZN7rocprim17ROCPRIM_400000_NS6detail17trampoline_kernelINS0_14default_configENS1_25partition_config_selectorILNS1_17partition_subalgoE1EiNS0_10empty_typeEbEEZZNS1_14partition_implILS5_1ELb0ES3_jN6thrust23THRUST_200600_302600_NS6detail15normal_iteratorINSA_10device_ptrIiEEEEPS6_NSA_18transform_iteratorINSA_8identityIiEESF_NSA_11use_defaultESK_EENS0_5tupleIJSF_SF_EEENSM_IJSG_SG_EEES6_PlJS6_EEE10hipError_tPvRmT3_T4_T5_T6_T7_T9_mT8_P12ihipStream_tbDpT10_ENKUlT_T0_E_clISt17integral_constantIbLb0EES18_IbLb1EEEEDaS14_S15_EUlS14_E_NS1_11comp_targetILNS1_3genE3ELNS1_11target_archE908ELNS1_3gpuE7ELNS1_3repE0EEENS1_30default_config_static_selectorELNS0_4arch9wavefront6targetE1EEEvT1_,"axG",@progbits,_ZN7rocprim17ROCPRIM_400000_NS6detail17trampoline_kernelINS0_14default_configENS1_25partition_config_selectorILNS1_17partition_subalgoE1EiNS0_10empty_typeEbEEZZNS1_14partition_implILS5_1ELb0ES3_jN6thrust23THRUST_200600_302600_NS6detail15normal_iteratorINSA_10device_ptrIiEEEEPS6_NSA_18transform_iteratorINSA_8identityIiEESF_NSA_11use_defaultESK_EENS0_5tupleIJSF_SF_EEENSM_IJSG_SG_EEES6_PlJS6_EEE10hipError_tPvRmT3_T4_T5_T6_T7_T9_mT8_P12ihipStream_tbDpT10_ENKUlT_T0_E_clISt17integral_constantIbLb0EES18_IbLb1EEEEDaS14_S15_EUlS14_E_NS1_11comp_targetILNS1_3genE3ELNS1_11target_archE908ELNS1_3gpuE7ELNS1_3repE0EEENS1_30default_config_static_selectorELNS0_4arch9wavefront6targetE1EEEvT1_,comdat
	.protected	_ZN7rocprim17ROCPRIM_400000_NS6detail17trampoline_kernelINS0_14default_configENS1_25partition_config_selectorILNS1_17partition_subalgoE1EiNS0_10empty_typeEbEEZZNS1_14partition_implILS5_1ELb0ES3_jN6thrust23THRUST_200600_302600_NS6detail15normal_iteratorINSA_10device_ptrIiEEEEPS6_NSA_18transform_iteratorINSA_8identityIiEESF_NSA_11use_defaultESK_EENS0_5tupleIJSF_SF_EEENSM_IJSG_SG_EEES6_PlJS6_EEE10hipError_tPvRmT3_T4_T5_T6_T7_T9_mT8_P12ihipStream_tbDpT10_ENKUlT_T0_E_clISt17integral_constantIbLb0EES18_IbLb1EEEEDaS14_S15_EUlS14_E_NS1_11comp_targetILNS1_3genE3ELNS1_11target_archE908ELNS1_3gpuE7ELNS1_3repE0EEENS1_30default_config_static_selectorELNS0_4arch9wavefront6targetE1EEEvT1_ ; -- Begin function _ZN7rocprim17ROCPRIM_400000_NS6detail17trampoline_kernelINS0_14default_configENS1_25partition_config_selectorILNS1_17partition_subalgoE1EiNS0_10empty_typeEbEEZZNS1_14partition_implILS5_1ELb0ES3_jN6thrust23THRUST_200600_302600_NS6detail15normal_iteratorINSA_10device_ptrIiEEEEPS6_NSA_18transform_iteratorINSA_8identityIiEESF_NSA_11use_defaultESK_EENS0_5tupleIJSF_SF_EEENSM_IJSG_SG_EEES6_PlJS6_EEE10hipError_tPvRmT3_T4_T5_T6_T7_T9_mT8_P12ihipStream_tbDpT10_ENKUlT_T0_E_clISt17integral_constantIbLb0EES18_IbLb1EEEEDaS14_S15_EUlS14_E_NS1_11comp_targetILNS1_3genE3ELNS1_11target_archE908ELNS1_3gpuE7ELNS1_3repE0EEENS1_30default_config_static_selectorELNS0_4arch9wavefront6targetE1EEEvT1_
	.globl	_ZN7rocprim17ROCPRIM_400000_NS6detail17trampoline_kernelINS0_14default_configENS1_25partition_config_selectorILNS1_17partition_subalgoE1EiNS0_10empty_typeEbEEZZNS1_14partition_implILS5_1ELb0ES3_jN6thrust23THRUST_200600_302600_NS6detail15normal_iteratorINSA_10device_ptrIiEEEEPS6_NSA_18transform_iteratorINSA_8identityIiEESF_NSA_11use_defaultESK_EENS0_5tupleIJSF_SF_EEENSM_IJSG_SG_EEES6_PlJS6_EEE10hipError_tPvRmT3_T4_T5_T6_T7_T9_mT8_P12ihipStream_tbDpT10_ENKUlT_T0_E_clISt17integral_constantIbLb0EES18_IbLb1EEEEDaS14_S15_EUlS14_E_NS1_11comp_targetILNS1_3genE3ELNS1_11target_archE908ELNS1_3gpuE7ELNS1_3repE0EEENS1_30default_config_static_selectorELNS0_4arch9wavefront6targetE1EEEvT1_
	.p2align	8
	.type	_ZN7rocprim17ROCPRIM_400000_NS6detail17trampoline_kernelINS0_14default_configENS1_25partition_config_selectorILNS1_17partition_subalgoE1EiNS0_10empty_typeEbEEZZNS1_14partition_implILS5_1ELb0ES3_jN6thrust23THRUST_200600_302600_NS6detail15normal_iteratorINSA_10device_ptrIiEEEEPS6_NSA_18transform_iteratorINSA_8identityIiEESF_NSA_11use_defaultESK_EENS0_5tupleIJSF_SF_EEENSM_IJSG_SG_EEES6_PlJS6_EEE10hipError_tPvRmT3_T4_T5_T6_T7_T9_mT8_P12ihipStream_tbDpT10_ENKUlT_T0_E_clISt17integral_constantIbLb0EES18_IbLb1EEEEDaS14_S15_EUlS14_E_NS1_11comp_targetILNS1_3genE3ELNS1_11target_archE908ELNS1_3gpuE7ELNS1_3repE0EEENS1_30default_config_static_selectorELNS0_4arch9wavefront6targetE1EEEvT1_,@function
_ZN7rocprim17ROCPRIM_400000_NS6detail17trampoline_kernelINS0_14default_configENS1_25partition_config_selectorILNS1_17partition_subalgoE1EiNS0_10empty_typeEbEEZZNS1_14partition_implILS5_1ELb0ES3_jN6thrust23THRUST_200600_302600_NS6detail15normal_iteratorINSA_10device_ptrIiEEEEPS6_NSA_18transform_iteratorINSA_8identityIiEESF_NSA_11use_defaultESK_EENS0_5tupleIJSF_SF_EEENSM_IJSG_SG_EEES6_PlJS6_EEE10hipError_tPvRmT3_T4_T5_T6_T7_T9_mT8_P12ihipStream_tbDpT10_ENKUlT_T0_E_clISt17integral_constantIbLb0EES18_IbLb1EEEEDaS14_S15_EUlS14_E_NS1_11comp_targetILNS1_3genE3ELNS1_11target_archE908ELNS1_3gpuE7ELNS1_3repE0EEENS1_30default_config_static_selectorELNS0_4arch9wavefront6targetE1EEEvT1_: ; @_ZN7rocprim17ROCPRIM_400000_NS6detail17trampoline_kernelINS0_14default_configENS1_25partition_config_selectorILNS1_17partition_subalgoE1EiNS0_10empty_typeEbEEZZNS1_14partition_implILS5_1ELb0ES3_jN6thrust23THRUST_200600_302600_NS6detail15normal_iteratorINSA_10device_ptrIiEEEEPS6_NSA_18transform_iteratorINSA_8identityIiEESF_NSA_11use_defaultESK_EENS0_5tupleIJSF_SF_EEENSM_IJSG_SG_EEES6_PlJS6_EEE10hipError_tPvRmT3_T4_T5_T6_T7_T9_mT8_P12ihipStream_tbDpT10_ENKUlT_T0_E_clISt17integral_constantIbLb0EES18_IbLb1EEEEDaS14_S15_EUlS14_E_NS1_11comp_targetILNS1_3genE3ELNS1_11target_archE908ELNS1_3gpuE7ELNS1_3repE0EEENS1_30default_config_static_selectorELNS0_4arch9wavefront6targetE1EEEvT1_
; %bb.0:
	.section	.rodata,"a",@progbits
	.p2align	6, 0x0
	.amdhsa_kernel _ZN7rocprim17ROCPRIM_400000_NS6detail17trampoline_kernelINS0_14default_configENS1_25partition_config_selectorILNS1_17partition_subalgoE1EiNS0_10empty_typeEbEEZZNS1_14partition_implILS5_1ELb0ES3_jN6thrust23THRUST_200600_302600_NS6detail15normal_iteratorINSA_10device_ptrIiEEEEPS6_NSA_18transform_iteratorINSA_8identityIiEESF_NSA_11use_defaultESK_EENS0_5tupleIJSF_SF_EEENSM_IJSG_SG_EEES6_PlJS6_EEE10hipError_tPvRmT3_T4_T5_T6_T7_T9_mT8_P12ihipStream_tbDpT10_ENKUlT_T0_E_clISt17integral_constantIbLb0EES18_IbLb1EEEEDaS14_S15_EUlS14_E_NS1_11comp_targetILNS1_3genE3ELNS1_11target_archE908ELNS1_3gpuE7ELNS1_3repE0EEENS1_30default_config_static_selectorELNS0_4arch9wavefront6targetE1EEEvT1_
		.amdhsa_group_segment_fixed_size 0
		.amdhsa_private_segment_fixed_size 0
		.amdhsa_kernarg_size 144
		.amdhsa_user_sgpr_count 6
		.amdhsa_user_sgpr_private_segment_buffer 1
		.amdhsa_user_sgpr_dispatch_ptr 0
		.amdhsa_user_sgpr_queue_ptr 0
		.amdhsa_user_sgpr_kernarg_segment_ptr 1
		.amdhsa_user_sgpr_dispatch_id 0
		.amdhsa_user_sgpr_flat_scratch_init 0
		.amdhsa_user_sgpr_kernarg_preload_length 0
		.amdhsa_user_sgpr_kernarg_preload_offset 0
		.amdhsa_user_sgpr_private_segment_size 0
		.amdhsa_uses_dynamic_stack 0
		.amdhsa_system_sgpr_private_segment_wavefront_offset 0
		.amdhsa_system_sgpr_workgroup_id_x 1
		.amdhsa_system_sgpr_workgroup_id_y 0
		.amdhsa_system_sgpr_workgroup_id_z 0
		.amdhsa_system_sgpr_workgroup_info 0
		.amdhsa_system_vgpr_workitem_id 0
		.amdhsa_next_free_vgpr 1
		.amdhsa_next_free_sgpr 0
		.amdhsa_accum_offset 4
		.amdhsa_reserve_vcc 0
		.amdhsa_reserve_flat_scratch 0
		.amdhsa_float_round_mode_32 0
		.amdhsa_float_round_mode_16_64 0
		.amdhsa_float_denorm_mode_32 3
		.amdhsa_float_denorm_mode_16_64 3
		.amdhsa_dx10_clamp 1
		.amdhsa_ieee_mode 1
		.amdhsa_fp16_overflow 0
		.amdhsa_tg_split 0
		.amdhsa_exception_fp_ieee_invalid_op 0
		.amdhsa_exception_fp_denorm_src 0
		.amdhsa_exception_fp_ieee_div_zero 0
		.amdhsa_exception_fp_ieee_overflow 0
		.amdhsa_exception_fp_ieee_underflow 0
		.amdhsa_exception_fp_ieee_inexact 0
		.amdhsa_exception_int_div_zero 0
	.end_amdhsa_kernel
	.section	.text._ZN7rocprim17ROCPRIM_400000_NS6detail17trampoline_kernelINS0_14default_configENS1_25partition_config_selectorILNS1_17partition_subalgoE1EiNS0_10empty_typeEbEEZZNS1_14partition_implILS5_1ELb0ES3_jN6thrust23THRUST_200600_302600_NS6detail15normal_iteratorINSA_10device_ptrIiEEEEPS6_NSA_18transform_iteratorINSA_8identityIiEESF_NSA_11use_defaultESK_EENS0_5tupleIJSF_SF_EEENSM_IJSG_SG_EEES6_PlJS6_EEE10hipError_tPvRmT3_T4_T5_T6_T7_T9_mT8_P12ihipStream_tbDpT10_ENKUlT_T0_E_clISt17integral_constantIbLb0EES18_IbLb1EEEEDaS14_S15_EUlS14_E_NS1_11comp_targetILNS1_3genE3ELNS1_11target_archE908ELNS1_3gpuE7ELNS1_3repE0EEENS1_30default_config_static_selectorELNS0_4arch9wavefront6targetE1EEEvT1_,"axG",@progbits,_ZN7rocprim17ROCPRIM_400000_NS6detail17trampoline_kernelINS0_14default_configENS1_25partition_config_selectorILNS1_17partition_subalgoE1EiNS0_10empty_typeEbEEZZNS1_14partition_implILS5_1ELb0ES3_jN6thrust23THRUST_200600_302600_NS6detail15normal_iteratorINSA_10device_ptrIiEEEEPS6_NSA_18transform_iteratorINSA_8identityIiEESF_NSA_11use_defaultESK_EENS0_5tupleIJSF_SF_EEENSM_IJSG_SG_EEES6_PlJS6_EEE10hipError_tPvRmT3_T4_T5_T6_T7_T9_mT8_P12ihipStream_tbDpT10_ENKUlT_T0_E_clISt17integral_constantIbLb0EES18_IbLb1EEEEDaS14_S15_EUlS14_E_NS1_11comp_targetILNS1_3genE3ELNS1_11target_archE908ELNS1_3gpuE7ELNS1_3repE0EEENS1_30default_config_static_selectorELNS0_4arch9wavefront6targetE1EEEvT1_,comdat
.Lfunc_end636:
	.size	_ZN7rocprim17ROCPRIM_400000_NS6detail17trampoline_kernelINS0_14default_configENS1_25partition_config_selectorILNS1_17partition_subalgoE1EiNS0_10empty_typeEbEEZZNS1_14partition_implILS5_1ELb0ES3_jN6thrust23THRUST_200600_302600_NS6detail15normal_iteratorINSA_10device_ptrIiEEEEPS6_NSA_18transform_iteratorINSA_8identityIiEESF_NSA_11use_defaultESK_EENS0_5tupleIJSF_SF_EEENSM_IJSG_SG_EEES6_PlJS6_EEE10hipError_tPvRmT3_T4_T5_T6_T7_T9_mT8_P12ihipStream_tbDpT10_ENKUlT_T0_E_clISt17integral_constantIbLb0EES18_IbLb1EEEEDaS14_S15_EUlS14_E_NS1_11comp_targetILNS1_3genE3ELNS1_11target_archE908ELNS1_3gpuE7ELNS1_3repE0EEENS1_30default_config_static_selectorELNS0_4arch9wavefront6targetE1EEEvT1_, .Lfunc_end636-_ZN7rocprim17ROCPRIM_400000_NS6detail17trampoline_kernelINS0_14default_configENS1_25partition_config_selectorILNS1_17partition_subalgoE1EiNS0_10empty_typeEbEEZZNS1_14partition_implILS5_1ELb0ES3_jN6thrust23THRUST_200600_302600_NS6detail15normal_iteratorINSA_10device_ptrIiEEEEPS6_NSA_18transform_iteratorINSA_8identityIiEESF_NSA_11use_defaultESK_EENS0_5tupleIJSF_SF_EEENSM_IJSG_SG_EEES6_PlJS6_EEE10hipError_tPvRmT3_T4_T5_T6_T7_T9_mT8_P12ihipStream_tbDpT10_ENKUlT_T0_E_clISt17integral_constantIbLb0EES18_IbLb1EEEEDaS14_S15_EUlS14_E_NS1_11comp_targetILNS1_3genE3ELNS1_11target_archE908ELNS1_3gpuE7ELNS1_3repE0EEENS1_30default_config_static_selectorELNS0_4arch9wavefront6targetE1EEEvT1_
                                        ; -- End function
	.section	.AMDGPU.csdata,"",@progbits
; Kernel info:
; codeLenInByte = 0
; NumSgprs: 4
; NumVgprs: 0
; NumAgprs: 0
; TotalNumVgprs: 0
; ScratchSize: 0
; MemoryBound: 0
; FloatMode: 240
; IeeeMode: 1
; LDSByteSize: 0 bytes/workgroup (compile time only)
; SGPRBlocks: 0
; VGPRBlocks: 0
; NumSGPRsForWavesPerEU: 4
; NumVGPRsForWavesPerEU: 1
; AccumOffset: 4
; Occupancy: 8
; WaveLimiterHint : 0
; COMPUTE_PGM_RSRC2:SCRATCH_EN: 0
; COMPUTE_PGM_RSRC2:USER_SGPR: 6
; COMPUTE_PGM_RSRC2:TRAP_HANDLER: 0
; COMPUTE_PGM_RSRC2:TGID_X_EN: 1
; COMPUTE_PGM_RSRC2:TGID_Y_EN: 0
; COMPUTE_PGM_RSRC2:TGID_Z_EN: 0
; COMPUTE_PGM_RSRC2:TIDIG_COMP_CNT: 0
; COMPUTE_PGM_RSRC3_GFX90A:ACCUM_OFFSET: 0
; COMPUTE_PGM_RSRC3_GFX90A:TG_SPLIT: 0
	.section	.text._ZN7rocprim17ROCPRIM_400000_NS6detail17trampoline_kernelINS0_14default_configENS1_25partition_config_selectorILNS1_17partition_subalgoE1EiNS0_10empty_typeEbEEZZNS1_14partition_implILS5_1ELb0ES3_jN6thrust23THRUST_200600_302600_NS6detail15normal_iteratorINSA_10device_ptrIiEEEEPS6_NSA_18transform_iteratorINSA_8identityIiEESF_NSA_11use_defaultESK_EENS0_5tupleIJSF_SF_EEENSM_IJSG_SG_EEES6_PlJS6_EEE10hipError_tPvRmT3_T4_T5_T6_T7_T9_mT8_P12ihipStream_tbDpT10_ENKUlT_T0_E_clISt17integral_constantIbLb0EES18_IbLb1EEEEDaS14_S15_EUlS14_E_NS1_11comp_targetILNS1_3genE2ELNS1_11target_archE906ELNS1_3gpuE6ELNS1_3repE0EEENS1_30default_config_static_selectorELNS0_4arch9wavefront6targetE1EEEvT1_,"axG",@progbits,_ZN7rocprim17ROCPRIM_400000_NS6detail17trampoline_kernelINS0_14default_configENS1_25partition_config_selectorILNS1_17partition_subalgoE1EiNS0_10empty_typeEbEEZZNS1_14partition_implILS5_1ELb0ES3_jN6thrust23THRUST_200600_302600_NS6detail15normal_iteratorINSA_10device_ptrIiEEEEPS6_NSA_18transform_iteratorINSA_8identityIiEESF_NSA_11use_defaultESK_EENS0_5tupleIJSF_SF_EEENSM_IJSG_SG_EEES6_PlJS6_EEE10hipError_tPvRmT3_T4_T5_T6_T7_T9_mT8_P12ihipStream_tbDpT10_ENKUlT_T0_E_clISt17integral_constantIbLb0EES18_IbLb1EEEEDaS14_S15_EUlS14_E_NS1_11comp_targetILNS1_3genE2ELNS1_11target_archE906ELNS1_3gpuE6ELNS1_3repE0EEENS1_30default_config_static_selectorELNS0_4arch9wavefront6targetE1EEEvT1_,comdat
	.protected	_ZN7rocprim17ROCPRIM_400000_NS6detail17trampoline_kernelINS0_14default_configENS1_25partition_config_selectorILNS1_17partition_subalgoE1EiNS0_10empty_typeEbEEZZNS1_14partition_implILS5_1ELb0ES3_jN6thrust23THRUST_200600_302600_NS6detail15normal_iteratorINSA_10device_ptrIiEEEEPS6_NSA_18transform_iteratorINSA_8identityIiEESF_NSA_11use_defaultESK_EENS0_5tupleIJSF_SF_EEENSM_IJSG_SG_EEES6_PlJS6_EEE10hipError_tPvRmT3_T4_T5_T6_T7_T9_mT8_P12ihipStream_tbDpT10_ENKUlT_T0_E_clISt17integral_constantIbLb0EES18_IbLb1EEEEDaS14_S15_EUlS14_E_NS1_11comp_targetILNS1_3genE2ELNS1_11target_archE906ELNS1_3gpuE6ELNS1_3repE0EEENS1_30default_config_static_selectorELNS0_4arch9wavefront6targetE1EEEvT1_ ; -- Begin function _ZN7rocprim17ROCPRIM_400000_NS6detail17trampoline_kernelINS0_14default_configENS1_25partition_config_selectorILNS1_17partition_subalgoE1EiNS0_10empty_typeEbEEZZNS1_14partition_implILS5_1ELb0ES3_jN6thrust23THRUST_200600_302600_NS6detail15normal_iteratorINSA_10device_ptrIiEEEEPS6_NSA_18transform_iteratorINSA_8identityIiEESF_NSA_11use_defaultESK_EENS0_5tupleIJSF_SF_EEENSM_IJSG_SG_EEES6_PlJS6_EEE10hipError_tPvRmT3_T4_T5_T6_T7_T9_mT8_P12ihipStream_tbDpT10_ENKUlT_T0_E_clISt17integral_constantIbLb0EES18_IbLb1EEEEDaS14_S15_EUlS14_E_NS1_11comp_targetILNS1_3genE2ELNS1_11target_archE906ELNS1_3gpuE6ELNS1_3repE0EEENS1_30default_config_static_selectorELNS0_4arch9wavefront6targetE1EEEvT1_
	.globl	_ZN7rocprim17ROCPRIM_400000_NS6detail17trampoline_kernelINS0_14default_configENS1_25partition_config_selectorILNS1_17partition_subalgoE1EiNS0_10empty_typeEbEEZZNS1_14partition_implILS5_1ELb0ES3_jN6thrust23THRUST_200600_302600_NS6detail15normal_iteratorINSA_10device_ptrIiEEEEPS6_NSA_18transform_iteratorINSA_8identityIiEESF_NSA_11use_defaultESK_EENS0_5tupleIJSF_SF_EEENSM_IJSG_SG_EEES6_PlJS6_EEE10hipError_tPvRmT3_T4_T5_T6_T7_T9_mT8_P12ihipStream_tbDpT10_ENKUlT_T0_E_clISt17integral_constantIbLb0EES18_IbLb1EEEEDaS14_S15_EUlS14_E_NS1_11comp_targetILNS1_3genE2ELNS1_11target_archE906ELNS1_3gpuE6ELNS1_3repE0EEENS1_30default_config_static_selectorELNS0_4arch9wavefront6targetE1EEEvT1_
	.p2align	8
	.type	_ZN7rocprim17ROCPRIM_400000_NS6detail17trampoline_kernelINS0_14default_configENS1_25partition_config_selectorILNS1_17partition_subalgoE1EiNS0_10empty_typeEbEEZZNS1_14partition_implILS5_1ELb0ES3_jN6thrust23THRUST_200600_302600_NS6detail15normal_iteratorINSA_10device_ptrIiEEEEPS6_NSA_18transform_iteratorINSA_8identityIiEESF_NSA_11use_defaultESK_EENS0_5tupleIJSF_SF_EEENSM_IJSG_SG_EEES6_PlJS6_EEE10hipError_tPvRmT3_T4_T5_T6_T7_T9_mT8_P12ihipStream_tbDpT10_ENKUlT_T0_E_clISt17integral_constantIbLb0EES18_IbLb1EEEEDaS14_S15_EUlS14_E_NS1_11comp_targetILNS1_3genE2ELNS1_11target_archE906ELNS1_3gpuE6ELNS1_3repE0EEENS1_30default_config_static_selectorELNS0_4arch9wavefront6targetE1EEEvT1_,@function
_ZN7rocprim17ROCPRIM_400000_NS6detail17trampoline_kernelINS0_14default_configENS1_25partition_config_selectorILNS1_17partition_subalgoE1EiNS0_10empty_typeEbEEZZNS1_14partition_implILS5_1ELb0ES3_jN6thrust23THRUST_200600_302600_NS6detail15normal_iteratorINSA_10device_ptrIiEEEEPS6_NSA_18transform_iteratorINSA_8identityIiEESF_NSA_11use_defaultESK_EENS0_5tupleIJSF_SF_EEENSM_IJSG_SG_EEES6_PlJS6_EEE10hipError_tPvRmT3_T4_T5_T6_T7_T9_mT8_P12ihipStream_tbDpT10_ENKUlT_T0_E_clISt17integral_constantIbLb0EES18_IbLb1EEEEDaS14_S15_EUlS14_E_NS1_11comp_targetILNS1_3genE2ELNS1_11target_archE906ELNS1_3gpuE6ELNS1_3repE0EEENS1_30default_config_static_selectorELNS0_4arch9wavefront6targetE1EEEvT1_: ; @_ZN7rocprim17ROCPRIM_400000_NS6detail17trampoline_kernelINS0_14default_configENS1_25partition_config_selectorILNS1_17partition_subalgoE1EiNS0_10empty_typeEbEEZZNS1_14partition_implILS5_1ELb0ES3_jN6thrust23THRUST_200600_302600_NS6detail15normal_iteratorINSA_10device_ptrIiEEEEPS6_NSA_18transform_iteratorINSA_8identityIiEESF_NSA_11use_defaultESK_EENS0_5tupleIJSF_SF_EEENSM_IJSG_SG_EEES6_PlJS6_EEE10hipError_tPvRmT3_T4_T5_T6_T7_T9_mT8_P12ihipStream_tbDpT10_ENKUlT_T0_E_clISt17integral_constantIbLb0EES18_IbLb1EEEEDaS14_S15_EUlS14_E_NS1_11comp_targetILNS1_3genE2ELNS1_11target_archE906ELNS1_3gpuE6ELNS1_3repE0EEENS1_30default_config_static_selectorELNS0_4arch9wavefront6targetE1EEEvT1_
; %bb.0:
	.section	.rodata,"a",@progbits
	.p2align	6, 0x0
	.amdhsa_kernel _ZN7rocprim17ROCPRIM_400000_NS6detail17trampoline_kernelINS0_14default_configENS1_25partition_config_selectorILNS1_17partition_subalgoE1EiNS0_10empty_typeEbEEZZNS1_14partition_implILS5_1ELb0ES3_jN6thrust23THRUST_200600_302600_NS6detail15normal_iteratorINSA_10device_ptrIiEEEEPS6_NSA_18transform_iteratorINSA_8identityIiEESF_NSA_11use_defaultESK_EENS0_5tupleIJSF_SF_EEENSM_IJSG_SG_EEES6_PlJS6_EEE10hipError_tPvRmT3_T4_T5_T6_T7_T9_mT8_P12ihipStream_tbDpT10_ENKUlT_T0_E_clISt17integral_constantIbLb0EES18_IbLb1EEEEDaS14_S15_EUlS14_E_NS1_11comp_targetILNS1_3genE2ELNS1_11target_archE906ELNS1_3gpuE6ELNS1_3repE0EEENS1_30default_config_static_selectorELNS0_4arch9wavefront6targetE1EEEvT1_
		.amdhsa_group_segment_fixed_size 0
		.amdhsa_private_segment_fixed_size 0
		.amdhsa_kernarg_size 144
		.amdhsa_user_sgpr_count 6
		.amdhsa_user_sgpr_private_segment_buffer 1
		.amdhsa_user_sgpr_dispatch_ptr 0
		.amdhsa_user_sgpr_queue_ptr 0
		.amdhsa_user_sgpr_kernarg_segment_ptr 1
		.amdhsa_user_sgpr_dispatch_id 0
		.amdhsa_user_sgpr_flat_scratch_init 0
		.amdhsa_user_sgpr_kernarg_preload_length 0
		.amdhsa_user_sgpr_kernarg_preload_offset 0
		.amdhsa_user_sgpr_private_segment_size 0
		.amdhsa_uses_dynamic_stack 0
		.amdhsa_system_sgpr_private_segment_wavefront_offset 0
		.amdhsa_system_sgpr_workgroup_id_x 1
		.amdhsa_system_sgpr_workgroup_id_y 0
		.amdhsa_system_sgpr_workgroup_id_z 0
		.amdhsa_system_sgpr_workgroup_info 0
		.amdhsa_system_vgpr_workitem_id 0
		.amdhsa_next_free_vgpr 1
		.amdhsa_next_free_sgpr 0
		.amdhsa_accum_offset 4
		.amdhsa_reserve_vcc 0
		.amdhsa_reserve_flat_scratch 0
		.amdhsa_float_round_mode_32 0
		.amdhsa_float_round_mode_16_64 0
		.amdhsa_float_denorm_mode_32 3
		.amdhsa_float_denorm_mode_16_64 3
		.amdhsa_dx10_clamp 1
		.amdhsa_ieee_mode 1
		.amdhsa_fp16_overflow 0
		.amdhsa_tg_split 0
		.amdhsa_exception_fp_ieee_invalid_op 0
		.amdhsa_exception_fp_denorm_src 0
		.amdhsa_exception_fp_ieee_div_zero 0
		.amdhsa_exception_fp_ieee_overflow 0
		.amdhsa_exception_fp_ieee_underflow 0
		.amdhsa_exception_fp_ieee_inexact 0
		.amdhsa_exception_int_div_zero 0
	.end_amdhsa_kernel
	.section	.text._ZN7rocprim17ROCPRIM_400000_NS6detail17trampoline_kernelINS0_14default_configENS1_25partition_config_selectorILNS1_17partition_subalgoE1EiNS0_10empty_typeEbEEZZNS1_14partition_implILS5_1ELb0ES3_jN6thrust23THRUST_200600_302600_NS6detail15normal_iteratorINSA_10device_ptrIiEEEEPS6_NSA_18transform_iteratorINSA_8identityIiEESF_NSA_11use_defaultESK_EENS0_5tupleIJSF_SF_EEENSM_IJSG_SG_EEES6_PlJS6_EEE10hipError_tPvRmT3_T4_T5_T6_T7_T9_mT8_P12ihipStream_tbDpT10_ENKUlT_T0_E_clISt17integral_constantIbLb0EES18_IbLb1EEEEDaS14_S15_EUlS14_E_NS1_11comp_targetILNS1_3genE2ELNS1_11target_archE906ELNS1_3gpuE6ELNS1_3repE0EEENS1_30default_config_static_selectorELNS0_4arch9wavefront6targetE1EEEvT1_,"axG",@progbits,_ZN7rocprim17ROCPRIM_400000_NS6detail17trampoline_kernelINS0_14default_configENS1_25partition_config_selectorILNS1_17partition_subalgoE1EiNS0_10empty_typeEbEEZZNS1_14partition_implILS5_1ELb0ES3_jN6thrust23THRUST_200600_302600_NS6detail15normal_iteratorINSA_10device_ptrIiEEEEPS6_NSA_18transform_iteratorINSA_8identityIiEESF_NSA_11use_defaultESK_EENS0_5tupleIJSF_SF_EEENSM_IJSG_SG_EEES6_PlJS6_EEE10hipError_tPvRmT3_T4_T5_T6_T7_T9_mT8_P12ihipStream_tbDpT10_ENKUlT_T0_E_clISt17integral_constantIbLb0EES18_IbLb1EEEEDaS14_S15_EUlS14_E_NS1_11comp_targetILNS1_3genE2ELNS1_11target_archE906ELNS1_3gpuE6ELNS1_3repE0EEENS1_30default_config_static_selectorELNS0_4arch9wavefront6targetE1EEEvT1_,comdat
.Lfunc_end637:
	.size	_ZN7rocprim17ROCPRIM_400000_NS6detail17trampoline_kernelINS0_14default_configENS1_25partition_config_selectorILNS1_17partition_subalgoE1EiNS0_10empty_typeEbEEZZNS1_14partition_implILS5_1ELb0ES3_jN6thrust23THRUST_200600_302600_NS6detail15normal_iteratorINSA_10device_ptrIiEEEEPS6_NSA_18transform_iteratorINSA_8identityIiEESF_NSA_11use_defaultESK_EENS0_5tupleIJSF_SF_EEENSM_IJSG_SG_EEES6_PlJS6_EEE10hipError_tPvRmT3_T4_T5_T6_T7_T9_mT8_P12ihipStream_tbDpT10_ENKUlT_T0_E_clISt17integral_constantIbLb0EES18_IbLb1EEEEDaS14_S15_EUlS14_E_NS1_11comp_targetILNS1_3genE2ELNS1_11target_archE906ELNS1_3gpuE6ELNS1_3repE0EEENS1_30default_config_static_selectorELNS0_4arch9wavefront6targetE1EEEvT1_, .Lfunc_end637-_ZN7rocprim17ROCPRIM_400000_NS6detail17trampoline_kernelINS0_14default_configENS1_25partition_config_selectorILNS1_17partition_subalgoE1EiNS0_10empty_typeEbEEZZNS1_14partition_implILS5_1ELb0ES3_jN6thrust23THRUST_200600_302600_NS6detail15normal_iteratorINSA_10device_ptrIiEEEEPS6_NSA_18transform_iteratorINSA_8identityIiEESF_NSA_11use_defaultESK_EENS0_5tupleIJSF_SF_EEENSM_IJSG_SG_EEES6_PlJS6_EEE10hipError_tPvRmT3_T4_T5_T6_T7_T9_mT8_P12ihipStream_tbDpT10_ENKUlT_T0_E_clISt17integral_constantIbLb0EES18_IbLb1EEEEDaS14_S15_EUlS14_E_NS1_11comp_targetILNS1_3genE2ELNS1_11target_archE906ELNS1_3gpuE6ELNS1_3repE0EEENS1_30default_config_static_selectorELNS0_4arch9wavefront6targetE1EEEvT1_
                                        ; -- End function
	.section	.AMDGPU.csdata,"",@progbits
; Kernel info:
; codeLenInByte = 0
; NumSgprs: 4
; NumVgprs: 0
; NumAgprs: 0
; TotalNumVgprs: 0
; ScratchSize: 0
; MemoryBound: 0
; FloatMode: 240
; IeeeMode: 1
; LDSByteSize: 0 bytes/workgroup (compile time only)
; SGPRBlocks: 0
; VGPRBlocks: 0
; NumSGPRsForWavesPerEU: 4
; NumVGPRsForWavesPerEU: 1
; AccumOffset: 4
; Occupancy: 8
; WaveLimiterHint : 0
; COMPUTE_PGM_RSRC2:SCRATCH_EN: 0
; COMPUTE_PGM_RSRC2:USER_SGPR: 6
; COMPUTE_PGM_RSRC2:TRAP_HANDLER: 0
; COMPUTE_PGM_RSRC2:TGID_X_EN: 1
; COMPUTE_PGM_RSRC2:TGID_Y_EN: 0
; COMPUTE_PGM_RSRC2:TGID_Z_EN: 0
; COMPUTE_PGM_RSRC2:TIDIG_COMP_CNT: 0
; COMPUTE_PGM_RSRC3_GFX90A:ACCUM_OFFSET: 0
; COMPUTE_PGM_RSRC3_GFX90A:TG_SPLIT: 0
	.section	.text._ZN7rocprim17ROCPRIM_400000_NS6detail17trampoline_kernelINS0_14default_configENS1_25partition_config_selectorILNS1_17partition_subalgoE1EiNS0_10empty_typeEbEEZZNS1_14partition_implILS5_1ELb0ES3_jN6thrust23THRUST_200600_302600_NS6detail15normal_iteratorINSA_10device_ptrIiEEEEPS6_NSA_18transform_iteratorINSA_8identityIiEESF_NSA_11use_defaultESK_EENS0_5tupleIJSF_SF_EEENSM_IJSG_SG_EEES6_PlJS6_EEE10hipError_tPvRmT3_T4_T5_T6_T7_T9_mT8_P12ihipStream_tbDpT10_ENKUlT_T0_E_clISt17integral_constantIbLb0EES18_IbLb1EEEEDaS14_S15_EUlS14_E_NS1_11comp_targetILNS1_3genE10ELNS1_11target_archE1200ELNS1_3gpuE4ELNS1_3repE0EEENS1_30default_config_static_selectorELNS0_4arch9wavefront6targetE1EEEvT1_,"axG",@progbits,_ZN7rocprim17ROCPRIM_400000_NS6detail17trampoline_kernelINS0_14default_configENS1_25partition_config_selectorILNS1_17partition_subalgoE1EiNS0_10empty_typeEbEEZZNS1_14partition_implILS5_1ELb0ES3_jN6thrust23THRUST_200600_302600_NS6detail15normal_iteratorINSA_10device_ptrIiEEEEPS6_NSA_18transform_iteratorINSA_8identityIiEESF_NSA_11use_defaultESK_EENS0_5tupleIJSF_SF_EEENSM_IJSG_SG_EEES6_PlJS6_EEE10hipError_tPvRmT3_T4_T5_T6_T7_T9_mT8_P12ihipStream_tbDpT10_ENKUlT_T0_E_clISt17integral_constantIbLb0EES18_IbLb1EEEEDaS14_S15_EUlS14_E_NS1_11comp_targetILNS1_3genE10ELNS1_11target_archE1200ELNS1_3gpuE4ELNS1_3repE0EEENS1_30default_config_static_selectorELNS0_4arch9wavefront6targetE1EEEvT1_,comdat
	.protected	_ZN7rocprim17ROCPRIM_400000_NS6detail17trampoline_kernelINS0_14default_configENS1_25partition_config_selectorILNS1_17partition_subalgoE1EiNS0_10empty_typeEbEEZZNS1_14partition_implILS5_1ELb0ES3_jN6thrust23THRUST_200600_302600_NS6detail15normal_iteratorINSA_10device_ptrIiEEEEPS6_NSA_18transform_iteratorINSA_8identityIiEESF_NSA_11use_defaultESK_EENS0_5tupleIJSF_SF_EEENSM_IJSG_SG_EEES6_PlJS6_EEE10hipError_tPvRmT3_T4_T5_T6_T7_T9_mT8_P12ihipStream_tbDpT10_ENKUlT_T0_E_clISt17integral_constantIbLb0EES18_IbLb1EEEEDaS14_S15_EUlS14_E_NS1_11comp_targetILNS1_3genE10ELNS1_11target_archE1200ELNS1_3gpuE4ELNS1_3repE0EEENS1_30default_config_static_selectorELNS0_4arch9wavefront6targetE1EEEvT1_ ; -- Begin function _ZN7rocprim17ROCPRIM_400000_NS6detail17trampoline_kernelINS0_14default_configENS1_25partition_config_selectorILNS1_17partition_subalgoE1EiNS0_10empty_typeEbEEZZNS1_14partition_implILS5_1ELb0ES3_jN6thrust23THRUST_200600_302600_NS6detail15normal_iteratorINSA_10device_ptrIiEEEEPS6_NSA_18transform_iteratorINSA_8identityIiEESF_NSA_11use_defaultESK_EENS0_5tupleIJSF_SF_EEENSM_IJSG_SG_EEES6_PlJS6_EEE10hipError_tPvRmT3_T4_T5_T6_T7_T9_mT8_P12ihipStream_tbDpT10_ENKUlT_T0_E_clISt17integral_constantIbLb0EES18_IbLb1EEEEDaS14_S15_EUlS14_E_NS1_11comp_targetILNS1_3genE10ELNS1_11target_archE1200ELNS1_3gpuE4ELNS1_3repE0EEENS1_30default_config_static_selectorELNS0_4arch9wavefront6targetE1EEEvT1_
	.globl	_ZN7rocprim17ROCPRIM_400000_NS6detail17trampoline_kernelINS0_14default_configENS1_25partition_config_selectorILNS1_17partition_subalgoE1EiNS0_10empty_typeEbEEZZNS1_14partition_implILS5_1ELb0ES3_jN6thrust23THRUST_200600_302600_NS6detail15normal_iteratorINSA_10device_ptrIiEEEEPS6_NSA_18transform_iteratorINSA_8identityIiEESF_NSA_11use_defaultESK_EENS0_5tupleIJSF_SF_EEENSM_IJSG_SG_EEES6_PlJS6_EEE10hipError_tPvRmT3_T4_T5_T6_T7_T9_mT8_P12ihipStream_tbDpT10_ENKUlT_T0_E_clISt17integral_constantIbLb0EES18_IbLb1EEEEDaS14_S15_EUlS14_E_NS1_11comp_targetILNS1_3genE10ELNS1_11target_archE1200ELNS1_3gpuE4ELNS1_3repE0EEENS1_30default_config_static_selectorELNS0_4arch9wavefront6targetE1EEEvT1_
	.p2align	8
	.type	_ZN7rocprim17ROCPRIM_400000_NS6detail17trampoline_kernelINS0_14default_configENS1_25partition_config_selectorILNS1_17partition_subalgoE1EiNS0_10empty_typeEbEEZZNS1_14partition_implILS5_1ELb0ES3_jN6thrust23THRUST_200600_302600_NS6detail15normal_iteratorINSA_10device_ptrIiEEEEPS6_NSA_18transform_iteratorINSA_8identityIiEESF_NSA_11use_defaultESK_EENS0_5tupleIJSF_SF_EEENSM_IJSG_SG_EEES6_PlJS6_EEE10hipError_tPvRmT3_T4_T5_T6_T7_T9_mT8_P12ihipStream_tbDpT10_ENKUlT_T0_E_clISt17integral_constantIbLb0EES18_IbLb1EEEEDaS14_S15_EUlS14_E_NS1_11comp_targetILNS1_3genE10ELNS1_11target_archE1200ELNS1_3gpuE4ELNS1_3repE0EEENS1_30default_config_static_selectorELNS0_4arch9wavefront6targetE1EEEvT1_,@function
_ZN7rocprim17ROCPRIM_400000_NS6detail17trampoline_kernelINS0_14default_configENS1_25partition_config_selectorILNS1_17partition_subalgoE1EiNS0_10empty_typeEbEEZZNS1_14partition_implILS5_1ELb0ES3_jN6thrust23THRUST_200600_302600_NS6detail15normal_iteratorINSA_10device_ptrIiEEEEPS6_NSA_18transform_iteratorINSA_8identityIiEESF_NSA_11use_defaultESK_EENS0_5tupleIJSF_SF_EEENSM_IJSG_SG_EEES6_PlJS6_EEE10hipError_tPvRmT3_T4_T5_T6_T7_T9_mT8_P12ihipStream_tbDpT10_ENKUlT_T0_E_clISt17integral_constantIbLb0EES18_IbLb1EEEEDaS14_S15_EUlS14_E_NS1_11comp_targetILNS1_3genE10ELNS1_11target_archE1200ELNS1_3gpuE4ELNS1_3repE0EEENS1_30default_config_static_selectorELNS0_4arch9wavefront6targetE1EEEvT1_: ; @_ZN7rocprim17ROCPRIM_400000_NS6detail17trampoline_kernelINS0_14default_configENS1_25partition_config_selectorILNS1_17partition_subalgoE1EiNS0_10empty_typeEbEEZZNS1_14partition_implILS5_1ELb0ES3_jN6thrust23THRUST_200600_302600_NS6detail15normal_iteratorINSA_10device_ptrIiEEEEPS6_NSA_18transform_iteratorINSA_8identityIiEESF_NSA_11use_defaultESK_EENS0_5tupleIJSF_SF_EEENSM_IJSG_SG_EEES6_PlJS6_EEE10hipError_tPvRmT3_T4_T5_T6_T7_T9_mT8_P12ihipStream_tbDpT10_ENKUlT_T0_E_clISt17integral_constantIbLb0EES18_IbLb1EEEEDaS14_S15_EUlS14_E_NS1_11comp_targetILNS1_3genE10ELNS1_11target_archE1200ELNS1_3gpuE4ELNS1_3repE0EEENS1_30default_config_static_selectorELNS0_4arch9wavefront6targetE1EEEvT1_
; %bb.0:
	.section	.rodata,"a",@progbits
	.p2align	6, 0x0
	.amdhsa_kernel _ZN7rocprim17ROCPRIM_400000_NS6detail17trampoline_kernelINS0_14default_configENS1_25partition_config_selectorILNS1_17partition_subalgoE1EiNS0_10empty_typeEbEEZZNS1_14partition_implILS5_1ELb0ES3_jN6thrust23THRUST_200600_302600_NS6detail15normal_iteratorINSA_10device_ptrIiEEEEPS6_NSA_18transform_iteratorINSA_8identityIiEESF_NSA_11use_defaultESK_EENS0_5tupleIJSF_SF_EEENSM_IJSG_SG_EEES6_PlJS6_EEE10hipError_tPvRmT3_T4_T5_T6_T7_T9_mT8_P12ihipStream_tbDpT10_ENKUlT_T0_E_clISt17integral_constantIbLb0EES18_IbLb1EEEEDaS14_S15_EUlS14_E_NS1_11comp_targetILNS1_3genE10ELNS1_11target_archE1200ELNS1_3gpuE4ELNS1_3repE0EEENS1_30default_config_static_selectorELNS0_4arch9wavefront6targetE1EEEvT1_
		.amdhsa_group_segment_fixed_size 0
		.amdhsa_private_segment_fixed_size 0
		.amdhsa_kernarg_size 144
		.amdhsa_user_sgpr_count 6
		.amdhsa_user_sgpr_private_segment_buffer 1
		.amdhsa_user_sgpr_dispatch_ptr 0
		.amdhsa_user_sgpr_queue_ptr 0
		.amdhsa_user_sgpr_kernarg_segment_ptr 1
		.amdhsa_user_sgpr_dispatch_id 0
		.amdhsa_user_sgpr_flat_scratch_init 0
		.amdhsa_user_sgpr_kernarg_preload_length 0
		.amdhsa_user_sgpr_kernarg_preload_offset 0
		.amdhsa_user_sgpr_private_segment_size 0
		.amdhsa_uses_dynamic_stack 0
		.amdhsa_system_sgpr_private_segment_wavefront_offset 0
		.amdhsa_system_sgpr_workgroup_id_x 1
		.amdhsa_system_sgpr_workgroup_id_y 0
		.amdhsa_system_sgpr_workgroup_id_z 0
		.amdhsa_system_sgpr_workgroup_info 0
		.amdhsa_system_vgpr_workitem_id 0
		.amdhsa_next_free_vgpr 1
		.amdhsa_next_free_sgpr 0
		.amdhsa_accum_offset 4
		.amdhsa_reserve_vcc 0
		.amdhsa_reserve_flat_scratch 0
		.amdhsa_float_round_mode_32 0
		.amdhsa_float_round_mode_16_64 0
		.amdhsa_float_denorm_mode_32 3
		.amdhsa_float_denorm_mode_16_64 3
		.amdhsa_dx10_clamp 1
		.amdhsa_ieee_mode 1
		.amdhsa_fp16_overflow 0
		.amdhsa_tg_split 0
		.amdhsa_exception_fp_ieee_invalid_op 0
		.amdhsa_exception_fp_denorm_src 0
		.amdhsa_exception_fp_ieee_div_zero 0
		.amdhsa_exception_fp_ieee_overflow 0
		.amdhsa_exception_fp_ieee_underflow 0
		.amdhsa_exception_fp_ieee_inexact 0
		.amdhsa_exception_int_div_zero 0
	.end_amdhsa_kernel
	.section	.text._ZN7rocprim17ROCPRIM_400000_NS6detail17trampoline_kernelINS0_14default_configENS1_25partition_config_selectorILNS1_17partition_subalgoE1EiNS0_10empty_typeEbEEZZNS1_14partition_implILS5_1ELb0ES3_jN6thrust23THRUST_200600_302600_NS6detail15normal_iteratorINSA_10device_ptrIiEEEEPS6_NSA_18transform_iteratorINSA_8identityIiEESF_NSA_11use_defaultESK_EENS0_5tupleIJSF_SF_EEENSM_IJSG_SG_EEES6_PlJS6_EEE10hipError_tPvRmT3_T4_T5_T6_T7_T9_mT8_P12ihipStream_tbDpT10_ENKUlT_T0_E_clISt17integral_constantIbLb0EES18_IbLb1EEEEDaS14_S15_EUlS14_E_NS1_11comp_targetILNS1_3genE10ELNS1_11target_archE1200ELNS1_3gpuE4ELNS1_3repE0EEENS1_30default_config_static_selectorELNS0_4arch9wavefront6targetE1EEEvT1_,"axG",@progbits,_ZN7rocprim17ROCPRIM_400000_NS6detail17trampoline_kernelINS0_14default_configENS1_25partition_config_selectorILNS1_17partition_subalgoE1EiNS0_10empty_typeEbEEZZNS1_14partition_implILS5_1ELb0ES3_jN6thrust23THRUST_200600_302600_NS6detail15normal_iteratorINSA_10device_ptrIiEEEEPS6_NSA_18transform_iteratorINSA_8identityIiEESF_NSA_11use_defaultESK_EENS0_5tupleIJSF_SF_EEENSM_IJSG_SG_EEES6_PlJS6_EEE10hipError_tPvRmT3_T4_T5_T6_T7_T9_mT8_P12ihipStream_tbDpT10_ENKUlT_T0_E_clISt17integral_constantIbLb0EES18_IbLb1EEEEDaS14_S15_EUlS14_E_NS1_11comp_targetILNS1_3genE10ELNS1_11target_archE1200ELNS1_3gpuE4ELNS1_3repE0EEENS1_30default_config_static_selectorELNS0_4arch9wavefront6targetE1EEEvT1_,comdat
.Lfunc_end638:
	.size	_ZN7rocprim17ROCPRIM_400000_NS6detail17trampoline_kernelINS0_14default_configENS1_25partition_config_selectorILNS1_17partition_subalgoE1EiNS0_10empty_typeEbEEZZNS1_14partition_implILS5_1ELb0ES3_jN6thrust23THRUST_200600_302600_NS6detail15normal_iteratorINSA_10device_ptrIiEEEEPS6_NSA_18transform_iteratorINSA_8identityIiEESF_NSA_11use_defaultESK_EENS0_5tupleIJSF_SF_EEENSM_IJSG_SG_EEES6_PlJS6_EEE10hipError_tPvRmT3_T4_T5_T6_T7_T9_mT8_P12ihipStream_tbDpT10_ENKUlT_T0_E_clISt17integral_constantIbLb0EES18_IbLb1EEEEDaS14_S15_EUlS14_E_NS1_11comp_targetILNS1_3genE10ELNS1_11target_archE1200ELNS1_3gpuE4ELNS1_3repE0EEENS1_30default_config_static_selectorELNS0_4arch9wavefront6targetE1EEEvT1_, .Lfunc_end638-_ZN7rocprim17ROCPRIM_400000_NS6detail17trampoline_kernelINS0_14default_configENS1_25partition_config_selectorILNS1_17partition_subalgoE1EiNS0_10empty_typeEbEEZZNS1_14partition_implILS5_1ELb0ES3_jN6thrust23THRUST_200600_302600_NS6detail15normal_iteratorINSA_10device_ptrIiEEEEPS6_NSA_18transform_iteratorINSA_8identityIiEESF_NSA_11use_defaultESK_EENS0_5tupleIJSF_SF_EEENSM_IJSG_SG_EEES6_PlJS6_EEE10hipError_tPvRmT3_T4_T5_T6_T7_T9_mT8_P12ihipStream_tbDpT10_ENKUlT_T0_E_clISt17integral_constantIbLb0EES18_IbLb1EEEEDaS14_S15_EUlS14_E_NS1_11comp_targetILNS1_3genE10ELNS1_11target_archE1200ELNS1_3gpuE4ELNS1_3repE0EEENS1_30default_config_static_selectorELNS0_4arch9wavefront6targetE1EEEvT1_
                                        ; -- End function
	.section	.AMDGPU.csdata,"",@progbits
; Kernel info:
; codeLenInByte = 0
; NumSgprs: 4
; NumVgprs: 0
; NumAgprs: 0
; TotalNumVgprs: 0
; ScratchSize: 0
; MemoryBound: 0
; FloatMode: 240
; IeeeMode: 1
; LDSByteSize: 0 bytes/workgroup (compile time only)
; SGPRBlocks: 0
; VGPRBlocks: 0
; NumSGPRsForWavesPerEU: 4
; NumVGPRsForWavesPerEU: 1
; AccumOffset: 4
; Occupancy: 8
; WaveLimiterHint : 0
; COMPUTE_PGM_RSRC2:SCRATCH_EN: 0
; COMPUTE_PGM_RSRC2:USER_SGPR: 6
; COMPUTE_PGM_RSRC2:TRAP_HANDLER: 0
; COMPUTE_PGM_RSRC2:TGID_X_EN: 1
; COMPUTE_PGM_RSRC2:TGID_Y_EN: 0
; COMPUTE_PGM_RSRC2:TGID_Z_EN: 0
; COMPUTE_PGM_RSRC2:TIDIG_COMP_CNT: 0
; COMPUTE_PGM_RSRC3_GFX90A:ACCUM_OFFSET: 0
; COMPUTE_PGM_RSRC3_GFX90A:TG_SPLIT: 0
	.section	.text._ZN7rocprim17ROCPRIM_400000_NS6detail17trampoline_kernelINS0_14default_configENS1_25partition_config_selectorILNS1_17partition_subalgoE1EiNS0_10empty_typeEbEEZZNS1_14partition_implILS5_1ELb0ES3_jN6thrust23THRUST_200600_302600_NS6detail15normal_iteratorINSA_10device_ptrIiEEEEPS6_NSA_18transform_iteratorINSA_8identityIiEESF_NSA_11use_defaultESK_EENS0_5tupleIJSF_SF_EEENSM_IJSG_SG_EEES6_PlJS6_EEE10hipError_tPvRmT3_T4_T5_T6_T7_T9_mT8_P12ihipStream_tbDpT10_ENKUlT_T0_E_clISt17integral_constantIbLb0EES18_IbLb1EEEEDaS14_S15_EUlS14_E_NS1_11comp_targetILNS1_3genE9ELNS1_11target_archE1100ELNS1_3gpuE3ELNS1_3repE0EEENS1_30default_config_static_selectorELNS0_4arch9wavefront6targetE1EEEvT1_,"axG",@progbits,_ZN7rocprim17ROCPRIM_400000_NS6detail17trampoline_kernelINS0_14default_configENS1_25partition_config_selectorILNS1_17partition_subalgoE1EiNS0_10empty_typeEbEEZZNS1_14partition_implILS5_1ELb0ES3_jN6thrust23THRUST_200600_302600_NS6detail15normal_iteratorINSA_10device_ptrIiEEEEPS6_NSA_18transform_iteratorINSA_8identityIiEESF_NSA_11use_defaultESK_EENS0_5tupleIJSF_SF_EEENSM_IJSG_SG_EEES6_PlJS6_EEE10hipError_tPvRmT3_T4_T5_T6_T7_T9_mT8_P12ihipStream_tbDpT10_ENKUlT_T0_E_clISt17integral_constantIbLb0EES18_IbLb1EEEEDaS14_S15_EUlS14_E_NS1_11comp_targetILNS1_3genE9ELNS1_11target_archE1100ELNS1_3gpuE3ELNS1_3repE0EEENS1_30default_config_static_selectorELNS0_4arch9wavefront6targetE1EEEvT1_,comdat
	.protected	_ZN7rocprim17ROCPRIM_400000_NS6detail17trampoline_kernelINS0_14default_configENS1_25partition_config_selectorILNS1_17partition_subalgoE1EiNS0_10empty_typeEbEEZZNS1_14partition_implILS5_1ELb0ES3_jN6thrust23THRUST_200600_302600_NS6detail15normal_iteratorINSA_10device_ptrIiEEEEPS6_NSA_18transform_iteratorINSA_8identityIiEESF_NSA_11use_defaultESK_EENS0_5tupleIJSF_SF_EEENSM_IJSG_SG_EEES6_PlJS6_EEE10hipError_tPvRmT3_T4_T5_T6_T7_T9_mT8_P12ihipStream_tbDpT10_ENKUlT_T0_E_clISt17integral_constantIbLb0EES18_IbLb1EEEEDaS14_S15_EUlS14_E_NS1_11comp_targetILNS1_3genE9ELNS1_11target_archE1100ELNS1_3gpuE3ELNS1_3repE0EEENS1_30default_config_static_selectorELNS0_4arch9wavefront6targetE1EEEvT1_ ; -- Begin function _ZN7rocprim17ROCPRIM_400000_NS6detail17trampoline_kernelINS0_14default_configENS1_25partition_config_selectorILNS1_17partition_subalgoE1EiNS0_10empty_typeEbEEZZNS1_14partition_implILS5_1ELb0ES3_jN6thrust23THRUST_200600_302600_NS6detail15normal_iteratorINSA_10device_ptrIiEEEEPS6_NSA_18transform_iteratorINSA_8identityIiEESF_NSA_11use_defaultESK_EENS0_5tupleIJSF_SF_EEENSM_IJSG_SG_EEES6_PlJS6_EEE10hipError_tPvRmT3_T4_T5_T6_T7_T9_mT8_P12ihipStream_tbDpT10_ENKUlT_T0_E_clISt17integral_constantIbLb0EES18_IbLb1EEEEDaS14_S15_EUlS14_E_NS1_11comp_targetILNS1_3genE9ELNS1_11target_archE1100ELNS1_3gpuE3ELNS1_3repE0EEENS1_30default_config_static_selectorELNS0_4arch9wavefront6targetE1EEEvT1_
	.globl	_ZN7rocprim17ROCPRIM_400000_NS6detail17trampoline_kernelINS0_14default_configENS1_25partition_config_selectorILNS1_17partition_subalgoE1EiNS0_10empty_typeEbEEZZNS1_14partition_implILS5_1ELb0ES3_jN6thrust23THRUST_200600_302600_NS6detail15normal_iteratorINSA_10device_ptrIiEEEEPS6_NSA_18transform_iteratorINSA_8identityIiEESF_NSA_11use_defaultESK_EENS0_5tupleIJSF_SF_EEENSM_IJSG_SG_EEES6_PlJS6_EEE10hipError_tPvRmT3_T4_T5_T6_T7_T9_mT8_P12ihipStream_tbDpT10_ENKUlT_T0_E_clISt17integral_constantIbLb0EES18_IbLb1EEEEDaS14_S15_EUlS14_E_NS1_11comp_targetILNS1_3genE9ELNS1_11target_archE1100ELNS1_3gpuE3ELNS1_3repE0EEENS1_30default_config_static_selectorELNS0_4arch9wavefront6targetE1EEEvT1_
	.p2align	8
	.type	_ZN7rocprim17ROCPRIM_400000_NS6detail17trampoline_kernelINS0_14default_configENS1_25partition_config_selectorILNS1_17partition_subalgoE1EiNS0_10empty_typeEbEEZZNS1_14partition_implILS5_1ELb0ES3_jN6thrust23THRUST_200600_302600_NS6detail15normal_iteratorINSA_10device_ptrIiEEEEPS6_NSA_18transform_iteratorINSA_8identityIiEESF_NSA_11use_defaultESK_EENS0_5tupleIJSF_SF_EEENSM_IJSG_SG_EEES6_PlJS6_EEE10hipError_tPvRmT3_T4_T5_T6_T7_T9_mT8_P12ihipStream_tbDpT10_ENKUlT_T0_E_clISt17integral_constantIbLb0EES18_IbLb1EEEEDaS14_S15_EUlS14_E_NS1_11comp_targetILNS1_3genE9ELNS1_11target_archE1100ELNS1_3gpuE3ELNS1_3repE0EEENS1_30default_config_static_selectorELNS0_4arch9wavefront6targetE1EEEvT1_,@function
_ZN7rocprim17ROCPRIM_400000_NS6detail17trampoline_kernelINS0_14default_configENS1_25partition_config_selectorILNS1_17partition_subalgoE1EiNS0_10empty_typeEbEEZZNS1_14partition_implILS5_1ELb0ES3_jN6thrust23THRUST_200600_302600_NS6detail15normal_iteratorINSA_10device_ptrIiEEEEPS6_NSA_18transform_iteratorINSA_8identityIiEESF_NSA_11use_defaultESK_EENS0_5tupleIJSF_SF_EEENSM_IJSG_SG_EEES6_PlJS6_EEE10hipError_tPvRmT3_T4_T5_T6_T7_T9_mT8_P12ihipStream_tbDpT10_ENKUlT_T0_E_clISt17integral_constantIbLb0EES18_IbLb1EEEEDaS14_S15_EUlS14_E_NS1_11comp_targetILNS1_3genE9ELNS1_11target_archE1100ELNS1_3gpuE3ELNS1_3repE0EEENS1_30default_config_static_selectorELNS0_4arch9wavefront6targetE1EEEvT1_: ; @_ZN7rocprim17ROCPRIM_400000_NS6detail17trampoline_kernelINS0_14default_configENS1_25partition_config_selectorILNS1_17partition_subalgoE1EiNS0_10empty_typeEbEEZZNS1_14partition_implILS5_1ELb0ES3_jN6thrust23THRUST_200600_302600_NS6detail15normal_iteratorINSA_10device_ptrIiEEEEPS6_NSA_18transform_iteratorINSA_8identityIiEESF_NSA_11use_defaultESK_EENS0_5tupleIJSF_SF_EEENSM_IJSG_SG_EEES6_PlJS6_EEE10hipError_tPvRmT3_T4_T5_T6_T7_T9_mT8_P12ihipStream_tbDpT10_ENKUlT_T0_E_clISt17integral_constantIbLb0EES18_IbLb1EEEEDaS14_S15_EUlS14_E_NS1_11comp_targetILNS1_3genE9ELNS1_11target_archE1100ELNS1_3gpuE3ELNS1_3repE0EEENS1_30default_config_static_selectorELNS0_4arch9wavefront6targetE1EEEvT1_
; %bb.0:
	.section	.rodata,"a",@progbits
	.p2align	6, 0x0
	.amdhsa_kernel _ZN7rocprim17ROCPRIM_400000_NS6detail17trampoline_kernelINS0_14default_configENS1_25partition_config_selectorILNS1_17partition_subalgoE1EiNS0_10empty_typeEbEEZZNS1_14partition_implILS5_1ELb0ES3_jN6thrust23THRUST_200600_302600_NS6detail15normal_iteratorINSA_10device_ptrIiEEEEPS6_NSA_18transform_iteratorINSA_8identityIiEESF_NSA_11use_defaultESK_EENS0_5tupleIJSF_SF_EEENSM_IJSG_SG_EEES6_PlJS6_EEE10hipError_tPvRmT3_T4_T5_T6_T7_T9_mT8_P12ihipStream_tbDpT10_ENKUlT_T0_E_clISt17integral_constantIbLb0EES18_IbLb1EEEEDaS14_S15_EUlS14_E_NS1_11comp_targetILNS1_3genE9ELNS1_11target_archE1100ELNS1_3gpuE3ELNS1_3repE0EEENS1_30default_config_static_selectorELNS0_4arch9wavefront6targetE1EEEvT1_
		.amdhsa_group_segment_fixed_size 0
		.amdhsa_private_segment_fixed_size 0
		.amdhsa_kernarg_size 144
		.amdhsa_user_sgpr_count 6
		.amdhsa_user_sgpr_private_segment_buffer 1
		.amdhsa_user_sgpr_dispatch_ptr 0
		.amdhsa_user_sgpr_queue_ptr 0
		.amdhsa_user_sgpr_kernarg_segment_ptr 1
		.amdhsa_user_sgpr_dispatch_id 0
		.amdhsa_user_sgpr_flat_scratch_init 0
		.amdhsa_user_sgpr_kernarg_preload_length 0
		.amdhsa_user_sgpr_kernarg_preload_offset 0
		.amdhsa_user_sgpr_private_segment_size 0
		.amdhsa_uses_dynamic_stack 0
		.amdhsa_system_sgpr_private_segment_wavefront_offset 0
		.amdhsa_system_sgpr_workgroup_id_x 1
		.amdhsa_system_sgpr_workgroup_id_y 0
		.amdhsa_system_sgpr_workgroup_id_z 0
		.amdhsa_system_sgpr_workgroup_info 0
		.amdhsa_system_vgpr_workitem_id 0
		.amdhsa_next_free_vgpr 1
		.amdhsa_next_free_sgpr 0
		.amdhsa_accum_offset 4
		.amdhsa_reserve_vcc 0
		.amdhsa_reserve_flat_scratch 0
		.amdhsa_float_round_mode_32 0
		.amdhsa_float_round_mode_16_64 0
		.amdhsa_float_denorm_mode_32 3
		.amdhsa_float_denorm_mode_16_64 3
		.amdhsa_dx10_clamp 1
		.amdhsa_ieee_mode 1
		.amdhsa_fp16_overflow 0
		.amdhsa_tg_split 0
		.amdhsa_exception_fp_ieee_invalid_op 0
		.amdhsa_exception_fp_denorm_src 0
		.amdhsa_exception_fp_ieee_div_zero 0
		.amdhsa_exception_fp_ieee_overflow 0
		.amdhsa_exception_fp_ieee_underflow 0
		.amdhsa_exception_fp_ieee_inexact 0
		.amdhsa_exception_int_div_zero 0
	.end_amdhsa_kernel
	.section	.text._ZN7rocprim17ROCPRIM_400000_NS6detail17trampoline_kernelINS0_14default_configENS1_25partition_config_selectorILNS1_17partition_subalgoE1EiNS0_10empty_typeEbEEZZNS1_14partition_implILS5_1ELb0ES3_jN6thrust23THRUST_200600_302600_NS6detail15normal_iteratorINSA_10device_ptrIiEEEEPS6_NSA_18transform_iteratorINSA_8identityIiEESF_NSA_11use_defaultESK_EENS0_5tupleIJSF_SF_EEENSM_IJSG_SG_EEES6_PlJS6_EEE10hipError_tPvRmT3_T4_T5_T6_T7_T9_mT8_P12ihipStream_tbDpT10_ENKUlT_T0_E_clISt17integral_constantIbLb0EES18_IbLb1EEEEDaS14_S15_EUlS14_E_NS1_11comp_targetILNS1_3genE9ELNS1_11target_archE1100ELNS1_3gpuE3ELNS1_3repE0EEENS1_30default_config_static_selectorELNS0_4arch9wavefront6targetE1EEEvT1_,"axG",@progbits,_ZN7rocprim17ROCPRIM_400000_NS6detail17trampoline_kernelINS0_14default_configENS1_25partition_config_selectorILNS1_17partition_subalgoE1EiNS0_10empty_typeEbEEZZNS1_14partition_implILS5_1ELb0ES3_jN6thrust23THRUST_200600_302600_NS6detail15normal_iteratorINSA_10device_ptrIiEEEEPS6_NSA_18transform_iteratorINSA_8identityIiEESF_NSA_11use_defaultESK_EENS0_5tupleIJSF_SF_EEENSM_IJSG_SG_EEES6_PlJS6_EEE10hipError_tPvRmT3_T4_T5_T6_T7_T9_mT8_P12ihipStream_tbDpT10_ENKUlT_T0_E_clISt17integral_constantIbLb0EES18_IbLb1EEEEDaS14_S15_EUlS14_E_NS1_11comp_targetILNS1_3genE9ELNS1_11target_archE1100ELNS1_3gpuE3ELNS1_3repE0EEENS1_30default_config_static_selectorELNS0_4arch9wavefront6targetE1EEEvT1_,comdat
.Lfunc_end639:
	.size	_ZN7rocprim17ROCPRIM_400000_NS6detail17trampoline_kernelINS0_14default_configENS1_25partition_config_selectorILNS1_17partition_subalgoE1EiNS0_10empty_typeEbEEZZNS1_14partition_implILS5_1ELb0ES3_jN6thrust23THRUST_200600_302600_NS6detail15normal_iteratorINSA_10device_ptrIiEEEEPS6_NSA_18transform_iteratorINSA_8identityIiEESF_NSA_11use_defaultESK_EENS0_5tupleIJSF_SF_EEENSM_IJSG_SG_EEES6_PlJS6_EEE10hipError_tPvRmT3_T4_T5_T6_T7_T9_mT8_P12ihipStream_tbDpT10_ENKUlT_T0_E_clISt17integral_constantIbLb0EES18_IbLb1EEEEDaS14_S15_EUlS14_E_NS1_11comp_targetILNS1_3genE9ELNS1_11target_archE1100ELNS1_3gpuE3ELNS1_3repE0EEENS1_30default_config_static_selectorELNS0_4arch9wavefront6targetE1EEEvT1_, .Lfunc_end639-_ZN7rocprim17ROCPRIM_400000_NS6detail17trampoline_kernelINS0_14default_configENS1_25partition_config_selectorILNS1_17partition_subalgoE1EiNS0_10empty_typeEbEEZZNS1_14partition_implILS5_1ELb0ES3_jN6thrust23THRUST_200600_302600_NS6detail15normal_iteratorINSA_10device_ptrIiEEEEPS6_NSA_18transform_iteratorINSA_8identityIiEESF_NSA_11use_defaultESK_EENS0_5tupleIJSF_SF_EEENSM_IJSG_SG_EEES6_PlJS6_EEE10hipError_tPvRmT3_T4_T5_T6_T7_T9_mT8_P12ihipStream_tbDpT10_ENKUlT_T0_E_clISt17integral_constantIbLb0EES18_IbLb1EEEEDaS14_S15_EUlS14_E_NS1_11comp_targetILNS1_3genE9ELNS1_11target_archE1100ELNS1_3gpuE3ELNS1_3repE0EEENS1_30default_config_static_selectorELNS0_4arch9wavefront6targetE1EEEvT1_
                                        ; -- End function
	.section	.AMDGPU.csdata,"",@progbits
; Kernel info:
; codeLenInByte = 0
; NumSgprs: 4
; NumVgprs: 0
; NumAgprs: 0
; TotalNumVgprs: 0
; ScratchSize: 0
; MemoryBound: 0
; FloatMode: 240
; IeeeMode: 1
; LDSByteSize: 0 bytes/workgroup (compile time only)
; SGPRBlocks: 0
; VGPRBlocks: 0
; NumSGPRsForWavesPerEU: 4
; NumVGPRsForWavesPerEU: 1
; AccumOffset: 4
; Occupancy: 8
; WaveLimiterHint : 0
; COMPUTE_PGM_RSRC2:SCRATCH_EN: 0
; COMPUTE_PGM_RSRC2:USER_SGPR: 6
; COMPUTE_PGM_RSRC2:TRAP_HANDLER: 0
; COMPUTE_PGM_RSRC2:TGID_X_EN: 1
; COMPUTE_PGM_RSRC2:TGID_Y_EN: 0
; COMPUTE_PGM_RSRC2:TGID_Z_EN: 0
; COMPUTE_PGM_RSRC2:TIDIG_COMP_CNT: 0
; COMPUTE_PGM_RSRC3_GFX90A:ACCUM_OFFSET: 0
; COMPUTE_PGM_RSRC3_GFX90A:TG_SPLIT: 0
	.section	.text._ZN7rocprim17ROCPRIM_400000_NS6detail17trampoline_kernelINS0_14default_configENS1_25partition_config_selectorILNS1_17partition_subalgoE1EiNS0_10empty_typeEbEEZZNS1_14partition_implILS5_1ELb0ES3_jN6thrust23THRUST_200600_302600_NS6detail15normal_iteratorINSA_10device_ptrIiEEEEPS6_NSA_18transform_iteratorINSA_8identityIiEESF_NSA_11use_defaultESK_EENS0_5tupleIJSF_SF_EEENSM_IJSG_SG_EEES6_PlJS6_EEE10hipError_tPvRmT3_T4_T5_T6_T7_T9_mT8_P12ihipStream_tbDpT10_ENKUlT_T0_E_clISt17integral_constantIbLb0EES18_IbLb1EEEEDaS14_S15_EUlS14_E_NS1_11comp_targetILNS1_3genE8ELNS1_11target_archE1030ELNS1_3gpuE2ELNS1_3repE0EEENS1_30default_config_static_selectorELNS0_4arch9wavefront6targetE1EEEvT1_,"axG",@progbits,_ZN7rocprim17ROCPRIM_400000_NS6detail17trampoline_kernelINS0_14default_configENS1_25partition_config_selectorILNS1_17partition_subalgoE1EiNS0_10empty_typeEbEEZZNS1_14partition_implILS5_1ELb0ES3_jN6thrust23THRUST_200600_302600_NS6detail15normal_iteratorINSA_10device_ptrIiEEEEPS6_NSA_18transform_iteratorINSA_8identityIiEESF_NSA_11use_defaultESK_EENS0_5tupleIJSF_SF_EEENSM_IJSG_SG_EEES6_PlJS6_EEE10hipError_tPvRmT3_T4_T5_T6_T7_T9_mT8_P12ihipStream_tbDpT10_ENKUlT_T0_E_clISt17integral_constantIbLb0EES18_IbLb1EEEEDaS14_S15_EUlS14_E_NS1_11comp_targetILNS1_3genE8ELNS1_11target_archE1030ELNS1_3gpuE2ELNS1_3repE0EEENS1_30default_config_static_selectorELNS0_4arch9wavefront6targetE1EEEvT1_,comdat
	.protected	_ZN7rocprim17ROCPRIM_400000_NS6detail17trampoline_kernelINS0_14default_configENS1_25partition_config_selectorILNS1_17partition_subalgoE1EiNS0_10empty_typeEbEEZZNS1_14partition_implILS5_1ELb0ES3_jN6thrust23THRUST_200600_302600_NS6detail15normal_iteratorINSA_10device_ptrIiEEEEPS6_NSA_18transform_iteratorINSA_8identityIiEESF_NSA_11use_defaultESK_EENS0_5tupleIJSF_SF_EEENSM_IJSG_SG_EEES6_PlJS6_EEE10hipError_tPvRmT3_T4_T5_T6_T7_T9_mT8_P12ihipStream_tbDpT10_ENKUlT_T0_E_clISt17integral_constantIbLb0EES18_IbLb1EEEEDaS14_S15_EUlS14_E_NS1_11comp_targetILNS1_3genE8ELNS1_11target_archE1030ELNS1_3gpuE2ELNS1_3repE0EEENS1_30default_config_static_selectorELNS0_4arch9wavefront6targetE1EEEvT1_ ; -- Begin function _ZN7rocprim17ROCPRIM_400000_NS6detail17trampoline_kernelINS0_14default_configENS1_25partition_config_selectorILNS1_17partition_subalgoE1EiNS0_10empty_typeEbEEZZNS1_14partition_implILS5_1ELb0ES3_jN6thrust23THRUST_200600_302600_NS6detail15normal_iteratorINSA_10device_ptrIiEEEEPS6_NSA_18transform_iteratorINSA_8identityIiEESF_NSA_11use_defaultESK_EENS0_5tupleIJSF_SF_EEENSM_IJSG_SG_EEES6_PlJS6_EEE10hipError_tPvRmT3_T4_T5_T6_T7_T9_mT8_P12ihipStream_tbDpT10_ENKUlT_T0_E_clISt17integral_constantIbLb0EES18_IbLb1EEEEDaS14_S15_EUlS14_E_NS1_11comp_targetILNS1_3genE8ELNS1_11target_archE1030ELNS1_3gpuE2ELNS1_3repE0EEENS1_30default_config_static_selectorELNS0_4arch9wavefront6targetE1EEEvT1_
	.globl	_ZN7rocprim17ROCPRIM_400000_NS6detail17trampoline_kernelINS0_14default_configENS1_25partition_config_selectorILNS1_17partition_subalgoE1EiNS0_10empty_typeEbEEZZNS1_14partition_implILS5_1ELb0ES3_jN6thrust23THRUST_200600_302600_NS6detail15normal_iteratorINSA_10device_ptrIiEEEEPS6_NSA_18transform_iteratorINSA_8identityIiEESF_NSA_11use_defaultESK_EENS0_5tupleIJSF_SF_EEENSM_IJSG_SG_EEES6_PlJS6_EEE10hipError_tPvRmT3_T4_T5_T6_T7_T9_mT8_P12ihipStream_tbDpT10_ENKUlT_T0_E_clISt17integral_constantIbLb0EES18_IbLb1EEEEDaS14_S15_EUlS14_E_NS1_11comp_targetILNS1_3genE8ELNS1_11target_archE1030ELNS1_3gpuE2ELNS1_3repE0EEENS1_30default_config_static_selectorELNS0_4arch9wavefront6targetE1EEEvT1_
	.p2align	8
	.type	_ZN7rocprim17ROCPRIM_400000_NS6detail17trampoline_kernelINS0_14default_configENS1_25partition_config_selectorILNS1_17partition_subalgoE1EiNS0_10empty_typeEbEEZZNS1_14partition_implILS5_1ELb0ES3_jN6thrust23THRUST_200600_302600_NS6detail15normal_iteratorINSA_10device_ptrIiEEEEPS6_NSA_18transform_iteratorINSA_8identityIiEESF_NSA_11use_defaultESK_EENS0_5tupleIJSF_SF_EEENSM_IJSG_SG_EEES6_PlJS6_EEE10hipError_tPvRmT3_T4_T5_T6_T7_T9_mT8_P12ihipStream_tbDpT10_ENKUlT_T0_E_clISt17integral_constantIbLb0EES18_IbLb1EEEEDaS14_S15_EUlS14_E_NS1_11comp_targetILNS1_3genE8ELNS1_11target_archE1030ELNS1_3gpuE2ELNS1_3repE0EEENS1_30default_config_static_selectorELNS0_4arch9wavefront6targetE1EEEvT1_,@function
_ZN7rocprim17ROCPRIM_400000_NS6detail17trampoline_kernelINS0_14default_configENS1_25partition_config_selectorILNS1_17partition_subalgoE1EiNS0_10empty_typeEbEEZZNS1_14partition_implILS5_1ELb0ES3_jN6thrust23THRUST_200600_302600_NS6detail15normal_iteratorINSA_10device_ptrIiEEEEPS6_NSA_18transform_iteratorINSA_8identityIiEESF_NSA_11use_defaultESK_EENS0_5tupleIJSF_SF_EEENSM_IJSG_SG_EEES6_PlJS6_EEE10hipError_tPvRmT3_T4_T5_T6_T7_T9_mT8_P12ihipStream_tbDpT10_ENKUlT_T0_E_clISt17integral_constantIbLb0EES18_IbLb1EEEEDaS14_S15_EUlS14_E_NS1_11comp_targetILNS1_3genE8ELNS1_11target_archE1030ELNS1_3gpuE2ELNS1_3repE0EEENS1_30default_config_static_selectorELNS0_4arch9wavefront6targetE1EEEvT1_: ; @_ZN7rocprim17ROCPRIM_400000_NS6detail17trampoline_kernelINS0_14default_configENS1_25partition_config_selectorILNS1_17partition_subalgoE1EiNS0_10empty_typeEbEEZZNS1_14partition_implILS5_1ELb0ES3_jN6thrust23THRUST_200600_302600_NS6detail15normal_iteratorINSA_10device_ptrIiEEEEPS6_NSA_18transform_iteratorINSA_8identityIiEESF_NSA_11use_defaultESK_EENS0_5tupleIJSF_SF_EEENSM_IJSG_SG_EEES6_PlJS6_EEE10hipError_tPvRmT3_T4_T5_T6_T7_T9_mT8_P12ihipStream_tbDpT10_ENKUlT_T0_E_clISt17integral_constantIbLb0EES18_IbLb1EEEEDaS14_S15_EUlS14_E_NS1_11comp_targetILNS1_3genE8ELNS1_11target_archE1030ELNS1_3gpuE2ELNS1_3repE0EEENS1_30default_config_static_selectorELNS0_4arch9wavefront6targetE1EEEvT1_
; %bb.0:
	.section	.rodata,"a",@progbits
	.p2align	6, 0x0
	.amdhsa_kernel _ZN7rocprim17ROCPRIM_400000_NS6detail17trampoline_kernelINS0_14default_configENS1_25partition_config_selectorILNS1_17partition_subalgoE1EiNS0_10empty_typeEbEEZZNS1_14partition_implILS5_1ELb0ES3_jN6thrust23THRUST_200600_302600_NS6detail15normal_iteratorINSA_10device_ptrIiEEEEPS6_NSA_18transform_iteratorINSA_8identityIiEESF_NSA_11use_defaultESK_EENS0_5tupleIJSF_SF_EEENSM_IJSG_SG_EEES6_PlJS6_EEE10hipError_tPvRmT3_T4_T5_T6_T7_T9_mT8_P12ihipStream_tbDpT10_ENKUlT_T0_E_clISt17integral_constantIbLb0EES18_IbLb1EEEEDaS14_S15_EUlS14_E_NS1_11comp_targetILNS1_3genE8ELNS1_11target_archE1030ELNS1_3gpuE2ELNS1_3repE0EEENS1_30default_config_static_selectorELNS0_4arch9wavefront6targetE1EEEvT1_
		.amdhsa_group_segment_fixed_size 0
		.amdhsa_private_segment_fixed_size 0
		.amdhsa_kernarg_size 144
		.amdhsa_user_sgpr_count 6
		.amdhsa_user_sgpr_private_segment_buffer 1
		.amdhsa_user_sgpr_dispatch_ptr 0
		.amdhsa_user_sgpr_queue_ptr 0
		.amdhsa_user_sgpr_kernarg_segment_ptr 1
		.amdhsa_user_sgpr_dispatch_id 0
		.amdhsa_user_sgpr_flat_scratch_init 0
		.amdhsa_user_sgpr_kernarg_preload_length 0
		.amdhsa_user_sgpr_kernarg_preload_offset 0
		.amdhsa_user_sgpr_private_segment_size 0
		.amdhsa_uses_dynamic_stack 0
		.amdhsa_system_sgpr_private_segment_wavefront_offset 0
		.amdhsa_system_sgpr_workgroup_id_x 1
		.amdhsa_system_sgpr_workgroup_id_y 0
		.amdhsa_system_sgpr_workgroup_id_z 0
		.amdhsa_system_sgpr_workgroup_info 0
		.amdhsa_system_vgpr_workitem_id 0
		.amdhsa_next_free_vgpr 1
		.amdhsa_next_free_sgpr 0
		.amdhsa_accum_offset 4
		.amdhsa_reserve_vcc 0
		.amdhsa_reserve_flat_scratch 0
		.amdhsa_float_round_mode_32 0
		.amdhsa_float_round_mode_16_64 0
		.amdhsa_float_denorm_mode_32 3
		.amdhsa_float_denorm_mode_16_64 3
		.amdhsa_dx10_clamp 1
		.amdhsa_ieee_mode 1
		.amdhsa_fp16_overflow 0
		.amdhsa_tg_split 0
		.amdhsa_exception_fp_ieee_invalid_op 0
		.amdhsa_exception_fp_denorm_src 0
		.amdhsa_exception_fp_ieee_div_zero 0
		.amdhsa_exception_fp_ieee_overflow 0
		.amdhsa_exception_fp_ieee_underflow 0
		.amdhsa_exception_fp_ieee_inexact 0
		.amdhsa_exception_int_div_zero 0
	.end_amdhsa_kernel
	.section	.text._ZN7rocprim17ROCPRIM_400000_NS6detail17trampoline_kernelINS0_14default_configENS1_25partition_config_selectorILNS1_17partition_subalgoE1EiNS0_10empty_typeEbEEZZNS1_14partition_implILS5_1ELb0ES3_jN6thrust23THRUST_200600_302600_NS6detail15normal_iteratorINSA_10device_ptrIiEEEEPS6_NSA_18transform_iteratorINSA_8identityIiEESF_NSA_11use_defaultESK_EENS0_5tupleIJSF_SF_EEENSM_IJSG_SG_EEES6_PlJS6_EEE10hipError_tPvRmT3_T4_T5_T6_T7_T9_mT8_P12ihipStream_tbDpT10_ENKUlT_T0_E_clISt17integral_constantIbLb0EES18_IbLb1EEEEDaS14_S15_EUlS14_E_NS1_11comp_targetILNS1_3genE8ELNS1_11target_archE1030ELNS1_3gpuE2ELNS1_3repE0EEENS1_30default_config_static_selectorELNS0_4arch9wavefront6targetE1EEEvT1_,"axG",@progbits,_ZN7rocprim17ROCPRIM_400000_NS6detail17trampoline_kernelINS0_14default_configENS1_25partition_config_selectorILNS1_17partition_subalgoE1EiNS0_10empty_typeEbEEZZNS1_14partition_implILS5_1ELb0ES3_jN6thrust23THRUST_200600_302600_NS6detail15normal_iteratorINSA_10device_ptrIiEEEEPS6_NSA_18transform_iteratorINSA_8identityIiEESF_NSA_11use_defaultESK_EENS0_5tupleIJSF_SF_EEENSM_IJSG_SG_EEES6_PlJS6_EEE10hipError_tPvRmT3_T4_T5_T6_T7_T9_mT8_P12ihipStream_tbDpT10_ENKUlT_T0_E_clISt17integral_constantIbLb0EES18_IbLb1EEEEDaS14_S15_EUlS14_E_NS1_11comp_targetILNS1_3genE8ELNS1_11target_archE1030ELNS1_3gpuE2ELNS1_3repE0EEENS1_30default_config_static_selectorELNS0_4arch9wavefront6targetE1EEEvT1_,comdat
.Lfunc_end640:
	.size	_ZN7rocprim17ROCPRIM_400000_NS6detail17trampoline_kernelINS0_14default_configENS1_25partition_config_selectorILNS1_17partition_subalgoE1EiNS0_10empty_typeEbEEZZNS1_14partition_implILS5_1ELb0ES3_jN6thrust23THRUST_200600_302600_NS6detail15normal_iteratorINSA_10device_ptrIiEEEEPS6_NSA_18transform_iteratorINSA_8identityIiEESF_NSA_11use_defaultESK_EENS0_5tupleIJSF_SF_EEENSM_IJSG_SG_EEES6_PlJS6_EEE10hipError_tPvRmT3_T4_T5_T6_T7_T9_mT8_P12ihipStream_tbDpT10_ENKUlT_T0_E_clISt17integral_constantIbLb0EES18_IbLb1EEEEDaS14_S15_EUlS14_E_NS1_11comp_targetILNS1_3genE8ELNS1_11target_archE1030ELNS1_3gpuE2ELNS1_3repE0EEENS1_30default_config_static_selectorELNS0_4arch9wavefront6targetE1EEEvT1_, .Lfunc_end640-_ZN7rocprim17ROCPRIM_400000_NS6detail17trampoline_kernelINS0_14default_configENS1_25partition_config_selectorILNS1_17partition_subalgoE1EiNS0_10empty_typeEbEEZZNS1_14partition_implILS5_1ELb0ES3_jN6thrust23THRUST_200600_302600_NS6detail15normal_iteratorINSA_10device_ptrIiEEEEPS6_NSA_18transform_iteratorINSA_8identityIiEESF_NSA_11use_defaultESK_EENS0_5tupleIJSF_SF_EEENSM_IJSG_SG_EEES6_PlJS6_EEE10hipError_tPvRmT3_T4_T5_T6_T7_T9_mT8_P12ihipStream_tbDpT10_ENKUlT_T0_E_clISt17integral_constantIbLb0EES18_IbLb1EEEEDaS14_S15_EUlS14_E_NS1_11comp_targetILNS1_3genE8ELNS1_11target_archE1030ELNS1_3gpuE2ELNS1_3repE0EEENS1_30default_config_static_selectorELNS0_4arch9wavefront6targetE1EEEvT1_
                                        ; -- End function
	.section	.AMDGPU.csdata,"",@progbits
; Kernel info:
; codeLenInByte = 0
; NumSgprs: 4
; NumVgprs: 0
; NumAgprs: 0
; TotalNumVgprs: 0
; ScratchSize: 0
; MemoryBound: 0
; FloatMode: 240
; IeeeMode: 1
; LDSByteSize: 0 bytes/workgroup (compile time only)
; SGPRBlocks: 0
; VGPRBlocks: 0
; NumSGPRsForWavesPerEU: 4
; NumVGPRsForWavesPerEU: 1
; AccumOffset: 4
; Occupancy: 8
; WaveLimiterHint : 0
; COMPUTE_PGM_RSRC2:SCRATCH_EN: 0
; COMPUTE_PGM_RSRC2:USER_SGPR: 6
; COMPUTE_PGM_RSRC2:TRAP_HANDLER: 0
; COMPUTE_PGM_RSRC2:TGID_X_EN: 1
; COMPUTE_PGM_RSRC2:TGID_Y_EN: 0
; COMPUTE_PGM_RSRC2:TGID_Z_EN: 0
; COMPUTE_PGM_RSRC2:TIDIG_COMP_CNT: 0
; COMPUTE_PGM_RSRC3_GFX90A:ACCUM_OFFSET: 0
; COMPUTE_PGM_RSRC3_GFX90A:TG_SPLIT: 0
	.section	.text._ZN7rocprim17ROCPRIM_400000_NS6detail17trampoline_kernelINS0_14default_configENS1_25partition_config_selectorILNS1_17partition_subalgoE1EsNS0_10empty_typeEbEEZZNS1_14partition_implILS5_1ELb0ES3_jN6thrust23THRUST_200600_302600_NS6detail15normal_iteratorINSA_10device_ptrIsEEEEPS6_NSA_18transform_iteratorINSA_8identityIsEESF_NSA_11use_defaultESK_EENS0_5tupleIJSF_SF_EEENSM_IJSG_SG_EEES6_PlJS6_EEE10hipError_tPvRmT3_T4_T5_T6_T7_T9_mT8_P12ihipStream_tbDpT10_ENKUlT_T0_E_clISt17integral_constantIbLb0EES19_EEDaS14_S15_EUlS14_E_NS1_11comp_targetILNS1_3genE0ELNS1_11target_archE4294967295ELNS1_3gpuE0ELNS1_3repE0EEENS1_30default_config_static_selectorELNS0_4arch9wavefront6targetE1EEEvT1_,"axG",@progbits,_ZN7rocprim17ROCPRIM_400000_NS6detail17trampoline_kernelINS0_14default_configENS1_25partition_config_selectorILNS1_17partition_subalgoE1EsNS0_10empty_typeEbEEZZNS1_14partition_implILS5_1ELb0ES3_jN6thrust23THRUST_200600_302600_NS6detail15normal_iteratorINSA_10device_ptrIsEEEEPS6_NSA_18transform_iteratorINSA_8identityIsEESF_NSA_11use_defaultESK_EENS0_5tupleIJSF_SF_EEENSM_IJSG_SG_EEES6_PlJS6_EEE10hipError_tPvRmT3_T4_T5_T6_T7_T9_mT8_P12ihipStream_tbDpT10_ENKUlT_T0_E_clISt17integral_constantIbLb0EES19_EEDaS14_S15_EUlS14_E_NS1_11comp_targetILNS1_3genE0ELNS1_11target_archE4294967295ELNS1_3gpuE0ELNS1_3repE0EEENS1_30default_config_static_selectorELNS0_4arch9wavefront6targetE1EEEvT1_,comdat
	.protected	_ZN7rocprim17ROCPRIM_400000_NS6detail17trampoline_kernelINS0_14default_configENS1_25partition_config_selectorILNS1_17partition_subalgoE1EsNS0_10empty_typeEbEEZZNS1_14partition_implILS5_1ELb0ES3_jN6thrust23THRUST_200600_302600_NS6detail15normal_iteratorINSA_10device_ptrIsEEEEPS6_NSA_18transform_iteratorINSA_8identityIsEESF_NSA_11use_defaultESK_EENS0_5tupleIJSF_SF_EEENSM_IJSG_SG_EEES6_PlJS6_EEE10hipError_tPvRmT3_T4_T5_T6_T7_T9_mT8_P12ihipStream_tbDpT10_ENKUlT_T0_E_clISt17integral_constantIbLb0EES19_EEDaS14_S15_EUlS14_E_NS1_11comp_targetILNS1_3genE0ELNS1_11target_archE4294967295ELNS1_3gpuE0ELNS1_3repE0EEENS1_30default_config_static_selectorELNS0_4arch9wavefront6targetE1EEEvT1_ ; -- Begin function _ZN7rocprim17ROCPRIM_400000_NS6detail17trampoline_kernelINS0_14default_configENS1_25partition_config_selectorILNS1_17partition_subalgoE1EsNS0_10empty_typeEbEEZZNS1_14partition_implILS5_1ELb0ES3_jN6thrust23THRUST_200600_302600_NS6detail15normal_iteratorINSA_10device_ptrIsEEEEPS6_NSA_18transform_iteratorINSA_8identityIsEESF_NSA_11use_defaultESK_EENS0_5tupleIJSF_SF_EEENSM_IJSG_SG_EEES6_PlJS6_EEE10hipError_tPvRmT3_T4_T5_T6_T7_T9_mT8_P12ihipStream_tbDpT10_ENKUlT_T0_E_clISt17integral_constantIbLb0EES19_EEDaS14_S15_EUlS14_E_NS1_11comp_targetILNS1_3genE0ELNS1_11target_archE4294967295ELNS1_3gpuE0ELNS1_3repE0EEENS1_30default_config_static_selectorELNS0_4arch9wavefront6targetE1EEEvT1_
	.globl	_ZN7rocprim17ROCPRIM_400000_NS6detail17trampoline_kernelINS0_14default_configENS1_25partition_config_selectorILNS1_17partition_subalgoE1EsNS0_10empty_typeEbEEZZNS1_14partition_implILS5_1ELb0ES3_jN6thrust23THRUST_200600_302600_NS6detail15normal_iteratorINSA_10device_ptrIsEEEEPS6_NSA_18transform_iteratorINSA_8identityIsEESF_NSA_11use_defaultESK_EENS0_5tupleIJSF_SF_EEENSM_IJSG_SG_EEES6_PlJS6_EEE10hipError_tPvRmT3_T4_T5_T6_T7_T9_mT8_P12ihipStream_tbDpT10_ENKUlT_T0_E_clISt17integral_constantIbLb0EES19_EEDaS14_S15_EUlS14_E_NS1_11comp_targetILNS1_3genE0ELNS1_11target_archE4294967295ELNS1_3gpuE0ELNS1_3repE0EEENS1_30default_config_static_selectorELNS0_4arch9wavefront6targetE1EEEvT1_
	.p2align	8
	.type	_ZN7rocprim17ROCPRIM_400000_NS6detail17trampoline_kernelINS0_14default_configENS1_25partition_config_selectorILNS1_17partition_subalgoE1EsNS0_10empty_typeEbEEZZNS1_14partition_implILS5_1ELb0ES3_jN6thrust23THRUST_200600_302600_NS6detail15normal_iteratorINSA_10device_ptrIsEEEEPS6_NSA_18transform_iteratorINSA_8identityIsEESF_NSA_11use_defaultESK_EENS0_5tupleIJSF_SF_EEENSM_IJSG_SG_EEES6_PlJS6_EEE10hipError_tPvRmT3_T4_T5_T6_T7_T9_mT8_P12ihipStream_tbDpT10_ENKUlT_T0_E_clISt17integral_constantIbLb0EES19_EEDaS14_S15_EUlS14_E_NS1_11comp_targetILNS1_3genE0ELNS1_11target_archE4294967295ELNS1_3gpuE0ELNS1_3repE0EEENS1_30default_config_static_selectorELNS0_4arch9wavefront6targetE1EEEvT1_,@function
_ZN7rocprim17ROCPRIM_400000_NS6detail17trampoline_kernelINS0_14default_configENS1_25partition_config_selectorILNS1_17partition_subalgoE1EsNS0_10empty_typeEbEEZZNS1_14partition_implILS5_1ELb0ES3_jN6thrust23THRUST_200600_302600_NS6detail15normal_iteratorINSA_10device_ptrIsEEEEPS6_NSA_18transform_iteratorINSA_8identityIsEESF_NSA_11use_defaultESK_EENS0_5tupleIJSF_SF_EEENSM_IJSG_SG_EEES6_PlJS6_EEE10hipError_tPvRmT3_T4_T5_T6_T7_T9_mT8_P12ihipStream_tbDpT10_ENKUlT_T0_E_clISt17integral_constantIbLb0EES19_EEDaS14_S15_EUlS14_E_NS1_11comp_targetILNS1_3genE0ELNS1_11target_archE4294967295ELNS1_3gpuE0ELNS1_3repE0EEENS1_30default_config_static_selectorELNS0_4arch9wavefront6targetE1EEEvT1_: ; @_ZN7rocprim17ROCPRIM_400000_NS6detail17trampoline_kernelINS0_14default_configENS1_25partition_config_selectorILNS1_17partition_subalgoE1EsNS0_10empty_typeEbEEZZNS1_14partition_implILS5_1ELb0ES3_jN6thrust23THRUST_200600_302600_NS6detail15normal_iteratorINSA_10device_ptrIsEEEEPS6_NSA_18transform_iteratorINSA_8identityIsEESF_NSA_11use_defaultESK_EENS0_5tupleIJSF_SF_EEENSM_IJSG_SG_EEES6_PlJS6_EEE10hipError_tPvRmT3_T4_T5_T6_T7_T9_mT8_P12ihipStream_tbDpT10_ENKUlT_T0_E_clISt17integral_constantIbLb0EES19_EEDaS14_S15_EUlS14_E_NS1_11comp_targetILNS1_3genE0ELNS1_11target_archE4294967295ELNS1_3gpuE0ELNS1_3repE0EEENS1_30default_config_static_selectorELNS0_4arch9wavefront6targetE1EEEvT1_
; %bb.0:
	.section	.rodata,"a",@progbits
	.p2align	6, 0x0
	.amdhsa_kernel _ZN7rocprim17ROCPRIM_400000_NS6detail17trampoline_kernelINS0_14default_configENS1_25partition_config_selectorILNS1_17partition_subalgoE1EsNS0_10empty_typeEbEEZZNS1_14partition_implILS5_1ELb0ES3_jN6thrust23THRUST_200600_302600_NS6detail15normal_iteratorINSA_10device_ptrIsEEEEPS6_NSA_18transform_iteratorINSA_8identityIsEESF_NSA_11use_defaultESK_EENS0_5tupleIJSF_SF_EEENSM_IJSG_SG_EEES6_PlJS6_EEE10hipError_tPvRmT3_T4_T5_T6_T7_T9_mT8_P12ihipStream_tbDpT10_ENKUlT_T0_E_clISt17integral_constantIbLb0EES19_EEDaS14_S15_EUlS14_E_NS1_11comp_targetILNS1_3genE0ELNS1_11target_archE4294967295ELNS1_3gpuE0ELNS1_3repE0EEENS1_30default_config_static_selectorELNS0_4arch9wavefront6targetE1EEEvT1_
		.amdhsa_group_segment_fixed_size 0
		.amdhsa_private_segment_fixed_size 0
		.amdhsa_kernarg_size 128
		.amdhsa_user_sgpr_count 6
		.amdhsa_user_sgpr_private_segment_buffer 1
		.amdhsa_user_sgpr_dispatch_ptr 0
		.amdhsa_user_sgpr_queue_ptr 0
		.amdhsa_user_sgpr_kernarg_segment_ptr 1
		.amdhsa_user_sgpr_dispatch_id 0
		.amdhsa_user_sgpr_flat_scratch_init 0
		.amdhsa_user_sgpr_kernarg_preload_length 0
		.amdhsa_user_sgpr_kernarg_preload_offset 0
		.amdhsa_user_sgpr_private_segment_size 0
		.amdhsa_uses_dynamic_stack 0
		.amdhsa_system_sgpr_private_segment_wavefront_offset 0
		.amdhsa_system_sgpr_workgroup_id_x 1
		.amdhsa_system_sgpr_workgroup_id_y 0
		.amdhsa_system_sgpr_workgroup_id_z 0
		.amdhsa_system_sgpr_workgroup_info 0
		.amdhsa_system_vgpr_workitem_id 0
		.amdhsa_next_free_vgpr 1
		.amdhsa_next_free_sgpr 0
		.amdhsa_accum_offset 4
		.amdhsa_reserve_vcc 0
		.amdhsa_reserve_flat_scratch 0
		.amdhsa_float_round_mode_32 0
		.amdhsa_float_round_mode_16_64 0
		.amdhsa_float_denorm_mode_32 3
		.amdhsa_float_denorm_mode_16_64 3
		.amdhsa_dx10_clamp 1
		.amdhsa_ieee_mode 1
		.amdhsa_fp16_overflow 0
		.amdhsa_tg_split 0
		.amdhsa_exception_fp_ieee_invalid_op 0
		.amdhsa_exception_fp_denorm_src 0
		.amdhsa_exception_fp_ieee_div_zero 0
		.amdhsa_exception_fp_ieee_overflow 0
		.amdhsa_exception_fp_ieee_underflow 0
		.amdhsa_exception_fp_ieee_inexact 0
		.amdhsa_exception_int_div_zero 0
	.end_amdhsa_kernel
	.section	.text._ZN7rocprim17ROCPRIM_400000_NS6detail17trampoline_kernelINS0_14default_configENS1_25partition_config_selectorILNS1_17partition_subalgoE1EsNS0_10empty_typeEbEEZZNS1_14partition_implILS5_1ELb0ES3_jN6thrust23THRUST_200600_302600_NS6detail15normal_iteratorINSA_10device_ptrIsEEEEPS6_NSA_18transform_iteratorINSA_8identityIsEESF_NSA_11use_defaultESK_EENS0_5tupleIJSF_SF_EEENSM_IJSG_SG_EEES6_PlJS6_EEE10hipError_tPvRmT3_T4_T5_T6_T7_T9_mT8_P12ihipStream_tbDpT10_ENKUlT_T0_E_clISt17integral_constantIbLb0EES19_EEDaS14_S15_EUlS14_E_NS1_11comp_targetILNS1_3genE0ELNS1_11target_archE4294967295ELNS1_3gpuE0ELNS1_3repE0EEENS1_30default_config_static_selectorELNS0_4arch9wavefront6targetE1EEEvT1_,"axG",@progbits,_ZN7rocprim17ROCPRIM_400000_NS6detail17trampoline_kernelINS0_14default_configENS1_25partition_config_selectorILNS1_17partition_subalgoE1EsNS0_10empty_typeEbEEZZNS1_14partition_implILS5_1ELb0ES3_jN6thrust23THRUST_200600_302600_NS6detail15normal_iteratorINSA_10device_ptrIsEEEEPS6_NSA_18transform_iteratorINSA_8identityIsEESF_NSA_11use_defaultESK_EENS0_5tupleIJSF_SF_EEENSM_IJSG_SG_EEES6_PlJS6_EEE10hipError_tPvRmT3_T4_T5_T6_T7_T9_mT8_P12ihipStream_tbDpT10_ENKUlT_T0_E_clISt17integral_constantIbLb0EES19_EEDaS14_S15_EUlS14_E_NS1_11comp_targetILNS1_3genE0ELNS1_11target_archE4294967295ELNS1_3gpuE0ELNS1_3repE0EEENS1_30default_config_static_selectorELNS0_4arch9wavefront6targetE1EEEvT1_,comdat
.Lfunc_end641:
	.size	_ZN7rocprim17ROCPRIM_400000_NS6detail17trampoline_kernelINS0_14default_configENS1_25partition_config_selectorILNS1_17partition_subalgoE1EsNS0_10empty_typeEbEEZZNS1_14partition_implILS5_1ELb0ES3_jN6thrust23THRUST_200600_302600_NS6detail15normal_iteratorINSA_10device_ptrIsEEEEPS6_NSA_18transform_iteratorINSA_8identityIsEESF_NSA_11use_defaultESK_EENS0_5tupleIJSF_SF_EEENSM_IJSG_SG_EEES6_PlJS6_EEE10hipError_tPvRmT3_T4_T5_T6_T7_T9_mT8_P12ihipStream_tbDpT10_ENKUlT_T0_E_clISt17integral_constantIbLb0EES19_EEDaS14_S15_EUlS14_E_NS1_11comp_targetILNS1_3genE0ELNS1_11target_archE4294967295ELNS1_3gpuE0ELNS1_3repE0EEENS1_30default_config_static_selectorELNS0_4arch9wavefront6targetE1EEEvT1_, .Lfunc_end641-_ZN7rocprim17ROCPRIM_400000_NS6detail17trampoline_kernelINS0_14default_configENS1_25partition_config_selectorILNS1_17partition_subalgoE1EsNS0_10empty_typeEbEEZZNS1_14partition_implILS5_1ELb0ES3_jN6thrust23THRUST_200600_302600_NS6detail15normal_iteratorINSA_10device_ptrIsEEEEPS6_NSA_18transform_iteratorINSA_8identityIsEESF_NSA_11use_defaultESK_EENS0_5tupleIJSF_SF_EEENSM_IJSG_SG_EEES6_PlJS6_EEE10hipError_tPvRmT3_T4_T5_T6_T7_T9_mT8_P12ihipStream_tbDpT10_ENKUlT_T0_E_clISt17integral_constantIbLb0EES19_EEDaS14_S15_EUlS14_E_NS1_11comp_targetILNS1_3genE0ELNS1_11target_archE4294967295ELNS1_3gpuE0ELNS1_3repE0EEENS1_30default_config_static_selectorELNS0_4arch9wavefront6targetE1EEEvT1_
                                        ; -- End function
	.section	.AMDGPU.csdata,"",@progbits
; Kernel info:
; codeLenInByte = 0
; NumSgprs: 4
; NumVgprs: 0
; NumAgprs: 0
; TotalNumVgprs: 0
; ScratchSize: 0
; MemoryBound: 0
; FloatMode: 240
; IeeeMode: 1
; LDSByteSize: 0 bytes/workgroup (compile time only)
; SGPRBlocks: 0
; VGPRBlocks: 0
; NumSGPRsForWavesPerEU: 4
; NumVGPRsForWavesPerEU: 1
; AccumOffset: 4
; Occupancy: 8
; WaveLimiterHint : 0
; COMPUTE_PGM_RSRC2:SCRATCH_EN: 0
; COMPUTE_PGM_RSRC2:USER_SGPR: 6
; COMPUTE_PGM_RSRC2:TRAP_HANDLER: 0
; COMPUTE_PGM_RSRC2:TGID_X_EN: 1
; COMPUTE_PGM_RSRC2:TGID_Y_EN: 0
; COMPUTE_PGM_RSRC2:TGID_Z_EN: 0
; COMPUTE_PGM_RSRC2:TIDIG_COMP_CNT: 0
; COMPUTE_PGM_RSRC3_GFX90A:ACCUM_OFFSET: 0
; COMPUTE_PGM_RSRC3_GFX90A:TG_SPLIT: 0
	.section	.text._ZN7rocprim17ROCPRIM_400000_NS6detail17trampoline_kernelINS0_14default_configENS1_25partition_config_selectorILNS1_17partition_subalgoE1EsNS0_10empty_typeEbEEZZNS1_14partition_implILS5_1ELb0ES3_jN6thrust23THRUST_200600_302600_NS6detail15normal_iteratorINSA_10device_ptrIsEEEEPS6_NSA_18transform_iteratorINSA_8identityIsEESF_NSA_11use_defaultESK_EENS0_5tupleIJSF_SF_EEENSM_IJSG_SG_EEES6_PlJS6_EEE10hipError_tPvRmT3_T4_T5_T6_T7_T9_mT8_P12ihipStream_tbDpT10_ENKUlT_T0_E_clISt17integral_constantIbLb0EES19_EEDaS14_S15_EUlS14_E_NS1_11comp_targetILNS1_3genE5ELNS1_11target_archE942ELNS1_3gpuE9ELNS1_3repE0EEENS1_30default_config_static_selectorELNS0_4arch9wavefront6targetE1EEEvT1_,"axG",@progbits,_ZN7rocprim17ROCPRIM_400000_NS6detail17trampoline_kernelINS0_14default_configENS1_25partition_config_selectorILNS1_17partition_subalgoE1EsNS0_10empty_typeEbEEZZNS1_14partition_implILS5_1ELb0ES3_jN6thrust23THRUST_200600_302600_NS6detail15normal_iteratorINSA_10device_ptrIsEEEEPS6_NSA_18transform_iteratorINSA_8identityIsEESF_NSA_11use_defaultESK_EENS0_5tupleIJSF_SF_EEENSM_IJSG_SG_EEES6_PlJS6_EEE10hipError_tPvRmT3_T4_T5_T6_T7_T9_mT8_P12ihipStream_tbDpT10_ENKUlT_T0_E_clISt17integral_constantIbLb0EES19_EEDaS14_S15_EUlS14_E_NS1_11comp_targetILNS1_3genE5ELNS1_11target_archE942ELNS1_3gpuE9ELNS1_3repE0EEENS1_30default_config_static_selectorELNS0_4arch9wavefront6targetE1EEEvT1_,comdat
	.protected	_ZN7rocprim17ROCPRIM_400000_NS6detail17trampoline_kernelINS0_14default_configENS1_25partition_config_selectorILNS1_17partition_subalgoE1EsNS0_10empty_typeEbEEZZNS1_14partition_implILS5_1ELb0ES3_jN6thrust23THRUST_200600_302600_NS6detail15normal_iteratorINSA_10device_ptrIsEEEEPS6_NSA_18transform_iteratorINSA_8identityIsEESF_NSA_11use_defaultESK_EENS0_5tupleIJSF_SF_EEENSM_IJSG_SG_EEES6_PlJS6_EEE10hipError_tPvRmT3_T4_T5_T6_T7_T9_mT8_P12ihipStream_tbDpT10_ENKUlT_T0_E_clISt17integral_constantIbLb0EES19_EEDaS14_S15_EUlS14_E_NS1_11comp_targetILNS1_3genE5ELNS1_11target_archE942ELNS1_3gpuE9ELNS1_3repE0EEENS1_30default_config_static_selectorELNS0_4arch9wavefront6targetE1EEEvT1_ ; -- Begin function _ZN7rocprim17ROCPRIM_400000_NS6detail17trampoline_kernelINS0_14default_configENS1_25partition_config_selectorILNS1_17partition_subalgoE1EsNS0_10empty_typeEbEEZZNS1_14partition_implILS5_1ELb0ES3_jN6thrust23THRUST_200600_302600_NS6detail15normal_iteratorINSA_10device_ptrIsEEEEPS6_NSA_18transform_iteratorINSA_8identityIsEESF_NSA_11use_defaultESK_EENS0_5tupleIJSF_SF_EEENSM_IJSG_SG_EEES6_PlJS6_EEE10hipError_tPvRmT3_T4_T5_T6_T7_T9_mT8_P12ihipStream_tbDpT10_ENKUlT_T0_E_clISt17integral_constantIbLb0EES19_EEDaS14_S15_EUlS14_E_NS1_11comp_targetILNS1_3genE5ELNS1_11target_archE942ELNS1_3gpuE9ELNS1_3repE0EEENS1_30default_config_static_selectorELNS0_4arch9wavefront6targetE1EEEvT1_
	.globl	_ZN7rocprim17ROCPRIM_400000_NS6detail17trampoline_kernelINS0_14default_configENS1_25partition_config_selectorILNS1_17partition_subalgoE1EsNS0_10empty_typeEbEEZZNS1_14partition_implILS5_1ELb0ES3_jN6thrust23THRUST_200600_302600_NS6detail15normal_iteratorINSA_10device_ptrIsEEEEPS6_NSA_18transform_iteratorINSA_8identityIsEESF_NSA_11use_defaultESK_EENS0_5tupleIJSF_SF_EEENSM_IJSG_SG_EEES6_PlJS6_EEE10hipError_tPvRmT3_T4_T5_T6_T7_T9_mT8_P12ihipStream_tbDpT10_ENKUlT_T0_E_clISt17integral_constantIbLb0EES19_EEDaS14_S15_EUlS14_E_NS1_11comp_targetILNS1_3genE5ELNS1_11target_archE942ELNS1_3gpuE9ELNS1_3repE0EEENS1_30default_config_static_selectorELNS0_4arch9wavefront6targetE1EEEvT1_
	.p2align	8
	.type	_ZN7rocprim17ROCPRIM_400000_NS6detail17trampoline_kernelINS0_14default_configENS1_25partition_config_selectorILNS1_17partition_subalgoE1EsNS0_10empty_typeEbEEZZNS1_14partition_implILS5_1ELb0ES3_jN6thrust23THRUST_200600_302600_NS6detail15normal_iteratorINSA_10device_ptrIsEEEEPS6_NSA_18transform_iteratorINSA_8identityIsEESF_NSA_11use_defaultESK_EENS0_5tupleIJSF_SF_EEENSM_IJSG_SG_EEES6_PlJS6_EEE10hipError_tPvRmT3_T4_T5_T6_T7_T9_mT8_P12ihipStream_tbDpT10_ENKUlT_T0_E_clISt17integral_constantIbLb0EES19_EEDaS14_S15_EUlS14_E_NS1_11comp_targetILNS1_3genE5ELNS1_11target_archE942ELNS1_3gpuE9ELNS1_3repE0EEENS1_30default_config_static_selectorELNS0_4arch9wavefront6targetE1EEEvT1_,@function
_ZN7rocprim17ROCPRIM_400000_NS6detail17trampoline_kernelINS0_14default_configENS1_25partition_config_selectorILNS1_17partition_subalgoE1EsNS0_10empty_typeEbEEZZNS1_14partition_implILS5_1ELb0ES3_jN6thrust23THRUST_200600_302600_NS6detail15normal_iteratorINSA_10device_ptrIsEEEEPS6_NSA_18transform_iteratorINSA_8identityIsEESF_NSA_11use_defaultESK_EENS0_5tupleIJSF_SF_EEENSM_IJSG_SG_EEES6_PlJS6_EEE10hipError_tPvRmT3_T4_T5_T6_T7_T9_mT8_P12ihipStream_tbDpT10_ENKUlT_T0_E_clISt17integral_constantIbLb0EES19_EEDaS14_S15_EUlS14_E_NS1_11comp_targetILNS1_3genE5ELNS1_11target_archE942ELNS1_3gpuE9ELNS1_3repE0EEENS1_30default_config_static_selectorELNS0_4arch9wavefront6targetE1EEEvT1_: ; @_ZN7rocprim17ROCPRIM_400000_NS6detail17trampoline_kernelINS0_14default_configENS1_25partition_config_selectorILNS1_17partition_subalgoE1EsNS0_10empty_typeEbEEZZNS1_14partition_implILS5_1ELb0ES3_jN6thrust23THRUST_200600_302600_NS6detail15normal_iteratorINSA_10device_ptrIsEEEEPS6_NSA_18transform_iteratorINSA_8identityIsEESF_NSA_11use_defaultESK_EENS0_5tupleIJSF_SF_EEENSM_IJSG_SG_EEES6_PlJS6_EEE10hipError_tPvRmT3_T4_T5_T6_T7_T9_mT8_P12ihipStream_tbDpT10_ENKUlT_T0_E_clISt17integral_constantIbLb0EES19_EEDaS14_S15_EUlS14_E_NS1_11comp_targetILNS1_3genE5ELNS1_11target_archE942ELNS1_3gpuE9ELNS1_3repE0EEENS1_30default_config_static_selectorELNS0_4arch9wavefront6targetE1EEEvT1_
; %bb.0:
	.section	.rodata,"a",@progbits
	.p2align	6, 0x0
	.amdhsa_kernel _ZN7rocprim17ROCPRIM_400000_NS6detail17trampoline_kernelINS0_14default_configENS1_25partition_config_selectorILNS1_17partition_subalgoE1EsNS0_10empty_typeEbEEZZNS1_14partition_implILS5_1ELb0ES3_jN6thrust23THRUST_200600_302600_NS6detail15normal_iteratorINSA_10device_ptrIsEEEEPS6_NSA_18transform_iteratorINSA_8identityIsEESF_NSA_11use_defaultESK_EENS0_5tupleIJSF_SF_EEENSM_IJSG_SG_EEES6_PlJS6_EEE10hipError_tPvRmT3_T4_T5_T6_T7_T9_mT8_P12ihipStream_tbDpT10_ENKUlT_T0_E_clISt17integral_constantIbLb0EES19_EEDaS14_S15_EUlS14_E_NS1_11comp_targetILNS1_3genE5ELNS1_11target_archE942ELNS1_3gpuE9ELNS1_3repE0EEENS1_30default_config_static_selectorELNS0_4arch9wavefront6targetE1EEEvT1_
		.amdhsa_group_segment_fixed_size 0
		.amdhsa_private_segment_fixed_size 0
		.amdhsa_kernarg_size 128
		.amdhsa_user_sgpr_count 6
		.amdhsa_user_sgpr_private_segment_buffer 1
		.amdhsa_user_sgpr_dispatch_ptr 0
		.amdhsa_user_sgpr_queue_ptr 0
		.amdhsa_user_sgpr_kernarg_segment_ptr 1
		.amdhsa_user_sgpr_dispatch_id 0
		.amdhsa_user_sgpr_flat_scratch_init 0
		.amdhsa_user_sgpr_kernarg_preload_length 0
		.amdhsa_user_sgpr_kernarg_preload_offset 0
		.amdhsa_user_sgpr_private_segment_size 0
		.amdhsa_uses_dynamic_stack 0
		.amdhsa_system_sgpr_private_segment_wavefront_offset 0
		.amdhsa_system_sgpr_workgroup_id_x 1
		.amdhsa_system_sgpr_workgroup_id_y 0
		.amdhsa_system_sgpr_workgroup_id_z 0
		.amdhsa_system_sgpr_workgroup_info 0
		.amdhsa_system_vgpr_workitem_id 0
		.amdhsa_next_free_vgpr 1
		.amdhsa_next_free_sgpr 0
		.amdhsa_accum_offset 4
		.amdhsa_reserve_vcc 0
		.amdhsa_reserve_flat_scratch 0
		.amdhsa_float_round_mode_32 0
		.amdhsa_float_round_mode_16_64 0
		.amdhsa_float_denorm_mode_32 3
		.amdhsa_float_denorm_mode_16_64 3
		.amdhsa_dx10_clamp 1
		.amdhsa_ieee_mode 1
		.amdhsa_fp16_overflow 0
		.amdhsa_tg_split 0
		.amdhsa_exception_fp_ieee_invalid_op 0
		.amdhsa_exception_fp_denorm_src 0
		.amdhsa_exception_fp_ieee_div_zero 0
		.amdhsa_exception_fp_ieee_overflow 0
		.amdhsa_exception_fp_ieee_underflow 0
		.amdhsa_exception_fp_ieee_inexact 0
		.amdhsa_exception_int_div_zero 0
	.end_amdhsa_kernel
	.section	.text._ZN7rocprim17ROCPRIM_400000_NS6detail17trampoline_kernelINS0_14default_configENS1_25partition_config_selectorILNS1_17partition_subalgoE1EsNS0_10empty_typeEbEEZZNS1_14partition_implILS5_1ELb0ES3_jN6thrust23THRUST_200600_302600_NS6detail15normal_iteratorINSA_10device_ptrIsEEEEPS6_NSA_18transform_iteratorINSA_8identityIsEESF_NSA_11use_defaultESK_EENS0_5tupleIJSF_SF_EEENSM_IJSG_SG_EEES6_PlJS6_EEE10hipError_tPvRmT3_T4_T5_T6_T7_T9_mT8_P12ihipStream_tbDpT10_ENKUlT_T0_E_clISt17integral_constantIbLb0EES19_EEDaS14_S15_EUlS14_E_NS1_11comp_targetILNS1_3genE5ELNS1_11target_archE942ELNS1_3gpuE9ELNS1_3repE0EEENS1_30default_config_static_selectorELNS0_4arch9wavefront6targetE1EEEvT1_,"axG",@progbits,_ZN7rocprim17ROCPRIM_400000_NS6detail17trampoline_kernelINS0_14default_configENS1_25partition_config_selectorILNS1_17partition_subalgoE1EsNS0_10empty_typeEbEEZZNS1_14partition_implILS5_1ELb0ES3_jN6thrust23THRUST_200600_302600_NS6detail15normal_iteratorINSA_10device_ptrIsEEEEPS6_NSA_18transform_iteratorINSA_8identityIsEESF_NSA_11use_defaultESK_EENS0_5tupleIJSF_SF_EEENSM_IJSG_SG_EEES6_PlJS6_EEE10hipError_tPvRmT3_T4_T5_T6_T7_T9_mT8_P12ihipStream_tbDpT10_ENKUlT_T0_E_clISt17integral_constantIbLb0EES19_EEDaS14_S15_EUlS14_E_NS1_11comp_targetILNS1_3genE5ELNS1_11target_archE942ELNS1_3gpuE9ELNS1_3repE0EEENS1_30default_config_static_selectorELNS0_4arch9wavefront6targetE1EEEvT1_,comdat
.Lfunc_end642:
	.size	_ZN7rocprim17ROCPRIM_400000_NS6detail17trampoline_kernelINS0_14default_configENS1_25partition_config_selectorILNS1_17partition_subalgoE1EsNS0_10empty_typeEbEEZZNS1_14partition_implILS5_1ELb0ES3_jN6thrust23THRUST_200600_302600_NS6detail15normal_iteratorINSA_10device_ptrIsEEEEPS6_NSA_18transform_iteratorINSA_8identityIsEESF_NSA_11use_defaultESK_EENS0_5tupleIJSF_SF_EEENSM_IJSG_SG_EEES6_PlJS6_EEE10hipError_tPvRmT3_T4_T5_T6_T7_T9_mT8_P12ihipStream_tbDpT10_ENKUlT_T0_E_clISt17integral_constantIbLb0EES19_EEDaS14_S15_EUlS14_E_NS1_11comp_targetILNS1_3genE5ELNS1_11target_archE942ELNS1_3gpuE9ELNS1_3repE0EEENS1_30default_config_static_selectorELNS0_4arch9wavefront6targetE1EEEvT1_, .Lfunc_end642-_ZN7rocprim17ROCPRIM_400000_NS6detail17trampoline_kernelINS0_14default_configENS1_25partition_config_selectorILNS1_17partition_subalgoE1EsNS0_10empty_typeEbEEZZNS1_14partition_implILS5_1ELb0ES3_jN6thrust23THRUST_200600_302600_NS6detail15normal_iteratorINSA_10device_ptrIsEEEEPS6_NSA_18transform_iteratorINSA_8identityIsEESF_NSA_11use_defaultESK_EENS0_5tupleIJSF_SF_EEENSM_IJSG_SG_EEES6_PlJS6_EEE10hipError_tPvRmT3_T4_T5_T6_T7_T9_mT8_P12ihipStream_tbDpT10_ENKUlT_T0_E_clISt17integral_constantIbLb0EES19_EEDaS14_S15_EUlS14_E_NS1_11comp_targetILNS1_3genE5ELNS1_11target_archE942ELNS1_3gpuE9ELNS1_3repE0EEENS1_30default_config_static_selectorELNS0_4arch9wavefront6targetE1EEEvT1_
                                        ; -- End function
	.section	.AMDGPU.csdata,"",@progbits
; Kernel info:
; codeLenInByte = 0
; NumSgprs: 4
; NumVgprs: 0
; NumAgprs: 0
; TotalNumVgprs: 0
; ScratchSize: 0
; MemoryBound: 0
; FloatMode: 240
; IeeeMode: 1
; LDSByteSize: 0 bytes/workgroup (compile time only)
; SGPRBlocks: 0
; VGPRBlocks: 0
; NumSGPRsForWavesPerEU: 4
; NumVGPRsForWavesPerEU: 1
; AccumOffset: 4
; Occupancy: 8
; WaveLimiterHint : 0
; COMPUTE_PGM_RSRC2:SCRATCH_EN: 0
; COMPUTE_PGM_RSRC2:USER_SGPR: 6
; COMPUTE_PGM_RSRC2:TRAP_HANDLER: 0
; COMPUTE_PGM_RSRC2:TGID_X_EN: 1
; COMPUTE_PGM_RSRC2:TGID_Y_EN: 0
; COMPUTE_PGM_RSRC2:TGID_Z_EN: 0
; COMPUTE_PGM_RSRC2:TIDIG_COMP_CNT: 0
; COMPUTE_PGM_RSRC3_GFX90A:ACCUM_OFFSET: 0
; COMPUTE_PGM_RSRC3_GFX90A:TG_SPLIT: 0
	.section	.text._ZN7rocprim17ROCPRIM_400000_NS6detail17trampoline_kernelINS0_14default_configENS1_25partition_config_selectorILNS1_17partition_subalgoE1EsNS0_10empty_typeEbEEZZNS1_14partition_implILS5_1ELb0ES3_jN6thrust23THRUST_200600_302600_NS6detail15normal_iteratorINSA_10device_ptrIsEEEEPS6_NSA_18transform_iteratorINSA_8identityIsEESF_NSA_11use_defaultESK_EENS0_5tupleIJSF_SF_EEENSM_IJSG_SG_EEES6_PlJS6_EEE10hipError_tPvRmT3_T4_T5_T6_T7_T9_mT8_P12ihipStream_tbDpT10_ENKUlT_T0_E_clISt17integral_constantIbLb0EES19_EEDaS14_S15_EUlS14_E_NS1_11comp_targetILNS1_3genE4ELNS1_11target_archE910ELNS1_3gpuE8ELNS1_3repE0EEENS1_30default_config_static_selectorELNS0_4arch9wavefront6targetE1EEEvT1_,"axG",@progbits,_ZN7rocprim17ROCPRIM_400000_NS6detail17trampoline_kernelINS0_14default_configENS1_25partition_config_selectorILNS1_17partition_subalgoE1EsNS0_10empty_typeEbEEZZNS1_14partition_implILS5_1ELb0ES3_jN6thrust23THRUST_200600_302600_NS6detail15normal_iteratorINSA_10device_ptrIsEEEEPS6_NSA_18transform_iteratorINSA_8identityIsEESF_NSA_11use_defaultESK_EENS0_5tupleIJSF_SF_EEENSM_IJSG_SG_EEES6_PlJS6_EEE10hipError_tPvRmT3_T4_T5_T6_T7_T9_mT8_P12ihipStream_tbDpT10_ENKUlT_T0_E_clISt17integral_constantIbLb0EES19_EEDaS14_S15_EUlS14_E_NS1_11comp_targetILNS1_3genE4ELNS1_11target_archE910ELNS1_3gpuE8ELNS1_3repE0EEENS1_30default_config_static_selectorELNS0_4arch9wavefront6targetE1EEEvT1_,comdat
	.protected	_ZN7rocprim17ROCPRIM_400000_NS6detail17trampoline_kernelINS0_14default_configENS1_25partition_config_selectorILNS1_17partition_subalgoE1EsNS0_10empty_typeEbEEZZNS1_14partition_implILS5_1ELb0ES3_jN6thrust23THRUST_200600_302600_NS6detail15normal_iteratorINSA_10device_ptrIsEEEEPS6_NSA_18transform_iteratorINSA_8identityIsEESF_NSA_11use_defaultESK_EENS0_5tupleIJSF_SF_EEENSM_IJSG_SG_EEES6_PlJS6_EEE10hipError_tPvRmT3_T4_T5_T6_T7_T9_mT8_P12ihipStream_tbDpT10_ENKUlT_T0_E_clISt17integral_constantIbLb0EES19_EEDaS14_S15_EUlS14_E_NS1_11comp_targetILNS1_3genE4ELNS1_11target_archE910ELNS1_3gpuE8ELNS1_3repE0EEENS1_30default_config_static_selectorELNS0_4arch9wavefront6targetE1EEEvT1_ ; -- Begin function _ZN7rocprim17ROCPRIM_400000_NS6detail17trampoline_kernelINS0_14default_configENS1_25partition_config_selectorILNS1_17partition_subalgoE1EsNS0_10empty_typeEbEEZZNS1_14partition_implILS5_1ELb0ES3_jN6thrust23THRUST_200600_302600_NS6detail15normal_iteratorINSA_10device_ptrIsEEEEPS6_NSA_18transform_iteratorINSA_8identityIsEESF_NSA_11use_defaultESK_EENS0_5tupleIJSF_SF_EEENSM_IJSG_SG_EEES6_PlJS6_EEE10hipError_tPvRmT3_T4_T5_T6_T7_T9_mT8_P12ihipStream_tbDpT10_ENKUlT_T0_E_clISt17integral_constantIbLb0EES19_EEDaS14_S15_EUlS14_E_NS1_11comp_targetILNS1_3genE4ELNS1_11target_archE910ELNS1_3gpuE8ELNS1_3repE0EEENS1_30default_config_static_selectorELNS0_4arch9wavefront6targetE1EEEvT1_
	.globl	_ZN7rocprim17ROCPRIM_400000_NS6detail17trampoline_kernelINS0_14default_configENS1_25partition_config_selectorILNS1_17partition_subalgoE1EsNS0_10empty_typeEbEEZZNS1_14partition_implILS5_1ELb0ES3_jN6thrust23THRUST_200600_302600_NS6detail15normal_iteratorINSA_10device_ptrIsEEEEPS6_NSA_18transform_iteratorINSA_8identityIsEESF_NSA_11use_defaultESK_EENS0_5tupleIJSF_SF_EEENSM_IJSG_SG_EEES6_PlJS6_EEE10hipError_tPvRmT3_T4_T5_T6_T7_T9_mT8_P12ihipStream_tbDpT10_ENKUlT_T0_E_clISt17integral_constantIbLb0EES19_EEDaS14_S15_EUlS14_E_NS1_11comp_targetILNS1_3genE4ELNS1_11target_archE910ELNS1_3gpuE8ELNS1_3repE0EEENS1_30default_config_static_selectorELNS0_4arch9wavefront6targetE1EEEvT1_
	.p2align	8
	.type	_ZN7rocprim17ROCPRIM_400000_NS6detail17trampoline_kernelINS0_14default_configENS1_25partition_config_selectorILNS1_17partition_subalgoE1EsNS0_10empty_typeEbEEZZNS1_14partition_implILS5_1ELb0ES3_jN6thrust23THRUST_200600_302600_NS6detail15normal_iteratorINSA_10device_ptrIsEEEEPS6_NSA_18transform_iteratorINSA_8identityIsEESF_NSA_11use_defaultESK_EENS0_5tupleIJSF_SF_EEENSM_IJSG_SG_EEES6_PlJS6_EEE10hipError_tPvRmT3_T4_T5_T6_T7_T9_mT8_P12ihipStream_tbDpT10_ENKUlT_T0_E_clISt17integral_constantIbLb0EES19_EEDaS14_S15_EUlS14_E_NS1_11comp_targetILNS1_3genE4ELNS1_11target_archE910ELNS1_3gpuE8ELNS1_3repE0EEENS1_30default_config_static_selectorELNS0_4arch9wavefront6targetE1EEEvT1_,@function
_ZN7rocprim17ROCPRIM_400000_NS6detail17trampoline_kernelINS0_14default_configENS1_25partition_config_selectorILNS1_17partition_subalgoE1EsNS0_10empty_typeEbEEZZNS1_14partition_implILS5_1ELb0ES3_jN6thrust23THRUST_200600_302600_NS6detail15normal_iteratorINSA_10device_ptrIsEEEEPS6_NSA_18transform_iteratorINSA_8identityIsEESF_NSA_11use_defaultESK_EENS0_5tupleIJSF_SF_EEENSM_IJSG_SG_EEES6_PlJS6_EEE10hipError_tPvRmT3_T4_T5_T6_T7_T9_mT8_P12ihipStream_tbDpT10_ENKUlT_T0_E_clISt17integral_constantIbLb0EES19_EEDaS14_S15_EUlS14_E_NS1_11comp_targetILNS1_3genE4ELNS1_11target_archE910ELNS1_3gpuE8ELNS1_3repE0EEENS1_30default_config_static_selectorELNS0_4arch9wavefront6targetE1EEEvT1_: ; @_ZN7rocprim17ROCPRIM_400000_NS6detail17trampoline_kernelINS0_14default_configENS1_25partition_config_selectorILNS1_17partition_subalgoE1EsNS0_10empty_typeEbEEZZNS1_14partition_implILS5_1ELb0ES3_jN6thrust23THRUST_200600_302600_NS6detail15normal_iteratorINSA_10device_ptrIsEEEEPS6_NSA_18transform_iteratorINSA_8identityIsEESF_NSA_11use_defaultESK_EENS0_5tupleIJSF_SF_EEENSM_IJSG_SG_EEES6_PlJS6_EEE10hipError_tPvRmT3_T4_T5_T6_T7_T9_mT8_P12ihipStream_tbDpT10_ENKUlT_T0_E_clISt17integral_constantIbLb0EES19_EEDaS14_S15_EUlS14_E_NS1_11comp_targetILNS1_3genE4ELNS1_11target_archE910ELNS1_3gpuE8ELNS1_3repE0EEENS1_30default_config_static_selectorELNS0_4arch9wavefront6targetE1EEEvT1_
; %bb.0:
	s_load_dwordx2 s[0:1], s[4:5], 0x60
	s_load_dwordx4 s[24:27], s[4:5], 0x8
	s_load_dwordx2 s[2:3], s[4:5], 0x20
	s_load_dwordx4 s[20:23], s[4:5], 0x50
	s_mul_i32 s10, s6, 0x1400
	s_waitcnt lgkmcnt(0)
	v_mov_b32_e32 v3, s1
	s_load_dword s1, s[4:5], 0x78
	s_lshl_b64 s[8:9], s[26:27], 1
	s_add_u32 s7, s24, s8
	s_addc_u32 s12, s25, s9
	v_mov_b32_e32 v2, s0
	s_waitcnt lgkmcnt(0)
	s_add_i32 s13, s1, -1
	s_mulk_i32 s1, 0x1400
	s_add_i32 s11, s1, s26
	s_sub_i32 s33, s0, s11
	s_addk_i32 s33, 0x1400
	s_add_u32 s0, s26, s1
	s_addc_u32 s1, s27, 0
	s_cmp_eq_u32 s6, s13
	s_load_dwordx2 s[30:31], s[22:23], 0x0
	s_cselect_b64 s[22:23], -1, 0
	s_cmp_lg_u32 s6, s13
	s_mov_b32 s11, 0
	v_cmp_lt_u64_e32 vcc, s[0:1], v[2:3]
	s_cselect_b64 s[0:1], -1, 0
	s_or_b64 s[24:25], s[0:1], vcc
	s_lshl_b64 s[28:29], s[10:11], 1
	s_add_u32 s7, s7, s28
	s_addc_u32 s12, s12, s29
	s_mov_b64 s[0:1], -1
	s_and_b64 vcc, exec, s[24:25]
	v_lshlrev_b32_e32 v1, 1, v0
	s_cbranch_vccz .LBB643_2
; %bb.1:
	v_mov_b32_e32 v3, s12
	v_add_co_u32_e32 v2, vcc, s7, v1
	v_addc_co_u32_e32 v3, vcc, 0, v3, vcc
	v_add_co_u32_e32 v4, vcc, 0x1000, v2
	v_addc_co_u32_e32 v5, vcc, 0, v3, vcc
	flat_load_ushort v6, v[2:3]
	flat_load_ushort v7, v[2:3] offset:512
	flat_load_ushort v8, v[2:3] offset:1024
	;; [unrolled: 1-line block ×7, first 2 shown]
	v_add_co_u32_e32 v2, vcc, 0x2000, v2
	v_addc_co_u32_e32 v3, vcc, 0, v3, vcc
	flat_load_ushort v14, v[4:5]
	flat_load_ushort v15, v[4:5] offset:512
	flat_load_ushort v16, v[4:5] offset:1024
	;; [unrolled: 1-line block ×7, first 2 shown]
	s_nop 0
	flat_load_ushort v4, v[2:3]
	flat_load_ushort v5, v[2:3] offset:512
	flat_load_ushort v22, v[2:3] offset:1024
	;; [unrolled: 1-line block ×3, first 2 shown]
	s_mov_b64 s[0:1], 0
	s_waitcnt vmcnt(0) lgkmcnt(0)
	ds_write_b16 v1, v6
	ds_write_b16 v1, v7 offset:512
	ds_write_b16 v1, v8 offset:1024
	ds_write_b16 v1, v9 offset:1536
	ds_write_b16 v1, v10 offset:2048
	ds_write_b16 v1, v11 offset:2560
	ds_write_b16 v1, v12 offset:3072
	ds_write_b16 v1, v13 offset:3584
	ds_write_b16 v1, v14 offset:4096
	ds_write_b16 v1, v15 offset:4608
	ds_write_b16 v1, v16 offset:5120
	ds_write_b16 v1, v17 offset:5632
	ds_write_b16 v1, v18 offset:6144
	ds_write_b16 v1, v19 offset:6656
	ds_write_b16 v1, v20 offset:7168
	ds_write_b16 v1, v21 offset:7680
	ds_write_b16 v1, v4 offset:8192
	ds_write_b16 v1, v5 offset:8704
	ds_write_b16 v1, v22 offset:9216
	ds_write_b16 v1, v23 offset:9728
	s_waitcnt lgkmcnt(0)
	s_barrier
.LBB643_2:
	s_andn2_b64 vcc, exec, s[0:1]
	v_cmp_gt_u32_e64 s[0:1], s33, v0
	s_cbranch_vccnz .LBB643_44
; %bb.3:
                                        ; implicit-def: $vgpr2
	s_and_saveexec_b64 s[10:11], s[0:1]
	s_cbranch_execz .LBB643_5
; %bb.4:
	v_mov_b32_e32 v3, s12
	v_add_co_u32_e32 v2, vcc, s7, v1
	v_addc_co_u32_e32 v3, vcc, 0, v3, vcc
	flat_load_ushort v2, v[2:3]
.LBB643_5:
	s_or_b64 exec, exec, s[10:11]
	v_or_b32_e32 v3, 0x100, v0
	v_cmp_gt_u32_e32 vcc, s33, v3
                                        ; implicit-def: $vgpr3
	s_and_saveexec_b64 s[0:1], vcc
	s_cbranch_execz .LBB643_7
; %bb.6:
	v_mov_b32_e32 v3, s12
	v_add_co_u32_e32 v4, vcc, s7, v1
	v_addc_co_u32_e32 v5, vcc, 0, v3, vcc
	flat_load_ushort v3, v[4:5] offset:512
.LBB643_7:
	s_or_b64 exec, exec, s[0:1]
	v_or_b32_e32 v4, 0x200, v0
	v_cmp_gt_u32_e32 vcc, s33, v4
                                        ; implicit-def: $vgpr4
	s_and_saveexec_b64 s[0:1], vcc
	s_cbranch_execz .LBB643_9
; %bb.8:
	v_mov_b32_e32 v5, s12
	v_add_co_u32_e32 v4, vcc, s7, v1
	v_addc_co_u32_e32 v5, vcc, 0, v5, vcc
	flat_load_ushort v4, v[4:5] offset:1024
.LBB643_9:
	s_or_b64 exec, exec, s[0:1]
	v_or_b32_e32 v5, 0x300, v0
	v_cmp_gt_u32_e32 vcc, s33, v5
                                        ; implicit-def: $vgpr5
	s_and_saveexec_b64 s[0:1], vcc
	s_cbranch_execz .LBB643_11
; %bb.10:
	v_mov_b32_e32 v5, s12
	v_add_co_u32_e32 v6, vcc, s7, v1
	v_addc_co_u32_e32 v7, vcc, 0, v5, vcc
	flat_load_ushort v5, v[6:7] offset:1536
.LBB643_11:
	s_or_b64 exec, exec, s[0:1]
	v_or_b32_e32 v6, 0x400, v0
	v_cmp_gt_u32_e32 vcc, s33, v6
                                        ; implicit-def: $vgpr6
	s_and_saveexec_b64 s[0:1], vcc
	s_cbranch_execz .LBB643_13
; %bb.12:
	v_mov_b32_e32 v7, s12
	v_add_co_u32_e32 v6, vcc, s7, v1
	v_addc_co_u32_e32 v7, vcc, 0, v7, vcc
	flat_load_ushort v6, v[6:7] offset:2048
.LBB643_13:
	s_or_b64 exec, exec, s[0:1]
	v_or_b32_e32 v7, 0x500, v0
	v_cmp_gt_u32_e32 vcc, s33, v7
                                        ; implicit-def: $vgpr7
	s_and_saveexec_b64 s[0:1], vcc
	s_cbranch_execz .LBB643_15
; %bb.14:
	v_mov_b32_e32 v7, s12
	v_add_co_u32_e32 v8, vcc, s7, v1
	v_addc_co_u32_e32 v9, vcc, 0, v7, vcc
	flat_load_ushort v7, v[8:9] offset:2560
.LBB643_15:
	s_or_b64 exec, exec, s[0:1]
	v_or_b32_e32 v8, 0x600, v0
	v_cmp_gt_u32_e32 vcc, s33, v8
                                        ; implicit-def: $vgpr8
	s_and_saveexec_b64 s[0:1], vcc
	s_cbranch_execz .LBB643_17
; %bb.16:
	v_mov_b32_e32 v9, s12
	v_add_co_u32_e32 v8, vcc, s7, v1
	v_addc_co_u32_e32 v9, vcc, 0, v9, vcc
	flat_load_ushort v8, v[8:9] offset:3072
.LBB643_17:
	s_or_b64 exec, exec, s[0:1]
	v_or_b32_e32 v9, 0x700, v0
	v_cmp_gt_u32_e32 vcc, s33, v9
                                        ; implicit-def: $vgpr9
	s_and_saveexec_b64 s[0:1], vcc
	s_cbranch_execz .LBB643_19
; %bb.18:
	v_mov_b32_e32 v9, s12
	v_add_co_u32_e32 v10, vcc, s7, v1
	v_addc_co_u32_e32 v11, vcc, 0, v9, vcc
	flat_load_ushort v9, v[10:11] offset:3584
.LBB643_19:
	s_or_b64 exec, exec, s[0:1]
	v_or_b32_e32 v11, 0x800, v0
	v_cmp_gt_u32_e32 vcc, s33, v11
                                        ; implicit-def: $vgpr10
	s_and_saveexec_b64 s[0:1], vcc
	s_cbranch_execz .LBB643_21
; %bb.20:
	v_lshlrev_b32_e32 v10, 1, v11
	v_mov_b32_e32 v11, s12
	v_add_co_u32_e32 v10, vcc, s7, v10
	v_addc_co_u32_e32 v11, vcc, 0, v11, vcc
	flat_load_ushort v10, v[10:11]
.LBB643_21:
	s_or_b64 exec, exec, s[0:1]
	v_or_b32_e32 v12, 0x900, v0
	v_cmp_gt_u32_e32 vcc, s33, v12
                                        ; implicit-def: $vgpr11
	s_and_saveexec_b64 s[0:1], vcc
	s_cbranch_execz .LBB643_23
; %bb.22:
	v_lshlrev_b32_e32 v11, 1, v12
	v_mov_b32_e32 v13, s12
	v_add_co_u32_e32 v12, vcc, s7, v11
	v_addc_co_u32_e32 v13, vcc, 0, v13, vcc
	flat_load_ushort v11, v[12:13]
.LBB643_23:
	s_or_b64 exec, exec, s[0:1]
	v_or_b32_e32 v13, 0xa00, v0
	v_cmp_gt_u32_e32 vcc, s33, v13
                                        ; implicit-def: $vgpr12
	s_and_saveexec_b64 s[0:1], vcc
	s_cbranch_execz .LBB643_25
; %bb.24:
	v_lshlrev_b32_e32 v12, 1, v13
	v_mov_b32_e32 v13, s12
	v_add_co_u32_e32 v12, vcc, s7, v12
	v_addc_co_u32_e32 v13, vcc, 0, v13, vcc
	flat_load_ushort v12, v[12:13]
.LBB643_25:
	s_or_b64 exec, exec, s[0:1]
	v_or_b32_e32 v14, 0xb00, v0
	v_cmp_gt_u32_e32 vcc, s33, v14
                                        ; implicit-def: $vgpr13
	s_and_saveexec_b64 s[0:1], vcc
	s_cbranch_execz .LBB643_27
; %bb.26:
	v_lshlrev_b32_e32 v13, 1, v14
	v_mov_b32_e32 v15, s12
	v_add_co_u32_e32 v14, vcc, s7, v13
	v_addc_co_u32_e32 v15, vcc, 0, v15, vcc
	flat_load_ushort v13, v[14:15]
.LBB643_27:
	s_or_b64 exec, exec, s[0:1]
	v_or_b32_e32 v15, 0xc00, v0
	v_cmp_gt_u32_e32 vcc, s33, v15
                                        ; implicit-def: $vgpr14
	s_and_saveexec_b64 s[0:1], vcc
	s_cbranch_execz .LBB643_29
; %bb.28:
	v_lshlrev_b32_e32 v14, 1, v15
	v_mov_b32_e32 v15, s12
	v_add_co_u32_e32 v14, vcc, s7, v14
	v_addc_co_u32_e32 v15, vcc, 0, v15, vcc
	flat_load_ushort v14, v[14:15]
.LBB643_29:
	s_or_b64 exec, exec, s[0:1]
	v_or_b32_e32 v16, 0xd00, v0
	v_cmp_gt_u32_e32 vcc, s33, v16
                                        ; implicit-def: $vgpr15
	s_and_saveexec_b64 s[0:1], vcc
	s_cbranch_execz .LBB643_31
; %bb.30:
	v_lshlrev_b32_e32 v15, 1, v16
	v_mov_b32_e32 v17, s12
	v_add_co_u32_e32 v16, vcc, s7, v15
	v_addc_co_u32_e32 v17, vcc, 0, v17, vcc
	flat_load_ushort v15, v[16:17]
.LBB643_31:
	s_or_b64 exec, exec, s[0:1]
	v_or_b32_e32 v17, 0xe00, v0
	v_cmp_gt_u32_e32 vcc, s33, v17
                                        ; implicit-def: $vgpr16
	s_and_saveexec_b64 s[0:1], vcc
	s_cbranch_execz .LBB643_33
; %bb.32:
	v_lshlrev_b32_e32 v16, 1, v17
	v_mov_b32_e32 v17, s12
	v_add_co_u32_e32 v16, vcc, s7, v16
	v_addc_co_u32_e32 v17, vcc, 0, v17, vcc
	flat_load_ushort v16, v[16:17]
.LBB643_33:
	s_or_b64 exec, exec, s[0:1]
	v_or_b32_e32 v18, 0xf00, v0
	v_cmp_gt_u32_e32 vcc, s33, v18
                                        ; implicit-def: $vgpr17
	s_and_saveexec_b64 s[0:1], vcc
	s_cbranch_execz .LBB643_35
; %bb.34:
	v_lshlrev_b32_e32 v17, 1, v18
	v_mov_b32_e32 v19, s12
	v_add_co_u32_e32 v18, vcc, s7, v17
	v_addc_co_u32_e32 v19, vcc, 0, v19, vcc
	flat_load_ushort v17, v[18:19]
.LBB643_35:
	s_or_b64 exec, exec, s[0:1]
	v_or_b32_e32 v19, 0x1000, v0
	v_cmp_gt_u32_e32 vcc, s33, v19
                                        ; implicit-def: $vgpr18
	s_and_saveexec_b64 s[0:1], vcc
	s_cbranch_execz .LBB643_37
; %bb.36:
	v_lshlrev_b32_e32 v18, 1, v19
	v_mov_b32_e32 v19, s12
	v_add_co_u32_e32 v18, vcc, s7, v18
	v_addc_co_u32_e32 v19, vcc, 0, v19, vcc
	flat_load_ushort v18, v[18:19]
.LBB643_37:
	s_or_b64 exec, exec, s[0:1]
	v_or_b32_e32 v20, 0x1100, v0
	v_cmp_gt_u32_e32 vcc, s33, v20
                                        ; implicit-def: $vgpr19
	s_and_saveexec_b64 s[0:1], vcc
	s_cbranch_execz .LBB643_39
; %bb.38:
	v_lshlrev_b32_e32 v19, 1, v20
	v_mov_b32_e32 v21, s12
	v_add_co_u32_e32 v20, vcc, s7, v19
	v_addc_co_u32_e32 v21, vcc, 0, v21, vcc
	flat_load_ushort v19, v[20:21]
.LBB643_39:
	s_or_b64 exec, exec, s[0:1]
	v_or_b32_e32 v21, 0x1200, v0
	v_cmp_gt_u32_e32 vcc, s33, v21
                                        ; implicit-def: $vgpr20
	s_and_saveexec_b64 s[0:1], vcc
	s_cbranch_execz .LBB643_41
; %bb.40:
	v_lshlrev_b32_e32 v20, 1, v21
	v_mov_b32_e32 v21, s12
	v_add_co_u32_e32 v20, vcc, s7, v20
	v_addc_co_u32_e32 v21, vcc, 0, v21, vcc
	flat_load_ushort v20, v[20:21]
.LBB643_41:
	s_or_b64 exec, exec, s[0:1]
	v_or_b32_e32 v22, 0x1300, v0
	v_cmp_gt_u32_e32 vcc, s33, v22
                                        ; implicit-def: $vgpr21
	s_and_saveexec_b64 s[0:1], vcc
	s_cbranch_execz .LBB643_43
; %bb.42:
	v_lshlrev_b32_e32 v21, 1, v22
	v_mov_b32_e32 v23, s12
	v_add_co_u32_e32 v22, vcc, s7, v21
	v_addc_co_u32_e32 v23, vcc, 0, v23, vcc
	flat_load_ushort v21, v[22:23]
.LBB643_43:
	s_or_b64 exec, exec, s[0:1]
	s_waitcnt vmcnt(0) lgkmcnt(0)
	ds_write_b16 v1, v2
	ds_write_b16 v1, v3 offset:512
	ds_write_b16 v1, v4 offset:1024
	;; [unrolled: 1-line block ×19, first 2 shown]
	s_waitcnt lgkmcnt(0)
	s_barrier
.LBB643_44:
	v_mul_u32_u24_e32 v26, 20, v0
	v_lshlrev_b32_e32 v6, 1, v26
	s_waitcnt lgkmcnt(0)
	ds_read_b64 v[10:11], v6 offset:32
	ds_read2_b64 v[2:5], v6 offset0:2 offset1:3
	ds_read2_b64 v[6:9], v6 offset1:1
	s_add_u32 s0, s2, s8
	s_addc_u32 s1, s3, s9
	s_add_u32 s0, s0, s28
	s_addc_u32 s1, s1, s29
	s_mov_b64 s[2:3], -1
	s_and_b64 vcc, exec, s[24:25]
	s_waitcnt lgkmcnt(0)
	s_barrier
	s_cbranch_vccz .LBB643_46
; %bb.45:
	global_load_ushort v16, v1, s[0:1]
	global_load_ushort v17, v1, s[0:1] offset:512
	global_load_ushort v18, v1, s[0:1] offset:1024
	v_mov_b32_e32 v12, s1
	v_add_co_u32_e32 v14, vcc, s0, v1
	s_movk_i32 s3, 0x2000
	v_addc_co_u32_e32 v15, vcc, 0, v12, vcc
	v_add_co_u32_e32 v12, vcc, s3, v14
	global_load_ushort v19, v1, s[0:1] offset:1536
	global_load_ushort v20, v1, s[0:1] offset:2048
	;; [unrolled: 1-line block ×5, first 2 shown]
	v_addc_co_u32_e32 v13, vcc, 0, v15, vcc
	global_load_ushort v24, v[12:13], off offset:-4096
	s_movk_i32 s2, 0x1000
	v_add_co_u32_e32 v14, vcc, s2, v14
	v_addc_co_u32_e32 v15, vcc, 0, v15, vcc
	global_load_ushort v25, v[14:15], off offset:512
	global_load_ushort v27, v[14:15], off offset:1024
	;; [unrolled: 1-line block ×7, first 2 shown]
	global_load_ushort v33, v[12:13], off
	global_load_ushort v34, v[12:13], off offset:512
	global_load_ushort v35, v[12:13], off offset:1024
	;; [unrolled: 1-line block ×3, first 2 shown]
	s_mov_b64 s[2:3], 0
	s_waitcnt vmcnt(19)
	v_cmp_ne_u16_e32 vcc, 0, v16
	v_cndmask_b32_e64 v12, 0, 1, vcc
	s_waitcnt vmcnt(18)
	v_cmp_ne_u16_e32 vcc, 0, v17
	v_cndmask_b32_e64 v13, 0, 1, vcc
	;; [unrolled: 3-line block ×8, first 2 shown]
	s_waitcnt vmcnt(11)
	v_cmp_ne_u16_e32 vcc, 0, v24
	ds_write_b8 v0, v12
	ds_write_b8 v0, v13 offset:256
	ds_write_b8 v0, v14 offset:512
	;; [unrolled: 1-line block ×7, first 2 shown]
	v_cndmask_b32_e64 v12, 0, 1, vcc
	s_waitcnt vmcnt(10)
	v_cmp_ne_u16_e32 vcc, 0, v25
	v_cndmask_b32_e64 v13, 0, 1, vcc
	s_waitcnt vmcnt(9)
	v_cmp_ne_u16_e32 vcc, 0, v27
	;; [unrolled: 3-line block ×11, first 2 shown]
	v_cndmask_b32_e64 v23, 0, 1, vcc
	ds_write_b8 v0, v12 offset:2048
	ds_write_b8 v0, v13 offset:2304
	;; [unrolled: 1-line block ×12, first 2 shown]
	s_waitcnt lgkmcnt(0)
	s_barrier
.LBB643_46:
	s_load_dwordx2 s[34:35], s[4:5], 0x70
	s_andn2_b64 vcc, exec, s[2:3]
	s_cbranch_vccnz .LBB643_88
; %bb.47:
	v_cmp_gt_u32_e32 vcc, s33, v0
	v_mov_b32_e32 v12, 0
	v_mov_b32_e32 v13, 0
	s_and_saveexec_b64 s[2:3], vcc
	s_cbranch_execz .LBB643_49
; %bb.48:
	global_load_ushort v13, v1, s[0:1]
	s_waitcnt vmcnt(0)
	v_cmp_ne_u16_e32 vcc, 0, v13
	v_cndmask_b32_e64 v13, 0, 1, vcc
.LBB643_49:
	s_or_b64 exec, exec, s[2:3]
	v_or_b32_e32 v14, 0x100, v0
	v_cmp_gt_u32_e32 vcc, s33, v14
	s_and_saveexec_b64 s[2:3], vcc
	s_cbranch_execz .LBB643_51
; %bb.50:
	global_load_ushort v12, v1, s[0:1] offset:512
	s_waitcnt vmcnt(0)
	v_cmp_ne_u16_e32 vcc, 0, v12
	v_cndmask_b32_e64 v12, 0, 1, vcc
.LBB643_51:
	s_or_b64 exec, exec, s[2:3]
	v_or_b32_e32 v14, 0x200, v0
	v_cmp_gt_u32_e32 vcc, s33, v14
	v_mov_b32_e32 v14, 0
	v_mov_b32_e32 v15, 0
	s_and_saveexec_b64 s[2:3], vcc
	s_cbranch_execz .LBB643_53
; %bb.52:
	global_load_ushort v15, v1, s[0:1] offset:1024
	s_waitcnt vmcnt(0)
	v_cmp_ne_u16_e32 vcc, 0, v15
	v_cndmask_b32_e64 v15, 0, 1, vcc
.LBB643_53:
	s_or_b64 exec, exec, s[2:3]
	v_or_b32_e32 v16, 0x300, v0
	v_cmp_gt_u32_e32 vcc, s33, v16
	s_and_saveexec_b64 s[2:3], vcc
	s_cbranch_execz .LBB643_55
; %bb.54:
	global_load_ushort v14, v1, s[0:1] offset:1536
	s_waitcnt vmcnt(0)
	v_cmp_ne_u16_e32 vcc, 0, v14
	v_cndmask_b32_e64 v14, 0, 1, vcc
.LBB643_55:
	s_or_b64 exec, exec, s[2:3]
	v_or_b32_e32 v16, 0x400, v0
	v_cmp_gt_u32_e32 vcc, s33, v16
	v_mov_b32_e32 v16, 0
	v_mov_b32_e32 v17, 0
	s_and_saveexec_b64 s[2:3], vcc
	s_cbranch_execz .LBB643_57
; %bb.56:
	global_load_ushort v17, v1, s[0:1] offset:2048
	s_waitcnt vmcnt(0)
	v_cmp_ne_u16_e32 vcc, 0, v17
	v_cndmask_b32_e64 v17, 0, 1, vcc
.LBB643_57:
	;; [unrolled: 24-line block ×3, first 2 shown]
	s_or_b64 exec, exec, s[2:3]
	v_or_b32_e32 v20, 0x700, v0
	v_cmp_gt_u32_e32 vcc, s33, v20
	s_and_saveexec_b64 s[2:3], vcc
	s_cbranch_execz .LBB643_63
; %bb.62:
	global_load_ushort v18, v1, s[0:1] offset:3584
	s_waitcnt vmcnt(0)
	v_cmp_ne_u16_e32 vcc, 0, v18
	v_cndmask_b32_e64 v18, 0, 1, vcc
.LBB643_63:
	s_or_b64 exec, exec, s[2:3]
	v_or_b32_e32 v22, 0x800, v0
	v_cmp_gt_u32_e32 vcc, s33, v22
	v_mov_b32_e32 v20, 0
	v_mov_b32_e32 v21, 0
	s_and_saveexec_b64 s[2:3], vcc
	s_cbranch_execz .LBB643_65
; %bb.64:
	v_lshlrev_b32_e32 v21, 1, v22
	global_load_ushort v21, v21, s[0:1]
	s_waitcnt vmcnt(0)
	v_cmp_ne_u16_e32 vcc, 0, v21
	v_cndmask_b32_e64 v21, 0, 1, vcc
.LBB643_65:
	s_or_b64 exec, exec, s[2:3]
	v_or_b32_e32 v22, 0x900, v0
	v_cmp_gt_u32_e32 vcc, s33, v22
	s_and_saveexec_b64 s[2:3], vcc
	s_cbranch_execz .LBB643_67
; %bb.66:
	v_lshlrev_b32_e32 v20, 1, v22
	global_load_ushort v20, v20, s[0:1]
	s_waitcnt vmcnt(0)
	v_cmp_ne_u16_e32 vcc, 0, v20
	v_cndmask_b32_e64 v20, 0, 1, vcc
.LBB643_67:
	s_or_b64 exec, exec, s[2:3]
	v_or_b32_e32 v24, 0xa00, v0
	v_cmp_gt_u32_e32 vcc, s33, v24
	v_mov_b32_e32 v22, 0
	v_mov_b32_e32 v23, 0
	s_and_saveexec_b64 s[2:3], vcc
	s_cbranch_execz .LBB643_69
; %bb.68:
	v_lshlrev_b32_e32 v23, 1, v24
	global_load_ushort v23, v23, s[0:1]
	s_waitcnt vmcnt(0)
	v_cmp_ne_u16_e32 vcc, 0, v23
	v_cndmask_b32_e64 v23, 0, 1, vcc
.LBB643_69:
	s_or_b64 exec, exec, s[2:3]
	v_or_b32_e32 v24, 0xb00, v0
	v_cmp_gt_u32_e32 vcc, s33, v24
	s_and_saveexec_b64 s[2:3], vcc
	s_cbranch_execz .LBB643_71
; %bb.70:
	v_lshlrev_b32_e32 v22, 1, v24
	global_load_ushort v22, v22, s[0:1]
	s_waitcnt vmcnt(0)
	v_cmp_ne_u16_e32 vcc, 0, v22
	v_cndmask_b32_e64 v22, 0, 1, vcc
.LBB643_71:
	;; [unrolled: 26-line block ×6, first 2 shown]
	s_or_b64 exec, exec, s[2:3]
	ds_write_b8 v0, v13
	ds_write_b8 v0, v12 offset:256
	ds_write_b8 v0, v15 offset:512
	;; [unrolled: 1-line block ×19, first 2 shown]
	s_waitcnt lgkmcnt(0)
	s_barrier
.LBB643_88:
	s_waitcnt lgkmcnt(0)
	ds_read2_b32 v[16:17], v26 offset1:1
	ds_read2_b32 v[14:15], v26 offset0:2 offset1:3
	ds_read_b32 v28, v26 offset:16
	s_cmp_lg_u32 s6, 0
	v_lshrrev_b32_e32 v47, 6, v0
	s_waitcnt lgkmcnt(2)
	v_lshrrev_b32_e32 v33, 24, v16
	v_bfe_u32 v45, v16, 16, 8
	v_add_u32_sdwa v12, v16, v16 dst_sel:DWORD dst_unused:UNUSED_PAD src0_sel:BYTE_1 src1_sel:BYTE_0
	v_and_b32_e32 v42, 0xff, v17
	v_bfe_u32 v43, v17, 8, 8
	v_add3_u32 v12, v12, v45, v33
	v_lshrrev_b32_e32 v32, 24, v17
	v_bfe_u32 v44, v17, 16, 8
	v_add3_u32 v12, v12, v42, v43
	s_waitcnt lgkmcnt(1)
	v_and_b32_e32 v39, 0xff, v14
	v_bfe_u32 v40, v14, 8, 8
	v_add3_u32 v12, v12, v44, v32
	v_lshrrev_b32_e32 v31, 24, v14
	v_bfe_u32 v41, v14, 16, 8
	v_add3_u32 v12, v12, v39, v40
	v_and_b32_e32 v36, 0xff, v15
	v_bfe_u32 v37, v15, 8, 8
	v_add3_u32 v12, v12, v41, v31
	v_lshrrev_b32_e32 v30, 24, v15
	v_bfe_u32 v38, v15, 16, 8
	v_add3_u32 v12, v12, v36, v37
	s_waitcnt lgkmcnt(0)
	v_and_b32_e32 v34, 0xff, v28
	v_bfe_u32 v35, v28, 8, 8
	v_add3_u32 v12, v12, v38, v30
	v_lshrrev_b32_e32 v27, 24, v28
	v_bfe_u32 v29, v28, 16, 8
	v_add3_u32 v12, v12, v34, v35
	v_add3_u32 v48, v12, v29, v27
	v_mbcnt_lo_u32_b32 v12, -1, 0
	v_mbcnt_hi_u32_b32 v46, -1, v12
	v_and_b32_e32 v12, 15, v46
	v_cmp_eq_u32_e64 s[14:15], 0, v12
	v_cmp_lt_u32_e64 s[12:13], 1, v12
	v_cmp_lt_u32_e64 s[10:11], 3, v12
	;; [unrolled: 1-line block ×3, first 2 shown]
	v_and_b32_e32 v12, 16, v46
	v_cmp_eq_u32_e64 s[18:19], 0, v12
	v_or_b32_e32 v12, 63, v0
	v_cmp_lt_u32_e64 s[0:1], 31, v46
	v_cmp_eq_u32_e64 s[2:3], v12, v0
	s_barrier
	s_cbranch_scc0 .LBB643_115
; %bb.89:
	v_mov_b32_dpp v12, v48 row_shr:1 row_mask:0xf bank_mask:0xf
	v_cndmask_b32_e64 v12, v12, 0, s[14:15]
	v_add_u32_e32 v12, v12, v48
	s_nop 1
	v_mov_b32_dpp v13, v12 row_shr:2 row_mask:0xf bank_mask:0xf
	v_cndmask_b32_e64 v13, 0, v13, s[12:13]
	v_add_u32_e32 v12, v12, v13
	s_nop 1
	;; [unrolled: 4-line block ×4, first 2 shown]
	v_mov_b32_dpp v13, v12 row_bcast:15 row_mask:0xf bank_mask:0xf
	v_cndmask_b32_e64 v13, v13, 0, s[18:19]
	v_add_u32_e32 v12, v12, v13
	s_nop 1
	v_mov_b32_dpp v13, v12 row_bcast:31 row_mask:0xf bank_mask:0xf
	v_cndmask_b32_e64 v13, 0, v13, s[0:1]
	v_add_u32_e32 v12, v12, v13
	s_and_saveexec_b64 s[16:17], s[2:3]
	s_cbranch_execz .LBB643_91
; %bb.90:
	v_lshlrev_b32_e32 v13, 2, v47
	ds_write_b32 v13, v12
.LBB643_91:
	s_or_b64 exec, exec, s[16:17]
	v_cmp_gt_u32_e32 vcc, 4, v0
	s_waitcnt lgkmcnt(0)
	s_barrier
	s_and_saveexec_b64 s[16:17], vcc
	s_cbranch_execz .LBB643_93
; %bb.92:
	v_lshlrev_b32_e32 v13, 2, v0
	ds_read_b32 v18, v13
	v_and_b32_e32 v19, 3, v46
	v_cmp_ne_u32_e32 vcc, 0, v19
	s_waitcnt lgkmcnt(0)
	v_mov_b32_dpp v20, v18 row_shr:1 row_mask:0xf bank_mask:0xf
	v_cndmask_b32_e32 v20, 0, v20, vcc
	v_add_u32_e32 v18, v20, v18
	v_cmp_lt_u32_e32 vcc, 1, v19
	s_nop 0
	v_mov_b32_dpp v20, v18 row_shr:2 row_mask:0xf bank_mask:0xf
	v_cndmask_b32_e32 v19, 0, v20, vcc
	v_add_u32_e32 v18, v18, v19
	ds_write_b32 v13, v18
.LBB643_93:
	s_or_b64 exec, exec, s[16:17]
	v_cmp_gt_u32_e32 vcc, 64, v0
	v_cmp_lt_u32_e64 s[16:17], 63, v0
	s_waitcnt lgkmcnt(0)
	s_barrier
	s_waitcnt lgkmcnt(0)
                                        ; implicit-def: $vgpr49
	s_and_saveexec_b64 s[36:37], s[16:17]
	s_cbranch_execz .LBB643_95
; %bb.94:
	v_lshl_add_u32 v13, v47, 2, -4
	ds_read_b32 v49, v13
	s_waitcnt lgkmcnt(0)
	v_add_u32_e32 v12, v49, v12
.LBB643_95:
	s_or_b64 exec, exec, s[36:37]
	v_add_u32_e32 v13, -1, v46
	v_and_b32_e32 v18, 64, v46
	v_cmp_lt_i32_e64 s[16:17], v13, v18
	v_cndmask_b32_e64 v13, v13, v46, s[16:17]
	v_lshlrev_b32_e32 v13, 2, v13
	ds_bpermute_b32 v50, v13, v12
	v_cmp_eq_u32_e64 s[16:17], 0, v46
	s_and_saveexec_b64 s[36:37], vcc
	s_cbranch_execz .LBB643_114
; %bb.96:
	v_mov_b32_e32 v23, 0
	ds_read_b32 v12, v23 offset:12
	s_and_saveexec_b64 s[38:39], s[16:17]
	s_cbranch_execz .LBB643_98
; %bb.97:
	s_add_i32 s40, s6, 64
	s_mov_b32 s41, 0
	s_lshl_b64 s[40:41], s[40:41], 3
	s_add_u32 s40, s34, s40
	v_mov_b32_e32 v13, 1
	s_addc_u32 s41, s35, s41
	s_waitcnt lgkmcnt(0)
	global_store_dwordx2 v23, v[12:13], s[40:41]
.LBB643_98:
	s_or_b64 exec, exec, s[38:39]
	v_xad_u32 v18, v46, -1, s6
	v_add_u32_e32 v22, 64, v18
	v_lshlrev_b64 v[20:21], 3, v[22:23]
	v_mov_b32_e32 v13, s35
	v_add_co_u32_e32 v24, vcc, s34, v20
	v_addc_co_u32_e32 v25, vcc, v13, v21, vcc
	global_load_dwordx2 v[20:21], v[24:25], off glc
	s_waitcnt vmcnt(0)
	v_cmp_eq_u16_sdwa s[40:41], v21, v23 src0_sel:BYTE_0 src1_sel:DWORD
	s_and_saveexec_b64 s[38:39], s[40:41]
	s_cbranch_execz .LBB643_102
; %bb.99:
	s_mov_b64 s[40:41], 0
	v_mov_b32_e32 v13, 0
.LBB643_100:                            ; =>This Inner Loop Header: Depth=1
	global_load_dwordx2 v[20:21], v[24:25], off glc
	s_waitcnt vmcnt(0)
	v_cmp_ne_u16_sdwa s[42:43], v21, v13 src0_sel:BYTE_0 src1_sel:DWORD
	s_or_b64 s[40:41], s[42:43], s[40:41]
	s_andn2_b64 exec, exec, s[40:41]
	s_cbranch_execnz .LBB643_100
; %bb.101:
	s_or_b64 exec, exec, s[40:41]
.LBB643_102:
	s_or_b64 exec, exec, s[38:39]
	v_and_b32_e32 v52, 63, v46
	v_mov_b32_e32 v51, 2
	v_cmp_ne_u32_e32 vcc, 63, v52
	v_cmp_eq_u16_sdwa s[38:39], v21, v51 src0_sel:BYTE_0 src1_sel:DWORD
	v_lshlrev_b64 v[22:23], v46, -1
	v_addc_co_u32_e32 v24, vcc, 0, v46, vcc
	v_and_b32_e32 v13, s39, v23
	v_lshlrev_b32_e32 v53, 2, v24
	v_or_b32_e32 v13, 0x80000000, v13
	ds_bpermute_b32 v24, v53, v20
	v_and_b32_e32 v19, s38, v22
	v_ffbl_b32_e32 v13, v13
	v_add_u32_e32 v13, 32, v13
	v_ffbl_b32_e32 v19, v19
	v_min_u32_e32 v13, v19, v13
	v_cmp_lt_u32_e32 vcc, v52, v13
	s_waitcnt lgkmcnt(0)
	v_cndmask_b32_e32 v19, 0, v24, vcc
	v_cmp_gt_u32_e32 vcc, 62, v52
	v_add_u32_e32 v19, v19, v20
	v_cndmask_b32_e64 v20, 0, 1, vcc
	v_lshlrev_b32_e32 v20, 1, v20
	v_add_lshl_u32 v54, v20, v46, 2
	ds_bpermute_b32 v20, v54, v19
	v_add_u32_e32 v55, 2, v52
	v_cmp_le_u32_e32 vcc, v55, v13
	v_add_u32_e32 v57, 4, v52
	v_add_u32_e32 v59, 8, v52
	s_waitcnt lgkmcnt(0)
	v_cndmask_b32_e32 v20, 0, v20, vcc
	v_cmp_gt_u32_e32 vcc, 60, v52
	v_add_u32_e32 v19, v19, v20
	v_cndmask_b32_e64 v20, 0, 1, vcc
	v_lshlrev_b32_e32 v20, 2, v20
	v_add_lshl_u32 v56, v20, v46, 2
	ds_bpermute_b32 v20, v56, v19
	v_cmp_le_u32_e32 vcc, v57, v13
	v_add_u32_e32 v61, 16, v52
	v_add_u32_e32 v63, 32, v52
	s_waitcnt lgkmcnt(0)
	v_cndmask_b32_e32 v20, 0, v20, vcc
	v_cmp_gt_u32_e32 vcc, 56, v52
	v_add_u32_e32 v19, v19, v20
	v_cndmask_b32_e64 v20, 0, 1, vcc
	v_lshlrev_b32_e32 v20, 3, v20
	v_add_lshl_u32 v58, v20, v46, 2
	ds_bpermute_b32 v20, v58, v19
	v_cmp_le_u32_e32 vcc, v59, v13
	s_waitcnt lgkmcnt(0)
	v_cndmask_b32_e32 v20, 0, v20, vcc
	v_cmp_gt_u32_e32 vcc, 48, v52
	v_add_u32_e32 v19, v19, v20
	v_cndmask_b32_e64 v20, 0, 1, vcc
	v_lshlrev_b32_e32 v20, 4, v20
	v_add_lshl_u32 v60, v20, v46, 2
	ds_bpermute_b32 v20, v60, v19
	v_cmp_le_u32_e32 vcc, v61, v13
	;; [unrolled: 9-line block ×3, first 2 shown]
	s_waitcnt lgkmcnt(0)
	v_cndmask_b32_e32 v13, 0, v20, vcc
	v_add_u32_e32 v20, v19, v13
	v_mov_b32_e32 v19, 0
	s_branch .LBB643_104
.LBB643_103:                            ;   in Loop: Header=BB643_104 Depth=1
	s_or_b64 exec, exec, s[38:39]
	v_cmp_eq_u16_sdwa s[38:39], v21, v51 src0_sel:BYTE_0 src1_sel:DWORD
	v_and_b32_e32 v24, s39, v23
	v_or_b32_e32 v24, 0x80000000, v24
	ds_bpermute_b32 v64, v53, v20
	v_and_b32_e32 v25, s38, v22
	v_ffbl_b32_e32 v24, v24
	v_add_u32_e32 v24, 32, v24
	v_ffbl_b32_e32 v25, v25
	v_min_u32_e32 v24, v25, v24
	v_cmp_lt_u32_e32 vcc, v52, v24
	s_waitcnt lgkmcnt(0)
	v_cndmask_b32_e32 v25, 0, v64, vcc
	v_add_u32_e32 v20, v25, v20
	ds_bpermute_b32 v25, v54, v20
	v_cmp_le_u32_e32 vcc, v55, v24
	v_subrev_u32_e32 v18, 64, v18
	s_waitcnt lgkmcnt(0)
	v_cndmask_b32_e32 v25, 0, v25, vcc
	v_add_u32_e32 v20, v20, v25
	ds_bpermute_b32 v25, v56, v20
	v_cmp_le_u32_e32 vcc, v57, v24
	s_waitcnt lgkmcnt(0)
	v_cndmask_b32_e32 v25, 0, v25, vcc
	v_add_u32_e32 v20, v20, v25
	ds_bpermute_b32 v25, v58, v20
	v_cmp_le_u32_e32 vcc, v59, v24
	;; [unrolled: 5-line block ×4, first 2 shown]
	s_waitcnt lgkmcnt(0)
	v_cndmask_b32_e32 v24, 0, v25, vcc
	v_add3_u32 v20, v24, v13, v20
.LBB643_104:                            ; =>This Loop Header: Depth=1
                                        ;     Child Loop BB643_107 Depth 2
	v_cmp_ne_u16_sdwa s[38:39], v21, v51 src0_sel:BYTE_0 src1_sel:DWORD
	v_cndmask_b32_e64 v13, 0, 1, s[38:39]
	;;#ASMSTART
	;;#ASMEND
	v_cmp_ne_u32_e32 vcc, 0, v13
	s_cmp_lg_u64 vcc, exec
	v_mov_b32_e32 v13, v20
	s_cbranch_scc1 .LBB643_109
; %bb.105:                              ;   in Loop: Header=BB643_104 Depth=1
	v_lshlrev_b64 v[20:21], 3, v[18:19]
	v_mov_b32_e32 v25, s35
	v_add_co_u32_e32 v24, vcc, s34, v20
	v_addc_co_u32_e32 v25, vcc, v25, v21, vcc
	global_load_dwordx2 v[20:21], v[24:25], off glc
	s_waitcnt vmcnt(0)
	v_cmp_eq_u16_sdwa s[40:41], v21, v19 src0_sel:BYTE_0 src1_sel:DWORD
	s_and_saveexec_b64 s[38:39], s[40:41]
	s_cbranch_execz .LBB643_103
; %bb.106:                              ;   in Loop: Header=BB643_104 Depth=1
	s_mov_b64 s[40:41], 0
.LBB643_107:                            ;   Parent Loop BB643_104 Depth=1
                                        ; =>  This Inner Loop Header: Depth=2
	global_load_dwordx2 v[20:21], v[24:25], off glc
	s_waitcnt vmcnt(0)
	v_cmp_ne_u16_sdwa s[42:43], v21, v19 src0_sel:BYTE_0 src1_sel:DWORD
	s_or_b64 s[40:41], s[42:43], s[40:41]
	s_andn2_b64 exec, exec, s[40:41]
	s_cbranch_execnz .LBB643_107
; %bb.108:                              ;   in Loop: Header=BB643_104 Depth=1
	s_or_b64 exec, exec, s[40:41]
	s_branch .LBB643_103
.LBB643_109:                            ;   in Loop: Header=BB643_104 Depth=1
                                        ; implicit-def: $vgpr20
                                        ; implicit-def: $vgpr21
	s_cbranch_execz .LBB643_104
; %bb.110:
	s_and_saveexec_b64 s[38:39], s[16:17]
	s_cbranch_execz .LBB643_112
; %bb.111:
	s_add_i32 s6, s6, 64
	s_mov_b32 s7, 0
	s_lshl_b64 s[6:7], s[6:7], 3
	s_add_u32 s6, s34, s6
	v_add_u32_e32 v18, v13, v12
	v_mov_b32_e32 v19, 2
	s_addc_u32 s7, s35, s7
	v_mov_b32_e32 v20, 0
	global_store_dwordx2 v20, v[18:19], s[6:7]
	ds_write_b64 v20, v[12:13] offset:10240
.LBB643_112:
	s_or_b64 exec, exec, s[38:39]
	v_cmp_eq_u32_e32 vcc, 0, v0
	s_and_b64 exec, exec, vcc
	s_cbranch_execz .LBB643_114
; %bb.113:
	v_mov_b32_e32 v12, 0
	ds_write_b32 v12, v13 offset:12
.LBB643_114:
	s_or_b64 exec, exec, s[36:37]
	v_mov_b32_e32 v12, 0
	s_waitcnt lgkmcnt(0)
	s_barrier
	ds_read_b32 v19, v12 offset:12
	s_waitcnt lgkmcnt(0)
	s_barrier
	ds_read_b64 v[12:13], v12 offset:10240
	v_cndmask_b32_e64 v18, v50, v49, s[16:17]
	v_cmp_ne_u32_e32 vcc, 0, v0
	v_cndmask_b32_e32 v18, 0, v18, vcc
	v_add_u32_e32 v22, v19, v18
	s_branch .LBB643_125
.LBB643_115:
                                        ; implicit-def: $vgpr13
                                        ; implicit-def: $vgpr22
	s_cbranch_execz .LBB643_125
; %bb.116:
	s_waitcnt lgkmcnt(0)
	v_mov_b32_dpp v12, v48 row_shr:1 row_mask:0xf bank_mask:0xf
	v_cndmask_b32_e64 v12, v12, 0, s[14:15]
	v_add_u32_e32 v12, v12, v48
	s_nop 1
	v_mov_b32_dpp v13, v12 row_shr:2 row_mask:0xf bank_mask:0xf
	v_cndmask_b32_e64 v13, 0, v13, s[12:13]
	v_add_u32_e32 v12, v12, v13
	s_nop 1
	v_mov_b32_dpp v13, v12 row_shr:4 row_mask:0xf bank_mask:0xf
	v_cndmask_b32_e64 v13, 0, v13, s[10:11]
	v_add_u32_e32 v12, v12, v13
	s_nop 1
	v_mov_b32_dpp v13, v12 row_shr:8 row_mask:0xf bank_mask:0xf
	v_cndmask_b32_e64 v13, 0, v13, s[8:9]
	v_add_u32_e32 v12, v12, v13
	s_nop 1
	v_mov_b32_dpp v13, v12 row_bcast:15 row_mask:0xf bank_mask:0xf
	v_cndmask_b32_e64 v13, v13, 0, s[18:19]
	v_add_u32_e32 v12, v12, v13
	s_nop 1
	v_mov_b32_dpp v13, v12 row_bcast:31 row_mask:0xf bank_mask:0xf
	v_cndmask_b32_e64 v13, 0, v13, s[0:1]
	v_add_u32_e32 v12, v12, v13
	s_and_saveexec_b64 s[0:1], s[2:3]
	s_cbranch_execz .LBB643_118
; %bb.117:
	v_lshlrev_b32_e32 v13, 2, v47
	ds_write_b32 v13, v12
.LBB643_118:
	s_or_b64 exec, exec, s[0:1]
	v_cmp_gt_u32_e32 vcc, 4, v0
	s_waitcnt lgkmcnt(0)
	s_barrier
	s_and_saveexec_b64 s[0:1], vcc
	s_cbranch_execz .LBB643_120
; %bb.119:
	v_lshlrev_b32_e32 v13, 2, v0
	ds_read_b32 v18, v13
	v_and_b32_e32 v19, 3, v46
	v_cmp_ne_u32_e32 vcc, 0, v19
	s_waitcnt lgkmcnt(0)
	v_mov_b32_dpp v20, v18 row_shr:1 row_mask:0xf bank_mask:0xf
	v_cndmask_b32_e32 v20, 0, v20, vcc
	v_add_u32_e32 v18, v20, v18
	v_cmp_lt_u32_e32 vcc, 1, v19
	s_nop 0
	v_mov_b32_dpp v20, v18 row_shr:2 row_mask:0xf bank_mask:0xf
	v_cndmask_b32_e32 v19, 0, v20, vcc
	v_add_u32_e32 v18, v18, v19
	ds_write_b32 v13, v18
.LBB643_120:
	s_or_b64 exec, exec, s[0:1]
	v_cmp_lt_u32_e32 vcc, 63, v0
	v_mov_b32_e32 v13, 0
	v_mov_b32_e32 v18, 0
	s_waitcnt lgkmcnt(0)
	s_barrier
	s_and_saveexec_b64 s[0:1], vcc
	s_cbranch_execz .LBB643_122
; %bb.121:
	v_lshl_add_u32 v18, v47, 2, -4
	ds_read_b32 v18, v18
.LBB643_122:
	s_or_b64 exec, exec, s[0:1]
	v_add_u32_e32 v19, -1, v46
	v_and_b32_e32 v20, 64, v46
	v_cmp_lt_i32_e32 vcc, v19, v20
	v_cndmask_b32_e32 v19, v19, v46, vcc
	s_waitcnt lgkmcnt(0)
	v_add_u32_e32 v12, v18, v12
	v_lshlrev_b32_e32 v19, 2, v19
	ds_bpermute_b32 v19, v19, v12
	ds_read_b32 v12, v13 offset:12
	v_cmp_eq_u32_e32 vcc, 0, v0
	s_and_saveexec_b64 s[0:1], vcc
	s_cbranch_execz .LBB643_124
; %bb.123:
	v_mov_b32_e32 v20, 0
	v_mov_b32_e32 v13, 2
	s_waitcnt lgkmcnt(0)
	global_store_dwordx2 v20, v[12:13], s[34:35] offset:512
.LBB643_124:
	s_or_b64 exec, exec, s[0:1]
	v_cmp_eq_u32_e64 s[0:1], 0, v46
	s_waitcnt lgkmcnt(1)
	v_cndmask_b32_e64 v18, v19, v18, s[0:1]
	v_mov_b32_e32 v13, 0
	v_cndmask_b32_e64 v22, v18, 0, vcc
	s_waitcnt lgkmcnt(0)
	s_barrier
.LBB643_125:
	v_add_u32_sdwa v24, v22, v16 dst_sel:DWORD dst_unused:UNUSED_PAD src0_sel:DWORD src1_sel:BYTE_0
	s_waitcnt lgkmcnt(0)
	v_add_u32_e32 v26, v12, v26
	v_sub_u32_e32 v22, v22, v13
	v_and_b32_e32 v51, 1, v16
	v_sub_u32_e32 v50, v26, v22
	v_cmp_eq_u32_e32 vcc, 1, v51
	v_cndmask_b32_e32 v22, v50, v22, vcc
	v_lshlrev_b32_e32 v22, 1, v22
	v_lshrrev_b32_e32 v23, 8, v16
	ds_write_b16 v22, v6
	v_sub_u32_e32 v22, v24, v13
	v_add_u32_sdwa v25, v24, v16 dst_sel:DWORD dst_unused:UNUSED_PAD src0_sel:DWORD src1_sel:BYTE_1
	v_sub_u32_e32 v24, v26, v22
	v_and_b32_e32 v23, 1, v23
	v_add_u32_e32 v24, 1, v24
	v_cmp_eq_u32_e32 vcc, 1, v23
	v_cndmask_b32_e32 v22, v24, v22, vcc
	v_lshlrev_b32_e32 v22, 1, v22
	ds_write_b16_d16_hi v22, v6
	v_sub_u32_e32 v6, v25, v13
	v_mov_b32_e32 v23, 1
	v_sub_u32_e32 v22, v26, v6
	v_and_b32_sdwa v16, v23, v16 dst_sel:DWORD dst_unused:UNUSED_PAD src0_sel:DWORD src1_sel:WORD_1
	v_add_u32_e32 v22, 2, v22
	v_cmp_eq_u32_e32 vcc, 1, v16
	v_cndmask_b32_e32 v6, v22, v6, vcc
	v_add_u32_e32 v45, v25, v45
	v_lshlrev_b32_e32 v6, 1, v6
	ds_write_b16 v6, v7
	v_sub_u32_e32 v6, v45, v13
	v_sub_u32_e32 v16, v26, v6
	v_and_b32_e32 v22, 1, v33
	v_add_u32_e32 v16, 3, v16
	v_cmp_eq_u32_e32 vcc, 1, v22
	v_cndmask_b32_e32 v6, v16, v6, vcc
	v_add_u32_e32 v46, v45, v33
	v_lshlrev_b32_e32 v6, 1, v6
	ds_write_b16_d16_hi v6, v7
	v_sub_u32_e32 v6, v46, v13
	v_sub_u32_e32 v7, v26, v6
	v_and_b32_e32 v16, 1, v17
	v_add_u32_e32 v7, 4, v7
	v_cmp_eq_u32_e32 vcc, 1, v16
	v_cndmask_b32_e32 v6, v7, v6, vcc
	v_add_u32_e32 v42, v46, v42
	v_lshlrev_b32_e32 v6, 1, v6
	v_lshrrev_b32_e32 v21, 8, v17
	ds_write_b16 v6, v8
	v_sub_u32_e32 v6, v42, v13
	v_sub_u32_e32 v7, v26, v6
	v_and_b32_e32 v16, 1, v21
	v_add_u32_e32 v7, 5, v7
	v_cmp_eq_u32_e32 vcc, 1, v16
	v_cndmask_b32_e32 v6, v7, v6, vcc
	v_add_u32_e32 v43, v42, v43
	v_lshlrev_b32_e32 v6, 1, v6
	ds_write_b16_d16_hi v6, v8
	v_sub_u32_e32 v6, v43, v13
	v_sub_u32_e32 v7, v26, v6
	v_and_b32_sdwa v8, v23, v17 dst_sel:DWORD dst_unused:UNUSED_PAD src0_sel:DWORD src1_sel:WORD_1
	v_add_u32_e32 v7, 6, v7
	v_cmp_eq_u32_e32 vcc, 1, v8
	v_cndmask_b32_e32 v6, v7, v6, vcc
	v_add_u32_e32 v44, v43, v44
	v_lshlrev_b32_e32 v6, 1, v6
	ds_write_b16 v6, v9
	v_sub_u32_e32 v6, v44, v13
	v_sub_u32_e32 v7, v26, v6
	v_and_b32_e32 v8, 1, v32
	v_add_u32_e32 v7, 7, v7
	v_cmp_eq_u32_e32 vcc, 1, v8
	v_cndmask_b32_e32 v6, v7, v6, vcc
	v_add_u32_e32 v47, v44, v32
	v_lshlrev_b32_e32 v6, 1, v6
	ds_write_b16_d16_hi v6, v9
	v_sub_u32_e32 v6, v47, v13
	v_sub_u32_e32 v7, v26, v6
	v_and_b32_e32 v8, 1, v14
	v_add_u32_e32 v7, 8, v7
	v_cmp_eq_u32_e32 vcc, 1, v8
	v_cndmask_b32_e32 v6, v7, v6, vcc
	v_add_u32_e32 v39, v47, v39
	v_lshlrev_b32_e32 v6, 1, v6
	v_lshrrev_b32_e32 v20, 8, v14
	ds_write_b16 v6, v2
	v_sub_u32_e32 v6, v39, v13
	v_sub_u32_e32 v7, v26, v6
	v_and_b32_e32 v8, 1, v20
	v_add_u32_e32 v7, 9, v7
	v_cmp_eq_u32_e32 vcc, 1, v8
	v_cndmask_b32_e32 v6, v7, v6, vcc
	v_add_u32_e32 v40, v39, v40
	v_lshlrev_b32_e32 v6, 1, v6
	ds_write_b16_d16_hi v6, v2
	v_sub_u32_e32 v2, v40, v13
	v_sub_u32_e32 v6, v26, v2
	v_and_b32_sdwa v7, v23, v14 dst_sel:DWORD dst_unused:UNUSED_PAD src0_sel:DWORD src1_sel:WORD_1
	v_add_u32_e32 v6, 10, v6
	v_cmp_eq_u32_e32 vcc, 1, v7
	v_cndmask_b32_e32 v2, v6, v2, vcc
	v_add_u32_e32 v41, v40, v41
	v_lshlrev_b32_e32 v2, 1, v2
	ds_write_b16 v2, v3
	v_sub_u32_e32 v2, v41, v13
	v_sub_u32_e32 v6, v26, v2
	v_and_b32_e32 v7, 1, v31
	v_add_u32_e32 v6, 11, v6
	v_cmp_eq_u32_e32 vcc, 1, v7
	v_cndmask_b32_e32 v2, v6, v2, vcc
	v_add_u32_e32 v48, v41, v31
	v_lshlrev_b32_e32 v2, 1, v2
	ds_write_b16_d16_hi v2, v3
	v_sub_u32_e32 v2, v48, v13
	v_sub_u32_e32 v3, v26, v2
	v_and_b32_e32 v6, 1, v15
	v_add_u32_e32 v3, 12, v3
	v_cmp_eq_u32_e32 vcc, 1, v6
	v_cndmask_b32_e32 v2, v3, v2, vcc
	v_add_u32_e32 v36, v48, v36
	v_lshlrev_b32_e32 v2, 1, v2
	v_lshrrev_b32_e32 v19, 8, v15
	ds_write_b16 v2, v4
	v_sub_u32_e32 v2, v36, v13
	v_sub_u32_e32 v3, v26, v2
	v_and_b32_e32 v6, 1, v19
	v_add_u32_e32 v3, 13, v3
	v_cmp_eq_u32_e32 vcc, 1, v6
	v_cndmask_b32_e32 v2, v3, v2, vcc
	v_add_u32_e32 v37, v36, v37
	v_lshlrev_b32_e32 v2, 1, v2
	ds_write_b16_d16_hi v2, v4
	v_sub_u32_e32 v2, v37, v13
	v_sub_u32_e32 v3, v26, v2
	v_and_b32_sdwa v4, v23, v15 dst_sel:DWORD dst_unused:UNUSED_PAD src0_sel:DWORD src1_sel:WORD_1
	v_add_u32_e32 v3, 14, v3
	v_cmp_eq_u32_e32 vcc, 1, v4
	v_cndmask_b32_e32 v2, v3, v2, vcc
	v_add_u32_e32 v38, v37, v38
	v_lshlrev_b32_e32 v2, 1, v2
	ds_write_b16 v2, v5
	v_sub_u32_e32 v2, v38, v13
	v_sub_u32_e32 v3, v26, v2
	v_and_b32_e32 v4, 1, v30
	v_add_u32_e32 v3, 15, v3
	v_cmp_eq_u32_e32 vcc, 1, v4
	v_cndmask_b32_e32 v2, v3, v2, vcc
	v_add_u32_e32 v49, v38, v30
	v_lshlrev_b32_e32 v2, 1, v2
	ds_write_b16_d16_hi v2, v5
	v_sub_u32_e32 v2, v49, v13
	v_sub_u32_e32 v3, v26, v2
	v_and_b32_e32 v4, 1, v28
	v_add_u32_e32 v3, 16, v3
	v_cmp_eq_u32_e32 vcc, 1, v4
	v_cndmask_b32_e32 v2, v3, v2, vcc
	v_add_u32_e32 v34, v49, v34
	v_lshlrev_b32_e32 v2, 1, v2
	v_lshrrev_b32_e32 v18, 8, v28
	ds_write_b16 v2, v10
	v_sub_u32_e32 v2, v34, v13
	v_sub_u32_e32 v3, v26, v2
	v_and_b32_e32 v4, 1, v18
	v_add_u32_e32 v3, 17, v3
	v_cmp_eq_u32_e32 vcc, 1, v4
	v_cndmask_b32_e32 v2, v3, v2, vcc
	v_add_u32_e32 v35, v34, v35
	v_lshlrev_b32_e32 v2, 1, v2
	ds_write_b16_d16_hi v2, v10
	v_sub_u32_e32 v2, v35, v13
	v_sub_u32_e32 v3, v26, v2
	v_and_b32_sdwa v4, v23, v28 dst_sel:DWORD dst_unused:UNUSED_PAD src0_sel:DWORD src1_sel:WORD_1
	v_add_u32_e32 v3, 18, v3
	v_cmp_eq_u32_e32 vcc, 1, v4
	v_cndmask_b32_e32 v2, v3, v2, vcc
	v_lshlrev_b32_e32 v2, 1, v2
	ds_write_b16 v2, v11
	v_sub_u32_e32 v2, v29, v13
	v_add_u32_e32 v2, v35, v2
	v_sub_u32_e32 v3, v26, v2
	v_and_b32_e32 v4, 1, v27
	v_add_u32_e32 v3, 19, v3
	v_cmp_eq_u32_e32 vcc, 1, v4
	v_cndmask_b32_e32 v2, v3, v2, vcc
	v_lshlrev_b32_e32 v2, 1, v2
	ds_write_b16_d16_hi v2, v11
	v_mov_b32_e32 v2, s31
	v_add_co_u32_e32 v48, vcc, s30, v13
	s_waitcnt lgkmcnt(0)
	s_barrier
	ds_read_u16 v47, v1
	ds_read_u16 v46, v1 offset:512
	ds_read_u16 v44, v1 offset:1024
	;; [unrolled: 1-line block ×15, first 2 shown]
	v_addc_co_u32_e32 v49, vcc, 0, v2, vcc
	s_load_dwordx4 s[0:3], s[4:5], 0x30
	v_add_co_u32_e32 v2, vcc, v48, v12
	v_addc_co_u32_e32 v3, vcc, 0, v49, vcc
	v_mov_b32_e32 v9, s27
	v_sub_co_u32_e32 v8, vcc, s26, v2
	ds_read_u16 v16, v1 offset:8192
	ds_read_u16 v11, v1 offset:8704
	;; [unrolled: 1-line block ×4, first 2 shown]
	v_subb_co_u32_e32 v9, vcc, v9, v3, vcc
	v_lshlrev_b64 v[8:9], 1, v[8:9]
	s_waitcnt lgkmcnt(0)
	v_mov_b32_e32 v13, s3
	v_add_co_u32_e32 v8, vcc, s2, v8
	v_addc_co_u32_e32 v9, vcc, v13, v9, vcc
	v_mov_b32_e32 v13, s29
	v_add_co_u32_e32 v8, vcc, s28, v8
	v_lshlrev_b64 v[48:49], 1, v[48:49]
	v_addc_co_u32_e32 v9, vcc, v9, v13, vcc
	v_mov_b32_e32 v14, s1
	v_add_co_u32_e64 v13, s[0:1], s0, v48
	v_or_b32_e32 v45, 0x100, v0
	v_or_b32_e32 v43, 0x200, v0
	;; [unrolled: 1-line block ×19, first 2 shown]
	s_andn2_b64 vcc, exec, s[24:25]
	v_addc_co_u32_e64 v14, s[0:1], v14, v49, s[0:1]
	s_cbranch_vccnz .LBB643_127
; %bb.126:
	v_cmp_lt_u32_e32 vcc, v0, v12
	v_cndmask_b32_e32 v48, v8, v13, vcc
	v_cndmask_b32_e32 v49, v9, v14, vcc
	v_add_co_u32_e32 v48, vcc, v48, v1
	v_addc_co_u32_e32 v49, vcc, 0, v49, vcc
	v_cmp_lt_u32_e32 vcc, v45, v12
	global_store_short v[48:49], v47, off
	v_cndmask_b32_e32 v48, v8, v13, vcc
	v_cndmask_b32_e32 v49, v9, v14, vcc
	v_add_co_u32_e32 v48, vcc, v48, v1
	v_addc_co_u32_e32 v49, vcc, 0, v49, vcc
	v_cmp_lt_u32_e32 vcc, v43, v12
	global_store_short v[48:49], v46, off offset:512
	v_cndmask_b32_e32 v48, v8, v13, vcc
	v_cndmask_b32_e32 v49, v9, v14, vcc
	v_add_co_u32_e32 v48, vcc, v48, v1
	v_addc_co_u32_e32 v49, vcc, 0, v49, vcc
	v_cmp_lt_u32_e32 vcc, v41, v12
	global_store_short v[48:49], v44, off offset:1024
	v_cndmask_b32_e32 v48, v8, v13, vcc
	v_cndmask_b32_e32 v49, v9, v14, vcc
	v_add_co_u32_e32 v48, vcc, v48, v1
	v_addc_co_u32_e32 v49, vcc, 0, v49, vcc
	v_cmp_lt_u32_e32 vcc, v39, v12
	global_store_short v[48:49], v42, off offset:1536
	v_cndmask_b32_e32 v48, v8, v13, vcc
	v_cndmask_b32_e32 v49, v9, v14, vcc
	v_add_co_u32_e32 v48, vcc, v48, v1
	v_addc_co_u32_e32 v49, vcc, 0, v49, vcc
	v_cmp_lt_u32_e32 vcc, v37, v12
	global_store_short v[48:49], v40, off offset:2048
	v_cndmask_b32_e32 v48, v8, v13, vcc
	v_cndmask_b32_e32 v49, v9, v14, vcc
	v_add_co_u32_e32 v48, vcc, v48, v1
	v_addc_co_u32_e32 v49, vcc, 0, v49, vcc
	v_cmp_lt_u32_e32 vcc, v35, v12
	global_store_short v[48:49], v38, off offset:2560
	v_cndmask_b32_e32 v48, v8, v13, vcc
	v_cndmask_b32_e32 v49, v9, v14, vcc
	v_add_co_u32_e32 v48, vcc, v48, v1
	v_addc_co_u32_e32 v49, vcc, 0, v49, vcc
	v_cmp_lt_u32_e32 vcc, v33, v12
	global_store_short v[48:49], v36, off offset:3072
	v_cndmask_b32_e32 v48, v8, v13, vcc
	v_cndmask_b32_e32 v49, v9, v14, vcc
	v_add_co_u32_e32 v48, vcc, v48, v1
	v_addc_co_u32_e32 v49, vcc, 0, v49, vcc
	v_cmp_lt_u32_e32 vcc, v31, v12
	global_store_short v[48:49], v34, off offset:3584
	v_cndmask_b32_e32 v48, v8, v13, vcc
	v_lshlrev_b32_e32 v50, 1, v31
	v_cndmask_b32_e32 v49, v9, v14, vcc
	v_add_co_u32_e32 v48, vcc, v48, v50
	v_addc_co_u32_e32 v49, vcc, 0, v49, vcc
	v_cmp_lt_u32_e32 vcc, v29, v12
	global_store_short v[48:49], v32, off
	v_cndmask_b32_e32 v48, v8, v13, vcc
	v_lshlrev_b32_e32 v50, 1, v29
	v_cndmask_b32_e32 v49, v9, v14, vcc
	v_add_co_u32_e32 v48, vcc, v48, v50
	v_addc_co_u32_e32 v49, vcc, 0, v49, vcc
	v_cmp_lt_u32_e32 vcc, v27, v12
	global_store_short v[48:49], v30, off
	;; [unrolled: 7-line block ×10, first 2 shown]
	v_cndmask_b32_e32 v48, v8, v13, vcc
	v_lshlrev_b32_e32 v50, 1, v7
	v_cndmask_b32_e32 v49, v9, v14, vcc
	v_add_co_u32_e32 v48, vcc, v48, v50
	v_addc_co_u32_e32 v49, vcc, 0, v49, vcc
	s_mov_b64 s[0:1], -1
	global_store_short v[48:49], v6, off
	s_cbranch_execz .LBB643_128
	s_branch .LBB643_149
.LBB643_127:
	s_mov_b64 s[0:1], 0
.LBB643_128:
	v_cmp_gt_u32_e32 vcc, s33, v0
	s_and_saveexec_b64 s[0:1], vcc
	s_cbranch_execnz .LBB643_154
; %bb.129:
	s_or_b64 exec, exec, s[0:1]
	v_cmp_gt_u32_e32 vcc, s33, v45
	s_and_saveexec_b64 s[0:1], vcc
	s_cbranch_execnz .LBB643_155
.LBB643_130:
	s_or_b64 exec, exec, s[0:1]
	v_cmp_gt_u32_e32 vcc, s33, v43
	s_and_saveexec_b64 s[0:1], vcc
	s_cbranch_execnz .LBB643_156
.LBB643_131:
	s_or_b64 exec, exec, s[0:1]
	v_cmp_gt_u32_e32 vcc, s33, v41
	s_and_saveexec_b64 s[0:1], vcc
	s_cbranch_execnz .LBB643_157
.LBB643_132:
	s_or_b64 exec, exec, s[0:1]
	v_cmp_gt_u32_e32 vcc, s33, v39
	s_and_saveexec_b64 s[0:1], vcc
	s_cbranch_execnz .LBB643_158
.LBB643_133:
	s_or_b64 exec, exec, s[0:1]
	v_cmp_gt_u32_e32 vcc, s33, v37
	s_and_saveexec_b64 s[0:1], vcc
	s_cbranch_execnz .LBB643_159
.LBB643_134:
	s_or_b64 exec, exec, s[0:1]
	v_cmp_gt_u32_e32 vcc, s33, v35
	s_and_saveexec_b64 s[0:1], vcc
	s_cbranch_execnz .LBB643_160
.LBB643_135:
	s_or_b64 exec, exec, s[0:1]
	v_cmp_gt_u32_e32 vcc, s33, v33
	s_and_saveexec_b64 s[0:1], vcc
	s_cbranch_execnz .LBB643_161
.LBB643_136:
	s_or_b64 exec, exec, s[0:1]
	v_cmp_gt_u32_e32 vcc, s33, v31
	s_and_saveexec_b64 s[0:1], vcc
	s_cbranch_execnz .LBB643_162
.LBB643_137:
	s_or_b64 exec, exec, s[0:1]
	v_cmp_gt_u32_e32 vcc, s33, v29
	s_and_saveexec_b64 s[0:1], vcc
	s_cbranch_execnz .LBB643_163
.LBB643_138:
	s_or_b64 exec, exec, s[0:1]
	v_cmp_gt_u32_e32 vcc, s33, v27
	s_and_saveexec_b64 s[0:1], vcc
	s_cbranch_execnz .LBB643_164
.LBB643_139:
	s_or_b64 exec, exec, s[0:1]
	v_cmp_gt_u32_e32 vcc, s33, v25
	s_and_saveexec_b64 s[0:1], vcc
	s_cbranch_execnz .LBB643_165
.LBB643_140:
	s_or_b64 exec, exec, s[0:1]
	v_cmp_gt_u32_e32 vcc, s33, v23
	s_and_saveexec_b64 s[0:1], vcc
	s_cbranch_execnz .LBB643_166
.LBB643_141:
	s_or_b64 exec, exec, s[0:1]
	v_cmp_gt_u32_e32 vcc, s33, v21
	s_and_saveexec_b64 s[0:1], vcc
	s_cbranch_execnz .LBB643_167
.LBB643_142:
	s_or_b64 exec, exec, s[0:1]
	v_cmp_gt_u32_e32 vcc, s33, v19
	s_and_saveexec_b64 s[0:1], vcc
	s_cbranch_execnz .LBB643_168
.LBB643_143:
	s_or_b64 exec, exec, s[0:1]
	v_cmp_gt_u32_e32 vcc, s33, v17
	s_and_saveexec_b64 s[0:1], vcc
	s_cbranch_execnz .LBB643_169
.LBB643_144:
	s_or_b64 exec, exec, s[0:1]
	v_cmp_gt_u32_e32 vcc, s33, v15
	s_and_saveexec_b64 s[0:1], vcc
	s_cbranch_execnz .LBB643_170
.LBB643_145:
	s_or_b64 exec, exec, s[0:1]
	v_cmp_gt_u32_e32 vcc, s33, v10
	s_and_saveexec_b64 s[0:1], vcc
	s_cbranch_execnz .LBB643_171
.LBB643_146:
	s_or_b64 exec, exec, s[0:1]
	v_cmp_gt_u32_e32 vcc, s33, v7
	s_and_saveexec_b64 s[0:1], vcc
	s_cbranch_execz .LBB643_148
.LBB643_147:
	v_cmp_lt_u32_e32 vcc, v7, v12
	v_cndmask_b32_e32 v10, v8, v13, vcc
	v_lshlrev_b32_e32 v7, 1, v7
	v_cndmask_b32_e32 v1, v9, v14, vcc
	v_add_co_u32_e32 v10, vcc, v10, v7
	v_addc_co_u32_e32 v11, vcc, 0, v1, vcc
	global_store_short v[10:11], v6, off
.LBB643_148:
	s_or_b64 exec, exec, s[0:1]
	v_cmp_gt_u32_e64 s[0:1], s33, v5
.LBB643_149:
	s_and_saveexec_b64 s[2:3], s[0:1]
	s_cbranch_execz .LBB643_151
; %bb.150:
	v_cmp_lt_u32_e32 vcc, v5, v12
	v_cndmask_b32_e32 v6, v8, v13, vcc
	v_lshlrev_b32_e32 v5, 1, v5
	v_cndmask_b32_e32 v1, v9, v14, vcc
	v_add_co_u32_e32 v6, vcc, v6, v5
	v_addc_co_u32_e32 v7, vcc, 0, v1, vcc
	global_store_short v[6:7], v4, off
.LBB643_151:
	s_or_b64 exec, exec, s[2:3]
	v_cmp_eq_u32_e32 vcc, 0, v0
	s_and_b64 s[0:1], vcc, s[22:23]
	s_and_saveexec_b64 s[2:3], s[0:1]
	s_cbranch_execz .LBB643_153
; %bb.152:
	v_mov_b32_e32 v0, 0
	global_store_dwordx2 v0, v[2:3], s[20:21]
.LBB643_153:
	s_endpgm
.LBB643_154:
	v_cmp_lt_u32_e32 vcc, v0, v12
	v_cndmask_b32_e32 v48, v8, v13, vcc
	v_cndmask_b32_e32 v49, v9, v14, vcc
	v_add_co_u32_e32 v48, vcc, v48, v1
	v_addc_co_u32_e32 v49, vcc, 0, v49, vcc
	global_store_short v[48:49], v47, off
	s_or_b64 exec, exec, s[0:1]
	v_cmp_gt_u32_e32 vcc, s33, v45
	s_and_saveexec_b64 s[0:1], vcc
	s_cbranch_execz .LBB643_130
.LBB643_155:
	v_cmp_lt_u32_e32 vcc, v45, v12
	v_cndmask_b32_e32 v47, v8, v13, vcc
	v_cndmask_b32_e32 v45, v9, v14, vcc
	v_add_co_u32_e32 v48, vcc, v47, v1
	v_addc_co_u32_e32 v49, vcc, 0, v45, vcc
	global_store_short v[48:49], v46, off offset:512
	s_or_b64 exec, exec, s[0:1]
	v_cmp_gt_u32_e32 vcc, s33, v43
	s_and_saveexec_b64 s[0:1], vcc
	s_cbranch_execz .LBB643_131
.LBB643_156:
	v_cmp_lt_u32_e32 vcc, v43, v12
	v_cndmask_b32_e32 v45, v8, v13, vcc
	v_cndmask_b32_e32 v43, v9, v14, vcc
	v_add_co_u32_e32 v46, vcc, v45, v1
	v_addc_co_u32_e32 v47, vcc, 0, v43, vcc
	global_store_short v[46:47], v44, off offset:1024
	s_or_b64 exec, exec, s[0:1]
	v_cmp_gt_u32_e32 vcc, s33, v41
	s_and_saveexec_b64 s[0:1], vcc
	s_cbranch_execz .LBB643_132
.LBB643_157:
	v_cmp_lt_u32_e32 vcc, v41, v12
	v_cndmask_b32_e32 v43, v8, v13, vcc
	v_cndmask_b32_e32 v41, v9, v14, vcc
	v_add_co_u32_e32 v44, vcc, v43, v1
	v_addc_co_u32_e32 v45, vcc, 0, v41, vcc
	global_store_short v[44:45], v42, off offset:1536
	s_or_b64 exec, exec, s[0:1]
	v_cmp_gt_u32_e32 vcc, s33, v39
	s_and_saveexec_b64 s[0:1], vcc
	s_cbranch_execz .LBB643_133
.LBB643_158:
	v_cmp_lt_u32_e32 vcc, v39, v12
	v_cndmask_b32_e32 v41, v8, v13, vcc
	v_cndmask_b32_e32 v39, v9, v14, vcc
	v_add_co_u32_e32 v42, vcc, v41, v1
	v_addc_co_u32_e32 v43, vcc, 0, v39, vcc
	global_store_short v[42:43], v40, off offset:2048
	s_or_b64 exec, exec, s[0:1]
	v_cmp_gt_u32_e32 vcc, s33, v37
	s_and_saveexec_b64 s[0:1], vcc
	s_cbranch_execz .LBB643_134
.LBB643_159:
	v_cmp_lt_u32_e32 vcc, v37, v12
	v_cndmask_b32_e32 v39, v8, v13, vcc
	v_cndmask_b32_e32 v37, v9, v14, vcc
	v_add_co_u32_e32 v40, vcc, v39, v1
	v_addc_co_u32_e32 v41, vcc, 0, v37, vcc
	global_store_short v[40:41], v38, off offset:2560
	s_or_b64 exec, exec, s[0:1]
	v_cmp_gt_u32_e32 vcc, s33, v35
	s_and_saveexec_b64 s[0:1], vcc
	s_cbranch_execz .LBB643_135
.LBB643_160:
	v_cmp_lt_u32_e32 vcc, v35, v12
	v_cndmask_b32_e32 v37, v8, v13, vcc
	v_cndmask_b32_e32 v35, v9, v14, vcc
	v_add_co_u32_e32 v38, vcc, v37, v1
	v_addc_co_u32_e32 v39, vcc, 0, v35, vcc
	global_store_short v[38:39], v36, off offset:3072
	s_or_b64 exec, exec, s[0:1]
	v_cmp_gt_u32_e32 vcc, s33, v33
	s_and_saveexec_b64 s[0:1], vcc
	s_cbranch_execz .LBB643_136
.LBB643_161:
	v_cmp_lt_u32_e32 vcc, v33, v12
	v_cndmask_b32_e32 v35, v8, v13, vcc
	v_cndmask_b32_e32 v33, v9, v14, vcc
	v_add_co_u32_e32 v36, vcc, v35, v1
	v_addc_co_u32_e32 v37, vcc, 0, v33, vcc
	global_store_short v[36:37], v34, off offset:3584
	s_or_b64 exec, exec, s[0:1]
	v_cmp_gt_u32_e32 vcc, s33, v31
	s_and_saveexec_b64 s[0:1], vcc
	s_cbranch_execz .LBB643_137
.LBB643_162:
	v_cmp_lt_u32_e32 vcc, v31, v12
	v_cndmask_b32_e32 v33, v8, v13, vcc
	v_lshlrev_b32_e32 v31, 1, v31
	v_cndmask_b32_e32 v1, v9, v14, vcc
	v_add_co_u32_e32 v34, vcc, v33, v31
	v_addc_co_u32_e32 v35, vcc, 0, v1, vcc
	global_store_short v[34:35], v32, off
	s_or_b64 exec, exec, s[0:1]
	v_cmp_gt_u32_e32 vcc, s33, v29
	s_and_saveexec_b64 s[0:1], vcc
	s_cbranch_execz .LBB643_138
.LBB643_163:
	v_cmp_lt_u32_e32 vcc, v29, v12
	v_cndmask_b32_e32 v31, v8, v13, vcc
	v_lshlrev_b32_e32 v29, 1, v29
	v_cndmask_b32_e32 v1, v9, v14, vcc
	v_add_co_u32_e32 v32, vcc, v31, v29
	v_addc_co_u32_e32 v33, vcc, 0, v1, vcc
	global_store_short v[32:33], v30, off
	s_or_b64 exec, exec, s[0:1]
	v_cmp_gt_u32_e32 vcc, s33, v27
	s_and_saveexec_b64 s[0:1], vcc
	s_cbranch_execz .LBB643_139
.LBB643_164:
	v_cmp_lt_u32_e32 vcc, v27, v12
	v_cndmask_b32_e32 v29, v8, v13, vcc
	v_lshlrev_b32_e32 v27, 1, v27
	v_cndmask_b32_e32 v1, v9, v14, vcc
	v_add_co_u32_e32 v30, vcc, v29, v27
	v_addc_co_u32_e32 v31, vcc, 0, v1, vcc
	global_store_short v[30:31], v28, off
	s_or_b64 exec, exec, s[0:1]
	v_cmp_gt_u32_e32 vcc, s33, v25
	s_and_saveexec_b64 s[0:1], vcc
	s_cbranch_execz .LBB643_140
.LBB643_165:
	v_cmp_lt_u32_e32 vcc, v25, v12
	v_cndmask_b32_e32 v27, v8, v13, vcc
	v_lshlrev_b32_e32 v25, 1, v25
	v_cndmask_b32_e32 v1, v9, v14, vcc
	v_add_co_u32_e32 v28, vcc, v27, v25
	v_addc_co_u32_e32 v29, vcc, 0, v1, vcc
	global_store_short v[28:29], v26, off
	s_or_b64 exec, exec, s[0:1]
	v_cmp_gt_u32_e32 vcc, s33, v23
	s_and_saveexec_b64 s[0:1], vcc
	s_cbranch_execz .LBB643_141
.LBB643_166:
	v_cmp_lt_u32_e32 vcc, v23, v12
	v_cndmask_b32_e32 v25, v8, v13, vcc
	v_lshlrev_b32_e32 v23, 1, v23
	v_cndmask_b32_e32 v1, v9, v14, vcc
	v_add_co_u32_e32 v26, vcc, v25, v23
	v_addc_co_u32_e32 v27, vcc, 0, v1, vcc
	global_store_short v[26:27], v24, off
	s_or_b64 exec, exec, s[0:1]
	v_cmp_gt_u32_e32 vcc, s33, v21
	s_and_saveexec_b64 s[0:1], vcc
	s_cbranch_execz .LBB643_142
.LBB643_167:
	v_cmp_lt_u32_e32 vcc, v21, v12
	v_cndmask_b32_e32 v23, v8, v13, vcc
	v_lshlrev_b32_e32 v21, 1, v21
	v_cndmask_b32_e32 v1, v9, v14, vcc
	v_add_co_u32_e32 v24, vcc, v23, v21
	v_addc_co_u32_e32 v25, vcc, 0, v1, vcc
	global_store_short v[24:25], v22, off
	s_or_b64 exec, exec, s[0:1]
	v_cmp_gt_u32_e32 vcc, s33, v19
	s_and_saveexec_b64 s[0:1], vcc
	s_cbranch_execz .LBB643_143
.LBB643_168:
	v_cmp_lt_u32_e32 vcc, v19, v12
	v_cndmask_b32_e32 v21, v8, v13, vcc
	v_lshlrev_b32_e32 v19, 1, v19
	v_cndmask_b32_e32 v1, v9, v14, vcc
	v_add_co_u32_e32 v22, vcc, v21, v19
	v_addc_co_u32_e32 v23, vcc, 0, v1, vcc
	global_store_short v[22:23], v20, off
	s_or_b64 exec, exec, s[0:1]
	v_cmp_gt_u32_e32 vcc, s33, v17
	s_and_saveexec_b64 s[0:1], vcc
	s_cbranch_execz .LBB643_144
.LBB643_169:
	v_cmp_lt_u32_e32 vcc, v17, v12
	v_cndmask_b32_e32 v19, v8, v13, vcc
	v_lshlrev_b32_e32 v17, 1, v17
	v_cndmask_b32_e32 v1, v9, v14, vcc
	v_add_co_u32_e32 v20, vcc, v19, v17
	v_addc_co_u32_e32 v21, vcc, 0, v1, vcc
	global_store_short v[20:21], v18, off
	s_or_b64 exec, exec, s[0:1]
	v_cmp_gt_u32_e32 vcc, s33, v15
	s_and_saveexec_b64 s[0:1], vcc
	s_cbranch_execz .LBB643_145
.LBB643_170:
	v_cmp_lt_u32_e32 vcc, v15, v12
	v_cndmask_b32_e32 v17, v8, v13, vcc
	v_lshlrev_b32_e32 v15, 1, v15
	v_cndmask_b32_e32 v1, v9, v14, vcc
	v_add_co_u32_e32 v18, vcc, v17, v15
	v_addc_co_u32_e32 v19, vcc, 0, v1, vcc
	global_store_short v[18:19], v16, off
	s_or_b64 exec, exec, s[0:1]
	v_cmp_gt_u32_e32 vcc, s33, v10
	s_and_saveexec_b64 s[0:1], vcc
	s_cbranch_execz .LBB643_146
.LBB643_171:
	v_cmp_lt_u32_e32 vcc, v10, v12
	v_cndmask_b32_e32 v15, v8, v13, vcc
	v_lshlrev_b32_e32 v10, 1, v10
	v_cndmask_b32_e32 v1, v9, v14, vcc
	v_add_co_u32_e32 v16, vcc, v15, v10
	v_addc_co_u32_e32 v17, vcc, 0, v1, vcc
	global_store_short v[16:17], v11, off
	s_or_b64 exec, exec, s[0:1]
	v_cmp_gt_u32_e32 vcc, s33, v7
	s_and_saveexec_b64 s[0:1], vcc
	s_cbranch_execnz .LBB643_147
	s_branch .LBB643_148
	.section	.rodata,"a",@progbits
	.p2align	6, 0x0
	.amdhsa_kernel _ZN7rocprim17ROCPRIM_400000_NS6detail17trampoline_kernelINS0_14default_configENS1_25partition_config_selectorILNS1_17partition_subalgoE1EsNS0_10empty_typeEbEEZZNS1_14partition_implILS5_1ELb0ES3_jN6thrust23THRUST_200600_302600_NS6detail15normal_iteratorINSA_10device_ptrIsEEEEPS6_NSA_18transform_iteratorINSA_8identityIsEESF_NSA_11use_defaultESK_EENS0_5tupleIJSF_SF_EEENSM_IJSG_SG_EEES6_PlJS6_EEE10hipError_tPvRmT3_T4_T5_T6_T7_T9_mT8_P12ihipStream_tbDpT10_ENKUlT_T0_E_clISt17integral_constantIbLb0EES19_EEDaS14_S15_EUlS14_E_NS1_11comp_targetILNS1_3genE4ELNS1_11target_archE910ELNS1_3gpuE8ELNS1_3repE0EEENS1_30default_config_static_selectorELNS0_4arch9wavefront6targetE1EEEvT1_
		.amdhsa_group_segment_fixed_size 10248
		.amdhsa_private_segment_fixed_size 0
		.amdhsa_kernarg_size 128
		.amdhsa_user_sgpr_count 6
		.amdhsa_user_sgpr_private_segment_buffer 1
		.amdhsa_user_sgpr_dispatch_ptr 0
		.amdhsa_user_sgpr_queue_ptr 0
		.amdhsa_user_sgpr_kernarg_segment_ptr 1
		.amdhsa_user_sgpr_dispatch_id 0
		.amdhsa_user_sgpr_flat_scratch_init 0
		.amdhsa_user_sgpr_kernarg_preload_length 0
		.amdhsa_user_sgpr_kernarg_preload_offset 0
		.amdhsa_user_sgpr_private_segment_size 0
		.amdhsa_uses_dynamic_stack 0
		.amdhsa_system_sgpr_private_segment_wavefront_offset 0
		.amdhsa_system_sgpr_workgroup_id_x 1
		.amdhsa_system_sgpr_workgroup_id_y 0
		.amdhsa_system_sgpr_workgroup_id_z 0
		.amdhsa_system_sgpr_workgroup_info 0
		.amdhsa_system_vgpr_workitem_id 0
		.amdhsa_next_free_vgpr 65
		.amdhsa_next_free_sgpr 44
		.amdhsa_accum_offset 68
		.amdhsa_reserve_vcc 1
		.amdhsa_reserve_flat_scratch 0
		.amdhsa_float_round_mode_32 0
		.amdhsa_float_round_mode_16_64 0
		.amdhsa_float_denorm_mode_32 3
		.amdhsa_float_denorm_mode_16_64 3
		.amdhsa_dx10_clamp 1
		.amdhsa_ieee_mode 1
		.amdhsa_fp16_overflow 0
		.amdhsa_tg_split 0
		.amdhsa_exception_fp_ieee_invalid_op 0
		.amdhsa_exception_fp_denorm_src 0
		.amdhsa_exception_fp_ieee_div_zero 0
		.amdhsa_exception_fp_ieee_overflow 0
		.amdhsa_exception_fp_ieee_underflow 0
		.amdhsa_exception_fp_ieee_inexact 0
		.amdhsa_exception_int_div_zero 0
	.end_amdhsa_kernel
	.section	.text._ZN7rocprim17ROCPRIM_400000_NS6detail17trampoline_kernelINS0_14default_configENS1_25partition_config_selectorILNS1_17partition_subalgoE1EsNS0_10empty_typeEbEEZZNS1_14partition_implILS5_1ELb0ES3_jN6thrust23THRUST_200600_302600_NS6detail15normal_iteratorINSA_10device_ptrIsEEEEPS6_NSA_18transform_iteratorINSA_8identityIsEESF_NSA_11use_defaultESK_EENS0_5tupleIJSF_SF_EEENSM_IJSG_SG_EEES6_PlJS6_EEE10hipError_tPvRmT3_T4_T5_T6_T7_T9_mT8_P12ihipStream_tbDpT10_ENKUlT_T0_E_clISt17integral_constantIbLb0EES19_EEDaS14_S15_EUlS14_E_NS1_11comp_targetILNS1_3genE4ELNS1_11target_archE910ELNS1_3gpuE8ELNS1_3repE0EEENS1_30default_config_static_selectorELNS0_4arch9wavefront6targetE1EEEvT1_,"axG",@progbits,_ZN7rocprim17ROCPRIM_400000_NS6detail17trampoline_kernelINS0_14default_configENS1_25partition_config_selectorILNS1_17partition_subalgoE1EsNS0_10empty_typeEbEEZZNS1_14partition_implILS5_1ELb0ES3_jN6thrust23THRUST_200600_302600_NS6detail15normal_iteratorINSA_10device_ptrIsEEEEPS6_NSA_18transform_iteratorINSA_8identityIsEESF_NSA_11use_defaultESK_EENS0_5tupleIJSF_SF_EEENSM_IJSG_SG_EEES6_PlJS6_EEE10hipError_tPvRmT3_T4_T5_T6_T7_T9_mT8_P12ihipStream_tbDpT10_ENKUlT_T0_E_clISt17integral_constantIbLb0EES19_EEDaS14_S15_EUlS14_E_NS1_11comp_targetILNS1_3genE4ELNS1_11target_archE910ELNS1_3gpuE8ELNS1_3repE0EEENS1_30default_config_static_selectorELNS0_4arch9wavefront6targetE1EEEvT1_,comdat
.Lfunc_end643:
	.size	_ZN7rocprim17ROCPRIM_400000_NS6detail17trampoline_kernelINS0_14default_configENS1_25partition_config_selectorILNS1_17partition_subalgoE1EsNS0_10empty_typeEbEEZZNS1_14partition_implILS5_1ELb0ES3_jN6thrust23THRUST_200600_302600_NS6detail15normal_iteratorINSA_10device_ptrIsEEEEPS6_NSA_18transform_iteratorINSA_8identityIsEESF_NSA_11use_defaultESK_EENS0_5tupleIJSF_SF_EEENSM_IJSG_SG_EEES6_PlJS6_EEE10hipError_tPvRmT3_T4_T5_T6_T7_T9_mT8_P12ihipStream_tbDpT10_ENKUlT_T0_E_clISt17integral_constantIbLb0EES19_EEDaS14_S15_EUlS14_E_NS1_11comp_targetILNS1_3genE4ELNS1_11target_archE910ELNS1_3gpuE8ELNS1_3repE0EEENS1_30default_config_static_selectorELNS0_4arch9wavefront6targetE1EEEvT1_, .Lfunc_end643-_ZN7rocprim17ROCPRIM_400000_NS6detail17trampoline_kernelINS0_14default_configENS1_25partition_config_selectorILNS1_17partition_subalgoE1EsNS0_10empty_typeEbEEZZNS1_14partition_implILS5_1ELb0ES3_jN6thrust23THRUST_200600_302600_NS6detail15normal_iteratorINSA_10device_ptrIsEEEEPS6_NSA_18transform_iteratorINSA_8identityIsEESF_NSA_11use_defaultESK_EENS0_5tupleIJSF_SF_EEENSM_IJSG_SG_EEES6_PlJS6_EEE10hipError_tPvRmT3_T4_T5_T6_T7_T9_mT8_P12ihipStream_tbDpT10_ENKUlT_T0_E_clISt17integral_constantIbLb0EES19_EEDaS14_S15_EUlS14_E_NS1_11comp_targetILNS1_3genE4ELNS1_11target_archE910ELNS1_3gpuE8ELNS1_3repE0EEENS1_30default_config_static_selectorELNS0_4arch9wavefront6targetE1EEEvT1_
                                        ; -- End function
	.section	.AMDGPU.csdata,"",@progbits
; Kernel info:
; codeLenInByte = 8956
; NumSgprs: 48
; NumVgprs: 65
; NumAgprs: 0
; TotalNumVgprs: 65
; ScratchSize: 0
; MemoryBound: 0
; FloatMode: 240
; IeeeMode: 1
; LDSByteSize: 10248 bytes/workgroup (compile time only)
; SGPRBlocks: 5
; VGPRBlocks: 8
; NumSGPRsForWavesPerEU: 48
; NumVGPRsForWavesPerEU: 65
; AccumOffset: 68
; Occupancy: 6
; WaveLimiterHint : 1
; COMPUTE_PGM_RSRC2:SCRATCH_EN: 0
; COMPUTE_PGM_RSRC2:USER_SGPR: 6
; COMPUTE_PGM_RSRC2:TRAP_HANDLER: 0
; COMPUTE_PGM_RSRC2:TGID_X_EN: 1
; COMPUTE_PGM_RSRC2:TGID_Y_EN: 0
; COMPUTE_PGM_RSRC2:TGID_Z_EN: 0
; COMPUTE_PGM_RSRC2:TIDIG_COMP_CNT: 0
; COMPUTE_PGM_RSRC3_GFX90A:ACCUM_OFFSET: 16
; COMPUTE_PGM_RSRC3_GFX90A:TG_SPLIT: 0
	.section	.text._ZN7rocprim17ROCPRIM_400000_NS6detail17trampoline_kernelINS0_14default_configENS1_25partition_config_selectorILNS1_17partition_subalgoE1EsNS0_10empty_typeEbEEZZNS1_14partition_implILS5_1ELb0ES3_jN6thrust23THRUST_200600_302600_NS6detail15normal_iteratorINSA_10device_ptrIsEEEEPS6_NSA_18transform_iteratorINSA_8identityIsEESF_NSA_11use_defaultESK_EENS0_5tupleIJSF_SF_EEENSM_IJSG_SG_EEES6_PlJS6_EEE10hipError_tPvRmT3_T4_T5_T6_T7_T9_mT8_P12ihipStream_tbDpT10_ENKUlT_T0_E_clISt17integral_constantIbLb0EES19_EEDaS14_S15_EUlS14_E_NS1_11comp_targetILNS1_3genE3ELNS1_11target_archE908ELNS1_3gpuE7ELNS1_3repE0EEENS1_30default_config_static_selectorELNS0_4arch9wavefront6targetE1EEEvT1_,"axG",@progbits,_ZN7rocprim17ROCPRIM_400000_NS6detail17trampoline_kernelINS0_14default_configENS1_25partition_config_selectorILNS1_17partition_subalgoE1EsNS0_10empty_typeEbEEZZNS1_14partition_implILS5_1ELb0ES3_jN6thrust23THRUST_200600_302600_NS6detail15normal_iteratorINSA_10device_ptrIsEEEEPS6_NSA_18transform_iteratorINSA_8identityIsEESF_NSA_11use_defaultESK_EENS0_5tupleIJSF_SF_EEENSM_IJSG_SG_EEES6_PlJS6_EEE10hipError_tPvRmT3_T4_T5_T6_T7_T9_mT8_P12ihipStream_tbDpT10_ENKUlT_T0_E_clISt17integral_constantIbLb0EES19_EEDaS14_S15_EUlS14_E_NS1_11comp_targetILNS1_3genE3ELNS1_11target_archE908ELNS1_3gpuE7ELNS1_3repE0EEENS1_30default_config_static_selectorELNS0_4arch9wavefront6targetE1EEEvT1_,comdat
	.protected	_ZN7rocprim17ROCPRIM_400000_NS6detail17trampoline_kernelINS0_14default_configENS1_25partition_config_selectorILNS1_17partition_subalgoE1EsNS0_10empty_typeEbEEZZNS1_14partition_implILS5_1ELb0ES3_jN6thrust23THRUST_200600_302600_NS6detail15normal_iteratorINSA_10device_ptrIsEEEEPS6_NSA_18transform_iteratorINSA_8identityIsEESF_NSA_11use_defaultESK_EENS0_5tupleIJSF_SF_EEENSM_IJSG_SG_EEES6_PlJS6_EEE10hipError_tPvRmT3_T4_T5_T6_T7_T9_mT8_P12ihipStream_tbDpT10_ENKUlT_T0_E_clISt17integral_constantIbLb0EES19_EEDaS14_S15_EUlS14_E_NS1_11comp_targetILNS1_3genE3ELNS1_11target_archE908ELNS1_3gpuE7ELNS1_3repE0EEENS1_30default_config_static_selectorELNS0_4arch9wavefront6targetE1EEEvT1_ ; -- Begin function _ZN7rocprim17ROCPRIM_400000_NS6detail17trampoline_kernelINS0_14default_configENS1_25partition_config_selectorILNS1_17partition_subalgoE1EsNS0_10empty_typeEbEEZZNS1_14partition_implILS5_1ELb0ES3_jN6thrust23THRUST_200600_302600_NS6detail15normal_iteratorINSA_10device_ptrIsEEEEPS6_NSA_18transform_iteratorINSA_8identityIsEESF_NSA_11use_defaultESK_EENS0_5tupleIJSF_SF_EEENSM_IJSG_SG_EEES6_PlJS6_EEE10hipError_tPvRmT3_T4_T5_T6_T7_T9_mT8_P12ihipStream_tbDpT10_ENKUlT_T0_E_clISt17integral_constantIbLb0EES19_EEDaS14_S15_EUlS14_E_NS1_11comp_targetILNS1_3genE3ELNS1_11target_archE908ELNS1_3gpuE7ELNS1_3repE0EEENS1_30default_config_static_selectorELNS0_4arch9wavefront6targetE1EEEvT1_
	.globl	_ZN7rocprim17ROCPRIM_400000_NS6detail17trampoline_kernelINS0_14default_configENS1_25partition_config_selectorILNS1_17partition_subalgoE1EsNS0_10empty_typeEbEEZZNS1_14partition_implILS5_1ELb0ES3_jN6thrust23THRUST_200600_302600_NS6detail15normal_iteratorINSA_10device_ptrIsEEEEPS6_NSA_18transform_iteratorINSA_8identityIsEESF_NSA_11use_defaultESK_EENS0_5tupleIJSF_SF_EEENSM_IJSG_SG_EEES6_PlJS6_EEE10hipError_tPvRmT3_T4_T5_T6_T7_T9_mT8_P12ihipStream_tbDpT10_ENKUlT_T0_E_clISt17integral_constantIbLb0EES19_EEDaS14_S15_EUlS14_E_NS1_11comp_targetILNS1_3genE3ELNS1_11target_archE908ELNS1_3gpuE7ELNS1_3repE0EEENS1_30default_config_static_selectorELNS0_4arch9wavefront6targetE1EEEvT1_
	.p2align	8
	.type	_ZN7rocprim17ROCPRIM_400000_NS6detail17trampoline_kernelINS0_14default_configENS1_25partition_config_selectorILNS1_17partition_subalgoE1EsNS0_10empty_typeEbEEZZNS1_14partition_implILS5_1ELb0ES3_jN6thrust23THRUST_200600_302600_NS6detail15normal_iteratorINSA_10device_ptrIsEEEEPS6_NSA_18transform_iteratorINSA_8identityIsEESF_NSA_11use_defaultESK_EENS0_5tupleIJSF_SF_EEENSM_IJSG_SG_EEES6_PlJS6_EEE10hipError_tPvRmT3_T4_T5_T6_T7_T9_mT8_P12ihipStream_tbDpT10_ENKUlT_T0_E_clISt17integral_constantIbLb0EES19_EEDaS14_S15_EUlS14_E_NS1_11comp_targetILNS1_3genE3ELNS1_11target_archE908ELNS1_3gpuE7ELNS1_3repE0EEENS1_30default_config_static_selectorELNS0_4arch9wavefront6targetE1EEEvT1_,@function
_ZN7rocprim17ROCPRIM_400000_NS6detail17trampoline_kernelINS0_14default_configENS1_25partition_config_selectorILNS1_17partition_subalgoE1EsNS0_10empty_typeEbEEZZNS1_14partition_implILS5_1ELb0ES3_jN6thrust23THRUST_200600_302600_NS6detail15normal_iteratorINSA_10device_ptrIsEEEEPS6_NSA_18transform_iteratorINSA_8identityIsEESF_NSA_11use_defaultESK_EENS0_5tupleIJSF_SF_EEENSM_IJSG_SG_EEES6_PlJS6_EEE10hipError_tPvRmT3_T4_T5_T6_T7_T9_mT8_P12ihipStream_tbDpT10_ENKUlT_T0_E_clISt17integral_constantIbLb0EES19_EEDaS14_S15_EUlS14_E_NS1_11comp_targetILNS1_3genE3ELNS1_11target_archE908ELNS1_3gpuE7ELNS1_3repE0EEENS1_30default_config_static_selectorELNS0_4arch9wavefront6targetE1EEEvT1_: ; @_ZN7rocprim17ROCPRIM_400000_NS6detail17trampoline_kernelINS0_14default_configENS1_25partition_config_selectorILNS1_17partition_subalgoE1EsNS0_10empty_typeEbEEZZNS1_14partition_implILS5_1ELb0ES3_jN6thrust23THRUST_200600_302600_NS6detail15normal_iteratorINSA_10device_ptrIsEEEEPS6_NSA_18transform_iteratorINSA_8identityIsEESF_NSA_11use_defaultESK_EENS0_5tupleIJSF_SF_EEENSM_IJSG_SG_EEES6_PlJS6_EEE10hipError_tPvRmT3_T4_T5_T6_T7_T9_mT8_P12ihipStream_tbDpT10_ENKUlT_T0_E_clISt17integral_constantIbLb0EES19_EEDaS14_S15_EUlS14_E_NS1_11comp_targetILNS1_3genE3ELNS1_11target_archE908ELNS1_3gpuE7ELNS1_3repE0EEENS1_30default_config_static_selectorELNS0_4arch9wavefront6targetE1EEEvT1_
; %bb.0:
	.section	.rodata,"a",@progbits
	.p2align	6, 0x0
	.amdhsa_kernel _ZN7rocprim17ROCPRIM_400000_NS6detail17trampoline_kernelINS0_14default_configENS1_25partition_config_selectorILNS1_17partition_subalgoE1EsNS0_10empty_typeEbEEZZNS1_14partition_implILS5_1ELb0ES3_jN6thrust23THRUST_200600_302600_NS6detail15normal_iteratorINSA_10device_ptrIsEEEEPS6_NSA_18transform_iteratorINSA_8identityIsEESF_NSA_11use_defaultESK_EENS0_5tupleIJSF_SF_EEENSM_IJSG_SG_EEES6_PlJS6_EEE10hipError_tPvRmT3_T4_T5_T6_T7_T9_mT8_P12ihipStream_tbDpT10_ENKUlT_T0_E_clISt17integral_constantIbLb0EES19_EEDaS14_S15_EUlS14_E_NS1_11comp_targetILNS1_3genE3ELNS1_11target_archE908ELNS1_3gpuE7ELNS1_3repE0EEENS1_30default_config_static_selectorELNS0_4arch9wavefront6targetE1EEEvT1_
		.amdhsa_group_segment_fixed_size 0
		.amdhsa_private_segment_fixed_size 0
		.amdhsa_kernarg_size 128
		.amdhsa_user_sgpr_count 6
		.amdhsa_user_sgpr_private_segment_buffer 1
		.amdhsa_user_sgpr_dispatch_ptr 0
		.amdhsa_user_sgpr_queue_ptr 0
		.amdhsa_user_sgpr_kernarg_segment_ptr 1
		.amdhsa_user_sgpr_dispatch_id 0
		.amdhsa_user_sgpr_flat_scratch_init 0
		.amdhsa_user_sgpr_kernarg_preload_length 0
		.amdhsa_user_sgpr_kernarg_preload_offset 0
		.amdhsa_user_sgpr_private_segment_size 0
		.amdhsa_uses_dynamic_stack 0
		.amdhsa_system_sgpr_private_segment_wavefront_offset 0
		.amdhsa_system_sgpr_workgroup_id_x 1
		.amdhsa_system_sgpr_workgroup_id_y 0
		.amdhsa_system_sgpr_workgroup_id_z 0
		.amdhsa_system_sgpr_workgroup_info 0
		.amdhsa_system_vgpr_workitem_id 0
		.amdhsa_next_free_vgpr 1
		.amdhsa_next_free_sgpr 0
		.amdhsa_accum_offset 4
		.amdhsa_reserve_vcc 0
		.amdhsa_reserve_flat_scratch 0
		.amdhsa_float_round_mode_32 0
		.amdhsa_float_round_mode_16_64 0
		.amdhsa_float_denorm_mode_32 3
		.amdhsa_float_denorm_mode_16_64 3
		.amdhsa_dx10_clamp 1
		.amdhsa_ieee_mode 1
		.amdhsa_fp16_overflow 0
		.amdhsa_tg_split 0
		.amdhsa_exception_fp_ieee_invalid_op 0
		.amdhsa_exception_fp_denorm_src 0
		.amdhsa_exception_fp_ieee_div_zero 0
		.amdhsa_exception_fp_ieee_overflow 0
		.amdhsa_exception_fp_ieee_underflow 0
		.amdhsa_exception_fp_ieee_inexact 0
		.amdhsa_exception_int_div_zero 0
	.end_amdhsa_kernel
	.section	.text._ZN7rocprim17ROCPRIM_400000_NS6detail17trampoline_kernelINS0_14default_configENS1_25partition_config_selectorILNS1_17partition_subalgoE1EsNS0_10empty_typeEbEEZZNS1_14partition_implILS5_1ELb0ES3_jN6thrust23THRUST_200600_302600_NS6detail15normal_iteratorINSA_10device_ptrIsEEEEPS6_NSA_18transform_iteratorINSA_8identityIsEESF_NSA_11use_defaultESK_EENS0_5tupleIJSF_SF_EEENSM_IJSG_SG_EEES6_PlJS6_EEE10hipError_tPvRmT3_T4_T5_T6_T7_T9_mT8_P12ihipStream_tbDpT10_ENKUlT_T0_E_clISt17integral_constantIbLb0EES19_EEDaS14_S15_EUlS14_E_NS1_11comp_targetILNS1_3genE3ELNS1_11target_archE908ELNS1_3gpuE7ELNS1_3repE0EEENS1_30default_config_static_selectorELNS0_4arch9wavefront6targetE1EEEvT1_,"axG",@progbits,_ZN7rocprim17ROCPRIM_400000_NS6detail17trampoline_kernelINS0_14default_configENS1_25partition_config_selectorILNS1_17partition_subalgoE1EsNS0_10empty_typeEbEEZZNS1_14partition_implILS5_1ELb0ES3_jN6thrust23THRUST_200600_302600_NS6detail15normal_iteratorINSA_10device_ptrIsEEEEPS6_NSA_18transform_iteratorINSA_8identityIsEESF_NSA_11use_defaultESK_EENS0_5tupleIJSF_SF_EEENSM_IJSG_SG_EEES6_PlJS6_EEE10hipError_tPvRmT3_T4_T5_T6_T7_T9_mT8_P12ihipStream_tbDpT10_ENKUlT_T0_E_clISt17integral_constantIbLb0EES19_EEDaS14_S15_EUlS14_E_NS1_11comp_targetILNS1_3genE3ELNS1_11target_archE908ELNS1_3gpuE7ELNS1_3repE0EEENS1_30default_config_static_selectorELNS0_4arch9wavefront6targetE1EEEvT1_,comdat
.Lfunc_end644:
	.size	_ZN7rocprim17ROCPRIM_400000_NS6detail17trampoline_kernelINS0_14default_configENS1_25partition_config_selectorILNS1_17partition_subalgoE1EsNS0_10empty_typeEbEEZZNS1_14partition_implILS5_1ELb0ES3_jN6thrust23THRUST_200600_302600_NS6detail15normal_iteratorINSA_10device_ptrIsEEEEPS6_NSA_18transform_iteratorINSA_8identityIsEESF_NSA_11use_defaultESK_EENS0_5tupleIJSF_SF_EEENSM_IJSG_SG_EEES6_PlJS6_EEE10hipError_tPvRmT3_T4_T5_T6_T7_T9_mT8_P12ihipStream_tbDpT10_ENKUlT_T0_E_clISt17integral_constantIbLb0EES19_EEDaS14_S15_EUlS14_E_NS1_11comp_targetILNS1_3genE3ELNS1_11target_archE908ELNS1_3gpuE7ELNS1_3repE0EEENS1_30default_config_static_selectorELNS0_4arch9wavefront6targetE1EEEvT1_, .Lfunc_end644-_ZN7rocprim17ROCPRIM_400000_NS6detail17trampoline_kernelINS0_14default_configENS1_25partition_config_selectorILNS1_17partition_subalgoE1EsNS0_10empty_typeEbEEZZNS1_14partition_implILS5_1ELb0ES3_jN6thrust23THRUST_200600_302600_NS6detail15normal_iteratorINSA_10device_ptrIsEEEEPS6_NSA_18transform_iteratorINSA_8identityIsEESF_NSA_11use_defaultESK_EENS0_5tupleIJSF_SF_EEENSM_IJSG_SG_EEES6_PlJS6_EEE10hipError_tPvRmT3_T4_T5_T6_T7_T9_mT8_P12ihipStream_tbDpT10_ENKUlT_T0_E_clISt17integral_constantIbLb0EES19_EEDaS14_S15_EUlS14_E_NS1_11comp_targetILNS1_3genE3ELNS1_11target_archE908ELNS1_3gpuE7ELNS1_3repE0EEENS1_30default_config_static_selectorELNS0_4arch9wavefront6targetE1EEEvT1_
                                        ; -- End function
	.section	.AMDGPU.csdata,"",@progbits
; Kernel info:
; codeLenInByte = 0
; NumSgprs: 4
; NumVgprs: 0
; NumAgprs: 0
; TotalNumVgprs: 0
; ScratchSize: 0
; MemoryBound: 0
; FloatMode: 240
; IeeeMode: 1
; LDSByteSize: 0 bytes/workgroup (compile time only)
; SGPRBlocks: 0
; VGPRBlocks: 0
; NumSGPRsForWavesPerEU: 4
; NumVGPRsForWavesPerEU: 1
; AccumOffset: 4
; Occupancy: 8
; WaveLimiterHint : 0
; COMPUTE_PGM_RSRC2:SCRATCH_EN: 0
; COMPUTE_PGM_RSRC2:USER_SGPR: 6
; COMPUTE_PGM_RSRC2:TRAP_HANDLER: 0
; COMPUTE_PGM_RSRC2:TGID_X_EN: 1
; COMPUTE_PGM_RSRC2:TGID_Y_EN: 0
; COMPUTE_PGM_RSRC2:TGID_Z_EN: 0
; COMPUTE_PGM_RSRC2:TIDIG_COMP_CNT: 0
; COMPUTE_PGM_RSRC3_GFX90A:ACCUM_OFFSET: 0
; COMPUTE_PGM_RSRC3_GFX90A:TG_SPLIT: 0
	.section	.text._ZN7rocprim17ROCPRIM_400000_NS6detail17trampoline_kernelINS0_14default_configENS1_25partition_config_selectorILNS1_17partition_subalgoE1EsNS0_10empty_typeEbEEZZNS1_14partition_implILS5_1ELb0ES3_jN6thrust23THRUST_200600_302600_NS6detail15normal_iteratorINSA_10device_ptrIsEEEEPS6_NSA_18transform_iteratorINSA_8identityIsEESF_NSA_11use_defaultESK_EENS0_5tupleIJSF_SF_EEENSM_IJSG_SG_EEES6_PlJS6_EEE10hipError_tPvRmT3_T4_T5_T6_T7_T9_mT8_P12ihipStream_tbDpT10_ENKUlT_T0_E_clISt17integral_constantIbLb0EES19_EEDaS14_S15_EUlS14_E_NS1_11comp_targetILNS1_3genE2ELNS1_11target_archE906ELNS1_3gpuE6ELNS1_3repE0EEENS1_30default_config_static_selectorELNS0_4arch9wavefront6targetE1EEEvT1_,"axG",@progbits,_ZN7rocprim17ROCPRIM_400000_NS6detail17trampoline_kernelINS0_14default_configENS1_25partition_config_selectorILNS1_17partition_subalgoE1EsNS0_10empty_typeEbEEZZNS1_14partition_implILS5_1ELb0ES3_jN6thrust23THRUST_200600_302600_NS6detail15normal_iteratorINSA_10device_ptrIsEEEEPS6_NSA_18transform_iteratorINSA_8identityIsEESF_NSA_11use_defaultESK_EENS0_5tupleIJSF_SF_EEENSM_IJSG_SG_EEES6_PlJS6_EEE10hipError_tPvRmT3_T4_T5_T6_T7_T9_mT8_P12ihipStream_tbDpT10_ENKUlT_T0_E_clISt17integral_constantIbLb0EES19_EEDaS14_S15_EUlS14_E_NS1_11comp_targetILNS1_3genE2ELNS1_11target_archE906ELNS1_3gpuE6ELNS1_3repE0EEENS1_30default_config_static_selectorELNS0_4arch9wavefront6targetE1EEEvT1_,comdat
	.protected	_ZN7rocprim17ROCPRIM_400000_NS6detail17trampoline_kernelINS0_14default_configENS1_25partition_config_selectorILNS1_17partition_subalgoE1EsNS0_10empty_typeEbEEZZNS1_14partition_implILS5_1ELb0ES3_jN6thrust23THRUST_200600_302600_NS6detail15normal_iteratorINSA_10device_ptrIsEEEEPS6_NSA_18transform_iteratorINSA_8identityIsEESF_NSA_11use_defaultESK_EENS0_5tupleIJSF_SF_EEENSM_IJSG_SG_EEES6_PlJS6_EEE10hipError_tPvRmT3_T4_T5_T6_T7_T9_mT8_P12ihipStream_tbDpT10_ENKUlT_T0_E_clISt17integral_constantIbLb0EES19_EEDaS14_S15_EUlS14_E_NS1_11comp_targetILNS1_3genE2ELNS1_11target_archE906ELNS1_3gpuE6ELNS1_3repE0EEENS1_30default_config_static_selectorELNS0_4arch9wavefront6targetE1EEEvT1_ ; -- Begin function _ZN7rocprim17ROCPRIM_400000_NS6detail17trampoline_kernelINS0_14default_configENS1_25partition_config_selectorILNS1_17partition_subalgoE1EsNS0_10empty_typeEbEEZZNS1_14partition_implILS5_1ELb0ES3_jN6thrust23THRUST_200600_302600_NS6detail15normal_iteratorINSA_10device_ptrIsEEEEPS6_NSA_18transform_iteratorINSA_8identityIsEESF_NSA_11use_defaultESK_EENS0_5tupleIJSF_SF_EEENSM_IJSG_SG_EEES6_PlJS6_EEE10hipError_tPvRmT3_T4_T5_T6_T7_T9_mT8_P12ihipStream_tbDpT10_ENKUlT_T0_E_clISt17integral_constantIbLb0EES19_EEDaS14_S15_EUlS14_E_NS1_11comp_targetILNS1_3genE2ELNS1_11target_archE906ELNS1_3gpuE6ELNS1_3repE0EEENS1_30default_config_static_selectorELNS0_4arch9wavefront6targetE1EEEvT1_
	.globl	_ZN7rocprim17ROCPRIM_400000_NS6detail17trampoline_kernelINS0_14default_configENS1_25partition_config_selectorILNS1_17partition_subalgoE1EsNS0_10empty_typeEbEEZZNS1_14partition_implILS5_1ELb0ES3_jN6thrust23THRUST_200600_302600_NS6detail15normal_iteratorINSA_10device_ptrIsEEEEPS6_NSA_18transform_iteratorINSA_8identityIsEESF_NSA_11use_defaultESK_EENS0_5tupleIJSF_SF_EEENSM_IJSG_SG_EEES6_PlJS6_EEE10hipError_tPvRmT3_T4_T5_T6_T7_T9_mT8_P12ihipStream_tbDpT10_ENKUlT_T0_E_clISt17integral_constantIbLb0EES19_EEDaS14_S15_EUlS14_E_NS1_11comp_targetILNS1_3genE2ELNS1_11target_archE906ELNS1_3gpuE6ELNS1_3repE0EEENS1_30default_config_static_selectorELNS0_4arch9wavefront6targetE1EEEvT1_
	.p2align	8
	.type	_ZN7rocprim17ROCPRIM_400000_NS6detail17trampoline_kernelINS0_14default_configENS1_25partition_config_selectorILNS1_17partition_subalgoE1EsNS0_10empty_typeEbEEZZNS1_14partition_implILS5_1ELb0ES3_jN6thrust23THRUST_200600_302600_NS6detail15normal_iteratorINSA_10device_ptrIsEEEEPS6_NSA_18transform_iteratorINSA_8identityIsEESF_NSA_11use_defaultESK_EENS0_5tupleIJSF_SF_EEENSM_IJSG_SG_EEES6_PlJS6_EEE10hipError_tPvRmT3_T4_T5_T6_T7_T9_mT8_P12ihipStream_tbDpT10_ENKUlT_T0_E_clISt17integral_constantIbLb0EES19_EEDaS14_S15_EUlS14_E_NS1_11comp_targetILNS1_3genE2ELNS1_11target_archE906ELNS1_3gpuE6ELNS1_3repE0EEENS1_30default_config_static_selectorELNS0_4arch9wavefront6targetE1EEEvT1_,@function
_ZN7rocprim17ROCPRIM_400000_NS6detail17trampoline_kernelINS0_14default_configENS1_25partition_config_selectorILNS1_17partition_subalgoE1EsNS0_10empty_typeEbEEZZNS1_14partition_implILS5_1ELb0ES3_jN6thrust23THRUST_200600_302600_NS6detail15normal_iteratorINSA_10device_ptrIsEEEEPS6_NSA_18transform_iteratorINSA_8identityIsEESF_NSA_11use_defaultESK_EENS0_5tupleIJSF_SF_EEENSM_IJSG_SG_EEES6_PlJS6_EEE10hipError_tPvRmT3_T4_T5_T6_T7_T9_mT8_P12ihipStream_tbDpT10_ENKUlT_T0_E_clISt17integral_constantIbLb0EES19_EEDaS14_S15_EUlS14_E_NS1_11comp_targetILNS1_3genE2ELNS1_11target_archE906ELNS1_3gpuE6ELNS1_3repE0EEENS1_30default_config_static_selectorELNS0_4arch9wavefront6targetE1EEEvT1_: ; @_ZN7rocprim17ROCPRIM_400000_NS6detail17trampoline_kernelINS0_14default_configENS1_25partition_config_selectorILNS1_17partition_subalgoE1EsNS0_10empty_typeEbEEZZNS1_14partition_implILS5_1ELb0ES3_jN6thrust23THRUST_200600_302600_NS6detail15normal_iteratorINSA_10device_ptrIsEEEEPS6_NSA_18transform_iteratorINSA_8identityIsEESF_NSA_11use_defaultESK_EENS0_5tupleIJSF_SF_EEENSM_IJSG_SG_EEES6_PlJS6_EEE10hipError_tPvRmT3_T4_T5_T6_T7_T9_mT8_P12ihipStream_tbDpT10_ENKUlT_T0_E_clISt17integral_constantIbLb0EES19_EEDaS14_S15_EUlS14_E_NS1_11comp_targetILNS1_3genE2ELNS1_11target_archE906ELNS1_3gpuE6ELNS1_3repE0EEENS1_30default_config_static_selectorELNS0_4arch9wavefront6targetE1EEEvT1_
; %bb.0:
	.section	.rodata,"a",@progbits
	.p2align	6, 0x0
	.amdhsa_kernel _ZN7rocprim17ROCPRIM_400000_NS6detail17trampoline_kernelINS0_14default_configENS1_25partition_config_selectorILNS1_17partition_subalgoE1EsNS0_10empty_typeEbEEZZNS1_14partition_implILS5_1ELb0ES3_jN6thrust23THRUST_200600_302600_NS6detail15normal_iteratorINSA_10device_ptrIsEEEEPS6_NSA_18transform_iteratorINSA_8identityIsEESF_NSA_11use_defaultESK_EENS0_5tupleIJSF_SF_EEENSM_IJSG_SG_EEES6_PlJS6_EEE10hipError_tPvRmT3_T4_T5_T6_T7_T9_mT8_P12ihipStream_tbDpT10_ENKUlT_T0_E_clISt17integral_constantIbLb0EES19_EEDaS14_S15_EUlS14_E_NS1_11comp_targetILNS1_3genE2ELNS1_11target_archE906ELNS1_3gpuE6ELNS1_3repE0EEENS1_30default_config_static_selectorELNS0_4arch9wavefront6targetE1EEEvT1_
		.amdhsa_group_segment_fixed_size 0
		.amdhsa_private_segment_fixed_size 0
		.amdhsa_kernarg_size 128
		.amdhsa_user_sgpr_count 6
		.amdhsa_user_sgpr_private_segment_buffer 1
		.amdhsa_user_sgpr_dispatch_ptr 0
		.amdhsa_user_sgpr_queue_ptr 0
		.amdhsa_user_sgpr_kernarg_segment_ptr 1
		.amdhsa_user_sgpr_dispatch_id 0
		.amdhsa_user_sgpr_flat_scratch_init 0
		.amdhsa_user_sgpr_kernarg_preload_length 0
		.amdhsa_user_sgpr_kernarg_preload_offset 0
		.amdhsa_user_sgpr_private_segment_size 0
		.amdhsa_uses_dynamic_stack 0
		.amdhsa_system_sgpr_private_segment_wavefront_offset 0
		.amdhsa_system_sgpr_workgroup_id_x 1
		.amdhsa_system_sgpr_workgroup_id_y 0
		.amdhsa_system_sgpr_workgroup_id_z 0
		.amdhsa_system_sgpr_workgroup_info 0
		.amdhsa_system_vgpr_workitem_id 0
		.amdhsa_next_free_vgpr 1
		.amdhsa_next_free_sgpr 0
		.amdhsa_accum_offset 4
		.amdhsa_reserve_vcc 0
		.amdhsa_reserve_flat_scratch 0
		.amdhsa_float_round_mode_32 0
		.amdhsa_float_round_mode_16_64 0
		.amdhsa_float_denorm_mode_32 3
		.amdhsa_float_denorm_mode_16_64 3
		.amdhsa_dx10_clamp 1
		.amdhsa_ieee_mode 1
		.amdhsa_fp16_overflow 0
		.amdhsa_tg_split 0
		.amdhsa_exception_fp_ieee_invalid_op 0
		.amdhsa_exception_fp_denorm_src 0
		.amdhsa_exception_fp_ieee_div_zero 0
		.amdhsa_exception_fp_ieee_overflow 0
		.amdhsa_exception_fp_ieee_underflow 0
		.amdhsa_exception_fp_ieee_inexact 0
		.amdhsa_exception_int_div_zero 0
	.end_amdhsa_kernel
	.section	.text._ZN7rocprim17ROCPRIM_400000_NS6detail17trampoline_kernelINS0_14default_configENS1_25partition_config_selectorILNS1_17partition_subalgoE1EsNS0_10empty_typeEbEEZZNS1_14partition_implILS5_1ELb0ES3_jN6thrust23THRUST_200600_302600_NS6detail15normal_iteratorINSA_10device_ptrIsEEEEPS6_NSA_18transform_iteratorINSA_8identityIsEESF_NSA_11use_defaultESK_EENS0_5tupleIJSF_SF_EEENSM_IJSG_SG_EEES6_PlJS6_EEE10hipError_tPvRmT3_T4_T5_T6_T7_T9_mT8_P12ihipStream_tbDpT10_ENKUlT_T0_E_clISt17integral_constantIbLb0EES19_EEDaS14_S15_EUlS14_E_NS1_11comp_targetILNS1_3genE2ELNS1_11target_archE906ELNS1_3gpuE6ELNS1_3repE0EEENS1_30default_config_static_selectorELNS0_4arch9wavefront6targetE1EEEvT1_,"axG",@progbits,_ZN7rocprim17ROCPRIM_400000_NS6detail17trampoline_kernelINS0_14default_configENS1_25partition_config_selectorILNS1_17partition_subalgoE1EsNS0_10empty_typeEbEEZZNS1_14partition_implILS5_1ELb0ES3_jN6thrust23THRUST_200600_302600_NS6detail15normal_iteratorINSA_10device_ptrIsEEEEPS6_NSA_18transform_iteratorINSA_8identityIsEESF_NSA_11use_defaultESK_EENS0_5tupleIJSF_SF_EEENSM_IJSG_SG_EEES6_PlJS6_EEE10hipError_tPvRmT3_T4_T5_T6_T7_T9_mT8_P12ihipStream_tbDpT10_ENKUlT_T0_E_clISt17integral_constantIbLb0EES19_EEDaS14_S15_EUlS14_E_NS1_11comp_targetILNS1_3genE2ELNS1_11target_archE906ELNS1_3gpuE6ELNS1_3repE0EEENS1_30default_config_static_selectorELNS0_4arch9wavefront6targetE1EEEvT1_,comdat
.Lfunc_end645:
	.size	_ZN7rocprim17ROCPRIM_400000_NS6detail17trampoline_kernelINS0_14default_configENS1_25partition_config_selectorILNS1_17partition_subalgoE1EsNS0_10empty_typeEbEEZZNS1_14partition_implILS5_1ELb0ES3_jN6thrust23THRUST_200600_302600_NS6detail15normal_iteratorINSA_10device_ptrIsEEEEPS6_NSA_18transform_iteratorINSA_8identityIsEESF_NSA_11use_defaultESK_EENS0_5tupleIJSF_SF_EEENSM_IJSG_SG_EEES6_PlJS6_EEE10hipError_tPvRmT3_T4_T5_T6_T7_T9_mT8_P12ihipStream_tbDpT10_ENKUlT_T0_E_clISt17integral_constantIbLb0EES19_EEDaS14_S15_EUlS14_E_NS1_11comp_targetILNS1_3genE2ELNS1_11target_archE906ELNS1_3gpuE6ELNS1_3repE0EEENS1_30default_config_static_selectorELNS0_4arch9wavefront6targetE1EEEvT1_, .Lfunc_end645-_ZN7rocprim17ROCPRIM_400000_NS6detail17trampoline_kernelINS0_14default_configENS1_25partition_config_selectorILNS1_17partition_subalgoE1EsNS0_10empty_typeEbEEZZNS1_14partition_implILS5_1ELb0ES3_jN6thrust23THRUST_200600_302600_NS6detail15normal_iteratorINSA_10device_ptrIsEEEEPS6_NSA_18transform_iteratorINSA_8identityIsEESF_NSA_11use_defaultESK_EENS0_5tupleIJSF_SF_EEENSM_IJSG_SG_EEES6_PlJS6_EEE10hipError_tPvRmT3_T4_T5_T6_T7_T9_mT8_P12ihipStream_tbDpT10_ENKUlT_T0_E_clISt17integral_constantIbLb0EES19_EEDaS14_S15_EUlS14_E_NS1_11comp_targetILNS1_3genE2ELNS1_11target_archE906ELNS1_3gpuE6ELNS1_3repE0EEENS1_30default_config_static_selectorELNS0_4arch9wavefront6targetE1EEEvT1_
                                        ; -- End function
	.section	.AMDGPU.csdata,"",@progbits
; Kernel info:
; codeLenInByte = 0
; NumSgprs: 4
; NumVgprs: 0
; NumAgprs: 0
; TotalNumVgprs: 0
; ScratchSize: 0
; MemoryBound: 0
; FloatMode: 240
; IeeeMode: 1
; LDSByteSize: 0 bytes/workgroup (compile time only)
; SGPRBlocks: 0
; VGPRBlocks: 0
; NumSGPRsForWavesPerEU: 4
; NumVGPRsForWavesPerEU: 1
; AccumOffset: 4
; Occupancy: 8
; WaveLimiterHint : 0
; COMPUTE_PGM_RSRC2:SCRATCH_EN: 0
; COMPUTE_PGM_RSRC2:USER_SGPR: 6
; COMPUTE_PGM_RSRC2:TRAP_HANDLER: 0
; COMPUTE_PGM_RSRC2:TGID_X_EN: 1
; COMPUTE_PGM_RSRC2:TGID_Y_EN: 0
; COMPUTE_PGM_RSRC2:TGID_Z_EN: 0
; COMPUTE_PGM_RSRC2:TIDIG_COMP_CNT: 0
; COMPUTE_PGM_RSRC3_GFX90A:ACCUM_OFFSET: 0
; COMPUTE_PGM_RSRC3_GFX90A:TG_SPLIT: 0
	.section	.text._ZN7rocprim17ROCPRIM_400000_NS6detail17trampoline_kernelINS0_14default_configENS1_25partition_config_selectorILNS1_17partition_subalgoE1EsNS0_10empty_typeEbEEZZNS1_14partition_implILS5_1ELb0ES3_jN6thrust23THRUST_200600_302600_NS6detail15normal_iteratorINSA_10device_ptrIsEEEEPS6_NSA_18transform_iteratorINSA_8identityIsEESF_NSA_11use_defaultESK_EENS0_5tupleIJSF_SF_EEENSM_IJSG_SG_EEES6_PlJS6_EEE10hipError_tPvRmT3_T4_T5_T6_T7_T9_mT8_P12ihipStream_tbDpT10_ENKUlT_T0_E_clISt17integral_constantIbLb0EES19_EEDaS14_S15_EUlS14_E_NS1_11comp_targetILNS1_3genE10ELNS1_11target_archE1200ELNS1_3gpuE4ELNS1_3repE0EEENS1_30default_config_static_selectorELNS0_4arch9wavefront6targetE1EEEvT1_,"axG",@progbits,_ZN7rocprim17ROCPRIM_400000_NS6detail17trampoline_kernelINS0_14default_configENS1_25partition_config_selectorILNS1_17partition_subalgoE1EsNS0_10empty_typeEbEEZZNS1_14partition_implILS5_1ELb0ES3_jN6thrust23THRUST_200600_302600_NS6detail15normal_iteratorINSA_10device_ptrIsEEEEPS6_NSA_18transform_iteratorINSA_8identityIsEESF_NSA_11use_defaultESK_EENS0_5tupleIJSF_SF_EEENSM_IJSG_SG_EEES6_PlJS6_EEE10hipError_tPvRmT3_T4_T5_T6_T7_T9_mT8_P12ihipStream_tbDpT10_ENKUlT_T0_E_clISt17integral_constantIbLb0EES19_EEDaS14_S15_EUlS14_E_NS1_11comp_targetILNS1_3genE10ELNS1_11target_archE1200ELNS1_3gpuE4ELNS1_3repE0EEENS1_30default_config_static_selectorELNS0_4arch9wavefront6targetE1EEEvT1_,comdat
	.protected	_ZN7rocprim17ROCPRIM_400000_NS6detail17trampoline_kernelINS0_14default_configENS1_25partition_config_selectorILNS1_17partition_subalgoE1EsNS0_10empty_typeEbEEZZNS1_14partition_implILS5_1ELb0ES3_jN6thrust23THRUST_200600_302600_NS6detail15normal_iteratorINSA_10device_ptrIsEEEEPS6_NSA_18transform_iteratorINSA_8identityIsEESF_NSA_11use_defaultESK_EENS0_5tupleIJSF_SF_EEENSM_IJSG_SG_EEES6_PlJS6_EEE10hipError_tPvRmT3_T4_T5_T6_T7_T9_mT8_P12ihipStream_tbDpT10_ENKUlT_T0_E_clISt17integral_constantIbLb0EES19_EEDaS14_S15_EUlS14_E_NS1_11comp_targetILNS1_3genE10ELNS1_11target_archE1200ELNS1_3gpuE4ELNS1_3repE0EEENS1_30default_config_static_selectorELNS0_4arch9wavefront6targetE1EEEvT1_ ; -- Begin function _ZN7rocprim17ROCPRIM_400000_NS6detail17trampoline_kernelINS0_14default_configENS1_25partition_config_selectorILNS1_17partition_subalgoE1EsNS0_10empty_typeEbEEZZNS1_14partition_implILS5_1ELb0ES3_jN6thrust23THRUST_200600_302600_NS6detail15normal_iteratorINSA_10device_ptrIsEEEEPS6_NSA_18transform_iteratorINSA_8identityIsEESF_NSA_11use_defaultESK_EENS0_5tupleIJSF_SF_EEENSM_IJSG_SG_EEES6_PlJS6_EEE10hipError_tPvRmT3_T4_T5_T6_T7_T9_mT8_P12ihipStream_tbDpT10_ENKUlT_T0_E_clISt17integral_constantIbLb0EES19_EEDaS14_S15_EUlS14_E_NS1_11comp_targetILNS1_3genE10ELNS1_11target_archE1200ELNS1_3gpuE4ELNS1_3repE0EEENS1_30default_config_static_selectorELNS0_4arch9wavefront6targetE1EEEvT1_
	.globl	_ZN7rocprim17ROCPRIM_400000_NS6detail17trampoline_kernelINS0_14default_configENS1_25partition_config_selectorILNS1_17partition_subalgoE1EsNS0_10empty_typeEbEEZZNS1_14partition_implILS5_1ELb0ES3_jN6thrust23THRUST_200600_302600_NS6detail15normal_iteratorINSA_10device_ptrIsEEEEPS6_NSA_18transform_iteratorINSA_8identityIsEESF_NSA_11use_defaultESK_EENS0_5tupleIJSF_SF_EEENSM_IJSG_SG_EEES6_PlJS6_EEE10hipError_tPvRmT3_T4_T5_T6_T7_T9_mT8_P12ihipStream_tbDpT10_ENKUlT_T0_E_clISt17integral_constantIbLb0EES19_EEDaS14_S15_EUlS14_E_NS1_11comp_targetILNS1_3genE10ELNS1_11target_archE1200ELNS1_3gpuE4ELNS1_3repE0EEENS1_30default_config_static_selectorELNS0_4arch9wavefront6targetE1EEEvT1_
	.p2align	8
	.type	_ZN7rocprim17ROCPRIM_400000_NS6detail17trampoline_kernelINS0_14default_configENS1_25partition_config_selectorILNS1_17partition_subalgoE1EsNS0_10empty_typeEbEEZZNS1_14partition_implILS5_1ELb0ES3_jN6thrust23THRUST_200600_302600_NS6detail15normal_iteratorINSA_10device_ptrIsEEEEPS6_NSA_18transform_iteratorINSA_8identityIsEESF_NSA_11use_defaultESK_EENS0_5tupleIJSF_SF_EEENSM_IJSG_SG_EEES6_PlJS6_EEE10hipError_tPvRmT3_T4_T5_T6_T7_T9_mT8_P12ihipStream_tbDpT10_ENKUlT_T0_E_clISt17integral_constantIbLb0EES19_EEDaS14_S15_EUlS14_E_NS1_11comp_targetILNS1_3genE10ELNS1_11target_archE1200ELNS1_3gpuE4ELNS1_3repE0EEENS1_30default_config_static_selectorELNS0_4arch9wavefront6targetE1EEEvT1_,@function
_ZN7rocprim17ROCPRIM_400000_NS6detail17trampoline_kernelINS0_14default_configENS1_25partition_config_selectorILNS1_17partition_subalgoE1EsNS0_10empty_typeEbEEZZNS1_14partition_implILS5_1ELb0ES3_jN6thrust23THRUST_200600_302600_NS6detail15normal_iteratorINSA_10device_ptrIsEEEEPS6_NSA_18transform_iteratorINSA_8identityIsEESF_NSA_11use_defaultESK_EENS0_5tupleIJSF_SF_EEENSM_IJSG_SG_EEES6_PlJS6_EEE10hipError_tPvRmT3_T4_T5_T6_T7_T9_mT8_P12ihipStream_tbDpT10_ENKUlT_T0_E_clISt17integral_constantIbLb0EES19_EEDaS14_S15_EUlS14_E_NS1_11comp_targetILNS1_3genE10ELNS1_11target_archE1200ELNS1_3gpuE4ELNS1_3repE0EEENS1_30default_config_static_selectorELNS0_4arch9wavefront6targetE1EEEvT1_: ; @_ZN7rocprim17ROCPRIM_400000_NS6detail17trampoline_kernelINS0_14default_configENS1_25partition_config_selectorILNS1_17partition_subalgoE1EsNS0_10empty_typeEbEEZZNS1_14partition_implILS5_1ELb0ES3_jN6thrust23THRUST_200600_302600_NS6detail15normal_iteratorINSA_10device_ptrIsEEEEPS6_NSA_18transform_iteratorINSA_8identityIsEESF_NSA_11use_defaultESK_EENS0_5tupleIJSF_SF_EEENSM_IJSG_SG_EEES6_PlJS6_EEE10hipError_tPvRmT3_T4_T5_T6_T7_T9_mT8_P12ihipStream_tbDpT10_ENKUlT_T0_E_clISt17integral_constantIbLb0EES19_EEDaS14_S15_EUlS14_E_NS1_11comp_targetILNS1_3genE10ELNS1_11target_archE1200ELNS1_3gpuE4ELNS1_3repE0EEENS1_30default_config_static_selectorELNS0_4arch9wavefront6targetE1EEEvT1_
; %bb.0:
	.section	.rodata,"a",@progbits
	.p2align	6, 0x0
	.amdhsa_kernel _ZN7rocprim17ROCPRIM_400000_NS6detail17trampoline_kernelINS0_14default_configENS1_25partition_config_selectorILNS1_17partition_subalgoE1EsNS0_10empty_typeEbEEZZNS1_14partition_implILS5_1ELb0ES3_jN6thrust23THRUST_200600_302600_NS6detail15normal_iteratorINSA_10device_ptrIsEEEEPS6_NSA_18transform_iteratorINSA_8identityIsEESF_NSA_11use_defaultESK_EENS0_5tupleIJSF_SF_EEENSM_IJSG_SG_EEES6_PlJS6_EEE10hipError_tPvRmT3_T4_T5_T6_T7_T9_mT8_P12ihipStream_tbDpT10_ENKUlT_T0_E_clISt17integral_constantIbLb0EES19_EEDaS14_S15_EUlS14_E_NS1_11comp_targetILNS1_3genE10ELNS1_11target_archE1200ELNS1_3gpuE4ELNS1_3repE0EEENS1_30default_config_static_selectorELNS0_4arch9wavefront6targetE1EEEvT1_
		.amdhsa_group_segment_fixed_size 0
		.amdhsa_private_segment_fixed_size 0
		.amdhsa_kernarg_size 128
		.amdhsa_user_sgpr_count 6
		.amdhsa_user_sgpr_private_segment_buffer 1
		.amdhsa_user_sgpr_dispatch_ptr 0
		.amdhsa_user_sgpr_queue_ptr 0
		.amdhsa_user_sgpr_kernarg_segment_ptr 1
		.amdhsa_user_sgpr_dispatch_id 0
		.amdhsa_user_sgpr_flat_scratch_init 0
		.amdhsa_user_sgpr_kernarg_preload_length 0
		.amdhsa_user_sgpr_kernarg_preload_offset 0
		.amdhsa_user_sgpr_private_segment_size 0
		.amdhsa_uses_dynamic_stack 0
		.amdhsa_system_sgpr_private_segment_wavefront_offset 0
		.amdhsa_system_sgpr_workgroup_id_x 1
		.amdhsa_system_sgpr_workgroup_id_y 0
		.amdhsa_system_sgpr_workgroup_id_z 0
		.amdhsa_system_sgpr_workgroup_info 0
		.amdhsa_system_vgpr_workitem_id 0
		.amdhsa_next_free_vgpr 1
		.amdhsa_next_free_sgpr 0
		.amdhsa_accum_offset 4
		.amdhsa_reserve_vcc 0
		.amdhsa_reserve_flat_scratch 0
		.amdhsa_float_round_mode_32 0
		.amdhsa_float_round_mode_16_64 0
		.amdhsa_float_denorm_mode_32 3
		.amdhsa_float_denorm_mode_16_64 3
		.amdhsa_dx10_clamp 1
		.amdhsa_ieee_mode 1
		.amdhsa_fp16_overflow 0
		.amdhsa_tg_split 0
		.amdhsa_exception_fp_ieee_invalid_op 0
		.amdhsa_exception_fp_denorm_src 0
		.amdhsa_exception_fp_ieee_div_zero 0
		.amdhsa_exception_fp_ieee_overflow 0
		.amdhsa_exception_fp_ieee_underflow 0
		.amdhsa_exception_fp_ieee_inexact 0
		.amdhsa_exception_int_div_zero 0
	.end_amdhsa_kernel
	.section	.text._ZN7rocprim17ROCPRIM_400000_NS6detail17trampoline_kernelINS0_14default_configENS1_25partition_config_selectorILNS1_17partition_subalgoE1EsNS0_10empty_typeEbEEZZNS1_14partition_implILS5_1ELb0ES3_jN6thrust23THRUST_200600_302600_NS6detail15normal_iteratorINSA_10device_ptrIsEEEEPS6_NSA_18transform_iteratorINSA_8identityIsEESF_NSA_11use_defaultESK_EENS0_5tupleIJSF_SF_EEENSM_IJSG_SG_EEES6_PlJS6_EEE10hipError_tPvRmT3_T4_T5_T6_T7_T9_mT8_P12ihipStream_tbDpT10_ENKUlT_T0_E_clISt17integral_constantIbLb0EES19_EEDaS14_S15_EUlS14_E_NS1_11comp_targetILNS1_3genE10ELNS1_11target_archE1200ELNS1_3gpuE4ELNS1_3repE0EEENS1_30default_config_static_selectorELNS0_4arch9wavefront6targetE1EEEvT1_,"axG",@progbits,_ZN7rocprim17ROCPRIM_400000_NS6detail17trampoline_kernelINS0_14default_configENS1_25partition_config_selectorILNS1_17partition_subalgoE1EsNS0_10empty_typeEbEEZZNS1_14partition_implILS5_1ELb0ES3_jN6thrust23THRUST_200600_302600_NS6detail15normal_iteratorINSA_10device_ptrIsEEEEPS6_NSA_18transform_iteratorINSA_8identityIsEESF_NSA_11use_defaultESK_EENS0_5tupleIJSF_SF_EEENSM_IJSG_SG_EEES6_PlJS6_EEE10hipError_tPvRmT3_T4_T5_T6_T7_T9_mT8_P12ihipStream_tbDpT10_ENKUlT_T0_E_clISt17integral_constantIbLb0EES19_EEDaS14_S15_EUlS14_E_NS1_11comp_targetILNS1_3genE10ELNS1_11target_archE1200ELNS1_3gpuE4ELNS1_3repE0EEENS1_30default_config_static_selectorELNS0_4arch9wavefront6targetE1EEEvT1_,comdat
.Lfunc_end646:
	.size	_ZN7rocprim17ROCPRIM_400000_NS6detail17trampoline_kernelINS0_14default_configENS1_25partition_config_selectorILNS1_17partition_subalgoE1EsNS0_10empty_typeEbEEZZNS1_14partition_implILS5_1ELb0ES3_jN6thrust23THRUST_200600_302600_NS6detail15normal_iteratorINSA_10device_ptrIsEEEEPS6_NSA_18transform_iteratorINSA_8identityIsEESF_NSA_11use_defaultESK_EENS0_5tupleIJSF_SF_EEENSM_IJSG_SG_EEES6_PlJS6_EEE10hipError_tPvRmT3_T4_T5_T6_T7_T9_mT8_P12ihipStream_tbDpT10_ENKUlT_T0_E_clISt17integral_constantIbLb0EES19_EEDaS14_S15_EUlS14_E_NS1_11comp_targetILNS1_3genE10ELNS1_11target_archE1200ELNS1_3gpuE4ELNS1_3repE0EEENS1_30default_config_static_selectorELNS0_4arch9wavefront6targetE1EEEvT1_, .Lfunc_end646-_ZN7rocprim17ROCPRIM_400000_NS6detail17trampoline_kernelINS0_14default_configENS1_25partition_config_selectorILNS1_17partition_subalgoE1EsNS0_10empty_typeEbEEZZNS1_14partition_implILS5_1ELb0ES3_jN6thrust23THRUST_200600_302600_NS6detail15normal_iteratorINSA_10device_ptrIsEEEEPS6_NSA_18transform_iteratorINSA_8identityIsEESF_NSA_11use_defaultESK_EENS0_5tupleIJSF_SF_EEENSM_IJSG_SG_EEES6_PlJS6_EEE10hipError_tPvRmT3_T4_T5_T6_T7_T9_mT8_P12ihipStream_tbDpT10_ENKUlT_T0_E_clISt17integral_constantIbLb0EES19_EEDaS14_S15_EUlS14_E_NS1_11comp_targetILNS1_3genE10ELNS1_11target_archE1200ELNS1_3gpuE4ELNS1_3repE0EEENS1_30default_config_static_selectorELNS0_4arch9wavefront6targetE1EEEvT1_
                                        ; -- End function
	.section	.AMDGPU.csdata,"",@progbits
; Kernel info:
; codeLenInByte = 0
; NumSgprs: 4
; NumVgprs: 0
; NumAgprs: 0
; TotalNumVgprs: 0
; ScratchSize: 0
; MemoryBound: 0
; FloatMode: 240
; IeeeMode: 1
; LDSByteSize: 0 bytes/workgroup (compile time only)
; SGPRBlocks: 0
; VGPRBlocks: 0
; NumSGPRsForWavesPerEU: 4
; NumVGPRsForWavesPerEU: 1
; AccumOffset: 4
; Occupancy: 8
; WaveLimiterHint : 0
; COMPUTE_PGM_RSRC2:SCRATCH_EN: 0
; COMPUTE_PGM_RSRC2:USER_SGPR: 6
; COMPUTE_PGM_RSRC2:TRAP_HANDLER: 0
; COMPUTE_PGM_RSRC2:TGID_X_EN: 1
; COMPUTE_PGM_RSRC2:TGID_Y_EN: 0
; COMPUTE_PGM_RSRC2:TGID_Z_EN: 0
; COMPUTE_PGM_RSRC2:TIDIG_COMP_CNT: 0
; COMPUTE_PGM_RSRC3_GFX90A:ACCUM_OFFSET: 0
; COMPUTE_PGM_RSRC3_GFX90A:TG_SPLIT: 0
	.section	.text._ZN7rocprim17ROCPRIM_400000_NS6detail17trampoline_kernelINS0_14default_configENS1_25partition_config_selectorILNS1_17partition_subalgoE1EsNS0_10empty_typeEbEEZZNS1_14partition_implILS5_1ELb0ES3_jN6thrust23THRUST_200600_302600_NS6detail15normal_iteratorINSA_10device_ptrIsEEEEPS6_NSA_18transform_iteratorINSA_8identityIsEESF_NSA_11use_defaultESK_EENS0_5tupleIJSF_SF_EEENSM_IJSG_SG_EEES6_PlJS6_EEE10hipError_tPvRmT3_T4_T5_T6_T7_T9_mT8_P12ihipStream_tbDpT10_ENKUlT_T0_E_clISt17integral_constantIbLb0EES19_EEDaS14_S15_EUlS14_E_NS1_11comp_targetILNS1_3genE9ELNS1_11target_archE1100ELNS1_3gpuE3ELNS1_3repE0EEENS1_30default_config_static_selectorELNS0_4arch9wavefront6targetE1EEEvT1_,"axG",@progbits,_ZN7rocprim17ROCPRIM_400000_NS6detail17trampoline_kernelINS0_14default_configENS1_25partition_config_selectorILNS1_17partition_subalgoE1EsNS0_10empty_typeEbEEZZNS1_14partition_implILS5_1ELb0ES3_jN6thrust23THRUST_200600_302600_NS6detail15normal_iteratorINSA_10device_ptrIsEEEEPS6_NSA_18transform_iteratorINSA_8identityIsEESF_NSA_11use_defaultESK_EENS0_5tupleIJSF_SF_EEENSM_IJSG_SG_EEES6_PlJS6_EEE10hipError_tPvRmT3_T4_T5_T6_T7_T9_mT8_P12ihipStream_tbDpT10_ENKUlT_T0_E_clISt17integral_constantIbLb0EES19_EEDaS14_S15_EUlS14_E_NS1_11comp_targetILNS1_3genE9ELNS1_11target_archE1100ELNS1_3gpuE3ELNS1_3repE0EEENS1_30default_config_static_selectorELNS0_4arch9wavefront6targetE1EEEvT1_,comdat
	.protected	_ZN7rocprim17ROCPRIM_400000_NS6detail17trampoline_kernelINS0_14default_configENS1_25partition_config_selectorILNS1_17partition_subalgoE1EsNS0_10empty_typeEbEEZZNS1_14partition_implILS5_1ELb0ES3_jN6thrust23THRUST_200600_302600_NS6detail15normal_iteratorINSA_10device_ptrIsEEEEPS6_NSA_18transform_iteratorINSA_8identityIsEESF_NSA_11use_defaultESK_EENS0_5tupleIJSF_SF_EEENSM_IJSG_SG_EEES6_PlJS6_EEE10hipError_tPvRmT3_T4_T5_T6_T7_T9_mT8_P12ihipStream_tbDpT10_ENKUlT_T0_E_clISt17integral_constantIbLb0EES19_EEDaS14_S15_EUlS14_E_NS1_11comp_targetILNS1_3genE9ELNS1_11target_archE1100ELNS1_3gpuE3ELNS1_3repE0EEENS1_30default_config_static_selectorELNS0_4arch9wavefront6targetE1EEEvT1_ ; -- Begin function _ZN7rocprim17ROCPRIM_400000_NS6detail17trampoline_kernelINS0_14default_configENS1_25partition_config_selectorILNS1_17partition_subalgoE1EsNS0_10empty_typeEbEEZZNS1_14partition_implILS5_1ELb0ES3_jN6thrust23THRUST_200600_302600_NS6detail15normal_iteratorINSA_10device_ptrIsEEEEPS6_NSA_18transform_iteratorINSA_8identityIsEESF_NSA_11use_defaultESK_EENS0_5tupleIJSF_SF_EEENSM_IJSG_SG_EEES6_PlJS6_EEE10hipError_tPvRmT3_T4_T5_T6_T7_T9_mT8_P12ihipStream_tbDpT10_ENKUlT_T0_E_clISt17integral_constantIbLb0EES19_EEDaS14_S15_EUlS14_E_NS1_11comp_targetILNS1_3genE9ELNS1_11target_archE1100ELNS1_3gpuE3ELNS1_3repE0EEENS1_30default_config_static_selectorELNS0_4arch9wavefront6targetE1EEEvT1_
	.globl	_ZN7rocprim17ROCPRIM_400000_NS6detail17trampoline_kernelINS0_14default_configENS1_25partition_config_selectorILNS1_17partition_subalgoE1EsNS0_10empty_typeEbEEZZNS1_14partition_implILS5_1ELb0ES3_jN6thrust23THRUST_200600_302600_NS6detail15normal_iteratorINSA_10device_ptrIsEEEEPS6_NSA_18transform_iteratorINSA_8identityIsEESF_NSA_11use_defaultESK_EENS0_5tupleIJSF_SF_EEENSM_IJSG_SG_EEES6_PlJS6_EEE10hipError_tPvRmT3_T4_T5_T6_T7_T9_mT8_P12ihipStream_tbDpT10_ENKUlT_T0_E_clISt17integral_constantIbLb0EES19_EEDaS14_S15_EUlS14_E_NS1_11comp_targetILNS1_3genE9ELNS1_11target_archE1100ELNS1_3gpuE3ELNS1_3repE0EEENS1_30default_config_static_selectorELNS0_4arch9wavefront6targetE1EEEvT1_
	.p2align	8
	.type	_ZN7rocprim17ROCPRIM_400000_NS6detail17trampoline_kernelINS0_14default_configENS1_25partition_config_selectorILNS1_17partition_subalgoE1EsNS0_10empty_typeEbEEZZNS1_14partition_implILS5_1ELb0ES3_jN6thrust23THRUST_200600_302600_NS6detail15normal_iteratorINSA_10device_ptrIsEEEEPS6_NSA_18transform_iteratorINSA_8identityIsEESF_NSA_11use_defaultESK_EENS0_5tupleIJSF_SF_EEENSM_IJSG_SG_EEES6_PlJS6_EEE10hipError_tPvRmT3_T4_T5_T6_T7_T9_mT8_P12ihipStream_tbDpT10_ENKUlT_T0_E_clISt17integral_constantIbLb0EES19_EEDaS14_S15_EUlS14_E_NS1_11comp_targetILNS1_3genE9ELNS1_11target_archE1100ELNS1_3gpuE3ELNS1_3repE0EEENS1_30default_config_static_selectorELNS0_4arch9wavefront6targetE1EEEvT1_,@function
_ZN7rocprim17ROCPRIM_400000_NS6detail17trampoline_kernelINS0_14default_configENS1_25partition_config_selectorILNS1_17partition_subalgoE1EsNS0_10empty_typeEbEEZZNS1_14partition_implILS5_1ELb0ES3_jN6thrust23THRUST_200600_302600_NS6detail15normal_iteratorINSA_10device_ptrIsEEEEPS6_NSA_18transform_iteratorINSA_8identityIsEESF_NSA_11use_defaultESK_EENS0_5tupleIJSF_SF_EEENSM_IJSG_SG_EEES6_PlJS6_EEE10hipError_tPvRmT3_T4_T5_T6_T7_T9_mT8_P12ihipStream_tbDpT10_ENKUlT_T0_E_clISt17integral_constantIbLb0EES19_EEDaS14_S15_EUlS14_E_NS1_11comp_targetILNS1_3genE9ELNS1_11target_archE1100ELNS1_3gpuE3ELNS1_3repE0EEENS1_30default_config_static_selectorELNS0_4arch9wavefront6targetE1EEEvT1_: ; @_ZN7rocprim17ROCPRIM_400000_NS6detail17trampoline_kernelINS0_14default_configENS1_25partition_config_selectorILNS1_17partition_subalgoE1EsNS0_10empty_typeEbEEZZNS1_14partition_implILS5_1ELb0ES3_jN6thrust23THRUST_200600_302600_NS6detail15normal_iteratorINSA_10device_ptrIsEEEEPS6_NSA_18transform_iteratorINSA_8identityIsEESF_NSA_11use_defaultESK_EENS0_5tupleIJSF_SF_EEENSM_IJSG_SG_EEES6_PlJS6_EEE10hipError_tPvRmT3_T4_T5_T6_T7_T9_mT8_P12ihipStream_tbDpT10_ENKUlT_T0_E_clISt17integral_constantIbLb0EES19_EEDaS14_S15_EUlS14_E_NS1_11comp_targetILNS1_3genE9ELNS1_11target_archE1100ELNS1_3gpuE3ELNS1_3repE0EEENS1_30default_config_static_selectorELNS0_4arch9wavefront6targetE1EEEvT1_
; %bb.0:
	.section	.rodata,"a",@progbits
	.p2align	6, 0x0
	.amdhsa_kernel _ZN7rocprim17ROCPRIM_400000_NS6detail17trampoline_kernelINS0_14default_configENS1_25partition_config_selectorILNS1_17partition_subalgoE1EsNS0_10empty_typeEbEEZZNS1_14partition_implILS5_1ELb0ES3_jN6thrust23THRUST_200600_302600_NS6detail15normal_iteratorINSA_10device_ptrIsEEEEPS6_NSA_18transform_iteratorINSA_8identityIsEESF_NSA_11use_defaultESK_EENS0_5tupleIJSF_SF_EEENSM_IJSG_SG_EEES6_PlJS6_EEE10hipError_tPvRmT3_T4_T5_T6_T7_T9_mT8_P12ihipStream_tbDpT10_ENKUlT_T0_E_clISt17integral_constantIbLb0EES19_EEDaS14_S15_EUlS14_E_NS1_11comp_targetILNS1_3genE9ELNS1_11target_archE1100ELNS1_3gpuE3ELNS1_3repE0EEENS1_30default_config_static_selectorELNS0_4arch9wavefront6targetE1EEEvT1_
		.amdhsa_group_segment_fixed_size 0
		.amdhsa_private_segment_fixed_size 0
		.amdhsa_kernarg_size 128
		.amdhsa_user_sgpr_count 6
		.amdhsa_user_sgpr_private_segment_buffer 1
		.amdhsa_user_sgpr_dispatch_ptr 0
		.amdhsa_user_sgpr_queue_ptr 0
		.amdhsa_user_sgpr_kernarg_segment_ptr 1
		.amdhsa_user_sgpr_dispatch_id 0
		.amdhsa_user_sgpr_flat_scratch_init 0
		.amdhsa_user_sgpr_kernarg_preload_length 0
		.amdhsa_user_sgpr_kernarg_preload_offset 0
		.amdhsa_user_sgpr_private_segment_size 0
		.amdhsa_uses_dynamic_stack 0
		.amdhsa_system_sgpr_private_segment_wavefront_offset 0
		.amdhsa_system_sgpr_workgroup_id_x 1
		.amdhsa_system_sgpr_workgroup_id_y 0
		.amdhsa_system_sgpr_workgroup_id_z 0
		.amdhsa_system_sgpr_workgroup_info 0
		.amdhsa_system_vgpr_workitem_id 0
		.amdhsa_next_free_vgpr 1
		.amdhsa_next_free_sgpr 0
		.amdhsa_accum_offset 4
		.amdhsa_reserve_vcc 0
		.amdhsa_reserve_flat_scratch 0
		.amdhsa_float_round_mode_32 0
		.amdhsa_float_round_mode_16_64 0
		.amdhsa_float_denorm_mode_32 3
		.amdhsa_float_denorm_mode_16_64 3
		.amdhsa_dx10_clamp 1
		.amdhsa_ieee_mode 1
		.amdhsa_fp16_overflow 0
		.amdhsa_tg_split 0
		.amdhsa_exception_fp_ieee_invalid_op 0
		.amdhsa_exception_fp_denorm_src 0
		.amdhsa_exception_fp_ieee_div_zero 0
		.amdhsa_exception_fp_ieee_overflow 0
		.amdhsa_exception_fp_ieee_underflow 0
		.amdhsa_exception_fp_ieee_inexact 0
		.amdhsa_exception_int_div_zero 0
	.end_amdhsa_kernel
	.section	.text._ZN7rocprim17ROCPRIM_400000_NS6detail17trampoline_kernelINS0_14default_configENS1_25partition_config_selectorILNS1_17partition_subalgoE1EsNS0_10empty_typeEbEEZZNS1_14partition_implILS5_1ELb0ES3_jN6thrust23THRUST_200600_302600_NS6detail15normal_iteratorINSA_10device_ptrIsEEEEPS6_NSA_18transform_iteratorINSA_8identityIsEESF_NSA_11use_defaultESK_EENS0_5tupleIJSF_SF_EEENSM_IJSG_SG_EEES6_PlJS6_EEE10hipError_tPvRmT3_T4_T5_T6_T7_T9_mT8_P12ihipStream_tbDpT10_ENKUlT_T0_E_clISt17integral_constantIbLb0EES19_EEDaS14_S15_EUlS14_E_NS1_11comp_targetILNS1_3genE9ELNS1_11target_archE1100ELNS1_3gpuE3ELNS1_3repE0EEENS1_30default_config_static_selectorELNS0_4arch9wavefront6targetE1EEEvT1_,"axG",@progbits,_ZN7rocprim17ROCPRIM_400000_NS6detail17trampoline_kernelINS0_14default_configENS1_25partition_config_selectorILNS1_17partition_subalgoE1EsNS0_10empty_typeEbEEZZNS1_14partition_implILS5_1ELb0ES3_jN6thrust23THRUST_200600_302600_NS6detail15normal_iteratorINSA_10device_ptrIsEEEEPS6_NSA_18transform_iteratorINSA_8identityIsEESF_NSA_11use_defaultESK_EENS0_5tupleIJSF_SF_EEENSM_IJSG_SG_EEES6_PlJS6_EEE10hipError_tPvRmT3_T4_T5_T6_T7_T9_mT8_P12ihipStream_tbDpT10_ENKUlT_T0_E_clISt17integral_constantIbLb0EES19_EEDaS14_S15_EUlS14_E_NS1_11comp_targetILNS1_3genE9ELNS1_11target_archE1100ELNS1_3gpuE3ELNS1_3repE0EEENS1_30default_config_static_selectorELNS0_4arch9wavefront6targetE1EEEvT1_,comdat
.Lfunc_end647:
	.size	_ZN7rocprim17ROCPRIM_400000_NS6detail17trampoline_kernelINS0_14default_configENS1_25partition_config_selectorILNS1_17partition_subalgoE1EsNS0_10empty_typeEbEEZZNS1_14partition_implILS5_1ELb0ES3_jN6thrust23THRUST_200600_302600_NS6detail15normal_iteratorINSA_10device_ptrIsEEEEPS6_NSA_18transform_iteratorINSA_8identityIsEESF_NSA_11use_defaultESK_EENS0_5tupleIJSF_SF_EEENSM_IJSG_SG_EEES6_PlJS6_EEE10hipError_tPvRmT3_T4_T5_T6_T7_T9_mT8_P12ihipStream_tbDpT10_ENKUlT_T0_E_clISt17integral_constantIbLb0EES19_EEDaS14_S15_EUlS14_E_NS1_11comp_targetILNS1_3genE9ELNS1_11target_archE1100ELNS1_3gpuE3ELNS1_3repE0EEENS1_30default_config_static_selectorELNS0_4arch9wavefront6targetE1EEEvT1_, .Lfunc_end647-_ZN7rocprim17ROCPRIM_400000_NS6detail17trampoline_kernelINS0_14default_configENS1_25partition_config_selectorILNS1_17partition_subalgoE1EsNS0_10empty_typeEbEEZZNS1_14partition_implILS5_1ELb0ES3_jN6thrust23THRUST_200600_302600_NS6detail15normal_iteratorINSA_10device_ptrIsEEEEPS6_NSA_18transform_iteratorINSA_8identityIsEESF_NSA_11use_defaultESK_EENS0_5tupleIJSF_SF_EEENSM_IJSG_SG_EEES6_PlJS6_EEE10hipError_tPvRmT3_T4_T5_T6_T7_T9_mT8_P12ihipStream_tbDpT10_ENKUlT_T0_E_clISt17integral_constantIbLb0EES19_EEDaS14_S15_EUlS14_E_NS1_11comp_targetILNS1_3genE9ELNS1_11target_archE1100ELNS1_3gpuE3ELNS1_3repE0EEENS1_30default_config_static_selectorELNS0_4arch9wavefront6targetE1EEEvT1_
                                        ; -- End function
	.section	.AMDGPU.csdata,"",@progbits
; Kernel info:
; codeLenInByte = 0
; NumSgprs: 4
; NumVgprs: 0
; NumAgprs: 0
; TotalNumVgprs: 0
; ScratchSize: 0
; MemoryBound: 0
; FloatMode: 240
; IeeeMode: 1
; LDSByteSize: 0 bytes/workgroup (compile time only)
; SGPRBlocks: 0
; VGPRBlocks: 0
; NumSGPRsForWavesPerEU: 4
; NumVGPRsForWavesPerEU: 1
; AccumOffset: 4
; Occupancy: 8
; WaveLimiterHint : 0
; COMPUTE_PGM_RSRC2:SCRATCH_EN: 0
; COMPUTE_PGM_RSRC2:USER_SGPR: 6
; COMPUTE_PGM_RSRC2:TRAP_HANDLER: 0
; COMPUTE_PGM_RSRC2:TGID_X_EN: 1
; COMPUTE_PGM_RSRC2:TGID_Y_EN: 0
; COMPUTE_PGM_RSRC2:TGID_Z_EN: 0
; COMPUTE_PGM_RSRC2:TIDIG_COMP_CNT: 0
; COMPUTE_PGM_RSRC3_GFX90A:ACCUM_OFFSET: 0
; COMPUTE_PGM_RSRC3_GFX90A:TG_SPLIT: 0
	.section	.text._ZN7rocprim17ROCPRIM_400000_NS6detail17trampoline_kernelINS0_14default_configENS1_25partition_config_selectorILNS1_17partition_subalgoE1EsNS0_10empty_typeEbEEZZNS1_14partition_implILS5_1ELb0ES3_jN6thrust23THRUST_200600_302600_NS6detail15normal_iteratorINSA_10device_ptrIsEEEEPS6_NSA_18transform_iteratorINSA_8identityIsEESF_NSA_11use_defaultESK_EENS0_5tupleIJSF_SF_EEENSM_IJSG_SG_EEES6_PlJS6_EEE10hipError_tPvRmT3_T4_T5_T6_T7_T9_mT8_P12ihipStream_tbDpT10_ENKUlT_T0_E_clISt17integral_constantIbLb0EES19_EEDaS14_S15_EUlS14_E_NS1_11comp_targetILNS1_3genE8ELNS1_11target_archE1030ELNS1_3gpuE2ELNS1_3repE0EEENS1_30default_config_static_selectorELNS0_4arch9wavefront6targetE1EEEvT1_,"axG",@progbits,_ZN7rocprim17ROCPRIM_400000_NS6detail17trampoline_kernelINS0_14default_configENS1_25partition_config_selectorILNS1_17partition_subalgoE1EsNS0_10empty_typeEbEEZZNS1_14partition_implILS5_1ELb0ES3_jN6thrust23THRUST_200600_302600_NS6detail15normal_iteratorINSA_10device_ptrIsEEEEPS6_NSA_18transform_iteratorINSA_8identityIsEESF_NSA_11use_defaultESK_EENS0_5tupleIJSF_SF_EEENSM_IJSG_SG_EEES6_PlJS6_EEE10hipError_tPvRmT3_T4_T5_T6_T7_T9_mT8_P12ihipStream_tbDpT10_ENKUlT_T0_E_clISt17integral_constantIbLb0EES19_EEDaS14_S15_EUlS14_E_NS1_11comp_targetILNS1_3genE8ELNS1_11target_archE1030ELNS1_3gpuE2ELNS1_3repE0EEENS1_30default_config_static_selectorELNS0_4arch9wavefront6targetE1EEEvT1_,comdat
	.protected	_ZN7rocprim17ROCPRIM_400000_NS6detail17trampoline_kernelINS0_14default_configENS1_25partition_config_selectorILNS1_17partition_subalgoE1EsNS0_10empty_typeEbEEZZNS1_14partition_implILS5_1ELb0ES3_jN6thrust23THRUST_200600_302600_NS6detail15normal_iteratorINSA_10device_ptrIsEEEEPS6_NSA_18transform_iteratorINSA_8identityIsEESF_NSA_11use_defaultESK_EENS0_5tupleIJSF_SF_EEENSM_IJSG_SG_EEES6_PlJS6_EEE10hipError_tPvRmT3_T4_T5_T6_T7_T9_mT8_P12ihipStream_tbDpT10_ENKUlT_T0_E_clISt17integral_constantIbLb0EES19_EEDaS14_S15_EUlS14_E_NS1_11comp_targetILNS1_3genE8ELNS1_11target_archE1030ELNS1_3gpuE2ELNS1_3repE0EEENS1_30default_config_static_selectorELNS0_4arch9wavefront6targetE1EEEvT1_ ; -- Begin function _ZN7rocprim17ROCPRIM_400000_NS6detail17trampoline_kernelINS0_14default_configENS1_25partition_config_selectorILNS1_17partition_subalgoE1EsNS0_10empty_typeEbEEZZNS1_14partition_implILS5_1ELb0ES3_jN6thrust23THRUST_200600_302600_NS6detail15normal_iteratorINSA_10device_ptrIsEEEEPS6_NSA_18transform_iteratorINSA_8identityIsEESF_NSA_11use_defaultESK_EENS0_5tupleIJSF_SF_EEENSM_IJSG_SG_EEES6_PlJS6_EEE10hipError_tPvRmT3_T4_T5_T6_T7_T9_mT8_P12ihipStream_tbDpT10_ENKUlT_T0_E_clISt17integral_constantIbLb0EES19_EEDaS14_S15_EUlS14_E_NS1_11comp_targetILNS1_3genE8ELNS1_11target_archE1030ELNS1_3gpuE2ELNS1_3repE0EEENS1_30default_config_static_selectorELNS0_4arch9wavefront6targetE1EEEvT1_
	.globl	_ZN7rocprim17ROCPRIM_400000_NS6detail17trampoline_kernelINS0_14default_configENS1_25partition_config_selectorILNS1_17partition_subalgoE1EsNS0_10empty_typeEbEEZZNS1_14partition_implILS5_1ELb0ES3_jN6thrust23THRUST_200600_302600_NS6detail15normal_iteratorINSA_10device_ptrIsEEEEPS6_NSA_18transform_iteratorINSA_8identityIsEESF_NSA_11use_defaultESK_EENS0_5tupleIJSF_SF_EEENSM_IJSG_SG_EEES6_PlJS6_EEE10hipError_tPvRmT3_T4_T5_T6_T7_T9_mT8_P12ihipStream_tbDpT10_ENKUlT_T0_E_clISt17integral_constantIbLb0EES19_EEDaS14_S15_EUlS14_E_NS1_11comp_targetILNS1_3genE8ELNS1_11target_archE1030ELNS1_3gpuE2ELNS1_3repE0EEENS1_30default_config_static_selectorELNS0_4arch9wavefront6targetE1EEEvT1_
	.p2align	8
	.type	_ZN7rocprim17ROCPRIM_400000_NS6detail17trampoline_kernelINS0_14default_configENS1_25partition_config_selectorILNS1_17partition_subalgoE1EsNS0_10empty_typeEbEEZZNS1_14partition_implILS5_1ELb0ES3_jN6thrust23THRUST_200600_302600_NS6detail15normal_iteratorINSA_10device_ptrIsEEEEPS6_NSA_18transform_iteratorINSA_8identityIsEESF_NSA_11use_defaultESK_EENS0_5tupleIJSF_SF_EEENSM_IJSG_SG_EEES6_PlJS6_EEE10hipError_tPvRmT3_T4_T5_T6_T7_T9_mT8_P12ihipStream_tbDpT10_ENKUlT_T0_E_clISt17integral_constantIbLb0EES19_EEDaS14_S15_EUlS14_E_NS1_11comp_targetILNS1_3genE8ELNS1_11target_archE1030ELNS1_3gpuE2ELNS1_3repE0EEENS1_30default_config_static_selectorELNS0_4arch9wavefront6targetE1EEEvT1_,@function
_ZN7rocprim17ROCPRIM_400000_NS6detail17trampoline_kernelINS0_14default_configENS1_25partition_config_selectorILNS1_17partition_subalgoE1EsNS0_10empty_typeEbEEZZNS1_14partition_implILS5_1ELb0ES3_jN6thrust23THRUST_200600_302600_NS6detail15normal_iteratorINSA_10device_ptrIsEEEEPS6_NSA_18transform_iteratorINSA_8identityIsEESF_NSA_11use_defaultESK_EENS0_5tupleIJSF_SF_EEENSM_IJSG_SG_EEES6_PlJS6_EEE10hipError_tPvRmT3_T4_T5_T6_T7_T9_mT8_P12ihipStream_tbDpT10_ENKUlT_T0_E_clISt17integral_constantIbLb0EES19_EEDaS14_S15_EUlS14_E_NS1_11comp_targetILNS1_3genE8ELNS1_11target_archE1030ELNS1_3gpuE2ELNS1_3repE0EEENS1_30default_config_static_selectorELNS0_4arch9wavefront6targetE1EEEvT1_: ; @_ZN7rocprim17ROCPRIM_400000_NS6detail17trampoline_kernelINS0_14default_configENS1_25partition_config_selectorILNS1_17partition_subalgoE1EsNS0_10empty_typeEbEEZZNS1_14partition_implILS5_1ELb0ES3_jN6thrust23THRUST_200600_302600_NS6detail15normal_iteratorINSA_10device_ptrIsEEEEPS6_NSA_18transform_iteratorINSA_8identityIsEESF_NSA_11use_defaultESK_EENS0_5tupleIJSF_SF_EEENSM_IJSG_SG_EEES6_PlJS6_EEE10hipError_tPvRmT3_T4_T5_T6_T7_T9_mT8_P12ihipStream_tbDpT10_ENKUlT_T0_E_clISt17integral_constantIbLb0EES19_EEDaS14_S15_EUlS14_E_NS1_11comp_targetILNS1_3genE8ELNS1_11target_archE1030ELNS1_3gpuE2ELNS1_3repE0EEENS1_30default_config_static_selectorELNS0_4arch9wavefront6targetE1EEEvT1_
; %bb.0:
	.section	.rodata,"a",@progbits
	.p2align	6, 0x0
	.amdhsa_kernel _ZN7rocprim17ROCPRIM_400000_NS6detail17trampoline_kernelINS0_14default_configENS1_25partition_config_selectorILNS1_17partition_subalgoE1EsNS0_10empty_typeEbEEZZNS1_14partition_implILS5_1ELb0ES3_jN6thrust23THRUST_200600_302600_NS6detail15normal_iteratorINSA_10device_ptrIsEEEEPS6_NSA_18transform_iteratorINSA_8identityIsEESF_NSA_11use_defaultESK_EENS0_5tupleIJSF_SF_EEENSM_IJSG_SG_EEES6_PlJS6_EEE10hipError_tPvRmT3_T4_T5_T6_T7_T9_mT8_P12ihipStream_tbDpT10_ENKUlT_T0_E_clISt17integral_constantIbLb0EES19_EEDaS14_S15_EUlS14_E_NS1_11comp_targetILNS1_3genE8ELNS1_11target_archE1030ELNS1_3gpuE2ELNS1_3repE0EEENS1_30default_config_static_selectorELNS0_4arch9wavefront6targetE1EEEvT1_
		.amdhsa_group_segment_fixed_size 0
		.amdhsa_private_segment_fixed_size 0
		.amdhsa_kernarg_size 128
		.amdhsa_user_sgpr_count 6
		.amdhsa_user_sgpr_private_segment_buffer 1
		.amdhsa_user_sgpr_dispatch_ptr 0
		.amdhsa_user_sgpr_queue_ptr 0
		.amdhsa_user_sgpr_kernarg_segment_ptr 1
		.amdhsa_user_sgpr_dispatch_id 0
		.amdhsa_user_sgpr_flat_scratch_init 0
		.amdhsa_user_sgpr_kernarg_preload_length 0
		.amdhsa_user_sgpr_kernarg_preload_offset 0
		.amdhsa_user_sgpr_private_segment_size 0
		.amdhsa_uses_dynamic_stack 0
		.amdhsa_system_sgpr_private_segment_wavefront_offset 0
		.amdhsa_system_sgpr_workgroup_id_x 1
		.amdhsa_system_sgpr_workgroup_id_y 0
		.amdhsa_system_sgpr_workgroup_id_z 0
		.amdhsa_system_sgpr_workgroup_info 0
		.amdhsa_system_vgpr_workitem_id 0
		.amdhsa_next_free_vgpr 1
		.amdhsa_next_free_sgpr 0
		.amdhsa_accum_offset 4
		.amdhsa_reserve_vcc 0
		.amdhsa_reserve_flat_scratch 0
		.amdhsa_float_round_mode_32 0
		.amdhsa_float_round_mode_16_64 0
		.amdhsa_float_denorm_mode_32 3
		.amdhsa_float_denorm_mode_16_64 3
		.amdhsa_dx10_clamp 1
		.amdhsa_ieee_mode 1
		.amdhsa_fp16_overflow 0
		.amdhsa_tg_split 0
		.amdhsa_exception_fp_ieee_invalid_op 0
		.amdhsa_exception_fp_denorm_src 0
		.amdhsa_exception_fp_ieee_div_zero 0
		.amdhsa_exception_fp_ieee_overflow 0
		.amdhsa_exception_fp_ieee_underflow 0
		.amdhsa_exception_fp_ieee_inexact 0
		.amdhsa_exception_int_div_zero 0
	.end_amdhsa_kernel
	.section	.text._ZN7rocprim17ROCPRIM_400000_NS6detail17trampoline_kernelINS0_14default_configENS1_25partition_config_selectorILNS1_17partition_subalgoE1EsNS0_10empty_typeEbEEZZNS1_14partition_implILS5_1ELb0ES3_jN6thrust23THRUST_200600_302600_NS6detail15normal_iteratorINSA_10device_ptrIsEEEEPS6_NSA_18transform_iteratorINSA_8identityIsEESF_NSA_11use_defaultESK_EENS0_5tupleIJSF_SF_EEENSM_IJSG_SG_EEES6_PlJS6_EEE10hipError_tPvRmT3_T4_T5_T6_T7_T9_mT8_P12ihipStream_tbDpT10_ENKUlT_T0_E_clISt17integral_constantIbLb0EES19_EEDaS14_S15_EUlS14_E_NS1_11comp_targetILNS1_3genE8ELNS1_11target_archE1030ELNS1_3gpuE2ELNS1_3repE0EEENS1_30default_config_static_selectorELNS0_4arch9wavefront6targetE1EEEvT1_,"axG",@progbits,_ZN7rocprim17ROCPRIM_400000_NS6detail17trampoline_kernelINS0_14default_configENS1_25partition_config_selectorILNS1_17partition_subalgoE1EsNS0_10empty_typeEbEEZZNS1_14partition_implILS5_1ELb0ES3_jN6thrust23THRUST_200600_302600_NS6detail15normal_iteratorINSA_10device_ptrIsEEEEPS6_NSA_18transform_iteratorINSA_8identityIsEESF_NSA_11use_defaultESK_EENS0_5tupleIJSF_SF_EEENSM_IJSG_SG_EEES6_PlJS6_EEE10hipError_tPvRmT3_T4_T5_T6_T7_T9_mT8_P12ihipStream_tbDpT10_ENKUlT_T0_E_clISt17integral_constantIbLb0EES19_EEDaS14_S15_EUlS14_E_NS1_11comp_targetILNS1_3genE8ELNS1_11target_archE1030ELNS1_3gpuE2ELNS1_3repE0EEENS1_30default_config_static_selectorELNS0_4arch9wavefront6targetE1EEEvT1_,comdat
.Lfunc_end648:
	.size	_ZN7rocprim17ROCPRIM_400000_NS6detail17trampoline_kernelINS0_14default_configENS1_25partition_config_selectorILNS1_17partition_subalgoE1EsNS0_10empty_typeEbEEZZNS1_14partition_implILS5_1ELb0ES3_jN6thrust23THRUST_200600_302600_NS6detail15normal_iteratorINSA_10device_ptrIsEEEEPS6_NSA_18transform_iteratorINSA_8identityIsEESF_NSA_11use_defaultESK_EENS0_5tupleIJSF_SF_EEENSM_IJSG_SG_EEES6_PlJS6_EEE10hipError_tPvRmT3_T4_T5_T6_T7_T9_mT8_P12ihipStream_tbDpT10_ENKUlT_T0_E_clISt17integral_constantIbLb0EES19_EEDaS14_S15_EUlS14_E_NS1_11comp_targetILNS1_3genE8ELNS1_11target_archE1030ELNS1_3gpuE2ELNS1_3repE0EEENS1_30default_config_static_selectorELNS0_4arch9wavefront6targetE1EEEvT1_, .Lfunc_end648-_ZN7rocprim17ROCPRIM_400000_NS6detail17trampoline_kernelINS0_14default_configENS1_25partition_config_selectorILNS1_17partition_subalgoE1EsNS0_10empty_typeEbEEZZNS1_14partition_implILS5_1ELb0ES3_jN6thrust23THRUST_200600_302600_NS6detail15normal_iteratorINSA_10device_ptrIsEEEEPS6_NSA_18transform_iteratorINSA_8identityIsEESF_NSA_11use_defaultESK_EENS0_5tupleIJSF_SF_EEENSM_IJSG_SG_EEES6_PlJS6_EEE10hipError_tPvRmT3_T4_T5_T6_T7_T9_mT8_P12ihipStream_tbDpT10_ENKUlT_T0_E_clISt17integral_constantIbLb0EES19_EEDaS14_S15_EUlS14_E_NS1_11comp_targetILNS1_3genE8ELNS1_11target_archE1030ELNS1_3gpuE2ELNS1_3repE0EEENS1_30default_config_static_selectorELNS0_4arch9wavefront6targetE1EEEvT1_
                                        ; -- End function
	.section	.AMDGPU.csdata,"",@progbits
; Kernel info:
; codeLenInByte = 0
; NumSgprs: 4
; NumVgprs: 0
; NumAgprs: 0
; TotalNumVgprs: 0
; ScratchSize: 0
; MemoryBound: 0
; FloatMode: 240
; IeeeMode: 1
; LDSByteSize: 0 bytes/workgroup (compile time only)
; SGPRBlocks: 0
; VGPRBlocks: 0
; NumSGPRsForWavesPerEU: 4
; NumVGPRsForWavesPerEU: 1
; AccumOffset: 4
; Occupancy: 8
; WaveLimiterHint : 0
; COMPUTE_PGM_RSRC2:SCRATCH_EN: 0
; COMPUTE_PGM_RSRC2:USER_SGPR: 6
; COMPUTE_PGM_RSRC2:TRAP_HANDLER: 0
; COMPUTE_PGM_RSRC2:TGID_X_EN: 1
; COMPUTE_PGM_RSRC2:TGID_Y_EN: 0
; COMPUTE_PGM_RSRC2:TGID_Z_EN: 0
; COMPUTE_PGM_RSRC2:TIDIG_COMP_CNT: 0
; COMPUTE_PGM_RSRC3_GFX90A:ACCUM_OFFSET: 0
; COMPUTE_PGM_RSRC3_GFX90A:TG_SPLIT: 0
	.section	.text._ZN7rocprim17ROCPRIM_400000_NS6detail17trampoline_kernelINS0_14default_configENS1_25partition_config_selectorILNS1_17partition_subalgoE1EsNS0_10empty_typeEbEEZZNS1_14partition_implILS5_1ELb0ES3_jN6thrust23THRUST_200600_302600_NS6detail15normal_iteratorINSA_10device_ptrIsEEEEPS6_NSA_18transform_iteratorINSA_8identityIsEESF_NSA_11use_defaultESK_EENS0_5tupleIJSF_SF_EEENSM_IJSG_SG_EEES6_PlJS6_EEE10hipError_tPvRmT3_T4_T5_T6_T7_T9_mT8_P12ihipStream_tbDpT10_ENKUlT_T0_E_clISt17integral_constantIbLb1EES19_EEDaS14_S15_EUlS14_E_NS1_11comp_targetILNS1_3genE0ELNS1_11target_archE4294967295ELNS1_3gpuE0ELNS1_3repE0EEENS1_30default_config_static_selectorELNS0_4arch9wavefront6targetE1EEEvT1_,"axG",@progbits,_ZN7rocprim17ROCPRIM_400000_NS6detail17trampoline_kernelINS0_14default_configENS1_25partition_config_selectorILNS1_17partition_subalgoE1EsNS0_10empty_typeEbEEZZNS1_14partition_implILS5_1ELb0ES3_jN6thrust23THRUST_200600_302600_NS6detail15normal_iteratorINSA_10device_ptrIsEEEEPS6_NSA_18transform_iteratorINSA_8identityIsEESF_NSA_11use_defaultESK_EENS0_5tupleIJSF_SF_EEENSM_IJSG_SG_EEES6_PlJS6_EEE10hipError_tPvRmT3_T4_T5_T6_T7_T9_mT8_P12ihipStream_tbDpT10_ENKUlT_T0_E_clISt17integral_constantIbLb1EES19_EEDaS14_S15_EUlS14_E_NS1_11comp_targetILNS1_3genE0ELNS1_11target_archE4294967295ELNS1_3gpuE0ELNS1_3repE0EEENS1_30default_config_static_selectorELNS0_4arch9wavefront6targetE1EEEvT1_,comdat
	.protected	_ZN7rocprim17ROCPRIM_400000_NS6detail17trampoline_kernelINS0_14default_configENS1_25partition_config_selectorILNS1_17partition_subalgoE1EsNS0_10empty_typeEbEEZZNS1_14partition_implILS5_1ELb0ES3_jN6thrust23THRUST_200600_302600_NS6detail15normal_iteratorINSA_10device_ptrIsEEEEPS6_NSA_18transform_iteratorINSA_8identityIsEESF_NSA_11use_defaultESK_EENS0_5tupleIJSF_SF_EEENSM_IJSG_SG_EEES6_PlJS6_EEE10hipError_tPvRmT3_T4_T5_T6_T7_T9_mT8_P12ihipStream_tbDpT10_ENKUlT_T0_E_clISt17integral_constantIbLb1EES19_EEDaS14_S15_EUlS14_E_NS1_11comp_targetILNS1_3genE0ELNS1_11target_archE4294967295ELNS1_3gpuE0ELNS1_3repE0EEENS1_30default_config_static_selectorELNS0_4arch9wavefront6targetE1EEEvT1_ ; -- Begin function _ZN7rocprim17ROCPRIM_400000_NS6detail17trampoline_kernelINS0_14default_configENS1_25partition_config_selectorILNS1_17partition_subalgoE1EsNS0_10empty_typeEbEEZZNS1_14partition_implILS5_1ELb0ES3_jN6thrust23THRUST_200600_302600_NS6detail15normal_iteratorINSA_10device_ptrIsEEEEPS6_NSA_18transform_iteratorINSA_8identityIsEESF_NSA_11use_defaultESK_EENS0_5tupleIJSF_SF_EEENSM_IJSG_SG_EEES6_PlJS6_EEE10hipError_tPvRmT3_T4_T5_T6_T7_T9_mT8_P12ihipStream_tbDpT10_ENKUlT_T0_E_clISt17integral_constantIbLb1EES19_EEDaS14_S15_EUlS14_E_NS1_11comp_targetILNS1_3genE0ELNS1_11target_archE4294967295ELNS1_3gpuE0ELNS1_3repE0EEENS1_30default_config_static_selectorELNS0_4arch9wavefront6targetE1EEEvT1_
	.globl	_ZN7rocprim17ROCPRIM_400000_NS6detail17trampoline_kernelINS0_14default_configENS1_25partition_config_selectorILNS1_17partition_subalgoE1EsNS0_10empty_typeEbEEZZNS1_14partition_implILS5_1ELb0ES3_jN6thrust23THRUST_200600_302600_NS6detail15normal_iteratorINSA_10device_ptrIsEEEEPS6_NSA_18transform_iteratorINSA_8identityIsEESF_NSA_11use_defaultESK_EENS0_5tupleIJSF_SF_EEENSM_IJSG_SG_EEES6_PlJS6_EEE10hipError_tPvRmT3_T4_T5_T6_T7_T9_mT8_P12ihipStream_tbDpT10_ENKUlT_T0_E_clISt17integral_constantIbLb1EES19_EEDaS14_S15_EUlS14_E_NS1_11comp_targetILNS1_3genE0ELNS1_11target_archE4294967295ELNS1_3gpuE0ELNS1_3repE0EEENS1_30default_config_static_selectorELNS0_4arch9wavefront6targetE1EEEvT1_
	.p2align	8
	.type	_ZN7rocprim17ROCPRIM_400000_NS6detail17trampoline_kernelINS0_14default_configENS1_25partition_config_selectorILNS1_17partition_subalgoE1EsNS0_10empty_typeEbEEZZNS1_14partition_implILS5_1ELb0ES3_jN6thrust23THRUST_200600_302600_NS6detail15normal_iteratorINSA_10device_ptrIsEEEEPS6_NSA_18transform_iteratorINSA_8identityIsEESF_NSA_11use_defaultESK_EENS0_5tupleIJSF_SF_EEENSM_IJSG_SG_EEES6_PlJS6_EEE10hipError_tPvRmT3_T4_T5_T6_T7_T9_mT8_P12ihipStream_tbDpT10_ENKUlT_T0_E_clISt17integral_constantIbLb1EES19_EEDaS14_S15_EUlS14_E_NS1_11comp_targetILNS1_3genE0ELNS1_11target_archE4294967295ELNS1_3gpuE0ELNS1_3repE0EEENS1_30default_config_static_selectorELNS0_4arch9wavefront6targetE1EEEvT1_,@function
_ZN7rocprim17ROCPRIM_400000_NS6detail17trampoline_kernelINS0_14default_configENS1_25partition_config_selectorILNS1_17partition_subalgoE1EsNS0_10empty_typeEbEEZZNS1_14partition_implILS5_1ELb0ES3_jN6thrust23THRUST_200600_302600_NS6detail15normal_iteratorINSA_10device_ptrIsEEEEPS6_NSA_18transform_iteratorINSA_8identityIsEESF_NSA_11use_defaultESK_EENS0_5tupleIJSF_SF_EEENSM_IJSG_SG_EEES6_PlJS6_EEE10hipError_tPvRmT3_T4_T5_T6_T7_T9_mT8_P12ihipStream_tbDpT10_ENKUlT_T0_E_clISt17integral_constantIbLb1EES19_EEDaS14_S15_EUlS14_E_NS1_11comp_targetILNS1_3genE0ELNS1_11target_archE4294967295ELNS1_3gpuE0ELNS1_3repE0EEENS1_30default_config_static_selectorELNS0_4arch9wavefront6targetE1EEEvT1_: ; @_ZN7rocprim17ROCPRIM_400000_NS6detail17trampoline_kernelINS0_14default_configENS1_25partition_config_selectorILNS1_17partition_subalgoE1EsNS0_10empty_typeEbEEZZNS1_14partition_implILS5_1ELb0ES3_jN6thrust23THRUST_200600_302600_NS6detail15normal_iteratorINSA_10device_ptrIsEEEEPS6_NSA_18transform_iteratorINSA_8identityIsEESF_NSA_11use_defaultESK_EENS0_5tupleIJSF_SF_EEENSM_IJSG_SG_EEES6_PlJS6_EEE10hipError_tPvRmT3_T4_T5_T6_T7_T9_mT8_P12ihipStream_tbDpT10_ENKUlT_T0_E_clISt17integral_constantIbLb1EES19_EEDaS14_S15_EUlS14_E_NS1_11comp_targetILNS1_3genE0ELNS1_11target_archE4294967295ELNS1_3gpuE0ELNS1_3repE0EEENS1_30default_config_static_selectorELNS0_4arch9wavefront6targetE1EEEvT1_
; %bb.0:
	.section	.rodata,"a",@progbits
	.p2align	6, 0x0
	.amdhsa_kernel _ZN7rocprim17ROCPRIM_400000_NS6detail17trampoline_kernelINS0_14default_configENS1_25partition_config_selectorILNS1_17partition_subalgoE1EsNS0_10empty_typeEbEEZZNS1_14partition_implILS5_1ELb0ES3_jN6thrust23THRUST_200600_302600_NS6detail15normal_iteratorINSA_10device_ptrIsEEEEPS6_NSA_18transform_iteratorINSA_8identityIsEESF_NSA_11use_defaultESK_EENS0_5tupleIJSF_SF_EEENSM_IJSG_SG_EEES6_PlJS6_EEE10hipError_tPvRmT3_T4_T5_T6_T7_T9_mT8_P12ihipStream_tbDpT10_ENKUlT_T0_E_clISt17integral_constantIbLb1EES19_EEDaS14_S15_EUlS14_E_NS1_11comp_targetILNS1_3genE0ELNS1_11target_archE4294967295ELNS1_3gpuE0ELNS1_3repE0EEENS1_30default_config_static_selectorELNS0_4arch9wavefront6targetE1EEEvT1_
		.amdhsa_group_segment_fixed_size 0
		.amdhsa_private_segment_fixed_size 0
		.amdhsa_kernarg_size 144
		.amdhsa_user_sgpr_count 6
		.amdhsa_user_sgpr_private_segment_buffer 1
		.amdhsa_user_sgpr_dispatch_ptr 0
		.amdhsa_user_sgpr_queue_ptr 0
		.amdhsa_user_sgpr_kernarg_segment_ptr 1
		.amdhsa_user_sgpr_dispatch_id 0
		.amdhsa_user_sgpr_flat_scratch_init 0
		.amdhsa_user_sgpr_kernarg_preload_length 0
		.amdhsa_user_sgpr_kernarg_preload_offset 0
		.amdhsa_user_sgpr_private_segment_size 0
		.amdhsa_uses_dynamic_stack 0
		.amdhsa_system_sgpr_private_segment_wavefront_offset 0
		.amdhsa_system_sgpr_workgroup_id_x 1
		.amdhsa_system_sgpr_workgroup_id_y 0
		.amdhsa_system_sgpr_workgroup_id_z 0
		.amdhsa_system_sgpr_workgroup_info 0
		.amdhsa_system_vgpr_workitem_id 0
		.amdhsa_next_free_vgpr 1
		.amdhsa_next_free_sgpr 0
		.amdhsa_accum_offset 4
		.amdhsa_reserve_vcc 0
		.amdhsa_reserve_flat_scratch 0
		.amdhsa_float_round_mode_32 0
		.amdhsa_float_round_mode_16_64 0
		.amdhsa_float_denorm_mode_32 3
		.amdhsa_float_denorm_mode_16_64 3
		.amdhsa_dx10_clamp 1
		.amdhsa_ieee_mode 1
		.amdhsa_fp16_overflow 0
		.amdhsa_tg_split 0
		.amdhsa_exception_fp_ieee_invalid_op 0
		.amdhsa_exception_fp_denorm_src 0
		.amdhsa_exception_fp_ieee_div_zero 0
		.amdhsa_exception_fp_ieee_overflow 0
		.amdhsa_exception_fp_ieee_underflow 0
		.amdhsa_exception_fp_ieee_inexact 0
		.amdhsa_exception_int_div_zero 0
	.end_amdhsa_kernel
	.section	.text._ZN7rocprim17ROCPRIM_400000_NS6detail17trampoline_kernelINS0_14default_configENS1_25partition_config_selectorILNS1_17partition_subalgoE1EsNS0_10empty_typeEbEEZZNS1_14partition_implILS5_1ELb0ES3_jN6thrust23THRUST_200600_302600_NS6detail15normal_iteratorINSA_10device_ptrIsEEEEPS6_NSA_18transform_iteratorINSA_8identityIsEESF_NSA_11use_defaultESK_EENS0_5tupleIJSF_SF_EEENSM_IJSG_SG_EEES6_PlJS6_EEE10hipError_tPvRmT3_T4_T5_T6_T7_T9_mT8_P12ihipStream_tbDpT10_ENKUlT_T0_E_clISt17integral_constantIbLb1EES19_EEDaS14_S15_EUlS14_E_NS1_11comp_targetILNS1_3genE0ELNS1_11target_archE4294967295ELNS1_3gpuE0ELNS1_3repE0EEENS1_30default_config_static_selectorELNS0_4arch9wavefront6targetE1EEEvT1_,"axG",@progbits,_ZN7rocprim17ROCPRIM_400000_NS6detail17trampoline_kernelINS0_14default_configENS1_25partition_config_selectorILNS1_17partition_subalgoE1EsNS0_10empty_typeEbEEZZNS1_14partition_implILS5_1ELb0ES3_jN6thrust23THRUST_200600_302600_NS6detail15normal_iteratorINSA_10device_ptrIsEEEEPS6_NSA_18transform_iteratorINSA_8identityIsEESF_NSA_11use_defaultESK_EENS0_5tupleIJSF_SF_EEENSM_IJSG_SG_EEES6_PlJS6_EEE10hipError_tPvRmT3_T4_T5_T6_T7_T9_mT8_P12ihipStream_tbDpT10_ENKUlT_T0_E_clISt17integral_constantIbLb1EES19_EEDaS14_S15_EUlS14_E_NS1_11comp_targetILNS1_3genE0ELNS1_11target_archE4294967295ELNS1_3gpuE0ELNS1_3repE0EEENS1_30default_config_static_selectorELNS0_4arch9wavefront6targetE1EEEvT1_,comdat
.Lfunc_end649:
	.size	_ZN7rocprim17ROCPRIM_400000_NS6detail17trampoline_kernelINS0_14default_configENS1_25partition_config_selectorILNS1_17partition_subalgoE1EsNS0_10empty_typeEbEEZZNS1_14partition_implILS5_1ELb0ES3_jN6thrust23THRUST_200600_302600_NS6detail15normal_iteratorINSA_10device_ptrIsEEEEPS6_NSA_18transform_iteratorINSA_8identityIsEESF_NSA_11use_defaultESK_EENS0_5tupleIJSF_SF_EEENSM_IJSG_SG_EEES6_PlJS6_EEE10hipError_tPvRmT3_T4_T5_T6_T7_T9_mT8_P12ihipStream_tbDpT10_ENKUlT_T0_E_clISt17integral_constantIbLb1EES19_EEDaS14_S15_EUlS14_E_NS1_11comp_targetILNS1_3genE0ELNS1_11target_archE4294967295ELNS1_3gpuE0ELNS1_3repE0EEENS1_30default_config_static_selectorELNS0_4arch9wavefront6targetE1EEEvT1_, .Lfunc_end649-_ZN7rocprim17ROCPRIM_400000_NS6detail17trampoline_kernelINS0_14default_configENS1_25partition_config_selectorILNS1_17partition_subalgoE1EsNS0_10empty_typeEbEEZZNS1_14partition_implILS5_1ELb0ES3_jN6thrust23THRUST_200600_302600_NS6detail15normal_iteratorINSA_10device_ptrIsEEEEPS6_NSA_18transform_iteratorINSA_8identityIsEESF_NSA_11use_defaultESK_EENS0_5tupleIJSF_SF_EEENSM_IJSG_SG_EEES6_PlJS6_EEE10hipError_tPvRmT3_T4_T5_T6_T7_T9_mT8_P12ihipStream_tbDpT10_ENKUlT_T0_E_clISt17integral_constantIbLb1EES19_EEDaS14_S15_EUlS14_E_NS1_11comp_targetILNS1_3genE0ELNS1_11target_archE4294967295ELNS1_3gpuE0ELNS1_3repE0EEENS1_30default_config_static_selectorELNS0_4arch9wavefront6targetE1EEEvT1_
                                        ; -- End function
	.section	.AMDGPU.csdata,"",@progbits
; Kernel info:
; codeLenInByte = 0
; NumSgprs: 4
; NumVgprs: 0
; NumAgprs: 0
; TotalNumVgprs: 0
; ScratchSize: 0
; MemoryBound: 0
; FloatMode: 240
; IeeeMode: 1
; LDSByteSize: 0 bytes/workgroup (compile time only)
; SGPRBlocks: 0
; VGPRBlocks: 0
; NumSGPRsForWavesPerEU: 4
; NumVGPRsForWavesPerEU: 1
; AccumOffset: 4
; Occupancy: 8
; WaveLimiterHint : 0
; COMPUTE_PGM_RSRC2:SCRATCH_EN: 0
; COMPUTE_PGM_RSRC2:USER_SGPR: 6
; COMPUTE_PGM_RSRC2:TRAP_HANDLER: 0
; COMPUTE_PGM_RSRC2:TGID_X_EN: 1
; COMPUTE_PGM_RSRC2:TGID_Y_EN: 0
; COMPUTE_PGM_RSRC2:TGID_Z_EN: 0
; COMPUTE_PGM_RSRC2:TIDIG_COMP_CNT: 0
; COMPUTE_PGM_RSRC3_GFX90A:ACCUM_OFFSET: 0
; COMPUTE_PGM_RSRC3_GFX90A:TG_SPLIT: 0
	.section	.text._ZN7rocprim17ROCPRIM_400000_NS6detail17trampoline_kernelINS0_14default_configENS1_25partition_config_selectorILNS1_17partition_subalgoE1EsNS0_10empty_typeEbEEZZNS1_14partition_implILS5_1ELb0ES3_jN6thrust23THRUST_200600_302600_NS6detail15normal_iteratorINSA_10device_ptrIsEEEEPS6_NSA_18transform_iteratorINSA_8identityIsEESF_NSA_11use_defaultESK_EENS0_5tupleIJSF_SF_EEENSM_IJSG_SG_EEES6_PlJS6_EEE10hipError_tPvRmT3_T4_T5_T6_T7_T9_mT8_P12ihipStream_tbDpT10_ENKUlT_T0_E_clISt17integral_constantIbLb1EES19_EEDaS14_S15_EUlS14_E_NS1_11comp_targetILNS1_3genE5ELNS1_11target_archE942ELNS1_3gpuE9ELNS1_3repE0EEENS1_30default_config_static_selectorELNS0_4arch9wavefront6targetE1EEEvT1_,"axG",@progbits,_ZN7rocprim17ROCPRIM_400000_NS6detail17trampoline_kernelINS0_14default_configENS1_25partition_config_selectorILNS1_17partition_subalgoE1EsNS0_10empty_typeEbEEZZNS1_14partition_implILS5_1ELb0ES3_jN6thrust23THRUST_200600_302600_NS6detail15normal_iteratorINSA_10device_ptrIsEEEEPS6_NSA_18transform_iteratorINSA_8identityIsEESF_NSA_11use_defaultESK_EENS0_5tupleIJSF_SF_EEENSM_IJSG_SG_EEES6_PlJS6_EEE10hipError_tPvRmT3_T4_T5_T6_T7_T9_mT8_P12ihipStream_tbDpT10_ENKUlT_T0_E_clISt17integral_constantIbLb1EES19_EEDaS14_S15_EUlS14_E_NS1_11comp_targetILNS1_3genE5ELNS1_11target_archE942ELNS1_3gpuE9ELNS1_3repE0EEENS1_30default_config_static_selectorELNS0_4arch9wavefront6targetE1EEEvT1_,comdat
	.protected	_ZN7rocprim17ROCPRIM_400000_NS6detail17trampoline_kernelINS0_14default_configENS1_25partition_config_selectorILNS1_17partition_subalgoE1EsNS0_10empty_typeEbEEZZNS1_14partition_implILS5_1ELb0ES3_jN6thrust23THRUST_200600_302600_NS6detail15normal_iteratorINSA_10device_ptrIsEEEEPS6_NSA_18transform_iteratorINSA_8identityIsEESF_NSA_11use_defaultESK_EENS0_5tupleIJSF_SF_EEENSM_IJSG_SG_EEES6_PlJS6_EEE10hipError_tPvRmT3_T4_T5_T6_T7_T9_mT8_P12ihipStream_tbDpT10_ENKUlT_T0_E_clISt17integral_constantIbLb1EES19_EEDaS14_S15_EUlS14_E_NS1_11comp_targetILNS1_3genE5ELNS1_11target_archE942ELNS1_3gpuE9ELNS1_3repE0EEENS1_30default_config_static_selectorELNS0_4arch9wavefront6targetE1EEEvT1_ ; -- Begin function _ZN7rocprim17ROCPRIM_400000_NS6detail17trampoline_kernelINS0_14default_configENS1_25partition_config_selectorILNS1_17partition_subalgoE1EsNS0_10empty_typeEbEEZZNS1_14partition_implILS5_1ELb0ES3_jN6thrust23THRUST_200600_302600_NS6detail15normal_iteratorINSA_10device_ptrIsEEEEPS6_NSA_18transform_iteratorINSA_8identityIsEESF_NSA_11use_defaultESK_EENS0_5tupleIJSF_SF_EEENSM_IJSG_SG_EEES6_PlJS6_EEE10hipError_tPvRmT3_T4_T5_T6_T7_T9_mT8_P12ihipStream_tbDpT10_ENKUlT_T0_E_clISt17integral_constantIbLb1EES19_EEDaS14_S15_EUlS14_E_NS1_11comp_targetILNS1_3genE5ELNS1_11target_archE942ELNS1_3gpuE9ELNS1_3repE0EEENS1_30default_config_static_selectorELNS0_4arch9wavefront6targetE1EEEvT1_
	.globl	_ZN7rocprim17ROCPRIM_400000_NS6detail17trampoline_kernelINS0_14default_configENS1_25partition_config_selectorILNS1_17partition_subalgoE1EsNS0_10empty_typeEbEEZZNS1_14partition_implILS5_1ELb0ES3_jN6thrust23THRUST_200600_302600_NS6detail15normal_iteratorINSA_10device_ptrIsEEEEPS6_NSA_18transform_iteratorINSA_8identityIsEESF_NSA_11use_defaultESK_EENS0_5tupleIJSF_SF_EEENSM_IJSG_SG_EEES6_PlJS6_EEE10hipError_tPvRmT3_T4_T5_T6_T7_T9_mT8_P12ihipStream_tbDpT10_ENKUlT_T0_E_clISt17integral_constantIbLb1EES19_EEDaS14_S15_EUlS14_E_NS1_11comp_targetILNS1_3genE5ELNS1_11target_archE942ELNS1_3gpuE9ELNS1_3repE0EEENS1_30default_config_static_selectorELNS0_4arch9wavefront6targetE1EEEvT1_
	.p2align	8
	.type	_ZN7rocprim17ROCPRIM_400000_NS6detail17trampoline_kernelINS0_14default_configENS1_25partition_config_selectorILNS1_17partition_subalgoE1EsNS0_10empty_typeEbEEZZNS1_14partition_implILS5_1ELb0ES3_jN6thrust23THRUST_200600_302600_NS6detail15normal_iteratorINSA_10device_ptrIsEEEEPS6_NSA_18transform_iteratorINSA_8identityIsEESF_NSA_11use_defaultESK_EENS0_5tupleIJSF_SF_EEENSM_IJSG_SG_EEES6_PlJS6_EEE10hipError_tPvRmT3_T4_T5_T6_T7_T9_mT8_P12ihipStream_tbDpT10_ENKUlT_T0_E_clISt17integral_constantIbLb1EES19_EEDaS14_S15_EUlS14_E_NS1_11comp_targetILNS1_3genE5ELNS1_11target_archE942ELNS1_3gpuE9ELNS1_3repE0EEENS1_30default_config_static_selectorELNS0_4arch9wavefront6targetE1EEEvT1_,@function
_ZN7rocprim17ROCPRIM_400000_NS6detail17trampoline_kernelINS0_14default_configENS1_25partition_config_selectorILNS1_17partition_subalgoE1EsNS0_10empty_typeEbEEZZNS1_14partition_implILS5_1ELb0ES3_jN6thrust23THRUST_200600_302600_NS6detail15normal_iteratorINSA_10device_ptrIsEEEEPS6_NSA_18transform_iteratorINSA_8identityIsEESF_NSA_11use_defaultESK_EENS0_5tupleIJSF_SF_EEENSM_IJSG_SG_EEES6_PlJS6_EEE10hipError_tPvRmT3_T4_T5_T6_T7_T9_mT8_P12ihipStream_tbDpT10_ENKUlT_T0_E_clISt17integral_constantIbLb1EES19_EEDaS14_S15_EUlS14_E_NS1_11comp_targetILNS1_3genE5ELNS1_11target_archE942ELNS1_3gpuE9ELNS1_3repE0EEENS1_30default_config_static_selectorELNS0_4arch9wavefront6targetE1EEEvT1_: ; @_ZN7rocprim17ROCPRIM_400000_NS6detail17trampoline_kernelINS0_14default_configENS1_25partition_config_selectorILNS1_17partition_subalgoE1EsNS0_10empty_typeEbEEZZNS1_14partition_implILS5_1ELb0ES3_jN6thrust23THRUST_200600_302600_NS6detail15normal_iteratorINSA_10device_ptrIsEEEEPS6_NSA_18transform_iteratorINSA_8identityIsEESF_NSA_11use_defaultESK_EENS0_5tupleIJSF_SF_EEENSM_IJSG_SG_EEES6_PlJS6_EEE10hipError_tPvRmT3_T4_T5_T6_T7_T9_mT8_P12ihipStream_tbDpT10_ENKUlT_T0_E_clISt17integral_constantIbLb1EES19_EEDaS14_S15_EUlS14_E_NS1_11comp_targetILNS1_3genE5ELNS1_11target_archE942ELNS1_3gpuE9ELNS1_3repE0EEENS1_30default_config_static_selectorELNS0_4arch9wavefront6targetE1EEEvT1_
; %bb.0:
	.section	.rodata,"a",@progbits
	.p2align	6, 0x0
	.amdhsa_kernel _ZN7rocprim17ROCPRIM_400000_NS6detail17trampoline_kernelINS0_14default_configENS1_25partition_config_selectorILNS1_17partition_subalgoE1EsNS0_10empty_typeEbEEZZNS1_14partition_implILS5_1ELb0ES3_jN6thrust23THRUST_200600_302600_NS6detail15normal_iteratorINSA_10device_ptrIsEEEEPS6_NSA_18transform_iteratorINSA_8identityIsEESF_NSA_11use_defaultESK_EENS0_5tupleIJSF_SF_EEENSM_IJSG_SG_EEES6_PlJS6_EEE10hipError_tPvRmT3_T4_T5_T6_T7_T9_mT8_P12ihipStream_tbDpT10_ENKUlT_T0_E_clISt17integral_constantIbLb1EES19_EEDaS14_S15_EUlS14_E_NS1_11comp_targetILNS1_3genE5ELNS1_11target_archE942ELNS1_3gpuE9ELNS1_3repE0EEENS1_30default_config_static_selectorELNS0_4arch9wavefront6targetE1EEEvT1_
		.amdhsa_group_segment_fixed_size 0
		.amdhsa_private_segment_fixed_size 0
		.amdhsa_kernarg_size 144
		.amdhsa_user_sgpr_count 6
		.amdhsa_user_sgpr_private_segment_buffer 1
		.amdhsa_user_sgpr_dispatch_ptr 0
		.amdhsa_user_sgpr_queue_ptr 0
		.amdhsa_user_sgpr_kernarg_segment_ptr 1
		.amdhsa_user_sgpr_dispatch_id 0
		.amdhsa_user_sgpr_flat_scratch_init 0
		.amdhsa_user_sgpr_kernarg_preload_length 0
		.amdhsa_user_sgpr_kernarg_preload_offset 0
		.amdhsa_user_sgpr_private_segment_size 0
		.amdhsa_uses_dynamic_stack 0
		.amdhsa_system_sgpr_private_segment_wavefront_offset 0
		.amdhsa_system_sgpr_workgroup_id_x 1
		.amdhsa_system_sgpr_workgroup_id_y 0
		.amdhsa_system_sgpr_workgroup_id_z 0
		.amdhsa_system_sgpr_workgroup_info 0
		.amdhsa_system_vgpr_workitem_id 0
		.amdhsa_next_free_vgpr 1
		.amdhsa_next_free_sgpr 0
		.amdhsa_accum_offset 4
		.amdhsa_reserve_vcc 0
		.amdhsa_reserve_flat_scratch 0
		.amdhsa_float_round_mode_32 0
		.amdhsa_float_round_mode_16_64 0
		.amdhsa_float_denorm_mode_32 3
		.amdhsa_float_denorm_mode_16_64 3
		.amdhsa_dx10_clamp 1
		.amdhsa_ieee_mode 1
		.amdhsa_fp16_overflow 0
		.amdhsa_tg_split 0
		.amdhsa_exception_fp_ieee_invalid_op 0
		.amdhsa_exception_fp_denorm_src 0
		.amdhsa_exception_fp_ieee_div_zero 0
		.amdhsa_exception_fp_ieee_overflow 0
		.amdhsa_exception_fp_ieee_underflow 0
		.amdhsa_exception_fp_ieee_inexact 0
		.amdhsa_exception_int_div_zero 0
	.end_amdhsa_kernel
	.section	.text._ZN7rocprim17ROCPRIM_400000_NS6detail17trampoline_kernelINS0_14default_configENS1_25partition_config_selectorILNS1_17partition_subalgoE1EsNS0_10empty_typeEbEEZZNS1_14partition_implILS5_1ELb0ES3_jN6thrust23THRUST_200600_302600_NS6detail15normal_iteratorINSA_10device_ptrIsEEEEPS6_NSA_18transform_iteratorINSA_8identityIsEESF_NSA_11use_defaultESK_EENS0_5tupleIJSF_SF_EEENSM_IJSG_SG_EEES6_PlJS6_EEE10hipError_tPvRmT3_T4_T5_T6_T7_T9_mT8_P12ihipStream_tbDpT10_ENKUlT_T0_E_clISt17integral_constantIbLb1EES19_EEDaS14_S15_EUlS14_E_NS1_11comp_targetILNS1_3genE5ELNS1_11target_archE942ELNS1_3gpuE9ELNS1_3repE0EEENS1_30default_config_static_selectorELNS0_4arch9wavefront6targetE1EEEvT1_,"axG",@progbits,_ZN7rocprim17ROCPRIM_400000_NS6detail17trampoline_kernelINS0_14default_configENS1_25partition_config_selectorILNS1_17partition_subalgoE1EsNS0_10empty_typeEbEEZZNS1_14partition_implILS5_1ELb0ES3_jN6thrust23THRUST_200600_302600_NS6detail15normal_iteratorINSA_10device_ptrIsEEEEPS6_NSA_18transform_iteratorINSA_8identityIsEESF_NSA_11use_defaultESK_EENS0_5tupleIJSF_SF_EEENSM_IJSG_SG_EEES6_PlJS6_EEE10hipError_tPvRmT3_T4_T5_T6_T7_T9_mT8_P12ihipStream_tbDpT10_ENKUlT_T0_E_clISt17integral_constantIbLb1EES19_EEDaS14_S15_EUlS14_E_NS1_11comp_targetILNS1_3genE5ELNS1_11target_archE942ELNS1_3gpuE9ELNS1_3repE0EEENS1_30default_config_static_selectorELNS0_4arch9wavefront6targetE1EEEvT1_,comdat
.Lfunc_end650:
	.size	_ZN7rocprim17ROCPRIM_400000_NS6detail17trampoline_kernelINS0_14default_configENS1_25partition_config_selectorILNS1_17partition_subalgoE1EsNS0_10empty_typeEbEEZZNS1_14partition_implILS5_1ELb0ES3_jN6thrust23THRUST_200600_302600_NS6detail15normal_iteratorINSA_10device_ptrIsEEEEPS6_NSA_18transform_iteratorINSA_8identityIsEESF_NSA_11use_defaultESK_EENS0_5tupleIJSF_SF_EEENSM_IJSG_SG_EEES6_PlJS6_EEE10hipError_tPvRmT3_T4_T5_T6_T7_T9_mT8_P12ihipStream_tbDpT10_ENKUlT_T0_E_clISt17integral_constantIbLb1EES19_EEDaS14_S15_EUlS14_E_NS1_11comp_targetILNS1_3genE5ELNS1_11target_archE942ELNS1_3gpuE9ELNS1_3repE0EEENS1_30default_config_static_selectorELNS0_4arch9wavefront6targetE1EEEvT1_, .Lfunc_end650-_ZN7rocprim17ROCPRIM_400000_NS6detail17trampoline_kernelINS0_14default_configENS1_25partition_config_selectorILNS1_17partition_subalgoE1EsNS0_10empty_typeEbEEZZNS1_14partition_implILS5_1ELb0ES3_jN6thrust23THRUST_200600_302600_NS6detail15normal_iteratorINSA_10device_ptrIsEEEEPS6_NSA_18transform_iteratorINSA_8identityIsEESF_NSA_11use_defaultESK_EENS0_5tupleIJSF_SF_EEENSM_IJSG_SG_EEES6_PlJS6_EEE10hipError_tPvRmT3_T4_T5_T6_T7_T9_mT8_P12ihipStream_tbDpT10_ENKUlT_T0_E_clISt17integral_constantIbLb1EES19_EEDaS14_S15_EUlS14_E_NS1_11comp_targetILNS1_3genE5ELNS1_11target_archE942ELNS1_3gpuE9ELNS1_3repE0EEENS1_30default_config_static_selectorELNS0_4arch9wavefront6targetE1EEEvT1_
                                        ; -- End function
	.section	.AMDGPU.csdata,"",@progbits
; Kernel info:
; codeLenInByte = 0
; NumSgprs: 4
; NumVgprs: 0
; NumAgprs: 0
; TotalNumVgprs: 0
; ScratchSize: 0
; MemoryBound: 0
; FloatMode: 240
; IeeeMode: 1
; LDSByteSize: 0 bytes/workgroup (compile time only)
; SGPRBlocks: 0
; VGPRBlocks: 0
; NumSGPRsForWavesPerEU: 4
; NumVGPRsForWavesPerEU: 1
; AccumOffset: 4
; Occupancy: 8
; WaveLimiterHint : 0
; COMPUTE_PGM_RSRC2:SCRATCH_EN: 0
; COMPUTE_PGM_RSRC2:USER_SGPR: 6
; COMPUTE_PGM_RSRC2:TRAP_HANDLER: 0
; COMPUTE_PGM_RSRC2:TGID_X_EN: 1
; COMPUTE_PGM_RSRC2:TGID_Y_EN: 0
; COMPUTE_PGM_RSRC2:TGID_Z_EN: 0
; COMPUTE_PGM_RSRC2:TIDIG_COMP_CNT: 0
; COMPUTE_PGM_RSRC3_GFX90A:ACCUM_OFFSET: 0
; COMPUTE_PGM_RSRC3_GFX90A:TG_SPLIT: 0
	.section	.text._ZN7rocprim17ROCPRIM_400000_NS6detail17trampoline_kernelINS0_14default_configENS1_25partition_config_selectorILNS1_17partition_subalgoE1EsNS0_10empty_typeEbEEZZNS1_14partition_implILS5_1ELb0ES3_jN6thrust23THRUST_200600_302600_NS6detail15normal_iteratorINSA_10device_ptrIsEEEEPS6_NSA_18transform_iteratorINSA_8identityIsEESF_NSA_11use_defaultESK_EENS0_5tupleIJSF_SF_EEENSM_IJSG_SG_EEES6_PlJS6_EEE10hipError_tPvRmT3_T4_T5_T6_T7_T9_mT8_P12ihipStream_tbDpT10_ENKUlT_T0_E_clISt17integral_constantIbLb1EES19_EEDaS14_S15_EUlS14_E_NS1_11comp_targetILNS1_3genE4ELNS1_11target_archE910ELNS1_3gpuE8ELNS1_3repE0EEENS1_30default_config_static_selectorELNS0_4arch9wavefront6targetE1EEEvT1_,"axG",@progbits,_ZN7rocprim17ROCPRIM_400000_NS6detail17trampoline_kernelINS0_14default_configENS1_25partition_config_selectorILNS1_17partition_subalgoE1EsNS0_10empty_typeEbEEZZNS1_14partition_implILS5_1ELb0ES3_jN6thrust23THRUST_200600_302600_NS6detail15normal_iteratorINSA_10device_ptrIsEEEEPS6_NSA_18transform_iteratorINSA_8identityIsEESF_NSA_11use_defaultESK_EENS0_5tupleIJSF_SF_EEENSM_IJSG_SG_EEES6_PlJS6_EEE10hipError_tPvRmT3_T4_T5_T6_T7_T9_mT8_P12ihipStream_tbDpT10_ENKUlT_T0_E_clISt17integral_constantIbLb1EES19_EEDaS14_S15_EUlS14_E_NS1_11comp_targetILNS1_3genE4ELNS1_11target_archE910ELNS1_3gpuE8ELNS1_3repE0EEENS1_30default_config_static_selectorELNS0_4arch9wavefront6targetE1EEEvT1_,comdat
	.protected	_ZN7rocprim17ROCPRIM_400000_NS6detail17trampoline_kernelINS0_14default_configENS1_25partition_config_selectorILNS1_17partition_subalgoE1EsNS0_10empty_typeEbEEZZNS1_14partition_implILS5_1ELb0ES3_jN6thrust23THRUST_200600_302600_NS6detail15normal_iteratorINSA_10device_ptrIsEEEEPS6_NSA_18transform_iteratorINSA_8identityIsEESF_NSA_11use_defaultESK_EENS0_5tupleIJSF_SF_EEENSM_IJSG_SG_EEES6_PlJS6_EEE10hipError_tPvRmT3_T4_T5_T6_T7_T9_mT8_P12ihipStream_tbDpT10_ENKUlT_T0_E_clISt17integral_constantIbLb1EES19_EEDaS14_S15_EUlS14_E_NS1_11comp_targetILNS1_3genE4ELNS1_11target_archE910ELNS1_3gpuE8ELNS1_3repE0EEENS1_30default_config_static_selectorELNS0_4arch9wavefront6targetE1EEEvT1_ ; -- Begin function _ZN7rocprim17ROCPRIM_400000_NS6detail17trampoline_kernelINS0_14default_configENS1_25partition_config_selectorILNS1_17partition_subalgoE1EsNS0_10empty_typeEbEEZZNS1_14partition_implILS5_1ELb0ES3_jN6thrust23THRUST_200600_302600_NS6detail15normal_iteratorINSA_10device_ptrIsEEEEPS6_NSA_18transform_iteratorINSA_8identityIsEESF_NSA_11use_defaultESK_EENS0_5tupleIJSF_SF_EEENSM_IJSG_SG_EEES6_PlJS6_EEE10hipError_tPvRmT3_T4_T5_T6_T7_T9_mT8_P12ihipStream_tbDpT10_ENKUlT_T0_E_clISt17integral_constantIbLb1EES19_EEDaS14_S15_EUlS14_E_NS1_11comp_targetILNS1_3genE4ELNS1_11target_archE910ELNS1_3gpuE8ELNS1_3repE0EEENS1_30default_config_static_selectorELNS0_4arch9wavefront6targetE1EEEvT1_
	.globl	_ZN7rocprim17ROCPRIM_400000_NS6detail17trampoline_kernelINS0_14default_configENS1_25partition_config_selectorILNS1_17partition_subalgoE1EsNS0_10empty_typeEbEEZZNS1_14partition_implILS5_1ELb0ES3_jN6thrust23THRUST_200600_302600_NS6detail15normal_iteratorINSA_10device_ptrIsEEEEPS6_NSA_18transform_iteratorINSA_8identityIsEESF_NSA_11use_defaultESK_EENS0_5tupleIJSF_SF_EEENSM_IJSG_SG_EEES6_PlJS6_EEE10hipError_tPvRmT3_T4_T5_T6_T7_T9_mT8_P12ihipStream_tbDpT10_ENKUlT_T0_E_clISt17integral_constantIbLb1EES19_EEDaS14_S15_EUlS14_E_NS1_11comp_targetILNS1_3genE4ELNS1_11target_archE910ELNS1_3gpuE8ELNS1_3repE0EEENS1_30default_config_static_selectorELNS0_4arch9wavefront6targetE1EEEvT1_
	.p2align	8
	.type	_ZN7rocprim17ROCPRIM_400000_NS6detail17trampoline_kernelINS0_14default_configENS1_25partition_config_selectorILNS1_17partition_subalgoE1EsNS0_10empty_typeEbEEZZNS1_14partition_implILS5_1ELb0ES3_jN6thrust23THRUST_200600_302600_NS6detail15normal_iteratorINSA_10device_ptrIsEEEEPS6_NSA_18transform_iteratorINSA_8identityIsEESF_NSA_11use_defaultESK_EENS0_5tupleIJSF_SF_EEENSM_IJSG_SG_EEES6_PlJS6_EEE10hipError_tPvRmT3_T4_T5_T6_T7_T9_mT8_P12ihipStream_tbDpT10_ENKUlT_T0_E_clISt17integral_constantIbLb1EES19_EEDaS14_S15_EUlS14_E_NS1_11comp_targetILNS1_3genE4ELNS1_11target_archE910ELNS1_3gpuE8ELNS1_3repE0EEENS1_30default_config_static_selectorELNS0_4arch9wavefront6targetE1EEEvT1_,@function
_ZN7rocprim17ROCPRIM_400000_NS6detail17trampoline_kernelINS0_14default_configENS1_25partition_config_selectorILNS1_17partition_subalgoE1EsNS0_10empty_typeEbEEZZNS1_14partition_implILS5_1ELb0ES3_jN6thrust23THRUST_200600_302600_NS6detail15normal_iteratorINSA_10device_ptrIsEEEEPS6_NSA_18transform_iteratorINSA_8identityIsEESF_NSA_11use_defaultESK_EENS0_5tupleIJSF_SF_EEENSM_IJSG_SG_EEES6_PlJS6_EEE10hipError_tPvRmT3_T4_T5_T6_T7_T9_mT8_P12ihipStream_tbDpT10_ENKUlT_T0_E_clISt17integral_constantIbLb1EES19_EEDaS14_S15_EUlS14_E_NS1_11comp_targetILNS1_3genE4ELNS1_11target_archE910ELNS1_3gpuE8ELNS1_3repE0EEENS1_30default_config_static_selectorELNS0_4arch9wavefront6targetE1EEEvT1_: ; @_ZN7rocprim17ROCPRIM_400000_NS6detail17trampoline_kernelINS0_14default_configENS1_25partition_config_selectorILNS1_17partition_subalgoE1EsNS0_10empty_typeEbEEZZNS1_14partition_implILS5_1ELb0ES3_jN6thrust23THRUST_200600_302600_NS6detail15normal_iteratorINSA_10device_ptrIsEEEEPS6_NSA_18transform_iteratorINSA_8identityIsEESF_NSA_11use_defaultESK_EENS0_5tupleIJSF_SF_EEENSM_IJSG_SG_EEES6_PlJS6_EEE10hipError_tPvRmT3_T4_T5_T6_T7_T9_mT8_P12ihipStream_tbDpT10_ENKUlT_T0_E_clISt17integral_constantIbLb1EES19_EEDaS14_S15_EUlS14_E_NS1_11comp_targetILNS1_3genE4ELNS1_11target_archE910ELNS1_3gpuE8ELNS1_3repE0EEENS1_30default_config_static_selectorELNS0_4arch9wavefront6targetE1EEEvT1_
; %bb.0:
	s_load_dwordx2 s[6:7], s[4:5], 0x20
	s_load_dwordx4 s[20:23], s[4:5], 0x50
	s_load_dwordx2 s[2:3], s[4:5], 0x60
	s_load_dwordx2 s[30:31], s[4:5], 0x70
	v_cmp_eq_u32_e64 s[0:1], 0, v0
	s_and_saveexec_b64 s[8:9], s[0:1]
	s_cbranch_execz .LBB651_4
; %bb.1:
	s_mov_b64 s[12:13], exec
	v_mbcnt_lo_u32_b32 v1, s12, 0
	v_mbcnt_hi_u32_b32 v1, s13, v1
	v_cmp_eq_u32_e32 vcc, 0, v1
                                        ; implicit-def: $vgpr2
	s_and_saveexec_b64 s[10:11], vcc
	s_cbranch_execz .LBB651_3
; %bb.2:
	s_load_dwordx2 s[14:15], s[4:5], 0x80
	s_bcnt1_i32_b64 s12, s[12:13]
	v_mov_b32_e32 v2, 0
	v_mov_b32_e32 v3, s12
	s_waitcnt lgkmcnt(0)
	global_atomic_add v2, v2, v3, s[14:15] glc
.LBB651_3:
	s_or_b64 exec, exec, s[10:11]
	s_waitcnt vmcnt(0)
	v_readfirstlane_b32 s10, v2
	v_add_u32_e32 v1, s10, v1
	v_mov_b32_e32 v2, 0
	ds_write_b32 v2, v1
.LBB651_4:
	s_or_b64 exec, exec, s[8:9]
	v_mov_b32_e32 v3, 0
	s_load_dwordx4 s[16:19], s[4:5], 0x8
	s_load_dwordx4 s[24:27], s[4:5], 0x30
	s_load_dword s8, s[4:5], 0x78
	s_waitcnt lgkmcnt(0)
	s_barrier
	ds_read_b32 v1, v3
	s_waitcnt lgkmcnt(0)
	s_barrier
	global_load_dwordx2 v[10:11], v3, s[22:23]
	v_mov_b32_e32 v5, s3
	s_lshl_b64 s[4:5], s[18:19], 1
	s_movk_i32 s3, 0x1400
	s_add_u32 s9, s16, s4
	v_mul_lo_u32 v2, v1, s3
	s_mul_i32 s3, s8, 0x1400
	s_addc_u32 s10, s17, s5
	s_add_i32 s11, s8, -1
	s_add_i32 s8, s3, s18
	s_sub_i32 s33, s2, s8
	s_addk_i32 s33, 0x1400
	v_mov_b32_e32 v4, s2
	s_add_u32 s2, s18, s3
	v_readfirstlane_b32 s40, v1
	s_addc_u32 s3, s19, 0
	s_cmp_eq_u32 s40, s11
	s_cselect_b64 s[22:23], -1, 0
	s_cmp_lg_u32 s40, s11
	v_cmp_lt_u64_e32 vcc, s[2:3], v[4:5]
	s_cselect_b64 s[2:3], -1, 0
	v_lshlrev_b64 v[12:13], 1, v[2:3]
	s_or_b64 s[28:29], vcc, s[2:3]
	v_mov_b32_e32 v2, s10
	v_add_co_u32_e32 v1, vcc, s9, v12
	v_addc_co_u32_e32 v2, vcc, v2, v13, vcc
	s_mov_b64 s[2:3], -1
	s_and_b64 vcc, exec, s[28:29]
	v_lshlrev_b32_e32 v30, 1, v0
	s_cbranch_vccz .LBB651_6
; %bb.5:
	v_add_co_u32_e32 v4, vcc, v1, v30
	v_addc_co_u32_e32 v5, vcc, 0, v2, vcc
	v_add_co_u32_e32 v6, vcc, 0x1000, v4
	v_addc_co_u32_e32 v7, vcc, 0, v5, vcc
	flat_load_ushort v3, v[4:5]
	flat_load_ushort v8, v[4:5] offset:512
	flat_load_ushort v9, v[4:5] offset:1024
	;; [unrolled: 1-line block ×7, first 2 shown]
	v_add_co_u32_e32 v4, vcc, 0x2000, v4
	v_addc_co_u32_e32 v5, vcc, 0, v5, vcc
	flat_load_ushort v19, v[6:7]
	flat_load_ushort v20, v[6:7] offset:512
	flat_load_ushort v21, v[6:7] offset:1024
	;; [unrolled: 1-line block ×7, first 2 shown]
	s_nop 0
	flat_load_ushort v6, v[4:5]
	flat_load_ushort v7, v[4:5] offset:512
	flat_load_ushort v27, v[4:5] offset:1024
	flat_load_ushort v28, v[4:5] offset:1536
	s_mov_b64 s[2:3], 0
	s_waitcnt vmcnt(0) lgkmcnt(0)
	ds_write_b16 v30, v3
	ds_write_b16 v30, v8 offset:512
	ds_write_b16 v30, v9 offset:1024
	;; [unrolled: 1-line block ×19, first 2 shown]
	s_waitcnt lgkmcnt(0)
	s_barrier
.LBB651_6:
	s_andn2_b64 vcc, exec, s[2:3]
	v_cmp_gt_u32_e64 s[2:3], s33, v0
	s_cbranch_vccnz .LBB651_48
; %bb.7:
                                        ; implicit-def: $vgpr3
	s_and_saveexec_b64 s[8:9], s[2:3]
	s_cbranch_execz .LBB651_9
; %bb.8:
	v_add_co_u32_e32 v4, vcc, v1, v30
	v_addc_co_u32_e32 v5, vcc, 0, v2, vcc
	flat_load_ushort v3, v[4:5]
.LBB651_9:
	s_or_b64 exec, exec, s[8:9]
	v_or_b32_e32 v4, 0x100, v0
	v_cmp_gt_u32_e32 vcc, s33, v4
                                        ; implicit-def: $vgpr4
	s_and_saveexec_b64 s[2:3], vcc
	s_cbranch_execz .LBB651_11
; %bb.10:
	v_add_co_u32_e32 v4, vcc, v1, v30
	v_addc_co_u32_e32 v5, vcc, 0, v2, vcc
	flat_load_ushort v4, v[4:5] offset:512
.LBB651_11:
	s_or_b64 exec, exec, s[2:3]
	v_or_b32_e32 v5, 0x200, v0
	v_cmp_gt_u32_e32 vcc, s33, v5
                                        ; implicit-def: $vgpr5
	s_and_saveexec_b64 s[2:3], vcc
	s_cbranch_execz .LBB651_13
; %bb.12:
	v_add_co_u32_e32 v6, vcc, v1, v30
	v_addc_co_u32_e32 v7, vcc, 0, v2, vcc
	flat_load_ushort v5, v[6:7] offset:1024
.LBB651_13:
	s_or_b64 exec, exec, s[2:3]
	v_or_b32_e32 v6, 0x300, v0
	v_cmp_gt_u32_e32 vcc, s33, v6
                                        ; implicit-def: $vgpr6
	s_and_saveexec_b64 s[2:3], vcc
	s_cbranch_execz .LBB651_15
; %bb.14:
	v_add_co_u32_e32 v6, vcc, v1, v30
	v_addc_co_u32_e32 v7, vcc, 0, v2, vcc
	flat_load_ushort v6, v[6:7] offset:1536
.LBB651_15:
	s_or_b64 exec, exec, s[2:3]
	v_or_b32_e32 v7, 0x400, v0
	v_cmp_gt_u32_e32 vcc, s33, v7
                                        ; implicit-def: $vgpr7
	s_and_saveexec_b64 s[2:3], vcc
	s_cbranch_execz .LBB651_17
; %bb.16:
	v_add_co_u32_e32 v8, vcc, v1, v30
	v_addc_co_u32_e32 v9, vcc, 0, v2, vcc
	flat_load_ushort v7, v[8:9] offset:2048
.LBB651_17:
	s_or_b64 exec, exec, s[2:3]
	v_or_b32_e32 v8, 0x500, v0
	v_cmp_gt_u32_e32 vcc, s33, v8
                                        ; implicit-def: $vgpr8
	s_and_saveexec_b64 s[2:3], vcc
	s_cbranch_execz .LBB651_19
; %bb.18:
	v_add_co_u32_e32 v8, vcc, v1, v30
	v_addc_co_u32_e32 v9, vcc, 0, v2, vcc
	flat_load_ushort v8, v[8:9] offset:2560
.LBB651_19:
	s_or_b64 exec, exec, s[2:3]
	v_or_b32_e32 v9, 0x600, v0
	v_cmp_gt_u32_e32 vcc, s33, v9
                                        ; implicit-def: $vgpr9
	s_and_saveexec_b64 s[2:3], vcc
	s_cbranch_execz .LBB651_21
; %bb.20:
	v_add_co_u32_e32 v14, vcc, v1, v30
	v_addc_co_u32_e32 v15, vcc, 0, v2, vcc
	flat_load_ushort v9, v[14:15] offset:3072
.LBB651_21:
	s_or_b64 exec, exec, s[2:3]
	v_or_b32_e32 v14, 0x700, v0
	v_cmp_gt_u32_e32 vcc, s33, v14
                                        ; implicit-def: $vgpr14
	s_and_saveexec_b64 s[2:3], vcc
	s_cbranch_execz .LBB651_23
; %bb.22:
	v_add_co_u32_e32 v14, vcc, v1, v30
	v_addc_co_u32_e32 v15, vcc, 0, v2, vcc
	flat_load_ushort v14, v[14:15] offset:3584
.LBB651_23:
	s_or_b64 exec, exec, s[2:3]
	v_or_b32_e32 v16, 0x800, v0
	v_cmp_gt_u32_e32 vcc, s33, v16
                                        ; implicit-def: $vgpr15
	s_and_saveexec_b64 s[2:3], vcc
	s_cbranch_execz .LBB651_25
; %bb.24:
	v_lshlrev_b32_e32 v15, 1, v16
	v_add_co_u32_e32 v16, vcc, v1, v15
	v_addc_co_u32_e32 v17, vcc, 0, v2, vcc
	flat_load_ushort v15, v[16:17]
.LBB651_25:
	s_or_b64 exec, exec, s[2:3]
	v_or_b32_e32 v17, 0x900, v0
	v_cmp_gt_u32_e32 vcc, s33, v17
                                        ; implicit-def: $vgpr16
	s_and_saveexec_b64 s[2:3], vcc
	s_cbranch_execz .LBB651_27
; %bb.26:
	v_lshlrev_b32_e32 v16, 1, v17
	v_add_co_u32_e32 v16, vcc, v1, v16
	v_addc_co_u32_e32 v17, vcc, 0, v2, vcc
	flat_load_ushort v16, v[16:17]
.LBB651_27:
	s_or_b64 exec, exec, s[2:3]
	v_or_b32_e32 v18, 0xa00, v0
	v_cmp_gt_u32_e32 vcc, s33, v18
                                        ; implicit-def: $vgpr17
	s_and_saveexec_b64 s[2:3], vcc
	s_cbranch_execz .LBB651_29
; %bb.28:
	v_lshlrev_b32_e32 v17, 1, v18
	v_add_co_u32_e32 v18, vcc, v1, v17
	v_addc_co_u32_e32 v19, vcc, 0, v2, vcc
	flat_load_ushort v17, v[18:19]
.LBB651_29:
	s_or_b64 exec, exec, s[2:3]
	v_or_b32_e32 v19, 0xb00, v0
	v_cmp_gt_u32_e32 vcc, s33, v19
                                        ; implicit-def: $vgpr18
	s_and_saveexec_b64 s[2:3], vcc
	s_cbranch_execz .LBB651_31
; %bb.30:
	v_lshlrev_b32_e32 v18, 1, v19
	v_add_co_u32_e32 v18, vcc, v1, v18
	v_addc_co_u32_e32 v19, vcc, 0, v2, vcc
	flat_load_ushort v18, v[18:19]
.LBB651_31:
	s_or_b64 exec, exec, s[2:3]
	v_or_b32_e32 v20, 0xc00, v0
	v_cmp_gt_u32_e32 vcc, s33, v20
                                        ; implicit-def: $vgpr19
	s_and_saveexec_b64 s[2:3], vcc
	s_cbranch_execz .LBB651_33
; %bb.32:
	v_lshlrev_b32_e32 v19, 1, v20
	v_add_co_u32_e32 v20, vcc, v1, v19
	v_addc_co_u32_e32 v21, vcc, 0, v2, vcc
	flat_load_ushort v19, v[20:21]
.LBB651_33:
	s_or_b64 exec, exec, s[2:3]
	v_or_b32_e32 v21, 0xd00, v0
	v_cmp_gt_u32_e32 vcc, s33, v21
                                        ; implicit-def: $vgpr20
	s_and_saveexec_b64 s[2:3], vcc
	s_cbranch_execz .LBB651_35
; %bb.34:
	v_lshlrev_b32_e32 v20, 1, v21
	v_add_co_u32_e32 v20, vcc, v1, v20
	v_addc_co_u32_e32 v21, vcc, 0, v2, vcc
	flat_load_ushort v20, v[20:21]
.LBB651_35:
	s_or_b64 exec, exec, s[2:3]
	v_or_b32_e32 v22, 0xe00, v0
	v_cmp_gt_u32_e32 vcc, s33, v22
                                        ; implicit-def: $vgpr21
	s_and_saveexec_b64 s[2:3], vcc
	s_cbranch_execz .LBB651_37
; %bb.36:
	v_lshlrev_b32_e32 v21, 1, v22
	v_add_co_u32_e32 v22, vcc, v1, v21
	v_addc_co_u32_e32 v23, vcc, 0, v2, vcc
	flat_load_ushort v21, v[22:23]
.LBB651_37:
	s_or_b64 exec, exec, s[2:3]
	v_or_b32_e32 v23, 0xf00, v0
	v_cmp_gt_u32_e32 vcc, s33, v23
                                        ; implicit-def: $vgpr22
	s_and_saveexec_b64 s[2:3], vcc
	s_cbranch_execz .LBB651_39
; %bb.38:
	v_lshlrev_b32_e32 v22, 1, v23
	v_add_co_u32_e32 v22, vcc, v1, v22
	v_addc_co_u32_e32 v23, vcc, 0, v2, vcc
	flat_load_ushort v22, v[22:23]
.LBB651_39:
	s_or_b64 exec, exec, s[2:3]
	v_or_b32_e32 v24, 0x1000, v0
	v_cmp_gt_u32_e32 vcc, s33, v24
                                        ; implicit-def: $vgpr23
	s_and_saveexec_b64 s[2:3], vcc
	s_cbranch_execz .LBB651_41
; %bb.40:
	v_lshlrev_b32_e32 v23, 1, v24
	v_add_co_u32_e32 v24, vcc, v1, v23
	v_addc_co_u32_e32 v25, vcc, 0, v2, vcc
	flat_load_ushort v23, v[24:25]
.LBB651_41:
	s_or_b64 exec, exec, s[2:3]
	v_or_b32_e32 v25, 0x1100, v0
	v_cmp_gt_u32_e32 vcc, s33, v25
                                        ; implicit-def: $vgpr24
	s_and_saveexec_b64 s[2:3], vcc
	s_cbranch_execz .LBB651_43
; %bb.42:
	v_lshlrev_b32_e32 v24, 1, v25
	v_add_co_u32_e32 v24, vcc, v1, v24
	v_addc_co_u32_e32 v25, vcc, 0, v2, vcc
	flat_load_ushort v24, v[24:25]
.LBB651_43:
	s_or_b64 exec, exec, s[2:3]
	v_or_b32_e32 v26, 0x1200, v0
	v_cmp_gt_u32_e32 vcc, s33, v26
                                        ; implicit-def: $vgpr25
	s_and_saveexec_b64 s[2:3], vcc
	s_cbranch_execz .LBB651_45
; %bb.44:
	v_lshlrev_b32_e32 v25, 1, v26
	v_add_co_u32_e32 v26, vcc, v1, v25
	v_addc_co_u32_e32 v27, vcc, 0, v2, vcc
	flat_load_ushort v25, v[26:27]
.LBB651_45:
	s_or_b64 exec, exec, s[2:3]
	v_or_b32_e32 v27, 0x1300, v0
	v_cmp_gt_u32_e32 vcc, s33, v27
                                        ; implicit-def: $vgpr26
	s_and_saveexec_b64 s[2:3], vcc
	s_cbranch_execz .LBB651_47
; %bb.46:
	v_lshlrev_b32_e32 v26, 1, v27
	v_add_co_u32_e32 v26, vcc, v1, v26
	v_addc_co_u32_e32 v27, vcc, 0, v2, vcc
	flat_load_ushort v26, v[26:27]
.LBB651_47:
	s_or_b64 exec, exec, s[2:3]
	s_waitcnt vmcnt(0) lgkmcnt(0)
	ds_write_b16 v30, v3
	ds_write_b16 v30, v4 offset:512
	ds_write_b16 v30, v5 offset:1024
	;; [unrolled: 1-line block ×19, first 2 shown]
	s_waitcnt lgkmcnt(0)
	s_barrier
.LBB651_48:
	v_mul_u32_u24_e32 v31, 20, v0
	v_lshlrev_b32_e32 v1, 1, v31
	ds_read_b64 v[14:15], v1 offset:32
	ds_read2_b64 v[2:5], v1 offset0:2 offset1:3
	ds_read2_b64 v[6:9], v1 offset1:1
	s_add_u32 s2, s6, s4
	s_addc_u32 s3, s7, s5
	v_mov_b32_e32 v1, s3
	v_add_co_u32_e32 v16, vcc, s2, v12
	v_addc_co_u32_e32 v1, vcc, v1, v13, vcc
	s_mov_b64 s[2:3], -1
	s_and_b64 vcc, exec, s[28:29]
	s_waitcnt lgkmcnt(0)
	s_barrier
	s_cbranch_vccz .LBB651_50
; %bb.49:
	v_add_co_u32_e32 v17, vcc, v16, v30
	v_readfirstlane_b32 s2, v16
	v_readfirstlane_b32 s3, v1
	v_addc_co_u32_e32 v21, vcc, 0, v1, vcc
	s_nop 3
	global_load_ushort v22, v30, s[2:3]
	global_load_ushort v23, v30, s[2:3] offset:512
	global_load_ushort v24, v30, s[2:3] offset:1024
	;; [unrolled: 1-line block ×7, first 2 shown]
	s_movk_i32 s3, 0x2000
	v_add_co_u32_e32 v18, vcc, s3, v17
	v_addc_co_u32_e32 v19, vcc, 0, v21, vcc
	global_load_ushort v32, v[18:19], off offset:-4096
	s_movk_i32 s2, 0x1000
	v_add_co_u32_e32 v20, vcc, s2, v17
	v_addc_co_u32_e32 v21, vcc, 0, v21, vcc
	global_load_ushort v17, v[20:21], off offset:512
	global_load_ushort v33, v[20:21], off offset:1024
	;; [unrolled: 1-line block ×7, first 2 shown]
	global_load_ushort v39, v[18:19], off
	global_load_ushort v40, v[18:19], off offset:512
	global_load_ushort v41, v[18:19], off offset:1024
	global_load_ushort v42, v[18:19], off offset:1536
	s_mov_b64 s[2:3], 0
	s_waitcnt vmcnt(19)
	v_cmp_ne_u16_e32 vcc, 0, v22
	v_cndmask_b32_e64 v18, 0, 1, vcc
	s_waitcnt vmcnt(18)
	v_cmp_ne_u16_e32 vcc, 0, v23
	v_cndmask_b32_e64 v19, 0, 1, vcc
	;; [unrolled: 3-line block ×20, first 2 shown]
	ds_write_b8 v0, v18
	ds_write_b8 v0, v19 offset:256
	ds_write_b8 v0, v20 offset:512
	;; [unrolled: 1-line block ×19, first 2 shown]
	s_waitcnt lgkmcnt(0)
	s_barrier
.LBB651_50:
	s_andn2_b64 vcc, exec, s[2:3]
	s_cbranch_vccnz .LBB651_92
; %bb.51:
	v_cmp_gt_u32_e32 vcc, s33, v0
	v_mov_b32_e32 v17, 0
	v_mov_b32_e32 v18, 0
	s_and_saveexec_b64 s[2:3], vcc
	s_cbranch_execz .LBB651_53
; %bb.52:
	v_readfirstlane_b32 s4, v16
	v_readfirstlane_b32 s5, v1
	s_nop 4
	global_load_ushort v18, v30, s[4:5]
	s_waitcnt vmcnt(0)
	v_cmp_ne_u16_e32 vcc, 0, v18
	v_cndmask_b32_e64 v18, 0, 1, vcc
.LBB651_53:
	s_or_b64 exec, exec, s[2:3]
	v_or_b32_e32 v19, 0x100, v0
	v_cmp_gt_u32_e32 vcc, s33, v19
	s_and_saveexec_b64 s[2:3], vcc
	s_cbranch_execz .LBB651_55
; %bb.54:
	v_readfirstlane_b32 s4, v16
	v_readfirstlane_b32 s5, v1
	s_nop 4
	global_load_ushort v17, v30, s[4:5] offset:512
	s_waitcnt vmcnt(0)
	v_cmp_ne_u16_e32 vcc, 0, v17
	v_cndmask_b32_e64 v17, 0, 1, vcc
.LBB651_55:
	s_or_b64 exec, exec, s[2:3]
	v_or_b32_e32 v19, 0x200, v0
	v_cmp_gt_u32_e32 vcc, s33, v19
	v_mov_b32_e32 v19, 0
	v_mov_b32_e32 v20, 0
	s_and_saveexec_b64 s[2:3], vcc
	s_cbranch_execz .LBB651_57
; %bb.56:
	v_readfirstlane_b32 s4, v16
	v_readfirstlane_b32 s5, v1
	s_nop 4
	global_load_ushort v20, v30, s[4:5] offset:1024
	s_waitcnt vmcnt(0)
	v_cmp_ne_u16_e32 vcc, 0, v20
	v_cndmask_b32_e64 v20, 0, 1, vcc
.LBB651_57:
	s_or_b64 exec, exec, s[2:3]
	v_or_b32_e32 v21, 0x300, v0
	v_cmp_gt_u32_e32 vcc, s33, v21
	s_and_saveexec_b64 s[2:3], vcc
	s_cbranch_execz .LBB651_59
; %bb.58:
	v_readfirstlane_b32 s4, v16
	v_readfirstlane_b32 s5, v1
	s_nop 4
	global_load_ushort v19, v30, s[4:5] offset:1536
	s_waitcnt vmcnt(0)
	v_cmp_ne_u16_e32 vcc, 0, v19
	v_cndmask_b32_e64 v19, 0, 1, vcc
.LBB651_59:
	s_or_b64 exec, exec, s[2:3]
	v_or_b32_e32 v21, 0x400, v0
	v_cmp_gt_u32_e32 vcc, s33, v21
	v_mov_b32_e32 v21, 0
	v_mov_b32_e32 v22, 0
	s_and_saveexec_b64 s[2:3], vcc
	s_cbranch_execz .LBB651_61
; %bb.60:
	v_readfirstlane_b32 s4, v16
	v_readfirstlane_b32 s5, v1
	s_nop 4
	global_load_ushort v22, v30, s[4:5] offset:2048
	s_waitcnt vmcnt(0)
	v_cmp_ne_u16_e32 vcc, 0, v22
	v_cndmask_b32_e64 v22, 0, 1, vcc
.LBB651_61:
	s_or_b64 exec, exec, s[2:3]
	v_or_b32_e32 v23, 0x500, v0
	v_cmp_gt_u32_e32 vcc, s33, v23
	s_and_saveexec_b64 s[2:3], vcc
	s_cbranch_execz .LBB651_63
; %bb.62:
	v_readfirstlane_b32 s4, v16
	v_readfirstlane_b32 s5, v1
	s_nop 4
	global_load_ushort v21, v30, s[4:5] offset:2560
	s_waitcnt vmcnt(0)
	v_cmp_ne_u16_e32 vcc, 0, v21
	v_cndmask_b32_e64 v21, 0, 1, vcc
.LBB651_63:
	s_or_b64 exec, exec, s[2:3]
	v_or_b32_e32 v23, 0x600, v0
	v_cmp_gt_u32_e32 vcc, s33, v23
	v_mov_b32_e32 v23, 0
	v_mov_b32_e32 v24, 0
	s_and_saveexec_b64 s[2:3], vcc
	s_cbranch_execz .LBB651_65
; %bb.64:
	v_readfirstlane_b32 s4, v16
	v_readfirstlane_b32 s5, v1
	s_nop 4
	global_load_ushort v24, v30, s[4:5] offset:3072
	s_waitcnt vmcnt(0)
	v_cmp_ne_u16_e32 vcc, 0, v24
	v_cndmask_b32_e64 v24, 0, 1, vcc
.LBB651_65:
	s_or_b64 exec, exec, s[2:3]
	v_or_b32_e32 v25, 0x700, v0
	v_cmp_gt_u32_e32 vcc, s33, v25
	s_and_saveexec_b64 s[2:3], vcc
	s_cbranch_execz .LBB651_67
; %bb.66:
	v_readfirstlane_b32 s4, v16
	v_readfirstlane_b32 s5, v1
	s_nop 4
	global_load_ushort v23, v30, s[4:5] offset:3584
	s_waitcnt vmcnt(0)
	v_cmp_ne_u16_e32 vcc, 0, v23
	v_cndmask_b32_e64 v23, 0, 1, vcc
.LBB651_67:
	s_or_b64 exec, exec, s[2:3]
	v_or_b32_e32 v27, 0x800, v0
	v_cmp_gt_u32_e32 vcc, s33, v27
	v_mov_b32_e32 v25, 0
	v_mov_b32_e32 v26, 0
	s_and_saveexec_b64 s[2:3], vcc
	s_cbranch_execz .LBB651_69
; %bb.68:
	v_lshlrev_b32_e32 v26, 1, v27
	v_readfirstlane_b32 s4, v16
	v_readfirstlane_b32 s5, v1
	s_nop 4
	global_load_ushort v26, v26, s[4:5]
	s_waitcnt vmcnt(0)
	v_cmp_ne_u16_e32 vcc, 0, v26
	v_cndmask_b32_e64 v26, 0, 1, vcc
.LBB651_69:
	s_or_b64 exec, exec, s[2:3]
	v_or_b32_e32 v27, 0x900, v0
	v_cmp_gt_u32_e32 vcc, s33, v27
	s_and_saveexec_b64 s[2:3], vcc
	s_cbranch_execz .LBB651_71
; %bb.70:
	v_lshlrev_b32_e32 v25, 1, v27
	v_readfirstlane_b32 s4, v16
	v_readfirstlane_b32 s5, v1
	s_nop 4
	global_load_ushort v25, v25, s[4:5]
	s_waitcnt vmcnt(0)
	v_cmp_ne_u16_e32 vcc, 0, v25
	v_cndmask_b32_e64 v25, 0, 1, vcc
.LBB651_71:
	s_or_b64 exec, exec, s[2:3]
	v_or_b32_e32 v29, 0xa00, v0
	v_cmp_gt_u32_e32 vcc, s33, v29
	v_mov_b32_e32 v27, 0
	v_mov_b32_e32 v28, 0
	s_and_saveexec_b64 s[2:3], vcc
	s_cbranch_execz .LBB651_73
; %bb.72:
	v_lshlrev_b32_e32 v28, 1, v29
	v_readfirstlane_b32 s4, v16
	v_readfirstlane_b32 s5, v1
	s_nop 4
	global_load_ushort v28, v28, s[4:5]
	s_waitcnt vmcnt(0)
	v_cmp_ne_u16_e32 vcc, 0, v28
	v_cndmask_b32_e64 v28, 0, 1, vcc
.LBB651_73:
	s_or_b64 exec, exec, s[2:3]
	v_or_b32_e32 v29, 0xb00, v0
	v_cmp_gt_u32_e32 vcc, s33, v29
	s_and_saveexec_b64 s[2:3], vcc
	s_cbranch_execz .LBB651_75
; %bb.74:
	v_lshlrev_b32_e32 v27, 1, v29
	v_readfirstlane_b32 s4, v16
	v_readfirstlane_b32 s5, v1
	s_nop 4
	global_load_ushort v27, v27, s[4:5]
	s_waitcnt vmcnt(0)
	v_cmp_ne_u16_e32 vcc, 0, v27
	v_cndmask_b32_e64 v27, 0, 1, vcc
.LBB651_75:
	;; [unrolled: 32-line block ×6, first 2 shown]
	s_or_b64 exec, exec, s[2:3]
	ds_write_b8 v0, v18
	ds_write_b8 v0, v17 offset:256
	ds_write_b8 v0, v20 offset:512
	;; [unrolled: 1-line block ×19, first 2 shown]
	s_waitcnt lgkmcnt(0)
	s_barrier
.LBB651_92:
	ds_read2_b32 v[20:21], v31 offset1:1
	ds_read2_b32 v[18:19], v31 offset0:2 offset1:3
	ds_read_b32 v32, v31 offset:16
	s_cmp_lg_u32 s40, 0
	v_lshrrev_b32_e32 v51, 6, v0
	s_waitcnt lgkmcnt(2)
	v_lshrrev_b32_e32 v37, 24, v20
	v_bfe_u32 v49, v20, 16, 8
	v_add_u32_sdwa v16, v20, v20 dst_sel:DWORD dst_unused:UNUSED_PAD src0_sel:BYTE_1 src1_sel:BYTE_0
	v_and_b32_e32 v46, 0xff, v21
	v_bfe_u32 v47, v21, 8, 8
	v_add3_u32 v16, v16, v49, v37
	v_lshrrev_b32_e32 v36, 24, v21
	v_bfe_u32 v48, v21, 16, 8
	v_add3_u32 v16, v16, v46, v47
	s_waitcnt lgkmcnt(1)
	v_and_b32_e32 v43, 0xff, v18
	v_bfe_u32 v44, v18, 8, 8
	v_add3_u32 v16, v16, v48, v36
	v_lshrrev_b32_e32 v35, 24, v18
	v_bfe_u32 v45, v18, 16, 8
	v_add3_u32 v16, v16, v43, v44
	v_and_b32_e32 v40, 0xff, v19
	v_bfe_u32 v41, v19, 8, 8
	v_add3_u32 v16, v16, v45, v35
	v_lshrrev_b32_e32 v34, 24, v19
	v_bfe_u32 v42, v19, 16, 8
	v_add3_u32 v16, v16, v40, v41
	s_waitcnt lgkmcnt(0)
	v_and_b32_e32 v38, 0xff, v32
	v_bfe_u32 v39, v32, 8, 8
	v_add3_u32 v16, v16, v42, v34
	v_lshrrev_b32_e32 v1, 24, v32
	v_bfe_u32 v33, v32, 16, 8
	v_add3_u32 v16, v16, v38, v39
	v_add3_u32 v52, v16, v33, v1
	v_mbcnt_lo_u32_b32 v16, -1, 0
	v_mbcnt_hi_u32_b32 v50, -1, v16
	v_and_b32_e32 v16, 15, v50
	v_cmp_eq_u32_e64 s[14:15], 0, v16
	v_cmp_lt_u32_e64 s[12:13], 1, v16
	v_cmp_lt_u32_e64 s[10:11], 3, v16
	;; [unrolled: 1-line block ×3, first 2 shown]
	v_and_b32_e32 v16, 16, v50
	v_cmp_eq_u32_e64 s[6:7], 0, v16
	v_or_b32_e32 v16, 63, v0
	v_cmp_lt_u32_e64 s[2:3], 31, v50
	v_cmp_eq_u32_e64 s[4:5], v16, v0
	s_barrier
	s_cbranch_scc0 .LBB651_123
; %bb.93:
	v_mov_b32_dpp v16, v52 row_shr:1 row_mask:0xf bank_mask:0xf
	v_cndmask_b32_e64 v16, v16, 0, s[14:15]
	v_add_u32_e32 v16, v16, v52
	s_nop 1
	v_mov_b32_dpp v17, v16 row_shr:2 row_mask:0xf bank_mask:0xf
	v_cndmask_b32_e64 v17, 0, v17, s[12:13]
	v_add_u32_e32 v16, v16, v17
	s_nop 1
	v_mov_b32_dpp v17, v16 row_shr:4 row_mask:0xf bank_mask:0xf
	v_cndmask_b32_e64 v17, 0, v17, s[10:11]
	v_add_u32_e32 v16, v16, v17
	s_nop 1
	v_mov_b32_dpp v17, v16 row_shr:8 row_mask:0xf bank_mask:0xf
	v_cndmask_b32_e64 v17, 0, v17, s[8:9]
	v_add_u32_e32 v16, v16, v17
	s_nop 1
	v_mov_b32_dpp v17, v16 row_bcast:15 row_mask:0xf bank_mask:0xf
	v_cndmask_b32_e64 v17, v17, 0, s[6:7]
	v_add_u32_e32 v16, v16, v17
	s_nop 1
	v_mov_b32_dpp v17, v16 row_bcast:31 row_mask:0xf bank_mask:0xf
	v_cndmask_b32_e64 v17, 0, v17, s[2:3]
	v_add_u32_e32 v16, v16, v17
	s_and_saveexec_b64 s[16:17], s[4:5]
	s_cbranch_execz .LBB651_95
; %bb.94:
	v_lshlrev_b32_e32 v17, 2, v51
	ds_write_b32 v17, v16
.LBB651_95:
	s_or_b64 exec, exec, s[16:17]
	v_cmp_gt_u32_e32 vcc, 4, v0
	s_waitcnt lgkmcnt(0)
	s_barrier
	s_and_saveexec_b64 s[16:17], vcc
	s_cbranch_execz .LBB651_97
; %bb.96:
	v_lshlrev_b32_e32 v17, 2, v0
	ds_read_b32 v22, v17
	v_and_b32_e32 v23, 3, v50
	v_cmp_ne_u32_e32 vcc, 0, v23
	s_waitcnt lgkmcnt(0)
	v_mov_b32_dpp v24, v22 row_shr:1 row_mask:0xf bank_mask:0xf
	v_cndmask_b32_e32 v24, 0, v24, vcc
	v_add_u32_e32 v22, v24, v22
	v_cmp_lt_u32_e32 vcc, 1, v23
	s_nop 0
	v_mov_b32_dpp v24, v22 row_shr:2 row_mask:0xf bank_mask:0xf
	v_cndmask_b32_e32 v23, 0, v24, vcc
	v_add_u32_e32 v22, v22, v23
	ds_write_b32 v17, v22
.LBB651_97:
	s_or_b64 exec, exec, s[16:17]
	v_cmp_gt_u32_e32 vcc, 64, v0
	v_cmp_lt_u32_e64 s[16:17], 63, v0
	s_waitcnt lgkmcnt(0)
	s_barrier
	s_waitcnt lgkmcnt(0)
                                        ; implicit-def: $vgpr53
	s_and_saveexec_b64 s[34:35], s[16:17]
	s_cbranch_execz .LBB651_99
; %bb.98:
	v_lshl_add_u32 v17, v51, 2, -4
	ds_read_b32 v53, v17
	s_waitcnt lgkmcnt(0)
	v_add_u32_e32 v16, v53, v16
.LBB651_99:
	s_or_b64 exec, exec, s[34:35]
	v_add_u32_e32 v17, -1, v50
	v_and_b32_e32 v22, 64, v50
	v_cmp_lt_i32_e64 s[16:17], v17, v22
	v_cndmask_b32_e64 v17, v17, v50, s[16:17]
	v_lshlrev_b32_e32 v17, 2, v17
	ds_bpermute_b32 v54, v17, v16
	v_cmp_eq_u32_e64 s[16:17], 0, v50
	s_and_saveexec_b64 s[34:35], vcc
	s_cbranch_execz .LBB651_122
; %bb.100:
	v_mov_b32_e32 v29, 0
	ds_read_b32 v16, v29 offset:12
	s_and_saveexec_b64 s[36:37], s[16:17]
	s_cbranch_execz .LBB651_102
; %bb.101:
	s_add_i32 s38, s40, 64
	s_mov_b32 s39, 0
	s_lshl_b64 s[38:39], s[38:39], 3
	s_add_u32 s38, s30, s38
	v_mov_b32_e32 v17, 1
	s_addc_u32 s39, s31, s39
	s_waitcnt lgkmcnt(0)
	global_store_dwordx2 v29, v[16:17], s[38:39]
.LBB651_102:
	s_or_b64 exec, exec, s[36:37]
	v_xad_u32 v22, v50, -1, s40
	v_add_u32_e32 v28, 64, v22
	v_lshlrev_b64 v[24:25], 3, v[28:29]
	v_mov_b32_e32 v17, s31
	v_add_co_u32_e32 v24, vcc, s30, v24
	v_addc_co_u32_e32 v25, vcc, v17, v25, vcc
	global_load_dwordx2 v[26:27], v[24:25], off glc
	s_waitcnt vmcnt(0)
	v_cmp_eq_u16_sdwa s[38:39], v27, v29 src0_sel:BYTE_0 src1_sel:DWORD
	s_and_saveexec_b64 s[36:37], s[38:39]
	s_cbranch_execz .LBB651_108
; %bb.103:
	s_mov_b32 s41, 1
	s_mov_b64 s[38:39], 0
	v_mov_b32_e32 v17, 0
.LBB651_104:                            ; =>This Loop Header: Depth=1
                                        ;     Child Loop BB651_105 Depth 2
	s_max_u32 s42, s41, 1
.LBB651_105:                            ;   Parent Loop BB651_104 Depth=1
                                        ; =>  This Inner Loop Header: Depth=2
	s_add_i32 s42, s42, -1
	s_cmp_eq_u32 s42, 0
	s_sleep 1
	s_cbranch_scc0 .LBB651_105
; %bb.106:                              ;   in Loop: Header=BB651_104 Depth=1
	global_load_dwordx2 v[26:27], v[24:25], off glc
	s_cmp_lt_u32 s41, 32
	s_cselect_b64 s[42:43], -1, 0
	s_cmp_lg_u64 s[42:43], 0
	s_addc_u32 s41, s41, 0
	s_waitcnt vmcnt(0)
	v_cmp_ne_u16_sdwa s[42:43], v27, v17 src0_sel:BYTE_0 src1_sel:DWORD
	s_or_b64 s[38:39], s[42:43], s[38:39]
	s_andn2_b64 exec, exec, s[38:39]
	s_cbranch_execnz .LBB651_104
; %bb.107:
	s_or_b64 exec, exec, s[38:39]
.LBB651_108:
	s_or_b64 exec, exec, s[36:37]
	v_and_b32_e32 v56, 63, v50
	v_mov_b32_e32 v55, 2
	v_cmp_ne_u32_e32 vcc, 63, v56
	v_cmp_eq_u16_sdwa s[36:37], v27, v55 src0_sel:BYTE_0 src1_sel:DWORD
	v_lshlrev_b64 v[24:25], v50, -1
	v_addc_co_u32_e32 v28, vcc, 0, v50, vcc
	v_and_b32_e32 v17, s37, v25
	v_lshlrev_b32_e32 v57, 2, v28
	v_or_b32_e32 v17, 0x80000000, v17
	ds_bpermute_b32 v28, v57, v26
	v_and_b32_e32 v23, s36, v24
	v_ffbl_b32_e32 v17, v17
	v_add_u32_e32 v17, 32, v17
	v_ffbl_b32_e32 v23, v23
	v_min_u32_e32 v17, v23, v17
	v_cmp_lt_u32_e32 vcc, v56, v17
	s_waitcnt lgkmcnt(0)
	v_cndmask_b32_e32 v23, 0, v28, vcc
	v_cmp_gt_u32_e32 vcc, 62, v56
	v_add_u32_e32 v23, v23, v26
	v_cndmask_b32_e64 v26, 0, 1, vcc
	v_lshlrev_b32_e32 v26, 1, v26
	v_add_lshl_u32 v58, v26, v50, 2
	ds_bpermute_b32 v26, v58, v23
	v_add_u32_e32 v59, 2, v56
	v_cmp_le_u32_e32 vcc, v59, v17
	v_add_u32_e32 v61, 4, v56
	v_add_u32_e32 v63, 8, v56
	s_waitcnt lgkmcnt(0)
	v_cndmask_b32_e32 v26, 0, v26, vcc
	v_cmp_gt_u32_e32 vcc, 60, v56
	v_add_u32_e32 v23, v23, v26
	v_cndmask_b32_e64 v26, 0, 1, vcc
	v_lshlrev_b32_e32 v26, 2, v26
	v_add_lshl_u32 v60, v26, v50, 2
	ds_bpermute_b32 v26, v60, v23
	v_cmp_le_u32_e32 vcc, v61, v17
	v_add_u32_e32 v65, 16, v56
	v_add_u32_e32 v67, 32, v56
	s_waitcnt lgkmcnt(0)
	v_cndmask_b32_e32 v26, 0, v26, vcc
	v_cmp_gt_u32_e32 vcc, 56, v56
	v_add_u32_e32 v23, v23, v26
	v_cndmask_b32_e64 v26, 0, 1, vcc
	v_lshlrev_b32_e32 v26, 3, v26
	v_add_lshl_u32 v62, v26, v50, 2
	ds_bpermute_b32 v26, v62, v23
	v_cmp_le_u32_e32 vcc, v63, v17
	s_waitcnt lgkmcnt(0)
	v_cndmask_b32_e32 v26, 0, v26, vcc
	v_cmp_gt_u32_e32 vcc, 48, v56
	v_add_u32_e32 v23, v23, v26
	v_cndmask_b32_e64 v26, 0, 1, vcc
	v_lshlrev_b32_e32 v26, 4, v26
	v_add_lshl_u32 v64, v26, v50, 2
	ds_bpermute_b32 v26, v64, v23
	v_cmp_le_u32_e32 vcc, v65, v17
	;; [unrolled: 9-line block ×3, first 2 shown]
	s_waitcnt lgkmcnt(0)
	v_cndmask_b32_e32 v17, 0, v26, vcc
	v_add_u32_e32 v26, v23, v17
	v_mov_b32_e32 v23, 0
	s_branch .LBB651_110
.LBB651_109:                            ;   in Loop: Header=BB651_110 Depth=1
	s_or_b64 exec, exec, s[36:37]
	v_cmp_eq_u16_sdwa s[36:37], v27, v55 src0_sel:BYTE_0 src1_sel:DWORD
	v_and_b32_e32 v28, s37, v25
	v_or_b32_e32 v28, 0x80000000, v28
	ds_bpermute_b32 v68, v57, v26
	v_and_b32_e32 v29, s36, v24
	v_ffbl_b32_e32 v28, v28
	v_add_u32_e32 v28, 32, v28
	v_ffbl_b32_e32 v29, v29
	v_min_u32_e32 v28, v29, v28
	v_cmp_lt_u32_e32 vcc, v56, v28
	s_waitcnt lgkmcnt(0)
	v_cndmask_b32_e32 v29, 0, v68, vcc
	v_add_u32_e32 v26, v29, v26
	ds_bpermute_b32 v29, v58, v26
	v_cmp_le_u32_e32 vcc, v59, v28
	v_subrev_u32_e32 v22, 64, v22
	s_waitcnt lgkmcnt(0)
	v_cndmask_b32_e32 v29, 0, v29, vcc
	v_add_u32_e32 v26, v26, v29
	ds_bpermute_b32 v29, v60, v26
	v_cmp_le_u32_e32 vcc, v61, v28
	s_waitcnt lgkmcnt(0)
	v_cndmask_b32_e32 v29, 0, v29, vcc
	v_add_u32_e32 v26, v26, v29
	ds_bpermute_b32 v29, v62, v26
	v_cmp_le_u32_e32 vcc, v63, v28
	;; [unrolled: 5-line block ×4, first 2 shown]
	s_waitcnt lgkmcnt(0)
	v_cndmask_b32_e32 v28, 0, v29, vcc
	v_add3_u32 v26, v28, v17, v26
.LBB651_110:                            ; =>This Loop Header: Depth=1
                                        ;     Child Loop BB651_113 Depth 2
                                        ;       Child Loop BB651_114 Depth 3
	v_cmp_ne_u16_sdwa s[36:37], v27, v55 src0_sel:BYTE_0 src1_sel:DWORD
	v_cndmask_b32_e64 v17, 0, 1, s[36:37]
	;;#ASMSTART
	;;#ASMEND
	v_cmp_ne_u32_e32 vcc, 0, v17
	s_cmp_lg_u64 vcc, exec
	v_mov_b32_e32 v17, v26
	s_cbranch_scc1 .LBB651_117
; %bb.111:                              ;   in Loop: Header=BB651_110 Depth=1
	v_lshlrev_b64 v[26:27], 3, v[22:23]
	v_mov_b32_e32 v29, s31
	v_add_co_u32_e32 v28, vcc, s30, v26
	v_addc_co_u32_e32 v29, vcc, v29, v27, vcc
	global_load_dwordx2 v[26:27], v[28:29], off glc
	s_waitcnt vmcnt(0)
	v_cmp_eq_u16_sdwa s[38:39], v27, v23 src0_sel:BYTE_0 src1_sel:DWORD
	s_and_saveexec_b64 s[36:37], s[38:39]
	s_cbranch_execz .LBB651_109
; %bb.112:                              ;   in Loop: Header=BB651_110 Depth=1
	s_mov_b32 s41, 1
	s_mov_b64 s[38:39], 0
.LBB651_113:                            ;   Parent Loop BB651_110 Depth=1
                                        ; =>  This Loop Header: Depth=2
                                        ;       Child Loop BB651_114 Depth 3
	s_max_u32 s42, s41, 1
.LBB651_114:                            ;   Parent Loop BB651_110 Depth=1
                                        ;     Parent Loop BB651_113 Depth=2
                                        ; =>    This Inner Loop Header: Depth=3
	s_add_i32 s42, s42, -1
	s_cmp_eq_u32 s42, 0
	s_sleep 1
	s_cbranch_scc0 .LBB651_114
; %bb.115:                              ;   in Loop: Header=BB651_113 Depth=2
	global_load_dwordx2 v[26:27], v[28:29], off glc
	s_cmp_lt_u32 s41, 32
	s_cselect_b64 s[42:43], -1, 0
	s_cmp_lg_u64 s[42:43], 0
	s_addc_u32 s41, s41, 0
	s_waitcnt vmcnt(0)
	v_cmp_ne_u16_sdwa s[42:43], v27, v23 src0_sel:BYTE_0 src1_sel:DWORD
	s_or_b64 s[38:39], s[42:43], s[38:39]
	s_andn2_b64 exec, exec, s[38:39]
	s_cbranch_execnz .LBB651_113
; %bb.116:                              ;   in Loop: Header=BB651_110 Depth=1
	s_or_b64 exec, exec, s[38:39]
	s_branch .LBB651_109
.LBB651_117:                            ;   in Loop: Header=BB651_110 Depth=1
                                        ; implicit-def: $vgpr26
                                        ; implicit-def: $vgpr27
	s_cbranch_execz .LBB651_110
; %bb.118:
	s_and_saveexec_b64 s[36:37], s[16:17]
	s_cbranch_execz .LBB651_120
; %bb.119:
	s_add_i32 s38, s40, 64
	s_mov_b32 s39, 0
	s_lshl_b64 s[38:39], s[38:39], 3
	s_add_u32 s38, s30, s38
	v_add_u32_e32 v22, v17, v16
	v_mov_b32_e32 v23, 2
	s_addc_u32 s39, s31, s39
	v_mov_b32_e32 v24, 0
	global_store_dwordx2 v24, v[22:23], s[38:39]
	ds_write_b64 v24, v[16:17] offset:10240
.LBB651_120:
	s_or_b64 exec, exec, s[36:37]
	s_and_b64 exec, exec, s[0:1]
	s_cbranch_execz .LBB651_122
; %bb.121:
	v_mov_b32_e32 v16, 0
	ds_write_b32 v16, v17 offset:12
.LBB651_122:
	s_or_b64 exec, exec, s[34:35]
	v_mov_b32_e32 v16, 0
	s_waitcnt lgkmcnt(0)
	s_barrier
	ds_read_b32 v22, v16 offset:12
	s_waitcnt lgkmcnt(0)
	s_barrier
	ds_read_b64 v[16:17], v16 offset:10240
	v_cndmask_b32_e64 v23, v54, v53, s[16:17]
	v_cndmask_b32_e64 v23, v23, 0, s[0:1]
	v_add_u32_e32 v26, v22, v23
	s_branch .LBB651_133
.LBB651_123:
                                        ; implicit-def: $vgpr17
                                        ; implicit-def: $vgpr26
	s_cbranch_execz .LBB651_133
; %bb.124:
	s_waitcnt lgkmcnt(0)
	v_mov_b32_dpp v16, v52 row_shr:1 row_mask:0xf bank_mask:0xf
	v_cndmask_b32_e64 v16, v16, 0, s[14:15]
	v_add_u32_e32 v16, v16, v52
	s_nop 1
	v_mov_b32_dpp v17, v16 row_shr:2 row_mask:0xf bank_mask:0xf
	v_cndmask_b32_e64 v17, 0, v17, s[12:13]
	v_add_u32_e32 v16, v16, v17
	s_nop 1
	;; [unrolled: 4-line block ×4, first 2 shown]
	v_mov_b32_dpp v17, v16 row_bcast:15 row_mask:0xf bank_mask:0xf
	v_cndmask_b32_e64 v17, v17, 0, s[6:7]
	v_add_u32_e32 v16, v16, v17
	s_nop 1
	v_mov_b32_dpp v17, v16 row_bcast:31 row_mask:0xf bank_mask:0xf
	v_cndmask_b32_e64 v17, 0, v17, s[2:3]
	v_add_u32_e32 v16, v16, v17
	s_and_saveexec_b64 s[2:3], s[4:5]
	s_cbranch_execz .LBB651_126
; %bb.125:
	v_lshlrev_b32_e32 v17, 2, v51
	ds_write_b32 v17, v16
.LBB651_126:
	s_or_b64 exec, exec, s[2:3]
	v_cmp_gt_u32_e32 vcc, 4, v0
	s_waitcnt lgkmcnt(0)
	s_barrier
	s_and_saveexec_b64 s[2:3], vcc
	s_cbranch_execz .LBB651_128
; %bb.127:
	v_lshlrev_b32_e32 v17, 2, v0
	ds_read_b32 v22, v17
	v_and_b32_e32 v23, 3, v50
	v_cmp_ne_u32_e32 vcc, 0, v23
	s_waitcnt lgkmcnt(0)
	v_mov_b32_dpp v24, v22 row_shr:1 row_mask:0xf bank_mask:0xf
	v_cndmask_b32_e32 v24, 0, v24, vcc
	v_add_u32_e32 v22, v24, v22
	v_cmp_lt_u32_e32 vcc, 1, v23
	s_nop 0
	v_mov_b32_dpp v24, v22 row_shr:2 row_mask:0xf bank_mask:0xf
	v_cndmask_b32_e32 v23, 0, v24, vcc
	v_add_u32_e32 v22, v22, v23
	ds_write_b32 v17, v22
.LBB651_128:
	s_or_b64 exec, exec, s[2:3]
	v_cmp_lt_u32_e32 vcc, 63, v0
	v_mov_b32_e32 v17, 0
	v_mov_b32_e32 v22, 0
	s_waitcnt lgkmcnt(0)
	s_barrier
	s_and_saveexec_b64 s[2:3], vcc
	s_cbranch_execz .LBB651_130
; %bb.129:
	v_lshl_add_u32 v22, v51, 2, -4
	ds_read_b32 v22, v22
.LBB651_130:
	s_or_b64 exec, exec, s[2:3]
	v_add_u32_e32 v23, -1, v50
	v_and_b32_e32 v24, 64, v50
	v_cmp_lt_i32_e32 vcc, v23, v24
	v_cndmask_b32_e32 v23, v23, v50, vcc
	s_waitcnt lgkmcnt(0)
	v_add_u32_e32 v16, v22, v16
	v_lshlrev_b32_e32 v23, 2, v23
	ds_bpermute_b32 v23, v23, v16
	ds_read_b32 v16, v17 offset:12
	s_and_saveexec_b64 s[2:3], s[0:1]
	s_cbranch_execz .LBB651_132
; %bb.131:
	v_mov_b32_e32 v24, 0
	v_mov_b32_e32 v17, 2
	s_waitcnt lgkmcnt(0)
	global_store_dwordx2 v24, v[16:17], s[30:31] offset:512
.LBB651_132:
	s_or_b64 exec, exec, s[2:3]
	v_cmp_eq_u32_e32 vcc, 0, v50
	s_waitcnt lgkmcnt(1)
	v_cndmask_b32_e32 v22, v23, v22, vcc
	v_mov_b32_e32 v17, 0
	v_cndmask_b32_e64 v26, v22, 0, s[0:1]
	s_waitcnt lgkmcnt(0)
	s_barrier
.LBB651_133:
	v_add_u32_sdwa v28, v26, v20 dst_sel:DWORD dst_unused:UNUSED_PAD src0_sel:DWORD src1_sel:BYTE_0
	s_waitcnt lgkmcnt(0)
	v_add_u32_e32 v31, v16, v31
	v_sub_u32_e32 v26, v26, v17
	v_and_b32_e32 v55, 1, v20
	v_sub_u32_e32 v54, v31, v26
	v_cmp_eq_u32_e32 vcc, 1, v55
	v_cndmask_b32_e32 v26, v54, v26, vcc
	v_lshlrev_b32_e32 v26, 1, v26
	v_lshrrev_b32_e32 v27, 8, v20
	ds_write_b16 v26, v6
	v_sub_u32_e32 v26, v28, v17
	v_add_u32_sdwa v29, v28, v20 dst_sel:DWORD dst_unused:UNUSED_PAD src0_sel:DWORD src1_sel:BYTE_1
	v_sub_u32_e32 v28, v31, v26
	v_and_b32_e32 v27, 1, v27
	v_add_u32_e32 v28, 1, v28
	v_cmp_eq_u32_e32 vcc, 1, v27
	v_cndmask_b32_e32 v26, v28, v26, vcc
	v_lshlrev_b32_e32 v26, 1, v26
	ds_write_b16_d16_hi v26, v6
	v_sub_u32_e32 v6, v29, v17
	v_mov_b32_e32 v27, 1
	v_sub_u32_e32 v26, v31, v6
	v_and_b32_sdwa v20, v27, v20 dst_sel:DWORD dst_unused:UNUSED_PAD src0_sel:DWORD src1_sel:WORD_1
	v_add_u32_e32 v26, 2, v26
	v_cmp_eq_u32_e32 vcc, 1, v20
	v_cndmask_b32_e32 v6, v26, v6, vcc
	v_add_u32_e32 v49, v29, v49
	v_lshlrev_b32_e32 v6, 1, v6
	ds_write_b16 v6, v7
	v_sub_u32_e32 v6, v49, v17
	v_sub_u32_e32 v20, v31, v6
	v_and_b32_e32 v26, 1, v37
	v_add_u32_e32 v20, 3, v20
	v_cmp_eq_u32_e32 vcc, 1, v26
	v_cndmask_b32_e32 v6, v20, v6, vcc
	v_add_u32_e32 v50, v49, v37
	v_lshlrev_b32_e32 v6, 1, v6
	ds_write_b16_d16_hi v6, v7
	v_sub_u32_e32 v6, v50, v17
	v_sub_u32_e32 v7, v31, v6
	v_and_b32_e32 v20, 1, v21
	v_add_u32_e32 v7, 4, v7
	v_cmp_eq_u32_e32 vcc, 1, v20
	v_cndmask_b32_e32 v6, v7, v6, vcc
	v_add_u32_e32 v46, v50, v46
	v_lshlrev_b32_e32 v6, 1, v6
	v_lshrrev_b32_e32 v25, 8, v21
	ds_write_b16 v6, v8
	v_sub_u32_e32 v6, v46, v17
	v_sub_u32_e32 v7, v31, v6
	v_and_b32_e32 v20, 1, v25
	v_add_u32_e32 v7, 5, v7
	v_cmp_eq_u32_e32 vcc, 1, v20
	v_cndmask_b32_e32 v6, v7, v6, vcc
	v_add_u32_e32 v47, v46, v47
	v_lshlrev_b32_e32 v6, 1, v6
	ds_write_b16_d16_hi v6, v8
	v_sub_u32_e32 v6, v47, v17
	v_sub_u32_e32 v7, v31, v6
	v_and_b32_sdwa v8, v27, v21 dst_sel:DWORD dst_unused:UNUSED_PAD src0_sel:DWORD src1_sel:WORD_1
	v_add_u32_e32 v7, 6, v7
	v_cmp_eq_u32_e32 vcc, 1, v8
	v_cndmask_b32_e32 v6, v7, v6, vcc
	v_add_u32_e32 v48, v47, v48
	v_lshlrev_b32_e32 v6, 1, v6
	ds_write_b16 v6, v9
	v_sub_u32_e32 v6, v48, v17
	v_sub_u32_e32 v7, v31, v6
	v_and_b32_e32 v8, 1, v36
	v_add_u32_e32 v7, 7, v7
	v_cmp_eq_u32_e32 vcc, 1, v8
	v_cndmask_b32_e32 v6, v7, v6, vcc
	v_add_u32_e32 v51, v48, v36
	v_lshlrev_b32_e32 v6, 1, v6
	ds_write_b16_d16_hi v6, v9
	v_sub_u32_e32 v6, v51, v17
	v_sub_u32_e32 v7, v31, v6
	v_and_b32_e32 v8, 1, v18
	v_add_u32_e32 v7, 8, v7
	v_cmp_eq_u32_e32 vcc, 1, v8
	v_cndmask_b32_e32 v6, v7, v6, vcc
	v_add_u32_e32 v43, v51, v43
	v_lshlrev_b32_e32 v6, 1, v6
	v_lshrrev_b32_e32 v24, 8, v18
	ds_write_b16 v6, v2
	v_sub_u32_e32 v6, v43, v17
	v_sub_u32_e32 v7, v31, v6
	v_and_b32_e32 v8, 1, v24
	v_add_u32_e32 v7, 9, v7
	v_cmp_eq_u32_e32 vcc, 1, v8
	v_cndmask_b32_e32 v6, v7, v6, vcc
	v_add_u32_e32 v44, v43, v44
	v_lshlrev_b32_e32 v6, 1, v6
	ds_write_b16_d16_hi v6, v2
	v_sub_u32_e32 v2, v44, v17
	;; [unrolled: 37-line block ×4, first 2 shown]
	v_sub_u32_e32 v3, v31, v2
	v_and_b32_sdwa v4, v27, v32 dst_sel:DWORD dst_unused:UNUSED_PAD src0_sel:DWORD src1_sel:WORD_1
	v_add_u32_e32 v3, 18, v3
	v_cmp_eq_u32_e32 vcc, 1, v4
	v_cndmask_b32_e32 v2, v3, v2, vcc
	v_lshlrev_b32_e32 v2, 1, v2
	ds_write_b16 v2, v15
	v_sub_u32_e32 v2, v33, v17
	v_add_u32_e32 v2, v39, v2
	v_sub_u32_e32 v3, v31, v2
	v_and_b32_e32 v1, 1, v1
	v_add_u32_e32 v3, 19, v3
	v_cmp_eq_u32_e32 vcc, 1, v1
	v_cndmask_b32_e32 v1, v3, v2, vcc
	v_lshlrev_b32_e32 v1, 1, v1
	s_waitcnt vmcnt(0)
	v_add_co_u32_e32 v10, vcc, v10, v17
	ds_write_b16_d16_hi v1, v15
	s_waitcnt lgkmcnt(0)
	s_barrier
	ds_read_u16 v51, v30
	ds_read_u16 v50, v30 offset:512
	ds_read_u16 v48, v30 offset:1024
	;; [unrolled: 1-line block ×15, first 2 shown]
	v_addc_co_u32_e32 v11, vcc, 0, v11, vcc
	v_add_co_u32_e32 v2, vcc, v10, v16
	v_addc_co_u32_e32 v3, vcc, 0, v11, vcc
	v_mov_b32_e32 v7, s19
	v_sub_co_u32_e32 v8, vcc, s18, v2
	ds_read_u16 v19, v30 offset:8192
	ds_read_u16 v15, v30 offset:8704
	;; [unrolled: 1-line block ×4, first 2 shown]
	v_subb_co_u32_e32 v9, vcc, v7, v3, vcc
	v_lshlrev_b64 v[8:9], 1, v[8:9]
	v_mov_b32_e32 v7, s27
	v_add_co_u32_e32 v8, vcc, s26, v8
	v_addc_co_u32_e32 v9, vcc, v7, v9, vcc
	v_add_co_u32_e32 v7, vcc, v8, v12
	v_lshlrev_b64 v[10:11], 1, v[10:11]
	v_addc_co_u32_e32 v8, vcc, v9, v13, vcc
	v_mov_b32_e32 v12, s25
	v_add_co_u32_e64 v9, s[2:3], s24, v10
	v_or_b32_e32 v49, 0x100, v0
	v_or_b32_e32 v47, 0x200, v0
	;; [unrolled: 1-line block ×19, first 2 shown]
	s_andn2_b64 vcc, exec, s[28:29]
	v_addc_co_u32_e64 v10, s[2:3], v12, v11, s[2:3]
	s_cbranch_vccnz .LBB651_135
; %bb.134:
	v_cmp_lt_u32_e32 vcc, v0, v16
	v_cndmask_b32_e32 v12, v7, v9, vcc
	v_cndmask_b32_e32 v11, v8, v10, vcc
	v_add_co_u32_e32 v12, vcc, v12, v30
	v_addc_co_u32_e32 v13, vcc, 0, v11, vcc
	v_cmp_lt_u32_e32 vcc, v49, v16
	s_waitcnt lgkmcnt(14)
	global_store_short v[12:13], v51, off
	v_cndmask_b32_e32 v12, v7, v9, vcc
	v_cndmask_b32_e32 v11, v8, v10, vcc
	v_add_co_u32_e32 v12, vcc, v12, v30
	v_addc_co_u32_e32 v13, vcc, 0, v11, vcc
	v_cmp_lt_u32_e32 vcc, v47, v16
	global_store_short v[12:13], v50, off offset:512
	v_cndmask_b32_e32 v12, v7, v9, vcc
	v_cndmask_b32_e32 v11, v8, v10, vcc
	v_add_co_u32_e32 v12, vcc, v12, v30
	v_addc_co_u32_e32 v13, vcc, 0, v11, vcc
	v_cmp_lt_u32_e32 vcc, v45, v16
	global_store_short v[12:13], v48, off offset:1024
	;; [unrolled: 6-line block ×5, first 2 shown]
	v_cndmask_b32_e32 v12, v7, v9, vcc
	v_cndmask_b32_e32 v11, v8, v10, vcc
	v_add_co_u32_e32 v12, vcc, v12, v30
	v_addc_co_u32_e32 v13, vcc, 0, v11, vcc
	v_cmp_lt_u32_e32 vcc, v37, v16
	s_waitcnt lgkmcnt(13)
	global_store_short v[12:13], v40, off offset:3072
	v_cndmask_b32_e32 v12, v7, v9, vcc
	v_cndmask_b32_e32 v11, v8, v10, vcc
	v_add_co_u32_e32 v12, vcc, v12, v30
	v_addc_co_u32_e32 v13, vcc, 0, v11, vcc
	v_cmp_lt_u32_e32 vcc, v35, v16
	s_waitcnt lgkmcnt(12)
	global_store_short v[12:13], v38, off offset:3584
	v_cndmask_b32_e32 v12, v7, v9, vcc
	v_lshlrev_b32_e32 v13, 1, v35
	v_cndmask_b32_e32 v11, v8, v10, vcc
	v_add_co_u32_e32 v12, vcc, v12, v13
	v_addc_co_u32_e32 v13, vcc, 0, v11, vcc
	v_cmp_lt_u32_e32 vcc, v33, v16
	s_waitcnt lgkmcnt(11)
	global_store_short v[12:13], v36, off
	v_cndmask_b32_e32 v12, v7, v9, vcc
	v_lshlrev_b32_e32 v13, 1, v33
	v_cndmask_b32_e32 v11, v8, v10, vcc
	v_add_co_u32_e32 v12, vcc, v12, v13
	v_addc_co_u32_e32 v13, vcc, 0, v11, vcc
	v_cmp_lt_u32_e32 vcc, v31, v16
	s_waitcnt lgkmcnt(10)
	global_store_short v[12:13], v34, off
	;; [unrolled: 8-line block ×10, first 2 shown]
	v_cndmask_b32_e32 v12, v7, v9, vcc
	v_lshlrev_b32_e32 v13, 1, v6
	v_cndmask_b32_e32 v11, v8, v10, vcc
	v_add_co_u32_e32 v12, vcc, v12, v13
	v_addc_co_u32_e32 v13, vcc, 0, v11, vcc
	s_mov_b64 s[2:3], -1
	s_waitcnt lgkmcnt(1)
	global_store_short v[12:13], v5, off
	s_cbranch_execz .LBB651_136
	s_branch .LBB651_157
.LBB651_135:
	s_mov_b64 s[2:3], 0
.LBB651_136:
	v_cmp_gt_u32_e32 vcc, s33, v0
	s_and_saveexec_b64 s[2:3], vcc
	s_cbranch_execnz .LBB651_162
; %bb.137:
	s_or_b64 exec, exec, s[2:3]
	v_cmp_gt_u32_e32 vcc, s33, v49
	s_and_saveexec_b64 s[2:3], vcc
	s_cbranch_execnz .LBB651_163
.LBB651_138:
	s_or_b64 exec, exec, s[2:3]
	v_cmp_gt_u32_e32 vcc, s33, v47
	s_and_saveexec_b64 s[2:3], vcc
	s_cbranch_execnz .LBB651_164
.LBB651_139:
	s_or_b64 exec, exec, s[2:3]
	v_cmp_gt_u32_e32 vcc, s33, v45
	s_and_saveexec_b64 s[2:3], vcc
	s_cbranch_execnz .LBB651_165
.LBB651_140:
	s_or_b64 exec, exec, s[2:3]
	v_cmp_gt_u32_e32 vcc, s33, v43
	s_and_saveexec_b64 s[2:3], vcc
	s_cbranch_execnz .LBB651_166
.LBB651_141:
	s_or_b64 exec, exec, s[2:3]
	v_cmp_gt_u32_e32 vcc, s33, v41
	s_and_saveexec_b64 s[2:3], vcc
	s_cbranch_execnz .LBB651_167
.LBB651_142:
	s_or_b64 exec, exec, s[2:3]
	v_cmp_gt_u32_e32 vcc, s33, v39
	s_and_saveexec_b64 s[2:3], vcc
	s_cbranch_execnz .LBB651_168
.LBB651_143:
	s_or_b64 exec, exec, s[2:3]
	v_cmp_gt_u32_e32 vcc, s33, v37
	s_and_saveexec_b64 s[2:3], vcc
	s_cbranch_execnz .LBB651_169
.LBB651_144:
	s_or_b64 exec, exec, s[2:3]
	v_cmp_gt_u32_e32 vcc, s33, v35
	s_and_saveexec_b64 s[2:3], vcc
	s_cbranch_execnz .LBB651_170
.LBB651_145:
	s_or_b64 exec, exec, s[2:3]
	v_cmp_gt_u32_e32 vcc, s33, v33
	s_and_saveexec_b64 s[2:3], vcc
	s_cbranch_execnz .LBB651_171
.LBB651_146:
	s_or_b64 exec, exec, s[2:3]
	v_cmp_gt_u32_e32 vcc, s33, v31
	s_and_saveexec_b64 s[2:3], vcc
	s_cbranch_execnz .LBB651_172
.LBB651_147:
	s_or_b64 exec, exec, s[2:3]
	v_cmp_gt_u32_e32 vcc, s33, v28
	s_and_saveexec_b64 s[2:3], vcc
	s_cbranch_execnz .LBB651_173
.LBB651_148:
	s_or_b64 exec, exec, s[2:3]
	v_cmp_gt_u32_e32 vcc, s33, v26
	s_and_saveexec_b64 s[2:3], vcc
	s_cbranch_execnz .LBB651_174
.LBB651_149:
	s_or_b64 exec, exec, s[2:3]
	v_cmp_gt_u32_e32 vcc, s33, v24
	s_and_saveexec_b64 s[2:3], vcc
	s_cbranch_execnz .LBB651_175
.LBB651_150:
	s_or_b64 exec, exec, s[2:3]
	v_cmp_gt_u32_e32 vcc, s33, v22
	s_and_saveexec_b64 s[2:3], vcc
	s_cbranch_execnz .LBB651_176
.LBB651_151:
	s_or_b64 exec, exec, s[2:3]
	v_cmp_gt_u32_e32 vcc, s33, v20
	s_and_saveexec_b64 s[2:3], vcc
	s_cbranch_execnz .LBB651_177
.LBB651_152:
	s_or_b64 exec, exec, s[2:3]
	v_cmp_gt_u32_e32 vcc, s33, v18
	s_and_saveexec_b64 s[2:3], vcc
	s_cbranch_execnz .LBB651_178
.LBB651_153:
	s_or_b64 exec, exec, s[2:3]
	v_cmp_gt_u32_e32 vcc, s33, v14
	s_and_saveexec_b64 s[2:3], vcc
	s_cbranch_execnz .LBB651_179
.LBB651_154:
	s_or_b64 exec, exec, s[2:3]
	v_cmp_gt_u32_e32 vcc, s33, v6
	s_and_saveexec_b64 s[2:3], vcc
	s_cbranch_execz .LBB651_156
.LBB651_155:
	v_cmp_lt_u32_e32 vcc, v6, v16
	v_cndmask_b32_e32 v11, v7, v9, vcc
	v_lshlrev_b32_e32 v6, 1, v6
	v_cndmask_b32_e32 v0, v8, v10, vcc
	v_add_co_u32_e32 v12, vcc, v11, v6
	v_addc_co_u32_e32 v13, vcc, 0, v0, vcc
	s_waitcnt lgkmcnt(1)
	global_store_short v[12:13], v5, off
.LBB651_156:
	s_or_b64 exec, exec, s[2:3]
	v_cmp_gt_u32_e64 s[2:3], s33, v4
.LBB651_157:
	s_and_saveexec_b64 s[4:5], s[2:3]
	s_cbranch_execnz .LBB651_160
; %bb.158:
	s_or_b64 exec, exec, s[4:5]
	s_and_b64 s[0:1], s[0:1], s[22:23]
	s_and_saveexec_b64 s[2:3], s[0:1]
	s_cbranch_execnz .LBB651_161
.LBB651_159:
	s_endpgm
.LBB651_160:
	v_cmp_lt_u32_e32 vcc, v4, v16
	s_waitcnt lgkmcnt(1)
	v_cndmask_b32_e32 v5, v7, v9, vcc
	v_lshlrev_b32_e32 v4, 1, v4
	v_cndmask_b32_e32 v0, v8, v10, vcc
	v_add_co_u32_e32 v4, vcc, v5, v4
	v_addc_co_u32_e32 v5, vcc, 0, v0, vcc
	s_waitcnt lgkmcnt(0)
	global_store_short v[4:5], v1, off
	s_or_b64 exec, exec, s[4:5]
	s_and_b64 s[0:1], s[0:1], s[22:23]
	s_and_saveexec_b64 s[2:3], s[0:1]
	s_cbranch_execz .LBB651_159
.LBB651_161:
	v_mov_b32_e32 v0, 0
	global_store_dwordx2 v0, v[2:3], s[20:21]
	s_endpgm
.LBB651_162:
	v_cmp_lt_u32_e32 vcc, v0, v16
	v_cndmask_b32_e32 v11, v7, v9, vcc
	v_cndmask_b32_e32 v0, v8, v10, vcc
	v_add_co_u32_e32 v12, vcc, v11, v30
	v_addc_co_u32_e32 v13, vcc, 0, v0, vcc
	s_waitcnt lgkmcnt(14)
	global_store_short v[12:13], v51, off
	s_or_b64 exec, exec, s[2:3]
	v_cmp_gt_u32_e32 vcc, s33, v49
	s_and_saveexec_b64 s[2:3], vcc
	s_cbranch_execz .LBB651_138
.LBB651_163:
	v_cmp_lt_u32_e32 vcc, v49, v16
	v_cndmask_b32_e32 v11, v7, v9, vcc
	v_cndmask_b32_e32 v0, v8, v10, vcc
	v_add_co_u32_e32 v12, vcc, v11, v30
	v_addc_co_u32_e32 v13, vcc, 0, v0, vcc
	s_waitcnt lgkmcnt(14)
	global_store_short v[12:13], v50, off offset:512
	s_or_b64 exec, exec, s[2:3]
	v_cmp_gt_u32_e32 vcc, s33, v47
	s_and_saveexec_b64 s[2:3], vcc
	s_cbranch_execz .LBB651_139
.LBB651_164:
	v_cmp_lt_u32_e32 vcc, v47, v16
	v_cndmask_b32_e32 v11, v7, v9, vcc
	v_cndmask_b32_e32 v0, v8, v10, vcc
	v_add_co_u32_e32 v12, vcc, v11, v30
	v_addc_co_u32_e32 v13, vcc, 0, v0, vcc
	s_waitcnt lgkmcnt(14)
	global_store_short v[12:13], v48, off offset:1024
	s_or_b64 exec, exec, s[2:3]
	v_cmp_gt_u32_e32 vcc, s33, v45
	s_and_saveexec_b64 s[2:3], vcc
	s_cbranch_execz .LBB651_140
.LBB651_165:
	v_cmp_lt_u32_e32 vcc, v45, v16
	v_cndmask_b32_e32 v11, v7, v9, vcc
	v_cndmask_b32_e32 v0, v8, v10, vcc
	v_add_co_u32_e32 v12, vcc, v11, v30
	v_addc_co_u32_e32 v13, vcc, 0, v0, vcc
	s_waitcnt lgkmcnt(14)
	global_store_short v[12:13], v46, off offset:1536
	s_or_b64 exec, exec, s[2:3]
	v_cmp_gt_u32_e32 vcc, s33, v43
	s_and_saveexec_b64 s[2:3], vcc
	s_cbranch_execz .LBB651_141
.LBB651_166:
	v_cmp_lt_u32_e32 vcc, v43, v16
	v_cndmask_b32_e32 v11, v7, v9, vcc
	v_cndmask_b32_e32 v0, v8, v10, vcc
	v_add_co_u32_e32 v12, vcc, v11, v30
	v_addc_co_u32_e32 v13, vcc, 0, v0, vcc
	s_waitcnt lgkmcnt(14)
	global_store_short v[12:13], v44, off offset:2048
	s_or_b64 exec, exec, s[2:3]
	v_cmp_gt_u32_e32 vcc, s33, v41
	s_and_saveexec_b64 s[2:3], vcc
	s_cbranch_execz .LBB651_142
.LBB651_167:
	v_cmp_lt_u32_e32 vcc, v41, v16
	v_cndmask_b32_e32 v11, v7, v9, vcc
	v_cndmask_b32_e32 v0, v8, v10, vcc
	v_add_co_u32_e32 v12, vcc, v11, v30
	v_addc_co_u32_e32 v13, vcc, 0, v0, vcc
	s_waitcnt lgkmcnt(14)
	global_store_short v[12:13], v42, off offset:2560
	s_or_b64 exec, exec, s[2:3]
	v_cmp_gt_u32_e32 vcc, s33, v39
	s_and_saveexec_b64 s[2:3], vcc
	s_cbranch_execz .LBB651_143
.LBB651_168:
	v_cmp_lt_u32_e32 vcc, v39, v16
	v_cndmask_b32_e32 v11, v7, v9, vcc
	v_cndmask_b32_e32 v0, v8, v10, vcc
	v_add_co_u32_e32 v12, vcc, v11, v30
	v_addc_co_u32_e32 v13, vcc, 0, v0, vcc
	s_waitcnt lgkmcnt(13)
	global_store_short v[12:13], v40, off offset:3072
	s_or_b64 exec, exec, s[2:3]
	v_cmp_gt_u32_e32 vcc, s33, v37
	s_and_saveexec_b64 s[2:3], vcc
	s_cbranch_execz .LBB651_144
.LBB651_169:
	v_cmp_lt_u32_e32 vcc, v37, v16
	v_cndmask_b32_e32 v11, v7, v9, vcc
	v_cndmask_b32_e32 v0, v8, v10, vcc
	v_add_co_u32_e32 v12, vcc, v11, v30
	v_addc_co_u32_e32 v13, vcc, 0, v0, vcc
	s_waitcnt lgkmcnt(12)
	global_store_short v[12:13], v38, off offset:3584
	s_or_b64 exec, exec, s[2:3]
	v_cmp_gt_u32_e32 vcc, s33, v35
	s_and_saveexec_b64 s[2:3], vcc
	s_cbranch_execz .LBB651_145
.LBB651_170:
	v_cmp_lt_u32_e32 vcc, v35, v16
	v_cndmask_b32_e32 v11, v7, v9, vcc
	v_lshlrev_b32_e32 v12, 1, v35
	v_cndmask_b32_e32 v0, v8, v10, vcc
	v_add_co_u32_e32 v12, vcc, v11, v12
	v_addc_co_u32_e32 v13, vcc, 0, v0, vcc
	s_waitcnt lgkmcnt(11)
	global_store_short v[12:13], v36, off
	s_or_b64 exec, exec, s[2:3]
	v_cmp_gt_u32_e32 vcc, s33, v33
	s_and_saveexec_b64 s[2:3], vcc
	s_cbranch_execz .LBB651_146
.LBB651_171:
	v_cmp_lt_u32_e32 vcc, v33, v16
	v_cndmask_b32_e32 v11, v7, v9, vcc
	v_lshlrev_b32_e32 v12, 1, v33
	v_cndmask_b32_e32 v0, v8, v10, vcc
	v_add_co_u32_e32 v12, vcc, v11, v12
	v_addc_co_u32_e32 v13, vcc, 0, v0, vcc
	s_waitcnt lgkmcnt(10)
	global_store_short v[12:13], v34, off
	s_or_b64 exec, exec, s[2:3]
	v_cmp_gt_u32_e32 vcc, s33, v31
	s_and_saveexec_b64 s[2:3], vcc
	s_cbranch_execz .LBB651_147
.LBB651_172:
	v_cmp_lt_u32_e32 vcc, v31, v16
	v_cndmask_b32_e32 v11, v7, v9, vcc
	v_lshlrev_b32_e32 v12, 1, v31
	v_cndmask_b32_e32 v0, v8, v10, vcc
	v_add_co_u32_e32 v12, vcc, v11, v12
	v_addc_co_u32_e32 v13, vcc, 0, v0, vcc
	s_waitcnt lgkmcnt(9)
	global_store_short v[12:13], v32, off
	s_or_b64 exec, exec, s[2:3]
	v_cmp_gt_u32_e32 vcc, s33, v28
	s_and_saveexec_b64 s[2:3], vcc
	s_cbranch_execz .LBB651_148
.LBB651_173:
	v_cmp_lt_u32_e32 vcc, v28, v16
	v_cndmask_b32_e32 v11, v7, v9, vcc
	v_lshlrev_b32_e32 v12, 1, v28
	v_cndmask_b32_e32 v0, v8, v10, vcc
	v_add_co_u32_e32 v12, vcc, v11, v12
	v_addc_co_u32_e32 v13, vcc, 0, v0, vcc
	s_waitcnt lgkmcnt(8)
	global_store_short v[12:13], v29, off
	s_or_b64 exec, exec, s[2:3]
	v_cmp_gt_u32_e32 vcc, s33, v26
	s_and_saveexec_b64 s[2:3], vcc
	s_cbranch_execz .LBB651_149
.LBB651_174:
	v_cmp_lt_u32_e32 vcc, v26, v16
	v_cndmask_b32_e32 v11, v7, v9, vcc
	v_lshlrev_b32_e32 v12, 1, v26
	v_cndmask_b32_e32 v0, v8, v10, vcc
	v_add_co_u32_e32 v12, vcc, v11, v12
	v_addc_co_u32_e32 v13, vcc, 0, v0, vcc
	s_waitcnt lgkmcnt(7)
	global_store_short v[12:13], v27, off
	s_or_b64 exec, exec, s[2:3]
	v_cmp_gt_u32_e32 vcc, s33, v24
	s_and_saveexec_b64 s[2:3], vcc
	s_cbranch_execz .LBB651_150
.LBB651_175:
	v_cmp_lt_u32_e32 vcc, v24, v16
	v_cndmask_b32_e32 v11, v7, v9, vcc
	v_lshlrev_b32_e32 v12, 1, v24
	v_cndmask_b32_e32 v0, v8, v10, vcc
	v_add_co_u32_e32 v12, vcc, v11, v12
	v_addc_co_u32_e32 v13, vcc, 0, v0, vcc
	s_waitcnt lgkmcnt(6)
	global_store_short v[12:13], v25, off
	s_or_b64 exec, exec, s[2:3]
	v_cmp_gt_u32_e32 vcc, s33, v22
	s_and_saveexec_b64 s[2:3], vcc
	s_cbranch_execz .LBB651_151
.LBB651_176:
	v_cmp_lt_u32_e32 vcc, v22, v16
	v_cndmask_b32_e32 v11, v7, v9, vcc
	v_lshlrev_b32_e32 v12, 1, v22
	v_cndmask_b32_e32 v0, v8, v10, vcc
	v_add_co_u32_e32 v12, vcc, v11, v12
	v_addc_co_u32_e32 v13, vcc, 0, v0, vcc
	s_waitcnt lgkmcnt(5)
	global_store_short v[12:13], v23, off
	s_or_b64 exec, exec, s[2:3]
	v_cmp_gt_u32_e32 vcc, s33, v20
	s_and_saveexec_b64 s[2:3], vcc
	s_cbranch_execz .LBB651_152
.LBB651_177:
	v_cmp_lt_u32_e32 vcc, v20, v16
	v_cndmask_b32_e32 v11, v7, v9, vcc
	v_lshlrev_b32_e32 v12, 1, v20
	v_cndmask_b32_e32 v0, v8, v10, vcc
	v_add_co_u32_e32 v12, vcc, v11, v12
	v_addc_co_u32_e32 v13, vcc, 0, v0, vcc
	s_waitcnt lgkmcnt(4)
	global_store_short v[12:13], v21, off
	s_or_b64 exec, exec, s[2:3]
	v_cmp_gt_u32_e32 vcc, s33, v18
	s_and_saveexec_b64 s[2:3], vcc
	s_cbranch_execz .LBB651_153
.LBB651_178:
	v_cmp_lt_u32_e32 vcc, v18, v16
	v_cndmask_b32_e32 v11, v7, v9, vcc
	v_lshlrev_b32_e32 v12, 1, v18
	v_cndmask_b32_e32 v0, v8, v10, vcc
	v_add_co_u32_e32 v12, vcc, v11, v12
	v_addc_co_u32_e32 v13, vcc, 0, v0, vcc
	s_waitcnt lgkmcnt(3)
	global_store_short v[12:13], v19, off
	s_or_b64 exec, exec, s[2:3]
	v_cmp_gt_u32_e32 vcc, s33, v14
	s_and_saveexec_b64 s[2:3], vcc
	s_cbranch_execz .LBB651_154
.LBB651_179:
	v_cmp_lt_u32_e32 vcc, v14, v16
	v_cndmask_b32_e32 v11, v7, v9, vcc
	v_lshlrev_b32_e32 v12, 1, v14
	v_cndmask_b32_e32 v0, v8, v10, vcc
	v_add_co_u32_e32 v12, vcc, v11, v12
	v_addc_co_u32_e32 v13, vcc, 0, v0, vcc
	s_waitcnt lgkmcnt(2)
	global_store_short v[12:13], v15, off
	s_or_b64 exec, exec, s[2:3]
	v_cmp_gt_u32_e32 vcc, s33, v6
	s_and_saveexec_b64 s[2:3], vcc
	s_cbranch_execnz .LBB651_155
	s_branch .LBB651_156
	.section	.rodata,"a",@progbits
	.p2align	6, 0x0
	.amdhsa_kernel _ZN7rocprim17ROCPRIM_400000_NS6detail17trampoline_kernelINS0_14default_configENS1_25partition_config_selectorILNS1_17partition_subalgoE1EsNS0_10empty_typeEbEEZZNS1_14partition_implILS5_1ELb0ES3_jN6thrust23THRUST_200600_302600_NS6detail15normal_iteratorINSA_10device_ptrIsEEEEPS6_NSA_18transform_iteratorINSA_8identityIsEESF_NSA_11use_defaultESK_EENS0_5tupleIJSF_SF_EEENSM_IJSG_SG_EEES6_PlJS6_EEE10hipError_tPvRmT3_T4_T5_T6_T7_T9_mT8_P12ihipStream_tbDpT10_ENKUlT_T0_E_clISt17integral_constantIbLb1EES19_EEDaS14_S15_EUlS14_E_NS1_11comp_targetILNS1_3genE4ELNS1_11target_archE910ELNS1_3gpuE8ELNS1_3repE0EEENS1_30default_config_static_selectorELNS0_4arch9wavefront6targetE1EEEvT1_
		.amdhsa_group_segment_fixed_size 10248
		.amdhsa_private_segment_fixed_size 0
		.amdhsa_kernarg_size 144
		.amdhsa_user_sgpr_count 6
		.amdhsa_user_sgpr_private_segment_buffer 1
		.amdhsa_user_sgpr_dispatch_ptr 0
		.amdhsa_user_sgpr_queue_ptr 0
		.amdhsa_user_sgpr_kernarg_segment_ptr 1
		.amdhsa_user_sgpr_dispatch_id 0
		.amdhsa_user_sgpr_flat_scratch_init 0
		.amdhsa_user_sgpr_kernarg_preload_length 0
		.amdhsa_user_sgpr_kernarg_preload_offset 0
		.amdhsa_user_sgpr_private_segment_size 0
		.amdhsa_uses_dynamic_stack 0
		.amdhsa_system_sgpr_private_segment_wavefront_offset 0
		.amdhsa_system_sgpr_workgroup_id_x 1
		.amdhsa_system_sgpr_workgroup_id_y 0
		.amdhsa_system_sgpr_workgroup_id_z 0
		.amdhsa_system_sgpr_workgroup_info 0
		.amdhsa_system_vgpr_workitem_id 0
		.amdhsa_next_free_vgpr 69
		.amdhsa_next_free_sgpr 44
		.amdhsa_accum_offset 72
		.amdhsa_reserve_vcc 1
		.amdhsa_reserve_flat_scratch 0
		.amdhsa_float_round_mode_32 0
		.amdhsa_float_round_mode_16_64 0
		.amdhsa_float_denorm_mode_32 3
		.amdhsa_float_denorm_mode_16_64 3
		.amdhsa_dx10_clamp 1
		.amdhsa_ieee_mode 1
		.amdhsa_fp16_overflow 0
		.amdhsa_tg_split 0
		.amdhsa_exception_fp_ieee_invalid_op 0
		.amdhsa_exception_fp_denorm_src 0
		.amdhsa_exception_fp_ieee_div_zero 0
		.amdhsa_exception_fp_ieee_overflow 0
		.amdhsa_exception_fp_ieee_underflow 0
		.amdhsa_exception_fp_ieee_inexact 0
		.amdhsa_exception_int_div_zero 0
	.end_amdhsa_kernel
	.section	.text._ZN7rocprim17ROCPRIM_400000_NS6detail17trampoline_kernelINS0_14default_configENS1_25partition_config_selectorILNS1_17partition_subalgoE1EsNS0_10empty_typeEbEEZZNS1_14partition_implILS5_1ELb0ES3_jN6thrust23THRUST_200600_302600_NS6detail15normal_iteratorINSA_10device_ptrIsEEEEPS6_NSA_18transform_iteratorINSA_8identityIsEESF_NSA_11use_defaultESK_EENS0_5tupleIJSF_SF_EEENSM_IJSG_SG_EEES6_PlJS6_EEE10hipError_tPvRmT3_T4_T5_T6_T7_T9_mT8_P12ihipStream_tbDpT10_ENKUlT_T0_E_clISt17integral_constantIbLb1EES19_EEDaS14_S15_EUlS14_E_NS1_11comp_targetILNS1_3genE4ELNS1_11target_archE910ELNS1_3gpuE8ELNS1_3repE0EEENS1_30default_config_static_selectorELNS0_4arch9wavefront6targetE1EEEvT1_,"axG",@progbits,_ZN7rocprim17ROCPRIM_400000_NS6detail17trampoline_kernelINS0_14default_configENS1_25partition_config_selectorILNS1_17partition_subalgoE1EsNS0_10empty_typeEbEEZZNS1_14partition_implILS5_1ELb0ES3_jN6thrust23THRUST_200600_302600_NS6detail15normal_iteratorINSA_10device_ptrIsEEEEPS6_NSA_18transform_iteratorINSA_8identityIsEESF_NSA_11use_defaultESK_EENS0_5tupleIJSF_SF_EEENSM_IJSG_SG_EEES6_PlJS6_EEE10hipError_tPvRmT3_T4_T5_T6_T7_T9_mT8_P12ihipStream_tbDpT10_ENKUlT_T0_E_clISt17integral_constantIbLb1EES19_EEDaS14_S15_EUlS14_E_NS1_11comp_targetILNS1_3genE4ELNS1_11target_archE910ELNS1_3gpuE8ELNS1_3repE0EEENS1_30default_config_static_selectorELNS0_4arch9wavefront6targetE1EEEvT1_,comdat
.Lfunc_end651:
	.size	_ZN7rocprim17ROCPRIM_400000_NS6detail17trampoline_kernelINS0_14default_configENS1_25partition_config_selectorILNS1_17partition_subalgoE1EsNS0_10empty_typeEbEEZZNS1_14partition_implILS5_1ELb0ES3_jN6thrust23THRUST_200600_302600_NS6detail15normal_iteratorINSA_10device_ptrIsEEEEPS6_NSA_18transform_iteratorINSA_8identityIsEESF_NSA_11use_defaultESK_EENS0_5tupleIJSF_SF_EEENSM_IJSG_SG_EEES6_PlJS6_EEE10hipError_tPvRmT3_T4_T5_T6_T7_T9_mT8_P12ihipStream_tbDpT10_ENKUlT_T0_E_clISt17integral_constantIbLb1EES19_EEDaS14_S15_EUlS14_E_NS1_11comp_targetILNS1_3genE4ELNS1_11target_archE910ELNS1_3gpuE8ELNS1_3repE0EEENS1_30default_config_static_selectorELNS0_4arch9wavefront6targetE1EEEvT1_, .Lfunc_end651-_ZN7rocprim17ROCPRIM_400000_NS6detail17trampoline_kernelINS0_14default_configENS1_25partition_config_selectorILNS1_17partition_subalgoE1EsNS0_10empty_typeEbEEZZNS1_14partition_implILS5_1ELb0ES3_jN6thrust23THRUST_200600_302600_NS6detail15normal_iteratorINSA_10device_ptrIsEEEEPS6_NSA_18transform_iteratorINSA_8identityIsEESF_NSA_11use_defaultESK_EENS0_5tupleIJSF_SF_EEENSM_IJSG_SG_EEES6_PlJS6_EEE10hipError_tPvRmT3_T4_T5_T6_T7_T9_mT8_P12ihipStream_tbDpT10_ENKUlT_T0_E_clISt17integral_constantIbLb1EES19_EEDaS14_S15_EUlS14_E_NS1_11comp_targetILNS1_3genE4ELNS1_11target_archE910ELNS1_3gpuE8ELNS1_3repE0EEENS1_30default_config_static_selectorELNS0_4arch9wavefront6targetE1EEEvT1_
                                        ; -- End function
	.section	.AMDGPU.csdata,"",@progbits
; Kernel info:
; codeLenInByte = 9476
; NumSgprs: 48
; NumVgprs: 69
; NumAgprs: 0
; TotalNumVgprs: 69
; ScratchSize: 0
; MemoryBound: 0
; FloatMode: 240
; IeeeMode: 1
; LDSByteSize: 10248 bytes/workgroup (compile time only)
; SGPRBlocks: 5
; VGPRBlocks: 8
; NumSGPRsForWavesPerEU: 48
; NumVGPRsForWavesPerEU: 69
; AccumOffset: 72
; Occupancy: 6
; WaveLimiterHint : 1
; COMPUTE_PGM_RSRC2:SCRATCH_EN: 0
; COMPUTE_PGM_RSRC2:USER_SGPR: 6
; COMPUTE_PGM_RSRC2:TRAP_HANDLER: 0
; COMPUTE_PGM_RSRC2:TGID_X_EN: 1
; COMPUTE_PGM_RSRC2:TGID_Y_EN: 0
; COMPUTE_PGM_RSRC2:TGID_Z_EN: 0
; COMPUTE_PGM_RSRC2:TIDIG_COMP_CNT: 0
; COMPUTE_PGM_RSRC3_GFX90A:ACCUM_OFFSET: 17
; COMPUTE_PGM_RSRC3_GFX90A:TG_SPLIT: 0
	.section	.text._ZN7rocprim17ROCPRIM_400000_NS6detail17trampoline_kernelINS0_14default_configENS1_25partition_config_selectorILNS1_17partition_subalgoE1EsNS0_10empty_typeEbEEZZNS1_14partition_implILS5_1ELb0ES3_jN6thrust23THRUST_200600_302600_NS6detail15normal_iteratorINSA_10device_ptrIsEEEEPS6_NSA_18transform_iteratorINSA_8identityIsEESF_NSA_11use_defaultESK_EENS0_5tupleIJSF_SF_EEENSM_IJSG_SG_EEES6_PlJS6_EEE10hipError_tPvRmT3_T4_T5_T6_T7_T9_mT8_P12ihipStream_tbDpT10_ENKUlT_T0_E_clISt17integral_constantIbLb1EES19_EEDaS14_S15_EUlS14_E_NS1_11comp_targetILNS1_3genE3ELNS1_11target_archE908ELNS1_3gpuE7ELNS1_3repE0EEENS1_30default_config_static_selectorELNS0_4arch9wavefront6targetE1EEEvT1_,"axG",@progbits,_ZN7rocprim17ROCPRIM_400000_NS6detail17trampoline_kernelINS0_14default_configENS1_25partition_config_selectorILNS1_17partition_subalgoE1EsNS0_10empty_typeEbEEZZNS1_14partition_implILS5_1ELb0ES3_jN6thrust23THRUST_200600_302600_NS6detail15normal_iteratorINSA_10device_ptrIsEEEEPS6_NSA_18transform_iteratorINSA_8identityIsEESF_NSA_11use_defaultESK_EENS0_5tupleIJSF_SF_EEENSM_IJSG_SG_EEES6_PlJS6_EEE10hipError_tPvRmT3_T4_T5_T6_T7_T9_mT8_P12ihipStream_tbDpT10_ENKUlT_T0_E_clISt17integral_constantIbLb1EES19_EEDaS14_S15_EUlS14_E_NS1_11comp_targetILNS1_3genE3ELNS1_11target_archE908ELNS1_3gpuE7ELNS1_3repE0EEENS1_30default_config_static_selectorELNS0_4arch9wavefront6targetE1EEEvT1_,comdat
	.protected	_ZN7rocprim17ROCPRIM_400000_NS6detail17trampoline_kernelINS0_14default_configENS1_25partition_config_selectorILNS1_17partition_subalgoE1EsNS0_10empty_typeEbEEZZNS1_14partition_implILS5_1ELb0ES3_jN6thrust23THRUST_200600_302600_NS6detail15normal_iteratorINSA_10device_ptrIsEEEEPS6_NSA_18transform_iteratorINSA_8identityIsEESF_NSA_11use_defaultESK_EENS0_5tupleIJSF_SF_EEENSM_IJSG_SG_EEES6_PlJS6_EEE10hipError_tPvRmT3_T4_T5_T6_T7_T9_mT8_P12ihipStream_tbDpT10_ENKUlT_T0_E_clISt17integral_constantIbLb1EES19_EEDaS14_S15_EUlS14_E_NS1_11comp_targetILNS1_3genE3ELNS1_11target_archE908ELNS1_3gpuE7ELNS1_3repE0EEENS1_30default_config_static_selectorELNS0_4arch9wavefront6targetE1EEEvT1_ ; -- Begin function _ZN7rocprim17ROCPRIM_400000_NS6detail17trampoline_kernelINS0_14default_configENS1_25partition_config_selectorILNS1_17partition_subalgoE1EsNS0_10empty_typeEbEEZZNS1_14partition_implILS5_1ELb0ES3_jN6thrust23THRUST_200600_302600_NS6detail15normal_iteratorINSA_10device_ptrIsEEEEPS6_NSA_18transform_iteratorINSA_8identityIsEESF_NSA_11use_defaultESK_EENS0_5tupleIJSF_SF_EEENSM_IJSG_SG_EEES6_PlJS6_EEE10hipError_tPvRmT3_T4_T5_T6_T7_T9_mT8_P12ihipStream_tbDpT10_ENKUlT_T0_E_clISt17integral_constantIbLb1EES19_EEDaS14_S15_EUlS14_E_NS1_11comp_targetILNS1_3genE3ELNS1_11target_archE908ELNS1_3gpuE7ELNS1_3repE0EEENS1_30default_config_static_selectorELNS0_4arch9wavefront6targetE1EEEvT1_
	.globl	_ZN7rocprim17ROCPRIM_400000_NS6detail17trampoline_kernelINS0_14default_configENS1_25partition_config_selectorILNS1_17partition_subalgoE1EsNS0_10empty_typeEbEEZZNS1_14partition_implILS5_1ELb0ES3_jN6thrust23THRUST_200600_302600_NS6detail15normal_iteratorINSA_10device_ptrIsEEEEPS6_NSA_18transform_iteratorINSA_8identityIsEESF_NSA_11use_defaultESK_EENS0_5tupleIJSF_SF_EEENSM_IJSG_SG_EEES6_PlJS6_EEE10hipError_tPvRmT3_T4_T5_T6_T7_T9_mT8_P12ihipStream_tbDpT10_ENKUlT_T0_E_clISt17integral_constantIbLb1EES19_EEDaS14_S15_EUlS14_E_NS1_11comp_targetILNS1_3genE3ELNS1_11target_archE908ELNS1_3gpuE7ELNS1_3repE0EEENS1_30default_config_static_selectorELNS0_4arch9wavefront6targetE1EEEvT1_
	.p2align	8
	.type	_ZN7rocprim17ROCPRIM_400000_NS6detail17trampoline_kernelINS0_14default_configENS1_25partition_config_selectorILNS1_17partition_subalgoE1EsNS0_10empty_typeEbEEZZNS1_14partition_implILS5_1ELb0ES3_jN6thrust23THRUST_200600_302600_NS6detail15normal_iteratorINSA_10device_ptrIsEEEEPS6_NSA_18transform_iteratorINSA_8identityIsEESF_NSA_11use_defaultESK_EENS0_5tupleIJSF_SF_EEENSM_IJSG_SG_EEES6_PlJS6_EEE10hipError_tPvRmT3_T4_T5_T6_T7_T9_mT8_P12ihipStream_tbDpT10_ENKUlT_T0_E_clISt17integral_constantIbLb1EES19_EEDaS14_S15_EUlS14_E_NS1_11comp_targetILNS1_3genE3ELNS1_11target_archE908ELNS1_3gpuE7ELNS1_3repE0EEENS1_30default_config_static_selectorELNS0_4arch9wavefront6targetE1EEEvT1_,@function
_ZN7rocprim17ROCPRIM_400000_NS6detail17trampoline_kernelINS0_14default_configENS1_25partition_config_selectorILNS1_17partition_subalgoE1EsNS0_10empty_typeEbEEZZNS1_14partition_implILS5_1ELb0ES3_jN6thrust23THRUST_200600_302600_NS6detail15normal_iteratorINSA_10device_ptrIsEEEEPS6_NSA_18transform_iteratorINSA_8identityIsEESF_NSA_11use_defaultESK_EENS0_5tupleIJSF_SF_EEENSM_IJSG_SG_EEES6_PlJS6_EEE10hipError_tPvRmT3_T4_T5_T6_T7_T9_mT8_P12ihipStream_tbDpT10_ENKUlT_T0_E_clISt17integral_constantIbLb1EES19_EEDaS14_S15_EUlS14_E_NS1_11comp_targetILNS1_3genE3ELNS1_11target_archE908ELNS1_3gpuE7ELNS1_3repE0EEENS1_30default_config_static_selectorELNS0_4arch9wavefront6targetE1EEEvT1_: ; @_ZN7rocprim17ROCPRIM_400000_NS6detail17trampoline_kernelINS0_14default_configENS1_25partition_config_selectorILNS1_17partition_subalgoE1EsNS0_10empty_typeEbEEZZNS1_14partition_implILS5_1ELb0ES3_jN6thrust23THRUST_200600_302600_NS6detail15normal_iteratorINSA_10device_ptrIsEEEEPS6_NSA_18transform_iteratorINSA_8identityIsEESF_NSA_11use_defaultESK_EENS0_5tupleIJSF_SF_EEENSM_IJSG_SG_EEES6_PlJS6_EEE10hipError_tPvRmT3_T4_T5_T6_T7_T9_mT8_P12ihipStream_tbDpT10_ENKUlT_T0_E_clISt17integral_constantIbLb1EES19_EEDaS14_S15_EUlS14_E_NS1_11comp_targetILNS1_3genE3ELNS1_11target_archE908ELNS1_3gpuE7ELNS1_3repE0EEENS1_30default_config_static_selectorELNS0_4arch9wavefront6targetE1EEEvT1_
; %bb.0:
	.section	.rodata,"a",@progbits
	.p2align	6, 0x0
	.amdhsa_kernel _ZN7rocprim17ROCPRIM_400000_NS6detail17trampoline_kernelINS0_14default_configENS1_25partition_config_selectorILNS1_17partition_subalgoE1EsNS0_10empty_typeEbEEZZNS1_14partition_implILS5_1ELb0ES3_jN6thrust23THRUST_200600_302600_NS6detail15normal_iteratorINSA_10device_ptrIsEEEEPS6_NSA_18transform_iteratorINSA_8identityIsEESF_NSA_11use_defaultESK_EENS0_5tupleIJSF_SF_EEENSM_IJSG_SG_EEES6_PlJS6_EEE10hipError_tPvRmT3_T4_T5_T6_T7_T9_mT8_P12ihipStream_tbDpT10_ENKUlT_T0_E_clISt17integral_constantIbLb1EES19_EEDaS14_S15_EUlS14_E_NS1_11comp_targetILNS1_3genE3ELNS1_11target_archE908ELNS1_3gpuE7ELNS1_3repE0EEENS1_30default_config_static_selectorELNS0_4arch9wavefront6targetE1EEEvT1_
		.amdhsa_group_segment_fixed_size 0
		.amdhsa_private_segment_fixed_size 0
		.amdhsa_kernarg_size 144
		.amdhsa_user_sgpr_count 6
		.amdhsa_user_sgpr_private_segment_buffer 1
		.amdhsa_user_sgpr_dispatch_ptr 0
		.amdhsa_user_sgpr_queue_ptr 0
		.amdhsa_user_sgpr_kernarg_segment_ptr 1
		.amdhsa_user_sgpr_dispatch_id 0
		.amdhsa_user_sgpr_flat_scratch_init 0
		.amdhsa_user_sgpr_kernarg_preload_length 0
		.amdhsa_user_sgpr_kernarg_preload_offset 0
		.amdhsa_user_sgpr_private_segment_size 0
		.amdhsa_uses_dynamic_stack 0
		.amdhsa_system_sgpr_private_segment_wavefront_offset 0
		.amdhsa_system_sgpr_workgroup_id_x 1
		.amdhsa_system_sgpr_workgroup_id_y 0
		.amdhsa_system_sgpr_workgroup_id_z 0
		.amdhsa_system_sgpr_workgroup_info 0
		.amdhsa_system_vgpr_workitem_id 0
		.amdhsa_next_free_vgpr 1
		.amdhsa_next_free_sgpr 0
		.amdhsa_accum_offset 4
		.amdhsa_reserve_vcc 0
		.amdhsa_reserve_flat_scratch 0
		.amdhsa_float_round_mode_32 0
		.amdhsa_float_round_mode_16_64 0
		.amdhsa_float_denorm_mode_32 3
		.amdhsa_float_denorm_mode_16_64 3
		.amdhsa_dx10_clamp 1
		.amdhsa_ieee_mode 1
		.amdhsa_fp16_overflow 0
		.amdhsa_tg_split 0
		.amdhsa_exception_fp_ieee_invalid_op 0
		.amdhsa_exception_fp_denorm_src 0
		.amdhsa_exception_fp_ieee_div_zero 0
		.amdhsa_exception_fp_ieee_overflow 0
		.amdhsa_exception_fp_ieee_underflow 0
		.amdhsa_exception_fp_ieee_inexact 0
		.amdhsa_exception_int_div_zero 0
	.end_amdhsa_kernel
	.section	.text._ZN7rocprim17ROCPRIM_400000_NS6detail17trampoline_kernelINS0_14default_configENS1_25partition_config_selectorILNS1_17partition_subalgoE1EsNS0_10empty_typeEbEEZZNS1_14partition_implILS5_1ELb0ES3_jN6thrust23THRUST_200600_302600_NS6detail15normal_iteratorINSA_10device_ptrIsEEEEPS6_NSA_18transform_iteratorINSA_8identityIsEESF_NSA_11use_defaultESK_EENS0_5tupleIJSF_SF_EEENSM_IJSG_SG_EEES6_PlJS6_EEE10hipError_tPvRmT3_T4_T5_T6_T7_T9_mT8_P12ihipStream_tbDpT10_ENKUlT_T0_E_clISt17integral_constantIbLb1EES19_EEDaS14_S15_EUlS14_E_NS1_11comp_targetILNS1_3genE3ELNS1_11target_archE908ELNS1_3gpuE7ELNS1_3repE0EEENS1_30default_config_static_selectorELNS0_4arch9wavefront6targetE1EEEvT1_,"axG",@progbits,_ZN7rocprim17ROCPRIM_400000_NS6detail17trampoline_kernelINS0_14default_configENS1_25partition_config_selectorILNS1_17partition_subalgoE1EsNS0_10empty_typeEbEEZZNS1_14partition_implILS5_1ELb0ES3_jN6thrust23THRUST_200600_302600_NS6detail15normal_iteratorINSA_10device_ptrIsEEEEPS6_NSA_18transform_iteratorINSA_8identityIsEESF_NSA_11use_defaultESK_EENS0_5tupleIJSF_SF_EEENSM_IJSG_SG_EEES6_PlJS6_EEE10hipError_tPvRmT3_T4_T5_T6_T7_T9_mT8_P12ihipStream_tbDpT10_ENKUlT_T0_E_clISt17integral_constantIbLb1EES19_EEDaS14_S15_EUlS14_E_NS1_11comp_targetILNS1_3genE3ELNS1_11target_archE908ELNS1_3gpuE7ELNS1_3repE0EEENS1_30default_config_static_selectorELNS0_4arch9wavefront6targetE1EEEvT1_,comdat
.Lfunc_end652:
	.size	_ZN7rocprim17ROCPRIM_400000_NS6detail17trampoline_kernelINS0_14default_configENS1_25partition_config_selectorILNS1_17partition_subalgoE1EsNS0_10empty_typeEbEEZZNS1_14partition_implILS5_1ELb0ES3_jN6thrust23THRUST_200600_302600_NS6detail15normal_iteratorINSA_10device_ptrIsEEEEPS6_NSA_18transform_iteratorINSA_8identityIsEESF_NSA_11use_defaultESK_EENS0_5tupleIJSF_SF_EEENSM_IJSG_SG_EEES6_PlJS6_EEE10hipError_tPvRmT3_T4_T5_T6_T7_T9_mT8_P12ihipStream_tbDpT10_ENKUlT_T0_E_clISt17integral_constantIbLb1EES19_EEDaS14_S15_EUlS14_E_NS1_11comp_targetILNS1_3genE3ELNS1_11target_archE908ELNS1_3gpuE7ELNS1_3repE0EEENS1_30default_config_static_selectorELNS0_4arch9wavefront6targetE1EEEvT1_, .Lfunc_end652-_ZN7rocprim17ROCPRIM_400000_NS6detail17trampoline_kernelINS0_14default_configENS1_25partition_config_selectorILNS1_17partition_subalgoE1EsNS0_10empty_typeEbEEZZNS1_14partition_implILS5_1ELb0ES3_jN6thrust23THRUST_200600_302600_NS6detail15normal_iteratorINSA_10device_ptrIsEEEEPS6_NSA_18transform_iteratorINSA_8identityIsEESF_NSA_11use_defaultESK_EENS0_5tupleIJSF_SF_EEENSM_IJSG_SG_EEES6_PlJS6_EEE10hipError_tPvRmT3_T4_T5_T6_T7_T9_mT8_P12ihipStream_tbDpT10_ENKUlT_T0_E_clISt17integral_constantIbLb1EES19_EEDaS14_S15_EUlS14_E_NS1_11comp_targetILNS1_3genE3ELNS1_11target_archE908ELNS1_3gpuE7ELNS1_3repE0EEENS1_30default_config_static_selectorELNS0_4arch9wavefront6targetE1EEEvT1_
                                        ; -- End function
	.section	.AMDGPU.csdata,"",@progbits
; Kernel info:
; codeLenInByte = 0
; NumSgprs: 4
; NumVgprs: 0
; NumAgprs: 0
; TotalNumVgprs: 0
; ScratchSize: 0
; MemoryBound: 0
; FloatMode: 240
; IeeeMode: 1
; LDSByteSize: 0 bytes/workgroup (compile time only)
; SGPRBlocks: 0
; VGPRBlocks: 0
; NumSGPRsForWavesPerEU: 4
; NumVGPRsForWavesPerEU: 1
; AccumOffset: 4
; Occupancy: 8
; WaveLimiterHint : 0
; COMPUTE_PGM_RSRC2:SCRATCH_EN: 0
; COMPUTE_PGM_RSRC2:USER_SGPR: 6
; COMPUTE_PGM_RSRC2:TRAP_HANDLER: 0
; COMPUTE_PGM_RSRC2:TGID_X_EN: 1
; COMPUTE_PGM_RSRC2:TGID_Y_EN: 0
; COMPUTE_PGM_RSRC2:TGID_Z_EN: 0
; COMPUTE_PGM_RSRC2:TIDIG_COMP_CNT: 0
; COMPUTE_PGM_RSRC3_GFX90A:ACCUM_OFFSET: 0
; COMPUTE_PGM_RSRC3_GFX90A:TG_SPLIT: 0
	.section	.text._ZN7rocprim17ROCPRIM_400000_NS6detail17trampoline_kernelINS0_14default_configENS1_25partition_config_selectorILNS1_17partition_subalgoE1EsNS0_10empty_typeEbEEZZNS1_14partition_implILS5_1ELb0ES3_jN6thrust23THRUST_200600_302600_NS6detail15normal_iteratorINSA_10device_ptrIsEEEEPS6_NSA_18transform_iteratorINSA_8identityIsEESF_NSA_11use_defaultESK_EENS0_5tupleIJSF_SF_EEENSM_IJSG_SG_EEES6_PlJS6_EEE10hipError_tPvRmT3_T4_T5_T6_T7_T9_mT8_P12ihipStream_tbDpT10_ENKUlT_T0_E_clISt17integral_constantIbLb1EES19_EEDaS14_S15_EUlS14_E_NS1_11comp_targetILNS1_3genE2ELNS1_11target_archE906ELNS1_3gpuE6ELNS1_3repE0EEENS1_30default_config_static_selectorELNS0_4arch9wavefront6targetE1EEEvT1_,"axG",@progbits,_ZN7rocprim17ROCPRIM_400000_NS6detail17trampoline_kernelINS0_14default_configENS1_25partition_config_selectorILNS1_17partition_subalgoE1EsNS0_10empty_typeEbEEZZNS1_14partition_implILS5_1ELb0ES3_jN6thrust23THRUST_200600_302600_NS6detail15normal_iteratorINSA_10device_ptrIsEEEEPS6_NSA_18transform_iteratorINSA_8identityIsEESF_NSA_11use_defaultESK_EENS0_5tupleIJSF_SF_EEENSM_IJSG_SG_EEES6_PlJS6_EEE10hipError_tPvRmT3_T4_T5_T6_T7_T9_mT8_P12ihipStream_tbDpT10_ENKUlT_T0_E_clISt17integral_constantIbLb1EES19_EEDaS14_S15_EUlS14_E_NS1_11comp_targetILNS1_3genE2ELNS1_11target_archE906ELNS1_3gpuE6ELNS1_3repE0EEENS1_30default_config_static_selectorELNS0_4arch9wavefront6targetE1EEEvT1_,comdat
	.protected	_ZN7rocprim17ROCPRIM_400000_NS6detail17trampoline_kernelINS0_14default_configENS1_25partition_config_selectorILNS1_17partition_subalgoE1EsNS0_10empty_typeEbEEZZNS1_14partition_implILS5_1ELb0ES3_jN6thrust23THRUST_200600_302600_NS6detail15normal_iteratorINSA_10device_ptrIsEEEEPS6_NSA_18transform_iteratorINSA_8identityIsEESF_NSA_11use_defaultESK_EENS0_5tupleIJSF_SF_EEENSM_IJSG_SG_EEES6_PlJS6_EEE10hipError_tPvRmT3_T4_T5_T6_T7_T9_mT8_P12ihipStream_tbDpT10_ENKUlT_T0_E_clISt17integral_constantIbLb1EES19_EEDaS14_S15_EUlS14_E_NS1_11comp_targetILNS1_3genE2ELNS1_11target_archE906ELNS1_3gpuE6ELNS1_3repE0EEENS1_30default_config_static_selectorELNS0_4arch9wavefront6targetE1EEEvT1_ ; -- Begin function _ZN7rocprim17ROCPRIM_400000_NS6detail17trampoline_kernelINS0_14default_configENS1_25partition_config_selectorILNS1_17partition_subalgoE1EsNS0_10empty_typeEbEEZZNS1_14partition_implILS5_1ELb0ES3_jN6thrust23THRUST_200600_302600_NS6detail15normal_iteratorINSA_10device_ptrIsEEEEPS6_NSA_18transform_iteratorINSA_8identityIsEESF_NSA_11use_defaultESK_EENS0_5tupleIJSF_SF_EEENSM_IJSG_SG_EEES6_PlJS6_EEE10hipError_tPvRmT3_T4_T5_T6_T7_T9_mT8_P12ihipStream_tbDpT10_ENKUlT_T0_E_clISt17integral_constantIbLb1EES19_EEDaS14_S15_EUlS14_E_NS1_11comp_targetILNS1_3genE2ELNS1_11target_archE906ELNS1_3gpuE6ELNS1_3repE0EEENS1_30default_config_static_selectorELNS0_4arch9wavefront6targetE1EEEvT1_
	.globl	_ZN7rocprim17ROCPRIM_400000_NS6detail17trampoline_kernelINS0_14default_configENS1_25partition_config_selectorILNS1_17partition_subalgoE1EsNS0_10empty_typeEbEEZZNS1_14partition_implILS5_1ELb0ES3_jN6thrust23THRUST_200600_302600_NS6detail15normal_iteratorINSA_10device_ptrIsEEEEPS6_NSA_18transform_iteratorINSA_8identityIsEESF_NSA_11use_defaultESK_EENS0_5tupleIJSF_SF_EEENSM_IJSG_SG_EEES6_PlJS6_EEE10hipError_tPvRmT3_T4_T5_T6_T7_T9_mT8_P12ihipStream_tbDpT10_ENKUlT_T0_E_clISt17integral_constantIbLb1EES19_EEDaS14_S15_EUlS14_E_NS1_11comp_targetILNS1_3genE2ELNS1_11target_archE906ELNS1_3gpuE6ELNS1_3repE0EEENS1_30default_config_static_selectorELNS0_4arch9wavefront6targetE1EEEvT1_
	.p2align	8
	.type	_ZN7rocprim17ROCPRIM_400000_NS6detail17trampoline_kernelINS0_14default_configENS1_25partition_config_selectorILNS1_17partition_subalgoE1EsNS0_10empty_typeEbEEZZNS1_14partition_implILS5_1ELb0ES3_jN6thrust23THRUST_200600_302600_NS6detail15normal_iteratorINSA_10device_ptrIsEEEEPS6_NSA_18transform_iteratorINSA_8identityIsEESF_NSA_11use_defaultESK_EENS0_5tupleIJSF_SF_EEENSM_IJSG_SG_EEES6_PlJS6_EEE10hipError_tPvRmT3_T4_T5_T6_T7_T9_mT8_P12ihipStream_tbDpT10_ENKUlT_T0_E_clISt17integral_constantIbLb1EES19_EEDaS14_S15_EUlS14_E_NS1_11comp_targetILNS1_3genE2ELNS1_11target_archE906ELNS1_3gpuE6ELNS1_3repE0EEENS1_30default_config_static_selectorELNS0_4arch9wavefront6targetE1EEEvT1_,@function
_ZN7rocprim17ROCPRIM_400000_NS6detail17trampoline_kernelINS0_14default_configENS1_25partition_config_selectorILNS1_17partition_subalgoE1EsNS0_10empty_typeEbEEZZNS1_14partition_implILS5_1ELb0ES3_jN6thrust23THRUST_200600_302600_NS6detail15normal_iteratorINSA_10device_ptrIsEEEEPS6_NSA_18transform_iteratorINSA_8identityIsEESF_NSA_11use_defaultESK_EENS0_5tupleIJSF_SF_EEENSM_IJSG_SG_EEES6_PlJS6_EEE10hipError_tPvRmT3_T4_T5_T6_T7_T9_mT8_P12ihipStream_tbDpT10_ENKUlT_T0_E_clISt17integral_constantIbLb1EES19_EEDaS14_S15_EUlS14_E_NS1_11comp_targetILNS1_3genE2ELNS1_11target_archE906ELNS1_3gpuE6ELNS1_3repE0EEENS1_30default_config_static_selectorELNS0_4arch9wavefront6targetE1EEEvT1_: ; @_ZN7rocprim17ROCPRIM_400000_NS6detail17trampoline_kernelINS0_14default_configENS1_25partition_config_selectorILNS1_17partition_subalgoE1EsNS0_10empty_typeEbEEZZNS1_14partition_implILS5_1ELb0ES3_jN6thrust23THRUST_200600_302600_NS6detail15normal_iteratorINSA_10device_ptrIsEEEEPS6_NSA_18transform_iteratorINSA_8identityIsEESF_NSA_11use_defaultESK_EENS0_5tupleIJSF_SF_EEENSM_IJSG_SG_EEES6_PlJS6_EEE10hipError_tPvRmT3_T4_T5_T6_T7_T9_mT8_P12ihipStream_tbDpT10_ENKUlT_T0_E_clISt17integral_constantIbLb1EES19_EEDaS14_S15_EUlS14_E_NS1_11comp_targetILNS1_3genE2ELNS1_11target_archE906ELNS1_3gpuE6ELNS1_3repE0EEENS1_30default_config_static_selectorELNS0_4arch9wavefront6targetE1EEEvT1_
; %bb.0:
	.section	.rodata,"a",@progbits
	.p2align	6, 0x0
	.amdhsa_kernel _ZN7rocprim17ROCPRIM_400000_NS6detail17trampoline_kernelINS0_14default_configENS1_25partition_config_selectorILNS1_17partition_subalgoE1EsNS0_10empty_typeEbEEZZNS1_14partition_implILS5_1ELb0ES3_jN6thrust23THRUST_200600_302600_NS6detail15normal_iteratorINSA_10device_ptrIsEEEEPS6_NSA_18transform_iteratorINSA_8identityIsEESF_NSA_11use_defaultESK_EENS0_5tupleIJSF_SF_EEENSM_IJSG_SG_EEES6_PlJS6_EEE10hipError_tPvRmT3_T4_T5_T6_T7_T9_mT8_P12ihipStream_tbDpT10_ENKUlT_T0_E_clISt17integral_constantIbLb1EES19_EEDaS14_S15_EUlS14_E_NS1_11comp_targetILNS1_3genE2ELNS1_11target_archE906ELNS1_3gpuE6ELNS1_3repE0EEENS1_30default_config_static_selectorELNS0_4arch9wavefront6targetE1EEEvT1_
		.amdhsa_group_segment_fixed_size 0
		.amdhsa_private_segment_fixed_size 0
		.amdhsa_kernarg_size 144
		.amdhsa_user_sgpr_count 6
		.amdhsa_user_sgpr_private_segment_buffer 1
		.amdhsa_user_sgpr_dispatch_ptr 0
		.amdhsa_user_sgpr_queue_ptr 0
		.amdhsa_user_sgpr_kernarg_segment_ptr 1
		.amdhsa_user_sgpr_dispatch_id 0
		.amdhsa_user_sgpr_flat_scratch_init 0
		.amdhsa_user_sgpr_kernarg_preload_length 0
		.amdhsa_user_sgpr_kernarg_preload_offset 0
		.amdhsa_user_sgpr_private_segment_size 0
		.amdhsa_uses_dynamic_stack 0
		.amdhsa_system_sgpr_private_segment_wavefront_offset 0
		.amdhsa_system_sgpr_workgroup_id_x 1
		.amdhsa_system_sgpr_workgroup_id_y 0
		.amdhsa_system_sgpr_workgroup_id_z 0
		.amdhsa_system_sgpr_workgroup_info 0
		.amdhsa_system_vgpr_workitem_id 0
		.amdhsa_next_free_vgpr 1
		.amdhsa_next_free_sgpr 0
		.amdhsa_accum_offset 4
		.amdhsa_reserve_vcc 0
		.amdhsa_reserve_flat_scratch 0
		.amdhsa_float_round_mode_32 0
		.amdhsa_float_round_mode_16_64 0
		.amdhsa_float_denorm_mode_32 3
		.amdhsa_float_denorm_mode_16_64 3
		.amdhsa_dx10_clamp 1
		.amdhsa_ieee_mode 1
		.amdhsa_fp16_overflow 0
		.amdhsa_tg_split 0
		.amdhsa_exception_fp_ieee_invalid_op 0
		.amdhsa_exception_fp_denorm_src 0
		.amdhsa_exception_fp_ieee_div_zero 0
		.amdhsa_exception_fp_ieee_overflow 0
		.amdhsa_exception_fp_ieee_underflow 0
		.amdhsa_exception_fp_ieee_inexact 0
		.amdhsa_exception_int_div_zero 0
	.end_amdhsa_kernel
	.section	.text._ZN7rocprim17ROCPRIM_400000_NS6detail17trampoline_kernelINS0_14default_configENS1_25partition_config_selectorILNS1_17partition_subalgoE1EsNS0_10empty_typeEbEEZZNS1_14partition_implILS5_1ELb0ES3_jN6thrust23THRUST_200600_302600_NS6detail15normal_iteratorINSA_10device_ptrIsEEEEPS6_NSA_18transform_iteratorINSA_8identityIsEESF_NSA_11use_defaultESK_EENS0_5tupleIJSF_SF_EEENSM_IJSG_SG_EEES6_PlJS6_EEE10hipError_tPvRmT3_T4_T5_T6_T7_T9_mT8_P12ihipStream_tbDpT10_ENKUlT_T0_E_clISt17integral_constantIbLb1EES19_EEDaS14_S15_EUlS14_E_NS1_11comp_targetILNS1_3genE2ELNS1_11target_archE906ELNS1_3gpuE6ELNS1_3repE0EEENS1_30default_config_static_selectorELNS0_4arch9wavefront6targetE1EEEvT1_,"axG",@progbits,_ZN7rocprim17ROCPRIM_400000_NS6detail17trampoline_kernelINS0_14default_configENS1_25partition_config_selectorILNS1_17partition_subalgoE1EsNS0_10empty_typeEbEEZZNS1_14partition_implILS5_1ELb0ES3_jN6thrust23THRUST_200600_302600_NS6detail15normal_iteratorINSA_10device_ptrIsEEEEPS6_NSA_18transform_iteratorINSA_8identityIsEESF_NSA_11use_defaultESK_EENS0_5tupleIJSF_SF_EEENSM_IJSG_SG_EEES6_PlJS6_EEE10hipError_tPvRmT3_T4_T5_T6_T7_T9_mT8_P12ihipStream_tbDpT10_ENKUlT_T0_E_clISt17integral_constantIbLb1EES19_EEDaS14_S15_EUlS14_E_NS1_11comp_targetILNS1_3genE2ELNS1_11target_archE906ELNS1_3gpuE6ELNS1_3repE0EEENS1_30default_config_static_selectorELNS0_4arch9wavefront6targetE1EEEvT1_,comdat
.Lfunc_end653:
	.size	_ZN7rocprim17ROCPRIM_400000_NS6detail17trampoline_kernelINS0_14default_configENS1_25partition_config_selectorILNS1_17partition_subalgoE1EsNS0_10empty_typeEbEEZZNS1_14partition_implILS5_1ELb0ES3_jN6thrust23THRUST_200600_302600_NS6detail15normal_iteratorINSA_10device_ptrIsEEEEPS6_NSA_18transform_iteratorINSA_8identityIsEESF_NSA_11use_defaultESK_EENS0_5tupleIJSF_SF_EEENSM_IJSG_SG_EEES6_PlJS6_EEE10hipError_tPvRmT3_T4_T5_T6_T7_T9_mT8_P12ihipStream_tbDpT10_ENKUlT_T0_E_clISt17integral_constantIbLb1EES19_EEDaS14_S15_EUlS14_E_NS1_11comp_targetILNS1_3genE2ELNS1_11target_archE906ELNS1_3gpuE6ELNS1_3repE0EEENS1_30default_config_static_selectorELNS0_4arch9wavefront6targetE1EEEvT1_, .Lfunc_end653-_ZN7rocprim17ROCPRIM_400000_NS6detail17trampoline_kernelINS0_14default_configENS1_25partition_config_selectorILNS1_17partition_subalgoE1EsNS0_10empty_typeEbEEZZNS1_14partition_implILS5_1ELb0ES3_jN6thrust23THRUST_200600_302600_NS6detail15normal_iteratorINSA_10device_ptrIsEEEEPS6_NSA_18transform_iteratorINSA_8identityIsEESF_NSA_11use_defaultESK_EENS0_5tupleIJSF_SF_EEENSM_IJSG_SG_EEES6_PlJS6_EEE10hipError_tPvRmT3_T4_T5_T6_T7_T9_mT8_P12ihipStream_tbDpT10_ENKUlT_T0_E_clISt17integral_constantIbLb1EES19_EEDaS14_S15_EUlS14_E_NS1_11comp_targetILNS1_3genE2ELNS1_11target_archE906ELNS1_3gpuE6ELNS1_3repE0EEENS1_30default_config_static_selectorELNS0_4arch9wavefront6targetE1EEEvT1_
                                        ; -- End function
	.section	.AMDGPU.csdata,"",@progbits
; Kernel info:
; codeLenInByte = 0
; NumSgprs: 4
; NumVgprs: 0
; NumAgprs: 0
; TotalNumVgprs: 0
; ScratchSize: 0
; MemoryBound: 0
; FloatMode: 240
; IeeeMode: 1
; LDSByteSize: 0 bytes/workgroup (compile time only)
; SGPRBlocks: 0
; VGPRBlocks: 0
; NumSGPRsForWavesPerEU: 4
; NumVGPRsForWavesPerEU: 1
; AccumOffset: 4
; Occupancy: 8
; WaveLimiterHint : 0
; COMPUTE_PGM_RSRC2:SCRATCH_EN: 0
; COMPUTE_PGM_RSRC2:USER_SGPR: 6
; COMPUTE_PGM_RSRC2:TRAP_HANDLER: 0
; COMPUTE_PGM_RSRC2:TGID_X_EN: 1
; COMPUTE_PGM_RSRC2:TGID_Y_EN: 0
; COMPUTE_PGM_RSRC2:TGID_Z_EN: 0
; COMPUTE_PGM_RSRC2:TIDIG_COMP_CNT: 0
; COMPUTE_PGM_RSRC3_GFX90A:ACCUM_OFFSET: 0
; COMPUTE_PGM_RSRC3_GFX90A:TG_SPLIT: 0
	.section	.text._ZN7rocprim17ROCPRIM_400000_NS6detail17trampoline_kernelINS0_14default_configENS1_25partition_config_selectorILNS1_17partition_subalgoE1EsNS0_10empty_typeEbEEZZNS1_14partition_implILS5_1ELb0ES3_jN6thrust23THRUST_200600_302600_NS6detail15normal_iteratorINSA_10device_ptrIsEEEEPS6_NSA_18transform_iteratorINSA_8identityIsEESF_NSA_11use_defaultESK_EENS0_5tupleIJSF_SF_EEENSM_IJSG_SG_EEES6_PlJS6_EEE10hipError_tPvRmT3_T4_T5_T6_T7_T9_mT8_P12ihipStream_tbDpT10_ENKUlT_T0_E_clISt17integral_constantIbLb1EES19_EEDaS14_S15_EUlS14_E_NS1_11comp_targetILNS1_3genE10ELNS1_11target_archE1200ELNS1_3gpuE4ELNS1_3repE0EEENS1_30default_config_static_selectorELNS0_4arch9wavefront6targetE1EEEvT1_,"axG",@progbits,_ZN7rocprim17ROCPRIM_400000_NS6detail17trampoline_kernelINS0_14default_configENS1_25partition_config_selectorILNS1_17partition_subalgoE1EsNS0_10empty_typeEbEEZZNS1_14partition_implILS5_1ELb0ES3_jN6thrust23THRUST_200600_302600_NS6detail15normal_iteratorINSA_10device_ptrIsEEEEPS6_NSA_18transform_iteratorINSA_8identityIsEESF_NSA_11use_defaultESK_EENS0_5tupleIJSF_SF_EEENSM_IJSG_SG_EEES6_PlJS6_EEE10hipError_tPvRmT3_T4_T5_T6_T7_T9_mT8_P12ihipStream_tbDpT10_ENKUlT_T0_E_clISt17integral_constantIbLb1EES19_EEDaS14_S15_EUlS14_E_NS1_11comp_targetILNS1_3genE10ELNS1_11target_archE1200ELNS1_3gpuE4ELNS1_3repE0EEENS1_30default_config_static_selectorELNS0_4arch9wavefront6targetE1EEEvT1_,comdat
	.protected	_ZN7rocprim17ROCPRIM_400000_NS6detail17trampoline_kernelINS0_14default_configENS1_25partition_config_selectorILNS1_17partition_subalgoE1EsNS0_10empty_typeEbEEZZNS1_14partition_implILS5_1ELb0ES3_jN6thrust23THRUST_200600_302600_NS6detail15normal_iteratorINSA_10device_ptrIsEEEEPS6_NSA_18transform_iteratorINSA_8identityIsEESF_NSA_11use_defaultESK_EENS0_5tupleIJSF_SF_EEENSM_IJSG_SG_EEES6_PlJS6_EEE10hipError_tPvRmT3_T4_T5_T6_T7_T9_mT8_P12ihipStream_tbDpT10_ENKUlT_T0_E_clISt17integral_constantIbLb1EES19_EEDaS14_S15_EUlS14_E_NS1_11comp_targetILNS1_3genE10ELNS1_11target_archE1200ELNS1_3gpuE4ELNS1_3repE0EEENS1_30default_config_static_selectorELNS0_4arch9wavefront6targetE1EEEvT1_ ; -- Begin function _ZN7rocprim17ROCPRIM_400000_NS6detail17trampoline_kernelINS0_14default_configENS1_25partition_config_selectorILNS1_17partition_subalgoE1EsNS0_10empty_typeEbEEZZNS1_14partition_implILS5_1ELb0ES3_jN6thrust23THRUST_200600_302600_NS6detail15normal_iteratorINSA_10device_ptrIsEEEEPS6_NSA_18transform_iteratorINSA_8identityIsEESF_NSA_11use_defaultESK_EENS0_5tupleIJSF_SF_EEENSM_IJSG_SG_EEES6_PlJS6_EEE10hipError_tPvRmT3_T4_T5_T6_T7_T9_mT8_P12ihipStream_tbDpT10_ENKUlT_T0_E_clISt17integral_constantIbLb1EES19_EEDaS14_S15_EUlS14_E_NS1_11comp_targetILNS1_3genE10ELNS1_11target_archE1200ELNS1_3gpuE4ELNS1_3repE0EEENS1_30default_config_static_selectorELNS0_4arch9wavefront6targetE1EEEvT1_
	.globl	_ZN7rocprim17ROCPRIM_400000_NS6detail17trampoline_kernelINS0_14default_configENS1_25partition_config_selectorILNS1_17partition_subalgoE1EsNS0_10empty_typeEbEEZZNS1_14partition_implILS5_1ELb0ES3_jN6thrust23THRUST_200600_302600_NS6detail15normal_iteratorINSA_10device_ptrIsEEEEPS6_NSA_18transform_iteratorINSA_8identityIsEESF_NSA_11use_defaultESK_EENS0_5tupleIJSF_SF_EEENSM_IJSG_SG_EEES6_PlJS6_EEE10hipError_tPvRmT3_T4_T5_T6_T7_T9_mT8_P12ihipStream_tbDpT10_ENKUlT_T0_E_clISt17integral_constantIbLb1EES19_EEDaS14_S15_EUlS14_E_NS1_11comp_targetILNS1_3genE10ELNS1_11target_archE1200ELNS1_3gpuE4ELNS1_3repE0EEENS1_30default_config_static_selectorELNS0_4arch9wavefront6targetE1EEEvT1_
	.p2align	8
	.type	_ZN7rocprim17ROCPRIM_400000_NS6detail17trampoline_kernelINS0_14default_configENS1_25partition_config_selectorILNS1_17partition_subalgoE1EsNS0_10empty_typeEbEEZZNS1_14partition_implILS5_1ELb0ES3_jN6thrust23THRUST_200600_302600_NS6detail15normal_iteratorINSA_10device_ptrIsEEEEPS6_NSA_18transform_iteratorINSA_8identityIsEESF_NSA_11use_defaultESK_EENS0_5tupleIJSF_SF_EEENSM_IJSG_SG_EEES6_PlJS6_EEE10hipError_tPvRmT3_T4_T5_T6_T7_T9_mT8_P12ihipStream_tbDpT10_ENKUlT_T0_E_clISt17integral_constantIbLb1EES19_EEDaS14_S15_EUlS14_E_NS1_11comp_targetILNS1_3genE10ELNS1_11target_archE1200ELNS1_3gpuE4ELNS1_3repE0EEENS1_30default_config_static_selectorELNS0_4arch9wavefront6targetE1EEEvT1_,@function
_ZN7rocprim17ROCPRIM_400000_NS6detail17trampoline_kernelINS0_14default_configENS1_25partition_config_selectorILNS1_17partition_subalgoE1EsNS0_10empty_typeEbEEZZNS1_14partition_implILS5_1ELb0ES3_jN6thrust23THRUST_200600_302600_NS6detail15normal_iteratorINSA_10device_ptrIsEEEEPS6_NSA_18transform_iteratorINSA_8identityIsEESF_NSA_11use_defaultESK_EENS0_5tupleIJSF_SF_EEENSM_IJSG_SG_EEES6_PlJS6_EEE10hipError_tPvRmT3_T4_T5_T6_T7_T9_mT8_P12ihipStream_tbDpT10_ENKUlT_T0_E_clISt17integral_constantIbLb1EES19_EEDaS14_S15_EUlS14_E_NS1_11comp_targetILNS1_3genE10ELNS1_11target_archE1200ELNS1_3gpuE4ELNS1_3repE0EEENS1_30default_config_static_selectorELNS0_4arch9wavefront6targetE1EEEvT1_: ; @_ZN7rocprim17ROCPRIM_400000_NS6detail17trampoline_kernelINS0_14default_configENS1_25partition_config_selectorILNS1_17partition_subalgoE1EsNS0_10empty_typeEbEEZZNS1_14partition_implILS5_1ELb0ES3_jN6thrust23THRUST_200600_302600_NS6detail15normal_iteratorINSA_10device_ptrIsEEEEPS6_NSA_18transform_iteratorINSA_8identityIsEESF_NSA_11use_defaultESK_EENS0_5tupleIJSF_SF_EEENSM_IJSG_SG_EEES6_PlJS6_EEE10hipError_tPvRmT3_T4_T5_T6_T7_T9_mT8_P12ihipStream_tbDpT10_ENKUlT_T0_E_clISt17integral_constantIbLb1EES19_EEDaS14_S15_EUlS14_E_NS1_11comp_targetILNS1_3genE10ELNS1_11target_archE1200ELNS1_3gpuE4ELNS1_3repE0EEENS1_30default_config_static_selectorELNS0_4arch9wavefront6targetE1EEEvT1_
; %bb.0:
	.section	.rodata,"a",@progbits
	.p2align	6, 0x0
	.amdhsa_kernel _ZN7rocprim17ROCPRIM_400000_NS6detail17trampoline_kernelINS0_14default_configENS1_25partition_config_selectorILNS1_17partition_subalgoE1EsNS0_10empty_typeEbEEZZNS1_14partition_implILS5_1ELb0ES3_jN6thrust23THRUST_200600_302600_NS6detail15normal_iteratorINSA_10device_ptrIsEEEEPS6_NSA_18transform_iteratorINSA_8identityIsEESF_NSA_11use_defaultESK_EENS0_5tupleIJSF_SF_EEENSM_IJSG_SG_EEES6_PlJS6_EEE10hipError_tPvRmT3_T4_T5_T6_T7_T9_mT8_P12ihipStream_tbDpT10_ENKUlT_T0_E_clISt17integral_constantIbLb1EES19_EEDaS14_S15_EUlS14_E_NS1_11comp_targetILNS1_3genE10ELNS1_11target_archE1200ELNS1_3gpuE4ELNS1_3repE0EEENS1_30default_config_static_selectorELNS0_4arch9wavefront6targetE1EEEvT1_
		.amdhsa_group_segment_fixed_size 0
		.amdhsa_private_segment_fixed_size 0
		.amdhsa_kernarg_size 144
		.amdhsa_user_sgpr_count 6
		.amdhsa_user_sgpr_private_segment_buffer 1
		.amdhsa_user_sgpr_dispatch_ptr 0
		.amdhsa_user_sgpr_queue_ptr 0
		.amdhsa_user_sgpr_kernarg_segment_ptr 1
		.amdhsa_user_sgpr_dispatch_id 0
		.amdhsa_user_sgpr_flat_scratch_init 0
		.amdhsa_user_sgpr_kernarg_preload_length 0
		.amdhsa_user_sgpr_kernarg_preload_offset 0
		.amdhsa_user_sgpr_private_segment_size 0
		.amdhsa_uses_dynamic_stack 0
		.amdhsa_system_sgpr_private_segment_wavefront_offset 0
		.amdhsa_system_sgpr_workgroup_id_x 1
		.amdhsa_system_sgpr_workgroup_id_y 0
		.amdhsa_system_sgpr_workgroup_id_z 0
		.amdhsa_system_sgpr_workgroup_info 0
		.amdhsa_system_vgpr_workitem_id 0
		.amdhsa_next_free_vgpr 1
		.amdhsa_next_free_sgpr 0
		.amdhsa_accum_offset 4
		.amdhsa_reserve_vcc 0
		.amdhsa_reserve_flat_scratch 0
		.amdhsa_float_round_mode_32 0
		.amdhsa_float_round_mode_16_64 0
		.amdhsa_float_denorm_mode_32 3
		.amdhsa_float_denorm_mode_16_64 3
		.amdhsa_dx10_clamp 1
		.amdhsa_ieee_mode 1
		.amdhsa_fp16_overflow 0
		.amdhsa_tg_split 0
		.amdhsa_exception_fp_ieee_invalid_op 0
		.amdhsa_exception_fp_denorm_src 0
		.amdhsa_exception_fp_ieee_div_zero 0
		.amdhsa_exception_fp_ieee_overflow 0
		.amdhsa_exception_fp_ieee_underflow 0
		.amdhsa_exception_fp_ieee_inexact 0
		.amdhsa_exception_int_div_zero 0
	.end_amdhsa_kernel
	.section	.text._ZN7rocprim17ROCPRIM_400000_NS6detail17trampoline_kernelINS0_14default_configENS1_25partition_config_selectorILNS1_17partition_subalgoE1EsNS0_10empty_typeEbEEZZNS1_14partition_implILS5_1ELb0ES3_jN6thrust23THRUST_200600_302600_NS6detail15normal_iteratorINSA_10device_ptrIsEEEEPS6_NSA_18transform_iteratorINSA_8identityIsEESF_NSA_11use_defaultESK_EENS0_5tupleIJSF_SF_EEENSM_IJSG_SG_EEES6_PlJS6_EEE10hipError_tPvRmT3_T4_T5_T6_T7_T9_mT8_P12ihipStream_tbDpT10_ENKUlT_T0_E_clISt17integral_constantIbLb1EES19_EEDaS14_S15_EUlS14_E_NS1_11comp_targetILNS1_3genE10ELNS1_11target_archE1200ELNS1_3gpuE4ELNS1_3repE0EEENS1_30default_config_static_selectorELNS0_4arch9wavefront6targetE1EEEvT1_,"axG",@progbits,_ZN7rocprim17ROCPRIM_400000_NS6detail17trampoline_kernelINS0_14default_configENS1_25partition_config_selectorILNS1_17partition_subalgoE1EsNS0_10empty_typeEbEEZZNS1_14partition_implILS5_1ELb0ES3_jN6thrust23THRUST_200600_302600_NS6detail15normal_iteratorINSA_10device_ptrIsEEEEPS6_NSA_18transform_iteratorINSA_8identityIsEESF_NSA_11use_defaultESK_EENS0_5tupleIJSF_SF_EEENSM_IJSG_SG_EEES6_PlJS6_EEE10hipError_tPvRmT3_T4_T5_T6_T7_T9_mT8_P12ihipStream_tbDpT10_ENKUlT_T0_E_clISt17integral_constantIbLb1EES19_EEDaS14_S15_EUlS14_E_NS1_11comp_targetILNS1_3genE10ELNS1_11target_archE1200ELNS1_3gpuE4ELNS1_3repE0EEENS1_30default_config_static_selectorELNS0_4arch9wavefront6targetE1EEEvT1_,comdat
.Lfunc_end654:
	.size	_ZN7rocprim17ROCPRIM_400000_NS6detail17trampoline_kernelINS0_14default_configENS1_25partition_config_selectorILNS1_17partition_subalgoE1EsNS0_10empty_typeEbEEZZNS1_14partition_implILS5_1ELb0ES3_jN6thrust23THRUST_200600_302600_NS6detail15normal_iteratorINSA_10device_ptrIsEEEEPS6_NSA_18transform_iteratorINSA_8identityIsEESF_NSA_11use_defaultESK_EENS0_5tupleIJSF_SF_EEENSM_IJSG_SG_EEES6_PlJS6_EEE10hipError_tPvRmT3_T4_T5_T6_T7_T9_mT8_P12ihipStream_tbDpT10_ENKUlT_T0_E_clISt17integral_constantIbLb1EES19_EEDaS14_S15_EUlS14_E_NS1_11comp_targetILNS1_3genE10ELNS1_11target_archE1200ELNS1_3gpuE4ELNS1_3repE0EEENS1_30default_config_static_selectorELNS0_4arch9wavefront6targetE1EEEvT1_, .Lfunc_end654-_ZN7rocprim17ROCPRIM_400000_NS6detail17trampoline_kernelINS0_14default_configENS1_25partition_config_selectorILNS1_17partition_subalgoE1EsNS0_10empty_typeEbEEZZNS1_14partition_implILS5_1ELb0ES3_jN6thrust23THRUST_200600_302600_NS6detail15normal_iteratorINSA_10device_ptrIsEEEEPS6_NSA_18transform_iteratorINSA_8identityIsEESF_NSA_11use_defaultESK_EENS0_5tupleIJSF_SF_EEENSM_IJSG_SG_EEES6_PlJS6_EEE10hipError_tPvRmT3_T4_T5_T6_T7_T9_mT8_P12ihipStream_tbDpT10_ENKUlT_T0_E_clISt17integral_constantIbLb1EES19_EEDaS14_S15_EUlS14_E_NS1_11comp_targetILNS1_3genE10ELNS1_11target_archE1200ELNS1_3gpuE4ELNS1_3repE0EEENS1_30default_config_static_selectorELNS0_4arch9wavefront6targetE1EEEvT1_
                                        ; -- End function
	.section	.AMDGPU.csdata,"",@progbits
; Kernel info:
; codeLenInByte = 0
; NumSgprs: 4
; NumVgprs: 0
; NumAgprs: 0
; TotalNumVgprs: 0
; ScratchSize: 0
; MemoryBound: 0
; FloatMode: 240
; IeeeMode: 1
; LDSByteSize: 0 bytes/workgroup (compile time only)
; SGPRBlocks: 0
; VGPRBlocks: 0
; NumSGPRsForWavesPerEU: 4
; NumVGPRsForWavesPerEU: 1
; AccumOffset: 4
; Occupancy: 8
; WaveLimiterHint : 0
; COMPUTE_PGM_RSRC2:SCRATCH_EN: 0
; COMPUTE_PGM_RSRC2:USER_SGPR: 6
; COMPUTE_PGM_RSRC2:TRAP_HANDLER: 0
; COMPUTE_PGM_RSRC2:TGID_X_EN: 1
; COMPUTE_PGM_RSRC2:TGID_Y_EN: 0
; COMPUTE_PGM_RSRC2:TGID_Z_EN: 0
; COMPUTE_PGM_RSRC2:TIDIG_COMP_CNT: 0
; COMPUTE_PGM_RSRC3_GFX90A:ACCUM_OFFSET: 0
; COMPUTE_PGM_RSRC3_GFX90A:TG_SPLIT: 0
	.section	.text._ZN7rocprim17ROCPRIM_400000_NS6detail17trampoline_kernelINS0_14default_configENS1_25partition_config_selectorILNS1_17partition_subalgoE1EsNS0_10empty_typeEbEEZZNS1_14partition_implILS5_1ELb0ES3_jN6thrust23THRUST_200600_302600_NS6detail15normal_iteratorINSA_10device_ptrIsEEEEPS6_NSA_18transform_iteratorINSA_8identityIsEESF_NSA_11use_defaultESK_EENS0_5tupleIJSF_SF_EEENSM_IJSG_SG_EEES6_PlJS6_EEE10hipError_tPvRmT3_T4_T5_T6_T7_T9_mT8_P12ihipStream_tbDpT10_ENKUlT_T0_E_clISt17integral_constantIbLb1EES19_EEDaS14_S15_EUlS14_E_NS1_11comp_targetILNS1_3genE9ELNS1_11target_archE1100ELNS1_3gpuE3ELNS1_3repE0EEENS1_30default_config_static_selectorELNS0_4arch9wavefront6targetE1EEEvT1_,"axG",@progbits,_ZN7rocprim17ROCPRIM_400000_NS6detail17trampoline_kernelINS0_14default_configENS1_25partition_config_selectorILNS1_17partition_subalgoE1EsNS0_10empty_typeEbEEZZNS1_14partition_implILS5_1ELb0ES3_jN6thrust23THRUST_200600_302600_NS6detail15normal_iteratorINSA_10device_ptrIsEEEEPS6_NSA_18transform_iteratorINSA_8identityIsEESF_NSA_11use_defaultESK_EENS0_5tupleIJSF_SF_EEENSM_IJSG_SG_EEES6_PlJS6_EEE10hipError_tPvRmT3_T4_T5_T6_T7_T9_mT8_P12ihipStream_tbDpT10_ENKUlT_T0_E_clISt17integral_constantIbLb1EES19_EEDaS14_S15_EUlS14_E_NS1_11comp_targetILNS1_3genE9ELNS1_11target_archE1100ELNS1_3gpuE3ELNS1_3repE0EEENS1_30default_config_static_selectorELNS0_4arch9wavefront6targetE1EEEvT1_,comdat
	.protected	_ZN7rocprim17ROCPRIM_400000_NS6detail17trampoline_kernelINS0_14default_configENS1_25partition_config_selectorILNS1_17partition_subalgoE1EsNS0_10empty_typeEbEEZZNS1_14partition_implILS5_1ELb0ES3_jN6thrust23THRUST_200600_302600_NS6detail15normal_iteratorINSA_10device_ptrIsEEEEPS6_NSA_18transform_iteratorINSA_8identityIsEESF_NSA_11use_defaultESK_EENS0_5tupleIJSF_SF_EEENSM_IJSG_SG_EEES6_PlJS6_EEE10hipError_tPvRmT3_T4_T5_T6_T7_T9_mT8_P12ihipStream_tbDpT10_ENKUlT_T0_E_clISt17integral_constantIbLb1EES19_EEDaS14_S15_EUlS14_E_NS1_11comp_targetILNS1_3genE9ELNS1_11target_archE1100ELNS1_3gpuE3ELNS1_3repE0EEENS1_30default_config_static_selectorELNS0_4arch9wavefront6targetE1EEEvT1_ ; -- Begin function _ZN7rocprim17ROCPRIM_400000_NS6detail17trampoline_kernelINS0_14default_configENS1_25partition_config_selectorILNS1_17partition_subalgoE1EsNS0_10empty_typeEbEEZZNS1_14partition_implILS5_1ELb0ES3_jN6thrust23THRUST_200600_302600_NS6detail15normal_iteratorINSA_10device_ptrIsEEEEPS6_NSA_18transform_iteratorINSA_8identityIsEESF_NSA_11use_defaultESK_EENS0_5tupleIJSF_SF_EEENSM_IJSG_SG_EEES6_PlJS6_EEE10hipError_tPvRmT3_T4_T5_T6_T7_T9_mT8_P12ihipStream_tbDpT10_ENKUlT_T0_E_clISt17integral_constantIbLb1EES19_EEDaS14_S15_EUlS14_E_NS1_11comp_targetILNS1_3genE9ELNS1_11target_archE1100ELNS1_3gpuE3ELNS1_3repE0EEENS1_30default_config_static_selectorELNS0_4arch9wavefront6targetE1EEEvT1_
	.globl	_ZN7rocprim17ROCPRIM_400000_NS6detail17trampoline_kernelINS0_14default_configENS1_25partition_config_selectorILNS1_17partition_subalgoE1EsNS0_10empty_typeEbEEZZNS1_14partition_implILS5_1ELb0ES3_jN6thrust23THRUST_200600_302600_NS6detail15normal_iteratorINSA_10device_ptrIsEEEEPS6_NSA_18transform_iteratorINSA_8identityIsEESF_NSA_11use_defaultESK_EENS0_5tupleIJSF_SF_EEENSM_IJSG_SG_EEES6_PlJS6_EEE10hipError_tPvRmT3_T4_T5_T6_T7_T9_mT8_P12ihipStream_tbDpT10_ENKUlT_T0_E_clISt17integral_constantIbLb1EES19_EEDaS14_S15_EUlS14_E_NS1_11comp_targetILNS1_3genE9ELNS1_11target_archE1100ELNS1_3gpuE3ELNS1_3repE0EEENS1_30default_config_static_selectorELNS0_4arch9wavefront6targetE1EEEvT1_
	.p2align	8
	.type	_ZN7rocprim17ROCPRIM_400000_NS6detail17trampoline_kernelINS0_14default_configENS1_25partition_config_selectorILNS1_17partition_subalgoE1EsNS0_10empty_typeEbEEZZNS1_14partition_implILS5_1ELb0ES3_jN6thrust23THRUST_200600_302600_NS6detail15normal_iteratorINSA_10device_ptrIsEEEEPS6_NSA_18transform_iteratorINSA_8identityIsEESF_NSA_11use_defaultESK_EENS0_5tupleIJSF_SF_EEENSM_IJSG_SG_EEES6_PlJS6_EEE10hipError_tPvRmT3_T4_T5_T6_T7_T9_mT8_P12ihipStream_tbDpT10_ENKUlT_T0_E_clISt17integral_constantIbLb1EES19_EEDaS14_S15_EUlS14_E_NS1_11comp_targetILNS1_3genE9ELNS1_11target_archE1100ELNS1_3gpuE3ELNS1_3repE0EEENS1_30default_config_static_selectorELNS0_4arch9wavefront6targetE1EEEvT1_,@function
_ZN7rocprim17ROCPRIM_400000_NS6detail17trampoline_kernelINS0_14default_configENS1_25partition_config_selectorILNS1_17partition_subalgoE1EsNS0_10empty_typeEbEEZZNS1_14partition_implILS5_1ELb0ES3_jN6thrust23THRUST_200600_302600_NS6detail15normal_iteratorINSA_10device_ptrIsEEEEPS6_NSA_18transform_iteratorINSA_8identityIsEESF_NSA_11use_defaultESK_EENS0_5tupleIJSF_SF_EEENSM_IJSG_SG_EEES6_PlJS6_EEE10hipError_tPvRmT3_T4_T5_T6_T7_T9_mT8_P12ihipStream_tbDpT10_ENKUlT_T0_E_clISt17integral_constantIbLb1EES19_EEDaS14_S15_EUlS14_E_NS1_11comp_targetILNS1_3genE9ELNS1_11target_archE1100ELNS1_3gpuE3ELNS1_3repE0EEENS1_30default_config_static_selectorELNS0_4arch9wavefront6targetE1EEEvT1_: ; @_ZN7rocprim17ROCPRIM_400000_NS6detail17trampoline_kernelINS0_14default_configENS1_25partition_config_selectorILNS1_17partition_subalgoE1EsNS0_10empty_typeEbEEZZNS1_14partition_implILS5_1ELb0ES3_jN6thrust23THRUST_200600_302600_NS6detail15normal_iteratorINSA_10device_ptrIsEEEEPS6_NSA_18transform_iteratorINSA_8identityIsEESF_NSA_11use_defaultESK_EENS0_5tupleIJSF_SF_EEENSM_IJSG_SG_EEES6_PlJS6_EEE10hipError_tPvRmT3_T4_T5_T6_T7_T9_mT8_P12ihipStream_tbDpT10_ENKUlT_T0_E_clISt17integral_constantIbLb1EES19_EEDaS14_S15_EUlS14_E_NS1_11comp_targetILNS1_3genE9ELNS1_11target_archE1100ELNS1_3gpuE3ELNS1_3repE0EEENS1_30default_config_static_selectorELNS0_4arch9wavefront6targetE1EEEvT1_
; %bb.0:
	.section	.rodata,"a",@progbits
	.p2align	6, 0x0
	.amdhsa_kernel _ZN7rocprim17ROCPRIM_400000_NS6detail17trampoline_kernelINS0_14default_configENS1_25partition_config_selectorILNS1_17partition_subalgoE1EsNS0_10empty_typeEbEEZZNS1_14partition_implILS5_1ELb0ES3_jN6thrust23THRUST_200600_302600_NS6detail15normal_iteratorINSA_10device_ptrIsEEEEPS6_NSA_18transform_iteratorINSA_8identityIsEESF_NSA_11use_defaultESK_EENS0_5tupleIJSF_SF_EEENSM_IJSG_SG_EEES6_PlJS6_EEE10hipError_tPvRmT3_T4_T5_T6_T7_T9_mT8_P12ihipStream_tbDpT10_ENKUlT_T0_E_clISt17integral_constantIbLb1EES19_EEDaS14_S15_EUlS14_E_NS1_11comp_targetILNS1_3genE9ELNS1_11target_archE1100ELNS1_3gpuE3ELNS1_3repE0EEENS1_30default_config_static_selectorELNS0_4arch9wavefront6targetE1EEEvT1_
		.amdhsa_group_segment_fixed_size 0
		.amdhsa_private_segment_fixed_size 0
		.amdhsa_kernarg_size 144
		.amdhsa_user_sgpr_count 6
		.amdhsa_user_sgpr_private_segment_buffer 1
		.amdhsa_user_sgpr_dispatch_ptr 0
		.amdhsa_user_sgpr_queue_ptr 0
		.amdhsa_user_sgpr_kernarg_segment_ptr 1
		.amdhsa_user_sgpr_dispatch_id 0
		.amdhsa_user_sgpr_flat_scratch_init 0
		.amdhsa_user_sgpr_kernarg_preload_length 0
		.amdhsa_user_sgpr_kernarg_preload_offset 0
		.amdhsa_user_sgpr_private_segment_size 0
		.amdhsa_uses_dynamic_stack 0
		.amdhsa_system_sgpr_private_segment_wavefront_offset 0
		.amdhsa_system_sgpr_workgroup_id_x 1
		.amdhsa_system_sgpr_workgroup_id_y 0
		.amdhsa_system_sgpr_workgroup_id_z 0
		.amdhsa_system_sgpr_workgroup_info 0
		.amdhsa_system_vgpr_workitem_id 0
		.amdhsa_next_free_vgpr 1
		.amdhsa_next_free_sgpr 0
		.amdhsa_accum_offset 4
		.amdhsa_reserve_vcc 0
		.amdhsa_reserve_flat_scratch 0
		.amdhsa_float_round_mode_32 0
		.amdhsa_float_round_mode_16_64 0
		.amdhsa_float_denorm_mode_32 3
		.amdhsa_float_denorm_mode_16_64 3
		.amdhsa_dx10_clamp 1
		.amdhsa_ieee_mode 1
		.amdhsa_fp16_overflow 0
		.amdhsa_tg_split 0
		.amdhsa_exception_fp_ieee_invalid_op 0
		.amdhsa_exception_fp_denorm_src 0
		.amdhsa_exception_fp_ieee_div_zero 0
		.amdhsa_exception_fp_ieee_overflow 0
		.amdhsa_exception_fp_ieee_underflow 0
		.amdhsa_exception_fp_ieee_inexact 0
		.amdhsa_exception_int_div_zero 0
	.end_amdhsa_kernel
	.section	.text._ZN7rocprim17ROCPRIM_400000_NS6detail17trampoline_kernelINS0_14default_configENS1_25partition_config_selectorILNS1_17partition_subalgoE1EsNS0_10empty_typeEbEEZZNS1_14partition_implILS5_1ELb0ES3_jN6thrust23THRUST_200600_302600_NS6detail15normal_iteratorINSA_10device_ptrIsEEEEPS6_NSA_18transform_iteratorINSA_8identityIsEESF_NSA_11use_defaultESK_EENS0_5tupleIJSF_SF_EEENSM_IJSG_SG_EEES6_PlJS6_EEE10hipError_tPvRmT3_T4_T5_T6_T7_T9_mT8_P12ihipStream_tbDpT10_ENKUlT_T0_E_clISt17integral_constantIbLb1EES19_EEDaS14_S15_EUlS14_E_NS1_11comp_targetILNS1_3genE9ELNS1_11target_archE1100ELNS1_3gpuE3ELNS1_3repE0EEENS1_30default_config_static_selectorELNS0_4arch9wavefront6targetE1EEEvT1_,"axG",@progbits,_ZN7rocprim17ROCPRIM_400000_NS6detail17trampoline_kernelINS0_14default_configENS1_25partition_config_selectorILNS1_17partition_subalgoE1EsNS0_10empty_typeEbEEZZNS1_14partition_implILS5_1ELb0ES3_jN6thrust23THRUST_200600_302600_NS6detail15normal_iteratorINSA_10device_ptrIsEEEEPS6_NSA_18transform_iteratorINSA_8identityIsEESF_NSA_11use_defaultESK_EENS0_5tupleIJSF_SF_EEENSM_IJSG_SG_EEES6_PlJS6_EEE10hipError_tPvRmT3_T4_T5_T6_T7_T9_mT8_P12ihipStream_tbDpT10_ENKUlT_T0_E_clISt17integral_constantIbLb1EES19_EEDaS14_S15_EUlS14_E_NS1_11comp_targetILNS1_3genE9ELNS1_11target_archE1100ELNS1_3gpuE3ELNS1_3repE0EEENS1_30default_config_static_selectorELNS0_4arch9wavefront6targetE1EEEvT1_,comdat
.Lfunc_end655:
	.size	_ZN7rocprim17ROCPRIM_400000_NS6detail17trampoline_kernelINS0_14default_configENS1_25partition_config_selectorILNS1_17partition_subalgoE1EsNS0_10empty_typeEbEEZZNS1_14partition_implILS5_1ELb0ES3_jN6thrust23THRUST_200600_302600_NS6detail15normal_iteratorINSA_10device_ptrIsEEEEPS6_NSA_18transform_iteratorINSA_8identityIsEESF_NSA_11use_defaultESK_EENS0_5tupleIJSF_SF_EEENSM_IJSG_SG_EEES6_PlJS6_EEE10hipError_tPvRmT3_T4_T5_T6_T7_T9_mT8_P12ihipStream_tbDpT10_ENKUlT_T0_E_clISt17integral_constantIbLb1EES19_EEDaS14_S15_EUlS14_E_NS1_11comp_targetILNS1_3genE9ELNS1_11target_archE1100ELNS1_3gpuE3ELNS1_3repE0EEENS1_30default_config_static_selectorELNS0_4arch9wavefront6targetE1EEEvT1_, .Lfunc_end655-_ZN7rocprim17ROCPRIM_400000_NS6detail17trampoline_kernelINS0_14default_configENS1_25partition_config_selectorILNS1_17partition_subalgoE1EsNS0_10empty_typeEbEEZZNS1_14partition_implILS5_1ELb0ES3_jN6thrust23THRUST_200600_302600_NS6detail15normal_iteratorINSA_10device_ptrIsEEEEPS6_NSA_18transform_iteratorINSA_8identityIsEESF_NSA_11use_defaultESK_EENS0_5tupleIJSF_SF_EEENSM_IJSG_SG_EEES6_PlJS6_EEE10hipError_tPvRmT3_T4_T5_T6_T7_T9_mT8_P12ihipStream_tbDpT10_ENKUlT_T0_E_clISt17integral_constantIbLb1EES19_EEDaS14_S15_EUlS14_E_NS1_11comp_targetILNS1_3genE9ELNS1_11target_archE1100ELNS1_3gpuE3ELNS1_3repE0EEENS1_30default_config_static_selectorELNS0_4arch9wavefront6targetE1EEEvT1_
                                        ; -- End function
	.section	.AMDGPU.csdata,"",@progbits
; Kernel info:
; codeLenInByte = 0
; NumSgprs: 4
; NumVgprs: 0
; NumAgprs: 0
; TotalNumVgprs: 0
; ScratchSize: 0
; MemoryBound: 0
; FloatMode: 240
; IeeeMode: 1
; LDSByteSize: 0 bytes/workgroup (compile time only)
; SGPRBlocks: 0
; VGPRBlocks: 0
; NumSGPRsForWavesPerEU: 4
; NumVGPRsForWavesPerEU: 1
; AccumOffset: 4
; Occupancy: 8
; WaveLimiterHint : 0
; COMPUTE_PGM_RSRC2:SCRATCH_EN: 0
; COMPUTE_PGM_RSRC2:USER_SGPR: 6
; COMPUTE_PGM_RSRC2:TRAP_HANDLER: 0
; COMPUTE_PGM_RSRC2:TGID_X_EN: 1
; COMPUTE_PGM_RSRC2:TGID_Y_EN: 0
; COMPUTE_PGM_RSRC2:TGID_Z_EN: 0
; COMPUTE_PGM_RSRC2:TIDIG_COMP_CNT: 0
; COMPUTE_PGM_RSRC3_GFX90A:ACCUM_OFFSET: 0
; COMPUTE_PGM_RSRC3_GFX90A:TG_SPLIT: 0
	.section	.text._ZN7rocprim17ROCPRIM_400000_NS6detail17trampoline_kernelINS0_14default_configENS1_25partition_config_selectorILNS1_17partition_subalgoE1EsNS0_10empty_typeEbEEZZNS1_14partition_implILS5_1ELb0ES3_jN6thrust23THRUST_200600_302600_NS6detail15normal_iteratorINSA_10device_ptrIsEEEEPS6_NSA_18transform_iteratorINSA_8identityIsEESF_NSA_11use_defaultESK_EENS0_5tupleIJSF_SF_EEENSM_IJSG_SG_EEES6_PlJS6_EEE10hipError_tPvRmT3_T4_T5_T6_T7_T9_mT8_P12ihipStream_tbDpT10_ENKUlT_T0_E_clISt17integral_constantIbLb1EES19_EEDaS14_S15_EUlS14_E_NS1_11comp_targetILNS1_3genE8ELNS1_11target_archE1030ELNS1_3gpuE2ELNS1_3repE0EEENS1_30default_config_static_selectorELNS0_4arch9wavefront6targetE1EEEvT1_,"axG",@progbits,_ZN7rocprim17ROCPRIM_400000_NS6detail17trampoline_kernelINS0_14default_configENS1_25partition_config_selectorILNS1_17partition_subalgoE1EsNS0_10empty_typeEbEEZZNS1_14partition_implILS5_1ELb0ES3_jN6thrust23THRUST_200600_302600_NS6detail15normal_iteratorINSA_10device_ptrIsEEEEPS6_NSA_18transform_iteratorINSA_8identityIsEESF_NSA_11use_defaultESK_EENS0_5tupleIJSF_SF_EEENSM_IJSG_SG_EEES6_PlJS6_EEE10hipError_tPvRmT3_T4_T5_T6_T7_T9_mT8_P12ihipStream_tbDpT10_ENKUlT_T0_E_clISt17integral_constantIbLb1EES19_EEDaS14_S15_EUlS14_E_NS1_11comp_targetILNS1_3genE8ELNS1_11target_archE1030ELNS1_3gpuE2ELNS1_3repE0EEENS1_30default_config_static_selectorELNS0_4arch9wavefront6targetE1EEEvT1_,comdat
	.protected	_ZN7rocprim17ROCPRIM_400000_NS6detail17trampoline_kernelINS0_14default_configENS1_25partition_config_selectorILNS1_17partition_subalgoE1EsNS0_10empty_typeEbEEZZNS1_14partition_implILS5_1ELb0ES3_jN6thrust23THRUST_200600_302600_NS6detail15normal_iteratorINSA_10device_ptrIsEEEEPS6_NSA_18transform_iteratorINSA_8identityIsEESF_NSA_11use_defaultESK_EENS0_5tupleIJSF_SF_EEENSM_IJSG_SG_EEES6_PlJS6_EEE10hipError_tPvRmT3_T4_T5_T6_T7_T9_mT8_P12ihipStream_tbDpT10_ENKUlT_T0_E_clISt17integral_constantIbLb1EES19_EEDaS14_S15_EUlS14_E_NS1_11comp_targetILNS1_3genE8ELNS1_11target_archE1030ELNS1_3gpuE2ELNS1_3repE0EEENS1_30default_config_static_selectorELNS0_4arch9wavefront6targetE1EEEvT1_ ; -- Begin function _ZN7rocprim17ROCPRIM_400000_NS6detail17trampoline_kernelINS0_14default_configENS1_25partition_config_selectorILNS1_17partition_subalgoE1EsNS0_10empty_typeEbEEZZNS1_14partition_implILS5_1ELb0ES3_jN6thrust23THRUST_200600_302600_NS6detail15normal_iteratorINSA_10device_ptrIsEEEEPS6_NSA_18transform_iteratorINSA_8identityIsEESF_NSA_11use_defaultESK_EENS0_5tupleIJSF_SF_EEENSM_IJSG_SG_EEES6_PlJS6_EEE10hipError_tPvRmT3_T4_T5_T6_T7_T9_mT8_P12ihipStream_tbDpT10_ENKUlT_T0_E_clISt17integral_constantIbLb1EES19_EEDaS14_S15_EUlS14_E_NS1_11comp_targetILNS1_3genE8ELNS1_11target_archE1030ELNS1_3gpuE2ELNS1_3repE0EEENS1_30default_config_static_selectorELNS0_4arch9wavefront6targetE1EEEvT1_
	.globl	_ZN7rocprim17ROCPRIM_400000_NS6detail17trampoline_kernelINS0_14default_configENS1_25partition_config_selectorILNS1_17partition_subalgoE1EsNS0_10empty_typeEbEEZZNS1_14partition_implILS5_1ELb0ES3_jN6thrust23THRUST_200600_302600_NS6detail15normal_iteratorINSA_10device_ptrIsEEEEPS6_NSA_18transform_iteratorINSA_8identityIsEESF_NSA_11use_defaultESK_EENS0_5tupleIJSF_SF_EEENSM_IJSG_SG_EEES6_PlJS6_EEE10hipError_tPvRmT3_T4_T5_T6_T7_T9_mT8_P12ihipStream_tbDpT10_ENKUlT_T0_E_clISt17integral_constantIbLb1EES19_EEDaS14_S15_EUlS14_E_NS1_11comp_targetILNS1_3genE8ELNS1_11target_archE1030ELNS1_3gpuE2ELNS1_3repE0EEENS1_30default_config_static_selectorELNS0_4arch9wavefront6targetE1EEEvT1_
	.p2align	8
	.type	_ZN7rocprim17ROCPRIM_400000_NS6detail17trampoline_kernelINS0_14default_configENS1_25partition_config_selectorILNS1_17partition_subalgoE1EsNS0_10empty_typeEbEEZZNS1_14partition_implILS5_1ELb0ES3_jN6thrust23THRUST_200600_302600_NS6detail15normal_iteratorINSA_10device_ptrIsEEEEPS6_NSA_18transform_iteratorINSA_8identityIsEESF_NSA_11use_defaultESK_EENS0_5tupleIJSF_SF_EEENSM_IJSG_SG_EEES6_PlJS6_EEE10hipError_tPvRmT3_T4_T5_T6_T7_T9_mT8_P12ihipStream_tbDpT10_ENKUlT_T0_E_clISt17integral_constantIbLb1EES19_EEDaS14_S15_EUlS14_E_NS1_11comp_targetILNS1_3genE8ELNS1_11target_archE1030ELNS1_3gpuE2ELNS1_3repE0EEENS1_30default_config_static_selectorELNS0_4arch9wavefront6targetE1EEEvT1_,@function
_ZN7rocprim17ROCPRIM_400000_NS6detail17trampoline_kernelINS0_14default_configENS1_25partition_config_selectorILNS1_17partition_subalgoE1EsNS0_10empty_typeEbEEZZNS1_14partition_implILS5_1ELb0ES3_jN6thrust23THRUST_200600_302600_NS6detail15normal_iteratorINSA_10device_ptrIsEEEEPS6_NSA_18transform_iteratorINSA_8identityIsEESF_NSA_11use_defaultESK_EENS0_5tupleIJSF_SF_EEENSM_IJSG_SG_EEES6_PlJS6_EEE10hipError_tPvRmT3_T4_T5_T6_T7_T9_mT8_P12ihipStream_tbDpT10_ENKUlT_T0_E_clISt17integral_constantIbLb1EES19_EEDaS14_S15_EUlS14_E_NS1_11comp_targetILNS1_3genE8ELNS1_11target_archE1030ELNS1_3gpuE2ELNS1_3repE0EEENS1_30default_config_static_selectorELNS0_4arch9wavefront6targetE1EEEvT1_: ; @_ZN7rocprim17ROCPRIM_400000_NS6detail17trampoline_kernelINS0_14default_configENS1_25partition_config_selectorILNS1_17partition_subalgoE1EsNS0_10empty_typeEbEEZZNS1_14partition_implILS5_1ELb0ES3_jN6thrust23THRUST_200600_302600_NS6detail15normal_iteratorINSA_10device_ptrIsEEEEPS6_NSA_18transform_iteratorINSA_8identityIsEESF_NSA_11use_defaultESK_EENS0_5tupleIJSF_SF_EEENSM_IJSG_SG_EEES6_PlJS6_EEE10hipError_tPvRmT3_T4_T5_T6_T7_T9_mT8_P12ihipStream_tbDpT10_ENKUlT_T0_E_clISt17integral_constantIbLb1EES19_EEDaS14_S15_EUlS14_E_NS1_11comp_targetILNS1_3genE8ELNS1_11target_archE1030ELNS1_3gpuE2ELNS1_3repE0EEENS1_30default_config_static_selectorELNS0_4arch9wavefront6targetE1EEEvT1_
; %bb.0:
	.section	.rodata,"a",@progbits
	.p2align	6, 0x0
	.amdhsa_kernel _ZN7rocprim17ROCPRIM_400000_NS6detail17trampoline_kernelINS0_14default_configENS1_25partition_config_selectorILNS1_17partition_subalgoE1EsNS0_10empty_typeEbEEZZNS1_14partition_implILS5_1ELb0ES3_jN6thrust23THRUST_200600_302600_NS6detail15normal_iteratorINSA_10device_ptrIsEEEEPS6_NSA_18transform_iteratorINSA_8identityIsEESF_NSA_11use_defaultESK_EENS0_5tupleIJSF_SF_EEENSM_IJSG_SG_EEES6_PlJS6_EEE10hipError_tPvRmT3_T4_T5_T6_T7_T9_mT8_P12ihipStream_tbDpT10_ENKUlT_T0_E_clISt17integral_constantIbLb1EES19_EEDaS14_S15_EUlS14_E_NS1_11comp_targetILNS1_3genE8ELNS1_11target_archE1030ELNS1_3gpuE2ELNS1_3repE0EEENS1_30default_config_static_selectorELNS0_4arch9wavefront6targetE1EEEvT1_
		.amdhsa_group_segment_fixed_size 0
		.amdhsa_private_segment_fixed_size 0
		.amdhsa_kernarg_size 144
		.amdhsa_user_sgpr_count 6
		.amdhsa_user_sgpr_private_segment_buffer 1
		.amdhsa_user_sgpr_dispatch_ptr 0
		.amdhsa_user_sgpr_queue_ptr 0
		.amdhsa_user_sgpr_kernarg_segment_ptr 1
		.amdhsa_user_sgpr_dispatch_id 0
		.amdhsa_user_sgpr_flat_scratch_init 0
		.amdhsa_user_sgpr_kernarg_preload_length 0
		.amdhsa_user_sgpr_kernarg_preload_offset 0
		.amdhsa_user_sgpr_private_segment_size 0
		.amdhsa_uses_dynamic_stack 0
		.amdhsa_system_sgpr_private_segment_wavefront_offset 0
		.amdhsa_system_sgpr_workgroup_id_x 1
		.amdhsa_system_sgpr_workgroup_id_y 0
		.amdhsa_system_sgpr_workgroup_id_z 0
		.amdhsa_system_sgpr_workgroup_info 0
		.amdhsa_system_vgpr_workitem_id 0
		.amdhsa_next_free_vgpr 1
		.amdhsa_next_free_sgpr 0
		.amdhsa_accum_offset 4
		.amdhsa_reserve_vcc 0
		.amdhsa_reserve_flat_scratch 0
		.amdhsa_float_round_mode_32 0
		.amdhsa_float_round_mode_16_64 0
		.amdhsa_float_denorm_mode_32 3
		.amdhsa_float_denorm_mode_16_64 3
		.amdhsa_dx10_clamp 1
		.amdhsa_ieee_mode 1
		.amdhsa_fp16_overflow 0
		.amdhsa_tg_split 0
		.amdhsa_exception_fp_ieee_invalid_op 0
		.amdhsa_exception_fp_denorm_src 0
		.amdhsa_exception_fp_ieee_div_zero 0
		.amdhsa_exception_fp_ieee_overflow 0
		.amdhsa_exception_fp_ieee_underflow 0
		.amdhsa_exception_fp_ieee_inexact 0
		.amdhsa_exception_int_div_zero 0
	.end_amdhsa_kernel
	.section	.text._ZN7rocprim17ROCPRIM_400000_NS6detail17trampoline_kernelINS0_14default_configENS1_25partition_config_selectorILNS1_17partition_subalgoE1EsNS0_10empty_typeEbEEZZNS1_14partition_implILS5_1ELb0ES3_jN6thrust23THRUST_200600_302600_NS6detail15normal_iteratorINSA_10device_ptrIsEEEEPS6_NSA_18transform_iteratorINSA_8identityIsEESF_NSA_11use_defaultESK_EENS0_5tupleIJSF_SF_EEENSM_IJSG_SG_EEES6_PlJS6_EEE10hipError_tPvRmT3_T4_T5_T6_T7_T9_mT8_P12ihipStream_tbDpT10_ENKUlT_T0_E_clISt17integral_constantIbLb1EES19_EEDaS14_S15_EUlS14_E_NS1_11comp_targetILNS1_3genE8ELNS1_11target_archE1030ELNS1_3gpuE2ELNS1_3repE0EEENS1_30default_config_static_selectorELNS0_4arch9wavefront6targetE1EEEvT1_,"axG",@progbits,_ZN7rocprim17ROCPRIM_400000_NS6detail17trampoline_kernelINS0_14default_configENS1_25partition_config_selectorILNS1_17partition_subalgoE1EsNS0_10empty_typeEbEEZZNS1_14partition_implILS5_1ELb0ES3_jN6thrust23THRUST_200600_302600_NS6detail15normal_iteratorINSA_10device_ptrIsEEEEPS6_NSA_18transform_iteratorINSA_8identityIsEESF_NSA_11use_defaultESK_EENS0_5tupleIJSF_SF_EEENSM_IJSG_SG_EEES6_PlJS6_EEE10hipError_tPvRmT3_T4_T5_T6_T7_T9_mT8_P12ihipStream_tbDpT10_ENKUlT_T0_E_clISt17integral_constantIbLb1EES19_EEDaS14_S15_EUlS14_E_NS1_11comp_targetILNS1_3genE8ELNS1_11target_archE1030ELNS1_3gpuE2ELNS1_3repE0EEENS1_30default_config_static_selectorELNS0_4arch9wavefront6targetE1EEEvT1_,comdat
.Lfunc_end656:
	.size	_ZN7rocprim17ROCPRIM_400000_NS6detail17trampoline_kernelINS0_14default_configENS1_25partition_config_selectorILNS1_17partition_subalgoE1EsNS0_10empty_typeEbEEZZNS1_14partition_implILS5_1ELb0ES3_jN6thrust23THRUST_200600_302600_NS6detail15normal_iteratorINSA_10device_ptrIsEEEEPS6_NSA_18transform_iteratorINSA_8identityIsEESF_NSA_11use_defaultESK_EENS0_5tupleIJSF_SF_EEENSM_IJSG_SG_EEES6_PlJS6_EEE10hipError_tPvRmT3_T4_T5_T6_T7_T9_mT8_P12ihipStream_tbDpT10_ENKUlT_T0_E_clISt17integral_constantIbLb1EES19_EEDaS14_S15_EUlS14_E_NS1_11comp_targetILNS1_3genE8ELNS1_11target_archE1030ELNS1_3gpuE2ELNS1_3repE0EEENS1_30default_config_static_selectorELNS0_4arch9wavefront6targetE1EEEvT1_, .Lfunc_end656-_ZN7rocprim17ROCPRIM_400000_NS6detail17trampoline_kernelINS0_14default_configENS1_25partition_config_selectorILNS1_17partition_subalgoE1EsNS0_10empty_typeEbEEZZNS1_14partition_implILS5_1ELb0ES3_jN6thrust23THRUST_200600_302600_NS6detail15normal_iteratorINSA_10device_ptrIsEEEEPS6_NSA_18transform_iteratorINSA_8identityIsEESF_NSA_11use_defaultESK_EENS0_5tupleIJSF_SF_EEENSM_IJSG_SG_EEES6_PlJS6_EEE10hipError_tPvRmT3_T4_T5_T6_T7_T9_mT8_P12ihipStream_tbDpT10_ENKUlT_T0_E_clISt17integral_constantIbLb1EES19_EEDaS14_S15_EUlS14_E_NS1_11comp_targetILNS1_3genE8ELNS1_11target_archE1030ELNS1_3gpuE2ELNS1_3repE0EEENS1_30default_config_static_selectorELNS0_4arch9wavefront6targetE1EEEvT1_
                                        ; -- End function
	.section	.AMDGPU.csdata,"",@progbits
; Kernel info:
; codeLenInByte = 0
; NumSgprs: 4
; NumVgprs: 0
; NumAgprs: 0
; TotalNumVgprs: 0
; ScratchSize: 0
; MemoryBound: 0
; FloatMode: 240
; IeeeMode: 1
; LDSByteSize: 0 bytes/workgroup (compile time only)
; SGPRBlocks: 0
; VGPRBlocks: 0
; NumSGPRsForWavesPerEU: 4
; NumVGPRsForWavesPerEU: 1
; AccumOffset: 4
; Occupancy: 8
; WaveLimiterHint : 0
; COMPUTE_PGM_RSRC2:SCRATCH_EN: 0
; COMPUTE_PGM_RSRC2:USER_SGPR: 6
; COMPUTE_PGM_RSRC2:TRAP_HANDLER: 0
; COMPUTE_PGM_RSRC2:TGID_X_EN: 1
; COMPUTE_PGM_RSRC2:TGID_Y_EN: 0
; COMPUTE_PGM_RSRC2:TGID_Z_EN: 0
; COMPUTE_PGM_RSRC2:TIDIG_COMP_CNT: 0
; COMPUTE_PGM_RSRC3_GFX90A:ACCUM_OFFSET: 0
; COMPUTE_PGM_RSRC3_GFX90A:TG_SPLIT: 0
	.section	.text._ZN7rocprim17ROCPRIM_400000_NS6detail17trampoline_kernelINS0_14default_configENS1_25partition_config_selectorILNS1_17partition_subalgoE1EsNS0_10empty_typeEbEEZZNS1_14partition_implILS5_1ELb0ES3_jN6thrust23THRUST_200600_302600_NS6detail15normal_iteratorINSA_10device_ptrIsEEEEPS6_NSA_18transform_iteratorINSA_8identityIsEESF_NSA_11use_defaultESK_EENS0_5tupleIJSF_SF_EEENSM_IJSG_SG_EEES6_PlJS6_EEE10hipError_tPvRmT3_T4_T5_T6_T7_T9_mT8_P12ihipStream_tbDpT10_ENKUlT_T0_E_clISt17integral_constantIbLb1EES18_IbLb0EEEEDaS14_S15_EUlS14_E_NS1_11comp_targetILNS1_3genE0ELNS1_11target_archE4294967295ELNS1_3gpuE0ELNS1_3repE0EEENS1_30default_config_static_selectorELNS0_4arch9wavefront6targetE1EEEvT1_,"axG",@progbits,_ZN7rocprim17ROCPRIM_400000_NS6detail17trampoline_kernelINS0_14default_configENS1_25partition_config_selectorILNS1_17partition_subalgoE1EsNS0_10empty_typeEbEEZZNS1_14partition_implILS5_1ELb0ES3_jN6thrust23THRUST_200600_302600_NS6detail15normal_iteratorINSA_10device_ptrIsEEEEPS6_NSA_18transform_iteratorINSA_8identityIsEESF_NSA_11use_defaultESK_EENS0_5tupleIJSF_SF_EEENSM_IJSG_SG_EEES6_PlJS6_EEE10hipError_tPvRmT3_T4_T5_T6_T7_T9_mT8_P12ihipStream_tbDpT10_ENKUlT_T0_E_clISt17integral_constantIbLb1EES18_IbLb0EEEEDaS14_S15_EUlS14_E_NS1_11comp_targetILNS1_3genE0ELNS1_11target_archE4294967295ELNS1_3gpuE0ELNS1_3repE0EEENS1_30default_config_static_selectorELNS0_4arch9wavefront6targetE1EEEvT1_,comdat
	.protected	_ZN7rocprim17ROCPRIM_400000_NS6detail17trampoline_kernelINS0_14default_configENS1_25partition_config_selectorILNS1_17partition_subalgoE1EsNS0_10empty_typeEbEEZZNS1_14partition_implILS5_1ELb0ES3_jN6thrust23THRUST_200600_302600_NS6detail15normal_iteratorINSA_10device_ptrIsEEEEPS6_NSA_18transform_iteratorINSA_8identityIsEESF_NSA_11use_defaultESK_EENS0_5tupleIJSF_SF_EEENSM_IJSG_SG_EEES6_PlJS6_EEE10hipError_tPvRmT3_T4_T5_T6_T7_T9_mT8_P12ihipStream_tbDpT10_ENKUlT_T0_E_clISt17integral_constantIbLb1EES18_IbLb0EEEEDaS14_S15_EUlS14_E_NS1_11comp_targetILNS1_3genE0ELNS1_11target_archE4294967295ELNS1_3gpuE0ELNS1_3repE0EEENS1_30default_config_static_selectorELNS0_4arch9wavefront6targetE1EEEvT1_ ; -- Begin function _ZN7rocprim17ROCPRIM_400000_NS6detail17trampoline_kernelINS0_14default_configENS1_25partition_config_selectorILNS1_17partition_subalgoE1EsNS0_10empty_typeEbEEZZNS1_14partition_implILS5_1ELb0ES3_jN6thrust23THRUST_200600_302600_NS6detail15normal_iteratorINSA_10device_ptrIsEEEEPS6_NSA_18transform_iteratorINSA_8identityIsEESF_NSA_11use_defaultESK_EENS0_5tupleIJSF_SF_EEENSM_IJSG_SG_EEES6_PlJS6_EEE10hipError_tPvRmT3_T4_T5_T6_T7_T9_mT8_P12ihipStream_tbDpT10_ENKUlT_T0_E_clISt17integral_constantIbLb1EES18_IbLb0EEEEDaS14_S15_EUlS14_E_NS1_11comp_targetILNS1_3genE0ELNS1_11target_archE4294967295ELNS1_3gpuE0ELNS1_3repE0EEENS1_30default_config_static_selectorELNS0_4arch9wavefront6targetE1EEEvT1_
	.globl	_ZN7rocprim17ROCPRIM_400000_NS6detail17trampoline_kernelINS0_14default_configENS1_25partition_config_selectorILNS1_17partition_subalgoE1EsNS0_10empty_typeEbEEZZNS1_14partition_implILS5_1ELb0ES3_jN6thrust23THRUST_200600_302600_NS6detail15normal_iteratorINSA_10device_ptrIsEEEEPS6_NSA_18transform_iteratorINSA_8identityIsEESF_NSA_11use_defaultESK_EENS0_5tupleIJSF_SF_EEENSM_IJSG_SG_EEES6_PlJS6_EEE10hipError_tPvRmT3_T4_T5_T6_T7_T9_mT8_P12ihipStream_tbDpT10_ENKUlT_T0_E_clISt17integral_constantIbLb1EES18_IbLb0EEEEDaS14_S15_EUlS14_E_NS1_11comp_targetILNS1_3genE0ELNS1_11target_archE4294967295ELNS1_3gpuE0ELNS1_3repE0EEENS1_30default_config_static_selectorELNS0_4arch9wavefront6targetE1EEEvT1_
	.p2align	8
	.type	_ZN7rocprim17ROCPRIM_400000_NS6detail17trampoline_kernelINS0_14default_configENS1_25partition_config_selectorILNS1_17partition_subalgoE1EsNS0_10empty_typeEbEEZZNS1_14partition_implILS5_1ELb0ES3_jN6thrust23THRUST_200600_302600_NS6detail15normal_iteratorINSA_10device_ptrIsEEEEPS6_NSA_18transform_iteratorINSA_8identityIsEESF_NSA_11use_defaultESK_EENS0_5tupleIJSF_SF_EEENSM_IJSG_SG_EEES6_PlJS6_EEE10hipError_tPvRmT3_T4_T5_T6_T7_T9_mT8_P12ihipStream_tbDpT10_ENKUlT_T0_E_clISt17integral_constantIbLb1EES18_IbLb0EEEEDaS14_S15_EUlS14_E_NS1_11comp_targetILNS1_3genE0ELNS1_11target_archE4294967295ELNS1_3gpuE0ELNS1_3repE0EEENS1_30default_config_static_selectorELNS0_4arch9wavefront6targetE1EEEvT1_,@function
_ZN7rocprim17ROCPRIM_400000_NS6detail17trampoline_kernelINS0_14default_configENS1_25partition_config_selectorILNS1_17partition_subalgoE1EsNS0_10empty_typeEbEEZZNS1_14partition_implILS5_1ELb0ES3_jN6thrust23THRUST_200600_302600_NS6detail15normal_iteratorINSA_10device_ptrIsEEEEPS6_NSA_18transform_iteratorINSA_8identityIsEESF_NSA_11use_defaultESK_EENS0_5tupleIJSF_SF_EEENSM_IJSG_SG_EEES6_PlJS6_EEE10hipError_tPvRmT3_T4_T5_T6_T7_T9_mT8_P12ihipStream_tbDpT10_ENKUlT_T0_E_clISt17integral_constantIbLb1EES18_IbLb0EEEEDaS14_S15_EUlS14_E_NS1_11comp_targetILNS1_3genE0ELNS1_11target_archE4294967295ELNS1_3gpuE0ELNS1_3repE0EEENS1_30default_config_static_selectorELNS0_4arch9wavefront6targetE1EEEvT1_: ; @_ZN7rocprim17ROCPRIM_400000_NS6detail17trampoline_kernelINS0_14default_configENS1_25partition_config_selectorILNS1_17partition_subalgoE1EsNS0_10empty_typeEbEEZZNS1_14partition_implILS5_1ELb0ES3_jN6thrust23THRUST_200600_302600_NS6detail15normal_iteratorINSA_10device_ptrIsEEEEPS6_NSA_18transform_iteratorINSA_8identityIsEESF_NSA_11use_defaultESK_EENS0_5tupleIJSF_SF_EEENSM_IJSG_SG_EEES6_PlJS6_EEE10hipError_tPvRmT3_T4_T5_T6_T7_T9_mT8_P12ihipStream_tbDpT10_ENKUlT_T0_E_clISt17integral_constantIbLb1EES18_IbLb0EEEEDaS14_S15_EUlS14_E_NS1_11comp_targetILNS1_3genE0ELNS1_11target_archE4294967295ELNS1_3gpuE0ELNS1_3repE0EEENS1_30default_config_static_selectorELNS0_4arch9wavefront6targetE1EEEvT1_
; %bb.0:
	.section	.rodata,"a",@progbits
	.p2align	6, 0x0
	.amdhsa_kernel _ZN7rocprim17ROCPRIM_400000_NS6detail17trampoline_kernelINS0_14default_configENS1_25partition_config_selectorILNS1_17partition_subalgoE1EsNS0_10empty_typeEbEEZZNS1_14partition_implILS5_1ELb0ES3_jN6thrust23THRUST_200600_302600_NS6detail15normal_iteratorINSA_10device_ptrIsEEEEPS6_NSA_18transform_iteratorINSA_8identityIsEESF_NSA_11use_defaultESK_EENS0_5tupleIJSF_SF_EEENSM_IJSG_SG_EEES6_PlJS6_EEE10hipError_tPvRmT3_T4_T5_T6_T7_T9_mT8_P12ihipStream_tbDpT10_ENKUlT_T0_E_clISt17integral_constantIbLb1EES18_IbLb0EEEEDaS14_S15_EUlS14_E_NS1_11comp_targetILNS1_3genE0ELNS1_11target_archE4294967295ELNS1_3gpuE0ELNS1_3repE0EEENS1_30default_config_static_selectorELNS0_4arch9wavefront6targetE1EEEvT1_
		.amdhsa_group_segment_fixed_size 0
		.amdhsa_private_segment_fixed_size 0
		.amdhsa_kernarg_size 128
		.amdhsa_user_sgpr_count 6
		.amdhsa_user_sgpr_private_segment_buffer 1
		.amdhsa_user_sgpr_dispatch_ptr 0
		.amdhsa_user_sgpr_queue_ptr 0
		.amdhsa_user_sgpr_kernarg_segment_ptr 1
		.amdhsa_user_sgpr_dispatch_id 0
		.amdhsa_user_sgpr_flat_scratch_init 0
		.amdhsa_user_sgpr_kernarg_preload_length 0
		.amdhsa_user_sgpr_kernarg_preload_offset 0
		.amdhsa_user_sgpr_private_segment_size 0
		.amdhsa_uses_dynamic_stack 0
		.amdhsa_system_sgpr_private_segment_wavefront_offset 0
		.amdhsa_system_sgpr_workgroup_id_x 1
		.amdhsa_system_sgpr_workgroup_id_y 0
		.amdhsa_system_sgpr_workgroup_id_z 0
		.amdhsa_system_sgpr_workgroup_info 0
		.amdhsa_system_vgpr_workitem_id 0
		.amdhsa_next_free_vgpr 1
		.amdhsa_next_free_sgpr 0
		.amdhsa_accum_offset 4
		.amdhsa_reserve_vcc 0
		.amdhsa_reserve_flat_scratch 0
		.amdhsa_float_round_mode_32 0
		.amdhsa_float_round_mode_16_64 0
		.amdhsa_float_denorm_mode_32 3
		.amdhsa_float_denorm_mode_16_64 3
		.amdhsa_dx10_clamp 1
		.amdhsa_ieee_mode 1
		.amdhsa_fp16_overflow 0
		.amdhsa_tg_split 0
		.amdhsa_exception_fp_ieee_invalid_op 0
		.amdhsa_exception_fp_denorm_src 0
		.amdhsa_exception_fp_ieee_div_zero 0
		.amdhsa_exception_fp_ieee_overflow 0
		.amdhsa_exception_fp_ieee_underflow 0
		.amdhsa_exception_fp_ieee_inexact 0
		.amdhsa_exception_int_div_zero 0
	.end_amdhsa_kernel
	.section	.text._ZN7rocprim17ROCPRIM_400000_NS6detail17trampoline_kernelINS0_14default_configENS1_25partition_config_selectorILNS1_17partition_subalgoE1EsNS0_10empty_typeEbEEZZNS1_14partition_implILS5_1ELb0ES3_jN6thrust23THRUST_200600_302600_NS6detail15normal_iteratorINSA_10device_ptrIsEEEEPS6_NSA_18transform_iteratorINSA_8identityIsEESF_NSA_11use_defaultESK_EENS0_5tupleIJSF_SF_EEENSM_IJSG_SG_EEES6_PlJS6_EEE10hipError_tPvRmT3_T4_T5_T6_T7_T9_mT8_P12ihipStream_tbDpT10_ENKUlT_T0_E_clISt17integral_constantIbLb1EES18_IbLb0EEEEDaS14_S15_EUlS14_E_NS1_11comp_targetILNS1_3genE0ELNS1_11target_archE4294967295ELNS1_3gpuE0ELNS1_3repE0EEENS1_30default_config_static_selectorELNS0_4arch9wavefront6targetE1EEEvT1_,"axG",@progbits,_ZN7rocprim17ROCPRIM_400000_NS6detail17trampoline_kernelINS0_14default_configENS1_25partition_config_selectorILNS1_17partition_subalgoE1EsNS0_10empty_typeEbEEZZNS1_14partition_implILS5_1ELb0ES3_jN6thrust23THRUST_200600_302600_NS6detail15normal_iteratorINSA_10device_ptrIsEEEEPS6_NSA_18transform_iteratorINSA_8identityIsEESF_NSA_11use_defaultESK_EENS0_5tupleIJSF_SF_EEENSM_IJSG_SG_EEES6_PlJS6_EEE10hipError_tPvRmT3_T4_T5_T6_T7_T9_mT8_P12ihipStream_tbDpT10_ENKUlT_T0_E_clISt17integral_constantIbLb1EES18_IbLb0EEEEDaS14_S15_EUlS14_E_NS1_11comp_targetILNS1_3genE0ELNS1_11target_archE4294967295ELNS1_3gpuE0ELNS1_3repE0EEENS1_30default_config_static_selectorELNS0_4arch9wavefront6targetE1EEEvT1_,comdat
.Lfunc_end657:
	.size	_ZN7rocprim17ROCPRIM_400000_NS6detail17trampoline_kernelINS0_14default_configENS1_25partition_config_selectorILNS1_17partition_subalgoE1EsNS0_10empty_typeEbEEZZNS1_14partition_implILS5_1ELb0ES3_jN6thrust23THRUST_200600_302600_NS6detail15normal_iteratorINSA_10device_ptrIsEEEEPS6_NSA_18transform_iteratorINSA_8identityIsEESF_NSA_11use_defaultESK_EENS0_5tupleIJSF_SF_EEENSM_IJSG_SG_EEES6_PlJS6_EEE10hipError_tPvRmT3_T4_T5_T6_T7_T9_mT8_P12ihipStream_tbDpT10_ENKUlT_T0_E_clISt17integral_constantIbLb1EES18_IbLb0EEEEDaS14_S15_EUlS14_E_NS1_11comp_targetILNS1_3genE0ELNS1_11target_archE4294967295ELNS1_3gpuE0ELNS1_3repE0EEENS1_30default_config_static_selectorELNS0_4arch9wavefront6targetE1EEEvT1_, .Lfunc_end657-_ZN7rocprim17ROCPRIM_400000_NS6detail17trampoline_kernelINS0_14default_configENS1_25partition_config_selectorILNS1_17partition_subalgoE1EsNS0_10empty_typeEbEEZZNS1_14partition_implILS5_1ELb0ES3_jN6thrust23THRUST_200600_302600_NS6detail15normal_iteratorINSA_10device_ptrIsEEEEPS6_NSA_18transform_iteratorINSA_8identityIsEESF_NSA_11use_defaultESK_EENS0_5tupleIJSF_SF_EEENSM_IJSG_SG_EEES6_PlJS6_EEE10hipError_tPvRmT3_T4_T5_T6_T7_T9_mT8_P12ihipStream_tbDpT10_ENKUlT_T0_E_clISt17integral_constantIbLb1EES18_IbLb0EEEEDaS14_S15_EUlS14_E_NS1_11comp_targetILNS1_3genE0ELNS1_11target_archE4294967295ELNS1_3gpuE0ELNS1_3repE0EEENS1_30default_config_static_selectorELNS0_4arch9wavefront6targetE1EEEvT1_
                                        ; -- End function
	.section	.AMDGPU.csdata,"",@progbits
; Kernel info:
; codeLenInByte = 0
; NumSgprs: 4
; NumVgprs: 0
; NumAgprs: 0
; TotalNumVgprs: 0
; ScratchSize: 0
; MemoryBound: 0
; FloatMode: 240
; IeeeMode: 1
; LDSByteSize: 0 bytes/workgroup (compile time only)
; SGPRBlocks: 0
; VGPRBlocks: 0
; NumSGPRsForWavesPerEU: 4
; NumVGPRsForWavesPerEU: 1
; AccumOffset: 4
; Occupancy: 8
; WaveLimiterHint : 0
; COMPUTE_PGM_RSRC2:SCRATCH_EN: 0
; COMPUTE_PGM_RSRC2:USER_SGPR: 6
; COMPUTE_PGM_RSRC2:TRAP_HANDLER: 0
; COMPUTE_PGM_RSRC2:TGID_X_EN: 1
; COMPUTE_PGM_RSRC2:TGID_Y_EN: 0
; COMPUTE_PGM_RSRC2:TGID_Z_EN: 0
; COMPUTE_PGM_RSRC2:TIDIG_COMP_CNT: 0
; COMPUTE_PGM_RSRC3_GFX90A:ACCUM_OFFSET: 0
; COMPUTE_PGM_RSRC3_GFX90A:TG_SPLIT: 0
	.section	.text._ZN7rocprim17ROCPRIM_400000_NS6detail17trampoline_kernelINS0_14default_configENS1_25partition_config_selectorILNS1_17partition_subalgoE1EsNS0_10empty_typeEbEEZZNS1_14partition_implILS5_1ELb0ES3_jN6thrust23THRUST_200600_302600_NS6detail15normal_iteratorINSA_10device_ptrIsEEEEPS6_NSA_18transform_iteratorINSA_8identityIsEESF_NSA_11use_defaultESK_EENS0_5tupleIJSF_SF_EEENSM_IJSG_SG_EEES6_PlJS6_EEE10hipError_tPvRmT3_T4_T5_T6_T7_T9_mT8_P12ihipStream_tbDpT10_ENKUlT_T0_E_clISt17integral_constantIbLb1EES18_IbLb0EEEEDaS14_S15_EUlS14_E_NS1_11comp_targetILNS1_3genE5ELNS1_11target_archE942ELNS1_3gpuE9ELNS1_3repE0EEENS1_30default_config_static_selectorELNS0_4arch9wavefront6targetE1EEEvT1_,"axG",@progbits,_ZN7rocprim17ROCPRIM_400000_NS6detail17trampoline_kernelINS0_14default_configENS1_25partition_config_selectorILNS1_17partition_subalgoE1EsNS0_10empty_typeEbEEZZNS1_14partition_implILS5_1ELb0ES3_jN6thrust23THRUST_200600_302600_NS6detail15normal_iteratorINSA_10device_ptrIsEEEEPS6_NSA_18transform_iteratorINSA_8identityIsEESF_NSA_11use_defaultESK_EENS0_5tupleIJSF_SF_EEENSM_IJSG_SG_EEES6_PlJS6_EEE10hipError_tPvRmT3_T4_T5_T6_T7_T9_mT8_P12ihipStream_tbDpT10_ENKUlT_T0_E_clISt17integral_constantIbLb1EES18_IbLb0EEEEDaS14_S15_EUlS14_E_NS1_11comp_targetILNS1_3genE5ELNS1_11target_archE942ELNS1_3gpuE9ELNS1_3repE0EEENS1_30default_config_static_selectorELNS0_4arch9wavefront6targetE1EEEvT1_,comdat
	.protected	_ZN7rocprim17ROCPRIM_400000_NS6detail17trampoline_kernelINS0_14default_configENS1_25partition_config_selectorILNS1_17partition_subalgoE1EsNS0_10empty_typeEbEEZZNS1_14partition_implILS5_1ELb0ES3_jN6thrust23THRUST_200600_302600_NS6detail15normal_iteratorINSA_10device_ptrIsEEEEPS6_NSA_18transform_iteratorINSA_8identityIsEESF_NSA_11use_defaultESK_EENS0_5tupleIJSF_SF_EEENSM_IJSG_SG_EEES6_PlJS6_EEE10hipError_tPvRmT3_T4_T5_T6_T7_T9_mT8_P12ihipStream_tbDpT10_ENKUlT_T0_E_clISt17integral_constantIbLb1EES18_IbLb0EEEEDaS14_S15_EUlS14_E_NS1_11comp_targetILNS1_3genE5ELNS1_11target_archE942ELNS1_3gpuE9ELNS1_3repE0EEENS1_30default_config_static_selectorELNS0_4arch9wavefront6targetE1EEEvT1_ ; -- Begin function _ZN7rocprim17ROCPRIM_400000_NS6detail17trampoline_kernelINS0_14default_configENS1_25partition_config_selectorILNS1_17partition_subalgoE1EsNS0_10empty_typeEbEEZZNS1_14partition_implILS5_1ELb0ES3_jN6thrust23THRUST_200600_302600_NS6detail15normal_iteratorINSA_10device_ptrIsEEEEPS6_NSA_18transform_iteratorINSA_8identityIsEESF_NSA_11use_defaultESK_EENS0_5tupleIJSF_SF_EEENSM_IJSG_SG_EEES6_PlJS6_EEE10hipError_tPvRmT3_T4_T5_T6_T7_T9_mT8_P12ihipStream_tbDpT10_ENKUlT_T0_E_clISt17integral_constantIbLb1EES18_IbLb0EEEEDaS14_S15_EUlS14_E_NS1_11comp_targetILNS1_3genE5ELNS1_11target_archE942ELNS1_3gpuE9ELNS1_3repE0EEENS1_30default_config_static_selectorELNS0_4arch9wavefront6targetE1EEEvT1_
	.globl	_ZN7rocprim17ROCPRIM_400000_NS6detail17trampoline_kernelINS0_14default_configENS1_25partition_config_selectorILNS1_17partition_subalgoE1EsNS0_10empty_typeEbEEZZNS1_14partition_implILS5_1ELb0ES3_jN6thrust23THRUST_200600_302600_NS6detail15normal_iteratorINSA_10device_ptrIsEEEEPS6_NSA_18transform_iteratorINSA_8identityIsEESF_NSA_11use_defaultESK_EENS0_5tupleIJSF_SF_EEENSM_IJSG_SG_EEES6_PlJS6_EEE10hipError_tPvRmT3_T4_T5_T6_T7_T9_mT8_P12ihipStream_tbDpT10_ENKUlT_T0_E_clISt17integral_constantIbLb1EES18_IbLb0EEEEDaS14_S15_EUlS14_E_NS1_11comp_targetILNS1_3genE5ELNS1_11target_archE942ELNS1_3gpuE9ELNS1_3repE0EEENS1_30default_config_static_selectorELNS0_4arch9wavefront6targetE1EEEvT1_
	.p2align	8
	.type	_ZN7rocprim17ROCPRIM_400000_NS6detail17trampoline_kernelINS0_14default_configENS1_25partition_config_selectorILNS1_17partition_subalgoE1EsNS0_10empty_typeEbEEZZNS1_14partition_implILS5_1ELb0ES3_jN6thrust23THRUST_200600_302600_NS6detail15normal_iteratorINSA_10device_ptrIsEEEEPS6_NSA_18transform_iteratorINSA_8identityIsEESF_NSA_11use_defaultESK_EENS0_5tupleIJSF_SF_EEENSM_IJSG_SG_EEES6_PlJS6_EEE10hipError_tPvRmT3_T4_T5_T6_T7_T9_mT8_P12ihipStream_tbDpT10_ENKUlT_T0_E_clISt17integral_constantIbLb1EES18_IbLb0EEEEDaS14_S15_EUlS14_E_NS1_11comp_targetILNS1_3genE5ELNS1_11target_archE942ELNS1_3gpuE9ELNS1_3repE0EEENS1_30default_config_static_selectorELNS0_4arch9wavefront6targetE1EEEvT1_,@function
_ZN7rocprim17ROCPRIM_400000_NS6detail17trampoline_kernelINS0_14default_configENS1_25partition_config_selectorILNS1_17partition_subalgoE1EsNS0_10empty_typeEbEEZZNS1_14partition_implILS5_1ELb0ES3_jN6thrust23THRUST_200600_302600_NS6detail15normal_iteratorINSA_10device_ptrIsEEEEPS6_NSA_18transform_iteratorINSA_8identityIsEESF_NSA_11use_defaultESK_EENS0_5tupleIJSF_SF_EEENSM_IJSG_SG_EEES6_PlJS6_EEE10hipError_tPvRmT3_T4_T5_T6_T7_T9_mT8_P12ihipStream_tbDpT10_ENKUlT_T0_E_clISt17integral_constantIbLb1EES18_IbLb0EEEEDaS14_S15_EUlS14_E_NS1_11comp_targetILNS1_3genE5ELNS1_11target_archE942ELNS1_3gpuE9ELNS1_3repE0EEENS1_30default_config_static_selectorELNS0_4arch9wavefront6targetE1EEEvT1_: ; @_ZN7rocprim17ROCPRIM_400000_NS6detail17trampoline_kernelINS0_14default_configENS1_25partition_config_selectorILNS1_17partition_subalgoE1EsNS0_10empty_typeEbEEZZNS1_14partition_implILS5_1ELb0ES3_jN6thrust23THRUST_200600_302600_NS6detail15normal_iteratorINSA_10device_ptrIsEEEEPS6_NSA_18transform_iteratorINSA_8identityIsEESF_NSA_11use_defaultESK_EENS0_5tupleIJSF_SF_EEENSM_IJSG_SG_EEES6_PlJS6_EEE10hipError_tPvRmT3_T4_T5_T6_T7_T9_mT8_P12ihipStream_tbDpT10_ENKUlT_T0_E_clISt17integral_constantIbLb1EES18_IbLb0EEEEDaS14_S15_EUlS14_E_NS1_11comp_targetILNS1_3genE5ELNS1_11target_archE942ELNS1_3gpuE9ELNS1_3repE0EEENS1_30default_config_static_selectorELNS0_4arch9wavefront6targetE1EEEvT1_
; %bb.0:
	.section	.rodata,"a",@progbits
	.p2align	6, 0x0
	.amdhsa_kernel _ZN7rocprim17ROCPRIM_400000_NS6detail17trampoline_kernelINS0_14default_configENS1_25partition_config_selectorILNS1_17partition_subalgoE1EsNS0_10empty_typeEbEEZZNS1_14partition_implILS5_1ELb0ES3_jN6thrust23THRUST_200600_302600_NS6detail15normal_iteratorINSA_10device_ptrIsEEEEPS6_NSA_18transform_iteratorINSA_8identityIsEESF_NSA_11use_defaultESK_EENS0_5tupleIJSF_SF_EEENSM_IJSG_SG_EEES6_PlJS6_EEE10hipError_tPvRmT3_T4_T5_T6_T7_T9_mT8_P12ihipStream_tbDpT10_ENKUlT_T0_E_clISt17integral_constantIbLb1EES18_IbLb0EEEEDaS14_S15_EUlS14_E_NS1_11comp_targetILNS1_3genE5ELNS1_11target_archE942ELNS1_3gpuE9ELNS1_3repE0EEENS1_30default_config_static_selectorELNS0_4arch9wavefront6targetE1EEEvT1_
		.amdhsa_group_segment_fixed_size 0
		.amdhsa_private_segment_fixed_size 0
		.amdhsa_kernarg_size 128
		.amdhsa_user_sgpr_count 6
		.amdhsa_user_sgpr_private_segment_buffer 1
		.amdhsa_user_sgpr_dispatch_ptr 0
		.amdhsa_user_sgpr_queue_ptr 0
		.amdhsa_user_sgpr_kernarg_segment_ptr 1
		.amdhsa_user_sgpr_dispatch_id 0
		.amdhsa_user_sgpr_flat_scratch_init 0
		.amdhsa_user_sgpr_kernarg_preload_length 0
		.amdhsa_user_sgpr_kernarg_preload_offset 0
		.amdhsa_user_sgpr_private_segment_size 0
		.amdhsa_uses_dynamic_stack 0
		.amdhsa_system_sgpr_private_segment_wavefront_offset 0
		.amdhsa_system_sgpr_workgroup_id_x 1
		.amdhsa_system_sgpr_workgroup_id_y 0
		.amdhsa_system_sgpr_workgroup_id_z 0
		.amdhsa_system_sgpr_workgroup_info 0
		.amdhsa_system_vgpr_workitem_id 0
		.amdhsa_next_free_vgpr 1
		.amdhsa_next_free_sgpr 0
		.amdhsa_accum_offset 4
		.amdhsa_reserve_vcc 0
		.amdhsa_reserve_flat_scratch 0
		.amdhsa_float_round_mode_32 0
		.amdhsa_float_round_mode_16_64 0
		.amdhsa_float_denorm_mode_32 3
		.amdhsa_float_denorm_mode_16_64 3
		.amdhsa_dx10_clamp 1
		.amdhsa_ieee_mode 1
		.amdhsa_fp16_overflow 0
		.amdhsa_tg_split 0
		.amdhsa_exception_fp_ieee_invalid_op 0
		.amdhsa_exception_fp_denorm_src 0
		.amdhsa_exception_fp_ieee_div_zero 0
		.amdhsa_exception_fp_ieee_overflow 0
		.amdhsa_exception_fp_ieee_underflow 0
		.amdhsa_exception_fp_ieee_inexact 0
		.amdhsa_exception_int_div_zero 0
	.end_amdhsa_kernel
	.section	.text._ZN7rocprim17ROCPRIM_400000_NS6detail17trampoline_kernelINS0_14default_configENS1_25partition_config_selectorILNS1_17partition_subalgoE1EsNS0_10empty_typeEbEEZZNS1_14partition_implILS5_1ELb0ES3_jN6thrust23THRUST_200600_302600_NS6detail15normal_iteratorINSA_10device_ptrIsEEEEPS6_NSA_18transform_iteratorINSA_8identityIsEESF_NSA_11use_defaultESK_EENS0_5tupleIJSF_SF_EEENSM_IJSG_SG_EEES6_PlJS6_EEE10hipError_tPvRmT3_T4_T5_T6_T7_T9_mT8_P12ihipStream_tbDpT10_ENKUlT_T0_E_clISt17integral_constantIbLb1EES18_IbLb0EEEEDaS14_S15_EUlS14_E_NS1_11comp_targetILNS1_3genE5ELNS1_11target_archE942ELNS1_3gpuE9ELNS1_3repE0EEENS1_30default_config_static_selectorELNS0_4arch9wavefront6targetE1EEEvT1_,"axG",@progbits,_ZN7rocprim17ROCPRIM_400000_NS6detail17trampoline_kernelINS0_14default_configENS1_25partition_config_selectorILNS1_17partition_subalgoE1EsNS0_10empty_typeEbEEZZNS1_14partition_implILS5_1ELb0ES3_jN6thrust23THRUST_200600_302600_NS6detail15normal_iteratorINSA_10device_ptrIsEEEEPS6_NSA_18transform_iteratorINSA_8identityIsEESF_NSA_11use_defaultESK_EENS0_5tupleIJSF_SF_EEENSM_IJSG_SG_EEES6_PlJS6_EEE10hipError_tPvRmT3_T4_T5_T6_T7_T9_mT8_P12ihipStream_tbDpT10_ENKUlT_T0_E_clISt17integral_constantIbLb1EES18_IbLb0EEEEDaS14_S15_EUlS14_E_NS1_11comp_targetILNS1_3genE5ELNS1_11target_archE942ELNS1_3gpuE9ELNS1_3repE0EEENS1_30default_config_static_selectorELNS0_4arch9wavefront6targetE1EEEvT1_,comdat
.Lfunc_end658:
	.size	_ZN7rocprim17ROCPRIM_400000_NS6detail17trampoline_kernelINS0_14default_configENS1_25partition_config_selectorILNS1_17partition_subalgoE1EsNS0_10empty_typeEbEEZZNS1_14partition_implILS5_1ELb0ES3_jN6thrust23THRUST_200600_302600_NS6detail15normal_iteratorINSA_10device_ptrIsEEEEPS6_NSA_18transform_iteratorINSA_8identityIsEESF_NSA_11use_defaultESK_EENS0_5tupleIJSF_SF_EEENSM_IJSG_SG_EEES6_PlJS6_EEE10hipError_tPvRmT3_T4_T5_T6_T7_T9_mT8_P12ihipStream_tbDpT10_ENKUlT_T0_E_clISt17integral_constantIbLb1EES18_IbLb0EEEEDaS14_S15_EUlS14_E_NS1_11comp_targetILNS1_3genE5ELNS1_11target_archE942ELNS1_3gpuE9ELNS1_3repE0EEENS1_30default_config_static_selectorELNS0_4arch9wavefront6targetE1EEEvT1_, .Lfunc_end658-_ZN7rocprim17ROCPRIM_400000_NS6detail17trampoline_kernelINS0_14default_configENS1_25partition_config_selectorILNS1_17partition_subalgoE1EsNS0_10empty_typeEbEEZZNS1_14partition_implILS5_1ELb0ES3_jN6thrust23THRUST_200600_302600_NS6detail15normal_iteratorINSA_10device_ptrIsEEEEPS6_NSA_18transform_iteratorINSA_8identityIsEESF_NSA_11use_defaultESK_EENS0_5tupleIJSF_SF_EEENSM_IJSG_SG_EEES6_PlJS6_EEE10hipError_tPvRmT3_T4_T5_T6_T7_T9_mT8_P12ihipStream_tbDpT10_ENKUlT_T0_E_clISt17integral_constantIbLb1EES18_IbLb0EEEEDaS14_S15_EUlS14_E_NS1_11comp_targetILNS1_3genE5ELNS1_11target_archE942ELNS1_3gpuE9ELNS1_3repE0EEENS1_30default_config_static_selectorELNS0_4arch9wavefront6targetE1EEEvT1_
                                        ; -- End function
	.section	.AMDGPU.csdata,"",@progbits
; Kernel info:
; codeLenInByte = 0
; NumSgprs: 4
; NumVgprs: 0
; NumAgprs: 0
; TotalNumVgprs: 0
; ScratchSize: 0
; MemoryBound: 0
; FloatMode: 240
; IeeeMode: 1
; LDSByteSize: 0 bytes/workgroup (compile time only)
; SGPRBlocks: 0
; VGPRBlocks: 0
; NumSGPRsForWavesPerEU: 4
; NumVGPRsForWavesPerEU: 1
; AccumOffset: 4
; Occupancy: 8
; WaveLimiterHint : 0
; COMPUTE_PGM_RSRC2:SCRATCH_EN: 0
; COMPUTE_PGM_RSRC2:USER_SGPR: 6
; COMPUTE_PGM_RSRC2:TRAP_HANDLER: 0
; COMPUTE_PGM_RSRC2:TGID_X_EN: 1
; COMPUTE_PGM_RSRC2:TGID_Y_EN: 0
; COMPUTE_PGM_RSRC2:TGID_Z_EN: 0
; COMPUTE_PGM_RSRC2:TIDIG_COMP_CNT: 0
; COMPUTE_PGM_RSRC3_GFX90A:ACCUM_OFFSET: 0
; COMPUTE_PGM_RSRC3_GFX90A:TG_SPLIT: 0
	.section	.text._ZN7rocprim17ROCPRIM_400000_NS6detail17trampoline_kernelINS0_14default_configENS1_25partition_config_selectorILNS1_17partition_subalgoE1EsNS0_10empty_typeEbEEZZNS1_14partition_implILS5_1ELb0ES3_jN6thrust23THRUST_200600_302600_NS6detail15normal_iteratorINSA_10device_ptrIsEEEEPS6_NSA_18transform_iteratorINSA_8identityIsEESF_NSA_11use_defaultESK_EENS0_5tupleIJSF_SF_EEENSM_IJSG_SG_EEES6_PlJS6_EEE10hipError_tPvRmT3_T4_T5_T6_T7_T9_mT8_P12ihipStream_tbDpT10_ENKUlT_T0_E_clISt17integral_constantIbLb1EES18_IbLb0EEEEDaS14_S15_EUlS14_E_NS1_11comp_targetILNS1_3genE4ELNS1_11target_archE910ELNS1_3gpuE8ELNS1_3repE0EEENS1_30default_config_static_selectorELNS0_4arch9wavefront6targetE1EEEvT1_,"axG",@progbits,_ZN7rocprim17ROCPRIM_400000_NS6detail17trampoline_kernelINS0_14default_configENS1_25partition_config_selectorILNS1_17partition_subalgoE1EsNS0_10empty_typeEbEEZZNS1_14partition_implILS5_1ELb0ES3_jN6thrust23THRUST_200600_302600_NS6detail15normal_iteratorINSA_10device_ptrIsEEEEPS6_NSA_18transform_iteratorINSA_8identityIsEESF_NSA_11use_defaultESK_EENS0_5tupleIJSF_SF_EEENSM_IJSG_SG_EEES6_PlJS6_EEE10hipError_tPvRmT3_T4_T5_T6_T7_T9_mT8_P12ihipStream_tbDpT10_ENKUlT_T0_E_clISt17integral_constantIbLb1EES18_IbLb0EEEEDaS14_S15_EUlS14_E_NS1_11comp_targetILNS1_3genE4ELNS1_11target_archE910ELNS1_3gpuE8ELNS1_3repE0EEENS1_30default_config_static_selectorELNS0_4arch9wavefront6targetE1EEEvT1_,comdat
	.protected	_ZN7rocprim17ROCPRIM_400000_NS6detail17trampoline_kernelINS0_14default_configENS1_25partition_config_selectorILNS1_17partition_subalgoE1EsNS0_10empty_typeEbEEZZNS1_14partition_implILS5_1ELb0ES3_jN6thrust23THRUST_200600_302600_NS6detail15normal_iteratorINSA_10device_ptrIsEEEEPS6_NSA_18transform_iteratorINSA_8identityIsEESF_NSA_11use_defaultESK_EENS0_5tupleIJSF_SF_EEENSM_IJSG_SG_EEES6_PlJS6_EEE10hipError_tPvRmT3_T4_T5_T6_T7_T9_mT8_P12ihipStream_tbDpT10_ENKUlT_T0_E_clISt17integral_constantIbLb1EES18_IbLb0EEEEDaS14_S15_EUlS14_E_NS1_11comp_targetILNS1_3genE4ELNS1_11target_archE910ELNS1_3gpuE8ELNS1_3repE0EEENS1_30default_config_static_selectorELNS0_4arch9wavefront6targetE1EEEvT1_ ; -- Begin function _ZN7rocprim17ROCPRIM_400000_NS6detail17trampoline_kernelINS0_14default_configENS1_25partition_config_selectorILNS1_17partition_subalgoE1EsNS0_10empty_typeEbEEZZNS1_14partition_implILS5_1ELb0ES3_jN6thrust23THRUST_200600_302600_NS6detail15normal_iteratorINSA_10device_ptrIsEEEEPS6_NSA_18transform_iteratorINSA_8identityIsEESF_NSA_11use_defaultESK_EENS0_5tupleIJSF_SF_EEENSM_IJSG_SG_EEES6_PlJS6_EEE10hipError_tPvRmT3_T4_T5_T6_T7_T9_mT8_P12ihipStream_tbDpT10_ENKUlT_T0_E_clISt17integral_constantIbLb1EES18_IbLb0EEEEDaS14_S15_EUlS14_E_NS1_11comp_targetILNS1_3genE4ELNS1_11target_archE910ELNS1_3gpuE8ELNS1_3repE0EEENS1_30default_config_static_selectorELNS0_4arch9wavefront6targetE1EEEvT1_
	.globl	_ZN7rocprim17ROCPRIM_400000_NS6detail17trampoline_kernelINS0_14default_configENS1_25partition_config_selectorILNS1_17partition_subalgoE1EsNS0_10empty_typeEbEEZZNS1_14partition_implILS5_1ELb0ES3_jN6thrust23THRUST_200600_302600_NS6detail15normal_iteratorINSA_10device_ptrIsEEEEPS6_NSA_18transform_iteratorINSA_8identityIsEESF_NSA_11use_defaultESK_EENS0_5tupleIJSF_SF_EEENSM_IJSG_SG_EEES6_PlJS6_EEE10hipError_tPvRmT3_T4_T5_T6_T7_T9_mT8_P12ihipStream_tbDpT10_ENKUlT_T0_E_clISt17integral_constantIbLb1EES18_IbLb0EEEEDaS14_S15_EUlS14_E_NS1_11comp_targetILNS1_3genE4ELNS1_11target_archE910ELNS1_3gpuE8ELNS1_3repE0EEENS1_30default_config_static_selectorELNS0_4arch9wavefront6targetE1EEEvT1_
	.p2align	8
	.type	_ZN7rocprim17ROCPRIM_400000_NS6detail17trampoline_kernelINS0_14default_configENS1_25partition_config_selectorILNS1_17partition_subalgoE1EsNS0_10empty_typeEbEEZZNS1_14partition_implILS5_1ELb0ES3_jN6thrust23THRUST_200600_302600_NS6detail15normal_iteratorINSA_10device_ptrIsEEEEPS6_NSA_18transform_iteratorINSA_8identityIsEESF_NSA_11use_defaultESK_EENS0_5tupleIJSF_SF_EEENSM_IJSG_SG_EEES6_PlJS6_EEE10hipError_tPvRmT3_T4_T5_T6_T7_T9_mT8_P12ihipStream_tbDpT10_ENKUlT_T0_E_clISt17integral_constantIbLb1EES18_IbLb0EEEEDaS14_S15_EUlS14_E_NS1_11comp_targetILNS1_3genE4ELNS1_11target_archE910ELNS1_3gpuE8ELNS1_3repE0EEENS1_30default_config_static_selectorELNS0_4arch9wavefront6targetE1EEEvT1_,@function
_ZN7rocprim17ROCPRIM_400000_NS6detail17trampoline_kernelINS0_14default_configENS1_25partition_config_selectorILNS1_17partition_subalgoE1EsNS0_10empty_typeEbEEZZNS1_14partition_implILS5_1ELb0ES3_jN6thrust23THRUST_200600_302600_NS6detail15normal_iteratorINSA_10device_ptrIsEEEEPS6_NSA_18transform_iteratorINSA_8identityIsEESF_NSA_11use_defaultESK_EENS0_5tupleIJSF_SF_EEENSM_IJSG_SG_EEES6_PlJS6_EEE10hipError_tPvRmT3_T4_T5_T6_T7_T9_mT8_P12ihipStream_tbDpT10_ENKUlT_T0_E_clISt17integral_constantIbLb1EES18_IbLb0EEEEDaS14_S15_EUlS14_E_NS1_11comp_targetILNS1_3genE4ELNS1_11target_archE910ELNS1_3gpuE8ELNS1_3repE0EEENS1_30default_config_static_selectorELNS0_4arch9wavefront6targetE1EEEvT1_: ; @_ZN7rocprim17ROCPRIM_400000_NS6detail17trampoline_kernelINS0_14default_configENS1_25partition_config_selectorILNS1_17partition_subalgoE1EsNS0_10empty_typeEbEEZZNS1_14partition_implILS5_1ELb0ES3_jN6thrust23THRUST_200600_302600_NS6detail15normal_iteratorINSA_10device_ptrIsEEEEPS6_NSA_18transform_iteratorINSA_8identityIsEESF_NSA_11use_defaultESK_EENS0_5tupleIJSF_SF_EEENSM_IJSG_SG_EEES6_PlJS6_EEE10hipError_tPvRmT3_T4_T5_T6_T7_T9_mT8_P12ihipStream_tbDpT10_ENKUlT_T0_E_clISt17integral_constantIbLb1EES18_IbLb0EEEEDaS14_S15_EUlS14_E_NS1_11comp_targetILNS1_3genE4ELNS1_11target_archE910ELNS1_3gpuE8ELNS1_3repE0EEENS1_30default_config_static_selectorELNS0_4arch9wavefront6targetE1EEEvT1_
; %bb.0:
	s_load_dwordx2 s[0:1], s[4:5], 0x60
	s_load_dwordx4 s[24:27], s[4:5], 0x8
	s_load_dwordx2 s[2:3], s[4:5], 0x20
	s_load_dwordx4 s[20:23], s[4:5], 0x50
	s_mul_i32 s10, s6, 0x1400
	s_waitcnt lgkmcnt(0)
	v_mov_b32_e32 v3, s1
	s_load_dword s1, s[4:5], 0x78
	s_lshl_b64 s[8:9], s[26:27], 1
	s_add_u32 s7, s24, s8
	s_addc_u32 s12, s25, s9
	v_mov_b32_e32 v2, s0
	s_waitcnt lgkmcnt(0)
	s_add_i32 s13, s1, -1
	s_mulk_i32 s1, 0x1400
	s_add_i32 s11, s1, s26
	s_sub_i32 s33, s0, s11
	s_addk_i32 s33, 0x1400
	s_add_u32 s0, s26, s1
	s_addc_u32 s1, s27, 0
	s_cmp_eq_u32 s6, s13
	s_load_dwordx2 s[30:31], s[22:23], 0x0
	s_cselect_b64 s[22:23], -1, 0
	s_cmp_lg_u32 s6, s13
	s_mov_b32 s11, 0
	v_cmp_lt_u64_e32 vcc, s[0:1], v[2:3]
	s_cselect_b64 s[0:1], -1, 0
	s_or_b64 s[24:25], s[0:1], vcc
	s_lshl_b64 s[28:29], s[10:11], 1
	s_add_u32 s7, s7, s28
	s_addc_u32 s12, s12, s29
	s_mov_b64 s[0:1], -1
	s_and_b64 vcc, exec, s[24:25]
	v_lshlrev_b32_e32 v1, 1, v0
	s_cbranch_vccz .LBB659_2
; %bb.1:
	v_mov_b32_e32 v3, s12
	v_add_co_u32_e32 v2, vcc, s7, v1
	v_addc_co_u32_e32 v3, vcc, 0, v3, vcc
	v_add_co_u32_e32 v4, vcc, 0x1000, v2
	v_addc_co_u32_e32 v5, vcc, 0, v3, vcc
	flat_load_ushort v6, v[2:3]
	flat_load_ushort v7, v[2:3] offset:512
	flat_load_ushort v8, v[2:3] offset:1024
	;; [unrolled: 1-line block ×7, first 2 shown]
	v_add_co_u32_e32 v2, vcc, 0x2000, v2
	v_addc_co_u32_e32 v3, vcc, 0, v3, vcc
	flat_load_ushort v14, v[4:5]
	flat_load_ushort v15, v[4:5] offset:512
	flat_load_ushort v16, v[4:5] offset:1024
	;; [unrolled: 1-line block ×7, first 2 shown]
	s_nop 0
	flat_load_ushort v4, v[2:3]
	flat_load_ushort v5, v[2:3] offset:512
	flat_load_ushort v22, v[2:3] offset:1024
	;; [unrolled: 1-line block ×3, first 2 shown]
	s_mov_b64 s[0:1], 0
	s_waitcnt vmcnt(0) lgkmcnt(0)
	ds_write_b16 v1, v6
	ds_write_b16 v1, v7 offset:512
	ds_write_b16 v1, v8 offset:1024
	;; [unrolled: 1-line block ×19, first 2 shown]
	s_waitcnt lgkmcnt(0)
	s_barrier
.LBB659_2:
	s_andn2_b64 vcc, exec, s[0:1]
	v_cmp_gt_u32_e64 s[0:1], s33, v0
	s_cbranch_vccnz .LBB659_44
; %bb.3:
                                        ; implicit-def: $vgpr2
	s_and_saveexec_b64 s[10:11], s[0:1]
	s_cbranch_execz .LBB659_5
; %bb.4:
	v_mov_b32_e32 v3, s12
	v_add_co_u32_e32 v2, vcc, s7, v1
	v_addc_co_u32_e32 v3, vcc, 0, v3, vcc
	flat_load_ushort v2, v[2:3]
.LBB659_5:
	s_or_b64 exec, exec, s[10:11]
	v_or_b32_e32 v3, 0x100, v0
	v_cmp_gt_u32_e32 vcc, s33, v3
                                        ; implicit-def: $vgpr3
	s_and_saveexec_b64 s[0:1], vcc
	s_cbranch_execz .LBB659_7
; %bb.6:
	v_mov_b32_e32 v3, s12
	v_add_co_u32_e32 v4, vcc, s7, v1
	v_addc_co_u32_e32 v5, vcc, 0, v3, vcc
	flat_load_ushort v3, v[4:5] offset:512
.LBB659_7:
	s_or_b64 exec, exec, s[0:1]
	v_or_b32_e32 v4, 0x200, v0
	v_cmp_gt_u32_e32 vcc, s33, v4
                                        ; implicit-def: $vgpr4
	s_and_saveexec_b64 s[0:1], vcc
	s_cbranch_execz .LBB659_9
; %bb.8:
	v_mov_b32_e32 v5, s12
	v_add_co_u32_e32 v4, vcc, s7, v1
	v_addc_co_u32_e32 v5, vcc, 0, v5, vcc
	flat_load_ushort v4, v[4:5] offset:1024
.LBB659_9:
	s_or_b64 exec, exec, s[0:1]
	v_or_b32_e32 v5, 0x300, v0
	v_cmp_gt_u32_e32 vcc, s33, v5
                                        ; implicit-def: $vgpr5
	s_and_saveexec_b64 s[0:1], vcc
	s_cbranch_execz .LBB659_11
; %bb.10:
	v_mov_b32_e32 v5, s12
	v_add_co_u32_e32 v6, vcc, s7, v1
	v_addc_co_u32_e32 v7, vcc, 0, v5, vcc
	flat_load_ushort v5, v[6:7] offset:1536
.LBB659_11:
	s_or_b64 exec, exec, s[0:1]
	v_or_b32_e32 v6, 0x400, v0
	v_cmp_gt_u32_e32 vcc, s33, v6
                                        ; implicit-def: $vgpr6
	s_and_saveexec_b64 s[0:1], vcc
	s_cbranch_execz .LBB659_13
; %bb.12:
	v_mov_b32_e32 v7, s12
	v_add_co_u32_e32 v6, vcc, s7, v1
	v_addc_co_u32_e32 v7, vcc, 0, v7, vcc
	flat_load_ushort v6, v[6:7] offset:2048
.LBB659_13:
	s_or_b64 exec, exec, s[0:1]
	v_or_b32_e32 v7, 0x500, v0
	v_cmp_gt_u32_e32 vcc, s33, v7
                                        ; implicit-def: $vgpr7
	s_and_saveexec_b64 s[0:1], vcc
	s_cbranch_execz .LBB659_15
; %bb.14:
	v_mov_b32_e32 v7, s12
	v_add_co_u32_e32 v8, vcc, s7, v1
	v_addc_co_u32_e32 v9, vcc, 0, v7, vcc
	flat_load_ushort v7, v[8:9] offset:2560
.LBB659_15:
	s_or_b64 exec, exec, s[0:1]
	v_or_b32_e32 v8, 0x600, v0
	v_cmp_gt_u32_e32 vcc, s33, v8
                                        ; implicit-def: $vgpr8
	s_and_saveexec_b64 s[0:1], vcc
	s_cbranch_execz .LBB659_17
; %bb.16:
	v_mov_b32_e32 v9, s12
	v_add_co_u32_e32 v8, vcc, s7, v1
	v_addc_co_u32_e32 v9, vcc, 0, v9, vcc
	flat_load_ushort v8, v[8:9] offset:3072
.LBB659_17:
	s_or_b64 exec, exec, s[0:1]
	v_or_b32_e32 v9, 0x700, v0
	v_cmp_gt_u32_e32 vcc, s33, v9
                                        ; implicit-def: $vgpr9
	s_and_saveexec_b64 s[0:1], vcc
	s_cbranch_execz .LBB659_19
; %bb.18:
	v_mov_b32_e32 v9, s12
	v_add_co_u32_e32 v10, vcc, s7, v1
	v_addc_co_u32_e32 v11, vcc, 0, v9, vcc
	flat_load_ushort v9, v[10:11] offset:3584
.LBB659_19:
	s_or_b64 exec, exec, s[0:1]
	v_or_b32_e32 v11, 0x800, v0
	v_cmp_gt_u32_e32 vcc, s33, v11
                                        ; implicit-def: $vgpr10
	s_and_saveexec_b64 s[0:1], vcc
	s_cbranch_execz .LBB659_21
; %bb.20:
	v_lshlrev_b32_e32 v10, 1, v11
	v_mov_b32_e32 v11, s12
	v_add_co_u32_e32 v10, vcc, s7, v10
	v_addc_co_u32_e32 v11, vcc, 0, v11, vcc
	flat_load_ushort v10, v[10:11]
.LBB659_21:
	s_or_b64 exec, exec, s[0:1]
	v_or_b32_e32 v12, 0x900, v0
	v_cmp_gt_u32_e32 vcc, s33, v12
                                        ; implicit-def: $vgpr11
	s_and_saveexec_b64 s[0:1], vcc
	s_cbranch_execz .LBB659_23
; %bb.22:
	v_lshlrev_b32_e32 v11, 1, v12
	v_mov_b32_e32 v13, s12
	v_add_co_u32_e32 v12, vcc, s7, v11
	v_addc_co_u32_e32 v13, vcc, 0, v13, vcc
	flat_load_ushort v11, v[12:13]
.LBB659_23:
	s_or_b64 exec, exec, s[0:1]
	v_or_b32_e32 v13, 0xa00, v0
	v_cmp_gt_u32_e32 vcc, s33, v13
                                        ; implicit-def: $vgpr12
	s_and_saveexec_b64 s[0:1], vcc
	s_cbranch_execz .LBB659_25
; %bb.24:
	v_lshlrev_b32_e32 v12, 1, v13
	v_mov_b32_e32 v13, s12
	v_add_co_u32_e32 v12, vcc, s7, v12
	v_addc_co_u32_e32 v13, vcc, 0, v13, vcc
	flat_load_ushort v12, v[12:13]
.LBB659_25:
	s_or_b64 exec, exec, s[0:1]
	v_or_b32_e32 v14, 0xb00, v0
	v_cmp_gt_u32_e32 vcc, s33, v14
                                        ; implicit-def: $vgpr13
	s_and_saveexec_b64 s[0:1], vcc
	s_cbranch_execz .LBB659_27
; %bb.26:
	v_lshlrev_b32_e32 v13, 1, v14
	v_mov_b32_e32 v15, s12
	v_add_co_u32_e32 v14, vcc, s7, v13
	v_addc_co_u32_e32 v15, vcc, 0, v15, vcc
	flat_load_ushort v13, v[14:15]
.LBB659_27:
	s_or_b64 exec, exec, s[0:1]
	v_or_b32_e32 v15, 0xc00, v0
	v_cmp_gt_u32_e32 vcc, s33, v15
                                        ; implicit-def: $vgpr14
	s_and_saveexec_b64 s[0:1], vcc
	s_cbranch_execz .LBB659_29
; %bb.28:
	v_lshlrev_b32_e32 v14, 1, v15
	v_mov_b32_e32 v15, s12
	v_add_co_u32_e32 v14, vcc, s7, v14
	v_addc_co_u32_e32 v15, vcc, 0, v15, vcc
	flat_load_ushort v14, v[14:15]
.LBB659_29:
	s_or_b64 exec, exec, s[0:1]
	v_or_b32_e32 v16, 0xd00, v0
	v_cmp_gt_u32_e32 vcc, s33, v16
                                        ; implicit-def: $vgpr15
	s_and_saveexec_b64 s[0:1], vcc
	s_cbranch_execz .LBB659_31
; %bb.30:
	v_lshlrev_b32_e32 v15, 1, v16
	v_mov_b32_e32 v17, s12
	v_add_co_u32_e32 v16, vcc, s7, v15
	v_addc_co_u32_e32 v17, vcc, 0, v17, vcc
	flat_load_ushort v15, v[16:17]
.LBB659_31:
	s_or_b64 exec, exec, s[0:1]
	v_or_b32_e32 v17, 0xe00, v0
	v_cmp_gt_u32_e32 vcc, s33, v17
                                        ; implicit-def: $vgpr16
	s_and_saveexec_b64 s[0:1], vcc
	s_cbranch_execz .LBB659_33
; %bb.32:
	v_lshlrev_b32_e32 v16, 1, v17
	v_mov_b32_e32 v17, s12
	v_add_co_u32_e32 v16, vcc, s7, v16
	v_addc_co_u32_e32 v17, vcc, 0, v17, vcc
	flat_load_ushort v16, v[16:17]
.LBB659_33:
	s_or_b64 exec, exec, s[0:1]
	v_or_b32_e32 v18, 0xf00, v0
	v_cmp_gt_u32_e32 vcc, s33, v18
                                        ; implicit-def: $vgpr17
	s_and_saveexec_b64 s[0:1], vcc
	s_cbranch_execz .LBB659_35
; %bb.34:
	v_lshlrev_b32_e32 v17, 1, v18
	v_mov_b32_e32 v19, s12
	v_add_co_u32_e32 v18, vcc, s7, v17
	v_addc_co_u32_e32 v19, vcc, 0, v19, vcc
	flat_load_ushort v17, v[18:19]
.LBB659_35:
	s_or_b64 exec, exec, s[0:1]
	v_or_b32_e32 v19, 0x1000, v0
	v_cmp_gt_u32_e32 vcc, s33, v19
                                        ; implicit-def: $vgpr18
	s_and_saveexec_b64 s[0:1], vcc
	s_cbranch_execz .LBB659_37
; %bb.36:
	v_lshlrev_b32_e32 v18, 1, v19
	v_mov_b32_e32 v19, s12
	v_add_co_u32_e32 v18, vcc, s7, v18
	v_addc_co_u32_e32 v19, vcc, 0, v19, vcc
	flat_load_ushort v18, v[18:19]
.LBB659_37:
	s_or_b64 exec, exec, s[0:1]
	v_or_b32_e32 v20, 0x1100, v0
	v_cmp_gt_u32_e32 vcc, s33, v20
                                        ; implicit-def: $vgpr19
	s_and_saveexec_b64 s[0:1], vcc
	s_cbranch_execz .LBB659_39
; %bb.38:
	v_lshlrev_b32_e32 v19, 1, v20
	v_mov_b32_e32 v21, s12
	v_add_co_u32_e32 v20, vcc, s7, v19
	v_addc_co_u32_e32 v21, vcc, 0, v21, vcc
	flat_load_ushort v19, v[20:21]
.LBB659_39:
	s_or_b64 exec, exec, s[0:1]
	v_or_b32_e32 v21, 0x1200, v0
	v_cmp_gt_u32_e32 vcc, s33, v21
                                        ; implicit-def: $vgpr20
	s_and_saveexec_b64 s[0:1], vcc
	s_cbranch_execz .LBB659_41
; %bb.40:
	v_lshlrev_b32_e32 v20, 1, v21
	v_mov_b32_e32 v21, s12
	v_add_co_u32_e32 v20, vcc, s7, v20
	v_addc_co_u32_e32 v21, vcc, 0, v21, vcc
	flat_load_ushort v20, v[20:21]
.LBB659_41:
	s_or_b64 exec, exec, s[0:1]
	v_or_b32_e32 v22, 0x1300, v0
	v_cmp_gt_u32_e32 vcc, s33, v22
                                        ; implicit-def: $vgpr21
	s_and_saveexec_b64 s[0:1], vcc
	s_cbranch_execz .LBB659_43
; %bb.42:
	v_lshlrev_b32_e32 v21, 1, v22
	v_mov_b32_e32 v23, s12
	v_add_co_u32_e32 v22, vcc, s7, v21
	v_addc_co_u32_e32 v23, vcc, 0, v23, vcc
	flat_load_ushort v21, v[22:23]
.LBB659_43:
	s_or_b64 exec, exec, s[0:1]
	s_waitcnt vmcnt(0) lgkmcnt(0)
	ds_write_b16 v1, v2
	ds_write_b16 v1, v3 offset:512
	ds_write_b16 v1, v4 offset:1024
	;; [unrolled: 1-line block ×19, first 2 shown]
	s_waitcnt lgkmcnt(0)
	s_barrier
.LBB659_44:
	v_mul_u32_u24_e32 v26, 20, v0
	v_lshlrev_b32_e32 v6, 1, v26
	s_waitcnt lgkmcnt(0)
	ds_read_b64 v[10:11], v6 offset:32
	ds_read2_b64 v[2:5], v6 offset0:2 offset1:3
	ds_read2_b64 v[6:9], v6 offset1:1
	s_add_u32 s0, s2, s8
	s_addc_u32 s1, s3, s9
	s_add_u32 s0, s0, s28
	s_addc_u32 s1, s1, s29
	s_mov_b64 s[2:3], -1
	s_and_b64 vcc, exec, s[24:25]
	s_waitcnt lgkmcnt(0)
	s_barrier
	s_cbranch_vccz .LBB659_46
; %bb.45:
	global_load_ushort v16, v1, s[0:1]
	global_load_ushort v17, v1, s[0:1] offset:512
	global_load_ushort v18, v1, s[0:1] offset:1024
	v_mov_b32_e32 v12, s1
	v_add_co_u32_e32 v14, vcc, s0, v1
	s_movk_i32 s3, 0x2000
	v_addc_co_u32_e32 v15, vcc, 0, v12, vcc
	v_add_co_u32_e32 v12, vcc, s3, v14
	global_load_ushort v19, v1, s[0:1] offset:1536
	global_load_ushort v20, v1, s[0:1] offset:2048
	;; [unrolled: 1-line block ×5, first 2 shown]
	v_addc_co_u32_e32 v13, vcc, 0, v15, vcc
	global_load_ushort v24, v[12:13], off offset:-4096
	s_movk_i32 s2, 0x1000
	v_add_co_u32_e32 v14, vcc, s2, v14
	v_addc_co_u32_e32 v15, vcc, 0, v15, vcc
	global_load_ushort v25, v[14:15], off offset:512
	global_load_ushort v27, v[14:15], off offset:1024
	;; [unrolled: 1-line block ×7, first 2 shown]
	global_load_ushort v33, v[12:13], off
	global_load_ushort v34, v[12:13], off offset:512
	global_load_ushort v35, v[12:13], off offset:1024
	;; [unrolled: 1-line block ×3, first 2 shown]
	s_mov_b64 s[2:3], 0
	s_waitcnt vmcnt(19)
	v_cmp_ne_u16_e32 vcc, 0, v16
	v_cndmask_b32_e64 v12, 0, 1, vcc
	s_waitcnt vmcnt(18)
	v_cmp_ne_u16_e32 vcc, 0, v17
	v_cndmask_b32_e64 v13, 0, 1, vcc
	;; [unrolled: 3-line block ×8, first 2 shown]
	s_waitcnt vmcnt(11)
	v_cmp_ne_u16_e32 vcc, 0, v24
	ds_write_b8 v0, v12
	ds_write_b8 v0, v13 offset:256
	ds_write_b8 v0, v14 offset:512
	;; [unrolled: 1-line block ×7, first 2 shown]
	v_cndmask_b32_e64 v12, 0, 1, vcc
	s_waitcnt vmcnt(10)
	v_cmp_ne_u16_e32 vcc, 0, v25
	v_cndmask_b32_e64 v13, 0, 1, vcc
	s_waitcnt vmcnt(9)
	v_cmp_ne_u16_e32 vcc, 0, v27
	;; [unrolled: 3-line block ×11, first 2 shown]
	v_cndmask_b32_e64 v23, 0, 1, vcc
	ds_write_b8 v0, v12 offset:2048
	ds_write_b8 v0, v13 offset:2304
	;; [unrolled: 1-line block ×12, first 2 shown]
	s_waitcnt lgkmcnt(0)
	s_barrier
.LBB659_46:
	s_load_dwordx2 s[34:35], s[4:5], 0x70
	s_andn2_b64 vcc, exec, s[2:3]
	s_cbranch_vccnz .LBB659_88
; %bb.47:
	v_cmp_gt_u32_e32 vcc, s33, v0
	v_mov_b32_e32 v12, 0
	v_mov_b32_e32 v13, 0
	s_and_saveexec_b64 s[2:3], vcc
	s_cbranch_execz .LBB659_49
; %bb.48:
	global_load_ushort v13, v1, s[0:1]
	s_waitcnt vmcnt(0)
	v_cmp_ne_u16_e32 vcc, 0, v13
	v_cndmask_b32_e64 v13, 0, 1, vcc
.LBB659_49:
	s_or_b64 exec, exec, s[2:3]
	v_or_b32_e32 v14, 0x100, v0
	v_cmp_gt_u32_e32 vcc, s33, v14
	s_and_saveexec_b64 s[2:3], vcc
	s_cbranch_execz .LBB659_51
; %bb.50:
	global_load_ushort v12, v1, s[0:1] offset:512
	s_waitcnt vmcnt(0)
	v_cmp_ne_u16_e32 vcc, 0, v12
	v_cndmask_b32_e64 v12, 0, 1, vcc
.LBB659_51:
	s_or_b64 exec, exec, s[2:3]
	v_or_b32_e32 v14, 0x200, v0
	v_cmp_gt_u32_e32 vcc, s33, v14
	v_mov_b32_e32 v14, 0
	v_mov_b32_e32 v15, 0
	s_and_saveexec_b64 s[2:3], vcc
	s_cbranch_execz .LBB659_53
; %bb.52:
	global_load_ushort v15, v1, s[0:1] offset:1024
	s_waitcnt vmcnt(0)
	v_cmp_ne_u16_e32 vcc, 0, v15
	v_cndmask_b32_e64 v15, 0, 1, vcc
.LBB659_53:
	s_or_b64 exec, exec, s[2:3]
	v_or_b32_e32 v16, 0x300, v0
	v_cmp_gt_u32_e32 vcc, s33, v16
	s_and_saveexec_b64 s[2:3], vcc
	s_cbranch_execz .LBB659_55
; %bb.54:
	global_load_ushort v14, v1, s[0:1] offset:1536
	s_waitcnt vmcnt(0)
	v_cmp_ne_u16_e32 vcc, 0, v14
	v_cndmask_b32_e64 v14, 0, 1, vcc
.LBB659_55:
	s_or_b64 exec, exec, s[2:3]
	v_or_b32_e32 v16, 0x400, v0
	v_cmp_gt_u32_e32 vcc, s33, v16
	v_mov_b32_e32 v16, 0
	v_mov_b32_e32 v17, 0
	s_and_saveexec_b64 s[2:3], vcc
	s_cbranch_execz .LBB659_57
; %bb.56:
	global_load_ushort v17, v1, s[0:1] offset:2048
	s_waitcnt vmcnt(0)
	v_cmp_ne_u16_e32 vcc, 0, v17
	v_cndmask_b32_e64 v17, 0, 1, vcc
.LBB659_57:
	;; [unrolled: 24-line block ×3, first 2 shown]
	s_or_b64 exec, exec, s[2:3]
	v_or_b32_e32 v20, 0x700, v0
	v_cmp_gt_u32_e32 vcc, s33, v20
	s_and_saveexec_b64 s[2:3], vcc
	s_cbranch_execz .LBB659_63
; %bb.62:
	global_load_ushort v18, v1, s[0:1] offset:3584
	s_waitcnt vmcnt(0)
	v_cmp_ne_u16_e32 vcc, 0, v18
	v_cndmask_b32_e64 v18, 0, 1, vcc
.LBB659_63:
	s_or_b64 exec, exec, s[2:3]
	v_or_b32_e32 v22, 0x800, v0
	v_cmp_gt_u32_e32 vcc, s33, v22
	v_mov_b32_e32 v20, 0
	v_mov_b32_e32 v21, 0
	s_and_saveexec_b64 s[2:3], vcc
	s_cbranch_execz .LBB659_65
; %bb.64:
	v_lshlrev_b32_e32 v21, 1, v22
	global_load_ushort v21, v21, s[0:1]
	s_waitcnt vmcnt(0)
	v_cmp_ne_u16_e32 vcc, 0, v21
	v_cndmask_b32_e64 v21, 0, 1, vcc
.LBB659_65:
	s_or_b64 exec, exec, s[2:3]
	v_or_b32_e32 v22, 0x900, v0
	v_cmp_gt_u32_e32 vcc, s33, v22
	s_and_saveexec_b64 s[2:3], vcc
	s_cbranch_execz .LBB659_67
; %bb.66:
	v_lshlrev_b32_e32 v20, 1, v22
	global_load_ushort v20, v20, s[0:1]
	s_waitcnt vmcnt(0)
	v_cmp_ne_u16_e32 vcc, 0, v20
	v_cndmask_b32_e64 v20, 0, 1, vcc
.LBB659_67:
	s_or_b64 exec, exec, s[2:3]
	v_or_b32_e32 v24, 0xa00, v0
	v_cmp_gt_u32_e32 vcc, s33, v24
	v_mov_b32_e32 v22, 0
	v_mov_b32_e32 v23, 0
	s_and_saveexec_b64 s[2:3], vcc
	s_cbranch_execz .LBB659_69
; %bb.68:
	v_lshlrev_b32_e32 v23, 1, v24
	global_load_ushort v23, v23, s[0:1]
	s_waitcnt vmcnt(0)
	v_cmp_ne_u16_e32 vcc, 0, v23
	v_cndmask_b32_e64 v23, 0, 1, vcc
.LBB659_69:
	s_or_b64 exec, exec, s[2:3]
	v_or_b32_e32 v24, 0xb00, v0
	v_cmp_gt_u32_e32 vcc, s33, v24
	s_and_saveexec_b64 s[2:3], vcc
	s_cbranch_execz .LBB659_71
; %bb.70:
	v_lshlrev_b32_e32 v22, 1, v24
	global_load_ushort v22, v22, s[0:1]
	s_waitcnt vmcnt(0)
	v_cmp_ne_u16_e32 vcc, 0, v22
	v_cndmask_b32_e64 v22, 0, 1, vcc
.LBB659_71:
	;; [unrolled: 26-line block ×6, first 2 shown]
	s_or_b64 exec, exec, s[2:3]
	ds_write_b8 v0, v13
	ds_write_b8 v0, v12 offset:256
	ds_write_b8 v0, v15 offset:512
	;; [unrolled: 1-line block ×19, first 2 shown]
	s_waitcnt lgkmcnt(0)
	s_barrier
.LBB659_88:
	s_waitcnt lgkmcnt(0)
	ds_read2_b32 v[16:17], v26 offset1:1
	ds_read2_b32 v[14:15], v26 offset0:2 offset1:3
	ds_read_b32 v28, v26 offset:16
	s_cmp_lg_u32 s6, 0
	v_lshrrev_b32_e32 v47, 6, v0
	s_waitcnt lgkmcnt(2)
	v_lshrrev_b32_e32 v33, 24, v16
	v_bfe_u32 v45, v16, 16, 8
	v_add_u32_sdwa v12, v16, v16 dst_sel:DWORD dst_unused:UNUSED_PAD src0_sel:BYTE_1 src1_sel:BYTE_0
	v_and_b32_e32 v42, 0xff, v17
	v_bfe_u32 v43, v17, 8, 8
	v_add3_u32 v12, v12, v45, v33
	v_lshrrev_b32_e32 v32, 24, v17
	v_bfe_u32 v44, v17, 16, 8
	v_add3_u32 v12, v12, v42, v43
	s_waitcnt lgkmcnt(1)
	v_and_b32_e32 v39, 0xff, v14
	v_bfe_u32 v40, v14, 8, 8
	v_add3_u32 v12, v12, v44, v32
	v_lshrrev_b32_e32 v31, 24, v14
	v_bfe_u32 v41, v14, 16, 8
	v_add3_u32 v12, v12, v39, v40
	v_and_b32_e32 v36, 0xff, v15
	v_bfe_u32 v37, v15, 8, 8
	v_add3_u32 v12, v12, v41, v31
	v_lshrrev_b32_e32 v30, 24, v15
	v_bfe_u32 v38, v15, 16, 8
	v_add3_u32 v12, v12, v36, v37
	s_waitcnt lgkmcnt(0)
	v_and_b32_e32 v34, 0xff, v28
	v_bfe_u32 v35, v28, 8, 8
	v_add3_u32 v12, v12, v38, v30
	v_lshrrev_b32_e32 v27, 24, v28
	v_bfe_u32 v29, v28, 16, 8
	v_add3_u32 v12, v12, v34, v35
	v_add3_u32 v48, v12, v29, v27
	v_mbcnt_lo_u32_b32 v12, -1, 0
	v_mbcnt_hi_u32_b32 v46, -1, v12
	v_and_b32_e32 v12, 15, v46
	v_cmp_eq_u32_e64 s[14:15], 0, v12
	v_cmp_lt_u32_e64 s[12:13], 1, v12
	v_cmp_lt_u32_e64 s[10:11], 3, v12
	;; [unrolled: 1-line block ×3, first 2 shown]
	v_and_b32_e32 v12, 16, v46
	v_cmp_eq_u32_e64 s[18:19], 0, v12
	v_or_b32_e32 v12, 63, v0
	v_cmp_lt_u32_e64 s[0:1], 31, v46
	v_cmp_eq_u32_e64 s[2:3], v12, v0
	s_barrier
	s_cbranch_scc0 .LBB659_119
; %bb.89:
	v_mov_b32_dpp v12, v48 row_shr:1 row_mask:0xf bank_mask:0xf
	v_cndmask_b32_e64 v12, v12, 0, s[14:15]
	v_add_u32_e32 v12, v12, v48
	s_nop 1
	v_mov_b32_dpp v13, v12 row_shr:2 row_mask:0xf bank_mask:0xf
	v_cndmask_b32_e64 v13, 0, v13, s[12:13]
	v_add_u32_e32 v12, v12, v13
	s_nop 1
	;; [unrolled: 4-line block ×4, first 2 shown]
	v_mov_b32_dpp v13, v12 row_bcast:15 row_mask:0xf bank_mask:0xf
	v_cndmask_b32_e64 v13, v13, 0, s[18:19]
	v_add_u32_e32 v12, v12, v13
	s_nop 1
	v_mov_b32_dpp v13, v12 row_bcast:31 row_mask:0xf bank_mask:0xf
	v_cndmask_b32_e64 v13, 0, v13, s[0:1]
	v_add_u32_e32 v12, v12, v13
	s_and_saveexec_b64 s[16:17], s[2:3]
	s_cbranch_execz .LBB659_91
; %bb.90:
	v_lshlrev_b32_e32 v13, 2, v47
	ds_write_b32 v13, v12
.LBB659_91:
	s_or_b64 exec, exec, s[16:17]
	v_cmp_gt_u32_e32 vcc, 4, v0
	s_waitcnt lgkmcnt(0)
	s_barrier
	s_and_saveexec_b64 s[16:17], vcc
	s_cbranch_execz .LBB659_93
; %bb.92:
	v_lshlrev_b32_e32 v13, 2, v0
	ds_read_b32 v18, v13
	v_and_b32_e32 v19, 3, v46
	v_cmp_ne_u32_e32 vcc, 0, v19
	s_waitcnt lgkmcnt(0)
	v_mov_b32_dpp v20, v18 row_shr:1 row_mask:0xf bank_mask:0xf
	v_cndmask_b32_e32 v20, 0, v20, vcc
	v_add_u32_e32 v18, v20, v18
	v_cmp_lt_u32_e32 vcc, 1, v19
	s_nop 0
	v_mov_b32_dpp v20, v18 row_shr:2 row_mask:0xf bank_mask:0xf
	v_cndmask_b32_e32 v19, 0, v20, vcc
	v_add_u32_e32 v18, v18, v19
	ds_write_b32 v13, v18
.LBB659_93:
	s_or_b64 exec, exec, s[16:17]
	v_cmp_gt_u32_e32 vcc, 64, v0
	v_cmp_lt_u32_e64 s[16:17], 63, v0
	s_waitcnt lgkmcnt(0)
	s_barrier
	s_waitcnt lgkmcnt(0)
                                        ; implicit-def: $vgpr49
	s_and_saveexec_b64 s[36:37], s[16:17]
	s_cbranch_execz .LBB659_95
; %bb.94:
	v_lshl_add_u32 v13, v47, 2, -4
	ds_read_b32 v49, v13
	s_waitcnt lgkmcnt(0)
	v_add_u32_e32 v12, v49, v12
.LBB659_95:
	s_or_b64 exec, exec, s[36:37]
	v_add_u32_e32 v13, -1, v46
	v_and_b32_e32 v18, 64, v46
	v_cmp_lt_i32_e64 s[16:17], v13, v18
	v_cndmask_b32_e64 v13, v13, v46, s[16:17]
	v_lshlrev_b32_e32 v13, 2, v13
	ds_bpermute_b32 v50, v13, v12
	v_cmp_eq_u32_e64 s[16:17], 0, v46
	s_and_saveexec_b64 s[36:37], vcc
	s_cbranch_execz .LBB659_118
; %bb.96:
	v_mov_b32_e32 v25, 0
	ds_read_b32 v12, v25 offset:12
	s_and_saveexec_b64 s[38:39], s[16:17]
	s_cbranch_execz .LBB659_98
; %bb.97:
	s_add_i32 s40, s6, 64
	s_mov_b32 s41, 0
	s_lshl_b64 s[40:41], s[40:41], 3
	s_add_u32 s40, s34, s40
	v_mov_b32_e32 v13, 1
	s_addc_u32 s41, s35, s41
	s_waitcnt lgkmcnt(0)
	global_store_dwordx2 v25, v[12:13], s[40:41]
.LBB659_98:
	s_or_b64 exec, exec, s[38:39]
	v_xad_u32 v18, v46, -1, s6
	v_add_u32_e32 v24, 64, v18
	v_lshlrev_b64 v[20:21], 3, v[24:25]
	v_mov_b32_e32 v13, s35
	v_add_co_u32_e32 v20, vcc, s34, v20
	v_addc_co_u32_e32 v21, vcc, v13, v21, vcc
	global_load_dwordx2 v[22:23], v[20:21], off glc
	s_waitcnt vmcnt(0)
	v_cmp_eq_u16_sdwa s[40:41], v23, v25 src0_sel:BYTE_0 src1_sel:DWORD
	s_and_saveexec_b64 s[38:39], s[40:41]
	s_cbranch_execz .LBB659_104
; %bb.99:
	s_mov_b32 s7, 1
	s_mov_b64 s[40:41], 0
	v_mov_b32_e32 v13, 0
.LBB659_100:                            ; =>This Loop Header: Depth=1
                                        ;     Child Loop BB659_101 Depth 2
	s_max_u32 s42, s7, 1
.LBB659_101:                            ;   Parent Loop BB659_100 Depth=1
                                        ; =>  This Inner Loop Header: Depth=2
	s_add_i32 s42, s42, -1
	s_cmp_eq_u32 s42, 0
	s_sleep 1
	s_cbranch_scc0 .LBB659_101
; %bb.102:                              ;   in Loop: Header=BB659_100 Depth=1
	global_load_dwordx2 v[22:23], v[20:21], off glc
	s_cmp_lt_u32 s7, 32
	s_cselect_b64 s[42:43], -1, 0
	s_cmp_lg_u64 s[42:43], 0
	s_addc_u32 s7, s7, 0
	s_waitcnt vmcnt(0)
	v_cmp_ne_u16_sdwa s[42:43], v23, v13 src0_sel:BYTE_0 src1_sel:DWORD
	s_or_b64 s[40:41], s[42:43], s[40:41]
	s_andn2_b64 exec, exec, s[40:41]
	s_cbranch_execnz .LBB659_100
; %bb.103:
	s_or_b64 exec, exec, s[40:41]
.LBB659_104:
	s_or_b64 exec, exec, s[38:39]
	v_and_b32_e32 v52, 63, v46
	v_mov_b32_e32 v51, 2
	v_cmp_ne_u32_e32 vcc, 63, v52
	v_cmp_eq_u16_sdwa s[38:39], v23, v51 src0_sel:BYTE_0 src1_sel:DWORD
	v_lshlrev_b64 v[20:21], v46, -1
	v_addc_co_u32_e32 v24, vcc, 0, v46, vcc
	v_and_b32_e32 v13, s39, v21
	v_lshlrev_b32_e32 v53, 2, v24
	v_or_b32_e32 v13, 0x80000000, v13
	ds_bpermute_b32 v24, v53, v22
	v_and_b32_e32 v19, s38, v20
	v_ffbl_b32_e32 v13, v13
	v_add_u32_e32 v13, 32, v13
	v_ffbl_b32_e32 v19, v19
	v_min_u32_e32 v13, v19, v13
	v_cmp_lt_u32_e32 vcc, v52, v13
	s_waitcnt lgkmcnt(0)
	v_cndmask_b32_e32 v19, 0, v24, vcc
	v_cmp_gt_u32_e32 vcc, 62, v52
	v_add_u32_e32 v19, v19, v22
	v_cndmask_b32_e64 v22, 0, 1, vcc
	v_lshlrev_b32_e32 v22, 1, v22
	v_add_lshl_u32 v54, v22, v46, 2
	ds_bpermute_b32 v22, v54, v19
	v_add_u32_e32 v55, 2, v52
	v_cmp_le_u32_e32 vcc, v55, v13
	v_add_u32_e32 v57, 4, v52
	v_add_u32_e32 v59, 8, v52
	s_waitcnt lgkmcnt(0)
	v_cndmask_b32_e32 v22, 0, v22, vcc
	v_cmp_gt_u32_e32 vcc, 60, v52
	v_add_u32_e32 v19, v19, v22
	v_cndmask_b32_e64 v22, 0, 1, vcc
	v_lshlrev_b32_e32 v22, 2, v22
	v_add_lshl_u32 v56, v22, v46, 2
	ds_bpermute_b32 v22, v56, v19
	v_cmp_le_u32_e32 vcc, v57, v13
	v_add_u32_e32 v61, 16, v52
	v_add_u32_e32 v63, 32, v52
	s_waitcnt lgkmcnt(0)
	v_cndmask_b32_e32 v22, 0, v22, vcc
	v_cmp_gt_u32_e32 vcc, 56, v52
	v_add_u32_e32 v19, v19, v22
	v_cndmask_b32_e64 v22, 0, 1, vcc
	v_lshlrev_b32_e32 v22, 3, v22
	v_add_lshl_u32 v58, v22, v46, 2
	ds_bpermute_b32 v22, v58, v19
	v_cmp_le_u32_e32 vcc, v59, v13
	s_waitcnt lgkmcnt(0)
	v_cndmask_b32_e32 v22, 0, v22, vcc
	v_cmp_gt_u32_e32 vcc, 48, v52
	v_add_u32_e32 v19, v19, v22
	v_cndmask_b32_e64 v22, 0, 1, vcc
	v_lshlrev_b32_e32 v22, 4, v22
	v_add_lshl_u32 v60, v22, v46, 2
	ds_bpermute_b32 v22, v60, v19
	v_cmp_le_u32_e32 vcc, v61, v13
	s_waitcnt lgkmcnt(0)
	v_cndmask_b32_e32 v22, 0, v22, vcc
	v_cmp_gt_u32_e32 vcc, 32, v52
	v_add_u32_e32 v19, v19, v22
	v_cndmask_b32_e64 v22, 0, 1, vcc
	v_lshlrev_b32_e32 v22, 5, v22
	v_add_lshl_u32 v62, v22, v46, 2
	ds_bpermute_b32 v22, v62, v19
	v_cmp_le_u32_e32 vcc, v63, v13
	s_waitcnt lgkmcnt(0)
	v_cndmask_b32_e32 v13, 0, v22, vcc
	v_add_u32_e32 v22, v19, v13
	v_mov_b32_e32 v19, 0
	s_branch .LBB659_106
.LBB659_105:                            ;   in Loop: Header=BB659_106 Depth=1
	s_or_b64 exec, exec, s[38:39]
	v_cmp_eq_u16_sdwa s[38:39], v23, v51 src0_sel:BYTE_0 src1_sel:DWORD
	v_and_b32_e32 v24, s39, v21
	v_or_b32_e32 v24, 0x80000000, v24
	ds_bpermute_b32 v64, v53, v22
	v_and_b32_e32 v25, s38, v20
	v_ffbl_b32_e32 v24, v24
	v_add_u32_e32 v24, 32, v24
	v_ffbl_b32_e32 v25, v25
	v_min_u32_e32 v24, v25, v24
	v_cmp_lt_u32_e32 vcc, v52, v24
	s_waitcnt lgkmcnt(0)
	v_cndmask_b32_e32 v25, 0, v64, vcc
	v_add_u32_e32 v22, v25, v22
	ds_bpermute_b32 v25, v54, v22
	v_cmp_le_u32_e32 vcc, v55, v24
	v_subrev_u32_e32 v18, 64, v18
	s_waitcnt lgkmcnt(0)
	v_cndmask_b32_e32 v25, 0, v25, vcc
	v_add_u32_e32 v22, v22, v25
	ds_bpermute_b32 v25, v56, v22
	v_cmp_le_u32_e32 vcc, v57, v24
	s_waitcnt lgkmcnt(0)
	v_cndmask_b32_e32 v25, 0, v25, vcc
	v_add_u32_e32 v22, v22, v25
	ds_bpermute_b32 v25, v58, v22
	v_cmp_le_u32_e32 vcc, v59, v24
	;; [unrolled: 5-line block ×4, first 2 shown]
	s_waitcnt lgkmcnt(0)
	v_cndmask_b32_e32 v24, 0, v25, vcc
	v_add3_u32 v22, v24, v13, v22
.LBB659_106:                            ; =>This Loop Header: Depth=1
                                        ;     Child Loop BB659_109 Depth 2
                                        ;       Child Loop BB659_110 Depth 3
	v_cmp_ne_u16_sdwa s[38:39], v23, v51 src0_sel:BYTE_0 src1_sel:DWORD
	v_cndmask_b32_e64 v13, 0, 1, s[38:39]
	;;#ASMSTART
	;;#ASMEND
	v_cmp_ne_u32_e32 vcc, 0, v13
	s_cmp_lg_u64 vcc, exec
	v_mov_b32_e32 v13, v22
	s_cbranch_scc1 .LBB659_113
; %bb.107:                              ;   in Loop: Header=BB659_106 Depth=1
	v_lshlrev_b64 v[22:23], 3, v[18:19]
	v_mov_b32_e32 v25, s35
	v_add_co_u32_e32 v24, vcc, s34, v22
	v_addc_co_u32_e32 v25, vcc, v25, v23, vcc
	global_load_dwordx2 v[22:23], v[24:25], off glc
	s_waitcnt vmcnt(0)
	v_cmp_eq_u16_sdwa s[40:41], v23, v19 src0_sel:BYTE_0 src1_sel:DWORD
	s_and_saveexec_b64 s[38:39], s[40:41]
	s_cbranch_execz .LBB659_105
; %bb.108:                              ;   in Loop: Header=BB659_106 Depth=1
	s_mov_b32 s7, 1
	s_mov_b64 s[40:41], 0
.LBB659_109:                            ;   Parent Loop BB659_106 Depth=1
                                        ; =>  This Loop Header: Depth=2
                                        ;       Child Loop BB659_110 Depth 3
	s_max_u32 s42, s7, 1
.LBB659_110:                            ;   Parent Loop BB659_106 Depth=1
                                        ;     Parent Loop BB659_109 Depth=2
                                        ; =>    This Inner Loop Header: Depth=3
	s_add_i32 s42, s42, -1
	s_cmp_eq_u32 s42, 0
	s_sleep 1
	s_cbranch_scc0 .LBB659_110
; %bb.111:                              ;   in Loop: Header=BB659_109 Depth=2
	global_load_dwordx2 v[22:23], v[24:25], off glc
	s_cmp_lt_u32 s7, 32
	s_cselect_b64 s[42:43], -1, 0
	s_cmp_lg_u64 s[42:43], 0
	s_addc_u32 s7, s7, 0
	s_waitcnt vmcnt(0)
	v_cmp_ne_u16_sdwa s[42:43], v23, v19 src0_sel:BYTE_0 src1_sel:DWORD
	s_or_b64 s[40:41], s[42:43], s[40:41]
	s_andn2_b64 exec, exec, s[40:41]
	s_cbranch_execnz .LBB659_109
; %bb.112:                              ;   in Loop: Header=BB659_106 Depth=1
	s_or_b64 exec, exec, s[40:41]
	s_branch .LBB659_105
.LBB659_113:                            ;   in Loop: Header=BB659_106 Depth=1
                                        ; implicit-def: $vgpr22
                                        ; implicit-def: $vgpr23
	s_cbranch_execz .LBB659_106
; %bb.114:
	s_and_saveexec_b64 s[38:39], s[16:17]
	s_cbranch_execz .LBB659_116
; %bb.115:
	s_add_i32 s6, s6, 64
	s_mov_b32 s7, 0
	s_lshl_b64 s[6:7], s[6:7], 3
	s_add_u32 s6, s34, s6
	v_add_u32_e32 v18, v13, v12
	v_mov_b32_e32 v19, 2
	s_addc_u32 s7, s35, s7
	v_mov_b32_e32 v20, 0
	global_store_dwordx2 v20, v[18:19], s[6:7]
	ds_write_b64 v20, v[12:13] offset:10240
.LBB659_116:
	s_or_b64 exec, exec, s[38:39]
	v_cmp_eq_u32_e32 vcc, 0, v0
	s_and_b64 exec, exec, vcc
	s_cbranch_execz .LBB659_118
; %bb.117:
	v_mov_b32_e32 v12, 0
	ds_write_b32 v12, v13 offset:12
.LBB659_118:
	s_or_b64 exec, exec, s[36:37]
	v_mov_b32_e32 v12, 0
	s_waitcnt lgkmcnt(0)
	s_barrier
	ds_read_b32 v19, v12 offset:12
	s_waitcnt lgkmcnt(0)
	s_barrier
	ds_read_b64 v[12:13], v12 offset:10240
	v_cndmask_b32_e64 v18, v50, v49, s[16:17]
	v_cmp_ne_u32_e32 vcc, 0, v0
	v_cndmask_b32_e32 v18, 0, v18, vcc
	v_add_u32_e32 v22, v19, v18
	s_branch .LBB659_129
.LBB659_119:
                                        ; implicit-def: $vgpr13
                                        ; implicit-def: $vgpr22
	s_cbranch_execz .LBB659_129
; %bb.120:
	s_waitcnt lgkmcnt(0)
	v_mov_b32_dpp v12, v48 row_shr:1 row_mask:0xf bank_mask:0xf
	v_cndmask_b32_e64 v12, v12, 0, s[14:15]
	v_add_u32_e32 v12, v12, v48
	s_nop 1
	v_mov_b32_dpp v13, v12 row_shr:2 row_mask:0xf bank_mask:0xf
	v_cndmask_b32_e64 v13, 0, v13, s[12:13]
	v_add_u32_e32 v12, v12, v13
	s_nop 1
	;; [unrolled: 4-line block ×4, first 2 shown]
	v_mov_b32_dpp v13, v12 row_bcast:15 row_mask:0xf bank_mask:0xf
	v_cndmask_b32_e64 v13, v13, 0, s[18:19]
	v_add_u32_e32 v12, v12, v13
	s_nop 1
	v_mov_b32_dpp v13, v12 row_bcast:31 row_mask:0xf bank_mask:0xf
	v_cndmask_b32_e64 v13, 0, v13, s[0:1]
	v_add_u32_e32 v12, v12, v13
	s_and_saveexec_b64 s[0:1], s[2:3]
	s_cbranch_execz .LBB659_122
; %bb.121:
	v_lshlrev_b32_e32 v13, 2, v47
	ds_write_b32 v13, v12
.LBB659_122:
	s_or_b64 exec, exec, s[0:1]
	v_cmp_gt_u32_e32 vcc, 4, v0
	s_waitcnt lgkmcnt(0)
	s_barrier
	s_and_saveexec_b64 s[0:1], vcc
	s_cbranch_execz .LBB659_124
; %bb.123:
	v_lshlrev_b32_e32 v13, 2, v0
	ds_read_b32 v18, v13
	v_and_b32_e32 v19, 3, v46
	v_cmp_ne_u32_e32 vcc, 0, v19
	s_waitcnt lgkmcnt(0)
	v_mov_b32_dpp v20, v18 row_shr:1 row_mask:0xf bank_mask:0xf
	v_cndmask_b32_e32 v20, 0, v20, vcc
	v_add_u32_e32 v18, v20, v18
	v_cmp_lt_u32_e32 vcc, 1, v19
	s_nop 0
	v_mov_b32_dpp v20, v18 row_shr:2 row_mask:0xf bank_mask:0xf
	v_cndmask_b32_e32 v19, 0, v20, vcc
	v_add_u32_e32 v18, v18, v19
	ds_write_b32 v13, v18
.LBB659_124:
	s_or_b64 exec, exec, s[0:1]
	v_cmp_lt_u32_e32 vcc, 63, v0
	v_mov_b32_e32 v13, 0
	v_mov_b32_e32 v18, 0
	s_waitcnt lgkmcnt(0)
	s_barrier
	s_and_saveexec_b64 s[0:1], vcc
	s_cbranch_execz .LBB659_126
; %bb.125:
	v_lshl_add_u32 v18, v47, 2, -4
	ds_read_b32 v18, v18
.LBB659_126:
	s_or_b64 exec, exec, s[0:1]
	v_add_u32_e32 v19, -1, v46
	v_and_b32_e32 v20, 64, v46
	v_cmp_lt_i32_e32 vcc, v19, v20
	v_cndmask_b32_e32 v19, v19, v46, vcc
	s_waitcnt lgkmcnt(0)
	v_add_u32_e32 v12, v18, v12
	v_lshlrev_b32_e32 v19, 2, v19
	ds_bpermute_b32 v19, v19, v12
	ds_read_b32 v12, v13 offset:12
	v_cmp_eq_u32_e32 vcc, 0, v0
	s_and_saveexec_b64 s[0:1], vcc
	s_cbranch_execz .LBB659_128
; %bb.127:
	v_mov_b32_e32 v20, 0
	v_mov_b32_e32 v13, 2
	s_waitcnt lgkmcnt(0)
	global_store_dwordx2 v20, v[12:13], s[34:35] offset:512
.LBB659_128:
	s_or_b64 exec, exec, s[0:1]
	v_cmp_eq_u32_e64 s[0:1], 0, v46
	s_waitcnt lgkmcnt(1)
	v_cndmask_b32_e64 v18, v19, v18, s[0:1]
	v_mov_b32_e32 v13, 0
	v_cndmask_b32_e64 v22, v18, 0, vcc
	s_waitcnt lgkmcnt(0)
	s_barrier
.LBB659_129:
	v_add_u32_sdwa v24, v22, v16 dst_sel:DWORD dst_unused:UNUSED_PAD src0_sel:DWORD src1_sel:BYTE_0
	s_waitcnt lgkmcnt(0)
	v_add_u32_e32 v26, v12, v26
	v_sub_u32_e32 v22, v22, v13
	v_and_b32_e32 v51, 1, v16
	v_sub_u32_e32 v50, v26, v22
	v_cmp_eq_u32_e32 vcc, 1, v51
	v_cndmask_b32_e32 v22, v50, v22, vcc
	v_lshlrev_b32_e32 v22, 1, v22
	v_lshrrev_b32_e32 v23, 8, v16
	ds_write_b16 v22, v6
	v_sub_u32_e32 v22, v24, v13
	v_add_u32_sdwa v25, v24, v16 dst_sel:DWORD dst_unused:UNUSED_PAD src0_sel:DWORD src1_sel:BYTE_1
	v_sub_u32_e32 v24, v26, v22
	v_and_b32_e32 v23, 1, v23
	v_add_u32_e32 v24, 1, v24
	v_cmp_eq_u32_e32 vcc, 1, v23
	v_cndmask_b32_e32 v22, v24, v22, vcc
	v_lshlrev_b32_e32 v22, 1, v22
	ds_write_b16_d16_hi v22, v6
	v_sub_u32_e32 v6, v25, v13
	v_mov_b32_e32 v23, 1
	v_sub_u32_e32 v22, v26, v6
	v_and_b32_sdwa v16, v23, v16 dst_sel:DWORD dst_unused:UNUSED_PAD src0_sel:DWORD src1_sel:WORD_1
	v_add_u32_e32 v22, 2, v22
	v_cmp_eq_u32_e32 vcc, 1, v16
	v_cndmask_b32_e32 v6, v22, v6, vcc
	v_add_u32_e32 v45, v25, v45
	v_lshlrev_b32_e32 v6, 1, v6
	ds_write_b16 v6, v7
	v_sub_u32_e32 v6, v45, v13
	v_sub_u32_e32 v16, v26, v6
	v_and_b32_e32 v22, 1, v33
	v_add_u32_e32 v16, 3, v16
	v_cmp_eq_u32_e32 vcc, 1, v22
	v_cndmask_b32_e32 v6, v16, v6, vcc
	v_add_u32_e32 v46, v45, v33
	v_lshlrev_b32_e32 v6, 1, v6
	ds_write_b16_d16_hi v6, v7
	v_sub_u32_e32 v6, v46, v13
	v_sub_u32_e32 v7, v26, v6
	v_and_b32_e32 v16, 1, v17
	v_add_u32_e32 v7, 4, v7
	v_cmp_eq_u32_e32 vcc, 1, v16
	v_cndmask_b32_e32 v6, v7, v6, vcc
	v_add_u32_e32 v42, v46, v42
	v_lshlrev_b32_e32 v6, 1, v6
	v_lshrrev_b32_e32 v21, 8, v17
	ds_write_b16 v6, v8
	v_sub_u32_e32 v6, v42, v13
	v_sub_u32_e32 v7, v26, v6
	v_and_b32_e32 v16, 1, v21
	v_add_u32_e32 v7, 5, v7
	v_cmp_eq_u32_e32 vcc, 1, v16
	v_cndmask_b32_e32 v6, v7, v6, vcc
	v_add_u32_e32 v43, v42, v43
	v_lshlrev_b32_e32 v6, 1, v6
	ds_write_b16_d16_hi v6, v8
	v_sub_u32_e32 v6, v43, v13
	v_sub_u32_e32 v7, v26, v6
	v_and_b32_sdwa v8, v23, v17 dst_sel:DWORD dst_unused:UNUSED_PAD src0_sel:DWORD src1_sel:WORD_1
	v_add_u32_e32 v7, 6, v7
	v_cmp_eq_u32_e32 vcc, 1, v8
	v_cndmask_b32_e32 v6, v7, v6, vcc
	v_add_u32_e32 v44, v43, v44
	v_lshlrev_b32_e32 v6, 1, v6
	ds_write_b16 v6, v9
	v_sub_u32_e32 v6, v44, v13
	v_sub_u32_e32 v7, v26, v6
	v_and_b32_e32 v8, 1, v32
	v_add_u32_e32 v7, 7, v7
	v_cmp_eq_u32_e32 vcc, 1, v8
	v_cndmask_b32_e32 v6, v7, v6, vcc
	v_add_u32_e32 v47, v44, v32
	v_lshlrev_b32_e32 v6, 1, v6
	ds_write_b16_d16_hi v6, v9
	v_sub_u32_e32 v6, v47, v13
	v_sub_u32_e32 v7, v26, v6
	v_and_b32_e32 v8, 1, v14
	v_add_u32_e32 v7, 8, v7
	v_cmp_eq_u32_e32 vcc, 1, v8
	v_cndmask_b32_e32 v6, v7, v6, vcc
	v_add_u32_e32 v39, v47, v39
	v_lshlrev_b32_e32 v6, 1, v6
	v_lshrrev_b32_e32 v20, 8, v14
	ds_write_b16 v6, v2
	v_sub_u32_e32 v6, v39, v13
	v_sub_u32_e32 v7, v26, v6
	v_and_b32_e32 v8, 1, v20
	v_add_u32_e32 v7, 9, v7
	v_cmp_eq_u32_e32 vcc, 1, v8
	v_cndmask_b32_e32 v6, v7, v6, vcc
	v_add_u32_e32 v40, v39, v40
	v_lshlrev_b32_e32 v6, 1, v6
	ds_write_b16_d16_hi v6, v2
	v_sub_u32_e32 v2, v40, v13
	;; [unrolled: 37-line block ×4, first 2 shown]
	v_sub_u32_e32 v3, v26, v2
	v_and_b32_sdwa v4, v23, v28 dst_sel:DWORD dst_unused:UNUSED_PAD src0_sel:DWORD src1_sel:WORD_1
	v_add_u32_e32 v3, 18, v3
	v_cmp_eq_u32_e32 vcc, 1, v4
	v_cndmask_b32_e32 v2, v3, v2, vcc
	v_lshlrev_b32_e32 v2, 1, v2
	ds_write_b16 v2, v11
	v_sub_u32_e32 v2, v29, v13
	v_add_u32_e32 v2, v35, v2
	v_sub_u32_e32 v3, v26, v2
	v_and_b32_e32 v4, 1, v27
	v_add_u32_e32 v3, 19, v3
	v_cmp_eq_u32_e32 vcc, 1, v4
	v_cndmask_b32_e32 v2, v3, v2, vcc
	v_lshlrev_b32_e32 v2, 1, v2
	ds_write_b16_d16_hi v2, v11
	v_mov_b32_e32 v2, s31
	v_add_co_u32_e32 v48, vcc, s30, v13
	s_waitcnt lgkmcnt(0)
	s_barrier
	ds_read_u16 v47, v1
	ds_read_u16 v46, v1 offset:512
	ds_read_u16 v44, v1 offset:1024
	;; [unrolled: 1-line block ×15, first 2 shown]
	v_addc_co_u32_e32 v49, vcc, 0, v2, vcc
	s_load_dwordx4 s[0:3], s[4:5], 0x30
	v_add_co_u32_e32 v2, vcc, v48, v12
	v_addc_co_u32_e32 v3, vcc, 0, v49, vcc
	v_mov_b32_e32 v9, s27
	v_sub_co_u32_e32 v8, vcc, s26, v2
	ds_read_u16 v16, v1 offset:8192
	ds_read_u16 v11, v1 offset:8704
	;; [unrolled: 1-line block ×4, first 2 shown]
	v_subb_co_u32_e32 v9, vcc, v9, v3, vcc
	v_lshlrev_b64 v[8:9], 1, v[8:9]
	s_waitcnt lgkmcnt(0)
	v_mov_b32_e32 v13, s3
	v_add_co_u32_e32 v8, vcc, s2, v8
	v_addc_co_u32_e32 v9, vcc, v13, v9, vcc
	v_mov_b32_e32 v13, s29
	v_add_co_u32_e32 v8, vcc, s28, v8
	v_lshlrev_b64 v[48:49], 1, v[48:49]
	v_addc_co_u32_e32 v9, vcc, v9, v13, vcc
	v_mov_b32_e32 v14, s1
	v_add_co_u32_e64 v13, s[0:1], s0, v48
	v_or_b32_e32 v45, 0x100, v0
	v_or_b32_e32 v43, 0x200, v0
	;; [unrolled: 1-line block ×19, first 2 shown]
	s_andn2_b64 vcc, exec, s[24:25]
	v_addc_co_u32_e64 v14, s[0:1], v14, v49, s[0:1]
	s_cbranch_vccnz .LBB659_131
; %bb.130:
	v_cmp_lt_u32_e32 vcc, v0, v12
	v_cndmask_b32_e32 v48, v8, v13, vcc
	v_cndmask_b32_e32 v49, v9, v14, vcc
	v_add_co_u32_e32 v48, vcc, v48, v1
	v_addc_co_u32_e32 v49, vcc, 0, v49, vcc
	v_cmp_lt_u32_e32 vcc, v45, v12
	global_store_short v[48:49], v47, off
	v_cndmask_b32_e32 v48, v8, v13, vcc
	v_cndmask_b32_e32 v49, v9, v14, vcc
	v_add_co_u32_e32 v48, vcc, v48, v1
	v_addc_co_u32_e32 v49, vcc, 0, v49, vcc
	v_cmp_lt_u32_e32 vcc, v43, v12
	global_store_short v[48:49], v46, off offset:512
	v_cndmask_b32_e32 v48, v8, v13, vcc
	v_cndmask_b32_e32 v49, v9, v14, vcc
	v_add_co_u32_e32 v48, vcc, v48, v1
	v_addc_co_u32_e32 v49, vcc, 0, v49, vcc
	v_cmp_lt_u32_e32 vcc, v41, v12
	global_store_short v[48:49], v44, off offset:1024
	;; [unrolled: 6-line block ×7, first 2 shown]
	v_cndmask_b32_e32 v48, v8, v13, vcc
	v_lshlrev_b32_e32 v50, 1, v31
	v_cndmask_b32_e32 v49, v9, v14, vcc
	v_add_co_u32_e32 v48, vcc, v48, v50
	v_addc_co_u32_e32 v49, vcc, 0, v49, vcc
	v_cmp_lt_u32_e32 vcc, v29, v12
	global_store_short v[48:49], v32, off
	v_cndmask_b32_e32 v48, v8, v13, vcc
	v_lshlrev_b32_e32 v50, 1, v29
	v_cndmask_b32_e32 v49, v9, v14, vcc
	v_add_co_u32_e32 v48, vcc, v48, v50
	v_addc_co_u32_e32 v49, vcc, 0, v49, vcc
	v_cmp_lt_u32_e32 vcc, v27, v12
	global_store_short v[48:49], v30, off
	;; [unrolled: 7-line block ×10, first 2 shown]
	v_cndmask_b32_e32 v48, v8, v13, vcc
	v_lshlrev_b32_e32 v50, 1, v7
	v_cndmask_b32_e32 v49, v9, v14, vcc
	v_add_co_u32_e32 v48, vcc, v48, v50
	v_addc_co_u32_e32 v49, vcc, 0, v49, vcc
	s_mov_b64 s[0:1], -1
	global_store_short v[48:49], v6, off
	s_cbranch_execz .LBB659_132
	s_branch .LBB659_153
.LBB659_131:
	s_mov_b64 s[0:1], 0
.LBB659_132:
	v_cmp_gt_u32_e32 vcc, s33, v0
	s_and_saveexec_b64 s[0:1], vcc
	s_cbranch_execnz .LBB659_158
; %bb.133:
	s_or_b64 exec, exec, s[0:1]
	v_cmp_gt_u32_e32 vcc, s33, v45
	s_and_saveexec_b64 s[0:1], vcc
	s_cbranch_execnz .LBB659_159
.LBB659_134:
	s_or_b64 exec, exec, s[0:1]
	v_cmp_gt_u32_e32 vcc, s33, v43
	s_and_saveexec_b64 s[0:1], vcc
	s_cbranch_execnz .LBB659_160
.LBB659_135:
	s_or_b64 exec, exec, s[0:1]
	v_cmp_gt_u32_e32 vcc, s33, v41
	s_and_saveexec_b64 s[0:1], vcc
	s_cbranch_execnz .LBB659_161
.LBB659_136:
	s_or_b64 exec, exec, s[0:1]
	v_cmp_gt_u32_e32 vcc, s33, v39
	s_and_saveexec_b64 s[0:1], vcc
	s_cbranch_execnz .LBB659_162
.LBB659_137:
	s_or_b64 exec, exec, s[0:1]
	v_cmp_gt_u32_e32 vcc, s33, v37
	s_and_saveexec_b64 s[0:1], vcc
	s_cbranch_execnz .LBB659_163
.LBB659_138:
	s_or_b64 exec, exec, s[0:1]
	v_cmp_gt_u32_e32 vcc, s33, v35
	s_and_saveexec_b64 s[0:1], vcc
	s_cbranch_execnz .LBB659_164
.LBB659_139:
	s_or_b64 exec, exec, s[0:1]
	v_cmp_gt_u32_e32 vcc, s33, v33
	s_and_saveexec_b64 s[0:1], vcc
	s_cbranch_execnz .LBB659_165
.LBB659_140:
	s_or_b64 exec, exec, s[0:1]
	v_cmp_gt_u32_e32 vcc, s33, v31
	s_and_saveexec_b64 s[0:1], vcc
	s_cbranch_execnz .LBB659_166
.LBB659_141:
	s_or_b64 exec, exec, s[0:1]
	v_cmp_gt_u32_e32 vcc, s33, v29
	s_and_saveexec_b64 s[0:1], vcc
	s_cbranch_execnz .LBB659_167
.LBB659_142:
	s_or_b64 exec, exec, s[0:1]
	v_cmp_gt_u32_e32 vcc, s33, v27
	s_and_saveexec_b64 s[0:1], vcc
	s_cbranch_execnz .LBB659_168
.LBB659_143:
	s_or_b64 exec, exec, s[0:1]
	v_cmp_gt_u32_e32 vcc, s33, v25
	s_and_saveexec_b64 s[0:1], vcc
	s_cbranch_execnz .LBB659_169
.LBB659_144:
	s_or_b64 exec, exec, s[0:1]
	v_cmp_gt_u32_e32 vcc, s33, v23
	s_and_saveexec_b64 s[0:1], vcc
	s_cbranch_execnz .LBB659_170
.LBB659_145:
	s_or_b64 exec, exec, s[0:1]
	v_cmp_gt_u32_e32 vcc, s33, v21
	s_and_saveexec_b64 s[0:1], vcc
	s_cbranch_execnz .LBB659_171
.LBB659_146:
	s_or_b64 exec, exec, s[0:1]
	v_cmp_gt_u32_e32 vcc, s33, v19
	s_and_saveexec_b64 s[0:1], vcc
	s_cbranch_execnz .LBB659_172
.LBB659_147:
	s_or_b64 exec, exec, s[0:1]
	v_cmp_gt_u32_e32 vcc, s33, v17
	s_and_saveexec_b64 s[0:1], vcc
	s_cbranch_execnz .LBB659_173
.LBB659_148:
	s_or_b64 exec, exec, s[0:1]
	v_cmp_gt_u32_e32 vcc, s33, v15
	s_and_saveexec_b64 s[0:1], vcc
	s_cbranch_execnz .LBB659_174
.LBB659_149:
	s_or_b64 exec, exec, s[0:1]
	v_cmp_gt_u32_e32 vcc, s33, v10
	s_and_saveexec_b64 s[0:1], vcc
	s_cbranch_execnz .LBB659_175
.LBB659_150:
	s_or_b64 exec, exec, s[0:1]
	v_cmp_gt_u32_e32 vcc, s33, v7
	s_and_saveexec_b64 s[0:1], vcc
	s_cbranch_execz .LBB659_152
.LBB659_151:
	v_cmp_lt_u32_e32 vcc, v7, v12
	v_cndmask_b32_e32 v10, v8, v13, vcc
	v_lshlrev_b32_e32 v7, 1, v7
	v_cndmask_b32_e32 v1, v9, v14, vcc
	v_add_co_u32_e32 v10, vcc, v10, v7
	v_addc_co_u32_e32 v11, vcc, 0, v1, vcc
	global_store_short v[10:11], v6, off
.LBB659_152:
	s_or_b64 exec, exec, s[0:1]
	v_cmp_gt_u32_e64 s[0:1], s33, v5
.LBB659_153:
	s_and_saveexec_b64 s[2:3], s[0:1]
	s_cbranch_execz .LBB659_155
; %bb.154:
	v_cmp_lt_u32_e32 vcc, v5, v12
	v_cndmask_b32_e32 v6, v8, v13, vcc
	v_lshlrev_b32_e32 v5, 1, v5
	v_cndmask_b32_e32 v1, v9, v14, vcc
	v_add_co_u32_e32 v6, vcc, v6, v5
	v_addc_co_u32_e32 v7, vcc, 0, v1, vcc
	global_store_short v[6:7], v4, off
.LBB659_155:
	s_or_b64 exec, exec, s[2:3]
	v_cmp_eq_u32_e32 vcc, 0, v0
	s_and_b64 s[0:1], vcc, s[22:23]
	s_and_saveexec_b64 s[2:3], s[0:1]
	s_cbranch_execz .LBB659_157
; %bb.156:
	v_mov_b32_e32 v0, 0
	global_store_dwordx2 v0, v[2:3], s[20:21]
.LBB659_157:
	s_endpgm
.LBB659_158:
	v_cmp_lt_u32_e32 vcc, v0, v12
	v_cndmask_b32_e32 v48, v8, v13, vcc
	v_cndmask_b32_e32 v49, v9, v14, vcc
	v_add_co_u32_e32 v48, vcc, v48, v1
	v_addc_co_u32_e32 v49, vcc, 0, v49, vcc
	global_store_short v[48:49], v47, off
	s_or_b64 exec, exec, s[0:1]
	v_cmp_gt_u32_e32 vcc, s33, v45
	s_and_saveexec_b64 s[0:1], vcc
	s_cbranch_execz .LBB659_134
.LBB659_159:
	v_cmp_lt_u32_e32 vcc, v45, v12
	v_cndmask_b32_e32 v47, v8, v13, vcc
	v_cndmask_b32_e32 v45, v9, v14, vcc
	v_add_co_u32_e32 v48, vcc, v47, v1
	v_addc_co_u32_e32 v49, vcc, 0, v45, vcc
	global_store_short v[48:49], v46, off offset:512
	s_or_b64 exec, exec, s[0:1]
	v_cmp_gt_u32_e32 vcc, s33, v43
	s_and_saveexec_b64 s[0:1], vcc
	s_cbranch_execz .LBB659_135
.LBB659_160:
	v_cmp_lt_u32_e32 vcc, v43, v12
	v_cndmask_b32_e32 v45, v8, v13, vcc
	v_cndmask_b32_e32 v43, v9, v14, vcc
	v_add_co_u32_e32 v46, vcc, v45, v1
	v_addc_co_u32_e32 v47, vcc, 0, v43, vcc
	global_store_short v[46:47], v44, off offset:1024
	s_or_b64 exec, exec, s[0:1]
	v_cmp_gt_u32_e32 vcc, s33, v41
	s_and_saveexec_b64 s[0:1], vcc
	s_cbranch_execz .LBB659_136
.LBB659_161:
	v_cmp_lt_u32_e32 vcc, v41, v12
	v_cndmask_b32_e32 v43, v8, v13, vcc
	v_cndmask_b32_e32 v41, v9, v14, vcc
	v_add_co_u32_e32 v44, vcc, v43, v1
	v_addc_co_u32_e32 v45, vcc, 0, v41, vcc
	global_store_short v[44:45], v42, off offset:1536
	s_or_b64 exec, exec, s[0:1]
	v_cmp_gt_u32_e32 vcc, s33, v39
	s_and_saveexec_b64 s[0:1], vcc
	s_cbranch_execz .LBB659_137
.LBB659_162:
	v_cmp_lt_u32_e32 vcc, v39, v12
	v_cndmask_b32_e32 v41, v8, v13, vcc
	v_cndmask_b32_e32 v39, v9, v14, vcc
	v_add_co_u32_e32 v42, vcc, v41, v1
	v_addc_co_u32_e32 v43, vcc, 0, v39, vcc
	global_store_short v[42:43], v40, off offset:2048
	s_or_b64 exec, exec, s[0:1]
	v_cmp_gt_u32_e32 vcc, s33, v37
	s_and_saveexec_b64 s[0:1], vcc
	s_cbranch_execz .LBB659_138
.LBB659_163:
	v_cmp_lt_u32_e32 vcc, v37, v12
	v_cndmask_b32_e32 v39, v8, v13, vcc
	v_cndmask_b32_e32 v37, v9, v14, vcc
	v_add_co_u32_e32 v40, vcc, v39, v1
	v_addc_co_u32_e32 v41, vcc, 0, v37, vcc
	global_store_short v[40:41], v38, off offset:2560
	s_or_b64 exec, exec, s[0:1]
	v_cmp_gt_u32_e32 vcc, s33, v35
	s_and_saveexec_b64 s[0:1], vcc
	s_cbranch_execz .LBB659_139
.LBB659_164:
	v_cmp_lt_u32_e32 vcc, v35, v12
	v_cndmask_b32_e32 v37, v8, v13, vcc
	v_cndmask_b32_e32 v35, v9, v14, vcc
	v_add_co_u32_e32 v38, vcc, v37, v1
	v_addc_co_u32_e32 v39, vcc, 0, v35, vcc
	global_store_short v[38:39], v36, off offset:3072
	s_or_b64 exec, exec, s[0:1]
	v_cmp_gt_u32_e32 vcc, s33, v33
	s_and_saveexec_b64 s[0:1], vcc
	s_cbranch_execz .LBB659_140
.LBB659_165:
	v_cmp_lt_u32_e32 vcc, v33, v12
	v_cndmask_b32_e32 v35, v8, v13, vcc
	v_cndmask_b32_e32 v33, v9, v14, vcc
	v_add_co_u32_e32 v36, vcc, v35, v1
	v_addc_co_u32_e32 v37, vcc, 0, v33, vcc
	global_store_short v[36:37], v34, off offset:3584
	s_or_b64 exec, exec, s[0:1]
	v_cmp_gt_u32_e32 vcc, s33, v31
	s_and_saveexec_b64 s[0:1], vcc
	s_cbranch_execz .LBB659_141
.LBB659_166:
	v_cmp_lt_u32_e32 vcc, v31, v12
	v_cndmask_b32_e32 v33, v8, v13, vcc
	v_lshlrev_b32_e32 v31, 1, v31
	v_cndmask_b32_e32 v1, v9, v14, vcc
	v_add_co_u32_e32 v34, vcc, v33, v31
	v_addc_co_u32_e32 v35, vcc, 0, v1, vcc
	global_store_short v[34:35], v32, off
	s_or_b64 exec, exec, s[0:1]
	v_cmp_gt_u32_e32 vcc, s33, v29
	s_and_saveexec_b64 s[0:1], vcc
	s_cbranch_execz .LBB659_142
.LBB659_167:
	v_cmp_lt_u32_e32 vcc, v29, v12
	v_cndmask_b32_e32 v31, v8, v13, vcc
	v_lshlrev_b32_e32 v29, 1, v29
	v_cndmask_b32_e32 v1, v9, v14, vcc
	v_add_co_u32_e32 v32, vcc, v31, v29
	v_addc_co_u32_e32 v33, vcc, 0, v1, vcc
	global_store_short v[32:33], v30, off
	s_or_b64 exec, exec, s[0:1]
	v_cmp_gt_u32_e32 vcc, s33, v27
	s_and_saveexec_b64 s[0:1], vcc
	s_cbranch_execz .LBB659_143
.LBB659_168:
	v_cmp_lt_u32_e32 vcc, v27, v12
	v_cndmask_b32_e32 v29, v8, v13, vcc
	v_lshlrev_b32_e32 v27, 1, v27
	v_cndmask_b32_e32 v1, v9, v14, vcc
	v_add_co_u32_e32 v30, vcc, v29, v27
	v_addc_co_u32_e32 v31, vcc, 0, v1, vcc
	global_store_short v[30:31], v28, off
	s_or_b64 exec, exec, s[0:1]
	v_cmp_gt_u32_e32 vcc, s33, v25
	s_and_saveexec_b64 s[0:1], vcc
	s_cbranch_execz .LBB659_144
.LBB659_169:
	v_cmp_lt_u32_e32 vcc, v25, v12
	v_cndmask_b32_e32 v27, v8, v13, vcc
	v_lshlrev_b32_e32 v25, 1, v25
	v_cndmask_b32_e32 v1, v9, v14, vcc
	v_add_co_u32_e32 v28, vcc, v27, v25
	v_addc_co_u32_e32 v29, vcc, 0, v1, vcc
	global_store_short v[28:29], v26, off
	s_or_b64 exec, exec, s[0:1]
	v_cmp_gt_u32_e32 vcc, s33, v23
	s_and_saveexec_b64 s[0:1], vcc
	s_cbranch_execz .LBB659_145
.LBB659_170:
	v_cmp_lt_u32_e32 vcc, v23, v12
	v_cndmask_b32_e32 v25, v8, v13, vcc
	v_lshlrev_b32_e32 v23, 1, v23
	v_cndmask_b32_e32 v1, v9, v14, vcc
	v_add_co_u32_e32 v26, vcc, v25, v23
	v_addc_co_u32_e32 v27, vcc, 0, v1, vcc
	global_store_short v[26:27], v24, off
	s_or_b64 exec, exec, s[0:1]
	v_cmp_gt_u32_e32 vcc, s33, v21
	s_and_saveexec_b64 s[0:1], vcc
	s_cbranch_execz .LBB659_146
.LBB659_171:
	v_cmp_lt_u32_e32 vcc, v21, v12
	v_cndmask_b32_e32 v23, v8, v13, vcc
	v_lshlrev_b32_e32 v21, 1, v21
	v_cndmask_b32_e32 v1, v9, v14, vcc
	v_add_co_u32_e32 v24, vcc, v23, v21
	v_addc_co_u32_e32 v25, vcc, 0, v1, vcc
	global_store_short v[24:25], v22, off
	s_or_b64 exec, exec, s[0:1]
	v_cmp_gt_u32_e32 vcc, s33, v19
	s_and_saveexec_b64 s[0:1], vcc
	s_cbranch_execz .LBB659_147
.LBB659_172:
	v_cmp_lt_u32_e32 vcc, v19, v12
	v_cndmask_b32_e32 v21, v8, v13, vcc
	v_lshlrev_b32_e32 v19, 1, v19
	v_cndmask_b32_e32 v1, v9, v14, vcc
	v_add_co_u32_e32 v22, vcc, v21, v19
	v_addc_co_u32_e32 v23, vcc, 0, v1, vcc
	global_store_short v[22:23], v20, off
	s_or_b64 exec, exec, s[0:1]
	v_cmp_gt_u32_e32 vcc, s33, v17
	s_and_saveexec_b64 s[0:1], vcc
	s_cbranch_execz .LBB659_148
.LBB659_173:
	v_cmp_lt_u32_e32 vcc, v17, v12
	v_cndmask_b32_e32 v19, v8, v13, vcc
	v_lshlrev_b32_e32 v17, 1, v17
	v_cndmask_b32_e32 v1, v9, v14, vcc
	v_add_co_u32_e32 v20, vcc, v19, v17
	v_addc_co_u32_e32 v21, vcc, 0, v1, vcc
	global_store_short v[20:21], v18, off
	s_or_b64 exec, exec, s[0:1]
	v_cmp_gt_u32_e32 vcc, s33, v15
	s_and_saveexec_b64 s[0:1], vcc
	s_cbranch_execz .LBB659_149
.LBB659_174:
	v_cmp_lt_u32_e32 vcc, v15, v12
	v_cndmask_b32_e32 v17, v8, v13, vcc
	v_lshlrev_b32_e32 v15, 1, v15
	v_cndmask_b32_e32 v1, v9, v14, vcc
	v_add_co_u32_e32 v18, vcc, v17, v15
	v_addc_co_u32_e32 v19, vcc, 0, v1, vcc
	global_store_short v[18:19], v16, off
	s_or_b64 exec, exec, s[0:1]
	v_cmp_gt_u32_e32 vcc, s33, v10
	s_and_saveexec_b64 s[0:1], vcc
	s_cbranch_execz .LBB659_150
.LBB659_175:
	v_cmp_lt_u32_e32 vcc, v10, v12
	v_cndmask_b32_e32 v15, v8, v13, vcc
	v_lshlrev_b32_e32 v10, 1, v10
	v_cndmask_b32_e32 v1, v9, v14, vcc
	v_add_co_u32_e32 v16, vcc, v15, v10
	v_addc_co_u32_e32 v17, vcc, 0, v1, vcc
	global_store_short v[16:17], v11, off
	s_or_b64 exec, exec, s[0:1]
	v_cmp_gt_u32_e32 vcc, s33, v7
	s_and_saveexec_b64 s[0:1], vcc
	s_cbranch_execnz .LBB659_151
	s_branch .LBB659_152
	.section	.rodata,"a",@progbits
	.p2align	6, 0x0
	.amdhsa_kernel _ZN7rocprim17ROCPRIM_400000_NS6detail17trampoline_kernelINS0_14default_configENS1_25partition_config_selectorILNS1_17partition_subalgoE1EsNS0_10empty_typeEbEEZZNS1_14partition_implILS5_1ELb0ES3_jN6thrust23THRUST_200600_302600_NS6detail15normal_iteratorINSA_10device_ptrIsEEEEPS6_NSA_18transform_iteratorINSA_8identityIsEESF_NSA_11use_defaultESK_EENS0_5tupleIJSF_SF_EEENSM_IJSG_SG_EEES6_PlJS6_EEE10hipError_tPvRmT3_T4_T5_T6_T7_T9_mT8_P12ihipStream_tbDpT10_ENKUlT_T0_E_clISt17integral_constantIbLb1EES18_IbLb0EEEEDaS14_S15_EUlS14_E_NS1_11comp_targetILNS1_3genE4ELNS1_11target_archE910ELNS1_3gpuE8ELNS1_3repE0EEENS1_30default_config_static_selectorELNS0_4arch9wavefront6targetE1EEEvT1_
		.amdhsa_group_segment_fixed_size 10248
		.amdhsa_private_segment_fixed_size 0
		.amdhsa_kernarg_size 128
		.amdhsa_user_sgpr_count 6
		.amdhsa_user_sgpr_private_segment_buffer 1
		.amdhsa_user_sgpr_dispatch_ptr 0
		.amdhsa_user_sgpr_queue_ptr 0
		.amdhsa_user_sgpr_kernarg_segment_ptr 1
		.amdhsa_user_sgpr_dispatch_id 0
		.amdhsa_user_sgpr_flat_scratch_init 0
		.amdhsa_user_sgpr_kernarg_preload_length 0
		.amdhsa_user_sgpr_kernarg_preload_offset 0
		.amdhsa_user_sgpr_private_segment_size 0
		.amdhsa_uses_dynamic_stack 0
		.amdhsa_system_sgpr_private_segment_wavefront_offset 0
		.amdhsa_system_sgpr_workgroup_id_x 1
		.amdhsa_system_sgpr_workgroup_id_y 0
		.amdhsa_system_sgpr_workgroup_id_z 0
		.amdhsa_system_sgpr_workgroup_info 0
		.amdhsa_system_vgpr_workitem_id 0
		.amdhsa_next_free_vgpr 65
		.amdhsa_next_free_sgpr 44
		.amdhsa_accum_offset 68
		.amdhsa_reserve_vcc 1
		.amdhsa_reserve_flat_scratch 0
		.amdhsa_float_round_mode_32 0
		.amdhsa_float_round_mode_16_64 0
		.amdhsa_float_denorm_mode_32 3
		.amdhsa_float_denorm_mode_16_64 3
		.amdhsa_dx10_clamp 1
		.amdhsa_ieee_mode 1
		.amdhsa_fp16_overflow 0
		.amdhsa_tg_split 0
		.amdhsa_exception_fp_ieee_invalid_op 0
		.amdhsa_exception_fp_denorm_src 0
		.amdhsa_exception_fp_ieee_div_zero 0
		.amdhsa_exception_fp_ieee_overflow 0
		.amdhsa_exception_fp_ieee_underflow 0
		.amdhsa_exception_fp_ieee_inexact 0
		.amdhsa_exception_int_div_zero 0
	.end_amdhsa_kernel
	.section	.text._ZN7rocprim17ROCPRIM_400000_NS6detail17trampoline_kernelINS0_14default_configENS1_25partition_config_selectorILNS1_17partition_subalgoE1EsNS0_10empty_typeEbEEZZNS1_14partition_implILS5_1ELb0ES3_jN6thrust23THRUST_200600_302600_NS6detail15normal_iteratorINSA_10device_ptrIsEEEEPS6_NSA_18transform_iteratorINSA_8identityIsEESF_NSA_11use_defaultESK_EENS0_5tupleIJSF_SF_EEENSM_IJSG_SG_EEES6_PlJS6_EEE10hipError_tPvRmT3_T4_T5_T6_T7_T9_mT8_P12ihipStream_tbDpT10_ENKUlT_T0_E_clISt17integral_constantIbLb1EES18_IbLb0EEEEDaS14_S15_EUlS14_E_NS1_11comp_targetILNS1_3genE4ELNS1_11target_archE910ELNS1_3gpuE8ELNS1_3repE0EEENS1_30default_config_static_selectorELNS0_4arch9wavefront6targetE1EEEvT1_,"axG",@progbits,_ZN7rocprim17ROCPRIM_400000_NS6detail17trampoline_kernelINS0_14default_configENS1_25partition_config_selectorILNS1_17partition_subalgoE1EsNS0_10empty_typeEbEEZZNS1_14partition_implILS5_1ELb0ES3_jN6thrust23THRUST_200600_302600_NS6detail15normal_iteratorINSA_10device_ptrIsEEEEPS6_NSA_18transform_iteratorINSA_8identityIsEESF_NSA_11use_defaultESK_EENS0_5tupleIJSF_SF_EEENSM_IJSG_SG_EEES6_PlJS6_EEE10hipError_tPvRmT3_T4_T5_T6_T7_T9_mT8_P12ihipStream_tbDpT10_ENKUlT_T0_E_clISt17integral_constantIbLb1EES18_IbLb0EEEEDaS14_S15_EUlS14_E_NS1_11comp_targetILNS1_3genE4ELNS1_11target_archE910ELNS1_3gpuE8ELNS1_3repE0EEENS1_30default_config_static_selectorELNS0_4arch9wavefront6targetE1EEEvT1_,comdat
.Lfunc_end659:
	.size	_ZN7rocprim17ROCPRIM_400000_NS6detail17trampoline_kernelINS0_14default_configENS1_25partition_config_selectorILNS1_17partition_subalgoE1EsNS0_10empty_typeEbEEZZNS1_14partition_implILS5_1ELb0ES3_jN6thrust23THRUST_200600_302600_NS6detail15normal_iteratorINSA_10device_ptrIsEEEEPS6_NSA_18transform_iteratorINSA_8identityIsEESF_NSA_11use_defaultESK_EENS0_5tupleIJSF_SF_EEENSM_IJSG_SG_EEES6_PlJS6_EEE10hipError_tPvRmT3_T4_T5_T6_T7_T9_mT8_P12ihipStream_tbDpT10_ENKUlT_T0_E_clISt17integral_constantIbLb1EES18_IbLb0EEEEDaS14_S15_EUlS14_E_NS1_11comp_targetILNS1_3genE4ELNS1_11target_archE910ELNS1_3gpuE8ELNS1_3repE0EEENS1_30default_config_static_selectorELNS0_4arch9wavefront6targetE1EEEvT1_, .Lfunc_end659-_ZN7rocprim17ROCPRIM_400000_NS6detail17trampoline_kernelINS0_14default_configENS1_25partition_config_selectorILNS1_17partition_subalgoE1EsNS0_10empty_typeEbEEZZNS1_14partition_implILS5_1ELb0ES3_jN6thrust23THRUST_200600_302600_NS6detail15normal_iteratorINSA_10device_ptrIsEEEEPS6_NSA_18transform_iteratorINSA_8identityIsEESF_NSA_11use_defaultESK_EENS0_5tupleIJSF_SF_EEENSM_IJSG_SG_EEES6_PlJS6_EEE10hipError_tPvRmT3_T4_T5_T6_T7_T9_mT8_P12ihipStream_tbDpT10_ENKUlT_T0_E_clISt17integral_constantIbLb1EES18_IbLb0EEEEDaS14_S15_EUlS14_E_NS1_11comp_targetILNS1_3genE4ELNS1_11target_archE910ELNS1_3gpuE8ELNS1_3repE0EEENS1_30default_config_static_selectorELNS0_4arch9wavefront6targetE1EEEvT1_
                                        ; -- End function
	.section	.AMDGPU.csdata,"",@progbits
; Kernel info:
; codeLenInByte = 9036
; NumSgprs: 48
; NumVgprs: 65
; NumAgprs: 0
; TotalNumVgprs: 65
; ScratchSize: 0
; MemoryBound: 0
; FloatMode: 240
; IeeeMode: 1
; LDSByteSize: 10248 bytes/workgroup (compile time only)
; SGPRBlocks: 5
; VGPRBlocks: 8
; NumSGPRsForWavesPerEU: 48
; NumVGPRsForWavesPerEU: 65
; AccumOffset: 68
; Occupancy: 6
; WaveLimiterHint : 1
; COMPUTE_PGM_RSRC2:SCRATCH_EN: 0
; COMPUTE_PGM_RSRC2:USER_SGPR: 6
; COMPUTE_PGM_RSRC2:TRAP_HANDLER: 0
; COMPUTE_PGM_RSRC2:TGID_X_EN: 1
; COMPUTE_PGM_RSRC2:TGID_Y_EN: 0
; COMPUTE_PGM_RSRC2:TGID_Z_EN: 0
; COMPUTE_PGM_RSRC2:TIDIG_COMP_CNT: 0
; COMPUTE_PGM_RSRC3_GFX90A:ACCUM_OFFSET: 16
; COMPUTE_PGM_RSRC3_GFX90A:TG_SPLIT: 0
	.section	.text._ZN7rocprim17ROCPRIM_400000_NS6detail17trampoline_kernelINS0_14default_configENS1_25partition_config_selectorILNS1_17partition_subalgoE1EsNS0_10empty_typeEbEEZZNS1_14partition_implILS5_1ELb0ES3_jN6thrust23THRUST_200600_302600_NS6detail15normal_iteratorINSA_10device_ptrIsEEEEPS6_NSA_18transform_iteratorINSA_8identityIsEESF_NSA_11use_defaultESK_EENS0_5tupleIJSF_SF_EEENSM_IJSG_SG_EEES6_PlJS6_EEE10hipError_tPvRmT3_T4_T5_T6_T7_T9_mT8_P12ihipStream_tbDpT10_ENKUlT_T0_E_clISt17integral_constantIbLb1EES18_IbLb0EEEEDaS14_S15_EUlS14_E_NS1_11comp_targetILNS1_3genE3ELNS1_11target_archE908ELNS1_3gpuE7ELNS1_3repE0EEENS1_30default_config_static_selectorELNS0_4arch9wavefront6targetE1EEEvT1_,"axG",@progbits,_ZN7rocprim17ROCPRIM_400000_NS6detail17trampoline_kernelINS0_14default_configENS1_25partition_config_selectorILNS1_17partition_subalgoE1EsNS0_10empty_typeEbEEZZNS1_14partition_implILS5_1ELb0ES3_jN6thrust23THRUST_200600_302600_NS6detail15normal_iteratorINSA_10device_ptrIsEEEEPS6_NSA_18transform_iteratorINSA_8identityIsEESF_NSA_11use_defaultESK_EENS0_5tupleIJSF_SF_EEENSM_IJSG_SG_EEES6_PlJS6_EEE10hipError_tPvRmT3_T4_T5_T6_T7_T9_mT8_P12ihipStream_tbDpT10_ENKUlT_T0_E_clISt17integral_constantIbLb1EES18_IbLb0EEEEDaS14_S15_EUlS14_E_NS1_11comp_targetILNS1_3genE3ELNS1_11target_archE908ELNS1_3gpuE7ELNS1_3repE0EEENS1_30default_config_static_selectorELNS0_4arch9wavefront6targetE1EEEvT1_,comdat
	.protected	_ZN7rocprim17ROCPRIM_400000_NS6detail17trampoline_kernelINS0_14default_configENS1_25partition_config_selectorILNS1_17partition_subalgoE1EsNS0_10empty_typeEbEEZZNS1_14partition_implILS5_1ELb0ES3_jN6thrust23THRUST_200600_302600_NS6detail15normal_iteratorINSA_10device_ptrIsEEEEPS6_NSA_18transform_iteratorINSA_8identityIsEESF_NSA_11use_defaultESK_EENS0_5tupleIJSF_SF_EEENSM_IJSG_SG_EEES6_PlJS6_EEE10hipError_tPvRmT3_T4_T5_T6_T7_T9_mT8_P12ihipStream_tbDpT10_ENKUlT_T0_E_clISt17integral_constantIbLb1EES18_IbLb0EEEEDaS14_S15_EUlS14_E_NS1_11comp_targetILNS1_3genE3ELNS1_11target_archE908ELNS1_3gpuE7ELNS1_3repE0EEENS1_30default_config_static_selectorELNS0_4arch9wavefront6targetE1EEEvT1_ ; -- Begin function _ZN7rocprim17ROCPRIM_400000_NS6detail17trampoline_kernelINS0_14default_configENS1_25partition_config_selectorILNS1_17partition_subalgoE1EsNS0_10empty_typeEbEEZZNS1_14partition_implILS5_1ELb0ES3_jN6thrust23THRUST_200600_302600_NS6detail15normal_iteratorINSA_10device_ptrIsEEEEPS6_NSA_18transform_iteratorINSA_8identityIsEESF_NSA_11use_defaultESK_EENS0_5tupleIJSF_SF_EEENSM_IJSG_SG_EEES6_PlJS6_EEE10hipError_tPvRmT3_T4_T5_T6_T7_T9_mT8_P12ihipStream_tbDpT10_ENKUlT_T0_E_clISt17integral_constantIbLb1EES18_IbLb0EEEEDaS14_S15_EUlS14_E_NS1_11comp_targetILNS1_3genE3ELNS1_11target_archE908ELNS1_3gpuE7ELNS1_3repE0EEENS1_30default_config_static_selectorELNS0_4arch9wavefront6targetE1EEEvT1_
	.globl	_ZN7rocprim17ROCPRIM_400000_NS6detail17trampoline_kernelINS0_14default_configENS1_25partition_config_selectorILNS1_17partition_subalgoE1EsNS0_10empty_typeEbEEZZNS1_14partition_implILS5_1ELb0ES3_jN6thrust23THRUST_200600_302600_NS6detail15normal_iteratorINSA_10device_ptrIsEEEEPS6_NSA_18transform_iteratorINSA_8identityIsEESF_NSA_11use_defaultESK_EENS0_5tupleIJSF_SF_EEENSM_IJSG_SG_EEES6_PlJS6_EEE10hipError_tPvRmT3_T4_T5_T6_T7_T9_mT8_P12ihipStream_tbDpT10_ENKUlT_T0_E_clISt17integral_constantIbLb1EES18_IbLb0EEEEDaS14_S15_EUlS14_E_NS1_11comp_targetILNS1_3genE3ELNS1_11target_archE908ELNS1_3gpuE7ELNS1_3repE0EEENS1_30default_config_static_selectorELNS0_4arch9wavefront6targetE1EEEvT1_
	.p2align	8
	.type	_ZN7rocprim17ROCPRIM_400000_NS6detail17trampoline_kernelINS0_14default_configENS1_25partition_config_selectorILNS1_17partition_subalgoE1EsNS0_10empty_typeEbEEZZNS1_14partition_implILS5_1ELb0ES3_jN6thrust23THRUST_200600_302600_NS6detail15normal_iteratorINSA_10device_ptrIsEEEEPS6_NSA_18transform_iteratorINSA_8identityIsEESF_NSA_11use_defaultESK_EENS0_5tupleIJSF_SF_EEENSM_IJSG_SG_EEES6_PlJS6_EEE10hipError_tPvRmT3_T4_T5_T6_T7_T9_mT8_P12ihipStream_tbDpT10_ENKUlT_T0_E_clISt17integral_constantIbLb1EES18_IbLb0EEEEDaS14_S15_EUlS14_E_NS1_11comp_targetILNS1_3genE3ELNS1_11target_archE908ELNS1_3gpuE7ELNS1_3repE0EEENS1_30default_config_static_selectorELNS0_4arch9wavefront6targetE1EEEvT1_,@function
_ZN7rocprim17ROCPRIM_400000_NS6detail17trampoline_kernelINS0_14default_configENS1_25partition_config_selectorILNS1_17partition_subalgoE1EsNS0_10empty_typeEbEEZZNS1_14partition_implILS5_1ELb0ES3_jN6thrust23THRUST_200600_302600_NS6detail15normal_iteratorINSA_10device_ptrIsEEEEPS6_NSA_18transform_iteratorINSA_8identityIsEESF_NSA_11use_defaultESK_EENS0_5tupleIJSF_SF_EEENSM_IJSG_SG_EEES6_PlJS6_EEE10hipError_tPvRmT3_T4_T5_T6_T7_T9_mT8_P12ihipStream_tbDpT10_ENKUlT_T0_E_clISt17integral_constantIbLb1EES18_IbLb0EEEEDaS14_S15_EUlS14_E_NS1_11comp_targetILNS1_3genE3ELNS1_11target_archE908ELNS1_3gpuE7ELNS1_3repE0EEENS1_30default_config_static_selectorELNS0_4arch9wavefront6targetE1EEEvT1_: ; @_ZN7rocprim17ROCPRIM_400000_NS6detail17trampoline_kernelINS0_14default_configENS1_25partition_config_selectorILNS1_17partition_subalgoE1EsNS0_10empty_typeEbEEZZNS1_14partition_implILS5_1ELb0ES3_jN6thrust23THRUST_200600_302600_NS6detail15normal_iteratorINSA_10device_ptrIsEEEEPS6_NSA_18transform_iteratorINSA_8identityIsEESF_NSA_11use_defaultESK_EENS0_5tupleIJSF_SF_EEENSM_IJSG_SG_EEES6_PlJS6_EEE10hipError_tPvRmT3_T4_T5_T6_T7_T9_mT8_P12ihipStream_tbDpT10_ENKUlT_T0_E_clISt17integral_constantIbLb1EES18_IbLb0EEEEDaS14_S15_EUlS14_E_NS1_11comp_targetILNS1_3genE3ELNS1_11target_archE908ELNS1_3gpuE7ELNS1_3repE0EEENS1_30default_config_static_selectorELNS0_4arch9wavefront6targetE1EEEvT1_
; %bb.0:
	.section	.rodata,"a",@progbits
	.p2align	6, 0x0
	.amdhsa_kernel _ZN7rocprim17ROCPRIM_400000_NS6detail17trampoline_kernelINS0_14default_configENS1_25partition_config_selectorILNS1_17partition_subalgoE1EsNS0_10empty_typeEbEEZZNS1_14partition_implILS5_1ELb0ES3_jN6thrust23THRUST_200600_302600_NS6detail15normal_iteratorINSA_10device_ptrIsEEEEPS6_NSA_18transform_iteratorINSA_8identityIsEESF_NSA_11use_defaultESK_EENS0_5tupleIJSF_SF_EEENSM_IJSG_SG_EEES6_PlJS6_EEE10hipError_tPvRmT3_T4_T5_T6_T7_T9_mT8_P12ihipStream_tbDpT10_ENKUlT_T0_E_clISt17integral_constantIbLb1EES18_IbLb0EEEEDaS14_S15_EUlS14_E_NS1_11comp_targetILNS1_3genE3ELNS1_11target_archE908ELNS1_3gpuE7ELNS1_3repE0EEENS1_30default_config_static_selectorELNS0_4arch9wavefront6targetE1EEEvT1_
		.amdhsa_group_segment_fixed_size 0
		.amdhsa_private_segment_fixed_size 0
		.amdhsa_kernarg_size 128
		.amdhsa_user_sgpr_count 6
		.amdhsa_user_sgpr_private_segment_buffer 1
		.amdhsa_user_sgpr_dispatch_ptr 0
		.amdhsa_user_sgpr_queue_ptr 0
		.amdhsa_user_sgpr_kernarg_segment_ptr 1
		.amdhsa_user_sgpr_dispatch_id 0
		.amdhsa_user_sgpr_flat_scratch_init 0
		.amdhsa_user_sgpr_kernarg_preload_length 0
		.amdhsa_user_sgpr_kernarg_preload_offset 0
		.amdhsa_user_sgpr_private_segment_size 0
		.amdhsa_uses_dynamic_stack 0
		.amdhsa_system_sgpr_private_segment_wavefront_offset 0
		.amdhsa_system_sgpr_workgroup_id_x 1
		.amdhsa_system_sgpr_workgroup_id_y 0
		.amdhsa_system_sgpr_workgroup_id_z 0
		.amdhsa_system_sgpr_workgroup_info 0
		.amdhsa_system_vgpr_workitem_id 0
		.amdhsa_next_free_vgpr 1
		.amdhsa_next_free_sgpr 0
		.amdhsa_accum_offset 4
		.amdhsa_reserve_vcc 0
		.amdhsa_reserve_flat_scratch 0
		.amdhsa_float_round_mode_32 0
		.amdhsa_float_round_mode_16_64 0
		.amdhsa_float_denorm_mode_32 3
		.amdhsa_float_denorm_mode_16_64 3
		.amdhsa_dx10_clamp 1
		.amdhsa_ieee_mode 1
		.amdhsa_fp16_overflow 0
		.amdhsa_tg_split 0
		.amdhsa_exception_fp_ieee_invalid_op 0
		.amdhsa_exception_fp_denorm_src 0
		.amdhsa_exception_fp_ieee_div_zero 0
		.amdhsa_exception_fp_ieee_overflow 0
		.amdhsa_exception_fp_ieee_underflow 0
		.amdhsa_exception_fp_ieee_inexact 0
		.amdhsa_exception_int_div_zero 0
	.end_amdhsa_kernel
	.section	.text._ZN7rocprim17ROCPRIM_400000_NS6detail17trampoline_kernelINS0_14default_configENS1_25partition_config_selectorILNS1_17partition_subalgoE1EsNS0_10empty_typeEbEEZZNS1_14partition_implILS5_1ELb0ES3_jN6thrust23THRUST_200600_302600_NS6detail15normal_iteratorINSA_10device_ptrIsEEEEPS6_NSA_18transform_iteratorINSA_8identityIsEESF_NSA_11use_defaultESK_EENS0_5tupleIJSF_SF_EEENSM_IJSG_SG_EEES6_PlJS6_EEE10hipError_tPvRmT3_T4_T5_T6_T7_T9_mT8_P12ihipStream_tbDpT10_ENKUlT_T0_E_clISt17integral_constantIbLb1EES18_IbLb0EEEEDaS14_S15_EUlS14_E_NS1_11comp_targetILNS1_3genE3ELNS1_11target_archE908ELNS1_3gpuE7ELNS1_3repE0EEENS1_30default_config_static_selectorELNS0_4arch9wavefront6targetE1EEEvT1_,"axG",@progbits,_ZN7rocprim17ROCPRIM_400000_NS6detail17trampoline_kernelINS0_14default_configENS1_25partition_config_selectorILNS1_17partition_subalgoE1EsNS0_10empty_typeEbEEZZNS1_14partition_implILS5_1ELb0ES3_jN6thrust23THRUST_200600_302600_NS6detail15normal_iteratorINSA_10device_ptrIsEEEEPS6_NSA_18transform_iteratorINSA_8identityIsEESF_NSA_11use_defaultESK_EENS0_5tupleIJSF_SF_EEENSM_IJSG_SG_EEES6_PlJS6_EEE10hipError_tPvRmT3_T4_T5_T6_T7_T9_mT8_P12ihipStream_tbDpT10_ENKUlT_T0_E_clISt17integral_constantIbLb1EES18_IbLb0EEEEDaS14_S15_EUlS14_E_NS1_11comp_targetILNS1_3genE3ELNS1_11target_archE908ELNS1_3gpuE7ELNS1_3repE0EEENS1_30default_config_static_selectorELNS0_4arch9wavefront6targetE1EEEvT1_,comdat
.Lfunc_end660:
	.size	_ZN7rocprim17ROCPRIM_400000_NS6detail17trampoline_kernelINS0_14default_configENS1_25partition_config_selectorILNS1_17partition_subalgoE1EsNS0_10empty_typeEbEEZZNS1_14partition_implILS5_1ELb0ES3_jN6thrust23THRUST_200600_302600_NS6detail15normal_iteratorINSA_10device_ptrIsEEEEPS6_NSA_18transform_iteratorINSA_8identityIsEESF_NSA_11use_defaultESK_EENS0_5tupleIJSF_SF_EEENSM_IJSG_SG_EEES6_PlJS6_EEE10hipError_tPvRmT3_T4_T5_T6_T7_T9_mT8_P12ihipStream_tbDpT10_ENKUlT_T0_E_clISt17integral_constantIbLb1EES18_IbLb0EEEEDaS14_S15_EUlS14_E_NS1_11comp_targetILNS1_3genE3ELNS1_11target_archE908ELNS1_3gpuE7ELNS1_3repE0EEENS1_30default_config_static_selectorELNS0_4arch9wavefront6targetE1EEEvT1_, .Lfunc_end660-_ZN7rocprim17ROCPRIM_400000_NS6detail17trampoline_kernelINS0_14default_configENS1_25partition_config_selectorILNS1_17partition_subalgoE1EsNS0_10empty_typeEbEEZZNS1_14partition_implILS5_1ELb0ES3_jN6thrust23THRUST_200600_302600_NS6detail15normal_iteratorINSA_10device_ptrIsEEEEPS6_NSA_18transform_iteratorINSA_8identityIsEESF_NSA_11use_defaultESK_EENS0_5tupleIJSF_SF_EEENSM_IJSG_SG_EEES6_PlJS6_EEE10hipError_tPvRmT3_T4_T5_T6_T7_T9_mT8_P12ihipStream_tbDpT10_ENKUlT_T0_E_clISt17integral_constantIbLb1EES18_IbLb0EEEEDaS14_S15_EUlS14_E_NS1_11comp_targetILNS1_3genE3ELNS1_11target_archE908ELNS1_3gpuE7ELNS1_3repE0EEENS1_30default_config_static_selectorELNS0_4arch9wavefront6targetE1EEEvT1_
                                        ; -- End function
	.section	.AMDGPU.csdata,"",@progbits
; Kernel info:
; codeLenInByte = 0
; NumSgprs: 4
; NumVgprs: 0
; NumAgprs: 0
; TotalNumVgprs: 0
; ScratchSize: 0
; MemoryBound: 0
; FloatMode: 240
; IeeeMode: 1
; LDSByteSize: 0 bytes/workgroup (compile time only)
; SGPRBlocks: 0
; VGPRBlocks: 0
; NumSGPRsForWavesPerEU: 4
; NumVGPRsForWavesPerEU: 1
; AccumOffset: 4
; Occupancy: 8
; WaveLimiterHint : 0
; COMPUTE_PGM_RSRC2:SCRATCH_EN: 0
; COMPUTE_PGM_RSRC2:USER_SGPR: 6
; COMPUTE_PGM_RSRC2:TRAP_HANDLER: 0
; COMPUTE_PGM_RSRC2:TGID_X_EN: 1
; COMPUTE_PGM_RSRC2:TGID_Y_EN: 0
; COMPUTE_PGM_RSRC2:TGID_Z_EN: 0
; COMPUTE_PGM_RSRC2:TIDIG_COMP_CNT: 0
; COMPUTE_PGM_RSRC3_GFX90A:ACCUM_OFFSET: 0
; COMPUTE_PGM_RSRC3_GFX90A:TG_SPLIT: 0
	.section	.text._ZN7rocprim17ROCPRIM_400000_NS6detail17trampoline_kernelINS0_14default_configENS1_25partition_config_selectorILNS1_17partition_subalgoE1EsNS0_10empty_typeEbEEZZNS1_14partition_implILS5_1ELb0ES3_jN6thrust23THRUST_200600_302600_NS6detail15normal_iteratorINSA_10device_ptrIsEEEEPS6_NSA_18transform_iteratorINSA_8identityIsEESF_NSA_11use_defaultESK_EENS0_5tupleIJSF_SF_EEENSM_IJSG_SG_EEES6_PlJS6_EEE10hipError_tPvRmT3_T4_T5_T6_T7_T9_mT8_P12ihipStream_tbDpT10_ENKUlT_T0_E_clISt17integral_constantIbLb1EES18_IbLb0EEEEDaS14_S15_EUlS14_E_NS1_11comp_targetILNS1_3genE2ELNS1_11target_archE906ELNS1_3gpuE6ELNS1_3repE0EEENS1_30default_config_static_selectorELNS0_4arch9wavefront6targetE1EEEvT1_,"axG",@progbits,_ZN7rocprim17ROCPRIM_400000_NS6detail17trampoline_kernelINS0_14default_configENS1_25partition_config_selectorILNS1_17partition_subalgoE1EsNS0_10empty_typeEbEEZZNS1_14partition_implILS5_1ELb0ES3_jN6thrust23THRUST_200600_302600_NS6detail15normal_iteratorINSA_10device_ptrIsEEEEPS6_NSA_18transform_iteratorINSA_8identityIsEESF_NSA_11use_defaultESK_EENS0_5tupleIJSF_SF_EEENSM_IJSG_SG_EEES6_PlJS6_EEE10hipError_tPvRmT3_T4_T5_T6_T7_T9_mT8_P12ihipStream_tbDpT10_ENKUlT_T0_E_clISt17integral_constantIbLb1EES18_IbLb0EEEEDaS14_S15_EUlS14_E_NS1_11comp_targetILNS1_3genE2ELNS1_11target_archE906ELNS1_3gpuE6ELNS1_3repE0EEENS1_30default_config_static_selectorELNS0_4arch9wavefront6targetE1EEEvT1_,comdat
	.protected	_ZN7rocprim17ROCPRIM_400000_NS6detail17trampoline_kernelINS0_14default_configENS1_25partition_config_selectorILNS1_17partition_subalgoE1EsNS0_10empty_typeEbEEZZNS1_14partition_implILS5_1ELb0ES3_jN6thrust23THRUST_200600_302600_NS6detail15normal_iteratorINSA_10device_ptrIsEEEEPS6_NSA_18transform_iteratorINSA_8identityIsEESF_NSA_11use_defaultESK_EENS0_5tupleIJSF_SF_EEENSM_IJSG_SG_EEES6_PlJS6_EEE10hipError_tPvRmT3_T4_T5_T6_T7_T9_mT8_P12ihipStream_tbDpT10_ENKUlT_T0_E_clISt17integral_constantIbLb1EES18_IbLb0EEEEDaS14_S15_EUlS14_E_NS1_11comp_targetILNS1_3genE2ELNS1_11target_archE906ELNS1_3gpuE6ELNS1_3repE0EEENS1_30default_config_static_selectorELNS0_4arch9wavefront6targetE1EEEvT1_ ; -- Begin function _ZN7rocprim17ROCPRIM_400000_NS6detail17trampoline_kernelINS0_14default_configENS1_25partition_config_selectorILNS1_17partition_subalgoE1EsNS0_10empty_typeEbEEZZNS1_14partition_implILS5_1ELb0ES3_jN6thrust23THRUST_200600_302600_NS6detail15normal_iteratorINSA_10device_ptrIsEEEEPS6_NSA_18transform_iteratorINSA_8identityIsEESF_NSA_11use_defaultESK_EENS0_5tupleIJSF_SF_EEENSM_IJSG_SG_EEES6_PlJS6_EEE10hipError_tPvRmT3_T4_T5_T6_T7_T9_mT8_P12ihipStream_tbDpT10_ENKUlT_T0_E_clISt17integral_constantIbLb1EES18_IbLb0EEEEDaS14_S15_EUlS14_E_NS1_11comp_targetILNS1_3genE2ELNS1_11target_archE906ELNS1_3gpuE6ELNS1_3repE0EEENS1_30default_config_static_selectorELNS0_4arch9wavefront6targetE1EEEvT1_
	.globl	_ZN7rocprim17ROCPRIM_400000_NS6detail17trampoline_kernelINS0_14default_configENS1_25partition_config_selectorILNS1_17partition_subalgoE1EsNS0_10empty_typeEbEEZZNS1_14partition_implILS5_1ELb0ES3_jN6thrust23THRUST_200600_302600_NS6detail15normal_iteratorINSA_10device_ptrIsEEEEPS6_NSA_18transform_iteratorINSA_8identityIsEESF_NSA_11use_defaultESK_EENS0_5tupleIJSF_SF_EEENSM_IJSG_SG_EEES6_PlJS6_EEE10hipError_tPvRmT3_T4_T5_T6_T7_T9_mT8_P12ihipStream_tbDpT10_ENKUlT_T0_E_clISt17integral_constantIbLb1EES18_IbLb0EEEEDaS14_S15_EUlS14_E_NS1_11comp_targetILNS1_3genE2ELNS1_11target_archE906ELNS1_3gpuE6ELNS1_3repE0EEENS1_30default_config_static_selectorELNS0_4arch9wavefront6targetE1EEEvT1_
	.p2align	8
	.type	_ZN7rocprim17ROCPRIM_400000_NS6detail17trampoline_kernelINS0_14default_configENS1_25partition_config_selectorILNS1_17partition_subalgoE1EsNS0_10empty_typeEbEEZZNS1_14partition_implILS5_1ELb0ES3_jN6thrust23THRUST_200600_302600_NS6detail15normal_iteratorINSA_10device_ptrIsEEEEPS6_NSA_18transform_iteratorINSA_8identityIsEESF_NSA_11use_defaultESK_EENS0_5tupleIJSF_SF_EEENSM_IJSG_SG_EEES6_PlJS6_EEE10hipError_tPvRmT3_T4_T5_T6_T7_T9_mT8_P12ihipStream_tbDpT10_ENKUlT_T0_E_clISt17integral_constantIbLb1EES18_IbLb0EEEEDaS14_S15_EUlS14_E_NS1_11comp_targetILNS1_3genE2ELNS1_11target_archE906ELNS1_3gpuE6ELNS1_3repE0EEENS1_30default_config_static_selectorELNS0_4arch9wavefront6targetE1EEEvT1_,@function
_ZN7rocprim17ROCPRIM_400000_NS6detail17trampoline_kernelINS0_14default_configENS1_25partition_config_selectorILNS1_17partition_subalgoE1EsNS0_10empty_typeEbEEZZNS1_14partition_implILS5_1ELb0ES3_jN6thrust23THRUST_200600_302600_NS6detail15normal_iteratorINSA_10device_ptrIsEEEEPS6_NSA_18transform_iteratorINSA_8identityIsEESF_NSA_11use_defaultESK_EENS0_5tupleIJSF_SF_EEENSM_IJSG_SG_EEES6_PlJS6_EEE10hipError_tPvRmT3_T4_T5_T6_T7_T9_mT8_P12ihipStream_tbDpT10_ENKUlT_T0_E_clISt17integral_constantIbLb1EES18_IbLb0EEEEDaS14_S15_EUlS14_E_NS1_11comp_targetILNS1_3genE2ELNS1_11target_archE906ELNS1_3gpuE6ELNS1_3repE0EEENS1_30default_config_static_selectorELNS0_4arch9wavefront6targetE1EEEvT1_: ; @_ZN7rocprim17ROCPRIM_400000_NS6detail17trampoline_kernelINS0_14default_configENS1_25partition_config_selectorILNS1_17partition_subalgoE1EsNS0_10empty_typeEbEEZZNS1_14partition_implILS5_1ELb0ES3_jN6thrust23THRUST_200600_302600_NS6detail15normal_iteratorINSA_10device_ptrIsEEEEPS6_NSA_18transform_iteratorINSA_8identityIsEESF_NSA_11use_defaultESK_EENS0_5tupleIJSF_SF_EEENSM_IJSG_SG_EEES6_PlJS6_EEE10hipError_tPvRmT3_T4_T5_T6_T7_T9_mT8_P12ihipStream_tbDpT10_ENKUlT_T0_E_clISt17integral_constantIbLb1EES18_IbLb0EEEEDaS14_S15_EUlS14_E_NS1_11comp_targetILNS1_3genE2ELNS1_11target_archE906ELNS1_3gpuE6ELNS1_3repE0EEENS1_30default_config_static_selectorELNS0_4arch9wavefront6targetE1EEEvT1_
; %bb.0:
	.section	.rodata,"a",@progbits
	.p2align	6, 0x0
	.amdhsa_kernel _ZN7rocprim17ROCPRIM_400000_NS6detail17trampoline_kernelINS0_14default_configENS1_25partition_config_selectorILNS1_17partition_subalgoE1EsNS0_10empty_typeEbEEZZNS1_14partition_implILS5_1ELb0ES3_jN6thrust23THRUST_200600_302600_NS6detail15normal_iteratorINSA_10device_ptrIsEEEEPS6_NSA_18transform_iteratorINSA_8identityIsEESF_NSA_11use_defaultESK_EENS0_5tupleIJSF_SF_EEENSM_IJSG_SG_EEES6_PlJS6_EEE10hipError_tPvRmT3_T4_T5_T6_T7_T9_mT8_P12ihipStream_tbDpT10_ENKUlT_T0_E_clISt17integral_constantIbLb1EES18_IbLb0EEEEDaS14_S15_EUlS14_E_NS1_11comp_targetILNS1_3genE2ELNS1_11target_archE906ELNS1_3gpuE6ELNS1_3repE0EEENS1_30default_config_static_selectorELNS0_4arch9wavefront6targetE1EEEvT1_
		.amdhsa_group_segment_fixed_size 0
		.amdhsa_private_segment_fixed_size 0
		.amdhsa_kernarg_size 128
		.amdhsa_user_sgpr_count 6
		.amdhsa_user_sgpr_private_segment_buffer 1
		.amdhsa_user_sgpr_dispatch_ptr 0
		.amdhsa_user_sgpr_queue_ptr 0
		.amdhsa_user_sgpr_kernarg_segment_ptr 1
		.amdhsa_user_sgpr_dispatch_id 0
		.amdhsa_user_sgpr_flat_scratch_init 0
		.amdhsa_user_sgpr_kernarg_preload_length 0
		.amdhsa_user_sgpr_kernarg_preload_offset 0
		.amdhsa_user_sgpr_private_segment_size 0
		.amdhsa_uses_dynamic_stack 0
		.amdhsa_system_sgpr_private_segment_wavefront_offset 0
		.amdhsa_system_sgpr_workgroup_id_x 1
		.amdhsa_system_sgpr_workgroup_id_y 0
		.amdhsa_system_sgpr_workgroup_id_z 0
		.amdhsa_system_sgpr_workgroup_info 0
		.amdhsa_system_vgpr_workitem_id 0
		.amdhsa_next_free_vgpr 1
		.amdhsa_next_free_sgpr 0
		.amdhsa_accum_offset 4
		.amdhsa_reserve_vcc 0
		.amdhsa_reserve_flat_scratch 0
		.amdhsa_float_round_mode_32 0
		.amdhsa_float_round_mode_16_64 0
		.amdhsa_float_denorm_mode_32 3
		.amdhsa_float_denorm_mode_16_64 3
		.amdhsa_dx10_clamp 1
		.amdhsa_ieee_mode 1
		.amdhsa_fp16_overflow 0
		.amdhsa_tg_split 0
		.amdhsa_exception_fp_ieee_invalid_op 0
		.amdhsa_exception_fp_denorm_src 0
		.amdhsa_exception_fp_ieee_div_zero 0
		.amdhsa_exception_fp_ieee_overflow 0
		.amdhsa_exception_fp_ieee_underflow 0
		.amdhsa_exception_fp_ieee_inexact 0
		.amdhsa_exception_int_div_zero 0
	.end_amdhsa_kernel
	.section	.text._ZN7rocprim17ROCPRIM_400000_NS6detail17trampoline_kernelINS0_14default_configENS1_25partition_config_selectorILNS1_17partition_subalgoE1EsNS0_10empty_typeEbEEZZNS1_14partition_implILS5_1ELb0ES3_jN6thrust23THRUST_200600_302600_NS6detail15normal_iteratorINSA_10device_ptrIsEEEEPS6_NSA_18transform_iteratorINSA_8identityIsEESF_NSA_11use_defaultESK_EENS0_5tupleIJSF_SF_EEENSM_IJSG_SG_EEES6_PlJS6_EEE10hipError_tPvRmT3_T4_T5_T6_T7_T9_mT8_P12ihipStream_tbDpT10_ENKUlT_T0_E_clISt17integral_constantIbLb1EES18_IbLb0EEEEDaS14_S15_EUlS14_E_NS1_11comp_targetILNS1_3genE2ELNS1_11target_archE906ELNS1_3gpuE6ELNS1_3repE0EEENS1_30default_config_static_selectorELNS0_4arch9wavefront6targetE1EEEvT1_,"axG",@progbits,_ZN7rocprim17ROCPRIM_400000_NS6detail17trampoline_kernelINS0_14default_configENS1_25partition_config_selectorILNS1_17partition_subalgoE1EsNS0_10empty_typeEbEEZZNS1_14partition_implILS5_1ELb0ES3_jN6thrust23THRUST_200600_302600_NS6detail15normal_iteratorINSA_10device_ptrIsEEEEPS6_NSA_18transform_iteratorINSA_8identityIsEESF_NSA_11use_defaultESK_EENS0_5tupleIJSF_SF_EEENSM_IJSG_SG_EEES6_PlJS6_EEE10hipError_tPvRmT3_T4_T5_T6_T7_T9_mT8_P12ihipStream_tbDpT10_ENKUlT_T0_E_clISt17integral_constantIbLb1EES18_IbLb0EEEEDaS14_S15_EUlS14_E_NS1_11comp_targetILNS1_3genE2ELNS1_11target_archE906ELNS1_3gpuE6ELNS1_3repE0EEENS1_30default_config_static_selectorELNS0_4arch9wavefront6targetE1EEEvT1_,comdat
.Lfunc_end661:
	.size	_ZN7rocprim17ROCPRIM_400000_NS6detail17trampoline_kernelINS0_14default_configENS1_25partition_config_selectorILNS1_17partition_subalgoE1EsNS0_10empty_typeEbEEZZNS1_14partition_implILS5_1ELb0ES3_jN6thrust23THRUST_200600_302600_NS6detail15normal_iteratorINSA_10device_ptrIsEEEEPS6_NSA_18transform_iteratorINSA_8identityIsEESF_NSA_11use_defaultESK_EENS0_5tupleIJSF_SF_EEENSM_IJSG_SG_EEES6_PlJS6_EEE10hipError_tPvRmT3_T4_T5_T6_T7_T9_mT8_P12ihipStream_tbDpT10_ENKUlT_T0_E_clISt17integral_constantIbLb1EES18_IbLb0EEEEDaS14_S15_EUlS14_E_NS1_11comp_targetILNS1_3genE2ELNS1_11target_archE906ELNS1_3gpuE6ELNS1_3repE0EEENS1_30default_config_static_selectorELNS0_4arch9wavefront6targetE1EEEvT1_, .Lfunc_end661-_ZN7rocprim17ROCPRIM_400000_NS6detail17trampoline_kernelINS0_14default_configENS1_25partition_config_selectorILNS1_17partition_subalgoE1EsNS0_10empty_typeEbEEZZNS1_14partition_implILS5_1ELb0ES3_jN6thrust23THRUST_200600_302600_NS6detail15normal_iteratorINSA_10device_ptrIsEEEEPS6_NSA_18transform_iteratorINSA_8identityIsEESF_NSA_11use_defaultESK_EENS0_5tupleIJSF_SF_EEENSM_IJSG_SG_EEES6_PlJS6_EEE10hipError_tPvRmT3_T4_T5_T6_T7_T9_mT8_P12ihipStream_tbDpT10_ENKUlT_T0_E_clISt17integral_constantIbLb1EES18_IbLb0EEEEDaS14_S15_EUlS14_E_NS1_11comp_targetILNS1_3genE2ELNS1_11target_archE906ELNS1_3gpuE6ELNS1_3repE0EEENS1_30default_config_static_selectorELNS0_4arch9wavefront6targetE1EEEvT1_
                                        ; -- End function
	.section	.AMDGPU.csdata,"",@progbits
; Kernel info:
; codeLenInByte = 0
; NumSgprs: 4
; NumVgprs: 0
; NumAgprs: 0
; TotalNumVgprs: 0
; ScratchSize: 0
; MemoryBound: 0
; FloatMode: 240
; IeeeMode: 1
; LDSByteSize: 0 bytes/workgroup (compile time only)
; SGPRBlocks: 0
; VGPRBlocks: 0
; NumSGPRsForWavesPerEU: 4
; NumVGPRsForWavesPerEU: 1
; AccumOffset: 4
; Occupancy: 8
; WaveLimiterHint : 0
; COMPUTE_PGM_RSRC2:SCRATCH_EN: 0
; COMPUTE_PGM_RSRC2:USER_SGPR: 6
; COMPUTE_PGM_RSRC2:TRAP_HANDLER: 0
; COMPUTE_PGM_RSRC2:TGID_X_EN: 1
; COMPUTE_PGM_RSRC2:TGID_Y_EN: 0
; COMPUTE_PGM_RSRC2:TGID_Z_EN: 0
; COMPUTE_PGM_RSRC2:TIDIG_COMP_CNT: 0
; COMPUTE_PGM_RSRC3_GFX90A:ACCUM_OFFSET: 0
; COMPUTE_PGM_RSRC3_GFX90A:TG_SPLIT: 0
	.section	.text._ZN7rocprim17ROCPRIM_400000_NS6detail17trampoline_kernelINS0_14default_configENS1_25partition_config_selectorILNS1_17partition_subalgoE1EsNS0_10empty_typeEbEEZZNS1_14partition_implILS5_1ELb0ES3_jN6thrust23THRUST_200600_302600_NS6detail15normal_iteratorINSA_10device_ptrIsEEEEPS6_NSA_18transform_iteratorINSA_8identityIsEESF_NSA_11use_defaultESK_EENS0_5tupleIJSF_SF_EEENSM_IJSG_SG_EEES6_PlJS6_EEE10hipError_tPvRmT3_T4_T5_T6_T7_T9_mT8_P12ihipStream_tbDpT10_ENKUlT_T0_E_clISt17integral_constantIbLb1EES18_IbLb0EEEEDaS14_S15_EUlS14_E_NS1_11comp_targetILNS1_3genE10ELNS1_11target_archE1200ELNS1_3gpuE4ELNS1_3repE0EEENS1_30default_config_static_selectorELNS0_4arch9wavefront6targetE1EEEvT1_,"axG",@progbits,_ZN7rocprim17ROCPRIM_400000_NS6detail17trampoline_kernelINS0_14default_configENS1_25partition_config_selectorILNS1_17partition_subalgoE1EsNS0_10empty_typeEbEEZZNS1_14partition_implILS5_1ELb0ES3_jN6thrust23THRUST_200600_302600_NS6detail15normal_iteratorINSA_10device_ptrIsEEEEPS6_NSA_18transform_iteratorINSA_8identityIsEESF_NSA_11use_defaultESK_EENS0_5tupleIJSF_SF_EEENSM_IJSG_SG_EEES6_PlJS6_EEE10hipError_tPvRmT3_T4_T5_T6_T7_T9_mT8_P12ihipStream_tbDpT10_ENKUlT_T0_E_clISt17integral_constantIbLb1EES18_IbLb0EEEEDaS14_S15_EUlS14_E_NS1_11comp_targetILNS1_3genE10ELNS1_11target_archE1200ELNS1_3gpuE4ELNS1_3repE0EEENS1_30default_config_static_selectorELNS0_4arch9wavefront6targetE1EEEvT1_,comdat
	.protected	_ZN7rocprim17ROCPRIM_400000_NS6detail17trampoline_kernelINS0_14default_configENS1_25partition_config_selectorILNS1_17partition_subalgoE1EsNS0_10empty_typeEbEEZZNS1_14partition_implILS5_1ELb0ES3_jN6thrust23THRUST_200600_302600_NS6detail15normal_iteratorINSA_10device_ptrIsEEEEPS6_NSA_18transform_iteratorINSA_8identityIsEESF_NSA_11use_defaultESK_EENS0_5tupleIJSF_SF_EEENSM_IJSG_SG_EEES6_PlJS6_EEE10hipError_tPvRmT3_T4_T5_T6_T7_T9_mT8_P12ihipStream_tbDpT10_ENKUlT_T0_E_clISt17integral_constantIbLb1EES18_IbLb0EEEEDaS14_S15_EUlS14_E_NS1_11comp_targetILNS1_3genE10ELNS1_11target_archE1200ELNS1_3gpuE4ELNS1_3repE0EEENS1_30default_config_static_selectorELNS0_4arch9wavefront6targetE1EEEvT1_ ; -- Begin function _ZN7rocprim17ROCPRIM_400000_NS6detail17trampoline_kernelINS0_14default_configENS1_25partition_config_selectorILNS1_17partition_subalgoE1EsNS0_10empty_typeEbEEZZNS1_14partition_implILS5_1ELb0ES3_jN6thrust23THRUST_200600_302600_NS6detail15normal_iteratorINSA_10device_ptrIsEEEEPS6_NSA_18transform_iteratorINSA_8identityIsEESF_NSA_11use_defaultESK_EENS0_5tupleIJSF_SF_EEENSM_IJSG_SG_EEES6_PlJS6_EEE10hipError_tPvRmT3_T4_T5_T6_T7_T9_mT8_P12ihipStream_tbDpT10_ENKUlT_T0_E_clISt17integral_constantIbLb1EES18_IbLb0EEEEDaS14_S15_EUlS14_E_NS1_11comp_targetILNS1_3genE10ELNS1_11target_archE1200ELNS1_3gpuE4ELNS1_3repE0EEENS1_30default_config_static_selectorELNS0_4arch9wavefront6targetE1EEEvT1_
	.globl	_ZN7rocprim17ROCPRIM_400000_NS6detail17trampoline_kernelINS0_14default_configENS1_25partition_config_selectorILNS1_17partition_subalgoE1EsNS0_10empty_typeEbEEZZNS1_14partition_implILS5_1ELb0ES3_jN6thrust23THRUST_200600_302600_NS6detail15normal_iteratorINSA_10device_ptrIsEEEEPS6_NSA_18transform_iteratorINSA_8identityIsEESF_NSA_11use_defaultESK_EENS0_5tupleIJSF_SF_EEENSM_IJSG_SG_EEES6_PlJS6_EEE10hipError_tPvRmT3_T4_T5_T6_T7_T9_mT8_P12ihipStream_tbDpT10_ENKUlT_T0_E_clISt17integral_constantIbLb1EES18_IbLb0EEEEDaS14_S15_EUlS14_E_NS1_11comp_targetILNS1_3genE10ELNS1_11target_archE1200ELNS1_3gpuE4ELNS1_3repE0EEENS1_30default_config_static_selectorELNS0_4arch9wavefront6targetE1EEEvT1_
	.p2align	8
	.type	_ZN7rocprim17ROCPRIM_400000_NS6detail17trampoline_kernelINS0_14default_configENS1_25partition_config_selectorILNS1_17partition_subalgoE1EsNS0_10empty_typeEbEEZZNS1_14partition_implILS5_1ELb0ES3_jN6thrust23THRUST_200600_302600_NS6detail15normal_iteratorINSA_10device_ptrIsEEEEPS6_NSA_18transform_iteratorINSA_8identityIsEESF_NSA_11use_defaultESK_EENS0_5tupleIJSF_SF_EEENSM_IJSG_SG_EEES6_PlJS6_EEE10hipError_tPvRmT3_T4_T5_T6_T7_T9_mT8_P12ihipStream_tbDpT10_ENKUlT_T0_E_clISt17integral_constantIbLb1EES18_IbLb0EEEEDaS14_S15_EUlS14_E_NS1_11comp_targetILNS1_3genE10ELNS1_11target_archE1200ELNS1_3gpuE4ELNS1_3repE0EEENS1_30default_config_static_selectorELNS0_4arch9wavefront6targetE1EEEvT1_,@function
_ZN7rocprim17ROCPRIM_400000_NS6detail17trampoline_kernelINS0_14default_configENS1_25partition_config_selectorILNS1_17partition_subalgoE1EsNS0_10empty_typeEbEEZZNS1_14partition_implILS5_1ELb0ES3_jN6thrust23THRUST_200600_302600_NS6detail15normal_iteratorINSA_10device_ptrIsEEEEPS6_NSA_18transform_iteratorINSA_8identityIsEESF_NSA_11use_defaultESK_EENS0_5tupleIJSF_SF_EEENSM_IJSG_SG_EEES6_PlJS6_EEE10hipError_tPvRmT3_T4_T5_T6_T7_T9_mT8_P12ihipStream_tbDpT10_ENKUlT_T0_E_clISt17integral_constantIbLb1EES18_IbLb0EEEEDaS14_S15_EUlS14_E_NS1_11comp_targetILNS1_3genE10ELNS1_11target_archE1200ELNS1_3gpuE4ELNS1_3repE0EEENS1_30default_config_static_selectorELNS0_4arch9wavefront6targetE1EEEvT1_: ; @_ZN7rocprim17ROCPRIM_400000_NS6detail17trampoline_kernelINS0_14default_configENS1_25partition_config_selectorILNS1_17partition_subalgoE1EsNS0_10empty_typeEbEEZZNS1_14partition_implILS5_1ELb0ES3_jN6thrust23THRUST_200600_302600_NS6detail15normal_iteratorINSA_10device_ptrIsEEEEPS6_NSA_18transform_iteratorINSA_8identityIsEESF_NSA_11use_defaultESK_EENS0_5tupleIJSF_SF_EEENSM_IJSG_SG_EEES6_PlJS6_EEE10hipError_tPvRmT3_T4_T5_T6_T7_T9_mT8_P12ihipStream_tbDpT10_ENKUlT_T0_E_clISt17integral_constantIbLb1EES18_IbLb0EEEEDaS14_S15_EUlS14_E_NS1_11comp_targetILNS1_3genE10ELNS1_11target_archE1200ELNS1_3gpuE4ELNS1_3repE0EEENS1_30default_config_static_selectorELNS0_4arch9wavefront6targetE1EEEvT1_
; %bb.0:
	.section	.rodata,"a",@progbits
	.p2align	6, 0x0
	.amdhsa_kernel _ZN7rocprim17ROCPRIM_400000_NS6detail17trampoline_kernelINS0_14default_configENS1_25partition_config_selectorILNS1_17partition_subalgoE1EsNS0_10empty_typeEbEEZZNS1_14partition_implILS5_1ELb0ES3_jN6thrust23THRUST_200600_302600_NS6detail15normal_iteratorINSA_10device_ptrIsEEEEPS6_NSA_18transform_iteratorINSA_8identityIsEESF_NSA_11use_defaultESK_EENS0_5tupleIJSF_SF_EEENSM_IJSG_SG_EEES6_PlJS6_EEE10hipError_tPvRmT3_T4_T5_T6_T7_T9_mT8_P12ihipStream_tbDpT10_ENKUlT_T0_E_clISt17integral_constantIbLb1EES18_IbLb0EEEEDaS14_S15_EUlS14_E_NS1_11comp_targetILNS1_3genE10ELNS1_11target_archE1200ELNS1_3gpuE4ELNS1_3repE0EEENS1_30default_config_static_selectorELNS0_4arch9wavefront6targetE1EEEvT1_
		.amdhsa_group_segment_fixed_size 0
		.amdhsa_private_segment_fixed_size 0
		.amdhsa_kernarg_size 128
		.amdhsa_user_sgpr_count 6
		.amdhsa_user_sgpr_private_segment_buffer 1
		.amdhsa_user_sgpr_dispatch_ptr 0
		.amdhsa_user_sgpr_queue_ptr 0
		.amdhsa_user_sgpr_kernarg_segment_ptr 1
		.amdhsa_user_sgpr_dispatch_id 0
		.amdhsa_user_sgpr_flat_scratch_init 0
		.amdhsa_user_sgpr_kernarg_preload_length 0
		.amdhsa_user_sgpr_kernarg_preload_offset 0
		.amdhsa_user_sgpr_private_segment_size 0
		.amdhsa_uses_dynamic_stack 0
		.amdhsa_system_sgpr_private_segment_wavefront_offset 0
		.amdhsa_system_sgpr_workgroup_id_x 1
		.amdhsa_system_sgpr_workgroup_id_y 0
		.amdhsa_system_sgpr_workgroup_id_z 0
		.amdhsa_system_sgpr_workgroup_info 0
		.amdhsa_system_vgpr_workitem_id 0
		.amdhsa_next_free_vgpr 1
		.amdhsa_next_free_sgpr 0
		.amdhsa_accum_offset 4
		.amdhsa_reserve_vcc 0
		.amdhsa_reserve_flat_scratch 0
		.amdhsa_float_round_mode_32 0
		.amdhsa_float_round_mode_16_64 0
		.amdhsa_float_denorm_mode_32 3
		.amdhsa_float_denorm_mode_16_64 3
		.amdhsa_dx10_clamp 1
		.amdhsa_ieee_mode 1
		.amdhsa_fp16_overflow 0
		.amdhsa_tg_split 0
		.amdhsa_exception_fp_ieee_invalid_op 0
		.amdhsa_exception_fp_denorm_src 0
		.amdhsa_exception_fp_ieee_div_zero 0
		.amdhsa_exception_fp_ieee_overflow 0
		.amdhsa_exception_fp_ieee_underflow 0
		.amdhsa_exception_fp_ieee_inexact 0
		.amdhsa_exception_int_div_zero 0
	.end_amdhsa_kernel
	.section	.text._ZN7rocprim17ROCPRIM_400000_NS6detail17trampoline_kernelINS0_14default_configENS1_25partition_config_selectorILNS1_17partition_subalgoE1EsNS0_10empty_typeEbEEZZNS1_14partition_implILS5_1ELb0ES3_jN6thrust23THRUST_200600_302600_NS6detail15normal_iteratorINSA_10device_ptrIsEEEEPS6_NSA_18transform_iteratorINSA_8identityIsEESF_NSA_11use_defaultESK_EENS0_5tupleIJSF_SF_EEENSM_IJSG_SG_EEES6_PlJS6_EEE10hipError_tPvRmT3_T4_T5_T6_T7_T9_mT8_P12ihipStream_tbDpT10_ENKUlT_T0_E_clISt17integral_constantIbLb1EES18_IbLb0EEEEDaS14_S15_EUlS14_E_NS1_11comp_targetILNS1_3genE10ELNS1_11target_archE1200ELNS1_3gpuE4ELNS1_3repE0EEENS1_30default_config_static_selectorELNS0_4arch9wavefront6targetE1EEEvT1_,"axG",@progbits,_ZN7rocprim17ROCPRIM_400000_NS6detail17trampoline_kernelINS0_14default_configENS1_25partition_config_selectorILNS1_17partition_subalgoE1EsNS0_10empty_typeEbEEZZNS1_14partition_implILS5_1ELb0ES3_jN6thrust23THRUST_200600_302600_NS6detail15normal_iteratorINSA_10device_ptrIsEEEEPS6_NSA_18transform_iteratorINSA_8identityIsEESF_NSA_11use_defaultESK_EENS0_5tupleIJSF_SF_EEENSM_IJSG_SG_EEES6_PlJS6_EEE10hipError_tPvRmT3_T4_T5_T6_T7_T9_mT8_P12ihipStream_tbDpT10_ENKUlT_T0_E_clISt17integral_constantIbLb1EES18_IbLb0EEEEDaS14_S15_EUlS14_E_NS1_11comp_targetILNS1_3genE10ELNS1_11target_archE1200ELNS1_3gpuE4ELNS1_3repE0EEENS1_30default_config_static_selectorELNS0_4arch9wavefront6targetE1EEEvT1_,comdat
.Lfunc_end662:
	.size	_ZN7rocprim17ROCPRIM_400000_NS6detail17trampoline_kernelINS0_14default_configENS1_25partition_config_selectorILNS1_17partition_subalgoE1EsNS0_10empty_typeEbEEZZNS1_14partition_implILS5_1ELb0ES3_jN6thrust23THRUST_200600_302600_NS6detail15normal_iteratorINSA_10device_ptrIsEEEEPS6_NSA_18transform_iteratorINSA_8identityIsEESF_NSA_11use_defaultESK_EENS0_5tupleIJSF_SF_EEENSM_IJSG_SG_EEES6_PlJS6_EEE10hipError_tPvRmT3_T4_T5_T6_T7_T9_mT8_P12ihipStream_tbDpT10_ENKUlT_T0_E_clISt17integral_constantIbLb1EES18_IbLb0EEEEDaS14_S15_EUlS14_E_NS1_11comp_targetILNS1_3genE10ELNS1_11target_archE1200ELNS1_3gpuE4ELNS1_3repE0EEENS1_30default_config_static_selectorELNS0_4arch9wavefront6targetE1EEEvT1_, .Lfunc_end662-_ZN7rocprim17ROCPRIM_400000_NS6detail17trampoline_kernelINS0_14default_configENS1_25partition_config_selectorILNS1_17partition_subalgoE1EsNS0_10empty_typeEbEEZZNS1_14partition_implILS5_1ELb0ES3_jN6thrust23THRUST_200600_302600_NS6detail15normal_iteratorINSA_10device_ptrIsEEEEPS6_NSA_18transform_iteratorINSA_8identityIsEESF_NSA_11use_defaultESK_EENS0_5tupleIJSF_SF_EEENSM_IJSG_SG_EEES6_PlJS6_EEE10hipError_tPvRmT3_T4_T5_T6_T7_T9_mT8_P12ihipStream_tbDpT10_ENKUlT_T0_E_clISt17integral_constantIbLb1EES18_IbLb0EEEEDaS14_S15_EUlS14_E_NS1_11comp_targetILNS1_3genE10ELNS1_11target_archE1200ELNS1_3gpuE4ELNS1_3repE0EEENS1_30default_config_static_selectorELNS0_4arch9wavefront6targetE1EEEvT1_
                                        ; -- End function
	.section	.AMDGPU.csdata,"",@progbits
; Kernel info:
; codeLenInByte = 0
; NumSgprs: 4
; NumVgprs: 0
; NumAgprs: 0
; TotalNumVgprs: 0
; ScratchSize: 0
; MemoryBound: 0
; FloatMode: 240
; IeeeMode: 1
; LDSByteSize: 0 bytes/workgroup (compile time only)
; SGPRBlocks: 0
; VGPRBlocks: 0
; NumSGPRsForWavesPerEU: 4
; NumVGPRsForWavesPerEU: 1
; AccumOffset: 4
; Occupancy: 8
; WaveLimiterHint : 0
; COMPUTE_PGM_RSRC2:SCRATCH_EN: 0
; COMPUTE_PGM_RSRC2:USER_SGPR: 6
; COMPUTE_PGM_RSRC2:TRAP_HANDLER: 0
; COMPUTE_PGM_RSRC2:TGID_X_EN: 1
; COMPUTE_PGM_RSRC2:TGID_Y_EN: 0
; COMPUTE_PGM_RSRC2:TGID_Z_EN: 0
; COMPUTE_PGM_RSRC2:TIDIG_COMP_CNT: 0
; COMPUTE_PGM_RSRC3_GFX90A:ACCUM_OFFSET: 0
; COMPUTE_PGM_RSRC3_GFX90A:TG_SPLIT: 0
	.section	.text._ZN7rocprim17ROCPRIM_400000_NS6detail17trampoline_kernelINS0_14default_configENS1_25partition_config_selectorILNS1_17partition_subalgoE1EsNS0_10empty_typeEbEEZZNS1_14partition_implILS5_1ELb0ES3_jN6thrust23THRUST_200600_302600_NS6detail15normal_iteratorINSA_10device_ptrIsEEEEPS6_NSA_18transform_iteratorINSA_8identityIsEESF_NSA_11use_defaultESK_EENS0_5tupleIJSF_SF_EEENSM_IJSG_SG_EEES6_PlJS6_EEE10hipError_tPvRmT3_T4_T5_T6_T7_T9_mT8_P12ihipStream_tbDpT10_ENKUlT_T0_E_clISt17integral_constantIbLb1EES18_IbLb0EEEEDaS14_S15_EUlS14_E_NS1_11comp_targetILNS1_3genE9ELNS1_11target_archE1100ELNS1_3gpuE3ELNS1_3repE0EEENS1_30default_config_static_selectorELNS0_4arch9wavefront6targetE1EEEvT1_,"axG",@progbits,_ZN7rocprim17ROCPRIM_400000_NS6detail17trampoline_kernelINS0_14default_configENS1_25partition_config_selectorILNS1_17partition_subalgoE1EsNS0_10empty_typeEbEEZZNS1_14partition_implILS5_1ELb0ES3_jN6thrust23THRUST_200600_302600_NS6detail15normal_iteratorINSA_10device_ptrIsEEEEPS6_NSA_18transform_iteratorINSA_8identityIsEESF_NSA_11use_defaultESK_EENS0_5tupleIJSF_SF_EEENSM_IJSG_SG_EEES6_PlJS6_EEE10hipError_tPvRmT3_T4_T5_T6_T7_T9_mT8_P12ihipStream_tbDpT10_ENKUlT_T0_E_clISt17integral_constantIbLb1EES18_IbLb0EEEEDaS14_S15_EUlS14_E_NS1_11comp_targetILNS1_3genE9ELNS1_11target_archE1100ELNS1_3gpuE3ELNS1_3repE0EEENS1_30default_config_static_selectorELNS0_4arch9wavefront6targetE1EEEvT1_,comdat
	.protected	_ZN7rocprim17ROCPRIM_400000_NS6detail17trampoline_kernelINS0_14default_configENS1_25partition_config_selectorILNS1_17partition_subalgoE1EsNS0_10empty_typeEbEEZZNS1_14partition_implILS5_1ELb0ES3_jN6thrust23THRUST_200600_302600_NS6detail15normal_iteratorINSA_10device_ptrIsEEEEPS6_NSA_18transform_iteratorINSA_8identityIsEESF_NSA_11use_defaultESK_EENS0_5tupleIJSF_SF_EEENSM_IJSG_SG_EEES6_PlJS6_EEE10hipError_tPvRmT3_T4_T5_T6_T7_T9_mT8_P12ihipStream_tbDpT10_ENKUlT_T0_E_clISt17integral_constantIbLb1EES18_IbLb0EEEEDaS14_S15_EUlS14_E_NS1_11comp_targetILNS1_3genE9ELNS1_11target_archE1100ELNS1_3gpuE3ELNS1_3repE0EEENS1_30default_config_static_selectorELNS0_4arch9wavefront6targetE1EEEvT1_ ; -- Begin function _ZN7rocprim17ROCPRIM_400000_NS6detail17trampoline_kernelINS0_14default_configENS1_25partition_config_selectorILNS1_17partition_subalgoE1EsNS0_10empty_typeEbEEZZNS1_14partition_implILS5_1ELb0ES3_jN6thrust23THRUST_200600_302600_NS6detail15normal_iteratorINSA_10device_ptrIsEEEEPS6_NSA_18transform_iteratorINSA_8identityIsEESF_NSA_11use_defaultESK_EENS0_5tupleIJSF_SF_EEENSM_IJSG_SG_EEES6_PlJS6_EEE10hipError_tPvRmT3_T4_T5_T6_T7_T9_mT8_P12ihipStream_tbDpT10_ENKUlT_T0_E_clISt17integral_constantIbLb1EES18_IbLb0EEEEDaS14_S15_EUlS14_E_NS1_11comp_targetILNS1_3genE9ELNS1_11target_archE1100ELNS1_3gpuE3ELNS1_3repE0EEENS1_30default_config_static_selectorELNS0_4arch9wavefront6targetE1EEEvT1_
	.globl	_ZN7rocprim17ROCPRIM_400000_NS6detail17trampoline_kernelINS0_14default_configENS1_25partition_config_selectorILNS1_17partition_subalgoE1EsNS0_10empty_typeEbEEZZNS1_14partition_implILS5_1ELb0ES3_jN6thrust23THRUST_200600_302600_NS6detail15normal_iteratorINSA_10device_ptrIsEEEEPS6_NSA_18transform_iteratorINSA_8identityIsEESF_NSA_11use_defaultESK_EENS0_5tupleIJSF_SF_EEENSM_IJSG_SG_EEES6_PlJS6_EEE10hipError_tPvRmT3_T4_T5_T6_T7_T9_mT8_P12ihipStream_tbDpT10_ENKUlT_T0_E_clISt17integral_constantIbLb1EES18_IbLb0EEEEDaS14_S15_EUlS14_E_NS1_11comp_targetILNS1_3genE9ELNS1_11target_archE1100ELNS1_3gpuE3ELNS1_3repE0EEENS1_30default_config_static_selectorELNS0_4arch9wavefront6targetE1EEEvT1_
	.p2align	8
	.type	_ZN7rocprim17ROCPRIM_400000_NS6detail17trampoline_kernelINS0_14default_configENS1_25partition_config_selectorILNS1_17partition_subalgoE1EsNS0_10empty_typeEbEEZZNS1_14partition_implILS5_1ELb0ES3_jN6thrust23THRUST_200600_302600_NS6detail15normal_iteratorINSA_10device_ptrIsEEEEPS6_NSA_18transform_iteratorINSA_8identityIsEESF_NSA_11use_defaultESK_EENS0_5tupleIJSF_SF_EEENSM_IJSG_SG_EEES6_PlJS6_EEE10hipError_tPvRmT3_T4_T5_T6_T7_T9_mT8_P12ihipStream_tbDpT10_ENKUlT_T0_E_clISt17integral_constantIbLb1EES18_IbLb0EEEEDaS14_S15_EUlS14_E_NS1_11comp_targetILNS1_3genE9ELNS1_11target_archE1100ELNS1_3gpuE3ELNS1_3repE0EEENS1_30default_config_static_selectorELNS0_4arch9wavefront6targetE1EEEvT1_,@function
_ZN7rocprim17ROCPRIM_400000_NS6detail17trampoline_kernelINS0_14default_configENS1_25partition_config_selectorILNS1_17partition_subalgoE1EsNS0_10empty_typeEbEEZZNS1_14partition_implILS5_1ELb0ES3_jN6thrust23THRUST_200600_302600_NS6detail15normal_iteratorINSA_10device_ptrIsEEEEPS6_NSA_18transform_iteratorINSA_8identityIsEESF_NSA_11use_defaultESK_EENS0_5tupleIJSF_SF_EEENSM_IJSG_SG_EEES6_PlJS6_EEE10hipError_tPvRmT3_T4_T5_T6_T7_T9_mT8_P12ihipStream_tbDpT10_ENKUlT_T0_E_clISt17integral_constantIbLb1EES18_IbLb0EEEEDaS14_S15_EUlS14_E_NS1_11comp_targetILNS1_3genE9ELNS1_11target_archE1100ELNS1_3gpuE3ELNS1_3repE0EEENS1_30default_config_static_selectorELNS0_4arch9wavefront6targetE1EEEvT1_: ; @_ZN7rocprim17ROCPRIM_400000_NS6detail17trampoline_kernelINS0_14default_configENS1_25partition_config_selectorILNS1_17partition_subalgoE1EsNS0_10empty_typeEbEEZZNS1_14partition_implILS5_1ELb0ES3_jN6thrust23THRUST_200600_302600_NS6detail15normal_iteratorINSA_10device_ptrIsEEEEPS6_NSA_18transform_iteratorINSA_8identityIsEESF_NSA_11use_defaultESK_EENS0_5tupleIJSF_SF_EEENSM_IJSG_SG_EEES6_PlJS6_EEE10hipError_tPvRmT3_T4_T5_T6_T7_T9_mT8_P12ihipStream_tbDpT10_ENKUlT_T0_E_clISt17integral_constantIbLb1EES18_IbLb0EEEEDaS14_S15_EUlS14_E_NS1_11comp_targetILNS1_3genE9ELNS1_11target_archE1100ELNS1_3gpuE3ELNS1_3repE0EEENS1_30default_config_static_selectorELNS0_4arch9wavefront6targetE1EEEvT1_
; %bb.0:
	.section	.rodata,"a",@progbits
	.p2align	6, 0x0
	.amdhsa_kernel _ZN7rocprim17ROCPRIM_400000_NS6detail17trampoline_kernelINS0_14default_configENS1_25partition_config_selectorILNS1_17partition_subalgoE1EsNS0_10empty_typeEbEEZZNS1_14partition_implILS5_1ELb0ES3_jN6thrust23THRUST_200600_302600_NS6detail15normal_iteratorINSA_10device_ptrIsEEEEPS6_NSA_18transform_iteratorINSA_8identityIsEESF_NSA_11use_defaultESK_EENS0_5tupleIJSF_SF_EEENSM_IJSG_SG_EEES6_PlJS6_EEE10hipError_tPvRmT3_T4_T5_T6_T7_T9_mT8_P12ihipStream_tbDpT10_ENKUlT_T0_E_clISt17integral_constantIbLb1EES18_IbLb0EEEEDaS14_S15_EUlS14_E_NS1_11comp_targetILNS1_3genE9ELNS1_11target_archE1100ELNS1_3gpuE3ELNS1_3repE0EEENS1_30default_config_static_selectorELNS0_4arch9wavefront6targetE1EEEvT1_
		.amdhsa_group_segment_fixed_size 0
		.amdhsa_private_segment_fixed_size 0
		.amdhsa_kernarg_size 128
		.amdhsa_user_sgpr_count 6
		.amdhsa_user_sgpr_private_segment_buffer 1
		.amdhsa_user_sgpr_dispatch_ptr 0
		.amdhsa_user_sgpr_queue_ptr 0
		.amdhsa_user_sgpr_kernarg_segment_ptr 1
		.amdhsa_user_sgpr_dispatch_id 0
		.amdhsa_user_sgpr_flat_scratch_init 0
		.amdhsa_user_sgpr_kernarg_preload_length 0
		.amdhsa_user_sgpr_kernarg_preload_offset 0
		.amdhsa_user_sgpr_private_segment_size 0
		.amdhsa_uses_dynamic_stack 0
		.amdhsa_system_sgpr_private_segment_wavefront_offset 0
		.amdhsa_system_sgpr_workgroup_id_x 1
		.amdhsa_system_sgpr_workgroup_id_y 0
		.amdhsa_system_sgpr_workgroup_id_z 0
		.amdhsa_system_sgpr_workgroup_info 0
		.amdhsa_system_vgpr_workitem_id 0
		.amdhsa_next_free_vgpr 1
		.amdhsa_next_free_sgpr 0
		.amdhsa_accum_offset 4
		.amdhsa_reserve_vcc 0
		.amdhsa_reserve_flat_scratch 0
		.amdhsa_float_round_mode_32 0
		.amdhsa_float_round_mode_16_64 0
		.amdhsa_float_denorm_mode_32 3
		.amdhsa_float_denorm_mode_16_64 3
		.amdhsa_dx10_clamp 1
		.amdhsa_ieee_mode 1
		.amdhsa_fp16_overflow 0
		.amdhsa_tg_split 0
		.amdhsa_exception_fp_ieee_invalid_op 0
		.amdhsa_exception_fp_denorm_src 0
		.amdhsa_exception_fp_ieee_div_zero 0
		.amdhsa_exception_fp_ieee_overflow 0
		.amdhsa_exception_fp_ieee_underflow 0
		.amdhsa_exception_fp_ieee_inexact 0
		.amdhsa_exception_int_div_zero 0
	.end_amdhsa_kernel
	.section	.text._ZN7rocprim17ROCPRIM_400000_NS6detail17trampoline_kernelINS0_14default_configENS1_25partition_config_selectorILNS1_17partition_subalgoE1EsNS0_10empty_typeEbEEZZNS1_14partition_implILS5_1ELb0ES3_jN6thrust23THRUST_200600_302600_NS6detail15normal_iteratorINSA_10device_ptrIsEEEEPS6_NSA_18transform_iteratorINSA_8identityIsEESF_NSA_11use_defaultESK_EENS0_5tupleIJSF_SF_EEENSM_IJSG_SG_EEES6_PlJS6_EEE10hipError_tPvRmT3_T4_T5_T6_T7_T9_mT8_P12ihipStream_tbDpT10_ENKUlT_T0_E_clISt17integral_constantIbLb1EES18_IbLb0EEEEDaS14_S15_EUlS14_E_NS1_11comp_targetILNS1_3genE9ELNS1_11target_archE1100ELNS1_3gpuE3ELNS1_3repE0EEENS1_30default_config_static_selectorELNS0_4arch9wavefront6targetE1EEEvT1_,"axG",@progbits,_ZN7rocprim17ROCPRIM_400000_NS6detail17trampoline_kernelINS0_14default_configENS1_25partition_config_selectorILNS1_17partition_subalgoE1EsNS0_10empty_typeEbEEZZNS1_14partition_implILS5_1ELb0ES3_jN6thrust23THRUST_200600_302600_NS6detail15normal_iteratorINSA_10device_ptrIsEEEEPS6_NSA_18transform_iteratorINSA_8identityIsEESF_NSA_11use_defaultESK_EENS0_5tupleIJSF_SF_EEENSM_IJSG_SG_EEES6_PlJS6_EEE10hipError_tPvRmT3_T4_T5_T6_T7_T9_mT8_P12ihipStream_tbDpT10_ENKUlT_T0_E_clISt17integral_constantIbLb1EES18_IbLb0EEEEDaS14_S15_EUlS14_E_NS1_11comp_targetILNS1_3genE9ELNS1_11target_archE1100ELNS1_3gpuE3ELNS1_3repE0EEENS1_30default_config_static_selectorELNS0_4arch9wavefront6targetE1EEEvT1_,comdat
.Lfunc_end663:
	.size	_ZN7rocprim17ROCPRIM_400000_NS6detail17trampoline_kernelINS0_14default_configENS1_25partition_config_selectorILNS1_17partition_subalgoE1EsNS0_10empty_typeEbEEZZNS1_14partition_implILS5_1ELb0ES3_jN6thrust23THRUST_200600_302600_NS6detail15normal_iteratorINSA_10device_ptrIsEEEEPS6_NSA_18transform_iteratorINSA_8identityIsEESF_NSA_11use_defaultESK_EENS0_5tupleIJSF_SF_EEENSM_IJSG_SG_EEES6_PlJS6_EEE10hipError_tPvRmT3_T4_T5_T6_T7_T9_mT8_P12ihipStream_tbDpT10_ENKUlT_T0_E_clISt17integral_constantIbLb1EES18_IbLb0EEEEDaS14_S15_EUlS14_E_NS1_11comp_targetILNS1_3genE9ELNS1_11target_archE1100ELNS1_3gpuE3ELNS1_3repE0EEENS1_30default_config_static_selectorELNS0_4arch9wavefront6targetE1EEEvT1_, .Lfunc_end663-_ZN7rocprim17ROCPRIM_400000_NS6detail17trampoline_kernelINS0_14default_configENS1_25partition_config_selectorILNS1_17partition_subalgoE1EsNS0_10empty_typeEbEEZZNS1_14partition_implILS5_1ELb0ES3_jN6thrust23THRUST_200600_302600_NS6detail15normal_iteratorINSA_10device_ptrIsEEEEPS6_NSA_18transform_iteratorINSA_8identityIsEESF_NSA_11use_defaultESK_EENS0_5tupleIJSF_SF_EEENSM_IJSG_SG_EEES6_PlJS6_EEE10hipError_tPvRmT3_T4_T5_T6_T7_T9_mT8_P12ihipStream_tbDpT10_ENKUlT_T0_E_clISt17integral_constantIbLb1EES18_IbLb0EEEEDaS14_S15_EUlS14_E_NS1_11comp_targetILNS1_3genE9ELNS1_11target_archE1100ELNS1_3gpuE3ELNS1_3repE0EEENS1_30default_config_static_selectorELNS0_4arch9wavefront6targetE1EEEvT1_
                                        ; -- End function
	.section	.AMDGPU.csdata,"",@progbits
; Kernel info:
; codeLenInByte = 0
; NumSgprs: 4
; NumVgprs: 0
; NumAgprs: 0
; TotalNumVgprs: 0
; ScratchSize: 0
; MemoryBound: 0
; FloatMode: 240
; IeeeMode: 1
; LDSByteSize: 0 bytes/workgroup (compile time only)
; SGPRBlocks: 0
; VGPRBlocks: 0
; NumSGPRsForWavesPerEU: 4
; NumVGPRsForWavesPerEU: 1
; AccumOffset: 4
; Occupancy: 8
; WaveLimiterHint : 0
; COMPUTE_PGM_RSRC2:SCRATCH_EN: 0
; COMPUTE_PGM_RSRC2:USER_SGPR: 6
; COMPUTE_PGM_RSRC2:TRAP_HANDLER: 0
; COMPUTE_PGM_RSRC2:TGID_X_EN: 1
; COMPUTE_PGM_RSRC2:TGID_Y_EN: 0
; COMPUTE_PGM_RSRC2:TGID_Z_EN: 0
; COMPUTE_PGM_RSRC2:TIDIG_COMP_CNT: 0
; COMPUTE_PGM_RSRC3_GFX90A:ACCUM_OFFSET: 0
; COMPUTE_PGM_RSRC3_GFX90A:TG_SPLIT: 0
	.section	.text._ZN7rocprim17ROCPRIM_400000_NS6detail17trampoline_kernelINS0_14default_configENS1_25partition_config_selectorILNS1_17partition_subalgoE1EsNS0_10empty_typeEbEEZZNS1_14partition_implILS5_1ELb0ES3_jN6thrust23THRUST_200600_302600_NS6detail15normal_iteratorINSA_10device_ptrIsEEEEPS6_NSA_18transform_iteratorINSA_8identityIsEESF_NSA_11use_defaultESK_EENS0_5tupleIJSF_SF_EEENSM_IJSG_SG_EEES6_PlJS6_EEE10hipError_tPvRmT3_T4_T5_T6_T7_T9_mT8_P12ihipStream_tbDpT10_ENKUlT_T0_E_clISt17integral_constantIbLb1EES18_IbLb0EEEEDaS14_S15_EUlS14_E_NS1_11comp_targetILNS1_3genE8ELNS1_11target_archE1030ELNS1_3gpuE2ELNS1_3repE0EEENS1_30default_config_static_selectorELNS0_4arch9wavefront6targetE1EEEvT1_,"axG",@progbits,_ZN7rocprim17ROCPRIM_400000_NS6detail17trampoline_kernelINS0_14default_configENS1_25partition_config_selectorILNS1_17partition_subalgoE1EsNS0_10empty_typeEbEEZZNS1_14partition_implILS5_1ELb0ES3_jN6thrust23THRUST_200600_302600_NS6detail15normal_iteratorINSA_10device_ptrIsEEEEPS6_NSA_18transform_iteratorINSA_8identityIsEESF_NSA_11use_defaultESK_EENS0_5tupleIJSF_SF_EEENSM_IJSG_SG_EEES6_PlJS6_EEE10hipError_tPvRmT3_T4_T5_T6_T7_T9_mT8_P12ihipStream_tbDpT10_ENKUlT_T0_E_clISt17integral_constantIbLb1EES18_IbLb0EEEEDaS14_S15_EUlS14_E_NS1_11comp_targetILNS1_3genE8ELNS1_11target_archE1030ELNS1_3gpuE2ELNS1_3repE0EEENS1_30default_config_static_selectorELNS0_4arch9wavefront6targetE1EEEvT1_,comdat
	.protected	_ZN7rocprim17ROCPRIM_400000_NS6detail17trampoline_kernelINS0_14default_configENS1_25partition_config_selectorILNS1_17partition_subalgoE1EsNS0_10empty_typeEbEEZZNS1_14partition_implILS5_1ELb0ES3_jN6thrust23THRUST_200600_302600_NS6detail15normal_iteratorINSA_10device_ptrIsEEEEPS6_NSA_18transform_iteratorINSA_8identityIsEESF_NSA_11use_defaultESK_EENS0_5tupleIJSF_SF_EEENSM_IJSG_SG_EEES6_PlJS6_EEE10hipError_tPvRmT3_T4_T5_T6_T7_T9_mT8_P12ihipStream_tbDpT10_ENKUlT_T0_E_clISt17integral_constantIbLb1EES18_IbLb0EEEEDaS14_S15_EUlS14_E_NS1_11comp_targetILNS1_3genE8ELNS1_11target_archE1030ELNS1_3gpuE2ELNS1_3repE0EEENS1_30default_config_static_selectorELNS0_4arch9wavefront6targetE1EEEvT1_ ; -- Begin function _ZN7rocprim17ROCPRIM_400000_NS6detail17trampoline_kernelINS0_14default_configENS1_25partition_config_selectorILNS1_17partition_subalgoE1EsNS0_10empty_typeEbEEZZNS1_14partition_implILS5_1ELb0ES3_jN6thrust23THRUST_200600_302600_NS6detail15normal_iteratorINSA_10device_ptrIsEEEEPS6_NSA_18transform_iteratorINSA_8identityIsEESF_NSA_11use_defaultESK_EENS0_5tupleIJSF_SF_EEENSM_IJSG_SG_EEES6_PlJS6_EEE10hipError_tPvRmT3_T4_T5_T6_T7_T9_mT8_P12ihipStream_tbDpT10_ENKUlT_T0_E_clISt17integral_constantIbLb1EES18_IbLb0EEEEDaS14_S15_EUlS14_E_NS1_11comp_targetILNS1_3genE8ELNS1_11target_archE1030ELNS1_3gpuE2ELNS1_3repE0EEENS1_30default_config_static_selectorELNS0_4arch9wavefront6targetE1EEEvT1_
	.globl	_ZN7rocprim17ROCPRIM_400000_NS6detail17trampoline_kernelINS0_14default_configENS1_25partition_config_selectorILNS1_17partition_subalgoE1EsNS0_10empty_typeEbEEZZNS1_14partition_implILS5_1ELb0ES3_jN6thrust23THRUST_200600_302600_NS6detail15normal_iteratorINSA_10device_ptrIsEEEEPS6_NSA_18transform_iteratorINSA_8identityIsEESF_NSA_11use_defaultESK_EENS0_5tupleIJSF_SF_EEENSM_IJSG_SG_EEES6_PlJS6_EEE10hipError_tPvRmT3_T4_T5_T6_T7_T9_mT8_P12ihipStream_tbDpT10_ENKUlT_T0_E_clISt17integral_constantIbLb1EES18_IbLb0EEEEDaS14_S15_EUlS14_E_NS1_11comp_targetILNS1_3genE8ELNS1_11target_archE1030ELNS1_3gpuE2ELNS1_3repE0EEENS1_30default_config_static_selectorELNS0_4arch9wavefront6targetE1EEEvT1_
	.p2align	8
	.type	_ZN7rocprim17ROCPRIM_400000_NS6detail17trampoline_kernelINS0_14default_configENS1_25partition_config_selectorILNS1_17partition_subalgoE1EsNS0_10empty_typeEbEEZZNS1_14partition_implILS5_1ELb0ES3_jN6thrust23THRUST_200600_302600_NS6detail15normal_iteratorINSA_10device_ptrIsEEEEPS6_NSA_18transform_iteratorINSA_8identityIsEESF_NSA_11use_defaultESK_EENS0_5tupleIJSF_SF_EEENSM_IJSG_SG_EEES6_PlJS6_EEE10hipError_tPvRmT3_T4_T5_T6_T7_T9_mT8_P12ihipStream_tbDpT10_ENKUlT_T0_E_clISt17integral_constantIbLb1EES18_IbLb0EEEEDaS14_S15_EUlS14_E_NS1_11comp_targetILNS1_3genE8ELNS1_11target_archE1030ELNS1_3gpuE2ELNS1_3repE0EEENS1_30default_config_static_selectorELNS0_4arch9wavefront6targetE1EEEvT1_,@function
_ZN7rocprim17ROCPRIM_400000_NS6detail17trampoline_kernelINS0_14default_configENS1_25partition_config_selectorILNS1_17partition_subalgoE1EsNS0_10empty_typeEbEEZZNS1_14partition_implILS5_1ELb0ES3_jN6thrust23THRUST_200600_302600_NS6detail15normal_iteratorINSA_10device_ptrIsEEEEPS6_NSA_18transform_iteratorINSA_8identityIsEESF_NSA_11use_defaultESK_EENS0_5tupleIJSF_SF_EEENSM_IJSG_SG_EEES6_PlJS6_EEE10hipError_tPvRmT3_T4_T5_T6_T7_T9_mT8_P12ihipStream_tbDpT10_ENKUlT_T0_E_clISt17integral_constantIbLb1EES18_IbLb0EEEEDaS14_S15_EUlS14_E_NS1_11comp_targetILNS1_3genE8ELNS1_11target_archE1030ELNS1_3gpuE2ELNS1_3repE0EEENS1_30default_config_static_selectorELNS0_4arch9wavefront6targetE1EEEvT1_: ; @_ZN7rocprim17ROCPRIM_400000_NS6detail17trampoline_kernelINS0_14default_configENS1_25partition_config_selectorILNS1_17partition_subalgoE1EsNS0_10empty_typeEbEEZZNS1_14partition_implILS5_1ELb0ES3_jN6thrust23THRUST_200600_302600_NS6detail15normal_iteratorINSA_10device_ptrIsEEEEPS6_NSA_18transform_iteratorINSA_8identityIsEESF_NSA_11use_defaultESK_EENS0_5tupleIJSF_SF_EEENSM_IJSG_SG_EEES6_PlJS6_EEE10hipError_tPvRmT3_T4_T5_T6_T7_T9_mT8_P12ihipStream_tbDpT10_ENKUlT_T0_E_clISt17integral_constantIbLb1EES18_IbLb0EEEEDaS14_S15_EUlS14_E_NS1_11comp_targetILNS1_3genE8ELNS1_11target_archE1030ELNS1_3gpuE2ELNS1_3repE0EEENS1_30default_config_static_selectorELNS0_4arch9wavefront6targetE1EEEvT1_
; %bb.0:
	.section	.rodata,"a",@progbits
	.p2align	6, 0x0
	.amdhsa_kernel _ZN7rocprim17ROCPRIM_400000_NS6detail17trampoline_kernelINS0_14default_configENS1_25partition_config_selectorILNS1_17partition_subalgoE1EsNS0_10empty_typeEbEEZZNS1_14partition_implILS5_1ELb0ES3_jN6thrust23THRUST_200600_302600_NS6detail15normal_iteratorINSA_10device_ptrIsEEEEPS6_NSA_18transform_iteratorINSA_8identityIsEESF_NSA_11use_defaultESK_EENS0_5tupleIJSF_SF_EEENSM_IJSG_SG_EEES6_PlJS6_EEE10hipError_tPvRmT3_T4_T5_T6_T7_T9_mT8_P12ihipStream_tbDpT10_ENKUlT_T0_E_clISt17integral_constantIbLb1EES18_IbLb0EEEEDaS14_S15_EUlS14_E_NS1_11comp_targetILNS1_3genE8ELNS1_11target_archE1030ELNS1_3gpuE2ELNS1_3repE0EEENS1_30default_config_static_selectorELNS0_4arch9wavefront6targetE1EEEvT1_
		.amdhsa_group_segment_fixed_size 0
		.amdhsa_private_segment_fixed_size 0
		.amdhsa_kernarg_size 128
		.amdhsa_user_sgpr_count 6
		.amdhsa_user_sgpr_private_segment_buffer 1
		.amdhsa_user_sgpr_dispatch_ptr 0
		.amdhsa_user_sgpr_queue_ptr 0
		.amdhsa_user_sgpr_kernarg_segment_ptr 1
		.amdhsa_user_sgpr_dispatch_id 0
		.amdhsa_user_sgpr_flat_scratch_init 0
		.amdhsa_user_sgpr_kernarg_preload_length 0
		.amdhsa_user_sgpr_kernarg_preload_offset 0
		.amdhsa_user_sgpr_private_segment_size 0
		.amdhsa_uses_dynamic_stack 0
		.amdhsa_system_sgpr_private_segment_wavefront_offset 0
		.amdhsa_system_sgpr_workgroup_id_x 1
		.amdhsa_system_sgpr_workgroup_id_y 0
		.amdhsa_system_sgpr_workgroup_id_z 0
		.amdhsa_system_sgpr_workgroup_info 0
		.amdhsa_system_vgpr_workitem_id 0
		.amdhsa_next_free_vgpr 1
		.amdhsa_next_free_sgpr 0
		.amdhsa_accum_offset 4
		.amdhsa_reserve_vcc 0
		.amdhsa_reserve_flat_scratch 0
		.amdhsa_float_round_mode_32 0
		.amdhsa_float_round_mode_16_64 0
		.amdhsa_float_denorm_mode_32 3
		.amdhsa_float_denorm_mode_16_64 3
		.amdhsa_dx10_clamp 1
		.amdhsa_ieee_mode 1
		.amdhsa_fp16_overflow 0
		.amdhsa_tg_split 0
		.amdhsa_exception_fp_ieee_invalid_op 0
		.amdhsa_exception_fp_denorm_src 0
		.amdhsa_exception_fp_ieee_div_zero 0
		.amdhsa_exception_fp_ieee_overflow 0
		.amdhsa_exception_fp_ieee_underflow 0
		.amdhsa_exception_fp_ieee_inexact 0
		.amdhsa_exception_int_div_zero 0
	.end_amdhsa_kernel
	.section	.text._ZN7rocprim17ROCPRIM_400000_NS6detail17trampoline_kernelINS0_14default_configENS1_25partition_config_selectorILNS1_17partition_subalgoE1EsNS0_10empty_typeEbEEZZNS1_14partition_implILS5_1ELb0ES3_jN6thrust23THRUST_200600_302600_NS6detail15normal_iteratorINSA_10device_ptrIsEEEEPS6_NSA_18transform_iteratorINSA_8identityIsEESF_NSA_11use_defaultESK_EENS0_5tupleIJSF_SF_EEENSM_IJSG_SG_EEES6_PlJS6_EEE10hipError_tPvRmT3_T4_T5_T6_T7_T9_mT8_P12ihipStream_tbDpT10_ENKUlT_T0_E_clISt17integral_constantIbLb1EES18_IbLb0EEEEDaS14_S15_EUlS14_E_NS1_11comp_targetILNS1_3genE8ELNS1_11target_archE1030ELNS1_3gpuE2ELNS1_3repE0EEENS1_30default_config_static_selectorELNS0_4arch9wavefront6targetE1EEEvT1_,"axG",@progbits,_ZN7rocprim17ROCPRIM_400000_NS6detail17trampoline_kernelINS0_14default_configENS1_25partition_config_selectorILNS1_17partition_subalgoE1EsNS0_10empty_typeEbEEZZNS1_14partition_implILS5_1ELb0ES3_jN6thrust23THRUST_200600_302600_NS6detail15normal_iteratorINSA_10device_ptrIsEEEEPS6_NSA_18transform_iteratorINSA_8identityIsEESF_NSA_11use_defaultESK_EENS0_5tupleIJSF_SF_EEENSM_IJSG_SG_EEES6_PlJS6_EEE10hipError_tPvRmT3_T4_T5_T6_T7_T9_mT8_P12ihipStream_tbDpT10_ENKUlT_T0_E_clISt17integral_constantIbLb1EES18_IbLb0EEEEDaS14_S15_EUlS14_E_NS1_11comp_targetILNS1_3genE8ELNS1_11target_archE1030ELNS1_3gpuE2ELNS1_3repE0EEENS1_30default_config_static_selectorELNS0_4arch9wavefront6targetE1EEEvT1_,comdat
.Lfunc_end664:
	.size	_ZN7rocprim17ROCPRIM_400000_NS6detail17trampoline_kernelINS0_14default_configENS1_25partition_config_selectorILNS1_17partition_subalgoE1EsNS0_10empty_typeEbEEZZNS1_14partition_implILS5_1ELb0ES3_jN6thrust23THRUST_200600_302600_NS6detail15normal_iteratorINSA_10device_ptrIsEEEEPS6_NSA_18transform_iteratorINSA_8identityIsEESF_NSA_11use_defaultESK_EENS0_5tupleIJSF_SF_EEENSM_IJSG_SG_EEES6_PlJS6_EEE10hipError_tPvRmT3_T4_T5_T6_T7_T9_mT8_P12ihipStream_tbDpT10_ENKUlT_T0_E_clISt17integral_constantIbLb1EES18_IbLb0EEEEDaS14_S15_EUlS14_E_NS1_11comp_targetILNS1_3genE8ELNS1_11target_archE1030ELNS1_3gpuE2ELNS1_3repE0EEENS1_30default_config_static_selectorELNS0_4arch9wavefront6targetE1EEEvT1_, .Lfunc_end664-_ZN7rocprim17ROCPRIM_400000_NS6detail17trampoline_kernelINS0_14default_configENS1_25partition_config_selectorILNS1_17partition_subalgoE1EsNS0_10empty_typeEbEEZZNS1_14partition_implILS5_1ELb0ES3_jN6thrust23THRUST_200600_302600_NS6detail15normal_iteratorINSA_10device_ptrIsEEEEPS6_NSA_18transform_iteratorINSA_8identityIsEESF_NSA_11use_defaultESK_EENS0_5tupleIJSF_SF_EEENSM_IJSG_SG_EEES6_PlJS6_EEE10hipError_tPvRmT3_T4_T5_T6_T7_T9_mT8_P12ihipStream_tbDpT10_ENKUlT_T0_E_clISt17integral_constantIbLb1EES18_IbLb0EEEEDaS14_S15_EUlS14_E_NS1_11comp_targetILNS1_3genE8ELNS1_11target_archE1030ELNS1_3gpuE2ELNS1_3repE0EEENS1_30default_config_static_selectorELNS0_4arch9wavefront6targetE1EEEvT1_
                                        ; -- End function
	.section	.AMDGPU.csdata,"",@progbits
; Kernel info:
; codeLenInByte = 0
; NumSgprs: 4
; NumVgprs: 0
; NumAgprs: 0
; TotalNumVgprs: 0
; ScratchSize: 0
; MemoryBound: 0
; FloatMode: 240
; IeeeMode: 1
; LDSByteSize: 0 bytes/workgroup (compile time only)
; SGPRBlocks: 0
; VGPRBlocks: 0
; NumSGPRsForWavesPerEU: 4
; NumVGPRsForWavesPerEU: 1
; AccumOffset: 4
; Occupancy: 8
; WaveLimiterHint : 0
; COMPUTE_PGM_RSRC2:SCRATCH_EN: 0
; COMPUTE_PGM_RSRC2:USER_SGPR: 6
; COMPUTE_PGM_RSRC2:TRAP_HANDLER: 0
; COMPUTE_PGM_RSRC2:TGID_X_EN: 1
; COMPUTE_PGM_RSRC2:TGID_Y_EN: 0
; COMPUTE_PGM_RSRC2:TGID_Z_EN: 0
; COMPUTE_PGM_RSRC2:TIDIG_COMP_CNT: 0
; COMPUTE_PGM_RSRC3_GFX90A:ACCUM_OFFSET: 0
; COMPUTE_PGM_RSRC3_GFX90A:TG_SPLIT: 0
	.section	.text._ZN7rocprim17ROCPRIM_400000_NS6detail17trampoline_kernelINS0_14default_configENS1_25partition_config_selectorILNS1_17partition_subalgoE1EsNS0_10empty_typeEbEEZZNS1_14partition_implILS5_1ELb0ES3_jN6thrust23THRUST_200600_302600_NS6detail15normal_iteratorINSA_10device_ptrIsEEEEPS6_NSA_18transform_iteratorINSA_8identityIsEESF_NSA_11use_defaultESK_EENS0_5tupleIJSF_SF_EEENSM_IJSG_SG_EEES6_PlJS6_EEE10hipError_tPvRmT3_T4_T5_T6_T7_T9_mT8_P12ihipStream_tbDpT10_ENKUlT_T0_E_clISt17integral_constantIbLb0EES18_IbLb1EEEEDaS14_S15_EUlS14_E_NS1_11comp_targetILNS1_3genE0ELNS1_11target_archE4294967295ELNS1_3gpuE0ELNS1_3repE0EEENS1_30default_config_static_selectorELNS0_4arch9wavefront6targetE1EEEvT1_,"axG",@progbits,_ZN7rocprim17ROCPRIM_400000_NS6detail17trampoline_kernelINS0_14default_configENS1_25partition_config_selectorILNS1_17partition_subalgoE1EsNS0_10empty_typeEbEEZZNS1_14partition_implILS5_1ELb0ES3_jN6thrust23THRUST_200600_302600_NS6detail15normal_iteratorINSA_10device_ptrIsEEEEPS6_NSA_18transform_iteratorINSA_8identityIsEESF_NSA_11use_defaultESK_EENS0_5tupleIJSF_SF_EEENSM_IJSG_SG_EEES6_PlJS6_EEE10hipError_tPvRmT3_T4_T5_T6_T7_T9_mT8_P12ihipStream_tbDpT10_ENKUlT_T0_E_clISt17integral_constantIbLb0EES18_IbLb1EEEEDaS14_S15_EUlS14_E_NS1_11comp_targetILNS1_3genE0ELNS1_11target_archE4294967295ELNS1_3gpuE0ELNS1_3repE0EEENS1_30default_config_static_selectorELNS0_4arch9wavefront6targetE1EEEvT1_,comdat
	.protected	_ZN7rocprim17ROCPRIM_400000_NS6detail17trampoline_kernelINS0_14default_configENS1_25partition_config_selectorILNS1_17partition_subalgoE1EsNS0_10empty_typeEbEEZZNS1_14partition_implILS5_1ELb0ES3_jN6thrust23THRUST_200600_302600_NS6detail15normal_iteratorINSA_10device_ptrIsEEEEPS6_NSA_18transform_iteratorINSA_8identityIsEESF_NSA_11use_defaultESK_EENS0_5tupleIJSF_SF_EEENSM_IJSG_SG_EEES6_PlJS6_EEE10hipError_tPvRmT3_T4_T5_T6_T7_T9_mT8_P12ihipStream_tbDpT10_ENKUlT_T0_E_clISt17integral_constantIbLb0EES18_IbLb1EEEEDaS14_S15_EUlS14_E_NS1_11comp_targetILNS1_3genE0ELNS1_11target_archE4294967295ELNS1_3gpuE0ELNS1_3repE0EEENS1_30default_config_static_selectorELNS0_4arch9wavefront6targetE1EEEvT1_ ; -- Begin function _ZN7rocprim17ROCPRIM_400000_NS6detail17trampoline_kernelINS0_14default_configENS1_25partition_config_selectorILNS1_17partition_subalgoE1EsNS0_10empty_typeEbEEZZNS1_14partition_implILS5_1ELb0ES3_jN6thrust23THRUST_200600_302600_NS6detail15normal_iteratorINSA_10device_ptrIsEEEEPS6_NSA_18transform_iteratorINSA_8identityIsEESF_NSA_11use_defaultESK_EENS0_5tupleIJSF_SF_EEENSM_IJSG_SG_EEES6_PlJS6_EEE10hipError_tPvRmT3_T4_T5_T6_T7_T9_mT8_P12ihipStream_tbDpT10_ENKUlT_T0_E_clISt17integral_constantIbLb0EES18_IbLb1EEEEDaS14_S15_EUlS14_E_NS1_11comp_targetILNS1_3genE0ELNS1_11target_archE4294967295ELNS1_3gpuE0ELNS1_3repE0EEENS1_30default_config_static_selectorELNS0_4arch9wavefront6targetE1EEEvT1_
	.globl	_ZN7rocprim17ROCPRIM_400000_NS6detail17trampoline_kernelINS0_14default_configENS1_25partition_config_selectorILNS1_17partition_subalgoE1EsNS0_10empty_typeEbEEZZNS1_14partition_implILS5_1ELb0ES3_jN6thrust23THRUST_200600_302600_NS6detail15normal_iteratorINSA_10device_ptrIsEEEEPS6_NSA_18transform_iteratorINSA_8identityIsEESF_NSA_11use_defaultESK_EENS0_5tupleIJSF_SF_EEENSM_IJSG_SG_EEES6_PlJS6_EEE10hipError_tPvRmT3_T4_T5_T6_T7_T9_mT8_P12ihipStream_tbDpT10_ENKUlT_T0_E_clISt17integral_constantIbLb0EES18_IbLb1EEEEDaS14_S15_EUlS14_E_NS1_11comp_targetILNS1_3genE0ELNS1_11target_archE4294967295ELNS1_3gpuE0ELNS1_3repE0EEENS1_30default_config_static_selectorELNS0_4arch9wavefront6targetE1EEEvT1_
	.p2align	8
	.type	_ZN7rocprim17ROCPRIM_400000_NS6detail17trampoline_kernelINS0_14default_configENS1_25partition_config_selectorILNS1_17partition_subalgoE1EsNS0_10empty_typeEbEEZZNS1_14partition_implILS5_1ELb0ES3_jN6thrust23THRUST_200600_302600_NS6detail15normal_iteratorINSA_10device_ptrIsEEEEPS6_NSA_18transform_iteratorINSA_8identityIsEESF_NSA_11use_defaultESK_EENS0_5tupleIJSF_SF_EEENSM_IJSG_SG_EEES6_PlJS6_EEE10hipError_tPvRmT3_T4_T5_T6_T7_T9_mT8_P12ihipStream_tbDpT10_ENKUlT_T0_E_clISt17integral_constantIbLb0EES18_IbLb1EEEEDaS14_S15_EUlS14_E_NS1_11comp_targetILNS1_3genE0ELNS1_11target_archE4294967295ELNS1_3gpuE0ELNS1_3repE0EEENS1_30default_config_static_selectorELNS0_4arch9wavefront6targetE1EEEvT1_,@function
_ZN7rocprim17ROCPRIM_400000_NS6detail17trampoline_kernelINS0_14default_configENS1_25partition_config_selectorILNS1_17partition_subalgoE1EsNS0_10empty_typeEbEEZZNS1_14partition_implILS5_1ELb0ES3_jN6thrust23THRUST_200600_302600_NS6detail15normal_iteratorINSA_10device_ptrIsEEEEPS6_NSA_18transform_iteratorINSA_8identityIsEESF_NSA_11use_defaultESK_EENS0_5tupleIJSF_SF_EEENSM_IJSG_SG_EEES6_PlJS6_EEE10hipError_tPvRmT3_T4_T5_T6_T7_T9_mT8_P12ihipStream_tbDpT10_ENKUlT_T0_E_clISt17integral_constantIbLb0EES18_IbLb1EEEEDaS14_S15_EUlS14_E_NS1_11comp_targetILNS1_3genE0ELNS1_11target_archE4294967295ELNS1_3gpuE0ELNS1_3repE0EEENS1_30default_config_static_selectorELNS0_4arch9wavefront6targetE1EEEvT1_: ; @_ZN7rocprim17ROCPRIM_400000_NS6detail17trampoline_kernelINS0_14default_configENS1_25partition_config_selectorILNS1_17partition_subalgoE1EsNS0_10empty_typeEbEEZZNS1_14partition_implILS5_1ELb0ES3_jN6thrust23THRUST_200600_302600_NS6detail15normal_iteratorINSA_10device_ptrIsEEEEPS6_NSA_18transform_iteratorINSA_8identityIsEESF_NSA_11use_defaultESK_EENS0_5tupleIJSF_SF_EEENSM_IJSG_SG_EEES6_PlJS6_EEE10hipError_tPvRmT3_T4_T5_T6_T7_T9_mT8_P12ihipStream_tbDpT10_ENKUlT_T0_E_clISt17integral_constantIbLb0EES18_IbLb1EEEEDaS14_S15_EUlS14_E_NS1_11comp_targetILNS1_3genE0ELNS1_11target_archE4294967295ELNS1_3gpuE0ELNS1_3repE0EEENS1_30default_config_static_selectorELNS0_4arch9wavefront6targetE1EEEvT1_
; %bb.0:
	.section	.rodata,"a",@progbits
	.p2align	6, 0x0
	.amdhsa_kernel _ZN7rocprim17ROCPRIM_400000_NS6detail17trampoline_kernelINS0_14default_configENS1_25partition_config_selectorILNS1_17partition_subalgoE1EsNS0_10empty_typeEbEEZZNS1_14partition_implILS5_1ELb0ES3_jN6thrust23THRUST_200600_302600_NS6detail15normal_iteratorINSA_10device_ptrIsEEEEPS6_NSA_18transform_iteratorINSA_8identityIsEESF_NSA_11use_defaultESK_EENS0_5tupleIJSF_SF_EEENSM_IJSG_SG_EEES6_PlJS6_EEE10hipError_tPvRmT3_T4_T5_T6_T7_T9_mT8_P12ihipStream_tbDpT10_ENKUlT_T0_E_clISt17integral_constantIbLb0EES18_IbLb1EEEEDaS14_S15_EUlS14_E_NS1_11comp_targetILNS1_3genE0ELNS1_11target_archE4294967295ELNS1_3gpuE0ELNS1_3repE0EEENS1_30default_config_static_selectorELNS0_4arch9wavefront6targetE1EEEvT1_
		.amdhsa_group_segment_fixed_size 0
		.amdhsa_private_segment_fixed_size 0
		.amdhsa_kernarg_size 144
		.amdhsa_user_sgpr_count 6
		.amdhsa_user_sgpr_private_segment_buffer 1
		.amdhsa_user_sgpr_dispatch_ptr 0
		.amdhsa_user_sgpr_queue_ptr 0
		.amdhsa_user_sgpr_kernarg_segment_ptr 1
		.amdhsa_user_sgpr_dispatch_id 0
		.amdhsa_user_sgpr_flat_scratch_init 0
		.amdhsa_user_sgpr_kernarg_preload_length 0
		.amdhsa_user_sgpr_kernarg_preload_offset 0
		.amdhsa_user_sgpr_private_segment_size 0
		.amdhsa_uses_dynamic_stack 0
		.amdhsa_system_sgpr_private_segment_wavefront_offset 0
		.amdhsa_system_sgpr_workgroup_id_x 1
		.amdhsa_system_sgpr_workgroup_id_y 0
		.amdhsa_system_sgpr_workgroup_id_z 0
		.amdhsa_system_sgpr_workgroup_info 0
		.amdhsa_system_vgpr_workitem_id 0
		.amdhsa_next_free_vgpr 1
		.amdhsa_next_free_sgpr 0
		.amdhsa_accum_offset 4
		.amdhsa_reserve_vcc 0
		.amdhsa_reserve_flat_scratch 0
		.amdhsa_float_round_mode_32 0
		.amdhsa_float_round_mode_16_64 0
		.amdhsa_float_denorm_mode_32 3
		.amdhsa_float_denorm_mode_16_64 3
		.amdhsa_dx10_clamp 1
		.amdhsa_ieee_mode 1
		.amdhsa_fp16_overflow 0
		.amdhsa_tg_split 0
		.amdhsa_exception_fp_ieee_invalid_op 0
		.amdhsa_exception_fp_denorm_src 0
		.amdhsa_exception_fp_ieee_div_zero 0
		.amdhsa_exception_fp_ieee_overflow 0
		.amdhsa_exception_fp_ieee_underflow 0
		.amdhsa_exception_fp_ieee_inexact 0
		.amdhsa_exception_int_div_zero 0
	.end_amdhsa_kernel
	.section	.text._ZN7rocprim17ROCPRIM_400000_NS6detail17trampoline_kernelINS0_14default_configENS1_25partition_config_selectorILNS1_17partition_subalgoE1EsNS0_10empty_typeEbEEZZNS1_14partition_implILS5_1ELb0ES3_jN6thrust23THRUST_200600_302600_NS6detail15normal_iteratorINSA_10device_ptrIsEEEEPS6_NSA_18transform_iteratorINSA_8identityIsEESF_NSA_11use_defaultESK_EENS0_5tupleIJSF_SF_EEENSM_IJSG_SG_EEES6_PlJS6_EEE10hipError_tPvRmT3_T4_T5_T6_T7_T9_mT8_P12ihipStream_tbDpT10_ENKUlT_T0_E_clISt17integral_constantIbLb0EES18_IbLb1EEEEDaS14_S15_EUlS14_E_NS1_11comp_targetILNS1_3genE0ELNS1_11target_archE4294967295ELNS1_3gpuE0ELNS1_3repE0EEENS1_30default_config_static_selectorELNS0_4arch9wavefront6targetE1EEEvT1_,"axG",@progbits,_ZN7rocprim17ROCPRIM_400000_NS6detail17trampoline_kernelINS0_14default_configENS1_25partition_config_selectorILNS1_17partition_subalgoE1EsNS0_10empty_typeEbEEZZNS1_14partition_implILS5_1ELb0ES3_jN6thrust23THRUST_200600_302600_NS6detail15normal_iteratorINSA_10device_ptrIsEEEEPS6_NSA_18transform_iteratorINSA_8identityIsEESF_NSA_11use_defaultESK_EENS0_5tupleIJSF_SF_EEENSM_IJSG_SG_EEES6_PlJS6_EEE10hipError_tPvRmT3_T4_T5_T6_T7_T9_mT8_P12ihipStream_tbDpT10_ENKUlT_T0_E_clISt17integral_constantIbLb0EES18_IbLb1EEEEDaS14_S15_EUlS14_E_NS1_11comp_targetILNS1_3genE0ELNS1_11target_archE4294967295ELNS1_3gpuE0ELNS1_3repE0EEENS1_30default_config_static_selectorELNS0_4arch9wavefront6targetE1EEEvT1_,comdat
.Lfunc_end665:
	.size	_ZN7rocprim17ROCPRIM_400000_NS6detail17trampoline_kernelINS0_14default_configENS1_25partition_config_selectorILNS1_17partition_subalgoE1EsNS0_10empty_typeEbEEZZNS1_14partition_implILS5_1ELb0ES3_jN6thrust23THRUST_200600_302600_NS6detail15normal_iteratorINSA_10device_ptrIsEEEEPS6_NSA_18transform_iteratorINSA_8identityIsEESF_NSA_11use_defaultESK_EENS0_5tupleIJSF_SF_EEENSM_IJSG_SG_EEES6_PlJS6_EEE10hipError_tPvRmT3_T4_T5_T6_T7_T9_mT8_P12ihipStream_tbDpT10_ENKUlT_T0_E_clISt17integral_constantIbLb0EES18_IbLb1EEEEDaS14_S15_EUlS14_E_NS1_11comp_targetILNS1_3genE0ELNS1_11target_archE4294967295ELNS1_3gpuE0ELNS1_3repE0EEENS1_30default_config_static_selectorELNS0_4arch9wavefront6targetE1EEEvT1_, .Lfunc_end665-_ZN7rocprim17ROCPRIM_400000_NS6detail17trampoline_kernelINS0_14default_configENS1_25partition_config_selectorILNS1_17partition_subalgoE1EsNS0_10empty_typeEbEEZZNS1_14partition_implILS5_1ELb0ES3_jN6thrust23THRUST_200600_302600_NS6detail15normal_iteratorINSA_10device_ptrIsEEEEPS6_NSA_18transform_iteratorINSA_8identityIsEESF_NSA_11use_defaultESK_EENS0_5tupleIJSF_SF_EEENSM_IJSG_SG_EEES6_PlJS6_EEE10hipError_tPvRmT3_T4_T5_T6_T7_T9_mT8_P12ihipStream_tbDpT10_ENKUlT_T0_E_clISt17integral_constantIbLb0EES18_IbLb1EEEEDaS14_S15_EUlS14_E_NS1_11comp_targetILNS1_3genE0ELNS1_11target_archE4294967295ELNS1_3gpuE0ELNS1_3repE0EEENS1_30default_config_static_selectorELNS0_4arch9wavefront6targetE1EEEvT1_
                                        ; -- End function
	.section	.AMDGPU.csdata,"",@progbits
; Kernel info:
; codeLenInByte = 0
; NumSgprs: 4
; NumVgprs: 0
; NumAgprs: 0
; TotalNumVgprs: 0
; ScratchSize: 0
; MemoryBound: 0
; FloatMode: 240
; IeeeMode: 1
; LDSByteSize: 0 bytes/workgroup (compile time only)
; SGPRBlocks: 0
; VGPRBlocks: 0
; NumSGPRsForWavesPerEU: 4
; NumVGPRsForWavesPerEU: 1
; AccumOffset: 4
; Occupancy: 8
; WaveLimiterHint : 0
; COMPUTE_PGM_RSRC2:SCRATCH_EN: 0
; COMPUTE_PGM_RSRC2:USER_SGPR: 6
; COMPUTE_PGM_RSRC2:TRAP_HANDLER: 0
; COMPUTE_PGM_RSRC2:TGID_X_EN: 1
; COMPUTE_PGM_RSRC2:TGID_Y_EN: 0
; COMPUTE_PGM_RSRC2:TGID_Z_EN: 0
; COMPUTE_PGM_RSRC2:TIDIG_COMP_CNT: 0
; COMPUTE_PGM_RSRC3_GFX90A:ACCUM_OFFSET: 0
; COMPUTE_PGM_RSRC3_GFX90A:TG_SPLIT: 0
	.section	.text._ZN7rocprim17ROCPRIM_400000_NS6detail17trampoline_kernelINS0_14default_configENS1_25partition_config_selectorILNS1_17partition_subalgoE1EsNS0_10empty_typeEbEEZZNS1_14partition_implILS5_1ELb0ES3_jN6thrust23THRUST_200600_302600_NS6detail15normal_iteratorINSA_10device_ptrIsEEEEPS6_NSA_18transform_iteratorINSA_8identityIsEESF_NSA_11use_defaultESK_EENS0_5tupleIJSF_SF_EEENSM_IJSG_SG_EEES6_PlJS6_EEE10hipError_tPvRmT3_T4_T5_T6_T7_T9_mT8_P12ihipStream_tbDpT10_ENKUlT_T0_E_clISt17integral_constantIbLb0EES18_IbLb1EEEEDaS14_S15_EUlS14_E_NS1_11comp_targetILNS1_3genE5ELNS1_11target_archE942ELNS1_3gpuE9ELNS1_3repE0EEENS1_30default_config_static_selectorELNS0_4arch9wavefront6targetE1EEEvT1_,"axG",@progbits,_ZN7rocprim17ROCPRIM_400000_NS6detail17trampoline_kernelINS0_14default_configENS1_25partition_config_selectorILNS1_17partition_subalgoE1EsNS0_10empty_typeEbEEZZNS1_14partition_implILS5_1ELb0ES3_jN6thrust23THRUST_200600_302600_NS6detail15normal_iteratorINSA_10device_ptrIsEEEEPS6_NSA_18transform_iteratorINSA_8identityIsEESF_NSA_11use_defaultESK_EENS0_5tupleIJSF_SF_EEENSM_IJSG_SG_EEES6_PlJS6_EEE10hipError_tPvRmT3_T4_T5_T6_T7_T9_mT8_P12ihipStream_tbDpT10_ENKUlT_T0_E_clISt17integral_constantIbLb0EES18_IbLb1EEEEDaS14_S15_EUlS14_E_NS1_11comp_targetILNS1_3genE5ELNS1_11target_archE942ELNS1_3gpuE9ELNS1_3repE0EEENS1_30default_config_static_selectorELNS0_4arch9wavefront6targetE1EEEvT1_,comdat
	.protected	_ZN7rocprim17ROCPRIM_400000_NS6detail17trampoline_kernelINS0_14default_configENS1_25partition_config_selectorILNS1_17partition_subalgoE1EsNS0_10empty_typeEbEEZZNS1_14partition_implILS5_1ELb0ES3_jN6thrust23THRUST_200600_302600_NS6detail15normal_iteratorINSA_10device_ptrIsEEEEPS6_NSA_18transform_iteratorINSA_8identityIsEESF_NSA_11use_defaultESK_EENS0_5tupleIJSF_SF_EEENSM_IJSG_SG_EEES6_PlJS6_EEE10hipError_tPvRmT3_T4_T5_T6_T7_T9_mT8_P12ihipStream_tbDpT10_ENKUlT_T0_E_clISt17integral_constantIbLb0EES18_IbLb1EEEEDaS14_S15_EUlS14_E_NS1_11comp_targetILNS1_3genE5ELNS1_11target_archE942ELNS1_3gpuE9ELNS1_3repE0EEENS1_30default_config_static_selectorELNS0_4arch9wavefront6targetE1EEEvT1_ ; -- Begin function _ZN7rocprim17ROCPRIM_400000_NS6detail17trampoline_kernelINS0_14default_configENS1_25partition_config_selectorILNS1_17partition_subalgoE1EsNS0_10empty_typeEbEEZZNS1_14partition_implILS5_1ELb0ES3_jN6thrust23THRUST_200600_302600_NS6detail15normal_iteratorINSA_10device_ptrIsEEEEPS6_NSA_18transform_iteratorINSA_8identityIsEESF_NSA_11use_defaultESK_EENS0_5tupleIJSF_SF_EEENSM_IJSG_SG_EEES6_PlJS6_EEE10hipError_tPvRmT3_T4_T5_T6_T7_T9_mT8_P12ihipStream_tbDpT10_ENKUlT_T0_E_clISt17integral_constantIbLb0EES18_IbLb1EEEEDaS14_S15_EUlS14_E_NS1_11comp_targetILNS1_3genE5ELNS1_11target_archE942ELNS1_3gpuE9ELNS1_3repE0EEENS1_30default_config_static_selectorELNS0_4arch9wavefront6targetE1EEEvT1_
	.globl	_ZN7rocprim17ROCPRIM_400000_NS6detail17trampoline_kernelINS0_14default_configENS1_25partition_config_selectorILNS1_17partition_subalgoE1EsNS0_10empty_typeEbEEZZNS1_14partition_implILS5_1ELb0ES3_jN6thrust23THRUST_200600_302600_NS6detail15normal_iteratorINSA_10device_ptrIsEEEEPS6_NSA_18transform_iteratorINSA_8identityIsEESF_NSA_11use_defaultESK_EENS0_5tupleIJSF_SF_EEENSM_IJSG_SG_EEES6_PlJS6_EEE10hipError_tPvRmT3_T4_T5_T6_T7_T9_mT8_P12ihipStream_tbDpT10_ENKUlT_T0_E_clISt17integral_constantIbLb0EES18_IbLb1EEEEDaS14_S15_EUlS14_E_NS1_11comp_targetILNS1_3genE5ELNS1_11target_archE942ELNS1_3gpuE9ELNS1_3repE0EEENS1_30default_config_static_selectorELNS0_4arch9wavefront6targetE1EEEvT1_
	.p2align	8
	.type	_ZN7rocprim17ROCPRIM_400000_NS6detail17trampoline_kernelINS0_14default_configENS1_25partition_config_selectorILNS1_17partition_subalgoE1EsNS0_10empty_typeEbEEZZNS1_14partition_implILS5_1ELb0ES3_jN6thrust23THRUST_200600_302600_NS6detail15normal_iteratorINSA_10device_ptrIsEEEEPS6_NSA_18transform_iteratorINSA_8identityIsEESF_NSA_11use_defaultESK_EENS0_5tupleIJSF_SF_EEENSM_IJSG_SG_EEES6_PlJS6_EEE10hipError_tPvRmT3_T4_T5_T6_T7_T9_mT8_P12ihipStream_tbDpT10_ENKUlT_T0_E_clISt17integral_constantIbLb0EES18_IbLb1EEEEDaS14_S15_EUlS14_E_NS1_11comp_targetILNS1_3genE5ELNS1_11target_archE942ELNS1_3gpuE9ELNS1_3repE0EEENS1_30default_config_static_selectorELNS0_4arch9wavefront6targetE1EEEvT1_,@function
_ZN7rocprim17ROCPRIM_400000_NS6detail17trampoline_kernelINS0_14default_configENS1_25partition_config_selectorILNS1_17partition_subalgoE1EsNS0_10empty_typeEbEEZZNS1_14partition_implILS5_1ELb0ES3_jN6thrust23THRUST_200600_302600_NS6detail15normal_iteratorINSA_10device_ptrIsEEEEPS6_NSA_18transform_iteratorINSA_8identityIsEESF_NSA_11use_defaultESK_EENS0_5tupleIJSF_SF_EEENSM_IJSG_SG_EEES6_PlJS6_EEE10hipError_tPvRmT3_T4_T5_T6_T7_T9_mT8_P12ihipStream_tbDpT10_ENKUlT_T0_E_clISt17integral_constantIbLb0EES18_IbLb1EEEEDaS14_S15_EUlS14_E_NS1_11comp_targetILNS1_3genE5ELNS1_11target_archE942ELNS1_3gpuE9ELNS1_3repE0EEENS1_30default_config_static_selectorELNS0_4arch9wavefront6targetE1EEEvT1_: ; @_ZN7rocprim17ROCPRIM_400000_NS6detail17trampoline_kernelINS0_14default_configENS1_25partition_config_selectorILNS1_17partition_subalgoE1EsNS0_10empty_typeEbEEZZNS1_14partition_implILS5_1ELb0ES3_jN6thrust23THRUST_200600_302600_NS6detail15normal_iteratorINSA_10device_ptrIsEEEEPS6_NSA_18transform_iteratorINSA_8identityIsEESF_NSA_11use_defaultESK_EENS0_5tupleIJSF_SF_EEENSM_IJSG_SG_EEES6_PlJS6_EEE10hipError_tPvRmT3_T4_T5_T6_T7_T9_mT8_P12ihipStream_tbDpT10_ENKUlT_T0_E_clISt17integral_constantIbLb0EES18_IbLb1EEEEDaS14_S15_EUlS14_E_NS1_11comp_targetILNS1_3genE5ELNS1_11target_archE942ELNS1_3gpuE9ELNS1_3repE0EEENS1_30default_config_static_selectorELNS0_4arch9wavefront6targetE1EEEvT1_
; %bb.0:
	.section	.rodata,"a",@progbits
	.p2align	6, 0x0
	.amdhsa_kernel _ZN7rocprim17ROCPRIM_400000_NS6detail17trampoline_kernelINS0_14default_configENS1_25partition_config_selectorILNS1_17partition_subalgoE1EsNS0_10empty_typeEbEEZZNS1_14partition_implILS5_1ELb0ES3_jN6thrust23THRUST_200600_302600_NS6detail15normal_iteratorINSA_10device_ptrIsEEEEPS6_NSA_18transform_iteratorINSA_8identityIsEESF_NSA_11use_defaultESK_EENS0_5tupleIJSF_SF_EEENSM_IJSG_SG_EEES6_PlJS6_EEE10hipError_tPvRmT3_T4_T5_T6_T7_T9_mT8_P12ihipStream_tbDpT10_ENKUlT_T0_E_clISt17integral_constantIbLb0EES18_IbLb1EEEEDaS14_S15_EUlS14_E_NS1_11comp_targetILNS1_3genE5ELNS1_11target_archE942ELNS1_3gpuE9ELNS1_3repE0EEENS1_30default_config_static_selectorELNS0_4arch9wavefront6targetE1EEEvT1_
		.amdhsa_group_segment_fixed_size 0
		.amdhsa_private_segment_fixed_size 0
		.amdhsa_kernarg_size 144
		.amdhsa_user_sgpr_count 6
		.amdhsa_user_sgpr_private_segment_buffer 1
		.amdhsa_user_sgpr_dispatch_ptr 0
		.amdhsa_user_sgpr_queue_ptr 0
		.amdhsa_user_sgpr_kernarg_segment_ptr 1
		.amdhsa_user_sgpr_dispatch_id 0
		.amdhsa_user_sgpr_flat_scratch_init 0
		.amdhsa_user_sgpr_kernarg_preload_length 0
		.amdhsa_user_sgpr_kernarg_preload_offset 0
		.amdhsa_user_sgpr_private_segment_size 0
		.amdhsa_uses_dynamic_stack 0
		.amdhsa_system_sgpr_private_segment_wavefront_offset 0
		.amdhsa_system_sgpr_workgroup_id_x 1
		.amdhsa_system_sgpr_workgroup_id_y 0
		.amdhsa_system_sgpr_workgroup_id_z 0
		.amdhsa_system_sgpr_workgroup_info 0
		.amdhsa_system_vgpr_workitem_id 0
		.amdhsa_next_free_vgpr 1
		.amdhsa_next_free_sgpr 0
		.amdhsa_accum_offset 4
		.amdhsa_reserve_vcc 0
		.amdhsa_reserve_flat_scratch 0
		.amdhsa_float_round_mode_32 0
		.amdhsa_float_round_mode_16_64 0
		.amdhsa_float_denorm_mode_32 3
		.amdhsa_float_denorm_mode_16_64 3
		.amdhsa_dx10_clamp 1
		.amdhsa_ieee_mode 1
		.amdhsa_fp16_overflow 0
		.amdhsa_tg_split 0
		.amdhsa_exception_fp_ieee_invalid_op 0
		.amdhsa_exception_fp_denorm_src 0
		.amdhsa_exception_fp_ieee_div_zero 0
		.amdhsa_exception_fp_ieee_overflow 0
		.amdhsa_exception_fp_ieee_underflow 0
		.amdhsa_exception_fp_ieee_inexact 0
		.amdhsa_exception_int_div_zero 0
	.end_amdhsa_kernel
	.section	.text._ZN7rocprim17ROCPRIM_400000_NS6detail17trampoline_kernelINS0_14default_configENS1_25partition_config_selectorILNS1_17partition_subalgoE1EsNS0_10empty_typeEbEEZZNS1_14partition_implILS5_1ELb0ES3_jN6thrust23THRUST_200600_302600_NS6detail15normal_iteratorINSA_10device_ptrIsEEEEPS6_NSA_18transform_iteratorINSA_8identityIsEESF_NSA_11use_defaultESK_EENS0_5tupleIJSF_SF_EEENSM_IJSG_SG_EEES6_PlJS6_EEE10hipError_tPvRmT3_T4_T5_T6_T7_T9_mT8_P12ihipStream_tbDpT10_ENKUlT_T0_E_clISt17integral_constantIbLb0EES18_IbLb1EEEEDaS14_S15_EUlS14_E_NS1_11comp_targetILNS1_3genE5ELNS1_11target_archE942ELNS1_3gpuE9ELNS1_3repE0EEENS1_30default_config_static_selectorELNS0_4arch9wavefront6targetE1EEEvT1_,"axG",@progbits,_ZN7rocprim17ROCPRIM_400000_NS6detail17trampoline_kernelINS0_14default_configENS1_25partition_config_selectorILNS1_17partition_subalgoE1EsNS0_10empty_typeEbEEZZNS1_14partition_implILS5_1ELb0ES3_jN6thrust23THRUST_200600_302600_NS6detail15normal_iteratorINSA_10device_ptrIsEEEEPS6_NSA_18transform_iteratorINSA_8identityIsEESF_NSA_11use_defaultESK_EENS0_5tupleIJSF_SF_EEENSM_IJSG_SG_EEES6_PlJS6_EEE10hipError_tPvRmT3_T4_T5_T6_T7_T9_mT8_P12ihipStream_tbDpT10_ENKUlT_T0_E_clISt17integral_constantIbLb0EES18_IbLb1EEEEDaS14_S15_EUlS14_E_NS1_11comp_targetILNS1_3genE5ELNS1_11target_archE942ELNS1_3gpuE9ELNS1_3repE0EEENS1_30default_config_static_selectorELNS0_4arch9wavefront6targetE1EEEvT1_,comdat
.Lfunc_end666:
	.size	_ZN7rocprim17ROCPRIM_400000_NS6detail17trampoline_kernelINS0_14default_configENS1_25partition_config_selectorILNS1_17partition_subalgoE1EsNS0_10empty_typeEbEEZZNS1_14partition_implILS5_1ELb0ES3_jN6thrust23THRUST_200600_302600_NS6detail15normal_iteratorINSA_10device_ptrIsEEEEPS6_NSA_18transform_iteratorINSA_8identityIsEESF_NSA_11use_defaultESK_EENS0_5tupleIJSF_SF_EEENSM_IJSG_SG_EEES6_PlJS6_EEE10hipError_tPvRmT3_T4_T5_T6_T7_T9_mT8_P12ihipStream_tbDpT10_ENKUlT_T0_E_clISt17integral_constantIbLb0EES18_IbLb1EEEEDaS14_S15_EUlS14_E_NS1_11comp_targetILNS1_3genE5ELNS1_11target_archE942ELNS1_3gpuE9ELNS1_3repE0EEENS1_30default_config_static_selectorELNS0_4arch9wavefront6targetE1EEEvT1_, .Lfunc_end666-_ZN7rocprim17ROCPRIM_400000_NS6detail17trampoline_kernelINS0_14default_configENS1_25partition_config_selectorILNS1_17partition_subalgoE1EsNS0_10empty_typeEbEEZZNS1_14partition_implILS5_1ELb0ES3_jN6thrust23THRUST_200600_302600_NS6detail15normal_iteratorINSA_10device_ptrIsEEEEPS6_NSA_18transform_iteratorINSA_8identityIsEESF_NSA_11use_defaultESK_EENS0_5tupleIJSF_SF_EEENSM_IJSG_SG_EEES6_PlJS6_EEE10hipError_tPvRmT3_T4_T5_T6_T7_T9_mT8_P12ihipStream_tbDpT10_ENKUlT_T0_E_clISt17integral_constantIbLb0EES18_IbLb1EEEEDaS14_S15_EUlS14_E_NS1_11comp_targetILNS1_3genE5ELNS1_11target_archE942ELNS1_3gpuE9ELNS1_3repE0EEENS1_30default_config_static_selectorELNS0_4arch9wavefront6targetE1EEEvT1_
                                        ; -- End function
	.section	.AMDGPU.csdata,"",@progbits
; Kernel info:
; codeLenInByte = 0
; NumSgprs: 4
; NumVgprs: 0
; NumAgprs: 0
; TotalNumVgprs: 0
; ScratchSize: 0
; MemoryBound: 0
; FloatMode: 240
; IeeeMode: 1
; LDSByteSize: 0 bytes/workgroup (compile time only)
; SGPRBlocks: 0
; VGPRBlocks: 0
; NumSGPRsForWavesPerEU: 4
; NumVGPRsForWavesPerEU: 1
; AccumOffset: 4
; Occupancy: 8
; WaveLimiterHint : 0
; COMPUTE_PGM_RSRC2:SCRATCH_EN: 0
; COMPUTE_PGM_RSRC2:USER_SGPR: 6
; COMPUTE_PGM_RSRC2:TRAP_HANDLER: 0
; COMPUTE_PGM_RSRC2:TGID_X_EN: 1
; COMPUTE_PGM_RSRC2:TGID_Y_EN: 0
; COMPUTE_PGM_RSRC2:TGID_Z_EN: 0
; COMPUTE_PGM_RSRC2:TIDIG_COMP_CNT: 0
; COMPUTE_PGM_RSRC3_GFX90A:ACCUM_OFFSET: 0
; COMPUTE_PGM_RSRC3_GFX90A:TG_SPLIT: 0
	.section	.text._ZN7rocprim17ROCPRIM_400000_NS6detail17trampoline_kernelINS0_14default_configENS1_25partition_config_selectorILNS1_17partition_subalgoE1EsNS0_10empty_typeEbEEZZNS1_14partition_implILS5_1ELb0ES3_jN6thrust23THRUST_200600_302600_NS6detail15normal_iteratorINSA_10device_ptrIsEEEEPS6_NSA_18transform_iteratorINSA_8identityIsEESF_NSA_11use_defaultESK_EENS0_5tupleIJSF_SF_EEENSM_IJSG_SG_EEES6_PlJS6_EEE10hipError_tPvRmT3_T4_T5_T6_T7_T9_mT8_P12ihipStream_tbDpT10_ENKUlT_T0_E_clISt17integral_constantIbLb0EES18_IbLb1EEEEDaS14_S15_EUlS14_E_NS1_11comp_targetILNS1_3genE4ELNS1_11target_archE910ELNS1_3gpuE8ELNS1_3repE0EEENS1_30default_config_static_selectorELNS0_4arch9wavefront6targetE1EEEvT1_,"axG",@progbits,_ZN7rocprim17ROCPRIM_400000_NS6detail17trampoline_kernelINS0_14default_configENS1_25partition_config_selectorILNS1_17partition_subalgoE1EsNS0_10empty_typeEbEEZZNS1_14partition_implILS5_1ELb0ES3_jN6thrust23THRUST_200600_302600_NS6detail15normal_iteratorINSA_10device_ptrIsEEEEPS6_NSA_18transform_iteratorINSA_8identityIsEESF_NSA_11use_defaultESK_EENS0_5tupleIJSF_SF_EEENSM_IJSG_SG_EEES6_PlJS6_EEE10hipError_tPvRmT3_T4_T5_T6_T7_T9_mT8_P12ihipStream_tbDpT10_ENKUlT_T0_E_clISt17integral_constantIbLb0EES18_IbLb1EEEEDaS14_S15_EUlS14_E_NS1_11comp_targetILNS1_3genE4ELNS1_11target_archE910ELNS1_3gpuE8ELNS1_3repE0EEENS1_30default_config_static_selectorELNS0_4arch9wavefront6targetE1EEEvT1_,comdat
	.protected	_ZN7rocprim17ROCPRIM_400000_NS6detail17trampoline_kernelINS0_14default_configENS1_25partition_config_selectorILNS1_17partition_subalgoE1EsNS0_10empty_typeEbEEZZNS1_14partition_implILS5_1ELb0ES3_jN6thrust23THRUST_200600_302600_NS6detail15normal_iteratorINSA_10device_ptrIsEEEEPS6_NSA_18transform_iteratorINSA_8identityIsEESF_NSA_11use_defaultESK_EENS0_5tupleIJSF_SF_EEENSM_IJSG_SG_EEES6_PlJS6_EEE10hipError_tPvRmT3_T4_T5_T6_T7_T9_mT8_P12ihipStream_tbDpT10_ENKUlT_T0_E_clISt17integral_constantIbLb0EES18_IbLb1EEEEDaS14_S15_EUlS14_E_NS1_11comp_targetILNS1_3genE4ELNS1_11target_archE910ELNS1_3gpuE8ELNS1_3repE0EEENS1_30default_config_static_selectorELNS0_4arch9wavefront6targetE1EEEvT1_ ; -- Begin function _ZN7rocprim17ROCPRIM_400000_NS6detail17trampoline_kernelINS0_14default_configENS1_25partition_config_selectorILNS1_17partition_subalgoE1EsNS0_10empty_typeEbEEZZNS1_14partition_implILS5_1ELb0ES3_jN6thrust23THRUST_200600_302600_NS6detail15normal_iteratorINSA_10device_ptrIsEEEEPS6_NSA_18transform_iteratorINSA_8identityIsEESF_NSA_11use_defaultESK_EENS0_5tupleIJSF_SF_EEENSM_IJSG_SG_EEES6_PlJS6_EEE10hipError_tPvRmT3_T4_T5_T6_T7_T9_mT8_P12ihipStream_tbDpT10_ENKUlT_T0_E_clISt17integral_constantIbLb0EES18_IbLb1EEEEDaS14_S15_EUlS14_E_NS1_11comp_targetILNS1_3genE4ELNS1_11target_archE910ELNS1_3gpuE8ELNS1_3repE0EEENS1_30default_config_static_selectorELNS0_4arch9wavefront6targetE1EEEvT1_
	.globl	_ZN7rocprim17ROCPRIM_400000_NS6detail17trampoline_kernelINS0_14default_configENS1_25partition_config_selectorILNS1_17partition_subalgoE1EsNS0_10empty_typeEbEEZZNS1_14partition_implILS5_1ELb0ES3_jN6thrust23THRUST_200600_302600_NS6detail15normal_iteratorINSA_10device_ptrIsEEEEPS6_NSA_18transform_iteratorINSA_8identityIsEESF_NSA_11use_defaultESK_EENS0_5tupleIJSF_SF_EEENSM_IJSG_SG_EEES6_PlJS6_EEE10hipError_tPvRmT3_T4_T5_T6_T7_T9_mT8_P12ihipStream_tbDpT10_ENKUlT_T0_E_clISt17integral_constantIbLb0EES18_IbLb1EEEEDaS14_S15_EUlS14_E_NS1_11comp_targetILNS1_3genE4ELNS1_11target_archE910ELNS1_3gpuE8ELNS1_3repE0EEENS1_30default_config_static_selectorELNS0_4arch9wavefront6targetE1EEEvT1_
	.p2align	8
	.type	_ZN7rocprim17ROCPRIM_400000_NS6detail17trampoline_kernelINS0_14default_configENS1_25partition_config_selectorILNS1_17partition_subalgoE1EsNS0_10empty_typeEbEEZZNS1_14partition_implILS5_1ELb0ES3_jN6thrust23THRUST_200600_302600_NS6detail15normal_iteratorINSA_10device_ptrIsEEEEPS6_NSA_18transform_iteratorINSA_8identityIsEESF_NSA_11use_defaultESK_EENS0_5tupleIJSF_SF_EEENSM_IJSG_SG_EEES6_PlJS6_EEE10hipError_tPvRmT3_T4_T5_T6_T7_T9_mT8_P12ihipStream_tbDpT10_ENKUlT_T0_E_clISt17integral_constantIbLb0EES18_IbLb1EEEEDaS14_S15_EUlS14_E_NS1_11comp_targetILNS1_3genE4ELNS1_11target_archE910ELNS1_3gpuE8ELNS1_3repE0EEENS1_30default_config_static_selectorELNS0_4arch9wavefront6targetE1EEEvT1_,@function
_ZN7rocprim17ROCPRIM_400000_NS6detail17trampoline_kernelINS0_14default_configENS1_25partition_config_selectorILNS1_17partition_subalgoE1EsNS0_10empty_typeEbEEZZNS1_14partition_implILS5_1ELb0ES3_jN6thrust23THRUST_200600_302600_NS6detail15normal_iteratorINSA_10device_ptrIsEEEEPS6_NSA_18transform_iteratorINSA_8identityIsEESF_NSA_11use_defaultESK_EENS0_5tupleIJSF_SF_EEENSM_IJSG_SG_EEES6_PlJS6_EEE10hipError_tPvRmT3_T4_T5_T6_T7_T9_mT8_P12ihipStream_tbDpT10_ENKUlT_T0_E_clISt17integral_constantIbLb0EES18_IbLb1EEEEDaS14_S15_EUlS14_E_NS1_11comp_targetILNS1_3genE4ELNS1_11target_archE910ELNS1_3gpuE8ELNS1_3repE0EEENS1_30default_config_static_selectorELNS0_4arch9wavefront6targetE1EEEvT1_: ; @_ZN7rocprim17ROCPRIM_400000_NS6detail17trampoline_kernelINS0_14default_configENS1_25partition_config_selectorILNS1_17partition_subalgoE1EsNS0_10empty_typeEbEEZZNS1_14partition_implILS5_1ELb0ES3_jN6thrust23THRUST_200600_302600_NS6detail15normal_iteratorINSA_10device_ptrIsEEEEPS6_NSA_18transform_iteratorINSA_8identityIsEESF_NSA_11use_defaultESK_EENS0_5tupleIJSF_SF_EEENSM_IJSG_SG_EEES6_PlJS6_EEE10hipError_tPvRmT3_T4_T5_T6_T7_T9_mT8_P12ihipStream_tbDpT10_ENKUlT_T0_E_clISt17integral_constantIbLb0EES18_IbLb1EEEEDaS14_S15_EUlS14_E_NS1_11comp_targetILNS1_3genE4ELNS1_11target_archE910ELNS1_3gpuE8ELNS1_3repE0EEENS1_30default_config_static_selectorELNS0_4arch9wavefront6targetE1EEEvT1_
; %bb.0:
	s_load_dwordx2 s[6:7], s[4:5], 0x20
	s_load_dwordx4 s[20:23], s[4:5], 0x50
	s_load_dwordx2 s[2:3], s[4:5], 0x60
	s_load_dwordx2 s[30:31], s[4:5], 0x70
	v_cmp_eq_u32_e64 s[0:1], 0, v0
	s_and_saveexec_b64 s[8:9], s[0:1]
	s_cbranch_execz .LBB667_4
; %bb.1:
	s_mov_b64 s[12:13], exec
	v_mbcnt_lo_u32_b32 v1, s12, 0
	v_mbcnt_hi_u32_b32 v1, s13, v1
	v_cmp_eq_u32_e32 vcc, 0, v1
                                        ; implicit-def: $vgpr2
	s_and_saveexec_b64 s[10:11], vcc
	s_cbranch_execz .LBB667_3
; %bb.2:
	s_load_dwordx2 s[14:15], s[4:5], 0x80
	s_bcnt1_i32_b64 s12, s[12:13]
	v_mov_b32_e32 v2, 0
	v_mov_b32_e32 v3, s12
	s_waitcnt lgkmcnt(0)
	global_atomic_add v2, v2, v3, s[14:15] glc
.LBB667_3:
	s_or_b64 exec, exec, s[10:11]
	s_waitcnt vmcnt(0)
	v_readfirstlane_b32 s10, v2
	v_add_u32_e32 v1, s10, v1
	v_mov_b32_e32 v2, 0
	ds_write_b32 v2, v1
.LBB667_4:
	s_or_b64 exec, exec, s[8:9]
	v_mov_b32_e32 v3, 0
	s_load_dwordx4 s[16:19], s[4:5], 0x8
	s_load_dwordx4 s[24:27], s[4:5], 0x30
	s_load_dword s8, s[4:5], 0x78
	s_waitcnt lgkmcnt(0)
	s_barrier
	ds_read_b32 v1, v3
	s_waitcnt lgkmcnt(0)
	s_barrier
	global_load_dwordx2 v[10:11], v3, s[22:23]
	v_mov_b32_e32 v5, s3
	s_lshl_b64 s[4:5], s[18:19], 1
	s_movk_i32 s3, 0x1400
	s_add_u32 s9, s16, s4
	v_mul_lo_u32 v2, v1, s3
	s_mul_i32 s3, s8, 0x1400
	s_addc_u32 s10, s17, s5
	s_add_i32 s11, s8, -1
	s_add_i32 s8, s3, s18
	s_sub_i32 s33, s2, s8
	s_addk_i32 s33, 0x1400
	v_mov_b32_e32 v4, s2
	s_add_u32 s2, s18, s3
	v_readfirstlane_b32 s40, v1
	s_addc_u32 s3, s19, 0
	s_cmp_eq_u32 s40, s11
	s_cselect_b64 s[22:23], -1, 0
	s_cmp_lg_u32 s40, s11
	v_cmp_lt_u64_e32 vcc, s[2:3], v[4:5]
	s_cselect_b64 s[2:3], -1, 0
	v_lshlrev_b64 v[12:13], 1, v[2:3]
	s_or_b64 s[28:29], vcc, s[2:3]
	v_mov_b32_e32 v2, s10
	v_add_co_u32_e32 v1, vcc, s9, v12
	v_addc_co_u32_e32 v2, vcc, v2, v13, vcc
	s_mov_b64 s[2:3], -1
	s_and_b64 vcc, exec, s[28:29]
	v_lshlrev_b32_e32 v30, 1, v0
	s_cbranch_vccz .LBB667_6
; %bb.5:
	v_add_co_u32_e32 v4, vcc, v1, v30
	v_addc_co_u32_e32 v5, vcc, 0, v2, vcc
	v_add_co_u32_e32 v6, vcc, 0x1000, v4
	v_addc_co_u32_e32 v7, vcc, 0, v5, vcc
	flat_load_ushort v3, v[4:5]
	flat_load_ushort v8, v[4:5] offset:512
	flat_load_ushort v9, v[4:5] offset:1024
	;; [unrolled: 1-line block ×7, first 2 shown]
	v_add_co_u32_e32 v4, vcc, 0x2000, v4
	v_addc_co_u32_e32 v5, vcc, 0, v5, vcc
	flat_load_ushort v19, v[6:7]
	flat_load_ushort v20, v[6:7] offset:512
	flat_load_ushort v21, v[6:7] offset:1024
	;; [unrolled: 1-line block ×7, first 2 shown]
	s_nop 0
	flat_load_ushort v6, v[4:5]
	flat_load_ushort v7, v[4:5] offset:512
	flat_load_ushort v27, v[4:5] offset:1024
	;; [unrolled: 1-line block ×3, first 2 shown]
	s_mov_b64 s[2:3], 0
	s_waitcnt vmcnt(0) lgkmcnt(0)
	ds_write_b16 v30, v3
	ds_write_b16 v30, v8 offset:512
	ds_write_b16 v30, v9 offset:1024
	ds_write_b16 v30, v14 offset:1536
	ds_write_b16 v30, v15 offset:2048
	ds_write_b16 v30, v16 offset:2560
	ds_write_b16 v30, v17 offset:3072
	ds_write_b16 v30, v18 offset:3584
	ds_write_b16 v30, v19 offset:4096
	ds_write_b16 v30, v20 offset:4608
	ds_write_b16 v30, v21 offset:5120
	ds_write_b16 v30, v22 offset:5632
	ds_write_b16 v30, v23 offset:6144
	ds_write_b16 v30, v24 offset:6656
	ds_write_b16 v30, v25 offset:7168
	ds_write_b16 v30, v26 offset:7680
	ds_write_b16 v30, v6 offset:8192
	ds_write_b16 v30, v7 offset:8704
	ds_write_b16 v30, v27 offset:9216
	ds_write_b16 v30, v28 offset:9728
	s_waitcnt lgkmcnt(0)
	s_barrier
.LBB667_6:
	s_andn2_b64 vcc, exec, s[2:3]
	v_cmp_gt_u32_e64 s[2:3], s33, v0
	s_cbranch_vccnz .LBB667_48
; %bb.7:
                                        ; implicit-def: $vgpr3
	s_and_saveexec_b64 s[8:9], s[2:3]
	s_cbranch_execz .LBB667_9
; %bb.8:
	v_add_co_u32_e32 v4, vcc, v1, v30
	v_addc_co_u32_e32 v5, vcc, 0, v2, vcc
	flat_load_ushort v3, v[4:5]
.LBB667_9:
	s_or_b64 exec, exec, s[8:9]
	v_or_b32_e32 v4, 0x100, v0
	v_cmp_gt_u32_e32 vcc, s33, v4
                                        ; implicit-def: $vgpr4
	s_and_saveexec_b64 s[2:3], vcc
	s_cbranch_execz .LBB667_11
; %bb.10:
	v_add_co_u32_e32 v4, vcc, v1, v30
	v_addc_co_u32_e32 v5, vcc, 0, v2, vcc
	flat_load_ushort v4, v[4:5] offset:512
.LBB667_11:
	s_or_b64 exec, exec, s[2:3]
	v_or_b32_e32 v5, 0x200, v0
	v_cmp_gt_u32_e32 vcc, s33, v5
                                        ; implicit-def: $vgpr5
	s_and_saveexec_b64 s[2:3], vcc
	s_cbranch_execz .LBB667_13
; %bb.12:
	v_add_co_u32_e32 v6, vcc, v1, v30
	v_addc_co_u32_e32 v7, vcc, 0, v2, vcc
	flat_load_ushort v5, v[6:7] offset:1024
.LBB667_13:
	s_or_b64 exec, exec, s[2:3]
	v_or_b32_e32 v6, 0x300, v0
	v_cmp_gt_u32_e32 vcc, s33, v6
                                        ; implicit-def: $vgpr6
	s_and_saveexec_b64 s[2:3], vcc
	s_cbranch_execz .LBB667_15
; %bb.14:
	v_add_co_u32_e32 v6, vcc, v1, v30
	v_addc_co_u32_e32 v7, vcc, 0, v2, vcc
	flat_load_ushort v6, v[6:7] offset:1536
.LBB667_15:
	s_or_b64 exec, exec, s[2:3]
	v_or_b32_e32 v7, 0x400, v0
	v_cmp_gt_u32_e32 vcc, s33, v7
                                        ; implicit-def: $vgpr7
	s_and_saveexec_b64 s[2:3], vcc
	s_cbranch_execz .LBB667_17
; %bb.16:
	v_add_co_u32_e32 v8, vcc, v1, v30
	v_addc_co_u32_e32 v9, vcc, 0, v2, vcc
	flat_load_ushort v7, v[8:9] offset:2048
.LBB667_17:
	s_or_b64 exec, exec, s[2:3]
	v_or_b32_e32 v8, 0x500, v0
	v_cmp_gt_u32_e32 vcc, s33, v8
                                        ; implicit-def: $vgpr8
	s_and_saveexec_b64 s[2:3], vcc
	s_cbranch_execz .LBB667_19
; %bb.18:
	v_add_co_u32_e32 v8, vcc, v1, v30
	v_addc_co_u32_e32 v9, vcc, 0, v2, vcc
	flat_load_ushort v8, v[8:9] offset:2560
.LBB667_19:
	s_or_b64 exec, exec, s[2:3]
	v_or_b32_e32 v9, 0x600, v0
	v_cmp_gt_u32_e32 vcc, s33, v9
                                        ; implicit-def: $vgpr9
	s_and_saveexec_b64 s[2:3], vcc
	s_cbranch_execz .LBB667_21
; %bb.20:
	v_add_co_u32_e32 v14, vcc, v1, v30
	v_addc_co_u32_e32 v15, vcc, 0, v2, vcc
	flat_load_ushort v9, v[14:15] offset:3072
.LBB667_21:
	s_or_b64 exec, exec, s[2:3]
	v_or_b32_e32 v14, 0x700, v0
	v_cmp_gt_u32_e32 vcc, s33, v14
                                        ; implicit-def: $vgpr14
	s_and_saveexec_b64 s[2:3], vcc
	s_cbranch_execz .LBB667_23
; %bb.22:
	v_add_co_u32_e32 v14, vcc, v1, v30
	v_addc_co_u32_e32 v15, vcc, 0, v2, vcc
	flat_load_ushort v14, v[14:15] offset:3584
.LBB667_23:
	s_or_b64 exec, exec, s[2:3]
	v_or_b32_e32 v16, 0x800, v0
	v_cmp_gt_u32_e32 vcc, s33, v16
                                        ; implicit-def: $vgpr15
	s_and_saveexec_b64 s[2:3], vcc
	s_cbranch_execz .LBB667_25
; %bb.24:
	v_lshlrev_b32_e32 v15, 1, v16
	v_add_co_u32_e32 v16, vcc, v1, v15
	v_addc_co_u32_e32 v17, vcc, 0, v2, vcc
	flat_load_ushort v15, v[16:17]
.LBB667_25:
	s_or_b64 exec, exec, s[2:3]
	v_or_b32_e32 v17, 0x900, v0
	v_cmp_gt_u32_e32 vcc, s33, v17
                                        ; implicit-def: $vgpr16
	s_and_saveexec_b64 s[2:3], vcc
	s_cbranch_execz .LBB667_27
; %bb.26:
	v_lshlrev_b32_e32 v16, 1, v17
	v_add_co_u32_e32 v16, vcc, v1, v16
	v_addc_co_u32_e32 v17, vcc, 0, v2, vcc
	flat_load_ushort v16, v[16:17]
.LBB667_27:
	s_or_b64 exec, exec, s[2:3]
	v_or_b32_e32 v18, 0xa00, v0
	v_cmp_gt_u32_e32 vcc, s33, v18
                                        ; implicit-def: $vgpr17
	s_and_saveexec_b64 s[2:3], vcc
	s_cbranch_execz .LBB667_29
; %bb.28:
	v_lshlrev_b32_e32 v17, 1, v18
	v_add_co_u32_e32 v18, vcc, v1, v17
	v_addc_co_u32_e32 v19, vcc, 0, v2, vcc
	flat_load_ushort v17, v[18:19]
.LBB667_29:
	s_or_b64 exec, exec, s[2:3]
	v_or_b32_e32 v19, 0xb00, v0
	v_cmp_gt_u32_e32 vcc, s33, v19
                                        ; implicit-def: $vgpr18
	s_and_saveexec_b64 s[2:3], vcc
	s_cbranch_execz .LBB667_31
; %bb.30:
	v_lshlrev_b32_e32 v18, 1, v19
	v_add_co_u32_e32 v18, vcc, v1, v18
	v_addc_co_u32_e32 v19, vcc, 0, v2, vcc
	flat_load_ushort v18, v[18:19]
.LBB667_31:
	s_or_b64 exec, exec, s[2:3]
	v_or_b32_e32 v20, 0xc00, v0
	v_cmp_gt_u32_e32 vcc, s33, v20
                                        ; implicit-def: $vgpr19
	s_and_saveexec_b64 s[2:3], vcc
	s_cbranch_execz .LBB667_33
; %bb.32:
	v_lshlrev_b32_e32 v19, 1, v20
	v_add_co_u32_e32 v20, vcc, v1, v19
	v_addc_co_u32_e32 v21, vcc, 0, v2, vcc
	flat_load_ushort v19, v[20:21]
.LBB667_33:
	s_or_b64 exec, exec, s[2:3]
	v_or_b32_e32 v21, 0xd00, v0
	v_cmp_gt_u32_e32 vcc, s33, v21
                                        ; implicit-def: $vgpr20
	s_and_saveexec_b64 s[2:3], vcc
	s_cbranch_execz .LBB667_35
; %bb.34:
	v_lshlrev_b32_e32 v20, 1, v21
	v_add_co_u32_e32 v20, vcc, v1, v20
	v_addc_co_u32_e32 v21, vcc, 0, v2, vcc
	flat_load_ushort v20, v[20:21]
.LBB667_35:
	s_or_b64 exec, exec, s[2:3]
	v_or_b32_e32 v22, 0xe00, v0
	v_cmp_gt_u32_e32 vcc, s33, v22
                                        ; implicit-def: $vgpr21
	s_and_saveexec_b64 s[2:3], vcc
	s_cbranch_execz .LBB667_37
; %bb.36:
	v_lshlrev_b32_e32 v21, 1, v22
	v_add_co_u32_e32 v22, vcc, v1, v21
	v_addc_co_u32_e32 v23, vcc, 0, v2, vcc
	flat_load_ushort v21, v[22:23]
.LBB667_37:
	s_or_b64 exec, exec, s[2:3]
	v_or_b32_e32 v23, 0xf00, v0
	v_cmp_gt_u32_e32 vcc, s33, v23
                                        ; implicit-def: $vgpr22
	s_and_saveexec_b64 s[2:3], vcc
	s_cbranch_execz .LBB667_39
; %bb.38:
	v_lshlrev_b32_e32 v22, 1, v23
	v_add_co_u32_e32 v22, vcc, v1, v22
	v_addc_co_u32_e32 v23, vcc, 0, v2, vcc
	flat_load_ushort v22, v[22:23]
.LBB667_39:
	s_or_b64 exec, exec, s[2:3]
	v_or_b32_e32 v24, 0x1000, v0
	v_cmp_gt_u32_e32 vcc, s33, v24
                                        ; implicit-def: $vgpr23
	s_and_saveexec_b64 s[2:3], vcc
	s_cbranch_execz .LBB667_41
; %bb.40:
	v_lshlrev_b32_e32 v23, 1, v24
	v_add_co_u32_e32 v24, vcc, v1, v23
	v_addc_co_u32_e32 v25, vcc, 0, v2, vcc
	flat_load_ushort v23, v[24:25]
.LBB667_41:
	s_or_b64 exec, exec, s[2:3]
	v_or_b32_e32 v25, 0x1100, v0
	v_cmp_gt_u32_e32 vcc, s33, v25
                                        ; implicit-def: $vgpr24
	s_and_saveexec_b64 s[2:3], vcc
	s_cbranch_execz .LBB667_43
; %bb.42:
	v_lshlrev_b32_e32 v24, 1, v25
	v_add_co_u32_e32 v24, vcc, v1, v24
	v_addc_co_u32_e32 v25, vcc, 0, v2, vcc
	flat_load_ushort v24, v[24:25]
.LBB667_43:
	s_or_b64 exec, exec, s[2:3]
	v_or_b32_e32 v26, 0x1200, v0
	v_cmp_gt_u32_e32 vcc, s33, v26
                                        ; implicit-def: $vgpr25
	s_and_saveexec_b64 s[2:3], vcc
	s_cbranch_execz .LBB667_45
; %bb.44:
	v_lshlrev_b32_e32 v25, 1, v26
	v_add_co_u32_e32 v26, vcc, v1, v25
	v_addc_co_u32_e32 v27, vcc, 0, v2, vcc
	flat_load_ushort v25, v[26:27]
.LBB667_45:
	s_or_b64 exec, exec, s[2:3]
	v_or_b32_e32 v27, 0x1300, v0
	v_cmp_gt_u32_e32 vcc, s33, v27
                                        ; implicit-def: $vgpr26
	s_and_saveexec_b64 s[2:3], vcc
	s_cbranch_execz .LBB667_47
; %bb.46:
	v_lshlrev_b32_e32 v26, 1, v27
	v_add_co_u32_e32 v26, vcc, v1, v26
	v_addc_co_u32_e32 v27, vcc, 0, v2, vcc
	flat_load_ushort v26, v[26:27]
.LBB667_47:
	s_or_b64 exec, exec, s[2:3]
	s_waitcnt vmcnt(0) lgkmcnt(0)
	ds_write_b16 v30, v3
	ds_write_b16 v30, v4 offset:512
	ds_write_b16 v30, v5 offset:1024
	;; [unrolled: 1-line block ×19, first 2 shown]
	s_waitcnt lgkmcnt(0)
	s_barrier
.LBB667_48:
	v_mul_u32_u24_e32 v31, 20, v0
	v_lshlrev_b32_e32 v1, 1, v31
	ds_read_b64 v[14:15], v1 offset:32
	ds_read2_b64 v[2:5], v1 offset0:2 offset1:3
	ds_read2_b64 v[6:9], v1 offset1:1
	s_add_u32 s2, s6, s4
	s_addc_u32 s3, s7, s5
	v_mov_b32_e32 v1, s3
	v_add_co_u32_e32 v16, vcc, s2, v12
	v_addc_co_u32_e32 v1, vcc, v1, v13, vcc
	s_mov_b64 s[2:3], -1
	s_and_b64 vcc, exec, s[28:29]
	s_waitcnt lgkmcnt(0)
	s_barrier
	s_cbranch_vccz .LBB667_50
; %bb.49:
	v_add_co_u32_e32 v17, vcc, v16, v30
	v_readfirstlane_b32 s2, v16
	v_readfirstlane_b32 s3, v1
	v_addc_co_u32_e32 v21, vcc, 0, v1, vcc
	s_nop 3
	global_load_ushort v22, v30, s[2:3]
	global_load_ushort v23, v30, s[2:3] offset:512
	global_load_ushort v24, v30, s[2:3] offset:1024
	;; [unrolled: 1-line block ×7, first 2 shown]
	s_movk_i32 s3, 0x2000
	v_add_co_u32_e32 v18, vcc, s3, v17
	v_addc_co_u32_e32 v19, vcc, 0, v21, vcc
	global_load_ushort v32, v[18:19], off offset:-4096
	s_movk_i32 s2, 0x1000
	v_add_co_u32_e32 v20, vcc, s2, v17
	v_addc_co_u32_e32 v21, vcc, 0, v21, vcc
	global_load_ushort v17, v[20:21], off offset:512
	global_load_ushort v33, v[20:21], off offset:1024
	global_load_ushort v34, v[20:21], off offset:1536
	global_load_ushort v35, v[20:21], off offset:2048
	global_load_ushort v36, v[20:21], off offset:2560
	global_load_ushort v37, v[20:21], off offset:3072
	global_load_ushort v38, v[20:21], off offset:3584
	global_load_ushort v39, v[18:19], off
	global_load_ushort v40, v[18:19], off offset:512
	global_load_ushort v41, v[18:19], off offset:1024
	;; [unrolled: 1-line block ×3, first 2 shown]
	s_mov_b64 s[2:3], 0
	s_waitcnt vmcnt(19)
	v_cmp_ne_u16_e32 vcc, 0, v22
	v_cndmask_b32_e64 v18, 0, 1, vcc
	s_waitcnt vmcnt(18)
	v_cmp_ne_u16_e32 vcc, 0, v23
	v_cndmask_b32_e64 v19, 0, 1, vcc
	;; [unrolled: 3-line block ×20, first 2 shown]
	ds_write_b8 v0, v18
	ds_write_b8 v0, v19 offset:256
	ds_write_b8 v0, v20 offset:512
	;; [unrolled: 1-line block ×19, first 2 shown]
	s_waitcnt lgkmcnt(0)
	s_barrier
.LBB667_50:
	s_andn2_b64 vcc, exec, s[2:3]
	s_cbranch_vccnz .LBB667_92
; %bb.51:
	v_cmp_gt_u32_e32 vcc, s33, v0
	v_mov_b32_e32 v17, 0
	v_mov_b32_e32 v18, 0
	s_and_saveexec_b64 s[2:3], vcc
	s_cbranch_execz .LBB667_53
; %bb.52:
	v_readfirstlane_b32 s4, v16
	v_readfirstlane_b32 s5, v1
	s_nop 4
	global_load_ushort v18, v30, s[4:5]
	s_waitcnt vmcnt(0)
	v_cmp_ne_u16_e32 vcc, 0, v18
	v_cndmask_b32_e64 v18, 0, 1, vcc
.LBB667_53:
	s_or_b64 exec, exec, s[2:3]
	v_or_b32_e32 v19, 0x100, v0
	v_cmp_gt_u32_e32 vcc, s33, v19
	s_and_saveexec_b64 s[2:3], vcc
	s_cbranch_execz .LBB667_55
; %bb.54:
	v_readfirstlane_b32 s4, v16
	v_readfirstlane_b32 s5, v1
	s_nop 4
	global_load_ushort v17, v30, s[4:5] offset:512
	s_waitcnt vmcnt(0)
	v_cmp_ne_u16_e32 vcc, 0, v17
	v_cndmask_b32_e64 v17, 0, 1, vcc
.LBB667_55:
	s_or_b64 exec, exec, s[2:3]
	v_or_b32_e32 v19, 0x200, v0
	v_cmp_gt_u32_e32 vcc, s33, v19
	v_mov_b32_e32 v19, 0
	v_mov_b32_e32 v20, 0
	s_and_saveexec_b64 s[2:3], vcc
	s_cbranch_execz .LBB667_57
; %bb.56:
	v_readfirstlane_b32 s4, v16
	v_readfirstlane_b32 s5, v1
	s_nop 4
	global_load_ushort v20, v30, s[4:5] offset:1024
	s_waitcnt vmcnt(0)
	v_cmp_ne_u16_e32 vcc, 0, v20
	v_cndmask_b32_e64 v20, 0, 1, vcc
.LBB667_57:
	s_or_b64 exec, exec, s[2:3]
	v_or_b32_e32 v21, 0x300, v0
	v_cmp_gt_u32_e32 vcc, s33, v21
	s_and_saveexec_b64 s[2:3], vcc
	s_cbranch_execz .LBB667_59
; %bb.58:
	v_readfirstlane_b32 s4, v16
	v_readfirstlane_b32 s5, v1
	s_nop 4
	global_load_ushort v19, v30, s[4:5] offset:1536
	s_waitcnt vmcnt(0)
	v_cmp_ne_u16_e32 vcc, 0, v19
	v_cndmask_b32_e64 v19, 0, 1, vcc
.LBB667_59:
	s_or_b64 exec, exec, s[2:3]
	v_or_b32_e32 v21, 0x400, v0
	v_cmp_gt_u32_e32 vcc, s33, v21
	v_mov_b32_e32 v21, 0
	v_mov_b32_e32 v22, 0
	s_and_saveexec_b64 s[2:3], vcc
	s_cbranch_execz .LBB667_61
; %bb.60:
	v_readfirstlane_b32 s4, v16
	v_readfirstlane_b32 s5, v1
	s_nop 4
	global_load_ushort v22, v30, s[4:5] offset:2048
	s_waitcnt vmcnt(0)
	v_cmp_ne_u16_e32 vcc, 0, v22
	v_cndmask_b32_e64 v22, 0, 1, vcc
.LBB667_61:
	;; [unrolled: 30-line block ×3, first 2 shown]
	s_or_b64 exec, exec, s[2:3]
	v_or_b32_e32 v25, 0x700, v0
	v_cmp_gt_u32_e32 vcc, s33, v25
	s_and_saveexec_b64 s[2:3], vcc
	s_cbranch_execz .LBB667_67
; %bb.66:
	v_readfirstlane_b32 s4, v16
	v_readfirstlane_b32 s5, v1
	s_nop 4
	global_load_ushort v23, v30, s[4:5] offset:3584
	s_waitcnt vmcnt(0)
	v_cmp_ne_u16_e32 vcc, 0, v23
	v_cndmask_b32_e64 v23, 0, 1, vcc
.LBB667_67:
	s_or_b64 exec, exec, s[2:3]
	v_or_b32_e32 v27, 0x800, v0
	v_cmp_gt_u32_e32 vcc, s33, v27
	v_mov_b32_e32 v25, 0
	v_mov_b32_e32 v26, 0
	s_and_saveexec_b64 s[2:3], vcc
	s_cbranch_execz .LBB667_69
; %bb.68:
	v_lshlrev_b32_e32 v26, 1, v27
	v_readfirstlane_b32 s4, v16
	v_readfirstlane_b32 s5, v1
	s_nop 4
	global_load_ushort v26, v26, s[4:5]
	s_waitcnt vmcnt(0)
	v_cmp_ne_u16_e32 vcc, 0, v26
	v_cndmask_b32_e64 v26, 0, 1, vcc
.LBB667_69:
	s_or_b64 exec, exec, s[2:3]
	v_or_b32_e32 v27, 0x900, v0
	v_cmp_gt_u32_e32 vcc, s33, v27
	s_and_saveexec_b64 s[2:3], vcc
	s_cbranch_execz .LBB667_71
; %bb.70:
	v_lshlrev_b32_e32 v25, 1, v27
	v_readfirstlane_b32 s4, v16
	v_readfirstlane_b32 s5, v1
	s_nop 4
	global_load_ushort v25, v25, s[4:5]
	s_waitcnt vmcnt(0)
	v_cmp_ne_u16_e32 vcc, 0, v25
	v_cndmask_b32_e64 v25, 0, 1, vcc
.LBB667_71:
	s_or_b64 exec, exec, s[2:3]
	v_or_b32_e32 v29, 0xa00, v0
	v_cmp_gt_u32_e32 vcc, s33, v29
	v_mov_b32_e32 v27, 0
	v_mov_b32_e32 v28, 0
	s_and_saveexec_b64 s[2:3], vcc
	s_cbranch_execz .LBB667_73
; %bb.72:
	v_lshlrev_b32_e32 v28, 1, v29
	v_readfirstlane_b32 s4, v16
	v_readfirstlane_b32 s5, v1
	s_nop 4
	global_load_ushort v28, v28, s[4:5]
	s_waitcnt vmcnt(0)
	v_cmp_ne_u16_e32 vcc, 0, v28
	v_cndmask_b32_e64 v28, 0, 1, vcc
.LBB667_73:
	s_or_b64 exec, exec, s[2:3]
	v_or_b32_e32 v29, 0xb00, v0
	v_cmp_gt_u32_e32 vcc, s33, v29
	s_and_saveexec_b64 s[2:3], vcc
	s_cbranch_execz .LBB667_75
; %bb.74:
	v_lshlrev_b32_e32 v27, 1, v29
	v_readfirstlane_b32 s4, v16
	v_readfirstlane_b32 s5, v1
	s_nop 4
	global_load_ushort v27, v27, s[4:5]
	s_waitcnt vmcnt(0)
	v_cmp_ne_u16_e32 vcc, 0, v27
	v_cndmask_b32_e64 v27, 0, 1, vcc
.LBB667_75:
	;; [unrolled: 32-line block ×6, first 2 shown]
	s_or_b64 exec, exec, s[2:3]
	ds_write_b8 v0, v18
	ds_write_b8 v0, v17 offset:256
	ds_write_b8 v0, v20 offset:512
	ds_write_b8 v0, v19 offset:768
	ds_write_b8 v0, v22 offset:1024
	ds_write_b8 v0, v21 offset:1280
	ds_write_b8 v0, v24 offset:1536
	ds_write_b8 v0, v23 offset:1792
	ds_write_b8 v0, v26 offset:2048
	ds_write_b8 v0, v25 offset:2304
	ds_write_b8 v0, v28 offset:2560
	ds_write_b8 v0, v27 offset:2816
	ds_write_b8 v0, v32 offset:3072
	ds_write_b8 v0, v29 offset:3328
	ds_write_b8 v0, v34 offset:3584
	ds_write_b8 v0, v33 offset:3840
	ds_write_b8 v0, v36 offset:4096
	ds_write_b8 v0, v35 offset:4352
	ds_write_b8 v0, v38 offset:4608
	ds_write_b8 v0, v37 offset:4864
	s_waitcnt lgkmcnt(0)
	s_barrier
.LBB667_92:
	ds_read2_b32 v[20:21], v31 offset1:1
	ds_read2_b32 v[18:19], v31 offset0:2 offset1:3
	ds_read_b32 v32, v31 offset:16
	s_cmp_lg_u32 s40, 0
	v_lshrrev_b32_e32 v51, 6, v0
	s_waitcnt lgkmcnt(2)
	v_lshrrev_b32_e32 v37, 24, v20
	v_bfe_u32 v49, v20, 16, 8
	v_add_u32_sdwa v16, v20, v20 dst_sel:DWORD dst_unused:UNUSED_PAD src0_sel:BYTE_1 src1_sel:BYTE_0
	v_and_b32_e32 v46, 0xff, v21
	v_bfe_u32 v47, v21, 8, 8
	v_add3_u32 v16, v16, v49, v37
	v_lshrrev_b32_e32 v36, 24, v21
	v_bfe_u32 v48, v21, 16, 8
	v_add3_u32 v16, v16, v46, v47
	s_waitcnt lgkmcnt(1)
	v_and_b32_e32 v43, 0xff, v18
	v_bfe_u32 v44, v18, 8, 8
	v_add3_u32 v16, v16, v48, v36
	v_lshrrev_b32_e32 v35, 24, v18
	v_bfe_u32 v45, v18, 16, 8
	v_add3_u32 v16, v16, v43, v44
	v_and_b32_e32 v40, 0xff, v19
	v_bfe_u32 v41, v19, 8, 8
	v_add3_u32 v16, v16, v45, v35
	v_lshrrev_b32_e32 v34, 24, v19
	v_bfe_u32 v42, v19, 16, 8
	v_add3_u32 v16, v16, v40, v41
	s_waitcnt lgkmcnt(0)
	v_and_b32_e32 v38, 0xff, v32
	v_bfe_u32 v39, v32, 8, 8
	v_add3_u32 v16, v16, v42, v34
	v_lshrrev_b32_e32 v1, 24, v32
	v_bfe_u32 v33, v32, 16, 8
	v_add3_u32 v16, v16, v38, v39
	v_add3_u32 v52, v16, v33, v1
	v_mbcnt_lo_u32_b32 v16, -1, 0
	v_mbcnt_hi_u32_b32 v50, -1, v16
	v_and_b32_e32 v16, 15, v50
	v_cmp_eq_u32_e64 s[14:15], 0, v16
	v_cmp_lt_u32_e64 s[12:13], 1, v16
	v_cmp_lt_u32_e64 s[10:11], 3, v16
	;; [unrolled: 1-line block ×3, first 2 shown]
	v_and_b32_e32 v16, 16, v50
	v_cmp_eq_u32_e64 s[6:7], 0, v16
	v_or_b32_e32 v16, 63, v0
	v_cmp_lt_u32_e64 s[2:3], 31, v50
	v_cmp_eq_u32_e64 s[4:5], v16, v0
	s_barrier
	s_cbranch_scc0 .LBB667_119
; %bb.93:
	v_mov_b32_dpp v16, v52 row_shr:1 row_mask:0xf bank_mask:0xf
	v_cndmask_b32_e64 v16, v16, 0, s[14:15]
	v_add_u32_e32 v16, v16, v52
	s_nop 1
	v_mov_b32_dpp v17, v16 row_shr:2 row_mask:0xf bank_mask:0xf
	v_cndmask_b32_e64 v17, 0, v17, s[12:13]
	v_add_u32_e32 v16, v16, v17
	s_nop 1
	;; [unrolled: 4-line block ×4, first 2 shown]
	v_mov_b32_dpp v17, v16 row_bcast:15 row_mask:0xf bank_mask:0xf
	v_cndmask_b32_e64 v17, v17, 0, s[6:7]
	v_add_u32_e32 v16, v16, v17
	s_nop 1
	v_mov_b32_dpp v17, v16 row_bcast:31 row_mask:0xf bank_mask:0xf
	v_cndmask_b32_e64 v17, 0, v17, s[2:3]
	v_add_u32_e32 v16, v16, v17
	s_and_saveexec_b64 s[16:17], s[4:5]
	s_cbranch_execz .LBB667_95
; %bb.94:
	v_lshlrev_b32_e32 v17, 2, v51
	ds_write_b32 v17, v16
.LBB667_95:
	s_or_b64 exec, exec, s[16:17]
	v_cmp_gt_u32_e32 vcc, 4, v0
	s_waitcnt lgkmcnt(0)
	s_barrier
	s_and_saveexec_b64 s[16:17], vcc
	s_cbranch_execz .LBB667_97
; %bb.96:
	v_lshlrev_b32_e32 v17, 2, v0
	ds_read_b32 v22, v17
	v_and_b32_e32 v23, 3, v50
	v_cmp_ne_u32_e32 vcc, 0, v23
	s_waitcnt lgkmcnt(0)
	v_mov_b32_dpp v24, v22 row_shr:1 row_mask:0xf bank_mask:0xf
	v_cndmask_b32_e32 v24, 0, v24, vcc
	v_add_u32_e32 v22, v24, v22
	v_cmp_lt_u32_e32 vcc, 1, v23
	s_nop 0
	v_mov_b32_dpp v24, v22 row_shr:2 row_mask:0xf bank_mask:0xf
	v_cndmask_b32_e32 v23, 0, v24, vcc
	v_add_u32_e32 v22, v22, v23
	ds_write_b32 v17, v22
.LBB667_97:
	s_or_b64 exec, exec, s[16:17]
	v_cmp_gt_u32_e32 vcc, 64, v0
	v_cmp_lt_u32_e64 s[16:17], 63, v0
	s_waitcnt lgkmcnt(0)
	s_barrier
	s_waitcnt lgkmcnt(0)
                                        ; implicit-def: $vgpr53
	s_and_saveexec_b64 s[34:35], s[16:17]
	s_cbranch_execz .LBB667_99
; %bb.98:
	v_lshl_add_u32 v17, v51, 2, -4
	ds_read_b32 v53, v17
	s_waitcnt lgkmcnt(0)
	v_add_u32_e32 v16, v53, v16
.LBB667_99:
	s_or_b64 exec, exec, s[34:35]
	v_add_u32_e32 v17, -1, v50
	v_and_b32_e32 v22, 64, v50
	v_cmp_lt_i32_e64 s[16:17], v17, v22
	v_cndmask_b32_e64 v17, v17, v50, s[16:17]
	v_lshlrev_b32_e32 v17, 2, v17
	ds_bpermute_b32 v54, v17, v16
	v_cmp_eq_u32_e64 s[16:17], 0, v50
	s_and_saveexec_b64 s[34:35], vcc
	s_cbranch_execz .LBB667_118
; %bb.100:
	v_mov_b32_e32 v27, 0
	ds_read_b32 v16, v27 offset:12
	s_and_saveexec_b64 s[36:37], s[16:17]
	s_cbranch_execz .LBB667_102
; %bb.101:
	s_add_i32 s38, s40, 64
	s_mov_b32 s39, 0
	s_lshl_b64 s[38:39], s[38:39], 3
	s_add_u32 s38, s30, s38
	v_mov_b32_e32 v17, 1
	s_addc_u32 s39, s31, s39
	s_waitcnt lgkmcnt(0)
	global_store_dwordx2 v27, v[16:17], s[38:39]
.LBB667_102:
	s_or_b64 exec, exec, s[36:37]
	v_xad_u32 v22, v50, -1, s40
	v_add_u32_e32 v26, 64, v22
	v_lshlrev_b64 v[24:25], 3, v[26:27]
	v_mov_b32_e32 v17, s31
	v_add_co_u32_e32 v28, vcc, s30, v24
	v_addc_co_u32_e32 v29, vcc, v17, v25, vcc
	global_load_dwordx2 v[24:25], v[28:29], off glc
	s_waitcnt vmcnt(0)
	v_cmp_eq_u16_sdwa s[38:39], v25, v27 src0_sel:BYTE_0 src1_sel:DWORD
	s_and_saveexec_b64 s[36:37], s[38:39]
	s_cbranch_execz .LBB667_106
; %bb.103:
	s_mov_b64 s[38:39], 0
	v_mov_b32_e32 v17, 0
.LBB667_104:                            ; =>This Inner Loop Header: Depth=1
	global_load_dwordx2 v[24:25], v[28:29], off glc
	s_waitcnt vmcnt(0)
	v_cmp_ne_u16_sdwa s[42:43], v25, v17 src0_sel:BYTE_0 src1_sel:DWORD
	s_or_b64 s[38:39], s[42:43], s[38:39]
	s_andn2_b64 exec, exec, s[38:39]
	s_cbranch_execnz .LBB667_104
; %bb.105:
	s_or_b64 exec, exec, s[38:39]
.LBB667_106:
	s_or_b64 exec, exec, s[36:37]
	v_and_b32_e32 v56, 63, v50
	v_mov_b32_e32 v55, 2
	v_cmp_ne_u32_e32 vcc, 63, v56
	v_cmp_eq_u16_sdwa s[36:37], v25, v55 src0_sel:BYTE_0 src1_sel:DWORD
	v_lshlrev_b64 v[26:27], v50, -1
	v_addc_co_u32_e32 v28, vcc, 0, v50, vcc
	v_and_b32_e32 v17, s37, v27
	v_lshlrev_b32_e32 v57, 2, v28
	v_or_b32_e32 v17, 0x80000000, v17
	ds_bpermute_b32 v28, v57, v24
	v_and_b32_e32 v23, s36, v26
	v_ffbl_b32_e32 v17, v17
	v_add_u32_e32 v17, 32, v17
	v_ffbl_b32_e32 v23, v23
	v_min_u32_e32 v17, v23, v17
	v_cmp_lt_u32_e32 vcc, v56, v17
	s_waitcnt lgkmcnt(0)
	v_cndmask_b32_e32 v23, 0, v28, vcc
	v_cmp_gt_u32_e32 vcc, 62, v56
	v_add_u32_e32 v23, v23, v24
	v_cndmask_b32_e64 v24, 0, 1, vcc
	v_lshlrev_b32_e32 v24, 1, v24
	v_add_lshl_u32 v58, v24, v50, 2
	ds_bpermute_b32 v24, v58, v23
	v_add_u32_e32 v59, 2, v56
	v_cmp_le_u32_e32 vcc, v59, v17
	v_add_u32_e32 v61, 4, v56
	v_add_u32_e32 v63, 8, v56
	s_waitcnt lgkmcnt(0)
	v_cndmask_b32_e32 v24, 0, v24, vcc
	v_cmp_gt_u32_e32 vcc, 60, v56
	v_add_u32_e32 v23, v23, v24
	v_cndmask_b32_e64 v24, 0, 1, vcc
	v_lshlrev_b32_e32 v24, 2, v24
	v_add_lshl_u32 v60, v24, v50, 2
	ds_bpermute_b32 v24, v60, v23
	v_cmp_le_u32_e32 vcc, v61, v17
	v_add_u32_e32 v65, 16, v56
	v_add_u32_e32 v67, 32, v56
	s_waitcnt lgkmcnt(0)
	v_cndmask_b32_e32 v24, 0, v24, vcc
	v_cmp_gt_u32_e32 vcc, 56, v56
	v_add_u32_e32 v23, v23, v24
	v_cndmask_b32_e64 v24, 0, 1, vcc
	v_lshlrev_b32_e32 v24, 3, v24
	v_add_lshl_u32 v62, v24, v50, 2
	ds_bpermute_b32 v24, v62, v23
	v_cmp_le_u32_e32 vcc, v63, v17
	s_waitcnt lgkmcnt(0)
	v_cndmask_b32_e32 v24, 0, v24, vcc
	v_cmp_gt_u32_e32 vcc, 48, v56
	v_add_u32_e32 v23, v23, v24
	v_cndmask_b32_e64 v24, 0, 1, vcc
	v_lshlrev_b32_e32 v24, 4, v24
	v_add_lshl_u32 v64, v24, v50, 2
	ds_bpermute_b32 v24, v64, v23
	v_cmp_le_u32_e32 vcc, v65, v17
	;; [unrolled: 9-line block ×3, first 2 shown]
	s_waitcnt lgkmcnt(0)
	v_cndmask_b32_e32 v17, 0, v24, vcc
	v_add_u32_e32 v24, v23, v17
	v_mov_b32_e32 v23, 0
	s_branch .LBB667_108
.LBB667_107:                            ;   in Loop: Header=BB667_108 Depth=1
	s_or_b64 exec, exec, s[36:37]
	v_cmp_eq_u16_sdwa s[36:37], v25, v55 src0_sel:BYTE_0 src1_sel:DWORD
	v_and_b32_e32 v28, s37, v27
	v_or_b32_e32 v28, 0x80000000, v28
	ds_bpermute_b32 v68, v57, v24
	v_and_b32_e32 v29, s36, v26
	v_ffbl_b32_e32 v28, v28
	v_add_u32_e32 v28, 32, v28
	v_ffbl_b32_e32 v29, v29
	v_min_u32_e32 v28, v29, v28
	v_cmp_lt_u32_e32 vcc, v56, v28
	s_waitcnt lgkmcnt(0)
	v_cndmask_b32_e32 v29, 0, v68, vcc
	v_add_u32_e32 v24, v29, v24
	ds_bpermute_b32 v29, v58, v24
	v_cmp_le_u32_e32 vcc, v59, v28
	v_subrev_u32_e32 v22, 64, v22
	s_waitcnt lgkmcnt(0)
	v_cndmask_b32_e32 v29, 0, v29, vcc
	v_add_u32_e32 v24, v24, v29
	ds_bpermute_b32 v29, v60, v24
	v_cmp_le_u32_e32 vcc, v61, v28
	s_waitcnt lgkmcnt(0)
	v_cndmask_b32_e32 v29, 0, v29, vcc
	v_add_u32_e32 v24, v24, v29
	ds_bpermute_b32 v29, v62, v24
	v_cmp_le_u32_e32 vcc, v63, v28
	;; [unrolled: 5-line block ×4, first 2 shown]
	s_waitcnt lgkmcnt(0)
	v_cndmask_b32_e32 v28, 0, v29, vcc
	v_add3_u32 v24, v28, v17, v24
.LBB667_108:                            ; =>This Loop Header: Depth=1
                                        ;     Child Loop BB667_111 Depth 2
	v_cmp_ne_u16_sdwa s[36:37], v25, v55 src0_sel:BYTE_0 src1_sel:DWORD
	v_cndmask_b32_e64 v17, 0, 1, s[36:37]
	;;#ASMSTART
	;;#ASMEND
	v_cmp_ne_u32_e32 vcc, 0, v17
	s_cmp_lg_u64 vcc, exec
	v_mov_b32_e32 v17, v24
	s_cbranch_scc1 .LBB667_113
; %bb.109:                              ;   in Loop: Header=BB667_108 Depth=1
	v_lshlrev_b64 v[24:25], 3, v[22:23]
	v_mov_b32_e32 v29, s31
	v_add_co_u32_e32 v28, vcc, s30, v24
	v_addc_co_u32_e32 v29, vcc, v29, v25, vcc
	global_load_dwordx2 v[24:25], v[28:29], off glc
	s_waitcnt vmcnt(0)
	v_cmp_eq_u16_sdwa s[38:39], v25, v23 src0_sel:BYTE_0 src1_sel:DWORD
	s_and_saveexec_b64 s[36:37], s[38:39]
	s_cbranch_execz .LBB667_107
; %bb.110:                              ;   in Loop: Header=BB667_108 Depth=1
	s_mov_b64 s[38:39], 0
.LBB667_111:                            ;   Parent Loop BB667_108 Depth=1
                                        ; =>  This Inner Loop Header: Depth=2
	global_load_dwordx2 v[24:25], v[28:29], off glc
	s_waitcnt vmcnt(0)
	v_cmp_ne_u16_sdwa s[42:43], v25, v23 src0_sel:BYTE_0 src1_sel:DWORD
	s_or_b64 s[38:39], s[42:43], s[38:39]
	s_andn2_b64 exec, exec, s[38:39]
	s_cbranch_execnz .LBB667_111
; %bb.112:                              ;   in Loop: Header=BB667_108 Depth=1
	s_or_b64 exec, exec, s[38:39]
	s_branch .LBB667_107
.LBB667_113:                            ;   in Loop: Header=BB667_108 Depth=1
                                        ; implicit-def: $vgpr24
                                        ; implicit-def: $vgpr25
	s_cbranch_execz .LBB667_108
; %bb.114:
	s_and_saveexec_b64 s[36:37], s[16:17]
	s_cbranch_execz .LBB667_116
; %bb.115:
	s_add_i32 s38, s40, 64
	s_mov_b32 s39, 0
	s_lshl_b64 s[38:39], s[38:39], 3
	s_add_u32 s38, s30, s38
	v_add_u32_e32 v22, v17, v16
	v_mov_b32_e32 v23, 2
	s_addc_u32 s39, s31, s39
	v_mov_b32_e32 v24, 0
	global_store_dwordx2 v24, v[22:23], s[38:39]
	ds_write_b64 v24, v[16:17] offset:10240
.LBB667_116:
	s_or_b64 exec, exec, s[36:37]
	s_and_b64 exec, exec, s[0:1]
	s_cbranch_execz .LBB667_118
; %bb.117:
	v_mov_b32_e32 v16, 0
	ds_write_b32 v16, v17 offset:12
.LBB667_118:
	s_or_b64 exec, exec, s[34:35]
	v_mov_b32_e32 v16, 0
	s_waitcnt lgkmcnt(0)
	s_barrier
	ds_read_b32 v22, v16 offset:12
	s_waitcnt lgkmcnt(0)
	s_barrier
	ds_read_b64 v[16:17], v16 offset:10240
	v_cndmask_b32_e64 v23, v54, v53, s[16:17]
	v_cndmask_b32_e64 v23, v23, 0, s[0:1]
	v_add_u32_e32 v26, v22, v23
	s_branch .LBB667_129
.LBB667_119:
                                        ; implicit-def: $vgpr17
                                        ; implicit-def: $vgpr26
	s_cbranch_execz .LBB667_129
; %bb.120:
	s_waitcnt lgkmcnt(0)
	v_mov_b32_dpp v16, v52 row_shr:1 row_mask:0xf bank_mask:0xf
	v_cndmask_b32_e64 v16, v16, 0, s[14:15]
	v_add_u32_e32 v16, v16, v52
	s_nop 1
	v_mov_b32_dpp v17, v16 row_shr:2 row_mask:0xf bank_mask:0xf
	v_cndmask_b32_e64 v17, 0, v17, s[12:13]
	v_add_u32_e32 v16, v16, v17
	s_nop 1
	v_mov_b32_dpp v17, v16 row_shr:4 row_mask:0xf bank_mask:0xf
	v_cndmask_b32_e64 v17, 0, v17, s[10:11]
	v_add_u32_e32 v16, v16, v17
	s_nop 1
	v_mov_b32_dpp v17, v16 row_shr:8 row_mask:0xf bank_mask:0xf
	v_cndmask_b32_e64 v17, 0, v17, s[8:9]
	v_add_u32_e32 v16, v16, v17
	s_nop 1
	v_mov_b32_dpp v17, v16 row_bcast:15 row_mask:0xf bank_mask:0xf
	v_cndmask_b32_e64 v17, v17, 0, s[6:7]
	v_add_u32_e32 v16, v16, v17
	s_nop 1
	v_mov_b32_dpp v17, v16 row_bcast:31 row_mask:0xf bank_mask:0xf
	v_cndmask_b32_e64 v17, 0, v17, s[2:3]
	v_add_u32_e32 v16, v16, v17
	s_and_saveexec_b64 s[2:3], s[4:5]
	s_cbranch_execz .LBB667_122
; %bb.121:
	v_lshlrev_b32_e32 v17, 2, v51
	ds_write_b32 v17, v16
.LBB667_122:
	s_or_b64 exec, exec, s[2:3]
	v_cmp_gt_u32_e32 vcc, 4, v0
	s_waitcnt lgkmcnt(0)
	s_barrier
	s_and_saveexec_b64 s[2:3], vcc
	s_cbranch_execz .LBB667_124
; %bb.123:
	v_lshlrev_b32_e32 v17, 2, v0
	ds_read_b32 v22, v17
	v_and_b32_e32 v23, 3, v50
	v_cmp_ne_u32_e32 vcc, 0, v23
	s_waitcnt lgkmcnt(0)
	v_mov_b32_dpp v24, v22 row_shr:1 row_mask:0xf bank_mask:0xf
	v_cndmask_b32_e32 v24, 0, v24, vcc
	v_add_u32_e32 v22, v24, v22
	v_cmp_lt_u32_e32 vcc, 1, v23
	s_nop 0
	v_mov_b32_dpp v24, v22 row_shr:2 row_mask:0xf bank_mask:0xf
	v_cndmask_b32_e32 v23, 0, v24, vcc
	v_add_u32_e32 v22, v22, v23
	ds_write_b32 v17, v22
.LBB667_124:
	s_or_b64 exec, exec, s[2:3]
	v_cmp_lt_u32_e32 vcc, 63, v0
	v_mov_b32_e32 v17, 0
	v_mov_b32_e32 v22, 0
	s_waitcnt lgkmcnt(0)
	s_barrier
	s_and_saveexec_b64 s[2:3], vcc
	s_cbranch_execz .LBB667_126
; %bb.125:
	v_lshl_add_u32 v22, v51, 2, -4
	ds_read_b32 v22, v22
.LBB667_126:
	s_or_b64 exec, exec, s[2:3]
	v_add_u32_e32 v23, -1, v50
	v_and_b32_e32 v24, 64, v50
	v_cmp_lt_i32_e32 vcc, v23, v24
	v_cndmask_b32_e32 v23, v23, v50, vcc
	s_waitcnt lgkmcnt(0)
	v_add_u32_e32 v16, v22, v16
	v_lshlrev_b32_e32 v23, 2, v23
	ds_bpermute_b32 v23, v23, v16
	ds_read_b32 v16, v17 offset:12
	s_and_saveexec_b64 s[2:3], s[0:1]
	s_cbranch_execz .LBB667_128
; %bb.127:
	v_mov_b32_e32 v24, 0
	v_mov_b32_e32 v17, 2
	s_waitcnt lgkmcnt(0)
	global_store_dwordx2 v24, v[16:17], s[30:31] offset:512
.LBB667_128:
	s_or_b64 exec, exec, s[2:3]
	v_cmp_eq_u32_e32 vcc, 0, v50
	s_waitcnt lgkmcnt(1)
	v_cndmask_b32_e32 v22, v23, v22, vcc
	v_mov_b32_e32 v17, 0
	v_cndmask_b32_e64 v26, v22, 0, s[0:1]
	s_waitcnt lgkmcnt(0)
	s_barrier
.LBB667_129:
	v_add_u32_sdwa v28, v26, v20 dst_sel:DWORD dst_unused:UNUSED_PAD src0_sel:DWORD src1_sel:BYTE_0
	s_waitcnt lgkmcnt(0)
	v_add_u32_e32 v31, v16, v31
	v_sub_u32_e32 v26, v26, v17
	v_and_b32_e32 v55, 1, v20
	v_sub_u32_e32 v54, v31, v26
	v_cmp_eq_u32_e32 vcc, 1, v55
	v_cndmask_b32_e32 v26, v54, v26, vcc
	v_lshlrev_b32_e32 v26, 1, v26
	v_lshrrev_b32_e32 v27, 8, v20
	ds_write_b16 v26, v6
	v_sub_u32_e32 v26, v28, v17
	v_add_u32_sdwa v29, v28, v20 dst_sel:DWORD dst_unused:UNUSED_PAD src0_sel:DWORD src1_sel:BYTE_1
	v_sub_u32_e32 v28, v31, v26
	v_and_b32_e32 v27, 1, v27
	v_add_u32_e32 v28, 1, v28
	v_cmp_eq_u32_e32 vcc, 1, v27
	v_cndmask_b32_e32 v26, v28, v26, vcc
	v_lshlrev_b32_e32 v26, 1, v26
	ds_write_b16_d16_hi v26, v6
	v_sub_u32_e32 v6, v29, v17
	v_mov_b32_e32 v27, 1
	v_sub_u32_e32 v26, v31, v6
	v_and_b32_sdwa v20, v27, v20 dst_sel:DWORD dst_unused:UNUSED_PAD src0_sel:DWORD src1_sel:WORD_1
	v_add_u32_e32 v26, 2, v26
	v_cmp_eq_u32_e32 vcc, 1, v20
	v_cndmask_b32_e32 v6, v26, v6, vcc
	v_add_u32_e32 v49, v29, v49
	v_lshlrev_b32_e32 v6, 1, v6
	ds_write_b16 v6, v7
	v_sub_u32_e32 v6, v49, v17
	v_sub_u32_e32 v20, v31, v6
	v_and_b32_e32 v26, 1, v37
	v_add_u32_e32 v20, 3, v20
	v_cmp_eq_u32_e32 vcc, 1, v26
	v_cndmask_b32_e32 v6, v20, v6, vcc
	v_add_u32_e32 v50, v49, v37
	v_lshlrev_b32_e32 v6, 1, v6
	ds_write_b16_d16_hi v6, v7
	v_sub_u32_e32 v6, v50, v17
	v_sub_u32_e32 v7, v31, v6
	v_and_b32_e32 v20, 1, v21
	v_add_u32_e32 v7, 4, v7
	v_cmp_eq_u32_e32 vcc, 1, v20
	v_cndmask_b32_e32 v6, v7, v6, vcc
	v_add_u32_e32 v46, v50, v46
	v_lshlrev_b32_e32 v6, 1, v6
	v_lshrrev_b32_e32 v25, 8, v21
	ds_write_b16 v6, v8
	v_sub_u32_e32 v6, v46, v17
	v_sub_u32_e32 v7, v31, v6
	v_and_b32_e32 v20, 1, v25
	v_add_u32_e32 v7, 5, v7
	v_cmp_eq_u32_e32 vcc, 1, v20
	v_cndmask_b32_e32 v6, v7, v6, vcc
	v_add_u32_e32 v47, v46, v47
	v_lshlrev_b32_e32 v6, 1, v6
	ds_write_b16_d16_hi v6, v8
	v_sub_u32_e32 v6, v47, v17
	v_sub_u32_e32 v7, v31, v6
	v_and_b32_sdwa v8, v27, v21 dst_sel:DWORD dst_unused:UNUSED_PAD src0_sel:DWORD src1_sel:WORD_1
	v_add_u32_e32 v7, 6, v7
	v_cmp_eq_u32_e32 vcc, 1, v8
	v_cndmask_b32_e32 v6, v7, v6, vcc
	v_add_u32_e32 v48, v47, v48
	v_lshlrev_b32_e32 v6, 1, v6
	ds_write_b16 v6, v9
	v_sub_u32_e32 v6, v48, v17
	v_sub_u32_e32 v7, v31, v6
	v_and_b32_e32 v8, 1, v36
	v_add_u32_e32 v7, 7, v7
	v_cmp_eq_u32_e32 vcc, 1, v8
	v_cndmask_b32_e32 v6, v7, v6, vcc
	v_add_u32_e32 v51, v48, v36
	v_lshlrev_b32_e32 v6, 1, v6
	ds_write_b16_d16_hi v6, v9
	v_sub_u32_e32 v6, v51, v17
	v_sub_u32_e32 v7, v31, v6
	v_and_b32_e32 v8, 1, v18
	v_add_u32_e32 v7, 8, v7
	v_cmp_eq_u32_e32 vcc, 1, v8
	v_cndmask_b32_e32 v6, v7, v6, vcc
	v_add_u32_e32 v43, v51, v43
	v_lshlrev_b32_e32 v6, 1, v6
	v_lshrrev_b32_e32 v24, 8, v18
	ds_write_b16 v6, v2
	v_sub_u32_e32 v6, v43, v17
	v_sub_u32_e32 v7, v31, v6
	v_and_b32_e32 v8, 1, v24
	v_add_u32_e32 v7, 9, v7
	v_cmp_eq_u32_e32 vcc, 1, v8
	v_cndmask_b32_e32 v6, v7, v6, vcc
	v_add_u32_e32 v44, v43, v44
	v_lshlrev_b32_e32 v6, 1, v6
	ds_write_b16_d16_hi v6, v2
	v_sub_u32_e32 v2, v44, v17
	;; [unrolled: 37-line block ×4, first 2 shown]
	v_sub_u32_e32 v3, v31, v2
	v_and_b32_sdwa v4, v27, v32 dst_sel:DWORD dst_unused:UNUSED_PAD src0_sel:DWORD src1_sel:WORD_1
	v_add_u32_e32 v3, 18, v3
	v_cmp_eq_u32_e32 vcc, 1, v4
	v_cndmask_b32_e32 v2, v3, v2, vcc
	v_lshlrev_b32_e32 v2, 1, v2
	ds_write_b16 v2, v15
	v_sub_u32_e32 v2, v33, v17
	v_add_u32_e32 v2, v39, v2
	v_sub_u32_e32 v3, v31, v2
	v_and_b32_e32 v1, 1, v1
	v_add_u32_e32 v3, 19, v3
	v_cmp_eq_u32_e32 vcc, 1, v1
	v_cndmask_b32_e32 v1, v3, v2, vcc
	v_lshlrev_b32_e32 v1, 1, v1
	s_waitcnt vmcnt(0)
	v_add_co_u32_e32 v10, vcc, v10, v17
	ds_write_b16_d16_hi v1, v15
	s_waitcnt lgkmcnt(0)
	s_barrier
	ds_read_u16 v51, v30
	ds_read_u16 v50, v30 offset:512
	ds_read_u16 v48, v30 offset:1024
	;; [unrolled: 1-line block ×15, first 2 shown]
	v_addc_co_u32_e32 v11, vcc, 0, v11, vcc
	v_add_co_u32_e32 v2, vcc, v10, v16
	v_addc_co_u32_e32 v3, vcc, 0, v11, vcc
	v_mov_b32_e32 v7, s19
	v_sub_co_u32_e32 v8, vcc, s18, v2
	ds_read_u16 v19, v30 offset:8192
	ds_read_u16 v15, v30 offset:8704
	;; [unrolled: 1-line block ×4, first 2 shown]
	v_subb_co_u32_e32 v9, vcc, v7, v3, vcc
	v_lshlrev_b64 v[8:9], 1, v[8:9]
	v_mov_b32_e32 v7, s27
	v_add_co_u32_e32 v8, vcc, s26, v8
	v_addc_co_u32_e32 v9, vcc, v7, v9, vcc
	v_add_co_u32_e32 v7, vcc, v8, v12
	v_lshlrev_b64 v[10:11], 1, v[10:11]
	v_addc_co_u32_e32 v8, vcc, v9, v13, vcc
	v_mov_b32_e32 v12, s25
	v_add_co_u32_e64 v9, s[2:3], s24, v10
	v_or_b32_e32 v49, 0x100, v0
	v_or_b32_e32 v47, 0x200, v0
	;; [unrolled: 1-line block ×19, first 2 shown]
	s_andn2_b64 vcc, exec, s[28:29]
	v_addc_co_u32_e64 v10, s[2:3], v12, v11, s[2:3]
	s_cbranch_vccnz .LBB667_131
; %bb.130:
	v_cmp_lt_u32_e32 vcc, v0, v16
	v_cndmask_b32_e32 v12, v7, v9, vcc
	v_cndmask_b32_e32 v11, v8, v10, vcc
	v_add_co_u32_e32 v12, vcc, v12, v30
	v_addc_co_u32_e32 v13, vcc, 0, v11, vcc
	v_cmp_lt_u32_e32 vcc, v49, v16
	s_waitcnt lgkmcnt(14)
	global_store_short v[12:13], v51, off
	v_cndmask_b32_e32 v12, v7, v9, vcc
	v_cndmask_b32_e32 v11, v8, v10, vcc
	v_add_co_u32_e32 v12, vcc, v12, v30
	v_addc_co_u32_e32 v13, vcc, 0, v11, vcc
	v_cmp_lt_u32_e32 vcc, v47, v16
	global_store_short v[12:13], v50, off offset:512
	v_cndmask_b32_e32 v12, v7, v9, vcc
	v_cndmask_b32_e32 v11, v8, v10, vcc
	v_add_co_u32_e32 v12, vcc, v12, v30
	v_addc_co_u32_e32 v13, vcc, 0, v11, vcc
	v_cmp_lt_u32_e32 vcc, v45, v16
	global_store_short v[12:13], v48, off offset:1024
	;; [unrolled: 6-line block ×5, first 2 shown]
	v_cndmask_b32_e32 v12, v7, v9, vcc
	v_cndmask_b32_e32 v11, v8, v10, vcc
	v_add_co_u32_e32 v12, vcc, v12, v30
	v_addc_co_u32_e32 v13, vcc, 0, v11, vcc
	v_cmp_lt_u32_e32 vcc, v37, v16
	s_waitcnt lgkmcnt(13)
	global_store_short v[12:13], v40, off offset:3072
	v_cndmask_b32_e32 v12, v7, v9, vcc
	v_cndmask_b32_e32 v11, v8, v10, vcc
	v_add_co_u32_e32 v12, vcc, v12, v30
	v_addc_co_u32_e32 v13, vcc, 0, v11, vcc
	v_cmp_lt_u32_e32 vcc, v35, v16
	s_waitcnt lgkmcnt(12)
	global_store_short v[12:13], v38, off offset:3584
	v_cndmask_b32_e32 v12, v7, v9, vcc
	v_lshlrev_b32_e32 v13, 1, v35
	v_cndmask_b32_e32 v11, v8, v10, vcc
	v_add_co_u32_e32 v12, vcc, v12, v13
	v_addc_co_u32_e32 v13, vcc, 0, v11, vcc
	v_cmp_lt_u32_e32 vcc, v33, v16
	s_waitcnt lgkmcnt(11)
	global_store_short v[12:13], v36, off
	v_cndmask_b32_e32 v12, v7, v9, vcc
	v_lshlrev_b32_e32 v13, 1, v33
	v_cndmask_b32_e32 v11, v8, v10, vcc
	v_add_co_u32_e32 v12, vcc, v12, v13
	v_addc_co_u32_e32 v13, vcc, 0, v11, vcc
	v_cmp_lt_u32_e32 vcc, v31, v16
	s_waitcnt lgkmcnt(10)
	global_store_short v[12:13], v34, off
	;; [unrolled: 8-line block ×10, first 2 shown]
	v_cndmask_b32_e32 v12, v7, v9, vcc
	v_lshlrev_b32_e32 v13, 1, v6
	v_cndmask_b32_e32 v11, v8, v10, vcc
	v_add_co_u32_e32 v12, vcc, v12, v13
	v_addc_co_u32_e32 v13, vcc, 0, v11, vcc
	s_mov_b64 s[2:3], -1
	s_waitcnt lgkmcnt(1)
	global_store_short v[12:13], v5, off
	s_cbranch_execz .LBB667_132
	s_branch .LBB667_153
.LBB667_131:
	s_mov_b64 s[2:3], 0
.LBB667_132:
	v_cmp_gt_u32_e32 vcc, s33, v0
	s_and_saveexec_b64 s[2:3], vcc
	s_cbranch_execnz .LBB667_158
; %bb.133:
	s_or_b64 exec, exec, s[2:3]
	v_cmp_gt_u32_e32 vcc, s33, v49
	s_and_saveexec_b64 s[2:3], vcc
	s_cbranch_execnz .LBB667_159
.LBB667_134:
	s_or_b64 exec, exec, s[2:3]
	v_cmp_gt_u32_e32 vcc, s33, v47
	s_and_saveexec_b64 s[2:3], vcc
	s_cbranch_execnz .LBB667_160
.LBB667_135:
	s_or_b64 exec, exec, s[2:3]
	v_cmp_gt_u32_e32 vcc, s33, v45
	s_and_saveexec_b64 s[2:3], vcc
	s_cbranch_execnz .LBB667_161
.LBB667_136:
	s_or_b64 exec, exec, s[2:3]
	v_cmp_gt_u32_e32 vcc, s33, v43
	s_and_saveexec_b64 s[2:3], vcc
	s_cbranch_execnz .LBB667_162
.LBB667_137:
	s_or_b64 exec, exec, s[2:3]
	v_cmp_gt_u32_e32 vcc, s33, v41
	s_and_saveexec_b64 s[2:3], vcc
	s_cbranch_execnz .LBB667_163
.LBB667_138:
	s_or_b64 exec, exec, s[2:3]
	v_cmp_gt_u32_e32 vcc, s33, v39
	s_and_saveexec_b64 s[2:3], vcc
	s_cbranch_execnz .LBB667_164
.LBB667_139:
	s_or_b64 exec, exec, s[2:3]
	v_cmp_gt_u32_e32 vcc, s33, v37
	s_and_saveexec_b64 s[2:3], vcc
	s_cbranch_execnz .LBB667_165
.LBB667_140:
	s_or_b64 exec, exec, s[2:3]
	v_cmp_gt_u32_e32 vcc, s33, v35
	s_and_saveexec_b64 s[2:3], vcc
	s_cbranch_execnz .LBB667_166
.LBB667_141:
	s_or_b64 exec, exec, s[2:3]
	v_cmp_gt_u32_e32 vcc, s33, v33
	s_and_saveexec_b64 s[2:3], vcc
	s_cbranch_execnz .LBB667_167
.LBB667_142:
	s_or_b64 exec, exec, s[2:3]
	v_cmp_gt_u32_e32 vcc, s33, v31
	s_and_saveexec_b64 s[2:3], vcc
	s_cbranch_execnz .LBB667_168
.LBB667_143:
	s_or_b64 exec, exec, s[2:3]
	v_cmp_gt_u32_e32 vcc, s33, v28
	s_and_saveexec_b64 s[2:3], vcc
	s_cbranch_execnz .LBB667_169
.LBB667_144:
	s_or_b64 exec, exec, s[2:3]
	v_cmp_gt_u32_e32 vcc, s33, v26
	s_and_saveexec_b64 s[2:3], vcc
	s_cbranch_execnz .LBB667_170
.LBB667_145:
	s_or_b64 exec, exec, s[2:3]
	v_cmp_gt_u32_e32 vcc, s33, v24
	s_and_saveexec_b64 s[2:3], vcc
	s_cbranch_execnz .LBB667_171
.LBB667_146:
	s_or_b64 exec, exec, s[2:3]
	v_cmp_gt_u32_e32 vcc, s33, v22
	s_and_saveexec_b64 s[2:3], vcc
	s_cbranch_execnz .LBB667_172
.LBB667_147:
	s_or_b64 exec, exec, s[2:3]
	v_cmp_gt_u32_e32 vcc, s33, v20
	s_and_saveexec_b64 s[2:3], vcc
	s_cbranch_execnz .LBB667_173
.LBB667_148:
	s_or_b64 exec, exec, s[2:3]
	v_cmp_gt_u32_e32 vcc, s33, v18
	s_and_saveexec_b64 s[2:3], vcc
	s_cbranch_execnz .LBB667_174
.LBB667_149:
	s_or_b64 exec, exec, s[2:3]
	v_cmp_gt_u32_e32 vcc, s33, v14
	s_and_saveexec_b64 s[2:3], vcc
	s_cbranch_execnz .LBB667_175
.LBB667_150:
	s_or_b64 exec, exec, s[2:3]
	v_cmp_gt_u32_e32 vcc, s33, v6
	s_and_saveexec_b64 s[2:3], vcc
	s_cbranch_execz .LBB667_152
.LBB667_151:
	v_cmp_lt_u32_e32 vcc, v6, v16
	v_cndmask_b32_e32 v11, v7, v9, vcc
	v_lshlrev_b32_e32 v6, 1, v6
	v_cndmask_b32_e32 v0, v8, v10, vcc
	v_add_co_u32_e32 v12, vcc, v11, v6
	v_addc_co_u32_e32 v13, vcc, 0, v0, vcc
	s_waitcnt lgkmcnt(1)
	global_store_short v[12:13], v5, off
.LBB667_152:
	s_or_b64 exec, exec, s[2:3]
	v_cmp_gt_u32_e64 s[2:3], s33, v4
.LBB667_153:
	s_and_saveexec_b64 s[4:5], s[2:3]
	s_cbranch_execnz .LBB667_156
; %bb.154:
	s_or_b64 exec, exec, s[4:5]
	s_and_b64 s[0:1], s[0:1], s[22:23]
	s_and_saveexec_b64 s[2:3], s[0:1]
	s_cbranch_execnz .LBB667_157
.LBB667_155:
	s_endpgm
.LBB667_156:
	v_cmp_lt_u32_e32 vcc, v4, v16
	s_waitcnt lgkmcnt(1)
	v_cndmask_b32_e32 v5, v7, v9, vcc
	v_lshlrev_b32_e32 v4, 1, v4
	v_cndmask_b32_e32 v0, v8, v10, vcc
	v_add_co_u32_e32 v4, vcc, v5, v4
	v_addc_co_u32_e32 v5, vcc, 0, v0, vcc
	s_waitcnt lgkmcnt(0)
	global_store_short v[4:5], v1, off
	s_or_b64 exec, exec, s[4:5]
	s_and_b64 s[0:1], s[0:1], s[22:23]
	s_and_saveexec_b64 s[2:3], s[0:1]
	s_cbranch_execz .LBB667_155
.LBB667_157:
	v_mov_b32_e32 v0, 0
	global_store_dwordx2 v0, v[2:3], s[20:21]
	s_endpgm
.LBB667_158:
	v_cmp_lt_u32_e32 vcc, v0, v16
	v_cndmask_b32_e32 v11, v7, v9, vcc
	v_cndmask_b32_e32 v0, v8, v10, vcc
	v_add_co_u32_e32 v12, vcc, v11, v30
	v_addc_co_u32_e32 v13, vcc, 0, v0, vcc
	s_waitcnt lgkmcnt(14)
	global_store_short v[12:13], v51, off
	s_or_b64 exec, exec, s[2:3]
	v_cmp_gt_u32_e32 vcc, s33, v49
	s_and_saveexec_b64 s[2:3], vcc
	s_cbranch_execz .LBB667_134
.LBB667_159:
	v_cmp_lt_u32_e32 vcc, v49, v16
	v_cndmask_b32_e32 v11, v7, v9, vcc
	v_cndmask_b32_e32 v0, v8, v10, vcc
	v_add_co_u32_e32 v12, vcc, v11, v30
	v_addc_co_u32_e32 v13, vcc, 0, v0, vcc
	s_waitcnt lgkmcnt(14)
	global_store_short v[12:13], v50, off offset:512
	s_or_b64 exec, exec, s[2:3]
	v_cmp_gt_u32_e32 vcc, s33, v47
	s_and_saveexec_b64 s[2:3], vcc
	s_cbranch_execz .LBB667_135
.LBB667_160:
	v_cmp_lt_u32_e32 vcc, v47, v16
	v_cndmask_b32_e32 v11, v7, v9, vcc
	v_cndmask_b32_e32 v0, v8, v10, vcc
	v_add_co_u32_e32 v12, vcc, v11, v30
	v_addc_co_u32_e32 v13, vcc, 0, v0, vcc
	s_waitcnt lgkmcnt(14)
	global_store_short v[12:13], v48, off offset:1024
	s_or_b64 exec, exec, s[2:3]
	v_cmp_gt_u32_e32 vcc, s33, v45
	s_and_saveexec_b64 s[2:3], vcc
	s_cbranch_execz .LBB667_136
.LBB667_161:
	v_cmp_lt_u32_e32 vcc, v45, v16
	v_cndmask_b32_e32 v11, v7, v9, vcc
	v_cndmask_b32_e32 v0, v8, v10, vcc
	v_add_co_u32_e32 v12, vcc, v11, v30
	v_addc_co_u32_e32 v13, vcc, 0, v0, vcc
	s_waitcnt lgkmcnt(14)
	global_store_short v[12:13], v46, off offset:1536
	s_or_b64 exec, exec, s[2:3]
	v_cmp_gt_u32_e32 vcc, s33, v43
	s_and_saveexec_b64 s[2:3], vcc
	s_cbranch_execz .LBB667_137
.LBB667_162:
	v_cmp_lt_u32_e32 vcc, v43, v16
	v_cndmask_b32_e32 v11, v7, v9, vcc
	v_cndmask_b32_e32 v0, v8, v10, vcc
	v_add_co_u32_e32 v12, vcc, v11, v30
	v_addc_co_u32_e32 v13, vcc, 0, v0, vcc
	s_waitcnt lgkmcnt(14)
	global_store_short v[12:13], v44, off offset:2048
	s_or_b64 exec, exec, s[2:3]
	v_cmp_gt_u32_e32 vcc, s33, v41
	s_and_saveexec_b64 s[2:3], vcc
	s_cbranch_execz .LBB667_138
.LBB667_163:
	v_cmp_lt_u32_e32 vcc, v41, v16
	v_cndmask_b32_e32 v11, v7, v9, vcc
	v_cndmask_b32_e32 v0, v8, v10, vcc
	v_add_co_u32_e32 v12, vcc, v11, v30
	v_addc_co_u32_e32 v13, vcc, 0, v0, vcc
	s_waitcnt lgkmcnt(14)
	global_store_short v[12:13], v42, off offset:2560
	s_or_b64 exec, exec, s[2:3]
	v_cmp_gt_u32_e32 vcc, s33, v39
	s_and_saveexec_b64 s[2:3], vcc
	s_cbranch_execz .LBB667_139
.LBB667_164:
	v_cmp_lt_u32_e32 vcc, v39, v16
	v_cndmask_b32_e32 v11, v7, v9, vcc
	v_cndmask_b32_e32 v0, v8, v10, vcc
	v_add_co_u32_e32 v12, vcc, v11, v30
	v_addc_co_u32_e32 v13, vcc, 0, v0, vcc
	s_waitcnt lgkmcnt(13)
	global_store_short v[12:13], v40, off offset:3072
	s_or_b64 exec, exec, s[2:3]
	v_cmp_gt_u32_e32 vcc, s33, v37
	s_and_saveexec_b64 s[2:3], vcc
	s_cbranch_execz .LBB667_140
.LBB667_165:
	v_cmp_lt_u32_e32 vcc, v37, v16
	v_cndmask_b32_e32 v11, v7, v9, vcc
	v_cndmask_b32_e32 v0, v8, v10, vcc
	v_add_co_u32_e32 v12, vcc, v11, v30
	v_addc_co_u32_e32 v13, vcc, 0, v0, vcc
	s_waitcnt lgkmcnt(12)
	global_store_short v[12:13], v38, off offset:3584
	s_or_b64 exec, exec, s[2:3]
	v_cmp_gt_u32_e32 vcc, s33, v35
	s_and_saveexec_b64 s[2:3], vcc
	s_cbranch_execz .LBB667_141
.LBB667_166:
	v_cmp_lt_u32_e32 vcc, v35, v16
	v_cndmask_b32_e32 v11, v7, v9, vcc
	v_lshlrev_b32_e32 v12, 1, v35
	v_cndmask_b32_e32 v0, v8, v10, vcc
	v_add_co_u32_e32 v12, vcc, v11, v12
	v_addc_co_u32_e32 v13, vcc, 0, v0, vcc
	s_waitcnt lgkmcnt(11)
	global_store_short v[12:13], v36, off
	s_or_b64 exec, exec, s[2:3]
	v_cmp_gt_u32_e32 vcc, s33, v33
	s_and_saveexec_b64 s[2:3], vcc
	s_cbranch_execz .LBB667_142
.LBB667_167:
	v_cmp_lt_u32_e32 vcc, v33, v16
	v_cndmask_b32_e32 v11, v7, v9, vcc
	v_lshlrev_b32_e32 v12, 1, v33
	v_cndmask_b32_e32 v0, v8, v10, vcc
	v_add_co_u32_e32 v12, vcc, v11, v12
	v_addc_co_u32_e32 v13, vcc, 0, v0, vcc
	s_waitcnt lgkmcnt(10)
	global_store_short v[12:13], v34, off
	s_or_b64 exec, exec, s[2:3]
	v_cmp_gt_u32_e32 vcc, s33, v31
	s_and_saveexec_b64 s[2:3], vcc
	s_cbranch_execz .LBB667_143
.LBB667_168:
	v_cmp_lt_u32_e32 vcc, v31, v16
	v_cndmask_b32_e32 v11, v7, v9, vcc
	v_lshlrev_b32_e32 v12, 1, v31
	v_cndmask_b32_e32 v0, v8, v10, vcc
	v_add_co_u32_e32 v12, vcc, v11, v12
	v_addc_co_u32_e32 v13, vcc, 0, v0, vcc
	s_waitcnt lgkmcnt(9)
	global_store_short v[12:13], v32, off
	s_or_b64 exec, exec, s[2:3]
	v_cmp_gt_u32_e32 vcc, s33, v28
	s_and_saveexec_b64 s[2:3], vcc
	s_cbranch_execz .LBB667_144
.LBB667_169:
	v_cmp_lt_u32_e32 vcc, v28, v16
	v_cndmask_b32_e32 v11, v7, v9, vcc
	v_lshlrev_b32_e32 v12, 1, v28
	v_cndmask_b32_e32 v0, v8, v10, vcc
	v_add_co_u32_e32 v12, vcc, v11, v12
	v_addc_co_u32_e32 v13, vcc, 0, v0, vcc
	s_waitcnt lgkmcnt(8)
	global_store_short v[12:13], v29, off
	s_or_b64 exec, exec, s[2:3]
	v_cmp_gt_u32_e32 vcc, s33, v26
	s_and_saveexec_b64 s[2:3], vcc
	s_cbranch_execz .LBB667_145
.LBB667_170:
	v_cmp_lt_u32_e32 vcc, v26, v16
	v_cndmask_b32_e32 v11, v7, v9, vcc
	v_lshlrev_b32_e32 v12, 1, v26
	v_cndmask_b32_e32 v0, v8, v10, vcc
	v_add_co_u32_e32 v12, vcc, v11, v12
	v_addc_co_u32_e32 v13, vcc, 0, v0, vcc
	s_waitcnt lgkmcnt(7)
	global_store_short v[12:13], v27, off
	s_or_b64 exec, exec, s[2:3]
	v_cmp_gt_u32_e32 vcc, s33, v24
	s_and_saveexec_b64 s[2:3], vcc
	s_cbranch_execz .LBB667_146
.LBB667_171:
	v_cmp_lt_u32_e32 vcc, v24, v16
	v_cndmask_b32_e32 v11, v7, v9, vcc
	v_lshlrev_b32_e32 v12, 1, v24
	v_cndmask_b32_e32 v0, v8, v10, vcc
	v_add_co_u32_e32 v12, vcc, v11, v12
	v_addc_co_u32_e32 v13, vcc, 0, v0, vcc
	s_waitcnt lgkmcnt(6)
	global_store_short v[12:13], v25, off
	s_or_b64 exec, exec, s[2:3]
	v_cmp_gt_u32_e32 vcc, s33, v22
	s_and_saveexec_b64 s[2:3], vcc
	s_cbranch_execz .LBB667_147
.LBB667_172:
	v_cmp_lt_u32_e32 vcc, v22, v16
	v_cndmask_b32_e32 v11, v7, v9, vcc
	v_lshlrev_b32_e32 v12, 1, v22
	v_cndmask_b32_e32 v0, v8, v10, vcc
	v_add_co_u32_e32 v12, vcc, v11, v12
	v_addc_co_u32_e32 v13, vcc, 0, v0, vcc
	s_waitcnt lgkmcnt(5)
	global_store_short v[12:13], v23, off
	s_or_b64 exec, exec, s[2:3]
	v_cmp_gt_u32_e32 vcc, s33, v20
	s_and_saveexec_b64 s[2:3], vcc
	s_cbranch_execz .LBB667_148
.LBB667_173:
	v_cmp_lt_u32_e32 vcc, v20, v16
	v_cndmask_b32_e32 v11, v7, v9, vcc
	v_lshlrev_b32_e32 v12, 1, v20
	v_cndmask_b32_e32 v0, v8, v10, vcc
	v_add_co_u32_e32 v12, vcc, v11, v12
	v_addc_co_u32_e32 v13, vcc, 0, v0, vcc
	s_waitcnt lgkmcnt(4)
	global_store_short v[12:13], v21, off
	s_or_b64 exec, exec, s[2:3]
	v_cmp_gt_u32_e32 vcc, s33, v18
	s_and_saveexec_b64 s[2:3], vcc
	s_cbranch_execz .LBB667_149
.LBB667_174:
	v_cmp_lt_u32_e32 vcc, v18, v16
	v_cndmask_b32_e32 v11, v7, v9, vcc
	v_lshlrev_b32_e32 v12, 1, v18
	v_cndmask_b32_e32 v0, v8, v10, vcc
	v_add_co_u32_e32 v12, vcc, v11, v12
	v_addc_co_u32_e32 v13, vcc, 0, v0, vcc
	s_waitcnt lgkmcnt(3)
	global_store_short v[12:13], v19, off
	s_or_b64 exec, exec, s[2:3]
	v_cmp_gt_u32_e32 vcc, s33, v14
	s_and_saveexec_b64 s[2:3], vcc
	s_cbranch_execz .LBB667_150
.LBB667_175:
	v_cmp_lt_u32_e32 vcc, v14, v16
	v_cndmask_b32_e32 v11, v7, v9, vcc
	v_lshlrev_b32_e32 v12, 1, v14
	v_cndmask_b32_e32 v0, v8, v10, vcc
	v_add_co_u32_e32 v12, vcc, v11, v12
	v_addc_co_u32_e32 v13, vcc, 0, v0, vcc
	s_waitcnt lgkmcnt(2)
	global_store_short v[12:13], v15, off
	s_or_b64 exec, exec, s[2:3]
	v_cmp_gt_u32_e32 vcc, s33, v6
	s_and_saveexec_b64 s[2:3], vcc
	s_cbranch_execnz .LBB667_151
	s_branch .LBB667_152
	.section	.rodata,"a",@progbits
	.p2align	6, 0x0
	.amdhsa_kernel _ZN7rocprim17ROCPRIM_400000_NS6detail17trampoline_kernelINS0_14default_configENS1_25partition_config_selectorILNS1_17partition_subalgoE1EsNS0_10empty_typeEbEEZZNS1_14partition_implILS5_1ELb0ES3_jN6thrust23THRUST_200600_302600_NS6detail15normal_iteratorINSA_10device_ptrIsEEEEPS6_NSA_18transform_iteratorINSA_8identityIsEESF_NSA_11use_defaultESK_EENS0_5tupleIJSF_SF_EEENSM_IJSG_SG_EEES6_PlJS6_EEE10hipError_tPvRmT3_T4_T5_T6_T7_T9_mT8_P12ihipStream_tbDpT10_ENKUlT_T0_E_clISt17integral_constantIbLb0EES18_IbLb1EEEEDaS14_S15_EUlS14_E_NS1_11comp_targetILNS1_3genE4ELNS1_11target_archE910ELNS1_3gpuE8ELNS1_3repE0EEENS1_30default_config_static_selectorELNS0_4arch9wavefront6targetE1EEEvT1_
		.amdhsa_group_segment_fixed_size 10248
		.amdhsa_private_segment_fixed_size 0
		.amdhsa_kernarg_size 144
		.amdhsa_user_sgpr_count 6
		.amdhsa_user_sgpr_private_segment_buffer 1
		.amdhsa_user_sgpr_dispatch_ptr 0
		.amdhsa_user_sgpr_queue_ptr 0
		.amdhsa_user_sgpr_kernarg_segment_ptr 1
		.amdhsa_user_sgpr_dispatch_id 0
		.amdhsa_user_sgpr_flat_scratch_init 0
		.amdhsa_user_sgpr_kernarg_preload_length 0
		.amdhsa_user_sgpr_kernarg_preload_offset 0
		.amdhsa_user_sgpr_private_segment_size 0
		.amdhsa_uses_dynamic_stack 0
		.amdhsa_system_sgpr_private_segment_wavefront_offset 0
		.amdhsa_system_sgpr_workgroup_id_x 1
		.amdhsa_system_sgpr_workgroup_id_y 0
		.amdhsa_system_sgpr_workgroup_id_z 0
		.amdhsa_system_sgpr_workgroup_info 0
		.amdhsa_system_vgpr_workitem_id 0
		.amdhsa_next_free_vgpr 69
		.amdhsa_next_free_sgpr 44
		.amdhsa_accum_offset 72
		.amdhsa_reserve_vcc 1
		.amdhsa_reserve_flat_scratch 0
		.amdhsa_float_round_mode_32 0
		.amdhsa_float_round_mode_16_64 0
		.amdhsa_float_denorm_mode_32 3
		.amdhsa_float_denorm_mode_16_64 3
		.amdhsa_dx10_clamp 1
		.amdhsa_ieee_mode 1
		.amdhsa_fp16_overflow 0
		.amdhsa_tg_split 0
		.amdhsa_exception_fp_ieee_invalid_op 0
		.amdhsa_exception_fp_denorm_src 0
		.amdhsa_exception_fp_ieee_div_zero 0
		.amdhsa_exception_fp_ieee_overflow 0
		.amdhsa_exception_fp_ieee_underflow 0
		.amdhsa_exception_fp_ieee_inexact 0
		.amdhsa_exception_int_div_zero 0
	.end_amdhsa_kernel
	.section	.text._ZN7rocprim17ROCPRIM_400000_NS6detail17trampoline_kernelINS0_14default_configENS1_25partition_config_selectorILNS1_17partition_subalgoE1EsNS0_10empty_typeEbEEZZNS1_14partition_implILS5_1ELb0ES3_jN6thrust23THRUST_200600_302600_NS6detail15normal_iteratorINSA_10device_ptrIsEEEEPS6_NSA_18transform_iteratorINSA_8identityIsEESF_NSA_11use_defaultESK_EENS0_5tupleIJSF_SF_EEENSM_IJSG_SG_EEES6_PlJS6_EEE10hipError_tPvRmT3_T4_T5_T6_T7_T9_mT8_P12ihipStream_tbDpT10_ENKUlT_T0_E_clISt17integral_constantIbLb0EES18_IbLb1EEEEDaS14_S15_EUlS14_E_NS1_11comp_targetILNS1_3genE4ELNS1_11target_archE910ELNS1_3gpuE8ELNS1_3repE0EEENS1_30default_config_static_selectorELNS0_4arch9wavefront6targetE1EEEvT1_,"axG",@progbits,_ZN7rocprim17ROCPRIM_400000_NS6detail17trampoline_kernelINS0_14default_configENS1_25partition_config_selectorILNS1_17partition_subalgoE1EsNS0_10empty_typeEbEEZZNS1_14partition_implILS5_1ELb0ES3_jN6thrust23THRUST_200600_302600_NS6detail15normal_iteratorINSA_10device_ptrIsEEEEPS6_NSA_18transform_iteratorINSA_8identityIsEESF_NSA_11use_defaultESK_EENS0_5tupleIJSF_SF_EEENSM_IJSG_SG_EEES6_PlJS6_EEE10hipError_tPvRmT3_T4_T5_T6_T7_T9_mT8_P12ihipStream_tbDpT10_ENKUlT_T0_E_clISt17integral_constantIbLb0EES18_IbLb1EEEEDaS14_S15_EUlS14_E_NS1_11comp_targetILNS1_3genE4ELNS1_11target_archE910ELNS1_3gpuE8ELNS1_3repE0EEENS1_30default_config_static_selectorELNS0_4arch9wavefront6targetE1EEEvT1_,comdat
.Lfunc_end667:
	.size	_ZN7rocprim17ROCPRIM_400000_NS6detail17trampoline_kernelINS0_14default_configENS1_25partition_config_selectorILNS1_17partition_subalgoE1EsNS0_10empty_typeEbEEZZNS1_14partition_implILS5_1ELb0ES3_jN6thrust23THRUST_200600_302600_NS6detail15normal_iteratorINSA_10device_ptrIsEEEEPS6_NSA_18transform_iteratorINSA_8identityIsEESF_NSA_11use_defaultESK_EENS0_5tupleIJSF_SF_EEENSM_IJSG_SG_EEES6_PlJS6_EEE10hipError_tPvRmT3_T4_T5_T6_T7_T9_mT8_P12ihipStream_tbDpT10_ENKUlT_T0_E_clISt17integral_constantIbLb0EES18_IbLb1EEEEDaS14_S15_EUlS14_E_NS1_11comp_targetILNS1_3genE4ELNS1_11target_archE910ELNS1_3gpuE8ELNS1_3repE0EEENS1_30default_config_static_selectorELNS0_4arch9wavefront6targetE1EEEvT1_, .Lfunc_end667-_ZN7rocprim17ROCPRIM_400000_NS6detail17trampoline_kernelINS0_14default_configENS1_25partition_config_selectorILNS1_17partition_subalgoE1EsNS0_10empty_typeEbEEZZNS1_14partition_implILS5_1ELb0ES3_jN6thrust23THRUST_200600_302600_NS6detail15normal_iteratorINSA_10device_ptrIsEEEEPS6_NSA_18transform_iteratorINSA_8identityIsEESF_NSA_11use_defaultESK_EENS0_5tupleIJSF_SF_EEENSM_IJSG_SG_EEES6_PlJS6_EEE10hipError_tPvRmT3_T4_T5_T6_T7_T9_mT8_P12ihipStream_tbDpT10_ENKUlT_T0_E_clISt17integral_constantIbLb0EES18_IbLb1EEEEDaS14_S15_EUlS14_E_NS1_11comp_targetILNS1_3genE4ELNS1_11target_archE910ELNS1_3gpuE8ELNS1_3repE0EEENS1_30default_config_static_selectorELNS0_4arch9wavefront6targetE1EEEvT1_
                                        ; -- End function
	.section	.AMDGPU.csdata,"",@progbits
; Kernel info:
; codeLenInByte = 9396
; NumSgprs: 48
; NumVgprs: 69
; NumAgprs: 0
; TotalNumVgprs: 69
; ScratchSize: 0
; MemoryBound: 0
; FloatMode: 240
; IeeeMode: 1
; LDSByteSize: 10248 bytes/workgroup (compile time only)
; SGPRBlocks: 5
; VGPRBlocks: 8
; NumSGPRsForWavesPerEU: 48
; NumVGPRsForWavesPerEU: 69
; AccumOffset: 72
; Occupancy: 6
; WaveLimiterHint : 1
; COMPUTE_PGM_RSRC2:SCRATCH_EN: 0
; COMPUTE_PGM_RSRC2:USER_SGPR: 6
; COMPUTE_PGM_RSRC2:TRAP_HANDLER: 0
; COMPUTE_PGM_RSRC2:TGID_X_EN: 1
; COMPUTE_PGM_RSRC2:TGID_Y_EN: 0
; COMPUTE_PGM_RSRC2:TGID_Z_EN: 0
; COMPUTE_PGM_RSRC2:TIDIG_COMP_CNT: 0
; COMPUTE_PGM_RSRC3_GFX90A:ACCUM_OFFSET: 17
; COMPUTE_PGM_RSRC3_GFX90A:TG_SPLIT: 0
	.section	.text._ZN7rocprim17ROCPRIM_400000_NS6detail17trampoline_kernelINS0_14default_configENS1_25partition_config_selectorILNS1_17partition_subalgoE1EsNS0_10empty_typeEbEEZZNS1_14partition_implILS5_1ELb0ES3_jN6thrust23THRUST_200600_302600_NS6detail15normal_iteratorINSA_10device_ptrIsEEEEPS6_NSA_18transform_iteratorINSA_8identityIsEESF_NSA_11use_defaultESK_EENS0_5tupleIJSF_SF_EEENSM_IJSG_SG_EEES6_PlJS6_EEE10hipError_tPvRmT3_T4_T5_T6_T7_T9_mT8_P12ihipStream_tbDpT10_ENKUlT_T0_E_clISt17integral_constantIbLb0EES18_IbLb1EEEEDaS14_S15_EUlS14_E_NS1_11comp_targetILNS1_3genE3ELNS1_11target_archE908ELNS1_3gpuE7ELNS1_3repE0EEENS1_30default_config_static_selectorELNS0_4arch9wavefront6targetE1EEEvT1_,"axG",@progbits,_ZN7rocprim17ROCPRIM_400000_NS6detail17trampoline_kernelINS0_14default_configENS1_25partition_config_selectorILNS1_17partition_subalgoE1EsNS0_10empty_typeEbEEZZNS1_14partition_implILS5_1ELb0ES3_jN6thrust23THRUST_200600_302600_NS6detail15normal_iteratorINSA_10device_ptrIsEEEEPS6_NSA_18transform_iteratorINSA_8identityIsEESF_NSA_11use_defaultESK_EENS0_5tupleIJSF_SF_EEENSM_IJSG_SG_EEES6_PlJS6_EEE10hipError_tPvRmT3_T4_T5_T6_T7_T9_mT8_P12ihipStream_tbDpT10_ENKUlT_T0_E_clISt17integral_constantIbLb0EES18_IbLb1EEEEDaS14_S15_EUlS14_E_NS1_11comp_targetILNS1_3genE3ELNS1_11target_archE908ELNS1_3gpuE7ELNS1_3repE0EEENS1_30default_config_static_selectorELNS0_4arch9wavefront6targetE1EEEvT1_,comdat
	.protected	_ZN7rocprim17ROCPRIM_400000_NS6detail17trampoline_kernelINS0_14default_configENS1_25partition_config_selectorILNS1_17partition_subalgoE1EsNS0_10empty_typeEbEEZZNS1_14partition_implILS5_1ELb0ES3_jN6thrust23THRUST_200600_302600_NS6detail15normal_iteratorINSA_10device_ptrIsEEEEPS6_NSA_18transform_iteratorINSA_8identityIsEESF_NSA_11use_defaultESK_EENS0_5tupleIJSF_SF_EEENSM_IJSG_SG_EEES6_PlJS6_EEE10hipError_tPvRmT3_T4_T5_T6_T7_T9_mT8_P12ihipStream_tbDpT10_ENKUlT_T0_E_clISt17integral_constantIbLb0EES18_IbLb1EEEEDaS14_S15_EUlS14_E_NS1_11comp_targetILNS1_3genE3ELNS1_11target_archE908ELNS1_3gpuE7ELNS1_3repE0EEENS1_30default_config_static_selectorELNS0_4arch9wavefront6targetE1EEEvT1_ ; -- Begin function _ZN7rocprim17ROCPRIM_400000_NS6detail17trampoline_kernelINS0_14default_configENS1_25partition_config_selectorILNS1_17partition_subalgoE1EsNS0_10empty_typeEbEEZZNS1_14partition_implILS5_1ELb0ES3_jN6thrust23THRUST_200600_302600_NS6detail15normal_iteratorINSA_10device_ptrIsEEEEPS6_NSA_18transform_iteratorINSA_8identityIsEESF_NSA_11use_defaultESK_EENS0_5tupleIJSF_SF_EEENSM_IJSG_SG_EEES6_PlJS6_EEE10hipError_tPvRmT3_T4_T5_T6_T7_T9_mT8_P12ihipStream_tbDpT10_ENKUlT_T0_E_clISt17integral_constantIbLb0EES18_IbLb1EEEEDaS14_S15_EUlS14_E_NS1_11comp_targetILNS1_3genE3ELNS1_11target_archE908ELNS1_3gpuE7ELNS1_3repE0EEENS1_30default_config_static_selectorELNS0_4arch9wavefront6targetE1EEEvT1_
	.globl	_ZN7rocprim17ROCPRIM_400000_NS6detail17trampoline_kernelINS0_14default_configENS1_25partition_config_selectorILNS1_17partition_subalgoE1EsNS0_10empty_typeEbEEZZNS1_14partition_implILS5_1ELb0ES3_jN6thrust23THRUST_200600_302600_NS6detail15normal_iteratorINSA_10device_ptrIsEEEEPS6_NSA_18transform_iteratorINSA_8identityIsEESF_NSA_11use_defaultESK_EENS0_5tupleIJSF_SF_EEENSM_IJSG_SG_EEES6_PlJS6_EEE10hipError_tPvRmT3_T4_T5_T6_T7_T9_mT8_P12ihipStream_tbDpT10_ENKUlT_T0_E_clISt17integral_constantIbLb0EES18_IbLb1EEEEDaS14_S15_EUlS14_E_NS1_11comp_targetILNS1_3genE3ELNS1_11target_archE908ELNS1_3gpuE7ELNS1_3repE0EEENS1_30default_config_static_selectorELNS0_4arch9wavefront6targetE1EEEvT1_
	.p2align	8
	.type	_ZN7rocprim17ROCPRIM_400000_NS6detail17trampoline_kernelINS0_14default_configENS1_25partition_config_selectorILNS1_17partition_subalgoE1EsNS0_10empty_typeEbEEZZNS1_14partition_implILS5_1ELb0ES3_jN6thrust23THRUST_200600_302600_NS6detail15normal_iteratorINSA_10device_ptrIsEEEEPS6_NSA_18transform_iteratorINSA_8identityIsEESF_NSA_11use_defaultESK_EENS0_5tupleIJSF_SF_EEENSM_IJSG_SG_EEES6_PlJS6_EEE10hipError_tPvRmT3_T4_T5_T6_T7_T9_mT8_P12ihipStream_tbDpT10_ENKUlT_T0_E_clISt17integral_constantIbLb0EES18_IbLb1EEEEDaS14_S15_EUlS14_E_NS1_11comp_targetILNS1_3genE3ELNS1_11target_archE908ELNS1_3gpuE7ELNS1_3repE0EEENS1_30default_config_static_selectorELNS0_4arch9wavefront6targetE1EEEvT1_,@function
_ZN7rocprim17ROCPRIM_400000_NS6detail17trampoline_kernelINS0_14default_configENS1_25partition_config_selectorILNS1_17partition_subalgoE1EsNS0_10empty_typeEbEEZZNS1_14partition_implILS5_1ELb0ES3_jN6thrust23THRUST_200600_302600_NS6detail15normal_iteratorINSA_10device_ptrIsEEEEPS6_NSA_18transform_iteratorINSA_8identityIsEESF_NSA_11use_defaultESK_EENS0_5tupleIJSF_SF_EEENSM_IJSG_SG_EEES6_PlJS6_EEE10hipError_tPvRmT3_T4_T5_T6_T7_T9_mT8_P12ihipStream_tbDpT10_ENKUlT_T0_E_clISt17integral_constantIbLb0EES18_IbLb1EEEEDaS14_S15_EUlS14_E_NS1_11comp_targetILNS1_3genE3ELNS1_11target_archE908ELNS1_3gpuE7ELNS1_3repE0EEENS1_30default_config_static_selectorELNS0_4arch9wavefront6targetE1EEEvT1_: ; @_ZN7rocprim17ROCPRIM_400000_NS6detail17trampoline_kernelINS0_14default_configENS1_25partition_config_selectorILNS1_17partition_subalgoE1EsNS0_10empty_typeEbEEZZNS1_14partition_implILS5_1ELb0ES3_jN6thrust23THRUST_200600_302600_NS6detail15normal_iteratorINSA_10device_ptrIsEEEEPS6_NSA_18transform_iteratorINSA_8identityIsEESF_NSA_11use_defaultESK_EENS0_5tupleIJSF_SF_EEENSM_IJSG_SG_EEES6_PlJS6_EEE10hipError_tPvRmT3_T4_T5_T6_T7_T9_mT8_P12ihipStream_tbDpT10_ENKUlT_T0_E_clISt17integral_constantIbLb0EES18_IbLb1EEEEDaS14_S15_EUlS14_E_NS1_11comp_targetILNS1_3genE3ELNS1_11target_archE908ELNS1_3gpuE7ELNS1_3repE0EEENS1_30default_config_static_selectorELNS0_4arch9wavefront6targetE1EEEvT1_
; %bb.0:
	.section	.rodata,"a",@progbits
	.p2align	6, 0x0
	.amdhsa_kernel _ZN7rocprim17ROCPRIM_400000_NS6detail17trampoline_kernelINS0_14default_configENS1_25partition_config_selectorILNS1_17partition_subalgoE1EsNS0_10empty_typeEbEEZZNS1_14partition_implILS5_1ELb0ES3_jN6thrust23THRUST_200600_302600_NS6detail15normal_iteratorINSA_10device_ptrIsEEEEPS6_NSA_18transform_iteratorINSA_8identityIsEESF_NSA_11use_defaultESK_EENS0_5tupleIJSF_SF_EEENSM_IJSG_SG_EEES6_PlJS6_EEE10hipError_tPvRmT3_T4_T5_T6_T7_T9_mT8_P12ihipStream_tbDpT10_ENKUlT_T0_E_clISt17integral_constantIbLb0EES18_IbLb1EEEEDaS14_S15_EUlS14_E_NS1_11comp_targetILNS1_3genE3ELNS1_11target_archE908ELNS1_3gpuE7ELNS1_3repE0EEENS1_30default_config_static_selectorELNS0_4arch9wavefront6targetE1EEEvT1_
		.amdhsa_group_segment_fixed_size 0
		.amdhsa_private_segment_fixed_size 0
		.amdhsa_kernarg_size 144
		.amdhsa_user_sgpr_count 6
		.amdhsa_user_sgpr_private_segment_buffer 1
		.amdhsa_user_sgpr_dispatch_ptr 0
		.amdhsa_user_sgpr_queue_ptr 0
		.amdhsa_user_sgpr_kernarg_segment_ptr 1
		.amdhsa_user_sgpr_dispatch_id 0
		.amdhsa_user_sgpr_flat_scratch_init 0
		.amdhsa_user_sgpr_kernarg_preload_length 0
		.amdhsa_user_sgpr_kernarg_preload_offset 0
		.amdhsa_user_sgpr_private_segment_size 0
		.amdhsa_uses_dynamic_stack 0
		.amdhsa_system_sgpr_private_segment_wavefront_offset 0
		.amdhsa_system_sgpr_workgroup_id_x 1
		.amdhsa_system_sgpr_workgroup_id_y 0
		.amdhsa_system_sgpr_workgroup_id_z 0
		.amdhsa_system_sgpr_workgroup_info 0
		.amdhsa_system_vgpr_workitem_id 0
		.amdhsa_next_free_vgpr 1
		.amdhsa_next_free_sgpr 0
		.amdhsa_accum_offset 4
		.amdhsa_reserve_vcc 0
		.amdhsa_reserve_flat_scratch 0
		.amdhsa_float_round_mode_32 0
		.amdhsa_float_round_mode_16_64 0
		.amdhsa_float_denorm_mode_32 3
		.amdhsa_float_denorm_mode_16_64 3
		.amdhsa_dx10_clamp 1
		.amdhsa_ieee_mode 1
		.amdhsa_fp16_overflow 0
		.amdhsa_tg_split 0
		.amdhsa_exception_fp_ieee_invalid_op 0
		.amdhsa_exception_fp_denorm_src 0
		.amdhsa_exception_fp_ieee_div_zero 0
		.amdhsa_exception_fp_ieee_overflow 0
		.amdhsa_exception_fp_ieee_underflow 0
		.amdhsa_exception_fp_ieee_inexact 0
		.amdhsa_exception_int_div_zero 0
	.end_amdhsa_kernel
	.section	.text._ZN7rocprim17ROCPRIM_400000_NS6detail17trampoline_kernelINS0_14default_configENS1_25partition_config_selectorILNS1_17partition_subalgoE1EsNS0_10empty_typeEbEEZZNS1_14partition_implILS5_1ELb0ES3_jN6thrust23THRUST_200600_302600_NS6detail15normal_iteratorINSA_10device_ptrIsEEEEPS6_NSA_18transform_iteratorINSA_8identityIsEESF_NSA_11use_defaultESK_EENS0_5tupleIJSF_SF_EEENSM_IJSG_SG_EEES6_PlJS6_EEE10hipError_tPvRmT3_T4_T5_T6_T7_T9_mT8_P12ihipStream_tbDpT10_ENKUlT_T0_E_clISt17integral_constantIbLb0EES18_IbLb1EEEEDaS14_S15_EUlS14_E_NS1_11comp_targetILNS1_3genE3ELNS1_11target_archE908ELNS1_3gpuE7ELNS1_3repE0EEENS1_30default_config_static_selectorELNS0_4arch9wavefront6targetE1EEEvT1_,"axG",@progbits,_ZN7rocprim17ROCPRIM_400000_NS6detail17trampoline_kernelINS0_14default_configENS1_25partition_config_selectorILNS1_17partition_subalgoE1EsNS0_10empty_typeEbEEZZNS1_14partition_implILS5_1ELb0ES3_jN6thrust23THRUST_200600_302600_NS6detail15normal_iteratorINSA_10device_ptrIsEEEEPS6_NSA_18transform_iteratorINSA_8identityIsEESF_NSA_11use_defaultESK_EENS0_5tupleIJSF_SF_EEENSM_IJSG_SG_EEES6_PlJS6_EEE10hipError_tPvRmT3_T4_T5_T6_T7_T9_mT8_P12ihipStream_tbDpT10_ENKUlT_T0_E_clISt17integral_constantIbLb0EES18_IbLb1EEEEDaS14_S15_EUlS14_E_NS1_11comp_targetILNS1_3genE3ELNS1_11target_archE908ELNS1_3gpuE7ELNS1_3repE0EEENS1_30default_config_static_selectorELNS0_4arch9wavefront6targetE1EEEvT1_,comdat
.Lfunc_end668:
	.size	_ZN7rocprim17ROCPRIM_400000_NS6detail17trampoline_kernelINS0_14default_configENS1_25partition_config_selectorILNS1_17partition_subalgoE1EsNS0_10empty_typeEbEEZZNS1_14partition_implILS5_1ELb0ES3_jN6thrust23THRUST_200600_302600_NS6detail15normal_iteratorINSA_10device_ptrIsEEEEPS6_NSA_18transform_iteratorINSA_8identityIsEESF_NSA_11use_defaultESK_EENS0_5tupleIJSF_SF_EEENSM_IJSG_SG_EEES6_PlJS6_EEE10hipError_tPvRmT3_T4_T5_T6_T7_T9_mT8_P12ihipStream_tbDpT10_ENKUlT_T0_E_clISt17integral_constantIbLb0EES18_IbLb1EEEEDaS14_S15_EUlS14_E_NS1_11comp_targetILNS1_3genE3ELNS1_11target_archE908ELNS1_3gpuE7ELNS1_3repE0EEENS1_30default_config_static_selectorELNS0_4arch9wavefront6targetE1EEEvT1_, .Lfunc_end668-_ZN7rocprim17ROCPRIM_400000_NS6detail17trampoline_kernelINS0_14default_configENS1_25partition_config_selectorILNS1_17partition_subalgoE1EsNS0_10empty_typeEbEEZZNS1_14partition_implILS5_1ELb0ES3_jN6thrust23THRUST_200600_302600_NS6detail15normal_iteratorINSA_10device_ptrIsEEEEPS6_NSA_18transform_iteratorINSA_8identityIsEESF_NSA_11use_defaultESK_EENS0_5tupleIJSF_SF_EEENSM_IJSG_SG_EEES6_PlJS6_EEE10hipError_tPvRmT3_T4_T5_T6_T7_T9_mT8_P12ihipStream_tbDpT10_ENKUlT_T0_E_clISt17integral_constantIbLb0EES18_IbLb1EEEEDaS14_S15_EUlS14_E_NS1_11comp_targetILNS1_3genE3ELNS1_11target_archE908ELNS1_3gpuE7ELNS1_3repE0EEENS1_30default_config_static_selectorELNS0_4arch9wavefront6targetE1EEEvT1_
                                        ; -- End function
	.section	.AMDGPU.csdata,"",@progbits
; Kernel info:
; codeLenInByte = 0
; NumSgprs: 4
; NumVgprs: 0
; NumAgprs: 0
; TotalNumVgprs: 0
; ScratchSize: 0
; MemoryBound: 0
; FloatMode: 240
; IeeeMode: 1
; LDSByteSize: 0 bytes/workgroup (compile time only)
; SGPRBlocks: 0
; VGPRBlocks: 0
; NumSGPRsForWavesPerEU: 4
; NumVGPRsForWavesPerEU: 1
; AccumOffset: 4
; Occupancy: 8
; WaveLimiterHint : 0
; COMPUTE_PGM_RSRC2:SCRATCH_EN: 0
; COMPUTE_PGM_RSRC2:USER_SGPR: 6
; COMPUTE_PGM_RSRC2:TRAP_HANDLER: 0
; COMPUTE_PGM_RSRC2:TGID_X_EN: 1
; COMPUTE_PGM_RSRC2:TGID_Y_EN: 0
; COMPUTE_PGM_RSRC2:TGID_Z_EN: 0
; COMPUTE_PGM_RSRC2:TIDIG_COMP_CNT: 0
; COMPUTE_PGM_RSRC3_GFX90A:ACCUM_OFFSET: 0
; COMPUTE_PGM_RSRC3_GFX90A:TG_SPLIT: 0
	.section	.text._ZN7rocprim17ROCPRIM_400000_NS6detail17trampoline_kernelINS0_14default_configENS1_25partition_config_selectorILNS1_17partition_subalgoE1EsNS0_10empty_typeEbEEZZNS1_14partition_implILS5_1ELb0ES3_jN6thrust23THRUST_200600_302600_NS6detail15normal_iteratorINSA_10device_ptrIsEEEEPS6_NSA_18transform_iteratorINSA_8identityIsEESF_NSA_11use_defaultESK_EENS0_5tupleIJSF_SF_EEENSM_IJSG_SG_EEES6_PlJS6_EEE10hipError_tPvRmT3_T4_T5_T6_T7_T9_mT8_P12ihipStream_tbDpT10_ENKUlT_T0_E_clISt17integral_constantIbLb0EES18_IbLb1EEEEDaS14_S15_EUlS14_E_NS1_11comp_targetILNS1_3genE2ELNS1_11target_archE906ELNS1_3gpuE6ELNS1_3repE0EEENS1_30default_config_static_selectorELNS0_4arch9wavefront6targetE1EEEvT1_,"axG",@progbits,_ZN7rocprim17ROCPRIM_400000_NS6detail17trampoline_kernelINS0_14default_configENS1_25partition_config_selectorILNS1_17partition_subalgoE1EsNS0_10empty_typeEbEEZZNS1_14partition_implILS5_1ELb0ES3_jN6thrust23THRUST_200600_302600_NS6detail15normal_iteratorINSA_10device_ptrIsEEEEPS6_NSA_18transform_iteratorINSA_8identityIsEESF_NSA_11use_defaultESK_EENS0_5tupleIJSF_SF_EEENSM_IJSG_SG_EEES6_PlJS6_EEE10hipError_tPvRmT3_T4_T5_T6_T7_T9_mT8_P12ihipStream_tbDpT10_ENKUlT_T0_E_clISt17integral_constantIbLb0EES18_IbLb1EEEEDaS14_S15_EUlS14_E_NS1_11comp_targetILNS1_3genE2ELNS1_11target_archE906ELNS1_3gpuE6ELNS1_3repE0EEENS1_30default_config_static_selectorELNS0_4arch9wavefront6targetE1EEEvT1_,comdat
	.protected	_ZN7rocprim17ROCPRIM_400000_NS6detail17trampoline_kernelINS0_14default_configENS1_25partition_config_selectorILNS1_17partition_subalgoE1EsNS0_10empty_typeEbEEZZNS1_14partition_implILS5_1ELb0ES3_jN6thrust23THRUST_200600_302600_NS6detail15normal_iteratorINSA_10device_ptrIsEEEEPS6_NSA_18transform_iteratorINSA_8identityIsEESF_NSA_11use_defaultESK_EENS0_5tupleIJSF_SF_EEENSM_IJSG_SG_EEES6_PlJS6_EEE10hipError_tPvRmT3_T4_T5_T6_T7_T9_mT8_P12ihipStream_tbDpT10_ENKUlT_T0_E_clISt17integral_constantIbLb0EES18_IbLb1EEEEDaS14_S15_EUlS14_E_NS1_11comp_targetILNS1_3genE2ELNS1_11target_archE906ELNS1_3gpuE6ELNS1_3repE0EEENS1_30default_config_static_selectorELNS0_4arch9wavefront6targetE1EEEvT1_ ; -- Begin function _ZN7rocprim17ROCPRIM_400000_NS6detail17trampoline_kernelINS0_14default_configENS1_25partition_config_selectorILNS1_17partition_subalgoE1EsNS0_10empty_typeEbEEZZNS1_14partition_implILS5_1ELb0ES3_jN6thrust23THRUST_200600_302600_NS6detail15normal_iteratorINSA_10device_ptrIsEEEEPS6_NSA_18transform_iteratorINSA_8identityIsEESF_NSA_11use_defaultESK_EENS0_5tupleIJSF_SF_EEENSM_IJSG_SG_EEES6_PlJS6_EEE10hipError_tPvRmT3_T4_T5_T6_T7_T9_mT8_P12ihipStream_tbDpT10_ENKUlT_T0_E_clISt17integral_constantIbLb0EES18_IbLb1EEEEDaS14_S15_EUlS14_E_NS1_11comp_targetILNS1_3genE2ELNS1_11target_archE906ELNS1_3gpuE6ELNS1_3repE0EEENS1_30default_config_static_selectorELNS0_4arch9wavefront6targetE1EEEvT1_
	.globl	_ZN7rocprim17ROCPRIM_400000_NS6detail17trampoline_kernelINS0_14default_configENS1_25partition_config_selectorILNS1_17partition_subalgoE1EsNS0_10empty_typeEbEEZZNS1_14partition_implILS5_1ELb0ES3_jN6thrust23THRUST_200600_302600_NS6detail15normal_iteratorINSA_10device_ptrIsEEEEPS6_NSA_18transform_iteratorINSA_8identityIsEESF_NSA_11use_defaultESK_EENS0_5tupleIJSF_SF_EEENSM_IJSG_SG_EEES6_PlJS6_EEE10hipError_tPvRmT3_T4_T5_T6_T7_T9_mT8_P12ihipStream_tbDpT10_ENKUlT_T0_E_clISt17integral_constantIbLb0EES18_IbLb1EEEEDaS14_S15_EUlS14_E_NS1_11comp_targetILNS1_3genE2ELNS1_11target_archE906ELNS1_3gpuE6ELNS1_3repE0EEENS1_30default_config_static_selectorELNS0_4arch9wavefront6targetE1EEEvT1_
	.p2align	8
	.type	_ZN7rocprim17ROCPRIM_400000_NS6detail17trampoline_kernelINS0_14default_configENS1_25partition_config_selectorILNS1_17partition_subalgoE1EsNS0_10empty_typeEbEEZZNS1_14partition_implILS5_1ELb0ES3_jN6thrust23THRUST_200600_302600_NS6detail15normal_iteratorINSA_10device_ptrIsEEEEPS6_NSA_18transform_iteratorINSA_8identityIsEESF_NSA_11use_defaultESK_EENS0_5tupleIJSF_SF_EEENSM_IJSG_SG_EEES6_PlJS6_EEE10hipError_tPvRmT3_T4_T5_T6_T7_T9_mT8_P12ihipStream_tbDpT10_ENKUlT_T0_E_clISt17integral_constantIbLb0EES18_IbLb1EEEEDaS14_S15_EUlS14_E_NS1_11comp_targetILNS1_3genE2ELNS1_11target_archE906ELNS1_3gpuE6ELNS1_3repE0EEENS1_30default_config_static_selectorELNS0_4arch9wavefront6targetE1EEEvT1_,@function
_ZN7rocprim17ROCPRIM_400000_NS6detail17trampoline_kernelINS0_14default_configENS1_25partition_config_selectorILNS1_17partition_subalgoE1EsNS0_10empty_typeEbEEZZNS1_14partition_implILS5_1ELb0ES3_jN6thrust23THRUST_200600_302600_NS6detail15normal_iteratorINSA_10device_ptrIsEEEEPS6_NSA_18transform_iteratorINSA_8identityIsEESF_NSA_11use_defaultESK_EENS0_5tupleIJSF_SF_EEENSM_IJSG_SG_EEES6_PlJS6_EEE10hipError_tPvRmT3_T4_T5_T6_T7_T9_mT8_P12ihipStream_tbDpT10_ENKUlT_T0_E_clISt17integral_constantIbLb0EES18_IbLb1EEEEDaS14_S15_EUlS14_E_NS1_11comp_targetILNS1_3genE2ELNS1_11target_archE906ELNS1_3gpuE6ELNS1_3repE0EEENS1_30default_config_static_selectorELNS0_4arch9wavefront6targetE1EEEvT1_: ; @_ZN7rocprim17ROCPRIM_400000_NS6detail17trampoline_kernelINS0_14default_configENS1_25partition_config_selectorILNS1_17partition_subalgoE1EsNS0_10empty_typeEbEEZZNS1_14partition_implILS5_1ELb0ES3_jN6thrust23THRUST_200600_302600_NS6detail15normal_iteratorINSA_10device_ptrIsEEEEPS6_NSA_18transform_iteratorINSA_8identityIsEESF_NSA_11use_defaultESK_EENS0_5tupleIJSF_SF_EEENSM_IJSG_SG_EEES6_PlJS6_EEE10hipError_tPvRmT3_T4_T5_T6_T7_T9_mT8_P12ihipStream_tbDpT10_ENKUlT_T0_E_clISt17integral_constantIbLb0EES18_IbLb1EEEEDaS14_S15_EUlS14_E_NS1_11comp_targetILNS1_3genE2ELNS1_11target_archE906ELNS1_3gpuE6ELNS1_3repE0EEENS1_30default_config_static_selectorELNS0_4arch9wavefront6targetE1EEEvT1_
; %bb.0:
	.section	.rodata,"a",@progbits
	.p2align	6, 0x0
	.amdhsa_kernel _ZN7rocprim17ROCPRIM_400000_NS6detail17trampoline_kernelINS0_14default_configENS1_25partition_config_selectorILNS1_17partition_subalgoE1EsNS0_10empty_typeEbEEZZNS1_14partition_implILS5_1ELb0ES3_jN6thrust23THRUST_200600_302600_NS6detail15normal_iteratorINSA_10device_ptrIsEEEEPS6_NSA_18transform_iteratorINSA_8identityIsEESF_NSA_11use_defaultESK_EENS0_5tupleIJSF_SF_EEENSM_IJSG_SG_EEES6_PlJS6_EEE10hipError_tPvRmT3_T4_T5_T6_T7_T9_mT8_P12ihipStream_tbDpT10_ENKUlT_T0_E_clISt17integral_constantIbLb0EES18_IbLb1EEEEDaS14_S15_EUlS14_E_NS1_11comp_targetILNS1_3genE2ELNS1_11target_archE906ELNS1_3gpuE6ELNS1_3repE0EEENS1_30default_config_static_selectorELNS0_4arch9wavefront6targetE1EEEvT1_
		.amdhsa_group_segment_fixed_size 0
		.amdhsa_private_segment_fixed_size 0
		.amdhsa_kernarg_size 144
		.amdhsa_user_sgpr_count 6
		.amdhsa_user_sgpr_private_segment_buffer 1
		.amdhsa_user_sgpr_dispatch_ptr 0
		.amdhsa_user_sgpr_queue_ptr 0
		.amdhsa_user_sgpr_kernarg_segment_ptr 1
		.amdhsa_user_sgpr_dispatch_id 0
		.amdhsa_user_sgpr_flat_scratch_init 0
		.amdhsa_user_sgpr_kernarg_preload_length 0
		.amdhsa_user_sgpr_kernarg_preload_offset 0
		.amdhsa_user_sgpr_private_segment_size 0
		.amdhsa_uses_dynamic_stack 0
		.amdhsa_system_sgpr_private_segment_wavefront_offset 0
		.amdhsa_system_sgpr_workgroup_id_x 1
		.amdhsa_system_sgpr_workgroup_id_y 0
		.amdhsa_system_sgpr_workgroup_id_z 0
		.amdhsa_system_sgpr_workgroup_info 0
		.amdhsa_system_vgpr_workitem_id 0
		.amdhsa_next_free_vgpr 1
		.amdhsa_next_free_sgpr 0
		.amdhsa_accum_offset 4
		.amdhsa_reserve_vcc 0
		.amdhsa_reserve_flat_scratch 0
		.amdhsa_float_round_mode_32 0
		.amdhsa_float_round_mode_16_64 0
		.amdhsa_float_denorm_mode_32 3
		.amdhsa_float_denorm_mode_16_64 3
		.amdhsa_dx10_clamp 1
		.amdhsa_ieee_mode 1
		.amdhsa_fp16_overflow 0
		.amdhsa_tg_split 0
		.amdhsa_exception_fp_ieee_invalid_op 0
		.amdhsa_exception_fp_denorm_src 0
		.amdhsa_exception_fp_ieee_div_zero 0
		.amdhsa_exception_fp_ieee_overflow 0
		.amdhsa_exception_fp_ieee_underflow 0
		.amdhsa_exception_fp_ieee_inexact 0
		.amdhsa_exception_int_div_zero 0
	.end_amdhsa_kernel
	.section	.text._ZN7rocprim17ROCPRIM_400000_NS6detail17trampoline_kernelINS0_14default_configENS1_25partition_config_selectorILNS1_17partition_subalgoE1EsNS0_10empty_typeEbEEZZNS1_14partition_implILS5_1ELb0ES3_jN6thrust23THRUST_200600_302600_NS6detail15normal_iteratorINSA_10device_ptrIsEEEEPS6_NSA_18transform_iteratorINSA_8identityIsEESF_NSA_11use_defaultESK_EENS0_5tupleIJSF_SF_EEENSM_IJSG_SG_EEES6_PlJS6_EEE10hipError_tPvRmT3_T4_T5_T6_T7_T9_mT8_P12ihipStream_tbDpT10_ENKUlT_T0_E_clISt17integral_constantIbLb0EES18_IbLb1EEEEDaS14_S15_EUlS14_E_NS1_11comp_targetILNS1_3genE2ELNS1_11target_archE906ELNS1_3gpuE6ELNS1_3repE0EEENS1_30default_config_static_selectorELNS0_4arch9wavefront6targetE1EEEvT1_,"axG",@progbits,_ZN7rocprim17ROCPRIM_400000_NS6detail17trampoline_kernelINS0_14default_configENS1_25partition_config_selectorILNS1_17partition_subalgoE1EsNS0_10empty_typeEbEEZZNS1_14partition_implILS5_1ELb0ES3_jN6thrust23THRUST_200600_302600_NS6detail15normal_iteratorINSA_10device_ptrIsEEEEPS6_NSA_18transform_iteratorINSA_8identityIsEESF_NSA_11use_defaultESK_EENS0_5tupleIJSF_SF_EEENSM_IJSG_SG_EEES6_PlJS6_EEE10hipError_tPvRmT3_T4_T5_T6_T7_T9_mT8_P12ihipStream_tbDpT10_ENKUlT_T0_E_clISt17integral_constantIbLb0EES18_IbLb1EEEEDaS14_S15_EUlS14_E_NS1_11comp_targetILNS1_3genE2ELNS1_11target_archE906ELNS1_3gpuE6ELNS1_3repE0EEENS1_30default_config_static_selectorELNS0_4arch9wavefront6targetE1EEEvT1_,comdat
.Lfunc_end669:
	.size	_ZN7rocprim17ROCPRIM_400000_NS6detail17trampoline_kernelINS0_14default_configENS1_25partition_config_selectorILNS1_17partition_subalgoE1EsNS0_10empty_typeEbEEZZNS1_14partition_implILS5_1ELb0ES3_jN6thrust23THRUST_200600_302600_NS6detail15normal_iteratorINSA_10device_ptrIsEEEEPS6_NSA_18transform_iteratorINSA_8identityIsEESF_NSA_11use_defaultESK_EENS0_5tupleIJSF_SF_EEENSM_IJSG_SG_EEES6_PlJS6_EEE10hipError_tPvRmT3_T4_T5_T6_T7_T9_mT8_P12ihipStream_tbDpT10_ENKUlT_T0_E_clISt17integral_constantIbLb0EES18_IbLb1EEEEDaS14_S15_EUlS14_E_NS1_11comp_targetILNS1_3genE2ELNS1_11target_archE906ELNS1_3gpuE6ELNS1_3repE0EEENS1_30default_config_static_selectorELNS0_4arch9wavefront6targetE1EEEvT1_, .Lfunc_end669-_ZN7rocprim17ROCPRIM_400000_NS6detail17trampoline_kernelINS0_14default_configENS1_25partition_config_selectorILNS1_17partition_subalgoE1EsNS0_10empty_typeEbEEZZNS1_14partition_implILS5_1ELb0ES3_jN6thrust23THRUST_200600_302600_NS6detail15normal_iteratorINSA_10device_ptrIsEEEEPS6_NSA_18transform_iteratorINSA_8identityIsEESF_NSA_11use_defaultESK_EENS0_5tupleIJSF_SF_EEENSM_IJSG_SG_EEES6_PlJS6_EEE10hipError_tPvRmT3_T4_T5_T6_T7_T9_mT8_P12ihipStream_tbDpT10_ENKUlT_T0_E_clISt17integral_constantIbLb0EES18_IbLb1EEEEDaS14_S15_EUlS14_E_NS1_11comp_targetILNS1_3genE2ELNS1_11target_archE906ELNS1_3gpuE6ELNS1_3repE0EEENS1_30default_config_static_selectorELNS0_4arch9wavefront6targetE1EEEvT1_
                                        ; -- End function
	.section	.AMDGPU.csdata,"",@progbits
; Kernel info:
; codeLenInByte = 0
; NumSgprs: 4
; NumVgprs: 0
; NumAgprs: 0
; TotalNumVgprs: 0
; ScratchSize: 0
; MemoryBound: 0
; FloatMode: 240
; IeeeMode: 1
; LDSByteSize: 0 bytes/workgroup (compile time only)
; SGPRBlocks: 0
; VGPRBlocks: 0
; NumSGPRsForWavesPerEU: 4
; NumVGPRsForWavesPerEU: 1
; AccumOffset: 4
; Occupancy: 8
; WaveLimiterHint : 0
; COMPUTE_PGM_RSRC2:SCRATCH_EN: 0
; COMPUTE_PGM_RSRC2:USER_SGPR: 6
; COMPUTE_PGM_RSRC2:TRAP_HANDLER: 0
; COMPUTE_PGM_RSRC2:TGID_X_EN: 1
; COMPUTE_PGM_RSRC2:TGID_Y_EN: 0
; COMPUTE_PGM_RSRC2:TGID_Z_EN: 0
; COMPUTE_PGM_RSRC2:TIDIG_COMP_CNT: 0
; COMPUTE_PGM_RSRC3_GFX90A:ACCUM_OFFSET: 0
; COMPUTE_PGM_RSRC3_GFX90A:TG_SPLIT: 0
	.section	.text._ZN7rocprim17ROCPRIM_400000_NS6detail17trampoline_kernelINS0_14default_configENS1_25partition_config_selectorILNS1_17partition_subalgoE1EsNS0_10empty_typeEbEEZZNS1_14partition_implILS5_1ELb0ES3_jN6thrust23THRUST_200600_302600_NS6detail15normal_iteratorINSA_10device_ptrIsEEEEPS6_NSA_18transform_iteratorINSA_8identityIsEESF_NSA_11use_defaultESK_EENS0_5tupleIJSF_SF_EEENSM_IJSG_SG_EEES6_PlJS6_EEE10hipError_tPvRmT3_T4_T5_T6_T7_T9_mT8_P12ihipStream_tbDpT10_ENKUlT_T0_E_clISt17integral_constantIbLb0EES18_IbLb1EEEEDaS14_S15_EUlS14_E_NS1_11comp_targetILNS1_3genE10ELNS1_11target_archE1200ELNS1_3gpuE4ELNS1_3repE0EEENS1_30default_config_static_selectorELNS0_4arch9wavefront6targetE1EEEvT1_,"axG",@progbits,_ZN7rocprim17ROCPRIM_400000_NS6detail17trampoline_kernelINS0_14default_configENS1_25partition_config_selectorILNS1_17partition_subalgoE1EsNS0_10empty_typeEbEEZZNS1_14partition_implILS5_1ELb0ES3_jN6thrust23THRUST_200600_302600_NS6detail15normal_iteratorINSA_10device_ptrIsEEEEPS6_NSA_18transform_iteratorINSA_8identityIsEESF_NSA_11use_defaultESK_EENS0_5tupleIJSF_SF_EEENSM_IJSG_SG_EEES6_PlJS6_EEE10hipError_tPvRmT3_T4_T5_T6_T7_T9_mT8_P12ihipStream_tbDpT10_ENKUlT_T0_E_clISt17integral_constantIbLb0EES18_IbLb1EEEEDaS14_S15_EUlS14_E_NS1_11comp_targetILNS1_3genE10ELNS1_11target_archE1200ELNS1_3gpuE4ELNS1_3repE0EEENS1_30default_config_static_selectorELNS0_4arch9wavefront6targetE1EEEvT1_,comdat
	.protected	_ZN7rocprim17ROCPRIM_400000_NS6detail17trampoline_kernelINS0_14default_configENS1_25partition_config_selectorILNS1_17partition_subalgoE1EsNS0_10empty_typeEbEEZZNS1_14partition_implILS5_1ELb0ES3_jN6thrust23THRUST_200600_302600_NS6detail15normal_iteratorINSA_10device_ptrIsEEEEPS6_NSA_18transform_iteratorINSA_8identityIsEESF_NSA_11use_defaultESK_EENS0_5tupleIJSF_SF_EEENSM_IJSG_SG_EEES6_PlJS6_EEE10hipError_tPvRmT3_T4_T5_T6_T7_T9_mT8_P12ihipStream_tbDpT10_ENKUlT_T0_E_clISt17integral_constantIbLb0EES18_IbLb1EEEEDaS14_S15_EUlS14_E_NS1_11comp_targetILNS1_3genE10ELNS1_11target_archE1200ELNS1_3gpuE4ELNS1_3repE0EEENS1_30default_config_static_selectorELNS0_4arch9wavefront6targetE1EEEvT1_ ; -- Begin function _ZN7rocprim17ROCPRIM_400000_NS6detail17trampoline_kernelINS0_14default_configENS1_25partition_config_selectorILNS1_17partition_subalgoE1EsNS0_10empty_typeEbEEZZNS1_14partition_implILS5_1ELb0ES3_jN6thrust23THRUST_200600_302600_NS6detail15normal_iteratorINSA_10device_ptrIsEEEEPS6_NSA_18transform_iteratorINSA_8identityIsEESF_NSA_11use_defaultESK_EENS0_5tupleIJSF_SF_EEENSM_IJSG_SG_EEES6_PlJS6_EEE10hipError_tPvRmT3_T4_T5_T6_T7_T9_mT8_P12ihipStream_tbDpT10_ENKUlT_T0_E_clISt17integral_constantIbLb0EES18_IbLb1EEEEDaS14_S15_EUlS14_E_NS1_11comp_targetILNS1_3genE10ELNS1_11target_archE1200ELNS1_3gpuE4ELNS1_3repE0EEENS1_30default_config_static_selectorELNS0_4arch9wavefront6targetE1EEEvT1_
	.globl	_ZN7rocprim17ROCPRIM_400000_NS6detail17trampoline_kernelINS0_14default_configENS1_25partition_config_selectorILNS1_17partition_subalgoE1EsNS0_10empty_typeEbEEZZNS1_14partition_implILS5_1ELb0ES3_jN6thrust23THRUST_200600_302600_NS6detail15normal_iteratorINSA_10device_ptrIsEEEEPS6_NSA_18transform_iteratorINSA_8identityIsEESF_NSA_11use_defaultESK_EENS0_5tupleIJSF_SF_EEENSM_IJSG_SG_EEES6_PlJS6_EEE10hipError_tPvRmT3_T4_T5_T6_T7_T9_mT8_P12ihipStream_tbDpT10_ENKUlT_T0_E_clISt17integral_constantIbLb0EES18_IbLb1EEEEDaS14_S15_EUlS14_E_NS1_11comp_targetILNS1_3genE10ELNS1_11target_archE1200ELNS1_3gpuE4ELNS1_3repE0EEENS1_30default_config_static_selectorELNS0_4arch9wavefront6targetE1EEEvT1_
	.p2align	8
	.type	_ZN7rocprim17ROCPRIM_400000_NS6detail17trampoline_kernelINS0_14default_configENS1_25partition_config_selectorILNS1_17partition_subalgoE1EsNS0_10empty_typeEbEEZZNS1_14partition_implILS5_1ELb0ES3_jN6thrust23THRUST_200600_302600_NS6detail15normal_iteratorINSA_10device_ptrIsEEEEPS6_NSA_18transform_iteratorINSA_8identityIsEESF_NSA_11use_defaultESK_EENS0_5tupleIJSF_SF_EEENSM_IJSG_SG_EEES6_PlJS6_EEE10hipError_tPvRmT3_T4_T5_T6_T7_T9_mT8_P12ihipStream_tbDpT10_ENKUlT_T0_E_clISt17integral_constantIbLb0EES18_IbLb1EEEEDaS14_S15_EUlS14_E_NS1_11comp_targetILNS1_3genE10ELNS1_11target_archE1200ELNS1_3gpuE4ELNS1_3repE0EEENS1_30default_config_static_selectorELNS0_4arch9wavefront6targetE1EEEvT1_,@function
_ZN7rocprim17ROCPRIM_400000_NS6detail17trampoline_kernelINS0_14default_configENS1_25partition_config_selectorILNS1_17partition_subalgoE1EsNS0_10empty_typeEbEEZZNS1_14partition_implILS5_1ELb0ES3_jN6thrust23THRUST_200600_302600_NS6detail15normal_iteratorINSA_10device_ptrIsEEEEPS6_NSA_18transform_iteratorINSA_8identityIsEESF_NSA_11use_defaultESK_EENS0_5tupleIJSF_SF_EEENSM_IJSG_SG_EEES6_PlJS6_EEE10hipError_tPvRmT3_T4_T5_T6_T7_T9_mT8_P12ihipStream_tbDpT10_ENKUlT_T0_E_clISt17integral_constantIbLb0EES18_IbLb1EEEEDaS14_S15_EUlS14_E_NS1_11comp_targetILNS1_3genE10ELNS1_11target_archE1200ELNS1_3gpuE4ELNS1_3repE0EEENS1_30default_config_static_selectorELNS0_4arch9wavefront6targetE1EEEvT1_: ; @_ZN7rocprim17ROCPRIM_400000_NS6detail17trampoline_kernelINS0_14default_configENS1_25partition_config_selectorILNS1_17partition_subalgoE1EsNS0_10empty_typeEbEEZZNS1_14partition_implILS5_1ELb0ES3_jN6thrust23THRUST_200600_302600_NS6detail15normal_iteratorINSA_10device_ptrIsEEEEPS6_NSA_18transform_iteratorINSA_8identityIsEESF_NSA_11use_defaultESK_EENS0_5tupleIJSF_SF_EEENSM_IJSG_SG_EEES6_PlJS6_EEE10hipError_tPvRmT3_T4_T5_T6_T7_T9_mT8_P12ihipStream_tbDpT10_ENKUlT_T0_E_clISt17integral_constantIbLb0EES18_IbLb1EEEEDaS14_S15_EUlS14_E_NS1_11comp_targetILNS1_3genE10ELNS1_11target_archE1200ELNS1_3gpuE4ELNS1_3repE0EEENS1_30default_config_static_selectorELNS0_4arch9wavefront6targetE1EEEvT1_
; %bb.0:
	.section	.rodata,"a",@progbits
	.p2align	6, 0x0
	.amdhsa_kernel _ZN7rocprim17ROCPRIM_400000_NS6detail17trampoline_kernelINS0_14default_configENS1_25partition_config_selectorILNS1_17partition_subalgoE1EsNS0_10empty_typeEbEEZZNS1_14partition_implILS5_1ELb0ES3_jN6thrust23THRUST_200600_302600_NS6detail15normal_iteratorINSA_10device_ptrIsEEEEPS6_NSA_18transform_iteratorINSA_8identityIsEESF_NSA_11use_defaultESK_EENS0_5tupleIJSF_SF_EEENSM_IJSG_SG_EEES6_PlJS6_EEE10hipError_tPvRmT3_T4_T5_T6_T7_T9_mT8_P12ihipStream_tbDpT10_ENKUlT_T0_E_clISt17integral_constantIbLb0EES18_IbLb1EEEEDaS14_S15_EUlS14_E_NS1_11comp_targetILNS1_3genE10ELNS1_11target_archE1200ELNS1_3gpuE4ELNS1_3repE0EEENS1_30default_config_static_selectorELNS0_4arch9wavefront6targetE1EEEvT1_
		.amdhsa_group_segment_fixed_size 0
		.amdhsa_private_segment_fixed_size 0
		.amdhsa_kernarg_size 144
		.amdhsa_user_sgpr_count 6
		.amdhsa_user_sgpr_private_segment_buffer 1
		.amdhsa_user_sgpr_dispatch_ptr 0
		.amdhsa_user_sgpr_queue_ptr 0
		.amdhsa_user_sgpr_kernarg_segment_ptr 1
		.amdhsa_user_sgpr_dispatch_id 0
		.amdhsa_user_sgpr_flat_scratch_init 0
		.amdhsa_user_sgpr_kernarg_preload_length 0
		.amdhsa_user_sgpr_kernarg_preload_offset 0
		.amdhsa_user_sgpr_private_segment_size 0
		.amdhsa_uses_dynamic_stack 0
		.amdhsa_system_sgpr_private_segment_wavefront_offset 0
		.amdhsa_system_sgpr_workgroup_id_x 1
		.amdhsa_system_sgpr_workgroup_id_y 0
		.amdhsa_system_sgpr_workgroup_id_z 0
		.amdhsa_system_sgpr_workgroup_info 0
		.amdhsa_system_vgpr_workitem_id 0
		.amdhsa_next_free_vgpr 1
		.amdhsa_next_free_sgpr 0
		.amdhsa_accum_offset 4
		.amdhsa_reserve_vcc 0
		.amdhsa_reserve_flat_scratch 0
		.amdhsa_float_round_mode_32 0
		.amdhsa_float_round_mode_16_64 0
		.amdhsa_float_denorm_mode_32 3
		.amdhsa_float_denorm_mode_16_64 3
		.amdhsa_dx10_clamp 1
		.amdhsa_ieee_mode 1
		.amdhsa_fp16_overflow 0
		.amdhsa_tg_split 0
		.amdhsa_exception_fp_ieee_invalid_op 0
		.amdhsa_exception_fp_denorm_src 0
		.amdhsa_exception_fp_ieee_div_zero 0
		.amdhsa_exception_fp_ieee_overflow 0
		.amdhsa_exception_fp_ieee_underflow 0
		.amdhsa_exception_fp_ieee_inexact 0
		.amdhsa_exception_int_div_zero 0
	.end_amdhsa_kernel
	.section	.text._ZN7rocprim17ROCPRIM_400000_NS6detail17trampoline_kernelINS0_14default_configENS1_25partition_config_selectorILNS1_17partition_subalgoE1EsNS0_10empty_typeEbEEZZNS1_14partition_implILS5_1ELb0ES3_jN6thrust23THRUST_200600_302600_NS6detail15normal_iteratorINSA_10device_ptrIsEEEEPS6_NSA_18transform_iteratorINSA_8identityIsEESF_NSA_11use_defaultESK_EENS0_5tupleIJSF_SF_EEENSM_IJSG_SG_EEES6_PlJS6_EEE10hipError_tPvRmT3_T4_T5_T6_T7_T9_mT8_P12ihipStream_tbDpT10_ENKUlT_T0_E_clISt17integral_constantIbLb0EES18_IbLb1EEEEDaS14_S15_EUlS14_E_NS1_11comp_targetILNS1_3genE10ELNS1_11target_archE1200ELNS1_3gpuE4ELNS1_3repE0EEENS1_30default_config_static_selectorELNS0_4arch9wavefront6targetE1EEEvT1_,"axG",@progbits,_ZN7rocprim17ROCPRIM_400000_NS6detail17trampoline_kernelINS0_14default_configENS1_25partition_config_selectorILNS1_17partition_subalgoE1EsNS0_10empty_typeEbEEZZNS1_14partition_implILS5_1ELb0ES3_jN6thrust23THRUST_200600_302600_NS6detail15normal_iteratorINSA_10device_ptrIsEEEEPS6_NSA_18transform_iteratorINSA_8identityIsEESF_NSA_11use_defaultESK_EENS0_5tupleIJSF_SF_EEENSM_IJSG_SG_EEES6_PlJS6_EEE10hipError_tPvRmT3_T4_T5_T6_T7_T9_mT8_P12ihipStream_tbDpT10_ENKUlT_T0_E_clISt17integral_constantIbLb0EES18_IbLb1EEEEDaS14_S15_EUlS14_E_NS1_11comp_targetILNS1_3genE10ELNS1_11target_archE1200ELNS1_3gpuE4ELNS1_3repE0EEENS1_30default_config_static_selectorELNS0_4arch9wavefront6targetE1EEEvT1_,comdat
.Lfunc_end670:
	.size	_ZN7rocprim17ROCPRIM_400000_NS6detail17trampoline_kernelINS0_14default_configENS1_25partition_config_selectorILNS1_17partition_subalgoE1EsNS0_10empty_typeEbEEZZNS1_14partition_implILS5_1ELb0ES3_jN6thrust23THRUST_200600_302600_NS6detail15normal_iteratorINSA_10device_ptrIsEEEEPS6_NSA_18transform_iteratorINSA_8identityIsEESF_NSA_11use_defaultESK_EENS0_5tupleIJSF_SF_EEENSM_IJSG_SG_EEES6_PlJS6_EEE10hipError_tPvRmT3_T4_T5_T6_T7_T9_mT8_P12ihipStream_tbDpT10_ENKUlT_T0_E_clISt17integral_constantIbLb0EES18_IbLb1EEEEDaS14_S15_EUlS14_E_NS1_11comp_targetILNS1_3genE10ELNS1_11target_archE1200ELNS1_3gpuE4ELNS1_3repE0EEENS1_30default_config_static_selectorELNS0_4arch9wavefront6targetE1EEEvT1_, .Lfunc_end670-_ZN7rocprim17ROCPRIM_400000_NS6detail17trampoline_kernelINS0_14default_configENS1_25partition_config_selectorILNS1_17partition_subalgoE1EsNS0_10empty_typeEbEEZZNS1_14partition_implILS5_1ELb0ES3_jN6thrust23THRUST_200600_302600_NS6detail15normal_iteratorINSA_10device_ptrIsEEEEPS6_NSA_18transform_iteratorINSA_8identityIsEESF_NSA_11use_defaultESK_EENS0_5tupleIJSF_SF_EEENSM_IJSG_SG_EEES6_PlJS6_EEE10hipError_tPvRmT3_T4_T5_T6_T7_T9_mT8_P12ihipStream_tbDpT10_ENKUlT_T0_E_clISt17integral_constantIbLb0EES18_IbLb1EEEEDaS14_S15_EUlS14_E_NS1_11comp_targetILNS1_3genE10ELNS1_11target_archE1200ELNS1_3gpuE4ELNS1_3repE0EEENS1_30default_config_static_selectorELNS0_4arch9wavefront6targetE1EEEvT1_
                                        ; -- End function
	.section	.AMDGPU.csdata,"",@progbits
; Kernel info:
; codeLenInByte = 0
; NumSgprs: 4
; NumVgprs: 0
; NumAgprs: 0
; TotalNumVgprs: 0
; ScratchSize: 0
; MemoryBound: 0
; FloatMode: 240
; IeeeMode: 1
; LDSByteSize: 0 bytes/workgroup (compile time only)
; SGPRBlocks: 0
; VGPRBlocks: 0
; NumSGPRsForWavesPerEU: 4
; NumVGPRsForWavesPerEU: 1
; AccumOffset: 4
; Occupancy: 8
; WaveLimiterHint : 0
; COMPUTE_PGM_RSRC2:SCRATCH_EN: 0
; COMPUTE_PGM_RSRC2:USER_SGPR: 6
; COMPUTE_PGM_RSRC2:TRAP_HANDLER: 0
; COMPUTE_PGM_RSRC2:TGID_X_EN: 1
; COMPUTE_PGM_RSRC2:TGID_Y_EN: 0
; COMPUTE_PGM_RSRC2:TGID_Z_EN: 0
; COMPUTE_PGM_RSRC2:TIDIG_COMP_CNT: 0
; COMPUTE_PGM_RSRC3_GFX90A:ACCUM_OFFSET: 0
; COMPUTE_PGM_RSRC3_GFX90A:TG_SPLIT: 0
	.section	.text._ZN7rocprim17ROCPRIM_400000_NS6detail17trampoline_kernelINS0_14default_configENS1_25partition_config_selectorILNS1_17partition_subalgoE1EsNS0_10empty_typeEbEEZZNS1_14partition_implILS5_1ELb0ES3_jN6thrust23THRUST_200600_302600_NS6detail15normal_iteratorINSA_10device_ptrIsEEEEPS6_NSA_18transform_iteratorINSA_8identityIsEESF_NSA_11use_defaultESK_EENS0_5tupleIJSF_SF_EEENSM_IJSG_SG_EEES6_PlJS6_EEE10hipError_tPvRmT3_T4_T5_T6_T7_T9_mT8_P12ihipStream_tbDpT10_ENKUlT_T0_E_clISt17integral_constantIbLb0EES18_IbLb1EEEEDaS14_S15_EUlS14_E_NS1_11comp_targetILNS1_3genE9ELNS1_11target_archE1100ELNS1_3gpuE3ELNS1_3repE0EEENS1_30default_config_static_selectorELNS0_4arch9wavefront6targetE1EEEvT1_,"axG",@progbits,_ZN7rocprim17ROCPRIM_400000_NS6detail17trampoline_kernelINS0_14default_configENS1_25partition_config_selectorILNS1_17partition_subalgoE1EsNS0_10empty_typeEbEEZZNS1_14partition_implILS5_1ELb0ES3_jN6thrust23THRUST_200600_302600_NS6detail15normal_iteratorINSA_10device_ptrIsEEEEPS6_NSA_18transform_iteratorINSA_8identityIsEESF_NSA_11use_defaultESK_EENS0_5tupleIJSF_SF_EEENSM_IJSG_SG_EEES6_PlJS6_EEE10hipError_tPvRmT3_T4_T5_T6_T7_T9_mT8_P12ihipStream_tbDpT10_ENKUlT_T0_E_clISt17integral_constantIbLb0EES18_IbLb1EEEEDaS14_S15_EUlS14_E_NS1_11comp_targetILNS1_3genE9ELNS1_11target_archE1100ELNS1_3gpuE3ELNS1_3repE0EEENS1_30default_config_static_selectorELNS0_4arch9wavefront6targetE1EEEvT1_,comdat
	.protected	_ZN7rocprim17ROCPRIM_400000_NS6detail17trampoline_kernelINS0_14default_configENS1_25partition_config_selectorILNS1_17partition_subalgoE1EsNS0_10empty_typeEbEEZZNS1_14partition_implILS5_1ELb0ES3_jN6thrust23THRUST_200600_302600_NS6detail15normal_iteratorINSA_10device_ptrIsEEEEPS6_NSA_18transform_iteratorINSA_8identityIsEESF_NSA_11use_defaultESK_EENS0_5tupleIJSF_SF_EEENSM_IJSG_SG_EEES6_PlJS6_EEE10hipError_tPvRmT3_T4_T5_T6_T7_T9_mT8_P12ihipStream_tbDpT10_ENKUlT_T0_E_clISt17integral_constantIbLb0EES18_IbLb1EEEEDaS14_S15_EUlS14_E_NS1_11comp_targetILNS1_3genE9ELNS1_11target_archE1100ELNS1_3gpuE3ELNS1_3repE0EEENS1_30default_config_static_selectorELNS0_4arch9wavefront6targetE1EEEvT1_ ; -- Begin function _ZN7rocprim17ROCPRIM_400000_NS6detail17trampoline_kernelINS0_14default_configENS1_25partition_config_selectorILNS1_17partition_subalgoE1EsNS0_10empty_typeEbEEZZNS1_14partition_implILS5_1ELb0ES3_jN6thrust23THRUST_200600_302600_NS6detail15normal_iteratorINSA_10device_ptrIsEEEEPS6_NSA_18transform_iteratorINSA_8identityIsEESF_NSA_11use_defaultESK_EENS0_5tupleIJSF_SF_EEENSM_IJSG_SG_EEES6_PlJS6_EEE10hipError_tPvRmT3_T4_T5_T6_T7_T9_mT8_P12ihipStream_tbDpT10_ENKUlT_T0_E_clISt17integral_constantIbLb0EES18_IbLb1EEEEDaS14_S15_EUlS14_E_NS1_11comp_targetILNS1_3genE9ELNS1_11target_archE1100ELNS1_3gpuE3ELNS1_3repE0EEENS1_30default_config_static_selectorELNS0_4arch9wavefront6targetE1EEEvT1_
	.globl	_ZN7rocprim17ROCPRIM_400000_NS6detail17trampoline_kernelINS0_14default_configENS1_25partition_config_selectorILNS1_17partition_subalgoE1EsNS0_10empty_typeEbEEZZNS1_14partition_implILS5_1ELb0ES3_jN6thrust23THRUST_200600_302600_NS6detail15normal_iteratorINSA_10device_ptrIsEEEEPS6_NSA_18transform_iteratorINSA_8identityIsEESF_NSA_11use_defaultESK_EENS0_5tupleIJSF_SF_EEENSM_IJSG_SG_EEES6_PlJS6_EEE10hipError_tPvRmT3_T4_T5_T6_T7_T9_mT8_P12ihipStream_tbDpT10_ENKUlT_T0_E_clISt17integral_constantIbLb0EES18_IbLb1EEEEDaS14_S15_EUlS14_E_NS1_11comp_targetILNS1_3genE9ELNS1_11target_archE1100ELNS1_3gpuE3ELNS1_3repE0EEENS1_30default_config_static_selectorELNS0_4arch9wavefront6targetE1EEEvT1_
	.p2align	8
	.type	_ZN7rocprim17ROCPRIM_400000_NS6detail17trampoline_kernelINS0_14default_configENS1_25partition_config_selectorILNS1_17partition_subalgoE1EsNS0_10empty_typeEbEEZZNS1_14partition_implILS5_1ELb0ES3_jN6thrust23THRUST_200600_302600_NS6detail15normal_iteratorINSA_10device_ptrIsEEEEPS6_NSA_18transform_iteratorINSA_8identityIsEESF_NSA_11use_defaultESK_EENS0_5tupleIJSF_SF_EEENSM_IJSG_SG_EEES6_PlJS6_EEE10hipError_tPvRmT3_T4_T5_T6_T7_T9_mT8_P12ihipStream_tbDpT10_ENKUlT_T0_E_clISt17integral_constantIbLb0EES18_IbLb1EEEEDaS14_S15_EUlS14_E_NS1_11comp_targetILNS1_3genE9ELNS1_11target_archE1100ELNS1_3gpuE3ELNS1_3repE0EEENS1_30default_config_static_selectorELNS0_4arch9wavefront6targetE1EEEvT1_,@function
_ZN7rocprim17ROCPRIM_400000_NS6detail17trampoline_kernelINS0_14default_configENS1_25partition_config_selectorILNS1_17partition_subalgoE1EsNS0_10empty_typeEbEEZZNS1_14partition_implILS5_1ELb0ES3_jN6thrust23THRUST_200600_302600_NS6detail15normal_iteratorINSA_10device_ptrIsEEEEPS6_NSA_18transform_iteratorINSA_8identityIsEESF_NSA_11use_defaultESK_EENS0_5tupleIJSF_SF_EEENSM_IJSG_SG_EEES6_PlJS6_EEE10hipError_tPvRmT3_T4_T5_T6_T7_T9_mT8_P12ihipStream_tbDpT10_ENKUlT_T0_E_clISt17integral_constantIbLb0EES18_IbLb1EEEEDaS14_S15_EUlS14_E_NS1_11comp_targetILNS1_3genE9ELNS1_11target_archE1100ELNS1_3gpuE3ELNS1_3repE0EEENS1_30default_config_static_selectorELNS0_4arch9wavefront6targetE1EEEvT1_: ; @_ZN7rocprim17ROCPRIM_400000_NS6detail17trampoline_kernelINS0_14default_configENS1_25partition_config_selectorILNS1_17partition_subalgoE1EsNS0_10empty_typeEbEEZZNS1_14partition_implILS5_1ELb0ES3_jN6thrust23THRUST_200600_302600_NS6detail15normal_iteratorINSA_10device_ptrIsEEEEPS6_NSA_18transform_iteratorINSA_8identityIsEESF_NSA_11use_defaultESK_EENS0_5tupleIJSF_SF_EEENSM_IJSG_SG_EEES6_PlJS6_EEE10hipError_tPvRmT3_T4_T5_T6_T7_T9_mT8_P12ihipStream_tbDpT10_ENKUlT_T0_E_clISt17integral_constantIbLb0EES18_IbLb1EEEEDaS14_S15_EUlS14_E_NS1_11comp_targetILNS1_3genE9ELNS1_11target_archE1100ELNS1_3gpuE3ELNS1_3repE0EEENS1_30default_config_static_selectorELNS0_4arch9wavefront6targetE1EEEvT1_
; %bb.0:
	.section	.rodata,"a",@progbits
	.p2align	6, 0x0
	.amdhsa_kernel _ZN7rocprim17ROCPRIM_400000_NS6detail17trampoline_kernelINS0_14default_configENS1_25partition_config_selectorILNS1_17partition_subalgoE1EsNS0_10empty_typeEbEEZZNS1_14partition_implILS5_1ELb0ES3_jN6thrust23THRUST_200600_302600_NS6detail15normal_iteratorINSA_10device_ptrIsEEEEPS6_NSA_18transform_iteratorINSA_8identityIsEESF_NSA_11use_defaultESK_EENS0_5tupleIJSF_SF_EEENSM_IJSG_SG_EEES6_PlJS6_EEE10hipError_tPvRmT3_T4_T5_T6_T7_T9_mT8_P12ihipStream_tbDpT10_ENKUlT_T0_E_clISt17integral_constantIbLb0EES18_IbLb1EEEEDaS14_S15_EUlS14_E_NS1_11comp_targetILNS1_3genE9ELNS1_11target_archE1100ELNS1_3gpuE3ELNS1_3repE0EEENS1_30default_config_static_selectorELNS0_4arch9wavefront6targetE1EEEvT1_
		.amdhsa_group_segment_fixed_size 0
		.amdhsa_private_segment_fixed_size 0
		.amdhsa_kernarg_size 144
		.amdhsa_user_sgpr_count 6
		.amdhsa_user_sgpr_private_segment_buffer 1
		.amdhsa_user_sgpr_dispatch_ptr 0
		.amdhsa_user_sgpr_queue_ptr 0
		.amdhsa_user_sgpr_kernarg_segment_ptr 1
		.amdhsa_user_sgpr_dispatch_id 0
		.amdhsa_user_sgpr_flat_scratch_init 0
		.amdhsa_user_sgpr_kernarg_preload_length 0
		.amdhsa_user_sgpr_kernarg_preload_offset 0
		.amdhsa_user_sgpr_private_segment_size 0
		.amdhsa_uses_dynamic_stack 0
		.amdhsa_system_sgpr_private_segment_wavefront_offset 0
		.amdhsa_system_sgpr_workgroup_id_x 1
		.amdhsa_system_sgpr_workgroup_id_y 0
		.amdhsa_system_sgpr_workgroup_id_z 0
		.amdhsa_system_sgpr_workgroup_info 0
		.amdhsa_system_vgpr_workitem_id 0
		.amdhsa_next_free_vgpr 1
		.amdhsa_next_free_sgpr 0
		.amdhsa_accum_offset 4
		.amdhsa_reserve_vcc 0
		.amdhsa_reserve_flat_scratch 0
		.amdhsa_float_round_mode_32 0
		.amdhsa_float_round_mode_16_64 0
		.amdhsa_float_denorm_mode_32 3
		.amdhsa_float_denorm_mode_16_64 3
		.amdhsa_dx10_clamp 1
		.amdhsa_ieee_mode 1
		.amdhsa_fp16_overflow 0
		.amdhsa_tg_split 0
		.amdhsa_exception_fp_ieee_invalid_op 0
		.amdhsa_exception_fp_denorm_src 0
		.amdhsa_exception_fp_ieee_div_zero 0
		.amdhsa_exception_fp_ieee_overflow 0
		.amdhsa_exception_fp_ieee_underflow 0
		.amdhsa_exception_fp_ieee_inexact 0
		.amdhsa_exception_int_div_zero 0
	.end_amdhsa_kernel
	.section	.text._ZN7rocprim17ROCPRIM_400000_NS6detail17trampoline_kernelINS0_14default_configENS1_25partition_config_selectorILNS1_17partition_subalgoE1EsNS0_10empty_typeEbEEZZNS1_14partition_implILS5_1ELb0ES3_jN6thrust23THRUST_200600_302600_NS6detail15normal_iteratorINSA_10device_ptrIsEEEEPS6_NSA_18transform_iteratorINSA_8identityIsEESF_NSA_11use_defaultESK_EENS0_5tupleIJSF_SF_EEENSM_IJSG_SG_EEES6_PlJS6_EEE10hipError_tPvRmT3_T4_T5_T6_T7_T9_mT8_P12ihipStream_tbDpT10_ENKUlT_T0_E_clISt17integral_constantIbLb0EES18_IbLb1EEEEDaS14_S15_EUlS14_E_NS1_11comp_targetILNS1_3genE9ELNS1_11target_archE1100ELNS1_3gpuE3ELNS1_3repE0EEENS1_30default_config_static_selectorELNS0_4arch9wavefront6targetE1EEEvT1_,"axG",@progbits,_ZN7rocprim17ROCPRIM_400000_NS6detail17trampoline_kernelINS0_14default_configENS1_25partition_config_selectorILNS1_17partition_subalgoE1EsNS0_10empty_typeEbEEZZNS1_14partition_implILS5_1ELb0ES3_jN6thrust23THRUST_200600_302600_NS6detail15normal_iteratorINSA_10device_ptrIsEEEEPS6_NSA_18transform_iteratorINSA_8identityIsEESF_NSA_11use_defaultESK_EENS0_5tupleIJSF_SF_EEENSM_IJSG_SG_EEES6_PlJS6_EEE10hipError_tPvRmT3_T4_T5_T6_T7_T9_mT8_P12ihipStream_tbDpT10_ENKUlT_T0_E_clISt17integral_constantIbLb0EES18_IbLb1EEEEDaS14_S15_EUlS14_E_NS1_11comp_targetILNS1_3genE9ELNS1_11target_archE1100ELNS1_3gpuE3ELNS1_3repE0EEENS1_30default_config_static_selectorELNS0_4arch9wavefront6targetE1EEEvT1_,comdat
.Lfunc_end671:
	.size	_ZN7rocprim17ROCPRIM_400000_NS6detail17trampoline_kernelINS0_14default_configENS1_25partition_config_selectorILNS1_17partition_subalgoE1EsNS0_10empty_typeEbEEZZNS1_14partition_implILS5_1ELb0ES3_jN6thrust23THRUST_200600_302600_NS6detail15normal_iteratorINSA_10device_ptrIsEEEEPS6_NSA_18transform_iteratorINSA_8identityIsEESF_NSA_11use_defaultESK_EENS0_5tupleIJSF_SF_EEENSM_IJSG_SG_EEES6_PlJS6_EEE10hipError_tPvRmT3_T4_T5_T6_T7_T9_mT8_P12ihipStream_tbDpT10_ENKUlT_T0_E_clISt17integral_constantIbLb0EES18_IbLb1EEEEDaS14_S15_EUlS14_E_NS1_11comp_targetILNS1_3genE9ELNS1_11target_archE1100ELNS1_3gpuE3ELNS1_3repE0EEENS1_30default_config_static_selectorELNS0_4arch9wavefront6targetE1EEEvT1_, .Lfunc_end671-_ZN7rocprim17ROCPRIM_400000_NS6detail17trampoline_kernelINS0_14default_configENS1_25partition_config_selectorILNS1_17partition_subalgoE1EsNS0_10empty_typeEbEEZZNS1_14partition_implILS5_1ELb0ES3_jN6thrust23THRUST_200600_302600_NS6detail15normal_iteratorINSA_10device_ptrIsEEEEPS6_NSA_18transform_iteratorINSA_8identityIsEESF_NSA_11use_defaultESK_EENS0_5tupleIJSF_SF_EEENSM_IJSG_SG_EEES6_PlJS6_EEE10hipError_tPvRmT3_T4_T5_T6_T7_T9_mT8_P12ihipStream_tbDpT10_ENKUlT_T0_E_clISt17integral_constantIbLb0EES18_IbLb1EEEEDaS14_S15_EUlS14_E_NS1_11comp_targetILNS1_3genE9ELNS1_11target_archE1100ELNS1_3gpuE3ELNS1_3repE0EEENS1_30default_config_static_selectorELNS0_4arch9wavefront6targetE1EEEvT1_
                                        ; -- End function
	.section	.AMDGPU.csdata,"",@progbits
; Kernel info:
; codeLenInByte = 0
; NumSgprs: 4
; NumVgprs: 0
; NumAgprs: 0
; TotalNumVgprs: 0
; ScratchSize: 0
; MemoryBound: 0
; FloatMode: 240
; IeeeMode: 1
; LDSByteSize: 0 bytes/workgroup (compile time only)
; SGPRBlocks: 0
; VGPRBlocks: 0
; NumSGPRsForWavesPerEU: 4
; NumVGPRsForWavesPerEU: 1
; AccumOffset: 4
; Occupancy: 8
; WaveLimiterHint : 0
; COMPUTE_PGM_RSRC2:SCRATCH_EN: 0
; COMPUTE_PGM_RSRC2:USER_SGPR: 6
; COMPUTE_PGM_RSRC2:TRAP_HANDLER: 0
; COMPUTE_PGM_RSRC2:TGID_X_EN: 1
; COMPUTE_PGM_RSRC2:TGID_Y_EN: 0
; COMPUTE_PGM_RSRC2:TGID_Z_EN: 0
; COMPUTE_PGM_RSRC2:TIDIG_COMP_CNT: 0
; COMPUTE_PGM_RSRC3_GFX90A:ACCUM_OFFSET: 0
; COMPUTE_PGM_RSRC3_GFX90A:TG_SPLIT: 0
	.section	.text._ZN7rocprim17ROCPRIM_400000_NS6detail17trampoline_kernelINS0_14default_configENS1_25partition_config_selectorILNS1_17partition_subalgoE1EsNS0_10empty_typeEbEEZZNS1_14partition_implILS5_1ELb0ES3_jN6thrust23THRUST_200600_302600_NS6detail15normal_iteratorINSA_10device_ptrIsEEEEPS6_NSA_18transform_iteratorINSA_8identityIsEESF_NSA_11use_defaultESK_EENS0_5tupleIJSF_SF_EEENSM_IJSG_SG_EEES6_PlJS6_EEE10hipError_tPvRmT3_T4_T5_T6_T7_T9_mT8_P12ihipStream_tbDpT10_ENKUlT_T0_E_clISt17integral_constantIbLb0EES18_IbLb1EEEEDaS14_S15_EUlS14_E_NS1_11comp_targetILNS1_3genE8ELNS1_11target_archE1030ELNS1_3gpuE2ELNS1_3repE0EEENS1_30default_config_static_selectorELNS0_4arch9wavefront6targetE1EEEvT1_,"axG",@progbits,_ZN7rocprim17ROCPRIM_400000_NS6detail17trampoline_kernelINS0_14default_configENS1_25partition_config_selectorILNS1_17partition_subalgoE1EsNS0_10empty_typeEbEEZZNS1_14partition_implILS5_1ELb0ES3_jN6thrust23THRUST_200600_302600_NS6detail15normal_iteratorINSA_10device_ptrIsEEEEPS6_NSA_18transform_iteratorINSA_8identityIsEESF_NSA_11use_defaultESK_EENS0_5tupleIJSF_SF_EEENSM_IJSG_SG_EEES6_PlJS6_EEE10hipError_tPvRmT3_T4_T5_T6_T7_T9_mT8_P12ihipStream_tbDpT10_ENKUlT_T0_E_clISt17integral_constantIbLb0EES18_IbLb1EEEEDaS14_S15_EUlS14_E_NS1_11comp_targetILNS1_3genE8ELNS1_11target_archE1030ELNS1_3gpuE2ELNS1_3repE0EEENS1_30default_config_static_selectorELNS0_4arch9wavefront6targetE1EEEvT1_,comdat
	.protected	_ZN7rocprim17ROCPRIM_400000_NS6detail17trampoline_kernelINS0_14default_configENS1_25partition_config_selectorILNS1_17partition_subalgoE1EsNS0_10empty_typeEbEEZZNS1_14partition_implILS5_1ELb0ES3_jN6thrust23THRUST_200600_302600_NS6detail15normal_iteratorINSA_10device_ptrIsEEEEPS6_NSA_18transform_iteratorINSA_8identityIsEESF_NSA_11use_defaultESK_EENS0_5tupleIJSF_SF_EEENSM_IJSG_SG_EEES6_PlJS6_EEE10hipError_tPvRmT3_T4_T5_T6_T7_T9_mT8_P12ihipStream_tbDpT10_ENKUlT_T0_E_clISt17integral_constantIbLb0EES18_IbLb1EEEEDaS14_S15_EUlS14_E_NS1_11comp_targetILNS1_3genE8ELNS1_11target_archE1030ELNS1_3gpuE2ELNS1_3repE0EEENS1_30default_config_static_selectorELNS0_4arch9wavefront6targetE1EEEvT1_ ; -- Begin function _ZN7rocprim17ROCPRIM_400000_NS6detail17trampoline_kernelINS0_14default_configENS1_25partition_config_selectorILNS1_17partition_subalgoE1EsNS0_10empty_typeEbEEZZNS1_14partition_implILS5_1ELb0ES3_jN6thrust23THRUST_200600_302600_NS6detail15normal_iteratorINSA_10device_ptrIsEEEEPS6_NSA_18transform_iteratorINSA_8identityIsEESF_NSA_11use_defaultESK_EENS0_5tupleIJSF_SF_EEENSM_IJSG_SG_EEES6_PlJS6_EEE10hipError_tPvRmT3_T4_T5_T6_T7_T9_mT8_P12ihipStream_tbDpT10_ENKUlT_T0_E_clISt17integral_constantIbLb0EES18_IbLb1EEEEDaS14_S15_EUlS14_E_NS1_11comp_targetILNS1_3genE8ELNS1_11target_archE1030ELNS1_3gpuE2ELNS1_3repE0EEENS1_30default_config_static_selectorELNS0_4arch9wavefront6targetE1EEEvT1_
	.globl	_ZN7rocprim17ROCPRIM_400000_NS6detail17trampoline_kernelINS0_14default_configENS1_25partition_config_selectorILNS1_17partition_subalgoE1EsNS0_10empty_typeEbEEZZNS1_14partition_implILS5_1ELb0ES3_jN6thrust23THRUST_200600_302600_NS6detail15normal_iteratorINSA_10device_ptrIsEEEEPS6_NSA_18transform_iteratorINSA_8identityIsEESF_NSA_11use_defaultESK_EENS0_5tupleIJSF_SF_EEENSM_IJSG_SG_EEES6_PlJS6_EEE10hipError_tPvRmT3_T4_T5_T6_T7_T9_mT8_P12ihipStream_tbDpT10_ENKUlT_T0_E_clISt17integral_constantIbLb0EES18_IbLb1EEEEDaS14_S15_EUlS14_E_NS1_11comp_targetILNS1_3genE8ELNS1_11target_archE1030ELNS1_3gpuE2ELNS1_3repE0EEENS1_30default_config_static_selectorELNS0_4arch9wavefront6targetE1EEEvT1_
	.p2align	8
	.type	_ZN7rocprim17ROCPRIM_400000_NS6detail17trampoline_kernelINS0_14default_configENS1_25partition_config_selectorILNS1_17partition_subalgoE1EsNS0_10empty_typeEbEEZZNS1_14partition_implILS5_1ELb0ES3_jN6thrust23THRUST_200600_302600_NS6detail15normal_iteratorINSA_10device_ptrIsEEEEPS6_NSA_18transform_iteratorINSA_8identityIsEESF_NSA_11use_defaultESK_EENS0_5tupleIJSF_SF_EEENSM_IJSG_SG_EEES6_PlJS6_EEE10hipError_tPvRmT3_T4_T5_T6_T7_T9_mT8_P12ihipStream_tbDpT10_ENKUlT_T0_E_clISt17integral_constantIbLb0EES18_IbLb1EEEEDaS14_S15_EUlS14_E_NS1_11comp_targetILNS1_3genE8ELNS1_11target_archE1030ELNS1_3gpuE2ELNS1_3repE0EEENS1_30default_config_static_selectorELNS0_4arch9wavefront6targetE1EEEvT1_,@function
_ZN7rocprim17ROCPRIM_400000_NS6detail17trampoline_kernelINS0_14default_configENS1_25partition_config_selectorILNS1_17partition_subalgoE1EsNS0_10empty_typeEbEEZZNS1_14partition_implILS5_1ELb0ES3_jN6thrust23THRUST_200600_302600_NS6detail15normal_iteratorINSA_10device_ptrIsEEEEPS6_NSA_18transform_iteratorINSA_8identityIsEESF_NSA_11use_defaultESK_EENS0_5tupleIJSF_SF_EEENSM_IJSG_SG_EEES6_PlJS6_EEE10hipError_tPvRmT3_T4_T5_T6_T7_T9_mT8_P12ihipStream_tbDpT10_ENKUlT_T0_E_clISt17integral_constantIbLb0EES18_IbLb1EEEEDaS14_S15_EUlS14_E_NS1_11comp_targetILNS1_3genE8ELNS1_11target_archE1030ELNS1_3gpuE2ELNS1_3repE0EEENS1_30default_config_static_selectorELNS0_4arch9wavefront6targetE1EEEvT1_: ; @_ZN7rocprim17ROCPRIM_400000_NS6detail17trampoline_kernelINS0_14default_configENS1_25partition_config_selectorILNS1_17partition_subalgoE1EsNS0_10empty_typeEbEEZZNS1_14partition_implILS5_1ELb0ES3_jN6thrust23THRUST_200600_302600_NS6detail15normal_iteratorINSA_10device_ptrIsEEEEPS6_NSA_18transform_iteratorINSA_8identityIsEESF_NSA_11use_defaultESK_EENS0_5tupleIJSF_SF_EEENSM_IJSG_SG_EEES6_PlJS6_EEE10hipError_tPvRmT3_T4_T5_T6_T7_T9_mT8_P12ihipStream_tbDpT10_ENKUlT_T0_E_clISt17integral_constantIbLb0EES18_IbLb1EEEEDaS14_S15_EUlS14_E_NS1_11comp_targetILNS1_3genE8ELNS1_11target_archE1030ELNS1_3gpuE2ELNS1_3repE0EEENS1_30default_config_static_selectorELNS0_4arch9wavefront6targetE1EEEvT1_
; %bb.0:
	.section	.rodata,"a",@progbits
	.p2align	6, 0x0
	.amdhsa_kernel _ZN7rocprim17ROCPRIM_400000_NS6detail17trampoline_kernelINS0_14default_configENS1_25partition_config_selectorILNS1_17partition_subalgoE1EsNS0_10empty_typeEbEEZZNS1_14partition_implILS5_1ELb0ES3_jN6thrust23THRUST_200600_302600_NS6detail15normal_iteratorINSA_10device_ptrIsEEEEPS6_NSA_18transform_iteratorINSA_8identityIsEESF_NSA_11use_defaultESK_EENS0_5tupleIJSF_SF_EEENSM_IJSG_SG_EEES6_PlJS6_EEE10hipError_tPvRmT3_T4_T5_T6_T7_T9_mT8_P12ihipStream_tbDpT10_ENKUlT_T0_E_clISt17integral_constantIbLb0EES18_IbLb1EEEEDaS14_S15_EUlS14_E_NS1_11comp_targetILNS1_3genE8ELNS1_11target_archE1030ELNS1_3gpuE2ELNS1_3repE0EEENS1_30default_config_static_selectorELNS0_4arch9wavefront6targetE1EEEvT1_
		.amdhsa_group_segment_fixed_size 0
		.amdhsa_private_segment_fixed_size 0
		.amdhsa_kernarg_size 144
		.amdhsa_user_sgpr_count 6
		.amdhsa_user_sgpr_private_segment_buffer 1
		.amdhsa_user_sgpr_dispatch_ptr 0
		.amdhsa_user_sgpr_queue_ptr 0
		.amdhsa_user_sgpr_kernarg_segment_ptr 1
		.amdhsa_user_sgpr_dispatch_id 0
		.amdhsa_user_sgpr_flat_scratch_init 0
		.amdhsa_user_sgpr_kernarg_preload_length 0
		.amdhsa_user_sgpr_kernarg_preload_offset 0
		.amdhsa_user_sgpr_private_segment_size 0
		.amdhsa_uses_dynamic_stack 0
		.amdhsa_system_sgpr_private_segment_wavefront_offset 0
		.amdhsa_system_sgpr_workgroup_id_x 1
		.amdhsa_system_sgpr_workgroup_id_y 0
		.amdhsa_system_sgpr_workgroup_id_z 0
		.amdhsa_system_sgpr_workgroup_info 0
		.amdhsa_system_vgpr_workitem_id 0
		.amdhsa_next_free_vgpr 1
		.amdhsa_next_free_sgpr 0
		.amdhsa_accum_offset 4
		.amdhsa_reserve_vcc 0
		.amdhsa_reserve_flat_scratch 0
		.amdhsa_float_round_mode_32 0
		.amdhsa_float_round_mode_16_64 0
		.amdhsa_float_denorm_mode_32 3
		.amdhsa_float_denorm_mode_16_64 3
		.amdhsa_dx10_clamp 1
		.amdhsa_ieee_mode 1
		.amdhsa_fp16_overflow 0
		.amdhsa_tg_split 0
		.amdhsa_exception_fp_ieee_invalid_op 0
		.amdhsa_exception_fp_denorm_src 0
		.amdhsa_exception_fp_ieee_div_zero 0
		.amdhsa_exception_fp_ieee_overflow 0
		.amdhsa_exception_fp_ieee_underflow 0
		.amdhsa_exception_fp_ieee_inexact 0
		.amdhsa_exception_int_div_zero 0
	.end_amdhsa_kernel
	.section	.text._ZN7rocprim17ROCPRIM_400000_NS6detail17trampoline_kernelINS0_14default_configENS1_25partition_config_selectorILNS1_17partition_subalgoE1EsNS0_10empty_typeEbEEZZNS1_14partition_implILS5_1ELb0ES3_jN6thrust23THRUST_200600_302600_NS6detail15normal_iteratorINSA_10device_ptrIsEEEEPS6_NSA_18transform_iteratorINSA_8identityIsEESF_NSA_11use_defaultESK_EENS0_5tupleIJSF_SF_EEENSM_IJSG_SG_EEES6_PlJS6_EEE10hipError_tPvRmT3_T4_T5_T6_T7_T9_mT8_P12ihipStream_tbDpT10_ENKUlT_T0_E_clISt17integral_constantIbLb0EES18_IbLb1EEEEDaS14_S15_EUlS14_E_NS1_11comp_targetILNS1_3genE8ELNS1_11target_archE1030ELNS1_3gpuE2ELNS1_3repE0EEENS1_30default_config_static_selectorELNS0_4arch9wavefront6targetE1EEEvT1_,"axG",@progbits,_ZN7rocprim17ROCPRIM_400000_NS6detail17trampoline_kernelINS0_14default_configENS1_25partition_config_selectorILNS1_17partition_subalgoE1EsNS0_10empty_typeEbEEZZNS1_14partition_implILS5_1ELb0ES3_jN6thrust23THRUST_200600_302600_NS6detail15normal_iteratorINSA_10device_ptrIsEEEEPS6_NSA_18transform_iteratorINSA_8identityIsEESF_NSA_11use_defaultESK_EENS0_5tupleIJSF_SF_EEENSM_IJSG_SG_EEES6_PlJS6_EEE10hipError_tPvRmT3_T4_T5_T6_T7_T9_mT8_P12ihipStream_tbDpT10_ENKUlT_T0_E_clISt17integral_constantIbLb0EES18_IbLb1EEEEDaS14_S15_EUlS14_E_NS1_11comp_targetILNS1_3genE8ELNS1_11target_archE1030ELNS1_3gpuE2ELNS1_3repE0EEENS1_30default_config_static_selectorELNS0_4arch9wavefront6targetE1EEEvT1_,comdat
.Lfunc_end672:
	.size	_ZN7rocprim17ROCPRIM_400000_NS6detail17trampoline_kernelINS0_14default_configENS1_25partition_config_selectorILNS1_17partition_subalgoE1EsNS0_10empty_typeEbEEZZNS1_14partition_implILS5_1ELb0ES3_jN6thrust23THRUST_200600_302600_NS6detail15normal_iteratorINSA_10device_ptrIsEEEEPS6_NSA_18transform_iteratorINSA_8identityIsEESF_NSA_11use_defaultESK_EENS0_5tupleIJSF_SF_EEENSM_IJSG_SG_EEES6_PlJS6_EEE10hipError_tPvRmT3_T4_T5_T6_T7_T9_mT8_P12ihipStream_tbDpT10_ENKUlT_T0_E_clISt17integral_constantIbLb0EES18_IbLb1EEEEDaS14_S15_EUlS14_E_NS1_11comp_targetILNS1_3genE8ELNS1_11target_archE1030ELNS1_3gpuE2ELNS1_3repE0EEENS1_30default_config_static_selectorELNS0_4arch9wavefront6targetE1EEEvT1_, .Lfunc_end672-_ZN7rocprim17ROCPRIM_400000_NS6detail17trampoline_kernelINS0_14default_configENS1_25partition_config_selectorILNS1_17partition_subalgoE1EsNS0_10empty_typeEbEEZZNS1_14partition_implILS5_1ELb0ES3_jN6thrust23THRUST_200600_302600_NS6detail15normal_iteratorINSA_10device_ptrIsEEEEPS6_NSA_18transform_iteratorINSA_8identityIsEESF_NSA_11use_defaultESK_EENS0_5tupleIJSF_SF_EEENSM_IJSG_SG_EEES6_PlJS6_EEE10hipError_tPvRmT3_T4_T5_T6_T7_T9_mT8_P12ihipStream_tbDpT10_ENKUlT_T0_E_clISt17integral_constantIbLb0EES18_IbLb1EEEEDaS14_S15_EUlS14_E_NS1_11comp_targetILNS1_3genE8ELNS1_11target_archE1030ELNS1_3gpuE2ELNS1_3repE0EEENS1_30default_config_static_selectorELNS0_4arch9wavefront6targetE1EEEvT1_
                                        ; -- End function
	.section	.AMDGPU.csdata,"",@progbits
; Kernel info:
; codeLenInByte = 0
; NumSgprs: 4
; NumVgprs: 0
; NumAgprs: 0
; TotalNumVgprs: 0
; ScratchSize: 0
; MemoryBound: 0
; FloatMode: 240
; IeeeMode: 1
; LDSByteSize: 0 bytes/workgroup (compile time only)
; SGPRBlocks: 0
; VGPRBlocks: 0
; NumSGPRsForWavesPerEU: 4
; NumVGPRsForWavesPerEU: 1
; AccumOffset: 4
; Occupancy: 8
; WaveLimiterHint : 0
; COMPUTE_PGM_RSRC2:SCRATCH_EN: 0
; COMPUTE_PGM_RSRC2:USER_SGPR: 6
; COMPUTE_PGM_RSRC2:TRAP_HANDLER: 0
; COMPUTE_PGM_RSRC2:TGID_X_EN: 1
; COMPUTE_PGM_RSRC2:TGID_Y_EN: 0
; COMPUTE_PGM_RSRC2:TGID_Z_EN: 0
; COMPUTE_PGM_RSRC2:TIDIG_COMP_CNT: 0
; COMPUTE_PGM_RSRC3_GFX90A:ACCUM_OFFSET: 0
; COMPUTE_PGM_RSRC3_GFX90A:TG_SPLIT: 0
	.section	.text._ZN6thrust23THRUST_200600_302600_NS11hip_rocprim14__parallel_for6kernelILj256ENS1_20__uninitialized_copy7functorINS0_6detail15normal_iteratorINS0_10device_ptrIyEEEENS7_INS0_7pointerIyNS1_3tagENS0_11use_defaultESD_EEEEEElLj1EEEvT0_T1_SI_,"axG",@progbits,_ZN6thrust23THRUST_200600_302600_NS11hip_rocprim14__parallel_for6kernelILj256ENS1_20__uninitialized_copy7functorINS0_6detail15normal_iteratorINS0_10device_ptrIyEEEENS7_INS0_7pointerIyNS1_3tagENS0_11use_defaultESD_EEEEEElLj1EEEvT0_T1_SI_,comdat
	.protected	_ZN6thrust23THRUST_200600_302600_NS11hip_rocprim14__parallel_for6kernelILj256ENS1_20__uninitialized_copy7functorINS0_6detail15normal_iteratorINS0_10device_ptrIyEEEENS7_INS0_7pointerIyNS1_3tagENS0_11use_defaultESD_EEEEEElLj1EEEvT0_T1_SI_ ; -- Begin function _ZN6thrust23THRUST_200600_302600_NS11hip_rocprim14__parallel_for6kernelILj256ENS1_20__uninitialized_copy7functorINS0_6detail15normal_iteratorINS0_10device_ptrIyEEEENS7_INS0_7pointerIyNS1_3tagENS0_11use_defaultESD_EEEEEElLj1EEEvT0_T1_SI_
	.globl	_ZN6thrust23THRUST_200600_302600_NS11hip_rocprim14__parallel_for6kernelILj256ENS1_20__uninitialized_copy7functorINS0_6detail15normal_iteratorINS0_10device_ptrIyEEEENS7_INS0_7pointerIyNS1_3tagENS0_11use_defaultESD_EEEEEElLj1EEEvT0_T1_SI_
	.p2align	8
	.type	_ZN6thrust23THRUST_200600_302600_NS11hip_rocprim14__parallel_for6kernelILj256ENS1_20__uninitialized_copy7functorINS0_6detail15normal_iteratorINS0_10device_ptrIyEEEENS7_INS0_7pointerIyNS1_3tagENS0_11use_defaultESD_EEEEEElLj1EEEvT0_T1_SI_,@function
_ZN6thrust23THRUST_200600_302600_NS11hip_rocprim14__parallel_for6kernelILj256ENS1_20__uninitialized_copy7functorINS0_6detail15normal_iteratorINS0_10device_ptrIyEEEENS7_INS0_7pointerIyNS1_3tagENS0_11use_defaultESD_EEEEEElLj1EEEvT0_T1_SI_: ; @_ZN6thrust23THRUST_200600_302600_NS11hip_rocprim14__parallel_for6kernelILj256ENS1_20__uninitialized_copy7functorINS0_6detail15normal_iteratorINS0_10device_ptrIyEEEENS7_INS0_7pointerIyNS1_3tagENS0_11use_defaultESD_EEEEEElLj1EEEvT0_T1_SI_
; %bb.0:
	s_load_dwordx8 s[8:15], s[4:5], 0x0
	s_lshl_b32 s0, s6, 8
	v_mov_b32_e32 v2, 0x100
	v_mov_b32_e32 v3, 0
	s_waitcnt lgkmcnt(0)
	s_add_u32 s6, s0, s14
	s_addc_u32 s7, 0, s15
	s_sub_u32 s0, s12, s6
	s_subb_u32 s1, s13, s7
	v_cmp_lt_i64_e32 vcc, s[0:1], v[2:3]
	s_and_b64 s[2:3], vcc, exec
	s_cselect_b32 s0, s0, 0x100
	s_cmpk_lg_i32 s0, 0x100
	s_cbranch_scc0 .LBB673_4
; %bb.1:
	v_cmp_gt_u32_e32 vcc, s0, v0
	s_mov_b64 s[2:3], 0
	s_mov_b64 s[0:1], 0
                                        ; implicit-def: $vgpr2_vgpr3
                                        ; implicit-def: $vgpr4_vgpr5
	s_and_saveexec_b64 s[4:5], vcc
	s_xor_b64 s[4:5], exec, s[4:5]
; %bb.2:
	v_mov_b32_e32 v1, s7
	v_add_co_u32_e32 v2, vcc, s6, v0
	v_addc_co_u32_e32 v3, vcc, 0, v1, vcc
	v_lshlrev_b64 v[4:5], 3, v[2:3]
	v_mov_b32_e32 v1, s11
	v_add_co_u32_e32 v2, vcc, s10, v4
	v_addc_co_u32_e32 v3, vcc, v1, v5, vcc
	v_mov_b32_e32 v1, s9
	v_add_co_u32_e32 v4, vcc, s8, v4
	s_mov_b64 s[0:1], exec
	v_addc_co_u32_e32 v5, vcc, v1, v5, vcc
; %bb.3:
	s_or_b64 exec, exec, s[4:5]
	s_and_b64 vcc, exec, s[2:3]
	s_cbranch_vccnz .LBB673_5
	s_branch .LBB673_6
.LBB673_4:
	s_mov_b64 s[0:1], 0
                                        ; implicit-def: $vgpr2_vgpr3
                                        ; implicit-def: $vgpr4_vgpr5
	s_cbranch_execz .LBB673_6
.LBB673_5:
	v_mov_b32_e32 v1, s7
	v_add_co_u32_e32 v0, vcc, s6, v0
	v_addc_co_u32_e32 v1, vcc, 0, v1, vcc
	v_lshlrev_b64 v[0:1], 3, v[0:1]
	v_mov_b32_e32 v2, s9
	v_add_co_u32_e32 v4, vcc, s8, v0
	v_addc_co_u32_e32 v5, vcc, v2, v1, vcc
	v_mov_b32_e32 v3, s11
	v_add_co_u32_e32 v2, vcc, s10, v0
	v_addc_co_u32_e32 v3, vcc, v3, v1, vcc
	s_or_b64 s[0:1], s[0:1], exec
.LBB673_6:
	s_and_saveexec_b64 s[2:3], s[0:1]
	s_cbranch_execnz .LBB673_8
; %bb.7:
	s_endpgm
.LBB673_8:
	flat_load_dwordx2 v[0:1], v[4:5]
	s_waitcnt vmcnt(0) lgkmcnt(0)
	flat_store_dwordx2 v[2:3], v[0:1]
	s_endpgm
	.section	.rodata,"a",@progbits
	.p2align	6, 0x0
	.amdhsa_kernel _ZN6thrust23THRUST_200600_302600_NS11hip_rocprim14__parallel_for6kernelILj256ENS1_20__uninitialized_copy7functorINS0_6detail15normal_iteratorINS0_10device_ptrIyEEEENS7_INS0_7pointerIyNS1_3tagENS0_11use_defaultESD_EEEEEElLj1EEEvT0_T1_SI_
		.amdhsa_group_segment_fixed_size 0
		.amdhsa_private_segment_fixed_size 0
		.amdhsa_kernarg_size 32
		.amdhsa_user_sgpr_count 6
		.amdhsa_user_sgpr_private_segment_buffer 1
		.amdhsa_user_sgpr_dispatch_ptr 0
		.amdhsa_user_sgpr_queue_ptr 0
		.amdhsa_user_sgpr_kernarg_segment_ptr 1
		.amdhsa_user_sgpr_dispatch_id 0
		.amdhsa_user_sgpr_flat_scratch_init 0
		.amdhsa_user_sgpr_kernarg_preload_length 0
		.amdhsa_user_sgpr_kernarg_preload_offset 0
		.amdhsa_user_sgpr_private_segment_size 0
		.amdhsa_uses_dynamic_stack 0
		.amdhsa_system_sgpr_private_segment_wavefront_offset 0
		.amdhsa_system_sgpr_workgroup_id_x 1
		.amdhsa_system_sgpr_workgroup_id_y 0
		.amdhsa_system_sgpr_workgroup_id_z 0
		.amdhsa_system_sgpr_workgroup_info 0
		.amdhsa_system_vgpr_workitem_id 0
		.amdhsa_next_free_vgpr 6
		.amdhsa_next_free_sgpr 16
		.amdhsa_accum_offset 8
		.amdhsa_reserve_vcc 1
		.amdhsa_reserve_flat_scratch 0
		.amdhsa_float_round_mode_32 0
		.amdhsa_float_round_mode_16_64 0
		.amdhsa_float_denorm_mode_32 3
		.amdhsa_float_denorm_mode_16_64 3
		.amdhsa_dx10_clamp 1
		.amdhsa_ieee_mode 1
		.amdhsa_fp16_overflow 0
		.amdhsa_tg_split 0
		.amdhsa_exception_fp_ieee_invalid_op 0
		.amdhsa_exception_fp_denorm_src 0
		.amdhsa_exception_fp_ieee_div_zero 0
		.amdhsa_exception_fp_ieee_overflow 0
		.amdhsa_exception_fp_ieee_underflow 0
		.amdhsa_exception_fp_ieee_inexact 0
		.amdhsa_exception_int_div_zero 0
	.end_amdhsa_kernel
	.section	.text._ZN6thrust23THRUST_200600_302600_NS11hip_rocprim14__parallel_for6kernelILj256ENS1_20__uninitialized_copy7functorINS0_6detail15normal_iteratorINS0_10device_ptrIyEEEENS7_INS0_7pointerIyNS1_3tagENS0_11use_defaultESD_EEEEEElLj1EEEvT0_T1_SI_,"axG",@progbits,_ZN6thrust23THRUST_200600_302600_NS11hip_rocprim14__parallel_for6kernelILj256ENS1_20__uninitialized_copy7functorINS0_6detail15normal_iteratorINS0_10device_ptrIyEEEENS7_INS0_7pointerIyNS1_3tagENS0_11use_defaultESD_EEEEEElLj1EEEvT0_T1_SI_,comdat
.Lfunc_end673:
	.size	_ZN6thrust23THRUST_200600_302600_NS11hip_rocprim14__parallel_for6kernelILj256ENS1_20__uninitialized_copy7functorINS0_6detail15normal_iteratorINS0_10device_ptrIyEEEENS7_INS0_7pointerIyNS1_3tagENS0_11use_defaultESD_EEEEEElLj1EEEvT0_T1_SI_, .Lfunc_end673-_ZN6thrust23THRUST_200600_302600_NS11hip_rocprim14__parallel_for6kernelILj256ENS1_20__uninitialized_copy7functorINS0_6detail15normal_iteratorINS0_10device_ptrIyEEEENS7_INS0_7pointerIyNS1_3tagENS0_11use_defaultESD_EEEEEElLj1EEEvT0_T1_SI_
                                        ; -- End function
	.section	.AMDGPU.csdata,"",@progbits
; Kernel info:
; codeLenInByte = 244
; NumSgprs: 20
; NumVgprs: 6
; NumAgprs: 0
; TotalNumVgprs: 6
; ScratchSize: 0
; MemoryBound: 1
; FloatMode: 240
; IeeeMode: 1
; LDSByteSize: 0 bytes/workgroup (compile time only)
; SGPRBlocks: 2
; VGPRBlocks: 0
; NumSGPRsForWavesPerEU: 20
; NumVGPRsForWavesPerEU: 6
; AccumOffset: 8
; Occupancy: 8
; WaveLimiterHint : 0
; COMPUTE_PGM_RSRC2:SCRATCH_EN: 0
; COMPUTE_PGM_RSRC2:USER_SGPR: 6
; COMPUTE_PGM_RSRC2:TRAP_HANDLER: 0
; COMPUTE_PGM_RSRC2:TGID_X_EN: 1
; COMPUTE_PGM_RSRC2:TGID_Y_EN: 0
; COMPUTE_PGM_RSRC2:TGID_Z_EN: 0
; COMPUTE_PGM_RSRC2:TIDIG_COMP_CNT: 0
; COMPUTE_PGM_RSRC3_GFX90A:ACCUM_OFFSET: 1
; COMPUTE_PGM_RSRC3_GFX90A:TG_SPLIT: 0
	.section	.text._ZN7rocprim17ROCPRIM_400000_NS6detail17trampoline_kernelINS0_14default_configENS1_25partition_config_selectorILNS1_17partition_subalgoE3EyNS0_10empty_typeEbEEZZNS1_14partition_implILS5_3ELb0ES3_jN6thrust23THRUST_200600_302600_NS6detail15normal_iteratorINSA_7pointerIyNSA_11hip_rocprim3tagENSA_11use_defaultESG_EEEEPS6_SJ_NS0_5tupleIJPySJ_EEENSK_IJSJ_SJ_EEES6_PlJ7is_evenIyEEEE10hipError_tPvRmT3_T4_T5_T6_T7_T9_mT8_P12ihipStream_tbDpT10_ENKUlT_T0_E_clISt17integral_constantIbLb0EES1A_EEDaS15_S16_EUlS15_E_NS1_11comp_targetILNS1_3genE0ELNS1_11target_archE4294967295ELNS1_3gpuE0ELNS1_3repE0EEENS1_30default_config_static_selectorELNS0_4arch9wavefront6targetE1EEEvT1_,"axG",@progbits,_ZN7rocprim17ROCPRIM_400000_NS6detail17trampoline_kernelINS0_14default_configENS1_25partition_config_selectorILNS1_17partition_subalgoE3EyNS0_10empty_typeEbEEZZNS1_14partition_implILS5_3ELb0ES3_jN6thrust23THRUST_200600_302600_NS6detail15normal_iteratorINSA_7pointerIyNSA_11hip_rocprim3tagENSA_11use_defaultESG_EEEEPS6_SJ_NS0_5tupleIJPySJ_EEENSK_IJSJ_SJ_EEES6_PlJ7is_evenIyEEEE10hipError_tPvRmT3_T4_T5_T6_T7_T9_mT8_P12ihipStream_tbDpT10_ENKUlT_T0_E_clISt17integral_constantIbLb0EES1A_EEDaS15_S16_EUlS15_E_NS1_11comp_targetILNS1_3genE0ELNS1_11target_archE4294967295ELNS1_3gpuE0ELNS1_3repE0EEENS1_30default_config_static_selectorELNS0_4arch9wavefront6targetE1EEEvT1_,comdat
	.protected	_ZN7rocprim17ROCPRIM_400000_NS6detail17trampoline_kernelINS0_14default_configENS1_25partition_config_selectorILNS1_17partition_subalgoE3EyNS0_10empty_typeEbEEZZNS1_14partition_implILS5_3ELb0ES3_jN6thrust23THRUST_200600_302600_NS6detail15normal_iteratorINSA_7pointerIyNSA_11hip_rocprim3tagENSA_11use_defaultESG_EEEEPS6_SJ_NS0_5tupleIJPySJ_EEENSK_IJSJ_SJ_EEES6_PlJ7is_evenIyEEEE10hipError_tPvRmT3_T4_T5_T6_T7_T9_mT8_P12ihipStream_tbDpT10_ENKUlT_T0_E_clISt17integral_constantIbLb0EES1A_EEDaS15_S16_EUlS15_E_NS1_11comp_targetILNS1_3genE0ELNS1_11target_archE4294967295ELNS1_3gpuE0ELNS1_3repE0EEENS1_30default_config_static_selectorELNS0_4arch9wavefront6targetE1EEEvT1_ ; -- Begin function _ZN7rocprim17ROCPRIM_400000_NS6detail17trampoline_kernelINS0_14default_configENS1_25partition_config_selectorILNS1_17partition_subalgoE3EyNS0_10empty_typeEbEEZZNS1_14partition_implILS5_3ELb0ES3_jN6thrust23THRUST_200600_302600_NS6detail15normal_iteratorINSA_7pointerIyNSA_11hip_rocprim3tagENSA_11use_defaultESG_EEEEPS6_SJ_NS0_5tupleIJPySJ_EEENSK_IJSJ_SJ_EEES6_PlJ7is_evenIyEEEE10hipError_tPvRmT3_T4_T5_T6_T7_T9_mT8_P12ihipStream_tbDpT10_ENKUlT_T0_E_clISt17integral_constantIbLb0EES1A_EEDaS15_S16_EUlS15_E_NS1_11comp_targetILNS1_3genE0ELNS1_11target_archE4294967295ELNS1_3gpuE0ELNS1_3repE0EEENS1_30default_config_static_selectorELNS0_4arch9wavefront6targetE1EEEvT1_
	.globl	_ZN7rocprim17ROCPRIM_400000_NS6detail17trampoline_kernelINS0_14default_configENS1_25partition_config_selectorILNS1_17partition_subalgoE3EyNS0_10empty_typeEbEEZZNS1_14partition_implILS5_3ELb0ES3_jN6thrust23THRUST_200600_302600_NS6detail15normal_iteratorINSA_7pointerIyNSA_11hip_rocprim3tagENSA_11use_defaultESG_EEEEPS6_SJ_NS0_5tupleIJPySJ_EEENSK_IJSJ_SJ_EEES6_PlJ7is_evenIyEEEE10hipError_tPvRmT3_T4_T5_T6_T7_T9_mT8_P12ihipStream_tbDpT10_ENKUlT_T0_E_clISt17integral_constantIbLb0EES1A_EEDaS15_S16_EUlS15_E_NS1_11comp_targetILNS1_3genE0ELNS1_11target_archE4294967295ELNS1_3gpuE0ELNS1_3repE0EEENS1_30default_config_static_selectorELNS0_4arch9wavefront6targetE1EEEvT1_
	.p2align	8
	.type	_ZN7rocprim17ROCPRIM_400000_NS6detail17trampoline_kernelINS0_14default_configENS1_25partition_config_selectorILNS1_17partition_subalgoE3EyNS0_10empty_typeEbEEZZNS1_14partition_implILS5_3ELb0ES3_jN6thrust23THRUST_200600_302600_NS6detail15normal_iteratorINSA_7pointerIyNSA_11hip_rocprim3tagENSA_11use_defaultESG_EEEEPS6_SJ_NS0_5tupleIJPySJ_EEENSK_IJSJ_SJ_EEES6_PlJ7is_evenIyEEEE10hipError_tPvRmT3_T4_T5_T6_T7_T9_mT8_P12ihipStream_tbDpT10_ENKUlT_T0_E_clISt17integral_constantIbLb0EES1A_EEDaS15_S16_EUlS15_E_NS1_11comp_targetILNS1_3genE0ELNS1_11target_archE4294967295ELNS1_3gpuE0ELNS1_3repE0EEENS1_30default_config_static_selectorELNS0_4arch9wavefront6targetE1EEEvT1_,@function
_ZN7rocprim17ROCPRIM_400000_NS6detail17trampoline_kernelINS0_14default_configENS1_25partition_config_selectorILNS1_17partition_subalgoE3EyNS0_10empty_typeEbEEZZNS1_14partition_implILS5_3ELb0ES3_jN6thrust23THRUST_200600_302600_NS6detail15normal_iteratorINSA_7pointerIyNSA_11hip_rocprim3tagENSA_11use_defaultESG_EEEEPS6_SJ_NS0_5tupleIJPySJ_EEENSK_IJSJ_SJ_EEES6_PlJ7is_evenIyEEEE10hipError_tPvRmT3_T4_T5_T6_T7_T9_mT8_P12ihipStream_tbDpT10_ENKUlT_T0_E_clISt17integral_constantIbLb0EES1A_EEDaS15_S16_EUlS15_E_NS1_11comp_targetILNS1_3genE0ELNS1_11target_archE4294967295ELNS1_3gpuE0ELNS1_3repE0EEENS1_30default_config_static_selectorELNS0_4arch9wavefront6targetE1EEEvT1_: ; @_ZN7rocprim17ROCPRIM_400000_NS6detail17trampoline_kernelINS0_14default_configENS1_25partition_config_selectorILNS1_17partition_subalgoE3EyNS0_10empty_typeEbEEZZNS1_14partition_implILS5_3ELb0ES3_jN6thrust23THRUST_200600_302600_NS6detail15normal_iteratorINSA_7pointerIyNSA_11hip_rocprim3tagENSA_11use_defaultESG_EEEEPS6_SJ_NS0_5tupleIJPySJ_EEENSK_IJSJ_SJ_EEES6_PlJ7is_evenIyEEEE10hipError_tPvRmT3_T4_T5_T6_T7_T9_mT8_P12ihipStream_tbDpT10_ENKUlT_T0_E_clISt17integral_constantIbLb0EES1A_EEDaS15_S16_EUlS15_E_NS1_11comp_targetILNS1_3genE0ELNS1_11target_archE4294967295ELNS1_3gpuE0ELNS1_3repE0EEENS1_30default_config_static_selectorELNS0_4arch9wavefront6targetE1EEEvT1_
; %bb.0:
	.section	.rodata,"a",@progbits
	.p2align	6, 0x0
	.amdhsa_kernel _ZN7rocprim17ROCPRIM_400000_NS6detail17trampoline_kernelINS0_14default_configENS1_25partition_config_selectorILNS1_17partition_subalgoE3EyNS0_10empty_typeEbEEZZNS1_14partition_implILS5_3ELb0ES3_jN6thrust23THRUST_200600_302600_NS6detail15normal_iteratorINSA_7pointerIyNSA_11hip_rocprim3tagENSA_11use_defaultESG_EEEEPS6_SJ_NS0_5tupleIJPySJ_EEENSK_IJSJ_SJ_EEES6_PlJ7is_evenIyEEEE10hipError_tPvRmT3_T4_T5_T6_T7_T9_mT8_P12ihipStream_tbDpT10_ENKUlT_T0_E_clISt17integral_constantIbLb0EES1A_EEDaS15_S16_EUlS15_E_NS1_11comp_targetILNS1_3genE0ELNS1_11target_archE4294967295ELNS1_3gpuE0ELNS1_3repE0EEENS1_30default_config_static_selectorELNS0_4arch9wavefront6targetE1EEEvT1_
		.amdhsa_group_segment_fixed_size 0
		.amdhsa_private_segment_fixed_size 0
		.amdhsa_kernarg_size 120
		.amdhsa_user_sgpr_count 6
		.amdhsa_user_sgpr_private_segment_buffer 1
		.amdhsa_user_sgpr_dispatch_ptr 0
		.amdhsa_user_sgpr_queue_ptr 0
		.amdhsa_user_sgpr_kernarg_segment_ptr 1
		.amdhsa_user_sgpr_dispatch_id 0
		.amdhsa_user_sgpr_flat_scratch_init 0
		.amdhsa_user_sgpr_kernarg_preload_length 0
		.amdhsa_user_sgpr_kernarg_preload_offset 0
		.amdhsa_user_sgpr_private_segment_size 0
		.amdhsa_uses_dynamic_stack 0
		.amdhsa_system_sgpr_private_segment_wavefront_offset 0
		.amdhsa_system_sgpr_workgroup_id_x 1
		.amdhsa_system_sgpr_workgroup_id_y 0
		.amdhsa_system_sgpr_workgroup_id_z 0
		.amdhsa_system_sgpr_workgroup_info 0
		.amdhsa_system_vgpr_workitem_id 0
		.amdhsa_next_free_vgpr 1
		.amdhsa_next_free_sgpr 0
		.amdhsa_accum_offset 4
		.amdhsa_reserve_vcc 0
		.amdhsa_reserve_flat_scratch 0
		.amdhsa_float_round_mode_32 0
		.amdhsa_float_round_mode_16_64 0
		.amdhsa_float_denorm_mode_32 3
		.amdhsa_float_denorm_mode_16_64 3
		.amdhsa_dx10_clamp 1
		.amdhsa_ieee_mode 1
		.amdhsa_fp16_overflow 0
		.amdhsa_tg_split 0
		.amdhsa_exception_fp_ieee_invalid_op 0
		.amdhsa_exception_fp_denorm_src 0
		.amdhsa_exception_fp_ieee_div_zero 0
		.amdhsa_exception_fp_ieee_overflow 0
		.amdhsa_exception_fp_ieee_underflow 0
		.amdhsa_exception_fp_ieee_inexact 0
		.amdhsa_exception_int_div_zero 0
	.end_amdhsa_kernel
	.section	.text._ZN7rocprim17ROCPRIM_400000_NS6detail17trampoline_kernelINS0_14default_configENS1_25partition_config_selectorILNS1_17partition_subalgoE3EyNS0_10empty_typeEbEEZZNS1_14partition_implILS5_3ELb0ES3_jN6thrust23THRUST_200600_302600_NS6detail15normal_iteratorINSA_7pointerIyNSA_11hip_rocprim3tagENSA_11use_defaultESG_EEEEPS6_SJ_NS0_5tupleIJPySJ_EEENSK_IJSJ_SJ_EEES6_PlJ7is_evenIyEEEE10hipError_tPvRmT3_T4_T5_T6_T7_T9_mT8_P12ihipStream_tbDpT10_ENKUlT_T0_E_clISt17integral_constantIbLb0EES1A_EEDaS15_S16_EUlS15_E_NS1_11comp_targetILNS1_3genE0ELNS1_11target_archE4294967295ELNS1_3gpuE0ELNS1_3repE0EEENS1_30default_config_static_selectorELNS0_4arch9wavefront6targetE1EEEvT1_,"axG",@progbits,_ZN7rocprim17ROCPRIM_400000_NS6detail17trampoline_kernelINS0_14default_configENS1_25partition_config_selectorILNS1_17partition_subalgoE3EyNS0_10empty_typeEbEEZZNS1_14partition_implILS5_3ELb0ES3_jN6thrust23THRUST_200600_302600_NS6detail15normal_iteratorINSA_7pointerIyNSA_11hip_rocprim3tagENSA_11use_defaultESG_EEEEPS6_SJ_NS0_5tupleIJPySJ_EEENSK_IJSJ_SJ_EEES6_PlJ7is_evenIyEEEE10hipError_tPvRmT3_T4_T5_T6_T7_T9_mT8_P12ihipStream_tbDpT10_ENKUlT_T0_E_clISt17integral_constantIbLb0EES1A_EEDaS15_S16_EUlS15_E_NS1_11comp_targetILNS1_3genE0ELNS1_11target_archE4294967295ELNS1_3gpuE0ELNS1_3repE0EEENS1_30default_config_static_selectorELNS0_4arch9wavefront6targetE1EEEvT1_,comdat
.Lfunc_end674:
	.size	_ZN7rocprim17ROCPRIM_400000_NS6detail17trampoline_kernelINS0_14default_configENS1_25partition_config_selectorILNS1_17partition_subalgoE3EyNS0_10empty_typeEbEEZZNS1_14partition_implILS5_3ELb0ES3_jN6thrust23THRUST_200600_302600_NS6detail15normal_iteratorINSA_7pointerIyNSA_11hip_rocprim3tagENSA_11use_defaultESG_EEEEPS6_SJ_NS0_5tupleIJPySJ_EEENSK_IJSJ_SJ_EEES6_PlJ7is_evenIyEEEE10hipError_tPvRmT3_T4_T5_T6_T7_T9_mT8_P12ihipStream_tbDpT10_ENKUlT_T0_E_clISt17integral_constantIbLb0EES1A_EEDaS15_S16_EUlS15_E_NS1_11comp_targetILNS1_3genE0ELNS1_11target_archE4294967295ELNS1_3gpuE0ELNS1_3repE0EEENS1_30default_config_static_selectorELNS0_4arch9wavefront6targetE1EEEvT1_, .Lfunc_end674-_ZN7rocprim17ROCPRIM_400000_NS6detail17trampoline_kernelINS0_14default_configENS1_25partition_config_selectorILNS1_17partition_subalgoE3EyNS0_10empty_typeEbEEZZNS1_14partition_implILS5_3ELb0ES3_jN6thrust23THRUST_200600_302600_NS6detail15normal_iteratorINSA_7pointerIyNSA_11hip_rocprim3tagENSA_11use_defaultESG_EEEEPS6_SJ_NS0_5tupleIJPySJ_EEENSK_IJSJ_SJ_EEES6_PlJ7is_evenIyEEEE10hipError_tPvRmT3_T4_T5_T6_T7_T9_mT8_P12ihipStream_tbDpT10_ENKUlT_T0_E_clISt17integral_constantIbLb0EES1A_EEDaS15_S16_EUlS15_E_NS1_11comp_targetILNS1_3genE0ELNS1_11target_archE4294967295ELNS1_3gpuE0ELNS1_3repE0EEENS1_30default_config_static_selectorELNS0_4arch9wavefront6targetE1EEEvT1_
                                        ; -- End function
	.section	.AMDGPU.csdata,"",@progbits
; Kernel info:
; codeLenInByte = 0
; NumSgprs: 4
; NumVgprs: 0
; NumAgprs: 0
; TotalNumVgprs: 0
; ScratchSize: 0
; MemoryBound: 0
; FloatMode: 240
; IeeeMode: 1
; LDSByteSize: 0 bytes/workgroup (compile time only)
; SGPRBlocks: 0
; VGPRBlocks: 0
; NumSGPRsForWavesPerEU: 4
; NumVGPRsForWavesPerEU: 1
; AccumOffset: 4
; Occupancy: 8
; WaveLimiterHint : 0
; COMPUTE_PGM_RSRC2:SCRATCH_EN: 0
; COMPUTE_PGM_RSRC2:USER_SGPR: 6
; COMPUTE_PGM_RSRC2:TRAP_HANDLER: 0
; COMPUTE_PGM_RSRC2:TGID_X_EN: 1
; COMPUTE_PGM_RSRC2:TGID_Y_EN: 0
; COMPUTE_PGM_RSRC2:TGID_Z_EN: 0
; COMPUTE_PGM_RSRC2:TIDIG_COMP_CNT: 0
; COMPUTE_PGM_RSRC3_GFX90A:ACCUM_OFFSET: 0
; COMPUTE_PGM_RSRC3_GFX90A:TG_SPLIT: 0
	.section	.text._ZN7rocprim17ROCPRIM_400000_NS6detail17trampoline_kernelINS0_14default_configENS1_25partition_config_selectorILNS1_17partition_subalgoE3EyNS0_10empty_typeEbEEZZNS1_14partition_implILS5_3ELb0ES3_jN6thrust23THRUST_200600_302600_NS6detail15normal_iteratorINSA_7pointerIyNSA_11hip_rocprim3tagENSA_11use_defaultESG_EEEEPS6_SJ_NS0_5tupleIJPySJ_EEENSK_IJSJ_SJ_EEES6_PlJ7is_evenIyEEEE10hipError_tPvRmT3_T4_T5_T6_T7_T9_mT8_P12ihipStream_tbDpT10_ENKUlT_T0_E_clISt17integral_constantIbLb0EES1A_EEDaS15_S16_EUlS15_E_NS1_11comp_targetILNS1_3genE5ELNS1_11target_archE942ELNS1_3gpuE9ELNS1_3repE0EEENS1_30default_config_static_selectorELNS0_4arch9wavefront6targetE1EEEvT1_,"axG",@progbits,_ZN7rocprim17ROCPRIM_400000_NS6detail17trampoline_kernelINS0_14default_configENS1_25partition_config_selectorILNS1_17partition_subalgoE3EyNS0_10empty_typeEbEEZZNS1_14partition_implILS5_3ELb0ES3_jN6thrust23THRUST_200600_302600_NS6detail15normal_iteratorINSA_7pointerIyNSA_11hip_rocprim3tagENSA_11use_defaultESG_EEEEPS6_SJ_NS0_5tupleIJPySJ_EEENSK_IJSJ_SJ_EEES6_PlJ7is_evenIyEEEE10hipError_tPvRmT3_T4_T5_T6_T7_T9_mT8_P12ihipStream_tbDpT10_ENKUlT_T0_E_clISt17integral_constantIbLb0EES1A_EEDaS15_S16_EUlS15_E_NS1_11comp_targetILNS1_3genE5ELNS1_11target_archE942ELNS1_3gpuE9ELNS1_3repE0EEENS1_30default_config_static_selectorELNS0_4arch9wavefront6targetE1EEEvT1_,comdat
	.protected	_ZN7rocprim17ROCPRIM_400000_NS6detail17trampoline_kernelINS0_14default_configENS1_25partition_config_selectorILNS1_17partition_subalgoE3EyNS0_10empty_typeEbEEZZNS1_14partition_implILS5_3ELb0ES3_jN6thrust23THRUST_200600_302600_NS6detail15normal_iteratorINSA_7pointerIyNSA_11hip_rocprim3tagENSA_11use_defaultESG_EEEEPS6_SJ_NS0_5tupleIJPySJ_EEENSK_IJSJ_SJ_EEES6_PlJ7is_evenIyEEEE10hipError_tPvRmT3_T4_T5_T6_T7_T9_mT8_P12ihipStream_tbDpT10_ENKUlT_T0_E_clISt17integral_constantIbLb0EES1A_EEDaS15_S16_EUlS15_E_NS1_11comp_targetILNS1_3genE5ELNS1_11target_archE942ELNS1_3gpuE9ELNS1_3repE0EEENS1_30default_config_static_selectorELNS0_4arch9wavefront6targetE1EEEvT1_ ; -- Begin function _ZN7rocprim17ROCPRIM_400000_NS6detail17trampoline_kernelINS0_14default_configENS1_25partition_config_selectorILNS1_17partition_subalgoE3EyNS0_10empty_typeEbEEZZNS1_14partition_implILS5_3ELb0ES3_jN6thrust23THRUST_200600_302600_NS6detail15normal_iteratorINSA_7pointerIyNSA_11hip_rocprim3tagENSA_11use_defaultESG_EEEEPS6_SJ_NS0_5tupleIJPySJ_EEENSK_IJSJ_SJ_EEES6_PlJ7is_evenIyEEEE10hipError_tPvRmT3_T4_T5_T6_T7_T9_mT8_P12ihipStream_tbDpT10_ENKUlT_T0_E_clISt17integral_constantIbLb0EES1A_EEDaS15_S16_EUlS15_E_NS1_11comp_targetILNS1_3genE5ELNS1_11target_archE942ELNS1_3gpuE9ELNS1_3repE0EEENS1_30default_config_static_selectorELNS0_4arch9wavefront6targetE1EEEvT1_
	.globl	_ZN7rocprim17ROCPRIM_400000_NS6detail17trampoline_kernelINS0_14default_configENS1_25partition_config_selectorILNS1_17partition_subalgoE3EyNS0_10empty_typeEbEEZZNS1_14partition_implILS5_3ELb0ES3_jN6thrust23THRUST_200600_302600_NS6detail15normal_iteratorINSA_7pointerIyNSA_11hip_rocprim3tagENSA_11use_defaultESG_EEEEPS6_SJ_NS0_5tupleIJPySJ_EEENSK_IJSJ_SJ_EEES6_PlJ7is_evenIyEEEE10hipError_tPvRmT3_T4_T5_T6_T7_T9_mT8_P12ihipStream_tbDpT10_ENKUlT_T0_E_clISt17integral_constantIbLb0EES1A_EEDaS15_S16_EUlS15_E_NS1_11comp_targetILNS1_3genE5ELNS1_11target_archE942ELNS1_3gpuE9ELNS1_3repE0EEENS1_30default_config_static_selectorELNS0_4arch9wavefront6targetE1EEEvT1_
	.p2align	8
	.type	_ZN7rocprim17ROCPRIM_400000_NS6detail17trampoline_kernelINS0_14default_configENS1_25partition_config_selectorILNS1_17partition_subalgoE3EyNS0_10empty_typeEbEEZZNS1_14partition_implILS5_3ELb0ES3_jN6thrust23THRUST_200600_302600_NS6detail15normal_iteratorINSA_7pointerIyNSA_11hip_rocprim3tagENSA_11use_defaultESG_EEEEPS6_SJ_NS0_5tupleIJPySJ_EEENSK_IJSJ_SJ_EEES6_PlJ7is_evenIyEEEE10hipError_tPvRmT3_T4_T5_T6_T7_T9_mT8_P12ihipStream_tbDpT10_ENKUlT_T0_E_clISt17integral_constantIbLb0EES1A_EEDaS15_S16_EUlS15_E_NS1_11comp_targetILNS1_3genE5ELNS1_11target_archE942ELNS1_3gpuE9ELNS1_3repE0EEENS1_30default_config_static_selectorELNS0_4arch9wavefront6targetE1EEEvT1_,@function
_ZN7rocprim17ROCPRIM_400000_NS6detail17trampoline_kernelINS0_14default_configENS1_25partition_config_selectorILNS1_17partition_subalgoE3EyNS0_10empty_typeEbEEZZNS1_14partition_implILS5_3ELb0ES3_jN6thrust23THRUST_200600_302600_NS6detail15normal_iteratorINSA_7pointerIyNSA_11hip_rocprim3tagENSA_11use_defaultESG_EEEEPS6_SJ_NS0_5tupleIJPySJ_EEENSK_IJSJ_SJ_EEES6_PlJ7is_evenIyEEEE10hipError_tPvRmT3_T4_T5_T6_T7_T9_mT8_P12ihipStream_tbDpT10_ENKUlT_T0_E_clISt17integral_constantIbLb0EES1A_EEDaS15_S16_EUlS15_E_NS1_11comp_targetILNS1_3genE5ELNS1_11target_archE942ELNS1_3gpuE9ELNS1_3repE0EEENS1_30default_config_static_selectorELNS0_4arch9wavefront6targetE1EEEvT1_: ; @_ZN7rocprim17ROCPRIM_400000_NS6detail17trampoline_kernelINS0_14default_configENS1_25partition_config_selectorILNS1_17partition_subalgoE3EyNS0_10empty_typeEbEEZZNS1_14partition_implILS5_3ELb0ES3_jN6thrust23THRUST_200600_302600_NS6detail15normal_iteratorINSA_7pointerIyNSA_11hip_rocprim3tagENSA_11use_defaultESG_EEEEPS6_SJ_NS0_5tupleIJPySJ_EEENSK_IJSJ_SJ_EEES6_PlJ7is_evenIyEEEE10hipError_tPvRmT3_T4_T5_T6_T7_T9_mT8_P12ihipStream_tbDpT10_ENKUlT_T0_E_clISt17integral_constantIbLb0EES1A_EEDaS15_S16_EUlS15_E_NS1_11comp_targetILNS1_3genE5ELNS1_11target_archE942ELNS1_3gpuE9ELNS1_3repE0EEENS1_30default_config_static_selectorELNS0_4arch9wavefront6targetE1EEEvT1_
; %bb.0:
	.section	.rodata,"a",@progbits
	.p2align	6, 0x0
	.amdhsa_kernel _ZN7rocprim17ROCPRIM_400000_NS6detail17trampoline_kernelINS0_14default_configENS1_25partition_config_selectorILNS1_17partition_subalgoE3EyNS0_10empty_typeEbEEZZNS1_14partition_implILS5_3ELb0ES3_jN6thrust23THRUST_200600_302600_NS6detail15normal_iteratorINSA_7pointerIyNSA_11hip_rocprim3tagENSA_11use_defaultESG_EEEEPS6_SJ_NS0_5tupleIJPySJ_EEENSK_IJSJ_SJ_EEES6_PlJ7is_evenIyEEEE10hipError_tPvRmT3_T4_T5_T6_T7_T9_mT8_P12ihipStream_tbDpT10_ENKUlT_T0_E_clISt17integral_constantIbLb0EES1A_EEDaS15_S16_EUlS15_E_NS1_11comp_targetILNS1_3genE5ELNS1_11target_archE942ELNS1_3gpuE9ELNS1_3repE0EEENS1_30default_config_static_selectorELNS0_4arch9wavefront6targetE1EEEvT1_
		.amdhsa_group_segment_fixed_size 0
		.amdhsa_private_segment_fixed_size 0
		.amdhsa_kernarg_size 120
		.amdhsa_user_sgpr_count 6
		.amdhsa_user_sgpr_private_segment_buffer 1
		.amdhsa_user_sgpr_dispatch_ptr 0
		.amdhsa_user_sgpr_queue_ptr 0
		.amdhsa_user_sgpr_kernarg_segment_ptr 1
		.amdhsa_user_sgpr_dispatch_id 0
		.amdhsa_user_sgpr_flat_scratch_init 0
		.amdhsa_user_sgpr_kernarg_preload_length 0
		.amdhsa_user_sgpr_kernarg_preload_offset 0
		.amdhsa_user_sgpr_private_segment_size 0
		.amdhsa_uses_dynamic_stack 0
		.amdhsa_system_sgpr_private_segment_wavefront_offset 0
		.amdhsa_system_sgpr_workgroup_id_x 1
		.amdhsa_system_sgpr_workgroup_id_y 0
		.amdhsa_system_sgpr_workgroup_id_z 0
		.amdhsa_system_sgpr_workgroup_info 0
		.amdhsa_system_vgpr_workitem_id 0
		.amdhsa_next_free_vgpr 1
		.amdhsa_next_free_sgpr 0
		.amdhsa_accum_offset 4
		.amdhsa_reserve_vcc 0
		.amdhsa_reserve_flat_scratch 0
		.amdhsa_float_round_mode_32 0
		.amdhsa_float_round_mode_16_64 0
		.amdhsa_float_denorm_mode_32 3
		.amdhsa_float_denorm_mode_16_64 3
		.amdhsa_dx10_clamp 1
		.amdhsa_ieee_mode 1
		.amdhsa_fp16_overflow 0
		.amdhsa_tg_split 0
		.amdhsa_exception_fp_ieee_invalid_op 0
		.amdhsa_exception_fp_denorm_src 0
		.amdhsa_exception_fp_ieee_div_zero 0
		.amdhsa_exception_fp_ieee_overflow 0
		.amdhsa_exception_fp_ieee_underflow 0
		.amdhsa_exception_fp_ieee_inexact 0
		.amdhsa_exception_int_div_zero 0
	.end_amdhsa_kernel
	.section	.text._ZN7rocprim17ROCPRIM_400000_NS6detail17trampoline_kernelINS0_14default_configENS1_25partition_config_selectorILNS1_17partition_subalgoE3EyNS0_10empty_typeEbEEZZNS1_14partition_implILS5_3ELb0ES3_jN6thrust23THRUST_200600_302600_NS6detail15normal_iteratorINSA_7pointerIyNSA_11hip_rocprim3tagENSA_11use_defaultESG_EEEEPS6_SJ_NS0_5tupleIJPySJ_EEENSK_IJSJ_SJ_EEES6_PlJ7is_evenIyEEEE10hipError_tPvRmT3_T4_T5_T6_T7_T9_mT8_P12ihipStream_tbDpT10_ENKUlT_T0_E_clISt17integral_constantIbLb0EES1A_EEDaS15_S16_EUlS15_E_NS1_11comp_targetILNS1_3genE5ELNS1_11target_archE942ELNS1_3gpuE9ELNS1_3repE0EEENS1_30default_config_static_selectorELNS0_4arch9wavefront6targetE1EEEvT1_,"axG",@progbits,_ZN7rocprim17ROCPRIM_400000_NS6detail17trampoline_kernelINS0_14default_configENS1_25partition_config_selectorILNS1_17partition_subalgoE3EyNS0_10empty_typeEbEEZZNS1_14partition_implILS5_3ELb0ES3_jN6thrust23THRUST_200600_302600_NS6detail15normal_iteratorINSA_7pointerIyNSA_11hip_rocprim3tagENSA_11use_defaultESG_EEEEPS6_SJ_NS0_5tupleIJPySJ_EEENSK_IJSJ_SJ_EEES6_PlJ7is_evenIyEEEE10hipError_tPvRmT3_T4_T5_T6_T7_T9_mT8_P12ihipStream_tbDpT10_ENKUlT_T0_E_clISt17integral_constantIbLb0EES1A_EEDaS15_S16_EUlS15_E_NS1_11comp_targetILNS1_3genE5ELNS1_11target_archE942ELNS1_3gpuE9ELNS1_3repE0EEENS1_30default_config_static_selectorELNS0_4arch9wavefront6targetE1EEEvT1_,comdat
.Lfunc_end675:
	.size	_ZN7rocprim17ROCPRIM_400000_NS6detail17trampoline_kernelINS0_14default_configENS1_25partition_config_selectorILNS1_17partition_subalgoE3EyNS0_10empty_typeEbEEZZNS1_14partition_implILS5_3ELb0ES3_jN6thrust23THRUST_200600_302600_NS6detail15normal_iteratorINSA_7pointerIyNSA_11hip_rocprim3tagENSA_11use_defaultESG_EEEEPS6_SJ_NS0_5tupleIJPySJ_EEENSK_IJSJ_SJ_EEES6_PlJ7is_evenIyEEEE10hipError_tPvRmT3_T4_T5_T6_T7_T9_mT8_P12ihipStream_tbDpT10_ENKUlT_T0_E_clISt17integral_constantIbLb0EES1A_EEDaS15_S16_EUlS15_E_NS1_11comp_targetILNS1_3genE5ELNS1_11target_archE942ELNS1_3gpuE9ELNS1_3repE0EEENS1_30default_config_static_selectorELNS0_4arch9wavefront6targetE1EEEvT1_, .Lfunc_end675-_ZN7rocprim17ROCPRIM_400000_NS6detail17trampoline_kernelINS0_14default_configENS1_25partition_config_selectorILNS1_17partition_subalgoE3EyNS0_10empty_typeEbEEZZNS1_14partition_implILS5_3ELb0ES3_jN6thrust23THRUST_200600_302600_NS6detail15normal_iteratorINSA_7pointerIyNSA_11hip_rocprim3tagENSA_11use_defaultESG_EEEEPS6_SJ_NS0_5tupleIJPySJ_EEENSK_IJSJ_SJ_EEES6_PlJ7is_evenIyEEEE10hipError_tPvRmT3_T4_T5_T6_T7_T9_mT8_P12ihipStream_tbDpT10_ENKUlT_T0_E_clISt17integral_constantIbLb0EES1A_EEDaS15_S16_EUlS15_E_NS1_11comp_targetILNS1_3genE5ELNS1_11target_archE942ELNS1_3gpuE9ELNS1_3repE0EEENS1_30default_config_static_selectorELNS0_4arch9wavefront6targetE1EEEvT1_
                                        ; -- End function
	.section	.AMDGPU.csdata,"",@progbits
; Kernel info:
; codeLenInByte = 0
; NumSgprs: 4
; NumVgprs: 0
; NumAgprs: 0
; TotalNumVgprs: 0
; ScratchSize: 0
; MemoryBound: 0
; FloatMode: 240
; IeeeMode: 1
; LDSByteSize: 0 bytes/workgroup (compile time only)
; SGPRBlocks: 0
; VGPRBlocks: 0
; NumSGPRsForWavesPerEU: 4
; NumVGPRsForWavesPerEU: 1
; AccumOffset: 4
; Occupancy: 8
; WaveLimiterHint : 0
; COMPUTE_PGM_RSRC2:SCRATCH_EN: 0
; COMPUTE_PGM_RSRC2:USER_SGPR: 6
; COMPUTE_PGM_RSRC2:TRAP_HANDLER: 0
; COMPUTE_PGM_RSRC2:TGID_X_EN: 1
; COMPUTE_PGM_RSRC2:TGID_Y_EN: 0
; COMPUTE_PGM_RSRC2:TGID_Z_EN: 0
; COMPUTE_PGM_RSRC2:TIDIG_COMP_CNT: 0
; COMPUTE_PGM_RSRC3_GFX90A:ACCUM_OFFSET: 0
; COMPUTE_PGM_RSRC3_GFX90A:TG_SPLIT: 0
	.section	.text._ZN7rocprim17ROCPRIM_400000_NS6detail17trampoline_kernelINS0_14default_configENS1_25partition_config_selectorILNS1_17partition_subalgoE3EyNS0_10empty_typeEbEEZZNS1_14partition_implILS5_3ELb0ES3_jN6thrust23THRUST_200600_302600_NS6detail15normal_iteratorINSA_7pointerIyNSA_11hip_rocprim3tagENSA_11use_defaultESG_EEEEPS6_SJ_NS0_5tupleIJPySJ_EEENSK_IJSJ_SJ_EEES6_PlJ7is_evenIyEEEE10hipError_tPvRmT3_T4_T5_T6_T7_T9_mT8_P12ihipStream_tbDpT10_ENKUlT_T0_E_clISt17integral_constantIbLb0EES1A_EEDaS15_S16_EUlS15_E_NS1_11comp_targetILNS1_3genE4ELNS1_11target_archE910ELNS1_3gpuE8ELNS1_3repE0EEENS1_30default_config_static_selectorELNS0_4arch9wavefront6targetE1EEEvT1_,"axG",@progbits,_ZN7rocprim17ROCPRIM_400000_NS6detail17trampoline_kernelINS0_14default_configENS1_25partition_config_selectorILNS1_17partition_subalgoE3EyNS0_10empty_typeEbEEZZNS1_14partition_implILS5_3ELb0ES3_jN6thrust23THRUST_200600_302600_NS6detail15normal_iteratorINSA_7pointerIyNSA_11hip_rocprim3tagENSA_11use_defaultESG_EEEEPS6_SJ_NS0_5tupleIJPySJ_EEENSK_IJSJ_SJ_EEES6_PlJ7is_evenIyEEEE10hipError_tPvRmT3_T4_T5_T6_T7_T9_mT8_P12ihipStream_tbDpT10_ENKUlT_T0_E_clISt17integral_constantIbLb0EES1A_EEDaS15_S16_EUlS15_E_NS1_11comp_targetILNS1_3genE4ELNS1_11target_archE910ELNS1_3gpuE8ELNS1_3repE0EEENS1_30default_config_static_selectorELNS0_4arch9wavefront6targetE1EEEvT1_,comdat
	.protected	_ZN7rocprim17ROCPRIM_400000_NS6detail17trampoline_kernelINS0_14default_configENS1_25partition_config_selectorILNS1_17partition_subalgoE3EyNS0_10empty_typeEbEEZZNS1_14partition_implILS5_3ELb0ES3_jN6thrust23THRUST_200600_302600_NS6detail15normal_iteratorINSA_7pointerIyNSA_11hip_rocprim3tagENSA_11use_defaultESG_EEEEPS6_SJ_NS0_5tupleIJPySJ_EEENSK_IJSJ_SJ_EEES6_PlJ7is_evenIyEEEE10hipError_tPvRmT3_T4_T5_T6_T7_T9_mT8_P12ihipStream_tbDpT10_ENKUlT_T0_E_clISt17integral_constantIbLb0EES1A_EEDaS15_S16_EUlS15_E_NS1_11comp_targetILNS1_3genE4ELNS1_11target_archE910ELNS1_3gpuE8ELNS1_3repE0EEENS1_30default_config_static_selectorELNS0_4arch9wavefront6targetE1EEEvT1_ ; -- Begin function _ZN7rocprim17ROCPRIM_400000_NS6detail17trampoline_kernelINS0_14default_configENS1_25partition_config_selectorILNS1_17partition_subalgoE3EyNS0_10empty_typeEbEEZZNS1_14partition_implILS5_3ELb0ES3_jN6thrust23THRUST_200600_302600_NS6detail15normal_iteratorINSA_7pointerIyNSA_11hip_rocprim3tagENSA_11use_defaultESG_EEEEPS6_SJ_NS0_5tupleIJPySJ_EEENSK_IJSJ_SJ_EEES6_PlJ7is_evenIyEEEE10hipError_tPvRmT3_T4_T5_T6_T7_T9_mT8_P12ihipStream_tbDpT10_ENKUlT_T0_E_clISt17integral_constantIbLb0EES1A_EEDaS15_S16_EUlS15_E_NS1_11comp_targetILNS1_3genE4ELNS1_11target_archE910ELNS1_3gpuE8ELNS1_3repE0EEENS1_30default_config_static_selectorELNS0_4arch9wavefront6targetE1EEEvT1_
	.globl	_ZN7rocprim17ROCPRIM_400000_NS6detail17trampoline_kernelINS0_14default_configENS1_25partition_config_selectorILNS1_17partition_subalgoE3EyNS0_10empty_typeEbEEZZNS1_14partition_implILS5_3ELb0ES3_jN6thrust23THRUST_200600_302600_NS6detail15normal_iteratorINSA_7pointerIyNSA_11hip_rocprim3tagENSA_11use_defaultESG_EEEEPS6_SJ_NS0_5tupleIJPySJ_EEENSK_IJSJ_SJ_EEES6_PlJ7is_evenIyEEEE10hipError_tPvRmT3_T4_T5_T6_T7_T9_mT8_P12ihipStream_tbDpT10_ENKUlT_T0_E_clISt17integral_constantIbLb0EES1A_EEDaS15_S16_EUlS15_E_NS1_11comp_targetILNS1_3genE4ELNS1_11target_archE910ELNS1_3gpuE8ELNS1_3repE0EEENS1_30default_config_static_selectorELNS0_4arch9wavefront6targetE1EEEvT1_
	.p2align	8
	.type	_ZN7rocprim17ROCPRIM_400000_NS6detail17trampoline_kernelINS0_14default_configENS1_25partition_config_selectorILNS1_17partition_subalgoE3EyNS0_10empty_typeEbEEZZNS1_14partition_implILS5_3ELb0ES3_jN6thrust23THRUST_200600_302600_NS6detail15normal_iteratorINSA_7pointerIyNSA_11hip_rocprim3tagENSA_11use_defaultESG_EEEEPS6_SJ_NS0_5tupleIJPySJ_EEENSK_IJSJ_SJ_EEES6_PlJ7is_evenIyEEEE10hipError_tPvRmT3_T4_T5_T6_T7_T9_mT8_P12ihipStream_tbDpT10_ENKUlT_T0_E_clISt17integral_constantIbLb0EES1A_EEDaS15_S16_EUlS15_E_NS1_11comp_targetILNS1_3genE4ELNS1_11target_archE910ELNS1_3gpuE8ELNS1_3repE0EEENS1_30default_config_static_selectorELNS0_4arch9wavefront6targetE1EEEvT1_,@function
_ZN7rocprim17ROCPRIM_400000_NS6detail17trampoline_kernelINS0_14default_configENS1_25partition_config_selectorILNS1_17partition_subalgoE3EyNS0_10empty_typeEbEEZZNS1_14partition_implILS5_3ELb0ES3_jN6thrust23THRUST_200600_302600_NS6detail15normal_iteratorINSA_7pointerIyNSA_11hip_rocprim3tagENSA_11use_defaultESG_EEEEPS6_SJ_NS0_5tupleIJPySJ_EEENSK_IJSJ_SJ_EEES6_PlJ7is_evenIyEEEE10hipError_tPvRmT3_T4_T5_T6_T7_T9_mT8_P12ihipStream_tbDpT10_ENKUlT_T0_E_clISt17integral_constantIbLb0EES1A_EEDaS15_S16_EUlS15_E_NS1_11comp_targetILNS1_3genE4ELNS1_11target_archE910ELNS1_3gpuE8ELNS1_3repE0EEENS1_30default_config_static_selectorELNS0_4arch9wavefront6targetE1EEEvT1_: ; @_ZN7rocprim17ROCPRIM_400000_NS6detail17trampoline_kernelINS0_14default_configENS1_25partition_config_selectorILNS1_17partition_subalgoE3EyNS0_10empty_typeEbEEZZNS1_14partition_implILS5_3ELb0ES3_jN6thrust23THRUST_200600_302600_NS6detail15normal_iteratorINSA_7pointerIyNSA_11hip_rocprim3tagENSA_11use_defaultESG_EEEEPS6_SJ_NS0_5tupleIJPySJ_EEENSK_IJSJ_SJ_EEES6_PlJ7is_evenIyEEEE10hipError_tPvRmT3_T4_T5_T6_T7_T9_mT8_P12ihipStream_tbDpT10_ENKUlT_T0_E_clISt17integral_constantIbLb0EES1A_EEDaS15_S16_EUlS15_E_NS1_11comp_targetILNS1_3genE4ELNS1_11target_archE910ELNS1_3gpuE8ELNS1_3repE0EEENS1_30default_config_static_selectorELNS0_4arch9wavefront6targetE1EEEvT1_
; %bb.0:
	s_load_dwordx4 s[20:23], s[4:5], 0x8
	s_load_dwordx4 s[24:27], s[4:5], 0x48
	s_load_dwordx2 s[28:29], s[4:5], 0x58
	s_load_dword s2, s[4:5], 0x70
	s_mul_i32 s30, s6, 0x300
	s_waitcnt lgkmcnt(0)
	s_lshl_b64 s[0:1], s[22:23], 3
	s_add_u32 s7, s20, s0
	s_addc_u32 s8, s21, s1
	s_mul_i32 s0, s2, 0x300
	s_add_i32 s1, s0, s22
	s_sub_i32 s33, s28, s1
	s_add_i32 s3, s2, -1
	s_addk_i32 s33, 0x300
	s_add_u32 s0, s22, s0
	s_addc_u32 s1, s23, 0
	s_cmp_eq_u32 s6, s3
	s_load_dwordx2 s[34:35], s[26:27], 0x0
	v_pk_mov_b32 v[2:3], s[28:29], s[28:29] op_sel:[0,1]
	s_cselect_b64 s[26:27], -1, 0
	s_cmp_lg_u32 s6, s3
	s_mov_b32 s31, 0
	v_cmp_lt_u64_e32 vcc, s[0:1], v[2:3]
	s_cselect_b64 s[0:1], -1, 0
	s_or_b64 s[2:3], s[0:1], vcc
	s_lshl_b64 s[0:1], s[30:31], 3
	s_add_u32 s7, s7, s0
	s_addc_u32 s10, s8, s1
	s_mov_b64 s[0:1], -1
	s_and_b64 vcc, exec, s[2:3]
	v_lshlrev_b32_e32 v1, 3, v0
	v_lshrrev_b32_e32 v10, 2, v0
	s_cbranch_vccz .LBB676_2
; %bb.1:
	v_mov_b32_e32 v3, s10
	v_add_co_u32_e32 v2, vcc, s7, v1
	v_addc_co_u32_e32 v3, vcc, 0, v3, vcc
	v_add_co_u32_e32 v4, vcc, 0x1000, v2
	v_addc_co_u32_e32 v5, vcc, 0, v3, vcc
	flat_load_dwordx2 v[6:7], v[2:3]
	flat_load_dwordx2 v[8:9], v[2:3] offset:1536
	flat_load_dwordx2 v[12:13], v[2:3] offset:3072
	;; [unrolled: 1-line block ×3, first 2 shown]
	v_add_u32_e32 v3, 0xc0, v0
	v_add_u32_e32 v4, 0x180, v0
	;; [unrolled: 1-line block ×3, first 2 shown]
	v_and_b32_e32 v2, 56, v10
	v_lshrrev_b32_e32 v3, 2, v3
	v_lshrrev_b32_e32 v4, 2, v4
	;; [unrolled: 1-line block ×3, first 2 shown]
	v_add_u32_e32 v2, v2, v1
	v_and_b32_e32 v3, 0x78, v3
	v_and_b32_e32 v4, 0xf8, v4
	;; [unrolled: 1-line block ×3, first 2 shown]
	v_add_u32_e32 v3, v3, v1
	v_add_u32_e32 v4, v4, v1
	;; [unrolled: 1-line block ×3, first 2 shown]
	s_mov_b64 s[0:1], 0
	s_waitcnt vmcnt(0) lgkmcnt(0)
	ds_write_b64 v2, v[6:7]
	ds_write_b64 v3, v[8:9] offset:1536
	ds_write_b64 v4, v[12:13] offset:3072
	;; [unrolled: 1-line block ×3, first 2 shown]
	s_waitcnt lgkmcnt(0)
	s_barrier
.LBB676_2:
	s_andn2_b64 vcc, exec, s[0:1]
	v_cmp_gt_u32_e64 s[0:1], s33, v0
	s_cbranch_vccnz .LBB676_12
; %bb.3:
                                        ; implicit-def: $vgpr2_vgpr3_vgpr4_vgpr5_vgpr6_vgpr7_vgpr8_vgpr9
	s_and_saveexec_b64 s[8:9], s[0:1]
	s_cbranch_execz .LBB676_5
; %bb.4:
	v_mov_b32_e32 v3, s10
	v_add_co_u32_e32 v2, vcc, s7, v1
	v_addc_co_u32_e32 v3, vcc, 0, v3, vcc
	flat_load_dwordx2 v[2:3], v[2:3]
.LBB676_5:
	s_or_b64 exec, exec, s[8:9]
	v_add_u32_e32 v11, 0xc0, v0
	v_cmp_gt_u32_e32 vcc, s33, v11
	s_and_saveexec_b64 s[0:1], vcc
	s_cbranch_execz .LBB676_7
; %bb.6:
	v_mov_b32_e32 v5, s10
	v_add_co_u32_e32 v4, vcc, s7, v1
	v_addc_co_u32_e32 v5, vcc, 0, v5, vcc
	flat_load_dwordx2 v[4:5], v[4:5] offset:1536
.LBB676_7:
	s_or_b64 exec, exec, s[0:1]
	v_add_u32_e32 v12, 0x180, v0
	v_cmp_gt_u32_e32 vcc, s33, v12
	s_and_saveexec_b64 s[0:1], vcc
	s_cbranch_execz .LBB676_9
; %bb.8:
	v_mov_b32_e32 v7, s10
	v_add_co_u32_e32 v6, vcc, s7, v1
	v_addc_co_u32_e32 v7, vcc, 0, v7, vcc
	flat_load_dwordx2 v[6:7], v[6:7] offset:3072
.LBB676_9:
	s_or_b64 exec, exec, s[0:1]
	v_add_u32_e32 v13, 0x240, v0
	v_cmp_gt_u32_e32 vcc, s33, v13
	s_and_saveexec_b64 s[0:1], vcc
	s_cbranch_execz .LBB676_11
; %bb.10:
	v_lshlrev_b32_e32 v8, 3, v13
	v_mov_b32_e32 v9, s10
	v_add_co_u32_e32 v8, vcc, s7, v8
	v_addc_co_u32_e32 v9, vcc, 0, v9, vcc
	flat_load_dwordx2 v[8:9], v[8:9]
.LBB676_11:
	s_or_b64 exec, exec, s[0:1]
	v_and_b32_e32 v10, 56, v10
	v_add_u32_e32 v10, v10, v1
	s_waitcnt vmcnt(0) lgkmcnt(0)
	ds_write_b64 v10, v[2:3]
	v_lshrrev_b32_e32 v2, 2, v11
	v_and_b32_e32 v2, 0x78, v2
	v_add_u32_e32 v2, v2, v1
	ds_write_b64 v2, v[4:5] offset:1536
	v_lshrrev_b32_e32 v2, 2, v12
	v_and_b32_e32 v2, 0xf8, v2
	v_add_u32_e32 v2, v2, v1
	ds_write_b64 v2, v[6:7] offset:3072
	v_lshrrev_b32_e32 v2, 2, v13
	v_and_b32_e32 v2, 0xf8, v2
	v_add_u32_e32 v2, v2, v1
	ds_write_b64 v2, v[8:9] offset:4608
	s_waitcnt lgkmcnt(0)
	s_barrier
.LBB676_12:
	v_lshlrev_b32_e32 v20, 2, v0
	v_lshrrev_b32_e32 v2, 3, v0
	v_add_lshl_u32 v2, v2, v20, 3
	s_waitcnt lgkmcnt(0)
	ds_read2_b64 v[6:9], v2 offset1:1
	ds_read2_b64 v[2:5], v2 offset0:2 offset1:3
	v_cndmask_b32_e64 v10, 0, 1, s[2:3]
	v_cmp_ne_u32_e64 s[0:1], 1, v10
	s_andn2_b64 vcc, exec, s[2:3]
	s_waitcnt lgkmcnt(1)
	v_xor_b32_e32 v13, -1, v6
	v_xor_b32_e32 v12, -1, v8
	s_waitcnt lgkmcnt(0)
	v_xor_b32_e32 v11, -1, v2
	v_xor_b32_e32 v10, -1, v4
	s_barrier
	s_cbranch_vccnz .LBB676_14
; %bb.13:
	v_mov_b32_e32 v15, 1
	v_and_b32_e32 v14, 1, v13
	v_and_b32_sdwa v16, v12, v15 dst_sel:BYTE_1 dst_unused:UNUSED_PAD src0_sel:DWORD src1_sel:DWORD
	v_and_b32_e32 v17, 1, v11
	v_and_b32_sdwa v15, v10, v15 dst_sel:BYTE_1 dst_unused:UNUSED_PAD src0_sel:DWORD src1_sel:DWORD
	v_or_b32_e32 v14, v14, v16
	v_or_b32_sdwa v15, v17, v15 dst_sel:WORD_1 dst_unused:UNUSED_PAD src0_sel:DWORD src1_sel:DWORD
	v_or_b32_sdwa v21, v14, v15 dst_sel:DWORD dst_unused:UNUSED_PAD src0_sel:WORD_0 src1_sel:DWORD
	s_load_dwordx2 s[36:37], s[4:5], 0x68
	s_cbranch_execz .LBB676_15
	s_branch .LBB676_16
.LBB676_14:
                                        ; implicit-def: $vgpr21
	s_load_dwordx2 s[36:37], s[4:5], 0x68
.LBB676_15:
	v_cmp_gt_u32_e32 vcc, s33, v20
	v_cndmask_b32_e64 v14, 0, 1, vcc
	v_and_b32_e32 v13, v14, v13
	v_or_b32_e32 v14, 1, v20
	v_cmp_gt_u32_e32 vcc, s33, v14
	v_cndmask_b32_e64 v14, 0, 1, vcc
	v_and_b32_sdwa v12, v14, v12 dst_sel:BYTE_1 dst_unused:UNUSED_PAD src0_sel:DWORD src1_sel:DWORD
	v_or_b32_e32 v14, 2, v20
	v_cmp_gt_u32_e32 vcc, s33, v14
	v_cndmask_b32_e64 v14, 0, 1, vcc
	v_and_b32_e32 v11, v14, v11
	v_or_b32_e32 v14, 3, v20
	v_cmp_gt_u32_e32 vcc, s33, v14
	v_cndmask_b32_e64 v14, 0, 1, vcc
	v_and_b32_sdwa v10, v14, v10 dst_sel:BYTE_1 dst_unused:UNUSED_PAD src0_sel:DWORD src1_sel:DWORD
	v_or_b32_e32 v12, v13, v12
	v_or_b32_sdwa v10, v11, v10 dst_sel:WORD_1 dst_unused:UNUSED_PAD src0_sel:DWORD src1_sel:DWORD
	v_or_b32_sdwa v21, v12, v10 dst_sel:DWORD dst_unused:UNUSED_PAD src0_sel:WORD_0 src1_sel:DWORD
.LBB676_16:
	v_bfe_u32 v23, v21, 16, 8
	v_lshrrev_b32_e32 v22, 24, v21
	v_add_u32_sdwa v10, v21, v21 dst_sel:DWORD dst_unused:UNUSED_PAD src0_sel:BYTE_1 src1_sel:BYTE_0
	v_add3_u32 v26, v10, v23, v22
	v_mbcnt_lo_u32_b32 v10, -1, 0
	v_mbcnt_hi_u32_b32 v24, -1, v10
	v_and_b32_e32 v10, 15, v24
	v_cmp_eq_u32_e64 s[16:17], 0, v10
	v_cmp_lt_u32_e64 s[14:15], 1, v10
	v_cmp_lt_u32_e64 s[12:13], 3, v10
	;; [unrolled: 1-line block ×3, first 2 shown]
	v_and_b32_e32 v10, 16, v24
	v_cmp_eq_u32_e64 s[20:21], 0, v10
	v_and_b32_e32 v10, 0xc0, v0
	v_min_u32_e32 v10, 0x80, v10
	v_or_b32_e32 v10, 63, v10
	s_cmp_lg_u32 s6, 0
	v_cmp_lt_u32_e64 s[2:3], 31, v24
	v_lshrrev_b32_e32 v25, 6, v0
	v_cmp_eq_u32_e64 s[8:9], v10, v0
	s_cbranch_scc0 .LBB676_43
; %bb.17:
	v_mov_b32_dpp v10, v26 row_shr:1 row_mask:0xf bank_mask:0xf
	v_cndmask_b32_e64 v10, v10, 0, s[16:17]
	v_add_u32_e32 v10, v10, v26
	s_nop 1
	v_mov_b32_dpp v11, v10 row_shr:2 row_mask:0xf bank_mask:0xf
	v_cndmask_b32_e64 v11, 0, v11, s[14:15]
	v_add_u32_e32 v10, v10, v11
	s_nop 1
	v_mov_b32_dpp v11, v10 row_shr:4 row_mask:0xf bank_mask:0xf
	v_cndmask_b32_e64 v11, 0, v11, s[12:13]
	v_add_u32_e32 v10, v10, v11
	s_nop 1
	v_mov_b32_dpp v11, v10 row_shr:8 row_mask:0xf bank_mask:0xf
	v_cndmask_b32_e64 v11, 0, v11, s[10:11]
	v_add_u32_e32 v10, v10, v11
	s_nop 1
	v_mov_b32_dpp v11, v10 row_bcast:15 row_mask:0xf bank_mask:0xf
	v_cndmask_b32_e64 v11, v11, 0, s[20:21]
	v_add_u32_e32 v10, v10, v11
	s_nop 1
	v_mov_b32_dpp v11, v10 row_bcast:31 row_mask:0xf bank_mask:0xf
	v_cndmask_b32_e64 v11, 0, v11, s[2:3]
	v_add_u32_e32 v10, v10, v11
	s_and_saveexec_b64 s[18:19], s[8:9]
	s_cbranch_execz .LBB676_19
; %bb.18:
	v_lshlrev_b32_e32 v11, 2, v25
	ds_write_b32 v11, v10
.LBB676_19:
	s_or_b64 exec, exec, s[18:19]
	v_cmp_gt_u32_e32 vcc, 3, v0
	s_waitcnt lgkmcnt(0)
	s_barrier
	s_and_saveexec_b64 s[18:19], vcc
	s_cbranch_execz .LBB676_21
; %bb.20:
	ds_read_b32 v11, v20
	v_and_b32_e32 v12, 3, v24
	v_cmp_ne_u32_e32 vcc, 0, v12
	s_waitcnt lgkmcnt(0)
	v_mov_b32_dpp v13, v11 row_shr:1 row_mask:0xf bank_mask:0xf
	v_cndmask_b32_e32 v13, 0, v13, vcc
	v_add_u32_e32 v11, v13, v11
	v_cmp_lt_u32_e32 vcc, 1, v12
	s_nop 0
	v_mov_b32_dpp v13, v11 row_shr:2 row_mask:0xf bank_mask:0xf
	v_cndmask_b32_e32 v12, 0, v13, vcc
	v_add_u32_e32 v11, v11, v12
	ds_write_b32 v20, v11
.LBB676_21:
	s_or_b64 exec, exec, s[18:19]
	v_cmp_gt_u32_e32 vcc, 64, v0
	v_cmp_lt_u32_e64 s[18:19], 63, v0
	s_waitcnt lgkmcnt(0)
	s_barrier
	s_waitcnt lgkmcnt(0)
                                        ; implicit-def: $vgpr27
	s_and_saveexec_b64 s[38:39], s[18:19]
	s_cbranch_execz .LBB676_23
; %bb.22:
	v_lshl_add_u32 v11, v25, 2, -4
	ds_read_b32 v27, v11
	s_waitcnt lgkmcnt(0)
	v_add_u32_e32 v10, v27, v10
.LBB676_23:
	s_or_b64 exec, exec, s[38:39]
	v_add_u32_e32 v11, -1, v24
	v_and_b32_e32 v12, 64, v24
	v_cmp_lt_i32_e64 s[18:19], v11, v12
	v_cndmask_b32_e64 v11, v11, v24, s[18:19]
	v_lshlrev_b32_e32 v11, 2, v11
	ds_bpermute_b32 v28, v11, v10
	v_cmp_eq_u32_e64 s[18:19], 0, v24
	s_and_saveexec_b64 s[38:39], vcc
	s_cbranch_execz .LBB676_42
; %bb.24:
	v_mov_b32_e32 v17, 0
	ds_read_b32 v10, v17 offset:8
	s_and_saveexec_b64 s[40:41], s[18:19]
	s_cbranch_execz .LBB676_26
; %bb.25:
	s_add_i32 s42, s6, 64
	s_mov_b32 s43, 0
	s_lshl_b64 s[42:43], s[42:43], 3
	s_add_u32 s42, s36, s42
	v_mov_b32_e32 v11, 1
	s_addc_u32 s43, s37, s43
	s_waitcnt lgkmcnt(0)
	global_store_dwordx2 v17, v[10:11], s[42:43]
.LBB676_26:
	s_or_b64 exec, exec, s[40:41]
	v_xad_u32 v12, v24, -1, s6
	v_add_u32_e32 v16, 64, v12
	v_lshlrev_b64 v[14:15], 3, v[16:17]
	v_mov_b32_e32 v11, s37
	v_add_co_u32_e32 v18, vcc, s36, v14
	v_addc_co_u32_e32 v19, vcc, v11, v15, vcc
	global_load_dwordx2 v[14:15], v[18:19], off glc
	s_waitcnt vmcnt(0)
	v_cmp_eq_u16_sdwa s[42:43], v15, v17 src0_sel:BYTE_0 src1_sel:DWORD
	s_and_saveexec_b64 s[40:41], s[42:43]
	s_cbranch_execz .LBB676_30
; %bb.27:
	s_mov_b64 s[42:43], 0
	v_mov_b32_e32 v11, 0
.LBB676_28:                             ; =>This Inner Loop Header: Depth=1
	global_load_dwordx2 v[14:15], v[18:19], off glc
	s_waitcnt vmcnt(0)
	v_cmp_ne_u16_sdwa s[44:45], v15, v11 src0_sel:BYTE_0 src1_sel:DWORD
	s_or_b64 s[42:43], s[44:45], s[42:43]
	s_andn2_b64 exec, exec, s[42:43]
	s_cbranch_execnz .LBB676_28
; %bb.29:
	s_or_b64 exec, exec, s[42:43]
.LBB676_30:
	s_or_b64 exec, exec, s[40:41]
	v_and_b32_e32 v30, 63, v24
	v_mov_b32_e32 v29, 2
	v_cmp_ne_u32_e32 vcc, 63, v30
	v_cmp_eq_u16_sdwa s[40:41], v15, v29 src0_sel:BYTE_0 src1_sel:DWORD
	v_lshlrev_b64 v[16:17], v24, -1
	v_addc_co_u32_e32 v18, vcc, 0, v24, vcc
	v_and_b32_e32 v11, s41, v17
	v_lshlrev_b32_e32 v31, 2, v18
	v_or_b32_e32 v11, 0x80000000, v11
	ds_bpermute_b32 v18, v31, v14
	v_and_b32_e32 v13, s40, v16
	v_ffbl_b32_e32 v11, v11
	v_add_u32_e32 v11, 32, v11
	v_ffbl_b32_e32 v13, v13
	v_min_u32_e32 v11, v13, v11
	v_cmp_lt_u32_e32 vcc, v30, v11
	s_waitcnt lgkmcnt(0)
	v_cndmask_b32_e32 v13, 0, v18, vcc
	v_cmp_gt_u32_e32 vcc, 62, v30
	v_add_u32_e32 v13, v13, v14
	v_cndmask_b32_e64 v14, 0, 1, vcc
	v_lshlrev_b32_e32 v14, 1, v14
	v_add_lshl_u32 v32, v14, v24, 2
	ds_bpermute_b32 v14, v32, v13
	v_add_u32_e32 v33, 2, v30
	v_cmp_le_u32_e32 vcc, v33, v11
	v_add_u32_e32 v35, 4, v30
	v_add_u32_e32 v37, 8, v30
	s_waitcnt lgkmcnt(0)
	v_cndmask_b32_e32 v14, 0, v14, vcc
	v_cmp_gt_u32_e32 vcc, 60, v30
	v_add_u32_e32 v13, v13, v14
	v_cndmask_b32_e64 v14, 0, 1, vcc
	v_lshlrev_b32_e32 v14, 2, v14
	v_add_lshl_u32 v34, v14, v24, 2
	ds_bpermute_b32 v14, v34, v13
	v_cmp_le_u32_e32 vcc, v35, v11
	v_add_u32_e32 v39, 16, v30
	v_add_u32_e32 v41, 32, v30
	s_waitcnt lgkmcnt(0)
	v_cndmask_b32_e32 v14, 0, v14, vcc
	v_cmp_gt_u32_e32 vcc, 56, v30
	v_add_u32_e32 v13, v13, v14
	v_cndmask_b32_e64 v14, 0, 1, vcc
	v_lshlrev_b32_e32 v14, 3, v14
	v_add_lshl_u32 v36, v14, v24, 2
	ds_bpermute_b32 v14, v36, v13
	v_cmp_le_u32_e32 vcc, v37, v11
	s_waitcnt lgkmcnt(0)
	v_cndmask_b32_e32 v14, 0, v14, vcc
	v_cmp_gt_u32_e32 vcc, 48, v30
	v_add_u32_e32 v13, v13, v14
	v_cndmask_b32_e64 v14, 0, 1, vcc
	v_lshlrev_b32_e32 v14, 4, v14
	v_add_lshl_u32 v38, v14, v24, 2
	ds_bpermute_b32 v14, v38, v13
	v_cmp_le_u32_e32 vcc, v39, v11
	;; [unrolled: 9-line block ×3, first 2 shown]
	s_waitcnt lgkmcnt(0)
	v_cndmask_b32_e32 v11, 0, v14, vcc
	v_add_u32_e32 v14, v13, v11
	v_mov_b32_e32 v13, 0
	s_branch .LBB676_32
.LBB676_31:                             ;   in Loop: Header=BB676_32 Depth=1
	s_or_b64 exec, exec, s[40:41]
	v_cmp_eq_u16_sdwa s[40:41], v15, v29 src0_sel:BYTE_0 src1_sel:DWORD
	v_and_b32_e32 v18, s41, v17
	v_or_b32_e32 v18, 0x80000000, v18
	ds_bpermute_b32 v42, v31, v14
	v_and_b32_e32 v19, s40, v16
	v_ffbl_b32_e32 v18, v18
	v_add_u32_e32 v18, 32, v18
	v_ffbl_b32_e32 v19, v19
	v_min_u32_e32 v18, v19, v18
	v_cmp_lt_u32_e32 vcc, v30, v18
	s_waitcnt lgkmcnt(0)
	v_cndmask_b32_e32 v19, 0, v42, vcc
	v_add_u32_e32 v14, v19, v14
	ds_bpermute_b32 v19, v32, v14
	v_cmp_le_u32_e32 vcc, v33, v18
	v_subrev_u32_e32 v12, 64, v12
	s_waitcnt lgkmcnt(0)
	v_cndmask_b32_e32 v19, 0, v19, vcc
	v_add_u32_e32 v14, v14, v19
	ds_bpermute_b32 v19, v34, v14
	v_cmp_le_u32_e32 vcc, v35, v18
	s_waitcnt lgkmcnt(0)
	v_cndmask_b32_e32 v19, 0, v19, vcc
	v_add_u32_e32 v14, v14, v19
	ds_bpermute_b32 v19, v36, v14
	v_cmp_le_u32_e32 vcc, v37, v18
	;; [unrolled: 5-line block ×4, first 2 shown]
	s_waitcnt lgkmcnt(0)
	v_cndmask_b32_e32 v18, 0, v19, vcc
	v_add3_u32 v14, v18, v11, v14
.LBB676_32:                             ; =>This Loop Header: Depth=1
                                        ;     Child Loop BB676_35 Depth 2
	v_cmp_ne_u16_sdwa s[40:41], v15, v29 src0_sel:BYTE_0 src1_sel:DWORD
	v_cndmask_b32_e64 v11, 0, 1, s[40:41]
	;;#ASMSTART
	;;#ASMEND
	v_cmp_ne_u32_e32 vcc, 0, v11
	s_cmp_lg_u64 vcc, exec
	v_mov_b32_e32 v11, v14
	s_cbranch_scc1 .LBB676_37
; %bb.33:                               ;   in Loop: Header=BB676_32 Depth=1
	v_lshlrev_b64 v[14:15], 3, v[12:13]
	v_mov_b32_e32 v19, s37
	v_add_co_u32_e32 v18, vcc, s36, v14
	v_addc_co_u32_e32 v19, vcc, v19, v15, vcc
	global_load_dwordx2 v[14:15], v[18:19], off glc
	s_waitcnt vmcnt(0)
	v_cmp_eq_u16_sdwa s[42:43], v15, v13 src0_sel:BYTE_0 src1_sel:DWORD
	s_and_saveexec_b64 s[40:41], s[42:43]
	s_cbranch_execz .LBB676_31
; %bb.34:                               ;   in Loop: Header=BB676_32 Depth=1
	s_mov_b64 s[42:43], 0
.LBB676_35:                             ;   Parent Loop BB676_32 Depth=1
                                        ; =>  This Inner Loop Header: Depth=2
	global_load_dwordx2 v[14:15], v[18:19], off glc
	s_waitcnt vmcnt(0)
	v_cmp_ne_u16_sdwa s[44:45], v15, v13 src0_sel:BYTE_0 src1_sel:DWORD
	s_or_b64 s[42:43], s[44:45], s[42:43]
	s_andn2_b64 exec, exec, s[42:43]
	s_cbranch_execnz .LBB676_35
; %bb.36:                               ;   in Loop: Header=BB676_32 Depth=1
	s_or_b64 exec, exec, s[42:43]
	s_branch .LBB676_31
.LBB676_37:                             ;   in Loop: Header=BB676_32 Depth=1
                                        ; implicit-def: $vgpr14
                                        ; implicit-def: $vgpr15
	s_cbranch_execz .LBB676_32
; %bb.38:
	s_and_saveexec_b64 s[40:41], s[18:19]
	s_cbranch_execz .LBB676_40
; %bb.39:
	s_add_i32 s6, s6, 64
	s_mov_b32 s7, 0
	s_lshl_b64 s[6:7], s[6:7], 3
	s_add_u32 s6, s36, s6
	v_add_u32_e32 v12, v11, v10
	v_mov_b32_e32 v13, 2
	s_addc_u32 s7, s37, s7
	v_mov_b32_e32 v14, 0
	global_store_dwordx2 v14, v[12:13], s[6:7]
	ds_write_b64 v14, v[10:11] offset:6336
.LBB676_40:
	s_or_b64 exec, exec, s[40:41]
	v_cmp_eq_u32_e32 vcc, 0, v0
	s_and_b64 exec, exec, vcc
	s_cbranch_execz .LBB676_42
; %bb.41:
	v_mov_b32_e32 v10, 0
	ds_write_b32 v10, v11 offset:8
.LBB676_42:
	s_or_b64 exec, exec, s[38:39]
	v_mov_b32_e32 v10, 0
	s_waitcnt lgkmcnt(0)
	s_barrier
	ds_read_b32 v11, v10 offset:8
	v_cndmask_b32_e64 v12, v28, v27, s[18:19]
	v_cmp_ne_u32_e32 vcc, 0, v0
	v_cndmask_b32_e32 v12, 0, v12, vcc
	s_waitcnt lgkmcnt(0)
	v_add_u32_e32 v14, v11, v12
	s_barrier
	ds_read_b64 v[10:11], v10 offset:6336
	v_add_u32_sdwa v15, v14, v21 dst_sel:DWORD dst_unused:UNUSED_PAD src0_sel:DWORD src1_sel:BYTE_0
	v_add_u32_sdwa v13, v15, v21 dst_sel:DWORD dst_unused:UNUSED_PAD src0_sel:DWORD src1_sel:BYTE_1
	v_add_u32_e32 v12, v13, v23
	s_load_dwordx2 s[4:5], s[4:5], 0x28
	s_branch .LBB676_53
.LBB676_43:
                                        ; implicit-def: $vgpr11
                                        ; implicit-def: $vgpr12
                                        ; implicit-def: $vgpr13
                                        ; implicit-def: $vgpr15
                                        ; implicit-def: $vgpr14
	s_load_dwordx2 s[4:5], s[4:5], 0x28
	s_cbranch_execz .LBB676_53
; %bb.44:
	s_waitcnt lgkmcnt(0)
	v_mov_b32_dpp v10, v26 row_shr:1 row_mask:0xf bank_mask:0xf
	v_cndmask_b32_e64 v10, v10, 0, s[16:17]
	v_add_u32_e32 v10, v10, v26
	s_nop 1
	v_mov_b32_dpp v11, v10 row_shr:2 row_mask:0xf bank_mask:0xf
	v_cndmask_b32_e64 v11, 0, v11, s[14:15]
	v_add_u32_e32 v10, v10, v11
	s_nop 1
	;; [unrolled: 4-line block ×4, first 2 shown]
	v_mov_b32_dpp v11, v10 row_bcast:15 row_mask:0xf bank_mask:0xf
	v_cndmask_b32_e64 v11, v11, 0, s[20:21]
	v_add_u32_e32 v10, v10, v11
	s_nop 1
	v_mov_b32_dpp v11, v10 row_bcast:31 row_mask:0xf bank_mask:0xf
	v_cndmask_b32_e64 v11, 0, v11, s[2:3]
	v_add_u32_e32 v10, v10, v11
	s_and_saveexec_b64 s[2:3], s[8:9]
	s_cbranch_execz .LBB676_46
; %bb.45:
	v_lshlrev_b32_e32 v11, 2, v25
	ds_write_b32 v11, v10
.LBB676_46:
	s_or_b64 exec, exec, s[2:3]
	v_cmp_gt_u32_e32 vcc, 3, v0
	s_waitcnt lgkmcnt(0)
	s_barrier
	s_and_saveexec_b64 s[2:3], vcc
	s_cbranch_execz .LBB676_48
; %bb.47:
	ds_read_b32 v11, v20
	v_and_b32_e32 v12, 3, v24
	v_cmp_ne_u32_e32 vcc, 0, v12
	s_waitcnt lgkmcnt(0)
	v_mov_b32_dpp v13, v11 row_shr:1 row_mask:0xf bank_mask:0xf
	v_cndmask_b32_e32 v13, 0, v13, vcc
	v_add_u32_e32 v11, v13, v11
	v_cmp_lt_u32_e32 vcc, 1, v12
	s_nop 0
	v_mov_b32_dpp v13, v11 row_shr:2 row_mask:0xf bank_mask:0xf
	v_cndmask_b32_e32 v12, 0, v13, vcc
	v_add_u32_e32 v11, v11, v12
	ds_write_b32 v20, v11
.LBB676_48:
	s_or_b64 exec, exec, s[2:3]
	v_cmp_lt_u32_e32 vcc, 63, v0
	v_mov_b32_e32 v11, 0
	v_mov_b32_e32 v12, 0
	s_waitcnt lgkmcnt(0)
	s_barrier
	s_and_saveexec_b64 s[2:3], vcc
	s_cbranch_execz .LBB676_50
; %bb.49:
	v_lshl_add_u32 v12, v25, 2, -4
	ds_read_b32 v12, v12
.LBB676_50:
	s_or_b64 exec, exec, s[2:3]
	v_add_u32_e32 v13, -1, v24
	v_and_b32_e32 v14, 64, v24
	v_cmp_lt_i32_e32 vcc, v13, v14
	v_cndmask_b32_e32 v13, v13, v24, vcc
	s_waitcnt lgkmcnt(0)
	v_add_u32_e32 v10, v12, v10
	v_lshlrev_b32_e32 v13, 2, v13
	ds_bpermute_b32 v13, v13, v10
	ds_read_b32 v10, v11 offset:8
	v_cmp_eq_u32_e32 vcc, 0, v0
	s_and_saveexec_b64 s[2:3], vcc
	s_cbranch_execz .LBB676_52
; %bb.51:
	v_mov_b32_e32 v14, 0
	v_mov_b32_e32 v11, 2
	s_waitcnt lgkmcnt(0)
	global_store_dwordx2 v14, v[10:11], s[36:37] offset:512
.LBB676_52:
	s_or_b64 exec, exec, s[2:3]
	v_cmp_eq_u32_e64 s[2:3], 0, v24
	s_waitcnt lgkmcnt(1)
	v_cndmask_b32_e64 v12, v13, v12, s[2:3]
	v_cndmask_b32_e64 v14, v12, 0, vcc
	v_add_u32_sdwa v15, v14, v21 dst_sel:DWORD dst_unused:UNUSED_PAD src0_sel:DWORD src1_sel:BYTE_0
	v_add_u32_sdwa v13, v15, v21 dst_sel:DWORD dst_unused:UNUSED_PAD src0_sel:DWORD src1_sel:BYTE_1
	v_mov_b32_e32 v11, 0
	v_add_u32_e32 v12, v13, v23
	s_waitcnt lgkmcnt(0)
	s_barrier
.LBB676_53:
	s_waitcnt lgkmcnt(0)
	v_add_u32_e32 v17, v10, v20
	v_sub_u32_e32 v14, v14, v11
	v_and_b32_e32 v19, 1, v21
	v_sub_u32_e32 v18, v17, v14
	v_cmp_eq_u32_e32 vcc, 1, v19
	v_cndmask_b32_e32 v14, v18, v14, vcc
	v_lshlrev_b32_e32 v14, 3, v14
	v_lshrrev_b32_e32 v16, 8, v21
	ds_write_b64 v14, v[6:7]
	v_sub_u32_e32 v6, v15, v11
	v_sub_u32_e32 v7, v17, v6
	v_and_b32_e32 v14, 1, v16
	v_add_u32_e32 v7, 1, v7
	v_cmp_eq_u32_e32 vcc, 1, v14
	v_cndmask_b32_e32 v6, v7, v6, vcc
	v_lshlrev_b32_e32 v6, 3, v6
	ds_write_b64 v6, v[8:9]
	v_sub_u32_e32 v6, v13, v11
	v_mov_b32_e32 v8, 1
	v_sub_u32_e32 v7, v17, v6
	v_and_b32_sdwa v8, v8, v21 dst_sel:DWORD dst_unused:UNUSED_PAD src0_sel:DWORD src1_sel:WORD_1
	v_add_u32_e32 v7, 2, v7
	v_cmp_eq_u32_e32 vcc, 1, v8
	v_cndmask_b32_e32 v6, v7, v6, vcc
	v_lshlrev_b32_e32 v6, 3, v6
	ds_write_b64 v6, v[2:3]
	v_sub_u32_e32 v2, v12, v11
	v_sub_u32_e32 v3, v17, v2
	v_and_b32_e32 v6, 1, v22
	v_add_u32_e32 v3, 3, v3
	v_cmp_eq_u32_e32 vcc, 1, v6
	v_cndmask_b32_e32 v2, v3, v2, vcc
	s_add_u32 s2, s22, s30
	v_lshlrev_b32_e32 v2, 3, v2
	s_addc_u32 s3, s23, 0
	ds_write_b64 v2, v[4:5]
	s_waitcnt lgkmcnt(0)
	s_barrier
	ds_read2st64_b64 v[6:9], v1 offset1:3
	ds_read2st64_b64 v[2:5], v1 offset0:6 offset1:9
	v_mov_b32_e32 v12, s35
	v_add_co_u32_e32 v1, vcc, s34, v11
	s_sub_u32 s2, s28, s2
	v_addc_co_u32_e32 v11, vcc, 0, v12, vcc
	s_subb_u32 s3, s29, s3
	v_mov_b32_e32 v12, s3
	v_add_co_u32_e32 v13, vcc, s2, v10
	v_addc_co_u32_e32 v12, vcc, 0, v12, vcc
	s_and_b64 vcc, exec, s[0:1]
	v_add_co_u32_e64 v15, s[0:1], v13, v1
	v_add_u32_e32 v18, 0xc0, v0
	v_add_u32_e32 v17, 0x180, v0
	;; [unrolled: 1-line block ×3, first 2 shown]
	v_addc_co_u32_e64 v16, s[0:1], v12, v11, s[0:1]
	s_cbranch_vccnz .LBB676_71
; %bb.54:
	v_cmp_ge_u32_e32 vcc, v0, v10
                                        ; implicit-def: $vgpr12_vgpr13
	s_and_saveexec_b64 s[0:1], vcc
	s_xor_b64 s[0:1], exec, s[0:1]
; %bb.55:
	v_not_b32_e32 v12, v0
	v_ashrrev_i32_e32 v13, 31, v12
	v_add_co_u32_e32 v12, vcc, v15, v12
	v_addc_co_u32_e32 v13, vcc, v16, v13, vcc
; %bb.56:
	s_andn2_saveexec_b64 s[0:1], s[0:1]
; %bb.57:
	v_add_co_u32_e32 v12, vcc, v1, v0
	v_addc_co_u32_e32 v13, vcc, 0, v11, vcc
; %bb.58:
	s_or_b64 exec, exec, s[0:1]
	v_lshlrev_b64 v[12:13], 3, v[12:13]
	v_mov_b32_e32 v19, s5
	v_add_co_u32_e32 v12, vcc, s4, v12
	v_addc_co_u32_e32 v13, vcc, v19, v13, vcc
	v_cmp_ge_u32_e32 vcc, v18, v10
	s_waitcnt lgkmcnt(1)
	global_store_dwordx2 v[12:13], v[6:7], off
                                        ; implicit-def: $vgpr12_vgpr13
	s_and_saveexec_b64 s[0:1], vcc
	s_xor_b64 s[0:1], exec, s[0:1]
; %bb.59:
	v_sub_u32_e32 v12, 0xffffff3f, v0
	v_ashrrev_i32_e32 v13, 31, v12
	v_add_co_u32_e32 v12, vcc, v15, v12
	v_addc_co_u32_e32 v13, vcc, v16, v13, vcc
; %bb.60:
	s_andn2_saveexec_b64 s[0:1], s[0:1]
; %bb.61:
	v_add_co_u32_e32 v12, vcc, v1, v18
	v_addc_co_u32_e32 v13, vcc, 0, v11, vcc
; %bb.62:
	s_or_b64 exec, exec, s[0:1]
	v_lshlrev_b64 v[12:13], 3, v[12:13]
	v_mov_b32_e32 v19, s5
	v_add_co_u32_e32 v12, vcc, s4, v12
	v_addc_co_u32_e32 v13, vcc, v19, v13, vcc
	v_cmp_ge_u32_e32 vcc, v17, v10
	global_store_dwordx2 v[12:13], v[8:9], off
                                        ; implicit-def: $vgpr12_vgpr13
	s_and_saveexec_b64 s[0:1], vcc
	s_xor_b64 s[0:1], exec, s[0:1]
; %bb.63:
	v_sub_u32_e32 v12, 0xfffffe7f, v0
	v_ashrrev_i32_e32 v13, 31, v12
	v_add_co_u32_e32 v12, vcc, v15, v12
	v_addc_co_u32_e32 v13, vcc, v16, v13, vcc
; %bb.64:
	s_andn2_saveexec_b64 s[0:1], s[0:1]
; %bb.65:
	v_add_co_u32_e32 v12, vcc, v1, v17
	v_addc_co_u32_e32 v13, vcc, 0, v11, vcc
; %bb.66:
	s_or_b64 exec, exec, s[0:1]
	v_lshlrev_b64 v[12:13], 3, v[12:13]
	v_mov_b32_e32 v19, s5
	v_add_co_u32_e32 v12, vcc, s4, v12
	v_addc_co_u32_e32 v13, vcc, v19, v13, vcc
	v_cmp_ge_u32_e32 vcc, v14, v10
	s_waitcnt lgkmcnt(0)
	global_store_dwordx2 v[12:13], v[2:3], off
                                        ; implicit-def: $vgpr12_vgpr13
	s_and_saveexec_b64 s[0:1], vcc
	s_xor_b64 s[0:1], exec, s[0:1]
; %bb.67:
	v_sub_u32_e32 v12, 0xfffffdbf, v0
	v_ashrrev_i32_e32 v13, 31, v12
	v_add_co_u32_e32 v12, vcc, v15, v12
	v_addc_co_u32_e32 v13, vcc, v16, v13, vcc
; %bb.68:
	s_andn2_saveexec_b64 s[0:1], s[0:1]
; %bb.69:
	v_add_co_u32_e32 v12, vcc, v1, v14
	v_addc_co_u32_e32 v13, vcc, 0, v11, vcc
; %bb.70:
	s_or_b64 exec, exec, s[0:1]
	s_mov_b64 s[0:1], -1
	s_branch .LBB676_97
.LBB676_71:
	s_mov_b64 s[0:1], 0
                                        ; implicit-def: $vgpr12_vgpr13
	s_cbranch_execz .LBB676_97
; %bb.72:
	v_cmp_gt_u32_e32 vcc, s33, v0
	s_and_saveexec_b64 s[2:3], vcc
	s_cbranch_execz .LBB676_80
; %bb.73:
	v_cmp_ge_u32_e32 vcc, v0, v10
                                        ; implicit-def: $vgpr12_vgpr13
	s_and_saveexec_b64 s[6:7], vcc
	s_xor_b64 s[6:7], exec, s[6:7]
; %bb.74:
	v_not_b32_e32 v12, v0
	v_ashrrev_i32_e32 v13, 31, v12
	v_add_co_u32_e32 v12, vcc, v15, v12
	v_addc_co_u32_e32 v13, vcc, v16, v13, vcc
; %bb.75:
	s_andn2_saveexec_b64 s[6:7], s[6:7]
; %bb.76:
	v_add_co_u32_e32 v12, vcc, v1, v0
	v_addc_co_u32_e32 v13, vcc, 0, v11, vcc
; %bb.77:
	s_or_b64 exec, exec, s[6:7]
	v_lshlrev_b64 v[12:13], 3, v[12:13]
	v_mov_b32_e32 v19, s5
	v_add_co_u32_e32 v12, vcc, s4, v12
	v_addc_co_u32_e32 v13, vcc, v19, v13, vcc
	s_waitcnt lgkmcnt(1)
	global_store_dwordx2 v[12:13], v[6:7], off
	s_or_b64 exec, exec, s[2:3]
	v_cmp_gt_u32_e32 vcc, s33, v18
	s_and_saveexec_b64 s[2:3], vcc
	s_cbranch_execnz .LBB676_81
.LBB676_78:
	s_or_b64 exec, exec, s[2:3]
	v_cmp_gt_u32_e32 vcc, s33, v17
	s_and_saveexec_b64 s[2:3], vcc
	s_cbranch_execnz .LBB676_86
.LBB676_79:
	s_or_b64 exec, exec, s[2:3]
	v_cmp_gt_u32_e32 vcc, s33, v14
                                        ; implicit-def: $vgpr12_vgpr13
	s_and_saveexec_b64 s[2:3], vcc
	s_cbranch_execz .LBB676_96
	s_branch .LBB676_91
.LBB676_80:
	s_or_b64 exec, exec, s[2:3]
	v_cmp_gt_u32_e32 vcc, s33, v18
	s_and_saveexec_b64 s[2:3], vcc
	s_cbranch_execz .LBB676_78
.LBB676_81:
	v_cmp_ge_u32_e32 vcc, v18, v10
                                        ; implicit-def: $vgpr6_vgpr7
	s_and_saveexec_b64 s[6:7], vcc
	s_xor_b64 s[6:7], exec, s[6:7]
	s_cbranch_execz .LBB676_83
; %bb.82:
	s_waitcnt lgkmcnt(1)
	v_sub_u32_e32 v6, 0xffffff3f, v0
	v_ashrrev_i32_e32 v7, 31, v6
	v_add_co_u32_e32 v6, vcc, v15, v6
	v_addc_co_u32_e32 v7, vcc, v16, v7, vcc
                                        ; implicit-def: $vgpr18
.LBB676_83:
	s_andn2_saveexec_b64 s[6:7], s[6:7]
	s_cbranch_execz .LBB676_85
; %bb.84:
	s_waitcnt lgkmcnt(1)
	v_add_co_u32_e32 v6, vcc, v1, v18
	v_addc_co_u32_e32 v7, vcc, 0, v11, vcc
.LBB676_85:
	s_or_b64 exec, exec, s[6:7]
	s_waitcnt lgkmcnt(1)
	v_lshlrev_b64 v[6:7], 3, v[6:7]
	v_mov_b32_e32 v12, s5
	v_add_co_u32_e32 v6, vcc, s4, v6
	v_addc_co_u32_e32 v7, vcc, v12, v7, vcc
	global_store_dwordx2 v[6:7], v[8:9], off
	s_or_b64 exec, exec, s[2:3]
	v_cmp_gt_u32_e32 vcc, s33, v17
	s_and_saveexec_b64 s[2:3], vcc
	s_cbranch_execz .LBB676_79
.LBB676_86:
	v_cmp_ge_u32_e32 vcc, v17, v10
                                        ; implicit-def: $vgpr6_vgpr7
	s_and_saveexec_b64 s[6:7], vcc
	s_xor_b64 s[6:7], exec, s[6:7]
	s_cbranch_execz .LBB676_88
; %bb.87:
	s_waitcnt lgkmcnt(1)
	v_sub_u32_e32 v6, 0xfffffe7f, v0
	v_ashrrev_i32_e32 v7, 31, v6
	v_add_co_u32_e32 v6, vcc, v15, v6
	v_addc_co_u32_e32 v7, vcc, v16, v7, vcc
                                        ; implicit-def: $vgpr17
.LBB676_88:
	s_andn2_saveexec_b64 s[6:7], s[6:7]
	s_cbranch_execz .LBB676_90
; %bb.89:
	s_waitcnt lgkmcnt(1)
	v_add_co_u32_e32 v6, vcc, v1, v17
	v_addc_co_u32_e32 v7, vcc, 0, v11, vcc
.LBB676_90:
	s_or_b64 exec, exec, s[6:7]
	s_waitcnt lgkmcnt(1)
	v_lshlrev_b64 v[6:7], 3, v[6:7]
	v_mov_b32_e32 v8, s5
	v_add_co_u32_e32 v6, vcc, s4, v6
	v_addc_co_u32_e32 v7, vcc, v8, v7, vcc
	s_waitcnt lgkmcnt(0)
	global_store_dwordx2 v[6:7], v[2:3], off
	s_or_b64 exec, exec, s[2:3]
	v_cmp_gt_u32_e32 vcc, s33, v14
                                        ; implicit-def: $vgpr12_vgpr13
	s_and_saveexec_b64 s[2:3], vcc
	s_cbranch_execz .LBB676_96
.LBB676_91:
	v_cmp_ge_u32_e32 vcc, v14, v10
                                        ; implicit-def: $vgpr12_vgpr13
	s_and_saveexec_b64 s[6:7], vcc
	s_xor_b64 s[6:7], exec, s[6:7]
	s_cbranch_execz .LBB676_93
; %bb.92:
	s_waitcnt lgkmcnt(0)
	v_sub_u32_e32 v2, 0xfffffdbf, v0
	v_ashrrev_i32_e32 v3, 31, v2
	v_add_co_u32_e32 v12, vcc, v15, v2
	v_addc_co_u32_e32 v13, vcc, v16, v3, vcc
                                        ; implicit-def: $vgpr14
.LBB676_93:
	s_andn2_saveexec_b64 s[6:7], s[6:7]
; %bb.94:
	v_add_co_u32_e32 v12, vcc, v1, v14
	v_addc_co_u32_e32 v13, vcc, 0, v11, vcc
; %bb.95:
	s_or_b64 exec, exec, s[6:7]
	s_or_b64 s[0:1], s[0:1], exec
.LBB676_96:
	s_or_b64 exec, exec, s[2:3]
.LBB676_97:
	s_and_saveexec_b64 s[2:3], s[0:1]
	s_cbranch_execz .LBB676_99
; %bb.98:
	s_waitcnt lgkmcnt(0)
	v_lshlrev_b64 v[2:3], 3, v[12:13]
	v_mov_b32_e32 v6, s5
	v_add_co_u32_e32 v2, vcc, s4, v2
	v_addc_co_u32_e32 v3, vcc, v6, v3, vcc
	global_store_dwordx2 v[2:3], v[4:5], off
.LBB676_99:
	s_or_b64 exec, exec, s[2:3]
	v_cmp_eq_u32_e32 vcc, 0, v0
	s_and_b64 s[0:1], vcc, s[26:27]
	s_and_saveexec_b64 s[2:3], s[0:1]
	s_cbranch_execz .LBB676_101
; %bb.100:
	v_add_co_u32_e32 v0, vcc, v1, v10
	s_waitcnt lgkmcnt(0)
	v_mov_b32_e32 v2, 0
	v_addc_co_u32_e32 v1, vcc, 0, v11, vcc
	global_store_dwordx2 v2, v[0:1], s[24:25]
.LBB676_101:
	s_endpgm
	.section	.rodata,"a",@progbits
	.p2align	6, 0x0
	.amdhsa_kernel _ZN7rocprim17ROCPRIM_400000_NS6detail17trampoline_kernelINS0_14default_configENS1_25partition_config_selectorILNS1_17partition_subalgoE3EyNS0_10empty_typeEbEEZZNS1_14partition_implILS5_3ELb0ES3_jN6thrust23THRUST_200600_302600_NS6detail15normal_iteratorINSA_7pointerIyNSA_11hip_rocprim3tagENSA_11use_defaultESG_EEEEPS6_SJ_NS0_5tupleIJPySJ_EEENSK_IJSJ_SJ_EEES6_PlJ7is_evenIyEEEE10hipError_tPvRmT3_T4_T5_T6_T7_T9_mT8_P12ihipStream_tbDpT10_ENKUlT_T0_E_clISt17integral_constantIbLb0EES1A_EEDaS15_S16_EUlS15_E_NS1_11comp_targetILNS1_3genE4ELNS1_11target_archE910ELNS1_3gpuE8ELNS1_3repE0EEENS1_30default_config_static_selectorELNS0_4arch9wavefront6targetE1EEEvT1_
		.amdhsa_group_segment_fixed_size 6344
		.amdhsa_private_segment_fixed_size 0
		.amdhsa_kernarg_size 120
		.amdhsa_user_sgpr_count 6
		.amdhsa_user_sgpr_private_segment_buffer 1
		.amdhsa_user_sgpr_dispatch_ptr 0
		.amdhsa_user_sgpr_queue_ptr 0
		.amdhsa_user_sgpr_kernarg_segment_ptr 1
		.amdhsa_user_sgpr_dispatch_id 0
		.amdhsa_user_sgpr_flat_scratch_init 0
		.amdhsa_user_sgpr_kernarg_preload_length 0
		.amdhsa_user_sgpr_kernarg_preload_offset 0
		.amdhsa_user_sgpr_private_segment_size 0
		.amdhsa_uses_dynamic_stack 0
		.amdhsa_system_sgpr_private_segment_wavefront_offset 0
		.amdhsa_system_sgpr_workgroup_id_x 1
		.amdhsa_system_sgpr_workgroup_id_y 0
		.amdhsa_system_sgpr_workgroup_id_z 0
		.amdhsa_system_sgpr_workgroup_info 0
		.amdhsa_system_vgpr_workitem_id 0
		.amdhsa_next_free_vgpr 43
		.amdhsa_next_free_sgpr 46
		.amdhsa_accum_offset 44
		.amdhsa_reserve_vcc 1
		.amdhsa_reserve_flat_scratch 0
		.amdhsa_float_round_mode_32 0
		.amdhsa_float_round_mode_16_64 0
		.amdhsa_float_denorm_mode_32 3
		.amdhsa_float_denorm_mode_16_64 3
		.amdhsa_dx10_clamp 1
		.amdhsa_ieee_mode 1
		.amdhsa_fp16_overflow 0
		.amdhsa_tg_split 0
		.amdhsa_exception_fp_ieee_invalid_op 0
		.amdhsa_exception_fp_denorm_src 0
		.amdhsa_exception_fp_ieee_div_zero 0
		.amdhsa_exception_fp_ieee_overflow 0
		.amdhsa_exception_fp_ieee_underflow 0
		.amdhsa_exception_fp_ieee_inexact 0
		.amdhsa_exception_int_div_zero 0
	.end_amdhsa_kernel
	.section	.text._ZN7rocprim17ROCPRIM_400000_NS6detail17trampoline_kernelINS0_14default_configENS1_25partition_config_selectorILNS1_17partition_subalgoE3EyNS0_10empty_typeEbEEZZNS1_14partition_implILS5_3ELb0ES3_jN6thrust23THRUST_200600_302600_NS6detail15normal_iteratorINSA_7pointerIyNSA_11hip_rocprim3tagENSA_11use_defaultESG_EEEEPS6_SJ_NS0_5tupleIJPySJ_EEENSK_IJSJ_SJ_EEES6_PlJ7is_evenIyEEEE10hipError_tPvRmT3_T4_T5_T6_T7_T9_mT8_P12ihipStream_tbDpT10_ENKUlT_T0_E_clISt17integral_constantIbLb0EES1A_EEDaS15_S16_EUlS15_E_NS1_11comp_targetILNS1_3genE4ELNS1_11target_archE910ELNS1_3gpuE8ELNS1_3repE0EEENS1_30default_config_static_selectorELNS0_4arch9wavefront6targetE1EEEvT1_,"axG",@progbits,_ZN7rocprim17ROCPRIM_400000_NS6detail17trampoline_kernelINS0_14default_configENS1_25partition_config_selectorILNS1_17partition_subalgoE3EyNS0_10empty_typeEbEEZZNS1_14partition_implILS5_3ELb0ES3_jN6thrust23THRUST_200600_302600_NS6detail15normal_iteratorINSA_7pointerIyNSA_11hip_rocprim3tagENSA_11use_defaultESG_EEEEPS6_SJ_NS0_5tupleIJPySJ_EEENSK_IJSJ_SJ_EEES6_PlJ7is_evenIyEEEE10hipError_tPvRmT3_T4_T5_T6_T7_T9_mT8_P12ihipStream_tbDpT10_ENKUlT_T0_E_clISt17integral_constantIbLb0EES1A_EEDaS15_S16_EUlS15_E_NS1_11comp_targetILNS1_3genE4ELNS1_11target_archE910ELNS1_3gpuE8ELNS1_3repE0EEENS1_30default_config_static_selectorELNS0_4arch9wavefront6targetE1EEEvT1_,comdat
.Lfunc_end676:
	.size	_ZN7rocprim17ROCPRIM_400000_NS6detail17trampoline_kernelINS0_14default_configENS1_25partition_config_selectorILNS1_17partition_subalgoE3EyNS0_10empty_typeEbEEZZNS1_14partition_implILS5_3ELb0ES3_jN6thrust23THRUST_200600_302600_NS6detail15normal_iteratorINSA_7pointerIyNSA_11hip_rocprim3tagENSA_11use_defaultESG_EEEEPS6_SJ_NS0_5tupleIJPySJ_EEENSK_IJSJ_SJ_EEES6_PlJ7is_evenIyEEEE10hipError_tPvRmT3_T4_T5_T6_T7_T9_mT8_P12ihipStream_tbDpT10_ENKUlT_T0_E_clISt17integral_constantIbLb0EES1A_EEDaS15_S16_EUlS15_E_NS1_11comp_targetILNS1_3genE4ELNS1_11target_archE910ELNS1_3gpuE8ELNS1_3repE0EEENS1_30default_config_static_selectorELNS0_4arch9wavefront6targetE1EEEvT1_, .Lfunc_end676-_ZN7rocprim17ROCPRIM_400000_NS6detail17trampoline_kernelINS0_14default_configENS1_25partition_config_selectorILNS1_17partition_subalgoE3EyNS0_10empty_typeEbEEZZNS1_14partition_implILS5_3ELb0ES3_jN6thrust23THRUST_200600_302600_NS6detail15normal_iteratorINSA_7pointerIyNSA_11hip_rocprim3tagENSA_11use_defaultESG_EEEEPS6_SJ_NS0_5tupleIJPySJ_EEENSK_IJSJ_SJ_EEES6_PlJ7is_evenIyEEEE10hipError_tPvRmT3_T4_T5_T6_T7_T9_mT8_P12ihipStream_tbDpT10_ENKUlT_T0_E_clISt17integral_constantIbLb0EES1A_EEDaS15_S16_EUlS15_E_NS1_11comp_targetILNS1_3genE4ELNS1_11target_archE910ELNS1_3gpuE8ELNS1_3repE0EEENS1_30default_config_static_selectorELNS0_4arch9wavefront6targetE1EEEvT1_
                                        ; -- End function
	.section	.AMDGPU.csdata,"",@progbits
; Kernel info:
; codeLenInByte = 3996
; NumSgprs: 50
; NumVgprs: 43
; NumAgprs: 0
; TotalNumVgprs: 43
; ScratchSize: 0
; MemoryBound: 0
; FloatMode: 240
; IeeeMode: 1
; LDSByteSize: 6344 bytes/workgroup (compile time only)
; SGPRBlocks: 6
; VGPRBlocks: 5
; NumSGPRsForWavesPerEU: 50
; NumVGPRsForWavesPerEU: 43
; AccumOffset: 44
; Occupancy: 8
; WaveLimiterHint : 1
; COMPUTE_PGM_RSRC2:SCRATCH_EN: 0
; COMPUTE_PGM_RSRC2:USER_SGPR: 6
; COMPUTE_PGM_RSRC2:TRAP_HANDLER: 0
; COMPUTE_PGM_RSRC2:TGID_X_EN: 1
; COMPUTE_PGM_RSRC2:TGID_Y_EN: 0
; COMPUTE_PGM_RSRC2:TGID_Z_EN: 0
; COMPUTE_PGM_RSRC2:TIDIG_COMP_CNT: 0
; COMPUTE_PGM_RSRC3_GFX90A:ACCUM_OFFSET: 10
; COMPUTE_PGM_RSRC3_GFX90A:TG_SPLIT: 0
	.section	.text._ZN7rocprim17ROCPRIM_400000_NS6detail17trampoline_kernelINS0_14default_configENS1_25partition_config_selectorILNS1_17partition_subalgoE3EyNS0_10empty_typeEbEEZZNS1_14partition_implILS5_3ELb0ES3_jN6thrust23THRUST_200600_302600_NS6detail15normal_iteratorINSA_7pointerIyNSA_11hip_rocprim3tagENSA_11use_defaultESG_EEEEPS6_SJ_NS0_5tupleIJPySJ_EEENSK_IJSJ_SJ_EEES6_PlJ7is_evenIyEEEE10hipError_tPvRmT3_T4_T5_T6_T7_T9_mT8_P12ihipStream_tbDpT10_ENKUlT_T0_E_clISt17integral_constantIbLb0EES1A_EEDaS15_S16_EUlS15_E_NS1_11comp_targetILNS1_3genE3ELNS1_11target_archE908ELNS1_3gpuE7ELNS1_3repE0EEENS1_30default_config_static_selectorELNS0_4arch9wavefront6targetE1EEEvT1_,"axG",@progbits,_ZN7rocprim17ROCPRIM_400000_NS6detail17trampoline_kernelINS0_14default_configENS1_25partition_config_selectorILNS1_17partition_subalgoE3EyNS0_10empty_typeEbEEZZNS1_14partition_implILS5_3ELb0ES3_jN6thrust23THRUST_200600_302600_NS6detail15normal_iteratorINSA_7pointerIyNSA_11hip_rocprim3tagENSA_11use_defaultESG_EEEEPS6_SJ_NS0_5tupleIJPySJ_EEENSK_IJSJ_SJ_EEES6_PlJ7is_evenIyEEEE10hipError_tPvRmT3_T4_T5_T6_T7_T9_mT8_P12ihipStream_tbDpT10_ENKUlT_T0_E_clISt17integral_constantIbLb0EES1A_EEDaS15_S16_EUlS15_E_NS1_11comp_targetILNS1_3genE3ELNS1_11target_archE908ELNS1_3gpuE7ELNS1_3repE0EEENS1_30default_config_static_selectorELNS0_4arch9wavefront6targetE1EEEvT1_,comdat
	.protected	_ZN7rocprim17ROCPRIM_400000_NS6detail17trampoline_kernelINS0_14default_configENS1_25partition_config_selectorILNS1_17partition_subalgoE3EyNS0_10empty_typeEbEEZZNS1_14partition_implILS5_3ELb0ES3_jN6thrust23THRUST_200600_302600_NS6detail15normal_iteratorINSA_7pointerIyNSA_11hip_rocprim3tagENSA_11use_defaultESG_EEEEPS6_SJ_NS0_5tupleIJPySJ_EEENSK_IJSJ_SJ_EEES6_PlJ7is_evenIyEEEE10hipError_tPvRmT3_T4_T5_T6_T7_T9_mT8_P12ihipStream_tbDpT10_ENKUlT_T0_E_clISt17integral_constantIbLb0EES1A_EEDaS15_S16_EUlS15_E_NS1_11comp_targetILNS1_3genE3ELNS1_11target_archE908ELNS1_3gpuE7ELNS1_3repE0EEENS1_30default_config_static_selectorELNS0_4arch9wavefront6targetE1EEEvT1_ ; -- Begin function _ZN7rocprim17ROCPRIM_400000_NS6detail17trampoline_kernelINS0_14default_configENS1_25partition_config_selectorILNS1_17partition_subalgoE3EyNS0_10empty_typeEbEEZZNS1_14partition_implILS5_3ELb0ES3_jN6thrust23THRUST_200600_302600_NS6detail15normal_iteratorINSA_7pointerIyNSA_11hip_rocprim3tagENSA_11use_defaultESG_EEEEPS6_SJ_NS0_5tupleIJPySJ_EEENSK_IJSJ_SJ_EEES6_PlJ7is_evenIyEEEE10hipError_tPvRmT3_T4_T5_T6_T7_T9_mT8_P12ihipStream_tbDpT10_ENKUlT_T0_E_clISt17integral_constantIbLb0EES1A_EEDaS15_S16_EUlS15_E_NS1_11comp_targetILNS1_3genE3ELNS1_11target_archE908ELNS1_3gpuE7ELNS1_3repE0EEENS1_30default_config_static_selectorELNS0_4arch9wavefront6targetE1EEEvT1_
	.globl	_ZN7rocprim17ROCPRIM_400000_NS6detail17trampoline_kernelINS0_14default_configENS1_25partition_config_selectorILNS1_17partition_subalgoE3EyNS0_10empty_typeEbEEZZNS1_14partition_implILS5_3ELb0ES3_jN6thrust23THRUST_200600_302600_NS6detail15normal_iteratorINSA_7pointerIyNSA_11hip_rocprim3tagENSA_11use_defaultESG_EEEEPS6_SJ_NS0_5tupleIJPySJ_EEENSK_IJSJ_SJ_EEES6_PlJ7is_evenIyEEEE10hipError_tPvRmT3_T4_T5_T6_T7_T9_mT8_P12ihipStream_tbDpT10_ENKUlT_T0_E_clISt17integral_constantIbLb0EES1A_EEDaS15_S16_EUlS15_E_NS1_11comp_targetILNS1_3genE3ELNS1_11target_archE908ELNS1_3gpuE7ELNS1_3repE0EEENS1_30default_config_static_selectorELNS0_4arch9wavefront6targetE1EEEvT1_
	.p2align	8
	.type	_ZN7rocprim17ROCPRIM_400000_NS6detail17trampoline_kernelINS0_14default_configENS1_25partition_config_selectorILNS1_17partition_subalgoE3EyNS0_10empty_typeEbEEZZNS1_14partition_implILS5_3ELb0ES3_jN6thrust23THRUST_200600_302600_NS6detail15normal_iteratorINSA_7pointerIyNSA_11hip_rocprim3tagENSA_11use_defaultESG_EEEEPS6_SJ_NS0_5tupleIJPySJ_EEENSK_IJSJ_SJ_EEES6_PlJ7is_evenIyEEEE10hipError_tPvRmT3_T4_T5_T6_T7_T9_mT8_P12ihipStream_tbDpT10_ENKUlT_T0_E_clISt17integral_constantIbLb0EES1A_EEDaS15_S16_EUlS15_E_NS1_11comp_targetILNS1_3genE3ELNS1_11target_archE908ELNS1_3gpuE7ELNS1_3repE0EEENS1_30default_config_static_selectorELNS0_4arch9wavefront6targetE1EEEvT1_,@function
_ZN7rocprim17ROCPRIM_400000_NS6detail17trampoline_kernelINS0_14default_configENS1_25partition_config_selectorILNS1_17partition_subalgoE3EyNS0_10empty_typeEbEEZZNS1_14partition_implILS5_3ELb0ES3_jN6thrust23THRUST_200600_302600_NS6detail15normal_iteratorINSA_7pointerIyNSA_11hip_rocprim3tagENSA_11use_defaultESG_EEEEPS6_SJ_NS0_5tupleIJPySJ_EEENSK_IJSJ_SJ_EEES6_PlJ7is_evenIyEEEE10hipError_tPvRmT3_T4_T5_T6_T7_T9_mT8_P12ihipStream_tbDpT10_ENKUlT_T0_E_clISt17integral_constantIbLb0EES1A_EEDaS15_S16_EUlS15_E_NS1_11comp_targetILNS1_3genE3ELNS1_11target_archE908ELNS1_3gpuE7ELNS1_3repE0EEENS1_30default_config_static_selectorELNS0_4arch9wavefront6targetE1EEEvT1_: ; @_ZN7rocprim17ROCPRIM_400000_NS6detail17trampoline_kernelINS0_14default_configENS1_25partition_config_selectorILNS1_17partition_subalgoE3EyNS0_10empty_typeEbEEZZNS1_14partition_implILS5_3ELb0ES3_jN6thrust23THRUST_200600_302600_NS6detail15normal_iteratorINSA_7pointerIyNSA_11hip_rocprim3tagENSA_11use_defaultESG_EEEEPS6_SJ_NS0_5tupleIJPySJ_EEENSK_IJSJ_SJ_EEES6_PlJ7is_evenIyEEEE10hipError_tPvRmT3_T4_T5_T6_T7_T9_mT8_P12ihipStream_tbDpT10_ENKUlT_T0_E_clISt17integral_constantIbLb0EES1A_EEDaS15_S16_EUlS15_E_NS1_11comp_targetILNS1_3genE3ELNS1_11target_archE908ELNS1_3gpuE7ELNS1_3repE0EEENS1_30default_config_static_selectorELNS0_4arch9wavefront6targetE1EEEvT1_
; %bb.0:
	.section	.rodata,"a",@progbits
	.p2align	6, 0x0
	.amdhsa_kernel _ZN7rocprim17ROCPRIM_400000_NS6detail17trampoline_kernelINS0_14default_configENS1_25partition_config_selectorILNS1_17partition_subalgoE3EyNS0_10empty_typeEbEEZZNS1_14partition_implILS5_3ELb0ES3_jN6thrust23THRUST_200600_302600_NS6detail15normal_iteratorINSA_7pointerIyNSA_11hip_rocprim3tagENSA_11use_defaultESG_EEEEPS6_SJ_NS0_5tupleIJPySJ_EEENSK_IJSJ_SJ_EEES6_PlJ7is_evenIyEEEE10hipError_tPvRmT3_T4_T5_T6_T7_T9_mT8_P12ihipStream_tbDpT10_ENKUlT_T0_E_clISt17integral_constantIbLb0EES1A_EEDaS15_S16_EUlS15_E_NS1_11comp_targetILNS1_3genE3ELNS1_11target_archE908ELNS1_3gpuE7ELNS1_3repE0EEENS1_30default_config_static_selectorELNS0_4arch9wavefront6targetE1EEEvT1_
		.amdhsa_group_segment_fixed_size 0
		.amdhsa_private_segment_fixed_size 0
		.amdhsa_kernarg_size 120
		.amdhsa_user_sgpr_count 6
		.amdhsa_user_sgpr_private_segment_buffer 1
		.amdhsa_user_sgpr_dispatch_ptr 0
		.amdhsa_user_sgpr_queue_ptr 0
		.amdhsa_user_sgpr_kernarg_segment_ptr 1
		.amdhsa_user_sgpr_dispatch_id 0
		.amdhsa_user_sgpr_flat_scratch_init 0
		.amdhsa_user_sgpr_kernarg_preload_length 0
		.amdhsa_user_sgpr_kernarg_preload_offset 0
		.amdhsa_user_sgpr_private_segment_size 0
		.amdhsa_uses_dynamic_stack 0
		.amdhsa_system_sgpr_private_segment_wavefront_offset 0
		.amdhsa_system_sgpr_workgroup_id_x 1
		.amdhsa_system_sgpr_workgroup_id_y 0
		.amdhsa_system_sgpr_workgroup_id_z 0
		.amdhsa_system_sgpr_workgroup_info 0
		.amdhsa_system_vgpr_workitem_id 0
		.amdhsa_next_free_vgpr 1
		.amdhsa_next_free_sgpr 0
		.amdhsa_accum_offset 4
		.amdhsa_reserve_vcc 0
		.amdhsa_reserve_flat_scratch 0
		.amdhsa_float_round_mode_32 0
		.amdhsa_float_round_mode_16_64 0
		.amdhsa_float_denorm_mode_32 3
		.amdhsa_float_denorm_mode_16_64 3
		.amdhsa_dx10_clamp 1
		.amdhsa_ieee_mode 1
		.amdhsa_fp16_overflow 0
		.amdhsa_tg_split 0
		.amdhsa_exception_fp_ieee_invalid_op 0
		.amdhsa_exception_fp_denorm_src 0
		.amdhsa_exception_fp_ieee_div_zero 0
		.amdhsa_exception_fp_ieee_overflow 0
		.amdhsa_exception_fp_ieee_underflow 0
		.amdhsa_exception_fp_ieee_inexact 0
		.amdhsa_exception_int_div_zero 0
	.end_amdhsa_kernel
	.section	.text._ZN7rocprim17ROCPRIM_400000_NS6detail17trampoline_kernelINS0_14default_configENS1_25partition_config_selectorILNS1_17partition_subalgoE3EyNS0_10empty_typeEbEEZZNS1_14partition_implILS5_3ELb0ES3_jN6thrust23THRUST_200600_302600_NS6detail15normal_iteratorINSA_7pointerIyNSA_11hip_rocprim3tagENSA_11use_defaultESG_EEEEPS6_SJ_NS0_5tupleIJPySJ_EEENSK_IJSJ_SJ_EEES6_PlJ7is_evenIyEEEE10hipError_tPvRmT3_T4_T5_T6_T7_T9_mT8_P12ihipStream_tbDpT10_ENKUlT_T0_E_clISt17integral_constantIbLb0EES1A_EEDaS15_S16_EUlS15_E_NS1_11comp_targetILNS1_3genE3ELNS1_11target_archE908ELNS1_3gpuE7ELNS1_3repE0EEENS1_30default_config_static_selectorELNS0_4arch9wavefront6targetE1EEEvT1_,"axG",@progbits,_ZN7rocprim17ROCPRIM_400000_NS6detail17trampoline_kernelINS0_14default_configENS1_25partition_config_selectorILNS1_17partition_subalgoE3EyNS0_10empty_typeEbEEZZNS1_14partition_implILS5_3ELb0ES3_jN6thrust23THRUST_200600_302600_NS6detail15normal_iteratorINSA_7pointerIyNSA_11hip_rocprim3tagENSA_11use_defaultESG_EEEEPS6_SJ_NS0_5tupleIJPySJ_EEENSK_IJSJ_SJ_EEES6_PlJ7is_evenIyEEEE10hipError_tPvRmT3_T4_T5_T6_T7_T9_mT8_P12ihipStream_tbDpT10_ENKUlT_T0_E_clISt17integral_constantIbLb0EES1A_EEDaS15_S16_EUlS15_E_NS1_11comp_targetILNS1_3genE3ELNS1_11target_archE908ELNS1_3gpuE7ELNS1_3repE0EEENS1_30default_config_static_selectorELNS0_4arch9wavefront6targetE1EEEvT1_,comdat
.Lfunc_end677:
	.size	_ZN7rocprim17ROCPRIM_400000_NS6detail17trampoline_kernelINS0_14default_configENS1_25partition_config_selectorILNS1_17partition_subalgoE3EyNS0_10empty_typeEbEEZZNS1_14partition_implILS5_3ELb0ES3_jN6thrust23THRUST_200600_302600_NS6detail15normal_iteratorINSA_7pointerIyNSA_11hip_rocprim3tagENSA_11use_defaultESG_EEEEPS6_SJ_NS0_5tupleIJPySJ_EEENSK_IJSJ_SJ_EEES6_PlJ7is_evenIyEEEE10hipError_tPvRmT3_T4_T5_T6_T7_T9_mT8_P12ihipStream_tbDpT10_ENKUlT_T0_E_clISt17integral_constantIbLb0EES1A_EEDaS15_S16_EUlS15_E_NS1_11comp_targetILNS1_3genE3ELNS1_11target_archE908ELNS1_3gpuE7ELNS1_3repE0EEENS1_30default_config_static_selectorELNS0_4arch9wavefront6targetE1EEEvT1_, .Lfunc_end677-_ZN7rocprim17ROCPRIM_400000_NS6detail17trampoline_kernelINS0_14default_configENS1_25partition_config_selectorILNS1_17partition_subalgoE3EyNS0_10empty_typeEbEEZZNS1_14partition_implILS5_3ELb0ES3_jN6thrust23THRUST_200600_302600_NS6detail15normal_iteratorINSA_7pointerIyNSA_11hip_rocprim3tagENSA_11use_defaultESG_EEEEPS6_SJ_NS0_5tupleIJPySJ_EEENSK_IJSJ_SJ_EEES6_PlJ7is_evenIyEEEE10hipError_tPvRmT3_T4_T5_T6_T7_T9_mT8_P12ihipStream_tbDpT10_ENKUlT_T0_E_clISt17integral_constantIbLb0EES1A_EEDaS15_S16_EUlS15_E_NS1_11comp_targetILNS1_3genE3ELNS1_11target_archE908ELNS1_3gpuE7ELNS1_3repE0EEENS1_30default_config_static_selectorELNS0_4arch9wavefront6targetE1EEEvT1_
                                        ; -- End function
	.section	.AMDGPU.csdata,"",@progbits
; Kernel info:
; codeLenInByte = 0
; NumSgprs: 4
; NumVgprs: 0
; NumAgprs: 0
; TotalNumVgprs: 0
; ScratchSize: 0
; MemoryBound: 0
; FloatMode: 240
; IeeeMode: 1
; LDSByteSize: 0 bytes/workgroup (compile time only)
; SGPRBlocks: 0
; VGPRBlocks: 0
; NumSGPRsForWavesPerEU: 4
; NumVGPRsForWavesPerEU: 1
; AccumOffset: 4
; Occupancy: 8
; WaveLimiterHint : 0
; COMPUTE_PGM_RSRC2:SCRATCH_EN: 0
; COMPUTE_PGM_RSRC2:USER_SGPR: 6
; COMPUTE_PGM_RSRC2:TRAP_HANDLER: 0
; COMPUTE_PGM_RSRC2:TGID_X_EN: 1
; COMPUTE_PGM_RSRC2:TGID_Y_EN: 0
; COMPUTE_PGM_RSRC2:TGID_Z_EN: 0
; COMPUTE_PGM_RSRC2:TIDIG_COMP_CNT: 0
; COMPUTE_PGM_RSRC3_GFX90A:ACCUM_OFFSET: 0
; COMPUTE_PGM_RSRC3_GFX90A:TG_SPLIT: 0
	.section	.text._ZN7rocprim17ROCPRIM_400000_NS6detail17trampoline_kernelINS0_14default_configENS1_25partition_config_selectorILNS1_17partition_subalgoE3EyNS0_10empty_typeEbEEZZNS1_14partition_implILS5_3ELb0ES3_jN6thrust23THRUST_200600_302600_NS6detail15normal_iteratorINSA_7pointerIyNSA_11hip_rocprim3tagENSA_11use_defaultESG_EEEEPS6_SJ_NS0_5tupleIJPySJ_EEENSK_IJSJ_SJ_EEES6_PlJ7is_evenIyEEEE10hipError_tPvRmT3_T4_T5_T6_T7_T9_mT8_P12ihipStream_tbDpT10_ENKUlT_T0_E_clISt17integral_constantIbLb0EES1A_EEDaS15_S16_EUlS15_E_NS1_11comp_targetILNS1_3genE2ELNS1_11target_archE906ELNS1_3gpuE6ELNS1_3repE0EEENS1_30default_config_static_selectorELNS0_4arch9wavefront6targetE1EEEvT1_,"axG",@progbits,_ZN7rocprim17ROCPRIM_400000_NS6detail17trampoline_kernelINS0_14default_configENS1_25partition_config_selectorILNS1_17partition_subalgoE3EyNS0_10empty_typeEbEEZZNS1_14partition_implILS5_3ELb0ES3_jN6thrust23THRUST_200600_302600_NS6detail15normal_iteratorINSA_7pointerIyNSA_11hip_rocprim3tagENSA_11use_defaultESG_EEEEPS6_SJ_NS0_5tupleIJPySJ_EEENSK_IJSJ_SJ_EEES6_PlJ7is_evenIyEEEE10hipError_tPvRmT3_T4_T5_T6_T7_T9_mT8_P12ihipStream_tbDpT10_ENKUlT_T0_E_clISt17integral_constantIbLb0EES1A_EEDaS15_S16_EUlS15_E_NS1_11comp_targetILNS1_3genE2ELNS1_11target_archE906ELNS1_3gpuE6ELNS1_3repE0EEENS1_30default_config_static_selectorELNS0_4arch9wavefront6targetE1EEEvT1_,comdat
	.protected	_ZN7rocprim17ROCPRIM_400000_NS6detail17trampoline_kernelINS0_14default_configENS1_25partition_config_selectorILNS1_17partition_subalgoE3EyNS0_10empty_typeEbEEZZNS1_14partition_implILS5_3ELb0ES3_jN6thrust23THRUST_200600_302600_NS6detail15normal_iteratorINSA_7pointerIyNSA_11hip_rocprim3tagENSA_11use_defaultESG_EEEEPS6_SJ_NS0_5tupleIJPySJ_EEENSK_IJSJ_SJ_EEES6_PlJ7is_evenIyEEEE10hipError_tPvRmT3_T4_T5_T6_T7_T9_mT8_P12ihipStream_tbDpT10_ENKUlT_T0_E_clISt17integral_constantIbLb0EES1A_EEDaS15_S16_EUlS15_E_NS1_11comp_targetILNS1_3genE2ELNS1_11target_archE906ELNS1_3gpuE6ELNS1_3repE0EEENS1_30default_config_static_selectorELNS0_4arch9wavefront6targetE1EEEvT1_ ; -- Begin function _ZN7rocprim17ROCPRIM_400000_NS6detail17trampoline_kernelINS0_14default_configENS1_25partition_config_selectorILNS1_17partition_subalgoE3EyNS0_10empty_typeEbEEZZNS1_14partition_implILS5_3ELb0ES3_jN6thrust23THRUST_200600_302600_NS6detail15normal_iteratorINSA_7pointerIyNSA_11hip_rocprim3tagENSA_11use_defaultESG_EEEEPS6_SJ_NS0_5tupleIJPySJ_EEENSK_IJSJ_SJ_EEES6_PlJ7is_evenIyEEEE10hipError_tPvRmT3_T4_T5_T6_T7_T9_mT8_P12ihipStream_tbDpT10_ENKUlT_T0_E_clISt17integral_constantIbLb0EES1A_EEDaS15_S16_EUlS15_E_NS1_11comp_targetILNS1_3genE2ELNS1_11target_archE906ELNS1_3gpuE6ELNS1_3repE0EEENS1_30default_config_static_selectorELNS0_4arch9wavefront6targetE1EEEvT1_
	.globl	_ZN7rocprim17ROCPRIM_400000_NS6detail17trampoline_kernelINS0_14default_configENS1_25partition_config_selectorILNS1_17partition_subalgoE3EyNS0_10empty_typeEbEEZZNS1_14partition_implILS5_3ELb0ES3_jN6thrust23THRUST_200600_302600_NS6detail15normal_iteratorINSA_7pointerIyNSA_11hip_rocprim3tagENSA_11use_defaultESG_EEEEPS6_SJ_NS0_5tupleIJPySJ_EEENSK_IJSJ_SJ_EEES6_PlJ7is_evenIyEEEE10hipError_tPvRmT3_T4_T5_T6_T7_T9_mT8_P12ihipStream_tbDpT10_ENKUlT_T0_E_clISt17integral_constantIbLb0EES1A_EEDaS15_S16_EUlS15_E_NS1_11comp_targetILNS1_3genE2ELNS1_11target_archE906ELNS1_3gpuE6ELNS1_3repE0EEENS1_30default_config_static_selectorELNS0_4arch9wavefront6targetE1EEEvT1_
	.p2align	8
	.type	_ZN7rocprim17ROCPRIM_400000_NS6detail17trampoline_kernelINS0_14default_configENS1_25partition_config_selectorILNS1_17partition_subalgoE3EyNS0_10empty_typeEbEEZZNS1_14partition_implILS5_3ELb0ES3_jN6thrust23THRUST_200600_302600_NS6detail15normal_iteratorINSA_7pointerIyNSA_11hip_rocprim3tagENSA_11use_defaultESG_EEEEPS6_SJ_NS0_5tupleIJPySJ_EEENSK_IJSJ_SJ_EEES6_PlJ7is_evenIyEEEE10hipError_tPvRmT3_T4_T5_T6_T7_T9_mT8_P12ihipStream_tbDpT10_ENKUlT_T0_E_clISt17integral_constantIbLb0EES1A_EEDaS15_S16_EUlS15_E_NS1_11comp_targetILNS1_3genE2ELNS1_11target_archE906ELNS1_3gpuE6ELNS1_3repE0EEENS1_30default_config_static_selectorELNS0_4arch9wavefront6targetE1EEEvT1_,@function
_ZN7rocprim17ROCPRIM_400000_NS6detail17trampoline_kernelINS0_14default_configENS1_25partition_config_selectorILNS1_17partition_subalgoE3EyNS0_10empty_typeEbEEZZNS1_14partition_implILS5_3ELb0ES3_jN6thrust23THRUST_200600_302600_NS6detail15normal_iteratorINSA_7pointerIyNSA_11hip_rocprim3tagENSA_11use_defaultESG_EEEEPS6_SJ_NS0_5tupleIJPySJ_EEENSK_IJSJ_SJ_EEES6_PlJ7is_evenIyEEEE10hipError_tPvRmT3_T4_T5_T6_T7_T9_mT8_P12ihipStream_tbDpT10_ENKUlT_T0_E_clISt17integral_constantIbLb0EES1A_EEDaS15_S16_EUlS15_E_NS1_11comp_targetILNS1_3genE2ELNS1_11target_archE906ELNS1_3gpuE6ELNS1_3repE0EEENS1_30default_config_static_selectorELNS0_4arch9wavefront6targetE1EEEvT1_: ; @_ZN7rocprim17ROCPRIM_400000_NS6detail17trampoline_kernelINS0_14default_configENS1_25partition_config_selectorILNS1_17partition_subalgoE3EyNS0_10empty_typeEbEEZZNS1_14partition_implILS5_3ELb0ES3_jN6thrust23THRUST_200600_302600_NS6detail15normal_iteratorINSA_7pointerIyNSA_11hip_rocprim3tagENSA_11use_defaultESG_EEEEPS6_SJ_NS0_5tupleIJPySJ_EEENSK_IJSJ_SJ_EEES6_PlJ7is_evenIyEEEE10hipError_tPvRmT3_T4_T5_T6_T7_T9_mT8_P12ihipStream_tbDpT10_ENKUlT_T0_E_clISt17integral_constantIbLb0EES1A_EEDaS15_S16_EUlS15_E_NS1_11comp_targetILNS1_3genE2ELNS1_11target_archE906ELNS1_3gpuE6ELNS1_3repE0EEENS1_30default_config_static_selectorELNS0_4arch9wavefront6targetE1EEEvT1_
; %bb.0:
	.section	.rodata,"a",@progbits
	.p2align	6, 0x0
	.amdhsa_kernel _ZN7rocprim17ROCPRIM_400000_NS6detail17trampoline_kernelINS0_14default_configENS1_25partition_config_selectorILNS1_17partition_subalgoE3EyNS0_10empty_typeEbEEZZNS1_14partition_implILS5_3ELb0ES3_jN6thrust23THRUST_200600_302600_NS6detail15normal_iteratorINSA_7pointerIyNSA_11hip_rocprim3tagENSA_11use_defaultESG_EEEEPS6_SJ_NS0_5tupleIJPySJ_EEENSK_IJSJ_SJ_EEES6_PlJ7is_evenIyEEEE10hipError_tPvRmT3_T4_T5_T6_T7_T9_mT8_P12ihipStream_tbDpT10_ENKUlT_T0_E_clISt17integral_constantIbLb0EES1A_EEDaS15_S16_EUlS15_E_NS1_11comp_targetILNS1_3genE2ELNS1_11target_archE906ELNS1_3gpuE6ELNS1_3repE0EEENS1_30default_config_static_selectorELNS0_4arch9wavefront6targetE1EEEvT1_
		.amdhsa_group_segment_fixed_size 0
		.amdhsa_private_segment_fixed_size 0
		.amdhsa_kernarg_size 120
		.amdhsa_user_sgpr_count 6
		.amdhsa_user_sgpr_private_segment_buffer 1
		.amdhsa_user_sgpr_dispatch_ptr 0
		.amdhsa_user_sgpr_queue_ptr 0
		.amdhsa_user_sgpr_kernarg_segment_ptr 1
		.amdhsa_user_sgpr_dispatch_id 0
		.amdhsa_user_sgpr_flat_scratch_init 0
		.amdhsa_user_sgpr_kernarg_preload_length 0
		.amdhsa_user_sgpr_kernarg_preload_offset 0
		.amdhsa_user_sgpr_private_segment_size 0
		.amdhsa_uses_dynamic_stack 0
		.amdhsa_system_sgpr_private_segment_wavefront_offset 0
		.amdhsa_system_sgpr_workgroup_id_x 1
		.amdhsa_system_sgpr_workgroup_id_y 0
		.amdhsa_system_sgpr_workgroup_id_z 0
		.amdhsa_system_sgpr_workgroup_info 0
		.amdhsa_system_vgpr_workitem_id 0
		.amdhsa_next_free_vgpr 1
		.amdhsa_next_free_sgpr 0
		.amdhsa_accum_offset 4
		.amdhsa_reserve_vcc 0
		.amdhsa_reserve_flat_scratch 0
		.amdhsa_float_round_mode_32 0
		.amdhsa_float_round_mode_16_64 0
		.amdhsa_float_denorm_mode_32 3
		.amdhsa_float_denorm_mode_16_64 3
		.amdhsa_dx10_clamp 1
		.amdhsa_ieee_mode 1
		.amdhsa_fp16_overflow 0
		.amdhsa_tg_split 0
		.amdhsa_exception_fp_ieee_invalid_op 0
		.amdhsa_exception_fp_denorm_src 0
		.amdhsa_exception_fp_ieee_div_zero 0
		.amdhsa_exception_fp_ieee_overflow 0
		.amdhsa_exception_fp_ieee_underflow 0
		.amdhsa_exception_fp_ieee_inexact 0
		.amdhsa_exception_int_div_zero 0
	.end_amdhsa_kernel
	.section	.text._ZN7rocprim17ROCPRIM_400000_NS6detail17trampoline_kernelINS0_14default_configENS1_25partition_config_selectorILNS1_17partition_subalgoE3EyNS0_10empty_typeEbEEZZNS1_14partition_implILS5_3ELb0ES3_jN6thrust23THRUST_200600_302600_NS6detail15normal_iteratorINSA_7pointerIyNSA_11hip_rocprim3tagENSA_11use_defaultESG_EEEEPS6_SJ_NS0_5tupleIJPySJ_EEENSK_IJSJ_SJ_EEES6_PlJ7is_evenIyEEEE10hipError_tPvRmT3_T4_T5_T6_T7_T9_mT8_P12ihipStream_tbDpT10_ENKUlT_T0_E_clISt17integral_constantIbLb0EES1A_EEDaS15_S16_EUlS15_E_NS1_11comp_targetILNS1_3genE2ELNS1_11target_archE906ELNS1_3gpuE6ELNS1_3repE0EEENS1_30default_config_static_selectorELNS0_4arch9wavefront6targetE1EEEvT1_,"axG",@progbits,_ZN7rocprim17ROCPRIM_400000_NS6detail17trampoline_kernelINS0_14default_configENS1_25partition_config_selectorILNS1_17partition_subalgoE3EyNS0_10empty_typeEbEEZZNS1_14partition_implILS5_3ELb0ES3_jN6thrust23THRUST_200600_302600_NS6detail15normal_iteratorINSA_7pointerIyNSA_11hip_rocprim3tagENSA_11use_defaultESG_EEEEPS6_SJ_NS0_5tupleIJPySJ_EEENSK_IJSJ_SJ_EEES6_PlJ7is_evenIyEEEE10hipError_tPvRmT3_T4_T5_T6_T7_T9_mT8_P12ihipStream_tbDpT10_ENKUlT_T0_E_clISt17integral_constantIbLb0EES1A_EEDaS15_S16_EUlS15_E_NS1_11comp_targetILNS1_3genE2ELNS1_11target_archE906ELNS1_3gpuE6ELNS1_3repE0EEENS1_30default_config_static_selectorELNS0_4arch9wavefront6targetE1EEEvT1_,comdat
.Lfunc_end678:
	.size	_ZN7rocprim17ROCPRIM_400000_NS6detail17trampoline_kernelINS0_14default_configENS1_25partition_config_selectorILNS1_17partition_subalgoE3EyNS0_10empty_typeEbEEZZNS1_14partition_implILS5_3ELb0ES3_jN6thrust23THRUST_200600_302600_NS6detail15normal_iteratorINSA_7pointerIyNSA_11hip_rocprim3tagENSA_11use_defaultESG_EEEEPS6_SJ_NS0_5tupleIJPySJ_EEENSK_IJSJ_SJ_EEES6_PlJ7is_evenIyEEEE10hipError_tPvRmT3_T4_T5_T6_T7_T9_mT8_P12ihipStream_tbDpT10_ENKUlT_T0_E_clISt17integral_constantIbLb0EES1A_EEDaS15_S16_EUlS15_E_NS1_11comp_targetILNS1_3genE2ELNS1_11target_archE906ELNS1_3gpuE6ELNS1_3repE0EEENS1_30default_config_static_selectorELNS0_4arch9wavefront6targetE1EEEvT1_, .Lfunc_end678-_ZN7rocprim17ROCPRIM_400000_NS6detail17trampoline_kernelINS0_14default_configENS1_25partition_config_selectorILNS1_17partition_subalgoE3EyNS0_10empty_typeEbEEZZNS1_14partition_implILS5_3ELb0ES3_jN6thrust23THRUST_200600_302600_NS6detail15normal_iteratorINSA_7pointerIyNSA_11hip_rocprim3tagENSA_11use_defaultESG_EEEEPS6_SJ_NS0_5tupleIJPySJ_EEENSK_IJSJ_SJ_EEES6_PlJ7is_evenIyEEEE10hipError_tPvRmT3_T4_T5_T6_T7_T9_mT8_P12ihipStream_tbDpT10_ENKUlT_T0_E_clISt17integral_constantIbLb0EES1A_EEDaS15_S16_EUlS15_E_NS1_11comp_targetILNS1_3genE2ELNS1_11target_archE906ELNS1_3gpuE6ELNS1_3repE0EEENS1_30default_config_static_selectorELNS0_4arch9wavefront6targetE1EEEvT1_
                                        ; -- End function
	.section	.AMDGPU.csdata,"",@progbits
; Kernel info:
; codeLenInByte = 0
; NumSgprs: 4
; NumVgprs: 0
; NumAgprs: 0
; TotalNumVgprs: 0
; ScratchSize: 0
; MemoryBound: 0
; FloatMode: 240
; IeeeMode: 1
; LDSByteSize: 0 bytes/workgroup (compile time only)
; SGPRBlocks: 0
; VGPRBlocks: 0
; NumSGPRsForWavesPerEU: 4
; NumVGPRsForWavesPerEU: 1
; AccumOffset: 4
; Occupancy: 8
; WaveLimiterHint : 0
; COMPUTE_PGM_RSRC2:SCRATCH_EN: 0
; COMPUTE_PGM_RSRC2:USER_SGPR: 6
; COMPUTE_PGM_RSRC2:TRAP_HANDLER: 0
; COMPUTE_PGM_RSRC2:TGID_X_EN: 1
; COMPUTE_PGM_RSRC2:TGID_Y_EN: 0
; COMPUTE_PGM_RSRC2:TGID_Z_EN: 0
; COMPUTE_PGM_RSRC2:TIDIG_COMP_CNT: 0
; COMPUTE_PGM_RSRC3_GFX90A:ACCUM_OFFSET: 0
; COMPUTE_PGM_RSRC3_GFX90A:TG_SPLIT: 0
	.section	.text._ZN7rocprim17ROCPRIM_400000_NS6detail17trampoline_kernelINS0_14default_configENS1_25partition_config_selectorILNS1_17partition_subalgoE3EyNS0_10empty_typeEbEEZZNS1_14partition_implILS5_3ELb0ES3_jN6thrust23THRUST_200600_302600_NS6detail15normal_iteratorINSA_7pointerIyNSA_11hip_rocprim3tagENSA_11use_defaultESG_EEEEPS6_SJ_NS0_5tupleIJPySJ_EEENSK_IJSJ_SJ_EEES6_PlJ7is_evenIyEEEE10hipError_tPvRmT3_T4_T5_T6_T7_T9_mT8_P12ihipStream_tbDpT10_ENKUlT_T0_E_clISt17integral_constantIbLb0EES1A_EEDaS15_S16_EUlS15_E_NS1_11comp_targetILNS1_3genE10ELNS1_11target_archE1200ELNS1_3gpuE4ELNS1_3repE0EEENS1_30default_config_static_selectorELNS0_4arch9wavefront6targetE1EEEvT1_,"axG",@progbits,_ZN7rocprim17ROCPRIM_400000_NS6detail17trampoline_kernelINS0_14default_configENS1_25partition_config_selectorILNS1_17partition_subalgoE3EyNS0_10empty_typeEbEEZZNS1_14partition_implILS5_3ELb0ES3_jN6thrust23THRUST_200600_302600_NS6detail15normal_iteratorINSA_7pointerIyNSA_11hip_rocprim3tagENSA_11use_defaultESG_EEEEPS6_SJ_NS0_5tupleIJPySJ_EEENSK_IJSJ_SJ_EEES6_PlJ7is_evenIyEEEE10hipError_tPvRmT3_T4_T5_T6_T7_T9_mT8_P12ihipStream_tbDpT10_ENKUlT_T0_E_clISt17integral_constantIbLb0EES1A_EEDaS15_S16_EUlS15_E_NS1_11comp_targetILNS1_3genE10ELNS1_11target_archE1200ELNS1_3gpuE4ELNS1_3repE0EEENS1_30default_config_static_selectorELNS0_4arch9wavefront6targetE1EEEvT1_,comdat
	.protected	_ZN7rocprim17ROCPRIM_400000_NS6detail17trampoline_kernelINS0_14default_configENS1_25partition_config_selectorILNS1_17partition_subalgoE3EyNS0_10empty_typeEbEEZZNS1_14partition_implILS5_3ELb0ES3_jN6thrust23THRUST_200600_302600_NS6detail15normal_iteratorINSA_7pointerIyNSA_11hip_rocprim3tagENSA_11use_defaultESG_EEEEPS6_SJ_NS0_5tupleIJPySJ_EEENSK_IJSJ_SJ_EEES6_PlJ7is_evenIyEEEE10hipError_tPvRmT3_T4_T5_T6_T7_T9_mT8_P12ihipStream_tbDpT10_ENKUlT_T0_E_clISt17integral_constantIbLb0EES1A_EEDaS15_S16_EUlS15_E_NS1_11comp_targetILNS1_3genE10ELNS1_11target_archE1200ELNS1_3gpuE4ELNS1_3repE0EEENS1_30default_config_static_selectorELNS0_4arch9wavefront6targetE1EEEvT1_ ; -- Begin function _ZN7rocprim17ROCPRIM_400000_NS6detail17trampoline_kernelINS0_14default_configENS1_25partition_config_selectorILNS1_17partition_subalgoE3EyNS0_10empty_typeEbEEZZNS1_14partition_implILS5_3ELb0ES3_jN6thrust23THRUST_200600_302600_NS6detail15normal_iteratorINSA_7pointerIyNSA_11hip_rocprim3tagENSA_11use_defaultESG_EEEEPS6_SJ_NS0_5tupleIJPySJ_EEENSK_IJSJ_SJ_EEES6_PlJ7is_evenIyEEEE10hipError_tPvRmT3_T4_T5_T6_T7_T9_mT8_P12ihipStream_tbDpT10_ENKUlT_T0_E_clISt17integral_constantIbLb0EES1A_EEDaS15_S16_EUlS15_E_NS1_11comp_targetILNS1_3genE10ELNS1_11target_archE1200ELNS1_3gpuE4ELNS1_3repE0EEENS1_30default_config_static_selectorELNS0_4arch9wavefront6targetE1EEEvT1_
	.globl	_ZN7rocprim17ROCPRIM_400000_NS6detail17trampoline_kernelINS0_14default_configENS1_25partition_config_selectorILNS1_17partition_subalgoE3EyNS0_10empty_typeEbEEZZNS1_14partition_implILS5_3ELb0ES3_jN6thrust23THRUST_200600_302600_NS6detail15normal_iteratorINSA_7pointerIyNSA_11hip_rocprim3tagENSA_11use_defaultESG_EEEEPS6_SJ_NS0_5tupleIJPySJ_EEENSK_IJSJ_SJ_EEES6_PlJ7is_evenIyEEEE10hipError_tPvRmT3_T4_T5_T6_T7_T9_mT8_P12ihipStream_tbDpT10_ENKUlT_T0_E_clISt17integral_constantIbLb0EES1A_EEDaS15_S16_EUlS15_E_NS1_11comp_targetILNS1_3genE10ELNS1_11target_archE1200ELNS1_3gpuE4ELNS1_3repE0EEENS1_30default_config_static_selectorELNS0_4arch9wavefront6targetE1EEEvT1_
	.p2align	8
	.type	_ZN7rocprim17ROCPRIM_400000_NS6detail17trampoline_kernelINS0_14default_configENS1_25partition_config_selectorILNS1_17partition_subalgoE3EyNS0_10empty_typeEbEEZZNS1_14partition_implILS5_3ELb0ES3_jN6thrust23THRUST_200600_302600_NS6detail15normal_iteratorINSA_7pointerIyNSA_11hip_rocprim3tagENSA_11use_defaultESG_EEEEPS6_SJ_NS0_5tupleIJPySJ_EEENSK_IJSJ_SJ_EEES6_PlJ7is_evenIyEEEE10hipError_tPvRmT3_T4_T5_T6_T7_T9_mT8_P12ihipStream_tbDpT10_ENKUlT_T0_E_clISt17integral_constantIbLb0EES1A_EEDaS15_S16_EUlS15_E_NS1_11comp_targetILNS1_3genE10ELNS1_11target_archE1200ELNS1_3gpuE4ELNS1_3repE0EEENS1_30default_config_static_selectorELNS0_4arch9wavefront6targetE1EEEvT1_,@function
_ZN7rocprim17ROCPRIM_400000_NS6detail17trampoline_kernelINS0_14default_configENS1_25partition_config_selectorILNS1_17partition_subalgoE3EyNS0_10empty_typeEbEEZZNS1_14partition_implILS5_3ELb0ES3_jN6thrust23THRUST_200600_302600_NS6detail15normal_iteratorINSA_7pointerIyNSA_11hip_rocprim3tagENSA_11use_defaultESG_EEEEPS6_SJ_NS0_5tupleIJPySJ_EEENSK_IJSJ_SJ_EEES6_PlJ7is_evenIyEEEE10hipError_tPvRmT3_T4_T5_T6_T7_T9_mT8_P12ihipStream_tbDpT10_ENKUlT_T0_E_clISt17integral_constantIbLb0EES1A_EEDaS15_S16_EUlS15_E_NS1_11comp_targetILNS1_3genE10ELNS1_11target_archE1200ELNS1_3gpuE4ELNS1_3repE0EEENS1_30default_config_static_selectorELNS0_4arch9wavefront6targetE1EEEvT1_: ; @_ZN7rocprim17ROCPRIM_400000_NS6detail17trampoline_kernelINS0_14default_configENS1_25partition_config_selectorILNS1_17partition_subalgoE3EyNS0_10empty_typeEbEEZZNS1_14partition_implILS5_3ELb0ES3_jN6thrust23THRUST_200600_302600_NS6detail15normal_iteratorINSA_7pointerIyNSA_11hip_rocprim3tagENSA_11use_defaultESG_EEEEPS6_SJ_NS0_5tupleIJPySJ_EEENSK_IJSJ_SJ_EEES6_PlJ7is_evenIyEEEE10hipError_tPvRmT3_T4_T5_T6_T7_T9_mT8_P12ihipStream_tbDpT10_ENKUlT_T0_E_clISt17integral_constantIbLb0EES1A_EEDaS15_S16_EUlS15_E_NS1_11comp_targetILNS1_3genE10ELNS1_11target_archE1200ELNS1_3gpuE4ELNS1_3repE0EEENS1_30default_config_static_selectorELNS0_4arch9wavefront6targetE1EEEvT1_
; %bb.0:
	.section	.rodata,"a",@progbits
	.p2align	6, 0x0
	.amdhsa_kernel _ZN7rocprim17ROCPRIM_400000_NS6detail17trampoline_kernelINS0_14default_configENS1_25partition_config_selectorILNS1_17partition_subalgoE3EyNS0_10empty_typeEbEEZZNS1_14partition_implILS5_3ELb0ES3_jN6thrust23THRUST_200600_302600_NS6detail15normal_iteratorINSA_7pointerIyNSA_11hip_rocprim3tagENSA_11use_defaultESG_EEEEPS6_SJ_NS0_5tupleIJPySJ_EEENSK_IJSJ_SJ_EEES6_PlJ7is_evenIyEEEE10hipError_tPvRmT3_T4_T5_T6_T7_T9_mT8_P12ihipStream_tbDpT10_ENKUlT_T0_E_clISt17integral_constantIbLb0EES1A_EEDaS15_S16_EUlS15_E_NS1_11comp_targetILNS1_3genE10ELNS1_11target_archE1200ELNS1_3gpuE4ELNS1_3repE0EEENS1_30default_config_static_selectorELNS0_4arch9wavefront6targetE1EEEvT1_
		.amdhsa_group_segment_fixed_size 0
		.amdhsa_private_segment_fixed_size 0
		.amdhsa_kernarg_size 120
		.amdhsa_user_sgpr_count 6
		.amdhsa_user_sgpr_private_segment_buffer 1
		.amdhsa_user_sgpr_dispatch_ptr 0
		.amdhsa_user_sgpr_queue_ptr 0
		.amdhsa_user_sgpr_kernarg_segment_ptr 1
		.amdhsa_user_sgpr_dispatch_id 0
		.amdhsa_user_sgpr_flat_scratch_init 0
		.amdhsa_user_sgpr_kernarg_preload_length 0
		.amdhsa_user_sgpr_kernarg_preload_offset 0
		.amdhsa_user_sgpr_private_segment_size 0
		.amdhsa_uses_dynamic_stack 0
		.amdhsa_system_sgpr_private_segment_wavefront_offset 0
		.amdhsa_system_sgpr_workgroup_id_x 1
		.amdhsa_system_sgpr_workgroup_id_y 0
		.amdhsa_system_sgpr_workgroup_id_z 0
		.amdhsa_system_sgpr_workgroup_info 0
		.amdhsa_system_vgpr_workitem_id 0
		.amdhsa_next_free_vgpr 1
		.amdhsa_next_free_sgpr 0
		.amdhsa_accum_offset 4
		.amdhsa_reserve_vcc 0
		.amdhsa_reserve_flat_scratch 0
		.amdhsa_float_round_mode_32 0
		.amdhsa_float_round_mode_16_64 0
		.amdhsa_float_denorm_mode_32 3
		.amdhsa_float_denorm_mode_16_64 3
		.amdhsa_dx10_clamp 1
		.amdhsa_ieee_mode 1
		.amdhsa_fp16_overflow 0
		.amdhsa_tg_split 0
		.amdhsa_exception_fp_ieee_invalid_op 0
		.amdhsa_exception_fp_denorm_src 0
		.amdhsa_exception_fp_ieee_div_zero 0
		.amdhsa_exception_fp_ieee_overflow 0
		.amdhsa_exception_fp_ieee_underflow 0
		.amdhsa_exception_fp_ieee_inexact 0
		.amdhsa_exception_int_div_zero 0
	.end_amdhsa_kernel
	.section	.text._ZN7rocprim17ROCPRIM_400000_NS6detail17trampoline_kernelINS0_14default_configENS1_25partition_config_selectorILNS1_17partition_subalgoE3EyNS0_10empty_typeEbEEZZNS1_14partition_implILS5_3ELb0ES3_jN6thrust23THRUST_200600_302600_NS6detail15normal_iteratorINSA_7pointerIyNSA_11hip_rocprim3tagENSA_11use_defaultESG_EEEEPS6_SJ_NS0_5tupleIJPySJ_EEENSK_IJSJ_SJ_EEES6_PlJ7is_evenIyEEEE10hipError_tPvRmT3_T4_T5_T6_T7_T9_mT8_P12ihipStream_tbDpT10_ENKUlT_T0_E_clISt17integral_constantIbLb0EES1A_EEDaS15_S16_EUlS15_E_NS1_11comp_targetILNS1_3genE10ELNS1_11target_archE1200ELNS1_3gpuE4ELNS1_3repE0EEENS1_30default_config_static_selectorELNS0_4arch9wavefront6targetE1EEEvT1_,"axG",@progbits,_ZN7rocprim17ROCPRIM_400000_NS6detail17trampoline_kernelINS0_14default_configENS1_25partition_config_selectorILNS1_17partition_subalgoE3EyNS0_10empty_typeEbEEZZNS1_14partition_implILS5_3ELb0ES3_jN6thrust23THRUST_200600_302600_NS6detail15normal_iteratorINSA_7pointerIyNSA_11hip_rocprim3tagENSA_11use_defaultESG_EEEEPS6_SJ_NS0_5tupleIJPySJ_EEENSK_IJSJ_SJ_EEES6_PlJ7is_evenIyEEEE10hipError_tPvRmT3_T4_T5_T6_T7_T9_mT8_P12ihipStream_tbDpT10_ENKUlT_T0_E_clISt17integral_constantIbLb0EES1A_EEDaS15_S16_EUlS15_E_NS1_11comp_targetILNS1_3genE10ELNS1_11target_archE1200ELNS1_3gpuE4ELNS1_3repE0EEENS1_30default_config_static_selectorELNS0_4arch9wavefront6targetE1EEEvT1_,comdat
.Lfunc_end679:
	.size	_ZN7rocprim17ROCPRIM_400000_NS6detail17trampoline_kernelINS0_14default_configENS1_25partition_config_selectorILNS1_17partition_subalgoE3EyNS0_10empty_typeEbEEZZNS1_14partition_implILS5_3ELb0ES3_jN6thrust23THRUST_200600_302600_NS6detail15normal_iteratorINSA_7pointerIyNSA_11hip_rocprim3tagENSA_11use_defaultESG_EEEEPS6_SJ_NS0_5tupleIJPySJ_EEENSK_IJSJ_SJ_EEES6_PlJ7is_evenIyEEEE10hipError_tPvRmT3_T4_T5_T6_T7_T9_mT8_P12ihipStream_tbDpT10_ENKUlT_T0_E_clISt17integral_constantIbLb0EES1A_EEDaS15_S16_EUlS15_E_NS1_11comp_targetILNS1_3genE10ELNS1_11target_archE1200ELNS1_3gpuE4ELNS1_3repE0EEENS1_30default_config_static_selectorELNS0_4arch9wavefront6targetE1EEEvT1_, .Lfunc_end679-_ZN7rocprim17ROCPRIM_400000_NS6detail17trampoline_kernelINS0_14default_configENS1_25partition_config_selectorILNS1_17partition_subalgoE3EyNS0_10empty_typeEbEEZZNS1_14partition_implILS5_3ELb0ES3_jN6thrust23THRUST_200600_302600_NS6detail15normal_iteratorINSA_7pointerIyNSA_11hip_rocprim3tagENSA_11use_defaultESG_EEEEPS6_SJ_NS0_5tupleIJPySJ_EEENSK_IJSJ_SJ_EEES6_PlJ7is_evenIyEEEE10hipError_tPvRmT3_T4_T5_T6_T7_T9_mT8_P12ihipStream_tbDpT10_ENKUlT_T0_E_clISt17integral_constantIbLb0EES1A_EEDaS15_S16_EUlS15_E_NS1_11comp_targetILNS1_3genE10ELNS1_11target_archE1200ELNS1_3gpuE4ELNS1_3repE0EEENS1_30default_config_static_selectorELNS0_4arch9wavefront6targetE1EEEvT1_
                                        ; -- End function
	.section	.AMDGPU.csdata,"",@progbits
; Kernel info:
; codeLenInByte = 0
; NumSgprs: 4
; NumVgprs: 0
; NumAgprs: 0
; TotalNumVgprs: 0
; ScratchSize: 0
; MemoryBound: 0
; FloatMode: 240
; IeeeMode: 1
; LDSByteSize: 0 bytes/workgroup (compile time only)
; SGPRBlocks: 0
; VGPRBlocks: 0
; NumSGPRsForWavesPerEU: 4
; NumVGPRsForWavesPerEU: 1
; AccumOffset: 4
; Occupancy: 8
; WaveLimiterHint : 0
; COMPUTE_PGM_RSRC2:SCRATCH_EN: 0
; COMPUTE_PGM_RSRC2:USER_SGPR: 6
; COMPUTE_PGM_RSRC2:TRAP_HANDLER: 0
; COMPUTE_PGM_RSRC2:TGID_X_EN: 1
; COMPUTE_PGM_RSRC2:TGID_Y_EN: 0
; COMPUTE_PGM_RSRC2:TGID_Z_EN: 0
; COMPUTE_PGM_RSRC2:TIDIG_COMP_CNT: 0
; COMPUTE_PGM_RSRC3_GFX90A:ACCUM_OFFSET: 0
; COMPUTE_PGM_RSRC3_GFX90A:TG_SPLIT: 0
	.section	.text._ZN7rocprim17ROCPRIM_400000_NS6detail17trampoline_kernelINS0_14default_configENS1_25partition_config_selectorILNS1_17partition_subalgoE3EyNS0_10empty_typeEbEEZZNS1_14partition_implILS5_3ELb0ES3_jN6thrust23THRUST_200600_302600_NS6detail15normal_iteratorINSA_7pointerIyNSA_11hip_rocprim3tagENSA_11use_defaultESG_EEEEPS6_SJ_NS0_5tupleIJPySJ_EEENSK_IJSJ_SJ_EEES6_PlJ7is_evenIyEEEE10hipError_tPvRmT3_T4_T5_T6_T7_T9_mT8_P12ihipStream_tbDpT10_ENKUlT_T0_E_clISt17integral_constantIbLb0EES1A_EEDaS15_S16_EUlS15_E_NS1_11comp_targetILNS1_3genE9ELNS1_11target_archE1100ELNS1_3gpuE3ELNS1_3repE0EEENS1_30default_config_static_selectorELNS0_4arch9wavefront6targetE1EEEvT1_,"axG",@progbits,_ZN7rocprim17ROCPRIM_400000_NS6detail17trampoline_kernelINS0_14default_configENS1_25partition_config_selectorILNS1_17partition_subalgoE3EyNS0_10empty_typeEbEEZZNS1_14partition_implILS5_3ELb0ES3_jN6thrust23THRUST_200600_302600_NS6detail15normal_iteratorINSA_7pointerIyNSA_11hip_rocprim3tagENSA_11use_defaultESG_EEEEPS6_SJ_NS0_5tupleIJPySJ_EEENSK_IJSJ_SJ_EEES6_PlJ7is_evenIyEEEE10hipError_tPvRmT3_T4_T5_T6_T7_T9_mT8_P12ihipStream_tbDpT10_ENKUlT_T0_E_clISt17integral_constantIbLb0EES1A_EEDaS15_S16_EUlS15_E_NS1_11comp_targetILNS1_3genE9ELNS1_11target_archE1100ELNS1_3gpuE3ELNS1_3repE0EEENS1_30default_config_static_selectorELNS0_4arch9wavefront6targetE1EEEvT1_,comdat
	.protected	_ZN7rocprim17ROCPRIM_400000_NS6detail17trampoline_kernelINS0_14default_configENS1_25partition_config_selectorILNS1_17partition_subalgoE3EyNS0_10empty_typeEbEEZZNS1_14partition_implILS5_3ELb0ES3_jN6thrust23THRUST_200600_302600_NS6detail15normal_iteratorINSA_7pointerIyNSA_11hip_rocprim3tagENSA_11use_defaultESG_EEEEPS6_SJ_NS0_5tupleIJPySJ_EEENSK_IJSJ_SJ_EEES6_PlJ7is_evenIyEEEE10hipError_tPvRmT3_T4_T5_T6_T7_T9_mT8_P12ihipStream_tbDpT10_ENKUlT_T0_E_clISt17integral_constantIbLb0EES1A_EEDaS15_S16_EUlS15_E_NS1_11comp_targetILNS1_3genE9ELNS1_11target_archE1100ELNS1_3gpuE3ELNS1_3repE0EEENS1_30default_config_static_selectorELNS0_4arch9wavefront6targetE1EEEvT1_ ; -- Begin function _ZN7rocprim17ROCPRIM_400000_NS6detail17trampoline_kernelINS0_14default_configENS1_25partition_config_selectorILNS1_17partition_subalgoE3EyNS0_10empty_typeEbEEZZNS1_14partition_implILS5_3ELb0ES3_jN6thrust23THRUST_200600_302600_NS6detail15normal_iteratorINSA_7pointerIyNSA_11hip_rocprim3tagENSA_11use_defaultESG_EEEEPS6_SJ_NS0_5tupleIJPySJ_EEENSK_IJSJ_SJ_EEES6_PlJ7is_evenIyEEEE10hipError_tPvRmT3_T4_T5_T6_T7_T9_mT8_P12ihipStream_tbDpT10_ENKUlT_T0_E_clISt17integral_constantIbLb0EES1A_EEDaS15_S16_EUlS15_E_NS1_11comp_targetILNS1_3genE9ELNS1_11target_archE1100ELNS1_3gpuE3ELNS1_3repE0EEENS1_30default_config_static_selectorELNS0_4arch9wavefront6targetE1EEEvT1_
	.globl	_ZN7rocprim17ROCPRIM_400000_NS6detail17trampoline_kernelINS0_14default_configENS1_25partition_config_selectorILNS1_17partition_subalgoE3EyNS0_10empty_typeEbEEZZNS1_14partition_implILS5_3ELb0ES3_jN6thrust23THRUST_200600_302600_NS6detail15normal_iteratorINSA_7pointerIyNSA_11hip_rocprim3tagENSA_11use_defaultESG_EEEEPS6_SJ_NS0_5tupleIJPySJ_EEENSK_IJSJ_SJ_EEES6_PlJ7is_evenIyEEEE10hipError_tPvRmT3_T4_T5_T6_T7_T9_mT8_P12ihipStream_tbDpT10_ENKUlT_T0_E_clISt17integral_constantIbLb0EES1A_EEDaS15_S16_EUlS15_E_NS1_11comp_targetILNS1_3genE9ELNS1_11target_archE1100ELNS1_3gpuE3ELNS1_3repE0EEENS1_30default_config_static_selectorELNS0_4arch9wavefront6targetE1EEEvT1_
	.p2align	8
	.type	_ZN7rocprim17ROCPRIM_400000_NS6detail17trampoline_kernelINS0_14default_configENS1_25partition_config_selectorILNS1_17partition_subalgoE3EyNS0_10empty_typeEbEEZZNS1_14partition_implILS5_3ELb0ES3_jN6thrust23THRUST_200600_302600_NS6detail15normal_iteratorINSA_7pointerIyNSA_11hip_rocprim3tagENSA_11use_defaultESG_EEEEPS6_SJ_NS0_5tupleIJPySJ_EEENSK_IJSJ_SJ_EEES6_PlJ7is_evenIyEEEE10hipError_tPvRmT3_T4_T5_T6_T7_T9_mT8_P12ihipStream_tbDpT10_ENKUlT_T0_E_clISt17integral_constantIbLb0EES1A_EEDaS15_S16_EUlS15_E_NS1_11comp_targetILNS1_3genE9ELNS1_11target_archE1100ELNS1_3gpuE3ELNS1_3repE0EEENS1_30default_config_static_selectorELNS0_4arch9wavefront6targetE1EEEvT1_,@function
_ZN7rocprim17ROCPRIM_400000_NS6detail17trampoline_kernelINS0_14default_configENS1_25partition_config_selectorILNS1_17partition_subalgoE3EyNS0_10empty_typeEbEEZZNS1_14partition_implILS5_3ELb0ES3_jN6thrust23THRUST_200600_302600_NS6detail15normal_iteratorINSA_7pointerIyNSA_11hip_rocprim3tagENSA_11use_defaultESG_EEEEPS6_SJ_NS0_5tupleIJPySJ_EEENSK_IJSJ_SJ_EEES6_PlJ7is_evenIyEEEE10hipError_tPvRmT3_T4_T5_T6_T7_T9_mT8_P12ihipStream_tbDpT10_ENKUlT_T0_E_clISt17integral_constantIbLb0EES1A_EEDaS15_S16_EUlS15_E_NS1_11comp_targetILNS1_3genE9ELNS1_11target_archE1100ELNS1_3gpuE3ELNS1_3repE0EEENS1_30default_config_static_selectorELNS0_4arch9wavefront6targetE1EEEvT1_: ; @_ZN7rocprim17ROCPRIM_400000_NS6detail17trampoline_kernelINS0_14default_configENS1_25partition_config_selectorILNS1_17partition_subalgoE3EyNS0_10empty_typeEbEEZZNS1_14partition_implILS5_3ELb0ES3_jN6thrust23THRUST_200600_302600_NS6detail15normal_iteratorINSA_7pointerIyNSA_11hip_rocprim3tagENSA_11use_defaultESG_EEEEPS6_SJ_NS0_5tupleIJPySJ_EEENSK_IJSJ_SJ_EEES6_PlJ7is_evenIyEEEE10hipError_tPvRmT3_T4_T5_T6_T7_T9_mT8_P12ihipStream_tbDpT10_ENKUlT_T0_E_clISt17integral_constantIbLb0EES1A_EEDaS15_S16_EUlS15_E_NS1_11comp_targetILNS1_3genE9ELNS1_11target_archE1100ELNS1_3gpuE3ELNS1_3repE0EEENS1_30default_config_static_selectorELNS0_4arch9wavefront6targetE1EEEvT1_
; %bb.0:
	.section	.rodata,"a",@progbits
	.p2align	6, 0x0
	.amdhsa_kernel _ZN7rocprim17ROCPRIM_400000_NS6detail17trampoline_kernelINS0_14default_configENS1_25partition_config_selectorILNS1_17partition_subalgoE3EyNS0_10empty_typeEbEEZZNS1_14partition_implILS5_3ELb0ES3_jN6thrust23THRUST_200600_302600_NS6detail15normal_iteratorINSA_7pointerIyNSA_11hip_rocprim3tagENSA_11use_defaultESG_EEEEPS6_SJ_NS0_5tupleIJPySJ_EEENSK_IJSJ_SJ_EEES6_PlJ7is_evenIyEEEE10hipError_tPvRmT3_T4_T5_T6_T7_T9_mT8_P12ihipStream_tbDpT10_ENKUlT_T0_E_clISt17integral_constantIbLb0EES1A_EEDaS15_S16_EUlS15_E_NS1_11comp_targetILNS1_3genE9ELNS1_11target_archE1100ELNS1_3gpuE3ELNS1_3repE0EEENS1_30default_config_static_selectorELNS0_4arch9wavefront6targetE1EEEvT1_
		.amdhsa_group_segment_fixed_size 0
		.amdhsa_private_segment_fixed_size 0
		.amdhsa_kernarg_size 120
		.amdhsa_user_sgpr_count 6
		.amdhsa_user_sgpr_private_segment_buffer 1
		.amdhsa_user_sgpr_dispatch_ptr 0
		.amdhsa_user_sgpr_queue_ptr 0
		.amdhsa_user_sgpr_kernarg_segment_ptr 1
		.amdhsa_user_sgpr_dispatch_id 0
		.amdhsa_user_sgpr_flat_scratch_init 0
		.amdhsa_user_sgpr_kernarg_preload_length 0
		.amdhsa_user_sgpr_kernarg_preload_offset 0
		.amdhsa_user_sgpr_private_segment_size 0
		.amdhsa_uses_dynamic_stack 0
		.amdhsa_system_sgpr_private_segment_wavefront_offset 0
		.amdhsa_system_sgpr_workgroup_id_x 1
		.amdhsa_system_sgpr_workgroup_id_y 0
		.amdhsa_system_sgpr_workgroup_id_z 0
		.amdhsa_system_sgpr_workgroup_info 0
		.amdhsa_system_vgpr_workitem_id 0
		.amdhsa_next_free_vgpr 1
		.amdhsa_next_free_sgpr 0
		.amdhsa_accum_offset 4
		.amdhsa_reserve_vcc 0
		.amdhsa_reserve_flat_scratch 0
		.amdhsa_float_round_mode_32 0
		.amdhsa_float_round_mode_16_64 0
		.amdhsa_float_denorm_mode_32 3
		.amdhsa_float_denorm_mode_16_64 3
		.amdhsa_dx10_clamp 1
		.amdhsa_ieee_mode 1
		.amdhsa_fp16_overflow 0
		.amdhsa_tg_split 0
		.amdhsa_exception_fp_ieee_invalid_op 0
		.amdhsa_exception_fp_denorm_src 0
		.amdhsa_exception_fp_ieee_div_zero 0
		.amdhsa_exception_fp_ieee_overflow 0
		.amdhsa_exception_fp_ieee_underflow 0
		.amdhsa_exception_fp_ieee_inexact 0
		.amdhsa_exception_int_div_zero 0
	.end_amdhsa_kernel
	.section	.text._ZN7rocprim17ROCPRIM_400000_NS6detail17trampoline_kernelINS0_14default_configENS1_25partition_config_selectorILNS1_17partition_subalgoE3EyNS0_10empty_typeEbEEZZNS1_14partition_implILS5_3ELb0ES3_jN6thrust23THRUST_200600_302600_NS6detail15normal_iteratorINSA_7pointerIyNSA_11hip_rocprim3tagENSA_11use_defaultESG_EEEEPS6_SJ_NS0_5tupleIJPySJ_EEENSK_IJSJ_SJ_EEES6_PlJ7is_evenIyEEEE10hipError_tPvRmT3_T4_T5_T6_T7_T9_mT8_P12ihipStream_tbDpT10_ENKUlT_T0_E_clISt17integral_constantIbLb0EES1A_EEDaS15_S16_EUlS15_E_NS1_11comp_targetILNS1_3genE9ELNS1_11target_archE1100ELNS1_3gpuE3ELNS1_3repE0EEENS1_30default_config_static_selectorELNS0_4arch9wavefront6targetE1EEEvT1_,"axG",@progbits,_ZN7rocprim17ROCPRIM_400000_NS6detail17trampoline_kernelINS0_14default_configENS1_25partition_config_selectorILNS1_17partition_subalgoE3EyNS0_10empty_typeEbEEZZNS1_14partition_implILS5_3ELb0ES3_jN6thrust23THRUST_200600_302600_NS6detail15normal_iteratorINSA_7pointerIyNSA_11hip_rocprim3tagENSA_11use_defaultESG_EEEEPS6_SJ_NS0_5tupleIJPySJ_EEENSK_IJSJ_SJ_EEES6_PlJ7is_evenIyEEEE10hipError_tPvRmT3_T4_T5_T6_T7_T9_mT8_P12ihipStream_tbDpT10_ENKUlT_T0_E_clISt17integral_constantIbLb0EES1A_EEDaS15_S16_EUlS15_E_NS1_11comp_targetILNS1_3genE9ELNS1_11target_archE1100ELNS1_3gpuE3ELNS1_3repE0EEENS1_30default_config_static_selectorELNS0_4arch9wavefront6targetE1EEEvT1_,comdat
.Lfunc_end680:
	.size	_ZN7rocprim17ROCPRIM_400000_NS6detail17trampoline_kernelINS0_14default_configENS1_25partition_config_selectorILNS1_17partition_subalgoE3EyNS0_10empty_typeEbEEZZNS1_14partition_implILS5_3ELb0ES3_jN6thrust23THRUST_200600_302600_NS6detail15normal_iteratorINSA_7pointerIyNSA_11hip_rocprim3tagENSA_11use_defaultESG_EEEEPS6_SJ_NS0_5tupleIJPySJ_EEENSK_IJSJ_SJ_EEES6_PlJ7is_evenIyEEEE10hipError_tPvRmT3_T4_T5_T6_T7_T9_mT8_P12ihipStream_tbDpT10_ENKUlT_T0_E_clISt17integral_constantIbLb0EES1A_EEDaS15_S16_EUlS15_E_NS1_11comp_targetILNS1_3genE9ELNS1_11target_archE1100ELNS1_3gpuE3ELNS1_3repE0EEENS1_30default_config_static_selectorELNS0_4arch9wavefront6targetE1EEEvT1_, .Lfunc_end680-_ZN7rocprim17ROCPRIM_400000_NS6detail17trampoline_kernelINS0_14default_configENS1_25partition_config_selectorILNS1_17partition_subalgoE3EyNS0_10empty_typeEbEEZZNS1_14partition_implILS5_3ELb0ES3_jN6thrust23THRUST_200600_302600_NS6detail15normal_iteratorINSA_7pointerIyNSA_11hip_rocprim3tagENSA_11use_defaultESG_EEEEPS6_SJ_NS0_5tupleIJPySJ_EEENSK_IJSJ_SJ_EEES6_PlJ7is_evenIyEEEE10hipError_tPvRmT3_T4_T5_T6_T7_T9_mT8_P12ihipStream_tbDpT10_ENKUlT_T0_E_clISt17integral_constantIbLb0EES1A_EEDaS15_S16_EUlS15_E_NS1_11comp_targetILNS1_3genE9ELNS1_11target_archE1100ELNS1_3gpuE3ELNS1_3repE0EEENS1_30default_config_static_selectorELNS0_4arch9wavefront6targetE1EEEvT1_
                                        ; -- End function
	.section	.AMDGPU.csdata,"",@progbits
; Kernel info:
; codeLenInByte = 0
; NumSgprs: 4
; NumVgprs: 0
; NumAgprs: 0
; TotalNumVgprs: 0
; ScratchSize: 0
; MemoryBound: 0
; FloatMode: 240
; IeeeMode: 1
; LDSByteSize: 0 bytes/workgroup (compile time only)
; SGPRBlocks: 0
; VGPRBlocks: 0
; NumSGPRsForWavesPerEU: 4
; NumVGPRsForWavesPerEU: 1
; AccumOffset: 4
; Occupancy: 8
; WaveLimiterHint : 0
; COMPUTE_PGM_RSRC2:SCRATCH_EN: 0
; COMPUTE_PGM_RSRC2:USER_SGPR: 6
; COMPUTE_PGM_RSRC2:TRAP_HANDLER: 0
; COMPUTE_PGM_RSRC2:TGID_X_EN: 1
; COMPUTE_PGM_RSRC2:TGID_Y_EN: 0
; COMPUTE_PGM_RSRC2:TGID_Z_EN: 0
; COMPUTE_PGM_RSRC2:TIDIG_COMP_CNT: 0
; COMPUTE_PGM_RSRC3_GFX90A:ACCUM_OFFSET: 0
; COMPUTE_PGM_RSRC3_GFX90A:TG_SPLIT: 0
	.section	.text._ZN7rocprim17ROCPRIM_400000_NS6detail17trampoline_kernelINS0_14default_configENS1_25partition_config_selectorILNS1_17partition_subalgoE3EyNS0_10empty_typeEbEEZZNS1_14partition_implILS5_3ELb0ES3_jN6thrust23THRUST_200600_302600_NS6detail15normal_iteratorINSA_7pointerIyNSA_11hip_rocprim3tagENSA_11use_defaultESG_EEEEPS6_SJ_NS0_5tupleIJPySJ_EEENSK_IJSJ_SJ_EEES6_PlJ7is_evenIyEEEE10hipError_tPvRmT3_T4_T5_T6_T7_T9_mT8_P12ihipStream_tbDpT10_ENKUlT_T0_E_clISt17integral_constantIbLb0EES1A_EEDaS15_S16_EUlS15_E_NS1_11comp_targetILNS1_3genE8ELNS1_11target_archE1030ELNS1_3gpuE2ELNS1_3repE0EEENS1_30default_config_static_selectorELNS0_4arch9wavefront6targetE1EEEvT1_,"axG",@progbits,_ZN7rocprim17ROCPRIM_400000_NS6detail17trampoline_kernelINS0_14default_configENS1_25partition_config_selectorILNS1_17partition_subalgoE3EyNS0_10empty_typeEbEEZZNS1_14partition_implILS5_3ELb0ES3_jN6thrust23THRUST_200600_302600_NS6detail15normal_iteratorINSA_7pointerIyNSA_11hip_rocprim3tagENSA_11use_defaultESG_EEEEPS6_SJ_NS0_5tupleIJPySJ_EEENSK_IJSJ_SJ_EEES6_PlJ7is_evenIyEEEE10hipError_tPvRmT3_T4_T5_T6_T7_T9_mT8_P12ihipStream_tbDpT10_ENKUlT_T0_E_clISt17integral_constantIbLb0EES1A_EEDaS15_S16_EUlS15_E_NS1_11comp_targetILNS1_3genE8ELNS1_11target_archE1030ELNS1_3gpuE2ELNS1_3repE0EEENS1_30default_config_static_selectorELNS0_4arch9wavefront6targetE1EEEvT1_,comdat
	.protected	_ZN7rocprim17ROCPRIM_400000_NS6detail17trampoline_kernelINS0_14default_configENS1_25partition_config_selectorILNS1_17partition_subalgoE3EyNS0_10empty_typeEbEEZZNS1_14partition_implILS5_3ELb0ES3_jN6thrust23THRUST_200600_302600_NS6detail15normal_iteratorINSA_7pointerIyNSA_11hip_rocprim3tagENSA_11use_defaultESG_EEEEPS6_SJ_NS0_5tupleIJPySJ_EEENSK_IJSJ_SJ_EEES6_PlJ7is_evenIyEEEE10hipError_tPvRmT3_T4_T5_T6_T7_T9_mT8_P12ihipStream_tbDpT10_ENKUlT_T0_E_clISt17integral_constantIbLb0EES1A_EEDaS15_S16_EUlS15_E_NS1_11comp_targetILNS1_3genE8ELNS1_11target_archE1030ELNS1_3gpuE2ELNS1_3repE0EEENS1_30default_config_static_selectorELNS0_4arch9wavefront6targetE1EEEvT1_ ; -- Begin function _ZN7rocprim17ROCPRIM_400000_NS6detail17trampoline_kernelINS0_14default_configENS1_25partition_config_selectorILNS1_17partition_subalgoE3EyNS0_10empty_typeEbEEZZNS1_14partition_implILS5_3ELb0ES3_jN6thrust23THRUST_200600_302600_NS6detail15normal_iteratorINSA_7pointerIyNSA_11hip_rocprim3tagENSA_11use_defaultESG_EEEEPS6_SJ_NS0_5tupleIJPySJ_EEENSK_IJSJ_SJ_EEES6_PlJ7is_evenIyEEEE10hipError_tPvRmT3_T4_T5_T6_T7_T9_mT8_P12ihipStream_tbDpT10_ENKUlT_T0_E_clISt17integral_constantIbLb0EES1A_EEDaS15_S16_EUlS15_E_NS1_11comp_targetILNS1_3genE8ELNS1_11target_archE1030ELNS1_3gpuE2ELNS1_3repE0EEENS1_30default_config_static_selectorELNS0_4arch9wavefront6targetE1EEEvT1_
	.globl	_ZN7rocprim17ROCPRIM_400000_NS6detail17trampoline_kernelINS0_14default_configENS1_25partition_config_selectorILNS1_17partition_subalgoE3EyNS0_10empty_typeEbEEZZNS1_14partition_implILS5_3ELb0ES3_jN6thrust23THRUST_200600_302600_NS6detail15normal_iteratorINSA_7pointerIyNSA_11hip_rocprim3tagENSA_11use_defaultESG_EEEEPS6_SJ_NS0_5tupleIJPySJ_EEENSK_IJSJ_SJ_EEES6_PlJ7is_evenIyEEEE10hipError_tPvRmT3_T4_T5_T6_T7_T9_mT8_P12ihipStream_tbDpT10_ENKUlT_T0_E_clISt17integral_constantIbLb0EES1A_EEDaS15_S16_EUlS15_E_NS1_11comp_targetILNS1_3genE8ELNS1_11target_archE1030ELNS1_3gpuE2ELNS1_3repE0EEENS1_30default_config_static_selectorELNS0_4arch9wavefront6targetE1EEEvT1_
	.p2align	8
	.type	_ZN7rocprim17ROCPRIM_400000_NS6detail17trampoline_kernelINS0_14default_configENS1_25partition_config_selectorILNS1_17partition_subalgoE3EyNS0_10empty_typeEbEEZZNS1_14partition_implILS5_3ELb0ES3_jN6thrust23THRUST_200600_302600_NS6detail15normal_iteratorINSA_7pointerIyNSA_11hip_rocprim3tagENSA_11use_defaultESG_EEEEPS6_SJ_NS0_5tupleIJPySJ_EEENSK_IJSJ_SJ_EEES6_PlJ7is_evenIyEEEE10hipError_tPvRmT3_T4_T5_T6_T7_T9_mT8_P12ihipStream_tbDpT10_ENKUlT_T0_E_clISt17integral_constantIbLb0EES1A_EEDaS15_S16_EUlS15_E_NS1_11comp_targetILNS1_3genE8ELNS1_11target_archE1030ELNS1_3gpuE2ELNS1_3repE0EEENS1_30default_config_static_selectorELNS0_4arch9wavefront6targetE1EEEvT1_,@function
_ZN7rocprim17ROCPRIM_400000_NS6detail17trampoline_kernelINS0_14default_configENS1_25partition_config_selectorILNS1_17partition_subalgoE3EyNS0_10empty_typeEbEEZZNS1_14partition_implILS5_3ELb0ES3_jN6thrust23THRUST_200600_302600_NS6detail15normal_iteratorINSA_7pointerIyNSA_11hip_rocprim3tagENSA_11use_defaultESG_EEEEPS6_SJ_NS0_5tupleIJPySJ_EEENSK_IJSJ_SJ_EEES6_PlJ7is_evenIyEEEE10hipError_tPvRmT3_T4_T5_T6_T7_T9_mT8_P12ihipStream_tbDpT10_ENKUlT_T0_E_clISt17integral_constantIbLb0EES1A_EEDaS15_S16_EUlS15_E_NS1_11comp_targetILNS1_3genE8ELNS1_11target_archE1030ELNS1_3gpuE2ELNS1_3repE0EEENS1_30default_config_static_selectorELNS0_4arch9wavefront6targetE1EEEvT1_: ; @_ZN7rocprim17ROCPRIM_400000_NS6detail17trampoline_kernelINS0_14default_configENS1_25partition_config_selectorILNS1_17partition_subalgoE3EyNS0_10empty_typeEbEEZZNS1_14partition_implILS5_3ELb0ES3_jN6thrust23THRUST_200600_302600_NS6detail15normal_iteratorINSA_7pointerIyNSA_11hip_rocprim3tagENSA_11use_defaultESG_EEEEPS6_SJ_NS0_5tupleIJPySJ_EEENSK_IJSJ_SJ_EEES6_PlJ7is_evenIyEEEE10hipError_tPvRmT3_T4_T5_T6_T7_T9_mT8_P12ihipStream_tbDpT10_ENKUlT_T0_E_clISt17integral_constantIbLb0EES1A_EEDaS15_S16_EUlS15_E_NS1_11comp_targetILNS1_3genE8ELNS1_11target_archE1030ELNS1_3gpuE2ELNS1_3repE0EEENS1_30default_config_static_selectorELNS0_4arch9wavefront6targetE1EEEvT1_
; %bb.0:
	.section	.rodata,"a",@progbits
	.p2align	6, 0x0
	.amdhsa_kernel _ZN7rocprim17ROCPRIM_400000_NS6detail17trampoline_kernelINS0_14default_configENS1_25partition_config_selectorILNS1_17partition_subalgoE3EyNS0_10empty_typeEbEEZZNS1_14partition_implILS5_3ELb0ES3_jN6thrust23THRUST_200600_302600_NS6detail15normal_iteratorINSA_7pointerIyNSA_11hip_rocprim3tagENSA_11use_defaultESG_EEEEPS6_SJ_NS0_5tupleIJPySJ_EEENSK_IJSJ_SJ_EEES6_PlJ7is_evenIyEEEE10hipError_tPvRmT3_T4_T5_T6_T7_T9_mT8_P12ihipStream_tbDpT10_ENKUlT_T0_E_clISt17integral_constantIbLb0EES1A_EEDaS15_S16_EUlS15_E_NS1_11comp_targetILNS1_3genE8ELNS1_11target_archE1030ELNS1_3gpuE2ELNS1_3repE0EEENS1_30default_config_static_selectorELNS0_4arch9wavefront6targetE1EEEvT1_
		.amdhsa_group_segment_fixed_size 0
		.amdhsa_private_segment_fixed_size 0
		.amdhsa_kernarg_size 120
		.amdhsa_user_sgpr_count 6
		.amdhsa_user_sgpr_private_segment_buffer 1
		.amdhsa_user_sgpr_dispatch_ptr 0
		.amdhsa_user_sgpr_queue_ptr 0
		.amdhsa_user_sgpr_kernarg_segment_ptr 1
		.amdhsa_user_sgpr_dispatch_id 0
		.amdhsa_user_sgpr_flat_scratch_init 0
		.amdhsa_user_sgpr_kernarg_preload_length 0
		.amdhsa_user_sgpr_kernarg_preload_offset 0
		.amdhsa_user_sgpr_private_segment_size 0
		.amdhsa_uses_dynamic_stack 0
		.amdhsa_system_sgpr_private_segment_wavefront_offset 0
		.amdhsa_system_sgpr_workgroup_id_x 1
		.amdhsa_system_sgpr_workgroup_id_y 0
		.amdhsa_system_sgpr_workgroup_id_z 0
		.amdhsa_system_sgpr_workgroup_info 0
		.amdhsa_system_vgpr_workitem_id 0
		.amdhsa_next_free_vgpr 1
		.amdhsa_next_free_sgpr 0
		.amdhsa_accum_offset 4
		.amdhsa_reserve_vcc 0
		.amdhsa_reserve_flat_scratch 0
		.amdhsa_float_round_mode_32 0
		.amdhsa_float_round_mode_16_64 0
		.amdhsa_float_denorm_mode_32 3
		.amdhsa_float_denorm_mode_16_64 3
		.amdhsa_dx10_clamp 1
		.amdhsa_ieee_mode 1
		.amdhsa_fp16_overflow 0
		.amdhsa_tg_split 0
		.amdhsa_exception_fp_ieee_invalid_op 0
		.amdhsa_exception_fp_denorm_src 0
		.amdhsa_exception_fp_ieee_div_zero 0
		.amdhsa_exception_fp_ieee_overflow 0
		.amdhsa_exception_fp_ieee_underflow 0
		.amdhsa_exception_fp_ieee_inexact 0
		.amdhsa_exception_int_div_zero 0
	.end_amdhsa_kernel
	.section	.text._ZN7rocprim17ROCPRIM_400000_NS6detail17trampoline_kernelINS0_14default_configENS1_25partition_config_selectorILNS1_17partition_subalgoE3EyNS0_10empty_typeEbEEZZNS1_14partition_implILS5_3ELb0ES3_jN6thrust23THRUST_200600_302600_NS6detail15normal_iteratorINSA_7pointerIyNSA_11hip_rocprim3tagENSA_11use_defaultESG_EEEEPS6_SJ_NS0_5tupleIJPySJ_EEENSK_IJSJ_SJ_EEES6_PlJ7is_evenIyEEEE10hipError_tPvRmT3_T4_T5_T6_T7_T9_mT8_P12ihipStream_tbDpT10_ENKUlT_T0_E_clISt17integral_constantIbLb0EES1A_EEDaS15_S16_EUlS15_E_NS1_11comp_targetILNS1_3genE8ELNS1_11target_archE1030ELNS1_3gpuE2ELNS1_3repE0EEENS1_30default_config_static_selectorELNS0_4arch9wavefront6targetE1EEEvT1_,"axG",@progbits,_ZN7rocprim17ROCPRIM_400000_NS6detail17trampoline_kernelINS0_14default_configENS1_25partition_config_selectorILNS1_17partition_subalgoE3EyNS0_10empty_typeEbEEZZNS1_14partition_implILS5_3ELb0ES3_jN6thrust23THRUST_200600_302600_NS6detail15normal_iteratorINSA_7pointerIyNSA_11hip_rocprim3tagENSA_11use_defaultESG_EEEEPS6_SJ_NS0_5tupleIJPySJ_EEENSK_IJSJ_SJ_EEES6_PlJ7is_evenIyEEEE10hipError_tPvRmT3_T4_T5_T6_T7_T9_mT8_P12ihipStream_tbDpT10_ENKUlT_T0_E_clISt17integral_constantIbLb0EES1A_EEDaS15_S16_EUlS15_E_NS1_11comp_targetILNS1_3genE8ELNS1_11target_archE1030ELNS1_3gpuE2ELNS1_3repE0EEENS1_30default_config_static_selectorELNS0_4arch9wavefront6targetE1EEEvT1_,comdat
.Lfunc_end681:
	.size	_ZN7rocprim17ROCPRIM_400000_NS6detail17trampoline_kernelINS0_14default_configENS1_25partition_config_selectorILNS1_17partition_subalgoE3EyNS0_10empty_typeEbEEZZNS1_14partition_implILS5_3ELb0ES3_jN6thrust23THRUST_200600_302600_NS6detail15normal_iteratorINSA_7pointerIyNSA_11hip_rocprim3tagENSA_11use_defaultESG_EEEEPS6_SJ_NS0_5tupleIJPySJ_EEENSK_IJSJ_SJ_EEES6_PlJ7is_evenIyEEEE10hipError_tPvRmT3_T4_T5_T6_T7_T9_mT8_P12ihipStream_tbDpT10_ENKUlT_T0_E_clISt17integral_constantIbLb0EES1A_EEDaS15_S16_EUlS15_E_NS1_11comp_targetILNS1_3genE8ELNS1_11target_archE1030ELNS1_3gpuE2ELNS1_3repE0EEENS1_30default_config_static_selectorELNS0_4arch9wavefront6targetE1EEEvT1_, .Lfunc_end681-_ZN7rocprim17ROCPRIM_400000_NS6detail17trampoline_kernelINS0_14default_configENS1_25partition_config_selectorILNS1_17partition_subalgoE3EyNS0_10empty_typeEbEEZZNS1_14partition_implILS5_3ELb0ES3_jN6thrust23THRUST_200600_302600_NS6detail15normal_iteratorINSA_7pointerIyNSA_11hip_rocprim3tagENSA_11use_defaultESG_EEEEPS6_SJ_NS0_5tupleIJPySJ_EEENSK_IJSJ_SJ_EEES6_PlJ7is_evenIyEEEE10hipError_tPvRmT3_T4_T5_T6_T7_T9_mT8_P12ihipStream_tbDpT10_ENKUlT_T0_E_clISt17integral_constantIbLb0EES1A_EEDaS15_S16_EUlS15_E_NS1_11comp_targetILNS1_3genE8ELNS1_11target_archE1030ELNS1_3gpuE2ELNS1_3repE0EEENS1_30default_config_static_selectorELNS0_4arch9wavefront6targetE1EEEvT1_
                                        ; -- End function
	.section	.AMDGPU.csdata,"",@progbits
; Kernel info:
; codeLenInByte = 0
; NumSgprs: 4
; NumVgprs: 0
; NumAgprs: 0
; TotalNumVgprs: 0
; ScratchSize: 0
; MemoryBound: 0
; FloatMode: 240
; IeeeMode: 1
; LDSByteSize: 0 bytes/workgroup (compile time only)
; SGPRBlocks: 0
; VGPRBlocks: 0
; NumSGPRsForWavesPerEU: 4
; NumVGPRsForWavesPerEU: 1
; AccumOffset: 4
; Occupancy: 8
; WaveLimiterHint : 0
; COMPUTE_PGM_RSRC2:SCRATCH_EN: 0
; COMPUTE_PGM_RSRC2:USER_SGPR: 6
; COMPUTE_PGM_RSRC2:TRAP_HANDLER: 0
; COMPUTE_PGM_RSRC2:TGID_X_EN: 1
; COMPUTE_PGM_RSRC2:TGID_Y_EN: 0
; COMPUTE_PGM_RSRC2:TGID_Z_EN: 0
; COMPUTE_PGM_RSRC2:TIDIG_COMP_CNT: 0
; COMPUTE_PGM_RSRC3_GFX90A:ACCUM_OFFSET: 0
; COMPUTE_PGM_RSRC3_GFX90A:TG_SPLIT: 0
	.section	.text._ZN7rocprim17ROCPRIM_400000_NS6detail17trampoline_kernelINS0_14default_configENS1_25partition_config_selectorILNS1_17partition_subalgoE3EyNS0_10empty_typeEbEEZZNS1_14partition_implILS5_3ELb0ES3_jN6thrust23THRUST_200600_302600_NS6detail15normal_iteratorINSA_7pointerIyNSA_11hip_rocprim3tagENSA_11use_defaultESG_EEEEPS6_SJ_NS0_5tupleIJPySJ_EEENSK_IJSJ_SJ_EEES6_PlJ7is_evenIyEEEE10hipError_tPvRmT3_T4_T5_T6_T7_T9_mT8_P12ihipStream_tbDpT10_ENKUlT_T0_E_clISt17integral_constantIbLb1EES1A_EEDaS15_S16_EUlS15_E_NS1_11comp_targetILNS1_3genE0ELNS1_11target_archE4294967295ELNS1_3gpuE0ELNS1_3repE0EEENS1_30default_config_static_selectorELNS0_4arch9wavefront6targetE1EEEvT1_,"axG",@progbits,_ZN7rocprim17ROCPRIM_400000_NS6detail17trampoline_kernelINS0_14default_configENS1_25partition_config_selectorILNS1_17partition_subalgoE3EyNS0_10empty_typeEbEEZZNS1_14partition_implILS5_3ELb0ES3_jN6thrust23THRUST_200600_302600_NS6detail15normal_iteratorINSA_7pointerIyNSA_11hip_rocprim3tagENSA_11use_defaultESG_EEEEPS6_SJ_NS0_5tupleIJPySJ_EEENSK_IJSJ_SJ_EEES6_PlJ7is_evenIyEEEE10hipError_tPvRmT3_T4_T5_T6_T7_T9_mT8_P12ihipStream_tbDpT10_ENKUlT_T0_E_clISt17integral_constantIbLb1EES1A_EEDaS15_S16_EUlS15_E_NS1_11comp_targetILNS1_3genE0ELNS1_11target_archE4294967295ELNS1_3gpuE0ELNS1_3repE0EEENS1_30default_config_static_selectorELNS0_4arch9wavefront6targetE1EEEvT1_,comdat
	.protected	_ZN7rocprim17ROCPRIM_400000_NS6detail17trampoline_kernelINS0_14default_configENS1_25partition_config_selectorILNS1_17partition_subalgoE3EyNS0_10empty_typeEbEEZZNS1_14partition_implILS5_3ELb0ES3_jN6thrust23THRUST_200600_302600_NS6detail15normal_iteratorINSA_7pointerIyNSA_11hip_rocprim3tagENSA_11use_defaultESG_EEEEPS6_SJ_NS0_5tupleIJPySJ_EEENSK_IJSJ_SJ_EEES6_PlJ7is_evenIyEEEE10hipError_tPvRmT3_T4_T5_T6_T7_T9_mT8_P12ihipStream_tbDpT10_ENKUlT_T0_E_clISt17integral_constantIbLb1EES1A_EEDaS15_S16_EUlS15_E_NS1_11comp_targetILNS1_3genE0ELNS1_11target_archE4294967295ELNS1_3gpuE0ELNS1_3repE0EEENS1_30default_config_static_selectorELNS0_4arch9wavefront6targetE1EEEvT1_ ; -- Begin function _ZN7rocprim17ROCPRIM_400000_NS6detail17trampoline_kernelINS0_14default_configENS1_25partition_config_selectorILNS1_17partition_subalgoE3EyNS0_10empty_typeEbEEZZNS1_14partition_implILS5_3ELb0ES3_jN6thrust23THRUST_200600_302600_NS6detail15normal_iteratorINSA_7pointerIyNSA_11hip_rocprim3tagENSA_11use_defaultESG_EEEEPS6_SJ_NS0_5tupleIJPySJ_EEENSK_IJSJ_SJ_EEES6_PlJ7is_evenIyEEEE10hipError_tPvRmT3_T4_T5_T6_T7_T9_mT8_P12ihipStream_tbDpT10_ENKUlT_T0_E_clISt17integral_constantIbLb1EES1A_EEDaS15_S16_EUlS15_E_NS1_11comp_targetILNS1_3genE0ELNS1_11target_archE4294967295ELNS1_3gpuE0ELNS1_3repE0EEENS1_30default_config_static_selectorELNS0_4arch9wavefront6targetE1EEEvT1_
	.globl	_ZN7rocprim17ROCPRIM_400000_NS6detail17trampoline_kernelINS0_14default_configENS1_25partition_config_selectorILNS1_17partition_subalgoE3EyNS0_10empty_typeEbEEZZNS1_14partition_implILS5_3ELb0ES3_jN6thrust23THRUST_200600_302600_NS6detail15normal_iteratorINSA_7pointerIyNSA_11hip_rocprim3tagENSA_11use_defaultESG_EEEEPS6_SJ_NS0_5tupleIJPySJ_EEENSK_IJSJ_SJ_EEES6_PlJ7is_evenIyEEEE10hipError_tPvRmT3_T4_T5_T6_T7_T9_mT8_P12ihipStream_tbDpT10_ENKUlT_T0_E_clISt17integral_constantIbLb1EES1A_EEDaS15_S16_EUlS15_E_NS1_11comp_targetILNS1_3genE0ELNS1_11target_archE4294967295ELNS1_3gpuE0ELNS1_3repE0EEENS1_30default_config_static_selectorELNS0_4arch9wavefront6targetE1EEEvT1_
	.p2align	8
	.type	_ZN7rocprim17ROCPRIM_400000_NS6detail17trampoline_kernelINS0_14default_configENS1_25partition_config_selectorILNS1_17partition_subalgoE3EyNS0_10empty_typeEbEEZZNS1_14partition_implILS5_3ELb0ES3_jN6thrust23THRUST_200600_302600_NS6detail15normal_iteratorINSA_7pointerIyNSA_11hip_rocprim3tagENSA_11use_defaultESG_EEEEPS6_SJ_NS0_5tupleIJPySJ_EEENSK_IJSJ_SJ_EEES6_PlJ7is_evenIyEEEE10hipError_tPvRmT3_T4_T5_T6_T7_T9_mT8_P12ihipStream_tbDpT10_ENKUlT_T0_E_clISt17integral_constantIbLb1EES1A_EEDaS15_S16_EUlS15_E_NS1_11comp_targetILNS1_3genE0ELNS1_11target_archE4294967295ELNS1_3gpuE0ELNS1_3repE0EEENS1_30default_config_static_selectorELNS0_4arch9wavefront6targetE1EEEvT1_,@function
_ZN7rocprim17ROCPRIM_400000_NS6detail17trampoline_kernelINS0_14default_configENS1_25partition_config_selectorILNS1_17partition_subalgoE3EyNS0_10empty_typeEbEEZZNS1_14partition_implILS5_3ELb0ES3_jN6thrust23THRUST_200600_302600_NS6detail15normal_iteratorINSA_7pointerIyNSA_11hip_rocprim3tagENSA_11use_defaultESG_EEEEPS6_SJ_NS0_5tupleIJPySJ_EEENSK_IJSJ_SJ_EEES6_PlJ7is_evenIyEEEE10hipError_tPvRmT3_T4_T5_T6_T7_T9_mT8_P12ihipStream_tbDpT10_ENKUlT_T0_E_clISt17integral_constantIbLb1EES1A_EEDaS15_S16_EUlS15_E_NS1_11comp_targetILNS1_3genE0ELNS1_11target_archE4294967295ELNS1_3gpuE0ELNS1_3repE0EEENS1_30default_config_static_selectorELNS0_4arch9wavefront6targetE1EEEvT1_: ; @_ZN7rocprim17ROCPRIM_400000_NS6detail17trampoline_kernelINS0_14default_configENS1_25partition_config_selectorILNS1_17partition_subalgoE3EyNS0_10empty_typeEbEEZZNS1_14partition_implILS5_3ELb0ES3_jN6thrust23THRUST_200600_302600_NS6detail15normal_iteratorINSA_7pointerIyNSA_11hip_rocprim3tagENSA_11use_defaultESG_EEEEPS6_SJ_NS0_5tupleIJPySJ_EEENSK_IJSJ_SJ_EEES6_PlJ7is_evenIyEEEE10hipError_tPvRmT3_T4_T5_T6_T7_T9_mT8_P12ihipStream_tbDpT10_ENKUlT_T0_E_clISt17integral_constantIbLb1EES1A_EEDaS15_S16_EUlS15_E_NS1_11comp_targetILNS1_3genE0ELNS1_11target_archE4294967295ELNS1_3gpuE0ELNS1_3repE0EEENS1_30default_config_static_selectorELNS0_4arch9wavefront6targetE1EEEvT1_
; %bb.0:
	.section	.rodata,"a",@progbits
	.p2align	6, 0x0
	.amdhsa_kernel _ZN7rocprim17ROCPRIM_400000_NS6detail17trampoline_kernelINS0_14default_configENS1_25partition_config_selectorILNS1_17partition_subalgoE3EyNS0_10empty_typeEbEEZZNS1_14partition_implILS5_3ELb0ES3_jN6thrust23THRUST_200600_302600_NS6detail15normal_iteratorINSA_7pointerIyNSA_11hip_rocprim3tagENSA_11use_defaultESG_EEEEPS6_SJ_NS0_5tupleIJPySJ_EEENSK_IJSJ_SJ_EEES6_PlJ7is_evenIyEEEE10hipError_tPvRmT3_T4_T5_T6_T7_T9_mT8_P12ihipStream_tbDpT10_ENKUlT_T0_E_clISt17integral_constantIbLb1EES1A_EEDaS15_S16_EUlS15_E_NS1_11comp_targetILNS1_3genE0ELNS1_11target_archE4294967295ELNS1_3gpuE0ELNS1_3repE0EEENS1_30default_config_static_selectorELNS0_4arch9wavefront6targetE1EEEvT1_
		.amdhsa_group_segment_fixed_size 0
		.amdhsa_private_segment_fixed_size 0
		.amdhsa_kernarg_size 136
		.amdhsa_user_sgpr_count 6
		.amdhsa_user_sgpr_private_segment_buffer 1
		.amdhsa_user_sgpr_dispatch_ptr 0
		.amdhsa_user_sgpr_queue_ptr 0
		.amdhsa_user_sgpr_kernarg_segment_ptr 1
		.amdhsa_user_sgpr_dispatch_id 0
		.amdhsa_user_sgpr_flat_scratch_init 0
		.amdhsa_user_sgpr_kernarg_preload_length 0
		.amdhsa_user_sgpr_kernarg_preload_offset 0
		.amdhsa_user_sgpr_private_segment_size 0
		.amdhsa_uses_dynamic_stack 0
		.amdhsa_system_sgpr_private_segment_wavefront_offset 0
		.amdhsa_system_sgpr_workgroup_id_x 1
		.amdhsa_system_sgpr_workgroup_id_y 0
		.amdhsa_system_sgpr_workgroup_id_z 0
		.amdhsa_system_sgpr_workgroup_info 0
		.amdhsa_system_vgpr_workitem_id 0
		.amdhsa_next_free_vgpr 1
		.amdhsa_next_free_sgpr 0
		.amdhsa_accum_offset 4
		.amdhsa_reserve_vcc 0
		.amdhsa_reserve_flat_scratch 0
		.amdhsa_float_round_mode_32 0
		.amdhsa_float_round_mode_16_64 0
		.amdhsa_float_denorm_mode_32 3
		.amdhsa_float_denorm_mode_16_64 3
		.amdhsa_dx10_clamp 1
		.amdhsa_ieee_mode 1
		.amdhsa_fp16_overflow 0
		.amdhsa_tg_split 0
		.amdhsa_exception_fp_ieee_invalid_op 0
		.amdhsa_exception_fp_denorm_src 0
		.amdhsa_exception_fp_ieee_div_zero 0
		.amdhsa_exception_fp_ieee_overflow 0
		.amdhsa_exception_fp_ieee_underflow 0
		.amdhsa_exception_fp_ieee_inexact 0
		.amdhsa_exception_int_div_zero 0
	.end_amdhsa_kernel
	.section	.text._ZN7rocprim17ROCPRIM_400000_NS6detail17trampoline_kernelINS0_14default_configENS1_25partition_config_selectorILNS1_17partition_subalgoE3EyNS0_10empty_typeEbEEZZNS1_14partition_implILS5_3ELb0ES3_jN6thrust23THRUST_200600_302600_NS6detail15normal_iteratorINSA_7pointerIyNSA_11hip_rocprim3tagENSA_11use_defaultESG_EEEEPS6_SJ_NS0_5tupleIJPySJ_EEENSK_IJSJ_SJ_EEES6_PlJ7is_evenIyEEEE10hipError_tPvRmT3_T4_T5_T6_T7_T9_mT8_P12ihipStream_tbDpT10_ENKUlT_T0_E_clISt17integral_constantIbLb1EES1A_EEDaS15_S16_EUlS15_E_NS1_11comp_targetILNS1_3genE0ELNS1_11target_archE4294967295ELNS1_3gpuE0ELNS1_3repE0EEENS1_30default_config_static_selectorELNS0_4arch9wavefront6targetE1EEEvT1_,"axG",@progbits,_ZN7rocprim17ROCPRIM_400000_NS6detail17trampoline_kernelINS0_14default_configENS1_25partition_config_selectorILNS1_17partition_subalgoE3EyNS0_10empty_typeEbEEZZNS1_14partition_implILS5_3ELb0ES3_jN6thrust23THRUST_200600_302600_NS6detail15normal_iteratorINSA_7pointerIyNSA_11hip_rocprim3tagENSA_11use_defaultESG_EEEEPS6_SJ_NS0_5tupleIJPySJ_EEENSK_IJSJ_SJ_EEES6_PlJ7is_evenIyEEEE10hipError_tPvRmT3_T4_T5_T6_T7_T9_mT8_P12ihipStream_tbDpT10_ENKUlT_T0_E_clISt17integral_constantIbLb1EES1A_EEDaS15_S16_EUlS15_E_NS1_11comp_targetILNS1_3genE0ELNS1_11target_archE4294967295ELNS1_3gpuE0ELNS1_3repE0EEENS1_30default_config_static_selectorELNS0_4arch9wavefront6targetE1EEEvT1_,comdat
.Lfunc_end682:
	.size	_ZN7rocprim17ROCPRIM_400000_NS6detail17trampoline_kernelINS0_14default_configENS1_25partition_config_selectorILNS1_17partition_subalgoE3EyNS0_10empty_typeEbEEZZNS1_14partition_implILS5_3ELb0ES3_jN6thrust23THRUST_200600_302600_NS6detail15normal_iteratorINSA_7pointerIyNSA_11hip_rocprim3tagENSA_11use_defaultESG_EEEEPS6_SJ_NS0_5tupleIJPySJ_EEENSK_IJSJ_SJ_EEES6_PlJ7is_evenIyEEEE10hipError_tPvRmT3_T4_T5_T6_T7_T9_mT8_P12ihipStream_tbDpT10_ENKUlT_T0_E_clISt17integral_constantIbLb1EES1A_EEDaS15_S16_EUlS15_E_NS1_11comp_targetILNS1_3genE0ELNS1_11target_archE4294967295ELNS1_3gpuE0ELNS1_3repE0EEENS1_30default_config_static_selectorELNS0_4arch9wavefront6targetE1EEEvT1_, .Lfunc_end682-_ZN7rocprim17ROCPRIM_400000_NS6detail17trampoline_kernelINS0_14default_configENS1_25partition_config_selectorILNS1_17partition_subalgoE3EyNS0_10empty_typeEbEEZZNS1_14partition_implILS5_3ELb0ES3_jN6thrust23THRUST_200600_302600_NS6detail15normal_iteratorINSA_7pointerIyNSA_11hip_rocprim3tagENSA_11use_defaultESG_EEEEPS6_SJ_NS0_5tupleIJPySJ_EEENSK_IJSJ_SJ_EEES6_PlJ7is_evenIyEEEE10hipError_tPvRmT3_T4_T5_T6_T7_T9_mT8_P12ihipStream_tbDpT10_ENKUlT_T0_E_clISt17integral_constantIbLb1EES1A_EEDaS15_S16_EUlS15_E_NS1_11comp_targetILNS1_3genE0ELNS1_11target_archE4294967295ELNS1_3gpuE0ELNS1_3repE0EEENS1_30default_config_static_selectorELNS0_4arch9wavefront6targetE1EEEvT1_
                                        ; -- End function
	.section	.AMDGPU.csdata,"",@progbits
; Kernel info:
; codeLenInByte = 0
; NumSgprs: 4
; NumVgprs: 0
; NumAgprs: 0
; TotalNumVgprs: 0
; ScratchSize: 0
; MemoryBound: 0
; FloatMode: 240
; IeeeMode: 1
; LDSByteSize: 0 bytes/workgroup (compile time only)
; SGPRBlocks: 0
; VGPRBlocks: 0
; NumSGPRsForWavesPerEU: 4
; NumVGPRsForWavesPerEU: 1
; AccumOffset: 4
; Occupancy: 8
; WaveLimiterHint : 0
; COMPUTE_PGM_RSRC2:SCRATCH_EN: 0
; COMPUTE_PGM_RSRC2:USER_SGPR: 6
; COMPUTE_PGM_RSRC2:TRAP_HANDLER: 0
; COMPUTE_PGM_RSRC2:TGID_X_EN: 1
; COMPUTE_PGM_RSRC2:TGID_Y_EN: 0
; COMPUTE_PGM_RSRC2:TGID_Z_EN: 0
; COMPUTE_PGM_RSRC2:TIDIG_COMP_CNT: 0
; COMPUTE_PGM_RSRC3_GFX90A:ACCUM_OFFSET: 0
; COMPUTE_PGM_RSRC3_GFX90A:TG_SPLIT: 0
	.section	.text._ZN7rocprim17ROCPRIM_400000_NS6detail17trampoline_kernelINS0_14default_configENS1_25partition_config_selectorILNS1_17partition_subalgoE3EyNS0_10empty_typeEbEEZZNS1_14partition_implILS5_3ELb0ES3_jN6thrust23THRUST_200600_302600_NS6detail15normal_iteratorINSA_7pointerIyNSA_11hip_rocprim3tagENSA_11use_defaultESG_EEEEPS6_SJ_NS0_5tupleIJPySJ_EEENSK_IJSJ_SJ_EEES6_PlJ7is_evenIyEEEE10hipError_tPvRmT3_T4_T5_T6_T7_T9_mT8_P12ihipStream_tbDpT10_ENKUlT_T0_E_clISt17integral_constantIbLb1EES1A_EEDaS15_S16_EUlS15_E_NS1_11comp_targetILNS1_3genE5ELNS1_11target_archE942ELNS1_3gpuE9ELNS1_3repE0EEENS1_30default_config_static_selectorELNS0_4arch9wavefront6targetE1EEEvT1_,"axG",@progbits,_ZN7rocprim17ROCPRIM_400000_NS6detail17trampoline_kernelINS0_14default_configENS1_25partition_config_selectorILNS1_17partition_subalgoE3EyNS0_10empty_typeEbEEZZNS1_14partition_implILS5_3ELb0ES3_jN6thrust23THRUST_200600_302600_NS6detail15normal_iteratorINSA_7pointerIyNSA_11hip_rocprim3tagENSA_11use_defaultESG_EEEEPS6_SJ_NS0_5tupleIJPySJ_EEENSK_IJSJ_SJ_EEES6_PlJ7is_evenIyEEEE10hipError_tPvRmT3_T4_T5_T6_T7_T9_mT8_P12ihipStream_tbDpT10_ENKUlT_T0_E_clISt17integral_constantIbLb1EES1A_EEDaS15_S16_EUlS15_E_NS1_11comp_targetILNS1_3genE5ELNS1_11target_archE942ELNS1_3gpuE9ELNS1_3repE0EEENS1_30default_config_static_selectorELNS0_4arch9wavefront6targetE1EEEvT1_,comdat
	.protected	_ZN7rocprim17ROCPRIM_400000_NS6detail17trampoline_kernelINS0_14default_configENS1_25partition_config_selectorILNS1_17partition_subalgoE3EyNS0_10empty_typeEbEEZZNS1_14partition_implILS5_3ELb0ES3_jN6thrust23THRUST_200600_302600_NS6detail15normal_iteratorINSA_7pointerIyNSA_11hip_rocprim3tagENSA_11use_defaultESG_EEEEPS6_SJ_NS0_5tupleIJPySJ_EEENSK_IJSJ_SJ_EEES6_PlJ7is_evenIyEEEE10hipError_tPvRmT3_T4_T5_T6_T7_T9_mT8_P12ihipStream_tbDpT10_ENKUlT_T0_E_clISt17integral_constantIbLb1EES1A_EEDaS15_S16_EUlS15_E_NS1_11comp_targetILNS1_3genE5ELNS1_11target_archE942ELNS1_3gpuE9ELNS1_3repE0EEENS1_30default_config_static_selectorELNS0_4arch9wavefront6targetE1EEEvT1_ ; -- Begin function _ZN7rocprim17ROCPRIM_400000_NS6detail17trampoline_kernelINS0_14default_configENS1_25partition_config_selectorILNS1_17partition_subalgoE3EyNS0_10empty_typeEbEEZZNS1_14partition_implILS5_3ELb0ES3_jN6thrust23THRUST_200600_302600_NS6detail15normal_iteratorINSA_7pointerIyNSA_11hip_rocprim3tagENSA_11use_defaultESG_EEEEPS6_SJ_NS0_5tupleIJPySJ_EEENSK_IJSJ_SJ_EEES6_PlJ7is_evenIyEEEE10hipError_tPvRmT3_T4_T5_T6_T7_T9_mT8_P12ihipStream_tbDpT10_ENKUlT_T0_E_clISt17integral_constantIbLb1EES1A_EEDaS15_S16_EUlS15_E_NS1_11comp_targetILNS1_3genE5ELNS1_11target_archE942ELNS1_3gpuE9ELNS1_3repE0EEENS1_30default_config_static_selectorELNS0_4arch9wavefront6targetE1EEEvT1_
	.globl	_ZN7rocprim17ROCPRIM_400000_NS6detail17trampoline_kernelINS0_14default_configENS1_25partition_config_selectorILNS1_17partition_subalgoE3EyNS0_10empty_typeEbEEZZNS1_14partition_implILS5_3ELb0ES3_jN6thrust23THRUST_200600_302600_NS6detail15normal_iteratorINSA_7pointerIyNSA_11hip_rocprim3tagENSA_11use_defaultESG_EEEEPS6_SJ_NS0_5tupleIJPySJ_EEENSK_IJSJ_SJ_EEES6_PlJ7is_evenIyEEEE10hipError_tPvRmT3_T4_T5_T6_T7_T9_mT8_P12ihipStream_tbDpT10_ENKUlT_T0_E_clISt17integral_constantIbLb1EES1A_EEDaS15_S16_EUlS15_E_NS1_11comp_targetILNS1_3genE5ELNS1_11target_archE942ELNS1_3gpuE9ELNS1_3repE0EEENS1_30default_config_static_selectorELNS0_4arch9wavefront6targetE1EEEvT1_
	.p2align	8
	.type	_ZN7rocprim17ROCPRIM_400000_NS6detail17trampoline_kernelINS0_14default_configENS1_25partition_config_selectorILNS1_17partition_subalgoE3EyNS0_10empty_typeEbEEZZNS1_14partition_implILS5_3ELb0ES3_jN6thrust23THRUST_200600_302600_NS6detail15normal_iteratorINSA_7pointerIyNSA_11hip_rocprim3tagENSA_11use_defaultESG_EEEEPS6_SJ_NS0_5tupleIJPySJ_EEENSK_IJSJ_SJ_EEES6_PlJ7is_evenIyEEEE10hipError_tPvRmT3_T4_T5_T6_T7_T9_mT8_P12ihipStream_tbDpT10_ENKUlT_T0_E_clISt17integral_constantIbLb1EES1A_EEDaS15_S16_EUlS15_E_NS1_11comp_targetILNS1_3genE5ELNS1_11target_archE942ELNS1_3gpuE9ELNS1_3repE0EEENS1_30default_config_static_selectorELNS0_4arch9wavefront6targetE1EEEvT1_,@function
_ZN7rocprim17ROCPRIM_400000_NS6detail17trampoline_kernelINS0_14default_configENS1_25partition_config_selectorILNS1_17partition_subalgoE3EyNS0_10empty_typeEbEEZZNS1_14partition_implILS5_3ELb0ES3_jN6thrust23THRUST_200600_302600_NS6detail15normal_iteratorINSA_7pointerIyNSA_11hip_rocprim3tagENSA_11use_defaultESG_EEEEPS6_SJ_NS0_5tupleIJPySJ_EEENSK_IJSJ_SJ_EEES6_PlJ7is_evenIyEEEE10hipError_tPvRmT3_T4_T5_T6_T7_T9_mT8_P12ihipStream_tbDpT10_ENKUlT_T0_E_clISt17integral_constantIbLb1EES1A_EEDaS15_S16_EUlS15_E_NS1_11comp_targetILNS1_3genE5ELNS1_11target_archE942ELNS1_3gpuE9ELNS1_3repE0EEENS1_30default_config_static_selectorELNS0_4arch9wavefront6targetE1EEEvT1_: ; @_ZN7rocprim17ROCPRIM_400000_NS6detail17trampoline_kernelINS0_14default_configENS1_25partition_config_selectorILNS1_17partition_subalgoE3EyNS0_10empty_typeEbEEZZNS1_14partition_implILS5_3ELb0ES3_jN6thrust23THRUST_200600_302600_NS6detail15normal_iteratorINSA_7pointerIyNSA_11hip_rocprim3tagENSA_11use_defaultESG_EEEEPS6_SJ_NS0_5tupleIJPySJ_EEENSK_IJSJ_SJ_EEES6_PlJ7is_evenIyEEEE10hipError_tPvRmT3_T4_T5_T6_T7_T9_mT8_P12ihipStream_tbDpT10_ENKUlT_T0_E_clISt17integral_constantIbLb1EES1A_EEDaS15_S16_EUlS15_E_NS1_11comp_targetILNS1_3genE5ELNS1_11target_archE942ELNS1_3gpuE9ELNS1_3repE0EEENS1_30default_config_static_selectorELNS0_4arch9wavefront6targetE1EEEvT1_
; %bb.0:
	.section	.rodata,"a",@progbits
	.p2align	6, 0x0
	.amdhsa_kernel _ZN7rocprim17ROCPRIM_400000_NS6detail17trampoline_kernelINS0_14default_configENS1_25partition_config_selectorILNS1_17partition_subalgoE3EyNS0_10empty_typeEbEEZZNS1_14partition_implILS5_3ELb0ES3_jN6thrust23THRUST_200600_302600_NS6detail15normal_iteratorINSA_7pointerIyNSA_11hip_rocprim3tagENSA_11use_defaultESG_EEEEPS6_SJ_NS0_5tupleIJPySJ_EEENSK_IJSJ_SJ_EEES6_PlJ7is_evenIyEEEE10hipError_tPvRmT3_T4_T5_T6_T7_T9_mT8_P12ihipStream_tbDpT10_ENKUlT_T0_E_clISt17integral_constantIbLb1EES1A_EEDaS15_S16_EUlS15_E_NS1_11comp_targetILNS1_3genE5ELNS1_11target_archE942ELNS1_3gpuE9ELNS1_3repE0EEENS1_30default_config_static_selectorELNS0_4arch9wavefront6targetE1EEEvT1_
		.amdhsa_group_segment_fixed_size 0
		.amdhsa_private_segment_fixed_size 0
		.amdhsa_kernarg_size 136
		.amdhsa_user_sgpr_count 6
		.amdhsa_user_sgpr_private_segment_buffer 1
		.amdhsa_user_sgpr_dispatch_ptr 0
		.amdhsa_user_sgpr_queue_ptr 0
		.amdhsa_user_sgpr_kernarg_segment_ptr 1
		.amdhsa_user_sgpr_dispatch_id 0
		.amdhsa_user_sgpr_flat_scratch_init 0
		.amdhsa_user_sgpr_kernarg_preload_length 0
		.amdhsa_user_sgpr_kernarg_preload_offset 0
		.amdhsa_user_sgpr_private_segment_size 0
		.amdhsa_uses_dynamic_stack 0
		.amdhsa_system_sgpr_private_segment_wavefront_offset 0
		.amdhsa_system_sgpr_workgroup_id_x 1
		.amdhsa_system_sgpr_workgroup_id_y 0
		.amdhsa_system_sgpr_workgroup_id_z 0
		.amdhsa_system_sgpr_workgroup_info 0
		.amdhsa_system_vgpr_workitem_id 0
		.amdhsa_next_free_vgpr 1
		.amdhsa_next_free_sgpr 0
		.amdhsa_accum_offset 4
		.amdhsa_reserve_vcc 0
		.amdhsa_reserve_flat_scratch 0
		.amdhsa_float_round_mode_32 0
		.amdhsa_float_round_mode_16_64 0
		.amdhsa_float_denorm_mode_32 3
		.amdhsa_float_denorm_mode_16_64 3
		.amdhsa_dx10_clamp 1
		.amdhsa_ieee_mode 1
		.amdhsa_fp16_overflow 0
		.amdhsa_tg_split 0
		.amdhsa_exception_fp_ieee_invalid_op 0
		.amdhsa_exception_fp_denorm_src 0
		.amdhsa_exception_fp_ieee_div_zero 0
		.amdhsa_exception_fp_ieee_overflow 0
		.amdhsa_exception_fp_ieee_underflow 0
		.amdhsa_exception_fp_ieee_inexact 0
		.amdhsa_exception_int_div_zero 0
	.end_amdhsa_kernel
	.section	.text._ZN7rocprim17ROCPRIM_400000_NS6detail17trampoline_kernelINS0_14default_configENS1_25partition_config_selectorILNS1_17partition_subalgoE3EyNS0_10empty_typeEbEEZZNS1_14partition_implILS5_3ELb0ES3_jN6thrust23THRUST_200600_302600_NS6detail15normal_iteratorINSA_7pointerIyNSA_11hip_rocprim3tagENSA_11use_defaultESG_EEEEPS6_SJ_NS0_5tupleIJPySJ_EEENSK_IJSJ_SJ_EEES6_PlJ7is_evenIyEEEE10hipError_tPvRmT3_T4_T5_T6_T7_T9_mT8_P12ihipStream_tbDpT10_ENKUlT_T0_E_clISt17integral_constantIbLb1EES1A_EEDaS15_S16_EUlS15_E_NS1_11comp_targetILNS1_3genE5ELNS1_11target_archE942ELNS1_3gpuE9ELNS1_3repE0EEENS1_30default_config_static_selectorELNS0_4arch9wavefront6targetE1EEEvT1_,"axG",@progbits,_ZN7rocprim17ROCPRIM_400000_NS6detail17trampoline_kernelINS0_14default_configENS1_25partition_config_selectorILNS1_17partition_subalgoE3EyNS0_10empty_typeEbEEZZNS1_14partition_implILS5_3ELb0ES3_jN6thrust23THRUST_200600_302600_NS6detail15normal_iteratorINSA_7pointerIyNSA_11hip_rocprim3tagENSA_11use_defaultESG_EEEEPS6_SJ_NS0_5tupleIJPySJ_EEENSK_IJSJ_SJ_EEES6_PlJ7is_evenIyEEEE10hipError_tPvRmT3_T4_T5_T6_T7_T9_mT8_P12ihipStream_tbDpT10_ENKUlT_T0_E_clISt17integral_constantIbLb1EES1A_EEDaS15_S16_EUlS15_E_NS1_11comp_targetILNS1_3genE5ELNS1_11target_archE942ELNS1_3gpuE9ELNS1_3repE0EEENS1_30default_config_static_selectorELNS0_4arch9wavefront6targetE1EEEvT1_,comdat
.Lfunc_end683:
	.size	_ZN7rocprim17ROCPRIM_400000_NS6detail17trampoline_kernelINS0_14default_configENS1_25partition_config_selectorILNS1_17partition_subalgoE3EyNS0_10empty_typeEbEEZZNS1_14partition_implILS5_3ELb0ES3_jN6thrust23THRUST_200600_302600_NS6detail15normal_iteratorINSA_7pointerIyNSA_11hip_rocprim3tagENSA_11use_defaultESG_EEEEPS6_SJ_NS0_5tupleIJPySJ_EEENSK_IJSJ_SJ_EEES6_PlJ7is_evenIyEEEE10hipError_tPvRmT3_T4_T5_T6_T7_T9_mT8_P12ihipStream_tbDpT10_ENKUlT_T0_E_clISt17integral_constantIbLb1EES1A_EEDaS15_S16_EUlS15_E_NS1_11comp_targetILNS1_3genE5ELNS1_11target_archE942ELNS1_3gpuE9ELNS1_3repE0EEENS1_30default_config_static_selectorELNS0_4arch9wavefront6targetE1EEEvT1_, .Lfunc_end683-_ZN7rocprim17ROCPRIM_400000_NS6detail17trampoline_kernelINS0_14default_configENS1_25partition_config_selectorILNS1_17partition_subalgoE3EyNS0_10empty_typeEbEEZZNS1_14partition_implILS5_3ELb0ES3_jN6thrust23THRUST_200600_302600_NS6detail15normal_iteratorINSA_7pointerIyNSA_11hip_rocprim3tagENSA_11use_defaultESG_EEEEPS6_SJ_NS0_5tupleIJPySJ_EEENSK_IJSJ_SJ_EEES6_PlJ7is_evenIyEEEE10hipError_tPvRmT3_T4_T5_T6_T7_T9_mT8_P12ihipStream_tbDpT10_ENKUlT_T0_E_clISt17integral_constantIbLb1EES1A_EEDaS15_S16_EUlS15_E_NS1_11comp_targetILNS1_3genE5ELNS1_11target_archE942ELNS1_3gpuE9ELNS1_3repE0EEENS1_30default_config_static_selectorELNS0_4arch9wavefront6targetE1EEEvT1_
                                        ; -- End function
	.section	.AMDGPU.csdata,"",@progbits
; Kernel info:
; codeLenInByte = 0
; NumSgprs: 4
; NumVgprs: 0
; NumAgprs: 0
; TotalNumVgprs: 0
; ScratchSize: 0
; MemoryBound: 0
; FloatMode: 240
; IeeeMode: 1
; LDSByteSize: 0 bytes/workgroup (compile time only)
; SGPRBlocks: 0
; VGPRBlocks: 0
; NumSGPRsForWavesPerEU: 4
; NumVGPRsForWavesPerEU: 1
; AccumOffset: 4
; Occupancy: 8
; WaveLimiterHint : 0
; COMPUTE_PGM_RSRC2:SCRATCH_EN: 0
; COMPUTE_PGM_RSRC2:USER_SGPR: 6
; COMPUTE_PGM_RSRC2:TRAP_HANDLER: 0
; COMPUTE_PGM_RSRC2:TGID_X_EN: 1
; COMPUTE_PGM_RSRC2:TGID_Y_EN: 0
; COMPUTE_PGM_RSRC2:TGID_Z_EN: 0
; COMPUTE_PGM_RSRC2:TIDIG_COMP_CNT: 0
; COMPUTE_PGM_RSRC3_GFX90A:ACCUM_OFFSET: 0
; COMPUTE_PGM_RSRC3_GFX90A:TG_SPLIT: 0
	.section	.text._ZN7rocprim17ROCPRIM_400000_NS6detail17trampoline_kernelINS0_14default_configENS1_25partition_config_selectorILNS1_17partition_subalgoE3EyNS0_10empty_typeEbEEZZNS1_14partition_implILS5_3ELb0ES3_jN6thrust23THRUST_200600_302600_NS6detail15normal_iteratorINSA_7pointerIyNSA_11hip_rocprim3tagENSA_11use_defaultESG_EEEEPS6_SJ_NS0_5tupleIJPySJ_EEENSK_IJSJ_SJ_EEES6_PlJ7is_evenIyEEEE10hipError_tPvRmT3_T4_T5_T6_T7_T9_mT8_P12ihipStream_tbDpT10_ENKUlT_T0_E_clISt17integral_constantIbLb1EES1A_EEDaS15_S16_EUlS15_E_NS1_11comp_targetILNS1_3genE4ELNS1_11target_archE910ELNS1_3gpuE8ELNS1_3repE0EEENS1_30default_config_static_selectorELNS0_4arch9wavefront6targetE1EEEvT1_,"axG",@progbits,_ZN7rocprim17ROCPRIM_400000_NS6detail17trampoline_kernelINS0_14default_configENS1_25partition_config_selectorILNS1_17partition_subalgoE3EyNS0_10empty_typeEbEEZZNS1_14partition_implILS5_3ELb0ES3_jN6thrust23THRUST_200600_302600_NS6detail15normal_iteratorINSA_7pointerIyNSA_11hip_rocprim3tagENSA_11use_defaultESG_EEEEPS6_SJ_NS0_5tupleIJPySJ_EEENSK_IJSJ_SJ_EEES6_PlJ7is_evenIyEEEE10hipError_tPvRmT3_T4_T5_T6_T7_T9_mT8_P12ihipStream_tbDpT10_ENKUlT_T0_E_clISt17integral_constantIbLb1EES1A_EEDaS15_S16_EUlS15_E_NS1_11comp_targetILNS1_3genE4ELNS1_11target_archE910ELNS1_3gpuE8ELNS1_3repE0EEENS1_30default_config_static_selectorELNS0_4arch9wavefront6targetE1EEEvT1_,comdat
	.protected	_ZN7rocprim17ROCPRIM_400000_NS6detail17trampoline_kernelINS0_14default_configENS1_25partition_config_selectorILNS1_17partition_subalgoE3EyNS0_10empty_typeEbEEZZNS1_14partition_implILS5_3ELb0ES3_jN6thrust23THRUST_200600_302600_NS6detail15normal_iteratorINSA_7pointerIyNSA_11hip_rocprim3tagENSA_11use_defaultESG_EEEEPS6_SJ_NS0_5tupleIJPySJ_EEENSK_IJSJ_SJ_EEES6_PlJ7is_evenIyEEEE10hipError_tPvRmT3_T4_T5_T6_T7_T9_mT8_P12ihipStream_tbDpT10_ENKUlT_T0_E_clISt17integral_constantIbLb1EES1A_EEDaS15_S16_EUlS15_E_NS1_11comp_targetILNS1_3genE4ELNS1_11target_archE910ELNS1_3gpuE8ELNS1_3repE0EEENS1_30default_config_static_selectorELNS0_4arch9wavefront6targetE1EEEvT1_ ; -- Begin function _ZN7rocprim17ROCPRIM_400000_NS6detail17trampoline_kernelINS0_14default_configENS1_25partition_config_selectorILNS1_17partition_subalgoE3EyNS0_10empty_typeEbEEZZNS1_14partition_implILS5_3ELb0ES3_jN6thrust23THRUST_200600_302600_NS6detail15normal_iteratorINSA_7pointerIyNSA_11hip_rocprim3tagENSA_11use_defaultESG_EEEEPS6_SJ_NS0_5tupleIJPySJ_EEENSK_IJSJ_SJ_EEES6_PlJ7is_evenIyEEEE10hipError_tPvRmT3_T4_T5_T6_T7_T9_mT8_P12ihipStream_tbDpT10_ENKUlT_T0_E_clISt17integral_constantIbLb1EES1A_EEDaS15_S16_EUlS15_E_NS1_11comp_targetILNS1_3genE4ELNS1_11target_archE910ELNS1_3gpuE8ELNS1_3repE0EEENS1_30default_config_static_selectorELNS0_4arch9wavefront6targetE1EEEvT1_
	.globl	_ZN7rocprim17ROCPRIM_400000_NS6detail17trampoline_kernelINS0_14default_configENS1_25partition_config_selectorILNS1_17partition_subalgoE3EyNS0_10empty_typeEbEEZZNS1_14partition_implILS5_3ELb0ES3_jN6thrust23THRUST_200600_302600_NS6detail15normal_iteratorINSA_7pointerIyNSA_11hip_rocprim3tagENSA_11use_defaultESG_EEEEPS6_SJ_NS0_5tupleIJPySJ_EEENSK_IJSJ_SJ_EEES6_PlJ7is_evenIyEEEE10hipError_tPvRmT3_T4_T5_T6_T7_T9_mT8_P12ihipStream_tbDpT10_ENKUlT_T0_E_clISt17integral_constantIbLb1EES1A_EEDaS15_S16_EUlS15_E_NS1_11comp_targetILNS1_3genE4ELNS1_11target_archE910ELNS1_3gpuE8ELNS1_3repE0EEENS1_30default_config_static_selectorELNS0_4arch9wavefront6targetE1EEEvT1_
	.p2align	8
	.type	_ZN7rocprim17ROCPRIM_400000_NS6detail17trampoline_kernelINS0_14default_configENS1_25partition_config_selectorILNS1_17partition_subalgoE3EyNS0_10empty_typeEbEEZZNS1_14partition_implILS5_3ELb0ES3_jN6thrust23THRUST_200600_302600_NS6detail15normal_iteratorINSA_7pointerIyNSA_11hip_rocprim3tagENSA_11use_defaultESG_EEEEPS6_SJ_NS0_5tupleIJPySJ_EEENSK_IJSJ_SJ_EEES6_PlJ7is_evenIyEEEE10hipError_tPvRmT3_T4_T5_T6_T7_T9_mT8_P12ihipStream_tbDpT10_ENKUlT_T0_E_clISt17integral_constantIbLb1EES1A_EEDaS15_S16_EUlS15_E_NS1_11comp_targetILNS1_3genE4ELNS1_11target_archE910ELNS1_3gpuE8ELNS1_3repE0EEENS1_30default_config_static_selectorELNS0_4arch9wavefront6targetE1EEEvT1_,@function
_ZN7rocprim17ROCPRIM_400000_NS6detail17trampoline_kernelINS0_14default_configENS1_25partition_config_selectorILNS1_17partition_subalgoE3EyNS0_10empty_typeEbEEZZNS1_14partition_implILS5_3ELb0ES3_jN6thrust23THRUST_200600_302600_NS6detail15normal_iteratorINSA_7pointerIyNSA_11hip_rocprim3tagENSA_11use_defaultESG_EEEEPS6_SJ_NS0_5tupleIJPySJ_EEENSK_IJSJ_SJ_EEES6_PlJ7is_evenIyEEEE10hipError_tPvRmT3_T4_T5_T6_T7_T9_mT8_P12ihipStream_tbDpT10_ENKUlT_T0_E_clISt17integral_constantIbLb1EES1A_EEDaS15_S16_EUlS15_E_NS1_11comp_targetILNS1_3genE4ELNS1_11target_archE910ELNS1_3gpuE8ELNS1_3repE0EEENS1_30default_config_static_selectorELNS0_4arch9wavefront6targetE1EEEvT1_: ; @_ZN7rocprim17ROCPRIM_400000_NS6detail17trampoline_kernelINS0_14default_configENS1_25partition_config_selectorILNS1_17partition_subalgoE3EyNS0_10empty_typeEbEEZZNS1_14partition_implILS5_3ELb0ES3_jN6thrust23THRUST_200600_302600_NS6detail15normal_iteratorINSA_7pointerIyNSA_11hip_rocprim3tagENSA_11use_defaultESG_EEEEPS6_SJ_NS0_5tupleIJPySJ_EEENSK_IJSJ_SJ_EEES6_PlJ7is_evenIyEEEE10hipError_tPvRmT3_T4_T5_T6_T7_T9_mT8_P12ihipStream_tbDpT10_ENKUlT_T0_E_clISt17integral_constantIbLb1EES1A_EEDaS15_S16_EUlS15_E_NS1_11comp_targetILNS1_3genE4ELNS1_11target_archE910ELNS1_3gpuE8ELNS1_3repE0EEENS1_30default_config_static_selectorELNS0_4arch9wavefront6targetE1EEEvT1_
; %bb.0:
	s_load_dwordx2 s[28:29], s[4:5], 0x28
	s_load_dwordx4 s[20:23], s[4:5], 0x48
	s_load_dwordx2 s[30:31], s[4:5], 0x58
	s_load_dwordx2 s[34:35], s[4:5], 0x68
	v_cmp_eq_u32_e64 s[0:1], 0, v0
	s_and_saveexec_b64 s[2:3], s[0:1]
	s_cbranch_execz .LBB684_4
; %bb.1:
	s_mov_b64 s[8:9], exec
	v_mbcnt_lo_u32_b32 v1, s8, 0
	v_mbcnt_hi_u32_b32 v1, s9, v1
	v_cmp_eq_u32_e32 vcc, 0, v1
                                        ; implicit-def: $vgpr2
	s_and_saveexec_b64 s[6:7], vcc
	s_cbranch_execz .LBB684_3
; %bb.2:
	s_load_dwordx2 s[10:11], s[4:5], 0x78
	s_bcnt1_i32_b64 s8, s[8:9]
	v_mov_b32_e32 v2, 0
	v_mov_b32_e32 v3, s8
	s_waitcnt lgkmcnt(0)
	global_atomic_add v2, v2, v3, s[10:11] glc
.LBB684_3:
	s_or_b64 exec, exec, s[6:7]
	s_waitcnt vmcnt(0)
	v_readfirstlane_b32 s6, v2
	v_add_u32_e32 v1, s6, v1
	v_mov_b32_e32 v2, 0
	ds_write_b32 v2, v1
.LBB684_4:
	s_or_b64 exec, exec, s[2:3]
	v_mov_b32_e32 v11, 0
	s_load_dwordx4 s[24:27], s[4:5], 0x8
	s_load_dword s2, s[4:5], 0x70
	s_waitcnt lgkmcnt(0)
	s_barrier
	ds_read_b32 v1, v11
	s_waitcnt lgkmcnt(0)
	s_barrier
	global_load_dwordx2 v[12:13], v11, s[22:23]
	s_lshl_b64 s[4:5], s[26:27], 3
	s_add_u32 s6, s24, s4
	s_addc_u32 s7, s25, s5
	s_movk_i32 s3, 0x300
	s_add_i32 s4, s2, -1
	s_mulk_i32 s2, 0x300
	v_mul_lo_u32 v10, v1, s3
	s_add_i32 s3, s2, s26
	s_sub_i32 s33, s30, s3
	s_addk_i32 s33, 0x300
	s_add_u32 s2, s26, s2
	v_readfirstlane_b32 s40, v1
	s_addc_u32 s3, s27, 0
	s_cmp_eq_u32 s40, s4
	v_pk_mov_b32 v[2:3], s[30:31], s[30:31] op_sel:[0,1]
	s_cselect_b64 s[22:23], -1, 0
	s_cmp_lg_u32 s40, s4
	v_cmp_lt_u64_e32 vcc, s[2:3], v[2:3]
	s_cselect_b64 s[2:3], -1, 0
	v_lshlrev_b64 v[2:3], 3, v[10:11]
	s_or_b64 s[4:5], vcc, s[2:3]
	v_mov_b32_e32 v1, s7
	v_add_co_u32_e32 v14, vcc, s6, v2
	v_addc_co_u32_e32 v15, vcc, v1, v3, vcc
	s_mov_b64 s[2:3], -1
	s_and_b64 vcc, exec, s[4:5]
	v_lshlrev_b32_e32 v1, 3, v0
	v_lshrrev_b32_e32 v11, 2, v0
	s_cbranch_vccz .LBB684_6
; %bb.5:
	v_add_co_u32_e32 v2, vcc, v14, v1
	v_addc_co_u32_e32 v3, vcc, 0, v15, vcc
	v_add_co_u32_e32 v4, vcc, 0x1000, v2
	v_addc_co_u32_e32 v5, vcc, 0, v3, vcc
	flat_load_dwordx2 v[6:7], v[2:3]
	flat_load_dwordx2 v[8:9], v[2:3] offset:1536
	flat_load_dwordx2 v[16:17], v[2:3] offset:3072
	;; [unrolled: 1-line block ×3, first 2 shown]
	v_add_u32_e32 v3, 0xc0, v0
	v_add_u32_e32 v4, 0x180, v0
	;; [unrolled: 1-line block ×3, first 2 shown]
	v_and_b32_e32 v2, 56, v11
	v_lshrrev_b32_e32 v3, 2, v3
	v_lshrrev_b32_e32 v4, 2, v4
	;; [unrolled: 1-line block ×3, first 2 shown]
	v_add_u32_e32 v2, v2, v1
	v_and_b32_e32 v3, 0x78, v3
	v_and_b32_e32 v4, 0xf8, v4
	;; [unrolled: 1-line block ×3, first 2 shown]
	v_add_u32_e32 v3, v3, v1
	v_add_u32_e32 v4, v4, v1
	;; [unrolled: 1-line block ×3, first 2 shown]
	s_mov_b64 s[2:3], 0
	s_waitcnt vmcnt(0) lgkmcnt(0)
	ds_write_b64 v2, v[6:7]
	ds_write_b64 v3, v[8:9] offset:1536
	ds_write_b64 v4, v[16:17] offset:3072
	;; [unrolled: 1-line block ×3, first 2 shown]
	s_waitcnt lgkmcnt(0)
	s_barrier
.LBB684_6:
	s_andn2_b64 vcc, exec, s[2:3]
	v_cmp_gt_u32_e64 s[2:3], s33, v0
	s_cbranch_vccnz .LBB684_16
; %bb.7:
                                        ; implicit-def: $vgpr2_vgpr3_vgpr4_vgpr5_vgpr6_vgpr7_vgpr8_vgpr9
	s_and_saveexec_b64 s[6:7], s[2:3]
	s_cbranch_execz .LBB684_9
; %bb.8:
	v_add_co_u32_e32 v2, vcc, v14, v1
	v_addc_co_u32_e32 v3, vcc, 0, v15, vcc
	flat_load_dwordx2 v[2:3], v[2:3]
.LBB684_9:
	s_or_b64 exec, exec, s[6:7]
	v_add_u32_e32 v16, 0xc0, v0
	v_cmp_gt_u32_e32 vcc, s33, v16
	s_and_saveexec_b64 s[2:3], vcc
	s_cbranch_execz .LBB684_11
; %bb.10:
	v_add_co_u32_e32 v4, vcc, v14, v1
	v_addc_co_u32_e32 v5, vcc, 0, v15, vcc
	flat_load_dwordx2 v[4:5], v[4:5] offset:1536
.LBB684_11:
	s_or_b64 exec, exec, s[2:3]
	v_add_u32_e32 v17, 0x180, v0
	v_cmp_gt_u32_e32 vcc, s33, v17
	s_and_saveexec_b64 s[2:3], vcc
	s_cbranch_execz .LBB684_13
; %bb.12:
	v_add_co_u32_e32 v6, vcc, v14, v1
	v_addc_co_u32_e32 v7, vcc, 0, v15, vcc
	flat_load_dwordx2 v[6:7], v[6:7] offset:3072
.LBB684_13:
	s_or_b64 exec, exec, s[2:3]
	v_add_u32_e32 v18, 0x240, v0
	v_cmp_gt_u32_e32 vcc, s33, v18
	s_and_saveexec_b64 s[2:3], vcc
	s_cbranch_execz .LBB684_15
; %bb.14:
	v_lshlrev_b32_e32 v8, 3, v18
	v_add_co_u32_e32 v8, vcc, v14, v8
	v_addc_co_u32_e32 v9, vcc, 0, v15, vcc
	flat_load_dwordx2 v[8:9], v[8:9]
.LBB684_15:
	s_or_b64 exec, exec, s[2:3]
	v_and_b32_e32 v11, 56, v11
	v_add_u32_e32 v11, v11, v1
	s_waitcnt vmcnt(0) lgkmcnt(0)
	ds_write_b64 v11, v[2:3]
	v_lshrrev_b32_e32 v2, 2, v16
	v_and_b32_e32 v2, 0x78, v2
	v_add_u32_e32 v2, v2, v1
	ds_write_b64 v2, v[4:5] offset:1536
	v_lshrrev_b32_e32 v2, 2, v17
	v_and_b32_e32 v2, 0xf8, v2
	v_add_u32_e32 v2, v2, v1
	ds_write_b64 v2, v[6:7] offset:3072
	;; [unrolled: 4-line block ×3, first 2 shown]
	s_waitcnt lgkmcnt(0)
	s_barrier
.LBB684_16:
	v_lshlrev_b32_e32 v11, 2, v0
	v_lshrrev_b32_e32 v2, 3, v0
	v_add_lshl_u32 v2, v2, v11, 3
	ds_read2_b64 v[6:9], v2 offset1:1
	ds_read2_b64 v[2:5], v2 offset0:2 offset1:3
	v_cndmask_b32_e64 v14, 0, 1, s[4:5]
	v_cmp_ne_u32_e64 s[2:3], 1, v14
	s_andn2_b64 vcc, exec, s[4:5]
	s_waitcnt lgkmcnt(1)
	v_xor_b32_e32 v17, -1, v6
	v_xor_b32_e32 v16, -1, v8
	s_waitcnt lgkmcnt(0)
	v_xor_b32_e32 v15, -1, v2
	v_xor_b32_e32 v14, -1, v4
	s_barrier
	s_cbranch_vccnz .LBB684_18
; %bb.17:
	v_mov_b32_e32 v19, 1
	v_and_b32_e32 v18, 1, v17
	v_and_b32_sdwa v20, v16, v19 dst_sel:BYTE_1 dst_unused:UNUSED_PAD src0_sel:DWORD src1_sel:DWORD
	v_and_b32_e32 v21, 1, v15
	v_and_b32_sdwa v19, v14, v19 dst_sel:BYTE_1 dst_unused:UNUSED_PAD src0_sel:DWORD src1_sel:DWORD
	v_or_b32_e32 v18, v18, v20
	v_or_b32_sdwa v19, v21, v19 dst_sel:WORD_1 dst_unused:UNUSED_PAD src0_sel:DWORD src1_sel:DWORD
	v_or_b32_sdwa v24, v18, v19 dst_sel:DWORD dst_unused:UNUSED_PAD src0_sel:WORD_0 src1_sel:DWORD
	s_cbranch_execz .LBB684_19
	s_branch .LBB684_20
.LBB684_18:
                                        ; implicit-def: $vgpr24
.LBB684_19:
	v_cmp_gt_u32_e32 vcc, s33, v11
	v_cndmask_b32_e64 v18, 0, 1, vcc
	v_and_b32_e32 v17, v18, v17
	v_or_b32_e32 v18, 1, v11
	v_cmp_gt_u32_e32 vcc, s33, v18
	v_cndmask_b32_e64 v18, 0, 1, vcc
	v_and_b32_sdwa v16, v18, v16 dst_sel:BYTE_1 dst_unused:UNUSED_PAD src0_sel:DWORD src1_sel:DWORD
	v_or_b32_e32 v18, 2, v11
	v_cmp_gt_u32_e32 vcc, s33, v18
	v_cndmask_b32_e64 v18, 0, 1, vcc
	v_and_b32_e32 v15, v18, v15
	v_or_b32_e32 v18, 3, v11
	v_cmp_gt_u32_e32 vcc, s33, v18
	v_cndmask_b32_e64 v18, 0, 1, vcc
	v_and_b32_sdwa v14, v18, v14 dst_sel:BYTE_1 dst_unused:UNUSED_PAD src0_sel:DWORD src1_sel:DWORD
	v_or_b32_e32 v16, v17, v16
	v_or_b32_sdwa v14, v15, v14 dst_sel:WORD_1 dst_unused:UNUSED_PAD src0_sel:DWORD src1_sel:DWORD
	v_or_b32_sdwa v24, v16, v14 dst_sel:DWORD dst_unused:UNUSED_PAD src0_sel:WORD_0 src1_sel:DWORD
.LBB684_20:
	v_bfe_u32 v26, v24, 16, 8
	v_lshrrev_b32_e32 v25, 24, v24
	v_add_u32_sdwa v14, v24, v24 dst_sel:DWORD dst_unused:UNUSED_PAD src0_sel:BYTE_1 src1_sel:BYTE_0
	v_add3_u32 v29, v14, v26, v25
	v_mbcnt_lo_u32_b32 v14, -1, 0
	v_mbcnt_hi_u32_b32 v27, -1, v14
	v_and_b32_e32 v14, 15, v27
	v_cmp_eq_u32_e64 s[16:17], 0, v14
	v_cmp_lt_u32_e64 s[14:15], 1, v14
	v_cmp_lt_u32_e64 s[12:13], 3, v14
	;; [unrolled: 1-line block ×3, first 2 shown]
	v_and_b32_e32 v14, 16, v27
	v_cmp_eq_u32_e64 s[6:7], 0, v14
	v_and_b32_e32 v14, 0xc0, v0
	v_min_u32_e32 v14, 0x80, v14
	v_or_b32_e32 v14, 63, v14
	s_cmp_lg_u32 s40, 0
	v_cmp_lt_u32_e64 s[4:5], 31, v27
	v_lshrrev_b32_e32 v28, 6, v0
	v_cmp_eq_u32_e64 s[8:9], v14, v0
	s_cbranch_scc0 .LBB684_51
; %bb.21:
	v_mov_b32_dpp v14, v29 row_shr:1 row_mask:0xf bank_mask:0xf
	v_cndmask_b32_e64 v14, v14, 0, s[16:17]
	v_add_u32_e32 v14, v14, v29
	s_nop 1
	v_mov_b32_dpp v15, v14 row_shr:2 row_mask:0xf bank_mask:0xf
	v_cndmask_b32_e64 v15, 0, v15, s[14:15]
	v_add_u32_e32 v14, v14, v15
	s_nop 1
	;; [unrolled: 4-line block ×4, first 2 shown]
	v_mov_b32_dpp v15, v14 row_bcast:15 row_mask:0xf bank_mask:0xf
	v_cndmask_b32_e64 v15, v15, 0, s[6:7]
	v_add_u32_e32 v14, v14, v15
	s_nop 1
	v_mov_b32_dpp v15, v14 row_bcast:31 row_mask:0xf bank_mask:0xf
	v_cndmask_b32_e64 v15, 0, v15, s[4:5]
	v_add_u32_e32 v14, v14, v15
	s_and_saveexec_b64 s[18:19], s[8:9]
	s_cbranch_execz .LBB684_23
; %bb.22:
	v_lshlrev_b32_e32 v15, 2, v28
	ds_write_b32 v15, v14
.LBB684_23:
	s_or_b64 exec, exec, s[18:19]
	v_cmp_gt_u32_e32 vcc, 3, v0
	s_waitcnt lgkmcnt(0)
	s_barrier
	s_and_saveexec_b64 s[18:19], vcc
	s_cbranch_execz .LBB684_25
; %bb.24:
	ds_read_b32 v15, v11
	v_and_b32_e32 v16, 3, v27
	v_cmp_ne_u32_e32 vcc, 0, v16
	s_waitcnt lgkmcnt(0)
	v_mov_b32_dpp v17, v15 row_shr:1 row_mask:0xf bank_mask:0xf
	v_cndmask_b32_e32 v17, 0, v17, vcc
	v_add_u32_e32 v15, v17, v15
	v_cmp_lt_u32_e32 vcc, 1, v16
	s_nop 0
	v_mov_b32_dpp v17, v15 row_shr:2 row_mask:0xf bank_mask:0xf
	v_cndmask_b32_e32 v16, 0, v17, vcc
	v_add_u32_e32 v15, v15, v16
	ds_write_b32 v11, v15
.LBB684_25:
	s_or_b64 exec, exec, s[18:19]
	v_cmp_gt_u32_e32 vcc, 64, v0
	v_cmp_lt_u32_e64 s[18:19], 63, v0
	s_waitcnt lgkmcnt(0)
	s_barrier
	s_waitcnt lgkmcnt(0)
                                        ; implicit-def: $vgpr30
	s_and_saveexec_b64 s[24:25], s[18:19]
	s_cbranch_execz .LBB684_27
; %bb.26:
	v_lshl_add_u32 v15, v28, 2, -4
	ds_read_b32 v30, v15
	s_waitcnt lgkmcnt(0)
	v_add_u32_e32 v14, v30, v14
.LBB684_27:
	s_or_b64 exec, exec, s[24:25]
	v_add_u32_e32 v15, -1, v27
	v_and_b32_e32 v16, 64, v27
	v_cmp_lt_i32_e64 s[18:19], v15, v16
	v_cndmask_b32_e64 v15, v15, v27, s[18:19]
	v_lshlrev_b32_e32 v15, 2, v15
	ds_bpermute_b32 v31, v15, v14
	v_cmp_eq_u32_e64 s[18:19], 0, v27
	s_and_saveexec_b64 s[24:25], vcc
	s_cbranch_execz .LBB684_50
; %bb.28:
	v_mov_b32_e32 v23, 0
	ds_read_b32 v14, v23 offset:8
	s_and_saveexec_b64 s[36:37], s[18:19]
	s_cbranch_execz .LBB684_30
; %bb.29:
	s_add_i32 s38, s40, 64
	s_mov_b32 s39, 0
	s_lshl_b64 s[38:39], s[38:39], 3
	s_add_u32 s38, s34, s38
	v_mov_b32_e32 v15, 1
	s_addc_u32 s39, s35, s39
	s_waitcnt lgkmcnt(0)
	global_store_dwordx2 v23, v[14:15], s[38:39]
.LBB684_30:
	s_or_b64 exec, exec, s[36:37]
	v_xad_u32 v16, v27, -1, s40
	v_add_u32_e32 v22, 64, v16
	v_lshlrev_b64 v[18:19], 3, v[22:23]
	v_mov_b32_e32 v15, s35
	v_add_co_u32_e32 v18, vcc, s34, v18
	v_addc_co_u32_e32 v19, vcc, v15, v19, vcc
	global_load_dwordx2 v[20:21], v[18:19], off glc
	s_waitcnt vmcnt(0)
	v_cmp_eq_u16_sdwa s[38:39], v21, v23 src0_sel:BYTE_0 src1_sel:DWORD
	s_and_saveexec_b64 s[36:37], s[38:39]
	s_cbranch_execz .LBB684_36
; %bb.31:
	s_mov_b32 s41, 1
	s_mov_b64 s[38:39], 0
	v_mov_b32_e32 v15, 0
.LBB684_32:                             ; =>This Loop Header: Depth=1
                                        ;     Child Loop BB684_33 Depth 2
	s_max_u32 s42, s41, 1
.LBB684_33:                             ;   Parent Loop BB684_32 Depth=1
                                        ; =>  This Inner Loop Header: Depth=2
	s_add_i32 s42, s42, -1
	s_cmp_eq_u32 s42, 0
	s_sleep 1
	s_cbranch_scc0 .LBB684_33
; %bb.34:                               ;   in Loop: Header=BB684_32 Depth=1
	global_load_dwordx2 v[20:21], v[18:19], off glc
	s_cmp_lt_u32 s41, 32
	s_cselect_b64 s[42:43], -1, 0
	s_cmp_lg_u64 s[42:43], 0
	s_addc_u32 s41, s41, 0
	s_waitcnt vmcnt(0)
	v_cmp_ne_u16_sdwa s[42:43], v21, v15 src0_sel:BYTE_0 src1_sel:DWORD
	s_or_b64 s[38:39], s[42:43], s[38:39]
	s_andn2_b64 exec, exec, s[38:39]
	s_cbranch_execnz .LBB684_32
; %bb.35:
	s_or_b64 exec, exec, s[38:39]
.LBB684_36:
	s_or_b64 exec, exec, s[36:37]
	v_and_b32_e32 v33, 63, v27
	v_mov_b32_e32 v32, 2
	v_cmp_ne_u32_e32 vcc, 63, v33
	v_cmp_eq_u16_sdwa s[36:37], v21, v32 src0_sel:BYTE_0 src1_sel:DWORD
	v_lshlrev_b64 v[18:19], v27, -1
	v_addc_co_u32_e32 v22, vcc, 0, v27, vcc
	v_and_b32_e32 v15, s37, v19
	v_lshlrev_b32_e32 v34, 2, v22
	v_or_b32_e32 v15, 0x80000000, v15
	ds_bpermute_b32 v22, v34, v20
	v_and_b32_e32 v17, s36, v18
	v_ffbl_b32_e32 v15, v15
	v_add_u32_e32 v15, 32, v15
	v_ffbl_b32_e32 v17, v17
	v_min_u32_e32 v15, v17, v15
	v_cmp_lt_u32_e32 vcc, v33, v15
	s_waitcnt lgkmcnt(0)
	v_cndmask_b32_e32 v17, 0, v22, vcc
	v_cmp_gt_u32_e32 vcc, 62, v33
	v_add_u32_e32 v17, v17, v20
	v_cndmask_b32_e64 v20, 0, 1, vcc
	v_lshlrev_b32_e32 v20, 1, v20
	v_add_lshl_u32 v35, v20, v27, 2
	ds_bpermute_b32 v20, v35, v17
	v_add_u32_e32 v36, 2, v33
	v_cmp_le_u32_e32 vcc, v36, v15
	v_add_u32_e32 v38, 4, v33
	v_add_u32_e32 v40, 8, v33
	s_waitcnt lgkmcnt(0)
	v_cndmask_b32_e32 v20, 0, v20, vcc
	v_cmp_gt_u32_e32 vcc, 60, v33
	v_add_u32_e32 v17, v17, v20
	v_cndmask_b32_e64 v20, 0, 1, vcc
	v_lshlrev_b32_e32 v20, 2, v20
	v_add_lshl_u32 v37, v20, v27, 2
	ds_bpermute_b32 v20, v37, v17
	v_cmp_le_u32_e32 vcc, v38, v15
	v_add_u32_e32 v42, 16, v33
	v_add_u32_e32 v44, 32, v33
	s_waitcnt lgkmcnt(0)
	v_cndmask_b32_e32 v20, 0, v20, vcc
	v_cmp_gt_u32_e32 vcc, 56, v33
	v_add_u32_e32 v17, v17, v20
	v_cndmask_b32_e64 v20, 0, 1, vcc
	v_lshlrev_b32_e32 v20, 3, v20
	v_add_lshl_u32 v39, v20, v27, 2
	ds_bpermute_b32 v20, v39, v17
	v_cmp_le_u32_e32 vcc, v40, v15
	s_waitcnt lgkmcnt(0)
	v_cndmask_b32_e32 v20, 0, v20, vcc
	v_cmp_gt_u32_e32 vcc, 48, v33
	v_add_u32_e32 v17, v17, v20
	v_cndmask_b32_e64 v20, 0, 1, vcc
	v_lshlrev_b32_e32 v20, 4, v20
	v_add_lshl_u32 v41, v20, v27, 2
	ds_bpermute_b32 v20, v41, v17
	v_cmp_le_u32_e32 vcc, v42, v15
	;; [unrolled: 9-line block ×3, first 2 shown]
	s_waitcnt lgkmcnt(0)
	v_cndmask_b32_e32 v15, 0, v20, vcc
	v_add_u32_e32 v20, v17, v15
	v_mov_b32_e32 v17, 0
	s_branch .LBB684_38
.LBB684_37:                             ;   in Loop: Header=BB684_38 Depth=1
	s_or_b64 exec, exec, s[36:37]
	v_cmp_eq_u16_sdwa s[36:37], v21, v32 src0_sel:BYTE_0 src1_sel:DWORD
	v_and_b32_e32 v22, s37, v19
	v_or_b32_e32 v22, 0x80000000, v22
	ds_bpermute_b32 v45, v34, v20
	v_and_b32_e32 v23, s36, v18
	v_ffbl_b32_e32 v22, v22
	v_add_u32_e32 v22, 32, v22
	v_ffbl_b32_e32 v23, v23
	v_min_u32_e32 v22, v23, v22
	v_cmp_lt_u32_e32 vcc, v33, v22
	s_waitcnt lgkmcnt(0)
	v_cndmask_b32_e32 v23, 0, v45, vcc
	v_add_u32_e32 v20, v23, v20
	ds_bpermute_b32 v23, v35, v20
	v_cmp_le_u32_e32 vcc, v36, v22
	v_subrev_u32_e32 v16, 64, v16
	s_waitcnt lgkmcnt(0)
	v_cndmask_b32_e32 v23, 0, v23, vcc
	v_add_u32_e32 v20, v20, v23
	ds_bpermute_b32 v23, v37, v20
	v_cmp_le_u32_e32 vcc, v38, v22
	s_waitcnt lgkmcnt(0)
	v_cndmask_b32_e32 v23, 0, v23, vcc
	v_add_u32_e32 v20, v20, v23
	ds_bpermute_b32 v23, v39, v20
	v_cmp_le_u32_e32 vcc, v40, v22
	;; [unrolled: 5-line block ×4, first 2 shown]
	s_waitcnt lgkmcnt(0)
	v_cndmask_b32_e32 v22, 0, v23, vcc
	v_add3_u32 v20, v22, v15, v20
.LBB684_38:                             ; =>This Loop Header: Depth=1
                                        ;     Child Loop BB684_41 Depth 2
                                        ;       Child Loop BB684_42 Depth 3
	v_cmp_ne_u16_sdwa s[36:37], v21, v32 src0_sel:BYTE_0 src1_sel:DWORD
	v_cndmask_b32_e64 v15, 0, 1, s[36:37]
	;;#ASMSTART
	;;#ASMEND
	v_cmp_ne_u32_e32 vcc, 0, v15
	s_cmp_lg_u64 vcc, exec
	v_mov_b32_e32 v15, v20
	s_cbranch_scc1 .LBB684_45
; %bb.39:                               ;   in Loop: Header=BB684_38 Depth=1
	v_lshlrev_b64 v[20:21], 3, v[16:17]
	v_mov_b32_e32 v23, s35
	v_add_co_u32_e32 v22, vcc, s34, v20
	v_addc_co_u32_e32 v23, vcc, v23, v21, vcc
	global_load_dwordx2 v[20:21], v[22:23], off glc
	s_waitcnt vmcnt(0)
	v_cmp_eq_u16_sdwa s[38:39], v21, v17 src0_sel:BYTE_0 src1_sel:DWORD
	s_and_saveexec_b64 s[36:37], s[38:39]
	s_cbranch_execz .LBB684_37
; %bb.40:                               ;   in Loop: Header=BB684_38 Depth=1
	s_mov_b32 s41, 1
	s_mov_b64 s[38:39], 0
.LBB684_41:                             ;   Parent Loop BB684_38 Depth=1
                                        ; =>  This Loop Header: Depth=2
                                        ;       Child Loop BB684_42 Depth 3
	s_max_u32 s42, s41, 1
.LBB684_42:                             ;   Parent Loop BB684_38 Depth=1
                                        ;     Parent Loop BB684_41 Depth=2
                                        ; =>    This Inner Loop Header: Depth=3
	s_add_i32 s42, s42, -1
	s_cmp_eq_u32 s42, 0
	s_sleep 1
	s_cbranch_scc0 .LBB684_42
; %bb.43:                               ;   in Loop: Header=BB684_41 Depth=2
	global_load_dwordx2 v[20:21], v[22:23], off glc
	s_cmp_lt_u32 s41, 32
	s_cselect_b64 s[42:43], -1, 0
	s_cmp_lg_u64 s[42:43], 0
	s_addc_u32 s41, s41, 0
	s_waitcnt vmcnt(0)
	v_cmp_ne_u16_sdwa s[42:43], v21, v17 src0_sel:BYTE_0 src1_sel:DWORD
	s_or_b64 s[38:39], s[42:43], s[38:39]
	s_andn2_b64 exec, exec, s[38:39]
	s_cbranch_execnz .LBB684_41
; %bb.44:                               ;   in Loop: Header=BB684_38 Depth=1
	s_or_b64 exec, exec, s[38:39]
	s_branch .LBB684_37
.LBB684_45:                             ;   in Loop: Header=BB684_38 Depth=1
                                        ; implicit-def: $vgpr20
                                        ; implicit-def: $vgpr21
	s_cbranch_execz .LBB684_38
; %bb.46:
	s_and_saveexec_b64 s[36:37], s[18:19]
	s_cbranch_execz .LBB684_48
; %bb.47:
	s_add_i32 s38, s40, 64
	s_mov_b32 s39, 0
	s_lshl_b64 s[38:39], s[38:39], 3
	s_add_u32 s38, s34, s38
	v_add_u32_e32 v16, v15, v14
	v_mov_b32_e32 v17, 2
	s_addc_u32 s39, s35, s39
	v_mov_b32_e32 v18, 0
	global_store_dwordx2 v18, v[16:17], s[38:39]
	ds_write_b64 v18, v[14:15] offset:6336
.LBB684_48:
	s_or_b64 exec, exec, s[36:37]
	s_and_b64 exec, exec, s[0:1]
	s_cbranch_execz .LBB684_50
; %bb.49:
	v_mov_b32_e32 v14, 0
	ds_write_b32 v14, v15 offset:8
.LBB684_50:
	s_or_b64 exec, exec, s[24:25]
	v_mov_b32_e32 v14, 0
	s_waitcnt lgkmcnt(0)
	s_barrier
	ds_read_b32 v15, v14 offset:8
	v_cndmask_b32_e64 v16, v31, v30, s[18:19]
	v_cndmask_b32_e64 v16, v16, 0, s[0:1]
	s_waitcnt lgkmcnt(0)
	s_barrier
	v_add_u32_e32 v18, v15, v16
	ds_read_b64 v[14:15], v14 offset:6336
	v_add_u32_sdwa v19, v18, v24 dst_sel:DWORD dst_unused:UNUSED_PAD src0_sel:DWORD src1_sel:BYTE_0
	v_add_u32_sdwa v17, v19, v24 dst_sel:DWORD dst_unused:UNUSED_PAD src0_sel:DWORD src1_sel:BYTE_1
	v_add_u32_e32 v16, v17, v26
	s_branch .LBB684_61
.LBB684_51:
                                        ; implicit-def: $vgpr15
                                        ; implicit-def: $vgpr16
                                        ; implicit-def: $vgpr17
                                        ; implicit-def: $vgpr19
                                        ; implicit-def: $vgpr18
	s_cbranch_execz .LBB684_61
; %bb.52:
	s_waitcnt lgkmcnt(0)
	v_mov_b32_dpp v14, v29 row_shr:1 row_mask:0xf bank_mask:0xf
	v_cndmask_b32_e64 v14, v14, 0, s[16:17]
	v_add_u32_e32 v14, v14, v29
	s_nop 1
	v_mov_b32_dpp v15, v14 row_shr:2 row_mask:0xf bank_mask:0xf
	v_cndmask_b32_e64 v15, 0, v15, s[14:15]
	v_add_u32_e32 v14, v14, v15
	s_nop 1
	;; [unrolled: 4-line block ×4, first 2 shown]
	v_mov_b32_dpp v15, v14 row_bcast:15 row_mask:0xf bank_mask:0xf
	v_cndmask_b32_e64 v15, v15, 0, s[6:7]
	v_add_u32_e32 v14, v14, v15
	s_nop 1
	v_mov_b32_dpp v15, v14 row_bcast:31 row_mask:0xf bank_mask:0xf
	v_cndmask_b32_e64 v15, 0, v15, s[4:5]
	v_add_u32_e32 v14, v14, v15
	s_and_saveexec_b64 s[4:5], s[8:9]
	s_cbranch_execz .LBB684_54
; %bb.53:
	v_lshlrev_b32_e32 v15, 2, v28
	ds_write_b32 v15, v14
.LBB684_54:
	s_or_b64 exec, exec, s[4:5]
	v_cmp_gt_u32_e32 vcc, 3, v0
	s_waitcnt lgkmcnt(0)
	s_barrier
	s_and_saveexec_b64 s[4:5], vcc
	s_cbranch_execz .LBB684_56
; %bb.55:
	ds_read_b32 v15, v11
	v_and_b32_e32 v16, 3, v27
	v_cmp_ne_u32_e32 vcc, 0, v16
	s_waitcnt lgkmcnt(0)
	v_mov_b32_dpp v17, v15 row_shr:1 row_mask:0xf bank_mask:0xf
	v_cndmask_b32_e32 v17, 0, v17, vcc
	v_add_u32_e32 v15, v17, v15
	v_cmp_lt_u32_e32 vcc, 1, v16
	s_nop 0
	v_mov_b32_dpp v17, v15 row_shr:2 row_mask:0xf bank_mask:0xf
	v_cndmask_b32_e32 v16, 0, v17, vcc
	v_add_u32_e32 v15, v15, v16
	ds_write_b32 v11, v15
.LBB684_56:
	s_or_b64 exec, exec, s[4:5]
	v_cmp_lt_u32_e32 vcc, 63, v0
	v_mov_b32_e32 v15, 0
	v_mov_b32_e32 v16, 0
	s_waitcnt lgkmcnt(0)
	s_barrier
	s_and_saveexec_b64 s[4:5], vcc
	s_cbranch_execz .LBB684_58
; %bb.57:
	v_lshl_add_u32 v16, v28, 2, -4
	ds_read_b32 v16, v16
.LBB684_58:
	s_or_b64 exec, exec, s[4:5]
	v_add_u32_e32 v17, -1, v27
	v_and_b32_e32 v18, 64, v27
	v_cmp_lt_i32_e32 vcc, v17, v18
	v_cndmask_b32_e32 v17, v17, v27, vcc
	s_waitcnt lgkmcnt(0)
	v_add_u32_e32 v14, v16, v14
	v_lshlrev_b32_e32 v17, 2, v17
	ds_bpermute_b32 v17, v17, v14
	ds_read_b32 v14, v15 offset:8
	s_and_saveexec_b64 s[4:5], s[0:1]
	s_cbranch_execz .LBB684_60
; %bb.59:
	v_mov_b32_e32 v18, 0
	v_mov_b32_e32 v15, 2
	s_waitcnt lgkmcnt(0)
	global_store_dwordx2 v18, v[14:15], s[34:35] offset:512
.LBB684_60:
	s_or_b64 exec, exec, s[4:5]
	v_cmp_eq_u32_e32 vcc, 0, v27
	s_waitcnt lgkmcnt(1)
	v_cndmask_b32_e32 v16, v17, v16, vcc
	v_cndmask_b32_e64 v18, v16, 0, s[0:1]
	v_add_u32_sdwa v19, v18, v24 dst_sel:DWORD dst_unused:UNUSED_PAD src0_sel:DWORD src1_sel:BYTE_0
	v_add_u32_sdwa v17, v19, v24 dst_sel:DWORD dst_unused:UNUSED_PAD src0_sel:DWORD src1_sel:BYTE_1
	v_mov_b32_e32 v15, 0
	v_add_u32_e32 v16, v17, v26
	s_waitcnt lgkmcnt(0)
	s_barrier
.LBB684_61:
	s_waitcnt lgkmcnt(0)
	v_add_u32_e32 v11, v14, v11
	v_sub_u32_e32 v18, v18, v15
	v_and_b32_e32 v22, 1, v24
	v_sub_u32_e32 v21, v11, v18
	v_cmp_eq_u32_e32 vcc, 1, v22
	v_cndmask_b32_e32 v18, v21, v18, vcc
	v_lshlrev_b32_e32 v18, 3, v18
	v_lshrrev_b32_e32 v20, 8, v24
	ds_write_b64 v18, v[6:7]
	v_sub_u32_e32 v6, v19, v15
	v_sub_u32_e32 v7, v11, v6
	v_and_b32_e32 v18, 1, v20
	v_add_u32_e32 v7, 1, v7
	v_cmp_eq_u32_e32 vcc, 1, v18
	v_cndmask_b32_e32 v6, v7, v6, vcc
	v_lshlrev_b32_e32 v6, 3, v6
	ds_write_b64 v6, v[8:9]
	v_sub_u32_e32 v6, v17, v15
	v_mov_b32_e32 v8, 1
	v_sub_u32_e32 v7, v11, v6
	v_and_b32_sdwa v8, v8, v24 dst_sel:DWORD dst_unused:UNUSED_PAD src0_sel:DWORD src1_sel:WORD_1
	v_add_u32_e32 v7, 2, v7
	v_cmp_eq_u32_e32 vcc, 1, v8
	v_cndmask_b32_e32 v6, v7, v6, vcc
	v_lshlrev_b32_e32 v6, 3, v6
	ds_write_b64 v6, v[2:3]
	v_sub_u32_e32 v2, v16, v15
	v_sub_u32_e32 v3, v11, v2
	v_and_b32_e32 v6, 1, v25
	v_add_u32_e32 v3, 3, v3
	v_cmp_eq_u32_e32 vcc, 1, v6
	v_cndmask_b32_e32 v2, v3, v2, vcc
	v_lshlrev_b32_e32 v2, 3, v2
	ds_write_b64 v2, v[4:5]
	s_waitcnt lgkmcnt(0)
	s_barrier
	ds_read2st64_b64 v[6:9], v1 offset1:3
	ds_read2st64_b64 v[2:5], v1 offset0:6 offset1:9
	s_waitcnt vmcnt(0)
	v_add_co_u32_e32 v1, vcc, v12, v15
	v_addc_co_u32_e32 v12, vcc, 0, v13, vcc
	v_mov_b32_e32 v11, s27
	v_add_co_u32_e32 v10, vcc, s26, v10
	v_addc_co_u32_e32 v11, vcc, 0, v11, vcc
	v_mov_b32_e32 v13, s31
	v_sub_co_u32_e32 v10, vcc, s30, v10
	v_subb_co_u32_e32 v11, vcc, v13, v11, vcc
	v_add_co_u32_e32 v10, vcc, v10, v14
	v_addc_co_u32_e32 v11, vcc, 0, v11, vcc
	s_and_b64 vcc, exec, s[2:3]
	v_add_co_u32_e64 v13, s[2:3], v10, v1
	v_add_u32_e32 v18, 0xc0, v0
	v_add_u32_e32 v17, 0x180, v0
	;; [unrolled: 1-line block ×3, first 2 shown]
	v_addc_co_u32_e64 v15, s[2:3], v11, v12, s[2:3]
	s_cbranch_vccnz .LBB684_82
; %bb.62:
	v_cmp_ge_u32_e32 vcc, v0, v14
                                        ; implicit-def: $vgpr10_vgpr11
	s_and_saveexec_b64 s[2:3], vcc
	s_xor_b64 s[2:3], exec, s[2:3]
; %bb.63:
	v_not_b32_e32 v10, v0
	v_ashrrev_i32_e32 v11, 31, v10
	v_add_co_u32_e32 v10, vcc, v13, v10
	v_addc_co_u32_e32 v11, vcc, v15, v11, vcc
; %bb.64:
	s_andn2_saveexec_b64 s[2:3], s[2:3]
; %bb.65:
	v_add_co_u32_e32 v10, vcc, v1, v0
	v_addc_co_u32_e32 v11, vcc, 0, v12, vcc
; %bb.66:
	s_or_b64 exec, exec, s[2:3]
	v_lshlrev_b64 v[10:11], 3, v[10:11]
	v_mov_b32_e32 v19, s29
	v_add_co_u32_e32 v10, vcc, s28, v10
	v_addc_co_u32_e32 v11, vcc, v19, v11, vcc
	v_cmp_ge_u32_e32 vcc, v18, v14
	s_waitcnt lgkmcnt(1)
	global_store_dwordx2 v[10:11], v[6:7], off
                                        ; implicit-def: $vgpr10_vgpr11
	s_and_saveexec_b64 s[2:3], vcc
	s_xor_b64 s[2:3], exec, s[2:3]
; %bb.67:
	v_sub_u32_e32 v10, 0xffffff3f, v0
	v_ashrrev_i32_e32 v11, 31, v10
	v_add_co_u32_e32 v10, vcc, v13, v10
	v_addc_co_u32_e32 v11, vcc, v15, v11, vcc
; %bb.68:
	s_andn2_saveexec_b64 s[2:3], s[2:3]
; %bb.69:
	v_add_co_u32_e32 v10, vcc, v1, v18
	v_addc_co_u32_e32 v11, vcc, 0, v12, vcc
; %bb.70:
	s_or_b64 exec, exec, s[2:3]
	v_lshlrev_b64 v[10:11], 3, v[10:11]
	v_mov_b32_e32 v19, s29
	v_add_co_u32_e32 v10, vcc, s28, v10
	v_addc_co_u32_e32 v11, vcc, v19, v11, vcc
	v_cmp_ge_u32_e32 vcc, v17, v14
	global_store_dwordx2 v[10:11], v[8:9], off
                                        ; implicit-def: $vgpr10_vgpr11
	s_and_saveexec_b64 s[2:3], vcc
	s_xor_b64 s[2:3], exec, s[2:3]
; %bb.71:
	v_sub_u32_e32 v10, 0xfffffe7f, v0
	v_ashrrev_i32_e32 v11, 31, v10
	v_add_co_u32_e32 v10, vcc, v13, v10
	v_addc_co_u32_e32 v11, vcc, v15, v11, vcc
; %bb.72:
	s_andn2_saveexec_b64 s[2:3], s[2:3]
; %bb.73:
	v_add_co_u32_e32 v10, vcc, v1, v17
	v_addc_co_u32_e32 v11, vcc, 0, v12, vcc
; %bb.74:
	s_or_b64 exec, exec, s[2:3]
	v_lshlrev_b64 v[10:11], 3, v[10:11]
	v_mov_b32_e32 v19, s29
	v_add_co_u32_e32 v10, vcc, s28, v10
	v_addc_co_u32_e32 v11, vcc, v19, v11, vcc
	v_cmp_ge_u32_e32 vcc, v16, v14
	s_waitcnt lgkmcnt(0)
	global_store_dwordx2 v[10:11], v[2:3], off
                                        ; implicit-def: $vgpr10_vgpr11
	s_and_saveexec_b64 s[2:3], vcc
	s_xor_b64 s[2:3], exec, s[2:3]
; %bb.75:
	v_sub_u32_e32 v10, 0xfffffdbf, v0
	v_ashrrev_i32_e32 v11, 31, v10
	v_add_co_u32_e32 v10, vcc, v13, v10
	v_addc_co_u32_e32 v11, vcc, v15, v11, vcc
; %bb.76:
	s_andn2_saveexec_b64 s[2:3], s[2:3]
; %bb.77:
	v_add_co_u32_e32 v10, vcc, v1, v16
	v_addc_co_u32_e32 v11, vcc, 0, v12, vcc
; %bb.78:
	s_or_b64 exec, exec, s[2:3]
	s_mov_b64 s[2:3], -1
.LBB684_79:
	s_and_saveexec_b64 s[4:5], s[2:3]
	s_cbranch_execz .LBB684_92
.LBB684_80:
	s_waitcnt lgkmcnt(0)
	v_lshlrev_b64 v[2:3], 3, v[10:11]
	v_mov_b32_e32 v0, s29
	v_add_co_u32_e32 v2, vcc, s28, v2
	v_addc_co_u32_e32 v3, vcc, v0, v3, vcc
	global_store_dwordx2 v[2:3], v[4:5], off
	s_or_b64 exec, exec, s[4:5]
	s_and_b64 s[0:1], s[0:1], s[22:23]
	s_and_saveexec_b64 s[2:3], s[0:1]
	s_cbranch_execnz .LBB684_93
.LBB684_81:
	s_endpgm
.LBB684_82:
	s_mov_b64 s[2:3], 0
                                        ; implicit-def: $vgpr10_vgpr11
	s_cbranch_execz .LBB684_79
; %bb.83:
	v_cmp_gt_u32_e32 vcc, s33, v0
	s_and_saveexec_b64 s[4:5], vcc
	s_cbranch_execz .LBB684_94
; %bb.84:
	v_cmp_ge_u32_e32 vcc, v0, v14
                                        ; implicit-def: $vgpr10_vgpr11
	s_and_saveexec_b64 s[6:7], vcc
	s_xor_b64 s[6:7], exec, s[6:7]
; %bb.85:
	v_not_b32_e32 v10, v0
	v_ashrrev_i32_e32 v11, 31, v10
	v_add_co_u32_e32 v10, vcc, v13, v10
	v_addc_co_u32_e32 v11, vcc, v15, v11, vcc
; %bb.86:
	s_andn2_saveexec_b64 s[6:7], s[6:7]
; %bb.87:
	v_add_co_u32_e32 v10, vcc, v1, v0
	v_addc_co_u32_e32 v11, vcc, 0, v12, vcc
; %bb.88:
	s_or_b64 exec, exec, s[6:7]
	v_lshlrev_b64 v[10:11], 3, v[10:11]
	v_mov_b32_e32 v19, s29
	v_add_co_u32_e32 v10, vcc, s28, v10
	v_addc_co_u32_e32 v11, vcc, v19, v11, vcc
	s_waitcnt lgkmcnt(1)
	global_store_dwordx2 v[10:11], v[6:7], off
	s_or_b64 exec, exec, s[4:5]
	v_cmp_gt_u32_e32 vcc, s33, v18
	s_and_saveexec_b64 s[4:5], vcc
	s_cbranch_execnz .LBB684_95
.LBB684_89:
	s_or_b64 exec, exec, s[4:5]
	v_cmp_gt_u32_e32 vcc, s33, v17
	s_and_saveexec_b64 s[4:5], vcc
	s_cbranch_execnz .LBB684_100
.LBB684_90:
	s_or_b64 exec, exec, s[4:5]
	v_cmp_gt_u32_e32 vcc, s33, v16
                                        ; implicit-def: $vgpr10_vgpr11
	s_and_saveexec_b64 s[4:5], vcc
	s_cbranch_execnz .LBB684_105
.LBB684_91:
	s_or_b64 exec, exec, s[4:5]
	s_and_saveexec_b64 s[4:5], s[2:3]
	s_cbranch_execnz .LBB684_80
.LBB684_92:
	s_or_b64 exec, exec, s[4:5]
	s_and_b64 s[0:1], s[0:1], s[22:23]
	s_and_saveexec_b64 s[2:3], s[0:1]
	s_cbranch_execz .LBB684_81
.LBB684_93:
	v_add_co_u32_e32 v0, vcc, v1, v14
	s_waitcnt lgkmcnt(0)
	v_mov_b32_e32 v2, 0
	v_addc_co_u32_e32 v1, vcc, 0, v12, vcc
	global_store_dwordx2 v2, v[0:1], s[20:21]
	s_endpgm
.LBB684_94:
	s_or_b64 exec, exec, s[4:5]
	v_cmp_gt_u32_e32 vcc, s33, v18
	s_and_saveexec_b64 s[4:5], vcc
	s_cbranch_execz .LBB684_89
.LBB684_95:
	v_cmp_ge_u32_e32 vcc, v18, v14
                                        ; implicit-def: $vgpr6_vgpr7
	s_and_saveexec_b64 s[6:7], vcc
	s_xor_b64 s[6:7], exec, s[6:7]
	s_cbranch_execz .LBB684_97
; %bb.96:
	s_waitcnt lgkmcnt(1)
	v_sub_u32_e32 v6, 0xffffff3f, v0
	v_ashrrev_i32_e32 v7, 31, v6
	v_add_co_u32_e32 v6, vcc, v13, v6
	v_addc_co_u32_e32 v7, vcc, v15, v7, vcc
                                        ; implicit-def: $vgpr18
.LBB684_97:
	s_andn2_saveexec_b64 s[6:7], s[6:7]
	s_cbranch_execz .LBB684_99
; %bb.98:
	s_waitcnt lgkmcnt(1)
	v_add_co_u32_e32 v6, vcc, v1, v18
	v_addc_co_u32_e32 v7, vcc, 0, v12, vcc
.LBB684_99:
	s_or_b64 exec, exec, s[6:7]
	s_waitcnt lgkmcnt(1)
	v_lshlrev_b64 v[6:7], 3, v[6:7]
	v_mov_b32_e32 v10, s29
	v_add_co_u32_e32 v6, vcc, s28, v6
	v_addc_co_u32_e32 v7, vcc, v10, v7, vcc
	global_store_dwordx2 v[6:7], v[8:9], off
	s_or_b64 exec, exec, s[4:5]
	v_cmp_gt_u32_e32 vcc, s33, v17
	s_and_saveexec_b64 s[4:5], vcc
	s_cbranch_execz .LBB684_90
.LBB684_100:
	v_cmp_ge_u32_e32 vcc, v17, v14
                                        ; implicit-def: $vgpr6_vgpr7
	s_and_saveexec_b64 s[6:7], vcc
	s_xor_b64 s[6:7], exec, s[6:7]
	s_cbranch_execz .LBB684_102
; %bb.101:
	s_waitcnt lgkmcnt(1)
	v_sub_u32_e32 v6, 0xfffffe7f, v0
	v_ashrrev_i32_e32 v7, 31, v6
	v_add_co_u32_e32 v6, vcc, v13, v6
	v_addc_co_u32_e32 v7, vcc, v15, v7, vcc
                                        ; implicit-def: $vgpr17
.LBB684_102:
	s_andn2_saveexec_b64 s[6:7], s[6:7]
	s_cbranch_execz .LBB684_104
; %bb.103:
	s_waitcnt lgkmcnt(1)
	v_add_co_u32_e32 v6, vcc, v1, v17
	v_addc_co_u32_e32 v7, vcc, 0, v12, vcc
.LBB684_104:
	s_or_b64 exec, exec, s[6:7]
	s_waitcnt lgkmcnt(1)
	v_lshlrev_b64 v[6:7], 3, v[6:7]
	v_mov_b32_e32 v8, s29
	v_add_co_u32_e32 v6, vcc, s28, v6
	v_addc_co_u32_e32 v7, vcc, v8, v7, vcc
	s_waitcnt lgkmcnt(0)
	global_store_dwordx2 v[6:7], v[2:3], off
	s_or_b64 exec, exec, s[4:5]
	v_cmp_gt_u32_e32 vcc, s33, v16
                                        ; implicit-def: $vgpr10_vgpr11
	s_and_saveexec_b64 s[4:5], vcc
	s_cbranch_execz .LBB684_91
.LBB684_105:
	v_cmp_ge_u32_e32 vcc, v16, v14
                                        ; implicit-def: $vgpr10_vgpr11
	s_and_saveexec_b64 s[6:7], vcc
	s_xor_b64 s[6:7], exec, s[6:7]
	s_cbranch_execz .LBB684_107
; %bb.106:
	v_sub_u32_e32 v0, 0xfffffdbf, v0
	s_waitcnt lgkmcnt(0)
	v_ashrrev_i32_e32 v2, 31, v0
	v_add_co_u32_e32 v10, vcc, v13, v0
	v_addc_co_u32_e32 v11, vcc, v15, v2, vcc
                                        ; implicit-def: $vgpr16
.LBB684_107:
	s_andn2_saveexec_b64 s[6:7], s[6:7]
; %bb.108:
	v_add_co_u32_e32 v10, vcc, v1, v16
	v_addc_co_u32_e32 v11, vcc, 0, v12, vcc
; %bb.109:
	s_or_b64 exec, exec, s[6:7]
	s_or_b64 s[2:3], s[2:3], exec
	s_or_b64 exec, exec, s[4:5]
	s_and_saveexec_b64 s[4:5], s[2:3]
	s_cbranch_execnz .LBB684_80
	s_branch .LBB684_92
	.section	.rodata,"a",@progbits
	.p2align	6, 0x0
	.amdhsa_kernel _ZN7rocprim17ROCPRIM_400000_NS6detail17trampoline_kernelINS0_14default_configENS1_25partition_config_selectorILNS1_17partition_subalgoE3EyNS0_10empty_typeEbEEZZNS1_14partition_implILS5_3ELb0ES3_jN6thrust23THRUST_200600_302600_NS6detail15normal_iteratorINSA_7pointerIyNSA_11hip_rocprim3tagENSA_11use_defaultESG_EEEEPS6_SJ_NS0_5tupleIJPySJ_EEENSK_IJSJ_SJ_EEES6_PlJ7is_evenIyEEEE10hipError_tPvRmT3_T4_T5_T6_T7_T9_mT8_P12ihipStream_tbDpT10_ENKUlT_T0_E_clISt17integral_constantIbLb1EES1A_EEDaS15_S16_EUlS15_E_NS1_11comp_targetILNS1_3genE4ELNS1_11target_archE910ELNS1_3gpuE8ELNS1_3repE0EEENS1_30default_config_static_selectorELNS0_4arch9wavefront6targetE1EEEvT1_
		.amdhsa_group_segment_fixed_size 6344
		.amdhsa_private_segment_fixed_size 0
		.amdhsa_kernarg_size 136
		.amdhsa_user_sgpr_count 6
		.amdhsa_user_sgpr_private_segment_buffer 1
		.amdhsa_user_sgpr_dispatch_ptr 0
		.amdhsa_user_sgpr_queue_ptr 0
		.amdhsa_user_sgpr_kernarg_segment_ptr 1
		.amdhsa_user_sgpr_dispatch_id 0
		.amdhsa_user_sgpr_flat_scratch_init 0
		.amdhsa_user_sgpr_kernarg_preload_length 0
		.amdhsa_user_sgpr_kernarg_preload_offset 0
		.amdhsa_user_sgpr_private_segment_size 0
		.amdhsa_uses_dynamic_stack 0
		.amdhsa_system_sgpr_private_segment_wavefront_offset 0
		.amdhsa_system_sgpr_workgroup_id_x 1
		.amdhsa_system_sgpr_workgroup_id_y 0
		.amdhsa_system_sgpr_workgroup_id_z 0
		.amdhsa_system_sgpr_workgroup_info 0
		.amdhsa_system_vgpr_workitem_id 0
		.amdhsa_next_free_vgpr 46
		.amdhsa_next_free_sgpr 44
		.amdhsa_accum_offset 48
		.amdhsa_reserve_vcc 1
		.amdhsa_reserve_flat_scratch 0
		.amdhsa_float_round_mode_32 0
		.amdhsa_float_round_mode_16_64 0
		.amdhsa_float_denorm_mode_32 3
		.amdhsa_float_denorm_mode_16_64 3
		.amdhsa_dx10_clamp 1
		.amdhsa_ieee_mode 1
		.amdhsa_fp16_overflow 0
		.amdhsa_tg_split 0
		.amdhsa_exception_fp_ieee_invalid_op 0
		.amdhsa_exception_fp_denorm_src 0
		.amdhsa_exception_fp_ieee_div_zero 0
		.amdhsa_exception_fp_ieee_overflow 0
		.amdhsa_exception_fp_ieee_underflow 0
		.amdhsa_exception_fp_ieee_inexact 0
		.amdhsa_exception_int_div_zero 0
	.end_amdhsa_kernel
	.section	.text._ZN7rocprim17ROCPRIM_400000_NS6detail17trampoline_kernelINS0_14default_configENS1_25partition_config_selectorILNS1_17partition_subalgoE3EyNS0_10empty_typeEbEEZZNS1_14partition_implILS5_3ELb0ES3_jN6thrust23THRUST_200600_302600_NS6detail15normal_iteratorINSA_7pointerIyNSA_11hip_rocprim3tagENSA_11use_defaultESG_EEEEPS6_SJ_NS0_5tupleIJPySJ_EEENSK_IJSJ_SJ_EEES6_PlJ7is_evenIyEEEE10hipError_tPvRmT3_T4_T5_T6_T7_T9_mT8_P12ihipStream_tbDpT10_ENKUlT_T0_E_clISt17integral_constantIbLb1EES1A_EEDaS15_S16_EUlS15_E_NS1_11comp_targetILNS1_3genE4ELNS1_11target_archE910ELNS1_3gpuE8ELNS1_3repE0EEENS1_30default_config_static_selectorELNS0_4arch9wavefront6targetE1EEEvT1_,"axG",@progbits,_ZN7rocprim17ROCPRIM_400000_NS6detail17trampoline_kernelINS0_14default_configENS1_25partition_config_selectorILNS1_17partition_subalgoE3EyNS0_10empty_typeEbEEZZNS1_14partition_implILS5_3ELb0ES3_jN6thrust23THRUST_200600_302600_NS6detail15normal_iteratorINSA_7pointerIyNSA_11hip_rocprim3tagENSA_11use_defaultESG_EEEEPS6_SJ_NS0_5tupleIJPySJ_EEENSK_IJSJ_SJ_EEES6_PlJ7is_evenIyEEEE10hipError_tPvRmT3_T4_T5_T6_T7_T9_mT8_P12ihipStream_tbDpT10_ENKUlT_T0_E_clISt17integral_constantIbLb1EES1A_EEDaS15_S16_EUlS15_E_NS1_11comp_targetILNS1_3genE4ELNS1_11target_archE910ELNS1_3gpuE8ELNS1_3repE0EEENS1_30default_config_static_selectorELNS0_4arch9wavefront6targetE1EEEvT1_,comdat
.Lfunc_end684:
	.size	_ZN7rocprim17ROCPRIM_400000_NS6detail17trampoline_kernelINS0_14default_configENS1_25partition_config_selectorILNS1_17partition_subalgoE3EyNS0_10empty_typeEbEEZZNS1_14partition_implILS5_3ELb0ES3_jN6thrust23THRUST_200600_302600_NS6detail15normal_iteratorINSA_7pointerIyNSA_11hip_rocprim3tagENSA_11use_defaultESG_EEEEPS6_SJ_NS0_5tupleIJPySJ_EEENSK_IJSJ_SJ_EEES6_PlJ7is_evenIyEEEE10hipError_tPvRmT3_T4_T5_T6_T7_T9_mT8_P12ihipStream_tbDpT10_ENKUlT_T0_E_clISt17integral_constantIbLb1EES1A_EEDaS15_S16_EUlS15_E_NS1_11comp_targetILNS1_3genE4ELNS1_11target_archE910ELNS1_3gpuE8ELNS1_3repE0EEENS1_30default_config_static_selectorELNS0_4arch9wavefront6targetE1EEEvT1_, .Lfunc_end684-_ZN7rocprim17ROCPRIM_400000_NS6detail17trampoline_kernelINS0_14default_configENS1_25partition_config_selectorILNS1_17partition_subalgoE3EyNS0_10empty_typeEbEEZZNS1_14partition_implILS5_3ELb0ES3_jN6thrust23THRUST_200600_302600_NS6detail15normal_iteratorINSA_7pointerIyNSA_11hip_rocprim3tagENSA_11use_defaultESG_EEEEPS6_SJ_NS0_5tupleIJPySJ_EEENSK_IJSJ_SJ_EEES6_PlJ7is_evenIyEEEE10hipError_tPvRmT3_T4_T5_T6_T7_T9_mT8_P12ihipStream_tbDpT10_ENKUlT_T0_E_clISt17integral_constantIbLb1EES1A_EEDaS15_S16_EUlS15_E_NS1_11comp_targetILNS1_3genE4ELNS1_11target_archE910ELNS1_3gpuE8ELNS1_3repE0EEENS1_30default_config_static_selectorELNS0_4arch9wavefront6targetE1EEEvT1_
                                        ; -- End function
	.section	.AMDGPU.csdata,"",@progbits
; Kernel info:
; codeLenInByte = 4200
; NumSgprs: 48
; NumVgprs: 46
; NumAgprs: 0
; TotalNumVgprs: 46
; ScratchSize: 0
; MemoryBound: 0
; FloatMode: 240
; IeeeMode: 1
; LDSByteSize: 6344 bytes/workgroup (compile time only)
; SGPRBlocks: 5
; VGPRBlocks: 5
; NumSGPRsForWavesPerEU: 48
; NumVGPRsForWavesPerEU: 46
; AccumOffset: 48
; Occupancy: 8
; WaveLimiterHint : 1
; COMPUTE_PGM_RSRC2:SCRATCH_EN: 0
; COMPUTE_PGM_RSRC2:USER_SGPR: 6
; COMPUTE_PGM_RSRC2:TRAP_HANDLER: 0
; COMPUTE_PGM_RSRC2:TGID_X_EN: 1
; COMPUTE_PGM_RSRC2:TGID_Y_EN: 0
; COMPUTE_PGM_RSRC2:TGID_Z_EN: 0
; COMPUTE_PGM_RSRC2:TIDIG_COMP_CNT: 0
; COMPUTE_PGM_RSRC3_GFX90A:ACCUM_OFFSET: 11
; COMPUTE_PGM_RSRC3_GFX90A:TG_SPLIT: 0
	.section	.text._ZN7rocprim17ROCPRIM_400000_NS6detail17trampoline_kernelINS0_14default_configENS1_25partition_config_selectorILNS1_17partition_subalgoE3EyNS0_10empty_typeEbEEZZNS1_14partition_implILS5_3ELb0ES3_jN6thrust23THRUST_200600_302600_NS6detail15normal_iteratorINSA_7pointerIyNSA_11hip_rocprim3tagENSA_11use_defaultESG_EEEEPS6_SJ_NS0_5tupleIJPySJ_EEENSK_IJSJ_SJ_EEES6_PlJ7is_evenIyEEEE10hipError_tPvRmT3_T4_T5_T6_T7_T9_mT8_P12ihipStream_tbDpT10_ENKUlT_T0_E_clISt17integral_constantIbLb1EES1A_EEDaS15_S16_EUlS15_E_NS1_11comp_targetILNS1_3genE3ELNS1_11target_archE908ELNS1_3gpuE7ELNS1_3repE0EEENS1_30default_config_static_selectorELNS0_4arch9wavefront6targetE1EEEvT1_,"axG",@progbits,_ZN7rocprim17ROCPRIM_400000_NS6detail17trampoline_kernelINS0_14default_configENS1_25partition_config_selectorILNS1_17partition_subalgoE3EyNS0_10empty_typeEbEEZZNS1_14partition_implILS5_3ELb0ES3_jN6thrust23THRUST_200600_302600_NS6detail15normal_iteratorINSA_7pointerIyNSA_11hip_rocprim3tagENSA_11use_defaultESG_EEEEPS6_SJ_NS0_5tupleIJPySJ_EEENSK_IJSJ_SJ_EEES6_PlJ7is_evenIyEEEE10hipError_tPvRmT3_T4_T5_T6_T7_T9_mT8_P12ihipStream_tbDpT10_ENKUlT_T0_E_clISt17integral_constantIbLb1EES1A_EEDaS15_S16_EUlS15_E_NS1_11comp_targetILNS1_3genE3ELNS1_11target_archE908ELNS1_3gpuE7ELNS1_3repE0EEENS1_30default_config_static_selectorELNS0_4arch9wavefront6targetE1EEEvT1_,comdat
	.protected	_ZN7rocprim17ROCPRIM_400000_NS6detail17trampoline_kernelINS0_14default_configENS1_25partition_config_selectorILNS1_17partition_subalgoE3EyNS0_10empty_typeEbEEZZNS1_14partition_implILS5_3ELb0ES3_jN6thrust23THRUST_200600_302600_NS6detail15normal_iteratorINSA_7pointerIyNSA_11hip_rocprim3tagENSA_11use_defaultESG_EEEEPS6_SJ_NS0_5tupleIJPySJ_EEENSK_IJSJ_SJ_EEES6_PlJ7is_evenIyEEEE10hipError_tPvRmT3_T4_T5_T6_T7_T9_mT8_P12ihipStream_tbDpT10_ENKUlT_T0_E_clISt17integral_constantIbLb1EES1A_EEDaS15_S16_EUlS15_E_NS1_11comp_targetILNS1_3genE3ELNS1_11target_archE908ELNS1_3gpuE7ELNS1_3repE0EEENS1_30default_config_static_selectorELNS0_4arch9wavefront6targetE1EEEvT1_ ; -- Begin function _ZN7rocprim17ROCPRIM_400000_NS6detail17trampoline_kernelINS0_14default_configENS1_25partition_config_selectorILNS1_17partition_subalgoE3EyNS0_10empty_typeEbEEZZNS1_14partition_implILS5_3ELb0ES3_jN6thrust23THRUST_200600_302600_NS6detail15normal_iteratorINSA_7pointerIyNSA_11hip_rocprim3tagENSA_11use_defaultESG_EEEEPS6_SJ_NS0_5tupleIJPySJ_EEENSK_IJSJ_SJ_EEES6_PlJ7is_evenIyEEEE10hipError_tPvRmT3_T4_T5_T6_T7_T9_mT8_P12ihipStream_tbDpT10_ENKUlT_T0_E_clISt17integral_constantIbLb1EES1A_EEDaS15_S16_EUlS15_E_NS1_11comp_targetILNS1_3genE3ELNS1_11target_archE908ELNS1_3gpuE7ELNS1_3repE0EEENS1_30default_config_static_selectorELNS0_4arch9wavefront6targetE1EEEvT1_
	.globl	_ZN7rocprim17ROCPRIM_400000_NS6detail17trampoline_kernelINS0_14default_configENS1_25partition_config_selectorILNS1_17partition_subalgoE3EyNS0_10empty_typeEbEEZZNS1_14partition_implILS5_3ELb0ES3_jN6thrust23THRUST_200600_302600_NS6detail15normal_iteratorINSA_7pointerIyNSA_11hip_rocprim3tagENSA_11use_defaultESG_EEEEPS6_SJ_NS0_5tupleIJPySJ_EEENSK_IJSJ_SJ_EEES6_PlJ7is_evenIyEEEE10hipError_tPvRmT3_T4_T5_T6_T7_T9_mT8_P12ihipStream_tbDpT10_ENKUlT_T0_E_clISt17integral_constantIbLb1EES1A_EEDaS15_S16_EUlS15_E_NS1_11comp_targetILNS1_3genE3ELNS1_11target_archE908ELNS1_3gpuE7ELNS1_3repE0EEENS1_30default_config_static_selectorELNS0_4arch9wavefront6targetE1EEEvT1_
	.p2align	8
	.type	_ZN7rocprim17ROCPRIM_400000_NS6detail17trampoline_kernelINS0_14default_configENS1_25partition_config_selectorILNS1_17partition_subalgoE3EyNS0_10empty_typeEbEEZZNS1_14partition_implILS5_3ELb0ES3_jN6thrust23THRUST_200600_302600_NS6detail15normal_iteratorINSA_7pointerIyNSA_11hip_rocprim3tagENSA_11use_defaultESG_EEEEPS6_SJ_NS0_5tupleIJPySJ_EEENSK_IJSJ_SJ_EEES6_PlJ7is_evenIyEEEE10hipError_tPvRmT3_T4_T5_T6_T7_T9_mT8_P12ihipStream_tbDpT10_ENKUlT_T0_E_clISt17integral_constantIbLb1EES1A_EEDaS15_S16_EUlS15_E_NS1_11comp_targetILNS1_3genE3ELNS1_11target_archE908ELNS1_3gpuE7ELNS1_3repE0EEENS1_30default_config_static_selectorELNS0_4arch9wavefront6targetE1EEEvT1_,@function
_ZN7rocprim17ROCPRIM_400000_NS6detail17trampoline_kernelINS0_14default_configENS1_25partition_config_selectorILNS1_17partition_subalgoE3EyNS0_10empty_typeEbEEZZNS1_14partition_implILS5_3ELb0ES3_jN6thrust23THRUST_200600_302600_NS6detail15normal_iteratorINSA_7pointerIyNSA_11hip_rocprim3tagENSA_11use_defaultESG_EEEEPS6_SJ_NS0_5tupleIJPySJ_EEENSK_IJSJ_SJ_EEES6_PlJ7is_evenIyEEEE10hipError_tPvRmT3_T4_T5_T6_T7_T9_mT8_P12ihipStream_tbDpT10_ENKUlT_T0_E_clISt17integral_constantIbLb1EES1A_EEDaS15_S16_EUlS15_E_NS1_11comp_targetILNS1_3genE3ELNS1_11target_archE908ELNS1_3gpuE7ELNS1_3repE0EEENS1_30default_config_static_selectorELNS0_4arch9wavefront6targetE1EEEvT1_: ; @_ZN7rocprim17ROCPRIM_400000_NS6detail17trampoline_kernelINS0_14default_configENS1_25partition_config_selectorILNS1_17partition_subalgoE3EyNS0_10empty_typeEbEEZZNS1_14partition_implILS5_3ELb0ES3_jN6thrust23THRUST_200600_302600_NS6detail15normal_iteratorINSA_7pointerIyNSA_11hip_rocprim3tagENSA_11use_defaultESG_EEEEPS6_SJ_NS0_5tupleIJPySJ_EEENSK_IJSJ_SJ_EEES6_PlJ7is_evenIyEEEE10hipError_tPvRmT3_T4_T5_T6_T7_T9_mT8_P12ihipStream_tbDpT10_ENKUlT_T0_E_clISt17integral_constantIbLb1EES1A_EEDaS15_S16_EUlS15_E_NS1_11comp_targetILNS1_3genE3ELNS1_11target_archE908ELNS1_3gpuE7ELNS1_3repE0EEENS1_30default_config_static_selectorELNS0_4arch9wavefront6targetE1EEEvT1_
; %bb.0:
	.section	.rodata,"a",@progbits
	.p2align	6, 0x0
	.amdhsa_kernel _ZN7rocprim17ROCPRIM_400000_NS6detail17trampoline_kernelINS0_14default_configENS1_25partition_config_selectorILNS1_17partition_subalgoE3EyNS0_10empty_typeEbEEZZNS1_14partition_implILS5_3ELb0ES3_jN6thrust23THRUST_200600_302600_NS6detail15normal_iteratorINSA_7pointerIyNSA_11hip_rocprim3tagENSA_11use_defaultESG_EEEEPS6_SJ_NS0_5tupleIJPySJ_EEENSK_IJSJ_SJ_EEES6_PlJ7is_evenIyEEEE10hipError_tPvRmT3_T4_T5_T6_T7_T9_mT8_P12ihipStream_tbDpT10_ENKUlT_T0_E_clISt17integral_constantIbLb1EES1A_EEDaS15_S16_EUlS15_E_NS1_11comp_targetILNS1_3genE3ELNS1_11target_archE908ELNS1_3gpuE7ELNS1_3repE0EEENS1_30default_config_static_selectorELNS0_4arch9wavefront6targetE1EEEvT1_
		.amdhsa_group_segment_fixed_size 0
		.amdhsa_private_segment_fixed_size 0
		.amdhsa_kernarg_size 136
		.amdhsa_user_sgpr_count 6
		.amdhsa_user_sgpr_private_segment_buffer 1
		.amdhsa_user_sgpr_dispatch_ptr 0
		.amdhsa_user_sgpr_queue_ptr 0
		.amdhsa_user_sgpr_kernarg_segment_ptr 1
		.amdhsa_user_sgpr_dispatch_id 0
		.amdhsa_user_sgpr_flat_scratch_init 0
		.amdhsa_user_sgpr_kernarg_preload_length 0
		.amdhsa_user_sgpr_kernarg_preload_offset 0
		.amdhsa_user_sgpr_private_segment_size 0
		.amdhsa_uses_dynamic_stack 0
		.amdhsa_system_sgpr_private_segment_wavefront_offset 0
		.amdhsa_system_sgpr_workgroup_id_x 1
		.amdhsa_system_sgpr_workgroup_id_y 0
		.amdhsa_system_sgpr_workgroup_id_z 0
		.amdhsa_system_sgpr_workgroup_info 0
		.amdhsa_system_vgpr_workitem_id 0
		.amdhsa_next_free_vgpr 1
		.amdhsa_next_free_sgpr 0
		.amdhsa_accum_offset 4
		.amdhsa_reserve_vcc 0
		.amdhsa_reserve_flat_scratch 0
		.amdhsa_float_round_mode_32 0
		.amdhsa_float_round_mode_16_64 0
		.amdhsa_float_denorm_mode_32 3
		.amdhsa_float_denorm_mode_16_64 3
		.amdhsa_dx10_clamp 1
		.amdhsa_ieee_mode 1
		.amdhsa_fp16_overflow 0
		.amdhsa_tg_split 0
		.amdhsa_exception_fp_ieee_invalid_op 0
		.amdhsa_exception_fp_denorm_src 0
		.amdhsa_exception_fp_ieee_div_zero 0
		.amdhsa_exception_fp_ieee_overflow 0
		.amdhsa_exception_fp_ieee_underflow 0
		.amdhsa_exception_fp_ieee_inexact 0
		.amdhsa_exception_int_div_zero 0
	.end_amdhsa_kernel
	.section	.text._ZN7rocprim17ROCPRIM_400000_NS6detail17trampoline_kernelINS0_14default_configENS1_25partition_config_selectorILNS1_17partition_subalgoE3EyNS0_10empty_typeEbEEZZNS1_14partition_implILS5_3ELb0ES3_jN6thrust23THRUST_200600_302600_NS6detail15normal_iteratorINSA_7pointerIyNSA_11hip_rocprim3tagENSA_11use_defaultESG_EEEEPS6_SJ_NS0_5tupleIJPySJ_EEENSK_IJSJ_SJ_EEES6_PlJ7is_evenIyEEEE10hipError_tPvRmT3_T4_T5_T6_T7_T9_mT8_P12ihipStream_tbDpT10_ENKUlT_T0_E_clISt17integral_constantIbLb1EES1A_EEDaS15_S16_EUlS15_E_NS1_11comp_targetILNS1_3genE3ELNS1_11target_archE908ELNS1_3gpuE7ELNS1_3repE0EEENS1_30default_config_static_selectorELNS0_4arch9wavefront6targetE1EEEvT1_,"axG",@progbits,_ZN7rocprim17ROCPRIM_400000_NS6detail17trampoline_kernelINS0_14default_configENS1_25partition_config_selectorILNS1_17partition_subalgoE3EyNS0_10empty_typeEbEEZZNS1_14partition_implILS5_3ELb0ES3_jN6thrust23THRUST_200600_302600_NS6detail15normal_iteratorINSA_7pointerIyNSA_11hip_rocprim3tagENSA_11use_defaultESG_EEEEPS6_SJ_NS0_5tupleIJPySJ_EEENSK_IJSJ_SJ_EEES6_PlJ7is_evenIyEEEE10hipError_tPvRmT3_T4_T5_T6_T7_T9_mT8_P12ihipStream_tbDpT10_ENKUlT_T0_E_clISt17integral_constantIbLb1EES1A_EEDaS15_S16_EUlS15_E_NS1_11comp_targetILNS1_3genE3ELNS1_11target_archE908ELNS1_3gpuE7ELNS1_3repE0EEENS1_30default_config_static_selectorELNS0_4arch9wavefront6targetE1EEEvT1_,comdat
.Lfunc_end685:
	.size	_ZN7rocprim17ROCPRIM_400000_NS6detail17trampoline_kernelINS0_14default_configENS1_25partition_config_selectorILNS1_17partition_subalgoE3EyNS0_10empty_typeEbEEZZNS1_14partition_implILS5_3ELb0ES3_jN6thrust23THRUST_200600_302600_NS6detail15normal_iteratorINSA_7pointerIyNSA_11hip_rocprim3tagENSA_11use_defaultESG_EEEEPS6_SJ_NS0_5tupleIJPySJ_EEENSK_IJSJ_SJ_EEES6_PlJ7is_evenIyEEEE10hipError_tPvRmT3_T4_T5_T6_T7_T9_mT8_P12ihipStream_tbDpT10_ENKUlT_T0_E_clISt17integral_constantIbLb1EES1A_EEDaS15_S16_EUlS15_E_NS1_11comp_targetILNS1_3genE3ELNS1_11target_archE908ELNS1_3gpuE7ELNS1_3repE0EEENS1_30default_config_static_selectorELNS0_4arch9wavefront6targetE1EEEvT1_, .Lfunc_end685-_ZN7rocprim17ROCPRIM_400000_NS6detail17trampoline_kernelINS0_14default_configENS1_25partition_config_selectorILNS1_17partition_subalgoE3EyNS0_10empty_typeEbEEZZNS1_14partition_implILS5_3ELb0ES3_jN6thrust23THRUST_200600_302600_NS6detail15normal_iteratorINSA_7pointerIyNSA_11hip_rocprim3tagENSA_11use_defaultESG_EEEEPS6_SJ_NS0_5tupleIJPySJ_EEENSK_IJSJ_SJ_EEES6_PlJ7is_evenIyEEEE10hipError_tPvRmT3_T4_T5_T6_T7_T9_mT8_P12ihipStream_tbDpT10_ENKUlT_T0_E_clISt17integral_constantIbLb1EES1A_EEDaS15_S16_EUlS15_E_NS1_11comp_targetILNS1_3genE3ELNS1_11target_archE908ELNS1_3gpuE7ELNS1_3repE0EEENS1_30default_config_static_selectorELNS0_4arch9wavefront6targetE1EEEvT1_
                                        ; -- End function
	.section	.AMDGPU.csdata,"",@progbits
; Kernel info:
; codeLenInByte = 0
; NumSgprs: 4
; NumVgprs: 0
; NumAgprs: 0
; TotalNumVgprs: 0
; ScratchSize: 0
; MemoryBound: 0
; FloatMode: 240
; IeeeMode: 1
; LDSByteSize: 0 bytes/workgroup (compile time only)
; SGPRBlocks: 0
; VGPRBlocks: 0
; NumSGPRsForWavesPerEU: 4
; NumVGPRsForWavesPerEU: 1
; AccumOffset: 4
; Occupancy: 8
; WaveLimiterHint : 0
; COMPUTE_PGM_RSRC2:SCRATCH_EN: 0
; COMPUTE_PGM_RSRC2:USER_SGPR: 6
; COMPUTE_PGM_RSRC2:TRAP_HANDLER: 0
; COMPUTE_PGM_RSRC2:TGID_X_EN: 1
; COMPUTE_PGM_RSRC2:TGID_Y_EN: 0
; COMPUTE_PGM_RSRC2:TGID_Z_EN: 0
; COMPUTE_PGM_RSRC2:TIDIG_COMP_CNT: 0
; COMPUTE_PGM_RSRC3_GFX90A:ACCUM_OFFSET: 0
; COMPUTE_PGM_RSRC3_GFX90A:TG_SPLIT: 0
	.section	.text._ZN7rocprim17ROCPRIM_400000_NS6detail17trampoline_kernelINS0_14default_configENS1_25partition_config_selectorILNS1_17partition_subalgoE3EyNS0_10empty_typeEbEEZZNS1_14partition_implILS5_3ELb0ES3_jN6thrust23THRUST_200600_302600_NS6detail15normal_iteratorINSA_7pointerIyNSA_11hip_rocprim3tagENSA_11use_defaultESG_EEEEPS6_SJ_NS0_5tupleIJPySJ_EEENSK_IJSJ_SJ_EEES6_PlJ7is_evenIyEEEE10hipError_tPvRmT3_T4_T5_T6_T7_T9_mT8_P12ihipStream_tbDpT10_ENKUlT_T0_E_clISt17integral_constantIbLb1EES1A_EEDaS15_S16_EUlS15_E_NS1_11comp_targetILNS1_3genE2ELNS1_11target_archE906ELNS1_3gpuE6ELNS1_3repE0EEENS1_30default_config_static_selectorELNS0_4arch9wavefront6targetE1EEEvT1_,"axG",@progbits,_ZN7rocprim17ROCPRIM_400000_NS6detail17trampoline_kernelINS0_14default_configENS1_25partition_config_selectorILNS1_17partition_subalgoE3EyNS0_10empty_typeEbEEZZNS1_14partition_implILS5_3ELb0ES3_jN6thrust23THRUST_200600_302600_NS6detail15normal_iteratorINSA_7pointerIyNSA_11hip_rocprim3tagENSA_11use_defaultESG_EEEEPS6_SJ_NS0_5tupleIJPySJ_EEENSK_IJSJ_SJ_EEES6_PlJ7is_evenIyEEEE10hipError_tPvRmT3_T4_T5_T6_T7_T9_mT8_P12ihipStream_tbDpT10_ENKUlT_T0_E_clISt17integral_constantIbLb1EES1A_EEDaS15_S16_EUlS15_E_NS1_11comp_targetILNS1_3genE2ELNS1_11target_archE906ELNS1_3gpuE6ELNS1_3repE0EEENS1_30default_config_static_selectorELNS0_4arch9wavefront6targetE1EEEvT1_,comdat
	.protected	_ZN7rocprim17ROCPRIM_400000_NS6detail17trampoline_kernelINS0_14default_configENS1_25partition_config_selectorILNS1_17partition_subalgoE3EyNS0_10empty_typeEbEEZZNS1_14partition_implILS5_3ELb0ES3_jN6thrust23THRUST_200600_302600_NS6detail15normal_iteratorINSA_7pointerIyNSA_11hip_rocprim3tagENSA_11use_defaultESG_EEEEPS6_SJ_NS0_5tupleIJPySJ_EEENSK_IJSJ_SJ_EEES6_PlJ7is_evenIyEEEE10hipError_tPvRmT3_T4_T5_T6_T7_T9_mT8_P12ihipStream_tbDpT10_ENKUlT_T0_E_clISt17integral_constantIbLb1EES1A_EEDaS15_S16_EUlS15_E_NS1_11comp_targetILNS1_3genE2ELNS1_11target_archE906ELNS1_3gpuE6ELNS1_3repE0EEENS1_30default_config_static_selectorELNS0_4arch9wavefront6targetE1EEEvT1_ ; -- Begin function _ZN7rocprim17ROCPRIM_400000_NS6detail17trampoline_kernelINS0_14default_configENS1_25partition_config_selectorILNS1_17partition_subalgoE3EyNS0_10empty_typeEbEEZZNS1_14partition_implILS5_3ELb0ES3_jN6thrust23THRUST_200600_302600_NS6detail15normal_iteratorINSA_7pointerIyNSA_11hip_rocprim3tagENSA_11use_defaultESG_EEEEPS6_SJ_NS0_5tupleIJPySJ_EEENSK_IJSJ_SJ_EEES6_PlJ7is_evenIyEEEE10hipError_tPvRmT3_T4_T5_T6_T7_T9_mT8_P12ihipStream_tbDpT10_ENKUlT_T0_E_clISt17integral_constantIbLb1EES1A_EEDaS15_S16_EUlS15_E_NS1_11comp_targetILNS1_3genE2ELNS1_11target_archE906ELNS1_3gpuE6ELNS1_3repE0EEENS1_30default_config_static_selectorELNS0_4arch9wavefront6targetE1EEEvT1_
	.globl	_ZN7rocprim17ROCPRIM_400000_NS6detail17trampoline_kernelINS0_14default_configENS1_25partition_config_selectorILNS1_17partition_subalgoE3EyNS0_10empty_typeEbEEZZNS1_14partition_implILS5_3ELb0ES3_jN6thrust23THRUST_200600_302600_NS6detail15normal_iteratorINSA_7pointerIyNSA_11hip_rocprim3tagENSA_11use_defaultESG_EEEEPS6_SJ_NS0_5tupleIJPySJ_EEENSK_IJSJ_SJ_EEES6_PlJ7is_evenIyEEEE10hipError_tPvRmT3_T4_T5_T6_T7_T9_mT8_P12ihipStream_tbDpT10_ENKUlT_T0_E_clISt17integral_constantIbLb1EES1A_EEDaS15_S16_EUlS15_E_NS1_11comp_targetILNS1_3genE2ELNS1_11target_archE906ELNS1_3gpuE6ELNS1_3repE0EEENS1_30default_config_static_selectorELNS0_4arch9wavefront6targetE1EEEvT1_
	.p2align	8
	.type	_ZN7rocprim17ROCPRIM_400000_NS6detail17trampoline_kernelINS0_14default_configENS1_25partition_config_selectorILNS1_17partition_subalgoE3EyNS0_10empty_typeEbEEZZNS1_14partition_implILS5_3ELb0ES3_jN6thrust23THRUST_200600_302600_NS6detail15normal_iteratorINSA_7pointerIyNSA_11hip_rocprim3tagENSA_11use_defaultESG_EEEEPS6_SJ_NS0_5tupleIJPySJ_EEENSK_IJSJ_SJ_EEES6_PlJ7is_evenIyEEEE10hipError_tPvRmT3_T4_T5_T6_T7_T9_mT8_P12ihipStream_tbDpT10_ENKUlT_T0_E_clISt17integral_constantIbLb1EES1A_EEDaS15_S16_EUlS15_E_NS1_11comp_targetILNS1_3genE2ELNS1_11target_archE906ELNS1_3gpuE6ELNS1_3repE0EEENS1_30default_config_static_selectorELNS0_4arch9wavefront6targetE1EEEvT1_,@function
_ZN7rocprim17ROCPRIM_400000_NS6detail17trampoline_kernelINS0_14default_configENS1_25partition_config_selectorILNS1_17partition_subalgoE3EyNS0_10empty_typeEbEEZZNS1_14partition_implILS5_3ELb0ES3_jN6thrust23THRUST_200600_302600_NS6detail15normal_iteratorINSA_7pointerIyNSA_11hip_rocprim3tagENSA_11use_defaultESG_EEEEPS6_SJ_NS0_5tupleIJPySJ_EEENSK_IJSJ_SJ_EEES6_PlJ7is_evenIyEEEE10hipError_tPvRmT3_T4_T5_T6_T7_T9_mT8_P12ihipStream_tbDpT10_ENKUlT_T0_E_clISt17integral_constantIbLb1EES1A_EEDaS15_S16_EUlS15_E_NS1_11comp_targetILNS1_3genE2ELNS1_11target_archE906ELNS1_3gpuE6ELNS1_3repE0EEENS1_30default_config_static_selectorELNS0_4arch9wavefront6targetE1EEEvT1_: ; @_ZN7rocprim17ROCPRIM_400000_NS6detail17trampoline_kernelINS0_14default_configENS1_25partition_config_selectorILNS1_17partition_subalgoE3EyNS0_10empty_typeEbEEZZNS1_14partition_implILS5_3ELb0ES3_jN6thrust23THRUST_200600_302600_NS6detail15normal_iteratorINSA_7pointerIyNSA_11hip_rocprim3tagENSA_11use_defaultESG_EEEEPS6_SJ_NS0_5tupleIJPySJ_EEENSK_IJSJ_SJ_EEES6_PlJ7is_evenIyEEEE10hipError_tPvRmT3_T4_T5_T6_T7_T9_mT8_P12ihipStream_tbDpT10_ENKUlT_T0_E_clISt17integral_constantIbLb1EES1A_EEDaS15_S16_EUlS15_E_NS1_11comp_targetILNS1_3genE2ELNS1_11target_archE906ELNS1_3gpuE6ELNS1_3repE0EEENS1_30default_config_static_selectorELNS0_4arch9wavefront6targetE1EEEvT1_
; %bb.0:
	.section	.rodata,"a",@progbits
	.p2align	6, 0x0
	.amdhsa_kernel _ZN7rocprim17ROCPRIM_400000_NS6detail17trampoline_kernelINS0_14default_configENS1_25partition_config_selectorILNS1_17partition_subalgoE3EyNS0_10empty_typeEbEEZZNS1_14partition_implILS5_3ELb0ES3_jN6thrust23THRUST_200600_302600_NS6detail15normal_iteratorINSA_7pointerIyNSA_11hip_rocprim3tagENSA_11use_defaultESG_EEEEPS6_SJ_NS0_5tupleIJPySJ_EEENSK_IJSJ_SJ_EEES6_PlJ7is_evenIyEEEE10hipError_tPvRmT3_T4_T5_T6_T7_T9_mT8_P12ihipStream_tbDpT10_ENKUlT_T0_E_clISt17integral_constantIbLb1EES1A_EEDaS15_S16_EUlS15_E_NS1_11comp_targetILNS1_3genE2ELNS1_11target_archE906ELNS1_3gpuE6ELNS1_3repE0EEENS1_30default_config_static_selectorELNS0_4arch9wavefront6targetE1EEEvT1_
		.amdhsa_group_segment_fixed_size 0
		.amdhsa_private_segment_fixed_size 0
		.amdhsa_kernarg_size 136
		.amdhsa_user_sgpr_count 6
		.amdhsa_user_sgpr_private_segment_buffer 1
		.amdhsa_user_sgpr_dispatch_ptr 0
		.amdhsa_user_sgpr_queue_ptr 0
		.amdhsa_user_sgpr_kernarg_segment_ptr 1
		.amdhsa_user_sgpr_dispatch_id 0
		.amdhsa_user_sgpr_flat_scratch_init 0
		.amdhsa_user_sgpr_kernarg_preload_length 0
		.amdhsa_user_sgpr_kernarg_preload_offset 0
		.amdhsa_user_sgpr_private_segment_size 0
		.amdhsa_uses_dynamic_stack 0
		.amdhsa_system_sgpr_private_segment_wavefront_offset 0
		.amdhsa_system_sgpr_workgroup_id_x 1
		.amdhsa_system_sgpr_workgroup_id_y 0
		.amdhsa_system_sgpr_workgroup_id_z 0
		.amdhsa_system_sgpr_workgroup_info 0
		.amdhsa_system_vgpr_workitem_id 0
		.amdhsa_next_free_vgpr 1
		.amdhsa_next_free_sgpr 0
		.amdhsa_accum_offset 4
		.amdhsa_reserve_vcc 0
		.amdhsa_reserve_flat_scratch 0
		.amdhsa_float_round_mode_32 0
		.amdhsa_float_round_mode_16_64 0
		.amdhsa_float_denorm_mode_32 3
		.amdhsa_float_denorm_mode_16_64 3
		.amdhsa_dx10_clamp 1
		.amdhsa_ieee_mode 1
		.amdhsa_fp16_overflow 0
		.amdhsa_tg_split 0
		.amdhsa_exception_fp_ieee_invalid_op 0
		.amdhsa_exception_fp_denorm_src 0
		.amdhsa_exception_fp_ieee_div_zero 0
		.amdhsa_exception_fp_ieee_overflow 0
		.amdhsa_exception_fp_ieee_underflow 0
		.amdhsa_exception_fp_ieee_inexact 0
		.amdhsa_exception_int_div_zero 0
	.end_amdhsa_kernel
	.section	.text._ZN7rocprim17ROCPRIM_400000_NS6detail17trampoline_kernelINS0_14default_configENS1_25partition_config_selectorILNS1_17partition_subalgoE3EyNS0_10empty_typeEbEEZZNS1_14partition_implILS5_3ELb0ES3_jN6thrust23THRUST_200600_302600_NS6detail15normal_iteratorINSA_7pointerIyNSA_11hip_rocprim3tagENSA_11use_defaultESG_EEEEPS6_SJ_NS0_5tupleIJPySJ_EEENSK_IJSJ_SJ_EEES6_PlJ7is_evenIyEEEE10hipError_tPvRmT3_T4_T5_T6_T7_T9_mT8_P12ihipStream_tbDpT10_ENKUlT_T0_E_clISt17integral_constantIbLb1EES1A_EEDaS15_S16_EUlS15_E_NS1_11comp_targetILNS1_3genE2ELNS1_11target_archE906ELNS1_3gpuE6ELNS1_3repE0EEENS1_30default_config_static_selectorELNS0_4arch9wavefront6targetE1EEEvT1_,"axG",@progbits,_ZN7rocprim17ROCPRIM_400000_NS6detail17trampoline_kernelINS0_14default_configENS1_25partition_config_selectorILNS1_17partition_subalgoE3EyNS0_10empty_typeEbEEZZNS1_14partition_implILS5_3ELb0ES3_jN6thrust23THRUST_200600_302600_NS6detail15normal_iteratorINSA_7pointerIyNSA_11hip_rocprim3tagENSA_11use_defaultESG_EEEEPS6_SJ_NS0_5tupleIJPySJ_EEENSK_IJSJ_SJ_EEES6_PlJ7is_evenIyEEEE10hipError_tPvRmT3_T4_T5_T6_T7_T9_mT8_P12ihipStream_tbDpT10_ENKUlT_T0_E_clISt17integral_constantIbLb1EES1A_EEDaS15_S16_EUlS15_E_NS1_11comp_targetILNS1_3genE2ELNS1_11target_archE906ELNS1_3gpuE6ELNS1_3repE0EEENS1_30default_config_static_selectorELNS0_4arch9wavefront6targetE1EEEvT1_,comdat
.Lfunc_end686:
	.size	_ZN7rocprim17ROCPRIM_400000_NS6detail17trampoline_kernelINS0_14default_configENS1_25partition_config_selectorILNS1_17partition_subalgoE3EyNS0_10empty_typeEbEEZZNS1_14partition_implILS5_3ELb0ES3_jN6thrust23THRUST_200600_302600_NS6detail15normal_iteratorINSA_7pointerIyNSA_11hip_rocprim3tagENSA_11use_defaultESG_EEEEPS6_SJ_NS0_5tupleIJPySJ_EEENSK_IJSJ_SJ_EEES6_PlJ7is_evenIyEEEE10hipError_tPvRmT3_T4_T5_T6_T7_T9_mT8_P12ihipStream_tbDpT10_ENKUlT_T0_E_clISt17integral_constantIbLb1EES1A_EEDaS15_S16_EUlS15_E_NS1_11comp_targetILNS1_3genE2ELNS1_11target_archE906ELNS1_3gpuE6ELNS1_3repE0EEENS1_30default_config_static_selectorELNS0_4arch9wavefront6targetE1EEEvT1_, .Lfunc_end686-_ZN7rocprim17ROCPRIM_400000_NS6detail17trampoline_kernelINS0_14default_configENS1_25partition_config_selectorILNS1_17partition_subalgoE3EyNS0_10empty_typeEbEEZZNS1_14partition_implILS5_3ELb0ES3_jN6thrust23THRUST_200600_302600_NS6detail15normal_iteratorINSA_7pointerIyNSA_11hip_rocprim3tagENSA_11use_defaultESG_EEEEPS6_SJ_NS0_5tupleIJPySJ_EEENSK_IJSJ_SJ_EEES6_PlJ7is_evenIyEEEE10hipError_tPvRmT3_T4_T5_T6_T7_T9_mT8_P12ihipStream_tbDpT10_ENKUlT_T0_E_clISt17integral_constantIbLb1EES1A_EEDaS15_S16_EUlS15_E_NS1_11comp_targetILNS1_3genE2ELNS1_11target_archE906ELNS1_3gpuE6ELNS1_3repE0EEENS1_30default_config_static_selectorELNS0_4arch9wavefront6targetE1EEEvT1_
                                        ; -- End function
	.section	.AMDGPU.csdata,"",@progbits
; Kernel info:
; codeLenInByte = 0
; NumSgprs: 4
; NumVgprs: 0
; NumAgprs: 0
; TotalNumVgprs: 0
; ScratchSize: 0
; MemoryBound: 0
; FloatMode: 240
; IeeeMode: 1
; LDSByteSize: 0 bytes/workgroup (compile time only)
; SGPRBlocks: 0
; VGPRBlocks: 0
; NumSGPRsForWavesPerEU: 4
; NumVGPRsForWavesPerEU: 1
; AccumOffset: 4
; Occupancy: 8
; WaveLimiterHint : 0
; COMPUTE_PGM_RSRC2:SCRATCH_EN: 0
; COMPUTE_PGM_RSRC2:USER_SGPR: 6
; COMPUTE_PGM_RSRC2:TRAP_HANDLER: 0
; COMPUTE_PGM_RSRC2:TGID_X_EN: 1
; COMPUTE_PGM_RSRC2:TGID_Y_EN: 0
; COMPUTE_PGM_RSRC2:TGID_Z_EN: 0
; COMPUTE_PGM_RSRC2:TIDIG_COMP_CNT: 0
; COMPUTE_PGM_RSRC3_GFX90A:ACCUM_OFFSET: 0
; COMPUTE_PGM_RSRC3_GFX90A:TG_SPLIT: 0
	.section	.text._ZN7rocprim17ROCPRIM_400000_NS6detail17trampoline_kernelINS0_14default_configENS1_25partition_config_selectorILNS1_17partition_subalgoE3EyNS0_10empty_typeEbEEZZNS1_14partition_implILS5_3ELb0ES3_jN6thrust23THRUST_200600_302600_NS6detail15normal_iteratorINSA_7pointerIyNSA_11hip_rocprim3tagENSA_11use_defaultESG_EEEEPS6_SJ_NS0_5tupleIJPySJ_EEENSK_IJSJ_SJ_EEES6_PlJ7is_evenIyEEEE10hipError_tPvRmT3_T4_T5_T6_T7_T9_mT8_P12ihipStream_tbDpT10_ENKUlT_T0_E_clISt17integral_constantIbLb1EES1A_EEDaS15_S16_EUlS15_E_NS1_11comp_targetILNS1_3genE10ELNS1_11target_archE1200ELNS1_3gpuE4ELNS1_3repE0EEENS1_30default_config_static_selectorELNS0_4arch9wavefront6targetE1EEEvT1_,"axG",@progbits,_ZN7rocprim17ROCPRIM_400000_NS6detail17trampoline_kernelINS0_14default_configENS1_25partition_config_selectorILNS1_17partition_subalgoE3EyNS0_10empty_typeEbEEZZNS1_14partition_implILS5_3ELb0ES3_jN6thrust23THRUST_200600_302600_NS6detail15normal_iteratorINSA_7pointerIyNSA_11hip_rocprim3tagENSA_11use_defaultESG_EEEEPS6_SJ_NS0_5tupleIJPySJ_EEENSK_IJSJ_SJ_EEES6_PlJ7is_evenIyEEEE10hipError_tPvRmT3_T4_T5_T6_T7_T9_mT8_P12ihipStream_tbDpT10_ENKUlT_T0_E_clISt17integral_constantIbLb1EES1A_EEDaS15_S16_EUlS15_E_NS1_11comp_targetILNS1_3genE10ELNS1_11target_archE1200ELNS1_3gpuE4ELNS1_3repE0EEENS1_30default_config_static_selectorELNS0_4arch9wavefront6targetE1EEEvT1_,comdat
	.protected	_ZN7rocprim17ROCPRIM_400000_NS6detail17trampoline_kernelINS0_14default_configENS1_25partition_config_selectorILNS1_17partition_subalgoE3EyNS0_10empty_typeEbEEZZNS1_14partition_implILS5_3ELb0ES3_jN6thrust23THRUST_200600_302600_NS6detail15normal_iteratorINSA_7pointerIyNSA_11hip_rocprim3tagENSA_11use_defaultESG_EEEEPS6_SJ_NS0_5tupleIJPySJ_EEENSK_IJSJ_SJ_EEES6_PlJ7is_evenIyEEEE10hipError_tPvRmT3_T4_T5_T6_T7_T9_mT8_P12ihipStream_tbDpT10_ENKUlT_T0_E_clISt17integral_constantIbLb1EES1A_EEDaS15_S16_EUlS15_E_NS1_11comp_targetILNS1_3genE10ELNS1_11target_archE1200ELNS1_3gpuE4ELNS1_3repE0EEENS1_30default_config_static_selectorELNS0_4arch9wavefront6targetE1EEEvT1_ ; -- Begin function _ZN7rocprim17ROCPRIM_400000_NS6detail17trampoline_kernelINS0_14default_configENS1_25partition_config_selectorILNS1_17partition_subalgoE3EyNS0_10empty_typeEbEEZZNS1_14partition_implILS5_3ELb0ES3_jN6thrust23THRUST_200600_302600_NS6detail15normal_iteratorINSA_7pointerIyNSA_11hip_rocprim3tagENSA_11use_defaultESG_EEEEPS6_SJ_NS0_5tupleIJPySJ_EEENSK_IJSJ_SJ_EEES6_PlJ7is_evenIyEEEE10hipError_tPvRmT3_T4_T5_T6_T7_T9_mT8_P12ihipStream_tbDpT10_ENKUlT_T0_E_clISt17integral_constantIbLb1EES1A_EEDaS15_S16_EUlS15_E_NS1_11comp_targetILNS1_3genE10ELNS1_11target_archE1200ELNS1_3gpuE4ELNS1_3repE0EEENS1_30default_config_static_selectorELNS0_4arch9wavefront6targetE1EEEvT1_
	.globl	_ZN7rocprim17ROCPRIM_400000_NS6detail17trampoline_kernelINS0_14default_configENS1_25partition_config_selectorILNS1_17partition_subalgoE3EyNS0_10empty_typeEbEEZZNS1_14partition_implILS5_3ELb0ES3_jN6thrust23THRUST_200600_302600_NS6detail15normal_iteratorINSA_7pointerIyNSA_11hip_rocprim3tagENSA_11use_defaultESG_EEEEPS6_SJ_NS0_5tupleIJPySJ_EEENSK_IJSJ_SJ_EEES6_PlJ7is_evenIyEEEE10hipError_tPvRmT3_T4_T5_T6_T7_T9_mT8_P12ihipStream_tbDpT10_ENKUlT_T0_E_clISt17integral_constantIbLb1EES1A_EEDaS15_S16_EUlS15_E_NS1_11comp_targetILNS1_3genE10ELNS1_11target_archE1200ELNS1_3gpuE4ELNS1_3repE0EEENS1_30default_config_static_selectorELNS0_4arch9wavefront6targetE1EEEvT1_
	.p2align	8
	.type	_ZN7rocprim17ROCPRIM_400000_NS6detail17trampoline_kernelINS0_14default_configENS1_25partition_config_selectorILNS1_17partition_subalgoE3EyNS0_10empty_typeEbEEZZNS1_14partition_implILS5_3ELb0ES3_jN6thrust23THRUST_200600_302600_NS6detail15normal_iteratorINSA_7pointerIyNSA_11hip_rocprim3tagENSA_11use_defaultESG_EEEEPS6_SJ_NS0_5tupleIJPySJ_EEENSK_IJSJ_SJ_EEES6_PlJ7is_evenIyEEEE10hipError_tPvRmT3_T4_T5_T6_T7_T9_mT8_P12ihipStream_tbDpT10_ENKUlT_T0_E_clISt17integral_constantIbLb1EES1A_EEDaS15_S16_EUlS15_E_NS1_11comp_targetILNS1_3genE10ELNS1_11target_archE1200ELNS1_3gpuE4ELNS1_3repE0EEENS1_30default_config_static_selectorELNS0_4arch9wavefront6targetE1EEEvT1_,@function
_ZN7rocprim17ROCPRIM_400000_NS6detail17trampoline_kernelINS0_14default_configENS1_25partition_config_selectorILNS1_17partition_subalgoE3EyNS0_10empty_typeEbEEZZNS1_14partition_implILS5_3ELb0ES3_jN6thrust23THRUST_200600_302600_NS6detail15normal_iteratorINSA_7pointerIyNSA_11hip_rocprim3tagENSA_11use_defaultESG_EEEEPS6_SJ_NS0_5tupleIJPySJ_EEENSK_IJSJ_SJ_EEES6_PlJ7is_evenIyEEEE10hipError_tPvRmT3_T4_T5_T6_T7_T9_mT8_P12ihipStream_tbDpT10_ENKUlT_T0_E_clISt17integral_constantIbLb1EES1A_EEDaS15_S16_EUlS15_E_NS1_11comp_targetILNS1_3genE10ELNS1_11target_archE1200ELNS1_3gpuE4ELNS1_3repE0EEENS1_30default_config_static_selectorELNS0_4arch9wavefront6targetE1EEEvT1_: ; @_ZN7rocprim17ROCPRIM_400000_NS6detail17trampoline_kernelINS0_14default_configENS1_25partition_config_selectorILNS1_17partition_subalgoE3EyNS0_10empty_typeEbEEZZNS1_14partition_implILS5_3ELb0ES3_jN6thrust23THRUST_200600_302600_NS6detail15normal_iteratorINSA_7pointerIyNSA_11hip_rocprim3tagENSA_11use_defaultESG_EEEEPS6_SJ_NS0_5tupleIJPySJ_EEENSK_IJSJ_SJ_EEES6_PlJ7is_evenIyEEEE10hipError_tPvRmT3_T4_T5_T6_T7_T9_mT8_P12ihipStream_tbDpT10_ENKUlT_T0_E_clISt17integral_constantIbLb1EES1A_EEDaS15_S16_EUlS15_E_NS1_11comp_targetILNS1_3genE10ELNS1_11target_archE1200ELNS1_3gpuE4ELNS1_3repE0EEENS1_30default_config_static_selectorELNS0_4arch9wavefront6targetE1EEEvT1_
; %bb.0:
	.section	.rodata,"a",@progbits
	.p2align	6, 0x0
	.amdhsa_kernel _ZN7rocprim17ROCPRIM_400000_NS6detail17trampoline_kernelINS0_14default_configENS1_25partition_config_selectorILNS1_17partition_subalgoE3EyNS0_10empty_typeEbEEZZNS1_14partition_implILS5_3ELb0ES3_jN6thrust23THRUST_200600_302600_NS6detail15normal_iteratorINSA_7pointerIyNSA_11hip_rocprim3tagENSA_11use_defaultESG_EEEEPS6_SJ_NS0_5tupleIJPySJ_EEENSK_IJSJ_SJ_EEES6_PlJ7is_evenIyEEEE10hipError_tPvRmT3_T4_T5_T6_T7_T9_mT8_P12ihipStream_tbDpT10_ENKUlT_T0_E_clISt17integral_constantIbLb1EES1A_EEDaS15_S16_EUlS15_E_NS1_11comp_targetILNS1_3genE10ELNS1_11target_archE1200ELNS1_3gpuE4ELNS1_3repE0EEENS1_30default_config_static_selectorELNS0_4arch9wavefront6targetE1EEEvT1_
		.amdhsa_group_segment_fixed_size 0
		.amdhsa_private_segment_fixed_size 0
		.amdhsa_kernarg_size 136
		.amdhsa_user_sgpr_count 6
		.amdhsa_user_sgpr_private_segment_buffer 1
		.amdhsa_user_sgpr_dispatch_ptr 0
		.amdhsa_user_sgpr_queue_ptr 0
		.amdhsa_user_sgpr_kernarg_segment_ptr 1
		.amdhsa_user_sgpr_dispatch_id 0
		.amdhsa_user_sgpr_flat_scratch_init 0
		.amdhsa_user_sgpr_kernarg_preload_length 0
		.amdhsa_user_sgpr_kernarg_preload_offset 0
		.amdhsa_user_sgpr_private_segment_size 0
		.amdhsa_uses_dynamic_stack 0
		.amdhsa_system_sgpr_private_segment_wavefront_offset 0
		.amdhsa_system_sgpr_workgroup_id_x 1
		.amdhsa_system_sgpr_workgroup_id_y 0
		.amdhsa_system_sgpr_workgroup_id_z 0
		.amdhsa_system_sgpr_workgroup_info 0
		.amdhsa_system_vgpr_workitem_id 0
		.amdhsa_next_free_vgpr 1
		.amdhsa_next_free_sgpr 0
		.amdhsa_accum_offset 4
		.amdhsa_reserve_vcc 0
		.amdhsa_reserve_flat_scratch 0
		.amdhsa_float_round_mode_32 0
		.amdhsa_float_round_mode_16_64 0
		.amdhsa_float_denorm_mode_32 3
		.amdhsa_float_denorm_mode_16_64 3
		.amdhsa_dx10_clamp 1
		.amdhsa_ieee_mode 1
		.amdhsa_fp16_overflow 0
		.amdhsa_tg_split 0
		.amdhsa_exception_fp_ieee_invalid_op 0
		.amdhsa_exception_fp_denorm_src 0
		.amdhsa_exception_fp_ieee_div_zero 0
		.amdhsa_exception_fp_ieee_overflow 0
		.amdhsa_exception_fp_ieee_underflow 0
		.amdhsa_exception_fp_ieee_inexact 0
		.amdhsa_exception_int_div_zero 0
	.end_amdhsa_kernel
	.section	.text._ZN7rocprim17ROCPRIM_400000_NS6detail17trampoline_kernelINS0_14default_configENS1_25partition_config_selectorILNS1_17partition_subalgoE3EyNS0_10empty_typeEbEEZZNS1_14partition_implILS5_3ELb0ES3_jN6thrust23THRUST_200600_302600_NS6detail15normal_iteratorINSA_7pointerIyNSA_11hip_rocprim3tagENSA_11use_defaultESG_EEEEPS6_SJ_NS0_5tupleIJPySJ_EEENSK_IJSJ_SJ_EEES6_PlJ7is_evenIyEEEE10hipError_tPvRmT3_T4_T5_T6_T7_T9_mT8_P12ihipStream_tbDpT10_ENKUlT_T0_E_clISt17integral_constantIbLb1EES1A_EEDaS15_S16_EUlS15_E_NS1_11comp_targetILNS1_3genE10ELNS1_11target_archE1200ELNS1_3gpuE4ELNS1_3repE0EEENS1_30default_config_static_selectorELNS0_4arch9wavefront6targetE1EEEvT1_,"axG",@progbits,_ZN7rocprim17ROCPRIM_400000_NS6detail17trampoline_kernelINS0_14default_configENS1_25partition_config_selectorILNS1_17partition_subalgoE3EyNS0_10empty_typeEbEEZZNS1_14partition_implILS5_3ELb0ES3_jN6thrust23THRUST_200600_302600_NS6detail15normal_iteratorINSA_7pointerIyNSA_11hip_rocprim3tagENSA_11use_defaultESG_EEEEPS6_SJ_NS0_5tupleIJPySJ_EEENSK_IJSJ_SJ_EEES6_PlJ7is_evenIyEEEE10hipError_tPvRmT3_T4_T5_T6_T7_T9_mT8_P12ihipStream_tbDpT10_ENKUlT_T0_E_clISt17integral_constantIbLb1EES1A_EEDaS15_S16_EUlS15_E_NS1_11comp_targetILNS1_3genE10ELNS1_11target_archE1200ELNS1_3gpuE4ELNS1_3repE0EEENS1_30default_config_static_selectorELNS0_4arch9wavefront6targetE1EEEvT1_,comdat
.Lfunc_end687:
	.size	_ZN7rocprim17ROCPRIM_400000_NS6detail17trampoline_kernelINS0_14default_configENS1_25partition_config_selectorILNS1_17partition_subalgoE3EyNS0_10empty_typeEbEEZZNS1_14partition_implILS5_3ELb0ES3_jN6thrust23THRUST_200600_302600_NS6detail15normal_iteratorINSA_7pointerIyNSA_11hip_rocprim3tagENSA_11use_defaultESG_EEEEPS6_SJ_NS0_5tupleIJPySJ_EEENSK_IJSJ_SJ_EEES6_PlJ7is_evenIyEEEE10hipError_tPvRmT3_T4_T5_T6_T7_T9_mT8_P12ihipStream_tbDpT10_ENKUlT_T0_E_clISt17integral_constantIbLb1EES1A_EEDaS15_S16_EUlS15_E_NS1_11comp_targetILNS1_3genE10ELNS1_11target_archE1200ELNS1_3gpuE4ELNS1_3repE0EEENS1_30default_config_static_selectorELNS0_4arch9wavefront6targetE1EEEvT1_, .Lfunc_end687-_ZN7rocprim17ROCPRIM_400000_NS6detail17trampoline_kernelINS0_14default_configENS1_25partition_config_selectorILNS1_17partition_subalgoE3EyNS0_10empty_typeEbEEZZNS1_14partition_implILS5_3ELb0ES3_jN6thrust23THRUST_200600_302600_NS6detail15normal_iteratorINSA_7pointerIyNSA_11hip_rocprim3tagENSA_11use_defaultESG_EEEEPS6_SJ_NS0_5tupleIJPySJ_EEENSK_IJSJ_SJ_EEES6_PlJ7is_evenIyEEEE10hipError_tPvRmT3_T4_T5_T6_T7_T9_mT8_P12ihipStream_tbDpT10_ENKUlT_T0_E_clISt17integral_constantIbLb1EES1A_EEDaS15_S16_EUlS15_E_NS1_11comp_targetILNS1_3genE10ELNS1_11target_archE1200ELNS1_3gpuE4ELNS1_3repE0EEENS1_30default_config_static_selectorELNS0_4arch9wavefront6targetE1EEEvT1_
                                        ; -- End function
	.section	.AMDGPU.csdata,"",@progbits
; Kernel info:
; codeLenInByte = 0
; NumSgprs: 4
; NumVgprs: 0
; NumAgprs: 0
; TotalNumVgprs: 0
; ScratchSize: 0
; MemoryBound: 0
; FloatMode: 240
; IeeeMode: 1
; LDSByteSize: 0 bytes/workgroup (compile time only)
; SGPRBlocks: 0
; VGPRBlocks: 0
; NumSGPRsForWavesPerEU: 4
; NumVGPRsForWavesPerEU: 1
; AccumOffset: 4
; Occupancy: 8
; WaveLimiterHint : 0
; COMPUTE_PGM_RSRC2:SCRATCH_EN: 0
; COMPUTE_PGM_RSRC2:USER_SGPR: 6
; COMPUTE_PGM_RSRC2:TRAP_HANDLER: 0
; COMPUTE_PGM_RSRC2:TGID_X_EN: 1
; COMPUTE_PGM_RSRC2:TGID_Y_EN: 0
; COMPUTE_PGM_RSRC2:TGID_Z_EN: 0
; COMPUTE_PGM_RSRC2:TIDIG_COMP_CNT: 0
; COMPUTE_PGM_RSRC3_GFX90A:ACCUM_OFFSET: 0
; COMPUTE_PGM_RSRC3_GFX90A:TG_SPLIT: 0
	.section	.text._ZN7rocprim17ROCPRIM_400000_NS6detail17trampoline_kernelINS0_14default_configENS1_25partition_config_selectorILNS1_17partition_subalgoE3EyNS0_10empty_typeEbEEZZNS1_14partition_implILS5_3ELb0ES3_jN6thrust23THRUST_200600_302600_NS6detail15normal_iteratorINSA_7pointerIyNSA_11hip_rocprim3tagENSA_11use_defaultESG_EEEEPS6_SJ_NS0_5tupleIJPySJ_EEENSK_IJSJ_SJ_EEES6_PlJ7is_evenIyEEEE10hipError_tPvRmT3_T4_T5_T6_T7_T9_mT8_P12ihipStream_tbDpT10_ENKUlT_T0_E_clISt17integral_constantIbLb1EES1A_EEDaS15_S16_EUlS15_E_NS1_11comp_targetILNS1_3genE9ELNS1_11target_archE1100ELNS1_3gpuE3ELNS1_3repE0EEENS1_30default_config_static_selectorELNS0_4arch9wavefront6targetE1EEEvT1_,"axG",@progbits,_ZN7rocprim17ROCPRIM_400000_NS6detail17trampoline_kernelINS0_14default_configENS1_25partition_config_selectorILNS1_17partition_subalgoE3EyNS0_10empty_typeEbEEZZNS1_14partition_implILS5_3ELb0ES3_jN6thrust23THRUST_200600_302600_NS6detail15normal_iteratorINSA_7pointerIyNSA_11hip_rocprim3tagENSA_11use_defaultESG_EEEEPS6_SJ_NS0_5tupleIJPySJ_EEENSK_IJSJ_SJ_EEES6_PlJ7is_evenIyEEEE10hipError_tPvRmT3_T4_T5_T6_T7_T9_mT8_P12ihipStream_tbDpT10_ENKUlT_T0_E_clISt17integral_constantIbLb1EES1A_EEDaS15_S16_EUlS15_E_NS1_11comp_targetILNS1_3genE9ELNS1_11target_archE1100ELNS1_3gpuE3ELNS1_3repE0EEENS1_30default_config_static_selectorELNS0_4arch9wavefront6targetE1EEEvT1_,comdat
	.protected	_ZN7rocprim17ROCPRIM_400000_NS6detail17trampoline_kernelINS0_14default_configENS1_25partition_config_selectorILNS1_17partition_subalgoE3EyNS0_10empty_typeEbEEZZNS1_14partition_implILS5_3ELb0ES3_jN6thrust23THRUST_200600_302600_NS6detail15normal_iteratorINSA_7pointerIyNSA_11hip_rocprim3tagENSA_11use_defaultESG_EEEEPS6_SJ_NS0_5tupleIJPySJ_EEENSK_IJSJ_SJ_EEES6_PlJ7is_evenIyEEEE10hipError_tPvRmT3_T4_T5_T6_T7_T9_mT8_P12ihipStream_tbDpT10_ENKUlT_T0_E_clISt17integral_constantIbLb1EES1A_EEDaS15_S16_EUlS15_E_NS1_11comp_targetILNS1_3genE9ELNS1_11target_archE1100ELNS1_3gpuE3ELNS1_3repE0EEENS1_30default_config_static_selectorELNS0_4arch9wavefront6targetE1EEEvT1_ ; -- Begin function _ZN7rocprim17ROCPRIM_400000_NS6detail17trampoline_kernelINS0_14default_configENS1_25partition_config_selectorILNS1_17partition_subalgoE3EyNS0_10empty_typeEbEEZZNS1_14partition_implILS5_3ELb0ES3_jN6thrust23THRUST_200600_302600_NS6detail15normal_iteratorINSA_7pointerIyNSA_11hip_rocprim3tagENSA_11use_defaultESG_EEEEPS6_SJ_NS0_5tupleIJPySJ_EEENSK_IJSJ_SJ_EEES6_PlJ7is_evenIyEEEE10hipError_tPvRmT3_T4_T5_T6_T7_T9_mT8_P12ihipStream_tbDpT10_ENKUlT_T0_E_clISt17integral_constantIbLb1EES1A_EEDaS15_S16_EUlS15_E_NS1_11comp_targetILNS1_3genE9ELNS1_11target_archE1100ELNS1_3gpuE3ELNS1_3repE0EEENS1_30default_config_static_selectorELNS0_4arch9wavefront6targetE1EEEvT1_
	.globl	_ZN7rocprim17ROCPRIM_400000_NS6detail17trampoline_kernelINS0_14default_configENS1_25partition_config_selectorILNS1_17partition_subalgoE3EyNS0_10empty_typeEbEEZZNS1_14partition_implILS5_3ELb0ES3_jN6thrust23THRUST_200600_302600_NS6detail15normal_iteratorINSA_7pointerIyNSA_11hip_rocprim3tagENSA_11use_defaultESG_EEEEPS6_SJ_NS0_5tupleIJPySJ_EEENSK_IJSJ_SJ_EEES6_PlJ7is_evenIyEEEE10hipError_tPvRmT3_T4_T5_T6_T7_T9_mT8_P12ihipStream_tbDpT10_ENKUlT_T0_E_clISt17integral_constantIbLb1EES1A_EEDaS15_S16_EUlS15_E_NS1_11comp_targetILNS1_3genE9ELNS1_11target_archE1100ELNS1_3gpuE3ELNS1_3repE0EEENS1_30default_config_static_selectorELNS0_4arch9wavefront6targetE1EEEvT1_
	.p2align	8
	.type	_ZN7rocprim17ROCPRIM_400000_NS6detail17trampoline_kernelINS0_14default_configENS1_25partition_config_selectorILNS1_17partition_subalgoE3EyNS0_10empty_typeEbEEZZNS1_14partition_implILS5_3ELb0ES3_jN6thrust23THRUST_200600_302600_NS6detail15normal_iteratorINSA_7pointerIyNSA_11hip_rocprim3tagENSA_11use_defaultESG_EEEEPS6_SJ_NS0_5tupleIJPySJ_EEENSK_IJSJ_SJ_EEES6_PlJ7is_evenIyEEEE10hipError_tPvRmT3_T4_T5_T6_T7_T9_mT8_P12ihipStream_tbDpT10_ENKUlT_T0_E_clISt17integral_constantIbLb1EES1A_EEDaS15_S16_EUlS15_E_NS1_11comp_targetILNS1_3genE9ELNS1_11target_archE1100ELNS1_3gpuE3ELNS1_3repE0EEENS1_30default_config_static_selectorELNS0_4arch9wavefront6targetE1EEEvT1_,@function
_ZN7rocprim17ROCPRIM_400000_NS6detail17trampoline_kernelINS0_14default_configENS1_25partition_config_selectorILNS1_17partition_subalgoE3EyNS0_10empty_typeEbEEZZNS1_14partition_implILS5_3ELb0ES3_jN6thrust23THRUST_200600_302600_NS6detail15normal_iteratorINSA_7pointerIyNSA_11hip_rocprim3tagENSA_11use_defaultESG_EEEEPS6_SJ_NS0_5tupleIJPySJ_EEENSK_IJSJ_SJ_EEES6_PlJ7is_evenIyEEEE10hipError_tPvRmT3_T4_T5_T6_T7_T9_mT8_P12ihipStream_tbDpT10_ENKUlT_T0_E_clISt17integral_constantIbLb1EES1A_EEDaS15_S16_EUlS15_E_NS1_11comp_targetILNS1_3genE9ELNS1_11target_archE1100ELNS1_3gpuE3ELNS1_3repE0EEENS1_30default_config_static_selectorELNS0_4arch9wavefront6targetE1EEEvT1_: ; @_ZN7rocprim17ROCPRIM_400000_NS6detail17trampoline_kernelINS0_14default_configENS1_25partition_config_selectorILNS1_17partition_subalgoE3EyNS0_10empty_typeEbEEZZNS1_14partition_implILS5_3ELb0ES3_jN6thrust23THRUST_200600_302600_NS6detail15normal_iteratorINSA_7pointerIyNSA_11hip_rocprim3tagENSA_11use_defaultESG_EEEEPS6_SJ_NS0_5tupleIJPySJ_EEENSK_IJSJ_SJ_EEES6_PlJ7is_evenIyEEEE10hipError_tPvRmT3_T4_T5_T6_T7_T9_mT8_P12ihipStream_tbDpT10_ENKUlT_T0_E_clISt17integral_constantIbLb1EES1A_EEDaS15_S16_EUlS15_E_NS1_11comp_targetILNS1_3genE9ELNS1_11target_archE1100ELNS1_3gpuE3ELNS1_3repE0EEENS1_30default_config_static_selectorELNS0_4arch9wavefront6targetE1EEEvT1_
; %bb.0:
	.section	.rodata,"a",@progbits
	.p2align	6, 0x0
	.amdhsa_kernel _ZN7rocprim17ROCPRIM_400000_NS6detail17trampoline_kernelINS0_14default_configENS1_25partition_config_selectorILNS1_17partition_subalgoE3EyNS0_10empty_typeEbEEZZNS1_14partition_implILS5_3ELb0ES3_jN6thrust23THRUST_200600_302600_NS6detail15normal_iteratorINSA_7pointerIyNSA_11hip_rocprim3tagENSA_11use_defaultESG_EEEEPS6_SJ_NS0_5tupleIJPySJ_EEENSK_IJSJ_SJ_EEES6_PlJ7is_evenIyEEEE10hipError_tPvRmT3_T4_T5_T6_T7_T9_mT8_P12ihipStream_tbDpT10_ENKUlT_T0_E_clISt17integral_constantIbLb1EES1A_EEDaS15_S16_EUlS15_E_NS1_11comp_targetILNS1_3genE9ELNS1_11target_archE1100ELNS1_3gpuE3ELNS1_3repE0EEENS1_30default_config_static_selectorELNS0_4arch9wavefront6targetE1EEEvT1_
		.amdhsa_group_segment_fixed_size 0
		.amdhsa_private_segment_fixed_size 0
		.amdhsa_kernarg_size 136
		.amdhsa_user_sgpr_count 6
		.amdhsa_user_sgpr_private_segment_buffer 1
		.amdhsa_user_sgpr_dispatch_ptr 0
		.amdhsa_user_sgpr_queue_ptr 0
		.amdhsa_user_sgpr_kernarg_segment_ptr 1
		.amdhsa_user_sgpr_dispatch_id 0
		.amdhsa_user_sgpr_flat_scratch_init 0
		.amdhsa_user_sgpr_kernarg_preload_length 0
		.amdhsa_user_sgpr_kernarg_preload_offset 0
		.amdhsa_user_sgpr_private_segment_size 0
		.amdhsa_uses_dynamic_stack 0
		.amdhsa_system_sgpr_private_segment_wavefront_offset 0
		.amdhsa_system_sgpr_workgroup_id_x 1
		.amdhsa_system_sgpr_workgroup_id_y 0
		.amdhsa_system_sgpr_workgroup_id_z 0
		.amdhsa_system_sgpr_workgroup_info 0
		.amdhsa_system_vgpr_workitem_id 0
		.amdhsa_next_free_vgpr 1
		.amdhsa_next_free_sgpr 0
		.amdhsa_accum_offset 4
		.amdhsa_reserve_vcc 0
		.amdhsa_reserve_flat_scratch 0
		.amdhsa_float_round_mode_32 0
		.amdhsa_float_round_mode_16_64 0
		.amdhsa_float_denorm_mode_32 3
		.amdhsa_float_denorm_mode_16_64 3
		.amdhsa_dx10_clamp 1
		.amdhsa_ieee_mode 1
		.amdhsa_fp16_overflow 0
		.amdhsa_tg_split 0
		.amdhsa_exception_fp_ieee_invalid_op 0
		.amdhsa_exception_fp_denorm_src 0
		.amdhsa_exception_fp_ieee_div_zero 0
		.amdhsa_exception_fp_ieee_overflow 0
		.amdhsa_exception_fp_ieee_underflow 0
		.amdhsa_exception_fp_ieee_inexact 0
		.amdhsa_exception_int_div_zero 0
	.end_amdhsa_kernel
	.section	.text._ZN7rocprim17ROCPRIM_400000_NS6detail17trampoline_kernelINS0_14default_configENS1_25partition_config_selectorILNS1_17partition_subalgoE3EyNS0_10empty_typeEbEEZZNS1_14partition_implILS5_3ELb0ES3_jN6thrust23THRUST_200600_302600_NS6detail15normal_iteratorINSA_7pointerIyNSA_11hip_rocprim3tagENSA_11use_defaultESG_EEEEPS6_SJ_NS0_5tupleIJPySJ_EEENSK_IJSJ_SJ_EEES6_PlJ7is_evenIyEEEE10hipError_tPvRmT3_T4_T5_T6_T7_T9_mT8_P12ihipStream_tbDpT10_ENKUlT_T0_E_clISt17integral_constantIbLb1EES1A_EEDaS15_S16_EUlS15_E_NS1_11comp_targetILNS1_3genE9ELNS1_11target_archE1100ELNS1_3gpuE3ELNS1_3repE0EEENS1_30default_config_static_selectorELNS0_4arch9wavefront6targetE1EEEvT1_,"axG",@progbits,_ZN7rocprim17ROCPRIM_400000_NS6detail17trampoline_kernelINS0_14default_configENS1_25partition_config_selectorILNS1_17partition_subalgoE3EyNS0_10empty_typeEbEEZZNS1_14partition_implILS5_3ELb0ES3_jN6thrust23THRUST_200600_302600_NS6detail15normal_iteratorINSA_7pointerIyNSA_11hip_rocprim3tagENSA_11use_defaultESG_EEEEPS6_SJ_NS0_5tupleIJPySJ_EEENSK_IJSJ_SJ_EEES6_PlJ7is_evenIyEEEE10hipError_tPvRmT3_T4_T5_T6_T7_T9_mT8_P12ihipStream_tbDpT10_ENKUlT_T0_E_clISt17integral_constantIbLb1EES1A_EEDaS15_S16_EUlS15_E_NS1_11comp_targetILNS1_3genE9ELNS1_11target_archE1100ELNS1_3gpuE3ELNS1_3repE0EEENS1_30default_config_static_selectorELNS0_4arch9wavefront6targetE1EEEvT1_,comdat
.Lfunc_end688:
	.size	_ZN7rocprim17ROCPRIM_400000_NS6detail17trampoline_kernelINS0_14default_configENS1_25partition_config_selectorILNS1_17partition_subalgoE3EyNS0_10empty_typeEbEEZZNS1_14partition_implILS5_3ELb0ES3_jN6thrust23THRUST_200600_302600_NS6detail15normal_iteratorINSA_7pointerIyNSA_11hip_rocprim3tagENSA_11use_defaultESG_EEEEPS6_SJ_NS0_5tupleIJPySJ_EEENSK_IJSJ_SJ_EEES6_PlJ7is_evenIyEEEE10hipError_tPvRmT3_T4_T5_T6_T7_T9_mT8_P12ihipStream_tbDpT10_ENKUlT_T0_E_clISt17integral_constantIbLb1EES1A_EEDaS15_S16_EUlS15_E_NS1_11comp_targetILNS1_3genE9ELNS1_11target_archE1100ELNS1_3gpuE3ELNS1_3repE0EEENS1_30default_config_static_selectorELNS0_4arch9wavefront6targetE1EEEvT1_, .Lfunc_end688-_ZN7rocprim17ROCPRIM_400000_NS6detail17trampoline_kernelINS0_14default_configENS1_25partition_config_selectorILNS1_17partition_subalgoE3EyNS0_10empty_typeEbEEZZNS1_14partition_implILS5_3ELb0ES3_jN6thrust23THRUST_200600_302600_NS6detail15normal_iteratorINSA_7pointerIyNSA_11hip_rocprim3tagENSA_11use_defaultESG_EEEEPS6_SJ_NS0_5tupleIJPySJ_EEENSK_IJSJ_SJ_EEES6_PlJ7is_evenIyEEEE10hipError_tPvRmT3_T4_T5_T6_T7_T9_mT8_P12ihipStream_tbDpT10_ENKUlT_T0_E_clISt17integral_constantIbLb1EES1A_EEDaS15_S16_EUlS15_E_NS1_11comp_targetILNS1_3genE9ELNS1_11target_archE1100ELNS1_3gpuE3ELNS1_3repE0EEENS1_30default_config_static_selectorELNS0_4arch9wavefront6targetE1EEEvT1_
                                        ; -- End function
	.section	.AMDGPU.csdata,"",@progbits
; Kernel info:
; codeLenInByte = 0
; NumSgprs: 4
; NumVgprs: 0
; NumAgprs: 0
; TotalNumVgprs: 0
; ScratchSize: 0
; MemoryBound: 0
; FloatMode: 240
; IeeeMode: 1
; LDSByteSize: 0 bytes/workgroup (compile time only)
; SGPRBlocks: 0
; VGPRBlocks: 0
; NumSGPRsForWavesPerEU: 4
; NumVGPRsForWavesPerEU: 1
; AccumOffset: 4
; Occupancy: 8
; WaveLimiterHint : 0
; COMPUTE_PGM_RSRC2:SCRATCH_EN: 0
; COMPUTE_PGM_RSRC2:USER_SGPR: 6
; COMPUTE_PGM_RSRC2:TRAP_HANDLER: 0
; COMPUTE_PGM_RSRC2:TGID_X_EN: 1
; COMPUTE_PGM_RSRC2:TGID_Y_EN: 0
; COMPUTE_PGM_RSRC2:TGID_Z_EN: 0
; COMPUTE_PGM_RSRC2:TIDIG_COMP_CNT: 0
; COMPUTE_PGM_RSRC3_GFX90A:ACCUM_OFFSET: 0
; COMPUTE_PGM_RSRC3_GFX90A:TG_SPLIT: 0
	.section	.text._ZN7rocprim17ROCPRIM_400000_NS6detail17trampoline_kernelINS0_14default_configENS1_25partition_config_selectorILNS1_17partition_subalgoE3EyNS0_10empty_typeEbEEZZNS1_14partition_implILS5_3ELb0ES3_jN6thrust23THRUST_200600_302600_NS6detail15normal_iteratorINSA_7pointerIyNSA_11hip_rocprim3tagENSA_11use_defaultESG_EEEEPS6_SJ_NS0_5tupleIJPySJ_EEENSK_IJSJ_SJ_EEES6_PlJ7is_evenIyEEEE10hipError_tPvRmT3_T4_T5_T6_T7_T9_mT8_P12ihipStream_tbDpT10_ENKUlT_T0_E_clISt17integral_constantIbLb1EES1A_EEDaS15_S16_EUlS15_E_NS1_11comp_targetILNS1_3genE8ELNS1_11target_archE1030ELNS1_3gpuE2ELNS1_3repE0EEENS1_30default_config_static_selectorELNS0_4arch9wavefront6targetE1EEEvT1_,"axG",@progbits,_ZN7rocprim17ROCPRIM_400000_NS6detail17trampoline_kernelINS0_14default_configENS1_25partition_config_selectorILNS1_17partition_subalgoE3EyNS0_10empty_typeEbEEZZNS1_14partition_implILS5_3ELb0ES3_jN6thrust23THRUST_200600_302600_NS6detail15normal_iteratorINSA_7pointerIyNSA_11hip_rocprim3tagENSA_11use_defaultESG_EEEEPS6_SJ_NS0_5tupleIJPySJ_EEENSK_IJSJ_SJ_EEES6_PlJ7is_evenIyEEEE10hipError_tPvRmT3_T4_T5_T6_T7_T9_mT8_P12ihipStream_tbDpT10_ENKUlT_T0_E_clISt17integral_constantIbLb1EES1A_EEDaS15_S16_EUlS15_E_NS1_11comp_targetILNS1_3genE8ELNS1_11target_archE1030ELNS1_3gpuE2ELNS1_3repE0EEENS1_30default_config_static_selectorELNS0_4arch9wavefront6targetE1EEEvT1_,comdat
	.protected	_ZN7rocprim17ROCPRIM_400000_NS6detail17trampoline_kernelINS0_14default_configENS1_25partition_config_selectorILNS1_17partition_subalgoE3EyNS0_10empty_typeEbEEZZNS1_14partition_implILS5_3ELb0ES3_jN6thrust23THRUST_200600_302600_NS6detail15normal_iteratorINSA_7pointerIyNSA_11hip_rocprim3tagENSA_11use_defaultESG_EEEEPS6_SJ_NS0_5tupleIJPySJ_EEENSK_IJSJ_SJ_EEES6_PlJ7is_evenIyEEEE10hipError_tPvRmT3_T4_T5_T6_T7_T9_mT8_P12ihipStream_tbDpT10_ENKUlT_T0_E_clISt17integral_constantIbLb1EES1A_EEDaS15_S16_EUlS15_E_NS1_11comp_targetILNS1_3genE8ELNS1_11target_archE1030ELNS1_3gpuE2ELNS1_3repE0EEENS1_30default_config_static_selectorELNS0_4arch9wavefront6targetE1EEEvT1_ ; -- Begin function _ZN7rocprim17ROCPRIM_400000_NS6detail17trampoline_kernelINS0_14default_configENS1_25partition_config_selectorILNS1_17partition_subalgoE3EyNS0_10empty_typeEbEEZZNS1_14partition_implILS5_3ELb0ES3_jN6thrust23THRUST_200600_302600_NS6detail15normal_iteratorINSA_7pointerIyNSA_11hip_rocprim3tagENSA_11use_defaultESG_EEEEPS6_SJ_NS0_5tupleIJPySJ_EEENSK_IJSJ_SJ_EEES6_PlJ7is_evenIyEEEE10hipError_tPvRmT3_T4_T5_T6_T7_T9_mT8_P12ihipStream_tbDpT10_ENKUlT_T0_E_clISt17integral_constantIbLb1EES1A_EEDaS15_S16_EUlS15_E_NS1_11comp_targetILNS1_3genE8ELNS1_11target_archE1030ELNS1_3gpuE2ELNS1_3repE0EEENS1_30default_config_static_selectorELNS0_4arch9wavefront6targetE1EEEvT1_
	.globl	_ZN7rocprim17ROCPRIM_400000_NS6detail17trampoline_kernelINS0_14default_configENS1_25partition_config_selectorILNS1_17partition_subalgoE3EyNS0_10empty_typeEbEEZZNS1_14partition_implILS5_3ELb0ES3_jN6thrust23THRUST_200600_302600_NS6detail15normal_iteratorINSA_7pointerIyNSA_11hip_rocprim3tagENSA_11use_defaultESG_EEEEPS6_SJ_NS0_5tupleIJPySJ_EEENSK_IJSJ_SJ_EEES6_PlJ7is_evenIyEEEE10hipError_tPvRmT3_T4_T5_T6_T7_T9_mT8_P12ihipStream_tbDpT10_ENKUlT_T0_E_clISt17integral_constantIbLb1EES1A_EEDaS15_S16_EUlS15_E_NS1_11comp_targetILNS1_3genE8ELNS1_11target_archE1030ELNS1_3gpuE2ELNS1_3repE0EEENS1_30default_config_static_selectorELNS0_4arch9wavefront6targetE1EEEvT1_
	.p2align	8
	.type	_ZN7rocprim17ROCPRIM_400000_NS6detail17trampoline_kernelINS0_14default_configENS1_25partition_config_selectorILNS1_17partition_subalgoE3EyNS0_10empty_typeEbEEZZNS1_14partition_implILS5_3ELb0ES3_jN6thrust23THRUST_200600_302600_NS6detail15normal_iteratorINSA_7pointerIyNSA_11hip_rocprim3tagENSA_11use_defaultESG_EEEEPS6_SJ_NS0_5tupleIJPySJ_EEENSK_IJSJ_SJ_EEES6_PlJ7is_evenIyEEEE10hipError_tPvRmT3_T4_T5_T6_T7_T9_mT8_P12ihipStream_tbDpT10_ENKUlT_T0_E_clISt17integral_constantIbLb1EES1A_EEDaS15_S16_EUlS15_E_NS1_11comp_targetILNS1_3genE8ELNS1_11target_archE1030ELNS1_3gpuE2ELNS1_3repE0EEENS1_30default_config_static_selectorELNS0_4arch9wavefront6targetE1EEEvT1_,@function
_ZN7rocprim17ROCPRIM_400000_NS6detail17trampoline_kernelINS0_14default_configENS1_25partition_config_selectorILNS1_17partition_subalgoE3EyNS0_10empty_typeEbEEZZNS1_14partition_implILS5_3ELb0ES3_jN6thrust23THRUST_200600_302600_NS6detail15normal_iteratorINSA_7pointerIyNSA_11hip_rocprim3tagENSA_11use_defaultESG_EEEEPS6_SJ_NS0_5tupleIJPySJ_EEENSK_IJSJ_SJ_EEES6_PlJ7is_evenIyEEEE10hipError_tPvRmT3_T4_T5_T6_T7_T9_mT8_P12ihipStream_tbDpT10_ENKUlT_T0_E_clISt17integral_constantIbLb1EES1A_EEDaS15_S16_EUlS15_E_NS1_11comp_targetILNS1_3genE8ELNS1_11target_archE1030ELNS1_3gpuE2ELNS1_3repE0EEENS1_30default_config_static_selectorELNS0_4arch9wavefront6targetE1EEEvT1_: ; @_ZN7rocprim17ROCPRIM_400000_NS6detail17trampoline_kernelINS0_14default_configENS1_25partition_config_selectorILNS1_17partition_subalgoE3EyNS0_10empty_typeEbEEZZNS1_14partition_implILS5_3ELb0ES3_jN6thrust23THRUST_200600_302600_NS6detail15normal_iteratorINSA_7pointerIyNSA_11hip_rocprim3tagENSA_11use_defaultESG_EEEEPS6_SJ_NS0_5tupleIJPySJ_EEENSK_IJSJ_SJ_EEES6_PlJ7is_evenIyEEEE10hipError_tPvRmT3_T4_T5_T6_T7_T9_mT8_P12ihipStream_tbDpT10_ENKUlT_T0_E_clISt17integral_constantIbLb1EES1A_EEDaS15_S16_EUlS15_E_NS1_11comp_targetILNS1_3genE8ELNS1_11target_archE1030ELNS1_3gpuE2ELNS1_3repE0EEENS1_30default_config_static_selectorELNS0_4arch9wavefront6targetE1EEEvT1_
; %bb.0:
	.section	.rodata,"a",@progbits
	.p2align	6, 0x0
	.amdhsa_kernel _ZN7rocprim17ROCPRIM_400000_NS6detail17trampoline_kernelINS0_14default_configENS1_25partition_config_selectorILNS1_17partition_subalgoE3EyNS0_10empty_typeEbEEZZNS1_14partition_implILS5_3ELb0ES3_jN6thrust23THRUST_200600_302600_NS6detail15normal_iteratorINSA_7pointerIyNSA_11hip_rocprim3tagENSA_11use_defaultESG_EEEEPS6_SJ_NS0_5tupleIJPySJ_EEENSK_IJSJ_SJ_EEES6_PlJ7is_evenIyEEEE10hipError_tPvRmT3_T4_T5_T6_T7_T9_mT8_P12ihipStream_tbDpT10_ENKUlT_T0_E_clISt17integral_constantIbLb1EES1A_EEDaS15_S16_EUlS15_E_NS1_11comp_targetILNS1_3genE8ELNS1_11target_archE1030ELNS1_3gpuE2ELNS1_3repE0EEENS1_30default_config_static_selectorELNS0_4arch9wavefront6targetE1EEEvT1_
		.amdhsa_group_segment_fixed_size 0
		.amdhsa_private_segment_fixed_size 0
		.amdhsa_kernarg_size 136
		.amdhsa_user_sgpr_count 6
		.amdhsa_user_sgpr_private_segment_buffer 1
		.amdhsa_user_sgpr_dispatch_ptr 0
		.amdhsa_user_sgpr_queue_ptr 0
		.amdhsa_user_sgpr_kernarg_segment_ptr 1
		.amdhsa_user_sgpr_dispatch_id 0
		.amdhsa_user_sgpr_flat_scratch_init 0
		.amdhsa_user_sgpr_kernarg_preload_length 0
		.amdhsa_user_sgpr_kernarg_preload_offset 0
		.amdhsa_user_sgpr_private_segment_size 0
		.amdhsa_uses_dynamic_stack 0
		.amdhsa_system_sgpr_private_segment_wavefront_offset 0
		.amdhsa_system_sgpr_workgroup_id_x 1
		.amdhsa_system_sgpr_workgroup_id_y 0
		.amdhsa_system_sgpr_workgroup_id_z 0
		.amdhsa_system_sgpr_workgroup_info 0
		.amdhsa_system_vgpr_workitem_id 0
		.amdhsa_next_free_vgpr 1
		.amdhsa_next_free_sgpr 0
		.amdhsa_accum_offset 4
		.amdhsa_reserve_vcc 0
		.amdhsa_reserve_flat_scratch 0
		.amdhsa_float_round_mode_32 0
		.amdhsa_float_round_mode_16_64 0
		.amdhsa_float_denorm_mode_32 3
		.amdhsa_float_denorm_mode_16_64 3
		.amdhsa_dx10_clamp 1
		.amdhsa_ieee_mode 1
		.amdhsa_fp16_overflow 0
		.amdhsa_tg_split 0
		.amdhsa_exception_fp_ieee_invalid_op 0
		.amdhsa_exception_fp_denorm_src 0
		.amdhsa_exception_fp_ieee_div_zero 0
		.amdhsa_exception_fp_ieee_overflow 0
		.amdhsa_exception_fp_ieee_underflow 0
		.amdhsa_exception_fp_ieee_inexact 0
		.amdhsa_exception_int_div_zero 0
	.end_amdhsa_kernel
	.section	.text._ZN7rocprim17ROCPRIM_400000_NS6detail17trampoline_kernelINS0_14default_configENS1_25partition_config_selectorILNS1_17partition_subalgoE3EyNS0_10empty_typeEbEEZZNS1_14partition_implILS5_3ELb0ES3_jN6thrust23THRUST_200600_302600_NS6detail15normal_iteratorINSA_7pointerIyNSA_11hip_rocprim3tagENSA_11use_defaultESG_EEEEPS6_SJ_NS0_5tupleIJPySJ_EEENSK_IJSJ_SJ_EEES6_PlJ7is_evenIyEEEE10hipError_tPvRmT3_T4_T5_T6_T7_T9_mT8_P12ihipStream_tbDpT10_ENKUlT_T0_E_clISt17integral_constantIbLb1EES1A_EEDaS15_S16_EUlS15_E_NS1_11comp_targetILNS1_3genE8ELNS1_11target_archE1030ELNS1_3gpuE2ELNS1_3repE0EEENS1_30default_config_static_selectorELNS0_4arch9wavefront6targetE1EEEvT1_,"axG",@progbits,_ZN7rocprim17ROCPRIM_400000_NS6detail17trampoline_kernelINS0_14default_configENS1_25partition_config_selectorILNS1_17partition_subalgoE3EyNS0_10empty_typeEbEEZZNS1_14partition_implILS5_3ELb0ES3_jN6thrust23THRUST_200600_302600_NS6detail15normal_iteratorINSA_7pointerIyNSA_11hip_rocprim3tagENSA_11use_defaultESG_EEEEPS6_SJ_NS0_5tupleIJPySJ_EEENSK_IJSJ_SJ_EEES6_PlJ7is_evenIyEEEE10hipError_tPvRmT3_T4_T5_T6_T7_T9_mT8_P12ihipStream_tbDpT10_ENKUlT_T0_E_clISt17integral_constantIbLb1EES1A_EEDaS15_S16_EUlS15_E_NS1_11comp_targetILNS1_3genE8ELNS1_11target_archE1030ELNS1_3gpuE2ELNS1_3repE0EEENS1_30default_config_static_selectorELNS0_4arch9wavefront6targetE1EEEvT1_,comdat
.Lfunc_end689:
	.size	_ZN7rocprim17ROCPRIM_400000_NS6detail17trampoline_kernelINS0_14default_configENS1_25partition_config_selectorILNS1_17partition_subalgoE3EyNS0_10empty_typeEbEEZZNS1_14partition_implILS5_3ELb0ES3_jN6thrust23THRUST_200600_302600_NS6detail15normal_iteratorINSA_7pointerIyNSA_11hip_rocprim3tagENSA_11use_defaultESG_EEEEPS6_SJ_NS0_5tupleIJPySJ_EEENSK_IJSJ_SJ_EEES6_PlJ7is_evenIyEEEE10hipError_tPvRmT3_T4_T5_T6_T7_T9_mT8_P12ihipStream_tbDpT10_ENKUlT_T0_E_clISt17integral_constantIbLb1EES1A_EEDaS15_S16_EUlS15_E_NS1_11comp_targetILNS1_3genE8ELNS1_11target_archE1030ELNS1_3gpuE2ELNS1_3repE0EEENS1_30default_config_static_selectorELNS0_4arch9wavefront6targetE1EEEvT1_, .Lfunc_end689-_ZN7rocprim17ROCPRIM_400000_NS6detail17trampoline_kernelINS0_14default_configENS1_25partition_config_selectorILNS1_17partition_subalgoE3EyNS0_10empty_typeEbEEZZNS1_14partition_implILS5_3ELb0ES3_jN6thrust23THRUST_200600_302600_NS6detail15normal_iteratorINSA_7pointerIyNSA_11hip_rocprim3tagENSA_11use_defaultESG_EEEEPS6_SJ_NS0_5tupleIJPySJ_EEENSK_IJSJ_SJ_EEES6_PlJ7is_evenIyEEEE10hipError_tPvRmT3_T4_T5_T6_T7_T9_mT8_P12ihipStream_tbDpT10_ENKUlT_T0_E_clISt17integral_constantIbLb1EES1A_EEDaS15_S16_EUlS15_E_NS1_11comp_targetILNS1_3genE8ELNS1_11target_archE1030ELNS1_3gpuE2ELNS1_3repE0EEENS1_30default_config_static_selectorELNS0_4arch9wavefront6targetE1EEEvT1_
                                        ; -- End function
	.section	.AMDGPU.csdata,"",@progbits
; Kernel info:
; codeLenInByte = 0
; NumSgprs: 4
; NumVgprs: 0
; NumAgprs: 0
; TotalNumVgprs: 0
; ScratchSize: 0
; MemoryBound: 0
; FloatMode: 240
; IeeeMode: 1
; LDSByteSize: 0 bytes/workgroup (compile time only)
; SGPRBlocks: 0
; VGPRBlocks: 0
; NumSGPRsForWavesPerEU: 4
; NumVGPRsForWavesPerEU: 1
; AccumOffset: 4
; Occupancy: 8
; WaveLimiterHint : 0
; COMPUTE_PGM_RSRC2:SCRATCH_EN: 0
; COMPUTE_PGM_RSRC2:USER_SGPR: 6
; COMPUTE_PGM_RSRC2:TRAP_HANDLER: 0
; COMPUTE_PGM_RSRC2:TGID_X_EN: 1
; COMPUTE_PGM_RSRC2:TGID_Y_EN: 0
; COMPUTE_PGM_RSRC2:TGID_Z_EN: 0
; COMPUTE_PGM_RSRC2:TIDIG_COMP_CNT: 0
; COMPUTE_PGM_RSRC3_GFX90A:ACCUM_OFFSET: 0
; COMPUTE_PGM_RSRC3_GFX90A:TG_SPLIT: 0
	.section	.text._ZN7rocprim17ROCPRIM_400000_NS6detail17trampoline_kernelINS0_14default_configENS1_25partition_config_selectorILNS1_17partition_subalgoE3EyNS0_10empty_typeEbEEZZNS1_14partition_implILS5_3ELb0ES3_jN6thrust23THRUST_200600_302600_NS6detail15normal_iteratorINSA_7pointerIyNSA_11hip_rocprim3tagENSA_11use_defaultESG_EEEEPS6_SJ_NS0_5tupleIJPySJ_EEENSK_IJSJ_SJ_EEES6_PlJ7is_evenIyEEEE10hipError_tPvRmT3_T4_T5_T6_T7_T9_mT8_P12ihipStream_tbDpT10_ENKUlT_T0_E_clISt17integral_constantIbLb1EES19_IbLb0EEEEDaS15_S16_EUlS15_E_NS1_11comp_targetILNS1_3genE0ELNS1_11target_archE4294967295ELNS1_3gpuE0ELNS1_3repE0EEENS1_30default_config_static_selectorELNS0_4arch9wavefront6targetE1EEEvT1_,"axG",@progbits,_ZN7rocprim17ROCPRIM_400000_NS6detail17trampoline_kernelINS0_14default_configENS1_25partition_config_selectorILNS1_17partition_subalgoE3EyNS0_10empty_typeEbEEZZNS1_14partition_implILS5_3ELb0ES3_jN6thrust23THRUST_200600_302600_NS6detail15normal_iteratorINSA_7pointerIyNSA_11hip_rocprim3tagENSA_11use_defaultESG_EEEEPS6_SJ_NS0_5tupleIJPySJ_EEENSK_IJSJ_SJ_EEES6_PlJ7is_evenIyEEEE10hipError_tPvRmT3_T4_T5_T6_T7_T9_mT8_P12ihipStream_tbDpT10_ENKUlT_T0_E_clISt17integral_constantIbLb1EES19_IbLb0EEEEDaS15_S16_EUlS15_E_NS1_11comp_targetILNS1_3genE0ELNS1_11target_archE4294967295ELNS1_3gpuE0ELNS1_3repE0EEENS1_30default_config_static_selectorELNS0_4arch9wavefront6targetE1EEEvT1_,comdat
	.protected	_ZN7rocprim17ROCPRIM_400000_NS6detail17trampoline_kernelINS0_14default_configENS1_25partition_config_selectorILNS1_17partition_subalgoE3EyNS0_10empty_typeEbEEZZNS1_14partition_implILS5_3ELb0ES3_jN6thrust23THRUST_200600_302600_NS6detail15normal_iteratorINSA_7pointerIyNSA_11hip_rocprim3tagENSA_11use_defaultESG_EEEEPS6_SJ_NS0_5tupleIJPySJ_EEENSK_IJSJ_SJ_EEES6_PlJ7is_evenIyEEEE10hipError_tPvRmT3_T4_T5_T6_T7_T9_mT8_P12ihipStream_tbDpT10_ENKUlT_T0_E_clISt17integral_constantIbLb1EES19_IbLb0EEEEDaS15_S16_EUlS15_E_NS1_11comp_targetILNS1_3genE0ELNS1_11target_archE4294967295ELNS1_3gpuE0ELNS1_3repE0EEENS1_30default_config_static_selectorELNS0_4arch9wavefront6targetE1EEEvT1_ ; -- Begin function _ZN7rocprim17ROCPRIM_400000_NS6detail17trampoline_kernelINS0_14default_configENS1_25partition_config_selectorILNS1_17partition_subalgoE3EyNS0_10empty_typeEbEEZZNS1_14partition_implILS5_3ELb0ES3_jN6thrust23THRUST_200600_302600_NS6detail15normal_iteratorINSA_7pointerIyNSA_11hip_rocprim3tagENSA_11use_defaultESG_EEEEPS6_SJ_NS0_5tupleIJPySJ_EEENSK_IJSJ_SJ_EEES6_PlJ7is_evenIyEEEE10hipError_tPvRmT3_T4_T5_T6_T7_T9_mT8_P12ihipStream_tbDpT10_ENKUlT_T0_E_clISt17integral_constantIbLb1EES19_IbLb0EEEEDaS15_S16_EUlS15_E_NS1_11comp_targetILNS1_3genE0ELNS1_11target_archE4294967295ELNS1_3gpuE0ELNS1_3repE0EEENS1_30default_config_static_selectorELNS0_4arch9wavefront6targetE1EEEvT1_
	.globl	_ZN7rocprim17ROCPRIM_400000_NS6detail17trampoline_kernelINS0_14default_configENS1_25partition_config_selectorILNS1_17partition_subalgoE3EyNS0_10empty_typeEbEEZZNS1_14partition_implILS5_3ELb0ES3_jN6thrust23THRUST_200600_302600_NS6detail15normal_iteratorINSA_7pointerIyNSA_11hip_rocprim3tagENSA_11use_defaultESG_EEEEPS6_SJ_NS0_5tupleIJPySJ_EEENSK_IJSJ_SJ_EEES6_PlJ7is_evenIyEEEE10hipError_tPvRmT3_T4_T5_T6_T7_T9_mT8_P12ihipStream_tbDpT10_ENKUlT_T0_E_clISt17integral_constantIbLb1EES19_IbLb0EEEEDaS15_S16_EUlS15_E_NS1_11comp_targetILNS1_3genE0ELNS1_11target_archE4294967295ELNS1_3gpuE0ELNS1_3repE0EEENS1_30default_config_static_selectorELNS0_4arch9wavefront6targetE1EEEvT1_
	.p2align	8
	.type	_ZN7rocprim17ROCPRIM_400000_NS6detail17trampoline_kernelINS0_14default_configENS1_25partition_config_selectorILNS1_17partition_subalgoE3EyNS0_10empty_typeEbEEZZNS1_14partition_implILS5_3ELb0ES3_jN6thrust23THRUST_200600_302600_NS6detail15normal_iteratorINSA_7pointerIyNSA_11hip_rocprim3tagENSA_11use_defaultESG_EEEEPS6_SJ_NS0_5tupleIJPySJ_EEENSK_IJSJ_SJ_EEES6_PlJ7is_evenIyEEEE10hipError_tPvRmT3_T4_T5_T6_T7_T9_mT8_P12ihipStream_tbDpT10_ENKUlT_T0_E_clISt17integral_constantIbLb1EES19_IbLb0EEEEDaS15_S16_EUlS15_E_NS1_11comp_targetILNS1_3genE0ELNS1_11target_archE4294967295ELNS1_3gpuE0ELNS1_3repE0EEENS1_30default_config_static_selectorELNS0_4arch9wavefront6targetE1EEEvT1_,@function
_ZN7rocprim17ROCPRIM_400000_NS6detail17trampoline_kernelINS0_14default_configENS1_25partition_config_selectorILNS1_17partition_subalgoE3EyNS0_10empty_typeEbEEZZNS1_14partition_implILS5_3ELb0ES3_jN6thrust23THRUST_200600_302600_NS6detail15normal_iteratorINSA_7pointerIyNSA_11hip_rocprim3tagENSA_11use_defaultESG_EEEEPS6_SJ_NS0_5tupleIJPySJ_EEENSK_IJSJ_SJ_EEES6_PlJ7is_evenIyEEEE10hipError_tPvRmT3_T4_T5_T6_T7_T9_mT8_P12ihipStream_tbDpT10_ENKUlT_T0_E_clISt17integral_constantIbLb1EES19_IbLb0EEEEDaS15_S16_EUlS15_E_NS1_11comp_targetILNS1_3genE0ELNS1_11target_archE4294967295ELNS1_3gpuE0ELNS1_3repE0EEENS1_30default_config_static_selectorELNS0_4arch9wavefront6targetE1EEEvT1_: ; @_ZN7rocprim17ROCPRIM_400000_NS6detail17trampoline_kernelINS0_14default_configENS1_25partition_config_selectorILNS1_17partition_subalgoE3EyNS0_10empty_typeEbEEZZNS1_14partition_implILS5_3ELb0ES3_jN6thrust23THRUST_200600_302600_NS6detail15normal_iteratorINSA_7pointerIyNSA_11hip_rocprim3tagENSA_11use_defaultESG_EEEEPS6_SJ_NS0_5tupleIJPySJ_EEENSK_IJSJ_SJ_EEES6_PlJ7is_evenIyEEEE10hipError_tPvRmT3_T4_T5_T6_T7_T9_mT8_P12ihipStream_tbDpT10_ENKUlT_T0_E_clISt17integral_constantIbLb1EES19_IbLb0EEEEDaS15_S16_EUlS15_E_NS1_11comp_targetILNS1_3genE0ELNS1_11target_archE4294967295ELNS1_3gpuE0ELNS1_3repE0EEENS1_30default_config_static_selectorELNS0_4arch9wavefront6targetE1EEEvT1_
; %bb.0:
	.section	.rodata,"a",@progbits
	.p2align	6, 0x0
	.amdhsa_kernel _ZN7rocprim17ROCPRIM_400000_NS6detail17trampoline_kernelINS0_14default_configENS1_25partition_config_selectorILNS1_17partition_subalgoE3EyNS0_10empty_typeEbEEZZNS1_14partition_implILS5_3ELb0ES3_jN6thrust23THRUST_200600_302600_NS6detail15normal_iteratorINSA_7pointerIyNSA_11hip_rocprim3tagENSA_11use_defaultESG_EEEEPS6_SJ_NS0_5tupleIJPySJ_EEENSK_IJSJ_SJ_EEES6_PlJ7is_evenIyEEEE10hipError_tPvRmT3_T4_T5_T6_T7_T9_mT8_P12ihipStream_tbDpT10_ENKUlT_T0_E_clISt17integral_constantIbLb1EES19_IbLb0EEEEDaS15_S16_EUlS15_E_NS1_11comp_targetILNS1_3genE0ELNS1_11target_archE4294967295ELNS1_3gpuE0ELNS1_3repE0EEENS1_30default_config_static_selectorELNS0_4arch9wavefront6targetE1EEEvT1_
		.amdhsa_group_segment_fixed_size 0
		.amdhsa_private_segment_fixed_size 0
		.amdhsa_kernarg_size 120
		.amdhsa_user_sgpr_count 6
		.amdhsa_user_sgpr_private_segment_buffer 1
		.amdhsa_user_sgpr_dispatch_ptr 0
		.amdhsa_user_sgpr_queue_ptr 0
		.amdhsa_user_sgpr_kernarg_segment_ptr 1
		.amdhsa_user_sgpr_dispatch_id 0
		.amdhsa_user_sgpr_flat_scratch_init 0
		.amdhsa_user_sgpr_kernarg_preload_length 0
		.amdhsa_user_sgpr_kernarg_preload_offset 0
		.amdhsa_user_sgpr_private_segment_size 0
		.amdhsa_uses_dynamic_stack 0
		.amdhsa_system_sgpr_private_segment_wavefront_offset 0
		.amdhsa_system_sgpr_workgroup_id_x 1
		.amdhsa_system_sgpr_workgroup_id_y 0
		.amdhsa_system_sgpr_workgroup_id_z 0
		.amdhsa_system_sgpr_workgroup_info 0
		.amdhsa_system_vgpr_workitem_id 0
		.amdhsa_next_free_vgpr 1
		.amdhsa_next_free_sgpr 0
		.amdhsa_accum_offset 4
		.amdhsa_reserve_vcc 0
		.amdhsa_reserve_flat_scratch 0
		.amdhsa_float_round_mode_32 0
		.amdhsa_float_round_mode_16_64 0
		.amdhsa_float_denorm_mode_32 3
		.amdhsa_float_denorm_mode_16_64 3
		.amdhsa_dx10_clamp 1
		.amdhsa_ieee_mode 1
		.amdhsa_fp16_overflow 0
		.amdhsa_tg_split 0
		.amdhsa_exception_fp_ieee_invalid_op 0
		.amdhsa_exception_fp_denorm_src 0
		.amdhsa_exception_fp_ieee_div_zero 0
		.amdhsa_exception_fp_ieee_overflow 0
		.amdhsa_exception_fp_ieee_underflow 0
		.amdhsa_exception_fp_ieee_inexact 0
		.amdhsa_exception_int_div_zero 0
	.end_amdhsa_kernel
	.section	.text._ZN7rocprim17ROCPRIM_400000_NS6detail17trampoline_kernelINS0_14default_configENS1_25partition_config_selectorILNS1_17partition_subalgoE3EyNS0_10empty_typeEbEEZZNS1_14partition_implILS5_3ELb0ES3_jN6thrust23THRUST_200600_302600_NS6detail15normal_iteratorINSA_7pointerIyNSA_11hip_rocprim3tagENSA_11use_defaultESG_EEEEPS6_SJ_NS0_5tupleIJPySJ_EEENSK_IJSJ_SJ_EEES6_PlJ7is_evenIyEEEE10hipError_tPvRmT3_T4_T5_T6_T7_T9_mT8_P12ihipStream_tbDpT10_ENKUlT_T0_E_clISt17integral_constantIbLb1EES19_IbLb0EEEEDaS15_S16_EUlS15_E_NS1_11comp_targetILNS1_3genE0ELNS1_11target_archE4294967295ELNS1_3gpuE0ELNS1_3repE0EEENS1_30default_config_static_selectorELNS0_4arch9wavefront6targetE1EEEvT1_,"axG",@progbits,_ZN7rocprim17ROCPRIM_400000_NS6detail17trampoline_kernelINS0_14default_configENS1_25partition_config_selectorILNS1_17partition_subalgoE3EyNS0_10empty_typeEbEEZZNS1_14partition_implILS5_3ELb0ES3_jN6thrust23THRUST_200600_302600_NS6detail15normal_iteratorINSA_7pointerIyNSA_11hip_rocprim3tagENSA_11use_defaultESG_EEEEPS6_SJ_NS0_5tupleIJPySJ_EEENSK_IJSJ_SJ_EEES6_PlJ7is_evenIyEEEE10hipError_tPvRmT3_T4_T5_T6_T7_T9_mT8_P12ihipStream_tbDpT10_ENKUlT_T0_E_clISt17integral_constantIbLb1EES19_IbLb0EEEEDaS15_S16_EUlS15_E_NS1_11comp_targetILNS1_3genE0ELNS1_11target_archE4294967295ELNS1_3gpuE0ELNS1_3repE0EEENS1_30default_config_static_selectorELNS0_4arch9wavefront6targetE1EEEvT1_,comdat
.Lfunc_end690:
	.size	_ZN7rocprim17ROCPRIM_400000_NS6detail17trampoline_kernelINS0_14default_configENS1_25partition_config_selectorILNS1_17partition_subalgoE3EyNS0_10empty_typeEbEEZZNS1_14partition_implILS5_3ELb0ES3_jN6thrust23THRUST_200600_302600_NS6detail15normal_iteratorINSA_7pointerIyNSA_11hip_rocprim3tagENSA_11use_defaultESG_EEEEPS6_SJ_NS0_5tupleIJPySJ_EEENSK_IJSJ_SJ_EEES6_PlJ7is_evenIyEEEE10hipError_tPvRmT3_T4_T5_T6_T7_T9_mT8_P12ihipStream_tbDpT10_ENKUlT_T0_E_clISt17integral_constantIbLb1EES19_IbLb0EEEEDaS15_S16_EUlS15_E_NS1_11comp_targetILNS1_3genE0ELNS1_11target_archE4294967295ELNS1_3gpuE0ELNS1_3repE0EEENS1_30default_config_static_selectorELNS0_4arch9wavefront6targetE1EEEvT1_, .Lfunc_end690-_ZN7rocprim17ROCPRIM_400000_NS6detail17trampoline_kernelINS0_14default_configENS1_25partition_config_selectorILNS1_17partition_subalgoE3EyNS0_10empty_typeEbEEZZNS1_14partition_implILS5_3ELb0ES3_jN6thrust23THRUST_200600_302600_NS6detail15normal_iteratorINSA_7pointerIyNSA_11hip_rocprim3tagENSA_11use_defaultESG_EEEEPS6_SJ_NS0_5tupleIJPySJ_EEENSK_IJSJ_SJ_EEES6_PlJ7is_evenIyEEEE10hipError_tPvRmT3_T4_T5_T6_T7_T9_mT8_P12ihipStream_tbDpT10_ENKUlT_T0_E_clISt17integral_constantIbLb1EES19_IbLb0EEEEDaS15_S16_EUlS15_E_NS1_11comp_targetILNS1_3genE0ELNS1_11target_archE4294967295ELNS1_3gpuE0ELNS1_3repE0EEENS1_30default_config_static_selectorELNS0_4arch9wavefront6targetE1EEEvT1_
                                        ; -- End function
	.section	.AMDGPU.csdata,"",@progbits
; Kernel info:
; codeLenInByte = 0
; NumSgprs: 4
; NumVgprs: 0
; NumAgprs: 0
; TotalNumVgprs: 0
; ScratchSize: 0
; MemoryBound: 0
; FloatMode: 240
; IeeeMode: 1
; LDSByteSize: 0 bytes/workgroup (compile time only)
; SGPRBlocks: 0
; VGPRBlocks: 0
; NumSGPRsForWavesPerEU: 4
; NumVGPRsForWavesPerEU: 1
; AccumOffset: 4
; Occupancy: 8
; WaveLimiterHint : 0
; COMPUTE_PGM_RSRC2:SCRATCH_EN: 0
; COMPUTE_PGM_RSRC2:USER_SGPR: 6
; COMPUTE_PGM_RSRC2:TRAP_HANDLER: 0
; COMPUTE_PGM_RSRC2:TGID_X_EN: 1
; COMPUTE_PGM_RSRC2:TGID_Y_EN: 0
; COMPUTE_PGM_RSRC2:TGID_Z_EN: 0
; COMPUTE_PGM_RSRC2:TIDIG_COMP_CNT: 0
; COMPUTE_PGM_RSRC3_GFX90A:ACCUM_OFFSET: 0
; COMPUTE_PGM_RSRC3_GFX90A:TG_SPLIT: 0
	.section	.text._ZN7rocprim17ROCPRIM_400000_NS6detail17trampoline_kernelINS0_14default_configENS1_25partition_config_selectorILNS1_17partition_subalgoE3EyNS0_10empty_typeEbEEZZNS1_14partition_implILS5_3ELb0ES3_jN6thrust23THRUST_200600_302600_NS6detail15normal_iteratorINSA_7pointerIyNSA_11hip_rocprim3tagENSA_11use_defaultESG_EEEEPS6_SJ_NS0_5tupleIJPySJ_EEENSK_IJSJ_SJ_EEES6_PlJ7is_evenIyEEEE10hipError_tPvRmT3_T4_T5_T6_T7_T9_mT8_P12ihipStream_tbDpT10_ENKUlT_T0_E_clISt17integral_constantIbLb1EES19_IbLb0EEEEDaS15_S16_EUlS15_E_NS1_11comp_targetILNS1_3genE5ELNS1_11target_archE942ELNS1_3gpuE9ELNS1_3repE0EEENS1_30default_config_static_selectorELNS0_4arch9wavefront6targetE1EEEvT1_,"axG",@progbits,_ZN7rocprim17ROCPRIM_400000_NS6detail17trampoline_kernelINS0_14default_configENS1_25partition_config_selectorILNS1_17partition_subalgoE3EyNS0_10empty_typeEbEEZZNS1_14partition_implILS5_3ELb0ES3_jN6thrust23THRUST_200600_302600_NS6detail15normal_iteratorINSA_7pointerIyNSA_11hip_rocprim3tagENSA_11use_defaultESG_EEEEPS6_SJ_NS0_5tupleIJPySJ_EEENSK_IJSJ_SJ_EEES6_PlJ7is_evenIyEEEE10hipError_tPvRmT3_T4_T5_T6_T7_T9_mT8_P12ihipStream_tbDpT10_ENKUlT_T0_E_clISt17integral_constantIbLb1EES19_IbLb0EEEEDaS15_S16_EUlS15_E_NS1_11comp_targetILNS1_3genE5ELNS1_11target_archE942ELNS1_3gpuE9ELNS1_3repE0EEENS1_30default_config_static_selectorELNS0_4arch9wavefront6targetE1EEEvT1_,comdat
	.protected	_ZN7rocprim17ROCPRIM_400000_NS6detail17trampoline_kernelINS0_14default_configENS1_25partition_config_selectorILNS1_17partition_subalgoE3EyNS0_10empty_typeEbEEZZNS1_14partition_implILS5_3ELb0ES3_jN6thrust23THRUST_200600_302600_NS6detail15normal_iteratorINSA_7pointerIyNSA_11hip_rocprim3tagENSA_11use_defaultESG_EEEEPS6_SJ_NS0_5tupleIJPySJ_EEENSK_IJSJ_SJ_EEES6_PlJ7is_evenIyEEEE10hipError_tPvRmT3_T4_T5_T6_T7_T9_mT8_P12ihipStream_tbDpT10_ENKUlT_T0_E_clISt17integral_constantIbLb1EES19_IbLb0EEEEDaS15_S16_EUlS15_E_NS1_11comp_targetILNS1_3genE5ELNS1_11target_archE942ELNS1_3gpuE9ELNS1_3repE0EEENS1_30default_config_static_selectorELNS0_4arch9wavefront6targetE1EEEvT1_ ; -- Begin function _ZN7rocprim17ROCPRIM_400000_NS6detail17trampoline_kernelINS0_14default_configENS1_25partition_config_selectorILNS1_17partition_subalgoE3EyNS0_10empty_typeEbEEZZNS1_14partition_implILS5_3ELb0ES3_jN6thrust23THRUST_200600_302600_NS6detail15normal_iteratorINSA_7pointerIyNSA_11hip_rocprim3tagENSA_11use_defaultESG_EEEEPS6_SJ_NS0_5tupleIJPySJ_EEENSK_IJSJ_SJ_EEES6_PlJ7is_evenIyEEEE10hipError_tPvRmT3_T4_T5_T6_T7_T9_mT8_P12ihipStream_tbDpT10_ENKUlT_T0_E_clISt17integral_constantIbLb1EES19_IbLb0EEEEDaS15_S16_EUlS15_E_NS1_11comp_targetILNS1_3genE5ELNS1_11target_archE942ELNS1_3gpuE9ELNS1_3repE0EEENS1_30default_config_static_selectorELNS0_4arch9wavefront6targetE1EEEvT1_
	.globl	_ZN7rocprim17ROCPRIM_400000_NS6detail17trampoline_kernelINS0_14default_configENS1_25partition_config_selectorILNS1_17partition_subalgoE3EyNS0_10empty_typeEbEEZZNS1_14partition_implILS5_3ELb0ES3_jN6thrust23THRUST_200600_302600_NS6detail15normal_iteratorINSA_7pointerIyNSA_11hip_rocprim3tagENSA_11use_defaultESG_EEEEPS6_SJ_NS0_5tupleIJPySJ_EEENSK_IJSJ_SJ_EEES6_PlJ7is_evenIyEEEE10hipError_tPvRmT3_T4_T5_T6_T7_T9_mT8_P12ihipStream_tbDpT10_ENKUlT_T0_E_clISt17integral_constantIbLb1EES19_IbLb0EEEEDaS15_S16_EUlS15_E_NS1_11comp_targetILNS1_3genE5ELNS1_11target_archE942ELNS1_3gpuE9ELNS1_3repE0EEENS1_30default_config_static_selectorELNS0_4arch9wavefront6targetE1EEEvT1_
	.p2align	8
	.type	_ZN7rocprim17ROCPRIM_400000_NS6detail17trampoline_kernelINS0_14default_configENS1_25partition_config_selectorILNS1_17partition_subalgoE3EyNS0_10empty_typeEbEEZZNS1_14partition_implILS5_3ELb0ES3_jN6thrust23THRUST_200600_302600_NS6detail15normal_iteratorINSA_7pointerIyNSA_11hip_rocprim3tagENSA_11use_defaultESG_EEEEPS6_SJ_NS0_5tupleIJPySJ_EEENSK_IJSJ_SJ_EEES6_PlJ7is_evenIyEEEE10hipError_tPvRmT3_T4_T5_T6_T7_T9_mT8_P12ihipStream_tbDpT10_ENKUlT_T0_E_clISt17integral_constantIbLb1EES19_IbLb0EEEEDaS15_S16_EUlS15_E_NS1_11comp_targetILNS1_3genE5ELNS1_11target_archE942ELNS1_3gpuE9ELNS1_3repE0EEENS1_30default_config_static_selectorELNS0_4arch9wavefront6targetE1EEEvT1_,@function
_ZN7rocprim17ROCPRIM_400000_NS6detail17trampoline_kernelINS0_14default_configENS1_25partition_config_selectorILNS1_17partition_subalgoE3EyNS0_10empty_typeEbEEZZNS1_14partition_implILS5_3ELb0ES3_jN6thrust23THRUST_200600_302600_NS6detail15normal_iteratorINSA_7pointerIyNSA_11hip_rocprim3tagENSA_11use_defaultESG_EEEEPS6_SJ_NS0_5tupleIJPySJ_EEENSK_IJSJ_SJ_EEES6_PlJ7is_evenIyEEEE10hipError_tPvRmT3_T4_T5_T6_T7_T9_mT8_P12ihipStream_tbDpT10_ENKUlT_T0_E_clISt17integral_constantIbLb1EES19_IbLb0EEEEDaS15_S16_EUlS15_E_NS1_11comp_targetILNS1_3genE5ELNS1_11target_archE942ELNS1_3gpuE9ELNS1_3repE0EEENS1_30default_config_static_selectorELNS0_4arch9wavefront6targetE1EEEvT1_: ; @_ZN7rocprim17ROCPRIM_400000_NS6detail17trampoline_kernelINS0_14default_configENS1_25partition_config_selectorILNS1_17partition_subalgoE3EyNS0_10empty_typeEbEEZZNS1_14partition_implILS5_3ELb0ES3_jN6thrust23THRUST_200600_302600_NS6detail15normal_iteratorINSA_7pointerIyNSA_11hip_rocprim3tagENSA_11use_defaultESG_EEEEPS6_SJ_NS0_5tupleIJPySJ_EEENSK_IJSJ_SJ_EEES6_PlJ7is_evenIyEEEE10hipError_tPvRmT3_T4_T5_T6_T7_T9_mT8_P12ihipStream_tbDpT10_ENKUlT_T0_E_clISt17integral_constantIbLb1EES19_IbLb0EEEEDaS15_S16_EUlS15_E_NS1_11comp_targetILNS1_3genE5ELNS1_11target_archE942ELNS1_3gpuE9ELNS1_3repE0EEENS1_30default_config_static_selectorELNS0_4arch9wavefront6targetE1EEEvT1_
; %bb.0:
	.section	.rodata,"a",@progbits
	.p2align	6, 0x0
	.amdhsa_kernel _ZN7rocprim17ROCPRIM_400000_NS6detail17trampoline_kernelINS0_14default_configENS1_25partition_config_selectorILNS1_17partition_subalgoE3EyNS0_10empty_typeEbEEZZNS1_14partition_implILS5_3ELb0ES3_jN6thrust23THRUST_200600_302600_NS6detail15normal_iteratorINSA_7pointerIyNSA_11hip_rocprim3tagENSA_11use_defaultESG_EEEEPS6_SJ_NS0_5tupleIJPySJ_EEENSK_IJSJ_SJ_EEES6_PlJ7is_evenIyEEEE10hipError_tPvRmT3_T4_T5_T6_T7_T9_mT8_P12ihipStream_tbDpT10_ENKUlT_T0_E_clISt17integral_constantIbLb1EES19_IbLb0EEEEDaS15_S16_EUlS15_E_NS1_11comp_targetILNS1_3genE5ELNS1_11target_archE942ELNS1_3gpuE9ELNS1_3repE0EEENS1_30default_config_static_selectorELNS0_4arch9wavefront6targetE1EEEvT1_
		.amdhsa_group_segment_fixed_size 0
		.amdhsa_private_segment_fixed_size 0
		.amdhsa_kernarg_size 120
		.amdhsa_user_sgpr_count 6
		.amdhsa_user_sgpr_private_segment_buffer 1
		.amdhsa_user_sgpr_dispatch_ptr 0
		.amdhsa_user_sgpr_queue_ptr 0
		.amdhsa_user_sgpr_kernarg_segment_ptr 1
		.amdhsa_user_sgpr_dispatch_id 0
		.amdhsa_user_sgpr_flat_scratch_init 0
		.amdhsa_user_sgpr_kernarg_preload_length 0
		.amdhsa_user_sgpr_kernarg_preload_offset 0
		.amdhsa_user_sgpr_private_segment_size 0
		.amdhsa_uses_dynamic_stack 0
		.amdhsa_system_sgpr_private_segment_wavefront_offset 0
		.amdhsa_system_sgpr_workgroup_id_x 1
		.amdhsa_system_sgpr_workgroup_id_y 0
		.amdhsa_system_sgpr_workgroup_id_z 0
		.amdhsa_system_sgpr_workgroup_info 0
		.amdhsa_system_vgpr_workitem_id 0
		.amdhsa_next_free_vgpr 1
		.amdhsa_next_free_sgpr 0
		.amdhsa_accum_offset 4
		.amdhsa_reserve_vcc 0
		.amdhsa_reserve_flat_scratch 0
		.amdhsa_float_round_mode_32 0
		.amdhsa_float_round_mode_16_64 0
		.amdhsa_float_denorm_mode_32 3
		.amdhsa_float_denorm_mode_16_64 3
		.amdhsa_dx10_clamp 1
		.amdhsa_ieee_mode 1
		.amdhsa_fp16_overflow 0
		.amdhsa_tg_split 0
		.amdhsa_exception_fp_ieee_invalid_op 0
		.amdhsa_exception_fp_denorm_src 0
		.amdhsa_exception_fp_ieee_div_zero 0
		.amdhsa_exception_fp_ieee_overflow 0
		.amdhsa_exception_fp_ieee_underflow 0
		.amdhsa_exception_fp_ieee_inexact 0
		.amdhsa_exception_int_div_zero 0
	.end_amdhsa_kernel
	.section	.text._ZN7rocprim17ROCPRIM_400000_NS6detail17trampoline_kernelINS0_14default_configENS1_25partition_config_selectorILNS1_17partition_subalgoE3EyNS0_10empty_typeEbEEZZNS1_14partition_implILS5_3ELb0ES3_jN6thrust23THRUST_200600_302600_NS6detail15normal_iteratorINSA_7pointerIyNSA_11hip_rocprim3tagENSA_11use_defaultESG_EEEEPS6_SJ_NS0_5tupleIJPySJ_EEENSK_IJSJ_SJ_EEES6_PlJ7is_evenIyEEEE10hipError_tPvRmT3_T4_T5_T6_T7_T9_mT8_P12ihipStream_tbDpT10_ENKUlT_T0_E_clISt17integral_constantIbLb1EES19_IbLb0EEEEDaS15_S16_EUlS15_E_NS1_11comp_targetILNS1_3genE5ELNS1_11target_archE942ELNS1_3gpuE9ELNS1_3repE0EEENS1_30default_config_static_selectorELNS0_4arch9wavefront6targetE1EEEvT1_,"axG",@progbits,_ZN7rocprim17ROCPRIM_400000_NS6detail17trampoline_kernelINS0_14default_configENS1_25partition_config_selectorILNS1_17partition_subalgoE3EyNS0_10empty_typeEbEEZZNS1_14partition_implILS5_3ELb0ES3_jN6thrust23THRUST_200600_302600_NS6detail15normal_iteratorINSA_7pointerIyNSA_11hip_rocprim3tagENSA_11use_defaultESG_EEEEPS6_SJ_NS0_5tupleIJPySJ_EEENSK_IJSJ_SJ_EEES6_PlJ7is_evenIyEEEE10hipError_tPvRmT3_T4_T5_T6_T7_T9_mT8_P12ihipStream_tbDpT10_ENKUlT_T0_E_clISt17integral_constantIbLb1EES19_IbLb0EEEEDaS15_S16_EUlS15_E_NS1_11comp_targetILNS1_3genE5ELNS1_11target_archE942ELNS1_3gpuE9ELNS1_3repE0EEENS1_30default_config_static_selectorELNS0_4arch9wavefront6targetE1EEEvT1_,comdat
.Lfunc_end691:
	.size	_ZN7rocprim17ROCPRIM_400000_NS6detail17trampoline_kernelINS0_14default_configENS1_25partition_config_selectorILNS1_17partition_subalgoE3EyNS0_10empty_typeEbEEZZNS1_14partition_implILS5_3ELb0ES3_jN6thrust23THRUST_200600_302600_NS6detail15normal_iteratorINSA_7pointerIyNSA_11hip_rocprim3tagENSA_11use_defaultESG_EEEEPS6_SJ_NS0_5tupleIJPySJ_EEENSK_IJSJ_SJ_EEES6_PlJ7is_evenIyEEEE10hipError_tPvRmT3_T4_T5_T6_T7_T9_mT8_P12ihipStream_tbDpT10_ENKUlT_T0_E_clISt17integral_constantIbLb1EES19_IbLb0EEEEDaS15_S16_EUlS15_E_NS1_11comp_targetILNS1_3genE5ELNS1_11target_archE942ELNS1_3gpuE9ELNS1_3repE0EEENS1_30default_config_static_selectorELNS0_4arch9wavefront6targetE1EEEvT1_, .Lfunc_end691-_ZN7rocprim17ROCPRIM_400000_NS6detail17trampoline_kernelINS0_14default_configENS1_25partition_config_selectorILNS1_17partition_subalgoE3EyNS0_10empty_typeEbEEZZNS1_14partition_implILS5_3ELb0ES3_jN6thrust23THRUST_200600_302600_NS6detail15normal_iteratorINSA_7pointerIyNSA_11hip_rocprim3tagENSA_11use_defaultESG_EEEEPS6_SJ_NS0_5tupleIJPySJ_EEENSK_IJSJ_SJ_EEES6_PlJ7is_evenIyEEEE10hipError_tPvRmT3_T4_T5_T6_T7_T9_mT8_P12ihipStream_tbDpT10_ENKUlT_T0_E_clISt17integral_constantIbLb1EES19_IbLb0EEEEDaS15_S16_EUlS15_E_NS1_11comp_targetILNS1_3genE5ELNS1_11target_archE942ELNS1_3gpuE9ELNS1_3repE0EEENS1_30default_config_static_selectorELNS0_4arch9wavefront6targetE1EEEvT1_
                                        ; -- End function
	.section	.AMDGPU.csdata,"",@progbits
; Kernel info:
; codeLenInByte = 0
; NumSgprs: 4
; NumVgprs: 0
; NumAgprs: 0
; TotalNumVgprs: 0
; ScratchSize: 0
; MemoryBound: 0
; FloatMode: 240
; IeeeMode: 1
; LDSByteSize: 0 bytes/workgroup (compile time only)
; SGPRBlocks: 0
; VGPRBlocks: 0
; NumSGPRsForWavesPerEU: 4
; NumVGPRsForWavesPerEU: 1
; AccumOffset: 4
; Occupancy: 8
; WaveLimiterHint : 0
; COMPUTE_PGM_RSRC2:SCRATCH_EN: 0
; COMPUTE_PGM_RSRC2:USER_SGPR: 6
; COMPUTE_PGM_RSRC2:TRAP_HANDLER: 0
; COMPUTE_PGM_RSRC2:TGID_X_EN: 1
; COMPUTE_PGM_RSRC2:TGID_Y_EN: 0
; COMPUTE_PGM_RSRC2:TGID_Z_EN: 0
; COMPUTE_PGM_RSRC2:TIDIG_COMP_CNT: 0
; COMPUTE_PGM_RSRC3_GFX90A:ACCUM_OFFSET: 0
; COMPUTE_PGM_RSRC3_GFX90A:TG_SPLIT: 0
	.section	.text._ZN7rocprim17ROCPRIM_400000_NS6detail17trampoline_kernelINS0_14default_configENS1_25partition_config_selectorILNS1_17partition_subalgoE3EyNS0_10empty_typeEbEEZZNS1_14partition_implILS5_3ELb0ES3_jN6thrust23THRUST_200600_302600_NS6detail15normal_iteratorINSA_7pointerIyNSA_11hip_rocprim3tagENSA_11use_defaultESG_EEEEPS6_SJ_NS0_5tupleIJPySJ_EEENSK_IJSJ_SJ_EEES6_PlJ7is_evenIyEEEE10hipError_tPvRmT3_T4_T5_T6_T7_T9_mT8_P12ihipStream_tbDpT10_ENKUlT_T0_E_clISt17integral_constantIbLb1EES19_IbLb0EEEEDaS15_S16_EUlS15_E_NS1_11comp_targetILNS1_3genE4ELNS1_11target_archE910ELNS1_3gpuE8ELNS1_3repE0EEENS1_30default_config_static_selectorELNS0_4arch9wavefront6targetE1EEEvT1_,"axG",@progbits,_ZN7rocprim17ROCPRIM_400000_NS6detail17trampoline_kernelINS0_14default_configENS1_25partition_config_selectorILNS1_17partition_subalgoE3EyNS0_10empty_typeEbEEZZNS1_14partition_implILS5_3ELb0ES3_jN6thrust23THRUST_200600_302600_NS6detail15normal_iteratorINSA_7pointerIyNSA_11hip_rocprim3tagENSA_11use_defaultESG_EEEEPS6_SJ_NS0_5tupleIJPySJ_EEENSK_IJSJ_SJ_EEES6_PlJ7is_evenIyEEEE10hipError_tPvRmT3_T4_T5_T6_T7_T9_mT8_P12ihipStream_tbDpT10_ENKUlT_T0_E_clISt17integral_constantIbLb1EES19_IbLb0EEEEDaS15_S16_EUlS15_E_NS1_11comp_targetILNS1_3genE4ELNS1_11target_archE910ELNS1_3gpuE8ELNS1_3repE0EEENS1_30default_config_static_selectorELNS0_4arch9wavefront6targetE1EEEvT1_,comdat
	.protected	_ZN7rocprim17ROCPRIM_400000_NS6detail17trampoline_kernelINS0_14default_configENS1_25partition_config_selectorILNS1_17partition_subalgoE3EyNS0_10empty_typeEbEEZZNS1_14partition_implILS5_3ELb0ES3_jN6thrust23THRUST_200600_302600_NS6detail15normal_iteratorINSA_7pointerIyNSA_11hip_rocprim3tagENSA_11use_defaultESG_EEEEPS6_SJ_NS0_5tupleIJPySJ_EEENSK_IJSJ_SJ_EEES6_PlJ7is_evenIyEEEE10hipError_tPvRmT3_T4_T5_T6_T7_T9_mT8_P12ihipStream_tbDpT10_ENKUlT_T0_E_clISt17integral_constantIbLb1EES19_IbLb0EEEEDaS15_S16_EUlS15_E_NS1_11comp_targetILNS1_3genE4ELNS1_11target_archE910ELNS1_3gpuE8ELNS1_3repE0EEENS1_30default_config_static_selectorELNS0_4arch9wavefront6targetE1EEEvT1_ ; -- Begin function _ZN7rocprim17ROCPRIM_400000_NS6detail17trampoline_kernelINS0_14default_configENS1_25partition_config_selectorILNS1_17partition_subalgoE3EyNS0_10empty_typeEbEEZZNS1_14partition_implILS5_3ELb0ES3_jN6thrust23THRUST_200600_302600_NS6detail15normal_iteratorINSA_7pointerIyNSA_11hip_rocprim3tagENSA_11use_defaultESG_EEEEPS6_SJ_NS0_5tupleIJPySJ_EEENSK_IJSJ_SJ_EEES6_PlJ7is_evenIyEEEE10hipError_tPvRmT3_T4_T5_T6_T7_T9_mT8_P12ihipStream_tbDpT10_ENKUlT_T0_E_clISt17integral_constantIbLb1EES19_IbLb0EEEEDaS15_S16_EUlS15_E_NS1_11comp_targetILNS1_3genE4ELNS1_11target_archE910ELNS1_3gpuE8ELNS1_3repE0EEENS1_30default_config_static_selectorELNS0_4arch9wavefront6targetE1EEEvT1_
	.globl	_ZN7rocprim17ROCPRIM_400000_NS6detail17trampoline_kernelINS0_14default_configENS1_25partition_config_selectorILNS1_17partition_subalgoE3EyNS0_10empty_typeEbEEZZNS1_14partition_implILS5_3ELb0ES3_jN6thrust23THRUST_200600_302600_NS6detail15normal_iteratorINSA_7pointerIyNSA_11hip_rocprim3tagENSA_11use_defaultESG_EEEEPS6_SJ_NS0_5tupleIJPySJ_EEENSK_IJSJ_SJ_EEES6_PlJ7is_evenIyEEEE10hipError_tPvRmT3_T4_T5_T6_T7_T9_mT8_P12ihipStream_tbDpT10_ENKUlT_T0_E_clISt17integral_constantIbLb1EES19_IbLb0EEEEDaS15_S16_EUlS15_E_NS1_11comp_targetILNS1_3genE4ELNS1_11target_archE910ELNS1_3gpuE8ELNS1_3repE0EEENS1_30default_config_static_selectorELNS0_4arch9wavefront6targetE1EEEvT1_
	.p2align	8
	.type	_ZN7rocprim17ROCPRIM_400000_NS6detail17trampoline_kernelINS0_14default_configENS1_25partition_config_selectorILNS1_17partition_subalgoE3EyNS0_10empty_typeEbEEZZNS1_14partition_implILS5_3ELb0ES3_jN6thrust23THRUST_200600_302600_NS6detail15normal_iteratorINSA_7pointerIyNSA_11hip_rocprim3tagENSA_11use_defaultESG_EEEEPS6_SJ_NS0_5tupleIJPySJ_EEENSK_IJSJ_SJ_EEES6_PlJ7is_evenIyEEEE10hipError_tPvRmT3_T4_T5_T6_T7_T9_mT8_P12ihipStream_tbDpT10_ENKUlT_T0_E_clISt17integral_constantIbLb1EES19_IbLb0EEEEDaS15_S16_EUlS15_E_NS1_11comp_targetILNS1_3genE4ELNS1_11target_archE910ELNS1_3gpuE8ELNS1_3repE0EEENS1_30default_config_static_selectorELNS0_4arch9wavefront6targetE1EEEvT1_,@function
_ZN7rocprim17ROCPRIM_400000_NS6detail17trampoline_kernelINS0_14default_configENS1_25partition_config_selectorILNS1_17partition_subalgoE3EyNS0_10empty_typeEbEEZZNS1_14partition_implILS5_3ELb0ES3_jN6thrust23THRUST_200600_302600_NS6detail15normal_iteratorINSA_7pointerIyNSA_11hip_rocprim3tagENSA_11use_defaultESG_EEEEPS6_SJ_NS0_5tupleIJPySJ_EEENSK_IJSJ_SJ_EEES6_PlJ7is_evenIyEEEE10hipError_tPvRmT3_T4_T5_T6_T7_T9_mT8_P12ihipStream_tbDpT10_ENKUlT_T0_E_clISt17integral_constantIbLb1EES19_IbLb0EEEEDaS15_S16_EUlS15_E_NS1_11comp_targetILNS1_3genE4ELNS1_11target_archE910ELNS1_3gpuE8ELNS1_3repE0EEENS1_30default_config_static_selectorELNS0_4arch9wavefront6targetE1EEEvT1_: ; @_ZN7rocprim17ROCPRIM_400000_NS6detail17trampoline_kernelINS0_14default_configENS1_25partition_config_selectorILNS1_17partition_subalgoE3EyNS0_10empty_typeEbEEZZNS1_14partition_implILS5_3ELb0ES3_jN6thrust23THRUST_200600_302600_NS6detail15normal_iteratorINSA_7pointerIyNSA_11hip_rocprim3tagENSA_11use_defaultESG_EEEEPS6_SJ_NS0_5tupleIJPySJ_EEENSK_IJSJ_SJ_EEES6_PlJ7is_evenIyEEEE10hipError_tPvRmT3_T4_T5_T6_T7_T9_mT8_P12ihipStream_tbDpT10_ENKUlT_T0_E_clISt17integral_constantIbLb1EES19_IbLb0EEEEDaS15_S16_EUlS15_E_NS1_11comp_targetILNS1_3genE4ELNS1_11target_archE910ELNS1_3gpuE8ELNS1_3repE0EEENS1_30default_config_static_selectorELNS0_4arch9wavefront6targetE1EEEvT1_
; %bb.0:
	s_load_dwordx4 s[20:23], s[4:5], 0x8
	s_load_dwordx4 s[24:27], s[4:5], 0x48
	s_load_dwordx2 s[28:29], s[4:5], 0x58
	s_load_dword s2, s[4:5], 0x70
	s_mul_i32 s30, s6, 0x300
	s_waitcnt lgkmcnt(0)
	s_lshl_b64 s[0:1], s[22:23], 3
	s_add_u32 s7, s20, s0
	s_addc_u32 s8, s21, s1
	s_mul_i32 s0, s2, 0x300
	s_add_i32 s1, s0, s22
	s_sub_i32 s33, s28, s1
	s_add_i32 s3, s2, -1
	s_addk_i32 s33, 0x300
	s_add_u32 s0, s22, s0
	s_addc_u32 s1, s23, 0
	s_cmp_eq_u32 s6, s3
	s_load_dwordx2 s[34:35], s[26:27], 0x0
	v_pk_mov_b32 v[2:3], s[28:29], s[28:29] op_sel:[0,1]
	s_cselect_b64 s[26:27], -1, 0
	s_cmp_lg_u32 s6, s3
	s_mov_b32 s31, 0
	v_cmp_lt_u64_e32 vcc, s[0:1], v[2:3]
	s_cselect_b64 s[0:1], -1, 0
	s_or_b64 s[2:3], s[0:1], vcc
	s_lshl_b64 s[0:1], s[30:31], 3
	s_add_u32 s7, s7, s0
	s_addc_u32 s10, s8, s1
	s_mov_b64 s[0:1], -1
	s_and_b64 vcc, exec, s[2:3]
	v_lshlrev_b32_e32 v1, 3, v0
	v_lshrrev_b32_e32 v10, 2, v0
	s_cbranch_vccz .LBB692_2
; %bb.1:
	v_mov_b32_e32 v3, s10
	v_add_co_u32_e32 v2, vcc, s7, v1
	v_addc_co_u32_e32 v3, vcc, 0, v3, vcc
	v_add_co_u32_e32 v4, vcc, 0x1000, v2
	v_addc_co_u32_e32 v5, vcc, 0, v3, vcc
	flat_load_dwordx2 v[6:7], v[2:3]
	flat_load_dwordx2 v[8:9], v[2:3] offset:1536
	flat_load_dwordx2 v[12:13], v[2:3] offset:3072
	;; [unrolled: 1-line block ×3, first 2 shown]
	v_add_u32_e32 v3, 0xc0, v0
	v_add_u32_e32 v4, 0x180, v0
	;; [unrolled: 1-line block ×3, first 2 shown]
	v_and_b32_e32 v2, 56, v10
	v_lshrrev_b32_e32 v3, 2, v3
	v_lshrrev_b32_e32 v4, 2, v4
	;; [unrolled: 1-line block ×3, first 2 shown]
	v_add_u32_e32 v2, v2, v1
	v_and_b32_e32 v3, 0x78, v3
	v_and_b32_e32 v4, 0xf8, v4
	v_and_b32_e32 v5, 0xf8, v5
	v_add_u32_e32 v3, v3, v1
	v_add_u32_e32 v4, v4, v1
	;; [unrolled: 1-line block ×3, first 2 shown]
	s_mov_b64 s[0:1], 0
	s_waitcnt vmcnt(0) lgkmcnt(0)
	ds_write_b64 v2, v[6:7]
	ds_write_b64 v3, v[8:9] offset:1536
	ds_write_b64 v4, v[12:13] offset:3072
	;; [unrolled: 1-line block ×3, first 2 shown]
	s_waitcnt lgkmcnt(0)
	s_barrier
.LBB692_2:
	s_andn2_b64 vcc, exec, s[0:1]
	v_cmp_gt_u32_e64 s[0:1], s33, v0
	s_cbranch_vccnz .LBB692_12
; %bb.3:
                                        ; implicit-def: $vgpr2_vgpr3_vgpr4_vgpr5_vgpr6_vgpr7_vgpr8_vgpr9
	s_and_saveexec_b64 s[8:9], s[0:1]
	s_cbranch_execz .LBB692_5
; %bb.4:
	v_mov_b32_e32 v3, s10
	v_add_co_u32_e32 v2, vcc, s7, v1
	v_addc_co_u32_e32 v3, vcc, 0, v3, vcc
	flat_load_dwordx2 v[2:3], v[2:3]
.LBB692_5:
	s_or_b64 exec, exec, s[8:9]
	v_add_u32_e32 v11, 0xc0, v0
	v_cmp_gt_u32_e32 vcc, s33, v11
	s_and_saveexec_b64 s[0:1], vcc
	s_cbranch_execz .LBB692_7
; %bb.6:
	v_mov_b32_e32 v5, s10
	v_add_co_u32_e32 v4, vcc, s7, v1
	v_addc_co_u32_e32 v5, vcc, 0, v5, vcc
	flat_load_dwordx2 v[4:5], v[4:5] offset:1536
.LBB692_7:
	s_or_b64 exec, exec, s[0:1]
	v_add_u32_e32 v12, 0x180, v0
	v_cmp_gt_u32_e32 vcc, s33, v12
	s_and_saveexec_b64 s[0:1], vcc
	s_cbranch_execz .LBB692_9
; %bb.8:
	v_mov_b32_e32 v7, s10
	v_add_co_u32_e32 v6, vcc, s7, v1
	v_addc_co_u32_e32 v7, vcc, 0, v7, vcc
	flat_load_dwordx2 v[6:7], v[6:7] offset:3072
.LBB692_9:
	s_or_b64 exec, exec, s[0:1]
	v_add_u32_e32 v13, 0x240, v0
	v_cmp_gt_u32_e32 vcc, s33, v13
	s_and_saveexec_b64 s[0:1], vcc
	s_cbranch_execz .LBB692_11
; %bb.10:
	v_lshlrev_b32_e32 v8, 3, v13
	v_mov_b32_e32 v9, s10
	v_add_co_u32_e32 v8, vcc, s7, v8
	v_addc_co_u32_e32 v9, vcc, 0, v9, vcc
	flat_load_dwordx2 v[8:9], v[8:9]
.LBB692_11:
	s_or_b64 exec, exec, s[0:1]
	v_and_b32_e32 v10, 56, v10
	v_add_u32_e32 v10, v10, v1
	s_waitcnt vmcnt(0) lgkmcnt(0)
	ds_write_b64 v10, v[2:3]
	v_lshrrev_b32_e32 v2, 2, v11
	v_and_b32_e32 v2, 0x78, v2
	v_add_u32_e32 v2, v2, v1
	ds_write_b64 v2, v[4:5] offset:1536
	v_lshrrev_b32_e32 v2, 2, v12
	v_and_b32_e32 v2, 0xf8, v2
	v_add_u32_e32 v2, v2, v1
	ds_write_b64 v2, v[6:7] offset:3072
	;; [unrolled: 4-line block ×3, first 2 shown]
	s_waitcnt lgkmcnt(0)
	s_barrier
.LBB692_12:
	v_lshlrev_b32_e32 v20, 2, v0
	v_lshrrev_b32_e32 v2, 3, v0
	v_add_lshl_u32 v2, v2, v20, 3
	s_waitcnt lgkmcnt(0)
	ds_read2_b64 v[6:9], v2 offset1:1
	ds_read2_b64 v[2:5], v2 offset0:2 offset1:3
	v_cndmask_b32_e64 v10, 0, 1, s[2:3]
	v_cmp_ne_u32_e64 s[0:1], 1, v10
	s_andn2_b64 vcc, exec, s[2:3]
	s_waitcnt lgkmcnt(1)
	v_xor_b32_e32 v13, -1, v6
	v_xor_b32_e32 v12, -1, v8
	s_waitcnt lgkmcnt(0)
	v_xor_b32_e32 v11, -1, v2
	v_xor_b32_e32 v10, -1, v4
	s_barrier
	s_cbranch_vccnz .LBB692_14
; %bb.13:
	v_mov_b32_e32 v15, 1
	v_and_b32_e32 v14, 1, v13
	v_and_b32_sdwa v16, v12, v15 dst_sel:BYTE_1 dst_unused:UNUSED_PAD src0_sel:DWORD src1_sel:DWORD
	v_and_b32_e32 v17, 1, v11
	v_and_b32_sdwa v15, v10, v15 dst_sel:BYTE_1 dst_unused:UNUSED_PAD src0_sel:DWORD src1_sel:DWORD
	v_or_b32_e32 v14, v14, v16
	v_or_b32_sdwa v15, v17, v15 dst_sel:WORD_1 dst_unused:UNUSED_PAD src0_sel:DWORD src1_sel:DWORD
	v_or_b32_sdwa v21, v14, v15 dst_sel:DWORD dst_unused:UNUSED_PAD src0_sel:WORD_0 src1_sel:DWORD
	s_load_dwordx2 s[36:37], s[4:5], 0x68
	s_cbranch_execz .LBB692_15
	s_branch .LBB692_16
.LBB692_14:
                                        ; implicit-def: $vgpr21
	s_load_dwordx2 s[36:37], s[4:5], 0x68
.LBB692_15:
	v_cmp_gt_u32_e32 vcc, s33, v20
	v_cndmask_b32_e64 v14, 0, 1, vcc
	v_and_b32_e32 v13, v14, v13
	v_or_b32_e32 v14, 1, v20
	v_cmp_gt_u32_e32 vcc, s33, v14
	v_cndmask_b32_e64 v14, 0, 1, vcc
	v_and_b32_sdwa v12, v14, v12 dst_sel:BYTE_1 dst_unused:UNUSED_PAD src0_sel:DWORD src1_sel:DWORD
	v_or_b32_e32 v14, 2, v20
	v_cmp_gt_u32_e32 vcc, s33, v14
	v_cndmask_b32_e64 v14, 0, 1, vcc
	v_and_b32_e32 v11, v14, v11
	v_or_b32_e32 v14, 3, v20
	v_cmp_gt_u32_e32 vcc, s33, v14
	v_cndmask_b32_e64 v14, 0, 1, vcc
	v_and_b32_sdwa v10, v14, v10 dst_sel:BYTE_1 dst_unused:UNUSED_PAD src0_sel:DWORD src1_sel:DWORD
	v_or_b32_e32 v12, v13, v12
	v_or_b32_sdwa v10, v11, v10 dst_sel:WORD_1 dst_unused:UNUSED_PAD src0_sel:DWORD src1_sel:DWORD
	v_or_b32_sdwa v21, v12, v10 dst_sel:DWORD dst_unused:UNUSED_PAD src0_sel:WORD_0 src1_sel:DWORD
.LBB692_16:
	v_bfe_u32 v23, v21, 16, 8
	v_lshrrev_b32_e32 v22, 24, v21
	v_add_u32_sdwa v10, v21, v21 dst_sel:DWORD dst_unused:UNUSED_PAD src0_sel:BYTE_1 src1_sel:BYTE_0
	v_add3_u32 v26, v10, v23, v22
	v_mbcnt_lo_u32_b32 v10, -1, 0
	v_mbcnt_hi_u32_b32 v24, -1, v10
	v_and_b32_e32 v10, 15, v24
	v_cmp_eq_u32_e64 s[16:17], 0, v10
	v_cmp_lt_u32_e64 s[14:15], 1, v10
	v_cmp_lt_u32_e64 s[12:13], 3, v10
	;; [unrolled: 1-line block ×3, first 2 shown]
	v_and_b32_e32 v10, 16, v24
	v_cmp_eq_u32_e64 s[20:21], 0, v10
	v_and_b32_e32 v10, 0xc0, v0
	v_min_u32_e32 v10, 0x80, v10
	v_or_b32_e32 v10, 63, v10
	s_cmp_lg_u32 s6, 0
	v_cmp_lt_u32_e64 s[2:3], 31, v24
	v_lshrrev_b32_e32 v25, 6, v0
	v_cmp_eq_u32_e64 s[8:9], v10, v0
	s_cbranch_scc0 .LBB692_47
; %bb.17:
	v_mov_b32_dpp v10, v26 row_shr:1 row_mask:0xf bank_mask:0xf
	v_cndmask_b32_e64 v10, v10, 0, s[16:17]
	v_add_u32_e32 v10, v10, v26
	s_nop 1
	v_mov_b32_dpp v11, v10 row_shr:2 row_mask:0xf bank_mask:0xf
	v_cndmask_b32_e64 v11, 0, v11, s[14:15]
	v_add_u32_e32 v10, v10, v11
	s_nop 1
	;; [unrolled: 4-line block ×4, first 2 shown]
	v_mov_b32_dpp v11, v10 row_bcast:15 row_mask:0xf bank_mask:0xf
	v_cndmask_b32_e64 v11, v11, 0, s[20:21]
	v_add_u32_e32 v10, v10, v11
	s_nop 1
	v_mov_b32_dpp v11, v10 row_bcast:31 row_mask:0xf bank_mask:0xf
	v_cndmask_b32_e64 v11, 0, v11, s[2:3]
	v_add_u32_e32 v10, v10, v11
	s_and_saveexec_b64 s[18:19], s[8:9]
	s_cbranch_execz .LBB692_19
; %bb.18:
	v_lshlrev_b32_e32 v11, 2, v25
	ds_write_b32 v11, v10
.LBB692_19:
	s_or_b64 exec, exec, s[18:19]
	v_cmp_gt_u32_e32 vcc, 3, v0
	s_waitcnt lgkmcnt(0)
	s_barrier
	s_and_saveexec_b64 s[18:19], vcc
	s_cbranch_execz .LBB692_21
; %bb.20:
	ds_read_b32 v11, v20
	v_and_b32_e32 v12, 3, v24
	v_cmp_ne_u32_e32 vcc, 0, v12
	s_waitcnt lgkmcnt(0)
	v_mov_b32_dpp v13, v11 row_shr:1 row_mask:0xf bank_mask:0xf
	v_cndmask_b32_e32 v13, 0, v13, vcc
	v_add_u32_e32 v11, v13, v11
	v_cmp_lt_u32_e32 vcc, 1, v12
	s_nop 0
	v_mov_b32_dpp v13, v11 row_shr:2 row_mask:0xf bank_mask:0xf
	v_cndmask_b32_e32 v12, 0, v13, vcc
	v_add_u32_e32 v11, v11, v12
	ds_write_b32 v20, v11
.LBB692_21:
	s_or_b64 exec, exec, s[18:19]
	v_cmp_gt_u32_e32 vcc, 64, v0
	v_cmp_lt_u32_e64 s[18:19], 63, v0
	s_waitcnt lgkmcnt(0)
	s_barrier
	s_waitcnt lgkmcnt(0)
                                        ; implicit-def: $vgpr27
	s_and_saveexec_b64 s[38:39], s[18:19]
	s_cbranch_execz .LBB692_23
; %bb.22:
	v_lshl_add_u32 v11, v25, 2, -4
	ds_read_b32 v27, v11
	s_waitcnt lgkmcnt(0)
	v_add_u32_e32 v10, v27, v10
.LBB692_23:
	s_or_b64 exec, exec, s[38:39]
	v_add_u32_e32 v11, -1, v24
	v_and_b32_e32 v12, 64, v24
	v_cmp_lt_i32_e64 s[18:19], v11, v12
	v_cndmask_b32_e64 v11, v11, v24, s[18:19]
	v_lshlrev_b32_e32 v11, 2, v11
	ds_bpermute_b32 v28, v11, v10
	v_cmp_eq_u32_e64 s[18:19], 0, v24
	s_and_saveexec_b64 s[38:39], vcc
	s_cbranch_execz .LBB692_46
; %bb.24:
	v_mov_b32_e32 v19, 0
	ds_read_b32 v10, v19 offset:8
	s_and_saveexec_b64 s[40:41], s[18:19]
	s_cbranch_execz .LBB692_26
; %bb.25:
	s_add_i32 s42, s6, 64
	s_mov_b32 s43, 0
	s_lshl_b64 s[42:43], s[42:43], 3
	s_add_u32 s42, s36, s42
	v_mov_b32_e32 v11, 1
	s_addc_u32 s43, s37, s43
	s_waitcnt lgkmcnt(0)
	global_store_dwordx2 v19, v[10:11], s[42:43]
.LBB692_26:
	s_or_b64 exec, exec, s[40:41]
	v_xad_u32 v12, v24, -1, s6
	v_add_u32_e32 v18, 64, v12
	v_lshlrev_b64 v[14:15], 3, v[18:19]
	v_mov_b32_e32 v11, s37
	v_add_co_u32_e32 v14, vcc, s36, v14
	v_addc_co_u32_e32 v15, vcc, v11, v15, vcc
	global_load_dwordx2 v[16:17], v[14:15], off glc
	s_waitcnt vmcnt(0)
	v_cmp_eq_u16_sdwa s[42:43], v17, v19 src0_sel:BYTE_0 src1_sel:DWORD
	s_and_saveexec_b64 s[40:41], s[42:43]
	s_cbranch_execz .LBB692_32
; %bb.27:
	s_mov_b32 s7, 1
	s_mov_b64 s[42:43], 0
	v_mov_b32_e32 v11, 0
.LBB692_28:                             ; =>This Loop Header: Depth=1
                                        ;     Child Loop BB692_29 Depth 2
	s_max_u32 s31, s7, 1
.LBB692_29:                             ;   Parent Loop BB692_28 Depth=1
                                        ; =>  This Inner Loop Header: Depth=2
	s_add_i32 s31, s31, -1
	s_cmp_eq_u32 s31, 0
	s_sleep 1
	s_cbranch_scc0 .LBB692_29
; %bb.30:                               ;   in Loop: Header=BB692_28 Depth=1
	global_load_dwordx2 v[16:17], v[14:15], off glc
	s_cmp_lt_u32 s7, 32
	s_cselect_b64 s[44:45], -1, 0
	s_cmp_lg_u64 s[44:45], 0
	s_addc_u32 s7, s7, 0
	s_waitcnt vmcnt(0)
	v_cmp_ne_u16_sdwa s[44:45], v17, v11 src0_sel:BYTE_0 src1_sel:DWORD
	s_or_b64 s[42:43], s[44:45], s[42:43]
	s_andn2_b64 exec, exec, s[42:43]
	s_cbranch_execnz .LBB692_28
; %bb.31:
	s_or_b64 exec, exec, s[42:43]
.LBB692_32:
	s_or_b64 exec, exec, s[40:41]
	v_and_b32_e32 v30, 63, v24
	v_mov_b32_e32 v29, 2
	v_cmp_ne_u32_e32 vcc, 63, v30
	v_cmp_eq_u16_sdwa s[40:41], v17, v29 src0_sel:BYTE_0 src1_sel:DWORD
	v_lshlrev_b64 v[14:15], v24, -1
	v_addc_co_u32_e32 v18, vcc, 0, v24, vcc
	v_and_b32_e32 v11, s41, v15
	v_lshlrev_b32_e32 v31, 2, v18
	v_or_b32_e32 v11, 0x80000000, v11
	ds_bpermute_b32 v18, v31, v16
	v_and_b32_e32 v13, s40, v14
	v_ffbl_b32_e32 v11, v11
	v_add_u32_e32 v11, 32, v11
	v_ffbl_b32_e32 v13, v13
	v_min_u32_e32 v11, v13, v11
	v_cmp_lt_u32_e32 vcc, v30, v11
	s_waitcnt lgkmcnt(0)
	v_cndmask_b32_e32 v13, 0, v18, vcc
	v_cmp_gt_u32_e32 vcc, 62, v30
	v_add_u32_e32 v13, v13, v16
	v_cndmask_b32_e64 v16, 0, 1, vcc
	v_lshlrev_b32_e32 v16, 1, v16
	v_add_lshl_u32 v32, v16, v24, 2
	ds_bpermute_b32 v16, v32, v13
	v_add_u32_e32 v33, 2, v30
	v_cmp_le_u32_e32 vcc, v33, v11
	v_add_u32_e32 v35, 4, v30
	v_add_u32_e32 v37, 8, v30
	s_waitcnt lgkmcnt(0)
	v_cndmask_b32_e32 v16, 0, v16, vcc
	v_cmp_gt_u32_e32 vcc, 60, v30
	v_add_u32_e32 v13, v13, v16
	v_cndmask_b32_e64 v16, 0, 1, vcc
	v_lshlrev_b32_e32 v16, 2, v16
	v_add_lshl_u32 v34, v16, v24, 2
	ds_bpermute_b32 v16, v34, v13
	v_cmp_le_u32_e32 vcc, v35, v11
	v_add_u32_e32 v39, 16, v30
	v_add_u32_e32 v41, 32, v30
	s_waitcnt lgkmcnt(0)
	v_cndmask_b32_e32 v16, 0, v16, vcc
	v_cmp_gt_u32_e32 vcc, 56, v30
	v_add_u32_e32 v13, v13, v16
	v_cndmask_b32_e64 v16, 0, 1, vcc
	v_lshlrev_b32_e32 v16, 3, v16
	v_add_lshl_u32 v36, v16, v24, 2
	ds_bpermute_b32 v16, v36, v13
	v_cmp_le_u32_e32 vcc, v37, v11
	s_waitcnt lgkmcnt(0)
	v_cndmask_b32_e32 v16, 0, v16, vcc
	v_cmp_gt_u32_e32 vcc, 48, v30
	v_add_u32_e32 v13, v13, v16
	v_cndmask_b32_e64 v16, 0, 1, vcc
	v_lshlrev_b32_e32 v16, 4, v16
	v_add_lshl_u32 v38, v16, v24, 2
	ds_bpermute_b32 v16, v38, v13
	v_cmp_le_u32_e32 vcc, v39, v11
	;; [unrolled: 9-line block ×3, first 2 shown]
	s_waitcnt lgkmcnt(0)
	v_cndmask_b32_e32 v11, 0, v16, vcc
	v_add_u32_e32 v16, v13, v11
	v_mov_b32_e32 v13, 0
	s_branch .LBB692_34
.LBB692_33:                             ;   in Loop: Header=BB692_34 Depth=1
	s_or_b64 exec, exec, s[40:41]
	v_cmp_eq_u16_sdwa s[40:41], v17, v29 src0_sel:BYTE_0 src1_sel:DWORD
	v_and_b32_e32 v18, s41, v15
	v_or_b32_e32 v18, 0x80000000, v18
	ds_bpermute_b32 v42, v31, v16
	v_and_b32_e32 v19, s40, v14
	v_ffbl_b32_e32 v18, v18
	v_add_u32_e32 v18, 32, v18
	v_ffbl_b32_e32 v19, v19
	v_min_u32_e32 v18, v19, v18
	v_cmp_lt_u32_e32 vcc, v30, v18
	s_waitcnt lgkmcnt(0)
	v_cndmask_b32_e32 v19, 0, v42, vcc
	v_add_u32_e32 v16, v19, v16
	ds_bpermute_b32 v19, v32, v16
	v_cmp_le_u32_e32 vcc, v33, v18
	v_subrev_u32_e32 v12, 64, v12
	s_waitcnt lgkmcnt(0)
	v_cndmask_b32_e32 v19, 0, v19, vcc
	v_add_u32_e32 v16, v16, v19
	ds_bpermute_b32 v19, v34, v16
	v_cmp_le_u32_e32 vcc, v35, v18
	s_waitcnt lgkmcnt(0)
	v_cndmask_b32_e32 v19, 0, v19, vcc
	v_add_u32_e32 v16, v16, v19
	ds_bpermute_b32 v19, v36, v16
	v_cmp_le_u32_e32 vcc, v37, v18
	s_waitcnt lgkmcnt(0)
	v_cndmask_b32_e32 v19, 0, v19, vcc
	v_add_u32_e32 v16, v16, v19
	ds_bpermute_b32 v19, v38, v16
	v_cmp_le_u32_e32 vcc, v39, v18
	s_waitcnt lgkmcnt(0)
	v_cndmask_b32_e32 v19, 0, v19, vcc
	v_add_u32_e32 v16, v16, v19
	ds_bpermute_b32 v19, v40, v16
	v_cmp_le_u32_e32 vcc, v41, v18
	s_waitcnt lgkmcnt(0)
	v_cndmask_b32_e32 v18, 0, v19, vcc
	v_add3_u32 v16, v18, v11, v16
.LBB692_34:                             ; =>This Loop Header: Depth=1
                                        ;     Child Loop BB692_37 Depth 2
                                        ;       Child Loop BB692_38 Depth 3
	v_cmp_ne_u16_sdwa s[40:41], v17, v29 src0_sel:BYTE_0 src1_sel:DWORD
	v_cndmask_b32_e64 v11, 0, 1, s[40:41]
	;;#ASMSTART
	;;#ASMEND
	v_cmp_ne_u32_e32 vcc, 0, v11
	s_cmp_lg_u64 vcc, exec
	v_mov_b32_e32 v11, v16
	s_cbranch_scc1 .LBB692_41
; %bb.35:                               ;   in Loop: Header=BB692_34 Depth=1
	v_lshlrev_b64 v[16:17], 3, v[12:13]
	v_mov_b32_e32 v19, s37
	v_add_co_u32_e32 v18, vcc, s36, v16
	v_addc_co_u32_e32 v19, vcc, v19, v17, vcc
	global_load_dwordx2 v[16:17], v[18:19], off glc
	s_waitcnt vmcnt(0)
	v_cmp_eq_u16_sdwa s[42:43], v17, v13 src0_sel:BYTE_0 src1_sel:DWORD
	s_and_saveexec_b64 s[40:41], s[42:43]
	s_cbranch_execz .LBB692_33
; %bb.36:                               ;   in Loop: Header=BB692_34 Depth=1
	s_mov_b32 s7, 1
	s_mov_b64 s[42:43], 0
.LBB692_37:                             ;   Parent Loop BB692_34 Depth=1
                                        ; =>  This Loop Header: Depth=2
                                        ;       Child Loop BB692_38 Depth 3
	s_max_u32 s31, s7, 1
.LBB692_38:                             ;   Parent Loop BB692_34 Depth=1
                                        ;     Parent Loop BB692_37 Depth=2
                                        ; =>    This Inner Loop Header: Depth=3
	s_add_i32 s31, s31, -1
	s_cmp_eq_u32 s31, 0
	s_sleep 1
	s_cbranch_scc0 .LBB692_38
; %bb.39:                               ;   in Loop: Header=BB692_37 Depth=2
	global_load_dwordx2 v[16:17], v[18:19], off glc
	s_cmp_lt_u32 s7, 32
	s_cselect_b64 s[44:45], -1, 0
	s_cmp_lg_u64 s[44:45], 0
	s_addc_u32 s7, s7, 0
	s_waitcnt vmcnt(0)
	v_cmp_ne_u16_sdwa s[44:45], v17, v13 src0_sel:BYTE_0 src1_sel:DWORD
	s_or_b64 s[42:43], s[44:45], s[42:43]
	s_andn2_b64 exec, exec, s[42:43]
	s_cbranch_execnz .LBB692_37
; %bb.40:                               ;   in Loop: Header=BB692_34 Depth=1
	s_or_b64 exec, exec, s[42:43]
	s_branch .LBB692_33
.LBB692_41:                             ;   in Loop: Header=BB692_34 Depth=1
                                        ; implicit-def: $vgpr16
                                        ; implicit-def: $vgpr17
	s_cbranch_execz .LBB692_34
; %bb.42:
	s_and_saveexec_b64 s[40:41], s[18:19]
	s_cbranch_execz .LBB692_44
; %bb.43:
	s_add_i32 s6, s6, 64
	s_mov_b32 s7, 0
	s_lshl_b64 s[6:7], s[6:7], 3
	s_add_u32 s6, s36, s6
	v_add_u32_e32 v12, v11, v10
	v_mov_b32_e32 v13, 2
	s_addc_u32 s7, s37, s7
	v_mov_b32_e32 v14, 0
	global_store_dwordx2 v14, v[12:13], s[6:7]
	ds_write_b64 v14, v[10:11] offset:6336
.LBB692_44:
	s_or_b64 exec, exec, s[40:41]
	v_cmp_eq_u32_e32 vcc, 0, v0
	s_and_b64 exec, exec, vcc
	s_cbranch_execz .LBB692_46
; %bb.45:
	v_mov_b32_e32 v10, 0
	ds_write_b32 v10, v11 offset:8
.LBB692_46:
	s_or_b64 exec, exec, s[38:39]
	v_mov_b32_e32 v10, 0
	s_waitcnt lgkmcnt(0)
	s_barrier
	ds_read_b32 v11, v10 offset:8
	v_cndmask_b32_e64 v12, v28, v27, s[18:19]
	v_cmp_ne_u32_e32 vcc, 0, v0
	v_cndmask_b32_e32 v12, 0, v12, vcc
	s_waitcnt lgkmcnt(0)
	v_add_u32_e32 v14, v11, v12
	s_barrier
	ds_read_b64 v[10:11], v10 offset:6336
	v_add_u32_sdwa v15, v14, v21 dst_sel:DWORD dst_unused:UNUSED_PAD src0_sel:DWORD src1_sel:BYTE_0
	v_add_u32_sdwa v13, v15, v21 dst_sel:DWORD dst_unused:UNUSED_PAD src0_sel:DWORD src1_sel:BYTE_1
	v_add_u32_e32 v12, v13, v23
	s_load_dwordx2 s[4:5], s[4:5], 0x28
	s_branch .LBB692_57
.LBB692_47:
                                        ; implicit-def: $vgpr11
                                        ; implicit-def: $vgpr12
                                        ; implicit-def: $vgpr13
                                        ; implicit-def: $vgpr15
                                        ; implicit-def: $vgpr14
	s_load_dwordx2 s[4:5], s[4:5], 0x28
	s_cbranch_execz .LBB692_57
; %bb.48:
	s_waitcnt lgkmcnt(0)
	v_mov_b32_dpp v10, v26 row_shr:1 row_mask:0xf bank_mask:0xf
	v_cndmask_b32_e64 v10, v10, 0, s[16:17]
	v_add_u32_e32 v10, v10, v26
	s_nop 1
	v_mov_b32_dpp v11, v10 row_shr:2 row_mask:0xf bank_mask:0xf
	v_cndmask_b32_e64 v11, 0, v11, s[14:15]
	v_add_u32_e32 v10, v10, v11
	s_nop 1
	;; [unrolled: 4-line block ×4, first 2 shown]
	v_mov_b32_dpp v11, v10 row_bcast:15 row_mask:0xf bank_mask:0xf
	v_cndmask_b32_e64 v11, v11, 0, s[20:21]
	v_add_u32_e32 v10, v10, v11
	s_nop 1
	v_mov_b32_dpp v11, v10 row_bcast:31 row_mask:0xf bank_mask:0xf
	v_cndmask_b32_e64 v11, 0, v11, s[2:3]
	v_add_u32_e32 v10, v10, v11
	s_and_saveexec_b64 s[2:3], s[8:9]
	s_cbranch_execz .LBB692_50
; %bb.49:
	v_lshlrev_b32_e32 v11, 2, v25
	ds_write_b32 v11, v10
.LBB692_50:
	s_or_b64 exec, exec, s[2:3]
	v_cmp_gt_u32_e32 vcc, 3, v0
	s_waitcnt lgkmcnt(0)
	s_barrier
	s_and_saveexec_b64 s[2:3], vcc
	s_cbranch_execz .LBB692_52
; %bb.51:
	ds_read_b32 v11, v20
	v_and_b32_e32 v12, 3, v24
	v_cmp_ne_u32_e32 vcc, 0, v12
	s_waitcnt lgkmcnt(0)
	v_mov_b32_dpp v13, v11 row_shr:1 row_mask:0xf bank_mask:0xf
	v_cndmask_b32_e32 v13, 0, v13, vcc
	v_add_u32_e32 v11, v13, v11
	v_cmp_lt_u32_e32 vcc, 1, v12
	s_nop 0
	v_mov_b32_dpp v13, v11 row_shr:2 row_mask:0xf bank_mask:0xf
	v_cndmask_b32_e32 v12, 0, v13, vcc
	v_add_u32_e32 v11, v11, v12
	ds_write_b32 v20, v11
.LBB692_52:
	s_or_b64 exec, exec, s[2:3]
	v_cmp_lt_u32_e32 vcc, 63, v0
	v_mov_b32_e32 v11, 0
	v_mov_b32_e32 v12, 0
	s_waitcnt lgkmcnt(0)
	s_barrier
	s_and_saveexec_b64 s[2:3], vcc
	s_cbranch_execz .LBB692_54
; %bb.53:
	v_lshl_add_u32 v12, v25, 2, -4
	ds_read_b32 v12, v12
.LBB692_54:
	s_or_b64 exec, exec, s[2:3]
	v_add_u32_e32 v13, -1, v24
	v_and_b32_e32 v14, 64, v24
	v_cmp_lt_i32_e32 vcc, v13, v14
	v_cndmask_b32_e32 v13, v13, v24, vcc
	s_waitcnt lgkmcnt(0)
	v_add_u32_e32 v10, v12, v10
	v_lshlrev_b32_e32 v13, 2, v13
	ds_bpermute_b32 v13, v13, v10
	ds_read_b32 v10, v11 offset:8
	v_cmp_eq_u32_e32 vcc, 0, v0
	s_and_saveexec_b64 s[2:3], vcc
	s_cbranch_execz .LBB692_56
; %bb.55:
	v_mov_b32_e32 v14, 0
	v_mov_b32_e32 v11, 2
	s_waitcnt lgkmcnt(0)
	global_store_dwordx2 v14, v[10:11], s[36:37] offset:512
.LBB692_56:
	s_or_b64 exec, exec, s[2:3]
	v_cmp_eq_u32_e64 s[2:3], 0, v24
	s_waitcnt lgkmcnt(1)
	v_cndmask_b32_e64 v12, v13, v12, s[2:3]
	v_cndmask_b32_e64 v14, v12, 0, vcc
	v_add_u32_sdwa v15, v14, v21 dst_sel:DWORD dst_unused:UNUSED_PAD src0_sel:DWORD src1_sel:BYTE_0
	v_add_u32_sdwa v13, v15, v21 dst_sel:DWORD dst_unused:UNUSED_PAD src0_sel:DWORD src1_sel:BYTE_1
	v_mov_b32_e32 v11, 0
	v_add_u32_e32 v12, v13, v23
	s_waitcnt lgkmcnt(0)
	s_barrier
.LBB692_57:
	s_waitcnt lgkmcnt(0)
	v_add_u32_e32 v17, v10, v20
	v_sub_u32_e32 v14, v14, v11
	v_and_b32_e32 v19, 1, v21
	v_sub_u32_e32 v18, v17, v14
	v_cmp_eq_u32_e32 vcc, 1, v19
	v_cndmask_b32_e32 v14, v18, v14, vcc
	v_lshlrev_b32_e32 v14, 3, v14
	v_lshrrev_b32_e32 v16, 8, v21
	ds_write_b64 v14, v[6:7]
	v_sub_u32_e32 v6, v15, v11
	v_sub_u32_e32 v7, v17, v6
	v_and_b32_e32 v14, 1, v16
	v_add_u32_e32 v7, 1, v7
	v_cmp_eq_u32_e32 vcc, 1, v14
	v_cndmask_b32_e32 v6, v7, v6, vcc
	v_lshlrev_b32_e32 v6, 3, v6
	ds_write_b64 v6, v[8:9]
	v_sub_u32_e32 v6, v13, v11
	v_mov_b32_e32 v8, 1
	v_sub_u32_e32 v7, v17, v6
	v_and_b32_sdwa v8, v8, v21 dst_sel:DWORD dst_unused:UNUSED_PAD src0_sel:DWORD src1_sel:WORD_1
	v_add_u32_e32 v7, 2, v7
	v_cmp_eq_u32_e32 vcc, 1, v8
	v_cndmask_b32_e32 v6, v7, v6, vcc
	v_lshlrev_b32_e32 v6, 3, v6
	ds_write_b64 v6, v[2:3]
	v_sub_u32_e32 v2, v12, v11
	v_sub_u32_e32 v3, v17, v2
	v_and_b32_e32 v6, 1, v22
	v_add_u32_e32 v3, 3, v3
	v_cmp_eq_u32_e32 vcc, 1, v6
	v_cndmask_b32_e32 v2, v3, v2, vcc
	s_add_u32 s2, s22, s30
	v_lshlrev_b32_e32 v2, 3, v2
	s_addc_u32 s3, s23, 0
	ds_write_b64 v2, v[4:5]
	s_waitcnt lgkmcnt(0)
	s_barrier
	ds_read2st64_b64 v[6:9], v1 offset1:3
	ds_read2st64_b64 v[2:5], v1 offset0:6 offset1:9
	v_mov_b32_e32 v12, s35
	v_add_co_u32_e32 v1, vcc, s34, v11
	s_sub_u32 s2, s28, s2
	v_addc_co_u32_e32 v11, vcc, 0, v12, vcc
	s_subb_u32 s3, s29, s3
	v_mov_b32_e32 v12, s3
	v_add_co_u32_e32 v13, vcc, s2, v10
	v_addc_co_u32_e32 v12, vcc, 0, v12, vcc
	s_and_b64 vcc, exec, s[0:1]
	v_add_co_u32_e64 v15, s[0:1], v13, v1
	v_add_u32_e32 v18, 0xc0, v0
	v_add_u32_e32 v17, 0x180, v0
	;; [unrolled: 1-line block ×3, first 2 shown]
	v_addc_co_u32_e64 v16, s[0:1], v12, v11, s[0:1]
	s_cbranch_vccnz .LBB692_75
; %bb.58:
	v_cmp_ge_u32_e32 vcc, v0, v10
                                        ; implicit-def: $vgpr12_vgpr13
	s_and_saveexec_b64 s[0:1], vcc
	s_xor_b64 s[0:1], exec, s[0:1]
; %bb.59:
	v_not_b32_e32 v12, v0
	v_ashrrev_i32_e32 v13, 31, v12
	v_add_co_u32_e32 v12, vcc, v15, v12
	v_addc_co_u32_e32 v13, vcc, v16, v13, vcc
; %bb.60:
	s_andn2_saveexec_b64 s[0:1], s[0:1]
; %bb.61:
	v_add_co_u32_e32 v12, vcc, v1, v0
	v_addc_co_u32_e32 v13, vcc, 0, v11, vcc
; %bb.62:
	s_or_b64 exec, exec, s[0:1]
	v_lshlrev_b64 v[12:13], 3, v[12:13]
	v_mov_b32_e32 v19, s5
	v_add_co_u32_e32 v12, vcc, s4, v12
	v_addc_co_u32_e32 v13, vcc, v19, v13, vcc
	v_cmp_ge_u32_e32 vcc, v18, v10
	s_waitcnt lgkmcnt(1)
	global_store_dwordx2 v[12:13], v[6:7], off
                                        ; implicit-def: $vgpr12_vgpr13
	s_and_saveexec_b64 s[0:1], vcc
	s_xor_b64 s[0:1], exec, s[0:1]
; %bb.63:
	v_sub_u32_e32 v12, 0xffffff3f, v0
	v_ashrrev_i32_e32 v13, 31, v12
	v_add_co_u32_e32 v12, vcc, v15, v12
	v_addc_co_u32_e32 v13, vcc, v16, v13, vcc
; %bb.64:
	s_andn2_saveexec_b64 s[0:1], s[0:1]
; %bb.65:
	v_add_co_u32_e32 v12, vcc, v1, v18
	v_addc_co_u32_e32 v13, vcc, 0, v11, vcc
; %bb.66:
	s_or_b64 exec, exec, s[0:1]
	v_lshlrev_b64 v[12:13], 3, v[12:13]
	v_mov_b32_e32 v19, s5
	v_add_co_u32_e32 v12, vcc, s4, v12
	v_addc_co_u32_e32 v13, vcc, v19, v13, vcc
	v_cmp_ge_u32_e32 vcc, v17, v10
	global_store_dwordx2 v[12:13], v[8:9], off
                                        ; implicit-def: $vgpr12_vgpr13
	s_and_saveexec_b64 s[0:1], vcc
	s_xor_b64 s[0:1], exec, s[0:1]
; %bb.67:
	v_sub_u32_e32 v12, 0xfffffe7f, v0
	v_ashrrev_i32_e32 v13, 31, v12
	v_add_co_u32_e32 v12, vcc, v15, v12
	v_addc_co_u32_e32 v13, vcc, v16, v13, vcc
; %bb.68:
	s_andn2_saveexec_b64 s[0:1], s[0:1]
; %bb.69:
	v_add_co_u32_e32 v12, vcc, v1, v17
	v_addc_co_u32_e32 v13, vcc, 0, v11, vcc
; %bb.70:
	s_or_b64 exec, exec, s[0:1]
	v_lshlrev_b64 v[12:13], 3, v[12:13]
	v_mov_b32_e32 v19, s5
	v_add_co_u32_e32 v12, vcc, s4, v12
	v_addc_co_u32_e32 v13, vcc, v19, v13, vcc
	v_cmp_ge_u32_e32 vcc, v14, v10
	s_waitcnt lgkmcnt(0)
	global_store_dwordx2 v[12:13], v[2:3], off
                                        ; implicit-def: $vgpr12_vgpr13
	s_and_saveexec_b64 s[0:1], vcc
	s_xor_b64 s[0:1], exec, s[0:1]
; %bb.71:
	v_sub_u32_e32 v12, 0xfffffdbf, v0
	v_ashrrev_i32_e32 v13, 31, v12
	v_add_co_u32_e32 v12, vcc, v15, v12
	v_addc_co_u32_e32 v13, vcc, v16, v13, vcc
; %bb.72:
	s_andn2_saveexec_b64 s[0:1], s[0:1]
; %bb.73:
	v_add_co_u32_e32 v12, vcc, v1, v14
	v_addc_co_u32_e32 v13, vcc, 0, v11, vcc
; %bb.74:
	s_or_b64 exec, exec, s[0:1]
	s_mov_b64 s[0:1], -1
	s_branch .LBB692_101
.LBB692_75:
	s_mov_b64 s[0:1], 0
                                        ; implicit-def: $vgpr12_vgpr13
	s_cbranch_execz .LBB692_101
; %bb.76:
	v_cmp_gt_u32_e32 vcc, s33, v0
	s_and_saveexec_b64 s[2:3], vcc
	s_cbranch_execz .LBB692_84
; %bb.77:
	v_cmp_ge_u32_e32 vcc, v0, v10
                                        ; implicit-def: $vgpr12_vgpr13
	s_and_saveexec_b64 s[6:7], vcc
	s_xor_b64 s[6:7], exec, s[6:7]
; %bb.78:
	v_not_b32_e32 v12, v0
	v_ashrrev_i32_e32 v13, 31, v12
	v_add_co_u32_e32 v12, vcc, v15, v12
	v_addc_co_u32_e32 v13, vcc, v16, v13, vcc
; %bb.79:
	s_andn2_saveexec_b64 s[6:7], s[6:7]
; %bb.80:
	v_add_co_u32_e32 v12, vcc, v1, v0
	v_addc_co_u32_e32 v13, vcc, 0, v11, vcc
; %bb.81:
	s_or_b64 exec, exec, s[6:7]
	v_lshlrev_b64 v[12:13], 3, v[12:13]
	v_mov_b32_e32 v19, s5
	v_add_co_u32_e32 v12, vcc, s4, v12
	v_addc_co_u32_e32 v13, vcc, v19, v13, vcc
	s_waitcnt lgkmcnt(1)
	global_store_dwordx2 v[12:13], v[6:7], off
	s_or_b64 exec, exec, s[2:3]
	v_cmp_gt_u32_e32 vcc, s33, v18
	s_and_saveexec_b64 s[2:3], vcc
	s_cbranch_execnz .LBB692_85
.LBB692_82:
	s_or_b64 exec, exec, s[2:3]
	v_cmp_gt_u32_e32 vcc, s33, v17
	s_and_saveexec_b64 s[2:3], vcc
	s_cbranch_execnz .LBB692_90
.LBB692_83:
	s_or_b64 exec, exec, s[2:3]
	v_cmp_gt_u32_e32 vcc, s33, v14
                                        ; implicit-def: $vgpr12_vgpr13
	s_and_saveexec_b64 s[2:3], vcc
	s_cbranch_execz .LBB692_100
	s_branch .LBB692_95
.LBB692_84:
	s_or_b64 exec, exec, s[2:3]
	v_cmp_gt_u32_e32 vcc, s33, v18
	s_and_saveexec_b64 s[2:3], vcc
	s_cbranch_execz .LBB692_82
.LBB692_85:
	v_cmp_ge_u32_e32 vcc, v18, v10
                                        ; implicit-def: $vgpr6_vgpr7
	s_and_saveexec_b64 s[6:7], vcc
	s_xor_b64 s[6:7], exec, s[6:7]
	s_cbranch_execz .LBB692_87
; %bb.86:
	s_waitcnt lgkmcnt(1)
	v_sub_u32_e32 v6, 0xffffff3f, v0
	v_ashrrev_i32_e32 v7, 31, v6
	v_add_co_u32_e32 v6, vcc, v15, v6
	v_addc_co_u32_e32 v7, vcc, v16, v7, vcc
                                        ; implicit-def: $vgpr18
.LBB692_87:
	s_andn2_saveexec_b64 s[6:7], s[6:7]
	s_cbranch_execz .LBB692_89
; %bb.88:
	s_waitcnt lgkmcnt(1)
	v_add_co_u32_e32 v6, vcc, v1, v18
	v_addc_co_u32_e32 v7, vcc, 0, v11, vcc
.LBB692_89:
	s_or_b64 exec, exec, s[6:7]
	s_waitcnt lgkmcnt(1)
	v_lshlrev_b64 v[6:7], 3, v[6:7]
	v_mov_b32_e32 v12, s5
	v_add_co_u32_e32 v6, vcc, s4, v6
	v_addc_co_u32_e32 v7, vcc, v12, v7, vcc
	global_store_dwordx2 v[6:7], v[8:9], off
	s_or_b64 exec, exec, s[2:3]
	v_cmp_gt_u32_e32 vcc, s33, v17
	s_and_saveexec_b64 s[2:3], vcc
	s_cbranch_execz .LBB692_83
.LBB692_90:
	v_cmp_ge_u32_e32 vcc, v17, v10
                                        ; implicit-def: $vgpr6_vgpr7
	s_and_saveexec_b64 s[6:7], vcc
	s_xor_b64 s[6:7], exec, s[6:7]
	s_cbranch_execz .LBB692_92
; %bb.91:
	s_waitcnt lgkmcnt(1)
	v_sub_u32_e32 v6, 0xfffffe7f, v0
	v_ashrrev_i32_e32 v7, 31, v6
	v_add_co_u32_e32 v6, vcc, v15, v6
	v_addc_co_u32_e32 v7, vcc, v16, v7, vcc
                                        ; implicit-def: $vgpr17
.LBB692_92:
	s_andn2_saveexec_b64 s[6:7], s[6:7]
	s_cbranch_execz .LBB692_94
; %bb.93:
	s_waitcnt lgkmcnt(1)
	v_add_co_u32_e32 v6, vcc, v1, v17
	v_addc_co_u32_e32 v7, vcc, 0, v11, vcc
.LBB692_94:
	s_or_b64 exec, exec, s[6:7]
	s_waitcnt lgkmcnt(1)
	v_lshlrev_b64 v[6:7], 3, v[6:7]
	v_mov_b32_e32 v8, s5
	v_add_co_u32_e32 v6, vcc, s4, v6
	v_addc_co_u32_e32 v7, vcc, v8, v7, vcc
	s_waitcnt lgkmcnt(0)
	global_store_dwordx2 v[6:7], v[2:3], off
	s_or_b64 exec, exec, s[2:3]
	v_cmp_gt_u32_e32 vcc, s33, v14
                                        ; implicit-def: $vgpr12_vgpr13
	s_and_saveexec_b64 s[2:3], vcc
	s_cbranch_execz .LBB692_100
.LBB692_95:
	v_cmp_ge_u32_e32 vcc, v14, v10
                                        ; implicit-def: $vgpr12_vgpr13
	s_and_saveexec_b64 s[6:7], vcc
	s_xor_b64 s[6:7], exec, s[6:7]
	s_cbranch_execz .LBB692_97
; %bb.96:
	s_waitcnt lgkmcnt(0)
	v_sub_u32_e32 v2, 0xfffffdbf, v0
	v_ashrrev_i32_e32 v3, 31, v2
	v_add_co_u32_e32 v12, vcc, v15, v2
	v_addc_co_u32_e32 v13, vcc, v16, v3, vcc
                                        ; implicit-def: $vgpr14
.LBB692_97:
	s_andn2_saveexec_b64 s[6:7], s[6:7]
; %bb.98:
	v_add_co_u32_e32 v12, vcc, v1, v14
	v_addc_co_u32_e32 v13, vcc, 0, v11, vcc
; %bb.99:
	s_or_b64 exec, exec, s[6:7]
	s_or_b64 s[0:1], s[0:1], exec
.LBB692_100:
	s_or_b64 exec, exec, s[2:3]
.LBB692_101:
	s_and_saveexec_b64 s[2:3], s[0:1]
	s_cbranch_execz .LBB692_103
; %bb.102:
	s_waitcnt lgkmcnt(0)
	v_lshlrev_b64 v[2:3], 3, v[12:13]
	v_mov_b32_e32 v6, s5
	v_add_co_u32_e32 v2, vcc, s4, v2
	v_addc_co_u32_e32 v3, vcc, v6, v3, vcc
	global_store_dwordx2 v[2:3], v[4:5], off
.LBB692_103:
	s_or_b64 exec, exec, s[2:3]
	v_cmp_eq_u32_e32 vcc, 0, v0
	s_and_b64 s[0:1], vcc, s[26:27]
	s_and_saveexec_b64 s[2:3], s[0:1]
	s_cbranch_execz .LBB692_105
; %bb.104:
	v_add_co_u32_e32 v0, vcc, v1, v10
	s_waitcnt lgkmcnt(0)
	v_mov_b32_e32 v2, 0
	v_addc_co_u32_e32 v1, vcc, 0, v11, vcc
	global_store_dwordx2 v2, v[0:1], s[24:25]
.LBB692_105:
	s_endpgm
	.section	.rodata,"a",@progbits
	.p2align	6, 0x0
	.amdhsa_kernel _ZN7rocprim17ROCPRIM_400000_NS6detail17trampoline_kernelINS0_14default_configENS1_25partition_config_selectorILNS1_17partition_subalgoE3EyNS0_10empty_typeEbEEZZNS1_14partition_implILS5_3ELb0ES3_jN6thrust23THRUST_200600_302600_NS6detail15normal_iteratorINSA_7pointerIyNSA_11hip_rocprim3tagENSA_11use_defaultESG_EEEEPS6_SJ_NS0_5tupleIJPySJ_EEENSK_IJSJ_SJ_EEES6_PlJ7is_evenIyEEEE10hipError_tPvRmT3_T4_T5_T6_T7_T9_mT8_P12ihipStream_tbDpT10_ENKUlT_T0_E_clISt17integral_constantIbLb1EES19_IbLb0EEEEDaS15_S16_EUlS15_E_NS1_11comp_targetILNS1_3genE4ELNS1_11target_archE910ELNS1_3gpuE8ELNS1_3repE0EEENS1_30default_config_static_selectorELNS0_4arch9wavefront6targetE1EEEvT1_
		.amdhsa_group_segment_fixed_size 6344
		.amdhsa_private_segment_fixed_size 0
		.amdhsa_kernarg_size 120
		.amdhsa_user_sgpr_count 6
		.amdhsa_user_sgpr_private_segment_buffer 1
		.amdhsa_user_sgpr_dispatch_ptr 0
		.amdhsa_user_sgpr_queue_ptr 0
		.amdhsa_user_sgpr_kernarg_segment_ptr 1
		.amdhsa_user_sgpr_dispatch_id 0
		.amdhsa_user_sgpr_flat_scratch_init 0
		.amdhsa_user_sgpr_kernarg_preload_length 0
		.amdhsa_user_sgpr_kernarg_preload_offset 0
		.amdhsa_user_sgpr_private_segment_size 0
		.amdhsa_uses_dynamic_stack 0
		.amdhsa_system_sgpr_private_segment_wavefront_offset 0
		.amdhsa_system_sgpr_workgroup_id_x 1
		.amdhsa_system_sgpr_workgroup_id_y 0
		.amdhsa_system_sgpr_workgroup_id_z 0
		.amdhsa_system_sgpr_workgroup_info 0
		.amdhsa_system_vgpr_workitem_id 0
		.amdhsa_next_free_vgpr 43
		.amdhsa_next_free_sgpr 46
		.amdhsa_accum_offset 44
		.amdhsa_reserve_vcc 1
		.amdhsa_reserve_flat_scratch 0
		.amdhsa_float_round_mode_32 0
		.amdhsa_float_round_mode_16_64 0
		.amdhsa_float_denorm_mode_32 3
		.amdhsa_float_denorm_mode_16_64 3
		.amdhsa_dx10_clamp 1
		.amdhsa_ieee_mode 1
		.amdhsa_fp16_overflow 0
		.amdhsa_tg_split 0
		.amdhsa_exception_fp_ieee_invalid_op 0
		.amdhsa_exception_fp_denorm_src 0
		.amdhsa_exception_fp_ieee_div_zero 0
		.amdhsa_exception_fp_ieee_overflow 0
		.amdhsa_exception_fp_ieee_underflow 0
		.amdhsa_exception_fp_ieee_inexact 0
		.amdhsa_exception_int_div_zero 0
	.end_amdhsa_kernel
	.section	.text._ZN7rocprim17ROCPRIM_400000_NS6detail17trampoline_kernelINS0_14default_configENS1_25partition_config_selectorILNS1_17partition_subalgoE3EyNS0_10empty_typeEbEEZZNS1_14partition_implILS5_3ELb0ES3_jN6thrust23THRUST_200600_302600_NS6detail15normal_iteratorINSA_7pointerIyNSA_11hip_rocprim3tagENSA_11use_defaultESG_EEEEPS6_SJ_NS0_5tupleIJPySJ_EEENSK_IJSJ_SJ_EEES6_PlJ7is_evenIyEEEE10hipError_tPvRmT3_T4_T5_T6_T7_T9_mT8_P12ihipStream_tbDpT10_ENKUlT_T0_E_clISt17integral_constantIbLb1EES19_IbLb0EEEEDaS15_S16_EUlS15_E_NS1_11comp_targetILNS1_3genE4ELNS1_11target_archE910ELNS1_3gpuE8ELNS1_3repE0EEENS1_30default_config_static_selectorELNS0_4arch9wavefront6targetE1EEEvT1_,"axG",@progbits,_ZN7rocprim17ROCPRIM_400000_NS6detail17trampoline_kernelINS0_14default_configENS1_25partition_config_selectorILNS1_17partition_subalgoE3EyNS0_10empty_typeEbEEZZNS1_14partition_implILS5_3ELb0ES3_jN6thrust23THRUST_200600_302600_NS6detail15normal_iteratorINSA_7pointerIyNSA_11hip_rocprim3tagENSA_11use_defaultESG_EEEEPS6_SJ_NS0_5tupleIJPySJ_EEENSK_IJSJ_SJ_EEES6_PlJ7is_evenIyEEEE10hipError_tPvRmT3_T4_T5_T6_T7_T9_mT8_P12ihipStream_tbDpT10_ENKUlT_T0_E_clISt17integral_constantIbLb1EES19_IbLb0EEEEDaS15_S16_EUlS15_E_NS1_11comp_targetILNS1_3genE4ELNS1_11target_archE910ELNS1_3gpuE8ELNS1_3repE0EEENS1_30default_config_static_selectorELNS0_4arch9wavefront6targetE1EEEvT1_,comdat
.Lfunc_end692:
	.size	_ZN7rocprim17ROCPRIM_400000_NS6detail17trampoline_kernelINS0_14default_configENS1_25partition_config_selectorILNS1_17partition_subalgoE3EyNS0_10empty_typeEbEEZZNS1_14partition_implILS5_3ELb0ES3_jN6thrust23THRUST_200600_302600_NS6detail15normal_iteratorINSA_7pointerIyNSA_11hip_rocprim3tagENSA_11use_defaultESG_EEEEPS6_SJ_NS0_5tupleIJPySJ_EEENSK_IJSJ_SJ_EEES6_PlJ7is_evenIyEEEE10hipError_tPvRmT3_T4_T5_T6_T7_T9_mT8_P12ihipStream_tbDpT10_ENKUlT_T0_E_clISt17integral_constantIbLb1EES19_IbLb0EEEEDaS15_S16_EUlS15_E_NS1_11comp_targetILNS1_3genE4ELNS1_11target_archE910ELNS1_3gpuE8ELNS1_3repE0EEENS1_30default_config_static_selectorELNS0_4arch9wavefront6targetE1EEEvT1_, .Lfunc_end692-_ZN7rocprim17ROCPRIM_400000_NS6detail17trampoline_kernelINS0_14default_configENS1_25partition_config_selectorILNS1_17partition_subalgoE3EyNS0_10empty_typeEbEEZZNS1_14partition_implILS5_3ELb0ES3_jN6thrust23THRUST_200600_302600_NS6detail15normal_iteratorINSA_7pointerIyNSA_11hip_rocprim3tagENSA_11use_defaultESG_EEEEPS6_SJ_NS0_5tupleIJPySJ_EEENSK_IJSJ_SJ_EEES6_PlJ7is_evenIyEEEE10hipError_tPvRmT3_T4_T5_T6_T7_T9_mT8_P12ihipStream_tbDpT10_ENKUlT_T0_E_clISt17integral_constantIbLb1EES19_IbLb0EEEEDaS15_S16_EUlS15_E_NS1_11comp_targetILNS1_3genE4ELNS1_11target_archE910ELNS1_3gpuE8ELNS1_3repE0EEENS1_30default_config_static_selectorELNS0_4arch9wavefront6targetE1EEEvT1_
                                        ; -- End function
	.section	.AMDGPU.csdata,"",@progbits
; Kernel info:
; codeLenInByte = 4076
; NumSgprs: 50
; NumVgprs: 43
; NumAgprs: 0
; TotalNumVgprs: 43
; ScratchSize: 0
; MemoryBound: 0
; FloatMode: 240
; IeeeMode: 1
; LDSByteSize: 6344 bytes/workgroup (compile time only)
; SGPRBlocks: 6
; VGPRBlocks: 5
; NumSGPRsForWavesPerEU: 50
; NumVGPRsForWavesPerEU: 43
; AccumOffset: 44
; Occupancy: 8
; WaveLimiterHint : 1
; COMPUTE_PGM_RSRC2:SCRATCH_EN: 0
; COMPUTE_PGM_RSRC2:USER_SGPR: 6
; COMPUTE_PGM_RSRC2:TRAP_HANDLER: 0
; COMPUTE_PGM_RSRC2:TGID_X_EN: 1
; COMPUTE_PGM_RSRC2:TGID_Y_EN: 0
; COMPUTE_PGM_RSRC2:TGID_Z_EN: 0
; COMPUTE_PGM_RSRC2:TIDIG_COMP_CNT: 0
; COMPUTE_PGM_RSRC3_GFX90A:ACCUM_OFFSET: 10
; COMPUTE_PGM_RSRC3_GFX90A:TG_SPLIT: 0
	.section	.text._ZN7rocprim17ROCPRIM_400000_NS6detail17trampoline_kernelINS0_14default_configENS1_25partition_config_selectorILNS1_17partition_subalgoE3EyNS0_10empty_typeEbEEZZNS1_14partition_implILS5_3ELb0ES3_jN6thrust23THRUST_200600_302600_NS6detail15normal_iteratorINSA_7pointerIyNSA_11hip_rocprim3tagENSA_11use_defaultESG_EEEEPS6_SJ_NS0_5tupleIJPySJ_EEENSK_IJSJ_SJ_EEES6_PlJ7is_evenIyEEEE10hipError_tPvRmT3_T4_T5_T6_T7_T9_mT8_P12ihipStream_tbDpT10_ENKUlT_T0_E_clISt17integral_constantIbLb1EES19_IbLb0EEEEDaS15_S16_EUlS15_E_NS1_11comp_targetILNS1_3genE3ELNS1_11target_archE908ELNS1_3gpuE7ELNS1_3repE0EEENS1_30default_config_static_selectorELNS0_4arch9wavefront6targetE1EEEvT1_,"axG",@progbits,_ZN7rocprim17ROCPRIM_400000_NS6detail17trampoline_kernelINS0_14default_configENS1_25partition_config_selectorILNS1_17partition_subalgoE3EyNS0_10empty_typeEbEEZZNS1_14partition_implILS5_3ELb0ES3_jN6thrust23THRUST_200600_302600_NS6detail15normal_iteratorINSA_7pointerIyNSA_11hip_rocprim3tagENSA_11use_defaultESG_EEEEPS6_SJ_NS0_5tupleIJPySJ_EEENSK_IJSJ_SJ_EEES6_PlJ7is_evenIyEEEE10hipError_tPvRmT3_T4_T5_T6_T7_T9_mT8_P12ihipStream_tbDpT10_ENKUlT_T0_E_clISt17integral_constantIbLb1EES19_IbLb0EEEEDaS15_S16_EUlS15_E_NS1_11comp_targetILNS1_3genE3ELNS1_11target_archE908ELNS1_3gpuE7ELNS1_3repE0EEENS1_30default_config_static_selectorELNS0_4arch9wavefront6targetE1EEEvT1_,comdat
	.protected	_ZN7rocprim17ROCPRIM_400000_NS6detail17trampoline_kernelINS0_14default_configENS1_25partition_config_selectorILNS1_17partition_subalgoE3EyNS0_10empty_typeEbEEZZNS1_14partition_implILS5_3ELb0ES3_jN6thrust23THRUST_200600_302600_NS6detail15normal_iteratorINSA_7pointerIyNSA_11hip_rocprim3tagENSA_11use_defaultESG_EEEEPS6_SJ_NS0_5tupleIJPySJ_EEENSK_IJSJ_SJ_EEES6_PlJ7is_evenIyEEEE10hipError_tPvRmT3_T4_T5_T6_T7_T9_mT8_P12ihipStream_tbDpT10_ENKUlT_T0_E_clISt17integral_constantIbLb1EES19_IbLb0EEEEDaS15_S16_EUlS15_E_NS1_11comp_targetILNS1_3genE3ELNS1_11target_archE908ELNS1_3gpuE7ELNS1_3repE0EEENS1_30default_config_static_selectorELNS0_4arch9wavefront6targetE1EEEvT1_ ; -- Begin function _ZN7rocprim17ROCPRIM_400000_NS6detail17trampoline_kernelINS0_14default_configENS1_25partition_config_selectorILNS1_17partition_subalgoE3EyNS0_10empty_typeEbEEZZNS1_14partition_implILS5_3ELb0ES3_jN6thrust23THRUST_200600_302600_NS6detail15normal_iteratorINSA_7pointerIyNSA_11hip_rocprim3tagENSA_11use_defaultESG_EEEEPS6_SJ_NS0_5tupleIJPySJ_EEENSK_IJSJ_SJ_EEES6_PlJ7is_evenIyEEEE10hipError_tPvRmT3_T4_T5_T6_T7_T9_mT8_P12ihipStream_tbDpT10_ENKUlT_T0_E_clISt17integral_constantIbLb1EES19_IbLb0EEEEDaS15_S16_EUlS15_E_NS1_11comp_targetILNS1_3genE3ELNS1_11target_archE908ELNS1_3gpuE7ELNS1_3repE0EEENS1_30default_config_static_selectorELNS0_4arch9wavefront6targetE1EEEvT1_
	.globl	_ZN7rocprim17ROCPRIM_400000_NS6detail17trampoline_kernelINS0_14default_configENS1_25partition_config_selectorILNS1_17partition_subalgoE3EyNS0_10empty_typeEbEEZZNS1_14partition_implILS5_3ELb0ES3_jN6thrust23THRUST_200600_302600_NS6detail15normal_iteratorINSA_7pointerIyNSA_11hip_rocprim3tagENSA_11use_defaultESG_EEEEPS6_SJ_NS0_5tupleIJPySJ_EEENSK_IJSJ_SJ_EEES6_PlJ7is_evenIyEEEE10hipError_tPvRmT3_T4_T5_T6_T7_T9_mT8_P12ihipStream_tbDpT10_ENKUlT_T0_E_clISt17integral_constantIbLb1EES19_IbLb0EEEEDaS15_S16_EUlS15_E_NS1_11comp_targetILNS1_3genE3ELNS1_11target_archE908ELNS1_3gpuE7ELNS1_3repE0EEENS1_30default_config_static_selectorELNS0_4arch9wavefront6targetE1EEEvT1_
	.p2align	8
	.type	_ZN7rocprim17ROCPRIM_400000_NS6detail17trampoline_kernelINS0_14default_configENS1_25partition_config_selectorILNS1_17partition_subalgoE3EyNS0_10empty_typeEbEEZZNS1_14partition_implILS5_3ELb0ES3_jN6thrust23THRUST_200600_302600_NS6detail15normal_iteratorINSA_7pointerIyNSA_11hip_rocprim3tagENSA_11use_defaultESG_EEEEPS6_SJ_NS0_5tupleIJPySJ_EEENSK_IJSJ_SJ_EEES6_PlJ7is_evenIyEEEE10hipError_tPvRmT3_T4_T5_T6_T7_T9_mT8_P12ihipStream_tbDpT10_ENKUlT_T0_E_clISt17integral_constantIbLb1EES19_IbLb0EEEEDaS15_S16_EUlS15_E_NS1_11comp_targetILNS1_3genE3ELNS1_11target_archE908ELNS1_3gpuE7ELNS1_3repE0EEENS1_30default_config_static_selectorELNS0_4arch9wavefront6targetE1EEEvT1_,@function
_ZN7rocprim17ROCPRIM_400000_NS6detail17trampoline_kernelINS0_14default_configENS1_25partition_config_selectorILNS1_17partition_subalgoE3EyNS0_10empty_typeEbEEZZNS1_14partition_implILS5_3ELb0ES3_jN6thrust23THRUST_200600_302600_NS6detail15normal_iteratorINSA_7pointerIyNSA_11hip_rocprim3tagENSA_11use_defaultESG_EEEEPS6_SJ_NS0_5tupleIJPySJ_EEENSK_IJSJ_SJ_EEES6_PlJ7is_evenIyEEEE10hipError_tPvRmT3_T4_T5_T6_T7_T9_mT8_P12ihipStream_tbDpT10_ENKUlT_T0_E_clISt17integral_constantIbLb1EES19_IbLb0EEEEDaS15_S16_EUlS15_E_NS1_11comp_targetILNS1_3genE3ELNS1_11target_archE908ELNS1_3gpuE7ELNS1_3repE0EEENS1_30default_config_static_selectorELNS0_4arch9wavefront6targetE1EEEvT1_: ; @_ZN7rocprim17ROCPRIM_400000_NS6detail17trampoline_kernelINS0_14default_configENS1_25partition_config_selectorILNS1_17partition_subalgoE3EyNS0_10empty_typeEbEEZZNS1_14partition_implILS5_3ELb0ES3_jN6thrust23THRUST_200600_302600_NS6detail15normal_iteratorINSA_7pointerIyNSA_11hip_rocprim3tagENSA_11use_defaultESG_EEEEPS6_SJ_NS0_5tupleIJPySJ_EEENSK_IJSJ_SJ_EEES6_PlJ7is_evenIyEEEE10hipError_tPvRmT3_T4_T5_T6_T7_T9_mT8_P12ihipStream_tbDpT10_ENKUlT_T0_E_clISt17integral_constantIbLb1EES19_IbLb0EEEEDaS15_S16_EUlS15_E_NS1_11comp_targetILNS1_3genE3ELNS1_11target_archE908ELNS1_3gpuE7ELNS1_3repE0EEENS1_30default_config_static_selectorELNS0_4arch9wavefront6targetE1EEEvT1_
; %bb.0:
	.section	.rodata,"a",@progbits
	.p2align	6, 0x0
	.amdhsa_kernel _ZN7rocprim17ROCPRIM_400000_NS6detail17trampoline_kernelINS0_14default_configENS1_25partition_config_selectorILNS1_17partition_subalgoE3EyNS0_10empty_typeEbEEZZNS1_14partition_implILS5_3ELb0ES3_jN6thrust23THRUST_200600_302600_NS6detail15normal_iteratorINSA_7pointerIyNSA_11hip_rocprim3tagENSA_11use_defaultESG_EEEEPS6_SJ_NS0_5tupleIJPySJ_EEENSK_IJSJ_SJ_EEES6_PlJ7is_evenIyEEEE10hipError_tPvRmT3_T4_T5_T6_T7_T9_mT8_P12ihipStream_tbDpT10_ENKUlT_T0_E_clISt17integral_constantIbLb1EES19_IbLb0EEEEDaS15_S16_EUlS15_E_NS1_11comp_targetILNS1_3genE3ELNS1_11target_archE908ELNS1_3gpuE7ELNS1_3repE0EEENS1_30default_config_static_selectorELNS0_4arch9wavefront6targetE1EEEvT1_
		.amdhsa_group_segment_fixed_size 0
		.amdhsa_private_segment_fixed_size 0
		.amdhsa_kernarg_size 120
		.amdhsa_user_sgpr_count 6
		.amdhsa_user_sgpr_private_segment_buffer 1
		.amdhsa_user_sgpr_dispatch_ptr 0
		.amdhsa_user_sgpr_queue_ptr 0
		.amdhsa_user_sgpr_kernarg_segment_ptr 1
		.amdhsa_user_sgpr_dispatch_id 0
		.amdhsa_user_sgpr_flat_scratch_init 0
		.amdhsa_user_sgpr_kernarg_preload_length 0
		.amdhsa_user_sgpr_kernarg_preload_offset 0
		.amdhsa_user_sgpr_private_segment_size 0
		.amdhsa_uses_dynamic_stack 0
		.amdhsa_system_sgpr_private_segment_wavefront_offset 0
		.amdhsa_system_sgpr_workgroup_id_x 1
		.amdhsa_system_sgpr_workgroup_id_y 0
		.amdhsa_system_sgpr_workgroup_id_z 0
		.amdhsa_system_sgpr_workgroup_info 0
		.amdhsa_system_vgpr_workitem_id 0
		.amdhsa_next_free_vgpr 1
		.amdhsa_next_free_sgpr 0
		.amdhsa_accum_offset 4
		.amdhsa_reserve_vcc 0
		.amdhsa_reserve_flat_scratch 0
		.amdhsa_float_round_mode_32 0
		.amdhsa_float_round_mode_16_64 0
		.amdhsa_float_denorm_mode_32 3
		.amdhsa_float_denorm_mode_16_64 3
		.amdhsa_dx10_clamp 1
		.amdhsa_ieee_mode 1
		.amdhsa_fp16_overflow 0
		.amdhsa_tg_split 0
		.amdhsa_exception_fp_ieee_invalid_op 0
		.amdhsa_exception_fp_denorm_src 0
		.amdhsa_exception_fp_ieee_div_zero 0
		.amdhsa_exception_fp_ieee_overflow 0
		.amdhsa_exception_fp_ieee_underflow 0
		.amdhsa_exception_fp_ieee_inexact 0
		.amdhsa_exception_int_div_zero 0
	.end_amdhsa_kernel
	.section	.text._ZN7rocprim17ROCPRIM_400000_NS6detail17trampoline_kernelINS0_14default_configENS1_25partition_config_selectorILNS1_17partition_subalgoE3EyNS0_10empty_typeEbEEZZNS1_14partition_implILS5_3ELb0ES3_jN6thrust23THRUST_200600_302600_NS6detail15normal_iteratorINSA_7pointerIyNSA_11hip_rocprim3tagENSA_11use_defaultESG_EEEEPS6_SJ_NS0_5tupleIJPySJ_EEENSK_IJSJ_SJ_EEES6_PlJ7is_evenIyEEEE10hipError_tPvRmT3_T4_T5_T6_T7_T9_mT8_P12ihipStream_tbDpT10_ENKUlT_T0_E_clISt17integral_constantIbLb1EES19_IbLb0EEEEDaS15_S16_EUlS15_E_NS1_11comp_targetILNS1_3genE3ELNS1_11target_archE908ELNS1_3gpuE7ELNS1_3repE0EEENS1_30default_config_static_selectorELNS0_4arch9wavefront6targetE1EEEvT1_,"axG",@progbits,_ZN7rocprim17ROCPRIM_400000_NS6detail17trampoline_kernelINS0_14default_configENS1_25partition_config_selectorILNS1_17partition_subalgoE3EyNS0_10empty_typeEbEEZZNS1_14partition_implILS5_3ELb0ES3_jN6thrust23THRUST_200600_302600_NS6detail15normal_iteratorINSA_7pointerIyNSA_11hip_rocprim3tagENSA_11use_defaultESG_EEEEPS6_SJ_NS0_5tupleIJPySJ_EEENSK_IJSJ_SJ_EEES6_PlJ7is_evenIyEEEE10hipError_tPvRmT3_T4_T5_T6_T7_T9_mT8_P12ihipStream_tbDpT10_ENKUlT_T0_E_clISt17integral_constantIbLb1EES19_IbLb0EEEEDaS15_S16_EUlS15_E_NS1_11comp_targetILNS1_3genE3ELNS1_11target_archE908ELNS1_3gpuE7ELNS1_3repE0EEENS1_30default_config_static_selectorELNS0_4arch9wavefront6targetE1EEEvT1_,comdat
.Lfunc_end693:
	.size	_ZN7rocprim17ROCPRIM_400000_NS6detail17trampoline_kernelINS0_14default_configENS1_25partition_config_selectorILNS1_17partition_subalgoE3EyNS0_10empty_typeEbEEZZNS1_14partition_implILS5_3ELb0ES3_jN6thrust23THRUST_200600_302600_NS6detail15normal_iteratorINSA_7pointerIyNSA_11hip_rocprim3tagENSA_11use_defaultESG_EEEEPS6_SJ_NS0_5tupleIJPySJ_EEENSK_IJSJ_SJ_EEES6_PlJ7is_evenIyEEEE10hipError_tPvRmT3_T4_T5_T6_T7_T9_mT8_P12ihipStream_tbDpT10_ENKUlT_T0_E_clISt17integral_constantIbLb1EES19_IbLb0EEEEDaS15_S16_EUlS15_E_NS1_11comp_targetILNS1_3genE3ELNS1_11target_archE908ELNS1_3gpuE7ELNS1_3repE0EEENS1_30default_config_static_selectorELNS0_4arch9wavefront6targetE1EEEvT1_, .Lfunc_end693-_ZN7rocprim17ROCPRIM_400000_NS6detail17trampoline_kernelINS0_14default_configENS1_25partition_config_selectorILNS1_17partition_subalgoE3EyNS0_10empty_typeEbEEZZNS1_14partition_implILS5_3ELb0ES3_jN6thrust23THRUST_200600_302600_NS6detail15normal_iteratorINSA_7pointerIyNSA_11hip_rocprim3tagENSA_11use_defaultESG_EEEEPS6_SJ_NS0_5tupleIJPySJ_EEENSK_IJSJ_SJ_EEES6_PlJ7is_evenIyEEEE10hipError_tPvRmT3_T4_T5_T6_T7_T9_mT8_P12ihipStream_tbDpT10_ENKUlT_T0_E_clISt17integral_constantIbLb1EES19_IbLb0EEEEDaS15_S16_EUlS15_E_NS1_11comp_targetILNS1_3genE3ELNS1_11target_archE908ELNS1_3gpuE7ELNS1_3repE0EEENS1_30default_config_static_selectorELNS0_4arch9wavefront6targetE1EEEvT1_
                                        ; -- End function
	.section	.AMDGPU.csdata,"",@progbits
; Kernel info:
; codeLenInByte = 0
; NumSgprs: 4
; NumVgprs: 0
; NumAgprs: 0
; TotalNumVgprs: 0
; ScratchSize: 0
; MemoryBound: 0
; FloatMode: 240
; IeeeMode: 1
; LDSByteSize: 0 bytes/workgroup (compile time only)
; SGPRBlocks: 0
; VGPRBlocks: 0
; NumSGPRsForWavesPerEU: 4
; NumVGPRsForWavesPerEU: 1
; AccumOffset: 4
; Occupancy: 8
; WaveLimiterHint : 0
; COMPUTE_PGM_RSRC2:SCRATCH_EN: 0
; COMPUTE_PGM_RSRC2:USER_SGPR: 6
; COMPUTE_PGM_RSRC2:TRAP_HANDLER: 0
; COMPUTE_PGM_RSRC2:TGID_X_EN: 1
; COMPUTE_PGM_RSRC2:TGID_Y_EN: 0
; COMPUTE_PGM_RSRC2:TGID_Z_EN: 0
; COMPUTE_PGM_RSRC2:TIDIG_COMP_CNT: 0
; COMPUTE_PGM_RSRC3_GFX90A:ACCUM_OFFSET: 0
; COMPUTE_PGM_RSRC3_GFX90A:TG_SPLIT: 0
	.section	.text._ZN7rocprim17ROCPRIM_400000_NS6detail17trampoline_kernelINS0_14default_configENS1_25partition_config_selectorILNS1_17partition_subalgoE3EyNS0_10empty_typeEbEEZZNS1_14partition_implILS5_3ELb0ES3_jN6thrust23THRUST_200600_302600_NS6detail15normal_iteratorINSA_7pointerIyNSA_11hip_rocprim3tagENSA_11use_defaultESG_EEEEPS6_SJ_NS0_5tupleIJPySJ_EEENSK_IJSJ_SJ_EEES6_PlJ7is_evenIyEEEE10hipError_tPvRmT3_T4_T5_T6_T7_T9_mT8_P12ihipStream_tbDpT10_ENKUlT_T0_E_clISt17integral_constantIbLb1EES19_IbLb0EEEEDaS15_S16_EUlS15_E_NS1_11comp_targetILNS1_3genE2ELNS1_11target_archE906ELNS1_3gpuE6ELNS1_3repE0EEENS1_30default_config_static_selectorELNS0_4arch9wavefront6targetE1EEEvT1_,"axG",@progbits,_ZN7rocprim17ROCPRIM_400000_NS6detail17trampoline_kernelINS0_14default_configENS1_25partition_config_selectorILNS1_17partition_subalgoE3EyNS0_10empty_typeEbEEZZNS1_14partition_implILS5_3ELb0ES3_jN6thrust23THRUST_200600_302600_NS6detail15normal_iteratorINSA_7pointerIyNSA_11hip_rocprim3tagENSA_11use_defaultESG_EEEEPS6_SJ_NS0_5tupleIJPySJ_EEENSK_IJSJ_SJ_EEES6_PlJ7is_evenIyEEEE10hipError_tPvRmT3_T4_T5_T6_T7_T9_mT8_P12ihipStream_tbDpT10_ENKUlT_T0_E_clISt17integral_constantIbLb1EES19_IbLb0EEEEDaS15_S16_EUlS15_E_NS1_11comp_targetILNS1_3genE2ELNS1_11target_archE906ELNS1_3gpuE6ELNS1_3repE0EEENS1_30default_config_static_selectorELNS0_4arch9wavefront6targetE1EEEvT1_,comdat
	.protected	_ZN7rocprim17ROCPRIM_400000_NS6detail17trampoline_kernelINS0_14default_configENS1_25partition_config_selectorILNS1_17partition_subalgoE3EyNS0_10empty_typeEbEEZZNS1_14partition_implILS5_3ELb0ES3_jN6thrust23THRUST_200600_302600_NS6detail15normal_iteratorINSA_7pointerIyNSA_11hip_rocprim3tagENSA_11use_defaultESG_EEEEPS6_SJ_NS0_5tupleIJPySJ_EEENSK_IJSJ_SJ_EEES6_PlJ7is_evenIyEEEE10hipError_tPvRmT3_T4_T5_T6_T7_T9_mT8_P12ihipStream_tbDpT10_ENKUlT_T0_E_clISt17integral_constantIbLb1EES19_IbLb0EEEEDaS15_S16_EUlS15_E_NS1_11comp_targetILNS1_3genE2ELNS1_11target_archE906ELNS1_3gpuE6ELNS1_3repE0EEENS1_30default_config_static_selectorELNS0_4arch9wavefront6targetE1EEEvT1_ ; -- Begin function _ZN7rocprim17ROCPRIM_400000_NS6detail17trampoline_kernelINS0_14default_configENS1_25partition_config_selectorILNS1_17partition_subalgoE3EyNS0_10empty_typeEbEEZZNS1_14partition_implILS5_3ELb0ES3_jN6thrust23THRUST_200600_302600_NS6detail15normal_iteratorINSA_7pointerIyNSA_11hip_rocprim3tagENSA_11use_defaultESG_EEEEPS6_SJ_NS0_5tupleIJPySJ_EEENSK_IJSJ_SJ_EEES6_PlJ7is_evenIyEEEE10hipError_tPvRmT3_T4_T5_T6_T7_T9_mT8_P12ihipStream_tbDpT10_ENKUlT_T0_E_clISt17integral_constantIbLb1EES19_IbLb0EEEEDaS15_S16_EUlS15_E_NS1_11comp_targetILNS1_3genE2ELNS1_11target_archE906ELNS1_3gpuE6ELNS1_3repE0EEENS1_30default_config_static_selectorELNS0_4arch9wavefront6targetE1EEEvT1_
	.globl	_ZN7rocprim17ROCPRIM_400000_NS6detail17trampoline_kernelINS0_14default_configENS1_25partition_config_selectorILNS1_17partition_subalgoE3EyNS0_10empty_typeEbEEZZNS1_14partition_implILS5_3ELb0ES3_jN6thrust23THRUST_200600_302600_NS6detail15normal_iteratorINSA_7pointerIyNSA_11hip_rocprim3tagENSA_11use_defaultESG_EEEEPS6_SJ_NS0_5tupleIJPySJ_EEENSK_IJSJ_SJ_EEES6_PlJ7is_evenIyEEEE10hipError_tPvRmT3_T4_T5_T6_T7_T9_mT8_P12ihipStream_tbDpT10_ENKUlT_T0_E_clISt17integral_constantIbLb1EES19_IbLb0EEEEDaS15_S16_EUlS15_E_NS1_11comp_targetILNS1_3genE2ELNS1_11target_archE906ELNS1_3gpuE6ELNS1_3repE0EEENS1_30default_config_static_selectorELNS0_4arch9wavefront6targetE1EEEvT1_
	.p2align	8
	.type	_ZN7rocprim17ROCPRIM_400000_NS6detail17trampoline_kernelINS0_14default_configENS1_25partition_config_selectorILNS1_17partition_subalgoE3EyNS0_10empty_typeEbEEZZNS1_14partition_implILS5_3ELb0ES3_jN6thrust23THRUST_200600_302600_NS6detail15normal_iteratorINSA_7pointerIyNSA_11hip_rocprim3tagENSA_11use_defaultESG_EEEEPS6_SJ_NS0_5tupleIJPySJ_EEENSK_IJSJ_SJ_EEES6_PlJ7is_evenIyEEEE10hipError_tPvRmT3_T4_T5_T6_T7_T9_mT8_P12ihipStream_tbDpT10_ENKUlT_T0_E_clISt17integral_constantIbLb1EES19_IbLb0EEEEDaS15_S16_EUlS15_E_NS1_11comp_targetILNS1_3genE2ELNS1_11target_archE906ELNS1_3gpuE6ELNS1_3repE0EEENS1_30default_config_static_selectorELNS0_4arch9wavefront6targetE1EEEvT1_,@function
_ZN7rocprim17ROCPRIM_400000_NS6detail17trampoline_kernelINS0_14default_configENS1_25partition_config_selectorILNS1_17partition_subalgoE3EyNS0_10empty_typeEbEEZZNS1_14partition_implILS5_3ELb0ES3_jN6thrust23THRUST_200600_302600_NS6detail15normal_iteratorINSA_7pointerIyNSA_11hip_rocprim3tagENSA_11use_defaultESG_EEEEPS6_SJ_NS0_5tupleIJPySJ_EEENSK_IJSJ_SJ_EEES6_PlJ7is_evenIyEEEE10hipError_tPvRmT3_T4_T5_T6_T7_T9_mT8_P12ihipStream_tbDpT10_ENKUlT_T0_E_clISt17integral_constantIbLb1EES19_IbLb0EEEEDaS15_S16_EUlS15_E_NS1_11comp_targetILNS1_3genE2ELNS1_11target_archE906ELNS1_3gpuE6ELNS1_3repE0EEENS1_30default_config_static_selectorELNS0_4arch9wavefront6targetE1EEEvT1_: ; @_ZN7rocprim17ROCPRIM_400000_NS6detail17trampoline_kernelINS0_14default_configENS1_25partition_config_selectorILNS1_17partition_subalgoE3EyNS0_10empty_typeEbEEZZNS1_14partition_implILS5_3ELb0ES3_jN6thrust23THRUST_200600_302600_NS6detail15normal_iteratorINSA_7pointerIyNSA_11hip_rocprim3tagENSA_11use_defaultESG_EEEEPS6_SJ_NS0_5tupleIJPySJ_EEENSK_IJSJ_SJ_EEES6_PlJ7is_evenIyEEEE10hipError_tPvRmT3_T4_T5_T6_T7_T9_mT8_P12ihipStream_tbDpT10_ENKUlT_T0_E_clISt17integral_constantIbLb1EES19_IbLb0EEEEDaS15_S16_EUlS15_E_NS1_11comp_targetILNS1_3genE2ELNS1_11target_archE906ELNS1_3gpuE6ELNS1_3repE0EEENS1_30default_config_static_selectorELNS0_4arch9wavefront6targetE1EEEvT1_
; %bb.0:
	.section	.rodata,"a",@progbits
	.p2align	6, 0x0
	.amdhsa_kernel _ZN7rocprim17ROCPRIM_400000_NS6detail17trampoline_kernelINS0_14default_configENS1_25partition_config_selectorILNS1_17partition_subalgoE3EyNS0_10empty_typeEbEEZZNS1_14partition_implILS5_3ELb0ES3_jN6thrust23THRUST_200600_302600_NS6detail15normal_iteratorINSA_7pointerIyNSA_11hip_rocprim3tagENSA_11use_defaultESG_EEEEPS6_SJ_NS0_5tupleIJPySJ_EEENSK_IJSJ_SJ_EEES6_PlJ7is_evenIyEEEE10hipError_tPvRmT3_T4_T5_T6_T7_T9_mT8_P12ihipStream_tbDpT10_ENKUlT_T0_E_clISt17integral_constantIbLb1EES19_IbLb0EEEEDaS15_S16_EUlS15_E_NS1_11comp_targetILNS1_3genE2ELNS1_11target_archE906ELNS1_3gpuE6ELNS1_3repE0EEENS1_30default_config_static_selectorELNS0_4arch9wavefront6targetE1EEEvT1_
		.amdhsa_group_segment_fixed_size 0
		.amdhsa_private_segment_fixed_size 0
		.amdhsa_kernarg_size 120
		.amdhsa_user_sgpr_count 6
		.amdhsa_user_sgpr_private_segment_buffer 1
		.amdhsa_user_sgpr_dispatch_ptr 0
		.amdhsa_user_sgpr_queue_ptr 0
		.amdhsa_user_sgpr_kernarg_segment_ptr 1
		.amdhsa_user_sgpr_dispatch_id 0
		.amdhsa_user_sgpr_flat_scratch_init 0
		.amdhsa_user_sgpr_kernarg_preload_length 0
		.amdhsa_user_sgpr_kernarg_preload_offset 0
		.amdhsa_user_sgpr_private_segment_size 0
		.amdhsa_uses_dynamic_stack 0
		.amdhsa_system_sgpr_private_segment_wavefront_offset 0
		.amdhsa_system_sgpr_workgroup_id_x 1
		.amdhsa_system_sgpr_workgroup_id_y 0
		.amdhsa_system_sgpr_workgroup_id_z 0
		.amdhsa_system_sgpr_workgroup_info 0
		.amdhsa_system_vgpr_workitem_id 0
		.amdhsa_next_free_vgpr 1
		.amdhsa_next_free_sgpr 0
		.amdhsa_accum_offset 4
		.amdhsa_reserve_vcc 0
		.amdhsa_reserve_flat_scratch 0
		.amdhsa_float_round_mode_32 0
		.amdhsa_float_round_mode_16_64 0
		.amdhsa_float_denorm_mode_32 3
		.amdhsa_float_denorm_mode_16_64 3
		.amdhsa_dx10_clamp 1
		.amdhsa_ieee_mode 1
		.amdhsa_fp16_overflow 0
		.amdhsa_tg_split 0
		.amdhsa_exception_fp_ieee_invalid_op 0
		.amdhsa_exception_fp_denorm_src 0
		.amdhsa_exception_fp_ieee_div_zero 0
		.amdhsa_exception_fp_ieee_overflow 0
		.amdhsa_exception_fp_ieee_underflow 0
		.amdhsa_exception_fp_ieee_inexact 0
		.amdhsa_exception_int_div_zero 0
	.end_amdhsa_kernel
	.section	.text._ZN7rocprim17ROCPRIM_400000_NS6detail17trampoline_kernelINS0_14default_configENS1_25partition_config_selectorILNS1_17partition_subalgoE3EyNS0_10empty_typeEbEEZZNS1_14partition_implILS5_3ELb0ES3_jN6thrust23THRUST_200600_302600_NS6detail15normal_iteratorINSA_7pointerIyNSA_11hip_rocprim3tagENSA_11use_defaultESG_EEEEPS6_SJ_NS0_5tupleIJPySJ_EEENSK_IJSJ_SJ_EEES6_PlJ7is_evenIyEEEE10hipError_tPvRmT3_T4_T5_T6_T7_T9_mT8_P12ihipStream_tbDpT10_ENKUlT_T0_E_clISt17integral_constantIbLb1EES19_IbLb0EEEEDaS15_S16_EUlS15_E_NS1_11comp_targetILNS1_3genE2ELNS1_11target_archE906ELNS1_3gpuE6ELNS1_3repE0EEENS1_30default_config_static_selectorELNS0_4arch9wavefront6targetE1EEEvT1_,"axG",@progbits,_ZN7rocprim17ROCPRIM_400000_NS6detail17trampoline_kernelINS0_14default_configENS1_25partition_config_selectorILNS1_17partition_subalgoE3EyNS0_10empty_typeEbEEZZNS1_14partition_implILS5_3ELb0ES3_jN6thrust23THRUST_200600_302600_NS6detail15normal_iteratorINSA_7pointerIyNSA_11hip_rocprim3tagENSA_11use_defaultESG_EEEEPS6_SJ_NS0_5tupleIJPySJ_EEENSK_IJSJ_SJ_EEES6_PlJ7is_evenIyEEEE10hipError_tPvRmT3_T4_T5_T6_T7_T9_mT8_P12ihipStream_tbDpT10_ENKUlT_T0_E_clISt17integral_constantIbLb1EES19_IbLb0EEEEDaS15_S16_EUlS15_E_NS1_11comp_targetILNS1_3genE2ELNS1_11target_archE906ELNS1_3gpuE6ELNS1_3repE0EEENS1_30default_config_static_selectorELNS0_4arch9wavefront6targetE1EEEvT1_,comdat
.Lfunc_end694:
	.size	_ZN7rocprim17ROCPRIM_400000_NS6detail17trampoline_kernelINS0_14default_configENS1_25partition_config_selectorILNS1_17partition_subalgoE3EyNS0_10empty_typeEbEEZZNS1_14partition_implILS5_3ELb0ES3_jN6thrust23THRUST_200600_302600_NS6detail15normal_iteratorINSA_7pointerIyNSA_11hip_rocprim3tagENSA_11use_defaultESG_EEEEPS6_SJ_NS0_5tupleIJPySJ_EEENSK_IJSJ_SJ_EEES6_PlJ7is_evenIyEEEE10hipError_tPvRmT3_T4_T5_T6_T7_T9_mT8_P12ihipStream_tbDpT10_ENKUlT_T0_E_clISt17integral_constantIbLb1EES19_IbLb0EEEEDaS15_S16_EUlS15_E_NS1_11comp_targetILNS1_3genE2ELNS1_11target_archE906ELNS1_3gpuE6ELNS1_3repE0EEENS1_30default_config_static_selectorELNS0_4arch9wavefront6targetE1EEEvT1_, .Lfunc_end694-_ZN7rocprim17ROCPRIM_400000_NS6detail17trampoline_kernelINS0_14default_configENS1_25partition_config_selectorILNS1_17partition_subalgoE3EyNS0_10empty_typeEbEEZZNS1_14partition_implILS5_3ELb0ES3_jN6thrust23THRUST_200600_302600_NS6detail15normal_iteratorINSA_7pointerIyNSA_11hip_rocprim3tagENSA_11use_defaultESG_EEEEPS6_SJ_NS0_5tupleIJPySJ_EEENSK_IJSJ_SJ_EEES6_PlJ7is_evenIyEEEE10hipError_tPvRmT3_T4_T5_T6_T7_T9_mT8_P12ihipStream_tbDpT10_ENKUlT_T0_E_clISt17integral_constantIbLb1EES19_IbLb0EEEEDaS15_S16_EUlS15_E_NS1_11comp_targetILNS1_3genE2ELNS1_11target_archE906ELNS1_3gpuE6ELNS1_3repE0EEENS1_30default_config_static_selectorELNS0_4arch9wavefront6targetE1EEEvT1_
                                        ; -- End function
	.section	.AMDGPU.csdata,"",@progbits
; Kernel info:
; codeLenInByte = 0
; NumSgprs: 4
; NumVgprs: 0
; NumAgprs: 0
; TotalNumVgprs: 0
; ScratchSize: 0
; MemoryBound: 0
; FloatMode: 240
; IeeeMode: 1
; LDSByteSize: 0 bytes/workgroup (compile time only)
; SGPRBlocks: 0
; VGPRBlocks: 0
; NumSGPRsForWavesPerEU: 4
; NumVGPRsForWavesPerEU: 1
; AccumOffset: 4
; Occupancy: 8
; WaveLimiterHint : 0
; COMPUTE_PGM_RSRC2:SCRATCH_EN: 0
; COMPUTE_PGM_RSRC2:USER_SGPR: 6
; COMPUTE_PGM_RSRC2:TRAP_HANDLER: 0
; COMPUTE_PGM_RSRC2:TGID_X_EN: 1
; COMPUTE_PGM_RSRC2:TGID_Y_EN: 0
; COMPUTE_PGM_RSRC2:TGID_Z_EN: 0
; COMPUTE_PGM_RSRC2:TIDIG_COMP_CNT: 0
; COMPUTE_PGM_RSRC3_GFX90A:ACCUM_OFFSET: 0
; COMPUTE_PGM_RSRC3_GFX90A:TG_SPLIT: 0
	.section	.text._ZN7rocprim17ROCPRIM_400000_NS6detail17trampoline_kernelINS0_14default_configENS1_25partition_config_selectorILNS1_17partition_subalgoE3EyNS0_10empty_typeEbEEZZNS1_14partition_implILS5_3ELb0ES3_jN6thrust23THRUST_200600_302600_NS6detail15normal_iteratorINSA_7pointerIyNSA_11hip_rocprim3tagENSA_11use_defaultESG_EEEEPS6_SJ_NS0_5tupleIJPySJ_EEENSK_IJSJ_SJ_EEES6_PlJ7is_evenIyEEEE10hipError_tPvRmT3_T4_T5_T6_T7_T9_mT8_P12ihipStream_tbDpT10_ENKUlT_T0_E_clISt17integral_constantIbLb1EES19_IbLb0EEEEDaS15_S16_EUlS15_E_NS1_11comp_targetILNS1_3genE10ELNS1_11target_archE1200ELNS1_3gpuE4ELNS1_3repE0EEENS1_30default_config_static_selectorELNS0_4arch9wavefront6targetE1EEEvT1_,"axG",@progbits,_ZN7rocprim17ROCPRIM_400000_NS6detail17trampoline_kernelINS0_14default_configENS1_25partition_config_selectorILNS1_17partition_subalgoE3EyNS0_10empty_typeEbEEZZNS1_14partition_implILS5_3ELb0ES3_jN6thrust23THRUST_200600_302600_NS6detail15normal_iteratorINSA_7pointerIyNSA_11hip_rocprim3tagENSA_11use_defaultESG_EEEEPS6_SJ_NS0_5tupleIJPySJ_EEENSK_IJSJ_SJ_EEES6_PlJ7is_evenIyEEEE10hipError_tPvRmT3_T4_T5_T6_T7_T9_mT8_P12ihipStream_tbDpT10_ENKUlT_T0_E_clISt17integral_constantIbLb1EES19_IbLb0EEEEDaS15_S16_EUlS15_E_NS1_11comp_targetILNS1_3genE10ELNS1_11target_archE1200ELNS1_3gpuE4ELNS1_3repE0EEENS1_30default_config_static_selectorELNS0_4arch9wavefront6targetE1EEEvT1_,comdat
	.protected	_ZN7rocprim17ROCPRIM_400000_NS6detail17trampoline_kernelINS0_14default_configENS1_25partition_config_selectorILNS1_17partition_subalgoE3EyNS0_10empty_typeEbEEZZNS1_14partition_implILS5_3ELb0ES3_jN6thrust23THRUST_200600_302600_NS6detail15normal_iteratorINSA_7pointerIyNSA_11hip_rocprim3tagENSA_11use_defaultESG_EEEEPS6_SJ_NS0_5tupleIJPySJ_EEENSK_IJSJ_SJ_EEES6_PlJ7is_evenIyEEEE10hipError_tPvRmT3_T4_T5_T6_T7_T9_mT8_P12ihipStream_tbDpT10_ENKUlT_T0_E_clISt17integral_constantIbLb1EES19_IbLb0EEEEDaS15_S16_EUlS15_E_NS1_11comp_targetILNS1_3genE10ELNS1_11target_archE1200ELNS1_3gpuE4ELNS1_3repE0EEENS1_30default_config_static_selectorELNS0_4arch9wavefront6targetE1EEEvT1_ ; -- Begin function _ZN7rocprim17ROCPRIM_400000_NS6detail17trampoline_kernelINS0_14default_configENS1_25partition_config_selectorILNS1_17partition_subalgoE3EyNS0_10empty_typeEbEEZZNS1_14partition_implILS5_3ELb0ES3_jN6thrust23THRUST_200600_302600_NS6detail15normal_iteratorINSA_7pointerIyNSA_11hip_rocprim3tagENSA_11use_defaultESG_EEEEPS6_SJ_NS0_5tupleIJPySJ_EEENSK_IJSJ_SJ_EEES6_PlJ7is_evenIyEEEE10hipError_tPvRmT3_T4_T5_T6_T7_T9_mT8_P12ihipStream_tbDpT10_ENKUlT_T0_E_clISt17integral_constantIbLb1EES19_IbLb0EEEEDaS15_S16_EUlS15_E_NS1_11comp_targetILNS1_3genE10ELNS1_11target_archE1200ELNS1_3gpuE4ELNS1_3repE0EEENS1_30default_config_static_selectorELNS0_4arch9wavefront6targetE1EEEvT1_
	.globl	_ZN7rocprim17ROCPRIM_400000_NS6detail17trampoline_kernelINS0_14default_configENS1_25partition_config_selectorILNS1_17partition_subalgoE3EyNS0_10empty_typeEbEEZZNS1_14partition_implILS5_3ELb0ES3_jN6thrust23THRUST_200600_302600_NS6detail15normal_iteratorINSA_7pointerIyNSA_11hip_rocprim3tagENSA_11use_defaultESG_EEEEPS6_SJ_NS0_5tupleIJPySJ_EEENSK_IJSJ_SJ_EEES6_PlJ7is_evenIyEEEE10hipError_tPvRmT3_T4_T5_T6_T7_T9_mT8_P12ihipStream_tbDpT10_ENKUlT_T0_E_clISt17integral_constantIbLb1EES19_IbLb0EEEEDaS15_S16_EUlS15_E_NS1_11comp_targetILNS1_3genE10ELNS1_11target_archE1200ELNS1_3gpuE4ELNS1_3repE0EEENS1_30default_config_static_selectorELNS0_4arch9wavefront6targetE1EEEvT1_
	.p2align	8
	.type	_ZN7rocprim17ROCPRIM_400000_NS6detail17trampoline_kernelINS0_14default_configENS1_25partition_config_selectorILNS1_17partition_subalgoE3EyNS0_10empty_typeEbEEZZNS1_14partition_implILS5_3ELb0ES3_jN6thrust23THRUST_200600_302600_NS6detail15normal_iteratorINSA_7pointerIyNSA_11hip_rocprim3tagENSA_11use_defaultESG_EEEEPS6_SJ_NS0_5tupleIJPySJ_EEENSK_IJSJ_SJ_EEES6_PlJ7is_evenIyEEEE10hipError_tPvRmT3_T4_T5_T6_T7_T9_mT8_P12ihipStream_tbDpT10_ENKUlT_T0_E_clISt17integral_constantIbLb1EES19_IbLb0EEEEDaS15_S16_EUlS15_E_NS1_11comp_targetILNS1_3genE10ELNS1_11target_archE1200ELNS1_3gpuE4ELNS1_3repE0EEENS1_30default_config_static_selectorELNS0_4arch9wavefront6targetE1EEEvT1_,@function
_ZN7rocprim17ROCPRIM_400000_NS6detail17trampoline_kernelINS0_14default_configENS1_25partition_config_selectorILNS1_17partition_subalgoE3EyNS0_10empty_typeEbEEZZNS1_14partition_implILS5_3ELb0ES3_jN6thrust23THRUST_200600_302600_NS6detail15normal_iteratorINSA_7pointerIyNSA_11hip_rocprim3tagENSA_11use_defaultESG_EEEEPS6_SJ_NS0_5tupleIJPySJ_EEENSK_IJSJ_SJ_EEES6_PlJ7is_evenIyEEEE10hipError_tPvRmT3_T4_T5_T6_T7_T9_mT8_P12ihipStream_tbDpT10_ENKUlT_T0_E_clISt17integral_constantIbLb1EES19_IbLb0EEEEDaS15_S16_EUlS15_E_NS1_11comp_targetILNS1_3genE10ELNS1_11target_archE1200ELNS1_3gpuE4ELNS1_3repE0EEENS1_30default_config_static_selectorELNS0_4arch9wavefront6targetE1EEEvT1_: ; @_ZN7rocprim17ROCPRIM_400000_NS6detail17trampoline_kernelINS0_14default_configENS1_25partition_config_selectorILNS1_17partition_subalgoE3EyNS0_10empty_typeEbEEZZNS1_14partition_implILS5_3ELb0ES3_jN6thrust23THRUST_200600_302600_NS6detail15normal_iteratorINSA_7pointerIyNSA_11hip_rocprim3tagENSA_11use_defaultESG_EEEEPS6_SJ_NS0_5tupleIJPySJ_EEENSK_IJSJ_SJ_EEES6_PlJ7is_evenIyEEEE10hipError_tPvRmT3_T4_T5_T6_T7_T9_mT8_P12ihipStream_tbDpT10_ENKUlT_T0_E_clISt17integral_constantIbLb1EES19_IbLb0EEEEDaS15_S16_EUlS15_E_NS1_11comp_targetILNS1_3genE10ELNS1_11target_archE1200ELNS1_3gpuE4ELNS1_3repE0EEENS1_30default_config_static_selectorELNS0_4arch9wavefront6targetE1EEEvT1_
; %bb.0:
	.section	.rodata,"a",@progbits
	.p2align	6, 0x0
	.amdhsa_kernel _ZN7rocprim17ROCPRIM_400000_NS6detail17trampoline_kernelINS0_14default_configENS1_25partition_config_selectorILNS1_17partition_subalgoE3EyNS0_10empty_typeEbEEZZNS1_14partition_implILS5_3ELb0ES3_jN6thrust23THRUST_200600_302600_NS6detail15normal_iteratorINSA_7pointerIyNSA_11hip_rocprim3tagENSA_11use_defaultESG_EEEEPS6_SJ_NS0_5tupleIJPySJ_EEENSK_IJSJ_SJ_EEES6_PlJ7is_evenIyEEEE10hipError_tPvRmT3_T4_T5_T6_T7_T9_mT8_P12ihipStream_tbDpT10_ENKUlT_T0_E_clISt17integral_constantIbLb1EES19_IbLb0EEEEDaS15_S16_EUlS15_E_NS1_11comp_targetILNS1_3genE10ELNS1_11target_archE1200ELNS1_3gpuE4ELNS1_3repE0EEENS1_30default_config_static_selectorELNS0_4arch9wavefront6targetE1EEEvT1_
		.amdhsa_group_segment_fixed_size 0
		.amdhsa_private_segment_fixed_size 0
		.amdhsa_kernarg_size 120
		.amdhsa_user_sgpr_count 6
		.amdhsa_user_sgpr_private_segment_buffer 1
		.amdhsa_user_sgpr_dispatch_ptr 0
		.amdhsa_user_sgpr_queue_ptr 0
		.amdhsa_user_sgpr_kernarg_segment_ptr 1
		.amdhsa_user_sgpr_dispatch_id 0
		.amdhsa_user_sgpr_flat_scratch_init 0
		.amdhsa_user_sgpr_kernarg_preload_length 0
		.amdhsa_user_sgpr_kernarg_preload_offset 0
		.amdhsa_user_sgpr_private_segment_size 0
		.amdhsa_uses_dynamic_stack 0
		.amdhsa_system_sgpr_private_segment_wavefront_offset 0
		.amdhsa_system_sgpr_workgroup_id_x 1
		.amdhsa_system_sgpr_workgroup_id_y 0
		.amdhsa_system_sgpr_workgroup_id_z 0
		.amdhsa_system_sgpr_workgroup_info 0
		.amdhsa_system_vgpr_workitem_id 0
		.amdhsa_next_free_vgpr 1
		.amdhsa_next_free_sgpr 0
		.amdhsa_accum_offset 4
		.amdhsa_reserve_vcc 0
		.amdhsa_reserve_flat_scratch 0
		.amdhsa_float_round_mode_32 0
		.amdhsa_float_round_mode_16_64 0
		.amdhsa_float_denorm_mode_32 3
		.amdhsa_float_denorm_mode_16_64 3
		.amdhsa_dx10_clamp 1
		.amdhsa_ieee_mode 1
		.amdhsa_fp16_overflow 0
		.amdhsa_tg_split 0
		.amdhsa_exception_fp_ieee_invalid_op 0
		.amdhsa_exception_fp_denorm_src 0
		.amdhsa_exception_fp_ieee_div_zero 0
		.amdhsa_exception_fp_ieee_overflow 0
		.amdhsa_exception_fp_ieee_underflow 0
		.amdhsa_exception_fp_ieee_inexact 0
		.amdhsa_exception_int_div_zero 0
	.end_amdhsa_kernel
	.section	.text._ZN7rocprim17ROCPRIM_400000_NS6detail17trampoline_kernelINS0_14default_configENS1_25partition_config_selectorILNS1_17partition_subalgoE3EyNS0_10empty_typeEbEEZZNS1_14partition_implILS5_3ELb0ES3_jN6thrust23THRUST_200600_302600_NS6detail15normal_iteratorINSA_7pointerIyNSA_11hip_rocprim3tagENSA_11use_defaultESG_EEEEPS6_SJ_NS0_5tupleIJPySJ_EEENSK_IJSJ_SJ_EEES6_PlJ7is_evenIyEEEE10hipError_tPvRmT3_T4_T5_T6_T7_T9_mT8_P12ihipStream_tbDpT10_ENKUlT_T0_E_clISt17integral_constantIbLb1EES19_IbLb0EEEEDaS15_S16_EUlS15_E_NS1_11comp_targetILNS1_3genE10ELNS1_11target_archE1200ELNS1_3gpuE4ELNS1_3repE0EEENS1_30default_config_static_selectorELNS0_4arch9wavefront6targetE1EEEvT1_,"axG",@progbits,_ZN7rocprim17ROCPRIM_400000_NS6detail17trampoline_kernelINS0_14default_configENS1_25partition_config_selectorILNS1_17partition_subalgoE3EyNS0_10empty_typeEbEEZZNS1_14partition_implILS5_3ELb0ES3_jN6thrust23THRUST_200600_302600_NS6detail15normal_iteratorINSA_7pointerIyNSA_11hip_rocprim3tagENSA_11use_defaultESG_EEEEPS6_SJ_NS0_5tupleIJPySJ_EEENSK_IJSJ_SJ_EEES6_PlJ7is_evenIyEEEE10hipError_tPvRmT3_T4_T5_T6_T7_T9_mT8_P12ihipStream_tbDpT10_ENKUlT_T0_E_clISt17integral_constantIbLb1EES19_IbLb0EEEEDaS15_S16_EUlS15_E_NS1_11comp_targetILNS1_3genE10ELNS1_11target_archE1200ELNS1_3gpuE4ELNS1_3repE0EEENS1_30default_config_static_selectorELNS0_4arch9wavefront6targetE1EEEvT1_,comdat
.Lfunc_end695:
	.size	_ZN7rocprim17ROCPRIM_400000_NS6detail17trampoline_kernelINS0_14default_configENS1_25partition_config_selectorILNS1_17partition_subalgoE3EyNS0_10empty_typeEbEEZZNS1_14partition_implILS5_3ELb0ES3_jN6thrust23THRUST_200600_302600_NS6detail15normal_iteratorINSA_7pointerIyNSA_11hip_rocprim3tagENSA_11use_defaultESG_EEEEPS6_SJ_NS0_5tupleIJPySJ_EEENSK_IJSJ_SJ_EEES6_PlJ7is_evenIyEEEE10hipError_tPvRmT3_T4_T5_T6_T7_T9_mT8_P12ihipStream_tbDpT10_ENKUlT_T0_E_clISt17integral_constantIbLb1EES19_IbLb0EEEEDaS15_S16_EUlS15_E_NS1_11comp_targetILNS1_3genE10ELNS1_11target_archE1200ELNS1_3gpuE4ELNS1_3repE0EEENS1_30default_config_static_selectorELNS0_4arch9wavefront6targetE1EEEvT1_, .Lfunc_end695-_ZN7rocprim17ROCPRIM_400000_NS6detail17trampoline_kernelINS0_14default_configENS1_25partition_config_selectorILNS1_17partition_subalgoE3EyNS0_10empty_typeEbEEZZNS1_14partition_implILS5_3ELb0ES3_jN6thrust23THRUST_200600_302600_NS6detail15normal_iteratorINSA_7pointerIyNSA_11hip_rocprim3tagENSA_11use_defaultESG_EEEEPS6_SJ_NS0_5tupleIJPySJ_EEENSK_IJSJ_SJ_EEES6_PlJ7is_evenIyEEEE10hipError_tPvRmT3_T4_T5_T6_T7_T9_mT8_P12ihipStream_tbDpT10_ENKUlT_T0_E_clISt17integral_constantIbLb1EES19_IbLb0EEEEDaS15_S16_EUlS15_E_NS1_11comp_targetILNS1_3genE10ELNS1_11target_archE1200ELNS1_3gpuE4ELNS1_3repE0EEENS1_30default_config_static_selectorELNS0_4arch9wavefront6targetE1EEEvT1_
                                        ; -- End function
	.section	.AMDGPU.csdata,"",@progbits
; Kernel info:
; codeLenInByte = 0
; NumSgprs: 4
; NumVgprs: 0
; NumAgprs: 0
; TotalNumVgprs: 0
; ScratchSize: 0
; MemoryBound: 0
; FloatMode: 240
; IeeeMode: 1
; LDSByteSize: 0 bytes/workgroup (compile time only)
; SGPRBlocks: 0
; VGPRBlocks: 0
; NumSGPRsForWavesPerEU: 4
; NumVGPRsForWavesPerEU: 1
; AccumOffset: 4
; Occupancy: 8
; WaveLimiterHint : 0
; COMPUTE_PGM_RSRC2:SCRATCH_EN: 0
; COMPUTE_PGM_RSRC2:USER_SGPR: 6
; COMPUTE_PGM_RSRC2:TRAP_HANDLER: 0
; COMPUTE_PGM_RSRC2:TGID_X_EN: 1
; COMPUTE_PGM_RSRC2:TGID_Y_EN: 0
; COMPUTE_PGM_RSRC2:TGID_Z_EN: 0
; COMPUTE_PGM_RSRC2:TIDIG_COMP_CNT: 0
; COMPUTE_PGM_RSRC3_GFX90A:ACCUM_OFFSET: 0
; COMPUTE_PGM_RSRC3_GFX90A:TG_SPLIT: 0
	.section	.text._ZN7rocprim17ROCPRIM_400000_NS6detail17trampoline_kernelINS0_14default_configENS1_25partition_config_selectorILNS1_17partition_subalgoE3EyNS0_10empty_typeEbEEZZNS1_14partition_implILS5_3ELb0ES3_jN6thrust23THRUST_200600_302600_NS6detail15normal_iteratorINSA_7pointerIyNSA_11hip_rocprim3tagENSA_11use_defaultESG_EEEEPS6_SJ_NS0_5tupleIJPySJ_EEENSK_IJSJ_SJ_EEES6_PlJ7is_evenIyEEEE10hipError_tPvRmT3_T4_T5_T6_T7_T9_mT8_P12ihipStream_tbDpT10_ENKUlT_T0_E_clISt17integral_constantIbLb1EES19_IbLb0EEEEDaS15_S16_EUlS15_E_NS1_11comp_targetILNS1_3genE9ELNS1_11target_archE1100ELNS1_3gpuE3ELNS1_3repE0EEENS1_30default_config_static_selectorELNS0_4arch9wavefront6targetE1EEEvT1_,"axG",@progbits,_ZN7rocprim17ROCPRIM_400000_NS6detail17trampoline_kernelINS0_14default_configENS1_25partition_config_selectorILNS1_17partition_subalgoE3EyNS0_10empty_typeEbEEZZNS1_14partition_implILS5_3ELb0ES3_jN6thrust23THRUST_200600_302600_NS6detail15normal_iteratorINSA_7pointerIyNSA_11hip_rocprim3tagENSA_11use_defaultESG_EEEEPS6_SJ_NS0_5tupleIJPySJ_EEENSK_IJSJ_SJ_EEES6_PlJ7is_evenIyEEEE10hipError_tPvRmT3_T4_T5_T6_T7_T9_mT8_P12ihipStream_tbDpT10_ENKUlT_T0_E_clISt17integral_constantIbLb1EES19_IbLb0EEEEDaS15_S16_EUlS15_E_NS1_11comp_targetILNS1_3genE9ELNS1_11target_archE1100ELNS1_3gpuE3ELNS1_3repE0EEENS1_30default_config_static_selectorELNS0_4arch9wavefront6targetE1EEEvT1_,comdat
	.protected	_ZN7rocprim17ROCPRIM_400000_NS6detail17trampoline_kernelINS0_14default_configENS1_25partition_config_selectorILNS1_17partition_subalgoE3EyNS0_10empty_typeEbEEZZNS1_14partition_implILS5_3ELb0ES3_jN6thrust23THRUST_200600_302600_NS6detail15normal_iteratorINSA_7pointerIyNSA_11hip_rocprim3tagENSA_11use_defaultESG_EEEEPS6_SJ_NS0_5tupleIJPySJ_EEENSK_IJSJ_SJ_EEES6_PlJ7is_evenIyEEEE10hipError_tPvRmT3_T4_T5_T6_T7_T9_mT8_P12ihipStream_tbDpT10_ENKUlT_T0_E_clISt17integral_constantIbLb1EES19_IbLb0EEEEDaS15_S16_EUlS15_E_NS1_11comp_targetILNS1_3genE9ELNS1_11target_archE1100ELNS1_3gpuE3ELNS1_3repE0EEENS1_30default_config_static_selectorELNS0_4arch9wavefront6targetE1EEEvT1_ ; -- Begin function _ZN7rocprim17ROCPRIM_400000_NS6detail17trampoline_kernelINS0_14default_configENS1_25partition_config_selectorILNS1_17partition_subalgoE3EyNS0_10empty_typeEbEEZZNS1_14partition_implILS5_3ELb0ES3_jN6thrust23THRUST_200600_302600_NS6detail15normal_iteratorINSA_7pointerIyNSA_11hip_rocprim3tagENSA_11use_defaultESG_EEEEPS6_SJ_NS0_5tupleIJPySJ_EEENSK_IJSJ_SJ_EEES6_PlJ7is_evenIyEEEE10hipError_tPvRmT3_T4_T5_T6_T7_T9_mT8_P12ihipStream_tbDpT10_ENKUlT_T0_E_clISt17integral_constantIbLb1EES19_IbLb0EEEEDaS15_S16_EUlS15_E_NS1_11comp_targetILNS1_3genE9ELNS1_11target_archE1100ELNS1_3gpuE3ELNS1_3repE0EEENS1_30default_config_static_selectorELNS0_4arch9wavefront6targetE1EEEvT1_
	.globl	_ZN7rocprim17ROCPRIM_400000_NS6detail17trampoline_kernelINS0_14default_configENS1_25partition_config_selectorILNS1_17partition_subalgoE3EyNS0_10empty_typeEbEEZZNS1_14partition_implILS5_3ELb0ES3_jN6thrust23THRUST_200600_302600_NS6detail15normal_iteratorINSA_7pointerIyNSA_11hip_rocprim3tagENSA_11use_defaultESG_EEEEPS6_SJ_NS0_5tupleIJPySJ_EEENSK_IJSJ_SJ_EEES6_PlJ7is_evenIyEEEE10hipError_tPvRmT3_T4_T5_T6_T7_T9_mT8_P12ihipStream_tbDpT10_ENKUlT_T0_E_clISt17integral_constantIbLb1EES19_IbLb0EEEEDaS15_S16_EUlS15_E_NS1_11comp_targetILNS1_3genE9ELNS1_11target_archE1100ELNS1_3gpuE3ELNS1_3repE0EEENS1_30default_config_static_selectorELNS0_4arch9wavefront6targetE1EEEvT1_
	.p2align	8
	.type	_ZN7rocprim17ROCPRIM_400000_NS6detail17trampoline_kernelINS0_14default_configENS1_25partition_config_selectorILNS1_17partition_subalgoE3EyNS0_10empty_typeEbEEZZNS1_14partition_implILS5_3ELb0ES3_jN6thrust23THRUST_200600_302600_NS6detail15normal_iteratorINSA_7pointerIyNSA_11hip_rocprim3tagENSA_11use_defaultESG_EEEEPS6_SJ_NS0_5tupleIJPySJ_EEENSK_IJSJ_SJ_EEES6_PlJ7is_evenIyEEEE10hipError_tPvRmT3_T4_T5_T6_T7_T9_mT8_P12ihipStream_tbDpT10_ENKUlT_T0_E_clISt17integral_constantIbLb1EES19_IbLb0EEEEDaS15_S16_EUlS15_E_NS1_11comp_targetILNS1_3genE9ELNS1_11target_archE1100ELNS1_3gpuE3ELNS1_3repE0EEENS1_30default_config_static_selectorELNS0_4arch9wavefront6targetE1EEEvT1_,@function
_ZN7rocprim17ROCPRIM_400000_NS6detail17trampoline_kernelINS0_14default_configENS1_25partition_config_selectorILNS1_17partition_subalgoE3EyNS0_10empty_typeEbEEZZNS1_14partition_implILS5_3ELb0ES3_jN6thrust23THRUST_200600_302600_NS6detail15normal_iteratorINSA_7pointerIyNSA_11hip_rocprim3tagENSA_11use_defaultESG_EEEEPS6_SJ_NS0_5tupleIJPySJ_EEENSK_IJSJ_SJ_EEES6_PlJ7is_evenIyEEEE10hipError_tPvRmT3_T4_T5_T6_T7_T9_mT8_P12ihipStream_tbDpT10_ENKUlT_T0_E_clISt17integral_constantIbLb1EES19_IbLb0EEEEDaS15_S16_EUlS15_E_NS1_11comp_targetILNS1_3genE9ELNS1_11target_archE1100ELNS1_3gpuE3ELNS1_3repE0EEENS1_30default_config_static_selectorELNS0_4arch9wavefront6targetE1EEEvT1_: ; @_ZN7rocprim17ROCPRIM_400000_NS6detail17trampoline_kernelINS0_14default_configENS1_25partition_config_selectorILNS1_17partition_subalgoE3EyNS0_10empty_typeEbEEZZNS1_14partition_implILS5_3ELb0ES3_jN6thrust23THRUST_200600_302600_NS6detail15normal_iteratorINSA_7pointerIyNSA_11hip_rocprim3tagENSA_11use_defaultESG_EEEEPS6_SJ_NS0_5tupleIJPySJ_EEENSK_IJSJ_SJ_EEES6_PlJ7is_evenIyEEEE10hipError_tPvRmT3_T4_T5_T6_T7_T9_mT8_P12ihipStream_tbDpT10_ENKUlT_T0_E_clISt17integral_constantIbLb1EES19_IbLb0EEEEDaS15_S16_EUlS15_E_NS1_11comp_targetILNS1_3genE9ELNS1_11target_archE1100ELNS1_3gpuE3ELNS1_3repE0EEENS1_30default_config_static_selectorELNS0_4arch9wavefront6targetE1EEEvT1_
; %bb.0:
	.section	.rodata,"a",@progbits
	.p2align	6, 0x0
	.amdhsa_kernel _ZN7rocprim17ROCPRIM_400000_NS6detail17trampoline_kernelINS0_14default_configENS1_25partition_config_selectorILNS1_17partition_subalgoE3EyNS0_10empty_typeEbEEZZNS1_14partition_implILS5_3ELb0ES3_jN6thrust23THRUST_200600_302600_NS6detail15normal_iteratorINSA_7pointerIyNSA_11hip_rocprim3tagENSA_11use_defaultESG_EEEEPS6_SJ_NS0_5tupleIJPySJ_EEENSK_IJSJ_SJ_EEES6_PlJ7is_evenIyEEEE10hipError_tPvRmT3_T4_T5_T6_T7_T9_mT8_P12ihipStream_tbDpT10_ENKUlT_T0_E_clISt17integral_constantIbLb1EES19_IbLb0EEEEDaS15_S16_EUlS15_E_NS1_11comp_targetILNS1_3genE9ELNS1_11target_archE1100ELNS1_3gpuE3ELNS1_3repE0EEENS1_30default_config_static_selectorELNS0_4arch9wavefront6targetE1EEEvT1_
		.amdhsa_group_segment_fixed_size 0
		.amdhsa_private_segment_fixed_size 0
		.amdhsa_kernarg_size 120
		.amdhsa_user_sgpr_count 6
		.amdhsa_user_sgpr_private_segment_buffer 1
		.amdhsa_user_sgpr_dispatch_ptr 0
		.amdhsa_user_sgpr_queue_ptr 0
		.amdhsa_user_sgpr_kernarg_segment_ptr 1
		.amdhsa_user_sgpr_dispatch_id 0
		.amdhsa_user_sgpr_flat_scratch_init 0
		.amdhsa_user_sgpr_kernarg_preload_length 0
		.amdhsa_user_sgpr_kernarg_preload_offset 0
		.amdhsa_user_sgpr_private_segment_size 0
		.amdhsa_uses_dynamic_stack 0
		.amdhsa_system_sgpr_private_segment_wavefront_offset 0
		.amdhsa_system_sgpr_workgroup_id_x 1
		.amdhsa_system_sgpr_workgroup_id_y 0
		.amdhsa_system_sgpr_workgroup_id_z 0
		.amdhsa_system_sgpr_workgroup_info 0
		.amdhsa_system_vgpr_workitem_id 0
		.amdhsa_next_free_vgpr 1
		.amdhsa_next_free_sgpr 0
		.amdhsa_accum_offset 4
		.amdhsa_reserve_vcc 0
		.amdhsa_reserve_flat_scratch 0
		.amdhsa_float_round_mode_32 0
		.amdhsa_float_round_mode_16_64 0
		.amdhsa_float_denorm_mode_32 3
		.amdhsa_float_denorm_mode_16_64 3
		.amdhsa_dx10_clamp 1
		.amdhsa_ieee_mode 1
		.amdhsa_fp16_overflow 0
		.amdhsa_tg_split 0
		.amdhsa_exception_fp_ieee_invalid_op 0
		.amdhsa_exception_fp_denorm_src 0
		.amdhsa_exception_fp_ieee_div_zero 0
		.amdhsa_exception_fp_ieee_overflow 0
		.amdhsa_exception_fp_ieee_underflow 0
		.amdhsa_exception_fp_ieee_inexact 0
		.amdhsa_exception_int_div_zero 0
	.end_amdhsa_kernel
	.section	.text._ZN7rocprim17ROCPRIM_400000_NS6detail17trampoline_kernelINS0_14default_configENS1_25partition_config_selectorILNS1_17partition_subalgoE3EyNS0_10empty_typeEbEEZZNS1_14partition_implILS5_3ELb0ES3_jN6thrust23THRUST_200600_302600_NS6detail15normal_iteratorINSA_7pointerIyNSA_11hip_rocprim3tagENSA_11use_defaultESG_EEEEPS6_SJ_NS0_5tupleIJPySJ_EEENSK_IJSJ_SJ_EEES6_PlJ7is_evenIyEEEE10hipError_tPvRmT3_T4_T5_T6_T7_T9_mT8_P12ihipStream_tbDpT10_ENKUlT_T0_E_clISt17integral_constantIbLb1EES19_IbLb0EEEEDaS15_S16_EUlS15_E_NS1_11comp_targetILNS1_3genE9ELNS1_11target_archE1100ELNS1_3gpuE3ELNS1_3repE0EEENS1_30default_config_static_selectorELNS0_4arch9wavefront6targetE1EEEvT1_,"axG",@progbits,_ZN7rocprim17ROCPRIM_400000_NS6detail17trampoline_kernelINS0_14default_configENS1_25partition_config_selectorILNS1_17partition_subalgoE3EyNS0_10empty_typeEbEEZZNS1_14partition_implILS5_3ELb0ES3_jN6thrust23THRUST_200600_302600_NS6detail15normal_iteratorINSA_7pointerIyNSA_11hip_rocprim3tagENSA_11use_defaultESG_EEEEPS6_SJ_NS0_5tupleIJPySJ_EEENSK_IJSJ_SJ_EEES6_PlJ7is_evenIyEEEE10hipError_tPvRmT3_T4_T5_T6_T7_T9_mT8_P12ihipStream_tbDpT10_ENKUlT_T0_E_clISt17integral_constantIbLb1EES19_IbLb0EEEEDaS15_S16_EUlS15_E_NS1_11comp_targetILNS1_3genE9ELNS1_11target_archE1100ELNS1_3gpuE3ELNS1_3repE0EEENS1_30default_config_static_selectorELNS0_4arch9wavefront6targetE1EEEvT1_,comdat
.Lfunc_end696:
	.size	_ZN7rocprim17ROCPRIM_400000_NS6detail17trampoline_kernelINS0_14default_configENS1_25partition_config_selectorILNS1_17partition_subalgoE3EyNS0_10empty_typeEbEEZZNS1_14partition_implILS5_3ELb0ES3_jN6thrust23THRUST_200600_302600_NS6detail15normal_iteratorINSA_7pointerIyNSA_11hip_rocprim3tagENSA_11use_defaultESG_EEEEPS6_SJ_NS0_5tupleIJPySJ_EEENSK_IJSJ_SJ_EEES6_PlJ7is_evenIyEEEE10hipError_tPvRmT3_T4_T5_T6_T7_T9_mT8_P12ihipStream_tbDpT10_ENKUlT_T0_E_clISt17integral_constantIbLb1EES19_IbLb0EEEEDaS15_S16_EUlS15_E_NS1_11comp_targetILNS1_3genE9ELNS1_11target_archE1100ELNS1_3gpuE3ELNS1_3repE0EEENS1_30default_config_static_selectorELNS0_4arch9wavefront6targetE1EEEvT1_, .Lfunc_end696-_ZN7rocprim17ROCPRIM_400000_NS6detail17trampoline_kernelINS0_14default_configENS1_25partition_config_selectorILNS1_17partition_subalgoE3EyNS0_10empty_typeEbEEZZNS1_14partition_implILS5_3ELb0ES3_jN6thrust23THRUST_200600_302600_NS6detail15normal_iteratorINSA_7pointerIyNSA_11hip_rocprim3tagENSA_11use_defaultESG_EEEEPS6_SJ_NS0_5tupleIJPySJ_EEENSK_IJSJ_SJ_EEES6_PlJ7is_evenIyEEEE10hipError_tPvRmT3_T4_T5_T6_T7_T9_mT8_P12ihipStream_tbDpT10_ENKUlT_T0_E_clISt17integral_constantIbLb1EES19_IbLb0EEEEDaS15_S16_EUlS15_E_NS1_11comp_targetILNS1_3genE9ELNS1_11target_archE1100ELNS1_3gpuE3ELNS1_3repE0EEENS1_30default_config_static_selectorELNS0_4arch9wavefront6targetE1EEEvT1_
                                        ; -- End function
	.section	.AMDGPU.csdata,"",@progbits
; Kernel info:
; codeLenInByte = 0
; NumSgprs: 4
; NumVgprs: 0
; NumAgprs: 0
; TotalNumVgprs: 0
; ScratchSize: 0
; MemoryBound: 0
; FloatMode: 240
; IeeeMode: 1
; LDSByteSize: 0 bytes/workgroup (compile time only)
; SGPRBlocks: 0
; VGPRBlocks: 0
; NumSGPRsForWavesPerEU: 4
; NumVGPRsForWavesPerEU: 1
; AccumOffset: 4
; Occupancy: 8
; WaveLimiterHint : 0
; COMPUTE_PGM_RSRC2:SCRATCH_EN: 0
; COMPUTE_PGM_RSRC2:USER_SGPR: 6
; COMPUTE_PGM_RSRC2:TRAP_HANDLER: 0
; COMPUTE_PGM_RSRC2:TGID_X_EN: 1
; COMPUTE_PGM_RSRC2:TGID_Y_EN: 0
; COMPUTE_PGM_RSRC2:TGID_Z_EN: 0
; COMPUTE_PGM_RSRC2:TIDIG_COMP_CNT: 0
; COMPUTE_PGM_RSRC3_GFX90A:ACCUM_OFFSET: 0
; COMPUTE_PGM_RSRC3_GFX90A:TG_SPLIT: 0
	.section	.text._ZN7rocprim17ROCPRIM_400000_NS6detail17trampoline_kernelINS0_14default_configENS1_25partition_config_selectorILNS1_17partition_subalgoE3EyNS0_10empty_typeEbEEZZNS1_14partition_implILS5_3ELb0ES3_jN6thrust23THRUST_200600_302600_NS6detail15normal_iteratorINSA_7pointerIyNSA_11hip_rocprim3tagENSA_11use_defaultESG_EEEEPS6_SJ_NS0_5tupleIJPySJ_EEENSK_IJSJ_SJ_EEES6_PlJ7is_evenIyEEEE10hipError_tPvRmT3_T4_T5_T6_T7_T9_mT8_P12ihipStream_tbDpT10_ENKUlT_T0_E_clISt17integral_constantIbLb1EES19_IbLb0EEEEDaS15_S16_EUlS15_E_NS1_11comp_targetILNS1_3genE8ELNS1_11target_archE1030ELNS1_3gpuE2ELNS1_3repE0EEENS1_30default_config_static_selectorELNS0_4arch9wavefront6targetE1EEEvT1_,"axG",@progbits,_ZN7rocprim17ROCPRIM_400000_NS6detail17trampoline_kernelINS0_14default_configENS1_25partition_config_selectorILNS1_17partition_subalgoE3EyNS0_10empty_typeEbEEZZNS1_14partition_implILS5_3ELb0ES3_jN6thrust23THRUST_200600_302600_NS6detail15normal_iteratorINSA_7pointerIyNSA_11hip_rocprim3tagENSA_11use_defaultESG_EEEEPS6_SJ_NS0_5tupleIJPySJ_EEENSK_IJSJ_SJ_EEES6_PlJ7is_evenIyEEEE10hipError_tPvRmT3_T4_T5_T6_T7_T9_mT8_P12ihipStream_tbDpT10_ENKUlT_T0_E_clISt17integral_constantIbLb1EES19_IbLb0EEEEDaS15_S16_EUlS15_E_NS1_11comp_targetILNS1_3genE8ELNS1_11target_archE1030ELNS1_3gpuE2ELNS1_3repE0EEENS1_30default_config_static_selectorELNS0_4arch9wavefront6targetE1EEEvT1_,comdat
	.protected	_ZN7rocprim17ROCPRIM_400000_NS6detail17trampoline_kernelINS0_14default_configENS1_25partition_config_selectorILNS1_17partition_subalgoE3EyNS0_10empty_typeEbEEZZNS1_14partition_implILS5_3ELb0ES3_jN6thrust23THRUST_200600_302600_NS6detail15normal_iteratorINSA_7pointerIyNSA_11hip_rocprim3tagENSA_11use_defaultESG_EEEEPS6_SJ_NS0_5tupleIJPySJ_EEENSK_IJSJ_SJ_EEES6_PlJ7is_evenIyEEEE10hipError_tPvRmT3_T4_T5_T6_T7_T9_mT8_P12ihipStream_tbDpT10_ENKUlT_T0_E_clISt17integral_constantIbLb1EES19_IbLb0EEEEDaS15_S16_EUlS15_E_NS1_11comp_targetILNS1_3genE8ELNS1_11target_archE1030ELNS1_3gpuE2ELNS1_3repE0EEENS1_30default_config_static_selectorELNS0_4arch9wavefront6targetE1EEEvT1_ ; -- Begin function _ZN7rocprim17ROCPRIM_400000_NS6detail17trampoline_kernelINS0_14default_configENS1_25partition_config_selectorILNS1_17partition_subalgoE3EyNS0_10empty_typeEbEEZZNS1_14partition_implILS5_3ELb0ES3_jN6thrust23THRUST_200600_302600_NS6detail15normal_iteratorINSA_7pointerIyNSA_11hip_rocprim3tagENSA_11use_defaultESG_EEEEPS6_SJ_NS0_5tupleIJPySJ_EEENSK_IJSJ_SJ_EEES6_PlJ7is_evenIyEEEE10hipError_tPvRmT3_T4_T5_T6_T7_T9_mT8_P12ihipStream_tbDpT10_ENKUlT_T0_E_clISt17integral_constantIbLb1EES19_IbLb0EEEEDaS15_S16_EUlS15_E_NS1_11comp_targetILNS1_3genE8ELNS1_11target_archE1030ELNS1_3gpuE2ELNS1_3repE0EEENS1_30default_config_static_selectorELNS0_4arch9wavefront6targetE1EEEvT1_
	.globl	_ZN7rocprim17ROCPRIM_400000_NS6detail17trampoline_kernelINS0_14default_configENS1_25partition_config_selectorILNS1_17partition_subalgoE3EyNS0_10empty_typeEbEEZZNS1_14partition_implILS5_3ELb0ES3_jN6thrust23THRUST_200600_302600_NS6detail15normal_iteratorINSA_7pointerIyNSA_11hip_rocprim3tagENSA_11use_defaultESG_EEEEPS6_SJ_NS0_5tupleIJPySJ_EEENSK_IJSJ_SJ_EEES6_PlJ7is_evenIyEEEE10hipError_tPvRmT3_T4_T5_T6_T7_T9_mT8_P12ihipStream_tbDpT10_ENKUlT_T0_E_clISt17integral_constantIbLb1EES19_IbLb0EEEEDaS15_S16_EUlS15_E_NS1_11comp_targetILNS1_3genE8ELNS1_11target_archE1030ELNS1_3gpuE2ELNS1_3repE0EEENS1_30default_config_static_selectorELNS0_4arch9wavefront6targetE1EEEvT1_
	.p2align	8
	.type	_ZN7rocprim17ROCPRIM_400000_NS6detail17trampoline_kernelINS0_14default_configENS1_25partition_config_selectorILNS1_17partition_subalgoE3EyNS0_10empty_typeEbEEZZNS1_14partition_implILS5_3ELb0ES3_jN6thrust23THRUST_200600_302600_NS6detail15normal_iteratorINSA_7pointerIyNSA_11hip_rocprim3tagENSA_11use_defaultESG_EEEEPS6_SJ_NS0_5tupleIJPySJ_EEENSK_IJSJ_SJ_EEES6_PlJ7is_evenIyEEEE10hipError_tPvRmT3_T4_T5_T6_T7_T9_mT8_P12ihipStream_tbDpT10_ENKUlT_T0_E_clISt17integral_constantIbLb1EES19_IbLb0EEEEDaS15_S16_EUlS15_E_NS1_11comp_targetILNS1_3genE8ELNS1_11target_archE1030ELNS1_3gpuE2ELNS1_3repE0EEENS1_30default_config_static_selectorELNS0_4arch9wavefront6targetE1EEEvT1_,@function
_ZN7rocprim17ROCPRIM_400000_NS6detail17trampoline_kernelINS0_14default_configENS1_25partition_config_selectorILNS1_17partition_subalgoE3EyNS0_10empty_typeEbEEZZNS1_14partition_implILS5_3ELb0ES3_jN6thrust23THRUST_200600_302600_NS6detail15normal_iteratorINSA_7pointerIyNSA_11hip_rocprim3tagENSA_11use_defaultESG_EEEEPS6_SJ_NS0_5tupleIJPySJ_EEENSK_IJSJ_SJ_EEES6_PlJ7is_evenIyEEEE10hipError_tPvRmT3_T4_T5_T6_T7_T9_mT8_P12ihipStream_tbDpT10_ENKUlT_T0_E_clISt17integral_constantIbLb1EES19_IbLb0EEEEDaS15_S16_EUlS15_E_NS1_11comp_targetILNS1_3genE8ELNS1_11target_archE1030ELNS1_3gpuE2ELNS1_3repE0EEENS1_30default_config_static_selectorELNS0_4arch9wavefront6targetE1EEEvT1_: ; @_ZN7rocprim17ROCPRIM_400000_NS6detail17trampoline_kernelINS0_14default_configENS1_25partition_config_selectorILNS1_17partition_subalgoE3EyNS0_10empty_typeEbEEZZNS1_14partition_implILS5_3ELb0ES3_jN6thrust23THRUST_200600_302600_NS6detail15normal_iteratorINSA_7pointerIyNSA_11hip_rocprim3tagENSA_11use_defaultESG_EEEEPS6_SJ_NS0_5tupleIJPySJ_EEENSK_IJSJ_SJ_EEES6_PlJ7is_evenIyEEEE10hipError_tPvRmT3_T4_T5_T6_T7_T9_mT8_P12ihipStream_tbDpT10_ENKUlT_T0_E_clISt17integral_constantIbLb1EES19_IbLb0EEEEDaS15_S16_EUlS15_E_NS1_11comp_targetILNS1_3genE8ELNS1_11target_archE1030ELNS1_3gpuE2ELNS1_3repE0EEENS1_30default_config_static_selectorELNS0_4arch9wavefront6targetE1EEEvT1_
; %bb.0:
	.section	.rodata,"a",@progbits
	.p2align	6, 0x0
	.amdhsa_kernel _ZN7rocprim17ROCPRIM_400000_NS6detail17trampoline_kernelINS0_14default_configENS1_25partition_config_selectorILNS1_17partition_subalgoE3EyNS0_10empty_typeEbEEZZNS1_14partition_implILS5_3ELb0ES3_jN6thrust23THRUST_200600_302600_NS6detail15normal_iteratorINSA_7pointerIyNSA_11hip_rocprim3tagENSA_11use_defaultESG_EEEEPS6_SJ_NS0_5tupleIJPySJ_EEENSK_IJSJ_SJ_EEES6_PlJ7is_evenIyEEEE10hipError_tPvRmT3_T4_T5_T6_T7_T9_mT8_P12ihipStream_tbDpT10_ENKUlT_T0_E_clISt17integral_constantIbLb1EES19_IbLb0EEEEDaS15_S16_EUlS15_E_NS1_11comp_targetILNS1_3genE8ELNS1_11target_archE1030ELNS1_3gpuE2ELNS1_3repE0EEENS1_30default_config_static_selectorELNS0_4arch9wavefront6targetE1EEEvT1_
		.amdhsa_group_segment_fixed_size 0
		.amdhsa_private_segment_fixed_size 0
		.amdhsa_kernarg_size 120
		.amdhsa_user_sgpr_count 6
		.amdhsa_user_sgpr_private_segment_buffer 1
		.amdhsa_user_sgpr_dispatch_ptr 0
		.amdhsa_user_sgpr_queue_ptr 0
		.amdhsa_user_sgpr_kernarg_segment_ptr 1
		.amdhsa_user_sgpr_dispatch_id 0
		.amdhsa_user_sgpr_flat_scratch_init 0
		.amdhsa_user_sgpr_kernarg_preload_length 0
		.amdhsa_user_sgpr_kernarg_preload_offset 0
		.amdhsa_user_sgpr_private_segment_size 0
		.amdhsa_uses_dynamic_stack 0
		.amdhsa_system_sgpr_private_segment_wavefront_offset 0
		.amdhsa_system_sgpr_workgroup_id_x 1
		.amdhsa_system_sgpr_workgroup_id_y 0
		.amdhsa_system_sgpr_workgroup_id_z 0
		.amdhsa_system_sgpr_workgroup_info 0
		.amdhsa_system_vgpr_workitem_id 0
		.amdhsa_next_free_vgpr 1
		.amdhsa_next_free_sgpr 0
		.amdhsa_accum_offset 4
		.amdhsa_reserve_vcc 0
		.amdhsa_reserve_flat_scratch 0
		.amdhsa_float_round_mode_32 0
		.amdhsa_float_round_mode_16_64 0
		.amdhsa_float_denorm_mode_32 3
		.amdhsa_float_denorm_mode_16_64 3
		.amdhsa_dx10_clamp 1
		.amdhsa_ieee_mode 1
		.amdhsa_fp16_overflow 0
		.amdhsa_tg_split 0
		.amdhsa_exception_fp_ieee_invalid_op 0
		.amdhsa_exception_fp_denorm_src 0
		.amdhsa_exception_fp_ieee_div_zero 0
		.amdhsa_exception_fp_ieee_overflow 0
		.amdhsa_exception_fp_ieee_underflow 0
		.amdhsa_exception_fp_ieee_inexact 0
		.amdhsa_exception_int_div_zero 0
	.end_amdhsa_kernel
	.section	.text._ZN7rocprim17ROCPRIM_400000_NS6detail17trampoline_kernelINS0_14default_configENS1_25partition_config_selectorILNS1_17partition_subalgoE3EyNS0_10empty_typeEbEEZZNS1_14partition_implILS5_3ELb0ES3_jN6thrust23THRUST_200600_302600_NS6detail15normal_iteratorINSA_7pointerIyNSA_11hip_rocprim3tagENSA_11use_defaultESG_EEEEPS6_SJ_NS0_5tupleIJPySJ_EEENSK_IJSJ_SJ_EEES6_PlJ7is_evenIyEEEE10hipError_tPvRmT3_T4_T5_T6_T7_T9_mT8_P12ihipStream_tbDpT10_ENKUlT_T0_E_clISt17integral_constantIbLb1EES19_IbLb0EEEEDaS15_S16_EUlS15_E_NS1_11comp_targetILNS1_3genE8ELNS1_11target_archE1030ELNS1_3gpuE2ELNS1_3repE0EEENS1_30default_config_static_selectorELNS0_4arch9wavefront6targetE1EEEvT1_,"axG",@progbits,_ZN7rocprim17ROCPRIM_400000_NS6detail17trampoline_kernelINS0_14default_configENS1_25partition_config_selectorILNS1_17partition_subalgoE3EyNS0_10empty_typeEbEEZZNS1_14partition_implILS5_3ELb0ES3_jN6thrust23THRUST_200600_302600_NS6detail15normal_iteratorINSA_7pointerIyNSA_11hip_rocprim3tagENSA_11use_defaultESG_EEEEPS6_SJ_NS0_5tupleIJPySJ_EEENSK_IJSJ_SJ_EEES6_PlJ7is_evenIyEEEE10hipError_tPvRmT3_T4_T5_T6_T7_T9_mT8_P12ihipStream_tbDpT10_ENKUlT_T0_E_clISt17integral_constantIbLb1EES19_IbLb0EEEEDaS15_S16_EUlS15_E_NS1_11comp_targetILNS1_3genE8ELNS1_11target_archE1030ELNS1_3gpuE2ELNS1_3repE0EEENS1_30default_config_static_selectorELNS0_4arch9wavefront6targetE1EEEvT1_,comdat
.Lfunc_end697:
	.size	_ZN7rocprim17ROCPRIM_400000_NS6detail17trampoline_kernelINS0_14default_configENS1_25partition_config_selectorILNS1_17partition_subalgoE3EyNS0_10empty_typeEbEEZZNS1_14partition_implILS5_3ELb0ES3_jN6thrust23THRUST_200600_302600_NS6detail15normal_iteratorINSA_7pointerIyNSA_11hip_rocprim3tagENSA_11use_defaultESG_EEEEPS6_SJ_NS0_5tupleIJPySJ_EEENSK_IJSJ_SJ_EEES6_PlJ7is_evenIyEEEE10hipError_tPvRmT3_T4_T5_T6_T7_T9_mT8_P12ihipStream_tbDpT10_ENKUlT_T0_E_clISt17integral_constantIbLb1EES19_IbLb0EEEEDaS15_S16_EUlS15_E_NS1_11comp_targetILNS1_3genE8ELNS1_11target_archE1030ELNS1_3gpuE2ELNS1_3repE0EEENS1_30default_config_static_selectorELNS0_4arch9wavefront6targetE1EEEvT1_, .Lfunc_end697-_ZN7rocprim17ROCPRIM_400000_NS6detail17trampoline_kernelINS0_14default_configENS1_25partition_config_selectorILNS1_17partition_subalgoE3EyNS0_10empty_typeEbEEZZNS1_14partition_implILS5_3ELb0ES3_jN6thrust23THRUST_200600_302600_NS6detail15normal_iteratorINSA_7pointerIyNSA_11hip_rocprim3tagENSA_11use_defaultESG_EEEEPS6_SJ_NS0_5tupleIJPySJ_EEENSK_IJSJ_SJ_EEES6_PlJ7is_evenIyEEEE10hipError_tPvRmT3_T4_T5_T6_T7_T9_mT8_P12ihipStream_tbDpT10_ENKUlT_T0_E_clISt17integral_constantIbLb1EES19_IbLb0EEEEDaS15_S16_EUlS15_E_NS1_11comp_targetILNS1_3genE8ELNS1_11target_archE1030ELNS1_3gpuE2ELNS1_3repE0EEENS1_30default_config_static_selectorELNS0_4arch9wavefront6targetE1EEEvT1_
                                        ; -- End function
	.section	.AMDGPU.csdata,"",@progbits
; Kernel info:
; codeLenInByte = 0
; NumSgprs: 4
; NumVgprs: 0
; NumAgprs: 0
; TotalNumVgprs: 0
; ScratchSize: 0
; MemoryBound: 0
; FloatMode: 240
; IeeeMode: 1
; LDSByteSize: 0 bytes/workgroup (compile time only)
; SGPRBlocks: 0
; VGPRBlocks: 0
; NumSGPRsForWavesPerEU: 4
; NumVGPRsForWavesPerEU: 1
; AccumOffset: 4
; Occupancy: 8
; WaveLimiterHint : 0
; COMPUTE_PGM_RSRC2:SCRATCH_EN: 0
; COMPUTE_PGM_RSRC2:USER_SGPR: 6
; COMPUTE_PGM_RSRC2:TRAP_HANDLER: 0
; COMPUTE_PGM_RSRC2:TGID_X_EN: 1
; COMPUTE_PGM_RSRC2:TGID_Y_EN: 0
; COMPUTE_PGM_RSRC2:TGID_Z_EN: 0
; COMPUTE_PGM_RSRC2:TIDIG_COMP_CNT: 0
; COMPUTE_PGM_RSRC3_GFX90A:ACCUM_OFFSET: 0
; COMPUTE_PGM_RSRC3_GFX90A:TG_SPLIT: 0
	.section	.text._ZN7rocprim17ROCPRIM_400000_NS6detail17trampoline_kernelINS0_14default_configENS1_25partition_config_selectorILNS1_17partition_subalgoE3EyNS0_10empty_typeEbEEZZNS1_14partition_implILS5_3ELb0ES3_jN6thrust23THRUST_200600_302600_NS6detail15normal_iteratorINSA_7pointerIyNSA_11hip_rocprim3tagENSA_11use_defaultESG_EEEEPS6_SJ_NS0_5tupleIJPySJ_EEENSK_IJSJ_SJ_EEES6_PlJ7is_evenIyEEEE10hipError_tPvRmT3_T4_T5_T6_T7_T9_mT8_P12ihipStream_tbDpT10_ENKUlT_T0_E_clISt17integral_constantIbLb0EES19_IbLb1EEEEDaS15_S16_EUlS15_E_NS1_11comp_targetILNS1_3genE0ELNS1_11target_archE4294967295ELNS1_3gpuE0ELNS1_3repE0EEENS1_30default_config_static_selectorELNS0_4arch9wavefront6targetE1EEEvT1_,"axG",@progbits,_ZN7rocprim17ROCPRIM_400000_NS6detail17trampoline_kernelINS0_14default_configENS1_25partition_config_selectorILNS1_17partition_subalgoE3EyNS0_10empty_typeEbEEZZNS1_14partition_implILS5_3ELb0ES3_jN6thrust23THRUST_200600_302600_NS6detail15normal_iteratorINSA_7pointerIyNSA_11hip_rocprim3tagENSA_11use_defaultESG_EEEEPS6_SJ_NS0_5tupleIJPySJ_EEENSK_IJSJ_SJ_EEES6_PlJ7is_evenIyEEEE10hipError_tPvRmT3_T4_T5_T6_T7_T9_mT8_P12ihipStream_tbDpT10_ENKUlT_T0_E_clISt17integral_constantIbLb0EES19_IbLb1EEEEDaS15_S16_EUlS15_E_NS1_11comp_targetILNS1_3genE0ELNS1_11target_archE4294967295ELNS1_3gpuE0ELNS1_3repE0EEENS1_30default_config_static_selectorELNS0_4arch9wavefront6targetE1EEEvT1_,comdat
	.protected	_ZN7rocprim17ROCPRIM_400000_NS6detail17trampoline_kernelINS0_14default_configENS1_25partition_config_selectorILNS1_17partition_subalgoE3EyNS0_10empty_typeEbEEZZNS1_14partition_implILS5_3ELb0ES3_jN6thrust23THRUST_200600_302600_NS6detail15normal_iteratorINSA_7pointerIyNSA_11hip_rocprim3tagENSA_11use_defaultESG_EEEEPS6_SJ_NS0_5tupleIJPySJ_EEENSK_IJSJ_SJ_EEES6_PlJ7is_evenIyEEEE10hipError_tPvRmT3_T4_T5_T6_T7_T9_mT8_P12ihipStream_tbDpT10_ENKUlT_T0_E_clISt17integral_constantIbLb0EES19_IbLb1EEEEDaS15_S16_EUlS15_E_NS1_11comp_targetILNS1_3genE0ELNS1_11target_archE4294967295ELNS1_3gpuE0ELNS1_3repE0EEENS1_30default_config_static_selectorELNS0_4arch9wavefront6targetE1EEEvT1_ ; -- Begin function _ZN7rocprim17ROCPRIM_400000_NS6detail17trampoline_kernelINS0_14default_configENS1_25partition_config_selectorILNS1_17partition_subalgoE3EyNS0_10empty_typeEbEEZZNS1_14partition_implILS5_3ELb0ES3_jN6thrust23THRUST_200600_302600_NS6detail15normal_iteratorINSA_7pointerIyNSA_11hip_rocprim3tagENSA_11use_defaultESG_EEEEPS6_SJ_NS0_5tupleIJPySJ_EEENSK_IJSJ_SJ_EEES6_PlJ7is_evenIyEEEE10hipError_tPvRmT3_T4_T5_T6_T7_T9_mT8_P12ihipStream_tbDpT10_ENKUlT_T0_E_clISt17integral_constantIbLb0EES19_IbLb1EEEEDaS15_S16_EUlS15_E_NS1_11comp_targetILNS1_3genE0ELNS1_11target_archE4294967295ELNS1_3gpuE0ELNS1_3repE0EEENS1_30default_config_static_selectorELNS0_4arch9wavefront6targetE1EEEvT1_
	.globl	_ZN7rocprim17ROCPRIM_400000_NS6detail17trampoline_kernelINS0_14default_configENS1_25partition_config_selectorILNS1_17partition_subalgoE3EyNS0_10empty_typeEbEEZZNS1_14partition_implILS5_3ELb0ES3_jN6thrust23THRUST_200600_302600_NS6detail15normal_iteratorINSA_7pointerIyNSA_11hip_rocprim3tagENSA_11use_defaultESG_EEEEPS6_SJ_NS0_5tupleIJPySJ_EEENSK_IJSJ_SJ_EEES6_PlJ7is_evenIyEEEE10hipError_tPvRmT3_T4_T5_T6_T7_T9_mT8_P12ihipStream_tbDpT10_ENKUlT_T0_E_clISt17integral_constantIbLb0EES19_IbLb1EEEEDaS15_S16_EUlS15_E_NS1_11comp_targetILNS1_3genE0ELNS1_11target_archE4294967295ELNS1_3gpuE0ELNS1_3repE0EEENS1_30default_config_static_selectorELNS0_4arch9wavefront6targetE1EEEvT1_
	.p2align	8
	.type	_ZN7rocprim17ROCPRIM_400000_NS6detail17trampoline_kernelINS0_14default_configENS1_25partition_config_selectorILNS1_17partition_subalgoE3EyNS0_10empty_typeEbEEZZNS1_14partition_implILS5_3ELb0ES3_jN6thrust23THRUST_200600_302600_NS6detail15normal_iteratorINSA_7pointerIyNSA_11hip_rocprim3tagENSA_11use_defaultESG_EEEEPS6_SJ_NS0_5tupleIJPySJ_EEENSK_IJSJ_SJ_EEES6_PlJ7is_evenIyEEEE10hipError_tPvRmT3_T4_T5_T6_T7_T9_mT8_P12ihipStream_tbDpT10_ENKUlT_T0_E_clISt17integral_constantIbLb0EES19_IbLb1EEEEDaS15_S16_EUlS15_E_NS1_11comp_targetILNS1_3genE0ELNS1_11target_archE4294967295ELNS1_3gpuE0ELNS1_3repE0EEENS1_30default_config_static_selectorELNS0_4arch9wavefront6targetE1EEEvT1_,@function
_ZN7rocprim17ROCPRIM_400000_NS6detail17trampoline_kernelINS0_14default_configENS1_25partition_config_selectorILNS1_17partition_subalgoE3EyNS0_10empty_typeEbEEZZNS1_14partition_implILS5_3ELb0ES3_jN6thrust23THRUST_200600_302600_NS6detail15normal_iteratorINSA_7pointerIyNSA_11hip_rocprim3tagENSA_11use_defaultESG_EEEEPS6_SJ_NS0_5tupleIJPySJ_EEENSK_IJSJ_SJ_EEES6_PlJ7is_evenIyEEEE10hipError_tPvRmT3_T4_T5_T6_T7_T9_mT8_P12ihipStream_tbDpT10_ENKUlT_T0_E_clISt17integral_constantIbLb0EES19_IbLb1EEEEDaS15_S16_EUlS15_E_NS1_11comp_targetILNS1_3genE0ELNS1_11target_archE4294967295ELNS1_3gpuE0ELNS1_3repE0EEENS1_30default_config_static_selectorELNS0_4arch9wavefront6targetE1EEEvT1_: ; @_ZN7rocprim17ROCPRIM_400000_NS6detail17trampoline_kernelINS0_14default_configENS1_25partition_config_selectorILNS1_17partition_subalgoE3EyNS0_10empty_typeEbEEZZNS1_14partition_implILS5_3ELb0ES3_jN6thrust23THRUST_200600_302600_NS6detail15normal_iteratorINSA_7pointerIyNSA_11hip_rocprim3tagENSA_11use_defaultESG_EEEEPS6_SJ_NS0_5tupleIJPySJ_EEENSK_IJSJ_SJ_EEES6_PlJ7is_evenIyEEEE10hipError_tPvRmT3_T4_T5_T6_T7_T9_mT8_P12ihipStream_tbDpT10_ENKUlT_T0_E_clISt17integral_constantIbLb0EES19_IbLb1EEEEDaS15_S16_EUlS15_E_NS1_11comp_targetILNS1_3genE0ELNS1_11target_archE4294967295ELNS1_3gpuE0ELNS1_3repE0EEENS1_30default_config_static_selectorELNS0_4arch9wavefront6targetE1EEEvT1_
; %bb.0:
	.section	.rodata,"a",@progbits
	.p2align	6, 0x0
	.amdhsa_kernel _ZN7rocprim17ROCPRIM_400000_NS6detail17trampoline_kernelINS0_14default_configENS1_25partition_config_selectorILNS1_17partition_subalgoE3EyNS0_10empty_typeEbEEZZNS1_14partition_implILS5_3ELb0ES3_jN6thrust23THRUST_200600_302600_NS6detail15normal_iteratorINSA_7pointerIyNSA_11hip_rocprim3tagENSA_11use_defaultESG_EEEEPS6_SJ_NS0_5tupleIJPySJ_EEENSK_IJSJ_SJ_EEES6_PlJ7is_evenIyEEEE10hipError_tPvRmT3_T4_T5_T6_T7_T9_mT8_P12ihipStream_tbDpT10_ENKUlT_T0_E_clISt17integral_constantIbLb0EES19_IbLb1EEEEDaS15_S16_EUlS15_E_NS1_11comp_targetILNS1_3genE0ELNS1_11target_archE4294967295ELNS1_3gpuE0ELNS1_3repE0EEENS1_30default_config_static_selectorELNS0_4arch9wavefront6targetE1EEEvT1_
		.amdhsa_group_segment_fixed_size 0
		.amdhsa_private_segment_fixed_size 0
		.amdhsa_kernarg_size 136
		.amdhsa_user_sgpr_count 6
		.amdhsa_user_sgpr_private_segment_buffer 1
		.amdhsa_user_sgpr_dispatch_ptr 0
		.amdhsa_user_sgpr_queue_ptr 0
		.amdhsa_user_sgpr_kernarg_segment_ptr 1
		.amdhsa_user_sgpr_dispatch_id 0
		.amdhsa_user_sgpr_flat_scratch_init 0
		.amdhsa_user_sgpr_kernarg_preload_length 0
		.amdhsa_user_sgpr_kernarg_preload_offset 0
		.amdhsa_user_sgpr_private_segment_size 0
		.amdhsa_uses_dynamic_stack 0
		.amdhsa_system_sgpr_private_segment_wavefront_offset 0
		.amdhsa_system_sgpr_workgroup_id_x 1
		.amdhsa_system_sgpr_workgroup_id_y 0
		.amdhsa_system_sgpr_workgroup_id_z 0
		.amdhsa_system_sgpr_workgroup_info 0
		.amdhsa_system_vgpr_workitem_id 0
		.amdhsa_next_free_vgpr 1
		.amdhsa_next_free_sgpr 0
		.amdhsa_accum_offset 4
		.amdhsa_reserve_vcc 0
		.amdhsa_reserve_flat_scratch 0
		.amdhsa_float_round_mode_32 0
		.amdhsa_float_round_mode_16_64 0
		.amdhsa_float_denorm_mode_32 3
		.amdhsa_float_denorm_mode_16_64 3
		.amdhsa_dx10_clamp 1
		.amdhsa_ieee_mode 1
		.amdhsa_fp16_overflow 0
		.amdhsa_tg_split 0
		.amdhsa_exception_fp_ieee_invalid_op 0
		.amdhsa_exception_fp_denorm_src 0
		.amdhsa_exception_fp_ieee_div_zero 0
		.amdhsa_exception_fp_ieee_overflow 0
		.amdhsa_exception_fp_ieee_underflow 0
		.amdhsa_exception_fp_ieee_inexact 0
		.amdhsa_exception_int_div_zero 0
	.end_amdhsa_kernel
	.section	.text._ZN7rocprim17ROCPRIM_400000_NS6detail17trampoline_kernelINS0_14default_configENS1_25partition_config_selectorILNS1_17partition_subalgoE3EyNS0_10empty_typeEbEEZZNS1_14partition_implILS5_3ELb0ES3_jN6thrust23THRUST_200600_302600_NS6detail15normal_iteratorINSA_7pointerIyNSA_11hip_rocprim3tagENSA_11use_defaultESG_EEEEPS6_SJ_NS0_5tupleIJPySJ_EEENSK_IJSJ_SJ_EEES6_PlJ7is_evenIyEEEE10hipError_tPvRmT3_T4_T5_T6_T7_T9_mT8_P12ihipStream_tbDpT10_ENKUlT_T0_E_clISt17integral_constantIbLb0EES19_IbLb1EEEEDaS15_S16_EUlS15_E_NS1_11comp_targetILNS1_3genE0ELNS1_11target_archE4294967295ELNS1_3gpuE0ELNS1_3repE0EEENS1_30default_config_static_selectorELNS0_4arch9wavefront6targetE1EEEvT1_,"axG",@progbits,_ZN7rocprim17ROCPRIM_400000_NS6detail17trampoline_kernelINS0_14default_configENS1_25partition_config_selectorILNS1_17partition_subalgoE3EyNS0_10empty_typeEbEEZZNS1_14partition_implILS5_3ELb0ES3_jN6thrust23THRUST_200600_302600_NS6detail15normal_iteratorINSA_7pointerIyNSA_11hip_rocprim3tagENSA_11use_defaultESG_EEEEPS6_SJ_NS0_5tupleIJPySJ_EEENSK_IJSJ_SJ_EEES6_PlJ7is_evenIyEEEE10hipError_tPvRmT3_T4_T5_T6_T7_T9_mT8_P12ihipStream_tbDpT10_ENKUlT_T0_E_clISt17integral_constantIbLb0EES19_IbLb1EEEEDaS15_S16_EUlS15_E_NS1_11comp_targetILNS1_3genE0ELNS1_11target_archE4294967295ELNS1_3gpuE0ELNS1_3repE0EEENS1_30default_config_static_selectorELNS0_4arch9wavefront6targetE1EEEvT1_,comdat
.Lfunc_end698:
	.size	_ZN7rocprim17ROCPRIM_400000_NS6detail17trampoline_kernelINS0_14default_configENS1_25partition_config_selectorILNS1_17partition_subalgoE3EyNS0_10empty_typeEbEEZZNS1_14partition_implILS5_3ELb0ES3_jN6thrust23THRUST_200600_302600_NS6detail15normal_iteratorINSA_7pointerIyNSA_11hip_rocprim3tagENSA_11use_defaultESG_EEEEPS6_SJ_NS0_5tupleIJPySJ_EEENSK_IJSJ_SJ_EEES6_PlJ7is_evenIyEEEE10hipError_tPvRmT3_T4_T5_T6_T7_T9_mT8_P12ihipStream_tbDpT10_ENKUlT_T0_E_clISt17integral_constantIbLb0EES19_IbLb1EEEEDaS15_S16_EUlS15_E_NS1_11comp_targetILNS1_3genE0ELNS1_11target_archE4294967295ELNS1_3gpuE0ELNS1_3repE0EEENS1_30default_config_static_selectorELNS0_4arch9wavefront6targetE1EEEvT1_, .Lfunc_end698-_ZN7rocprim17ROCPRIM_400000_NS6detail17trampoline_kernelINS0_14default_configENS1_25partition_config_selectorILNS1_17partition_subalgoE3EyNS0_10empty_typeEbEEZZNS1_14partition_implILS5_3ELb0ES3_jN6thrust23THRUST_200600_302600_NS6detail15normal_iteratorINSA_7pointerIyNSA_11hip_rocprim3tagENSA_11use_defaultESG_EEEEPS6_SJ_NS0_5tupleIJPySJ_EEENSK_IJSJ_SJ_EEES6_PlJ7is_evenIyEEEE10hipError_tPvRmT3_T4_T5_T6_T7_T9_mT8_P12ihipStream_tbDpT10_ENKUlT_T0_E_clISt17integral_constantIbLb0EES19_IbLb1EEEEDaS15_S16_EUlS15_E_NS1_11comp_targetILNS1_3genE0ELNS1_11target_archE4294967295ELNS1_3gpuE0ELNS1_3repE0EEENS1_30default_config_static_selectorELNS0_4arch9wavefront6targetE1EEEvT1_
                                        ; -- End function
	.section	.AMDGPU.csdata,"",@progbits
; Kernel info:
; codeLenInByte = 0
; NumSgprs: 4
; NumVgprs: 0
; NumAgprs: 0
; TotalNumVgprs: 0
; ScratchSize: 0
; MemoryBound: 0
; FloatMode: 240
; IeeeMode: 1
; LDSByteSize: 0 bytes/workgroup (compile time only)
; SGPRBlocks: 0
; VGPRBlocks: 0
; NumSGPRsForWavesPerEU: 4
; NumVGPRsForWavesPerEU: 1
; AccumOffset: 4
; Occupancy: 8
; WaveLimiterHint : 0
; COMPUTE_PGM_RSRC2:SCRATCH_EN: 0
; COMPUTE_PGM_RSRC2:USER_SGPR: 6
; COMPUTE_PGM_RSRC2:TRAP_HANDLER: 0
; COMPUTE_PGM_RSRC2:TGID_X_EN: 1
; COMPUTE_PGM_RSRC2:TGID_Y_EN: 0
; COMPUTE_PGM_RSRC2:TGID_Z_EN: 0
; COMPUTE_PGM_RSRC2:TIDIG_COMP_CNT: 0
; COMPUTE_PGM_RSRC3_GFX90A:ACCUM_OFFSET: 0
; COMPUTE_PGM_RSRC3_GFX90A:TG_SPLIT: 0
	.section	.text._ZN7rocprim17ROCPRIM_400000_NS6detail17trampoline_kernelINS0_14default_configENS1_25partition_config_selectorILNS1_17partition_subalgoE3EyNS0_10empty_typeEbEEZZNS1_14partition_implILS5_3ELb0ES3_jN6thrust23THRUST_200600_302600_NS6detail15normal_iteratorINSA_7pointerIyNSA_11hip_rocprim3tagENSA_11use_defaultESG_EEEEPS6_SJ_NS0_5tupleIJPySJ_EEENSK_IJSJ_SJ_EEES6_PlJ7is_evenIyEEEE10hipError_tPvRmT3_T4_T5_T6_T7_T9_mT8_P12ihipStream_tbDpT10_ENKUlT_T0_E_clISt17integral_constantIbLb0EES19_IbLb1EEEEDaS15_S16_EUlS15_E_NS1_11comp_targetILNS1_3genE5ELNS1_11target_archE942ELNS1_3gpuE9ELNS1_3repE0EEENS1_30default_config_static_selectorELNS0_4arch9wavefront6targetE1EEEvT1_,"axG",@progbits,_ZN7rocprim17ROCPRIM_400000_NS6detail17trampoline_kernelINS0_14default_configENS1_25partition_config_selectorILNS1_17partition_subalgoE3EyNS0_10empty_typeEbEEZZNS1_14partition_implILS5_3ELb0ES3_jN6thrust23THRUST_200600_302600_NS6detail15normal_iteratorINSA_7pointerIyNSA_11hip_rocprim3tagENSA_11use_defaultESG_EEEEPS6_SJ_NS0_5tupleIJPySJ_EEENSK_IJSJ_SJ_EEES6_PlJ7is_evenIyEEEE10hipError_tPvRmT3_T4_T5_T6_T7_T9_mT8_P12ihipStream_tbDpT10_ENKUlT_T0_E_clISt17integral_constantIbLb0EES19_IbLb1EEEEDaS15_S16_EUlS15_E_NS1_11comp_targetILNS1_3genE5ELNS1_11target_archE942ELNS1_3gpuE9ELNS1_3repE0EEENS1_30default_config_static_selectorELNS0_4arch9wavefront6targetE1EEEvT1_,comdat
	.protected	_ZN7rocprim17ROCPRIM_400000_NS6detail17trampoline_kernelINS0_14default_configENS1_25partition_config_selectorILNS1_17partition_subalgoE3EyNS0_10empty_typeEbEEZZNS1_14partition_implILS5_3ELb0ES3_jN6thrust23THRUST_200600_302600_NS6detail15normal_iteratorINSA_7pointerIyNSA_11hip_rocprim3tagENSA_11use_defaultESG_EEEEPS6_SJ_NS0_5tupleIJPySJ_EEENSK_IJSJ_SJ_EEES6_PlJ7is_evenIyEEEE10hipError_tPvRmT3_T4_T5_T6_T7_T9_mT8_P12ihipStream_tbDpT10_ENKUlT_T0_E_clISt17integral_constantIbLb0EES19_IbLb1EEEEDaS15_S16_EUlS15_E_NS1_11comp_targetILNS1_3genE5ELNS1_11target_archE942ELNS1_3gpuE9ELNS1_3repE0EEENS1_30default_config_static_selectorELNS0_4arch9wavefront6targetE1EEEvT1_ ; -- Begin function _ZN7rocprim17ROCPRIM_400000_NS6detail17trampoline_kernelINS0_14default_configENS1_25partition_config_selectorILNS1_17partition_subalgoE3EyNS0_10empty_typeEbEEZZNS1_14partition_implILS5_3ELb0ES3_jN6thrust23THRUST_200600_302600_NS6detail15normal_iteratorINSA_7pointerIyNSA_11hip_rocprim3tagENSA_11use_defaultESG_EEEEPS6_SJ_NS0_5tupleIJPySJ_EEENSK_IJSJ_SJ_EEES6_PlJ7is_evenIyEEEE10hipError_tPvRmT3_T4_T5_T6_T7_T9_mT8_P12ihipStream_tbDpT10_ENKUlT_T0_E_clISt17integral_constantIbLb0EES19_IbLb1EEEEDaS15_S16_EUlS15_E_NS1_11comp_targetILNS1_3genE5ELNS1_11target_archE942ELNS1_3gpuE9ELNS1_3repE0EEENS1_30default_config_static_selectorELNS0_4arch9wavefront6targetE1EEEvT1_
	.globl	_ZN7rocprim17ROCPRIM_400000_NS6detail17trampoline_kernelINS0_14default_configENS1_25partition_config_selectorILNS1_17partition_subalgoE3EyNS0_10empty_typeEbEEZZNS1_14partition_implILS5_3ELb0ES3_jN6thrust23THRUST_200600_302600_NS6detail15normal_iteratorINSA_7pointerIyNSA_11hip_rocprim3tagENSA_11use_defaultESG_EEEEPS6_SJ_NS0_5tupleIJPySJ_EEENSK_IJSJ_SJ_EEES6_PlJ7is_evenIyEEEE10hipError_tPvRmT3_T4_T5_T6_T7_T9_mT8_P12ihipStream_tbDpT10_ENKUlT_T0_E_clISt17integral_constantIbLb0EES19_IbLb1EEEEDaS15_S16_EUlS15_E_NS1_11comp_targetILNS1_3genE5ELNS1_11target_archE942ELNS1_3gpuE9ELNS1_3repE0EEENS1_30default_config_static_selectorELNS0_4arch9wavefront6targetE1EEEvT1_
	.p2align	8
	.type	_ZN7rocprim17ROCPRIM_400000_NS6detail17trampoline_kernelINS0_14default_configENS1_25partition_config_selectorILNS1_17partition_subalgoE3EyNS0_10empty_typeEbEEZZNS1_14partition_implILS5_3ELb0ES3_jN6thrust23THRUST_200600_302600_NS6detail15normal_iteratorINSA_7pointerIyNSA_11hip_rocprim3tagENSA_11use_defaultESG_EEEEPS6_SJ_NS0_5tupleIJPySJ_EEENSK_IJSJ_SJ_EEES6_PlJ7is_evenIyEEEE10hipError_tPvRmT3_T4_T5_T6_T7_T9_mT8_P12ihipStream_tbDpT10_ENKUlT_T0_E_clISt17integral_constantIbLb0EES19_IbLb1EEEEDaS15_S16_EUlS15_E_NS1_11comp_targetILNS1_3genE5ELNS1_11target_archE942ELNS1_3gpuE9ELNS1_3repE0EEENS1_30default_config_static_selectorELNS0_4arch9wavefront6targetE1EEEvT1_,@function
_ZN7rocprim17ROCPRIM_400000_NS6detail17trampoline_kernelINS0_14default_configENS1_25partition_config_selectorILNS1_17partition_subalgoE3EyNS0_10empty_typeEbEEZZNS1_14partition_implILS5_3ELb0ES3_jN6thrust23THRUST_200600_302600_NS6detail15normal_iteratorINSA_7pointerIyNSA_11hip_rocprim3tagENSA_11use_defaultESG_EEEEPS6_SJ_NS0_5tupleIJPySJ_EEENSK_IJSJ_SJ_EEES6_PlJ7is_evenIyEEEE10hipError_tPvRmT3_T4_T5_T6_T7_T9_mT8_P12ihipStream_tbDpT10_ENKUlT_T0_E_clISt17integral_constantIbLb0EES19_IbLb1EEEEDaS15_S16_EUlS15_E_NS1_11comp_targetILNS1_3genE5ELNS1_11target_archE942ELNS1_3gpuE9ELNS1_3repE0EEENS1_30default_config_static_selectorELNS0_4arch9wavefront6targetE1EEEvT1_: ; @_ZN7rocprim17ROCPRIM_400000_NS6detail17trampoline_kernelINS0_14default_configENS1_25partition_config_selectorILNS1_17partition_subalgoE3EyNS0_10empty_typeEbEEZZNS1_14partition_implILS5_3ELb0ES3_jN6thrust23THRUST_200600_302600_NS6detail15normal_iteratorINSA_7pointerIyNSA_11hip_rocprim3tagENSA_11use_defaultESG_EEEEPS6_SJ_NS0_5tupleIJPySJ_EEENSK_IJSJ_SJ_EEES6_PlJ7is_evenIyEEEE10hipError_tPvRmT3_T4_T5_T6_T7_T9_mT8_P12ihipStream_tbDpT10_ENKUlT_T0_E_clISt17integral_constantIbLb0EES19_IbLb1EEEEDaS15_S16_EUlS15_E_NS1_11comp_targetILNS1_3genE5ELNS1_11target_archE942ELNS1_3gpuE9ELNS1_3repE0EEENS1_30default_config_static_selectorELNS0_4arch9wavefront6targetE1EEEvT1_
; %bb.0:
	.section	.rodata,"a",@progbits
	.p2align	6, 0x0
	.amdhsa_kernel _ZN7rocprim17ROCPRIM_400000_NS6detail17trampoline_kernelINS0_14default_configENS1_25partition_config_selectorILNS1_17partition_subalgoE3EyNS0_10empty_typeEbEEZZNS1_14partition_implILS5_3ELb0ES3_jN6thrust23THRUST_200600_302600_NS6detail15normal_iteratorINSA_7pointerIyNSA_11hip_rocprim3tagENSA_11use_defaultESG_EEEEPS6_SJ_NS0_5tupleIJPySJ_EEENSK_IJSJ_SJ_EEES6_PlJ7is_evenIyEEEE10hipError_tPvRmT3_T4_T5_T6_T7_T9_mT8_P12ihipStream_tbDpT10_ENKUlT_T0_E_clISt17integral_constantIbLb0EES19_IbLb1EEEEDaS15_S16_EUlS15_E_NS1_11comp_targetILNS1_3genE5ELNS1_11target_archE942ELNS1_3gpuE9ELNS1_3repE0EEENS1_30default_config_static_selectorELNS0_4arch9wavefront6targetE1EEEvT1_
		.amdhsa_group_segment_fixed_size 0
		.amdhsa_private_segment_fixed_size 0
		.amdhsa_kernarg_size 136
		.amdhsa_user_sgpr_count 6
		.amdhsa_user_sgpr_private_segment_buffer 1
		.amdhsa_user_sgpr_dispatch_ptr 0
		.amdhsa_user_sgpr_queue_ptr 0
		.amdhsa_user_sgpr_kernarg_segment_ptr 1
		.amdhsa_user_sgpr_dispatch_id 0
		.amdhsa_user_sgpr_flat_scratch_init 0
		.amdhsa_user_sgpr_kernarg_preload_length 0
		.amdhsa_user_sgpr_kernarg_preload_offset 0
		.amdhsa_user_sgpr_private_segment_size 0
		.amdhsa_uses_dynamic_stack 0
		.amdhsa_system_sgpr_private_segment_wavefront_offset 0
		.amdhsa_system_sgpr_workgroup_id_x 1
		.amdhsa_system_sgpr_workgroup_id_y 0
		.amdhsa_system_sgpr_workgroup_id_z 0
		.amdhsa_system_sgpr_workgroup_info 0
		.amdhsa_system_vgpr_workitem_id 0
		.amdhsa_next_free_vgpr 1
		.amdhsa_next_free_sgpr 0
		.amdhsa_accum_offset 4
		.amdhsa_reserve_vcc 0
		.amdhsa_reserve_flat_scratch 0
		.amdhsa_float_round_mode_32 0
		.amdhsa_float_round_mode_16_64 0
		.amdhsa_float_denorm_mode_32 3
		.amdhsa_float_denorm_mode_16_64 3
		.amdhsa_dx10_clamp 1
		.amdhsa_ieee_mode 1
		.amdhsa_fp16_overflow 0
		.amdhsa_tg_split 0
		.amdhsa_exception_fp_ieee_invalid_op 0
		.amdhsa_exception_fp_denorm_src 0
		.amdhsa_exception_fp_ieee_div_zero 0
		.amdhsa_exception_fp_ieee_overflow 0
		.amdhsa_exception_fp_ieee_underflow 0
		.amdhsa_exception_fp_ieee_inexact 0
		.amdhsa_exception_int_div_zero 0
	.end_amdhsa_kernel
	.section	.text._ZN7rocprim17ROCPRIM_400000_NS6detail17trampoline_kernelINS0_14default_configENS1_25partition_config_selectorILNS1_17partition_subalgoE3EyNS0_10empty_typeEbEEZZNS1_14partition_implILS5_3ELb0ES3_jN6thrust23THRUST_200600_302600_NS6detail15normal_iteratorINSA_7pointerIyNSA_11hip_rocprim3tagENSA_11use_defaultESG_EEEEPS6_SJ_NS0_5tupleIJPySJ_EEENSK_IJSJ_SJ_EEES6_PlJ7is_evenIyEEEE10hipError_tPvRmT3_T4_T5_T6_T7_T9_mT8_P12ihipStream_tbDpT10_ENKUlT_T0_E_clISt17integral_constantIbLb0EES19_IbLb1EEEEDaS15_S16_EUlS15_E_NS1_11comp_targetILNS1_3genE5ELNS1_11target_archE942ELNS1_3gpuE9ELNS1_3repE0EEENS1_30default_config_static_selectorELNS0_4arch9wavefront6targetE1EEEvT1_,"axG",@progbits,_ZN7rocprim17ROCPRIM_400000_NS6detail17trampoline_kernelINS0_14default_configENS1_25partition_config_selectorILNS1_17partition_subalgoE3EyNS0_10empty_typeEbEEZZNS1_14partition_implILS5_3ELb0ES3_jN6thrust23THRUST_200600_302600_NS6detail15normal_iteratorINSA_7pointerIyNSA_11hip_rocprim3tagENSA_11use_defaultESG_EEEEPS6_SJ_NS0_5tupleIJPySJ_EEENSK_IJSJ_SJ_EEES6_PlJ7is_evenIyEEEE10hipError_tPvRmT3_T4_T5_T6_T7_T9_mT8_P12ihipStream_tbDpT10_ENKUlT_T0_E_clISt17integral_constantIbLb0EES19_IbLb1EEEEDaS15_S16_EUlS15_E_NS1_11comp_targetILNS1_3genE5ELNS1_11target_archE942ELNS1_3gpuE9ELNS1_3repE0EEENS1_30default_config_static_selectorELNS0_4arch9wavefront6targetE1EEEvT1_,comdat
.Lfunc_end699:
	.size	_ZN7rocprim17ROCPRIM_400000_NS6detail17trampoline_kernelINS0_14default_configENS1_25partition_config_selectorILNS1_17partition_subalgoE3EyNS0_10empty_typeEbEEZZNS1_14partition_implILS5_3ELb0ES3_jN6thrust23THRUST_200600_302600_NS6detail15normal_iteratorINSA_7pointerIyNSA_11hip_rocprim3tagENSA_11use_defaultESG_EEEEPS6_SJ_NS0_5tupleIJPySJ_EEENSK_IJSJ_SJ_EEES6_PlJ7is_evenIyEEEE10hipError_tPvRmT3_T4_T5_T6_T7_T9_mT8_P12ihipStream_tbDpT10_ENKUlT_T0_E_clISt17integral_constantIbLb0EES19_IbLb1EEEEDaS15_S16_EUlS15_E_NS1_11comp_targetILNS1_3genE5ELNS1_11target_archE942ELNS1_3gpuE9ELNS1_3repE0EEENS1_30default_config_static_selectorELNS0_4arch9wavefront6targetE1EEEvT1_, .Lfunc_end699-_ZN7rocprim17ROCPRIM_400000_NS6detail17trampoline_kernelINS0_14default_configENS1_25partition_config_selectorILNS1_17partition_subalgoE3EyNS0_10empty_typeEbEEZZNS1_14partition_implILS5_3ELb0ES3_jN6thrust23THRUST_200600_302600_NS6detail15normal_iteratorINSA_7pointerIyNSA_11hip_rocprim3tagENSA_11use_defaultESG_EEEEPS6_SJ_NS0_5tupleIJPySJ_EEENSK_IJSJ_SJ_EEES6_PlJ7is_evenIyEEEE10hipError_tPvRmT3_T4_T5_T6_T7_T9_mT8_P12ihipStream_tbDpT10_ENKUlT_T0_E_clISt17integral_constantIbLb0EES19_IbLb1EEEEDaS15_S16_EUlS15_E_NS1_11comp_targetILNS1_3genE5ELNS1_11target_archE942ELNS1_3gpuE9ELNS1_3repE0EEENS1_30default_config_static_selectorELNS0_4arch9wavefront6targetE1EEEvT1_
                                        ; -- End function
	.section	.AMDGPU.csdata,"",@progbits
; Kernel info:
; codeLenInByte = 0
; NumSgprs: 4
; NumVgprs: 0
; NumAgprs: 0
; TotalNumVgprs: 0
; ScratchSize: 0
; MemoryBound: 0
; FloatMode: 240
; IeeeMode: 1
; LDSByteSize: 0 bytes/workgroup (compile time only)
; SGPRBlocks: 0
; VGPRBlocks: 0
; NumSGPRsForWavesPerEU: 4
; NumVGPRsForWavesPerEU: 1
; AccumOffset: 4
; Occupancy: 8
; WaveLimiterHint : 0
; COMPUTE_PGM_RSRC2:SCRATCH_EN: 0
; COMPUTE_PGM_RSRC2:USER_SGPR: 6
; COMPUTE_PGM_RSRC2:TRAP_HANDLER: 0
; COMPUTE_PGM_RSRC2:TGID_X_EN: 1
; COMPUTE_PGM_RSRC2:TGID_Y_EN: 0
; COMPUTE_PGM_RSRC2:TGID_Z_EN: 0
; COMPUTE_PGM_RSRC2:TIDIG_COMP_CNT: 0
; COMPUTE_PGM_RSRC3_GFX90A:ACCUM_OFFSET: 0
; COMPUTE_PGM_RSRC3_GFX90A:TG_SPLIT: 0
	.section	.text._ZN7rocprim17ROCPRIM_400000_NS6detail17trampoline_kernelINS0_14default_configENS1_25partition_config_selectorILNS1_17partition_subalgoE3EyNS0_10empty_typeEbEEZZNS1_14partition_implILS5_3ELb0ES3_jN6thrust23THRUST_200600_302600_NS6detail15normal_iteratorINSA_7pointerIyNSA_11hip_rocprim3tagENSA_11use_defaultESG_EEEEPS6_SJ_NS0_5tupleIJPySJ_EEENSK_IJSJ_SJ_EEES6_PlJ7is_evenIyEEEE10hipError_tPvRmT3_T4_T5_T6_T7_T9_mT8_P12ihipStream_tbDpT10_ENKUlT_T0_E_clISt17integral_constantIbLb0EES19_IbLb1EEEEDaS15_S16_EUlS15_E_NS1_11comp_targetILNS1_3genE4ELNS1_11target_archE910ELNS1_3gpuE8ELNS1_3repE0EEENS1_30default_config_static_selectorELNS0_4arch9wavefront6targetE1EEEvT1_,"axG",@progbits,_ZN7rocprim17ROCPRIM_400000_NS6detail17trampoline_kernelINS0_14default_configENS1_25partition_config_selectorILNS1_17partition_subalgoE3EyNS0_10empty_typeEbEEZZNS1_14partition_implILS5_3ELb0ES3_jN6thrust23THRUST_200600_302600_NS6detail15normal_iteratorINSA_7pointerIyNSA_11hip_rocprim3tagENSA_11use_defaultESG_EEEEPS6_SJ_NS0_5tupleIJPySJ_EEENSK_IJSJ_SJ_EEES6_PlJ7is_evenIyEEEE10hipError_tPvRmT3_T4_T5_T6_T7_T9_mT8_P12ihipStream_tbDpT10_ENKUlT_T0_E_clISt17integral_constantIbLb0EES19_IbLb1EEEEDaS15_S16_EUlS15_E_NS1_11comp_targetILNS1_3genE4ELNS1_11target_archE910ELNS1_3gpuE8ELNS1_3repE0EEENS1_30default_config_static_selectorELNS0_4arch9wavefront6targetE1EEEvT1_,comdat
	.protected	_ZN7rocprim17ROCPRIM_400000_NS6detail17trampoline_kernelINS0_14default_configENS1_25partition_config_selectorILNS1_17partition_subalgoE3EyNS0_10empty_typeEbEEZZNS1_14partition_implILS5_3ELb0ES3_jN6thrust23THRUST_200600_302600_NS6detail15normal_iteratorINSA_7pointerIyNSA_11hip_rocprim3tagENSA_11use_defaultESG_EEEEPS6_SJ_NS0_5tupleIJPySJ_EEENSK_IJSJ_SJ_EEES6_PlJ7is_evenIyEEEE10hipError_tPvRmT3_T4_T5_T6_T7_T9_mT8_P12ihipStream_tbDpT10_ENKUlT_T0_E_clISt17integral_constantIbLb0EES19_IbLb1EEEEDaS15_S16_EUlS15_E_NS1_11comp_targetILNS1_3genE4ELNS1_11target_archE910ELNS1_3gpuE8ELNS1_3repE0EEENS1_30default_config_static_selectorELNS0_4arch9wavefront6targetE1EEEvT1_ ; -- Begin function _ZN7rocprim17ROCPRIM_400000_NS6detail17trampoline_kernelINS0_14default_configENS1_25partition_config_selectorILNS1_17partition_subalgoE3EyNS0_10empty_typeEbEEZZNS1_14partition_implILS5_3ELb0ES3_jN6thrust23THRUST_200600_302600_NS6detail15normal_iteratorINSA_7pointerIyNSA_11hip_rocprim3tagENSA_11use_defaultESG_EEEEPS6_SJ_NS0_5tupleIJPySJ_EEENSK_IJSJ_SJ_EEES6_PlJ7is_evenIyEEEE10hipError_tPvRmT3_T4_T5_T6_T7_T9_mT8_P12ihipStream_tbDpT10_ENKUlT_T0_E_clISt17integral_constantIbLb0EES19_IbLb1EEEEDaS15_S16_EUlS15_E_NS1_11comp_targetILNS1_3genE4ELNS1_11target_archE910ELNS1_3gpuE8ELNS1_3repE0EEENS1_30default_config_static_selectorELNS0_4arch9wavefront6targetE1EEEvT1_
	.globl	_ZN7rocprim17ROCPRIM_400000_NS6detail17trampoline_kernelINS0_14default_configENS1_25partition_config_selectorILNS1_17partition_subalgoE3EyNS0_10empty_typeEbEEZZNS1_14partition_implILS5_3ELb0ES3_jN6thrust23THRUST_200600_302600_NS6detail15normal_iteratorINSA_7pointerIyNSA_11hip_rocprim3tagENSA_11use_defaultESG_EEEEPS6_SJ_NS0_5tupleIJPySJ_EEENSK_IJSJ_SJ_EEES6_PlJ7is_evenIyEEEE10hipError_tPvRmT3_T4_T5_T6_T7_T9_mT8_P12ihipStream_tbDpT10_ENKUlT_T0_E_clISt17integral_constantIbLb0EES19_IbLb1EEEEDaS15_S16_EUlS15_E_NS1_11comp_targetILNS1_3genE4ELNS1_11target_archE910ELNS1_3gpuE8ELNS1_3repE0EEENS1_30default_config_static_selectorELNS0_4arch9wavefront6targetE1EEEvT1_
	.p2align	8
	.type	_ZN7rocprim17ROCPRIM_400000_NS6detail17trampoline_kernelINS0_14default_configENS1_25partition_config_selectorILNS1_17partition_subalgoE3EyNS0_10empty_typeEbEEZZNS1_14partition_implILS5_3ELb0ES3_jN6thrust23THRUST_200600_302600_NS6detail15normal_iteratorINSA_7pointerIyNSA_11hip_rocprim3tagENSA_11use_defaultESG_EEEEPS6_SJ_NS0_5tupleIJPySJ_EEENSK_IJSJ_SJ_EEES6_PlJ7is_evenIyEEEE10hipError_tPvRmT3_T4_T5_T6_T7_T9_mT8_P12ihipStream_tbDpT10_ENKUlT_T0_E_clISt17integral_constantIbLb0EES19_IbLb1EEEEDaS15_S16_EUlS15_E_NS1_11comp_targetILNS1_3genE4ELNS1_11target_archE910ELNS1_3gpuE8ELNS1_3repE0EEENS1_30default_config_static_selectorELNS0_4arch9wavefront6targetE1EEEvT1_,@function
_ZN7rocprim17ROCPRIM_400000_NS6detail17trampoline_kernelINS0_14default_configENS1_25partition_config_selectorILNS1_17partition_subalgoE3EyNS0_10empty_typeEbEEZZNS1_14partition_implILS5_3ELb0ES3_jN6thrust23THRUST_200600_302600_NS6detail15normal_iteratorINSA_7pointerIyNSA_11hip_rocprim3tagENSA_11use_defaultESG_EEEEPS6_SJ_NS0_5tupleIJPySJ_EEENSK_IJSJ_SJ_EEES6_PlJ7is_evenIyEEEE10hipError_tPvRmT3_T4_T5_T6_T7_T9_mT8_P12ihipStream_tbDpT10_ENKUlT_T0_E_clISt17integral_constantIbLb0EES19_IbLb1EEEEDaS15_S16_EUlS15_E_NS1_11comp_targetILNS1_3genE4ELNS1_11target_archE910ELNS1_3gpuE8ELNS1_3repE0EEENS1_30default_config_static_selectorELNS0_4arch9wavefront6targetE1EEEvT1_: ; @_ZN7rocprim17ROCPRIM_400000_NS6detail17trampoline_kernelINS0_14default_configENS1_25partition_config_selectorILNS1_17partition_subalgoE3EyNS0_10empty_typeEbEEZZNS1_14partition_implILS5_3ELb0ES3_jN6thrust23THRUST_200600_302600_NS6detail15normal_iteratorINSA_7pointerIyNSA_11hip_rocprim3tagENSA_11use_defaultESG_EEEEPS6_SJ_NS0_5tupleIJPySJ_EEENSK_IJSJ_SJ_EEES6_PlJ7is_evenIyEEEE10hipError_tPvRmT3_T4_T5_T6_T7_T9_mT8_P12ihipStream_tbDpT10_ENKUlT_T0_E_clISt17integral_constantIbLb0EES19_IbLb1EEEEDaS15_S16_EUlS15_E_NS1_11comp_targetILNS1_3genE4ELNS1_11target_archE910ELNS1_3gpuE8ELNS1_3repE0EEENS1_30default_config_static_selectorELNS0_4arch9wavefront6targetE1EEEvT1_
; %bb.0:
	s_load_dwordx2 s[28:29], s[4:5], 0x28
	s_load_dwordx4 s[20:23], s[4:5], 0x48
	s_load_dwordx2 s[30:31], s[4:5], 0x58
	s_load_dwordx2 s[34:35], s[4:5], 0x68
	v_cmp_eq_u32_e64 s[0:1], 0, v0
	s_and_saveexec_b64 s[2:3], s[0:1]
	s_cbranch_execz .LBB700_4
; %bb.1:
	s_mov_b64 s[8:9], exec
	v_mbcnt_lo_u32_b32 v1, s8, 0
	v_mbcnt_hi_u32_b32 v1, s9, v1
	v_cmp_eq_u32_e32 vcc, 0, v1
                                        ; implicit-def: $vgpr2
	s_and_saveexec_b64 s[6:7], vcc
	s_cbranch_execz .LBB700_3
; %bb.2:
	s_load_dwordx2 s[10:11], s[4:5], 0x78
	s_bcnt1_i32_b64 s8, s[8:9]
	v_mov_b32_e32 v2, 0
	v_mov_b32_e32 v3, s8
	s_waitcnt lgkmcnt(0)
	global_atomic_add v2, v2, v3, s[10:11] glc
.LBB700_3:
	s_or_b64 exec, exec, s[6:7]
	s_waitcnt vmcnt(0)
	v_readfirstlane_b32 s6, v2
	v_add_u32_e32 v1, s6, v1
	v_mov_b32_e32 v2, 0
	ds_write_b32 v2, v1
.LBB700_4:
	s_or_b64 exec, exec, s[2:3]
	v_mov_b32_e32 v11, 0
	s_load_dwordx4 s[24:27], s[4:5], 0x8
	s_load_dword s2, s[4:5], 0x70
	s_waitcnt lgkmcnt(0)
	s_barrier
	ds_read_b32 v1, v11
	s_waitcnt lgkmcnt(0)
	s_barrier
	global_load_dwordx2 v[12:13], v11, s[22:23]
	s_lshl_b64 s[4:5], s[26:27], 3
	s_add_u32 s6, s24, s4
	s_addc_u32 s7, s25, s5
	s_movk_i32 s3, 0x300
	s_add_i32 s4, s2, -1
	s_mulk_i32 s2, 0x300
	v_mul_lo_u32 v10, v1, s3
	s_add_i32 s3, s2, s26
	s_sub_i32 s33, s30, s3
	s_addk_i32 s33, 0x300
	s_add_u32 s2, s26, s2
	v_readfirstlane_b32 s40, v1
	s_addc_u32 s3, s27, 0
	s_cmp_eq_u32 s40, s4
	v_pk_mov_b32 v[2:3], s[30:31], s[30:31] op_sel:[0,1]
	s_cselect_b64 s[22:23], -1, 0
	s_cmp_lg_u32 s40, s4
	v_cmp_lt_u64_e32 vcc, s[2:3], v[2:3]
	s_cselect_b64 s[2:3], -1, 0
	v_lshlrev_b64 v[2:3], 3, v[10:11]
	s_or_b64 s[4:5], vcc, s[2:3]
	v_mov_b32_e32 v1, s7
	v_add_co_u32_e32 v14, vcc, s6, v2
	v_addc_co_u32_e32 v15, vcc, v1, v3, vcc
	s_mov_b64 s[2:3], -1
	s_and_b64 vcc, exec, s[4:5]
	v_lshlrev_b32_e32 v1, 3, v0
	v_lshrrev_b32_e32 v11, 2, v0
	s_cbranch_vccz .LBB700_6
; %bb.5:
	v_add_co_u32_e32 v2, vcc, v14, v1
	v_addc_co_u32_e32 v3, vcc, 0, v15, vcc
	v_add_co_u32_e32 v4, vcc, 0x1000, v2
	v_addc_co_u32_e32 v5, vcc, 0, v3, vcc
	flat_load_dwordx2 v[6:7], v[2:3]
	flat_load_dwordx2 v[8:9], v[2:3] offset:1536
	flat_load_dwordx2 v[16:17], v[2:3] offset:3072
	;; [unrolled: 1-line block ×3, first 2 shown]
	v_add_u32_e32 v3, 0xc0, v0
	v_add_u32_e32 v4, 0x180, v0
	;; [unrolled: 1-line block ×3, first 2 shown]
	v_and_b32_e32 v2, 56, v11
	v_lshrrev_b32_e32 v3, 2, v3
	v_lshrrev_b32_e32 v4, 2, v4
	;; [unrolled: 1-line block ×3, first 2 shown]
	v_add_u32_e32 v2, v2, v1
	v_and_b32_e32 v3, 0x78, v3
	v_and_b32_e32 v4, 0xf8, v4
	;; [unrolled: 1-line block ×3, first 2 shown]
	v_add_u32_e32 v3, v3, v1
	v_add_u32_e32 v4, v4, v1
	;; [unrolled: 1-line block ×3, first 2 shown]
	s_mov_b64 s[2:3], 0
	s_waitcnt vmcnt(0) lgkmcnt(0)
	ds_write_b64 v2, v[6:7]
	ds_write_b64 v3, v[8:9] offset:1536
	ds_write_b64 v4, v[16:17] offset:3072
	;; [unrolled: 1-line block ×3, first 2 shown]
	s_waitcnt lgkmcnt(0)
	s_barrier
.LBB700_6:
	s_andn2_b64 vcc, exec, s[2:3]
	v_cmp_gt_u32_e64 s[2:3], s33, v0
	s_cbranch_vccnz .LBB700_16
; %bb.7:
                                        ; implicit-def: $vgpr2_vgpr3_vgpr4_vgpr5_vgpr6_vgpr7_vgpr8_vgpr9
	s_and_saveexec_b64 s[6:7], s[2:3]
	s_cbranch_execz .LBB700_9
; %bb.8:
	v_add_co_u32_e32 v2, vcc, v14, v1
	v_addc_co_u32_e32 v3, vcc, 0, v15, vcc
	flat_load_dwordx2 v[2:3], v[2:3]
.LBB700_9:
	s_or_b64 exec, exec, s[6:7]
	v_add_u32_e32 v16, 0xc0, v0
	v_cmp_gt_u32_e32 vcc, s33, v16
	s_and_saveexec_b64 s[2:3], vcc
	s_cbranch_execz .LBB700_11
; %bb.10:
	v_add_co_u32_e32 v4, vcc, v14, v1
	v_addc_co_u32_e32 v5, vcc, 0, v15, vcc
	flat_load_dwordx2 v[4:5], v[4:5] offset:1536
.LBB700_11:
	s_or_b64 exec, exec, s[2:3]
	v_add_u32_e32 v17, 0x180, v0
	v_cmp_gt_u32_e32 vcc, s33, v17
	s_and_saveexec_b64 s[2:3], vcc
	s_cbranch_execz .LBB700_13
; %bb.12:
	v_add_co_u32_e32 v6, vcc, v14, v1
	v_addc_co_u32_e32 v7, vcc, 0, v15, vcc
	flat_load_dwordx2 v[6:7], v[6:7] offset:3072
.LBB700_13:
	s_or_b64 exec, exec, s[2:3]
	v_add_u32_e32 v18, 0x240, v0
	v_cmp_gt_u32_e32 vcc, s33, v18
	s_and_saveexec_b64 s[2:3], vcc
	s_cbranch_execz .LBB700_15
; %bb.14:
	v_lshlrev_b32_e32 v8, 3, v18
	v_add_co_u32_e32 v8, vcc, v14, v8
	v_addc_co_u32_e32 v9, vcc, 0, v15, vcc
	flat_load_dwordx2 v[8:9], v[8:9]
.LBB700_15:
	s_or_b64 exec, exec, s[2:3]
	v_and_b32_e32 v11, 56, v11
	v_add_u32_e32 v11, v11, v1
	s_waitcnt vmcnt(0) lgkmcnt(0)
	ds_write_b64 v11, v[2:3]
	v_lshrrev_b32_e32 v2, 2, v16
	v_and_b32_e32 v2, 0x78, v2
	v_add_u32_e32 v2, v2, v1
	ds_write_b64 v2, v[4:5] offset:1536
	v_lshrrev_b32_e32 v2, 2, v17
	v_and_b32_e32 v2, 0xf8, v2
	v_add_u32_e32 v2, v2, v1
	ds_write_b64 v2, v[6:7] offset:3072
	;; [unrolled: 4-line block ×3, first 2 shown]
	s_waitcnt lgkmcnt(0)
	s_barrier
.LBB700_16:
	v_lshlrev_b32_e32 v11, 2, v0
	v_lshrrev_b32_e32 v2, 3, v0
	v_add_lshl_u32 v2, v2, v11, 3
	ds_read2_b64 v[6:9], v2 offset1:1
	ds_read2_b64 v[2:5], v2 offset0:2 offset1:3
	v_cndmask_b32_e64 v14, 0, 1, s[4:5]
	v_cmp_ne_u32_e64 s[2:3], 1, v14
	s_andn2_b64 vcc, exec, s[4:5]
	s_waitcnt lgkmcnt(1)
	v_xor_b32_e32 v17, -1, v6
	v_xor_b32_e32 v16, -1, v8
	s_waitcnt lgkmcnt(0)
	v_xor_b32_e32 v15, -1, v2
	v_xor_b32_e32 v14, -1, v4
	s_barrier
	s_cbranch_vccnz .LBB700_18
; %bb.17:
	v_mov_b32_e32 v19, 1
	v_and_b32_e32 v18, 1, v17
	v_and_b32_sdwa v20, v16, v19 dst_sel:BYTE_1 dst_unused:UNUSED_PAD src0_sel:DWORD src1_sel:DWORD
	v_and_b32_e32 v21, 1, v15
	v_and_b32_sdwa v19, v14, v19 dst_sel:BYTE_1 dst_unused:UNUSED_PAD src0_sel:DWORD src1_sel:DWORD
	v_or_b32_e32 v18, v18, v20
	v_or_b32_sdwa v19, v21, v19 dst_sel:WORD_1 dst_unused:UNUSED_PAD src0_sel:DWORD src1_sel:DWORD
	v_or_b32_sdwa v24, v18, v19 dst_sel:DWORD dst_unused:UNUSED_PAD src0_sel:WORD_0 src1_sel:DWORD
	s_cbranch_execz .LBB700_19
	s_branch .LBB700_20
.LBB700_18:
                                        ; implicit-def: $vgpr24
.LBB700_19:
	v_cmp_gt_u32_e32 vcc, s33, v11
	v_cndmask_b32_e64 v18, 0, 1, vcc
	v_and_b32_e32 v17, v18, v17
	v_or_b32_e32 v18, 1, v11
	v_cmp_gt_u32_e32 vcc, s33, v18
	v_cndmask_b32_e64 v18, 0, 1, vcc
	v_and_b32_sdwa v16, v18, v16 dst_sel:BYTE_1 dst_unused:UNUSED_PAD src0_sel:DWORD src1_sel:DWORD
	v_or_b32_e32 v18, 2, v11
	v_cmp_gt_u32_e32 vcc, s33, v18
	v_cndmask_b32_e64 v18, 0, 1, vcc
	v_and_b32_e32 v15, v18, v15
	v_or_b32_e32 v18, 3, v11
	v_cmp_gt_u32_e32 vcc, s33, v18
	v_cndmask_b32_e64 v18, 0, 1, vcc
	v_and_b32_sdwa v14, v18, v14 dst_sel:BYTE_1 dst_unused:UNUSED_PAD src0_sel:DWORD src1_sel:DWORD
	v_or_b32_e32 v16, v17, v16
	v_or_b32_sdwa v14, v15, v14 dst_sel:WORD_1 dst_unused:UNUSED_PAD src0_sel:DWORD src1_sel:DWORD
	v_or_b32_sdwa v24, v16, v14 dst_sel:DWORD dst_unused:UNUSED_PAD src0_sel:WORD_0 src1_sel:DWORD
.LBB700_20:
	v_bfe_u32 v26, v24, 16, 8
	v_lshrrev_b32_e32 v25, 24, v24
	v_add_u32_sdwa v14, v24, v24 dst_sel:DWORD dst_unused:UNUSED_PAD src0_sel:BYTE_1 src1_sel:BYTE_0
	v_add3_u32 v29, v14, v26, v25
	v_mbcnt_lo_u32_b32 v14, -1, 0
	v_mbcnt_hi_u32_b32 v27, -1, v14
	v_and_b32_e32 v14, 15, v27
	v_cmp_eq_u32_e64 s[16:17], 0, v14
	v_cmp_lt_u32_e64 s[14:15], 1, v14
	v_cmp_lt_u32_e64 s[12:13], 3, v14
	;; [unrolled: 1-line block ×3, first 2 shown]
	v_and_b32_e32 v14, 16, v27
	v_cmp_eq_u32_e64 s[6:7], 0, v14
	v_and_b32_e32 v14, 0xc0, v0
	v_min_u32_e32 v14, 0x80, v14
	v_or_b32_e32 v14, 63, v14
	s_cmp_lg_u32 s40, 0
	v_cmp_lt_u32_e64 s[4:5], 31, v27
	v_lshrrev_b32_e32 v28, 6, v0
	v_cmp_eq_u32_e64 s[8:9], v14, v0
	s_cbranch_scc0 .LBB700_47
; %bb.21:
	v_mov_b32_dpp v14, v29 row_shr:1 row_mask:0xf bank_mask:0xf
	v_cndmask_b32_e64 v14, v14, 0, s[16:17]
	v_add_u32_e32 v14, v14, v29
	s_nop 1
	v_mov_b32_dpp v15, v14 row_shr:2 row_mask:0xf bank_mask:0xf
	v_cndmask_b32_e64 v15, 0, v15, s[14:15]
	v_add_u32_e32 v14, v14, v15
	s_nop 1
	v_mov_b32_dpp v15, v14 row_shr:4 row_mask:0xf bank_mask:0xf
	v_cndmask_b32_e64 v15, 0, v15, s[12:13]
	v_add_u32_e32 v14, v14, v15
	s_nop 1
	v_mov_b32_dpp v15, v14 row_shr:8 row_mask:0xf bank_mask:0xf
	v_cndmask_b32_e64 v15, 0, v15, s[10:11]
	v_add_u32_e32 v14, v14, v15
	s_nop 1
	v_mov_b32_dpp v15, v14 row_bcast:15 row_mask:0xf bank_mask:0xf
	v_cndmask_b32_e64 v15, v15, 0, s[6:7]
	v_add_u32_e32 v14, v14, v15
	s_nop 1
	v_mov_b32_dpp v15, v14 row_bcast:31 row_mask:0xf bank_mask:0xf
	v_cndmask_b32_e64 v15, 0, v15, s[4:5]
	v_add_u32_e32 v14, v14, v15
	s_and_saveexec_b64 s[18:19], s[8:9]
	s_cbranch_execz .LBB700_23
; %bb.22:
	v_lshlrev_b32_e32 v15, 2, v28
	ds_write_b32 v15, v14
.LBB700_23:
	s_or_b64 exec, exec, s[18:19]
	v_cmp_gt_u32_e32 vcc, 3, v0
	s_waitcnt lgkmcnt(0)
	s_barrier
	s_and_saveexec_b64 s[18:19], vcc
	s_cbranch_execz .LBB700_25
; %bb.24:
	ds_read_b32 v15, v11
	v_and_b32_e32 v16, 3, v27
	v_cmp_ne_u32_e32 vcc, 0, v16
	s_waitcnt lgkmcnt(0)
	v_mov_b32_dpp v17, v15 row_shr:1 row_mask:0xf bank_mask:0xf
	v_cndmask_b32_e32 v17, 0, v17, vcc
	v_add_u32_e32 v15, v17, v15
	v_cmp_lt_u32_e32 vcc, 1, v16
	s_nop 0
	v_mov_b32_dpp v17, v15 row_shr:2 row_mask:0xf bank_mask:0xf
	v_cndmask_b32_e32 v16, 0, v17, vcc
	v_add_u32_e32 v15, v15, v16
	ds_write_b32 v11, v15
.LBB700_25:
	s_or_b64 exec, exec, s[18:19]
	v_cmp_gt_u32_e32 vcc, 64, v0
	v_cmp_lt_u32_e64 s[18:19], 63, v0
	s_waitcnt lgkmcnt(0)
	s_barrier
	s_waitcnt lgkmcnt(0)
                                        ; implicit-def: $vgpr30
	s_and_saveexec_b64 s[24:25], s[18:19]
	s_cbranch_execz .LBB700_27
; %bb.26:
	v_lshl_add_u32 v15, v28, 2, -4
	ds_read_b32 v30, v15
	s_waitcnt lgkmcnt(0)
	v_add_u32_e32 v14, v30, v14
.LBB700_27:
	s_or_b64 exec, exec, s[24:25]
	v_add_u32_e32 v15, -1, v27
	v_and_b32_e32 v16, 64, v27
	v_cmp_lt_i32_e64 s[18:19], v15, v16
	v_cndmask_b32_e64 v15, v15, v27, s[18:19]
	v_lshlrev_b32_e32 v15, 2, v15
	ds_bpermute_b32 v31, v15, v14
	v_cmp_eq_u32_e64 s[18:19], 0, v27
	s_and_saveexec_b64 s[24:25], vcc
	s_cbranch_execz .LBB700_46
; %bb.28:
	v_mov_b32_e32 v21, 0
	ds_read_b32 v14, v21 offset:8
	s_and_saveexec_b64 s[36:37], s[18:19]
	s_cbranch_execz .LBB700_30
; %bb.29:
	s_add_i32 s38, s40, 64
	s_mov_b32 s39, 0
	s_lshl_b64 s[38:39], s[38:39], 3
	s_add_u32 s38, s34, s38
	v_mov_b32_e32 v15, 1
	s_addc_u32 s39, s35, s39
	s_waitcnt lgkmcnt(0)
	global_store_dwordx2 v21, v[14:15], s[38:39]
.LBB700_30:
	s_or_b64 exec, exec, s[36:37]
	v_xad_u32 v16, v27, -1, s40
	v_add_u32_e32 v20, 64, v16
	v_lshlrev_b64 v[18:19], 3, v[20:21]
	v_mov_b32_e32 v15, s35
	v_add_co_u32_e32 v22, vcc, s34, v18
	v_addc_co_u32_e32 v23, vcc, v15, v19, vcc
	global_load_dwordx2 v[18:19], v[22:23], off glc
	s_waitcnt vmcnt(0)
	v_cmp_eq_u16_sdwa s[38:39], v19, v21 src0_sel:BYTE_0 src1_sel:DWORD
	s_and_saveexec_b64 s[36:37], s[38:39]
	s_cbranch_execz .LBB700_34
; %bb.31:
	s_mov_b64 s[38:39], 0
	v_mov_b32_e32 v15, 0
.LBB700_32:                             ; =>This Inner Loop Header: Depth=1
	global_load_dwordx2 v[18:19], v[22:23], off glc
	s_waitcnt vmcnt(0)
	v_cmp_ne_u16_sdwa s[42:43], v19, v15 src0_sel:BYTE_0 src1_sel:DWORD
	s_or_b64 s[38:39], s[42:43], s[38:39]
	s_andn2_b64 exec, exec, s[38:39]
	s_cbranch_execnz .LBB700_32
; %bb.33:
	s_or_b64 exec, exec, s[38:39]
.LBB700_34:
	s_or_b64 exec, exec, s[36:37]
	v_and_b32_e32 v33, 63, v27
	v_mov_b32_e32 v32, 2
	v_cmp_ne_u32_e32 vcc, 63, v33
	v_cmp_eq_u16_sdwa s[36:37], v19, v32 src0_sel:BYTE_0 src1_sel:DWORD
	v_lshlrev_b64 v[20:21], v27, -1
	v_addc_co_u32_e32 v22, vcc, 0, v27, vcc
	v_and_b32_e32 v15, s37, v21
	v_lshlrev_b32_e32 v34, 2, v22
	v_or_b32_e32 v15, 0x80000000, v15
	ds_bpermute_b32 v22, v34, v18
	v_and_b32_e32 v17, s36, v20
	v_ffbl_b32_e32 v15, v15
	v_add_u32_e32 v15, 32, v15
	v_ffbl_b32_e32 v17, v17
	v_min_u32_e32 v15, v17, v15
	v_cmp_lt_u32_e32 vcc, v33, v15
	s_waitcnt lgkmcnt(0)
	v_cndmask_b32_e32 v17, 0, v22, vcc
	v_cmp_gt_u32_e32 vcc, 62, v33
	v_add_u32_e32 v17, v17, v18
	v_cndmask_b32_e64 v18, 0, 1, vcc
	v_lshlrev_b32_e32 v18, 1, v18
	v_add_lshl_u32 v35, v18, v27, 2
	ds_bpermute_b32 v18, v35, v17
	v_add_u32_e32 v36, 2, v33
	v_cmp_le_u32_e32 vcc, v36, v15
	v_add_u32_e32 v38, 4, v33
	v_add_u32_e32 v40, 8, v33
	s_waitcnt lgkmcnt(0)
	v_cndmask_b32_e32 v18, 0, v18, vcc
	v_cmp_gt_u32_e32 vcc, 60, v33
	v_add_u32_e32 v17, v17, v18
	v_cndmask_b32_e64 v18, 0, 1, vcc
	v_lshlrev_b32_e32 v18, 2, v18
	v_add_lshl_u32 v37, v18, v27, 2
	ds_bpermute_b32 v18, v37, v17
	v_cmp_le_u32_e32 vcc, v38, v15
	v_add_u32_e32 v42, 16, v33
	v_add_u32_e32 v44, 32, v33
	s_waitcnt lgkmcnt(0)
	v_cndmask_b32_e32 v18, 0, v18, vcc
	v_cmp_gt_u32_e32 vcc, 56, v33
	v_add_u32_e32 v17, v17, v18
	v_cndmask_b32_e64 v18, 0, 1, vcc
	v_lshlrev_b32_e32 v18, 3, v18
	v_add_lshl_u32 v39, v18, v27, 2
	ds_bpermute_b32 v18, v39, v17
	v_cmp_le_u32_e32 vcc, v40, v15
	s_waitcnt lgkmcnt(0)
	v_cndmask_b32_e32 v18, 0, v18, vcc
	v_cmp_gt_u32_e32 vcc, 48, v33
	v_add_u32_e32 v17, v17, v18
	v_cndmask_b32_e64 v18, 0, 1, vcc
	v_lshlrev_b32_e32 v18, 4, v18
	v_add_lshl_u32 v41, v18, v27, 2
	ds_bpermute_b32 v18, v41, v17
	v_cmp_le_u32_e32 vcc, v42, v15
	;; [unrolled: 9-line block ×3, first 2 shown]
	s_waitcnt lgkmcnt(0)
	v_cndmask_b32_e32 v15, 0, v18, vcc
	v_add_u32_e32 v18, v17, v15
	v_mov_b32_e32 v17, 0
	s_branch .LBB700_36
.LBB700_35:                             ;   in Loop: Header=BB700_36 Depth=1
	s_or_b64 exec, exec, s[36:37]
	v_cmp_eq_u16_sdwa s[36:37], v19, v32 src0_sel:BYTE_0 src1_sel:DWORD
	v_and_b32_e32 v22, s37, v21
	v_or_b32_e32 v22, 0x80000000, v22
	ds_bpermute_b32 v45, v34, v18
	v_and_b32_e32 v23, s36, v20
	v_ffbl_b32_e32 v22, v22
	v_add_u32_e32 v22, 32, v22
	v_ffbl_b32_e32 v23, v23
	v_min_u32_e32 v22, v23, v22
	v_cmp_lt_u32_e32 vcc, v33, v22
	s_waitcnt lgkmcnt(0)
	v_cndmask_b32_e32 v23, 0, v45, vcc
	v_add_u32_e32 v18, v23, v18
	ds_bpermute_b32 v23, v35, v18
	v_cmp_le_u32_e32 vcc, v36, v22
	v_subrev_u32_e32 v16, 64, v16
	s_waitcnt lgkmcnt(0)
	v_cndmask_b32_e32 v23, 0, v23, vcc
	v_add_u32_e32 v18, v18, v23
	ds_bpermute_b32 v23, v37, v18
	v_cmp_le_u32_e32 vcc, v38, v22
	s_waitcnt lgkmcnt(0)
	v_cndmask_b32_e32 v23, 0, v23, vcc
	v_add_u32_e32 v18, v18, v23
	ds_bpermute_b32 v23, v39, v18
	v_cmp_le_u32_e32 vcc, v40, v22
	;; [unrolled: 5-line block ×4, first 2 shown]
	s_waitcnt lgkmcnt(0)
	v_cndmask_b32_e32 v22, 0, v23, vcc
	v_add3_u32 v18, v22, v15, v18
.LBB700_36:                             ; =>This Loop Header: Depth=1
                                        ;     Child Loop BB700_39 Depth 2
	v_cmp_ne_u16_sdwa s[36:37], v19, v32 src0_sel:BYTE_0 src1_sel:DWORD
	v_cndmask_b32_e64 v15, 0, 1, s[36:37]
	;;#ASMSTART
	;;#ASMEND
	v_cmp_ne_u32_e32 vcc, 0, v15
	s_cmp_lg_u64 vcc, exec
	v_mov_b32_e32 v15, v18
	s_cbranch_scc1 .LBB700_41
; %bb.37:                               ;   in Loop: Header=BB700_36 Depth=1
	v_lshlrev_b64 v[18:19], 3, v[16:17]
	v_mov_b32_e32 v23, s35
	v_add_co_u32_e32 v22, vcc, s34, v18
	v_addc_co_u32_e32 v23, vcc, v23, v19, vcc
	global_load_dwordx2 v[18:19], v[22:23], off glc
	s_waitcnt vmcnt(0)
	v_cmp_eq_u16_sdwa s[38:39], v19, v17 src0_sel:BYTE_0 src1_sel:DWORD
	s_and_saveexec_b64 s[36:37], s[38:39]
	s_cbranch_execz .LBB700_35
; %bb.38:                               ;   in Loop: Header=BB700_36 Depth=1
	s_mov_b64 s[38:39], 0
.LBB700_39:                             ;   Parent Loop BB700_36 Depth=1
                                        ; =>  This Inner Loop Header: Depth=2
	global_load_dwordx2 v[18:19], v[22:23], off glc
	s_waitcnt vmcnt(0)
	v_cmp_ne_u16_sdwa s[42:43], v19, v17 src0_sel:BYTE_0 src1_sel:DWORD
	s_or_b64 s[38:39], s[42:43], s[38:39]
	s_andn2_b64 exec, exec, s[38:39]
	s_cbranch_execnz .LBB700_39
; %bb.40:                               ;   in Loop: Header=BB700_36 Depth=1
	s_or_b64 exec, exec, s[38:39]
	s_branch .LBB700_35
.LBB700_41:                             ;   in Loop: Header=BB700_36 Depth=1
                                        ; implicit-def: $vgpr18
                                        ; implicit-def: $vgpr19
	s_cbranch_execz .LBB700_36
; %bb.42:
	s_and_saveexec_b64 s[36:37], s[18:19]
	s_cbranch_execz .LBB700_44
; %bb.43:
	s_add_i32 s38, s40, 64
	s_mov_b32 s39, 0
	s_lshl_b64 s[38:39], s[38:39], 3
	s_add_u32 s38, s34, s38
	v_add_u32_e32 v16, v15, v14
	v_mov_b32_e32 v17, 2
	s_addc_u32 s39, s35, s39
	v_mov_b32_e32 v18, 0
	global_store_dwordx2 v18, v[16:17], s[38:39]
	ds_write_b64 v18, v[14:15] offset:6336
.LBB700_44:
	s_or_b64 exec, exec, s[36:37]
	s_and_b64 exec, exec, s[0:1]
	s_cbranch_execz .LBB700_46
; %bb.45:
	v_mov_b32_e32 v14, 0
	ds_write_b32 v14, v15 offset:8
.LBB700_46:
	s_or_b64 exec, exec, s[24:25]
	v_mov_b32_e32 v14, 0
	s_waitcnt lgkmcnt(0)
	s_barrier
	ds_read_b32 v15, v14 offset:8
	v_cndmask_b32_e64 v16, v31, v30, s[18:19]
	v_cndmask_b32_e64 v16, v16, 0, s[0:1]
	s_waitcnt lgkmcnt(0)
	s_barrier
	v_add_u32_e32 v18, v15, v16
	ds_read_b64 v[14:15], v14 offset:6336
	v_add_u32_sdwa v19, v18, v24 dst_sel:DWORD dst_unused:UNUSED_PAD src0_sel:DWORD src1_sel:BYTE_0
	v_add_u32_sdwa v17, v19, v24 dst_sel:DWORD dst_unused:UNUSED_PAD src0_sel:DWORD src1_sel:BYTE_1
	v_add_u32_e32 v16, v17, v26
	s_branch .LBB700_57
.LBB700_47:
                                        ; implicit-def: $vgpr15
                                        ; implicit-def: $vgpr16
                                        ; implicit-def: $vgpr17
                                        ; implicit-def: $vgpr19
                                        ; implicit-def: $vgpr18
	s_cbranch_execz .LBB700_57
; %bb.48:
	s_waitcnt lgkmcnt(0)
	v_mov_b32_dpp v14, v29 row_shr:1 row_mask:0xf bank_mask:0xf
	v_cndmask_b32_e64 v14, v14, 0, s[16:17]
	v_add_u32_e32 v14, v14, v29
	s_nop 1
	v_mov_b32_dpp v15, v14 row_shr:2 row_mask:0xf bank_mask:0xf
	v_cndmask_b32_e64 v15, 0, v15, s[14:15]
	v_add_u32_e32 v14, v14, v15
	s_nop 1
	;; [unrolled: 4-line block ×4, first 2 shown]
	v_mov_b32_dpp v15, v14 row_bcast:15 row_mask:0xf bank_mask:0xf
	v_cndmask_b32_e64 v15, v15, 0, s[6:7]
	v_add_u32_e32 v14, v14, v15
	s_nop 1
	v_mov_b32_dpp v15, v14 row_bcast:31 row_mask:0xf bank_mask:0xf
	v_cndmask_b32_e64 v15, 0, v15, s[4:5]
	v_add_u32_e32 v14, v14, v15
	s_and_saveexec_b64 s[4:5], s[8:9]
	s_cbranch_execz .LBB700_50
; %bb.49:
	v_lshlrev_b32_e32 v15, 2, v28
	ds_write_b32 v15, v14
.LBB700_50:
	s_or_b64 exec, exec, s[4:5]
	v_cmp_gt_u32_e32 vcc, 3, v0
	s_waitcnt lgkmcnt(0)
	s_barrier
	s_and_saveexec_b64 s[4:5], vcc
	s_cbranch_execz .LBB700_52
; %bb.51:
	ds_read_b32 v15, v11
	v_and_b32_e32 v16, 3, v27
	v_cmp_ne_u32_e32 vcc, 0, v16
	s_waitcnt lgkmcnt(0)
	v_mov_b32_dpp v17, v15 row_shr:1 row_mask:0xf bank_mask:0xf
	v_cndmask_b32_e32 v17, 0, v17, vcc
	v_add_u32_e32 v15, v17, v15
	v_cmp_lt_u32_e32 vcc, 1, v16
	s_nop 0
	v_mov_b32_dpp v17, v15 row_shr:2 row_mask:0xf bank_mask:0xf
	v_cndmask_b32_e32 v16, 0, v17, vcc
	v_add_u32_e32 v15, v15, v16
	ds_write_b32 v11, v15
.LBB700_52:
	s_or_b64 exec, exec, s[4:5]
	v_cmp_lt_u32_e32 vcc, 63, v0
	v_mov_b32_e32 v15, 0
	v_mov_b32_e32 v16, 0
	s_waitcnt lgkmcnt(0)
	s_barrier
	s_and_saveexec_b64 s[4:5], vcc
	s_cbranch_execz .LBB700_54
; %bb.53:
	v_lshl_add_u32 v16, v28, 2, -4
	ds_read_b32 v16, v16
.LBB700_54:
	s_or_b64 exec, exec, s[4:5]
	v_add_u32_e32 v17, -1, v27
	v_and_b32_e32 v18, 64, v27
	v_cmp_lt_i32_e32 vcc, v17, v18
	v_cndmask_b32_e32 v17, v17, v27, vcc
	s_waitcnt lgkmcnt(0)
	v_add_u32_e32 v14, v16, v14
	v_lshlrev_b32_e32 v17, 2, v17
	ds_bpermute_b32 v17, v17, v14
	ds_read_b32 v14, v15 offset:8
	s_and_saveexec_b64 s[4:5], s[0:1]
	s_cbranch_execz .LBB700_56
; %bb.55:
	v_mov_b32_e32 v18, 0
	v_mov_b32_e32 v15, 2
	s_waitcnt lgkmcnt(0)
	global_store_dwordx2 v18, v[14:15], s[34:35] offset:512
.LBB700_56:
	s_or_b64 exec, exec, s[4:5]
	v_cmp_eq_u32_e32 vcc, 0, v27
	s_waitcnt lgkmcnt(1)
	v_cndmask_b32_e32 v16, v17, v16, vcc
	v_cndmask_b32_e64 v18, v16, 0, s[0:1]
	v_add_u32_sdwa v19, v18, v24 dst_sel:DWORD dst_unused:UNUSED_PAD src0_sel:DWORD src1_sel:BYTE_0
	v_add_u32_sdwa v17, v19, v24 dst_sel:DWORD dst_unused:UNUSED_PAD src0_sel:DWORD src1_sel:BYTE_1
	v_mov_b32_e32 v15, 0
	v_add_u32_e32 v16, v17, v26
	s_waitcnt lgkmcnt(0)
	s_barrier
.LBB700_57:
	s_waitcnt lgkmcnt(0)
	v_add_u32_e32 v11, v14, v11
	v_sub_u32_e32 v18, v18, v15
	v_and_b32_e32 v22, 1, v24
	v_sub_u32_e32 v21, v11, v18
	v_cmp_eq_u32_e32 vcc, 1, v22
	v_cndmask_b32_e32 v18, v21, v18, vcc
	v_lshlrev_b32_e32 v18, 3, v18
	v_lshrrev_b32_e32 v20, 8, v24
	ds_write_b64 v18, v[6:7]
	v_sub_u32_e32 v6, v19, v15
	v_sub_u32_e32 v7, v11, v6
	v_and_b32_e32 v18, 1, v20
	v_add_u32_e32 v7, 1, v7
	v_cmp_eq_u32_e32 vcc, 1, v18
	v_cndmask_b32_e32 v6, v7, v6, vcc
	v_lshlrev_b32_e32 v6, 3, v6
	ds_write_b64 v6, v[8:9]
	v_sub_u32_e32 v6, v17, v15
	v_mov_b32_e32 v8, 1
	v_sub_u32_e32 v7, v11, v6
	v_and_b32_sdwa v8, v8, v24 dst_sel:DWORD dst_unused:UNUSED_PAD src0_sel:DWORD src1_sel:WORD_1
	v_add_u32_e32 v7, 2, v7
	v_cmp_eq_u32_e32 vcc, 1, v8
	v_cndmask_b32_e32 v6, v7, v6, vcc
	v_lshlrev_b32_e32 v6, 3, v6
	ds_write_b64 v6, v[2:3]
	v_sub_u32_e32 v2, v16, v15
	v_sub_u32_e32 v3, v11, v2
	v_and_b32_e32 v6, 1, v25
	v_add_u32_e32 v3, 3, v3
	v_cmp_eq_u32_e32 vcc, 1, v6
	v_cndmask_b32_e32 v2, v3, v2, vcc
	v_lshlrev_b32_e32 v2, 3, v2
	ds_write_b64 v2, v[4:5]
	s_waitcnt lgkmcnt(0)
	s_barrier
	ds_read2st64_b64 v[6:9], v1 offset1:3
	ds_read2st64_b64 v[2:5], v1 offset0:6 offset1:9
	s_waitcnt vmcnt(0)
	v_add_co_u32_e32 v1, vcc, v12, v15
	v_addc_co_u32_e32 v12, vcc, 0, v13, vcc
	v_mov_b32_e32 v11, s27
	v_add_co_u32_e32 v10, vcc, s26, v10
	v_addc_co_u32_e32 v11, vcc, 0, v11, vcc
	v_mov_b32_e32 v13, s31
	v_sub_co_u32_e32 v10, vcc, s30, v10
	v_subb_co_u32_e32 v11, vcc, v13, v11, vcc
	v_add_co_u32_e32 v10, vcc, v10, v14
	v_addc_co_u32_e32 v11, vcc, 0, v11, vcc
	s_and_b64 vcc, exec, s[2:3]
	v_add_co_u32_e64 v13, s[2:3], v10, v1
	v_add_u32_e32 v18, 0xc0, v0
	v_add_u32_e32 v17, 0x180, v0
	;; [unrolled: 1-line block ×3, first 2 shown]
	v_addc_co_u32_e64 v15, s[2:3], v11, v12, s[2:3]
	s_cbranch_vccnz .LBB700_78
; %bb.58:
	v_cmp_ge_u32_e32 vcc, v0, v14
                                        ; implicit-def: $vgpr10_vgpr11
	s_and_saveexec_b64 s[2:3], vcc
	s_xor_b64 s[2:3], exec, s[2:3]
; %bb.59:
	v_not_b32_e32 v10, v0
	v_ashrrev_i32_e32 v11, 31, v10
	v_add_co_u32_e32 v10, vcc, v13, v10
	v_addc_co_u32_e32 v11, vcc, v15, v11, vcc
; %bb.60:
	s_andn2_saveexec_b64 s[2:3], s[2:3]
; %bb.61:
	v_add_co_u32_e32 v10, vcc, v1, v0
	v_addc_co_u32_e32 v11, vcc, 0, v12, vcc
; %bb.62:
	s_or_b64 exec, exec, s[2:3]
	v_lshlrev_b64 v[10:11], 3, v[10:11]
	v_mov_b32_e32 v19, s29
	v_add_co_u32_e32 v10, vcc, s28, v10
	v_addc_co_u32_e32 v11, vcc, v19, v11, vcc
	v_cmp_ge_u32_e32 vcc, v18, v14
	s_waitcnt lgkmcnt(1)
	global_store_dwordx2 v[10:11], v[6:7], off
                                        ; implicit-def: $vgpr10_vgpr11
	s_and_saveexec_b64 s[2:3], vcc
	s_xor_b64 s[2:3], exec, s[2:3]
; %bb.63:
	v_sub_u32_e32 v10, 0xffffff3f, v0
	v_ashrrev_i32_e32 v11, 31, v10
	v_add_co_u32_e32 v10, vcc, v13, v10
	v_addc_co_u32_e32 v11, vcc, v15, v11, vcc
; %bb.64:
	s_andn2_saveexec_b64 s[2:3], s[2:3]
; %bb.65:
	v_add_co_u32_e32 v10, vcc, v1, v18
	v_addc_co_u32_e32 v11, vcc, 0, v12, vcc
; %bb.66:
	s_or_b64 exec, exec, s[2:3]
	v_lshlrev_b64 v[10:11], 3, v[10:11]
	v_mov_b32_e32 v19, s29
	v_add_co_u32_e32 v10, vcc, s28, v10
	v_addc_co_u32_e32 v11, vcc, v19, v11, vcc
	v_cmp_ge_u32_e32 vcc, v17, v14
	global_store_dwordx2 v[10:11], v[8:9], off
                                        ; implicit-def: $vgpr10_vgpr11
	s_and_saveexec_b64 s[2:3], vcc
	s_xor_b64 s[2:3], exec, s[2:3]
; %bb.67:
	v_sub_u32_e32 v10, 0xfffffe7f, v0
	v_ashrrev_i32_e32 v11, 31, v10
	v_add_co_u32_e32 v10, vcc, v13, v10
	v_addc_co_u32_e32 v11, vcc, v15, v11, vcc
; %bb.68:
	s_andn2_saveexec_b64 s[2:3], s[2:3]
; %bb.69:
	v_add_co_u32_e32 v10, vcc, v1, v17
	v_addc_co_u32_e32 v11, vcc, 0, v12, vcc
; %bb.70:
	s_or_b64 exec, exec, s[2:3]
	v_lshlrev_b64 v[10:11], 3, v[10:11]
	v_mov_b32_e32 v19, s29
	v_add_co_u32_e32 v10, vcc, s28, v10
	v_addc_co_u32_e32 v11, vcc, v19, v11, vcc
	v_cmp_ge_u32_e32 vcc, v16, v14
	s_waitcnt lgkmcnt(0)
	global_store_dwordx2 v[10:11], v[2:3], off
                                        ; implicit-def: $vgpr10_vgpr11
	s_and_saveexec_b64 s[2:3], vcc
	s_xor_b64 s[2:3], exec, s[2:3]
; %bb.71:
	v_sub_u32_e32 v10, 0xfffffdbf, v0
	v_ashrrev_i32_e32 v11, 31, v10
	v_add_co_u32_e32 v10, vcc, v13, v10
	v_addc_co_u32_e32 v11, vcc, v15, v11, vcc
; %bb.72:
	s_andn2_saveexec_b64 s[2:3], s[2:3]
; %bb.73:
	v_add_co_u32_e32 v10, vcc, v1, v16
	v_addc_co_u32_e32 v11, vcc, 0, v12, vcc
; %bb.74:
	s_or_b64 exec, exec, s[2:3]
	s_mov_b64 s[2:3], -1
.LBB700_75:
	s_and_saveexec_b64 s[4:5], s[2:3]
	s_cbranch_execz .LBB700_88
.LBB700_76:
	s_waitcnt lgkmcnt(0)
	v_lshlrev_b64 v[2:3], 3, v[10:11]
	v_mov_b32_e32 v0, s29
	v_add_co_u32_e32 v2, vcc, s28, v2
	v_addc_co_u32_e32 v3, vcc, v0, v3, vcc
	global_store_dwordx2 v[2:3], v[4:5], off
	s_or_b64 exec, exec, s[4:5]
	s_and_b64 s[0:1], s[0:1], s[22:23]
	s_and_saveexec_b64 s[2:3], s[0:1]
	s_cbranch_execnz .LBB700_89
.LBB700_77:
	s_endpgm
.LBB700_78:
	s_mov_b64 s[2:3], 0
                                        ; implicit-def: $vgpr10_vgpr11
	s_cbranch_execz .LBB700_75
; %bb.79:
	v_cmp_gt_u32_e32 vcc, s33, v0
	s_and_saveexec_b64 s[4:5], vcc
	s_cbranch_execz .LBB700_90
; %bb.80:
	v_cmp_ge_u32_e32 vcc, v0, v14
                                        ; implicit-def: $vgpr10_vgpr11
	s_and_saveexec_b64 s[6:7], vcc
	s_xor_b64 s[6:7], exec, s[6:7]
; %bb.81:
	v_not_b32_e32 v10, v0
	v_ashrrev_i32_e32 v11, 31, v10
	v_add_co_u32_e32 v10, vcc, v13, v10
	v_addc_co_u32_e32 v11, vcc, v15, v11, vcc
; %bb.82:
	s_andn2_saveexec_b64 s[6:7], s[6:7]
; %bb.83:
	v_add_co_u32_e32 v10, vcc, v1, v0
	v_addc_co_u32_e32 v11, vcc, 0, v12, vcc
; %bb.84:
	s_or_b64 exec, exec, s[6:7]
	v_lshlrev_b64 v[10:11], 3, v[10:11]
	v_mov_b32_e32 v19, s29
	v_add_co_u32_e32 v10, vcc, s28, v10
	v_addc_co_u32_e32 v11, vcc, v19, v11, vcc
	s_waitcnt lgkmcnt(1)
	global_store_dwordx2 v[10:11], v[6:7], off
	s_or_b64 exec, exec, s[4:5]
	v_cmp_gt_u32_e32 vcc, s33, v18
	s_and_saveexec_b64 s[4:5], vcc
	s_cbranch_execnz .LBB700_91
.LBB700_85:
	s_or_b64 exec, exec, s[4:5]
	v_cmp_gt_u32_e32 vcc, s33, v17
	s_and_saveexec_b64 s[4:5], vcc
	s_cbranch_execnz .LBB700_96
.LBB700_86:
	s_or_b64 exec, exec, s[4:5]
	v_cmp_gt_u32_e32 vcc, s33, v16
                                        ; implicit-def: $vgpr10_vgpr11
	s_and_saveexec_b64 s[4:5], vcc
	s_cbranch_execnz .LBB700_101
.LBB700_87:
	s_or_b64 exec, exec, s[4:5]
	s_and_saveexec_b64 s[4:5], s[2:3]
	s_cbranch_execnz .LBB700_76
.LBB700_88:
	s_or_b64 exec, exec, s[4:5]
	s_and_b64 s[0:1], s[0:1], s[22:23]
	s_and_saveexec_b64 s[2:3], s[0:1]
	s_cbranch_execz .LBB700_77
.LBB700_89:
	v_add_co_u32_e32 v0, vcc, v1, v14
	s_waitcnt lgkmcnt(0)
	v_mov_b32_e32 v2, 0
	v_addc_co_u32_e32 v1, vcc, 0, v12, vcc
	global_store_dwordx2 v2, v[0:1], s[20:21]
	s_endpgm
.LBB700_90:
	s_or_b64 exec, exec, s[4:5]
	v_cmp_gt_u32_e32 vcc, s33, v18
	s_and_saveexec_b64 s[4:5], vcc
	s_cbranch_execz .LBB700_85
.LBB700_91:
	v_cmp_ge_u32_e32 vcc, v18, v14
                                        ; implicit-def: $vgpr6_vgpr7
	s_and_saveexec_b64 s[6:7], vcc
	s_xor_b64 s[6:7], exec, s[6:7]
	s_cbranch_execz .LBB700_93
; %bb.92:
	s_waitcnt lgkmcnt(1)
	v_sub_u32_e32 v6, 0xffffff3f, v0
	v_ashrrev_i32_e32 v7, 31, v6
	v_add_co_u32_e32 v6, vcc, v13, v6
	v_addc_co_u32_e32 v7, vcc, v15, v7, vcc
                                        ; implicit-def: $vgpr18
.LBB700_93:
	s_andn2_saveexec_b64 s[6:7], s[6:7]
	s_cbranch_execz .LBB700_95
; %bb.94:
	s_waitcnt lgkmcnt(1)
	v_add_co_u32_e32 v6, vcc, v1, v18
	v_addc_co_u32_e32 v7, vcc, 0, v12, vcc
.LBB700_95:
	s_or_b64 exec, exec, s[6:7]
	s_waitcnt lgkmcnt(1)
	v_lshlrev_b64 v[6:7], 3, v[6:7]
	v_mov_b32_e32 v10, s29
	v_add_co_u32_e32 v6, vcc, s28, v6
	v_addc_co_u32_e32 v7, vcc, v10, v7, vcc
	global_store_dwordx2 v[6:7], v[8:9], off
	s_or_b64 exec, exec, s[4:5]
	v_cmp_gt_u32_e32 vcc, s33, v17
	s_and_saveexec_b64 s[4:5], vcc
	s_cbranch_execz .LBB700_86
.LBB700_96:
	v_cmp_ge_u32_e32 vcc, v17, v14
                                        ; implicit-def: $vgpr6_vgpr7
	s_and_saveexec_b64 s[6:7], vcc
	s_xor_b64 s[6:7], exec, s[6:7]
	s_cbranch_execz .LBB700_98
; %bb.97:
	s_waitcnt lgkmcnt(1)
	v_sub_u32_e32 v6, 0xfffffe7f, v0
	v_ashrrev_i32_e32 v7, 31, v6
	v_add_co_u32_e32 v6, vcc, v13, v6
	v_addc_co_u32_e32 v7, vcc, v15, v7, vcc
                                        ; implicit-def: $vgpr17
.LBB700_98:
	s_andn2_saveexec_b64 s[6:7], s[6:7]
	s_cbranch_execz .LBB700_100
; %bb.99:
	s_waitcnt lgkmcnt(1)
	v_add_co_u32_e32 v6, vcc, v1, v17
	v_addc_co_u32_e32 v7, vcc, 0, v12, vcc
.LBB700_100:
	s_or_b64 exec, exec, s[6:7]
	s_waitcnt lgkmcnt(1)
	v_lshlrev_b64 v[6:7], 3, v[6:7]
	v_mov_b32_e32 v8, s29
	v_add_co_u32_e32 v6, vcc, s28, v6
	v_addc_co_u32_e32 v7, vcc, v8, v7, vcc
	s_waitcnt lgkmcnt(0)
	global_store_dwordx2 v[6:7], v[2:3], off
	s_or_b64 exec, exec, s[4:5]
	v_cmp_gt_u32_e32 vcc, s33, v16
                                        ; implicit-def: $vgpr10_vgpr11
	s_and_saveexec_b64 s[4:5], vcc
	s_cbranch_execz .LBB700_87
.LBB700_101:
	v_cmp_ge_u32_e32 vcc, v16, v14
                                        ; implicit-def: $vgpr10_vgpr11
	s_and_saveexec_b64 s[6:7], vcc
	s_xor_b64 s[6:7], exec, s[6:7]
	s_cbranch_execz .LBB700_103
; %bb.102:
	v_sub_u32_e32 v0, 0xfffffdbf, v0
	s_waitcnt lgkmcnt(0)
	v_ashrrev_i32_e32 v2, 31, v0
	v_add_co_u32_e32 v10, vcc, v13, v0
	v_addc_co_u32_e32 v11, vcc, v15, v2, vcc
                                        ; implicit-def: $vgpr16
.LBB700_103:
	s_andn2_saveexec_b64 s[6:7], s[6:7]
; %bb.104:
	v_add_co_u32_e32 v10, vcc, v1, v16
	v_addc_co_u32_e32 v11, vcc, 0, v12, vcc
; %bb.105:
	s_or_b64 exec, exec, s[6:7]
	s_or_b64 s[2:3], s[2:3], exec
	s_or_b64 exec, exec, s[4:5]
	s_and_saveexec_b64 s[4:5], s[2:3]
	s_cbranch_execnz .LBB700_76
	s_branch .LBB700_88
	.section	.rodata,"a",@progbits
	.p2align	6, 0x0
	.amdhsa_kernel _ZN7rocprim17ROCPRIM_400000_NS6detail17trampoline_kernelINS0_14default_configENS1_25partition_config_selectorILNS1_17partition_subalgoE3EyNS0_10empty_typeEbEEZZNS1_14partition_implILS5_3ELb0ES3_jN6thrust23THRUST_200600_302600_NS6detail15normal_iteratorINSA_7pointerIyNSA_11hip_rocprim3tagENSA_11use_defaultESG_EEEEPS6_SJ_NS0_5tupleIJPySJ_EEENSK_IJSJ_SJ_EEES6_PlJ7is_evenIyEEEE10hipError_tPvRmT3_T4_T5_T6_T7_T9_mT8_P12ihipStream_tbDpT10_ENKUlT_T0_E_clISt17integral_constantIbLb0EES19_IbLb1EEEEDaS15_S16_EUlS15_E_NS1_11comp_targetILNS1_3genE4ELNS1_11target_archE910ELNS1_3gpuE8ELNS1_3repE0EEENS1_30default_config_static_selectorELNS0_4arch9wavefront6targetE1EEEvT1_
		.amdhsa_group_segment_fixed_size 6344
		.amdhsa_private_segment_fixed_size 0
		.amdhsa_kernarg_size 136
		.amdhsa_user_sgpr_count 6
		.amdhsa_user_sgpr_private_segment_buffer 1
		.amdhsa_user_sgpr_dispatch_ptr 0
		.amdhsa_user_sgpr_queue_ptr 0
		.amdhsa_user_sgpr_kernarg_segment_ptr 1
		.amdhsa_user_sgpr_dispatch_id 0
		.amdhsa_user_sgpr_flat_scratch_init 0
		.amdhsa_user_sgpr_kernarg_preload_length 0
		.amdhsa_user_sgpr_kernarg_preload_offset 0
		.amdhsa_user_sgpr_private_segment_size 0
		.amdhsa_uses_dynamic_stack 0
		.amdhsa_system_sgpr_private_segment_wavefront_offset 0
		.amdhsa_system_sgpr_workgroup_id_x 1
		.amdhsa_system_sgpr_workgroup_id_y 0
		.amdhsa_system_sgpr_workgroup_id_z 0
		.amdhsa_system_sgpr_workgroup_info 0
		.amdhsa_system_vgpr_workitem_id 0
		.amdhsa_next_free_vgpr 46
		.amdhsa_next_free_sgpr 44
		.amdhsa_accum_offset 48
		.amdhsa_reserve_vcc 1
		.amdhsa_reserve_flat_scratch 0
		.amdhsa_float_round_mode_32 0
		.amdhsa_float_round_mode_16_64 0
		.amdhsa_float_denorm_mode_32 3
		.amdhsa_float_denorm_mode_16_64 3
		.amdhsa_dx10_clamp 1
		.amdhsa_ieee_mode 1
		.amdhsa_fp16_overflow 0
		.amdhsa_tg_split 0
		.amdhsa_exception_fp_ieee_invalid_op 0
		.amdhsa_exception_fp_denorm_src 0
		.amdhsa_exception_fp_ieee_div_zero 0
		.amdhsa_exception_fp_ieee_overflow 0
		.amdhsa_exception_fp_ieee_underflow 0
		.amdhsa_exception_fp_ieee_inexact 0
		.amdhsa_exception_int_div_zero 0
	.end_amdhsa_kernel
	.section	.text._ZN7rocprim17ROCPRIM_400000_NS6detail17trampoline_kernelINS0_14default_configENS1_25partition_config_selectorILNS1_17partition_subalgoE3EyNS0_10empty_typeEbEEZZNS1_14partition_implILS5_3ELb0ES3_jN6thrust23THRUST_200600_302600_NS6detail15normal_iteratorINSA_7pointerIyNSA_11hip_rocprim3tagENSA_11use_defaultESG_EEEEPS6_SJ_NS0_5tupleIJPySJ_EEENSK_IJSJ_SJ_EEES6_PlJ7is_evenIyEEEE10hipError_tPvRmT3_T4_T5_T6_T7_T9_mT8_P12ihipStream_tbDpT10_ENKUlT_T0_E_clISt17integral_constantIbLb0EES19_IbLb1EEEEDaS15_S16_EUlS15_E_NS1_11comp_targetILNS1_3genE4ELNS1_11target_archE910ELNS1_3gpuE8ELNS1_3repE0EEENS1_30default_config_static_selectorELNS0_4arch9wavefront6targetE1EEEvT1_,"axG",@progbits,_ZN7rocprim17ROCPRIM_400000_NS6detail17trampoline_kernelINS0_14default_configENS1_25partition_config_selectorILNS1_17partition_subalgoE3EyNS0_10empty_typeEbEEZZNS1_14partition_implILS5_3ELb0ES3_jN6thrust23THRUST_200600_302600_NS6detail15normal_iteratorINSA_7pointerIyNSA_11hip_rocprim3tagENSA_11use_defaultESG_EEEEPS6_SJ_NS0_5tupleIJPySJ_EEENSK_IJSJ_SJ_EEES6_PlJ7is_evenIyEEEE10hipError_tPvRmT3_T4_T5_T6_T7_T9_mT8_P12ihipStream_tbDpT10_ENKUlT_T0_E_clISt17integral_constantIbLb0EES19_IbLb1EEEEDaS15_S16_EUlS15_E_NS1_11comp_targetILNS1_3genE4ELNS1_11target_archE910ELNS1_3gpuE8ELNS1_3repE0EEENS1_30default_config_static_selectorELNS0_4arch9wavefront6targetE1EEEvT1_,comdat
.Lfunc_end700:
	.size	_ZN7rocprim17ROCPRIM_400000_NS6detail17trampoline_kernelINS0_14default_configENS1_25partition_config_selectorILNS1_17partition_subalgoE3EyNS0_10empty_typeEbEEZZNS1_14partition_implILS5_3ELb0ES3_jN6thrust23THRUST_200600_302600_NS6detail15normal_iteratorINSA_7pointerIyNSA_11hip_rocprim3tagENSA_11use_defaultESG_EEEEPS6_SJ_NS0_5tupleIJPySJ_EEENSK_IJSJ_SJ_EEES6_PlJ7is_evenIyEEEE10hipError_tPvRmT3_T4_T5_T6_T7_T9_mT8_P12ihipStream_tbDpT10_ENKUlT_T0_E_clISt17integral_constantIbLb0EES19_IbLb1EEEEDaS15_S16_EUlS15_E_NS1_11comp_targetILNS1_3genE4ELNS1_11target_archE910ELNS1_3gpuE8ELNS1_3repE0EEENS1_30default_config_static_selectorELNS0_4arch9wavefront6targetE1EEEvT1_, .Lfunc_end700-_ZN7rocprim17ROCPRIM_400000_NS6detail17trampoline_kernelINS0_14default_configENS1_25partition_config_selectorILNS1_17partition_subalgoE3EyNS0_10empty_typeEbEEZZNS1_14partition_implILS5_3ELb0ES3_jN6thrust23THRUST_200600_302600_NS6detail15normal_iteratorINSA_7pointerIyNSA_11hip_rocprim3tagENSA_11use_defaultESG_EEEEPS6_SJ_NS0_5tupleIJPySJ_EEENSK_IJSJ_SJ_EEES6_PlJ7is_evenIyEEEE10hipError_tPvRmT3_T4_T5_T6_T7_T9_mT8_P12ihipStream_tbDpT10_ENKUlT_T0_E_clISt17integral_constantIbLb0EES19_IbLb1EEEEDaS15_S16_EUlS15_E_NS1_11comp_targetILNS1_3genE4ELNS1_11target_archE910ELNS1_3gpuE8ELNS1_3repE0EEENS1_30default_config_static_selectorELNS0_4arch9wavefront6targetE1EEEvT1_
                                        ; -- End function
	.section	.AMDGPU.csdata,"",@progbits
; Kernel info:
; codeLenInByte = 4120
; NumSgprs: 48
; NumVgprs: 46
; NumAgprs: 0
; TotalNumVgprs: 46
; ScratchSize: 0
; MemoryBound: 0
; FloatMode: 240
; IeeeMode: 1
; LDSByteSize: 6344 bytes/workgroup (compile time only)
; SGPRBlocks: 5
; VGPRBlocks: 5
; NumSGPRsForWavesPerEU: 48
; NumVGPRsForWavesPerEU: 46
; AccumOffset: 48
; Occupancy: 8
; WaveLimiterHint : 1
; COMPUTE_PGM_RSRC2:SCRATCH_EN: 0
; COMPUTE_PGM_RSRC2:USER_SGPR: 6
; COMPUTE_PGM_RSRC2:TRAP_HANDLER: 0
; COMPUTE_PGM_RSRC2:TGID_X_EN: 1
; COMPUTE_PGM_RSRC2:TGID_Y_EN: 0
; COMPUTE_PGM_RSRC2:TGID_Z_EN: 0
; COMPUTE_PGM_RSRC2:TIDIG_COMP_CNT: 0
; COMPUTE_PGM_RSRC3_GFX90A:ACCUM_OFFSET: 11
; COMPUTE_PGM_RSRC3_GFX90A:TG_SPLIT: 0
	.section	.text._ZN7rocprim17ROCPRIM_400000_NS6detail17trampoline_kernelINS0_14default_configENS1_25partition_config_selectorILNS1_17partition_subalgoE3EyNS0_10empty_typeEbEEZZNS1_14partition_implILS5_3ELb0ES3_jN6thrust23THRUST_200600_302600_NS6detail15normal_iteratorINSA_7pointerIyNSA_11hip_rocprim3tagENSA_11use_defaultESG_EEEEPS6_SJ_NS0_5tupleIJPySJ_EEENSK_IJSJ_SJ_EEES6_PlJ7is_evenIyEEEE10hipError_tPvRmT3_T4_T5_T6_T7_T9_mT8_P12ihipStream_tbDpT10_ENKUlT_T0_E_clISt17integral_constantIbLb0EES19_IbLb1EEEEDaS15_S16_EUlS15_E_NS1_11comp_targetILNS1_3genE3ELNS1_11target_archE908ELNS1_3gpuE7ELNS1_3repE0EEENS1_30default_config_static_selectorELNS0_4arch9wavefront6targetE1EEEvT1_,"axG",@progbits,_ZN7rocprim17ROCPRIM_400000_NS6detail17trampoline_kernelINS0_14default_configENS1_25partition_config_selectorILNS1_17partition_subalgoE3EyNS0_10empty_typeEbEEZZNS1_14partition_implILS5_3ELb0ES3_jN6thrust23THRUST_200600_302600_NS6detail15normal_iteratorINSA_7pointerIyNSA_11hip_rocprim3tagENSA_11use_defaultESG_EEEEPS6_SJ_NS0_5tupleIJPySJ_EEENSK_IJSJ_SJ_EEES6_PlJ7is_evenIyEEEE10hipError_tPvRmT3_T4_T5_T6_T7_T9_mT8_P12ihipStream_tbDpT10_ENKUlT_T0_E_clISt17integral_constantIbLb0EES19_IbLb1EEEEDaS15_S16_EUlS15_E_NS1_11comp_targetILNS1_3genE3ELNS1_11target_archE908ELNS1_3gpuE7ELNS1_3repE0EEENS1_30default_config_static_selectorELNS0_4arch9wavefront6targetE1EEEvT1_,comdat
	.protected	_ZN7rocprim17ROCPRIM_400000_NS6detail17trampoline_kernelINS0_14default_configENS1_25partition_config_selectorILNS1_17partition_subalgoE3EyNS0_10empty_typeEbEEZZNS1_14partition_implILS5_3ELb0ES3_jN6thrust23THRUST_200600_302600_NS6detail15normal_iteratorINSA_7pointerIyNSA_11hip_rocprim3tagENSA_11use_defaultESG_EEEEPS6_SJ_NS0_5tupleIJPySJ_EEENSK_IJSJ_SJ_EEES6_PlJ7is_evenIyEEEE10hipError_tPvRmT3_T4_T5_T6_T7_T9_mT8_P12ihipStream_tbDpT10_ENKUlT_T0_E_clISt17integral_constantIbLb0EES19_IbLb1EEEEDaS15_S16_EUlS15_E_NS1_11comp_targetILNS1_3genE3ELNS1_11target_archE908ELNS1_3gpuE7ELNS1_3repE0EEENS1_30default_config_static_selectorELNS0_4arch9wavefront6targetE1EEEvT1_ ; -- Begin function _ZN7rocprim17ROCPRIM_400000_NS6detail17trampoline_kernelINS0_14default_configENS1_25partition_config_selectorILNS1_17partition_subalgoE3EyNS0_10empty_typeEbEEZZNS1_14partition_implILS5_3ELb0ES3_jN6thrust23THRUST_200600_302600_NS6detail15normal_iteratorINSA_7pointerIyNSA_11hip_rocprim3tagENSA_11use_defaultESG_EEEEPS6_SJ_NS0_5tupleIJPySJ_EEENSK_IJSJ_SJ_EEES6_PlJ7is_evenIyEEEE10hipError_tPvRmT3_T4_T5_T6_T7_T9_mT8_P12ihipStream_tbDpT10_ENKUlT_T0_E_clISt17integral_constantIbLb0EES19_IbLb1EEEEDaS15_S16_EUlS15_E_NS1_11comp_targetILNS1_3genE3ELNS1_11target_archE908ELNS1_3gpuE7ELNS1_3repE0EEENS1_30default_config_static_selectorELNS0_4arch9wavefront6targetE1EEEvT1_
	.globl	_ZN7rocprim17ROCPRIM_400000_NS6detail17trampoline_kernelINS0_14default_configENS1_25partition_config_selectorILNS1_17partition_subalgoE3EyNS0_10empty_typeEbEEZZNS1_14partition_implILS5_3ELb0ES3_jN6thrust23THRUST_200600_302600_NS6detail15normal_iteratorINSA_7pointerIyNSA_11hip_rocprim3tagENSA_11use_defaultESG_EEEEPS6_SJ_NS0_5tupleIJPySJ_EEENSK_IJSJ_SJ_EEES6_PlJ7is_evenIyEEEE10hipError_tPvRmT3_T4_T5_T6_T7_T9_mT8_P12ihipStream_tbDpT10_ENKUlT_T0_E_clISt17integral_constantIbLb0EES19_IbLb1EEEEDaS15_S16_EUlS15_E_NS1_11comp_targetILNS1_3genE3ELNS1_11target_archE908ELNS1_3gpuE7ELNS1_3repE0EEENS1_30default_config_static_selectorELNS0_4arch9wavefront6targetE1EEEvT1_
	.p2align	8
	.type	_ZN7rocprim17ROCPRIM_400000_NS6detail17trampoline_kernelINS0_14default_configENS1_25partition_config_selectorILNS1_17partition_subalgoE3EyNS0_10empty_typeEbEEZZNS1_14partition_implILS5_3ELb0ES3_jN6thrust23THRUST_200600_302600_NS6detail15normal_iteratorINSA_7pointerIyNSA_11hip_rocprim3tagENSA_11use_defaultESG_EEEEPS6_SJ_NS0_5tupleIJPySJ_EEENSK_IJSJ_SJ_EEES6_PlJ7is_evenIyEEEE10hipError_tPvRmT3_T4_T5_T6_T7_T9_mT8_P12ihipStream_tbDpT10_ENKUlT_T0_E_clISt17integral_constantIbLb0EES19_IbLb1EEEEDaS15_S16_EUlS15_E_NS1_11comp_targetILNS1_3genE3ELNS1_11target_archE908ELNS1_3gpuE7ELNS1_3repE0EEENS1_30default_config_static_selectorELNS0_4arch9wavefront6targetE1EEEvT1_,@function
_ZN7rocprim17ROCPRIM_400000_NS6detail17trampoline_kernelINS0_14default_configENS1_25partition_config_selectorILNS1_17partition_subalgoE3EyNS0_10empty_typeEbEEZZNS1_14partition_implILS5_3ELb0ES3_jN6thrust23THRUST_200600_302600_NS6detail15normal_iteratorINSA_7pointerIyNSA_11hip_rocprim3tagENSA_11use_defaultESG_EEEEPS6_SJ_NS0_5tupleIJPySJ_EEENSK_IJSJ_SJ_EEES6_PlJ7is_evenIyEEEE10hipError_tPvRmT3_T4_T5_T6_T7_T9_mT8_P12ihipStream_tbDpT10_ENKUlT_T0_E_clISt17integral_constantIbLb0EES19_IbLb1EEEEDaS15_S16_EUlS15_E_NS1_11comp_targetILNS1_3genE3ELNS1_11target_archE908ELNS1_3gpuE7ELNS1_3repE0EEENS1_30default_config_static_selectorELNS0_4arch9wavefront6targetE1EEEvT1_: ; @_ZN7rocprim17ROCPRIM_400000_NS6detail17trampoline_kernelINS0_14default_configENS1_25partition_config_selectorILNS1_17partition_subalgoE3EyNS0_10empty_typeEbEEZZNS1_14partition_implILS5_3ELb0ES3_jN6thrust23THRUST_200600_302600_NS6detail15normal_iteratorINSA_7pointerIyNSA_11hip_rocprim3tagENSA_11use_defaultESG_EEEEPS6_SJ_NS0_5tupleIJPySJ_EEENSK_IJSJ_SJ_EEES6_PlJ7is_evenIyEEEE10hipError_tPvRmT3_T4_T5_T6_T7_T9_mT8_P12ihipStream_tbDpT10_ENKUlT_T0_E_clISt17integral_constantIbLb0EES19_IbLb1EEEEDaS15_S16_EUlS15_E_NS1_11comp_targetILNS1_3genE3ELNS1_11target_archE908ELNS1_3gpuE7ELNS1_3repE0EEENS1_30default_config_static_selectorELNS0_4arch9wavefront6targetE1EEEvT1_
; %bb.0:
	.section	.rodata,"a",@progbits
	.p2align	6, 0x0
	.amdhsa_kernel _ZN7rocprim17ROCPRIM_400000_NS6detail17trampoline_kernelINS0_14default_configENS1_25partition_config_selectorILNS1_17partition_subalgoE3EyNS0_10empty_typeEbEEZZNS1_14partition_implILS5_3ELb0ES3_jN6thrust23THRUST_200600_302600_NS6detail15normal_iteratorINSA_7pointerIyNSA_11hip_rocprim3tagENSA_11use_defaultESG_EEEEPS6_SJ_NS0_5tupleIJPySJ_EEENSK_IJSJ_SJ_EEES6_PlJ7is_evenIyEEEE10hipError_tPvRmT3_T4_T5_T6_T7_T9_mT8_P12ihipStream_tbDpT10_ENKUlT_T0_E_clISt17integral_constantIbLb0EES19_IbLb1EEEEDaS15_S16_EUlS15_E_NS1_11comp_targetILNS1_3genE3ELNS1_11target_archE908ELNS1_3gpuE7ELNS1_3repE0EEENS1_30default_config_static_selectorELNS0_4arch9wavefront6targetE1EEEvT1_
		.amdhsa_group_segment_fixed_size 0
		.amdhsa_private_segment_fixed_size 0
		.amdhsa_kernarg_size 136
		.amdhsa_user_sgpr_count 6
		.amdhsa_user_sgpr_private_segment_buffer 1
		.amdhsa_user_sgpr_dispatch_ptr 0
		.amdhsa_user_sgpr_queue_ptr 0
		.amdhsa_user_sgpr_kernarg_segment_ptr 1
		.amdhsa_user_sgpr_dispatch_id 0
		.amdhsa_user_sgpr_flat_scratch_init 0
		.amdhsa_user_sgpr_kernarg_preload_length 0
		.amdhsa_user_sgpr_kernarg_preload_offset 0
		.amdhsa_user_sgpr_private_segment_size 0
		.amdhsa_uses_dynamic_stack 0
		.amdhsa_system_sgpr_private_segment_wavefront_offset 0
		.amdhsa_system_sgpr_workgroup_id_x 1
		.amdhsa_system_sgpr_workgroup_id_y 0
		.amdhsa_system_sgpr_workgroup_id_z 0
		.amdhsa_system_sgpr_workgroup_info 0
		.amdhsa_system_vgpr_workitem_id 0
		.amdhsa_next_free_vgpr 1
		.amdhsa_next_free_sgpr 0
		.amdhsa_accum_offset 4
		.amdhsa_reserve_vcc 0
		.amdhsa_reserve_flat_scratch 0
		.amdhsa_float_round_mode_32 0
		.amdhsa_float_round_mode_16_64 0
		.amdhsa_float_denorm_mode_32 3
		.amdhsa_float_denorm_mode_16_64 3
		.amdhsa_dx10_clamp 1
		.amdhsa_ieee_mode 1
		.amdhsa_fp16_overflow 0
		.amdhsa_tg_split 0
		.amdhsa_exception_fp_ieee_invalid_op 0
		.amdhsa_exception_fp_denorm_src 0
		.amdhsa_exception_fp_ieee_div_zero 0
		.amdhsa_exception_fp_ieee_overflow 0
		.amdhsa_exception_fp_ieee_underflow 0
		.amdhsa_exception_fp_ieee_inexact 0
		.amdhsa_exception_int_div_zero 0
	.end_amdhsa_kernel
	.section	.text._ZN7rocprim17ROCPRIM_400000_NS6detail17trampoline_kernelINS0_14default_configENS1_25partition_config_selectorILNS1_17partition_subalgoE3EyNS0_10empty_typeEbEEZZNS1_14partition_implILS5_3ELb0ES3_jN6thrust23THRUST_200600_302600_NS6detail15normal_iteratorINSA_7pointerIyNSA_11hip_rocprim3tagENSA_11use_defaultESG_EEEEPS6_SJ_NS0_5tupleIJPySJ_EEENSK_IJSJ_SJ_EEES6_PlJ7is_evenIyEEEE10hipError_tPvRmT3_T4_T5_T6_T7_T9_mT8_P12ihipStream_tbDpT10_ENKUlT_T0_E_clISt17integral_constantIbLb0EES19_IbLb1EEEEDaS15_S16_EUlS15_E_NS1_11comp_targetILNS1_3genE3ELNS1_11target_archE908ELNS1_3gpuE7ELNS1_3repE0EEENS1_30default_config_static_selectorELNS0_4arch9wavefront6targetE1EEEvT1_,"axG",@progbits,_ZN7rocprim17ROCPRIM_400000_NS6detail17trampoline_kernelINS0_14default_configENS1_25partition_config_selectorILNS1_17partition_subalgoE3EyNS0_10empty_typeEbEEZZNS1_14partition_implILS5_3ELb0ES3_jN6thrust23THRUST_200600_302600_NS6detail15normal_iteratorINSA_7pointerIyNSA_11hip_rocprim3tagENSA_11use_defaultESG_EEEEPS6_SJ_NS0_5tupleIJPySJ_EEENSK_IJSJ_SJ_EEES6_PlJ7is_evenIyEEEE10hipError_tPvRmT3_T4_T5_T6_T7_T9_mT8_P12ihipStream_tbDpT10_ENKUlT_T0_E_clISt17integral_constantIbLb0EES19_IbLb1EEEEDaS15_S16_EUlS15_E_NS1_11comp_targetILNS1_3genE3ELNS1_11target_archE908ELNS1_3gpuE7ELNS1_3repE0EEENS1_30default_config_static_selectorELNS0_4arch9wavefront6targetE1EEEvT1_,comdat
.Lfunc_end701:
	.size	_ZN7rocprim17ROCPRIM_400000_NS6detail17trampoline_kernelINS0_14default_configENS1_25partition_config_selectorILNS1_17partition_subalgoE3EyNS0_10empty_typeEbEEZZNS1_14partition_implILS5_3ELb0ES3_jN6thrust23THRUST_200600_302600_NS6detail15normal_iteratorINSA_7pointerIyNSA_11hip_rocprim3tagENSA_11use_defaultESG_EEEEPS6_SJ_NS0_5tupleIJPySJ_EEENSK_IJSJ_SJ_EEES6_PlJ7is_evenIyEEEE10hipError_tPvRmT3_T4_T5_T6_T7_T9_mT8_P12ihipStream_tbDpT10_ENKUlT_T0_E_clISt17integral_constantIbLb0EES19_IbLb1EEEEDaS15_S16_EUlS15_E_NS1_11comp_targetILNS1_3genE3ELNS1_11target_archE908ELNS1_3gpuE7ELNS1_3repE0EEENS1_30default_config_static_selectorELNS0_4arch9wavefront6targetE1EEEvT1_, .Lfunc_end701-_ZN7rocprim17ROCPRIM_400000_NS6detail17trampoline_kernelINS0_14default_configENS1_25partition_config_selectorILNS1_17partition_subalgoE3EyNS0_10empty_typeEbEEZZNS1_14partition_implILS5_3ELb0ES3_jN6thrust23THRUST_200600_302600_NS6detail15normal_iteratorINSA_7pointerIyNSA_11hip_rocprim3tagENSA_11use_defaultESG_EEEEPS6_SJ_NS0_5tupleIJPySJ_EEENSK_IJSJ_SJ_EEES6_PlJ7is_evenIyEEEE10hipError_tPvRmT3_T4_T5_T6_T7_T9_mT8_P12ihipStream_tbDpT10_ENKUlT_T0_E_clISt17integral_constantIbLb0EES19_IbLb1EEEEDaS15_S16_EUlS15_E_NS1_11comp_targetILNS1_3genE3ELNS1_11target_archE908ELNS1_3gpuE7ELNS1_3repE0EEENS1_30default_config_static_selectorELNS0_4arch9wavefront6targetE1EEEvT1_
                                        ; -- End function
	.section	.AMDGPU.csdata,"",@progbits
; Kernel info:
; codeLenInByte = 0
; NumSgprs: 4
; NumVgprs: 0
; NumAgprs: 0
; TotalNumVgprs: 0
; ScratchSize: 0
; MemoryBound: 0
; FloatMode: 240
; IeeeMode: 1
; LDSByteSize: 0 bytes/workgroup (compile time only)
; SGPRBlocks: 0
; VGPRBlocks: 0
; NumSGPRsForWavesPerEU: 4
; NumVGPRsForWavesPerEU: 1
; AccumOffset: 4
; Occupancy: 8
; WaveLimiterHint : 0
; COMPUTE_PGM_RSRC2:SCRATCH_EN: 0
; COMPUTE_PGM_RSRC2:USER_SGPR: 6
; COMPUTE_PGM_RSRC2:TRAP_HANDLER: 0
; COMPUTE_PGM_RSRC2:TGID_X_EN: 1
; COMPUTE_PGM_RSRC2:TGID_Y_EN: 0
; COMPUTE_PGM_RSRC2:TGID_Z_EN: 0
; COMPUTE_PGM_RSRC2:TIDIG_COMP_CNT: 0
; COMPUTE_PGM_RSRC3_GFX90A:ACCUM_OFFSET: 0
; COMPUTE_PGM_RSRC3_GFX90A:TG_SPLIT: 0
	.section	.text._ZN7rocprim17ROCPRIM_400000_NS6detail17trampoline_kernelINS0_14default_configENS1_25partition_config_selectorILNS1_17partition_subalgoE3EyNS0_10empty_typeEbEEZZNS1_14partition_implILS5_3ELb0ES3_jN6thrust23THRUST_200600_302600_NS6detail15normal_iteratorINSA_7pointerIyNSA_11hip_rocprim3tagENSA_11use_defaultESG_EEEEPS6_SJ_NS0_5tupleIJPySJ_EEENSK_IJSJ_SJ_EEES6_PlJ7is_evenIyEEEE10hipError_tPvRmT3_T4_T5_T6_T7_T9_mT8_P12ihipStream_tbDpT10_ENKUlT_T0_E_clISt17integral_constantIbLb0EES19_IbLb1EEEEDaS15_S16_EUlS15_E_NS1_11comp_targetILNS1_3genE2ELNS1_11target_archE906ELNS1_3gpuE6ELNS1_3repE0EEENS1_30default_config_static_selectorELNS0_4arch9wavefront6targetE1EEEvT1_,"axG",@progbits,_ZN7rocprim17ROCPRIM_400000_NS6detail17trampoline_kernelINS0_14default_configENS1_25partition_config_selectorILNS1_17partition_subalgoE3EyNS0_10empty_typeEbEEZZNS1_14partition_implILS5_3ELb0ES3_jN6thrust23THRUST_200600_302600_NS6detail15normal_iteratorINSA_7pointerIyNSA_11hip_rocprim3tagENSA_11use_defaultESG_EEEEPS6_SJ_NS0_5tupleIJPySJ_EEENSK_IJSJ_SJ_EEES6_PlJ7is_evenIyEEEE10hipError_tPvRmT3_T4_T5_T6_T7_T9_mT8_P12ihipStream_tbDpT10_ENKUlT_T0_E_clISt17integral_constantIbLb0EES19_IbLb1EEEEDaS15_S16_EUlS15_E_NS1_11comp_targetILNS1_3genE2ELNS1_11target_archE906ELNS1_3gpuE6ELNS1_3repE0EEENS1_30default_config_static_selectorELNS0_4arch9wavefront6targetE1EEEvT1_,comdat
	.protected	_ZN7rocprim17ROCPRIM_400000_NS6detail17trampoline_kernelINS0_14default_configENS1_25partition_config_selectorILNS1_17partition_subalgoE3EyNS0_10empty_typeEbEEZZNS1_14partition_implILS5_3ELb0ES3_jN6thrust23THRUST_200600_302600_NS6detail15normal_iteratorINSA_7pointerIyNSA_11hip_rocprim3tagENSA_11use_defaultESG_EEEEPS6_SJ_NS0_5tupleIJPySJ_EEENSK_IJSJ_SJ_EEES6_PlJ7is_evenIyEEEE10hipError_tPvRmT3_T4_T5_T6_T7_T9_mT8_P12ihipStream_tbDpT10_ENKUlT_T0_E_clISt17integral_constantIbLb0EES19_IbLb1EEEEDaS15_S16_EUlS15_E_NS1_11comp_targetILNS1_3genE2ELNS1_11target_archE906ELNS1_3gpuE6ELNS1_3repE0EEENS1_30default_config_static_selectorELNS0_4arch9wavefront6targetE1EEEvT1_ ; -- Begin function _ZN7rocprim17ROCPRIM_400000_NS6detail17trampoline_kernelINS0_14default_configENS1_25partition_config_selectorILNS1_17partition_subalgoE3EyNS0_10empty_typeEbEEZZNS1_14partition_implILS5_3ELb0ES3_jN6thrust23THRUST_200600_302600_NS6detail15normal_iteratorINSA_7pointerIyNSA_11hip_rocprim3tagENSA_11use_defaultESG_EEEEPS6_SJ_NS0_5tupleIJPySJ_EEENSK_IJSJ_SJ_EEES6_PlJ7is_evenIyEEEE10hipError_tPvRmT3_T4_T5_T6_T7_T9_mT8_P12ihipStream_tbDpT10_ENKUlT_T0_E_clISt17integral_constantIbLb0EES19_IbLb1EEEEDaS15_S16_EUlS15_E_NS1_11comp_targetILNS1_3genE2ELNS1_11target_archE906ELNS1_3gpuE6ELNS1_3repE0EEENS1_30default_config_static_selectorELNS0_4arch9wavefront6targetE1EEEvT1_
	.globl	_ZN7rocprim17ROCPRIM_400000_NS6detail17trampoline_kernelINS0_14default_configENS1_25partition_config_selectorILNS1_17partition_subalgoE3EyNS0_10empty_typeEbEEZZNS1_14partition_implILS5_3ELb0ES3_jN6thrust23THRUST_200600_302600_NS6detail15normal_iteratorINSA_7pointerIyNSA_11hip_rocprim3tagENSA_11use_defaultESG_EEEEPS6_SJ_NS0_5tupleIJPySJ_EEENSK_IJSJ_SJ_EEES6_PlJ7is_evenIyEEEE10hipError_tPvRmT3_T4_T5_T6_T7_T9_mT8_P12ihipStream_tbDpT10_ENKUlT_T0_E_clISt17integral_constantIbLb0EES19_IbLb1EEEEDaS15_S16_EUlS15_E_NS1_11comp_targetILNS1_3genE2ELNS1_11target_archE906ELNS1_3gpuE6ELNS1_3repE0EEENS1_30default_config_static_selectorELNS0_4arch9wavefront6targetE1EEEvT1_
	.p2align	8
	.type	_ZN7rocprim17ROCPRIM_400000_NS6detail17trampoline_kernelINS0_14default_configENS1_25partition_config_selectorILNS1_17partition_subalgoE3EyNS0_10empty_typeEbEEZZNS1_14partition_implILS5_3ELb0ES3_jN6thrust23THRUST_200600_302600_NS6detail15normal_iteratorINSA_7pointerIyNSA_11hip_rocprim3tagENSA_11use_defaultESG_EEEEPS6_SJ_NS0_5tupleIJPySJ_EEENSK_IJSJ_SJ_EEES6_PlJ7is_evenIyEEEE10hipError_tPvRmT3_T4_T5_T6_T7_T9_mT8_P12ihipStream_tbDpT10_ENKUlT_T0_E_clISt17integral_constantIbLb0EES19_IbLb1EEEEDaS15_S16_EUlS15_E_NS1_11comp_targetILNS1_3genE2ELNS1_11target_archE906ELNS1_3gpuE6ELNS1_3repE0EEENS1_30default_config_static_selectorELNS0_4arch9wavefront6targetE1EEEvT1_,@function
_ZN7rocprim17ROCPRIM_400000_NS6detail17trampoline_kernelINS0_14default_configENS1_25partition_config_selectorILNS1_17partition_subalgoE3EyNS0_10empty_typeEbEEZZNS1_14partition_implILS5_3ELb0ES3_jN6thrust23THRUST_200600_302600_NS6detail15normal_iteratorINSA_7pointerIyNSA_11hip_rocprim3tagENSA_11use_defaultESG_EEEEPS6_SJ_NS0_5tupleIJPySJ_EEENSK_IJSJ_SJ_EEES6_PlJ7is_evenIyEEEE10hipError_tPvRmT3_T4_T5_T6_T7_T9_mT8_P12ihipStream_tbDpT10_ENKUlT_T0_E_clISt17integral_constantIbLb0EES19_IbLb1EEEEDaS15_S16_EUlS15_E_NS1_11comp_targetILNS1_3genE2ELNS1_11target_archE906ELNS1_3gpuE6ELNS1_3repE0EEENS1_30default_config_static_selectorELNS0_4arch9wavefront6targetE1EEEvT1_: ; @_ZN7rocprim17ROCPRIM_400000_NS6detail17trampoline_kernelINS0_14default_configENS1_25partition_config_selectorILNS1_17partition_subalgoE3EyNS0_10empty_typeEbEEZZNS1_14partition_implILS5_3ELb0ES3_jN6thrust23THRUST_200600_302600_NS6detail15normal_iteratorINSA_7pointerIyNSA_11hip_rocprim3tagENSA_11use_defaultESG_EEEEPS6_SJ_NS0_5tupleIJPySJ_EEENSK_IJSJ_SJ_EEES6_PlJ7is_evenIyEEEE10hipError_tPvRmT3_T4_T5_T6_T7_T9_mT8_P12ihipStream_tbDpT10_ENKUlT_T0_E_clISt17integral_constantIbLb0EES19_IbLb1EEEEDaS15_S16_EUlS15_E_NS1_11comp_targetILNS1_3genE2ELNS1_11target_archE906ELNS1_3gpuE6ELNS1_3repE0EEENS1_30default_config_static_selectorELNS0_4arch9wavefront6targetE1EEEvT1_
; %bb.0:
	.section	.rodata,"a",@progbits
	.p2align	6, 0x0
	.amdhsa_kernel _ZN7rocprim17ROCPRIM_400000_NS6detail17trampoline_kernelINS0_14default_configENS1_25partition_config_selectorILNS1_17partition_subalgoE3EyNS0_10empty_typeEbEEZZNS1_14partition_implILS5_3ELb0ES3_jN6thrust23THRUST_200600_302600_NS6detail15normal_iteratorINSA_7pointerIyNSA_11hip_rocprim3tagENSA_11use_defaultESG_EEEEPS6_SJ_NS0_5tupleIJPySJ_EEENSK_IJSJ_SJ_EEES6_PlJ7is_evenIyEEEE10hipError_tPvRmT3_T4_T5_T6_T7_T9_mT8_P12ihipStream_tbDpT10_ENKUlT_T0_E_clISt17integral_constantIbLb0EES19_IbLb1EEEEDaS15_S16_EUlS15_E_NS1_11comp_targetILNS1_3genE2ELNS1_11target_archE906ELNS1_3gpuE6ELNS1_3repE0EEENS1_30default_config_static_selectorELNS0_4arch9wavefront6targetE1EEEvT1_
		.amdhsa_group_segment_fixed_size 0
		.amdhsa_private_segment_fixed_size 0
		.amdhsa_kernarg_size 136
		.amdhsa_user_sgpr_count 6
		.amdhsa_user_sgpr_private_segment_buffer 1
		.amdhsa_user_sgpr_dispatch_ptr 0
		.amdhsa_user_sgpr_queue_ptr 0
		.amdhsa_user_sgpr_kernarg_segment_ptr 1
		.amdhsa_user_sgpr_dispatch_id 0
		.amdhsa_user_sgpr_flat_scratch_init 0
		.amdhsa_user_sgpr_kernarg_preload_length 0
		.amdhsa_user_sgpr_kernarg_preload_offset 0
		.amdhsa_user_sgpr_private_segment_size 0
		.amdhsa_uses_dynamic_stack 0
		.amdhsa_system_sgpr_private_segment_wavefront_offset 0
		.amdhsa_system_sgpr_workgroup_id_x 1
		.amdhsa_system_sgpr_workgroup_id_y 0
		.amdhsa_system_sgpr_workgroup_id_z 0
		.amdhsa_system_sgpr_workgroup_info 0
		.amdhsa_system_vgpr_workitem_id 0
		.amdhsa_next_free_vgpr 1
		.amdhsa_next_free_sgpr 0
		.amdhsa_accum_offset 4
		.amdhsa_reserve_vcc 0
		.amdhsa_reserve_flat_scratch 0
		.amdhsa_float_round_mode_32 0
		.amdhsa_float_round_mode_16_64 0
		.amdhsa_float_denorm_mode_32 3
		.amdhsa_float_denorm_mode_16_64 3
		.amdhsa_dx10_clamp 1
		.amdhsa_ieee_mode 1
		.amdhsa_fp16_overflow 0
		.amdhsa_tg_split 0
		.amdhsa_exception_fp_ieee_invalid_op 0
		.amdhsa_exception_fp_denorm_src 0
		.amdhsa_exception_fp_ieee_div_zero 0
		.amdhsa_exception_fp_ieee_overflow 0
		.amdhsa_exception_fp_ieee_underflow 0
		.amdhsa_exception_fp_ieee_inexact 0
		.amdhsa_exception_int_div_zero 0
	.end_amdhsa_kernel
	.section	.text._ZN7rocprim17ROCPRIM_400000_NS6detail17trampoline_kernelINS0_14default_configENS1_25partition_config_selectorILNS1_17partition_subalgoE3EyNS0_10empty_typeEbEEZZNS1_14partition_implILS5_3ELb0ES3_jN6thrust23THRUST_200600_302600_NS6detail15normal_iteratorINSA_7pointerIyNSA_11hip_rocprim3tagENSA_11use_defaultESG_EEEEPS6_SJ_NS0_5tupleIJPySJ_EEENSK_IJSJ_SJ_EEES6_PlJ7is_evenIyEEEE10hipError_tPvRmT3_T4_T5_T6_T7_T9_mT8_P12ihipStream_tbDpT10_ENKUlT_T0_E_clISt17integral_constantIbLb0EES19_IbLb1EEEEDaS15_S16_EUlS15_E_NS1_11comp_targetILNS1_3genE2ELNS1_11target_archE906ELNS1_3gpuE6ELNS1_3repE0EEENS1_30default_config_static_selectorELNS0_4arch9wavefront6targetE1EEEvT1_,"axG",@progbits,_ZN7rocprim17ROCPRIM_400000_NS6detail17trampoline_kernelINS0_14default_configENS1_25partition_config_selectorILNS1_17partition_subalgoE3EyNS0_10empty_typeEbEEZZNS1_14partition_implILS5_3ELb0ES3_jN6thrust23THRUST_200600_302600_NS6detail15normal_iteratorINSA_7pointerIyNSA_11hip_rocprim3tagENSA_11use_defaultESG_EEEEPS6_SJ_NS0_5tupleIJPySJ_EEENSK_IJSJ_SJ_EEES6_PlJ7is_evenIyEEEE10hipError_tPvRmT3_T4_T5_T6_T7_T9_mT8_P12ihipStream_tbDpT10_ENKUlT_T0_E_clISt17integral_constantIbLb0EES19_IbLb1EEEEDaS15_S16_EUlS15_E_NS1_11comp_targetILNS1_3genE2ELNS1_11target_archE906ELNS1_3gpuE6ELNS1_3repE0EEENS1_30default_config_static_selectorELNS0_4arch9wavefront6targetE1EEEvT1_,comdat
.Lfunc_end702:
	.size	_ZN7rocprim17ROCPRIM_400000_NS6detail17trampoline_kernelINS0_14default_configENS1_25partition_config_selectorILNS1_17partition_subalgoE3EyNS0_10empty_typeEbEEZZNS1_14partition_implILS5_3ELb0ES3_jN6thrust23THRUST_200600_302600_NS6detail15normal_iteratorINSA_7pointerIyNSA_11hip_rocprim3tagENSA_11use_defaultESG_EEEEPS6_SJ_NS0_5tupleIJPySJ_EEENSK_IJSJ_SJ_EEES6_PlJ7is_evenIyEEEE10hipError_tPvRmT3_T4_T5_T6_T7_T9_mT8_P12ihipStream_tbDpT10_ENKUlT_T0_E_clISt17integral_constantIbLb0EES19_IbLb1EEEEDaS15_S16_EUlS15_E_NS1_11comp_targetILNS1_3genE2ELNS1_11target_archE906ELNS1_3gpuE6ELNS1_3repE0EEENS1_30default_config_static_selectorELNS0_4arch9wavefront6targetE1EEEvT1_, .Lfunc_end702-_ZN7rocprim17ROCPRIM_400000_NS6detail17trampoline_kernelINS0_14default_configENS1_25partition_config_selectorILNS1_17partition_subalgoE3EyNS0_10empty_typeEbEEZZNS1_14partition_implILS5_3ELb0ES3_jN6thrust23THRUST_200600_302600_NS6detail15normal_iteratorINSA_7pointerIyNSA_11hip_rocprim3tagENSA_11use_defaultESG_EEEEPS6_SJ_NS0_5tupleIJPySJ_EEENSK_IJSJ_SJ_EEES6_PlJ7is_evenIyEEEE10hipError_tPvRmT3_T4_T5_T6_T7_T9_mT8_P12ihipStream_tbDpT10_ENKUlT_T0_E_clISt17integral_constantIbLb0EES19_IbLb1EEEEDaS15_S16_EUlS15_E_NS1_11comp_targetILNS1_3genE2ELNS1_11target_archE906ELNS1_3gpuE6ELNS1_3repE0EEENS1_30default_config_static_selectorELNS0_4arch9wavefront6targetE1EEEvT1_
                                        ; -- End function
	.section	.AMDGPU.csdata,"",@progbits
; Kernel info:
; codeLenInByte = 0
; NumSgprs: 4
; NumVgprs: 0
; NumAgprs: 0
; TotalNumVgprs: 0
; ScratchSize: 0
; MemoryBound: 0
; FloatMode: 240
; IeeeMode: 1
; LDSByteSize: 0 bytes/workgroup (compile time only)
; SGPRBlocks: 0
; VGPRBlocks: 0
; NumSGPRsForWavesPerEU: 4
; NumVGPRsForWavesPerEU: 1
; AccumOffset: 4
; Occupancy: 8
; WaveLimiterHint : 0
; COMPUTE_PGM_RSRC2:SCRATCH_EN: 0
; COMPUTE_PGM_RSRC2:USER_SGPR: 6
; COMPUTE_PGM_RSRC2:TRAP_HANDLER: 0
; COMPUTE_PGM_RSRC2:TGID_X_EN: 1
; COMPUTE_PGM_RSRC2:TGID_Y_EN: 0
; COMPUTE_PGM_RSRC2:TGID_Z_EN: 0
; COMPUTE_PGM_RSRC2:TIDIG_COMP_CNT: 0
; COMPUTE_PGM_RSRC3_GFX90A:ACCUM_OFFSET: 0
; COMPUTE_PGM_RSRC3_GFX90A:TG_SPLIT: 0
	.section	.text._ZN7rocprim17ROCPRIM_400000_NS6detail17trampoline_kernelINS0_14default_configENS1_25partition_config_selectorILNS1_17partition_subalgoE3EyNS0_10empty_typeEbEEZZNS1_14partition_implILS5_3ELb0ES3_jN6thrust23THRUST_200600_302600_NS6detail15normal_iteratorINSA_7pointerIyNSA_11hip_rocprim3tagENSA_11use_defaultESG_EEEEPS6_SJ_NS0_5tupleIJPySJ_EEENSK_IJSJ_SJ_EEES6_PlJ7is_evenIyEEEE10hipError_tPvRmT3_T4_T5_T6_T7_T9_mT8_P12ihipStream_tbDpT10_ENKUlT_T0_E_clISt17integral_constantIbLb0EES19_IbLb1EEEEDaS15_S16_EUlS15_E_NS1_11comp_targetILNS1_3genE10ELNS1_11target_archE1200ELNS1_3gpuE4ELNS1_3repE0EEENS1_30default_config_static_selectorELNS0_4arch9wavefront6targetE1EEEvT1_,"axG",@progbits,_ZN7rocprim17ROCPRIM_400000_NS6detail17trampoline_kernelINS0_14default_configENS1_25partition_config_selectorILNS1_17partition_subalgoE3EyNS0_10empty_typeEbEEZZNS1_14partition_implILS5_3ELb0ES3_jN6thrust23THRUST_200600_302600_NS6detail15normal_iteratorINSA_7pointerIyNSA_11hip_rocprim3tagENSA_11use_defaultESG_EEEEPS6_SJ_NS0_5tupleIJPySJ_EEENSK_IJSJ_SJ_EEES6_PlJ7is_evenIyEEEE10hipError_tPvRmT3_T4_T5_T6_T7_T9_mT8_P12ihipStream_tbDpT10_ENKUlT_T0_E_clISt17integral_constantIbLb0EES19_IbLb1EEEEDaS15_S16_EUlS15_E_NS1_11comp_targetILNS1_3genE10ELNS1_11target_archE1200ELNS1_3gpuE4ELNS1_3repE0EEENS1_30default_config_static_selectorELNS0_4arch9wavefront6targetE1EEEvT1_,comdat
	.protected	_ZN7rocprim17ROCPRIM_400000_NS6detail17trampoline_kernelINS0_14default_configENS1_25partition_config_selectorILNS1_17partition_subalgoE3EyNS0_10empty_typeEbEEZZNS1_14partition_implILS5_3ELb0ES3_jN6thrust23THRUST_200600_302600_NS6detail15normal_iteratorINSA_7pointerIyNSA_11hip_rocprim3tagENSA_11use_defaultESG_EEEEPS6_SJ_NS0_5tupleIJPySJ_EEENSK_IJSJ_SJ_EEES6_PlJ7is_evenIyEEEE10hipError_tPvRmT3_T4_T5_T6_T7_T9_mT8_P12ihipStream_tbDpT10_ENKUlT_T0_E_clISt17integral_constantIbLb0EES19_IbLb1EEEEDaS15_S16_EUlS15_E_NS1_11comp_targetILNS1_3genE10ELNS1_11target_archE1200ELNS1_3gpuE4ELNS1_3repE0EEENS1_30default_config_static_selectorELNS0_4arch9wavefront6targetE1EEEvT1_ ; -- Begin function _ZN7rocprim17ROCPRIM_400000_NS6detail17trampoline_kernelINS0_14default_configENS1_25partition_config_selectorILNS1_17partition_subalgoE3EyNS0_10empty_typeEbEEZZNS1_14partition_implILS5_3ELb0ES3_jN6thrust23THRUST_200600_302600_NS6detail15normal_iteratorINSA_7pointerIyNSA_11hip_rocprim3tagENSA_11use_defaultESG_EEEEPS6_SJ_NS0_5tupleIJPySJ_EEENSK_IJSJ_SJ_EEES6_PlJ7is_evenIyEEEE10hipError_tPvRmT3_T4_T5_T6_T7_T9_mT8_P12ihipStream_tbDpT10_ENKUlT_T0_E_clISt17integral_constantIbLb0EES19_IbLb1EEEEDaS15_S16_EUlS15_E_NS1_11comp_targetILNS1_3genE10ELNS1_11target_archE1200ELNS1_3gpuE4ELNS1_3repE0EEENS1_30default_config_static_selectorELNS0_4arch9wavefront6targetE1EEEvT1_
	.globl	_ZN7rocprim17ROCPRIM_400000_NS6detail17trampoline_kernelINS0_14default_configENS1_25partition_config_selectorILNS1_17partition_subalgoE3EyNS0_10empty_typeEbEEZZNS1_14partition_implILS5_3ELb0ES3_jN6thrust23THRUST_200600_302600_NS6detail15normal_iteratorINSA_7pointerIyNSA_11hip_rocprim3tagENSA_11use_defaultESG_EEEEPS6_SJ_NS0_5tupleIJPySJ_EEENSK_IJSJ_SJ_EEES6_PlJ7is_evenIyEEEE10hipError_tPvRmT3_T4_T5_T6_T7_T9_mT8_P12ihipStream_tbDpT10_ENKUlT_T0_E_clISt17integral_constantIbLb0EES19_IbLb1EEEEDaS15_S16_EUlS15_E_NS1_11comp_targetILNS1_3genE10ELNS1_11target_archE1200ELNS1_3gpuE4ELNS1_3repE0EEENS1_30default_config_static_selectorELNS0_4arch9wavefront6targetE1EEEvT1_
	.p2align	8
	.type	_ZN7rocprim17ROCPRIM_400000_NS6detail17trampoline_kernelINS0_14default_configENS1_25partition_config_selectorILNS1_17partition_subalgoE3EyNS0_10empty_typeEbEEZZNS1_14partition_implILS5_3ELb0ES3_jN6thrust23THRUST_200600_302600_NS6detail15normal_iteratorINSA_7pointerIyNSA_11hip_rocprim3tagENSA_11use_defaultESG_EEEEPS6_SJ_NS0_5tupleIJPySJ_EEENSK_IJSJ_SJ_EEES6_PlJ7is_evenIyEEEE10hipError_tPvRmT3_T4_T5_T6_T7_T9_mT8_P12ihipStream_tbDpT10_ENKUlT_T0_E_clISt17integral_constantIbLb0EES19_IbLb1EEEEDaS15_S16_EUlS15_E_NS1_11comp_targetILNS1_3genE10ELNS1_11target_archE1200ELNS1_3gpuE4ELNS1_3repE0EEENS1_30default_config_static_selectorELNS0_4arch9wavefront6targetE1EEEvT1_,@function
_ZN7rocprim17ROCPRIM_400000_NS6detail17trampoline_kernelINS0_14default_configENS1_25partition_config_selectorILNS1_17partition_subalgoE3EyNS0_10empty_typeEbEEZZNS1_14partition_implILS5_3ELb0ES3_jN6thrust23THRUST_200600_302600_NS6detail15normal_iteratorINSA_7pointerIyNSA_11hip_rocprim3tagENSA_11use_defaultESG_EEEEPS6_SJ_NS0_5tupleIJPySJ_EEENSK_IJSJ_SJ_EEES6_PlJ7is_evenIyEEEE10hipError_tPvRmT3_T4_T5_T6_T7_T9_mT8_P12ihipStream_tbDpT10_ENKUlT_T0_E_clISt17integral_constantIbLb0EES19_IbLb1EEEEDaS15_S16_EUlS15_E_NS1_11comp_targetILNS1_3genE10ELNS1_11target_archE1200ELNS1_3gpuE4ELNS1_3repE0EEENS1_30default_config_static_selectorELNS0_4arch9wavefront6targetE1EEEvT1_: ; @_ZN7rocprim17ROCPRIM_400000_NS6detail17trampoline_kernelINS0_14default_configENS1_25partition_config_selectorILNS1_17partition_subalgoE3EyNS0_10empty_typeEbEEZZNS1_14partition_implILS5_3ELb0ES3_jN6thrust23THRUST_200600_302600_NS6detail15normal_iteratorINSA_7pointerIyNSA_11hip_rocprim3tagENSA_11use_defaultESG_EEEEPS6_SJ_NS0_5tupleIJPySJ_EEENSK_IJSJ_SJ_EEES6_PlJ7is_evenIyEEEE10hipError_tPvRmT3_T4_T5_T6_T7_T9_mT8_P12ihipStream_tbDpT10_ENKUlT_T0_E_clISt17integral_constantIbLb0EES19_IbLb1EEEEDaS15_S16_EUlS15_E_NS1_11comp_targetILNS1_3genE10ELNS1_11target_archE1200ELNS1_3gpuE4ELNS1_3repE0EEENS1_30default_config_static_selectorELNS0_4arch9wavefront6targetE1EEEvT1_
; %bb.0:
	.section	.rodata,"a",@progbits
	.p2align	6, 0x0
	.amdhsa_kernel _ZN7rocprim17ROCPRIM_400000_NS6detail17trampoline_kernelINS0_14default_configENS1_25partition_config_selectorILNS1_17partition_subalgoE3EyNS0_10empty_typeEbEEZZNS1_14partition_implILS5_3ELb0ES3_jN6thrust23THRUST_200600_302600_NS6detail15normal_iteratorINSA_7pointerIyNSA_11hip_rocprim3tagENSA_11use_defaultESG_EEEEPS6_SJ_NS0_5tupleIJPySJ_EEENSK_IJSJ_SJ_EEES6_PlJ7is_evenIyEEEE10hipError_tPvRmT3_T4_T5_T6_T7_T9_mT8_P12ihipStream_tbDpT10_ENKUlT_T0_E_clISt17integral_constantIbLb0EES19_IbLb1EEEEDaS15_S16_EUlS15_E_NS1_11comp_targetILNS1_3genE10ELNS1_11target_archE1200ELNS1_3gpuE4ELNS1_3repE0EEENS1_30default_config_static_selectorELNS0_4arch9wavefront6targetE1EEEvT1_
		.amdhsa_group_segment_fixed_size 0
		.amdhsa_private_segment_fixed_size 0
		.amdhsa_kernarg_size 136
		.amdhsa_user_sgpr_count 6
		.amdhsa_user_sgpr_private_segment_buffer 1
		.amdhsa_user_sgpr_dispatch_ptr 0
		.amdhsa_user_sgpr_queue_ptr 0
		.amdhsa_user_sgpr_kernarg_segment_ptr 1
		.amdhsa_user_sgpr_dispatch_id 0
		.amdhsa_user_sgpr_flat_scratch_init 0
		.amdhsa_user_sgpr_kernarg_preload_length 0
		.amdhsa_user_sgpr_kernarg_preload_offset 0
		.amdhsa_user_sgpr_private_segment_size 0
		.amdhsa_uses_dynamic_stack 0
		.amdhsa_system_sgpr_private_segment_wavefront_offset 0
		.amdhsa_system_sgpr_workgroup_id_x 1
		.amdhsa_system_sgpr_workgroup_id_y 0
		.amdhsa_system_sgpr_workgroup_id_z 0
		.amdhsa_system_sgpr_workgroup_info 0
		.amdhsa_system_vgpr_workitem_id 0
		.amdhsa_next_free_vgpr 1
		.amdhsa_next_free_sgpr 0
		.amdhsa_accum_offset 4
		.amdhsa_reserve_vcc 0
		.amdhsa_reserve_flat_scratch 0
		.amdhsa_float_round_mode_32 0
		.amdhsa_float_round_mode_16_64 0
		.amdhsa_float_denorm_mode_32 3
		.amdhsa_float_denorm_mode_16_64 3
		.amdhsa_dx10_clamp 1
		.amdhsa_ieee_mode 1
		.amdhsa_fp16_overflow 0
		.amdhsa_tg_split 0
		.amdhsa_exception_fp_ieee_invalid_op 0
		.amdhsa_exception_fp_denorm_src 0
		.amdhsa_exception_fp_ieee_div_zero 0
		.amdhsa_exception_fp_ieee_overflow 0
		.amdhsa_exception_fp_ieee_underflow 0
		.amdhsa_exception_fp_ieee_inexact 0
		.amdhsa_exception_int_div_zero 0
	.end_amdhsa_kernel
	.section	.text._ZN7rocprim17ROCPRIM_400000_NS6detail17trampoline_kernelINS0_14default_configENS1_25partition_config_selectorILNS1_17partition_subalgoE3EyNS0_10empty_typeEbEEZZNS1_14partition_implILS5_3ELb0ES3_jN6thrust23THRUST_200600_302600_NS6detail15normal_iteratorINSA_7pointerIyNSA_11hip_rocprim3tagENSA_11use_defaultESG_EEEEPS6_SJ_NS0_5tupleIJPySJ_EEENSK_IJSJ_SJ_EEES6_PlJ7is_evenIyEEEE10hipError_tPvRmT3_T4_T5_T6_T7_T9_mT8_P12ihipStream_tbDpT10_ENKUlT_T0_E_clISt17integral_constantIbLb0EES19_IbLb1EEEEDaS15_S16_EUlS15_E_NS1_11comp_targetILNS1_3genE10ELNS1_11target_archE1200ELNS1_3gpuE4ELNS1_3repE0EEENS1_30default_config_static_selectorELNS0_4arch9wavefront6targetE1EEEvT1_,"axG",@progbits,_ZN7rocprim17ROCPRIM_400000_NS6detail17trampoline_kernelINS0_14default_configENS1_25partition_config_selectorILNS1_17partition_subalgoE3EyNS0_10empty_typeEbEEZZNS1_14partition_implILS5_3ELb0ES3_jN6thrust23THRUST_200600_302600_NS6detail15normal_iteratorINSA_7pointerIyNSA_11hip_rocprim3tagENSA_11use_defaultESG_EEEEPS6_SJ_NS0_5tupleIJPySJ_EEENSK_IJSJ_SJ_EEES6_PlJ7is_evenIyEEEE10hipError_tPvRmT3_T4_T5_T6_T7_T9_mT8_P12ihipStream_tbDpT10_ENKUlT_T0_E_clISt17integral_constantIbLb0EES19_IbLb1EEEEDaS15_S16_EUlS15_E_NS1_11comp_targetILNS1_3genE10ELNS1_11target_archE1200ELNS1_3gpuE4ELNS1_3repE0EEENS1_30default_config_static_selectorELNS0_4arch9wavefront6targetE1EEEvT1_,comdat
.Lfunc_end703:
	.size	_ZN7rocprim17ROCPRIM_400000_NS6detail17trampoline_kernelINS0_14default_configENS1_25partition_config_selectorILNS1_17partition_subalgoE3EyNS0_10empty_typeEbEEZZNS1_14partition_implILS5_3ELb0ES3_jN6thrust23THRUST_200600_302600_NS6detail15normal_iteratorINSA_7pointerIyNSA_11hip_rocprim3tagENSA_11use_defaultESG_EEEEPS6_SJ_NS0_5tupleIJPySJ_EEENSK_IJSJ_SJ_EEES6_PlJ7is_evenIyEEEE10hipError_tPvRmT3_T4_T5_T6_T7_T9_mT8_P12ihipStream_tbDpT10_ENKUlT_T0_E_clISt17integral_constantIbLb0EES19_IbLb1EEEEDaS15_S16_EUlS15_E_NS1_11comp_targetILNS1_3genE10ELNS1_11target_archE1200ELNS1_3gpuE4ELNS1_3repE0EEENS1_30default_config_static_selectorELNS0_4arch9wavefront6targetE1EEEvT1_, .Lfunc_end703-_ZN7rocprim17ROCPRIM_400000_NS6detail17trampoline_kernelINS0_14default_configENS1_25partition_config_selectorILNS1_17partition_subalgoE3EyNS0_10empty_typeEbEEZZNS1_14partition_implILS5_3ELb0ES3_jN6thrust23THRUST_200600_302600_NS6detail15normal_iteratorINSA_7pointerIyNSA_11hip_rocprim3tagENSA_11use_defaultESG_EEEEPS6_SJ_NS0_5tupleIJPySJ_EEENSK_IJSJ_SJ_EEES6_PlJ7is_evenIyEEEE10hipError_tPvRmT3_T4_T5_T6_T7_T9_mT8_P12ihipStream_tbDpT10_ENKUlT_T0_E_clISt17integral_constantIbLb0EES19_IbLb1EEEEDaS15_S16_EUlS15_E_NS1_11comp_targetILNS1_3genE10ELNS1_11target_archE1200ELNS1_3gpuE4ELNS1_3repE0EEENS1_30default_config_static_selectorELNS0_4arch9wavefront6targetE1EEEvT1_
                                        ; -- End function
	.section	.AMDGPU.csdata,"",@progbits
; Kernel info:
; codeLenInByte = 0
; NumSgprs: 4
; NumVgprs: 0
; NumAgprs: 0
; TotalNumVgprs: 0
; ScratchSize: 0
; MemoryBound: 0
; FloatMode: 240
; IeeeMode: 1
; LDSByteSize: 0 bytes/workgroup (compile time only)
; SGPRBlocks: 0
; VGPRBlocks: 0
; NumSGPRsForWavesPerEU: 4
; NumVGPRsForWavesPerEU: 1
; AccumOffset: 4
; Occupancy: 8
; WaveLimiterHint : 0
; COMPUTE_PGM_RSRC2:SCRATCH_EN: 0
; COMPUTE_PGM_RSRC2:USER_SGPR: 6
; COMPUTE_PGM_RSRC2:TRAP_HANDLER: 0
; COMPUTE_PGM_RSRC2:TGID_X_EN: 1
; COMPUTE_PGM_RSRC2:TGID_Y_EN: 0
; COMPUTE_PGM_RSRC2:TGID_Z_EN: 0
; COMPUTE_PGM_RSRC2:TIDIG_COMP_CNT: 0
; COMPUTE_PGM_RSRC3_GFX90A:ACCUM_OFFSET: 0
; COMPUTE_PGM_RSRC3_GFX90A:TG_SPLIT: 0
	.section	.text._ZN7rocprim17ROCPRIM_400000_NS6detail17trampoline_kernelINS0_14default_configENS1_25partition_config_selectorILNS1_17partition_subalgoE3EyNS0_10empty_typeEbEEZZNS1_14partition_implILS5_3ELb0ES3_jN6thrust23THRUST_200600_302600_NS6detail15normal_iteratorINSA_7pointerIyNSA_11hip_rocprim3tagENSA_11use_defaultESG_EEEEPS6_SJ_NS0_5tupleIJPySJ_EEENSK_IJSJ_SJ_EEES6_PlJ7is_evenIyEEEE10hipError_tPvRmT3_T4_T5_T6_T7_T9_mT8_P12ihipStream_tbDpT10_ENKUlT_T0_E_clISt17integral_constantIbLb0EES19_IbLb1EEEEDaS15_S16_EUlS15_E_NS1_11comp_targetILNS1_3genE9ELNS1_11target_archE1100ELNS1_3gpuE3ELNS1_3repE0EEENS1_30default_config_static_selectorELNS0_4arch9wavefront6targetE1EEEvT1_,"axG",@progbits,_ZN7rocprim17ROCPRIM_400000_NS6detail17trampoline_kernelINS0_14default_configENS1_25partition_config_selectorILNS1_17partition_subalgoE3EyNS0_10empty_typeEbEEZZNS1_14partition_implILS5_3ELb0ES3_jN6thrust23THRUST_200600_302600_NS6detail15normal_iteratorINSA_7pointerIyNSA_11hip_rocprim3tagENSA_11use_defaultESG_EEEEPS6_SJ_NS0_5tupleIJPySJ_EEENSK_IJSJ_SJ_EEES6_PlJ7is_evenIyEEEE10hipError_tPvRmT3_T4_T5_T6_T7_T9_mT8_P12ihipStream_tbDpT10_ENKUlT_T0_E_clISt17integral_constantIbLb0EES19_IbLb1EEEEDaS15_S16_EUlS15_E_NS1_11comp_targetILNS1_3genE9ELNS1_11target_archE1100ELNS1_3gpuE3ELNS1_3repE0EEENS1_30default_config_static_selectorELNS0_4arch9wavefront6targetE1EEEvT1_,comdat
	.protected	_ZN7rocprim17ROCPRIM_400000_NS6detail17trampoline_kernelINS0_14default_configENS1_25partition_config_selectorILNS1_17partition_subalgoE3EyNS0_10empty_typeEbEEZZNS1_14partition_implILS5_3ELb0ES3_jN6thrust23THRUST_200600_302600_NS6detail15normal_iteratorINSA_7pointerIyNSA_11hip_rocprim3tagENSA_11use_defaultESG_EEEEPS6_SJ_NS0_5tupleIJPySJ_EEENSK_IJSJ_SJ_EEES6_PlJ7is_evenIyEEEE10hipError_tPvRmT3_T4_T5_T6_T7_T9_mT8_P12ihipStream_tbDpT10_ENKUlT_T0_E_clISt17integral_constantIbLb0EES19_IbLb1EEEEDaS15_S16_EUlS15_E_NS1_11comp_targetILNS1_3genE9ELNS1_11target_archE1100ELNS1_3gpuE3ELNS1_3repE0EEENS1_30default_config_static_selectorELNS0_4arch9wavefront6targetE1EEEvT1_ ; -- Begin function _ZN7rocprim17ROCPRIM_400000_NS6detail17trampoline_kernelINS0_14default_configENS1_25partition_config_selectorILNS1_17partition_subalgoE3EyNS0_10empty_typeEbEEZZNS1_14partition_implILS5_3ELb0ES3_jN6thrust23THRUST_200600_302600_NS6detail15normal_iteratorINSA_7pointerIyNSA_11hip_rocprim3tagENSA_11use_defaultESG_EEEEPS6_SJ_NS0_5tupleIJPySJ_EEENSK_IJSJ_SJ_EEES6_PlJ7is_evenIyEEEE10hipError_tPvRmT3_T4_T5_T6_T7_T9_mT8_P12ihipStream_tbDpT10_ENKUlT_T0_E_clISt17integral_constantIbLb0EES19_IbLb1EEEEDaS15_S16_EUlS15_E_NS1_11comp_targetILNS1_3genE9ELNS1_11target_archE1100ELNS1_3gpuE3ELNS1_3repE0EEENS1_30default_config_static_selectorELNS0_4arch9wavefront6targetE1EEEvT1_
	.globl	_ZN7rocprim17ROCPRIM_400000_NS6detail17trampoline_kernelINS0_14default_configENS1_25partition_config_selectorILNS1_17partition_subalgoE3EyNS0_10empty_typeEbEEZZNS1_14partition_implILS5_3ELb0ES3_jN6thrust23THRUST_200600_302600_NS6detail15normal_iteratorINSA_7pointerIyNSA_11hip_rocprim3tagENSA_11use_defaultESG_EEEEPS6_SJ_NS0_5tupleIJPySJ_EEENSK_IJSJ_SJ_EEES6_PlJ7is_evenIyEEEE10hipError_tPvRmT3_T4_T5_T6_T7_T9_mT8_P12ihipStream_tbDpT10_ENKUlT_T0_E_clISt17integral_constantIbLb0EES19_IbLb1EEEEDaS15_S16_EUlS15_E_NS1_11comp_targetILNS1_3genE9ELNS1_11target_archE1100ELNS1_3gpuE3ELNS1_3repE0EEENS1_30default_config_static_selectorELNS0_4arch9wavefront6targetE1EEEvT1_
	.p2align	8
	.type	_ZN7rocprim17ROCPRIM_400000_NS6detail17trampoline_kernelINS0_14default_configENS1_25partition_config_selectorILNS1_17partition_subalgoE3EyNS0_10empty_typeEbEEZZNS1_14partition_implILS5_3ELb0ES3_jN6thrust23THRUST_200600_302600_NS6detail15normal_iteratorINSA_7pointerIyNSA_11hip_rocprim3tagENSA_11use_defaultESG_EEEEPS6_SJ_NS0_5tupleIJPySJ_EEENSK_IJSJ_SJ_EEES6_PlJ7is_evenIyEEEE10hipError_tPvRmT3_T4_T5_T6_T7_T9_mT8_P12ihipStream_tbDpT10_ENKUlT_T0_E_clISt17integral_constantIbLb0EES19_IbLb1EEEEDaS15_S16_EUlS15_E_NS1_11comp_targetILNS1_3genE9ELNS1_11target_archE1100ELNS1_3gpuE3ELNS1_3repE0EEENS1_30default_config_static_selectorELNS0_4arch9wavefront6targetE1EEEvT1_,@function
_ZN7rocprim17ROCPRIM_400000_NS6detail17trampoline_kernelINS0_14default_configENS1_25partition_config_selectorILNS1_17partition_subalgoE3EyNS0_10empty_typeEbEEZZNS1_14partition_implILS5_3ELb0ES3_jN6thrust23THRUST_200600_302600_NS6detail15normal_iteratorINSA_7pointerIyNSA_11hip_rocprim3tagENSA_11use_defaultESG_EEEEPS6_SJ_NS0_5tupleIJPySJ_EEENSK_IJSJ_SJ_EEES6_PlJ7is_evenIyEEEE10hipError_tPvRmT3_T4_T5_T6_T7_T9_mT8_P12ihipStream_tbDpT10_ENKUlT_T0_E_clISt17integral_constantIbLb0EES19_IbLb1EEEEDaS15_S16_EUlS15_E_NS1_11comp_targetILNS1_3genE9ELNS1_11target_archE1100ELNS1_3gpuE3ELNS1_3repE0EEENS1_30default_config_static_selectorELNS0_4arch9wavefront6targetE1EEEvT1_: ; @_ZN7rocprim17ROCPRIM_400000_NS6detail17trampoline_kernelINS0_14default_configENS1_25partition_config_selectorILNS1_17partition_subalgoE3EyNS0_10empty_typeEbEEZZNS1_14partition_implILS5_3ELb0ES3_jN6thrust23THRUST_200600_302600_NS6detail15normal_iteratorINSA_7pointerIyNSA_11hip_rocprim3tagENSA_11use_defaultESG_EEEEPS6_SJ_NS0_5tupleIJPySJ_EEENSK_IJSJ_SJ_EEES6_PlJ7is_evenIyEEEE10hipError_tPvRmT3_T4_T5_T6_T7_T9_mT8_P12ihipStream_tbDpT10_ENKUlT_T0_E_clISt17integral_constantIbLb0EES19_IbLb1EEEEDaS15_S16_EUlS15_E_NS1_11comp_targetILNS1_3genE9ELNS1_11target_archE1100ELNS1_3gpuE3ELNS1_3repE0EEENS1_30default_config_static_selectorELNS0_4arch9wavefront6targetE1EEEvT1_
; %bb.0:
	.section	.rodata,"a",@progbits
	.p2align	6, 0x0
	.amdhsa_kernel _ZN7rocprim17ROCPRIM_400000_NS6detail17trampoline_kernelINS0_14default_configENS1_25partition_config_selectorILNS1_17partition_subalgoE3EyNS0_10empty_typeEbEEZZNS1_14partition_implILS5_3ELb0ES3_jN6thrust23THRUST_200600_302600_NS6detail15normal_iteratorINSA_7pointerIyNSA_11hip_rocprim3tagENSA_11use_defaultESG_EEEEPS6_SJ_NS0_5tupleIJPySJ_EEENSK_IJSJ_SJ_EEES6_PlJ7is_evenIyEEEE10hipError_tPvRmT3_T4_T5_T6_T7_T9_mT8_P12ihipStream_tbDpT10_ENKUlT_T0_E_clISt17integral_constantIbLb0EES19_IbLb1EEEEDaS15_S16_EUlS15_E_NS1_11comp_targetILNS1_3genE9ELNS1_11target_archE1100ELNS1_3gpuE3ELNS1_3repE0EEENS1_30default_config_static_selectorELNS0_4arch9wavefront6targetE1EEEvT1_
		.amdhsa_group_segment_fixed_size 0
		.amdhsa_private_segment_fixed_size 0
		.amdhsa_kernarg_size 136
		.amdhsa_user_sgpr_count 6
		.amdhsa_user_sgpr_private_segment_buffer 1
		.amdhsa_user_sgpr_dispatch_ptr 0
		.amdhsa_user_sgpr_queue_ptr 0
		.amdhsa_user_sgpr_kernarg_segment_ptr 1
		.amdhsa_user_sgpr_dispatch_id 0
		.amdhsa_user_sgpr_flat_scratch_init 0
		.amdhsa_user_sgpr_kernarg_preload_length 0
		.amdhsa_user_sgpr_kernarg_preload_offset 0
		.amdhsa_user_sgpr_private_segment_size 0
		.amdhsa_uses_dynamic_stack 0
		.amdhsa_system_sgpr_private_segment_wavefront_offset 0
		.amdhsa_system_sgpr_workgroup_id_x 1
		.amdhsa_system_sgpr_workgroup_id_y 0
		.amdhsa_system_sgpr_workgroup_id_z 0
		.amdhsa_system_sgpr_workgroup_info 0
		.amdhsa_system_vgpr_workitem_id 0
		.amdhsa_next_free_vgpr 1
		.amdhsa_next_free_sgpr 0
		.amdhsa_accum_offset 4
		.amdhsa_reserve_vcc 0
		.amdhsa_reserve_flat_scratch 0
		.amdhsa_float_round_mode_32 0
		.amdhsa_float_round_mode_16_64 0
		.amdhsa_float_denorm_mode_32 3
		.amdhsa_float_denorm_mode_16_64 3
		.amdhsa_dx10_clamp 1
		.amdhsa_ieee_mode 1
		.amdhsa_fp16_overflow 0
		.amdhsa_tg_split 0
		.amdhsa_exception_fp_ieee_invalid_op 0
		.amdhsa_exception_fp_denorm_src 0
		.amdhsa_exception_fp_ieee_div_zero 0
		.amdhsa_exception_fp_ieee_overflow 0
		.amdhsa_exception_fp_ieee_underflow 0
		.amdhsa_exception_fp_ieee_inexact 0
		.amdhsa_exception_int_div_zero 0
	.end_amdhsa_kernel
	.section	.text._ZN7rocprim17ROCPRIM_400000_NS6detail17trampoline_kernelINS0_14default_configENS1_25partition_config_selectorILNS1_17partition_subalgoE3EyNS0_10empty_typeEbEEZZNS1_14partition_implILS5_3ELb0ES3_jN6thrust23THRUST_200600_302600_NS6detail15normal_iteratorINSA_7pointerIyNSA_11hip_rocprim3tagENSA_11use_defaultESG_EEEEPS6_SJ_NS0_5tupleIJPySJ_EEENSK_IJSJ_SJ_EEES6_PlJ7is_evenIyEEEE10hipError_tPvRmT3_T4_T5_T6_T7_T9_mT8_P12ihipStream_tbDpT10_ENKUlT_T0_E_clISt17integral_constantIbLb0EES19_IbLb1EEEEDaS15_S16_EUlS15_E_NS1_11comp_targetILNS1_3genE9ELNS1_11target_archE1100ELNS1_3gpuE3ELNS1_3repE0EEENS1_30default_config_static_selectorELNS0_4arch9wavefront6targetE1EEEvT1_,"axG",@progbits,_ZN7rocprim17ROCPRIM_400000_NS6detail17trampoline_kernelINS0_14default_configENS1_25partition_config_selectorILNS1_17partition_subalgoE3EyNS0_10empty_typeEbEEZZNS1_14partition_implILS5_3ELb0ES3_jN6thrust23THRUST_200600_302600_NS6detail15normal_iteratorINSA_7pointerIyNSA_11hip_rocprim3tagENSA_11use_defaultESG_EEEEPS6_SJ_NS0_5tupleIJPySJ_EEENSK_IJSJ_SJ_EEES6_PlJ7is_evenIyEEEE10hipError_tPvRmT3_T4_T5_T6_T7_T9_mT8_P12ihipStream_tbDpT10_ENKUlT_T0_E_clISt17integral_constantIbLb0EES19_IbLb1EEEEDaS15_S16_EUlS15_E_NS1_11comp_targetILNS1_3genE9ELNS1_11target_archE1100ELNS1_3gpuE3ELNS1_3repE0EEENS1_30default_config_static_selectorELNS0_4arch9wavefront6targetE1EEEvT1_,comdat
.Lfunc_end704:
	.size	_ZN7rocprim17ROCPRIM_400000_NS6detail17trampoline_kernelINS0_14default_configENS1_25partition_config_selectorILNS1_17partition_subalgoE3EyNS0_10empty_typeEbEEZZNS1_14partition_implILS5_3ELb0ES3_jN6thrust23THRUST_200600_302600_NS6detail15normal_iteratorINSA_7pointerIyNSA_11hip_rocprim3tagENSA_11use_defaultESG_EEEEPS6_SJ_NS0_5tupleIJPySJ_EEENSK_IJSJ_SJ_EEES6_PlJ7is_evenIyEEEE10hipError_tPvRmT3_T4_T5_T6_T7_T9_mT8_P12ihipStream_tbDpT10_ENKUlT_T0_E_clISt17integral_constantIbLb0EES19_IbLb1EEEEDaS15_S16_EUlS15_E_NS1_11comp_targetILNS1_3genE9ELNS1_11target_archE1100ELNS1_3gpuE3ELNS1_3repE0EEENS1_30default_config_static_selectorELNS0_4arch9wavefront6targetE1EEEvT1_, .Lfunc_end704-_ZN7rocprim17ROCPRIM_400000_NS6detail17trampoline_kernelINS0_14default_configENS1_25partition_config_selectorILNS1_17partition_subalgoE3EyNS0_10empty_typeEbEEZZNS1_14partition_implILS5_3ELb0ES3_jN6thrust23THRUST_200600_302600_NS6detail15normal_iteratorINSA_7pointerIyNSA_11hip_rocprim3tagENSA_11use_defaultESG_EEEEPS6_SJ_NS0_5tupleIJPySJ_EEENSK_IJSJ_SJ_EEES6_PlJ7is_evenIyEEEE10hipError_tPvRmT3_T4_T5_T6_T7_T9_mT8_P12ihipStream_tbDpT10_ENKUlT_T0_E_clISt17integral_constantIbLb0EES19_IbLb1EEEEDaS15_S16_EUlS15_E_NS1_11comp_targetILNS1_3genE9ELNS1_11target_archE1100ELNS1_3gpuE3ELNS1_3repE0EEENS1_30default_config_static_selectorELNS0_4arch9wavefront6targetE1EEEvT1_
                                        ; -- End function
	.section	.AMDGPU.csdata,"",@progbits
; Kernel info:
; codeLenInByte = 0
; NumSgprs: 4
; NumVgprs: 0
; NumAgprs: 0
; TotalNumVgprs: 0
; ScratchSize: 0
; MemoryBound: 0
; FloatMode: 240
; IeeeMode: 1
; LDSByteSize: 0 bytes/workgroup (compile time only)
; SGPRBlocks: 0
; VGPRBlocks: 0
; NumSGPRsForWavesPerEU: 4
; NumVGPRsForWavesPerEU: 1
; AccumOffset: 4
; Occupancy: 8
; WaveLimiterHint : 0
; COMPUTE_PGM_RSRC2:SCRATCH_EN: 0
; COMPUTE_PGM_RSRC2:USER_SGPR: 6
; COMPUTE_PGM_RSRC2:TRAP_HANDLER: 0
; COMPUTE_PGM_RSRC2:TGID_X_EN: 1
; COMPUTE_PGM_RSRC2:TGID_Y_EN: 0
; COMPUTE_PGM_RSRC2:TGID_Z_EN: 0
; COMPUTE_PGM_RSRC2:TIDIG_COMP_CNT: 0
; COMPUTE_PGM_RSRC3_GFX90A:ACCUM_OFFSET: 0
; COMPUTE_PGM_RSRC3_GFX90A:TG_SPLIT: 0
	.section	.text._ZN7rocprim17ROCPRIM_400000_NS6detail17trampoline_kernelINS0_14default_configENS1_25partition_config_selectorILNS1_17partition_subalgoE3EyNS0_10empty_typeEbEEZZNS1_14partition_implILS5_3ELb0ES3_jN6thrust23THRUST_200600_302600_NS6detail15normal_iteratorINSA_7pointerIyNSA_11hip_rocprim3tagENSA_11use_defaultESG_EEEEPS6_SJ_NS0_5tupleIJPySJ_EEENSK_IJSJ_SJ_EEES6_PlJ7is_evenIyEEEE10hipError_tPvRmT3_T4_T5_T6_T7_T9_mT8_P12ihipStream_tbDpT10_ENKUlT_T0_E_clISt17integral_constantIbLb0EES19_IbLb1EEEEDaS15_S16_EUlS15_E_NS1_11comp_targetILNS1_3genE8ELNS1_11target_archE1030ELNS1_3gpuE2ELNS1_3repE0EEENS1_30default_config_static_selectorELNS0_4arch9wavefront6targetE1EEEvT1_,"axG",@progbits,_ZN7rocprim17ROCPRIM_400000_NS6detail17trampoline_kernelINS0_14default_configENS1_25partition_config_selectorILNS1_17partition_subalgoE3EyNS0_10empty_typeEbEEZZNS1_14partition_implILS5_3ELb0ES3_jN6thrust23THRUST_200600_302600_NS6detail15normal_iteratorINSA_7pointerIyNSA_11hip_rocprim3tagENSA_11use_defaultESG_EEEEPS6_SJ_NS0_5tupleIJPySJ_EEENSK_IJSJ_SJ_EEES6_PlJ7is_evenIyEEEE10hipError_tPvRmT3_T4_T5_T6_T7_T9_mT8_P12ihipStream_tbDpT10_ENKUlT_T0_E_clISt17integral_constantIbLb0EES19_IbLb1EEEEDaS15_S16_EUlS15_E_NS1_11comp_targetILNS1_3genE8ELNS1_11target_archE1030ELNS1_3gpuE2ELNS1_3repE0EEENS1_30default_config_static_selectorELNS0_4arch9wavefront6targetE1EEEvT1_,comdat
	.protected	_ZN7rocprim17ROCPRIM_400000_NS6detail17trampoline_kernelINS0_14default_configENS1_25partition_config_selectorILNS1_17partition_subalgoE3EyNS0_10empty_typeEbEEZZNS1_14partition_implILS5_3ELb0ES3_jN6thrust23THRUST_200600_302600_NS6detail15normal_iteratorINSA_7pointerIyNSA_11hip_rocprim3tagENSA_11use_defaultESG_EEEEPS6_SJ_NS0_5tupleIJPySJ_EEENSK_IJSJ_SJ_EEES6_PlJ7is_evenIyEEEE10hipError_tPvRmT3_T4_T5_T6_T7_T9_mT8_P12ihipStream_tbDpT10_ENKUlT_T0_E_clISt17integral_constantIbLb0EES19_IbLb1EEEEDaS15_S16_EUlS15_E_NS1_11comp_targetILNS1_3genE8ELNS1_11target_archE1030ELNS1_3gpuE2ELNS1_3repE0EEENS1_30default_config_static_selectorELNS0_4arch9wavefront6targetE1EEEvT1_ ; -- Begin function _ZN7rocprim17ROCPRIM_400000_NS6detail17trampoline_kernelINS0_14default_configENS1_25partition_config_selectorILNS1_17partition_subalgoE3EyNS0_10empty_typeEbEEZZNS1_14partition_implILS5_3ELb0ES3_jN6thrust23THRUST_200600_302600_NS6detail15normal_iteratorINSA_7pointerIyNSA_11hip_rocprim3tagENSA_11use_defaultESG_EEEEPS6_SJ_NS0_5tupleIJPySJ_EEENSK_IJSJ_SJ_EEES6_PlJ7is_evenIyEEEE10hipError_tPvRmT3_T4_T5_T6_T7_T9_mT8_P12ihipStream_tbDpT10_ENKUlT_T0_E_clISt17integral_constantIbLb0EES19_IbLb1EEEEDaS15_S16_EUlS15_E_NS1_11comp_targetILNS1_3genE8ELNS1_11target_archE1030ELNS1_3gpuE2ELNS1_3repE0EEENS1_30default_config_static_selectorELNS0_4arch9wavefront6targetE1EEEvT1_
	.globl	_ZN7rocprim17ROCPRIM_400000_NS6detail17trampoline_kernelINS0_14default_configENS1_25partition_config_selectorILNS1_17partition_subalgoE3EyNS0_10empty_typeEbEEZZNS1_14partition_implILS5_3ELb0ES3_jN6thrust23THRUST_200600_302600_NS6detail15normal_iteratorINSA_7pointerIyNSA_11hip_rocprim3tagENSA_11use_defaultESG_EEEEPS6_SJ_NS0_5tupleIJPySJ_EEENSK_IJSJ_SJ_EEES6_PlJ7is_evenIyEEEE10hipError_tPvRmT3_T4_T5_T6_T7_T9_mT8_P12ihipStream_tbDpT10_ENKUlT_T0_E_clISt17integral_constantIbLb0EES19_IbLb1EEEEDaS15_S16_EUlS15_E_NS1_11comp_targetILNS1_3genE8ELNS1_11target_archE1030ELNS1_3gpuE2ELNS1_3repE0EEENS1_30default_config_static_selectorELNS0_4arch9wavefront6targetE1EEEvT1_
	.p2align	8
	.type	_ZN7rocprim17ROCPRIM_400000_NS6detail17trampoline_kernelINS0_14default_configENS1_25partition_config_selectorILNS1_17partition_subalgoE3EyNS0_10empty_typeEbEEZZNS1_14partition_implILS5_3ELb0ES3_jN6thrust23THRUST_200600_302600_NS6detail15normal_iteratorINSA_7pointerIyNSA_11hip_rocprim3tagENSA_11use_defaultESG_EEEEPS6_SJ_NS0_5tupleIJPySJ_EEENSK_IJSJ_SJ_EEES6_PlJ7is_evenIyEEEE10hipError_tPvRmT3_T4_T5_T6_T7_T9_mT8_P12ihipStream_tbDpT10_ENKUlT_T0_E_clISt17integral_constantIbLb0EES19_IbLb1EEEEDaS15_S16_EUlS15_E_NS1_11comp_targetILNS1_3genE8ELNS1_11target_archE1030ELNS1_3gpuE2ELNS1_3repE0EEENS1_30default_config_static_selectorELNS0_4arch9wavefront6targetE1EEEvT1_,@function
_ZN7rocprim17ROCPRIM_400000_NS6detail17trampoline_kernelINS0_14default_configENS1_25partition_config_selectorILNS1_17partition_subalgoE3EyNS0_10empty_typeEbEEZZNS1_14partition_implILS5_3ELb0ES3_jN6thrust23THRUST_200600_302600_NS6detail15normal_iteratorINSA_7pointerIyNSA_11hip_rocprim3tagENSA_11use_defaultESG_EEEEPS6_SJ_NS0_5tupleIJPySJ_EEENSK_IJSJ_SJ_EEES6_PlJ7is_evenIyEEEE10hipError_tPvRmT3_T4_T5_T6_T7_T9_mT8_P12ihipStream_tbDpT10_ENKUlT_T0_E_clISt17integral_constantIbLb0EES19_IbLb1EEEEDaS15_S16_EUlS15_E_NS1_11comp_targetILNS1_3genE8ELNS1_11target_archE1030ELNS1_3gpuE2ELNS1_3repE0EEENS1_30default_config_static_selectorELNS0_4arch9wavefront6targetE1EEEvT1_: ; @_ZN7rocprim17ROCPRIM_400000_NS6detail17trampoline_kernelINS0_14default_configENS1_25partition_config_selectorILNS1_17partition_subalgoE3EyNS0_10empty_typeEbEEZZNS1_14partition_implILS5_3ELb0ES3_jN6thrust23THRUST_200600_302600_NS6detail15normal_iteratorINSA_7pointerIyNSA_11hip_rocprim3tagENSA_11use_defaultESG_EEEEPS6_SJ_NS0_5tupleIJPySJ_EEENSK_IJSJ_SJ_EEES6_PlJ7is_evenIyEEEE10hipError_tPvRmT3_T4_T5_T6_T7_T9_mT8_P12ihipStream_tbDpT10_ENKUlT_T0_E_clISt17integral_constantIbLb0EES19_IbLb1EEEEDaS15_S16_EUlS15_E_NS1_11comp_targetILNS1_3genE8ELNS1_11target_archE1030ELNS1_3gpuE2ELNS1_3repE0EEENS1_30default_config_static_selectorELNS0_4arch9wavefront6targetE1EEEvT1_
; %bb.0:
	.section	.rodata,"a",@progbits
	.p2align	6, 0x0
	.amdhsa_kernel _ZN7rocprim17ROCPRIM_400000_NS6detail17trampoline_kernelINS0_14default_configENS1_25partition_config_selectorILNS1_17partition_subalgoE3EyNS0_10empty_typeEbEEZZNS1_14partition_implILS5_3ELb0ES3_jN6thrust23THRUST_200600_302600_NS6detail15normal_iteratorINSA_7pointerIyNSA_11hip_rocprim3tagENSA_11use_defaultESG_EEEEPS6_SJ_NS0_5tupleIJPySJ_EEENSK_IJSJ_SJ_EEES6_PlJ7is_evenIyEEEE10hipError_tPvRmT3_T4_T5_T6_T7_T9_mT8_P12ihipStream_tbDpT10_ENKUlT_T0_E_clISt17integral_constantIbLb0EES19_IbLb1EEEEDaS15_S16_EUlS15_E_NS1_11comp_targetILNS1_3genE8ELNS1_11target_archE1030ELNS1_3gpuE2ELNS1_3repE0EEENS1_30default_config_static_selectorELNS0_4arch9wavefront6targetE1EEEvT1_
		.amdhsa_group_segment_fixed_size 0
		.amdhsa_private_segment_fixed_size 0
		.amdhsa_kernarg_size 136
		.amdhsa_user_sgpr_count 6
		.amdhsa_user_sgpr_private_segment_buffer 1
		.amdhsa_user_sgpr_dispatch_ptr 0
		.amdhsa_user_sgpr_queue_ptr 0
		.amdhsa_user_sgpr_kernarg_segment_ptr 1
		.amdhsa_user_sgpr_dispatch_id 0
		.amdhsa_user_sgpr_flat_scratch_init 0
		.amdhsa_user_sgpr_kernarg_preload_length 0
		.amdhsa_user_sgpr_kernarg_preload_offset 0
		.amdhsa_user_sgpr_private_segment_size 0
		.amdhsa_uses_dynamic_stack 0
		.amdhsa_system_sgpr_private_segment_wavefront_offset 0
		.amdhsa_system_sgpr_workgroup_id_x 1
		.amdhsa_system_sgpr_workgroup_id_y 0
		.amdhsa_system_sgpr_workgroup_id_z 0
		.amdhsa_system_sgpr_workgroup_info 0
		.amdhsa_system_vgpr_workitem_id 0
		.amdhsa_next_free_vgpr 1
		.amdhsa_next_free_sgpr 0
		.amdhsa_accum_offset 4
		.amdhsa_reserve_vcc 0
		.amdhsa_reserve_flat_scratch 0
		.amdhsa_float_round_mode_32 0
		.amdhsa_float_round_mode_16_64 0
		.amdhsa_float_denorm_mode_32 3
		.amdhsa_float_denorm_mode_16_64 3
		.amdhsa_dx10_clamp 1
		.amdhsa_ieee_mode 1
		.amdhsa_fp16_overflow 0
		.amdhsa_tg_split 0
		.amdhsa_exception_fp_ieee_invalid_op 0
		.amdhsa_exception_fp_denorm_src 0
		.amdhsa_exception_fp_ieee_div_zero 0
		.amdhsa_exception_fp_ieee_overflow 0
		.amdhsa_exception_fp_ieee_underflow 0
		.amdhsa_exception_fp_ieee_inexact 0
		.amdhsa_exception_int_div_zero 0
	.end_amdhsa_kernel
	.section	.text._ZN7rocprim17ROCPRIM_400000_NS6detail17trampoline_kernelINS0_14default_configENS1_25partition_config_selectorILNS1_17partition_subalgoE3EyNS0_10empty_typeEbEEZZNS1_14partition_implILS5_3ELb0ES3_jN6thrust23THRUST_200600_302600_NS6detail15normal_iteratorINSA_7pointerIyNSA_11hip_rocprim3tagENSA_11use_defaultESG_EEEEPS6_SJ_NS0_5tupleIJPySJ_EEENSK_IJSJ_SJ_EEES6_PlJ7is_evenIyEEEE10hipError_tPvRmT3_T4_T5_T6_T7_T9_mT8_P12ihipStream_tbDpT10_ENKUlT_T0_E_clISt17integral_constantIbLb0EES19_IbLb1EEEEDaS15_S16_EUlS15_E_NS1_11comp_targetILNS1_3genE8ELNS1_11target_archE1030ELNS1_3gpuE2ELNS1_3repE0EEENS1_30default_config_static_selectorELNS0_4arch9wavefront6targetE1EEEvT1_,"axG",@progbits,_ZN7rocprim17ROCPRIM_400000_NS6detail17trampoline_kernelINS0_14default_configENS1_25partition_config_selectorILNS1_17partition_subalgoE3EyNS0_10empty_typeEbEEZZNS1_14partition_implILS5_3ELb0ES3_jN6thrust23THRUST_200600_302600_NS6detail15normal_iteratorINSA_7pointerIyNSA_11hip_rocprim3tagENSA_11use_defaultESG_EEEEPS6_SJ_NS0_5tupleIJPySJ_EEENSK_IJSJ_SJ_EEES6_PlJ7is_evenIyEEEE10hipError_tPvRmT3_T4_T5_T6_T7_T9_mT8_P12ihipStream_tbDpT10_ENKUlT_T0_E_clISt17integral_constantIbLb0EES19_IbLb1EEEEDaS15_S16_EUlS15_E_NS1_11comp_targetILNS1_3genE8ELNS1_11target_archE1030ELNS1_3gpuE2ELNS1_3repE0EEENS1_30default_config_static_selectorELNS0_4arch9wavefront6targetE1EEEvT1_,comdat
.Lfunc_end705:
	.size	_ZN7rocprim17ROCPRIM_400000_NS6detail17trampoline_kernelINS0_14default_configENS1_25partition_config_selectorILNS1_17partition_subalgoE3EyNS0_10empty_typeEbEEZZNS1_14partition_implILS5_3ELb0ES3_jN6thrust23THRUST_200600_302600_NS6detail15normal_iteratorINSA_7pointerIyNSA_11hip_rocprim3tagENSA_11use_defaultESG_EEEEPS6_SJ_NS0_5tupleIJPySJ_EEENSK_IJSJ_SJ_EEES6_PlJ7is_evenIyEEEE10hipError_tPvRmT3_T4_T5_T6_T7_T9_mT8_P12ihipStream_tbDpT10_ENKUlT_T0_E_clISt17integral_constantIbLb0EES19_IbLb1EEEEDaS15_S16_EUlS15_E_NS1_11comp_targetILNS1_3genE8ELNS1_11target_archE1030ELNS1_3gpuE2ELNS1_3repE0EEENS1_30default_config_static_selectorELNS0_4arch9wavefront6targetE1EEEvT1_, .Lfunc_end705-_ZN7rocprim17ROCPRIM_400000_NS6detail17trampoline_kernelINS0_14default_configENS1_25partition_config_selectorILNS1_17partition_subalgoE3EyNS0_10empty_typeEbEEZZNS1_14partition_implILS5_3ELb0ES3_jN6thrust23THRUST_200600_302600_NS6detail15normal_iteratorINSA_7pointerIyNSA_11hip_rocprim3tagENSA_11use_defaultESG_EEEEPS6_SJ_NS0_5tupleIJPySJ_EEENSK_IJSJ_SJ_EEES6_PlJ7is_evenIyEEEE10hipError_tPvRmT3_T4_T5_T6_T7_T9_mT8_P12ihipStream_tbDpT10_ENKUlT_T0_E_clISt17integral_constantIbLb0EES19_IbLb1EEEEDaS15_S16_EUlS15_E_NS1_11comp_targetILNS1_3genE8ELNS1_11target_archE1030ELNS1_3gpuE2ELNS1_3repE0EEENS1_30default_config_static_selectorELNS0_4arch9wavefront6targetE1EEEvT1_
                                        ; -- End function
	.section	.AMDGPU.csdata,"",@progbits
; Kernel info:
; codeLenInByte = 0
; NumSgprs: 4
; NumVgprs: 0
; NumAgprs: 0
; TotalNumVgprs: 0
; ScratchSize: 0
; MemoryBound: 0
; FloatMode: 240
; IeeeMode: 1
; LDSByteSize: 0 bytes/workgroup (compile time only)
; SGPRBlocks: 0
; VGPRBlocks: 0
; NumSGPRsForWavesPerEU: 4
; NumVGPRsForWavesPerEU: 1
; AccumOffset: 4
; Occupancy: 8
; WaveLimiterHint : 0
; COMPUTE_PGM_RSRC2:SCRATCH_EN: 0
; COMPUTE_PGM_RSRC2:USER_SGPR: 6
; COMPUTE_PGM_RSRC2:TRAP_HANDLER: 0
; COMPUTE_PGM_RSRC2:TGID_X_EN: 1
; COMPUTE_PGM_RSRC2:TGID_Y_EN: 0
; COMPUTE_PGM_RSRC2:TGID_Z_EN: 0
; COMPUTE_PGM_RSRC2:TIDIG_COMP_CNT: 0
; COMPUTE_PGM_RSRC3_GFX90A:ACCUM_OFFSET: 0
; COMPUTE_PGM_RSRC3_GFX90A:TG_SPLIT: 0
	.section	.text._ZN7rocprim17ROCPRIM_400000_NS6detail17trampoline_kernelINS0_13kernel_configILj256ELj4ELj4294967295EEENS1_37radix_sort_block_sort_config_selectorIyNS0_10empty_typeEEEZNS1_21radix_sort_block_sortIS4_Lb0EN6thrust23THRUST_200600_302600_NS6detail15normal_iteratorINSA_10device_ptrIyEEEESF_PS6_SG_NS0_19identity_decomposerEEE10hipError_tT1_T2_T3_T4_jRjT5_jjP12ihipStream_tbEUlT_E_NS1_11comp_targetILNS1_3genE0ELNS1_11target_archE4294967295ELNS1_3gpuE0ELNS1_3repE0EEENS1_44radix_sort_block_sort_config_static_selectorELNS0_4arch9wavefront6targetE1EEEvSJ_,"axG",@progbits,_ZN7rocprim17ROCPRIM_400000_NS6detail17trampoline_kernelINS0_13kernel_configILj256ELj4ELj4294967295EEENS1_37radix_sort_block_sort_config_selectorIyNS0_10empty_typeEEEZNS1_21radix_sort_block_sortIS4_Lb0EN6thrust23THRUST_200600_302600_NS6detail15normal_iteratorINSA_10device_ptrIyEEEESF_PS6_SG_NS0_19identity_decomposerEEE10hipError_tT1_T2_T3_T4_jRjT5_jjP12ihipStream_tbEUlT_E_NS1_11comp_targetILNS1_3genE0ELNS1_11target_archE4294967295ELNS1_3gpuE0ELNS1_3repE0EEENS1_44radix_sort_block_sort_config_static_selectorELNS0_4arch9wavefront6targetE1EEEvSJ_,comdat
	.protected	_ZN7rocprim17ROCPRIM_400000_NS6detail17trampoline_kernelINS0_13kernel_configILj256ELj4ELj4294967295EEENS1_37radix_sort_block_sort_config_selectorIyNS0_10empty_typeEEEZNS1_21radix_sort_block_sortIS4_Lb0EN6thrust23THRUST_200600_302600_NS6detail15normal_iteratorINSA_10device_ptrIyEEEESF_PS6_SG_NS0_19identity_decomposerEEE10hipError_tT1_T2_T3_T4_jRjT5_jjP12ihipStream_tbEUlT_E_NS1_11comp_targetILNS1_3genE0ELNS1_11target_archE4294967295ELNS1_3gpuE0ELNS1_3repE0EEENS1_44radix_sort_block_sort_config_static_selectorELNS0_4arch9wavefront6targetE1EEEvSJ_ ; -- Begin function _ZN7rocprim17ROCPRIM_400000_NS6detail17trampoline_kernelINS0_13kernel_configILj256ELj4ELj4294967295EEENS1_37radix_sort_block_sort_config_selectorIyNS0_10empty_typeEEEZNS1_21radix_sort_block_sortIS4_Lb0EN6thrust23THRUST_200600_302600_NS6detail15normal_iteratorINSA_10device_ptrIyEEEESF_PS6_SG_NS0_19identity_decomposerEEE10hipError_tT1_T2_T3_T4_jRjT5_jjP12ihipStream_tbEUlT_E_NS1_11comp_targetILNS1_3genE0ELNS1_11target_archE4294967295ELNS1_3gpuE0ELNS1_3repE0EEENS1_44radix_sort_block_sort_config_static_selectorELNS0_4arch9wavefront6targetE1EEEvSJ_
	.globl	_ZN7rocprim17ROCPRIM_400000_NS6detail17trampoline_kernelINS0_13kernel_configILj256ELj4ELj4294967295EEENS1_37radix_sort_block_sort_config_selectorIyNS0_10empty_typeEEEZNS1_21radix_sort_block_sortIS4_Lb0EN6thrust23THRUST_200600_302600_NS6detail15normal_iteratorINSA_10device_ptrIyEEEESF_PS6_SG_NS0_19identity_decomposerEEE10hipError_tT1_T2_T3_T4_jRjT5_jjP12ihipStream_tbEUlT_E_NS1_11comp_targetILNS1_3genE0ELNS1_11target_archE4294967295ELNS1_3gpuE0ELNS1_3repE0EEENS1_44radix_sort_block_sort_config_static_selectorELNS0_4arch9wavefront6targetE1EEEvSJ_
	.p2align	8
	.type	_ZN7rocprim17ROCPRIM_400000_NS6detail17trampoline_kernelINS0_13kernel_configILj256ELj4ELj4294967295EEENS1_37radix_sort_block_sort_config_selectorIyNS0_10empty_typeEEEZNS1_21radix_sort_block_sortIS4_Lb0EN6thrust23THRUST_200600_302600_NS6detail15normal_iteratorINSA_10device_ptrIyEEEESF_PS6_SG_NS0_19identity_decomposerEEE10hipError_tT1_T2_T3_T4_jRjT5_jjP12ihipStream_tbEUlT_E_NS1_11comp_targetILNS1_3genE0ELNS1_11target_archE4294967295ELNS1_3gpuE0ELNS1_3repE0EEENS1_44radix_sort_block_sort_config_static_selectorELNS0_4arch9wavefront6targetE1EEEvSJ_,@function
_ZN7rocprim17ROCPRIM_400000_NS6detail17trampoline_kernelINS0_13kernel_configILj256ELj4ELj4294967295EEENS1_37radix_sort_block_sort_config_selectorIyNS0_10empty_typeEEEZNS1_21radix_sort_block_sortIS4_Lb0EN6thrust23THRUST_200600_302600_NS6detail15normal_iteratorINSA_10device_ptrIyEEEESF_PS6_SG_NS0_19identity_decomposerEEE10hipError_tT1_T2_T3_T4_jRjT5_jjP12ihipStream_tbEUlT_E_NS1_11comp_targetILNS1_3genE0ELNS1_11target_archE4294967295ELNS1_3gpuE0ELNS1_3repE0EEENS1_44radix_sort_block_sort_config_static_selectorELNS0_4arch9wavefront6targetE1EEEvSJ_: ; @_ZN7rocprim17ROCPRIM_400000_NS6detail17trampoline_kernelINS0_13kernel_configILj256ELj4ELj4294967295EEENS1_37radix_sort_block_sort_config_selectorIyNS0_10empty_typeEEEZNS1_21radix_sort_block_sortIS4_Lb0EN6thrust23THRUST_200600_302600_NS6detail15normal_iteratorINSA_10device_ptrIyEEEESF_PS6_SG_NS0_19identity_decomposerEEE10hipError_tT1_T2_T3_T4_jRjT5_jjP12ihipStream_tbEUlT_E_NS1_11comp_targetILNS1_3genE0ELNS1_11target_archE4294967295ELNS1_3gpuE0ELNS1_3repE0EEENS1_44radix_sort_block_sort_config_static_selectorELNS0_4arch9wavefront6targetE1EEEvSJ_
; %bb.0:
	.section	.rodata,"a",@progbits
	.p2align	6, 0x0
	.amdhsa_kernel _ZN7rocprim17ROCPRIM_400000_NS6detail17trampoline_kernelINS0_13kernel_configILj256ELj4ELj4294967295EEENS1_37radix_sort_block_sort_config_selectorIyNS0_10empty_typeEEEZNS1_21radix_sort_block_sortIS4_Lb0EN6thrust23THRUST_200600_302600_NS6detail15normal_iteratorINSA_10device_ptrIyEEEESF_PS6_SG_NS0_19identity_decomposerEEE10hipError_tT1_T2_T3_T4_jRjT5_jjP12ihipStream_tbEUlT_E_NS1_11comp_targetILNS1_3genE0ELNS1_11target_archE4294967295ELNS1_3gpuE0ELNS1_3repE0EEENS1_44radix_sort_block_sort_config_static_selectorELNS0_4arch9wavefront6targetE1EEEvSJ_
		.amdhsa_group_segment_fixed_size 0
		.amdhsa_private_segment_fixed_size 0
		.amdhsa_kernarg_size 48
		.amdhsa_user_sgpr_count 6
		.amdhsa_user_sgpr_private_segment_buffer 1
		.amdhsa_user_sgpr_dispatch_ptr 0
		.amdhsa_user_sgpr_queue_ptr 0
		.amdhsa_user_sgpr_kernarg_segment_ptr 1
		.amdhsa_user_sgpr_dispatch_id 0
		.amdhsa_user_sgpr_flat_scratch_init 0
		.amdhsa_user_sgpr_kernarg_preload_length 0
		.amdhsa_user_sgpr_kernarg_preload_offset 0
		.amdhsa_user_sgpr_private_segment_size 0
		.amdhsa_uses_dynamic_stack 0
		.amdhsa_system_sgpr_private_segment_wavefront_offset 0
		.amdhsa_system_sgpr_workgroup_id_x 1
		.amdhsa_system_sgpr_workgroup_id_y 0
		.amdhsa_system_sgpr_workgroup_id_z 0
		.amdhsa_system_sgpr_workgroup_info 0
		.amdhsa_system_vgpr_workitem_id 0
		.amdhsa_next_free_vgpr 1
		.amdhsa_next_free_sgpr 0
		.amdhsa_accum_offset 4
		.amdhsa_reserve_vcc 0
		.amdhsa_reserve_flat_scratch 0
		.amdhsa_float_round_mode_32 0
		.amdhsa_float_round_mode_16_64 0
		.amdhsa_float_denorm_mode_32 3
		.amdhsa_float_denorm_mode_16_64 3
		.amdhsa_dx10_clamp 1
		.amdhsa_ieee_mode 1
		.amdhsa_fp16_overflow 0
		.amdhsa_tg_split 0
		.amdhsa_exception_fp_ieee_invalid_op 0
		.amdhsa_exception_fp_denorm_src 0
		.amdhsa_exception_fp_ieee_div_zero 0
		.amdhsa_exception_fp_ieee_overflow 0
		.amdhsa_exception_fp_ieee_underflow 0
		.amdhsa_exception_fp_ieee_inexact 0
		.amdhsa_exception_int_div_zero 0
	.end_amdhsa_kernel
	.section	.text._ZN7rocprim17ROCPRIM_400000_NS6detail17trampoline_kernelINS0_13kernel_configILj256ELj4ELj4294967295EEENS1_37radix_sort_block_sort_config_selectorIyNS0_10empty_typeEEEZNS1_21radix_sort_block_sortIS4_Lb0EN6thrust23THRUST_200600_302600_NS6detail15normal_iteratorINSA_10device_ptrIyEEEESF_PS6_SG_NS0_19identity_decomposerEEE10hipError_tT1_T2_T3_T4_jRjT5_jjP12ihipStream_tbEUlT_E_NS1_11comp_targetILNS1_3genE0ELNS1_11target_archE4294967295ELNS1_3gpuE0ELNS1_3repE0EEENS1_44radix_sort_block_sort_config_static_selectorELNS0_4arch9wavefront6targetE1EEEvSJ_,"axG",@progbits,_ZN7rocprim17ROCPRIM_400000_NS6detail17trampoline_kernelINS0_13kernel_configILj256ELj4ELj4294967295EEENS1_37radix_sort_block_sort_config_selectorIyNS0_10empty_typeEEEZNS1_21radix_sort_block_sortIS4_Lb0EN6thrust23THRUST_200600_302600_NS6detail15normal_iteratorINSA_10device_ptrIyEEEESF_PS6_SG_NS0_19identity_decomposerEEE10hipError_tT1_T2_T3_T4_jRjT5_jjP12ihipStream_tbEUlT_E_NS1_11comp_targetILNS1_3genE0ELNS1_11target_archE4294967295ELNS1_3gpuE0ELNS1_3repE0EEENS1_44radix_sort_block_sort_config_static_selectorELNS0_4arch9wavefront6targetE1EEEvSJ_,comdat
.Lfunc_end706:
	.size	_ZN7rocprim17ROCPRIM_400000_NS6detail17trampoline_kernelINS0_13kernel_configILj256ELj4ELj4294967295EEENS1_37radix_sort_block_sort_config_selectorIyNS0_10empty_typeEEEZNS1_21radix_sort_block_sortIS4_Lb0EN6thrust23THRUST_200600_302600_NS6detail15normal_iteratorINSA_10device_ptrIyEEEESF_PS6_SG_NS0_19identity_decomposerEEE10hipError_tT1_T2_T3_T4_jRjT5_jjP12ihipStream_tbEUlT_E_NS1_11comp_targetILNS1_3genE0ELNS1_11target_archE4294967295ELNS1_3gpuE0ELNS1_3repE0EEENS1_44radix_sort_block_sort_config_static_selectorELNS0_4arch9wavefront6targetE1EEEvSJ_, .Lfunc_end706-_ZN7rocprim17ROCPRIM_400000_NS6detail17trampoline_kernelINS0_13kernel_configILj256ELj4ELj4294967295EEENS1_37radix_sort_block_sort_config_selectorIyNS0_10empty_typeEEEZNS1_21radix_sort_block_sortIS4_Lb0EN6thrust23THRUST_200600_302600_NS6detail15normal_iteratorINSA_10device_ptrIyEEEESF_PS6_SG_NS0_19identity_decomposerEEE10hipError_tT1_T2_T3_T4_jRjT5_jjP12ihipStream_tbEUlT_E_NS1_11comp_targetILNS1_3genE0ELNS1_11target_archE4294967295ELNS1_3gpuE0ELNS1_3repE0EEENS1_44radix_sort_block_sort_config_static_selectorELNS0_4arch9wavefront6targetE1EEEvSJ_
                                        ; -- End function
	.section	.AMDGPU.csdata,"",@progbits
; Kernel info:
; codeLenInByte = 0
; NumSgprs: 4
; NumVgprs: 0
; NumAgprs: 0
; TotalNumVgprs: 0
; ScratchSize: 0
; MemoryBound: 0
; FloatMode: 240
; IeeeMode: 1
; LDSByteSize: 0 bytes/workgroup (compile time only)
; SGPRBlocks: 0
; VGPRBlocks: 0
; NumSGPRsForWavesPerEU: 4
; NumVGPRsForWavesPerEU: 1
; AccumOffset: 4
; Occupancy: 8
; WaveLimiterHint : 0
; COMPUTE_PGM_RSRC2:SCRATCH_EN: 0
; COMPUTE_PGM_RSRC2:USER_SGPR: 6
; COMPUTE_PGM_RSRC2:TRAP_HANDLER: 0
; COMPUTE_PGM_RSRC2:TGID_X_EN: 1
; COMPUTE_PGM_RSRC2:TGID_Y_EN: 0
; COMPUTE_PGM_RSRC2:TGID_Z_EN: 0
; COMPUTE_PGM_RSRC2:TIDIG_COMP_CNT: 0
; COMPUTE_PGM_RSRC3_GFX90A:ACCUM_OFFSET: 0
; COMPUTE_PGM_RSRC3_GFX90A:TG_SPLIT: 0
	.section	.text._ZN7rocprim17ROCPRIM_400000_NS6detail17trampoline_kernelINS0_13kernel_configILj256ELj4ELj4294967295EEENS1_37radix_sort_block_sort_config_selectorIyNS0_10empty_typeEEEZNS1_21radix_sort_block_sortIS4_Lb0EN6thrust23THRUST_200600_302600_NS6detail15normal_iteratorINSA_10device_ptrIyEEEESF_PS6_SG_NS0_19identity_decomposerEEE10hipError_tT1_T2_T3_T4_jRjT5_jjP12ihipStream_tbEUlT_E_NS1_11comp_targetILNS1_3genE5ELNS1_11target_archE942ELNS1_3gpuE9ELNS1_3repE0EEENS1_44radix_sort_block_sort_config_static_selectorELNS0_4arch9wavefront6targetE1EEEvSJ_,"axG",@progbits,_ZN7rocprim17ROCPRIM_400000_NS6detail17trampoline_kernelINS0_13kernel_configILj256ELj4ELj4294967295EEENS1_37radix_sort_block_sort_config_selectorIyNS0_10empty_typeEEEZNS1_21radix_sort_block_sortIS4_Lb0EN6thrust23THRUST_200600_302600_NS6detail15normal_iteratorINSA_10device_ptrIyEEEESF_PS6_SG_NS0_19identity_decomposerEEE10hipError_tT1_T2_T3_T4_jRjT5_jjP12ihipStream_tbEUlT_E_NS1_11comp_targetILNS1_3genE5ELNS1_11target_archE942ELNS1_3gpuE9ELNS1_3repE0EEENS1_44radix_sort_block_sort_config_static_selectorELNS0_4arch9wavefront6targetE1EEEvSJ_,comdat
	.protected	_ZN7rocprim17ROCPRIM_400000_NS6detail17trampoline_kernelINS0_13kernel_configILj256ELj4ELj4294967295EEENS1_37radix_sort_block_sort_config_selectorIyNS0_10empty_typeEEEZNS1_21radix_sort_block_sortIS4_Lb0EN6thrust23THRUST_200600_302600_NS6detail15normal_iteratorINSA_10device_ptrIyEEEESF_PS6_SG_NS0_19identity_decomposerEEE10hipError_tT1_T2_T3_T4_jRjT5_jjP12ihipStream_tbEUlT_E_NS1_11comp_targetILNS1_3genE5ELNS1_11target_archE942ELNS1_3gpuE9ELNS1_3repE0EEENS1_44radix_sort_block_sort_config_static_selectorELNS0_4arch9wavefront6targetE1EEEvSJ_ ; -- Begin function _ZN7rocprim17ROCPRIM_400000_NS6detail17trampoline_kernelINS0_13kernel_configILj256ELj4ELj4294967295EEENS1_37radix_sort_block_sort_config_selectorIyNS0_10empty_typeEEEZNS1_21radix_sort_block_sortIS4_Lb0EN6thrust23THRUST_200600_302600_NS6detail15normal_iteratorINSA_10device_ptrIyEEEESF_PS6_SG_NS0_19identity_decomposerEEE10hipError_tT1_T2_T3_T4_jRjT5_jjP12ihipStream_tbEUlT_E_NS1_11comp_targetILNS1_3genE5ELNS1_11target_archE942ELNS1_3gpuE9ELNS1_3repE0EEENS1_44radix_sort_block_sort_config_static_selectorELNS0_4arch9wavefront6targetE1EEEvSJ_
	.globl	_ZN7rocprim17ROCPRIM_400000_NS6detail17trampoline_kernelINS0_13kernel_configILj256ELj4ELj4294967295EEENS1_37radix_sort_block_sort_config_selectorIyNS0_10empty_typeEEEZNS1_21radix_sort_block_sortIS4_Lb0EN6thrust23THRUST_200600_302600_NS6detail15normal_iteratorINSA_10device_ptrIyEEEESF_PS6_SG_NS0_19identity_decomposerEEE10hipError_tT1_T2_T3_T4_jRjT5_jjP12ihipStream_tbEUlT_E_NS1_11comp_targetILNS1_3genE5ELNS1_11target_archE942ELNS1_3gpuE9ELNS1_3repE0EEENS1_44radix_sort_block_sort_config_static_selectorELNS0_4arch9wavefront6targetE1EEEvSJ_
	.p2align	8
	.type	_ZN7rocprim17ROCPRIM_400000_NS6detail17trampoline_kernelINS0_13kernel_configILj256ELj4ELj4294967295EEENS1_37radix_sort_block_sort_config_selectorIyNS0_10empty_typeEEEZNS1_21radix_sort_block_sortIS4_Lb0EN6thrust23THRUST_200600_302600_NS6detail15normal_iteratorINSA_10device_ptrIyEEEESF_PS6_SG_NS0_19identity_decomposerEEE10hipError_tT1_T2_T3_T4_jRjT5_jjP12ihipStream_tbEUlT_E_NS1_11comp_targetILNS1_3genE5ELNS1_11target_archE942ELNS1_3gpuE9ELNS1_3repE0EEENS1_44radix_sort_block_sort_config_static_selectorELNS0_4arch9wavefront6targetE1EEEvSJ_,@function
_ZN7rocprim17ROCPRIM_400000_NS6detail17trampoline_kernelINS0_13kernel_configILj256ELj4ELj4294967295EEENS1_37radix_sort_block_sort_config_selectorIyNS0_10empty_typeEEEZNS1_21radix_sort_block_sortIS4_Lb0EN6thrust23THRUST_200600_302600_NS6detail15normal_iteratorINSA_10device_ptrIyEEEESF_PS6_SG_NS0_19identity_decomposerEEE10hipError_tT1_T2_T3_T4_jRjT5_jjP12ihipStream_tbEUlT_E_NS1_11comp_targetILNS1_3genE5ELNS1_11target_archE942ELNS1_3gpuE9ELNS1_3repE0EEENS1_44radix_sort_block_sort_config_static_selectorELNS0_4arch9wavefront6targetE1EEEvSJ_: ; @_ZN7rocprim17ROCPRIM_400000_NS6detail17trampoline_kernelINS0_13kernel_configILj256ELj4ELj4294967295EEENS1_37radix_sort_block_sort_config_selectorIyNS0_10empty_typeEEEZNS1_21radix_sort_block_sortIS4_Lb0EN6thrust23THRUST_200600_302600_NS6detail15normal_iteratorINSA_10device_ptrIyEEEESF_PS6_SG_NS0_19identity_decomposerEEE10hipError_tT1_T2_T3_T4_jRjT5_jjP12ihipStream_tbEUlT_E_NS1_11comp_targetILNS1_3genE5ELNS1_11target_archE942ELNS1_3gpuE9ELNS1_3repE0EEENS1_44radix_sort_block_sort_config_static_selectorELNS0_4arch9wavefront6targetE1EEEvSJ_
; %bb.0:
	.section	.rodata,"a",@progbits
	.p2align	6, 0x0
	.amdhsa_kernel _ZN7rocprim17ROCPRIM_400000_NS6detail17trampoline_kernelINS0_13kernel_configILj256ELj4ELj4294967295EEENS1_37radix_sort_block_sort_config_selectorIyNS0_10empty_typeEEEZNS1_21radix_sort_block_sortIS4_Lb0EN6thrust23THRUST_200600_302600_NS6detail15normal_iteratorINSA_10device_ptrIyEEEESF_PS6_SG_NS0_19identity_decomposerEEE10hipError_tT1_T2_T3_T4_jRjT5_jjP12ihipStream_tbEUlT_E_NS1_11comp_targetILNS1_3genE5ELNS1_11target_archE942ELNS1_3gpuE9ELNS1_3repE0EEENS1_44radix_sort_block_sort_config_static_selectorELNS0_4arch9wavefront6targetE1EEEvSJ_
		.amdhsa_group_segment_fixed_size 0
		.amdhsa_private_segment_fixed_size 0
		.amdhsa_kernarg_size 48
		.amdhsa_user_sgpr_count 6
		.amdhsa_user_sgpr_private_segment_buffer 1
		.amdhsa_user_sgpr_dispatch_ptr 0
		.amdhsa_user_sgpr_queue_ptr 0
		.amdhsa_user_sgpr_kernarg_segment_ptr 1
		.amdhsa_user_sgpr_dispatch_id 0
		.amdhsa_user_sgpr_flat_scratch_init 0
		.amdhsa_user_sgpr_kernarg_preload_length 0
		.amdhsa_user_sgpr_kernarg_preload_offset 0
		.amdhsa_user_sgpr_private_segment_size 0
		.amdhsa_uses_dynamic_stack 0
		.amdhsa_system_sgpr_private_segment_wavefront_offset 0
		.amdhsa_system_sgpr_workgroup_id_x 1
		.amdhsa_system_sgpr_workgroup_id_y 0
		.amdhsa_system_sgpr_workgroup_id_z 0
		.amdhsa_system_sgpr_workgroup_info 0
		.amdhsa_system_vgpr_workitem_id 0
		.amdhsa_next_free_vgpr 1
		.amdhsa_next_free_sgpr 0
		.amdhsa_accum_offset 4
		.amdhsa_reserve_vcc 0
		.amdhsa_reserve_flat_scratch 0
		.amdhsa_float_round_mode_32 0
		.amdhsa_float_round_mode_16_64 0
		.amdhsa_float_denorm_mode_32 3
		.amdhsa_float_denorm_mode_16_64 3
		.amdhsa_dx10_clamp 1
		.amdhsa_ieee_mode 1
		.amdhsa_fp16_overflow 0
		.amdhsa_tg_split 0
		.amdhsa_exception_fp_ieee_invalid_op 0
		.amdhsa_exception_fp_denorm_src 0
		.amdhsa_exception_fp_ieee_div_zero 0
		.amdhsa_exception_fp_ieee_overflow 0
		.amdhsa_exception_fp_ieee_underflow 0
		.amdhsa_exception_fp_ieee_inexact 0
		.amdhsa_exception_int_div_zero 0
	.end_amdhsa_kernel
	.section	.text._ZN7rocprim17ROCPRIM_400000_NS6detail17trampoline_kernelINS0_13kernel_configILj256ELj4ELj4294967295EEENS1_37radix_sort_block_sort_config_selectorIyNS0_10empty_typeEEEZNS1_21radix_sort_block_sortIS4_Lb0EN6thrust23THRUST_200600_302600_NS6detail15normal_iteratorINSA_10device_ptrIyEEEESF_PS6_SG_NS0_19identity_decomposerEEE10hipError_tT1_T2_T3_T4_jRjT5_jjP12ihipStream_tbEUlT_E_NS1_11comp_targetILNS1_3genE5ELNS1_11target_archE942ELNS1_3gpuE9ELNS1_3repE0EEENS1_44radix_sort_block_sort_config_static_selectorELNS0_4arch9wavefront6targetE1EEEvSJ_,"axG",@progbits,_ZN7rocprim17ROCPRIM_400000_NS6detail17trampoline_kernelINS0_13kernel_configILj256ELj4ELj4294967295EEENS1_37radix_sort_block_sort_config_selectorIyNS0_10empty_typeEEEZNS1_21radix_sort_block_sortIS4_Lb0EN6thrust23THRUST_200600_302600_NS6detail15normal_iteratorINSA_10device_ptrIyEEEESF_PS6_SG_NS0_19identity_decomposerEEE10hipError_tT1_T2_T3_T4_jRjT5_jjP12ihipStream_tbEUlT_E_NS1_11comp_targetILNS1_3genE5ELNS1_11target_archE942ELNS1_3gpuE9ELNS1_3repE0EEENS1_44radix_sort_block_sort_config_static_selectorELNS0_4arch9wavefront6targetE1EEEvSJ_,comdat
.Lfunc_end707:
	.size	_ZN7rocprim17ROCPRIM_400000_NS6detail17trampoline_kernelINS0_13kernel_configILj256ELj4ELj4294967295EEENS1_37radix_sort_block_sort_config_selectorIyNS0_10empty_typeEEEZNS1_21radix_sort_block_sortIS4_Lb0EN6thrust23THRUST_200600_302600_NS6detail15normal_iteratorINSA_10device_ptrIyEEEESF_PS6_SG_NS0_19identity_decomposerEEE10hipError_tT1_T2_T3_T4_jRjT5_jjP12ihipStream_tbEUlT_E_NS1_11comp_targetILNS1_3genE5ELNS1_11target_archE942ELNS1_3gpuE9ELNS1_3repE0EEENS1_44radix_sort_block_sort_config_static_selectorELNS0_4arch9wavefront6targetE1EEEvSJ_, .Lfunc_end707-_ZN7rocprim17ROCPRIM_400000_NS6detail17trampoline_kernelINS0_13kernel_configILj256ELj4ELj4294967295EEENS1_37radix_sort_block_sort_config_selectorIyNS0_10empty_typeEEEZNS1_21radix_sort_block_sortIS4_Lb0EN6thrust23THRUST_200600_302600_NS6detail15normal_iteratorINSA_10device_ptrIyEEEESF_PS6_SG_NS0_19identity_decomposerEEE10hipError_tT1_T2_T3_T4_jRjT5_jjP12ihipStream_tbEUlT_E_NS1_11comp_targetILNS1_3genE5ELNS1_11target_archE942ELNS1_3gpuE9ELNS1_3repE0EEENS1_44radix_sort_block_sort_config_static_selectorELNS0_4arch9wavefront6targetE1EEEvSJ_
                                        ; -- End function
	.section	.AMDGPU.csdata,"",@progbits
; Kernel info:
; codeLenInByte = 0
; NumSgprs: 4
; NumVgprs: 0
; NumAgprs: 0
; TotalNumVgprs: 0
; ScratchSize: 0
; MemoryBound: 0
; FloatMode: 240
; IeeeMode: 1
; LDSByteSize: 0 bytes/workgroup (compile time only)
; SGPRBlocks: 0
; VGPRBlocks: 0
; NumSGPRsForWavesPerEU: 4
; NumVGPRsForWavesPerEU: 1
; AccumOffset: 4
; Occupancy: 8
; WaveLimiterHint : 0
; COMPUTE_PGM_RSRC2:SCRATCH_EN: 0
; COMPUTE_PGM_RSRC2:USER_SGPR: 6
; COMPUTE_PGM_RSRC2:TRAP_HANDLER: 0
; COMPUTE_PGM_RSRC2:TGID_X_EN: 1
; COMPUTE_PGM_RSRC2:TGID_Y_EN: 0
; COMPUTE_PGM_RSRC2:TGID_Z_EN: 0
; COMPUTE_PGM_RSRC2:TIDIG_COMP_CNT: 0
; COMPUTE_PGM_RSRC3_GFX90A:ACCUM_OFFSET: 0
; COMPUTE_PGM_RSRC3_GFX90A:TG_SPLIT: 0
	.section	.text._ZN7rocprim17ROCPRIM_400000_NS6detail17trampoline_kernelINS0_13kernel_configILj256ELj4ELj4294967295EEENS1_37radix_sort_block_sort_config_selectorIyNS0_10empty_typeEEEZNS1_21radix_sort_block_sortIS4_Lb0EN6thrust23THRUST_200600_302600_NS6detail15normal_iteratorINSA_10device_ptrIyEEEESF_PS6_SG_NS0_19identity_decomposerEEE10hipError_tT1_T2_T3_T4_jRjT5_jjP12ihipStream_tbEUlT_E_NS1_11comp_targetILNS1_3genE4ELNS1_11target_archE910ELNS1_3gpuE8ELNS1_3repE0EEENS1_44radix_sort_block_sort_config_static_selectorELNS0_4arch9wavefront6targetE1EEEvSJ_,"axG",@progbits,_ZN7rocprim17ROCPRIM_400000_NS6detail17trampoline_kernelINS0_13kernel_configILj256ELj4ELj4294967295EEENS1_37radix_sort_block_sort_config_selectorIyNS0_10empty_typeEEEZNS1_21radix_sort_block_sortIS4_Lb0EN6thrust23THRUST_200600_302600_NS6detail15normal_iteratorINSA_10device_ptrIyEEEESF_PS6_SG_NS0_19identity_decomposerEEE10hipError_tT1_T2_T3_T4_jRjT5_jjP12ihipStream_tbEUlT_E_NS1_11comp_targetILNS1_3genE4ELNS1_11target_archE910ELNS1_3gpuE8ELNS1_3repE0EEENS1_44radix_sort_block_sort_config_static_selectorELNS0_4arch9wavefront6targetE1EEEvSJ_,comdat
	.protected	_ZN7rocprim17ROCPRIM_400000_NS6detail17trampoline_kernelINS0_13kernel_configILj256ELj4ELj4294967295EEENS1_37radix_sort_block_sort_config_selectorIyNS0_10empty_typeEEEZNS1_21radix_sort_block_sortIS4_Lb0EN6thrust23THRUST_200600_302600_NS6detail15normal_iteratorINSA_10device_ptrIyEEEESF_PS6_SG_NS0_19identity_decomposerEEE10hipError_tT1_T2_T3_T4_jRjT5_jjP12ihipStream_tbEUlT_E_NS1_11comp_targetILNS1_3genE4ELNS1_11target_archE910ELNS1_3gpuE8ELNS1_3repE0EEENS1_44radix_sort_block_sort_config_static_selectorELNS0_4arch9wavefront6targetE1EEEvSJ_ ; -- Begin function _ZN7rocprim17ROCPRIM_400000_NS6detail17trampoline_kernelINS0_13kernel_configILj256ELj4ELj4294967295EEENS1_37radix_sort_block_sort_config_selectorIyNS0_10empty_typeEEEZNS1_21radix_sort_block_sortIS4_Lb0EN6thrust23THRUST_200600_302600_NS6detail15normal_iteratorINSA_10device_ptrIyEEEESF_PS6_SG_NS0_19identity_decomposerEEE10hipError_tT1_T2_T3_T4_jRjT5_jjP12ihipStream_tbEUlT_E_NS1_11comp_targetILNS1_3genE4ELNS1_11target_archE910ELNS1_3gpuE8ELNS1_3repE0EEENS1_44radix_sort_block_sort_config_static_selectorELNS0_4arch9wavefront6targetE1EEEvSJ_
	.globl	_ZN7rocprim17ROCPRIM_400000_NS6detail17trampoline_kernelINS0_13kernel_configILj256ELj4ELj4294967295EEENS1_37radix_sort_block_sort_config_selectorIyNS0_10empty_typeEEEZNS1_21radix_sort_block_sortIS4_Lb0EN6thrust23THRUST_200600_302600_NS6detail15normal_iteratorINSA_10device_ptrIyEEEESF_PS6_SG_NS0_19identity_decomposerEEE10hipError_tT1_T2_T3_T4_jRjT5_jjP12ihipStream_tbEUlT_E_NS1_11comp_targetILNS1_3genE4ELNS1_11target_archE910ELNS1_3gpuE8ELNS1_3repE0EEENS1_44radix_sort_block_sort_config_static_selectorELNS0_4arch9wavefront6targetE1EEEvSJ_
	.p2align	8
	.type	_ZN7rocprim17ROCPRIM_400000_NS6detail17trampoline_kernelINS0_13kernel_configILj256ELj4ELj4294967295EEENS1_37radix_sort_block_sort_config_selectorIyNS0_10empty_typeEEEZNS1_21radix_sort_block_sortIS4_Lb0EN6thrust23THRUST_200600_302600_NS6detail15normal_iteratorINSA_10device_ptrIyEEEESF_PS6_SG_NS0_19identity_decomposerEEE10hipError_tT1_T2_T3_T4_jRjT5_jjP12ihipStream_tbEUlT_E_NS1_11comp_targetILNS1_3genE4ELNS1_11target_archE910ELNS1_3gpuE8ELNS1_3repE0EEENS1_44radix_sort_block_sort_config_static_selectorELNS0_4arch9wavefront6targetE1EEEvSJ_,@function
_ZN7rocprim17ROCPRIM_400000_NS6detail17trampoline_kernelINS0_13kernel_configILj256ELj4ELj4294967295EEENS1_37radix_sort_block_sort_config_selectorIyNS0_10empty_typeEEEZNS1_21radix_sort_block_sortIS4_Lb0EN6thrust23THRUST_200600_302600_NS6detail15normal_iteratorINSA_10device_ptrIyEEEESF_PS6_SG_NS0_19identity_decomposerEEE10hipError_tT1_T2_T3_T4_jRjT5_jjP12ihipStream_tbEUlT_E_NS1_11comp_targetILNS1_3genE4ELNS1_11target_archE910ELNS1_3gpuE8ELNS1_3repE0EEENS1_44radix_sort_block_sort_config_static_selectorELNS0_4arch9wavefront6targetE1EEEvSJ_: ; @_ZN7rocprim17ROCPRIM_400000_NS6detail17trampoline_kernelINS0_13kernel_configILj256ELj4ELj4294967295EEENS1_37radix_sort_block_sort_config_selectorIyNS0_10empty_typeEEEZNS1_21radix_sort_block_sortIS4_Lb0EN6thrust23THRUST_200600_302600_NS6detail15normal_iteratorINSA_10device_ptrIyEEEESF_PS6_SG_NS0_19identity_decomposerEEE10hipError_tT1_T2_T3_T4_jRjT5_jjP12ihipStream_tbEUlT_E_NS1_11comp_targetILNS1_3genE4ELNS1_11target_archE910ELNS1_3gpuE8ELNS1_3repE0EEENS1_44radix_sort_block_sort_config_static_selectorELNS0_4arch9wavefront6targetE1EEEvSJ_
; %bb.0:
	s_load_dword s7, s[4:5], 0x20
	s_load_dwordx4 s[28:31], s[4:5], 0x0
	s_lshl_b32 s0, s6, 10
	s_mov_b32 s1, 0
	v_mbcnt_lo_u32_b32 v1, -1, 0
	s_waitcnt lgkmcnt(0)
	s_lshr_b32 s2, s7, 10
	s_cmp_lg_u32 s6, s2
	s_cselect_b64 s[34:35], -1, 0
	s_lshl_b64 s[36:37], s[0:1], 3
	v_mbcnt_hi_u32_b32 v1, -1, v1
	v_and_b32_e32 v10, 0x3ff, v0
	s_add_u32 s1, s28, s36
	v_and_b32_e32 v15, 63, v1
	s_addc_u32 s3, s29, s37
	v_lshlrev_b32_e32 v11, 2, v10
	v_lshlrev_b32_e32 v2, 3, v15
	v_and_b32_e32 v16, 0x300, v11
	v_mov_b32_e32 v3, s3
	v_add_co_u32_e32 v2, vcc, s1, v2
	v_addc_co_u32_e32 v3, vcc, 0, v3, vcc
	v_lshlrev_b32_e32 v4, 3, v16
	v_add_co_u32_e32 v12, vcc, v2, v4
	s_cmp_eq_u32 s6, s2
	v_addc_co_u32_e32 v13, vcc, 0, v3, vcc
	v_or_b32_e32 v14, v15, v16
	s_cbranch_scc1 .LBB708_2
; %bb.1:
	global_load_dwordx2 v[2:3], v[12:13], off
	global_load_dwordx2 v[4:5], v[12:13], off offset:512
	global_load_dwordx2 v[6:7], v[12:13], off offset:1024
	;; [unrolled: 1-line block ×3, first 2 shown]
	v_or_b32_e32 v18, v15, v16
	v_or_b32_e32 v15, 64, v18
	;; [unrolled: 1-line block ×4, first 2 shown]
	s_load_dwordx2 s[28:29], s[4:5], 0x28
	s_sub_i32 s33, s7, s0
	s_cbranch_execz .LBB708_3
	s_branch .LBB708_12
.LBB708_2:
                                        ; implicit-def: $vgpr2_vgpr3_vgpr4_vgpr5_vgpr6_vgpr7_vgpr8_vgpr9
                                        ; implicit-def: $vgpr18
                                        ; implicit-def: $vgpr15
                                        ; implicit-def: $vgpr16
                                        ; implicit-def: $vgpr17
	s_load_dwordx2 s[28:29], s[4:5], 0x28
	s_sub_i32 s33, s7, s0
.LBB708_3:
	s_mov_b32 s8, -1
	s_mov_b32 s9, s8
	s_mov_b32 s10, s8
	s_mov_b32 s11, s8
	s_mov_b32 s12, s8
	s_mov_b32 s13, s8
	s_mov_b32 s14, s8
	s_mov_b32 s15, s8
	s_waitcnt vmcnt(0)
	v_pk_mov_b32 v[2:3], s[8:9], s[8:9] op_sel:[0,1]
	v_cmp_gt_u32_e32 vcc, s33, v14
	v_pk_mov_b32 v[4:5], s[10:11], s[10:11] op_sel:[0,1]
	v_pk_mov_b32 v[6:7], s[12:13], s[12:13] op_sel:[0,1]
	;; [unrolled: 1-line block ×3, first 2 shown]
	s_and_saveexec_b64 s[0:1], vcc
	s_cbranch_execz .LBB708_5
; %bb.4:
	global_load_dwordx2 v[2:3], v[12:13], off
	v_mov_b32_e32 v4, -1
	v_mov_b32_e32 v5, v4
	v_mov_b32_e32 v6, v4
	;; [unrolled: 1-line block ×5, first 2 shown]
.LBB708_5:
	s_or_b64 exec, exec, s[0:1]
	v_or_b32_e32 v15, 64, v14
	v_cmp_gt_u32_e32 vcc, s33, v15
	s_and_saveexec_b64 s[0:1], vcc
	s_cbranch_execz .LBB708_7
; %bb.6:
	global_load_dwordx2 v[4:5], v[12:13], off offset:512
.LBB708_7:
	s_or_b64 exec, exec, s[0:1]
	v_or_b32_e32 v16, 0x80, v14
	v_cmp_gt_u32_e32 vcc, s33, v16
	s_and_saveexec_b64 s[0:1], vcc
	s_cbranch_execz .LBB708_9
; %bb.8:
	global_load_dwordx2 v[6:7], v[12:13], off offset:1024
.LBB708_9:
	;; [unrolled: 8-line block ×3, first 2 shown]
	s_or_b64 exec, exec, s[0:1]
	v_mov_b32_e32 v18, v14
.LBB708_12:
	s_load_dword s2, s[4:5], 0x3c
	s_waitcnt lgkmcnt(0)
	s_add_i32 s38, s29, s28
	s_getpc_b64 s[0:1]
	s_add_u32 s0, s0, _ZN7rocprim17ROCPRIM_400000_NS16block_radix_sortIyLj256ELj4ENS0_10empty_typeELj1ELj1ELj0ELNS0_26block_radix_rank_algorithmE1ELNS0_18block_padding_hintE2ELNS0_4arch9wavefront6targetE1EE19radix_bits_per_passE@rel32@lo+4
	s_addc_u32 s1, s1, _ZN7rocprim17ROCPRIM_400000_NS16block_radix_sortIyLj256ELj4ENS0_10empty_typeELj1ELj1ELj0ELNS0_26block_radix_rank_algorithmE1ELNS0_18block_padding_hintE2ELNS0_4arch9wavefront6targetE1EE19radix_bits_per_passE@rel32@hi+12
	s_load_dword s39, s[0:1], 0x0
	v_bfe_u32 v12, v0, 10, 10
	s_lshr_b32 s0, s2, 16
	v_bfe_u32 v0, v0, 20, 10
	s_and_b32 s1, s2, 0xffff
	v_mad_u32_u24 v0, v0, s0, v12
	v_mad_u64_u32 v[12:13], s[0:1], v0, s1, v[10:11]
	v_and_b32_e32 v0, 15, v1
	v_cmp_eq_u32_e64 s[0:1], 0, v0
	v_cmp_lt_u32_e64 s[2:3], 1, v0
	v_cmp_lt_u32_e64 s[4:5], 3, v0
	;; [unrolled: 1-line block ×3, first 2 shown]
	v_and_b32_e32 v0, 16, v1
	v_cmp_eq_u32_e64 s[8:9], 0, v0
	v_and_b32_e32 v0, 0x3c0, v10
	v_min_u32_e32 v0, 0xc0, v0
	v_or_b32_e32 v0, 63, v0
	v_lshrrev_b32_e32 v26, 6, v12
	v_cmp_eq_u32_e64 s[12:13], v0, v10
	v_add_u32_e32 v0, -1, v1
	v_and_b32_e32 v12, 64, v1
	v_cmp_lt_i32_e32 vcc, v0, v12
	v_cndmask_b32_e32 v0, v0, v1, vcc
	s_mov_b32 s26, 0
	v_lshlrev_b32_e32 v27, 2, v0
	v_lshrrev_b32_e32 v0, 4, v10
	v_lshlrev_b32_e32 v11, 2, v11
	v_cmp_lt_u32_e64 s[10:11], 31, v1
	v_cmp_eq_u32_e64 s[18:19], 0, v1
	v_and_b32_e32 v28, 60, v0
	v_mul_i32_i24_e32 v0, -12, v10
	v_and_b32_e32 v1, 3, v1
	s_mov_b32 s27, s26
	s_mov_b32 s40, s26
	;; [unrolled: 1-line block ×3, first 2 shown]
	v_cmp_gt_u32_e64 s[14:15], 4, v10
	v_cmp_lt_u32_e64 s[16:17], 63, v10
	v_cmp_eq_u32_e64 s[20:21], 0, v10
	v_cmp_eq_u32_e64 s[22:23], 0, v1
	v_cmp_lt_u32_e64 s[24:25], 1, v1
	v_add_u32_e32 v29, -4, v28
	v_lshlrev_b32_e32 v30, 3, v18
	v_lshlrev_b32_e32 v31, 3, v15
	;; [unrolled: 1-line block ×4, first 2 shown]
	v_pk_mov_b32 v[12:13], s[26:27], s[26:27] op_sel:[0,1]
	v_pk_mov_b32 v[14:15], s[40:41], s[40:41] op_sel:[0,1]
	v_add_u32_e32 v34, v11, v0
	v_mov_b32_e32 v16, 0
	s_branch .LBB708_14
.LBB708_13:                             ;   in Loop: Header=BB708_14 Depth=1
	s_barrier
	ds_write_b64 v0, v[18:19]
	ds_write_b64 v1, v[20:21]
	;; [unrolled: 1-line block ×4, first 2 shown]
	s_waitcnt lgkmcnt(0)
	s_barrier
	ds_read_b64 v[2:3], v30
	ds_read_b64 v[4:5], v31
	;; [unrolled: 1-line block ×4, first 2 shown]
	s_add_i32 s29, s29, -8
	s_waitcnt lgkmcnt(0)
	s_barrier
	s_cbranch_execz .LBB708_30
.LBB708_14:                             ; =>This Inner Loop Header: Depth=1
	s_waitcnt lgkmcnt(0)
	s_min_u32 s26, s39, s29
	s_lshl_b32 s26, -1, s26
	s_waitcnt vmcnt(0)
	v_mov_b32_e32 v18, v2
	v_mov_b32_e32 v19, v3
	s_not_b32 s40, s26
	v_lshrrev_b64 v[0:1], s28, v[18:19]
	v_and_b32_e32 v0, s40, v0
	v_lshl_add_u32 v1, v0, 2, v26
	v_lshl_add_u32 v35, v1, 2, 16
	v_and_b32_e32 v1, 1, v0
	v_add_co_u32_e32 v2, vcc, -1, v1
	v_addc_co_u32_e64 v3, s[26:27], 0, -1, vcc
	v_cmp_ne_u32_e32 vcc, 0, v1
	v_lshlrev_b32_e32 v17, 30, v0
	v_xor_b32_e32 v1, vcc_hi, v3
	v_not_b32_e32 v3, v17
	v_xor_b32_e32 v2, vcc_lo, v2
	v_cmp_gt_i64_e32 vcc, 0, v[16:17]
	v_ashrrev_i32_e32 v3, 31, v3
	v_and_b32_e32 v1, exec_hi, v1
	v_xor_b32_e32 v17, vcc_hi, v3
	v_and_b32_e32 v2, exec_lo, v2
	v_xor_b32_e32 v3, vcc_lo, v3
	v_and_b32_e32 v1, v1, v17
	v_lshlrev_b32_e32 v17, 29, v0
	v_and_b32_e32 v2, v2, v3
	v_not_b32_e32 v3, v17
	v_cmp_gt_i64_e32 vcc, 0, v[16:17]
	v_ashrrev_i32_e32 v3, 31, v3
	v_xor_b32_e32 v17, vcc_hi, v3
	v_xor_b32_e32 v3, vcc_lo, v3
	v_and_b32_e32 v1, v1, v17
	v_lshlrev_b32_e32 v17, 28, v0
	v_and_b32_e32 v2, v2, v3
	v_not_b32_e32 v3, v17
	v_cmp_gt_i64_e32 vcc, 0, v[16:17]
	v_ashrrev_i32_e32 v3, 31, v3
	v_xor_b32_e32 v17, vcc_hi, v3
	;; [unrolled: 8-line block ×5, first 2 shown]
	v_and_b32_e32 v1, v1, v17
	v_lshlrev_b32_e32 v17, 24, v0
	v_not_b32_e32 v0, v17
	v_xor_b32_e32 v3, vcc_lo, v3
	v_cmp_gt_i64_e32 vcc, 0, v[16:17]
	v_ashrrev_i32_e32 v0, 31, v0
	v_and_b32_e32 v2, v2, v3
	v_xor_b32_e32 v3, vcc_hi, v0
	v_xor_b32_e32 v0, vcc_lo, v0
	v_and_b32_e32 v0, v2, v0
	v_and_b32_e32 v1, v1, v3
	v_mbcnt_lo_u32_b32 v2, v0, 0
	v_mbcnt_hi_u32_b32 v36, v1, v2
	v_cmp_eq_u32_e32 vcc, 0, v36
	v_cmp_ne_u64_e64 s[26:27], 0, v[0:1]
	s_and_b64 s[42:43], s[26:27], vcc
	ds_write2_b64 v11, v[12:13], v[14:15] offset0:2 offset1:3
	s_waitcnt lgkmcnt(0)
	s_barrier
	s_waitcnt lgkmcnt(0)
	; wave barrier
	s_and_saveexec_b64 s[26:27], s[42:43]
	s_cbranch_execz .LBB708_16
; %bb.15:                               ;   in Loop: Header=BB708_14 Depth=1
	v_bcnt_u32_b32 v0, v0, 0
	v_bcnt_u32_b32 v0, v1, v0
	ds_write_b32 v35, v0
.LBB708_16:                             ;   in Loop: Header=BB708_14 Depth=1
	s_or_b64 exec, exec, s[26:27]
	v_mov_b32_e32 v20, v4
	v_mov_b32_e32 v21, v5
	v_lshrrev_b64 v[0:1], s28, v[20:21]
	v_and_b32_e32 v0, s40, v0
	v_lshlrev_b32_e32 v1, 2, v0
	v_add_lshl_u32 v1, v1, v26, 2
	; wave barrier
	v_add_u32_e32 v5, 16, v1
	ds_read_b32 v4, v1 offset:16
	v_and_b32_e32 v1, 1, v0
	v_add_co_u32_e32 v2, vcc, -1, v1
	v_addc_co_u32_e64 v3, s[26:27], 0, -1, vcc
	v_cmp_ne_u32_e32 vcc, 0, v1
	v_lshlrev_b32_e32 v17, 30, v0
	v_xor_b32_e32 v1, vcc_hi, v3
	v_not_b32_e32 v3, v17
	v_xor_b32_e32 v2, vcc_lo, v2
	v_cmp_gt_i64_e32 vcc, 0, v[16:17]
	v_ashrrev_i32_e32 v3, 31, v3
	v_and_b32_e32 v1, exec_hi, v1
	v_xor_b32_e32 v17, vcc_hi, v3
	v_and_b32_e32 v2, exec_lo, v2
	v_xor_b32_e32 v3, vcc_lo, v3
	v_and_b32_e32 v1, v1, v17
	v_lshlrev_b32_e32 v17, 29, v0
	v_and_b32_e32 v2, v2, v3
	v_not_b32_e32 v3, v17
	v_cmp_gt_i64_e32 vcc, 0, v[16:17]
	v_ashrrev_i32_e32 v3, 31, v3
	v_xor_b32_e32 v17, vcc_hi, v3
	v_xor_b32_e32 v3, vcc_lo, v3
	v_and_b32_e32 v1, v1, v17
	v_lshlrev_b32_e32 v17, 28, v0
	v_and_b32_e32 v2, v2, v3
	v_not_b32_e32 v3, v17
	v_cmp_gt_i64_e32 vcc, 0, v[16:17]
	v_ashrrev_i32_e32 v3, 31, v3
	v_xor_b32_e32 v17, vcc_hi, v3
	;; [unrolled: 8-line block ×5, first 2 shown]
	v_and_b32_e32 v1, v1, v17
	v_lshlrev_b32_e32 v17, 24, v0
	v_not_b32_e32 v0, v17
	v_xor_b32_e32 v3, vcc_lo, v3
	v_cmp_gt_i64_e32 vcc, 0, v[16:17]
	v_ashrrev_i32_e32 v0, 31, v0
	v_and_b32_e32 v2, v2, v3
	v_xor_b32_e32 v3, vcc_hi, v0
	v_xor_b32_e32 v0, vcc_lo, v0
	v_and_b32_e32 v0, v2, v0
	v_and_b32_e32 v1, v1, v3
	v_mbcnt_lo_u32_b32 v2, v0, 0
	v_mbcnt_hi_u32_b32 v37, v1, v2
	v_cmp_eq_u32_e32 vcc, 0, v37
	v_cmp_ne_u64_e64 s[26:27], 0, v[0:1]
	s_and_b64 s[42:43], s[26:27], vcc
	; wave barrier
	s_and_saveexec_b64 s[26:27], s[42:43]
	s_cbranch_execz .LBB708_18
; %bb.17:                               ;   in Loop: Header=BB708_14 Depth=1
	v_bcnt_u32_b32 v0, v0, 0
	v_bcnt_u32_b32 v0, v1, v0
	s_waitcnt lgkmcnt(0)
	v_add_u32_e32 v0, v4, v0
	ds_write_b32 v5, v0
.LBB708_18:                             ;   in Loop: Header=BB708_14 Depth=1
	s_or_b64 exec, exec, s[26:27]
	v_mov_b32_e32 v22, v6
	v_mov_b32_e32 v23, v7
	v_lshrrev_b64 v[0:1], s28, v[22:23]
	v_and_b32_e32 v0, s40, v0
	v_lshlrev_b32_e32 v1, 2, v0
	v_add_lshl_u32 v1, v1, v26, 2
	; wave barrier
	v_add_u32_e32 v7, 16, v1
	ds_read_b32 v6, v1 offset:16
	v_and_b32_e32 v1, 1, v0
	v_add_co_u32_e32 v2, vcc, -1, v1
	v_addc_co_u32_e64 v3, s[26:27], 0, -1, vcc
	v_cmp_ne_u32_e32 vcc, 0, v1
	v_lshlrev_b32_e32 v17, 30, v0
	v_xor_b32_e32 v1, vcc_hi, v3
	v_not_b32_e32 v3, v17
	v_xor_b32_e32 v2, vcc_lo, v2
	v_cmp_gt_i64_e32 vcc, 0, v[16:17]
	v_ashrrev_i32_e32 v3, 31, v3
	v_and_b32_e32 v1, exec_hi, v1
	v_xor_b32_e32 v17, vcc_hi, v3
	v_and_b32_e32 v2, exec_lo, v2
	v_xor_b32_e32 v3, vcc_lo, v3
	v_and_b32_e32 v1, v1, v17
	v_lshlrev_b32_e32 v17, 29, v0
	v_and_b32_e32 v2, v2, v3
	v_not_b32_e32 v3, v17
	v_cmp_gt_i64_e32 vcc, 0, v[16:17]
	v_ashrrev_i32_e32 v3, 31, v3
	v_xor_b32_e32 v17, vcc_hi, v3
	v_xor_b32_e32 v3, vcc_lo, v3
	v_and_b32_e32 v1, v1, v17
	v_lshlrev_b32_e32 v17, 28, v0
	v_and_b32_e32 v2, v2, v3
	v_not_b32_e32 v3, v17
	v_cmp_gt_i64_e32 vcc, 0, v[16:17]
	v_ashrrev_i32_e32 v3, 31, v3
	v_xor_b32_e32 v17, vcc_hi, v3
	;; [unrolled: 8-line block ×5, first 2 shown]
	v_and_b32_e32 v1, v1, v17
	v_lshlrev_b32_e32 v17, 24, v0
	v_not_b32_e32 v0, v17
	v_xor_b32_e32 v3, vcc_lo, v3
	v_cmp_gt_i64_e32 vcc, 0, v[16:17]
	v_ashrrev_i32_e32 v0, 31, v0
	v_and_b32_e32 v2, v2, v3
	v_xor_b32_e32 v3, vcc_hi, v0
	v_xor_b32_e32 v0, vcc_lo, v0
	v_and_b32_e32 v0, v2, v0
	v_and_b32_e32 v1, v1, v3
	v_mbcnt_lo_u32_b32 v2, v0, 0
	v_mbcnt_hi_u32_b32 v38, v1, v2
	v_cmp_eq_u32_e32 vcc, 0, v38
	v_cmp_ne_u64_e64 s[26:27], 0, v[0:1]
	s_and_b64 s[42:43], s[26:27], vcc
	; wave barrier
	s_and_saveexec_b64 s[26:27], s[42:43]
	s_cbranch_execz .LBB708_20
; %bb.19:                               ;   in Loop: Header=BB708_14 Depth=1
	v_bcnt_u32_b32 v0, v0, 0
	v_bcnt_u32_b32 v0, v1, v0
	s_waitcnt lgkmcnt(0)
	v_add_u32_e32 v0, v6, v0
	ds_write_b32 v7, v0
.LBB708_20:                             ;   in Loop: Header=BB708_14 Depth=1
	s_or_b64 exec, exec, s[26:27]
	v_mov_b32_e32 v24, v8
	v_mov_b32_e32 v25, v9
	v_lshrrev_b64 v[0:1], s28, v[24:25]
	v_and_b32_e32 v0, s40, v0
	v_lshlrev_b32_e32 v1, 2, v0
	v_add_lshl_u32 v1, v1, v26, 2
	; wave barrier
	v_add_u32_e32 v9, 16, v1
	ds_read_b32 v8, v1 offset:16
	v_and_b32_e32 v1, 1, v0
	v_add_co_u32_e32 v2, vcc, -1, v1
	v_addc_co_u32_e64 v3, s[26:27], 0, -1, vcc
	v_cmp_ne_u32_e32 vcc, 0, v1
	v_lshlrev_b32_e32 v17, 30, v0
	v_xor_b32_e32 v1, vcc_hi, v3
	v_not_b32_e32 v3, v17
	v_xor_b32_e32 v2, vcc_lo, v2
	v_cmp_gt_i64_e32 vcc, 0, v[16:17]
	v_ashrrev_i32_e32 v3, 31, v3
	v_and_b32_e32 v1, exec_hi, v1
	v_xor_b32_e32 v17, vcc_hi, v3
	v_and_b32_e32 v2, exec_lo, v2
	v_xor_b32_e32 v3, vcc_lo, v3
	v_and_b32_e32 v1, v1, v17
	v_lshlrev_b32_e32 v17, 29, v0
	v_and_b32_e32 v2, v2, v3
	v_not_b32_e32 v3, v17
	v_cmp_gt_i64_e32 vcc, 0, v[16:17]
	v_ashrrev_i32_e32 v3, 31, v3
	v_xor_b32_e32 v17, vcc_hi, v3
	v_xor_b32_e32 v3, vcc_lo, v3
	v_and_b32_e32 v1, v1, v17
	v_lshlrev_b32_e32 v17, 28, v0
	v_and_b32_e32 v2, v2, v3
	v_not_b32_e32 v3, v17
	v_cmp_gt_i64_e32 vcc, 0, v[16:17]
	v_ashrrev_i32_e32 v3, 31, v3
	v_xor_b32_e32 v17, vcc_hi, v3
	v_xor_b32_e32 v3, vcc_lo, v3
	v_and_b32_e32 v1, v1, v17
	v_lshlrev_b32_e32 v17, 27, v0
	v_and_b32_e32 v2, v2, v3
	v_not_b32_e32 v3, v17
	v_cmp_gt_i64_e32 vcc, 0, v[16:17]
	v_ashrrev_i32_e32 v3, 31, v3
	v_xor_b32_e32 v17, vcc_hi, v3
	v_xor_b32_e32 v3, vcc_lo, v3
	v_and_b32_e32 v1, v1, v17
	v_lshlrev_b32_e32 v17, 26, v0
	v_and_b32_e32 v2, v2, v3
	v_not_b32_e32 v3, v17
	v_cmp_gt_i64_e32 vcc, 0, v[16:17]
	v_ashrrev_i32_e32 v3, 31, v3
	v_xor_b32_e32 v17, vcc_hi, v3
	v_xor_b32_e32 v3, vcc_lo, v3
	v_and_b32_e32 v1, v1, v17
	v_lshlrev_b32_e32 v17, 25, v0
	v_and_b32_e32 v2, v2, v3
	v_not_b32_e32 v3, v17
	v_cmp_gt_i64_e32 vcc, 0, v[16:17]
	v_ashrrev_i32_e32 v3, 31, v3
	v_xor_b32_e32 v17, vcc_hi, v3
	v_and_b32_e32 v1, v1, v17
	v_lshlrev_b32_e32 v17, 24, v0
	v_not_b32_e32 v0, v17
	v_xor_b32_e32 v3, vcc_lo, v3
	v_cmp_gt_i64_e32 vcc, 0, v[16:17]
	v_ashrrev_i32_e32 v0, 31, v0
	v_and_b32_e32 v2, v2, v3
	v_xor_b32_e32 v3, vcc_hi, v0
	v_xor_b32_e32 v0, vcc_lo, v0
	v_and_b32_e32 v0, v2, v0
	v_and_b32_e32 v1, v1, v3
	v_mbcnt_lo_u32_b32 v2, v0, 0
	v_mbcnt_hi_u32_b32 v17, v1, v2
	v_cmp_eq_u32_e32 vcc, 0, v17
	v_cmp_ne_u64_e64 s[26:27], 0, v[0:1]
	s_and_b64 s[40:41], s[26:27], vcc
	; wave barrier
	s_and_saveexec_b64 s[26:27], s[40:41]
	s_cbranch_execz .LBB708_22
; %bb.21:                               ;   in Loop: Header=BB708_14 Depth=1
	v_bcnt_u32_b32 v0, v0, 0
	v_bcnt_u32_b32 v0, v1, v0
	s_waitcnt lgkmcnt(0)
	v_add_u32_e32 v0, v8, v0
	ds_write_b32 v9, v0
.LBB708_22:                             ;   in Loop: Header=BB708_14 Depth=1
	s_or_b64 exec, exec, s[26:27]
	; wave barrier
	s_waitcnt lgkmcnt(0)
	s_barrier
	ds_read2_b64 v[0:3], v11 offset0:2 offset1:3
	s_waitcnt lgkmcnt(0)
	v_add_u32_e32 v39, v1, v0
	v_add3_u32 v3, v39, v2, v3
	s_nop 1
	v_mov_b32_dpp v39, v3 row_shr:1 row_mask:0xf bank_mask:0xf
	v_cndmask_b32_e64 v39, v39, 0, s[0:1]
	v_add_u32_e32 v3, v39, v3
	s_nop 1
	v_mov_b32_dpp v39, v3 row_shr:2 row_mask:0xf bank_mask:0xf
	v_cndmask_b32_e64 v39, 0, v39, s[2:3]
	v_add_u32_e32 v3, v3, v39
	;; [unrolled: 4-line block ×4, first 2 shown]
	s_nop 1
	v_mov_b32_dpp v39, v3 row_bcast:15 row_mask:0xf bank_mask:0xf
	v_cndmask_b32_e64 v39, v39, 0, s[8:9]
	v_add_u32_e32 v3, v3, v39
	s_nop 1
	v_mov_b32_dpp v39, v3 row_bcast:31 row_mask:0xf bank_mask:0xf
	v_cndmask_b32_e64 v39, 0, v39, s[10:11]
	v_add_u32_e32 v3, v3, v39
	s_and_saveexec_b64 s[26:27], s[12:13]
	s_cbranch_execz .LBB708_24
; %bb.23:                               ;   in Loop: Header=BB708_14 Depth=1
	ds_write_b32 v28, v3
.LBB708_24:                             ;   in Loop: Header=BB708_14 Depth=1
	s_or_b64 exec, exec, s[26:27]
	s_waitcnt lgkmcnt(0)
	s_barrier
	s_and_saveexec_b64 s[26:27], s[14:15]
	s_cbranch_execz .LBB708_26
; %bb.25:                               ;   in Loop: Header=BB708_14 Depth=1
	ds_read_b32 v39, v34
	s_waitcnt lgkmcnt(0)
	s_nop 0
	v_mov_b32_dpp v40, v39 row_shr:1 row_mask:0xf bank_mask:0xf
	v_cndmask_b32_e64 v40, v40, 0, s[22:23]
	v_add_u32_e32 v39, v40, v39
	s_nop 1
	v_mov_b32_dpp v40, v39 row_shr:2 row_mask:0xf bank_mask:0xf
	v_cndmask_b32_e64 v40, 0, v40, s[24:25]
	v_add_u32_e32 v39, v39, v40
	ds_write_b32 v34, v39
.LBB708_26:                             ;   in Loop: Header=BB708_14 Depth=1
	s_or_b64 exec, exec, s[26:27]
	v_mov_b32_e32 v39, 0
	s_waitcnt lgkmcnt(0)
	s_barrier
	s_and_saveexec_b64 s[26:27], s[16:17]
	s_cbranch_execz .LBB708_28
; %bb.27:                               ;   in Loop: Header=BB708_14 Depth=1
	ds_read_b32 v39, v29
.LBB708_28:                             ;   in Loop: Header=BB708_14 Depth=1
	s_or_b64 exec, exec, s[26:27]
	s_waitcnt lgkmcnt(0)
	v_add_u32_e32 v3, v39, v3
	ds_bpermute_b32 v3, v27, v3
	v_lshlrev_b32_e32 v4, 3, v4
	s_add_i32 s28, s28, 8
	s_cmp_ge_u32 s28, s38
	s_waitcnt lgkmcnt(0)
	v_cndmask_b32_e64 v3, v3, v39, s[18:19]
	v_cndmask_b32_e64 v40, v3, 0, s[20:21]
	v_add_u32_e32 v41, v40, v0
	v_add_u32_e32 v0, v41, v1
	;; [unrolled: 1-line block ×3, first 2 shown]
	ds_write2_b64 v11, v[40:41], v[0:1] offset0:2 offset1:3
	s_waitcnt lgkmcnt(0)
	s_barrier
	ds_read_b32 v0, v35
	ds_read_b32 v1, v5
	;; [unrolled: 1-line block ×4, first 2 shown]
	v_lshlrev_b32_e32 v5, 3, v36
	s_waitcnt lgkmcnt(3)
	v_lshl_add_u32 v0, v0, 3, v5
	v_lshlrev_b32_e32 v5, 3, v37
	s_waitcnt lgkmcnt(2)
	v_lshlrev_b32_e32 v1, 3, v1
	v_add3_u32 v1, v5, v4, v1
	v_lshlrev_b32_e32 v4, 3, v38
	v_lshlrev_b32_e32 v5, 3, v6
	s_waitcnt lgkmcnt(1)
	v_lshlrev_b32_e32 v2, 3, v2
	v_add3_u32 v35, v4, v5, v2
	v_lshlrev_b32_e32 v2, 3, v17
	v_lshlrev_b32_e32 v4, 3, v8
	s_waitcnt lgkmcnt(0)
	v_lshlrev_b32_e32 v3, 3, v3
	v_add3_u32 v17, v2, v4, v3
	s_cbranch_scc0 .LBB708_13
; %bb.29:
                                        ; implicit-def: $sgpr28
                                        ; implicit-def: $vgpr2_vgpr3_vgpr4_vgpr5_vgpr6_vgpr7_vgpr8_vgpr9
.LBB708_30:
	v_lshlrev_b32_e32 v8, 3, v10
	s_barrier
	ds_write_b64 v0, v[18:19]
	ds_write_b64 v1, v[20:21]
	;; [unrolled: 1-line block ×4, first 2 shown]
	s_waitcnt lgkmcnt(0)
	s_barrier
	ds_read2st64_b64 v[4:7], v8 offset1:4
	ds_read2st64_b64 v[0:3], v8 offset0:8 offset1:12
	s_add_u32 s0, s30, s36
	s_addc_u32 s1, s31, s37
	v_mov_b32_e32 v9, s1
	v_add_co_u32_e64 v8, s[0:1], s0, v8
	s_andn2_b64 vcc, exec, s[34:35]
	v_addc_co_u32_e64 v9, s[0:1], 0, v9, s[0:1]
	s_cbranch_vccnz .LBB708_32
; %bb.31:
	v_add_co_u32_e32 v12, vcc, 0x1000, v8
	v_addc_co_u32_e32 v13, vcc, 0, v9, vcc
	s_mov_b64 s[0:1], -1
	s_waitcnt lgkmcnt(1)
	global_store_dwordx2 v[8:9], v[4:5], off
	global_store_dwordx2 v[8:9], v[6:7], off offset:2048
	s_waitcnt lgkmcnt(0)
	global_store_dwordx2 v[12:13], v[0:1], off
	s_cbranch_execz .LBB708_33
	s_branch .LBB708_40
.LBB708_32:
	s_mov_b64 s[0:1], 0
.LBB708_33:
	v_cmp_gt_u32_e32 vcc, s33, v10
	s_and_saveexec_b64 s[0:1], vcc
	s_cbranch_execz .LBB708_35
; %bb.34:
	s_waitcnt lgkmcnt(1)
	global_store_dwordx2 v[8:9], v[4:5], off
.LBB708_35:
	s_or_b64 exec, exec, s[0:1]
	s_waitcnt lgkmcnt(1)
	v_add_u32_e32 v4, 0x100, v10
	v_cmp_gt_u32_e32 vcc, s33, v4
	s_and_saveexec_b64 s[0:1], vcc
	s_cbranch_execz .LBB708_37
; %bb.36:
	global_store_dwordx2 v[8:9], v[6:7], off offset:2048
.LBB708_37:
	s_or_b64 exec, exec, s[0:1]
	v_add_u32_e32 v4, 0x200, v10
	v_cmp_gt_u32_e32 vcc, s33, v4
	s_and_saveexec_b64 s[0:1], vcc
	s_cbranch_execz .LBB708_39
; %bb.38:
	v_add_co_u32_e32 v4, vcc, 0x1000, v8
	v_addc_co_u32_e32 v5, vcc, 0, v9, vcc
	s_waitcnt lgkmcnt(0)
	global_store_dwordx2 v[4:5], v[0:1], off
.LBB708_39:
	s_or_b64 exec, exec, s[0:1]
	s_waitcnt lgkmcnt(0)
	v_add_u32_e32 v0, 0x300, v10
	v_cmp_gt_u32_e64 s[0:1], s33, v0
.LBB708_40:
	s_and_saveexec_b64 s[2:3], s[0:1]
	s_cbranch_execnz .LBB708_42
; %bb.41:
	s_endpgm
.LBB708_42:
	s_waitcnt lgkmcnt(0)
	v_add_co_u32_e32 v0, vcc, 0x1000, v8
	v_addc_co_u32_e32 v1, vcc, 0, v9, vcc
	global_store_dwordx2 v[0:1], v[2:3], off offset:2048
	s_endpgm
	.section	.rodata,"a",@progbits
	.p2align	6, 0x0
	.amdhsa_kernel _ZN7rocprim17ROCPRIM_400000_NS6detail17trampoline_kernelINS0_13kernel_configILj256ELj4ELj4294967295EEENS1_37radix_sort_block_sort_config_selectorIyNS0_10empty_typeEEEZNS1_21radix_sort_block_sortIS4_Lb0EN6thrust23THRUST_200600_302600_NS6detail15normal_iteratorINSA_10device_ptrIyEEEESF_PS6_SG_NS0_19identity_decomposerEEE10hipError_tT1_T2_T3_T4_jRjT5_jjP12ihipStream_tbEUlT_E_NS1_11comp_targetILNS1_3genE4ELNS1_11target_archE910ELNS1_3gpuE8ELNS1_3repE0EEENS1_44radix_sort_block_sort_config_static_selectorELNS0_4arch9wavefront6targetE1EEEvSJ_
		.amdhsa_group_segment_fixed_size 8192
		.amdhsa_private_segment_fixed_size 0
		.amdhsa_kernarg_size 304
		.amdhsa_user_sgpr_count 6
		.amdhsa_user_sgpr_private_segment_buffer 1
		.amdhsa_user_sgpr_dispatch_ptr 0
		.amdhsa_user_sgpr_queue_ptr 0
		.amdhsa_user_sgpr_kernarg_segment_ptr 1
		.amdhsa_user_sgpr_dispatch_id 0
		.amdhsa_user_sgpr_flat_scratch_init 0
		.amdhsa_user_sgpr_kernarg_preload_length 0
		.amdhsa_user_sgpr_kernarg_preload_offset 0
		.amdhsa_user_sgpr_private_segment_size 0
		.amdhsa_uses_dynamic_stack 0
		.amdhsa_system_sgpr_private_segment_wavefront_offset 0
		.amdhsa_system_sgpr_workgroup_id_x 1
		.amdhsa_system_sgpr_workgroup_id_y 0
		.amdhsa_system_sgpr_workgroup_id_z 0
		.amdhsa_system_sgpr_workgroup_info 0
		.amdhsa_system_vgpr_workitem_id 2
		.amdhsa_next_free_vgpr 42
		.amdhsa_next_free_sgpr 44
		.amdhsa_accum_offset 44
		.amdhsa_reserve_vcc 1
		.amdhsa_reserve_flat_scratch 0
		.amdhsa_float_round_mode_32 0
		.amdhsa_float_round_mode_16_64 0
		.amdhsa_float_denorm_mode_32 3
		.amdhsa_float_denorm_mode_16_64 3
		.amdhsa_dx10_clamp 1
		.amdhsa_ieee_mode 1
		.amdhsa_fp16_overflow 0
		.amdhsa_tg_split 0
		.amdhsa_exception_fp_ieee_invalid_op 0
		.amdhsa_exception_fp_denorm_src 0
		.amdhsa_exception_fp_ieee_div_zero 0
		.amdhsa_exception_fp_ieee_overflow 0
		.amdhsa_exception_fp_ieee_underflow 0
		.amdhsa_exception_fp_ieee_inexact 0
		.amdhsa_exception_int_div_zero 0
	.end_amdhsa_kernel
	.section	.text._ZN7rocprim17ROCPRIM_400000_NS6detail17trampoline_kernelINS0_13kernel_configILj256ELj4ELj4294967295EEENS1_37radix_sort_block_sort_config_selectorIyNS0_10empty_typeEEEZNS1_21radix_sort_block_sortIS4_Lb0EN6thrust23THRUST_200600_302600_NS6detail15normal_iteratorINSA_10device_ptrIyEEEESF_PS6_SG_NS0_19identity_decomposerEEE10hipError_tT1_T2_T3_T4_jRjT5_jjP12ihipStream_tbEUlT_E_NS1_11comp_targetILNS1_3genE4ELNS1_11target_archE910ELNS1_3gpuE8ELNS1_3repE0EEENS1_44radix_sort_block_sort_config_static_selectorELNS0_4arch9wavefront6targetE1EEEvSJ_,"axG",@progbits,_ZN7rocprim17ROCPRIM_400000_NS6detail17trampoline_kernelINS0_13kernel_configILj256ELj4ELj4294967295EEENS1_37radix_sort_block_sort_config_selectorIyNS0_10empty_typeEEEZNS1_21radix_sort_block_sortIS4_Lb0EN6thrust23THRUST_200600_302600_NS6detail15normal_iteratorINSA_10device_ptrIyEEEESF_PS6_SG_NS0_19identity_decomposerEEE10hipError_tT1_T2_T3_T4_jRjT5_jjP12ihipStream_tbEUlT_E_NS1_11comp_targetILNS1_3genE4ELNS1_11target_archE910ELNS1_3gpuE8ELNS1_3repE0EEENS1_44radix_sort_block_sort_config_static_selectorELNS0_4arch9wavefront6targetE1EEEvSJ_,comdat
.Lfunc_end708:
	.size	_ZN7rocprim17ROCPRIM_400000_NS6detail17trampoline_kernelINS0_13kernel_configILj256ELj4ELj4294967295EEENS1_37radix_sort_block_sort_config_selectorIyNS0_10empty_typeEEEZNS1_21radix_sort_block_sortIS4_Lb0EN6thrust23THRUST_200600_302600_NS6detail15normal_iteratorINSA_10device_ptrIyEEEESF_PS6_SG_NS0_19identity_decomposerEEE10hipError_tT1_T2_T3_T4_jRjT5_jjP12ihipStream_tbEUlT_E_NS1_11comp_targetILNS1_3genE4ELNS1_11target_archE910ELNS1_3gpuE8ELNS1_3repE0EEENS1_44radix_sort_block_sort_config_static_selectorELNS0_4arch9wavefront6targetE1EEEvSJ_, .Lfunc_end708-_ZN7rocprim17ROCPRIM_400000_NS6detail17trampoline_kernelINS0_13kernel_configILj256ELj4ELj4294967295EEENS1_37radix_sort_block_sort_config_selectorIyNS0_10empty_typeEEEZNS1_21radix_sort_block_sortIS4_Lb0EN6thrust23THRUST_200600_302600_NS6detail15normal_iteratorINSA_10device_ptrIyEEEESF_PS6_SG_NS0_19identity_decomposerEEE10hipError_tT1_T2_T3_T4_jRjT5_jjP12ihipStream_tbEUlT_E_NS1_11comp_targetILNS1_3genE4ELNS1_11target_archE910ELNS1_3gpuE8ELNS1_3repE0EEENS1_44radix_sort_block_sort_config_static_selectorELNS0_4arch9wavefront6targetE1EEEvSJ_
                                        ; -- End function
	.section	.AMDGPU.csdata,"",@progbits
; Kernel info:
; codeLenInByte = 3240
; NumSgprs: 48
; NumVgprs: 42
; NumAgprs: 0
; TotalNumVgprs: 42
; ScratchSize: 0
; MemoryBound: 1
; FloatMode: 240
; IeeeMode: 1
; LDSByteSize: 8192 bytes/workgroup (compile time only)
; SGPRBlocks: 5
; VGPRBlocks: 5
; NumSGPRsForWavesPerEU: 48
; NumVGPRsForWavesPerEU: 42
; AccumOffset: 44
; Occupancy: 8
; WaveLimiterHint : 1
; COMPUTE_PGM_RSRC2:SCRATCH_EN: 0
; COMPUTE_PGM_RSRC2:USER_SGPR: 6
; COMPUTE_PGM_RSRC2:TRAP_HANDLER: 0
; COMPUTE_PGM_RSRC2:TGID_X_EN: 1
; COMPUTE_PGM_RSRC2:TGID_Y_EN: 0
; COMPUTE_PGM_RSRC2:TGID_Z_EN: 0
; COMPUTE_PGM_RSRC2:TIDIG_COMP_CNT: 2
; COMPUTE_PGM_RSRC3_GFX90A:ACCUM_OFFSET: 10
; COMPUTE_PGM_RSRC3_GFX90A:TG_SPLIT: 0
	.section	.text._ZN7rocprim17ROCPRIM_400000_NS6detail17trampoline_kernelINS0_13kernel_configILj256ELj4ELj4294967295EEENS1_37radix_sort_block_sort_config_selectorIyNS0_10empty_typeEEEZNS1_21radix_sort_block_sortIS4_Lb0EN6thrust23THRUST_200600_302600_NS6detail15normal_iteratorINSA_10device_ptrIyEEEESF_PS6_SG_NS0_19identity_decomposerEEE10hipError_tT1_T2_T3_T4_jRjT5_jjP12ihipStream_tbEUlT_E_NS1_11comp_targetILNS1_3genE3ELNS1_11target_archE908ELNS1_3gpuE7ELNS1_3repE0EEENS1_44radix_sort_block_sort_config_static_selectorELNS0_4arch9wavefront6targetE1EEEvSJ_,"axG",@progbits,_ZN7rocprim17ROCPRIM_400000_NS6detail17trampoline_kernelINS0_13kernel_configILj256ELj4ELj4294967295EEENS1_37radix_sort_block_sort_config_selectorIyNS0_10empty_typeEEEZNS1_21radix_sort_block_sortIS4_Lb0EN6thrust23THRUST_200600_302600_NS6detail15normal_iteratorINSA_10device_ptrIyEEEESF_PS6_SG_NS0_19identity_decomposerEEE10hipError_tT1_T2_T3_T4_jRjT5_jjP12ihipStream_tbEUlT_E_NS1_11comp_targetILNS1_3genE3ELNS1_11target_archE908ELNS1_3gpuE7ELNS1_3repE0EEENS1_44radix_sort_block_sort_config_static_selectorELNS0_4arch9wavefront6targetE1EEEvSJ_,comdat
	.protected	_ZN7rocprim17ROCPRIM_400000_NS6detail17trampoline_kernelINS0_13kernel_configILj256ELj4ELj4294967295EEENS1_37radix_sort_block_sort_config_selectorIyNS0_10empty_typeEEEZNS1_21radix_sort_block_sortIS4_Lb0EN6thrust23THRUST_200600_302600_NS6detail15normal_iteratorINSA_10device_ptrIyEEEESF_PS6_SG_NS0_19identity_decomposerEEE10hipError_tT1_T2_T3_T4_jRjT5_jjP12ihipStream_tbEUlT_E_NS1_11comp_targetILNS1_3genE3ELNS1_11target_archE908ELNS1_3gpuE7ELNS1_3repE0EEENS1_44radix_sort_block_sort_config_static_selectorELNS0_4arch9wavefront6targetE1EEEvSJ_ ; -- Begin function _ZN7rocprim17ROCPRIM_400000_NS6detail17trampoline_kernelINS0_13kernel_configILj256ELj4ELj4294967295EEENS1_37radix_sort_block_sort_config_selectorIyNS0_10empty_typeEEEZNS1_21radix_sort_block_sortIS4_Lb0EN6thrust23THRUST_200600_302600_NS6detail15normal_iteratorINSA_10device_ptrIyEEEESF_PS6_SG_NS0_19identity_decomposerEEE10hipError_tT1_T2_T3_T4_jRjT5_jjP12ihipStream_tbEUlT_E_NS1_11comp_targetILNS1_3genE3ELNS1_11target_archE908ELNS1_3gpuE7ELNS1_3repE0EEENS1_44radix_sort_block_sort_config_static_selectorELNS0_4arch9wavefront6targetE1EEEvSJ_
	.globl	_ZN7rocprim17ROCPRIM_400000_NS6detail17trampoline_kernelINS0_13kernel_configILj256ELj4ELj4294967295EEENS1_37radix_sort_block_sort_config_selectorIyNS0_10empty_typeEEEZNS1_21radix_sort_block_sortIS4_Lb0EN6thrust23THRUST_200600_302600_NS6detail15normal_iteratorINSA_10device_ptrIyEEEESF_PS6_SG_NS0_19identity_decomposerEEE10hipError_tT1_T2_T3_T4_jRjT5_jjP12ihipStream_tbEUlT_E_NS1_11comp_targetILNS1_3genE3ELNS1_11target_archE908ELNS1_3gpuE7ELNS1_3repE0EEENS1_44radix_sort_block_sort_config_static_selectorELNS0_4arch9wavefront6targetE1EEEvSJ_
	.p2align	8
	.type	_ZN7rocprim17ROCPRIM_400000_NS6detail17trampoline_kernelINS0_13kernel_configILj256ELj4ELj4294967295EEENS1_37radix_sort_block_sort_config_selectorIyNS0_10empty_typeEEEZNS1_21radix_sort_block_sortIS4_Lb0EN6thrust23THRUST_200600_302600_NS6detail15normal_iteratorINSA_10device_ptrIyEEEESF_PS6_SG_NS0_19identity_decomposerEEE10hipError_tT1_T2_T3_T4_jRjT5_jjP12ihipStream_tbEUlT_E_NS1_11comp_targetILNS1_3genE3ELNS1_11target_archE908ELNS1_3gpuE7ELNS1_3repE0EEENS1_44radix_sort_block_sort_config_static_selectorELNS0_4arch9wavefront6targetE1EEEvSJ_,@function
_ZN7rocprim17ROCPRIM_400000_NS6detail17trampoline_kernelINS0_13kernel_configILj256ELj4ELj4294967295EEENS1_37radix_sort_block_sort_config_selectorIyNS0_10empty_typeEEEZNS1_21radix_sort_block_sortIS4_Lb0EN6thrust23THRUST_200600_302600_NS6detail15normal_iteratorINSA_10device_ptrIyEEEESF_PS6_SG_NS0_19identity_decomposerEEE10hipError_tT1_T2_T3_T4_jRjT5_jjP12ihipStream_tbEUlT_E_NS1_11comp_targetILNS1_3genE3ELNS1_11target_archE908ELNS1_3gpuE7ELNS1_3repE0EEENS1_44radix_sort_block_sort_config_static_selectorELNS0_4arch9wavefront6targetE1EEEvSJ_: ; @_ZN7rocprim17ROCPRIM_400000_NS6detail17trampoline_kernelINS0_13kernel_configILj256ELj4ELj4294967295EEENS1_37radix_sort_block_sort_config_selectorIyNS0_10empty_typeEEEZNS1_21radix_sort_block_sortIS4_Lb0EN6thrust23THRUST_200600_302600_NS6detail15normal_iteratorINSA_10device_ptrIyEEEESF_PS6_SG_NS0_19identity_decomposerEEE10hipError_tT1_T2_T3_T4_jRjT5_jjP12ihipStream_tbEUlT_E_NS1_11comp_targetILNS1_3genE3ELNS1_11target_archE908ELNS1_3gpuE7ELNS1_3repE0EEENS1_44radix_sort_block_sort_config_static_selectorELNS0_4arch9wavefront6targetE1EEEvSJ_
; %bb.0:
	.section	.rodata,"a",@progbits
	.p2align	6, 0x0
	.amdhsa_kernel _ZN7rocprim17ROCPRIM_400000_NS6detail17trampoline_kernelINS0_13kernel_configILj256ELj4ELj4294967295EEENS1_37radix_sort_block_sort_config_selectorIyNS0_10empty_typeEEEZNS1_21radix_sort_block_sortIS4_Lb0EN6thrust23THRUST_200600_302600_NS6detail15normal_iteratorINSA_10device_ptrIyEEEESF_PS6_SG_NS0_19identity_decomposerEEE10hipError_tT1_T2_T3_T4_jRjT5_jjP12ihipStream_tbEUlT_E_NS1_11comp_targetILNS1_3genE3ELNS1_11target_archE908ELNS1_3gpuE7ELNS1_3repE0EEENS1_44radix_sort_block_sort_config_static_selectorELNS0_4arch9wavefront6targetE1EEEvSJ_
		.amdhsa_group_segment_fixed_size 0
		.amdhsa_private_segment_fixed_size 0
		.amdhsa_kernarg_size 48
		.amdhsa_user_sgpr_count 6
		.amdhsa_user_sgpr_private_segment_buffer 1
		.amdhsa_user_sgpr_dispatch_ptr 0
		.amdhsa_user_sgpr_queue_ptr 0
		.amdhsa_user_sgpr_kernarg_segment_ptr 1
		.amdhsa_user_sgpr_dispatch_id 0
		.amdhsa_user_sgpr_flat_scratch_init 0
		.amdhsa_user_sgpr_kernarg_preload_length 0
		.amdhsa_user_sgpr_kernarg_preload_offset 0
		.amdhsa_user_sgpr_private_segment_size 0
		.amdhsa_uses_dynamic_stack 0
		.amdhsa_system_sgpr_private_segment_wavefront_offset 0
		.amdhsa_system_sgpr_workgroup_id_x 1
		.amdhsa_system_sgpr_workgroup_id_y 0
		.amdhsa_system_sgpr_workgroup_id_z 0
		.amdhsa_system_sgpr_workgroup_info 0
		.amdhsa_system_vgpr_workitem_id 0
		.amdhsa_next_free_vgpr 1
		.amdhsa_next_free_sgpr 0
		.amdhsa_accum_offset 4
		.amdhsa_reserve_vcc 0
		.amdhsa_reserve_flat_scratch 0
		.amdhsa_float_round_mode_32 0
		.amdhsa_float_round_mode_16_64 0
		.amdhsa_float_denorm_mode_32 3
		.amdhsa_float_denorm_mode_16_64 3
		.amdhsa_dx10_clamp 1
		.amdhsa_ieee_mode 1
		.amdhsa_fp16_overflow 0
		.amdhsa_tg_split 0
		.amdhsa_exception_fp_ieee_invalid_op 0
		.amdhsa_exception_fp_denorm_src 0
		.amdhsa_exception_fp_ieee_div_zero 0
		.amdhsa_exception_fp_ieee_overflow 0
		.amdhsa_exception_fp_ieee_underflow 0
		.amdhsa_exception_fp_ieee_inexact 0
		.amdhsa_exception_int_div_zero 0
	.end_amdhsa_kernel
	.section	.text._ZN7rocprim17ROCPRIM_400000_NS6detail17trampoline_kernelINS0_13kernel_configILj256ELj4ELj4294967295EEENS1_37radix_sort_block_sort_config_selectorIyNS0_10empty_typeEEEZNS1_21radix_sort_block_sortIS4_Lb0EN6thrust23THRUST_200600_302600_NS6detail15normal_iteratorINSA_10device_ptrIyEEEESF_PS6_SG_NS0_19identity_decomposerEEE10hipError_tT1_T2_T3_T4_jRjT5_jjP12ihipStream_tbEUlT_E_NS1_11comp_targetILNS1_3genE3ELNS1_11target_archE908ELNS1_3gpuE7ELNS1_3repE0EEENS1_44radix_sort_block_sort_config_static_selectorELNS0_4arch9wavefront6targetE1EEEvSJ_,"axG",@progbits,_ZN7rocprim17ROCPRIM_400000_NS6detail17trampoline_kernelINS0_13kernel_configILj256ELj4ELj4294967295EEENS1_37radix_sort_block_sort_config_selectorIyNS0_10empty_typeEEEZNS1_21radix_sort_block_sortIS4_Lb0EN6thrust23THRUST_200600_302600_NS6detail15normal_iteratorINSA_10device_ptrIyEEEESF_PS6_SG_NS0_19identity_decomposerEEE10hipError_tT1_T2_T3_T4_jRjT5_jjP12ihipStream_tbEUlT_E_NS1_11comp_targetILNS1_3genE3ELNS1_11target_archE908ELNS1_3gpuE7ELNS1_3repE0EEENS1_44radix_sort_block_sort_config_static_selectorELNS0_4arch9wavefront6targetE1EEEvSJ_,comdat
.Lfunc_end709:
	.size	_ZN7rocprim17ROCPRIM_400000_NS6detail17trampoline_kernelINS0_13kernel_configILj256ELj4ELj4294967295EEENS1_37radix_sort_block_sort_config_selectorIyNS0_10empty_typeEEEZNS1_21radix_sort_block_sortIS4_Lb0EN6thrust23THRUST_200600_302600_NS6detail15normal_iteratorINSA_10device_ptrIyEEEESF_PS6_SG_NS0_19identity_decomposerEEE10hipError_tT1_T2_T3_T4_jRjT5_jjP12ihipStream_tbEUlT_E_NS1_11comp_targetILNS1_3genE3ELNS1_11target_archE908ELNS1_3gpuE7ELNS1_3repE0EEENS1_44radix_sort_block_sort_config_static_selectorELNS0_4arch9wavefront6targetE1EEEvSJ_, .Lfunc_end709-_ZN7rocprim17ROCPRIM_400000_NS6detail17trampoline_kernelINS0_13kernel_configILj256ELj4ELj4294967295EEENS1_37radix_sort_block_sort_config_selectorIyNS0_10empty_typeEEEZNS1_21radix_sort_block_sortIS4_Lb0EN6thrust23THRUST_200600_302600_NS6detail15normal_iteratorINSA_10device_ptrIyEEEESF_PS6_SG_NS0_19identity_decomposerEEE10hipError_tT1_T2_T3_T4_jRjT5_jjP12ihipStream_tbEUlT_E_NS1_11comp_targetILNS1_3genE3ELNS1_11target_archE908ELNS1_3gpuE7ELNS1_3repE0EEENS1_44radix_sort_block_sort_config_static_selectorELNS0_4arch9wavefront6targetE1EEEvSJ_
                                        ; -- End function
	.section	.AMDGPU.csdata,"",@progbits
; Kernel info:
; codeLenInByte = 0
; NumSgprs: 4
; NumVgprs: 0
; NumAgprs: 0
; TotalNumVgprs: 0
; ScratchSize: 0
; MemoryBound: 0
; FloatMode: 240
; IeeeMode: 1
; LDSByteSize: 0 bytes/workgroup (compile time only)
; SGPRBlocks: 0
; VGPRBlocks: 0
; NumSGPRsForWavesPerEU: 4
; NumVGPRsForWavesPerEU: 1
; AccumOffset: 4
; Occupancy: 8
; WaveLimiterHint : 0
; COMPUTE_PGM_RSRC2:SCRATCH_EN: 0
; COMPUTE_PGM_RSRC2:USER_SGPR: 6
; COMPUTE_PGM_RSRC2:TRAP_HANDLER: 0
; COMPUTE_PGM_RSRC2:TGID_X_EN: 1
; COMPUTE_PGM_RSRC2:TGID_Y_EN: 0
; COMPUTE_PGM_RSRC2:TGID_Z_EN: 0
; COMPUTE_PGM_RSRC2:TIDIG_COMP_CNT: 0
; COMPUTE_PGM_RSRC3_GFX90A:ACCUM_OFFSET: 0
; COMPUTE_PGM_RSRC3_GFX90A:TG_SPLIT: 0
	.section	.text._ZN7rocprim17ROCPRIM_400000_NS6detail17trampoline_kernelINS0_13kernel_configILj256ELj4ELj4294967295EEENS1_37radix_sort_block_sort_config_selectorIyNS0_10empty_typeEEEZNS1_21radix_sort_block_sortIS4_Lb0EN6thrust23THRUST_200600_302600_NS6detail15normal_iteratorINSA_10device_ptrIyEEEESF_PS6_SG_NS0_19identity_decomposerEEE10hipError_tT1_T2_T3_T4_jRjT5_jjP12ihipStream_tbEUlT_E_NS1_11comp_targetILNS1_3genE2ELNS1_11target_archE906ELNS1_3gpuE6ELNS1_3repE0EEENS1_44radix_sort_block_sort_config_static_selectorELNS0_4arch9wavefront6targetE1EEEvSJ_,"axG",@progbits,_ZN7rocprim17ROCPRIM_400000_NS6detail17trampoline_kernelINS0_13kernel_configILj256ELj4ELj4294967295EEENS1_37radix_sort_block_sort_config_selectorIyNS0_10empty_typeEEEZNS1_21radix_sort_block_sortIS4_Lb0EN6thrust23THRUST_200600_302600_NS6detail15normal_iteratorINSA_10device_ptrIyEEEESF_PS6_SG_NS0_19identity_decomposerEEE10hipError_tT1_T2_T3_T4_jRjT5_jjP12ihipStream_tbEUlT_E_NS1_11comp_targetILNS1_3genE2ELNS1_11target_archE906ELNS1_3gpuE6ELNS1_3repE0EEENS1_44radix_sort_block_sort_config_static_selectorELNS0_4arch9wavefront6targetE1EEEvSJ_,comdat
	.protected	_ZN7rocprim17ROCPRIM_400000_NS6detail17trampoline_kernelINS0_13kernel_configILj256ELj4ELj4294967295EEENS1_37radix_sort_block_sort_config_selectorIyNS0_10empty_typeEEEZNS1_21radix_sort_block_sortIS4_Lb0EN6thrust23THRUST_200600_302600_NS6detail15normal_iteratorINSA_10device_ptrIyEEEESF_PS6_SG_NS0_19identity_decomposerEEE10hipError_tT1_T2_T3_T4_jRjT5_jjP12ihipStream_tbEUlT_E_NS1_11comp_targetILNS1_3genE2ELNS1_11target_archE906ELNS1_3gpuE6ELNS1_3repE0EEENS1_44radix_sort_block_sort_config_static_selectorELNS0_4arch9wavefront6targetE1EEEvSJ_ ; -- Begin function _ZN7rocprim17ROCPRIM_400000_NS6detail17trampoline_kernelINS0_13kernel_configILj256ELj4ELj4294967295EEENS1_37radix_sort_block_sort_config_selectorIyNS0_10empty_typeEEEZNS1_21radix_sort_block_sortIS4_Lb0EN6thrust23THRUST_200600_302600_NS6detail15normal_iteratorINSA_10device_ptrIyEEEESF_PS6_SG_NS0_19identity_decomposerEEE10hipError_tT1_T2_T3_T4_jRjT5_jjP12ihipStream_tbEUlT_E_NS1_11comp_targetILNS1_3genE2ELNS1_11target_archE906ELNS1_3gpuE6ELNS1_3repE0EEENS1_44radix_sort_block_sort_config_static_selectorELNS0_4arch9wavefront6targetE1EEEvSJ_
	.globl	_ZN7rocprim17ROCPRIM_400000_NS6detail17trampoline_kernelINS0_13kernel_configILj256ELj4ELj4294967295EEENS1_37radix_sort_block_sort_config_selectorIyNS0_10empty_typeEEEZNS1_21radix_sort_block_sortIS4_Lb0EN6thrust23THRUST_200600_302600_NS6detail15normal_iteratorINSA_10device_ptrIyEEEESF_PS6_SG_NS0_19identity_decomposerEEE10hipError_tT1_T2_T3_T4_jRjT5_jjP12ihipStream_tbEUlT_E_NS1_11comp_targetILNS1_3genE2ELNS1_11target_archE906ELNS1_3gpuE6ELNS1_3repE0EEENS1_44radix_sort_block_sort_config_static_selectorELNS0_4arch9wavefront6targetE1EEEvSJ_
	.p2align	8
	.type	_ZN7rocprim17ROCPRIM_400000_NS6detail17trampoline_kernelINS0_13kernel_configILj256ELj4ELj4294967295EEENS1_37radix_sort_block_sort_config_selectorIyNS0_10empty_typeEEEZNS1_21radix_sort_block_sortIS4_Lb0EN6thrust23THRUST_200600_302600_NS6detail15normal_iteratorINSA_10device_ptrIyEEEESF_PS6_SG_NS0_19identity_decomposerEEE10hipError_tT1_T2_T3_T4_jRjT5_jjP12ihipStream_tbEUlT_E_NS1_11comp_targetILNS1_3genE2ELNS1_11target_archE906ELNS1_3gpuE6ELNS1_3repE0EEENS1_44radix_sort_block_sort_config_static_selectorELNS0_4arch9wavefront6targetE1EEEvSJ_,@function
_ZN7rocprim17ROCPRIM_400000_NS6detail17trampoline_kernelINS0_13kernel_configILj256ELj4ELj4294967295EEENS1_37radix_sort_block_sort_config_selectorIyNS0_10empty_typeEEEZNS1_21radix_sort_block_sortIS4_Lb0EN6thrust23THRUST_200600_302600_NS6detail15normal_iteratorINSA_10device_ptrIyEEEESF_PS6_SG_NS0_19identity_decomposerEEE10hipError_tT1_T2_T3_T4_jRjT5_jjP12ihipStream_tbEUlT_E_NS1_11comp_targetILNS1_3genE2ELNS1_11target_archE906ELNS1_3gpuE6ELNS1_3repE0EEENS1_44radix_sort_block_sort_config_static_selectorELNS0_4arch9wavefront6targetE1EEEvSJ_: ; @_ZN7rocprim17ROCPRIM_400000_NS6detail17trampoline_kernelINS0_13kernel_configILj256ELj4ELj4294967295EEENS1_37radix_sort_block_sort_config_selectorIyNS0_10empty_typeEEEZNS1_21radix_sort_block_sortIS4_Lb0EN6thrust23THRUST_200600_302600_NS6detail15normal_iteratorINSA_10device_ptrIyEEEESF_PS6_SG_NS0_19identity_decomposerEEE10hipError_tT1_T2_T3_T4_jRjT5_jjP12ihipStream_tbEUlT_E_NS1_11comp_targetILNS1_3genE2ELNS1_11target_archE906ELNS1_3gpuE6ELNS1_3repE0EEENS1_44radix_sort_block_sort_config_static_selectorELNS0_4arch9wavefront6targetE1EEEvSJ_
; %bb.0:
	.section	.rodata,"a",@progbits
	.p2align	6, 0x0
	.amdhsa_kernel _ZN7rocprim17ROCPRIM_400000_NS6detail17trampoline_kernelINS0_13kernel_configILj256ELj4ELj4294967295EEENS1_37radix_sort_block_sort_config_selectorIyNS0_10empty_typeEEEZNS1_21radix_sort_block_sortIS4_Lb0EN6thrust23THRUST_200600_302600_NS6detail15normal_iteratorINSA_10device_ptrIyEEEESF_PS6_SG_NS0_19identity_decomposerEEE10hipError_tT1_T2_T3_T4_jRjT5_jjP12ihipStream_tbEUlT_E_NS1_11comp_targetILNS1_3genE2ELNS1_11target_archE906ELNS1_3gpuE6ELNS1_3repE0EEENS1_44radix_sort_block_sort_config_static_selectorELNS0_4arch9wavefront6targetE1EEEvSJ_
		.amdhsa_group_segment_fixed_size 0
		.amdhsa_private_segment_fixed_size 0
		.amdhsa_kernarg_size 48
		.amdhsa_user_sgpr_count 6
		.amdhsa_user_sgpr_private_segment_buffer 1
		.amdhsa_user_sgpr_dispatch_ptr 0
		.amdhsa_user_sgpr_queue_ptr 0
		.amdhsa_user_sgpr_kernarg_segment_ptr 1
		.amdhsa_user_sgpr_dispatch_id 0
		.amdhsa_user_sgpr_flat_scratch_init 0
		.amdhsa_user_sgpr_kernarg_preload_length 0
		.amdhsa_user_sgpr_kernarg_preload_offset 0
		.amdhsa_user_sgpr_private_segment_size 0
		.amdhsa_uses_dynamic_stack 0
		.amdhsa_system_sgpr_private_segment_wavefront_offset 0
		.amdhsa_system_sgpr_workgroup_id_x 1
		.amdhsa_system_sgpr_workgroup_id_y 0
		.amdhsa_system_sgpr_workgroup_id_z 0
		.amdhsa_system_sgpr_workgroup_info 0
		.amdhsa_system_vgpr_workitem_id 0
		.amdhsa_next_free_vgpr 1
		.amdhsa_next_free_sgpr 0
		.amdhsa_accum_offset 4
		.amdhsa_reserve_vcc 0
		.amdhsa_reserve_flat_scratch 0
		.amdhsa_float_round_mode_32 0
		.amdhsa_float_round_mode_16_64 0
		.amdhsa_float_denorm_mode_32 3
		.amdhsa_float_denorm_mode_16_64 3
		.amdhsa_dx10_clamp 1
		.amdhsa_ieee_mode 1
		.amdhsa_fp16_overflow 0
		.amdhsa_tg_split 0
		.amdhsa_exception_fp_ieee_invalid_op 0
		.amdhsa_exception_fp_denorm_src 0
		.amdhsa_exception_fp_ieee_div_zero 0
		.amdhsa_exception_fp_ieee_overflow 0
		.amdhsa_exception_fp_ieee_underflow 0
		.amdhsa_exception_fp_ieee_inexact 0
		.amdhsa_exception_int_div_zero 0
	.end_amdhsa_kernel
	.section	.text._ZN7rocprim17ROCPRIM_400000_NS6detail17trampoline_kernelINS0_13kernel_configILj256ELj4ELj4294967295EEENS1_37radix_sort_block_sort_config_selectorIyNS0_10empty_typeEEEZNS1_21radix_sort_block_sortIS4_Lb0EN6thrust23THRUST_200600_302600_NS6detail15normal_iteratorINSA_10device_ptrIyEEEESF_PS6_SG_NS0_19identity_decomposerEEE10hipError_tT1_T2_T3_T4_jRjT5_jjP12ihipStream_tbEUlT_E_NS1_11comp_targetILNS1_3genE2ELNS1_11target_archE906ELNS1_3gpuE6ELNS1_3repE0EEENS1_44radix_sort_block_sort_config_static_selectorELNS0_4arch9wavefront6targetE1EEEvSJ_,"axG",@progbits,_ZN7rocprim17ROCPRIM_400000_NS6detail17trampoline_kernelINS0_13kernel_configILj256ELj4ELj4294967295EEENS1_37radix_sort_block_sort_config_selectorIyNS0_10empty_typeEEEZNS1_21radix_sort_block_sortIS4_Lb0EN6thrust23THRUST_200600_302600_NS6detail15normal_iteratorINSA_10device_ptrIyEEEESF_PS6_SG_NS0_19identity_decomposerEEE10hipError_tT1_T2_T3_T4_jRjT5_jjP12ihipStream_tbEUlT_E_NS1_11comp_targetILNS1_3genE2ELNS1_11target_archE906ELNS1_3gpuE6ELNS1_3repE0EEENS1_44radix_sort_block_sort_config_static_selectorELNS0_4arch9wavefront6targetE1EEEvSJ_,comdat
.Lfunc_end710:
	.size	_ZN7rocprim17ROCPRIM_400000_NS6detail17trampoline_kernelINS0_13kernel_configILj256ELj4ELj4294967295EEENS1_37radix_sort_block_sort_config_selectorIyNS0_10empty_typeEEEZNS1_21radix_sort_block_sortIS4_Lb0EN6thrust23THRUST_200600_302600_NS6detail15normal_iteratorINSA_10device_ptrIyEEEESF_PS6_SG_NS0_19identity_decomposerEEE10hipError_tT1_T2_T3_T4_jRjT5_jjP12ihipStream_tbEUlT_E_NS1_11comp_targetILNS1_3genE2ELNS1_11target_archE906ELNS1_3gpuE6ELNS1_3repE0EEENS1_44radix_sort_block_sort_config_static_selectorELNS0_4arch9wavefront6targetE1EEEvSJ_, .Lfunc_end710-_ZN7rocprim17ROCPRIM_400000_NS6detail17trampoline_kernelINS0_13kernel_configILj256ELj4ELj4294967295EEENS1_37radix_sort_block_sort_config_selectorIyNS0_10empty_typeEEEZNS1_21radix_sort_block_sortIS4_Lb0EN6thrust23THRUST_200600_302600_NS6detail15normal_iteratorINSA_10device_ptrIyEEEESF_PS6_SG_NS0_19identity_decomposerEEE10hipError_tT1_T2_T3_T4_jRjT5_jjP12ihipStream_tbEUlT_E_NS1_11comp_targetILNS1_3genE2ELNS1_11target_archE906ELNS1_3gpuE6ELNS1_3repE0EEENS1_44radix_sort_block_sort_config_static_selectorELNS0_4arch9wavefront6targetE1EEEvSJ_
                                        ; -- End function
	.section	.AMDGPU.csdata,"",@progbits
; Kernel info:
; codeLenInByte = 0
; NumSgprs: 4
; NumVgprs: 0
; NumAgprs: 0
; TotalNumVgprs: 0
; ScratchSize: 0
; MemoryBound: 0
; FloatMode: 240
; IeeeMode: 1
; LDSByteSize: 0 bytes/workgroup (compile time only)
; SGPRBlocks: 0
; VGPRBlocks: 0
; NumSGPRsForWavesPerEU: 4
; NumVGPRsForWavesPerEU: 1
; AccumOffset: 4
; Occupancy: 8
; WaveLimiterHint : 0
; COMPUTE_PGM_RSRC2:SCRATCH_EN: 0
; COMPUTE_PGM_RSRC2:USER_SGPR: 6
; COMPUTE_PGM_RSRC2:TRAP_HANDLER: 0
; COMPUTE_PGM_RSRC2:TGID_X_EN: 1
; COMPUTE_PGM_RSRC2:TGID_Y_EN: 0
; COMPUTE_PGM_RSRC2:TGID_Z_EN: 0
; COMPUTE_PGM_RSRC2:TIDIG_COMP_CNT: 0
; COMPUTE_PGM_RSRC3_GFX90A:ACCUM_OFFSET: 0
; COMPUTE_PGM_RSRC3_GFX90A:TG_SPLIT: 0
	.section	.text._ZN7rocprim17ROCPRIM_400000_NS6detail17trampoline_kernelINS0_13kernel_configILj256ELj4ELj4294967295EEENS1_37radix_sort_block_sort_config_selectorIyNS0_10empty_typeEEEZNS1_21radix_sort_block_sortIS4_Lb0EN6thrust23THRUST_200600_302600_NS6detail15normal_iteratorINSA_10device_ptrIyEEEESF_PS6_SG_NS0_19identity_decomposerEEE10hipError_tT1_T2_T3_T4_jRjT5_jjP12ihipStream_tbEUlT_E_NS1_11comp_targetILNS1_3genE10ELNS1_11target_archE1201ELNS1_3gpuE5ELNS1_3repE0EEENS1_44radix_sort_block_sort_config_static_selectorELNS0_4arch9wavefront6targetE1EEEvSJ_,"axG",@progbits,_ZN7rocprim17ROCPRIM_400000_NS6detail17trampoline_kernelINS0_13kernel_configILj256ELj4ELj4294967295EEENS1_37radix_sort_block_sort_config_selectorIyNS0_10empty_typeEEEZNS1_21radix_sort_block_sortIS4_Lb0EN6thrust23THRUST_200600_302600_NS6detail15normal_iteratorINSA_10device_ptrIyEEEESF_PS6_SG_NS0_19identity_decomposerEEE10hipError_tT1_T2_T3_T4_jRjT5_jjP12ihipStream_tbEUlT_E_NS1_11comp_targetILNS1_3genE10ELNS1_11target_archE1201ELNS1_3gpuE5ELNS1_3repE0EEENS1_44radix_sort_block_sort_config_static_selectorELNS0_4arch9wavefront6targetE1EEEvSJ_,comdat
	.protected	_ZN7rocprim17ROCPRIM_400000_NS6detail17trampoline_kernelINS0_13kernel_configILj256ELj4ELj4294967295EEENS1_37radix_sort_block_sort_config_selectorIyNS0_10empty_typeEEEZNS1_21radix_sort_block_sortIS4_Lb0EN6thrust23THRUST_200600_302600_NS6detail15normal_iteratorINSA_10device_ptrIyEEEESF_PS6_SG_NS0_19identity_decomposerEEE10hipError_tT1_T2_T3_T4_jRjT5_jjP12ihipStream_tbEUlT_E_NS1_11comp_targetILNS1_3genE10ELNS1_11target_archE1201ELNS1_3gpuE5ELNS1_3repE0EEENS1_44radix_sort_block_sort_config_static_selectorELNS0_4arch9wavefront6targetE1EEEvSJ_ ; -- Begin function _ZN7rocprim17ROCPRIM_400000_NS6detail17trampoline_kernelINS0_13kernel_configILj256ELj4ELj4294967295EEENS1_37radix_sort_block_sort_config_selectorIyNS0_10empty_typeEEEZNS1_21radix_sort_block_sortIS4_Lb0EN6thrust23THRUST_200600_302600_NS6detail15normal_iteratorINSA_10device_ptrIyEEEESF_PS6_SG_NS0_19identity_decomposerEEE10hipError_tT1_T2_T3_T4_jRjT5_jjP12ihipStream_tbEUlT_E_NS1_11comp_targetILNS1_3genE10ELNS1_11target_archE1201ELNS1_3gpuE5ELNS1_3repE0EEENS1_44radix_sort_block_sort_config_static_selectorELNS0_4arch9wavefront6targetE1EEEvSJ_
	.globl	_ZN7rocprim17ROCPRIM_400000_NS6detail17trampoline_kernelINS0_13kernel_configILj256ELj4ELj4294967295EEENS1_37radix_sort_block_sort_config_selectorIyNS0_10empty_typeEEEZNS1_21radix_sort_block_sortIS4_Lb0EN6thrust23THRUST_200600_302600_NS6detail15normal_iteratorINSA_10device_ptrIyEEEESF_PS6_SG_NS0_19identity_decomposerEEE10hipError_tT1_T2_T3_T4_jRjT5_jjP12ihipStream_tbEUlT_E_NS1_11comp_targetILNS1_3genE10ELNS1_11target_archE1201ELNS1_3gpuE5ELNS1_3repE0EEENS1_44radix_sort_block_sort_config_static_selectorELNS0_4arch9wavefront6targetE1EEEvSJ_
	.p2align	8
	.type	_ZN7rocprim17ROCPRIM_400000_NS6detail17trampoline_kernelINS0_13kernel_configILj256ELj4ELj4294967295EEENS1_37radix_sort_block_sort_config_selectorIyNS0_10empty_typeEEEZNS1_21radix_sort_block_sortIS4_Lb0EN6thrust23THRUST_200600_302600_NS6detail15normal_iteratorINSA_10device_ptrIyEEEESF_PS6_SG_NS0_19identity_decomposerEEE10hipError_tT1_T2_T3_T4_jRjT5_jjP12ihipStream_tbEUlT_E_NS1_11comp_targetILNS1_3genE10ELNS1_11target_archE1201ELNS1_3gpuE5ELNS1_3repE0EEENS1_44radix_sort_block_sort_config_static_selectorELNS0_4arch9wavefront6targetE1EEEvSJ_,@function
_ZN7rocprim17ROCPRIM_400000_NS6detail17trampoline_kernelINS0_13kernel_configILj256ELj4ELj4294967295EEENS1_37radix_sort_block_sort_config_selectorIyNS0_10empty_typeEEEZNS1_21radix_sort_block_sortIS4_Lb0EN6thrust23THRUST_200600_302600_NS6detail15normal_iteratorINSA_10device_ptrIyEEEESF_PS6_SG_NS0_19identity_decomposerEEE10hipError_tT1_T2_T3_T4_jRjT5_jjP12ihipStream_tbEUlT_E_NS1_11comp_targetILNS1_3genE10ELNS1_11target_archE1201ELNS1_3gpuE5ELNS1_3repE0EEENS1_44radix_sort_block_sort_config_static_selectorELNS0_4arch9wavefront6targetE1EEEvSJ_: ; @_ZN7rocprim17ROCPRIM_400000_NS6detail17trampoline_kernelINS0_13kernel_configILj256ELj4ELj4294967295EEENS1_37radix_sort_block_sort_config_selectorIyNS0_10empty_typeEEEZNS1_21radix_sort_block_sortIS4_Lb0EN6thrust23THRUST_200600_302600_NS6detail15normal_iteratorINSA_10device_ptrIyEEEESF_PS6_SG_NS0_19identity_decomposerEEE10hipError_tT1_T2_T3_T4_jRjT5_jjP12ihipStream_tbEUlT_E_NS1_11comp_targetILNS1_3genE10ELNS1_11target_archE1201ELNS1_3gpuE5ELNS1_3repE0EEENS1_44radix_sort_block_sort_config_static_selectorELNS0_4arch9wavefront6targetE1EEEvSJ_
; %bb.0:
	.section	.rodata,"a",@progbits
	.p2align	6, 0x0
	.amdhsa_kernel _ZN7rocprim17ROCPRIM_400000_NS6detail17trampoline_kernelINS0_13kernel_configILj256ELj4ELj4294967295EEENS1_37radix_sort_block_sort_config_selectorIyNS0_10empty_typeEEEZNS1_21radix_sort_block_sortIS4_Lb0EN6thrust23THRUST_200600_302600_NS6detail15normal_iteratorINSA_10device_ptrIyEEEESF_PS6_SG_NS0_19identity_decomposerEEE10hipError_tT1_T2_T3_T4_jRjT5_jjP12ihipStream_tbEUlT_E_NS1_11comp_targetILNS1_3genE10ELNS1_11target_archE1201ELNS1_3gpuE5ELNS1_3repE0EEENS1_44radix_sort_block_sort_config_static_selectorELNS0_4arch9wavefront6targetE1EEEvSJ_
		.amdhsa_group_segment_fixed_size 0
		.amdhsa_private_segment_fixed_size 0
		.amdhsa_kernarg_size 48
		.amdhsa_user_sgpr_count 6
		.amdhsa_user_sgpr_private_segment_buffer 1
		.amdhsa_user_sgpr_dispatch_ptr 0
		.amdhsa_user_sgpr_queue_ptr 0
		.amdhsa_user_sgpr_kernarg_segment_ptr 1
		.amdhsa_user_sgpr_dispatch_id 0
		.amdhsa_user_sgpr_flat_scratch_init 0
		.amdhsa_user_sgpr_kernarg_preload_length 0
		.amdhsa_user_sgpr_kernarg_preload_offset 0
		.amdhsa_user_sgpr_private_segment_size 0
		.amdhsa_uses_dynamic_stack 0
		.amdhsa_system_sgpr_private_segment_wavefront_offset 0
		.amdhsa_system_sgpr_workgroup_id_x 1
		.amdhsa_system_sgpr_workgroup_id_y 0
		.amdhsa_system_sgpr_workgroup_id_z 0
		.amdhsa_system_sgpr_workgroup_info 0
		.amdhsa_system_vgpr_workitem_id 0
		.amdhsa_next_free_vgpr 1
		.amdhsa_next_free_sgpr 0
		.amdhsa_accum_offset 4
		.amdhsa_reserve_vcc 0
		.amdhsa_reserve_flat_scratch 0
		.amdhsa_float_round_mode_32 0
		.amdhsa_float_round_mode_16_64 0
		.amdhsa_float_denorm_mode_32 3
		.amdhsa_float_denorm_mode_16_64 3
		.amdhsa_dx10_clamp 1
		.amdhsa_ieee_mode 1
		.amdhsa_fp16_overflow 0
		.amdhsa_tg_split 0
		.amdhsa_exception_fp_ieee_invalid_op 0
		.amdhsa_exception_fp_denorm_src 0
		.amdhsa_exception_fp_ieee_div_zero 0
		.amdhsa_exception_fp_ieee_overflow 0
		.amdhsa_exception_fp_ieee_underflow 0
		.amdhsa_exception_fp_ieee_inexact 0
		.amdhsa_exception_int_div_zero 0
	.end_amdhsa_kernel
	.section	.text._ZN7rocprim17ROCPRIM_400000_NS6detail17trampoline_kernelINS0_13kernel_configILj256ELj4ELj4294967295EEENS1_37radix_sort_block_sort_config_selectorIyNS0_10empty_typeEEEZNS1_21radix_sort_block_sortIS4_Lb0EN6thrust23THRUST_200600_302600_NS6detail15normal_iteratorINSA_10device_ptrIyEEEESF_PS6_SG_NS0_19identity_decomposerEEE10hipError_tT1_T2_T3_T4_jRjT5_jjP12ihipStream_tbEUlT_E_NS1_11comp_targetILNS1_3genE10ELNS1_11target_archE1201ELNS1_3gpuE5ELNS1_3repE0EEENS1_44radix_sort_block_sort_config_static_selectorELNS0_4arch9wavefront6targetE1EEEvSJ_,"axG",@progbits,_ZN7rocprim17ROCPRIM_400000_NS6detail17trampoline_kernelINS0_13kernel_configILj256ELj4ELj4294967295EEENS1_37radix_sort_block_sort_config_selectorIyNS0_10empty_typeEEEZNS1_21radix_sort_block_sortIS4_Lb0EN6thrust23THRUST_200600_302600_NS6detail15normal_iteratorINSA_10device_ptrIyEEEESF_PS6_SG_NS0_19identity_decomposerEEE10hipError_tT1_T2_T3_T4_jRjT5_jjP12ihipStream_tbEUlT_E_NS1_11comp_targetILNS1_3genE10ELNS1_11target_archE1201ELNS1_3gpuE5ELNS1_3repE0EEENS1_44radix_sort_block_sort_config_static_selectorELNS0_4arch9wavefront6targetE1EEEvSJ_,comdat
.Lfunc_end711:
	.size	_ZN7rocprim17ROCPRIM_400000_NS6detail17trampoline_kernelINS0_13kernel_configILj256ELj4ELj4294967295EEENS1_37radix_sort_block_sort_config_selectorIyNS0_10empty_typeEEEZNS1_21radix_sort_block_sortIS4_Lb0EN6thrust23THRUST_200600_302600_NS6detail15normal_iteratorINSA_10device_ptrIyEEEESF_PS6_SG_NS0_19identity_decomposerEEE10hipError_tT1_T2_T3_T4_jRjT5_jjP12ihipStream_tbEUlT_E_NS1_11comp_targetILNS1_3genE10ELNS1_11target_archE1201ELNS1_3gpuE5ELNS1_3repE0EEENS1_44radix_sort_block_sort_config_static_selectorELNS0_4arch9wavefront6targetE1EEEvSJ_, .Lfunc_end711-_ZN7rocprim17ROCPRIM_400000_NS6detail17trampoline_kernelINS0_13kernel_configILj256ELj4ELj4294967295EEENS1_37radix_sort_block_sort_config_selectorIyNS0_10empty_typeEEEZNS1_21radix_sort_block_sortIS4_Lb0EN6thrust23THRUST_200600_302600_NS6detail15normal_iteratorINSA_10device_ptrIyEEEESF_PS6_SG_NS0_19identity_decomposerEEE10hipError_tT1_T2_T3_T4_jRjT5_jjP12ihipStream_tbEUlT_E_NS1_11comp_targetILNS1_3genE10ELNS1_11target_archE1201ELNS1_3gpuE5ELNS1_3repE0EEENS1_44radix_sort_block_sort_config_static_selectorELNS0_4arch9wavefront6targetE1EEEvSJ_
                                        ; -- End function
	.section	.AMDGPU.csdata,"",@progbits
; Kernel info:
; codeLenInByte = 0
; NumSgprs: 4
; NumVgprs: 0
; NumAgprs: 0
; TotalNumVgprs: 0
; ScratchSize: 0
; MemoryBound: 0
; FloatMode: 240
; IeeeMode: 1
; LDSByteSize: 0 bytes/workgroup (compile time only)
; SGPRBlocks: 0
; VGPRBlocks: 0
; NumSGPRsForWavesPerEU: 4
; NumVGPRsForWavesPerEU: 1
; AccumOffset: 4
; Occupancy: 8
; WaveLimiterHint : 0
; COMPUTE_PGM_RSRC2:SCRATCH_EN: 0
; COMPUTE_PGM_RSRC2:USER_SGPR: 6
; COMPUTE_PGM_RSRC2:TRAP_HANDLER: 0
; COMPUTE_PGM_RSRC2:TGID_X_EN: 1
; COMPUTE_PGM_RSRC2:TGID_Y_EN: 0
; COMPUTE_PGM_RSRC2:TGID_Z_EN: 0
; COMPUTE_PGM_RSRC2:TIDIG_COMP_CNT: 0
; COMPUTE_PGM_RSRC3_GFX90A:ACCUM_OFFSET: 0
; COMPUTE_PGM_RSRC3_GFX90A:TG_SPLIT: 0
	.section	.text._ZN7rocprim17ROCPRIM_400000_NS6detail17trampoline_kernelINS0_13kernel_configILj256ELj4ELj4294967295EEENS1_37radix_sort_block_sort_config_selectorIyNS0_10empty_typeEEEZNS1_21radix_sort_block_sortIS4_Lb0EN6thrust23THRUST_200600_302600_NS6detail15normal_iteratorINSA_10device_ptrIyEEEESF_PS6_SG_NS0_19identity_decomposerEEE10hipError_tT1_T2_T3_T4_jRjT5_jjP12ihipStream_tbEUlT_E_NS1_11comp_targetILNS1_3genE10ELNS1_11target_archE1200ELNS1_3gpuE4ELNS1_3repE0EEENS1_44radix_sort_block_sort_config_static_selectorELNS0_4arch9wavefront6targetE1EEEvSJ_,"axG",@progbits,_ZN7rocprim17ROCPRIM_400000_NS6detail17trampoline_kernelINS0_13kernel_configILj256ELj4ELj4294967295EEENS1_37radix_sort_block_sort_config_selectorIyNS0_10empty_typeEEEZNS1_21radix_sort_block_sortIS4_Lb0EN6thrust23THRUST_200600_302600_NS6detail15normal_iteratorINSA_10device_ptrIyEEEESF_PS6_SG_NS0_19identity_decomposerEEE10hipError_tT1_T2_T3_T4_jRjT5_jjP12ihipStream_tbEUlT_E_NS1_11comp_targetILNS1_3genE10ELNS1_11target_archE1200ELNS1_3gpuE4ELNS1_3repE0EEENS1_44radix_sort_block_sort_config_static_selectorELNS0_4arch9wavefront6targetE1EEEvSJ_,comdat
	.protected	_ZN7rocprim17ROCPRIM_400000_NS6detail17trampoline_kernelINS0_13kernel_configILj256ELj4ELj4294967295EEENS1_37radix_sort_block_sort_config_selectorIyNS0_10empty_typeEEEZNS1_21radix_sort_block_sortIS4_Lb0EN6thrust23THRUST_200600_302600_NS6detail15normal_iteratorINSA_10device_ptrIyEEEESF_PS6_SG_NS0_19identity_decomposerEEE10hipError_tT1_T2_T3_T4_jRjT5_jjP12ihipStream_tbEUlT_E_NS1_11comp_targetILNS1_3genE10ELNS1_11target_archE1200ELNS1_3gpuE4ELNS1_3repE0EEENS1_44radix_sort_block_sort_config_static_selectorELNS0_4arch9wavefront6targetE1EEEvSJ_ ; -- Begin function _ZN7rocprim17ROCPRIM_400000_NS6detail17trampoline_kernelINS0_13kernel_configILj256ELj4ELj4294967295EEENS1_37radix_sort_block_sort_config_selectorIyNS0_10empty_typeEEEZNS1_21radix_sort_block_sortIS4_Lb0EN6thrust23THRUST_200600_302600_NS6detail15normal_iteratorINSA_10device_ptrIyEEEESF_PS6_SG_NS0_19identity_decomposerEEE10hipError_tT1_T2_T3_T4_jRjT5_jjP12ihipStream_tbEUlT_E_NS1_11comp_targetILNS1_3genE10ELNS1_11target_archE1200ELNS1_3gpuE4ELNS1_3repE0EEENS1_44radix_sort_block_sort_config_static_selectorELNS0_4arch9wavefront6targetE1EEEvSJ_
	.globl	_ZN7rocprim17ROCPRIM_400000_NS6detail17trampoline_kernelINS0_13kernel_configILj256ELj4ELj4294967295EEENS1_37radix_sort_block_sort_config_selectorIyNS0_10empty_typeEEEZNS1_21radix_sort_block_sortIS4_Lb0EN6thrust23THRUST_200600_302600_NS6detail15normal_iteratorINSA_10device_ptrIyEEEESF_PS6_SG_NS0_19identity_decomposerEEE10hipError_tT1_T2_T3_T4_jRjT5_jjP12ihipStream_tbEUlT_E_NS1_11comp_targetILNS1_3genE10ELNS1_11target_archE1200ELNS1_3gpuE4ELNS1_3repE0EEENS1_44radix_sort_block_sort_config_static_selectorELNS0_4arch9wavefront6targetE1EEEvSJ_
	.p2align	8
	.type	_ZN7rocprim17ROCPRIM_400000_NS6detail17trampoline_kernelINS0_13kernel_configILj256ELj4ELj4294967295EEENS1_37radix_sort_block_sort_config_selectorIyNS0_10empty_typeEEEZNS1_21radix_sort_block_sortIS4_Lb0EN6thrust23THRUST_200600_302600_NS6detail15normal_iteratorINSA_10device_ptrIyEEEESF_PS6_SG_NS0_19identity_decomposerEEE10hipError_tT1_T2_T3_T4_jRjT5_jjP12ihipStream_tbEUlT_E_NS1_11comp_targetILNS1_3genE10ELNS1_11target_archE1200ELNS1_3gpuE4ELNS1_3repE0EEENS1_44radix_sort_block_sort_config_static_selectorELNS0_4arch9wavefront6targetE1EEEvSJ_,@function
_ZN7rocprim17ROCPRIM_400000_NS6detail17trampoline_kernelINS0_13kernel_configILj256ELj4ELj4294967295EEENS1_37radix_sort_block_sort_config_selectorIyNS0_10empty_typeEEEZNS1_21radix_sort_block_sortIS4_Lb0EN6thrust23THRUST_200600_302600_NS6detail15normal_iteratorINSA_10device_ptrIyEEEESF_PS6_SG_NS0_19identity_decomposerEEE10hipError_tT1_T2_T3_T4_jRjT5_jjP12ihipStream_tbEUlT_E_NS1_11comp_targetILNS1_3genE10ELNS1_11target_archE1200ELNS1_3gpuE4ELNS1_3repE0EEENS1_44radix_sort_block_sort_config_static_selectorELNS0_4arch9wavefront6targetE1EEEvSJ_: ; @_ZN7rocprim17ROCPRIM_400000_NS6detail17trampoline_kernelINS0_13kernel_configILj256ELj4ELj4294967295EEENS1_37radix_sort_block_sort_config_selectorIyNS0_10empty_typeEEEZNS1_21radix_sort_block_sortIS4_Lb0EN6thrust23THRUST_200600_302600_NS6detail15normal_iteratorINSA_10device_ptrIyEEEESF_PS6_SG_NS0_19identity_decomposerEEE10hipError_tT1_T2_T3_T4_jRjT5_jjP12ihipStream_tbEUlT_E_NS1_11comp_targetILNS1_3genE10ELNS1_11target_archE1200ELNS1_3gpuE4ELNS1_3repE0EEENS1_44radix_sort_block_sort_config_static_selectorELNS0_4arch9wavefront6targetE1EEEvSJ_
; %bb.0:
	.section	.rodata,"a",@progbits
	.p2align	6, 0x0
	.amdhsa_kernel _ZN7rocprim17ROCPRIM_400000_NS6detail17trampoline_kernelINS0_13kernel_configILj256ELj4ELj4294967295EEENS1_37radix_sort_block_sort_config_selectorIyNS0_10empty_typeEEEZNS1_21radix_sort_block_sortIS4_Lb0EN6thrust23THRUST_200600_302600_NS6detail15normal_iteratorINSA_10device_ptrIyEEEESF_PS6_SG_NS0_19identity_decomposerEEE10hipError_tT1_T2_T3_T4_jRjT5_jjP12ihipStream_tbEUlT_E_NS1_11comp_targetILNS1_3genE10ELNS1_11target_archE1200ELNS1_3gpuE4ELNS1_3repE0EEENS1_44radix_sort_block_sort_config_static_selectorELNS0_4arch9wavefront6targetE1EEEvSJ_
		.amdhsa_group_segment_fixed_size 0
		.amdhsa_private_segment_fixed_size 0
		.amdhsa_kernarg_size 48
		.amdhsa_user_sgpr_count 6
		.amdhsa_user_sgpr_private_segment_buffer 1
		.amdhsa_user_sgpr_dispatch_ptr 0
		.amdhsa_user_sgpr_queue_ptr 0
		.amdhsa_user_sgpr_kernarg_segment_ptr 1
		.amdhsa_user_sgpr_dispatch_id 0
		.amdhsa_user_sgpr_flat_scratch_init 0
		.amdhsa_user_sgpr_kernarg_preload_length 0
		.amdhsa_user_sgpr_kernarg_preload_offset 0
		.amdhsa_user_sgpr_private_segment_size 0
		.amdhsa_uses_dynamic_stack 0
		.amdhsa_system_sgpr_private_segment_wavefront_offset 0
		.amdhsa_system_sgpr_workgroup_id_x 1
		.amdhsa_system_sgpr_workgroup_id_y 0
		.amdhsa_system_sgpr_workgroup_id_z 0
		.amdhsa_system_sgpr_workgroup_info 0
		.amdhsa_system_vgpr_workitem_id 0
		.amdhsa_next_free_vgpr 1
		.amdhsa_next_free_sgpr 0
		.amdhsa_accum_offset 4
		.amdhsa_reserve_vcc 0
		.amdhsa_reserve_flat_scratch 0
		.amdhsa_float_round_mode_32 0
		.amdhsa_float_round_mode_16_64 0
		.amdhsa_float_denorm_mode_32 3
		.amdhsa_float_denorm_mode_16_64 3
		.amdhsa_dx10_clamp 1
		.amdhsa_ieee_mode 1
		.amdhsa_fp16_overflow 0
		.amdhsa_tg_split 0
		.amdhsa_exception_fp_ieee_invalid_op 0
		.amdhsa_exception_fp_denorm_src 0
		.amdhsa_exception_fp_ieee_div_zero 0
		.amdhsa_exception_fp_ieee_overflow 0
		.amdhsa_exception_fp_ieee_underflow 0
		.amdhsa_exception_fp_ieee_inexact 0
		.amdhsa_exception_int_div_zero 0
	.end_amdhsa_kernel
	.section	.text._ZN7rocprim17ROCPRIM_400000_NS6detail17trampoline_kernelINS0_13kernel_configILj256ELj4ELj4294967295EEENS1_37radix_sort_block_sort_config_selectorIyNS0_10empty_typeEEEZNS1_21radix_sort_block_sortIS4_Lb0EN6thrust23THRUST_200600_302600_NS6detail15normal_iteratorINSA_10device_ptrIyEEEESF_PS6_SG_NS0_19identity_decomposerEEE10hipError_tT1_T2_T3_T4_jRjT5_jjP12ihipStream_tbEUlT_E_NS1_11comp_targetILNS1_3genE10ELNS1_11target_archE1200ELNS1_3gpuE4ELNS1_3repE0EEENS1_44radix_sort_block_sort_config_static_selectorELNS0_4arch9wavefront6targetE1EEEvSJ_,"axG",@progbits,_ZN7rocprim17ROCPRIM_400000_NS6detail17trampoline_kernelINS0_13kernel_configILj256ELj4ELj4294967295EEENS1_37radix_sort_block_sort_config_selectorIyNS0_10empty_typeEEEZNS1_21radix_sort_block_sortIS4_Lb0EN6thrust23THRUST_200600_302600_NS6detail15normal_iteratorINSA_10device_ptrIyEEEESF_PS6_SG_NS0_19identity_decomposerEEE10hipError_tT1_T2_T3_T4_jRjT5_jjP12ihipStream_tbEUlT_E_NS1_11comp_targetILNS1_3genE10ELNS1_11target_archE1200ELNS1_3gpuE4ELNS1_3repE0EEENS1_44radix_sort_block_sort_config_static_selectorELNS0_4arch9wavefront6targetE1EEEvSJ_,comdat
.Lfunc_end712:
	.size	_ZN7rocprim17ROCPRIM_400000_NS6detail17trampoline_kernelINS0_13kernel_configILj256ELj4ELj4294967295EEENS1_37radix_sort_block_sort_config_selectorIyNS0_10empty_typeEEEZNS1_21radix_sort_block_sortIS4_Lb0EN6thrust23THRUST_200600_302600_NS6detail15normal_iteratorINSA_10device_ptrIyEEEESF_PS6_SG_NS0_19identity_decomposerEEE10hipError_tT1_T2_T3_T4_jRjT5_jjP12ihipStream_tbEUlT_E_NS1_11comp_targetILNS1_3genE10ELNS1_11target_archE1200ELNS1_3gpuE4ELNS1_3repE0EEENS1_44radix_sort_block_sort_config_static_selectorELNS0_4arch9wavefront6targetE1EEEvSJ_, .Lfunc_end712-_ZN7rocprim17ROCPRIM_400000_NS6detail17trampoline_kernelINS0_13kernel_configILj256ELj4ELj4294967295EEENS1_37radix_sort_block_sort_config_selectorIyNS0_10empty_typeEEEZNS1_21radix_sort_block_sortIS4_Lb0EN6thrust23THRUST_200600_302600_NS6detail15normal_iteratorINSA_10device_ptrIyEEEESF_PS6_SG_NS0_19identity_decomposerEEE10hipError_tT1_T2_T3_T4_jRjT5_jjP12ihipStream_tbEUlT_E_NS1_11comp_targetILNS1_3genE10ELNS1_11target_archE1200ELNS1_3gpuE4ELNS1_3repE0EEENS1_44radix_sort_block_sort_config_static_selectorELNS0_4arch9wavefront6targetE1EEEvSJ_
                                        ; -- End function
	.section	.AMDGPU.csdata,"",@progbits
; Kernel info:
; codeLenInByte = 0
; NumSgprs: 4
; NumVgprs: 0
; NumAgprs: 0
; TotalNumVgprs: 0
; ScratchSize: 0
; MemoryBound: 0
; FloatMode: 240
; IeeeMode: 1
; LDSByteSize: 0 bytes/workgroup (compile time only)
; SGPRBlocks: 0
; VGPRBlocks: 0
; NumSGPRsForWavesPerEU: 4
; NumVGPRsForWavesPerEU: 1
; AccumOffset: 4
; Occupancy: 8
; WaveLimiterHint : 0
; COMPUTE_PGM_RSRC2:SCRATCH_EN: 0
; COMPUTE_PGM_RSRC2:USER_SGPR: 6
; COMPUTE_PGM_RSRC2:TRAP_HANDLER: 0
; COMPUTE_PGM_RSRC2:TGID_X_EN: 1
; COMPUTE_PGM_RSRC2:TGID_Y_EN: 0
; COMPUTE_PGM_RSRC2:TGID_Z_EN: 0
; COMPUTE_PGM_RSRC2:TIDIG_COMP_CNT: 0
; COMPUTE_PGM_RSRC3_GFX90A:ACCUM_OFFSET: 0
; COMPUTE_PGM_RSRC3_GFX90A:TG_SPLIT: 0
	.section	.text._ZN7rocprim17ROCPRIM_400000_NS6detail17trampoline_kernelINS0_13kernel_configILj256ELj4ELj4294967295EEENS1_37radix_sort_block_sort_config_selectorIyNS0_10empty_typeEEEZNS1_21radix_sort_block_sortIS4_Lb0EN6thrust23THRUST_200600_302600_NS6detail15normal_iteratorINSA_10device_ptrIyEEEESF_PS6_SG_NS0_19identity_decomposerEEE10hipError_tT1_T2_T3_T4_jRjT5_jjP12ihipStream_tbEUlT_E_NS1_11comp_targetILNS1_3genE9ELNS1_11target_archE1100ELNS1_3gpuE3ELNS1_3repE0EEENS1_44radix_sort_block_sort_config_static_selectorELNS0_4arch9wavefront6targetE1EEEvSJ_,"axG",@progbits,_ZN7rocprim17ROCPRIM_400000_NS6detail17trampoline_kernelINS0_13kernel_configILj256ELj4ELj4294967295EEENS1_37radix_sort_block_sort_config_selectorIyNS0_10empty_typeEEEZNS1_21radix_sort_block_sortIS4_Lb0EN6thrust23THRUST_200600_302600_NS6detail15normal_iteratorINSA_10device_ptrIyEEEESF_PS6_SG_NS0_19identity_decomposerEEE10hipError_tT1_T2_T3_T4_jRjT5_jjP12ihipStream_tbEUlT_E_NS1_11comp_targetILNS1_3genE9ELNS1_11target_archE1100ELNS1_3gpuE3ELNS1_3repE0EEENS1_44radix_sort_block_sort_config_static_selectorELNS0_4arch9wavefront6targetE1EEEvSJ_,comdat
	.protected	_ZN7rocprim17ROCPRIM_400000_NS6detail17trampoline_kernelINS0_13kernel_configILj256ELj4ELj4294967295EEENS1_37radix_sort_block_sort_config_selectorIyNS0_10empty_typeEEEZNS1_21radix_sort_block_sortIS4_Lb0EN6thrust23THRUST_200600_302600_NS6detail15normal_iteratorINSA_10device_ptrIyEEEESF_PS6_SG_NS0_19identity_decomposerEEE10hipError_tT1_T2_T3_T4_jRjT5_jjP12ihipStream_tbEUlT_E_NS1_11comp_targetILNS1_3genE9ELNS1_11target_archE1100ELNS1_3gpuE3ELNS1_3repE0EEENS1_44radix_sort_block_sort_config_static_selectorELNS0_4arch9wavefront6targetE1EEEvSJ_ ; -- Begin function _ZN7rocprim17ROCPRIM_400000_NS6detail17trampoline_kernelINS0_13kernel_configILj256ELj4ELj4294967295EEENS1_37radix_sort_block_sort_config_selectorIyNS0_10empty_typeEEEZNS1_21radix_sort_block_sortIS4_Lb0EN6thrust23THRUST_200600_302600_NS6detail15normal_iteratorINSA_10device_ptrIyEEEESF_PS6_SG_NS0_19identity_decomposerEEE10hipError_tT1_T2_T3_T4_jRjT5_jjP12ihipStream_tbEUlT_E_NS1_11comp_targetILNS1_3genE9ELNS1_11target_archE1100ELNS1_3gpuE3ELNS1_3repE0EEENS1_44radix_sort_block_sort_config_static_selectorELNS0_4arch9wavefront6targetE1EEEvSJ_
	.globl	_ZN7rocprim17ROCPRIM_400000_NS6detail17trampoline_kernelINS0_13kernel_configILj256ELj4ELj4294967295EEENS1_37radix_sort_block_sort_config_selectorIyNS0_10empty_typeEEEZNS1_21radix_sort_block_sortIS4_Lb0EN6thrust23THRUST_200600_302600_NS6detail15normal_iteratorINSA_10device_ptrIyEEEESF_PS6_SG_NS0_19identity_decomposerEEE10hipError_tT1_T2_T3_T4_jRjT5_jjP12ihipStream_tbEUlT_E_NS1_11comp_targetILNS1_3genE9ELNS1_11target_archE1100ELNS1_3gpuE3ELNS1_3repE0EEENS1_44radix_sort_block_sort_config_static_selectorELNS0_4arch9wavefront6targetE1EEEvSJ_
	.p2align	8
	.type	_ZN7rocprim17ROCPRIM_400000_NS6detail17trampoline_kernelINS0_13kernel_configILj256ELj4ELj4294967295EEENS1_37radix_sort_block_sort_config_selectorIyNS0_10empty_typeEEEZNS1_21radix_sort_block_sortIS4_Lb0EN6thrust23THRUST_200600_302600_NS6detail15normal_iteratorINSA_10device_ptrIyEEEESF_PS6_SG_NS0_19identity_decomposerEEE10hipError_tT1_T2_T3_T4_jRjT5_jjP12ihipStream_tbEUlT_E_NS1_11comp_targetILNS1_3genE9ELNS1_11target_archE1100ELNS1_3gpuE3ELNS1_3repE0EEENS1_44radix_sort_block_sort_config_static_selectorELNS0_4arch9wavefront6targetE1EEEvSJ_,@function
_ZN7rocprim17ROCPRIM_400000_NS6detail17trampoline_kernelINS0_13kernel_configILj256ELj4ELj4294967295EEENS1_37radix_sort_block_sort_config_selectorIyNS0_10empty_typeEEEZNS1_21radix_sort_block_sortIS4_Lb0EN6thrust23THRUST_200600_302600_NS6detail15normal_iteratorINSA_10device_ptrIyEEEESF_PS6_SG_NS0_19identity_decomposerEEE10hipError_tT1_T2_T3_T4_jRjT5_jjP12ihipStream_tbEUlT_E_NS1_11comp_targetILNS1_3genE9ELNS1_11target_archE1100ELNS1_3gpuE3ELNS1_3repE0EEENS1_44radix_sort_block_sort_config_static_selectorELNS0_4arch9wavefront6targetE1EEEvSJ_: ; @_ZN7rocprim17ROCPRIM_400000_NS6detail17trampoline_kernelINS0_13kernel_configILj256ELj4ELj4294967295EEENS1_37radix_sort_block_sort_config_selectorIyNS0_10empty_typeEEEZNS1_21radix_sort_block_sortIS4_Lb0EN6thrust23THRUST_200600_302600_NS6detail15normal_iteratorINSA_10device_ptrIyEEEESF_PS6_SG_NS0_19identity_decomposerEEE10hipError_tT1_T2_T3_T4_jRjT5_jjP12ihipStream_tbEUlT_E_NS1_11comp_targetILNS1_3genE9ELNS1_11target_archE1100ELNS1_3gpuE3ELNS1_3repE0EEENS1_44radix_sort_block_sort_config_static_selectorELNS0_4arch9wavefront6targetE1EEEvSJ_
; %bb.0:
	.section	.rodata,"a",@progbits
	.p2align	6, 0x0
	.amdhsa_kernel _ZN7rocprim17ROCPRIM_400000_NS6detail17trampoline_kernelINS0_13kernel_configILj256ELj4ELj4294967295EEENS1_37radix_sort_block_sort_config_selectorIyNS0_10empty_typeEEEZNS1_21radix_sort_block_sortIS4_Lb0EN6thrust23THRUST_200600_302600_NS6detail15normal_iteratorINSA_10device_ptrIyEEEESF_PS6_SG_NS0_19identity_decomposerEEE10hipError_tT1_T2_T3_T4_jRjT5_jjP12ihipStream_tbEUlT_E_NS1_11comp_targetILNS1_3genE9ELNS1_11target_archE1100ELNS1_3gpuE3ELNS1_3repE0EEENS1_44radix_sort_block_sort_config_static_selectorELNS0_4arch9wavefront6targetE1EEEvSJ_
		.amdhsa_group_segment_fixed_size 0
		.amdhsa_private_segment_fixed_size 0
		.amdhsa_kernarg_size 48
		.amdhsa_user_sgpr_count 6
		.amdhsa_user_sgpr_private_segment_buffer 1
		.amdhsa_user_sgpr_dispatch_ptr 0
		.amdhsa_user_sgpr_queue_ptr 0
		.amdhsa_user_sgpr_kernarg_segment_ptr 1
		.amdhsa_user_sgpr_dispatch_id 0
		.amdhsa_user_sgpr_flat_scratch_init 0
		.amdhsa_user_sgpr_kernarg_preload_length 0
		.amdhsa_user_sgpr_kernarg_preload_offset 0
		.amdhsa_user_sgpr_private_segment_size 0
		.amdhsa_uses_dynamic_stack 0
		.amdhsa_system_sgpr_private_segment_wavefront_offset 0
		.amdhsa_system_sgpr_workgroup_id_x 1
		.amdhsa_system_sgpr_workgroup_id_y 0
		.amdhsa_system_sgpr_workgroup_id_z 0
		.amdhsa_system_sgpr_workgroup_info 0
		.amdhsa_system_vgpr_workitem_id 0
		.amdhsa_next_free_vgpr 1
		.amdhsa_next_free_sgpr 0
		.amdhsa_accum_offset 4
		.amdhsa_reserve_vcc 0
		.amdhsa_reserve_flat_scratch 0
		.amdhsa_float_round_mode_32 0
		.amdhsa_float_round_mode_16_64 0
		.amdhsa_float_denorm_mode_32 3
		.amdhsa_float_denorm_mode_16_64 3
		.amdhsa_dx10_clamp 1
		.amdhsa_ieee_mode 1
		.amdhsa_fp16_overflow 0
		.amdhsa_tg_split 0
		.amdhsa_exception_fp_ieee_invalid_op 0
		.amdhsa_exception_fp_denorm_src 0
		.amdhsa_exception_fp_ieee_div_zero 0
		.amdhsa_exception_fp_ieee_overflow 0
		.amdhsa_exception_fp_ieee_underflow 0
		.amdhsa_exception_fp_ieee_inexact 0
		.amdhsa_exception_int_div_zero 0
	.end_amdhsa_kernel
	.section	.text._ZN7rocprim17ROCPRIM_400000_NS6detail17trampoline_kernelINS0_13kernel_configILj256ELj4ELj4294967295EEENS1_37radix_sort_block_sort_config_selectorIyNS0_10empty_typeEEEZNS1_21radix_sort_block_sortIS4_Lb0EN6thrust23THRUST_200600_302600_NS6detail15normal_iteratorINSA_10device_ptrIyEEEESF_PS6_SG_NS0_19identity_decomposerEEE10hipError_tT1_T2_T3_T4_jRjT5_jjP12ihipStream_tbEUlT_E_NS1_11comp_targetILNS1_3genE9ELNS1_11target_archE1100ELNS1_3gpuE3ELNS1_3repE0EEENS1_44radix_sort_block_sort_config_static_selectorELNS0_4arch9wavefront6targetE1EEEvSJ_,"axG",@progbits,_ZN7rocprim17ROCPRIM_400000_NS6detail17trampoline_kernelINS0_13kernel_configILj256ELj4ELj4294967295EEENS1_37radix_sort_block_sort_config_selectorIyNS0_10empty_typeEEEZNS1_21radix_sort_block_sortIS4_Lb0EN6thrust23THRUST_200600_302600_NS6detail15normal_iteratorINSA_10device_ptrIyEEEESF_PS6_SG_NS0_19identity_decomposerEEE10hipError_tT1_T2_T3_T4_jRjT5_jjP12ihipStream_tbEUlT_E_NS1_11comp_targetILNS1_3genE9ELNS1_11target_archE1100ELNS1_3gpuE3ELNS1_3repE0EEENS1_44radix_sort_block_sort_config_static_selectorELNS0_4arch9wavefront6targetE1EEEvSJ_,comdat
.Lfunc_end713:
	.size	_ZN7rocprim17ROCPRIM_400000_NS6detail17trampoline_kernelINS0_13kernel_configILj256ELj4ELj4294967295EEENS1_37radix_sort_block_sort_config_selectorIyNS0_10empty_typeEEEZNS1_21radix_sort_block_sortIS4_Lb0EN6thrust23THRUST_200600_302600_NS6detail15normal_iteratorINSA_10device_ptrIyEEEESF_PS6_SG_NS0_19identity_decomposerEEE10hipError_tT1_T2_T3_T4_jRjT5_jjP12ihipStream_tbEUlT_E_NS1_11comp_targetILNS1_3genE9ELNS1_11target_archE1100ELNS1_3gpuE3ELNS1_3repE0EEENS1_44radix_sort_block_sort_config_static_selectorELNS0_4arch9wavefront6targetE1EEEvSJ_, .Lfunc_end713-_ZN7rocprim17ROCPRIM_400000_NS6detail17trampoline_kernelINS0_13kernel_configILj256ELj4ELj4294967295EEENS1_37radix_sort_block_sort_config_selectorIyNS0_10empty_typeEEEZNS1_21radix_sort_block_sortIS4_Lb0EN6thrust23THRUST_200600_302600_NS6detail15normal_iteratorINSA_10device_ptrIyEEEESF_PS6_SG_NS0_19identity_decomposerEEE10hipError_tT1_T2_T3_T4_jRjT5_jjP12ihipStream_tbEUlT_E_NS1_11comp_targetILNS1_3genE9ELNS1_11target_archE1100ELNS1_3gpuE3ELNS1_3repE0EEENS1_44radix_sort_block_sort_config_static_selectorELNS0_4arch9wavefront6targetE1EEEvSJ_
                                        ; -- End function
	.section	.AMDGPU.csdata,"",@progbits
; Kernel info:
; codeLenInByte = 0
; NumSgprs: 4
; NumVgprs: 0
; NumAgprs: 0
; TotalNumVgprs: 0
; ScratchSize: 0
; MemoryBound: 0
; FloatMode: 240
; IeeeMode: 1
; LDSByteSize: 0 bytes/workgroup (compile time only)
; SGPRBlocks: 0
; VGPRBlocks: 0
; NumSGPRsForWavesPerEU: 4
; NumVGPRsForWavesPerEU: 1
; AccumOffset: 4
; Occupancy: 8
; WaveLimiterHint : 0
; COMPUTE_PGM_RSRC2:SCRATCH_EN: 0
; COMPUTE_PGM_RSRC2:USER_SGPR: 6
; COMPUTE_PGM_RSRC2:TRAP_HANDLER: 0
; COMPUTE_PGM_RSRC2:TGID_X_EN: 1
; COMPUTE_PGM_RSRC2:TGID_Y_EN: 0
; COMPUTE_PGM_RSRC2:TGID_Z_EN: 0
; COMPUTE_PGM_RSRC2:TIDIG_COMP_CNT: 0
; COMPUTE_PGM_RSRC3_GFX90A:ACCUM_OFFSET: 0
; COMPUTE_PGM_RSRC3_GFX90A:TG_SPLIT: 0
	.section	.text._ZN7rocprim17ROCPRIM_400000_NS6detail17trampoline_kernelINS0_13kernel_configILj256ELj4ELj4294967295EEENS1_37radix_sort_block_sort_config_selectorIyNS0_10empty_typeEEEZNS1_21radix_sort_block_sortIS4_Lb0EN6thrust23THRUST_200600_302600_NS6detail15normal_iteratorINSA_10device_ptrIyEEEESF_PS6_SG_NS0_19identity_decomposerEEE10hipError_tT1_T2_T3_T4_jRjT5_jjP12ihipStream_tbEUlT_E_NS1_11comp_targetILNS1_3genE8ELNS1_11target_archE1030ELNS1_3gpuE2ELNS1_3repE0EEENS1_44radix_sort_block_sort_config_static_selectorELNS0_4arch9wavefront6targetE1EEEvSJ_,"axG",@progbits,_ZN7rocprim17ROCPRIM_400000_NS6detail17trampoline_kernelINS0_13kernel_configILj256ELj4ELj4294967295EEENS1_37radix_sort_block_sort_config_selectorIyNS0_10empty_typeEEEZNS1_21radix_sort_block_sortIS4_Lb0EN6thrust23THRUST_200600_302600_NS6detail15normal_iteratorINSA_10device_ptrIyEEEESF_PS6_SG_NS0_19identity_decomposerEEE10hipError_tT1_T2_T3_T4_jRjT5_jjP12ihipStream_tbEUlT_E_NS1_11comp_targetILNS1_3genE8ELNS1_11target_archE1030ELNS1_3gpuE2ELNS1_3repE0EEENS1_44radix_sort_block_sort_config_static_selectorELNS0_4arch9wavefront6targetE1EEEvSJ_,comdat
	.protected	_ZN7rocprim17ROCPRIM_400000_NS6detail17trampoline_kernelINS0_13kernel_configILj256ELj4ELj4294967295EEENS1_37radix_sort_block_sort_config_selectorIyNS0_10empty_typeEEEZNS1_21radix_sort_block_sortIS4_Lb0EN6thrust23THRUST_200600_302600_NS6detail15normal_iteratorINSA_10device_ptrIyEEEESF_PS6_SG_NS0_19identity_decomposerEEE10hipError_tT1_T2_T3_T4_jRjT5_jjP12ihipStream_tbEUlT_E_NS1_11comp_targetILNS1_3genE8ELNS1_11target_archE1030ELNS1_3gpuE2ELNS1_3repE0EEENS1_44radix_sort_block_sort_config_static_selectorELNS0_4arch9wavefront6targetE1EEEvSJ_ ; -- Begin function _ZN7rocprim17ROCPRIM_400000_NS6detail17trampoline_kernelINS0_13kernel_configILj256ELj4ELj4294967295EEENS1_37radix_sort_block_sort_config_selectorIyNS0_10empty_typeEEEZNS1_21radix_sort_block_sortIS4_Lb0EN6thrust23THRUST_200600_302600_NS6detail15normal_iteratorINSA_10device_ptrIyEEEESF_PS6_SG_NS0_19identity_decomposerEEE10hipError_tT1_T2_T3_T4_jRjT5_jjP12ihipStream_tbEUlT_E_NS1_11comp_targetILNS1_3genE8ELNS1_11target_archE1030ELNS1_3gpuE2ELNS1_3repE0EEENS1_44radix_sort_block_sort_config_static_selectorELNS0_4arch9wavefront6targetE1EEEvSJ_
	.globl	_ZN7rocprim17ROCPRIM_400000_NS6detail17trampoline_kernelINS0_13kernel_configILj256ELj4ELj4294967295EEENS1_37radix_sort_block_sort_config_selectorIyNS0_10empty_typeEEEZNS1_21radix_sort_block_sortIS4_Lb0EN6thrust23THRUST_200600_302600_NS6detail15normal_iteratorINSA_10device_ptrIyEEEESF_PS6_SG_NS0_19identity_decomposerEEE10hipError_tT1_T2_T3_T4_jRjT5_jjP12ihipStream_tbEUlT_E_NS1_11comp_targetILNS1_3genE8ELNS1_11target_archE1030ELNS1_3gpuE2ELNS1_3repE0EEENS1_44radix_sort_block_sort_config_static_selectorELNS0_4arch9wavefront6targetE1EEEvSJ_
	.p2align	8
	.type	_ZN7rocprim17ROCPRIM_400000_NS6detail17trampoline_kernelINS0_13kernel_configILj256ELj4ELj4294967295EEENS1_37radix_sort_block_sort_config_selectorIyNS0_10empty_typeEEEZNS1_21radix_sort_block_sortIS4_Lb0EN6thrust23THRUST_200600_302600_NS6detail15normal_iteratorINSA_10device_ptrIyEEEESF_PS6_SG_NS0_19identity_decomposerEEE10hipError_tT1_T2_T3_T4_jRjT5_jjP12ihipStream_tbEUlT_E_NS1_11comp_targetILNS1_3genE8ELNS1_11target_archE1030ELNS1_3gpuE2ELNS1_3repE0EEENS1_44radix_sort_block_sort_config_static_selectorELNS0_4arch9wavefront6targetE1EEEvSJ_,@function
_ZN7rocprim17ROCPRIM_400000_NS6detail17trampoline_kernelINS0_13kernel_configILj256ELj4ELj4294967295EEENS1_37radix_sort_block_sort_config_selectorIyNS0_10empty_typeEEEZNS1_21radix_sort_block_sortIS4_Lb0EN6thrust23THRUST_200600_302600_NS6detail15normal_iteratorINSA_10device_ptrIyEEEESF_PS6_SG_NS0_19identity_decomposerEEE10hipError_tT1_T2_T3_T4_jRjT5_jjP12ihipStream_tbEUlT_E_NS1_11comp_targetILNS1_3genE8ELNS1_11target_archE1030ELNS1_3gpuE2ELNS1_3repE0EEENS1_44radix_sort_block_sort_config_static_selectorELNS0_4arch9wavefront6targetE1EEEvSJ_: ; @_ZN7rocprim17ROCPRIM_400000_NS6detail17trampoline_kernelINS0_13kernel_configILj256ELj4ELj4294967295EEENS1_37radix_sort_block_sort_config_selectorIyNS0_10empty_typeEEEZNS1_21radix_sort_block_sortIS4_Lb0EN6thrust23THRUST_200600_302600_NS6detail15normal_iteratorINSA_10device_ptrIyEEEESF_PS6_SG_NS0_19identity_decomposerEEE10hipError_tT1_T2_T3_T4_jRjT5_jjP12ihipStream_tbEUlT_E_NS1_11comp_targetILNS1_3genE8ELNS1_11target_archE1030ELNS1_3gpuE2ELNS1_3repE0EEENS1_44radix_sort_block_sort_config_static_selectorELNS0_4arch9wavefront6targetE1EEEvSJ_
; %bb.0:
	.section	.rodata,"a",@progbits
	.p2align	6, 0x0
	.amdhsa_kernel _ZN7rocprim17ROCPRIM_400000_NS6detail17trampoline_kernelINS0_13kernel_configILj256ELj4ELj4294967295EEENS1_37radix_sort_block_sort_config_selectorIyNS0_10empty_typeEEEZNS1_21radix_sort_block_sortIS4_Lb0EN6thrust23THRUST_200600_302600_NS6detail15normal_iteratorINSA_10device_ptrIyEEEESF_PS6_SG_NS0_19identity_decomposerEEE10hipError_tT1_T2_T3_T4_jRjT5_jjP12ihipStream_tbEUlT_E_NS1_11comp_targetILNS1_3genE8ELNS1_11target_archE1030ELNS1_3gpuE2ELNS1_3repE0EEENS1_44radix_sort_block_sort_config_static_selectorELNS0_4arch9wavefront6targetE1EEEvSJ_
		.amdhsa_group_segment_fixed_size 0
		.amdhsa_private_segment_fixed_size 0
		.amdhsa_kernarg_size 48
		.amdhsa_user_sgpr_count 6
		.amdhsa_user_sgpr_private_segment_buffer 1
		.amdhsa_user_sgpr_dispatch_ptr 0
		.amdhsa_user_sgpr_queue_ptr 0
		.amdhsa_user_sgpr_kernarg_segment_ptr 1
		.amdhsa_user_sgpr_dispatch_id 0
		.amdhsa_user_sgpr_flat_scratch_init 0
		.amdhsa_user_sgpr_kernarg_preload_length 0
		.amdhsa_user_sgpr_kernarg_preload_offset 0
		.amdhsa_user_sgpr_private_segment_size 0
		.amdhsa_uses_dynamic_stack 0
		.amdhsa_system_sgpr_private_segment_wavefront_offset 0
		.amdhsa_system_sgpr_workgroup_id_x 1
		.amdhsa_system_sgpr_workgroup_id_y 0
		.amdhsa_system_sgpr_workgroup_id_z 0
		.amdhsa_system_sgpr_workgroup_info 0
		.amdhsa_system_vgpr_workitem_id 0
		.amdhsa_next_free_vgpr 1
		.amdhsa_next_free_sgpr 0
		.amdhsa_accum_offset 4
		.amdhsa_reserve_vcc 0
		.amdhsa_reserve_flat_scratch 0
		.amdhsa_float_round_mode_32 0
		.amdhsa_float_round_mode_16_64 0
		.amdhsa_float_denorm_mode_32 3
		.amdhsa_float_denorm_mode_16_64 3
		.amdhsa_dx10_clamp 1
		.amdhsa_ieee_mode 1
		.amdhsa_fp16_overflow 0
		.amdhsa_tg_split 0
		.amdhsa_exception_fp_ieee_invalid_op 0
		.amdhsa_exception_fp_denorm_src 0
		.amdhsa_exception_fp_ieee_div_zero 0
		.amdhsa_exception_fp_ieee_overflow 0
		.amdhsa_exception_fp_ieee_underflow 0
		.amdhsa_exception_fp_ieee_inexact 0
		.amdhsa_exception_int_div_zero 0
	.end_amdhsa_kernel
	.section	.text._ZN7rocprim17ROCPRIM_400000_NS6detail17trampoline_kernelINS0_13kernel_configILj256ELj4ELj4294967295EEENS1_37radix_sort_block_sort_config_selectorIyNS0_10empty_typeEEEZNS1_21radix_sort_block_sortIS4_Lb0EN6thrust23THRUST_200600_302600_NS6detail15normal_iteratorINSA_10device_ptrIyEEEESF_PS6_SG_NS0_19identity_decomposerEEE10hipError_tT1_T2_T3_T4_jRjT5_jjP12ihipStream_tbEUlT_E_NS1_11comp_targetILNS1_3genE8ELNS1_11target_archE1030ELNS1_3gpuE2ELNS1_3repE0EEENS1_44radix_sort_block_sort_config_static_selectorELNS0_4arch9wavefront6targetE1EEEvSJ_,"axG",@progbits,_ZN7rocprim17ROCPRIM_400000_NS6detail17trampoline_kernelINS0_13kernel_configILj256ELj4ELj4294967295EEENS1_37radix_sort_block_sort_config_selectorIyNS0_10empty_typeEEEZNS1_21radix_sort_block_sortIS4_Lb0EN6thrust23THRUST_200600_302600_NS6detail15normal_iteratorINSA_10device_ptrIyEEEESF_PS6_SG_NS0_19identity_decomposerEEE10hipError_tT1_T2_T3_T4_jRjT5_jjP12ihipStream_tbEUlT_E_NS1_11comp_targetILNS1_3genE8ELNS1_11target_archE1030ELNS1_3gpuE2ELNS1_3repE0EEENS1_44radix_sort_block_sort_config_static_selectorELNS0_4arch9wavefront6targetE1EEEvSJ_,comdat
.Lfunc_end714:
	.size	_ZN7rocprim17ROCPRIM_400000_NS6detail17trampoline_kernelINS0_13kernel_configILj256ELj4ELj4294967295EEENS1_37radix_sort_block_sort_config_selectorIyNS0_10empty_typeEEEZNS1_21radix_sort_block_sortIS4_Lb0EN6thrust23THRUST_200600_302600_NS6detail15normal_iteratorINSA_10device_ptrIyEEEESF_PS6_SG_NS0_19identity_decomposerEEE10hipError_tT1_T2_T3_T4_jRjT5_jjP12ihipStream_tbEUlT_E_NS1_11comp_targetILNS1_3genE8ELNS1_11target_archE1030ELNS1_3gpuE2ELNS1_3repE0EEENS1_44radix_sort_block_sort_config_static_selectorELNS0_4arch9wavefront6targetE1EEEvSJ_, .Lfunc_end714-_ZN7rocprim17ROCPRIM_400000_NS6detail17trampoline_kernelINS0_13kernel_configILj256ELj4ELj4294967295EEENS1_37radix_sort_block_sort_config_selectorIyNS0_10empty_typeEEEZNS1_21radix_sort_block_sortIS4_Lb0EN6thrust23THRUST_200600_302600_NS6detail15normal_iteratorINSA_10device_ptrIyEEEESF_PS6_SG_NS0_19identity_decomposerEEE10hipError_tT1_T2_T3_T4_jRjT5_jjP12ihipStream_tbEUlT_E_NS1_11comp_targetILNS1_3genE8ELNS1_11target_archE1030ELNS1_3gpuE2ELNS1_3repE0EEENS1_44radix_sort_block_sort_config_static_selectorELNS0_4arch9wavefront6targetE1EEEvSJ_
                                        ; -- End function
	.section	.AMDGPU.csdata,"",@progbits
; Kernel info:
; codeLenInByte = 0
; NumSgprs: 4
; NumVgprs: 0
; NumAgprs: 0
; TotalNumVgprs: 0
; ScratchSize: 0
; MemoryBound: 0
; FloatMode: 240
; IeeeMode: 1
; LDSByteSize: 0 bytes/workgroup (compile time only)
; SGPRBlocks: 0
; VGPRBlocks: 0
; NumSGPRsForWavesPerEU: 4
; NumVGPRsForWavesPerEU: 1
; AccumOffset: 4
; Occupancy: 8
; WaveLimiterHint : 0
; COMPUTE_PGM_RSRC2:SCRATCH_EN: 0
; COMPUTE_PGM_RSRC2:USER_SGPR: 6
; COMPUTE_PGM_RSRC2:TRAP_HANDLER: 0
; COMPUTE_PGM_RSRC2:TGID_X_EN: 1
; COMPUTE_PGM_RSRC2:TGID_Y_EN: 0
; COMPUTE_PGM_RSRC2:TGID_Z_EN: 0
; COMPUTE_PGM_RSRC2:TIDIG_COMP_CNT: 0
; COMPUTE_PGM_RSRC3_GFX90A:ACCUM_OFFSET: 0
; COMPUTE_PGM_RSRC3_GFX90A:TG_SPLIT: 0
	.section	.text._ZN7rocprim17ROCPRIM_400000_NS6detail44device_merge_sort_compile_time_verifier_archINS1_11comp_targetILNS1_3genE0ELNS1_11target_archE4294967295ELNS1_3gpuE0ELNS1_3repE0EEES8_NS1_28merge_sort_block_sort_configILj256ELj4ELNS0_20block_sort_algorithmE0EEENS0_14default_configENS1_37merge_sort_block_sort_config_selectorIyNS0_10empty_typeEEENS1_38merge_sort_block_merge_config_selectorIySE_EEEEvv,"axG",@progbits,_ZN7rocprim17ROCPRIM_400000_NS6detail44device_merge_sort_compile_time_verifier_archINS1_11comp_targetILNS1_3genE0ELNS1_11target_archE4294967295ELNS1_3gpuE0ELNS1_3repE0EEES8_NS1_28merge_sort_block_sort_configILj256ELj4ELNS0_20block_sort_algorithmE0EEENS0_14default_configENS1_37merge_sort_block_sort_config_selectorIyNS0_10empty_typeEEENS1_38merge_sort_block_merge_config_selectorIySE_EEEEvv,comdat
	.protected	_ZN7rocprim17ROCPRIM_400000_NS6detail44device_merge_sort_compile_time_verifier_archINS1_11comp_targetILNS1_3genE0ELNS1_11target_archE4294967295ELNS1_3gpuE0ELNS1_3repE0EEES8_NS1_28merge_sort_block_sort_configILj256ELj4ELNS0_20block_sort_algorithmE0EEENS0_14default_configENS1_37merge_sort_block_sort_config_selectorIyNS0_10empty_typeEEENS1_38merge_sort_block_merge_config_selectorIySE_EEEEvv ; -- Begin function _ZN7rocprim17ROCPRIM_400000_NS6detail44device_merge_sort_compile_time_verifier_archINS1_11comp_targetILNS1_3genE0ELNS1_11target_archE4294967295ELNS1_3gpuE0ELNS1_3repE0EEES8_NS1_28merge_sort_block_sort_configILj256ELj4ELNS0_20block_sort_algorithmE0EEENS0_14default_configENS1_37merge_sort_block_sort_config_selectorIyNS0_10empty_typeEEENS1_38merge_sort_block_merge_config_selectorIySE_EEEEvv
	.globl	_ZN7rocprim17ROCPRIM_400000_NS6detail44device_merge_sort_compile_time_verifier_archINS1_11comp_targetILNS1_3genE0ELNS1_11target_archE4294967295ELNS1_3gpuE0ELNS1_3repE0EEES8_NS1_28merge_sort_block_sort_configILj256ELj4ELNS0_20block_sort_algorithmE0EEENS0_14default_configENS1_37merge_sort_block_sort_config_selectorIyNS0_10empty_typeEEENS1_38merge_sort_block_merge_config_selectorIySE_EEEEvv
	.p2align	8
	.type	_ZN7rocprim17ROCPRIM_400000_NS6detail44device_merge_sort_compile_time_verifier_archINS1_11comp_targetILNS1_3genE0ELNS1_11target_archE4294967295ELNS1_3gpuE0ELNS1_3repE0EEES8_NS1_28merge_sort_block_sort_configILj256ELj4ELNS0_20block_sort_algorithmE0EEENS0_14default_configENS1_37merge_sort_block_sort_config_selectorIyNS0_10empty_typeEEENS1_38merge_sort_block_merge_config_selectorIySE_EEEEvv,@function
_ZN7rocprim17ROCPRIM_400000_NS6detail44device_merge_sort_compile_time_verifier_archINS1_11comp_targetILNS1_3genE0ELNS1_11target_archE4294967295ELNS1_3gpuE0ELNS1_3repE0EEES8_NS1_28merge_sort_block_sort_configILj256ELj4ELNS0_20block_sort_algorithmE0EEENS0_14default_configENS1_37merge_sort_block_sort_config_selectorIyNS0_10empty_typeEEENS1_38merge_sort_block_merge_config_selectorIySE_EEEEvv: ; @_ZN7rocprim17ROCPRIM_400000_NS6detail44device_merge_sort_compile_time_verifier_archINS1_11comp_targetILNS1_3genE0ELNS1_11target_archE4294967295ELNS1_3gpuE0ELNS1_3repE0EEES8_NS1_28merge_sort_block_sort_configILj256ELj4ELNS0_20block_sort_algorithmE0EEENS0_14default_configENS1_37merge_sort_block_sort_config_selectorIyNS0_10empty_typeEEENS1_38merge_sort_block_merge_config_selectorIySE_EEEEvv
; %bb.0:
	s_endpgm
	.section	.rodata,"a",@progbits
	.p2align	6, 0x0
	.amdhsa_kernel _ZN7rocprim17ROCPRIM_400000_NS6detail44device_merge_sort_compile_time_verifier_archINS1_11comp_targetILNS1_3genE0ELNS1_11target_archE4294967295ELNS1_3gpuE0ELNS1_3repE0EEES8_NS1_28merge_sort_block_sort_configILj256ELj4ELNS0_20block_sort_algorithmE0EEENS0_14default_configENS1_37merge_sort_block_sort_config_selectorIyNS0_10empty_typeEEENS1_38merge_sort_block_merge_config_selectorIySE_EEEEvv
		.amdhsa_group_segment_fixed_size 0
		.amdhsa_private_segment_fixed_size 0
		.amdhsa_kernarg_size 0
		.amdhsa_user_sgpr_count 4
		.amdhsa_user_sgpr_private_segment_buffer 1
		.amdhsa_user_sgpr_dispatch_ptr 0
		.amdhsa_user_sgpr_queue_ptr 0
		.amdhsa_user_sgpr_kernarg_segment_ptr 0
		.amdhsa_user_sgpr_dispatch_id 0
		.amdhsa_user_sgpr_flat_scratch_init 0
		.amdhsa_user_sgpr_kernarg_preload_length 0
		.amdhsa_user_sgpr_kernarg_preload_offset 0
		.amdhsa_user_sgpr_private_segment_size 0
		.amdhsa_uses_dynamic_stack 0
		.amdhsa_system_sgpr_private_segment_wavefront_offset 0
		.amdhsa_system_sgpr_workgroup_id_x 1
		.amdhsa_system_sgpr_workgroup_id_y 0
		.amdhsa_system_sgpr_workgroup_id_z 0
		.amdhsa_system_sgpr_workgroup_info 0
		.amdhsa_system_vgpr_workitem_id 0
		.amdhsa_next_free_vgpr 1
		.amdhsa_next_free_sgpr 0
		.amdhsa_accum_offset 4
		.amdhsa_reserve_vcc 0
		.amdhsa_reserve_flat_scratch 0
		.amdhsa_float_round_mode_32 0
		.amdhsa_float_round_mode_16_64 0
		.amdhsa_float_denorm_mode_32 3
		.amdhsa_float_denorm_mode_16_64 3
		.amdhsa_dx10_clamp 1
		.amdhsa_ieee_mode 1
		.amdhsa_fp16_overflow 0
		.amdhsa_tg_split 0
		.amdhsa_exception_fp_ieee_invalid_op 0
		.amdhsa_exception_fp_denorm_src 0
		.amdhsa_exception_fp_ieee_div_zero 0
		.amdhsa_exception_fp_ieee_overflow 0
		.amdhsa_exception_fp_ieee_underflow 0
		.amdhsa_exception_fp_ieee_inexact 0
		.amdhsa_exception_int_div_zero 0
	.end_amdhsa_kernel
	.section	.text._ZN7rocprim17ROCPRIM_400000_NS6detail44device_merge_sort_compile_time_verifier_archINS1_11comp_targetILNS1_3genE0ELNS1_11target_archE4294967295ELNS1_3gpuE0ELNS1_3repE0EEES8_NS1_28merge_sort_block_sort_configILj256ELj4ELNS0_20block_sort_algorithmE0EEENS0_14default_configENS1_37merge_sort_block_sort_config_selectorIyNS0_10empty_typeEEENS1_38merge_sort_block_merge_config_selectorIySE_EEEEvv,"axG",@progbits,_ZN7rocprim17ROCPRIM_400000_NS6detail44device_merge_sort_compile_time_verifier_archINS1_11comp_targetILNS1_3genE0ELNS1_11target_archE4294967295ELNS1_3gpuE0ELNS1_3repE0EEES8_NS1_28merge_sort_block_sort_configILj256ELj4ELNS0_20block_sort_algorithmE0EEENS0_14default_configENS1_37merge_sort_block_sort_config_selectorIyNS0_10empty_typeEEENS1_38merge_sort_block_merge_config_selectorIySE_EEEEvv,comdat
.Lfunc_end715:
	.size	_ZN7rocprim17ROCPRIM_400000_NS6detail44device_merge_sort_compile_time_verifier_archINS1_11comp_targetILNS1_3genE0ELNS1_11target_archE4294967295ELNS1_3gpuE0ELNS1_3repE0EEES8_NS1_28merge_sort_block_sort_configILj256ELj4ELNS0_20block_sort_algorithmE0EEENS0_14default_configENS1_37merge_sort_block_sort_config_selectorIyNS0_10empty_typeEEENS1_38merge_sort_block_merge_config_selectorIySE_EEEEvv, .Lfunc_end715-_ZN7rocprim17ROCPRIM_400000_NS6detail44device_merge_sort_compile_time_verifier_archINS1_11comp_targetILNS1_3genE0ELNS1_11target_archE4294967295ELNS1_3gpuE0ELNS1_3repE0EEES8_NS1_28merge_sort_block_sort_configILj256ELj4ELNS0_20block_sort_algorithmE0EEENS0_14default_configENS1_37merge_sort_block_sort_config_selectorIyNS0_10empty_typeEEENS1_38merge_sort_block_merge_config_selectorIySE_EEEEvv
                                        ; -- End function
	.section	.AMDGPU.csdata,"",@progbits
; Kernel info:
; codeLenInByte = 4
; NumSgprs: 4
; NumVgprs: 0
; NumAgprs: 0
; TotalNumVgprs: 0
; ScratchSize: 0
; MemoryBound: 0
; FloatMode: 240
; IeeeMode: 1
; LDSByteSize: 0 bytes/workgroup (compile time only)
; SGPRBlocks: 0
; VGPRBlocks: 0
; NumSGPRsForWavesPerEU: 4
; NumVGPRsForWavesPerEU: 1
; AccumOffset: 4
; Occupancy: 8
; WaveLimiterHint : 0
; COMPUTE_PGM_RSRC2:SCRATCH_EN: 0
; COMPUTE_PGM_RSRC2:USER_SGPR: 4
; COMPUTE_PGM_RSRC2:TRAP_HANDLER: 0
; COMPUTE_PGM_RSRC2:TGID_X_EN: 1
; COMPUTE_PGM_RSRC2:TGID_Y_EN: 0
; COMPUTE_PGM_RSRC2:TGID_Z_EN: 0
; COMPUTE_PGM_RSRC2:TIDIG_COMP_CNT: 0
; COMPUTE_PGM_RSRC3_GFX90A:ACCUM_OFFSET: 0
; COMPUTE_PGM_RSRC3_GFX90A:TG_SPLIT: 0
	.section	.text._ZN7rocprim17ROCPRIM_400000_NS6detail44device_merge_sort_compile_time_verifier_archINS1_11comp_targetILNS1_3genE5ELNS1_11target_archE942ELNS1_3gpuE9ELNS1_3repE0EEES8_NS1_28merge_sort_block_sort_configILj256ELj4ELNS0_20block_sort_algorithmE0EEENS0_14default_configENS1_37merge_sort_block_sort_config_selectorIyNS0_10empty_typeEEENS1_38merge_sort_block_merge_config_selectorIySE_EEEEvv,"axG",@progbits,_ZN7rocprim17ROCPRIM_400000_NS6detail44device_merge_sort_compile_time_verifier_archINS1_11comp_targetILNS1_3genE5ELNS1_11target_archE942ELNS1_3gpuE9ELNS1_3repE0EEES8_NS1_28merge_sort_block_sort_configILj256ELj4ELNS0_20block_sort_algorithmE0EEENS0_14default_configENS1_37merge_sort_block_sort_config_selectorIyNS0_10empty_typeEEENS1_38merge_sort_block_merge_config_selectorIySE_EEEEvv,comdat
	.protected	_ZN7rocprim17ROCPRIM_400000_NS6detail44device_merge_sort_compile_time_verifier_archINS1_11comp_targetILNS1_3genE5ELNS1_11target_archE942ELNS1_3gpuE9ELNS1_3repE0EEES8_NS1_28merge_sort_block_sort_configILj256ELj4ELNS0_20block_sort_algorithmE0EEENS0_14default_configENS1_37merge_sort_block_sort_config_selectorIyNS0_10empty_typeEEENS1_38merge_sort_block_merge_config_selectorIySE_EEEEvv ; -- Begin function _ZN7rocprim17ROCPRIM_400000_NS6detail44device_merge_sort_compile_time_verifier_archINS1_11comp_targetILNS1_3genE5ELNS1_11target_archE942ELNS1_3gpuE9ELNS1_3repE0EEES8_NS1_28merge_sort_block_sort_configILj256ELj4ELNS0_20block_sort_algorithmE0EEENS0_14default_configENS1_37merge_sort_block_sort_config_selectorIyNS0_10empty_typeEEENS1_38merge_sort_block_merge_config_selectorIySE_EEEEvv
	.globl	_ZN7rocprim17ROCPRIM_400000_NS6detail44device_merge_sort_compile_time_verifier_archINS1_11comp_targetILNS1_3genE5ELNS1_11target_archE942ELNS1_3gpuE9ELNS1_3repE0EEES8_NS1_28merge_sort_block_sort_configILj256ELj4ELNS0_20block_sort_algorithmE0EEENS0_14default_configENS1_37merge_sort_block_sort_config_selectorIyNS0_10empty_typeEEENS1_38merge_sort_block_merge_config_selectorIySE_EEEEvv
	.p2align	8
	.type	_ZN7rocprim17ROCPRIM_400000_NS6detail44device_merge_sort_compile_time_verifier_archINS1_11comp_targetILNS1_3genE5ELNS1_11target_archE942ELNS1_3gpuE9ELNS1_3repE0EEES8_NS1_28merge_sort_block_sort_configILj256ELj4ELNS0_20block_sort_algorithmE0EEENS0_14default_configENS1_37merge_sort_block_sort_config_selectorIyNS0_10empty_typeEEENS1_38merge_sort_block_merge_config_selectorIySE_EEEEvv,@function
_ZN7rocprim17ROCPRIM_400000_NS6detail44device_merge_sort_compile_time_verifier_archINS1_11comp_targetILNS1_3genE5ELNS1_11target_archE942ELNS1_3gpuE9ELNS1_3repE0EEES8_NS1_28merge_sort_block_sort_configILj256ELj4ELNS0_20block_sort_algorithmE0EEENS0_14default_configENS1_37merge_sort_block_sort_config_selectorIyNS0_10empty_typeEEENS1_38merge_sort_block_merge_config_selectorIySE_EEEEvv: ; @_ZN7rocprim17ROCPRIM_400000_NS6detail44device_merge_sort_compile_time_verifier_archINS1_11comp_targetILNS1_3genE5ELNS1_11target_archE942ELNS1_3gpuE9ELNS1_3repE0EEES8_NS1_28merge_sort_block_sort_configILj256ELj4ELNS0_20block_sort_algorithmE0EEENS0_14default_configENS1_37merge_sort_block_sort_config_selectorIyNS0_10empty_typeEEENS1_38merge_sort_block_merge_config_selectorIySE_EEEEvv
; %bb.0:
	s_endpgm
	.section	.rodata,"a",@progbits
	.p2align	6, 0x0
	.amdhsa_kernel _ZN7rocprim17ROCPRIM_400000_NS6detail44device_merge_sort_compile_time_verifier_archINS1_11comp_targetILNS1_3genE5ELNS1_11target_archE942ELNS1_3gpuE9ELNS1_3repE0EEES8_NS1_28merge_sort_block_sort_configILj256ELj4ELNS0_20block_sort_algorithmE0EEENS0_14default_configENS1_37merge_sort_block_sort_config_selectorIyNS0_10empty_typeEEENS1_38merge_sort_block_merge_config_selectorIySE_EEEEvv
		.amdhsa_group_segment_fixed_size 0
		.amdhsa_private_segment_fixed_size 0
		.amdhsa_kernarg_size 0
		.amdhsa_user_sgpr_count 4
		.amdhsa_user_sgpr_private_segment_buffer 1
		.amdhsa_user_sgpr_dispatch_ptr 0
		.amdhsa_user_sgpr_queue_ptr 0
		.amdhsa_user_sgpr_kernarg_segment_ptr 0
		.amdhsa_user_sgpr_dispatch_id 0
		.amdhsa_user_sgpr_flat_scratch_init 0
		.amdhsa_user_sgpr_kernarg_preload_length 0
		.amdhsa_user_sgpr_kernarg_preload_offset 0
		.amdhsa_user_sgpr_private_segment_size 0
		.amdhsa_uses_dynamic_stack 0
		.amdhsa_system_sgpr_private_segment_wavefront_offset 0
		.amdhsa_system_sgpr_workgroup_id_x 1
		.amdhsa_system_sgpr_workgroup_id_y 0
		.amdhsa_system_sgpr_workgroup_id_z 0
		.amdhsa_system_sgpr_workgroup_info 0
		.amdhsa_system_vgpr_workitem_id 0
		.amdhsa_next_free_vgpr 1
		.amdhsa_next_free_sgpr 0
		.amdhsa_accum_offset 4
		.amdhsa_reserve_vcc 0
		.amdhsa_reserve_flat_scratch 0
		.amdhsa_float_round_mode_32 0
		.amdhsa_float_round_mode_16_64 0
		.amdhsa_float_denorm_mode_32 3
		.amdhsa_float_denorm_mode_16_64 3
		.amdhsa_dx10_clamp 1
		.amdhsa_ieee_mode 1
		.amdhsa_fp16_overflow 0
		.amdhsa_tg_split 0
		.amdhsa_exception_fp_ieee_invalid_op 0
		.amdhsa_exception_fp_denorm_src 0
		.amdhsa_exception_fp_ieee_div_zero 0
		.amdhsa_exception_fp_ieee_overflow 0
		.amdhsa_exception_fp_ieee_underflow 0
		.amdhsa_exception_fp_ieee_inexact 0
		.amdhsa_exception_int_div_zero 0
	.end_amdhsa_kernel
	.section	.text._ZN7rocprim17ROCPRIM_400000_NS6detail44device_merge_sort_compile_time_verifier_archINS1_11comp_targetILNS1_3genE5ELNS1_11target_archE942ELNS1_3gpuE9ELNS1_3repE0EEES8_NS1_28merge_sort_block_sort_configILj256ELj4ELNS0_20block_sort_algorithmE0EEENS0_14default_configENS1_37merge_sort_block_sort_config_selectorIyNS0_10empty_typeEEENS1_38merge_sort_block_merge_config_selectorIySE_EEEEvv,"axG",@progbits,_ZN7rocprim17ROCPRIM_400000_NS6detail44device_merge_sort_compile_time_verifier_archINS1_11comp_targetILNS1_3genE5ELNS1_11target_archE942ELNS1_3gpuE9ELNS1_3repE0EEES8_NS1_28merge_sort_block_sort_configILj256ELj4ELNS0_20block_sort_algorithmE0EEENS0_14default_configENS1_37merge_sort_block_sort_config_selectorIyNS0_10empty_typeEEENS1_38merge_sort_block_merge_config_selectorIySE_EEEEvv,comdat
.Lfunc_end716:
	.size	_ZN7rocprim17ROCPRIM_400000_NS6detail44device_merge_sort_compile_time_verifier_archINS1_11comp_targetILNS1_3genE5ELNS1_11target_archE942ELNS1_3gpuE9ELNS1_3repE0EEES8_NS1_28merge_sort_block_sort_configILj256ELj4ELNS0_20block_sort_algorithmE0EEENS0_14default_configENS1_37merge_sort_block_sort_config_selectorIyNS0_10empty_typeEEENS1_38merge_sort_block_merge_config_selectorIySE_EEEEvv, .Lfunc_end716-_ZN7rocprim17ROCPRIM_400000_NS6detail44device_merge_sort_compile_time_verifier_archINS1_11comp_targetILNS1_3genE5ELNS1_11target_archE942ELNS1_3gpuE9ELNS1_3repE0EEES8_NS1_28merge_sort_block_sort_configILj256ELj4ELNS0_20block_sort_algorithmE0EEENS0_14default_configENS1_37merge_sort_block_sort_config_selectorIyNS0_10empty_typeEEENS1_38merge_sort_block_merge_config_selectorIySE_EEEEvv
                                        ; -- End function
	.section	.AMDGPU.csdata,"",@progbits
; Kernel info:
; codeLenInByte = 4
; NumSgprs: 4
; NumVgprs: 0
; NumAgprs: 0
; TotalNumVgprs: 0
; ScratchSize: 0
; MemoryBound: 0
; FloatMode: 240
; IeeeMode: 1
; LDSByteSize: 0 bytes/workgroup (compile time only)
; SGPRBlocks: 0
; VGPRBlocks: 0
; NumSGPRsForWavesPerEU: 4
; NumVGPRsForWavesPerEU: 1
; AccumOffset: 4
; Occupancy: 8
; WaveLimiterHint : 0
; COMPUTE_PGM_RSRC2:SCRATCH_EN: 0
; COMPUTE_PGM_RSRC2:USER_SGPR: 4
; COMPUTE_PGM_RSRC2:TRAP_HANDLER: 0
; COMPUTE_PGM_RSRC2:TGID_X_EN: 1
; COMPUTE_PGM_RSRC2:TGID_Y_EN: 0
; COMPUTE_PGM_RSRC2:TGID_Z_EN: 0
; COMPUTE_PGM_RSRC2:TIDIG_COMP_CNT: 0
; COMPUTE_PGM_RSRC3_GFX90A:ACCUM_OFFSET: 0
; COMPUTE_PGM_RSRC3_GFX90A:TG_SPLIT: 0
	.section	.text._ZN7rocprim17ROCPRIM_400000_NS6detail44device_merge_sort_compile_time_verifier_archINS1_11comp_targetILNS1_3genE4ELNS1_11target_archE910ELNS1_3gpuE8ELNS1_3repE0EEES8_NS1_28merge_sort_block_sort_configILj256ELj4ELNS0_20block_sort_algorithmE0EEENS0_14default_configENS1_37merge_sort_block_sort_config_selectorIyNS0_10empty_typeEEENS1_38merge_sort_block_merge_config_selectorIySE_EEEEvv,"axG",@progbits,_ZN7rocprim17ROCPRIM_400000_NS6detail44device_merge_sort_compile_time_verifier_archINS1_11comp_targetILNS1_3genE4ELNS1_11target_archE910ELNS1_3gpuE8ELNS1_3repE0EEES8_NS1_28merge_sort_block_sort_configILj256ELj4ELNS0_20block_sort_algorithmE0EEENS0_14default_configENS1_37merge_sort_block_sort_config_selectorIyNS0_10empty_typeEEENS1_38merge_sort_block_merge_config_selectorIySE_EEEEvv,comdat
	.protected	_ZN7rocprim17ROCPRIM_400000_NS6detail44device_merge_sort_compile_time_verifier_archINS1_11comp_targetILNS1_3genE4ELNS1_11target_archE910ELNS1_3gpuE8ELNS1_3repE0EEES8_NS1_28merge_sort_block_sort_configILj256ELj4ELNS0_20block_sort_algorithmE0EEENS0_14default_configENS1_37merge_sort_block_sort_config_selectorIyNS0_10empty_typeEEENS1_38merge_sort_block_merge_config_selectorIySE_EEEEvv ; -- Begin function _ZN7rocprim17ROCPRIM_400000_NS6detail44device_merge_sort_compile_time_verifier_archINS1_11comp_targetILNS1_3genE4ELNS1_11target_archE910ELNS1_3gpuE8ELNS1_3repE0EEES8_NS1_28merge_sort_block_sort_configILj256ELj4ELNS0_20block_sort_algorithmE0EEENS0_14default_configENS1_37merge_sort_block_sort_config_selectorIyNS0_10empty_typeEEENS1_38merge_sort_block_merge_config_selectorIySE_EEEEvv
	.globl	_ZN7rocprim17ROCPRIM_400000_NS6detail44device_merge_sort_compile_time_verifier_archINS1_11comp_targetILNS1_3genE4ELNS1_11target_archE910ELNS1_3gpuE8ELNS1_3repE0EEES8_NS1_28merge_sort_block_sort_configILj256ELj4ELNS0_20block_sort_algorithmE0EEENS0_14default_configENS1_37merge_sort_block_sort_config_selectorIyNS0_10empty_typeEEENS1_38merge_sort_block_merge_config_selectorIySE_EEEEvv
	.p2align	8
	.type	_ZN7rocprim17ROCPRIM_400000_NS6detail44device_merge_sort_compile_time_verifier_archINS1_11comp_targetILNS1_3genE4ELNS1_11target_archE910ELNS1_3gpuE8ELNS1_3repE0EEES8_NS1_28merge_sort_block_sort_configILj256ELj4ELNS0_20block_sort_algorithmE0EEENS0_14default_configENS1_37merge_sort_block_sort_config_selectorIyNS0_10empty_typeEEENS1_38merge_sort_block_merge_config_selectorIySE_EEEEvv,@function
_ZN7rocprim17ROCPRIM_400000_NS6detail44device_merge_sort_compile_time_verifier_archINS1_11comp_targetILNS1_3genE4ELNS1_11target_archE910ELNS1_3gpuE8ELNS1_3repE0EEES8_NS1_28merge_sort_block_sort_configILj256ELj4ELNS0_20block_sort_algorithmE0EEENS0_14default_configENS1_37merge_sort_block_sort_config_selectorIyNS0_10empty_typeEEENS1_38merge_sort_block_merge_config_selectorIySE_EEEEvv: ; @_ZN7rocprim17ROCPRIM_400000_NS6detail44device_merge_sort_compile_time_verifier_archINS1_11comp_targetILNS1_3genE4ELNS1_11target_archE910ELNS1_3gpuE8ELNS1_3repE0EEES8_NS1_28merge_sort_block_sort_configILj256ELj4ELNS0_20block_sort_algorithmE0EEENS0_14default_configENS1_37merge_sort_block_sort_config_selectorIyNS0_10empty_typeEEENS1_38merge_sort_block_merge_config_selectorIySE_EEEEvv
; %bb.0:
	s_endpgm
	.section	.rodata,"a",@progbits
	.p2align	6, 0x0
	.amdhsa_kernel _ZN7rocprim17ROCPRIM_400000_NS6detail44device_merge_sort_compile_time_verifier_archINS1_11comp_targetILNS1_3genE4ELNS1_11target_archE910ELNS1_3gpuE8ELNS1_3repE0EEES8_NS1_28merge_sort_block_sort_configILj256ELj4ELNS0_20block_sort_algorithmE0EEENS0_14default_configENS1_37merge_sort_block_sort_config_selectorIyNS0_10empty_typeEEENS1_38merge_sort_block_merge_config_selectorIySE_EEEEvv
		.amdhsa_group_segment_fixed_size 0
		.amdhsa_private_segment_fixed_size 0
		.amdhsa_kernarg_size 0
		.amdhsa_user_sgpr_count 4
		.amdhsa_user_sgpr_private_segment_buffer 1
		.amdhsa_user_sgpr_dispatch_ptr 0
		.amdhsa_user_sgpr_queue_ptr 0
		.amdhsa_user_sgpr_kernarg_segment_ptr 0
		.amdhsa_user_sgpr_dispatch_id 0
		.amdhsa_user_sgpr_flat_scratch_init 0
		.amdhsa_user_sgpr_kernarg_preload_length 0
		.amdhsa_user_sgpr_kernarg_preload_offset 0
		.amdhsa_user_sgpr_private_segment_size 0
		.amdhsa_uses_dynamic_stack 0
		.amdhsa_system_sgpr_private_segment_wavefront_offset 0
		.amdhsa_system_sgpr_workgroup_id_x 1
		.amdhsa_system_sgpr_workgroup_id_y 0
		.amdhsa_system_sgpr_workgroup_id_z 0
		.amdhsa_system_sgpr_workgroup_info 0
		.amdhsa_system_vgpr_workitem_id 0
		.amdhsa_next_free_vgpr 1
		.amdhsa_next_free_sgpr 0
		.amdhsa_accum_offset 4
		.amdhsa_reserve_vcc 0
		.amdhsa_reserve_flat_scratch 0
		.amdhsa_float_round_mode_32 0
		.amdhsa_float_round_mode_16_64 0
		.amdhsa_float_denorm_mode_32 3
		.amdhsa_float_denorm_mode_16_64 3
		.amdhsa_dx10_clamp 1
		.amdhsa_ieee_mode 1
		.amdhsa_fp16_overflow 0
		.amdhsa_tg_split 0
		.amdhsa_exception_fp_ieee_invalid_op 0
		.amdhsa_exception_fp_denorm_src 0
		.amdhsa_exception_fp_ieee_div_zero 0
		.amdhsa_exception_fp_ieee_overflow 0
		.amdhsa_exception_fp_ieee_underflow 0
		.amdhsa_exception_fp_ieee_inexact 0
		.amdhsa_exception_int_div_zero 0
	.end_amdhsa_kernel
	.section	.text._ZN7rocprim17ROCPRIM_400000_NS6detail44device_merge_sort_compile_time_verifier_archINS1_11comp_targetILNS1_3genE4ELNS1_11target_archE910ELNS1_3gpuE8ELNS1_3repE0EEES8_NS1_28merge_sort_block_sort_configILj256ELj4ELNS0_20block_sort_algorithmE0EEENS0_14default_configENS1_37merge_sort_block_sort_config_selectorIyNS0_10empty_typeEEENS1_38merge_sort_block_merge_config_selectorIySE_EEEEvv,"axG",@progbits,_ZN7rocprim17ROCPRIM_400000_NS6detail44device_merge_sort_compile_time_verifier_archINS1_11comp_targetILNS1_3genE4ELNS1_11target_archE910ELNS1_3gpuE8ELNS1_3repE0EEES8_NS1_28merge_sort_block_sort_configILj256ELj4ELNS0_20block_sort_algorithmE0EEENS0_14default_configENS1_37merge_sort_block_sort_config_selectorIyNS0_10empty_typeEEENS1_38merge_sort_block_merge_config_selectorIySE_EEEEvv,comdat
.Lfunc_end717:
	.size	_ZN7rocprim17ROCPRIM_400000_NS6detail44device_merge_sort_compile_time_verifier_archINS1_11comp_targetILNS1_3genE4ELNS1_11target_archE910ELNS1_3gpuE8ELNS1_3repE0EEES8_NS1_28merge_sort_block_sort_configILj256ELj4ELNS0_20block_sort_algorithmE0EEENS0_14default_configENS1_37merge_sort_block_sort_config_selectorIyNS0_10empty_typeEEENS1_38merge_sort_block_merge_config_selectorIySE_EEEEvv, .Lfunc_end717-_ZN7rocprim17ROCPRIM_400000_NS6detail44device_merge_sort_compile_time_verifier_archINS1_11comp_targetILNS1_3genE4ELNS1_11target_archE910ELNS1_3gpuE8ELNS1_3repE0EEES8_NS1_28merge_sort_block_sort_configILj256ELj4ELNS0_20block_sort_algorithmE0EEENS0_14default_configENS1_37merge_sort_block_sort_config_selectorIyNS0_10empty_typeEEENS1_38merge_sort_block_merge_config_selectorIySE_EEEEvv
                                        ; -- End function
	.section	.AMDGPU.csdata,"",@progbits
; Kernel info:
; codeLenInByte = 4
; NumSgprs: 4
; NumVgprs: 0
; NumAgprs: 0
; TotalNumVgprs: 0
; ScratchSize: 0
; MemoryBound: 0
; FloatMode: 240
; IeeeMode: 1
; LDSByteSize: 0 bytes/workgroup (compile time only)
; SGPRBlocks: 0
; VGPRBlocks: 0
; NumSGPRsForWavesPerEU: 4
; NumVGPRsForWavesPerEU: 1
; AccumOffset: 4
; Occupancy: 8
; WaveLimiterHint : 0
; COMPUTE_PGM_RSRC2:SCRATCH_EN: 0
; COMPUTE_PGM_RSRC2:USER_SGPR: 4
; COMPUTE_PGM_RSRC2:TRAP_HANDLER: 0
; COMPUTE_PGM_RSRC2:TGID_X_EN: 1
; COMPUTE_PGM_RSRC2:TGID_Y_EN: 0
; COMPUTE_PGM_RSRC2:TGID_Z_EN: 0
; COMPUTE_PGM_RSRC2:TIDIG_COMP_CNT: 0
; COMPUTE_PGM_RSRC3_GFX90A:ACCUM_OFFSET: 0
; COMPUTE_PGM_RSRC3_GFX90A:TG_SPLIT: 0
	.section	.text._ZN7rocprim17ROCPRIM_400000_NS6detail44device_merge_sort_compile_time_verifier_archINS1_11comp_targetILNS1_3genE3ELNS1_11target_archE908ELNS1_3gpuE7ELNS1_3repE0EEES8_NS1_28merge_sort_block_sort_configILj256ELj4ELNS0_20block_sort_algorithmE0EEENS0_14default_configENS1_37merge_sort_block_sort_config_selectorIyNS0_10empty_typeEEENS1_38merge_sort_block_merge_config_selectorIySE_EEEEvv,"axG",@progbits,_ZN7rocprim17ROCPRIM_400000_NS6detail44device_merge_sort_compile_time_verifier_archINS1_11comp_targetILNS1_3genE3ELNS1_11target_archE908ELNS1_3gpuE7ELNS1_3repE0EEES8_NS1_28merge_sort_block_sort_configILj256ELj4ELNS0_20block_sort_algorithmE0EEENS0_14default_configENS1_37merge_sort_block_sort_config_selectorIyNS0_10empty_typeEEENS1_38merge_sort_block_merge_config_selectorIySE_EEEEvv,comdat
	.protected	_ZN7rocprim17ROCPRIM_400000_NS6detail44device_merge_sort_compile_time_verifier_archINS1_11comp_targetILNS1_3genE3ELNS1_11target_archE908ELNS1_3gpuE7ELNS1_3repE0EEES8_NS1_28merge_sort_block_sort_configILj256ELj4ELNS0_20block_sort_algorithmE0EEENS0_14default_configENS1_37merge_sort_block_sort_config_selectorIyNS0_10empty_typeEEENS1_38merge_sort_block_merge_config_selectorIySE_EEEEvv ; -- Begin function _ZN7rocprim17ROCPRIM_400000_NS6detail44device_merge_sort_compile_time_verifier_archINS1_11comp_targetILNS1_3genE3ELNS1_11target_archE908ELNS1_3gpuE7ELNS1_3repE0EEES8_NS1_28merge_sort_block_sort_configILj256ELj4ELNS0_20block_sort_algorithmE0EEENS0_14default_configENS1_37merge_sort_block_sort_config_selectorIyNS0_10empty_typeEEENS1_38merge_sort_block_merge_config_selectorIySE_EEEEvv
	.globl	_ZN7rocprim17ROCPRIM_400000_NS6detail44device_merge_sort_compile_time_verifier_archINS1_11comp_targetILNS1_3genE3ELNS1_11target_archE908ELNS1_3gpuE7ELNS1_3repE0EEES8_NS1_28merge_sort_block_sort_configILj256ELj4ELNS0_20block_sort_algorithmE0EEENS0_14default_configENS1_37merge_sort_block_sort_config_selectorIyNS0_10empty_typeEEENS1_38merge_sort_block_merge_config_selectorIySE_EEEEvv
	.p2align	8
	.type	_ZN7rocprim17ROCPRIM_400000_NS6detail44device_merge_sort_compile_time_verifier_archINS1_11comp_targetILNS1_3genE3ELNS1_11target_archE908ELNS1_3gpuE7ELNS1_3repE0EEES8_NS1_28merge_sort_block_sort_configILj256ELj4ELNS0_20block_sort_algorithmE0EEENS0_14default_configENS1_37merge_sort_block_sort_config_selectorIyNS0_10empty_typeEEENS1_38merge_sort_block_merge_config_selectorIySE_EEEEvv,@function
_ZN7rocprim17ROCPRIM_400000_NS6detail44device_merge_sort_compile_time_verifier_archINS1_11comp_targetILNS1_3genE3ELNS1_11target_archE908ELNS1_3gpuE7ELNS1_3repE0EEES8_NS1_28merge_sort_block_sort_configILj256ELj4ELNS0_20block_sort_algorithmE0EEENS0_14default_configENS1_37merge_sort_block_sort_config_selectorIyNS0_10empty_typeEEENS1_38merge_sort_block_merge_config_selectorIySE_EEEEvv: ; @_ZN7rocprim17ROCPRIM_400000_NS6detail44device_merge_sort_compile_time_verifier_archINS1_11comp_targetILNS1_3genE3ELNS1_11target_archE908ELNS1_3gpuE7ELNS1_3repE0EEES8_NS1_28merge_sort_block_sort_configILj256ELj4ELNS0_20block_sort_algorithmE0EEENS0_14default_configENS1_37merge_sort_block_sort_config_selectorIyNS0_10empty_typeEEENS1_38merge_sort_block_merge_config_selectorIySE_EEEEvv
; %bb.0:
	s_endpgm
	.section	.rodata,"a",@progbits
	.p2align	6, 0x0
	.amdhsa_kernel _ZN7rocprim17ROCPRIM_400000_NS6detail44device_merge_sort_compile_time_verifier_archINS1_11comp_targetILNS1_3genE3ELNS1_11target_archE908ELNS1_3gpuE7ELNS1_3repE0EEES8_NS1_28merge_sort_block_sort_configILj256ELj4ELNS0_20block_sort_algorithmE0EEENS0_14default_configENS1_37merge_sort_block_sort_config_selectorIyNS0_10empty_typeEEENS1_38merge_sort_block_merge_config_selectorIySE_EEEEvv
		.amdhsa_group_segment_fixed_size 0
		.amdhsa_private_segment_fixed_size 0
		.amdhsa_kernarg_size 0
		.amdhsa_user_sgpr_count 4
		.amdhsa_user_sgpr_private_segment_buffer 1
		.amdhsa_user_sgpr_dispatch_ptr 0
		.amdhsa_user_sgpr_queue_ptr 0
		.amdhsa_user_sgpr_kernarg_segment_ptr 0
		.amdhsa_user_sgpr_dispatch_id 0
		.amdhsa_user_sgpr_flat_scratch_init 0
		.amdhsa_user_sgpr_kernarg_preload_length 0
		.amdhsa_user_sgpr_kernarg_preload_offset 0
		.amdhsa_user_sgpr_private_segment_size 0
		.amdhsa_uses_dynamic_stack 0
		.amdhsa_system_sgpr_private_segment_wavefront_offset 0
		.amdhsa_system_sgpr_workgroup_id_x 1
		.amdhsa_system_sgpr_workgroup_id_y 0
		.amdhsa_system_sgpr_workgroup_id_z 0
		.amdhsa_system_sgpr_workgroup_info 0
		.amdhsa_system_vgpr_workitem_id 0
		.amdhsa_next_free_vgpr 1
		.amdhsa_next_free_sgpr 0
		.amdhsa_accum_offset 4
		.amdhsa_reserve_vcc 0
		.amdhsa_reserve_flat_scratch 0
		.amdhsa_float_round_mode_32 0
		.amdhsa_float_round_mode_16_64 0
		.amdhsa_float_denorm_mode_32 3
		.amdhsa_float_denorm_mode_16_64 3
		.amdhsa_dx10_clamp 1
		.amdhsa_ieee_mode 1
		.amdhsa_fp16_overflow 0
		.amdhsa_tg_split 0
		.amdhsa_exception_fp_ieee_invalid_op 0
		.amdhsa_exception_fp_denorm_src 0
		.amdhsa_exception_fp_ieee_div_zero 0
		.amdhsa_exception_fp_ieee_overflow 0
		.amdhsa_exception_fp_ieee_underflow 0
		.amdhsa_exception_fp_ieee_inexact 0
		.amdhsa_exception_int_div_zero 0
	.end_amdhsa_kernel
	.section	.text._ZN7rocprim17ROCPRIM_400000_NS6detail44device_merge_sort_compile_time_verifier_archINS1_11comp_targetILNS1_3genE3ELNS1_11target_archE908ELNS1_3gpuE7ELNS1_3repE0EEES8_NS1_28merge_sort_block_sort_configILj256ELj4ELNS0_20block_sort_algorithmE0EEENS0_14default_configENS1_37merge_sort_block_sort_config_selectorIyNS0_10empty_typeEEENS1_38merge_sort_block_merge_config_selectorIySE_EEEEvv,"axG",@progbits,_ZN7rocprim17ROCPRIM_400000_NS6detail44device_merge_sort_compile_time_verifier_archINS1_11comp_targetILNS1_3genE3ELNS1_11target_archE908ELNS1_3gpuE7ELNS1_3repE0EEES8_NS1_28merge_sort_block_sort_configILj256ELj4ELNS0_20block_sort_algorithmE0EEENS0_14default_configENS1_37merge_sort_block_sort_config_selectorIyNS0_10empty_typeEEENS1_38merge_sort_block_merge_config_selectorIySE_EEEEvv,comdat
.Lfunc_end718:
	.size	_ZN7rocprim17ROCPRIM_400000_NS6detail44device_merge_sort_compile_time_verifier_archINS1_11comp_targetILNS1_3genE3ELNS1_11target_archE908ELNS1_3gpuE7ELNS1_3repE0EEES8_NS1_28merge_sort_block_sort_configILj256ELj4ELNS0_20block_sort_algorithmE0EEENS0_14default_configENS1_37merge_sort_block_sort_config_selectorIyNS0_10empty_typeEEENS1_38merge_sort_block_merge_config_selectorIySE_EEEEvv, .Lfunc_end718-_ZN7rocprim17ROCPRIM_400000_NS6detail44device_merge_sort_compile_time_verifier_archINS1_11comp_targetILNS1_3genE3ELNS1_11target_archE908ELNS1_3gpuE7ELNS1_3repE0EEES8_NS1_28merge_sort_block_sort_configILj256ELj4ELNS0_20block_sort_algorithmE0EEENS0_14default_configENS1_37merge_sort_block_sort_config_selectorIyNS0_10empty_typeEEENS1_38merge_sort_block_merge_config_selectorIySE_EEEEvv
                                        ; -- End function
	.section	.AMDGPU.csdata,"",@progbits
; Kernel info:
; codeLenInByte = 4
; NumSgprs: 4
; NumVgprs: 0
; NumAgprs: 0
; TotalNumVgprs: 0
; ScratchSize: 0
; MemoryBound: 0
; FloatMode: 240
; IeeeMode: 1
; LDSByteSize: 0 bytes/workgroup (compile time only)
; SGPRBlocks: 0
; VGPRBlocks: 0
; NumSGPRsForWavesPerEU: 4
; NumVGPRsForWavesPerEU: 1
; AccumOffset: 4
; Occupancy: 8
; WaveLimiterHint : 0
; COMPUTE_PGM_RSRC2:SCRATCH_EN: 0
; COMPUTE_PGM_RSRC2:USER_SGPR: 4
; COMPUTE_PGM_RSRC2:TRAP_HANDLER: 0
; COMPUTE_PGM_RSRC2:TGID_X_EN: 1
; COMPUTE_PGM_RSRC2:TGID_Y_EN: 0
; COMPUTE_PGM_RSRC2:TGID_Z_EN: 0
; COMPUTE_PGM_RSRC2:TIDIG_COMP_CNT: 0
; COMPUTE_PGM_RSRC3_GFX90A:ACCUM_OFFSET: 0
; COMPUTE_PGM_RSRC3_GFX90A:TG_SPLIT: 0
	.section	.text._ZN7rocprim17ROCPRIM_400000_NS6detail44device_merge_sort_compile_time_verifier_archINS1_11comp_targetILNS1_3genE2ELNS1_11target_archE906ELNS1_3gpuE6ELNS1_3repE0EEES8_NS1_28merge_sort_block_sort_configILj256ELj4ELNS0_20block_sort_algorithmE0EEENS0_14default_configENS1_37merge_sort_block_sort_config_selectorIyNS0_10empty_typeEEENS1_38merge_sort_block_merge_config_selectorIySE_EEEEvv,"axG",@progbits,_ZN7rocprim17ROCPRIM_400000_NS6detail44device_merge_sort_compile_time_verifier_archINS1_11comp_targetILNS1_3genE2ELNS1_11target_archE906ELNS1_3gpuE6ELNS1_3repE0EEES8_NS1_28merge_sort_block_sort_configILj256ELj4ELNS0_20block_sort_algorithmE0EEENS0_14default_configENS1_37merge_sort_block_sort_config_selectorIyNS0_10empty_typeEEENS1_38merge_sort_block_merge_config_selectorIySE_EEEEvv,comdat
	.protected	_ZN7rocprim17ROCPRIM_400000_NS6detail44device_merge_sort_compile_time_verifier_archINS1_11comp_targetILNS1_3genE2ELNS1_11target_archE906ELNS1_3gpuE6ELNS1_3repE0EEES8_NS1_28merge_sort_block_sort_configILj256ELj4ELNS0_20block_sort_algorithmE0EEENS0_14default_configENS1_37merge_sort_block_sort_config_selectorIyNS0_10empty_typeEEENS1_38merge_sort_block_merge_config_selectorIySE_EEEEvv ; -- Begin function _ZN7rocprim17ROCPRIM_400000_NS6detail44device_merge_sort_compile_time_verifier_archINS1_11comp_targetILNS1_3genE2ELNS1_11target_archE906ELNS1_3gpuE6ELNS1_3repE0EEES8_NS1_28merge_sort_block_sort_configILj256ELj4ELNS0_20block_sort_algorithmE0EEENS0_14default_configENS1_37merge_sort_block_sort_config_selectorIyNS0_10empty_typeEEENS1_38merge_sort_block_merge_config_selectorIySE_EEEEvv
	.globl	_ZN7rocprim17ROCPRIM_400000_NS6detail44device_merge_sort_compile_time_verifier_archINS1_11comp_targetILNS1_3genE2ELNS1_11target_archE906ELNS1_3gpuE6ELNS1_3repE0EEES8_NS1_28merge_sort_block_sort_configILj256ELj4ELNS0_20block_sort_algorithmE0EEENS0_14default_configENS1_37merge_sort_block_sort_config_selectorIyNS0_10empty_typeEEENS1_38merge_sort_block_merge_config_selectorIySE_EEEEvv
	.p2align	8
	.type	_ZN7rocprim17ROCPRIM_400000_NS6detail44device_merge_sort_compile_time_verifier_archINS1_11comp_targetILNS1_3genE2ELNS1_11target_archE906ELNS1_3gpuE6ELNS1_3repE0EEES8_NS1_28merge_sort_block_sort_configILj256ELj4ELNS0_20block_sort_algorithmE0EEENS0_14default_configENS1_37merge_sort_block_sort_config_selectorIyNS0_10empty_typeEEENS1_38merge_sort_block_merge_config_selectorIySE_EEEEvv,@function
_ZN7rocprim17ROCPRIM_400000_NS6detail44device_merge_sort_compile_time_verifier_archINS1_11comp_targetILNS1_3genE2ELNS1_11target_archE906ELNS1_3gpuE6ELNS1_3repE0EEES8_NS1_28merge_sort_block_sort_configILj256ELj4ELNS0_20block_sort_algorithmE0EEENS0_14default_configENS1_37merge_sort_block_sort_config_selectorIyNS0_10empty_typeEEENS1_38merge_sort_block_merge_config_selectorIySE_EEEEvv: ; @_ZN7rocprim17ROCPRIM_400000_NS6detail44device_merge_sort_compile_time_verifier_archINS1_11comp_targetILNS1_3genE2ELNS1_11target_archE906ELNS1_3gpuE6ELNS1_3repE0EEES8_NS1_28merge_sort_block_sort_configILj256ELj4ELNS0_20block_sort_algorithmE0EEENS0_14default_configENS1_37merge_sort_block_sort_config_selectorIyNS0_10empty_typeEEENS1_38merge_sort_block_merge_config_selectorIySE_EEEEvv
; %bb.0:
	s_endpgm
	.section	.rodata,"a",@progbits
	.p2align	6, 0x0
	.amdhsa_kernel _ZN7rocprim17ROCPRIM_400000_NS6detail44device_merge_sort_compile_time_verifier_archINS1_11comp_targetILNS1_3genE2ELNS1_11target_archE906ELNS1_3gpuE6ELNS1_3repE0EEES8_NS1_28merge_sort_block_sort_configILj256ELj4ELNS0_20block_sort_algorithmE0EEENS0_14default_configENS1_37merge_sort_block_sort_config_selectorIyNS0_10empty_typeEEENS1_38merge_sort_block_merge_config_selectorIySE_EEEEvv
		.amdhsa_group_segment_fixed_size 0
		.amdhsa_private_segment_fixed_size 0
		.amdhsa_kernarg_size 0
		.amdhsa_user_sgpr_count 4
		.amdhsa_user_sgpr_private_segment_buffer 1
		.amdhsa_user_sgpr_dispatch_ptr 0
		.amdhsa_user_sgpr_queue_ptr 0
		.amdhsa_user_sgpr_kernarg_segment_ptr 0
		.amdhsa_user_sgpr_dispatch_id 0
		.amdhsa_user_sgpr_flat_scratch_init 0
		.amdhsa_user_sgpr_kernarg_preload_length 0
		.amdhsa_user_sgpr_kernarg_preload_offset 0
		.amdhsa_user_sgpr_private_segment_size 0
		.amdhsa_uses_dynamic_stack 0
		.amdhsa_system_sgpr_private_segment_wavefront_offset 0
		.amdhsa_system_sgpr_workgroup_id_x 1
		.amdhsa_system_sgpr_workgroup_id_y 0
		.amdhsa_system_sgpr_workgroup_id_z 0
		.amdhsa_system_sgpr_workgroup_info 0
		.amdhsa_system_vgpr_workitem_id 0
		.amdhsa_next_free_vgpr 1
		.amdhsa_next_free_sgpr 0
		.amdhsa_accum_offset 4
		.amdhsa_reserve_vcc 0
		.amdhsa_reserve_flat_scratch 0
		.amdhsa_float_round_mode_32 0
		.amdhsa_float_round_mode_16_64 0
		.amdhsa_float_denorm_mode_32 3
		.amdhsa_float_denorm_mode_16_64 3
		.amdhsa_dx10_clamp 1
		.amdhsa_ieee_mode 1
		.amdhsa_fp16_overflow 0
		.amdhsa_tg_split 0
		.amdhsa_exception_fp_ieee_invalid_op 0
		.amdhsa_exception_fp_denorm_src 0
		.amdhsa_exception_fp_ieee_div_zero 0
		.amdhsa_exception_fp_ieee_overflow 0
		.amdhsa_exception_fp_ieee_underflow 0
		.amdhsa_exception_fp_ieee_inexact 0
		.amdhsa_exception_int_div_zero 0
	.end_amdhsa_kernel
	.section	.text._ZN7rocprim17ROCPRIM_400000_NS6detail44device_merge_sort_compile_time_verifier_archINS1_11comp_targetILNS1_3genE2ELNS1_11target_archE906ELNS1_3gpuE6ELNS1_3repE0EEES8_NS1_28merge_sort_block_sort_configILj256ELj4ELNS0_20block_sort_algorithmE0EEENS0_14default_configENS1_37merge_sort_block_sort_config_selectorIyNS0_10empty_typeEEENS1_38merge_sort_block_merge_config_selectorIySE_EEEEvv,"axG",@progbits,_ZN7rocprim17ROCPRIM_400000_NS6detail44device_merge_sort_compile_time_verifier_archINS1_11comp_targetILNS1_3genE2ELNS1_11target_archE906ELNS1_3gpuE6ELNS1_3repE0EEES8_NS1_28merge_sort_block_sort_configILj256ELj4ELNS0_20block_sort_algorithmE0EEENS0_14default_configENS1_37merge_sort_block_sort_config_selectorIyNS0_10empty_typeEEENS1_38merge_sort_block_merge_config_selectorIySE_EEEEvv,comdat
.Lfunc_end719:
	.size	_ZN7rocprim17ROCPRIM_400000_NS6detail44device_merge_sort_compile_time_verifier_archINS1_11comp_targetILNS1_3genE2ELNS1_11target_archE906ELNS1_3gpuE6ELNS1_3repE0EEES8_NS1_28merge_sort_block_sort_configILj256ELj4ELNS0_20block_sort_algorithmE0EEENS0_14default_configENS1_37merge_sort_block_sort_config_selectorIyNS0_10empty_typeEEENS1_38merge_sort_block_merge_config_selectorIySE_EEEEvv, .Lfunc_end719-_ZN7rocprim17ROCPRIM_400000_NS6detail44device_merge_sort_compile_time_verifier_archINS1_11comp_targetILNS1_3genE2ELNS1_11target_archE906ELNS1_3gpuE6ELNS1_3repE0EEES8_NS1_28merge_sort_block_sort_configILj256ELj4ELNS0_20block_sort_algorithmE0EEENS0_14default_configENS1_37merge_sort_block_sort_config_selectorIyNS0_10empty_typeEEENS1_38merge_sort_block_merge_config_selectorIySE_EEEEvv
                                        ; -- End function
	.section	.AMDGPU.csdata,"",@progbits
; Kernel info:
; codeLenInByte = 4
; NumSgprs: 4
; NumVgprs: 0
; NumAgprs: 0
; TotalNumVgprs: 0
; ScratchSize: 0
; MemoryBound: 0
; FloatMode: 240
; IeeeMode: 1
; LDSByteSize: 0 bytes/workgroup (compile time only)
; SGPRBlocks: 0
; VGPRBlocks: 0
; NumSGPRsForWavesPerEU: 4
; NumVGPRsForWavesPerEU: 1
; AccumOffset: 4
; Occupancy: 8
; WaveLimiterHint : 0
; COMPUTE_PGM_RSRC2:SCRATCH_EN: 0
; COMPUTE_PGM_RSRC2:USER_SGPR: 4
; COMPUTE_PGM_RSRC2:TRAP_HANDLER: 0
; COMPUTE_PGM_RSRC2:TGID_X_EN: 1
; COMPUTE_PGM_RSRC2:TGID_Y_EN: 0
; COMPUTE_PGM_RSRC2:TGID_Z_EN: 0
; COMPUTE_PGM_RSRC2:TIDIG_COMP_CNT: 0
; COMPUTE_PGM_RSRC3_GFX90A:ACCUM_OFFSET: 0
; COMPUTE_PGM_RSRC3_GFX90A:TG_SPLIT: 0
	.section	.text._ZN7rocprim17ROCPRIM_400000_NS6detail44device_merge_sort_compile_time_verifier_archINS1_11comp_targetILNS1_3genE10ELNS1_11target_archE1201ELNS1_3gpuE5ELNS1_3repE0EEES8_NS1_28merge_sort_block_sort_configILj256ELj4ELNS0_20block_sort_algorithmE0EEENS0_14default_configENS1_37merge_sort_block_sort_config_selectorIyNS0_10empty_typeEEENS1_38merge_sort_block_merge_config_selectorIySE_EEEEvv,"axG",@progbits,_ZN7rocprim17ROCPRIM_400000_NS6detail44device_merge_sort_compile_time_verifier_archINS1_11comp_targetILNS1_3genE10ELNS1_11target_archE1201ELNS1_3gpuE5ELNS1_3repE0EEES8_NS1_28merge_sort_block_sort_configILj256ELj4ELNS0_20block_sort_algorithmE0EEENS0_14default_configENS1_37merge_sort_block_sort_config_selectorIyNS0_10empty_typeEEENS1_38merge_sort_block_merge_config_selectorIySE_EEEEvv,comdat
	.protected	_ZN7rocprim17ROCPRIM_400000_NS6detail44device_merge_sort_compile_time_verifier_archINS1_11comp_targetILNS1_3genE10ELNS1_11target_archE1201ELNS1_3gpuE5ELNS1_3repE0EEES8_NS1_28merge_sort_block_sort_configILj256ELj4ELNS0_20block_sort_algorithmE0EEENS0_14default_configENS1_37merge_sort_block_sort_config_selectorIyNS0_10empty_typeEEENS1_38merge_sort_block_merge_config_selectorIySE_EEEEvv ; -- Begin function _ZN7rocprim17ROCPRIM_400000_NS6detail44device_merge_sort_compile_time_verifier_archINS1_11comp_targetILNS1_3genE10ELNS1_11target_archE1201ELNS1_3gpuE5ELNS1_3repE0EEES8_NS1_28merge_sort_block_sort_configILj256ELj4ELNS0_20block_sort_algorithmE0EEENS0_14default_configENS1_37merge_sort_block_sort_config_selectorIyNS0_10empty_typeEEENS1_38merge_sort_block_merge_config_selectorIySE_EEEEvv
	.globl	_ZN7rocprim17ROCPRIM_400000_NS6detail44device_merge_sort_compile_time_verifier_archINS1_11comp_targetILNS1_3genE10ELNS1_11target_archE1201ELNS1_3gpuE5ELNS1_3repE0EEES8_NS1_28merge_sort_block_sort_configILj256ELj4ELNS0_20block_sort_algorithmE0EEENS0_14default_configENS1_37merge_sort_block_sort_config_selectorIyNS0_10empty_typeEEENS1_38merge_sort_block_merge_config_selectorIySE_EEEEvv
	.p2align	8
	.type	_ZN7rocprim17ROCPRIM_400000_NS6detail44device_merge_sort_compile_time_verifier_archINS1_11comp_targetILNS1_3genE10ELNS1_11target_archE1201ELNS1_3gpuE5ELNS1_3repE0EEES8_NS1_28merge_sort_block_sort_configILj256ELj4ELNS0_20block_sort_algorithmE0EEENS0_14default_configENS1_37merge_sort_block_sort_config_selectorIyNS0_10empty_typeEEENS1_38merge_sort_block_merge_config_selectorIySE_EEEEvv,@function
_ZN7rocprim17ROCPRIM_400000_NS6detail44device_merge_sort_compile_time_verifier_archINS1_11comp_targetILNS1_3genE10ELNS1_11target_archE1201ELNS1_3gpuE5ELNS1_3repE0EEES8_NS1_28merge_sort_block_sort_configILj256ELj4ELNS0_20block_sort_algorithmE0EEENS0_14default_configENS1_37merge_sort_block_sort_config_selectorIyNS0_10empty_typeEEENS1_38merge_sort_block_merge_config_selectorIySE_EEEEvv: ; @_ZN7rocprim17ROCPRIM_400000_NS6detail44device_merge_sort_compile_time_verifier_archINS1_11comp_targetILNS1_3genE10ELNS1_11target_archE1201ELNS1_3gpuE5ELNS1_3repE0EEES8_NS1_28merge_sort_block_sort_configILj256ELj4ELNS0_20block_sort_algorithmE0EEENS0_14default_configENS1_37merge_sort_block_sort_config_selectorIyNS0_10empty_typeEEENS1_38merge_sort_block_merge_config_selectorIySE_EEEEvv
; %bb.0:
	s_endpgm
	.section	.rodata,"a",@progbits
	.p2align	6, 0x0
	.amdhsa_kernel _ZN7rocprim17ROCPRIM_400000_NS6detail44device_merge_sort_compile_time_verifier_archINS1_11comp_targetILNS1_3genE10ELNS1_11target_archE1201ELNS1_3gpuE5ELNS1_3repE0EEES8_NS1_28merge_sort_block_sort_configILj256ELj4ELNS0_20block_sort_algorithmE0EEENS0_14default_configENS1_37merge_sort_block_sort_config_selectorIyNS0_10empty_typeEEENS1_38merge_sort_block_merge_config_selectorIySE_EEEEvv
		.amdhsa_group_segment_fixed_size 0
		.amdhsa_private_segment_fixed_size 0
		.amdhsa_kernarg_size 0
		.amdhsa_user_sgpr_count 4
		.amdhsa_user_sgpr_private_segment_buffer 1
		.amdhsa_user_sgpr_dispatch_ptr 0
		.amdhsa_user_sgpr_queue_ptr 0
		.amdhsa_user_sgpr_kernarg_segment_ptr 0
		.amdhsa_user_sgpr_dispatch_id 0
		.amdhsa_user_sgpr_flat_scratch_init 0
		.amdhsa_user_sgpr_kernarg_preload_length 0
		.amdhsa_user_sgpr_kernarg_preload_offset 0
		.amdhsa_user_sgpr_private_segment_size 0
		.amdhsa_uses_dynamic_stack 0
		.amdhsa_system_sgpr_private_segment_wavefront_offset 0
		.amdhsa_system_sgpr_workgroup_id_x 1
		.amdhsa_system_sgpr_workgroup_id_y 0
		.amdhsa_system_sgpr_workgroup_id_z 0
		.amdhsa_system_sgpr_workgroup_info 0
		.amdhsa_system_vgpr_workitem_id 0
		.amdhsa_next_free_vgpr 1
		.amdhsa_next_free_sgpr 0
		.amdhsa_accum_offset 4
		.amdhsa_reserve_vcc 0
		.amdhsa_reserve_flat_scratch 0
		.amdhsa_float_round_mode_32 0
		.amdhsa_float_round_mode_16_64 0
		.amdhsa_float_denorm_mode_32 3
		.amdhsa_float_denorm_mode_16_64 3
		.amdhsa_dx10_clamp 1
		.amdhsa_ieee_mode 1
		.amdhsa_fp16_overflow 0
		.amdhsa_tg_split 0
		.amdhsa_exception_fp_ieee_invalid_op 0
		.amdhsa_exception_fp_denorm_src 0
		.amdhsa_exception_fp_ieee_div_zero 0
		.amdhsa_exception_fp_ieee_overflow 0
		.amdhsa_exception_fp_ieee_underflow 0
		.amdhsa_exception_fp_ieee_inexact 0
		.amdhsa_exception_int_div_zero 0
	.end_amdhsa_kernel
	.section	.text._ZN7rocprim17ROCPRIM_400000_NS6detail44device_merge_sort_compile_time_verifier_archINS1_11comp_targetILNS1_3genE10ELNS1_11target_archE1201ELNS1_3gpuE5ELNS1_3repE0EEES8_NS1_28merge_sort_block_sort_configILj256ELj4ELNS0_20block_sort_algorithmE0EEENS0_14default_configENS1_37merge_sort_block_sort_config_selectorIyNS0_10empty_typeEEENS1_38merge_sort_block_merge_config_selectorIySE_EEEEvv,"axG",@progbits,_ZN7rocprim17ROCPRIM_400000_NS6detail44device_merge_sort_compile_time_verifier_archINS1_11comp_targetILNS1_3genE10ELNS1_11target_archE1201ELNS1_3gpuE5ELNS1_3repE0EEES8_NS1_28merge_sort_block_sort_configILj256ELj4ELNS0_20block_sort_algorithmE0EEENS0_14default_configENS1_37merge_sort_block_sort_config_selectorIyNS0_10empty_typeEEENS1_38merge_sort_block_merge_config_selectorIySE_EEEEvv,comdat
.Lfunc_end720:
	.size	_ZN7rocprim17ROCPRIM_400000_NS6detail44device_merge_sort_compile_time_verifier_archINS1_11comp_targetILNS1_3genE10ELNS1_11target_archE1201ELNS1_3gpuE5ELNS1_3repE0EEES8_NS1_28merge_sort_block_sort_configILj256ELj4ELNS0_20block_sort_algorithmE0EEENS0_14default_configENS1_37merge_sort_block_sort_config_selectorIyNS0_10empty_typeEEENS1_38merge_sort_block_merge_config_selectorIySE_EEEEvv, .Lfunc_end720-_ZN7rocprim17ROCPRIM_400000_NS6detail44device_merge_sort_compile_time_verifier_archINS1_11comp_targetILNS1_3genE10ELNS1_11target_archE1201ELNS1_3gpuE5ELNS1_3repE0EEES8_NS1_28merge_sort_block_sort_configILj256ELj4ELNS0_20block_sort_algorithmE0EEENS0_14default_configENS1_37merge_sort_block_sort_config_selectorIyNS0_10empty_typeEEENS1_38merge_sort_block_merge_config_selectorIySE_EEEEvv
                                        ; -- End function
	.section	.AMDGPU.csdata,"",@progbits
; Kernel info:
; codeLenInByte = 4
; NumSgprs: 4
; NumVgprs: 0
; NumAgprs: 0
; TotalNumVgprs: 0
; ScratchSize: 0
; MemoryBound: 0
; FloatMode: 240
; IeeeMode: 1
; LDSByteSize: 0 bytes/workgroup (compile time only)
; SGPRBlocks: 0
; VGPRBlocks: 0
; NumSGPRsForWavesPerEU: 4
; NumVGPRsForWavesPerEU: 1
; AccumOffset: 4
; Occupancy: 8
; WaveLimiterHint : 0
; COMPUTE_PGM_RSRC2:SCRATCH_EN: 0
; COMPUTE_PGM_RSRC2:USER_SGPR: 4
; COMPUTE_PGM_RSRC2:TRAP_HANDLER: 0
; COMPUTE_PGM_RSRC2:TGID_X_EN: 1
; COMPUTE_PGM_RSRC2:TGID_Y_EN: 0
; COMPUTE_PGM_RSRC2:TGID_Z_EN: 0
; COMPUTE_PGM_RSRC2:TIDIG_COMP_CNT: 0
; COMPUTE_PGM_RSRC3_GFX90A:ACCUM_OFFSET: 0
; COMPUTE_PGM_RSRC3_GFX90A:TG_SPLIT: 0
	.section	.text._ZN7rocprim17ROCPRIM_400000_NS6detail44device_merge_sort_compile_time_verifier_archINS1_11comp_targetILNS1_3genE10ELNS1_11target_archE1200ELNS1_3gpuE4ELNS1_3repE0EEENS3_ILS4_10ELS5_1201ELS6_5ELS7_0EEENS1_28merge_sort_block_sort_configILj256ELj4ELNS0_20block_sort_algorithmE0EEENS0_14default_configENS1_37merge_sort_block_sort_config_selectorIyNS0_10empty_typeEEENS1_38merge_sort_block_merge_config_selectorIySF_EEEEvv,"axG",@progbits,_ZN7rocprim17ROCPRIM_400000_NS6detail44device_merge_sort_compile_time_verifier_archINS1_11comp_targetILNS1_3genE10ELNS1_11target_archE1200ELNS1_3gpuE4ELNS1_3repE0EEENS3_ILS4_10ELS5_1201ELS6_5ELS7_0EEENS1_28merge_sort_block_sort_configILj256ELj4ELNS0_20block_sort_algorithmE0EEENS0_14default_configENS1_37merge_sort_block_sort_config_selectorIyNS0_10empty_typeEEENS1_38merge_sort_block_merge_config_selectorIySF_EEEEvv,comdat
	.protected	_ZN7rocprim17ROCPRIM_400000_NS6detail44device_merge_sort_compile_time_verifier_archINS1_11comp_targetILNS1_3genE10ELNS1_11target_archE1200ELNS1_3gpuE4ELNS1_3repE0EEENS3_ILS4_10ELS5_1201ELS6_5ELS7_0EEENS1_28merge_sort_block_sort_configILj256ELj4ELNS0_20block_sort_algorithmE0EEENS0_14default_configENS1_37merge_sort_block_sort_config_selectorIyNS0_10empty_typeEEENS1_38merge_sort_block_merge_config_selectorIySF_EEEEvv ; -- Begin function _ZN7rocprim17ROCPRIM_400000_NS6detail44device_merge_sort_compile_time_verifier_archINS1_11comp_targetILNS1_3genE10ELNS1_11target_archE1200ELNS1_3gpuE4ELNS1_3repE0EEENS3_ILS4_10ELS5_1201ELS6_5ELS7_0EEENS1_28merge_sort_block_sort_configILj256ELj4ELNS0_20block_sort_algorithmE0EEENS0_14default_configENS1_37merge_sort_block_sort_config_selectorIyNS0_10empty_typeEEENS1_38merge_sort_block_merge_config_selectorIySF_EEEEvv
	.globl	_ZN7rocprim17ROCPRIM_400000_NS6detail44device_merge_sort_compile_time_verifier_archINS1_11comp_targetILNS1_3genE10ELNS1_11target_archE1200ELNS1_3gpuE4ELNS1_3repE0EEENS3_ILS4_10ELS5_1201ELS6_5ELS7_0EEENS1_28merge_sort_block_sort_configILj256ELj4ELNS0_20block_sort_algorithmE0EEENS0_14default_configENS1_37merge_sort_block_sort_config_selectorIyNS0_10empty_typeEEENS1_38merge_sort_block_merge_config_selectorIySF_EEEEvv
	.p2align	8
	.type	_ZN7rocprim17ROCPRIM_400000_NS6detail44device_merge_sort_compile_time_verifier_archINS1_11comp_targetILNS1_3genE10ELNS1_11target_archE1200ELNS1_3gpuE4ELNS1_3repE0EEENS3_ILS4_10ELS5_1201ELS6_5ELS7_0EEENS1_28merge_sort_block_sort_configILj256ELj4ELNS0_20block_sort_algorithmE0EEENS0_14default_configENS1_37merge_sort_block_sort_config_selectorIyNS0_10empty_typeEEENS1_38merge_sort_block_merge_config_selectorIySF_EEEEvv,@function
_ZN7rocprim17ROCPRIM_400000_NS6detail44device_merge_sort_compile_time_verifier_archINS1_11comp_targetILNS1_3genE10ELNS1_11target_archE1200ELNS1_3gpuE4ELNS1_3repE0EEENS3_ILS4_10ELS5_1201ELS6_5ELS7_0EEENS1_28merge_sort_block_sort_configILj256ELj4ELNS0_20block_sort_algorithmE0EEENS0_14default_configENS1_37merge_sort_block_sort_config_selectorIyNS0_10empty_typeEEENS1_38merge_sort_block_merge_config_selectorIySF_EEEEvv: ; @_ZN7rocprim17ROCPRIM_400000_NS6detail44device_merge_sort_compile_time_verifier_archINS1_11comp_targetILNS1_3genE10ELNS1_11target_archE1200ELNS1_3gpuE4ELNS1_3repE0EEENS3_ILS4_10ELS5_1201ELS6_5ELS7_0EEENS1_28merge_sort_block_sort_configILj256ELj4ELNS0_20block_sort_algorithmE0EEENS0_14default_configENS1_37merge_sort_block_sort_config_selectorIyNS0_10empty_typeEEENS1_38merge_sort_block_merge_config_selectorIySF_EEEEvv
; %bb.0:
	s_endpgm
	.section	.rodata,"a",@progbits
	.p2align	6, 0x0
	.amdhsa_kernel _ZN7rocprim17ROCPRIM_400000_NS6detail44device_merge_sort_compile_time_verifier_archINS1_11comp_targetILNS1_3genE10ELNS1_11target_archE1200ELNS1_3gpuE4ELNS1_3repE0EEENS3_ILS4_10ELS5_1201ELS6_5ELS7_0EEENS1_28merge_sort_block_sort_configILj256ELj4ELNS0_20block_sort_algorithmE0EEENS0_14default_configENS1_37merge_sort_block_sort_config_selectorIyNS0_10empty_typeEEENS1_38merge_sort_block_merge_config_selectorIySF_EEEEvv
		.amdhsa_group_segment_fixed_size 0
		.amdhsa_private_segment_fixed_size 0
		.amdhsa_kernarg_size 0
		.amdhsa_user_sgpr_count 4
		.amdhsa_user_sgpr_private_segment_buffer 1
		.amdhsa_user_sgpr_dispatch_ptr 0
		.amdhsa_user_sgpr_queue_ptr 0
		.amdhsa_user_sgpr_kernarg_segment_ptr 0
		.amdhsa_user_sgpr_dispatch_id 0
		.amdhsa_user_sgpr_flat_scratch_init 0
		.amdhsa_user_sgpr_kernarg_preload_length 0
		.amdhsa_user_sgpr_kernarg_preload_offset 0
		.amdhsa_user_sgpr_private_segment_size 0
		.amdhsa_uses_dynamic_stack 0
		.amdhsa_system_sgpr_private_segment_wavefront_offset 0
		.amdhsa_system_sgpr_workgroup_id_x 1
		.amdhsa_system_sgpr_workgroup_id_y 0
		.amdhsa_system_sgpr_workgroup_id_z 0
		.amdhsa_system_sgpr_workgroup_info 0
		.amdhsa_system_vgpr_workitem_id 0
		.amdhsa_next_free_vgpr 1
		.amdhsa_next_free_sgpr 0
		.amdhsa_accum_offset 4
		.amdhsa_reserve_vcc 0
		.amdhsa_reserve_flat_scratch 0
		.amdhsa_float_round_mode_32 0
		.amdhsa_float_round_mode_16_64 0
		.amdhsa_float_denorm_mode_32 3
		.amdhsa_float_denorm_mode_16_64 3
		.amdhsa_dx10_clamp 1
		.amdhsa_ieee_mode 1
		.amdhsa_fp16_overflow 0
		.amdhsa_tg_split 0
		.amdhsa_exception_fp_ieee_invalid_op 0
		.amdhsa_exception_fp_denorm_src 0
		.amdhsa_exception_fp_ieee_div_zero 0
		.amdhsa_exception_fp_ieee_overflow 0
		.amdhsa_exception_fp_ieee_underflow 0
		.amdhsa_exception_fp_ieee_inexact 0
		.amdhsa_exception_int_div_zero 0
	.end_amdhsa_kernel
	.section	.text._ZN7rocprim17ROCPRIM_400000_NS6detail44device_merge_sort_compile_time_verifier_archINS1_11comp_targetILNS1_3genE10ELNS1_11target_archE1200ELNS1_3gpuE4ELNS1_3repE0EEENS3_ILS4_10ELS5_1201ELS6_5ELS7_0EEENS1_28merge_sort_block_sort_configILj256ELj4ELNS0_20block_sort_algorithmE0EEENS0_14default_configENS1_37merge_sort_block_sort_config_selectorIyNS0_10empty_typeEEENS1_38merge_sort_block_merge_config_selectorIySF_EEEEvv,"axG",@progbits,_ZN7rocprim17ROCPRIM_400000_NS6detail44device_merge_sort_compile_time_verifier_archINS1_11comp_targetILNS1_3genE10ELNS1_11target_archE1200ELNS1_3gpuE4ELNS1_3repE0EEENS3_ILS4_10ELS5_1201ELS6_5ELS7_0EEENS1_28merge_sort_block_sort_configILj256ELj4ELNS0_20block_sort_algorithmE0EEENS0_14default_configENS1_37merge_sort_block_sort_config_selectorIyNS0_10empty_typeEEENS1_38merge_sort_block_merge_config_selectorIySF_EEEEvv,comdat
.Lfunc_end721:
	.size	_ZN7rocprim17ROCPRIM_400000_NS6detail44device_merge_sort_compile_time_verifier_archINS1_11comp_targetILNS1_3genE10ELNS1_11target_archE1200ELNS1_3gpuE4ELNS1_3repE0EEENS3_ILS4_10ELS5_1201ELS6_5ELS7_0EEENS1_28merge_sort_block_sort_configILj256ELj4ELNS0_20block_sort_algorithmE0EEENS0_14default_configENS1_37merge_sort_block_sort_config_selectorIyNS0_10empty_typeEEENS1_38merge_sort_block_merge_config_selectorIySF_EEEEvv, .Lfunc_end721-_ZN7rocprim17ROCPRIM_400000_NS6detail44device_merge_sort_compile_time_verifier_archINS1_11comp_targetILNS1_3genE10ELNS1_11target_archE1200ELNS1_3gpuE4ELNS1_3repE0EEENS3_ILS4_10ELS5_1201ELS6_5ELS7_0EEENS1_28merge_sort_block_sort_configILj256ELj4ELNS0_20block_sort_algorithmE0EEENS0_14default_configENS1_37merge_sort_block_sort_config_selectorIyNS0_10empty_typeEEENS1_38merge_sort_block_merge_config_selectorIySF_EEEEvv
                                        ; -- End function
	.section	.AMDGPU.csdata,"",@progbits
; Kernel info:
; codeLenInByte = 4
; NumSgprs: 4
; NumVgprs: 0
; NumAgprs: 0
; TotalNumVgprs: 0
; ScratchSize: 0
; MemoryBound: 0
; FloatMode: 240
; IeeeMode: 1
; LDSByteSize: 0 bytes/workgroup (compile time only)
; SGPRBlocks: 0
; VGPRBlocks: 0
; NumSGPRsForWavesPerEU: 4
; NumVGPRsForWavesPerEU: 1
; AccumOffset: 4
; Occupancy: 8
; WaveLimiterHint : 0
; COMPUTE_PGM_RSRC2:SCRATCH_EN: 0
; COMPUTE_PGM_RSRC2:USER_SGPR: 4
; COMPUTE_PGM_RSRC2:TRAP_HANDLER: 0
; COMPUTE_PGM_RSRC2:TGID_X_EN: 1
; COMPUTE_PGM_RSRC2:TGID_Y_EN: 0
; COMPUTE_PGM_RSRC2:TGID_Z_EN: 0
; COMPUTE_PGM_RSRC2:TIDIG_COMP_CNT: 0
; COMPUTE_PGM_RSRC3_GFX90A:ACCUM_OFFSET: 0
; COMPUTE_PGM_RSRC3_GFX90A:TG_SPLIT: 0
	.section	.text._ZN7rocprim17ROCPRIM_400000_NS6detail44device_merge_sort_compile_time_verifier_archINS1_11comp_targetILNS1_3genE9ELNS1_11target_archE1100ELNS1_3gpuE3ELNS1_3repE0EEES8_NS1_28merge_sort_block_sort_configILj256ELj4ELNS0_20block_sort_algorithmE0EEENS0_14default_configENS1_37merge_sort_block_sort_config_selectorIyNS0_10empty_typeEEENS1_38merge_sort_block_merge_config_selectorIySE_EEEEvv,"axG",@progbits,_ZN7rocprim17ROCPRIM_400000_NS6detail44device_merge_sort_compile_time_verifier_archINS1_11comp_targetILNS1_3genE9ELNS1_11target_archE1100ELNS1_3gpuE3ELNS1_3repE0EEES8_NS1_28merge_sort_block_sort_configILj256ELj4ELNS0_20block_sort_algorithmE0EEENS0_14default_configENS1_37merge_sort_block_sort_config_selectorIyNS0_10empty_typeEEENS1_38merge_sort_block_merge_config_selectorIySE_EEEEvv,comdat
	.protected	_ZN7rocprim17ROCPRIM_400000_NS6detail44device_merge_sort_compile_time_verifier_archINS1_11comp_targetILNS1_3genE9ELNS1_11target_archE1100ELNS1_3gpuE3ELNS1_3repE0EEES8_NS1_28merge_sort_block_sort_configILj256ELj4ELNS0_20block_sort_algorithmE0EEENS0_14default_configENS1_37merge_sort_block_sort_config_selectorIyNS0_10empty_typeEEENS1_38merge_sort_block_merge_config_selectorIySE_EEEEvv ; -- Begin function _ZN7rocprim17ROCPRIM_400000_NS6detail44device_merge_sort_compile_time_verifier_archINS1_11comp_targetILNS1_3genE9ELNS1_11target_archE1100ELNS1_3gpuE3ELNS1_3repE0EEES8_NS1_28merge_sort_block_sort_configILj256ELj4ELNS0_20block_sort_algorithmE0EEENS0_14default_configENS1_37merge_sort_block_sort_config_selectorIyNS0_10empty_typeEEENS1_38merge_sort_block_merge_config_selectorIySE_EEEEvv
	.globl	_ZN7rocprim17ROCPRIM_400000_NS6detail44device_merge_sort_compile_time_verifier_archINS1_11comp_targetILNS1_3genE9ELNS1_11target_archE1100ELNS1_3gpuE3ELNS1_3repE0EEES8_NS1_28merge_sort_block_sort_configILj256ELj4ELNS0_20block_sort_algorithmE0EEENS0_14default_configENS1_37merge_sort_block_sort_config_selectorIyNS0_10empty_typeEEENS1_38merge_sort_block_merge_config_selectorIySE_EEEEvv
	.p2align	8
	.type	_ZN7rocprim17ROCPRIM_400000_NS6detail44device_merge_sort_compile_time_verifier_archINS1_11comp_targetILNS1_3genE9ELNS1_11target_archE1100ELNS1_3gpuE3ELNS1_3repE0EEES8_NS1_28merge_sort_block_sort_configILj256ELj4ELNS0_20block_sort_algorithmE0EEENS0_14default_configENS1_37merge_sort_block_sort_config_selectorIyNS0_10empty_typeEEENS1_38merge_sort_block_merge_config_selectorIySE_EEEEvv,@function
_ZN7rocprim17ROCPRIM_400000_NS6detail44device_merge_sort_compile_time_verifier_archINS1_11comp_targetILNS1_3genE9ELNS1_11target_archE1100ELNS1_3gpuE3ELNS1_3repE0EEES8_NS1_28merge_sort_block_sort_configILj256ELj4ELNS0_20block_sort_algorithmE0EEENS0_14default_configENS1_37merge_sort_block_sort_config_selectorIyNS0_10empty_typeEEENS1_38merge_sort_block_merge_config_selectorIySE_EEEEvv: ; @_ZN7rocprim17ROCPRIM_400000_NS6detail44device_merge_sort_compile_time_verifier_archINS1_11comp_targetILNS1_3genE9ELNS1_11target_archE1100ELNS1_3gpuE3ELNS1_3repE0EEES8_NS1_28merge_sort_block_sort_configILj256ELj4ELNS0_20block_sort_algorithmE0EEENS0_14default_configENS1_37merge_sort_block_sort_config_selectorIyNS0_10empty_typeEEENS1_38merge_sort_block_merge_config_selectorIySE_EEEEvv
; %bb.0:
	s_endpgm
	.section	.rodata,"a",@progbits
	.p2align	6, 0x0
	.amdhsa_kernel _ZN7rocprim17ROCPRIM_400000_NS6detail44device_merge_sort_compile_time_verifier_archINS1_11comp_targetILNS1_3genE9ELNS1_11target_archE1100ELNS1_3gpuE3ELNS1_3repE0EEES8_NS1_28merge_sort_block_sort_configILj256ELj4ELNS0_20block_sort_algorithmE0EEENS0_14default_configENS1_37merge_sort_block_sort_config_selectorIyNS0_10empty_typeEEENS1_38merge_sort_block_merge_config_selectorIySE_EEEEvv
		.amdhsa_group_segment_fixed_size 0
		.amdhsa_private_segment_fixed_size 0
		.amdhsa_kernarg_size 0
		.amdhsa_user_sgpr_count 4
		.amdhsa_user_sgpr_private_segment_buffer 1
		.amdhsa_user_sgpr_dispatch_ptr 0
		.amdhsa_user_sgpr_queue_ptr 0
		.amdhsa_user_sgpr_kernarg_segment_ptr 0
		.amdhsa_user_sgpr_dispatch_id 0
		.amdhsa_user_sgpr_flat_scratch_init 0
		.amdhsa_user_sgpr_kernarg_preload_length 0
		.amdhsa_user_sgpr_kernarg_preload_offset 0
		.amdhsa_user_sgpr_private_segment_size 0
		.amdhsa_uses_dynamic_stack 0
		.amdhsa_system_sgpr_private_segment_wavefront_offset 0
		.amdhsa_system_sgpr_workgroup_id_x 1
		.amdhsa_system_sgpr_workgroup_id_y 0
		.amdhsa_system_sgpr_workgroup_id_z 0
		.amdhsa_system_sgpr_workgroup_info 0
		.amdhsa_system_vgpr_workitem_id 0
		.amdhsa_next_free_vgpr 1
		.amdhsa_next_free_sgpr 0
		.amdhsa_accum_offset 4
		.amdhsa_reserve_vcc 0
		.amdhsa_reserve_flat_scratch 0
		.amdhsa_float_round_mode_32 0
		.amdhsa_float_round_mode_16_64 0
		.amdhsa_float_denorm_mode_32 3
		.amdhsa_float_denorm_mode_16_64 3
		.amdhsa_dx10_clamp 1
		.amdhsa_ieee_mode 1
		.amdhsa_fp16_overflow 0
		.amdhsa_tg_split 0
		.amdhsa_exception_fp_ieee_invalid_op 0
		.amdhsa_exception_fp_denorm_src 0
		.amdhsa_exception_fp_ieee_div_zero 0
		.amdhsa_exception_fp_ieee_overflow 0
		.amdhsa_exception_fp_ieee_underflow 0
		.amdhsa_exception_fp_ieee_inexact 0
		.amdhsa_exception_int_div_zero 0
	.end_amdhsa_kernel
	.section	.text._ZN7rocprim17ROCPRIM_400000_NS6detail44device_merge_sort_compile_time_verifier_archINS1_11comp_targetILNS1_3genE9ELNS1_11target_archE1100ELNS1_3gpuE3ELNS1_3repE0EEES8_NS1_28merge_sort_block_sort_configILj256ELj4ELNS0_20block_sort_algorithmE0EEENS0_14default_configENS1_37merge_sort_block_sort_config_selectorIyNS0_10empty_typeEEENS1_38merge_sort_block_merge_config_selectorIySE_EEEEvv,"axG",@progbits,_ZN7rocprim17ROCPRIM_400000_NS6detail44device_merge_sort_compile_time_verifier_archINS1_11comp_targetILNS1_3genE9ELNS1_11target_archE1100ELNS1_3gpuE3ELNS1_3repE0EEES8_NS1_28merge_sort_block_sort_configILj256ELj4ELNS0_20block_sort_algorithmE0EEENS0_14default_configENS1_37merge_sort_block_sort_config_selectorIyNS0_10empty_typeEEENS1_38merge_sort_block_merge_config_selectorIySE_EEEEvv,comdat
.Lfunc_end722:
	.size	_ZN7rocprim17ROCPRIM_400000_NS6detail44device_merge_sort_compile_time_verifier_archINS1_11comp_targetILNS1_3genE9ELNS1_11target_archE1100ELNS1_3gpuE3ELNS1_3repE0EEES8_NS1_28merge_sort_block_sort_configILj256ELj4ELNS0_20block_sort_algorithmE0EEENS0_14default_configENS1_37merge_sort_block_sort_config_selectorIyNS0_10empty_typeEEENS1_38merge_sort_block_merge_config_selectorIySE_EEEEvv, .Lfunc_end722-_ZN7rocprim17ROCPRIM_400000_NS6detail44device_merge_sort_compile_time_verifier_archINS1_11comp_targetILNS1_3genE9ELNS1_11target_archE1100ELNS1_3gpuE3ELNS1_3repE0EEES8_NS1_28merge_sort_block_sort_configILj256ELj4ELNS0_20block_sort_algorithmE0EEENS0_14default_configENS1_37merge_sort_block_sort_config_selectorIyNS0_10empty_typeEEENS1_38merge_sort_block_merge_config_selectorIySE_EEEEvv
                                        ; -- End function
	.section	.AMDGPU.csdata,"",@progbits
; Kernel info:
; codeLenInByte = 4
; NumSgprs: 4
; NumVgprs: 0
; NumAgprs: 0
; TotalNumVgprs: 0
; ScratchSize: 0
; MemoryBound: 0
; FloatMode: 240
; IeeeMode: 1
; LDSByteSize: 0 bytes/workgroup (compile time only)
; SGPRBlocks: 0
; VGPRBlocks: 0
; NumSGPRsForWavesPerEU: 4
; NumVGPRsForWavesPerEU: 1
; AccumOffset: 4
; Occupancy: 8
; WaveLimiterHint : 0
; COMPUTE_PGM_RSRC2:SCRATCH_EN: 0
; COMPUTE_PGM_RSRC2:USER_SGPR: 4
; COMPUTE_PGM_RSRC2:TRAP_HANDLER: 0
; COMPUTE_PGM_RSRC2:TGID_X_EN: 1
; COMPUTE_PGM_RSRC2:TGID_Y_EN: 0
; COMPUTE_PGM_RSRC2:TGID_Z_EN: 0
; COMPUTE_PGM_RSRC2:TIDIG_COMP_CNT: 0
; COMPUTE_PGM_RSRC3_GFX90A:ACCUM_OFFSET: 0
; COMPUTE_PGM_RSRC3_GFX90A:TG_SPLIT: 0
	.section	.text._ZN7rocprim17ROCPRIM_400000_NS6detail44device_merge_sort_compile_time_verifier_archINS1_11comp_targetILNS1_3genE8ELNS1_11target_archE1030ELNS1_3gpuE2ELNS1_3repE0EEES8_NS1_28merge_sort_block_sort_configILj256ELj4ELNS0_20block_sort_algorithmE0EEENS0_14default_configENS1_37merge_sort_block_sort_config_selectorIyNS0_10empty_typeEEENS1_38merge_sort_block_merge_config_selectorIySE_EEEEvv,"axG",@progbits,_ZN7rocprim17ROCPRIM_400000_NS6detail44device_merge_sort_compile_time_verifier_archINS1_11comp_targetILNS1_3genE8ELNS1_11target_archE1030ELNS1_3gpuE2ELNS1_3repE0EEES8_NS1_28merge_sort_block_sort_configILj256ELj4ELNS0_20block_sort_algorithmE0EEENS0_14default_configENS1_37merge_sort_block_sort_config_selectorIyNS0_10empty_typeEEENS1_38merge_sort_block_merge_config_selectorIySE_EEEEvv,comdat
	.protected	_ZN7rocprim17ROCPRIM_400000_NS6detail44device_merge_sort_compile_time_verifier_archINS1_11comp_targetILNS1_3genE8ELNS1_11target_archE1030ELNS1_3gpuE2ELNS1_3repE0EEES8_NS1_28merge_sort_block_sort_configILj256ELj4ELNS0_20block_sort_algorithmE0EEENS0_14default_configENS1_37merge_sort_block_sort_config_selectorIyNS0_10empty_typeEEENS1_38merge_sort_block_merge_config_selectorIySE_EEEEvv ; -- Begin function _ZN7rocprim17ROCPRIM_400000_NS6detail44device_merge_sort_compile_time_verifier_archINS1_11comp_targetILNS1_3genE8ELNS1_11target_archE1030ELNS1_3gpuE2ELNS1_3repE0EEES8_NS1_28merge_sort_block_sort_configILj256ELj4ELNS0_20block_sort_algorithmE0EEENS0_14default_configENS1_37merge_sort_block_sort_config_selectorIyNS0_10empty_typeEEENS1_38merge_sort_block_merge_config_selectorIySE_EEEEvv
	.globl	_ZN7rocprim17ROCPRIM_400000_NS6detail44device_merge_sort_compile_time_verifier_archINS1_11comp_targetILNS1_3genE8ELNS1_11target_archE1030ELNS1_3gpuE2ELNS1_3repE0EEES8_NS1_28merge_sort_block_sort_configILj256ELj4ELNS0_20block_sort_algorithmE0EEENS0_14default_configENS1_37merge_sort_block_sort_config_selectorIyNS0_10empty_typeEEENS1_38merge_sort_block_merge_config_selectorIySE_EEEEvv
	.p2align	8
	.type	_ZN7rocprim17ROCPRIM_400000_NS6detail44device_merge_sort_compile_time_verifier_archINS1_11comp_targetILNS1_3genE8ELNS1_11target_archE1030ELNS1_3gpuE2ELNS1_3repE0EEES8_NS1_28merge_sort_block_sort_configILj256ELj4ELNS0_20block_sort_algorithmE0EEENS0_14default_configENS1_37merge_sort_block_sort_config_selectorIyNS0_10empty_typeEEENS1_38merge_sort_block_merge_config_selectorIySE_EEEEvv,@function
_ZN7rocprim17ROCPRIM_400000_NS6detail44device_merge_sort_compile_time_verifier_archINS1_11comp_targetILNS1_3genE8ELNS1_11target_archE1030ELNS1_3gpuE2ELNS1_3repE0EEES8_NS1_28merge_sort_block_sort_configILj256ELj4ELNS0_20block_sort_algorithmE0EEENS0_14default_configENS1_37merge_sort_block_sort_config_selectorIyNS0_10empty_typeEEENS1_38merge_sort_block_merge_config_selectorIySE_EEEEvv: ; @_ZN7rocprim17ROCPRIM_400000_NS6detail44device_merge_sort_compile_time_verifier_archINS1_11comp_targetILNS1_3genE8ELNS1_11target_archE1030ELNS1_3gpuE2ELNS1_3repE0EEES8_NS1_28merge_sort_block_sort_configILj256ELj4ELNS0_20block_sort_algorithmE0EEENS0_14default_configENS1_37merge_sort_block_sort_config_selectorIyNS0_10empty_typeEEENS1_38merge_sort_block_merge_config_selectorIySE_EEEEvv
; %bb.0:
	s_endpgm
	.section	.rodata,"a",@progbits
	.p2align	6, 0x0
	.amdhsa_kernel _ZN7rocprim17ROCPRIM_400000_NS6detail44device_merge_sort_compile_time_verifier_archINS1_11comp_targetILNS1_3genE8ELNS1_11target_archE1030ELNS1_3gpuE2ELNS1_3repE0EEES8_NS1_28merge_sort_block_sort_configILj256ELj4ELNS0_20block_sort_algorithmE0EEENS0_14default_configENS1_37merge_sort_block_sort_config_selectorIyNS0_10empty_typeEEENS1_38merge_sort_block_merge_config_selectorIySE_EEEEvv
		.amdhsa_group_segment_fixed_size 0
		.amdhsa_private_segment_fixed_size 0
		.amdhsa_kernarg_size 0
		.amdhsa_user_sgpr_count 4
		.amdhsa_user_sgpr_private_segment_buffer 1
		.amdhsa_user_sgpr_dispatch_ptr 0
		.amdhsa_user_sgpr_queue_ptr 0
		.amdhsa_user_sgpr_kernarg_segment_ptr 0
		.amdhsa_user_sgpr_dispatch_id 0
		.amdhsa_user_sgpr_flat_scratch_init 0
		.amdhsa_user_sgpr_kernarg_preload_length 0
		.amdhsa_user_sgpr_kernarg_preload_offset 0
		.amdhsa_user_sgpr_private_segment_size 0
		.amdhsa_uses_dynamic_stack 0
		.amdhsa_system_sgpr_private_segment_wavefront_offset 0
		.amdhsa_system_sgpr_workgroup_id_x 1
		.amdhsa_system_sgpr_workgroup_id_y 0
		.amdhsa_system_sgpr_workgroup_id_z 0
		.amdhsa_system_sgpr_workgroup_info 0
		.amdhsa_system_vgpr_workitem_id 0
		.amdhsa_next_free_vgpr 1
		.amdhsa_next_free_sgpr 0
		.amdhsa_accum_offset 4
		.amdhsa_reserve_vcc 0
		.amdhsa_reserve_flat_scratch 0
		.amdhsa_float_round_mode_32 0
		.amdhsa_float_round_mode_16_64 0
		.amdhsa_float_denorm_mode_32 3
		.amdhsa_float_denorm_mode_16_64 3
		.amdhsa_dx10_clamp 1
		.amdhsa_ieee_mode 1
		.amdhsa_fp16_overflow 0
		.amdhsa_tg_split 0
		.amdhsa_exception_fp_ieee_invalid_op 0
		.amdhsa_exception_fp_denorm_src 0
		.amdhsa_exception_fp_ieee_div_zero 0
		.amdhsa_exception_fp_ieee_overflow 0
		.amdhsa_exception_fp_ieee_underflow 0
		.amdhsa_exception_fp_ieee_inexact 0
		.amdhsa_exception_int_div_zero 0
	.end_amdhsa_kernel
	.section	.text._ZN7rocprim17ROCPRIM_400000_NS6detail44device_merge_sort_compile_time_verifier_archINS1_11comp_targetILNS1_3genE8ELNS1_11target_archE1030ELNS1_3gpuE2ELNS1_3repE0EEES8_NS1_28merge_sort_block_sort_configILj256ELj4ELNS0_20block_sort_algorithmE0EEENS0_14default_configENS1_37merge_sort_block_sort_config_selectorIyNS0_10empty_typeEEENS1_38merge_sort_block_merge_config_selectorIySE_EEEEvv,"axG",@progbits,_ZN7rocprim17ROCPRIM_400000_NS6detail44device_merge_sort_compile_time_verifier_archINS1_11comp_targetILNS1_3genE8ELNS1_11target_archE1030ELNS1_3gpuE2ELNS1_3repE0EEES8_NS1_28merge_sort_block_sort_configILj256ELj4ELNS0_20block_sort_algorithmE0EEENS0_14default_configENS1_37merge_sort_block_sort_config_selectorIyNS0_10empty_typeEEENS1_38merge_sort_block_merge_config_selectorIySE_EEEEvv,comdat
.Lfunc_end723:
	.size	_ZN7rocprim17ROCPRIM_400000_NS6detail44device_merge_sort_compile_time_verifier_archINS1_11comp_targetILNS1_3genE8ELNS1_11target_archE1030ELNS1_3gpuE2ELNS1_3repE0EEES8_NS1_28merge_sort_block_sort_configILj256ELj4ELNS0_20block_sort_algorithmE0EEENS0_14default_configENS1_37merge_sort_block_sort_config_selectorIyNS0_10empty_typeEEENS1_38merge_sort_block_merge_config_selectorIySE_EEEEvv, .Lfunc_end723-_ZN7rocprim17ROCPRIM_400000_NS6detail44device_merge_sort_compile_time_verifier_archINS1_11comp_targetILNS1_3genE8ELNS1_11target_archE1030ELNS1_3gpuE2ELNS1_3repE0EEES8_NS1_28merge_sort_block_sort_configILj256ELj4ELNS0_20block_sort_algorithmE0EEENS0_14default_configENS1_37merge_sort_block_sort_config_selectorIyNS0_10empty_typeEEENS1_38merge_sort_block_merge_config_selectorIySE_EEEEvv
                                        ; -- End function
	.section	.AMDGPU.csdata,"",@progbits
; Kernel info:
; codeLenInByte = 4
; NumSgprs: 4
; NumVgprs: 0
; NumAgprs: 0
; TotalNumVgprs: 0
; ScratchSize: 0
; MemoryBound: 0
; FloatMode: 240
; IeeeMode: 1
; LDSByteSize: 0 bytes/workgroup (compile time only)
; SGPRBlocks: 0
; VGPRBlocks: 0
; NumSGPRsForWavesPerEU: 4
; NumVGPRsForWavesPerEU: 1
; AccumOffset: 4
; Occupancy: 8
; WaveLimiterHint : 0
; COMPUTE_PGM_RSRC2:SCRATCH_EN: 0
; COMPUTE_PGM_RSRC2:USER_SGPR: 4
; COMPUTE_PGM_RSRC2:TRAP_HANDLER: 0
; COMPUTE_PGM_RSRC2:TGID_X_EN: 1
; COMPUTE_PGM_RSRC2:TGID_Y_EN: 0
; COMPUTE_PGM_RSRC2:TGID_Z_EN: 0
; COMPUTE_PGM_RSRC2:TIDIG_COMP_CNT: 0
; COMPUTE_PGM_RSRC3_GFX90A:ACCUM_OFFSET: 0
; COMPUTE_PGM_RSRC3_GFX90A:TG_SPLIT: 0
	.section	.text._ZN7rocprim17ROCPRIM_400000_NS6detail17trampoline_kernelINS0_14default_configENS1_38merge_sort_block_merge_config_selectorIyNS0_10empty_typeEEEZZNS1_27merge_sort_block_merge_implIS3_N6thrust23THRUST_200600_302600_NS6detail15normal_iteratorINS9_10device_ptrIyEEEEPS5_jNS1_19radix_merge_compareILb0ELb0EyNS0_19identity_decomposerEEEEE10hipError_tT0_T1_T2_jT3_P12ihipStream_tbPNSt15iterator_traitsISK_E10value_typeEPNSQ_ISL_E10value_typeEPSM_NS1_7vsmem_tEENKUlT_SK_SL_SM_E_clIPySE_SF_SF_EESJ_SZ_SK_SL_SM_EUlSZ_E_NS1_11comp_targetILNS1_3genE0ELNS1_11target_archE4294967295ELNS1_3gpuE0ELNS1_3repE0EEENS1_48merge_mergepath_partition_config_static_selectorELNS0_4arch9wavefront6targetE1EEEvSL_,"axG",@progbits,_ZN7rocprim17ROCPRIM_400000_NS6detail17trampoline_kernelINS0_14default_configENS1_38merge_sort_block_merge_config_selectorIyNS0_10empty_typeEEEZZNS1_27merge_sort_block_merge_implIS3_N6thrust23THRUST_200600_302600_NS6detail15normal_iteratorINS9_10device_ptrIyEEEEPS5_jNS1_19radix_merge_compareILb0ELb0EyNS0_19identity_decomposerEEEEE10hipError_tT0_T1_T2_jT3_P12ihipStream_tbPNSt15iterator_traitsISK_E10value_typeEPNSQ_ISL_E10value_typeEPSM_NS1_7vsmem_tEENKUlT_SK_SL_SM_E_clIPySE_SF_SF_EESJ_SZ_SK_SL_SM_EUlSZ_E_NS1_11comp_targetILNS1_3genE0ELNS1_11target_archE4294967295ELNS1_3gpuE0ELNS1_3repE0EEENS1_48merge_mergepath_partition_config_static_selectorELNS0_4arch9wavefront6targetE1EEEvSL_,comdat
	.protected	_ZN7rocprim17ROCPRIM_400000_NS6detail17trampoline_kernelINS0_14default_configENS1_38merge_sort_block_merge_config_selectorIyNS0_10empty_typeEEEZZNS1_27merge_sort_block_merge_implIS3_N6thrust23THRUST_200600_302600_NS6detail15normal_iteratorINS9_10device_ptrIyEEEEPS5_jNS1_19radix_merge_compareILb0ELb0EyNS0_19identity_decomposerEEEEE10hipError_tT0_T1_T2_jT3_P12ihipStream_tbPNSt15iterator_traitsISK_E10value_typeEPNSQ_ISL_E10value_typeEPSM_NS1_7vsmem_tEENKUlT_SK_SL_SM_E_clIPySE_SF_SF_EESJ_SZ_SK_SL_SM_EUlSZ_E_NS1_11comp_targetILNS1_3genE0ELNS1_11target_archE4294967295ELNS1_3gpuE0ELNS1_3repE0EEENS1_48merge_mergepath_partition_config_static_selectorELNS0_4arch9wavefront6targetE1EEEvSL_ ; -- Begin function _ZN7rocprim17ROCPRIM_400000_NS6detail17trampoline_kernelINS0_14default_configENS1_38merge_sort_block_merge_config_selectorIyNS0_10empty_typeEEEZZNS1_27merge_sort_block_merge_implIS3_N6thrust23THRUST_200600_302600_NS6detail15normal_iteratorINS9_10device_ptrIyEEEEPS5_jNS1_19radix_merge_compareILb0ELb0EyNS0_19identity_decomposerEEEEE10hipError_tT0_T1_T2_jT3_P12ihipStream_tbPNSt15iterator_traitsISK_E10value_typeEPNSQ_ISL_E10value_typeEPSM_NS1_7vsmem_tEENKUlT_SK_SL_SM_E_clIPySE_SF_SF_EESJ_SZ_SK_SL_SM_EUlSZ_E_NS1_11comp_targetILNS1_3genE0ELNS1_11target_archE4294967295ELNS1_3gpuE0ELNS1_3repE0EEENS1_48merge_mergepath_partition_config_static_selectorELNS0_4arch9wavefront6targetE1EEEvSL_
	.globl	_ZN7rocprim17ROCPRIM_400000_NS6detail17trampoline_kernelINS0_14default_configENS1_38merge_sort_block_merge_config_selectorIyNS0_10empty_typeEEEZZNS1_27merge_sort_block_merge_implIS3_N6thrust23THRUST_200600_302600_NS6detail15normal_iteratorINS9_10device_ptrIyEEEEPS5_jNS1_19radix_merge_compareILb0ELb0EyNS0_19identity_decomposerEEEEE10hipError_tT0_T1_T2_jT3_P12ihipStream_tbPNSt15iterator_traitsISK_E10value_typeEPNSQ_ISL_E10value_typeEPSM_NS1_7vsmem_tEENKUlT_SK_SL_SM_E_clIPySE_SF_SF_EESJ_SZ_SK_SL_SM_EUlSZ_E_NS1_11comp_targetILNS1_3genE0ELNS1_11target_archE4294967295ELNS1_3gpuE0ELNS1_3repE0EEENS1_48merge_mergepath_partition_config_static_selectorELNS0_4arch9wavefront6targetE1EEEvSL_
	.p2align	8
	.type	_ZN7rocprim17ROCPRIM_400000_NS6detail17trampoline_kernelINS0_14default_configENS1_38merge_sort_block_merge_config_selectorIyNS0_10empty_typeEEEZZNS1_27merge_sort_block_merge_implIS3_N6thrust23THRUST_200600_302600_NS6detail15normal_iteratorINS9_10device_ptrIyEEEEPS5_jNS1_19radix_merge_compareILb0ELb0EyNS0_19identity_decomposerEEEEE10hipError_tT0_T1_T2_jT3_P12ihipStream_tbPNSt15iterator_traitsISK_E10value_typeEPNSQ_ISL_E10value_typeEPSM_NS1_7vsmem_tEENKUlT_SK_SL_SM_E_clIPySE_SF_SF_EESJ_SZ_SK_SL_SM_EUlSZ_E_NS1_11comp_targetILNS1_3genE0ELNS1_11target_archE4294967295ELNS1_3gpuE0ELNS1_3repE0EEENS1_48merge_mergepath_partition_config_static_selectorELNS0_4arch9wavefront6targetE1EEEvSL_,@function
_ZN7rocprim17ROCPRIM_400000_NS6detail17trampoline_kernelINS0_14default_configENS1_38merge_sort_block_merge_config_selectorIyNS0_10empty_typeEEEZZNS1_27merge_sort_block_merge_implIS3_N6thrust23THRUST_200600_302600_NS6detail15normal_iteratorINS9_10device_ptrIyEEEEPS5_jNS1_19radix_merge_compareILb0ELb0EyNS0_19identity_decomposerEEEEE10hipError_tT0_T1_T2_jT3_P12ihipStream_tbPNSt15iterator_traitsISK_E10value_typeEPNSQ_ISL_E10value_typeEPSM_NS1_7vsmem_tEENKUlT_SK_SL_SM_E_clIPySE_SF_SF_EESJ_SZ_SK_SL_SM_EUlSZ_E_NS1_11comp_targetILNS1_3genE0ELNS1_11target_archE4294967295ELNS1_3gpuE0ELNS1_3repE0EEENS1_48merge_mergepath_partition_config_static_selectorELNS0_4arch9wavefront6targetE1EEEvSL_: ; @_ZN7rocprim17ROCPRIM_400000_NS6detail17trampoline_kernelINS0_14default_configENS1_38merge_sort_block_merge_config_selectorIyNS0_10empty_typeEEEZZNS1_27merge_sort_block_merge_implIS3_N6thrust23THRUST_200600_302600_NS6detail15normal_iteratorINS9_10device_ptrIyEEEEPS5_jNS1_19radix_merge_compareILb0ELb0EyNS0_19identity_decomposerEEEEE10hipError_tT0_T1_T2_jT3_P12ihipStream_tbPNSt15iterator_traitsISK_E10value_typeEPNSQ_ISL_E10value_typeEPSM_NS1_7vsmem_tEENKUlT_SK_SL_SM_E_clIPySE_SF_SF_EESJ_SZ_SK_SL_SM_EUlSZ_E_NS1_11comp_targetILNS1_3genE0ELNS1_11target_archE4294967295ELNS1_3gpuE0ELNS1_3repE0EEENS1_48merge_mergepath_partition_config_static_selectorELNS0_4arch9wavefront6targetE1EEEvSL_
; %bb.0:
	.section	.rodata,"a",@progbits
	.p2align	6, 0x0
	.amdhsa_kernel _ZN7rocprim17ROCPRIM_400000_NS6detail17trampoline_kernelINS0_14default_configENS1_38merge_sort_block_merge_config_selectorIyNS0_10empty_typeEEEZZNS1_27merge_sort_block_merge_implIS3_N6thrust23THRUST_200600_302600_NS6detail15normal_iteratorINS9_10device_ptrIyEEEEPS5_jNS1_19radix_merge_compareILb0ELb0EyNS0_19identity_decomposerEEEEE10hipError_tT0_T1_T2_jT3_P12ihipStream_tbPNSt15iterator_traitsISK_E10value_typeEPNSQ_ISL_E10value_typeEPSM_NS1_7vsmem_tEENKUlT_SK_SL_SM_E_clIPySE_SF_SF_EESJ_SZ_SK_SL_SM_EUlSZ_E_NS1_11comp_targetILNS1_3genE0ELNS1_11target_archE4294967295ELNS1_3gpuE0ELNS1_3repE0EEENS1_48merge_mergepath_partition_config_static_selectorELNS0_4arch9wavefront6targetE1EEEvSL_
		.amdhsa_group_segment_fixed_size 0
		.amdhsa_private_segment_fixed_size 0
		.amdhsa_kernarg_size 40
		.amdhsa_user_sgpr_count 6
		.amdhsa_user_sgpr_private_segment_buffer 1
		.amdhsa_user_sgpr_dispatch_ptr 0
		.amdhsa_user_sgpr_queue_ptr 0
		.amdhsa_user_sgpr_kernarg_segment_ptr 1
		.amdhsa_user_sgpr_dispatch_id 0
		.amdhsa_user_sgpr_flat_scratch_init 0
		.amdhsa_user_sgpr_kernarg_preload_length 0
		.amdhsa_user_sgpr_kernarg_preload_offset 0
		.amdhsa_user_sgpr_private_segment_size 0
		.amdhsa_uses_dynamic_stack 0
		.amdhsa_system_sgpr_private_segment_wavefront_offset 0
		.amdhsa_system_sgpr_workgroup_id_x 1
		.amdhsa_system_sgpr_workgroup_id_y 0
		.amdhsa_system_sgpr_workgroup_id_z 0
		.amdhsa_system_sgpr_workgroup_info 0
		.amdhsa_system_vgpr_workitem_id 0
		.amdhsa_next_free_vgpr 1
		.amdhsa_next_free_sgpr 0
		.amdhsa_accum_offset 4
		.amdhsa_reserve_vcc 0
		.amdhsa_reserve_flat_scratch 0
		.amdhsa_float_round_mode_32 0
		.amdhsa_float_round_mode_16_64 0
		.amdhsa_float_denorm_mode_32 3
		.amdhsa_float_denorm_mode_16_64 3
		.amdhsa_dx10_clamp 1
		.amdhsa_ieee_mode 1
		.amdhsa_fp16_overflow 0
		.amdhsa_tg_split 0
		.amdhsa_exception_fp_ieee_invalid_op 0
		.amdhsa_exception_fp_denorm_src 0
		.amdhsa_exception_fp_ieee_div_zero 0
		.amdhsa_exception_fp_ieee_overflow 0
		.amdhsa_exception_fp_ieee_underflow 0
		.amdhsa_exception_fp_ieee_inexact 0
		.amdhsa_exception_int_div_zero 0
	.end_amdhsa_kernel
	.section	.text._ZN7rocprim17ROCPRIM_400000_NS6detail17trampoline_kernelINS0_14default_configENS1_38merge_sort_block_merge_config_selectorIyNS0_10empty_typeEEEZZNS1_27merge_sort_block_merge_implIS3_N6thrust23THRUST_200600_302600_NS6detail15normal_iteratorINS9_10device_ptrIyEEEEPS5_jNS1_19radix_merge_compareILb0ELb0EyNS0_19identity_decomposerEEEEE10hipError_tT0_T1_T2_jT3_P12ihipStream_tbPNSt15iterator_traitsISK_E10value_typeEPNSQ_ISL_E10value_typeEPSM_NS1_7vsmem_tEENKUlT_SK_SL_SM_E_clIPySE_SF_SF_EESJ_SZ_SK_SL_SM_EUlSZ_E_NS1_11comp_targetILNS1_3genE0ELNS1_11target_archE4294967295ELNS1_3gpuE0ELNS1_3repE0EEENS1_48merge_mergepath_partition_config_static_selectorELNS0_4arch9wavefront6targetE1EEEvSL_,"axG",@progbits,_ZN7rocprim17ROCPRIM_400000_NS6detail17trampoline_kernelINS0_14default_configENS1_38merge_sort_block_merge_config_selectorIyNS0_10empty_typeEEEZZNS1_27merge_sort_block_merge_implIS3_N6thrust23THRUST_200600_302600_NS6detail15normal_iteratorINS9_10device_ptrIyEEEEPS5_jNS1_19radix_merge_compareILb0ELb0EyNS0_19identity_decomposerEEEEE10hipError_tT0_T1_T2_jT3_P12ihipStream_tbPNSt15iterator_traitsISK_E10value_typeEPNSQ_ISL_E10value_typeEPSM_NS1_7vsmem_tEENKUlT_SK_SL_SM_E_clIPySE_SF_SF_EESJ_SZ_SK_SL_SM_EUlSZ_E_NS1_11comp_targetILNS1_3genE0ELNS1_11target_archE4294967295ELNS1_3gpuE0ELNS1_3repE0EEENS1_48merge_mergepath_partition_config_static_selectorELNS0_4arch9wavefront6targetE1EEEvSL_,comdat
.Lfunc_end724:
	.size	_ZN7rocprim17ROCPRIM_400000_NS6detail17trampoline_kernelINS0_14default_configENS1_38merge_sort_block_merge_config_selectorIyNS0_10empty_typeEEEZZNS1_27merge_sort_block_merge_implIS3_N6thrust23THRUST_200600_302600_NS6detail15normal_iteratorINS9_10device_ptrIyEEEEPS5_jNS1_19radix_merge_compareILb0ELb0EyNS0_19identity_decomposerEEEEE10hipError_tT0_T1_T2_jT3_P12ihipStream_tbPNSt15iterator_traitsISK_E10value_typeEPNSQ_ISL_E10value_typeEPSM_NS1_7vsmem_tEENKUlT_SK_SL_SM_E_clIPySE_SF_SF_EESJ_SZ_SK_SL_SM_EUlSZ_E_NS1_11comp_targetILNS1_3genE0ELNS1_11target_archE4294967295ELNS1_3gpuE0ELNS1_3repE0EEENS1_48merge_mergepath_partition_config_static_selectorELNS0_4arch9wavefront6targetE1EEEvSL_, .Lfunc_end724-_ZN7rocprim17ROCPRIM_400000_NS6detail17trampoline_kernelINS0_14default_configENS1_38merge_sort_block_merge_config_selectorIyNS0_10empty_typeEEEZZNS1_27merge_sort_block_merge_implIS3_N6thrust23THRUST_200600_302600_NS6detail15normal_iteratorINS9_10device_ptrIyEEEEPS5_jNS1_19radix_merge_compareILb0ELb0EyNS0_19identity_decomposerEEEEE10hipError_tT0_T1_T2_jT3_P12ihipStream_tbPNSt15iterator_traitsISK_E10value_typeEPNSQ_ISL_E10value_typeEPSM_NS1_7vsmem_tEENKUlT_SK_SL_SM_E_clIPySE_SF_SF_EESJ_SZ_SK_SL_SM_EUlSZ_E_NS1_11comp_targetILNS1_3genE0ELNS1_11target_archE4294967295ELNS1_3gpuE0ELNS1_3repE0EEENS1_48merge_mergepath_partition_config_static_selectorELNS0_4arch9wavefront6targetE1EEEvSL_
                                        ; -- End function
	.section	.AMDGPU.csdata,"",@progbits
; Kernel info:
; codeLenInByte = 0
; NumSgprs: 4
; NumVgprs: 0
; NumAgprs: 0
; TotalNumVgprs: 0
; ScratchSize: 0
; MemoryBound: 0
; FloatMode: 240
; IeeeMode: 1
; LDSByteSize: 0 bytes/workgroup (compile time only)
; SGPRBlocks: 0
; VGPRBlocks: 0
; NumSGPRsForWavesPerEU: 4
; NumVGPRsForWavesPerEU: 1
; AccumOffset: 4
; Occupancy: 8
; WaveLimiterHint : 0
; COMPUTE_PGM_RSRC2:SCRATCH_EN: 0
; COMPUTE_PGM_RSRC2:USER_SGPR: 6
; COMPUTE_PGM_RSRC2:TRAP_HANDLER: 0
; COMPUTE_PGM_RSRC2:TGID_X_EN: 1
; COMPUTE_PGM_RSRC2:TGID_Y_EN: 0
; COMPUTE_PGM_RSRC2:TGID_Z_EN: 0
; COMPUTE_PGM_RSRC2:TIDIG_COMP_CNT: 0
; COMPUTE_PGM_RSRC3_GFX90A:ACCUM_OFFSET: 0
; COMPUTE_PGM_RSRC3_GFX90A:TG_SPLIT: 0
	.section	.text._ZN7rocprim17ROCPRIM_400000_NS6detail17trampoline_kernelINS0_14default_configENS1_38merge_sort_block_merge_config_selectorIyNS0_10empty_typeEEEZZNS1_27merge_sort_block_merge_implIS3_N6thrust23THRUST_200600_302600_NS6detail15normal_iteratorINS9_10device_ptrIyEEEEPS5_jNS1_19radix_merge_compareILb0ELb0EyNS0_19identity_decomposerEEEEE10hipError_tT0_T1_T2_jT3_P12ihipStream_tbPNSt15iterator_traitsISK_E10value_typeEPNSQ_ISL_E10value_typeEPSM_NS1_7vsmem_tEENKUlT_SK_SL_SM_E_clIPySE_SF_SF_EESJ_SZ_SK_SL_SM_EUlSZ_E_NS1_11comp_targetILNS1_3genE10ELNS1_11target_archE1201ELNS1_3gpuE5ELNS1_3repE0EEENS1_48merge_mergepath_partition_config_static_selectorELNS0_4arch9wavefront6targetE1EEEvSL_,"axG",@progbits,_ZN7rocprim17ROCPRIM_400000_NS6detail17trampoline_kernelINS0_14default_configENS1_38merge_sort_block_merge_config_selectorIyNS0_10empty_typeEEEZZNS1_27merge_sort_block_merge_implIS3_N6thrust23THRUST_200600_302600_NS6detail15normal_iteratorINS9_10device_ptrIyEEEEPS5_jNS1_19radix_merge_compareILb0ELb0EyNS0_19identity_decomposerEEEEE10hipError_tT0_T1_T2_jT3_P12ihipStream_tbPNSt15iterator_traitsISK_E10value_typeEPNSQ_ISL_E10value_typeEPSM_NS1_7vsmem_tEENKUlT_SK_SL_SM_E_clIPySE_SF_SF_EESJ_SZ_SK_SL_SM_EUlSZ_E_NS1_11comp_targetILNS1_3genE10ELNS1_11target_archE1201ELNS1_3gpuE5ELNS1_3repE0EEENS1_48merge_mergepath_partition_config_static_selectorELNS0_4arch9wavefront6targetE1EEEvSL_,comdat
	.protected	_ZN7rocprim17ROCPRIM_400000_NS6detail17trampoline_kernelINS0_14default_configENS1_38merge_sort_block_merge_config_selectorIyNS0_10empty_typeEEEZZNS1_27merge_sort_block_merge_implIS3_N6thrust23THRUST_200600_302600_NS6detail15normal_iteratorINS9_10device_ptrIyEEEEPS5_jNS1_19radix_merge_compareILb0ELb0EyNS0_19identity_decomposerEEEEE10hipError_tT0_T1_T2_jT3_P12ihipStream_tbPNSt15iterator_traitsISK_E10value_typeEPNSQ_ISL_E10value_typeEPSM_NS1_7vsmem_tEENKUlT_SK_SL_SM_E_clIPySE_SF_SF_EESJ_SZ_SK_SL_SM_EUlSZ_E_NS1_11comp_targetILNS1_3genE10ELNS1_11target_archE1201ELNS1_3gpuE5ELNS1_3repE0EEENS1_48merge_mergepath_partition_config_static_selectorELNS0_4arch9wavefront6targetE1EEEvSL_ ; -- Begin function _ZN7rocprim17ROCPRIM_400000_NS6detail17trampoline_kernelINS0_14default_configENS1_38merge_sort_block_merge_config_selectorIyNS0_10empty_typeEEEZZNS1_27merge_sort_block_merge_implIS3_N6thrust23THRUST_200600_302600_NS6detail15normal_iteratorINS9_10device_ptrIyEEEEPS5_jNS1_19radix_merge_compareILb0ELb0EyNS0_19identity_decomposerEEEEE10hipError_tT0_T1_T2_jT3_P12ihipStream_tbPNSt15iterator_traitsISK_E10value_typeEPNSQ_ISL_E10value_typeEPSM_NS1_7vsmem_tEENKUlT_SK_SL_SM_E_clIPySE_SF_SF_EESJ_SZ_SK_SL_SM_EUlSZ_E_NS1_11comp_targetILNS1_3genE10ELNS1_11target_archE1201ELNS1_3gpuE5ELNS1_3repE0EEENS1_48merge_mergepath_partition_config_static_selectorELNS0_4arch9wavefront6targetE1EEEvSL_
	.globl	_ZN7rocprim17ROCPRIM_400000_NS6detail17trampoline_kernelINS0_14default_configENS1_38merge_sort_block_merge_config_selectorIyNS0_10empty_typeEEEZZNS1_27merge_sort_block_merge_implIS3_N6thrust23THRUST_200600_302600_NS6detail15normal_iteratorINS9_10device_ptrIyEEEEPS5_jNS1_19radix_merge_compareILb0ELb0EyNS0_19identity_decomposerEEEEE10hipError_tT0_T1_T2_jT3_P12ihipStream_tbPNSt15iterator_traitsISK_E10value_typeEPNSQ_ISL_E10value_typeEPSM_NS1_7vsmem_tEENKUlT_SK_SL_SM_E_clIPySE_SF_SF_EESJ_SZ_SK_SL_SM_EUlSZ_E_NS1_11comp_targetILNS1_3genE10ELNS1_11target_archE1201ELNS1_3gpuE5ELNS1_3repE0EEENS1_48merge_mergepath_partition_config_static_selectorELNS0_4arch9wavefront6targetE1EEEvSL_
	.p2align	8
	.type	_ZN7rocprim17ROCPRIM_400000_NS6detail17trampoline_kernelINS0_14default_configENS1_38merge_sort_block_merge_config_selectorIyNS0_10empty_typeEEEZZNS1_27merge_sort_block_merge_implIS3_N6thrust23THRUST_200600_302600_NS6detail15normal_iteratorINS9_10device_ptrIyEEEEPS5_jNS1_19radix_merge_compareILb0ELb0EyNS0_19identity_decomposerEEEEE10hipError_tT0_T1_T2_jT3_P12ihipStream_tbPNSt15iterator_traitsISK_E10value_typeEPNSQ_ISL_E10value_typeEPSM_NS1_7vsmem_tEENKUlT_SK_SL_SM_E_clIPySE_SF_SF_EESJ_SZ_SK_SL_SM_EUlSZ_E_NS1_11comp_targetILNS1_3genE10ELNS1_11target_archE1201ELNS1_3gpuE5ELNS1_3repE0EEENS1_48merge_mergepath_partition_config_static_selectorELNS0_4arch9wavefront6targetE1EEEvSL_,@function
_ZN7rocprim17ROCPRIM_400000_NS6detail17trampoline_kernelINS0_14default_configENS1_38merge_sort_block_merge_config_selectorIyNS0_10empty_typeEEEZZNS1_27merge_sort_block_merge_implIS3_N6thrust23THRUST_200600_302600_NS6detail15normal_iteratorINS9_10device_ptrIyEEEEPS5_jNS1_19radix_merge_compareILb0ELb0EyNS0_19identity_decomposerEEEEE10hipError_tT0_T1_T2_jT3_P12ihipStream_tbPNSt15iterator_traitsISK_E10value_typeEPNSQ_ISL_E10value_typeEPSM_NS1_7vsmem_tEENKUlT_SK_SL_SM_E_clIPySE_SF_SF_EESJ_SZ_SK_SL_SM_EUlSZ_E_NS1_11comp_targetILNS1_3genE10ELNS1_11target_archE1201ELNS1_3gpuE5ELNS1_3repE0EEENS1_48merge_mergepath_partition_config_static_selectorELNS0_4arch9wavefront6targetE1EEEvSL_: ; @_ZN7rocprim17ROCPRIM_400000_NS6detail17trampoline_kernelINS0_14default_configENS1_38merge_sort_block_merge_config_selectorIyNS0_10empty_typeEEEZZNS1_27merge_sort_block_merge_implIS3_N6thrust23THRUST_200600_302600_NS6detail15normal_iteratorINS9_10device_ptrIyEEEEPS5_jNS1_19radix_merge_compareILb0ELb0EyNS0_19identity_decomposerEEEEE10hipError_tT0_T1_T2_jT3_P12ihipStream_tbPNSt15iterator_traitsISK_E10value_typeEPNSQ_ISL_E10value_typeEPSM_NS1_7vsmem_tEENKUlT_SK_SL_SM_E_clIPySE_SF_SF_EESJ_SZ_SK_SL_SM_EUlSZ_E_NS1_11comp_targetILNS1_3genE10ELNS1_11target_archE1201ELNS1_3gpuE5ELNS1_3repE0EEENS1_48merge_mergepath_partition_config_static_selectorELNS0_4arch9wavefront6targetE1EEEvSL_
; %bb.0:
	.section	.rodata,"a",@progbits
	.p2align	6, 0x0
	.amdhsa_kernel _ZN7rocprim17ROCPRIM_400000_NS6detail17trampoline_kernelINS0_14default_configENS1_38merge_sort_block_merge_config_selectorIyNS0_10empty_typeEEEZZNS1_27merge_sort_block_merge_implIS3_N6thrust23THRUST_200600_302600_NS6detail15normal_iteratorINS9_10device_ptrIyEEEEPS5_jNS1_19radix_merge_compareILb0ELb0EyNS0_19identity_decomposerEEEEE10hipError_tT0_T1_T2_jT3_P12ihipStream_tbPNSt15iterator_traitsISK_E10value_typeEPNSQ_ISL_E10value_typeEPSM_NS1_7vsmem_tEENKUlT_SK_SL_SM_E_clIPySE_SF_SF_EESJ_SZ_SK_SL_SM_EUlSZ_E_NS1_11comp_targetILNS1_3genE10ELNS1_11target_archE1201ELNS1_3gpuE5ELNS1_3repE0EEENS1_48merge_mergepath_partition_config_static_selectorELNS0_4arch9wavefront6targetE1EEEvSL_
		.amdhsa_group_segment_fixed_size 0
		.amdhsa_private_segment_fixed_size 0
		.amdhsa_kernarg_size 40
		.amdhsa_user_sgpr_count 6
		.amdhsa_user_sgpr_private_segment_buffer 1
		.amdhsa_user_sgpr_dispatch_ptr 0
		.amdhsa_user_sgpr_queue_ptr 0
		.amdhsa_user_sgpr_kernarg_segment_ptr 1
		.amdhsa_user_sgpr_dispatch_id 0
		.amdhsa_user_sgpr_flat_scratch_init 0
		.amdhsa_user_sgpr_kernarg_preload_length 0
		.amdhsa_user_sgpr_kernarg_preload_offset 0
		.amdhsa_user_sgpr_private_segment_size 0
		.amdhsa_uses_dynamic_stack 0
		.amdhsa_system_sgpr_private_segment_wavefront_offset 0
		.amdhsa_system_sgpr_workgroup_id_x 1
		.amdhsa_system_sgpr_workgroup_id_y 0
		.amdhsa_system_sgpr_workgroup_id_z 0
		.amdhsa_system_sgpr_workgroup_info 0
		.amdhsa_system_vgpr_workitem_id 0
		.amdhsa_next_free_vgpr 1
		.amdhsa_next_free_sgpr 0
		.amdhsa_accum_offset 4
		.amdhsa_reserve_vcc 0
		.amdhsa_reserve_flat_scratch 0
		.amdhsa_float_round_mode_32 0
		.amdhsa_float_round_mode_16_64 0
		.amdhsa_float_denorm_mode_32 3
		.amdhsa_float_denorm_mode_16_64 3
		.amdhsa_dx10_clamp 1
		.amdhsa_ieee_mode 1
		.amdhsa_fp16_overflow 0
		.amdhsa_tg_split 0
		.amdhsa_exception_fp_ieee_invalid_op 0
		.amdhsa_exception_fp_denorm_src 0
		.amdhsa_exception_fp_ieee_div_zero 0
		.amdhsa_exception_fp_ieee_overflow 0
		.amdhsa_exception_fp_ieee_underflow 0
		.amdhsa_exception_fp_ieee_inexact 0
		.amdhsa_exception_int_div_zero 0
	.end_amdhsa_kernel
	.section	.text._ZN7rocprim17ROCPRIM_400000_NS6detail17trampoline_kernelINS0_14default_configENS1_38merge_sort_block_merge_config_selectorIyNS0_10empty_typeEEEZZNS1_27merge_sort_block_merge_implIS3_N6thrust23THRUST_200600_302600_NS6detail15normal_iteratorINS9_10device_ptrIyEEEEPS5_jNS1_19radix_merge_compareILb0ELb0EyNS0_19identity_decomposerEEEEE10hipError_tT0_T1_T2_jT3_P12ihipStream_tbPNSt15iterator_traitsISK_E10value_typeEPNSQ_ISL_E10value_typeEPSM_NS1_7vsmem_tEENKUlT_SK_SL_SM_E_clIPySE_SF_SF_EESJ_SZ_SK_SL_SM_EUlSZ_E_NS1_11comp_targetILNS1_3genE10ELNS1_11target_archE1201ELNS1_3gpuE5ELNS1_3repE0EEENS1_48merge_mergepath_partition_config_static_selectorELNS0_4arch9wavefront6targetE1EEEvSL_,"axG",@progbits,_ZN7rocprim17ROCPRIM_400000_NS6detail17trampoline_kernelINS0_14default_configENS1_38merge_sort_block_merge_config_selectorIyNS0_10empty_typeEEEZZNS1_27merge_sort_block_merge_implIS3_N6thrust23THRUST_200600_302600_NS6detail15normal_iteratorINS9_10device_ptrIyEEEEPS5_jNS1_19radix_merge_compareILb0ELb0EyNS0_19identity_decomposerEEEEE10hipError_tT0_T1_T2_jT3_P12ihipStream_tbPNSt15iterator_traitsISK_E10value_typeEPNSQ_ISL_E10value_typeEPSM_NS1_7vsmem_tEENKUlT_SK_SL_SM_E_clIPySE_SF_SF_EESJ_SZ_SK_SL_SM_EUlSZ_E_NS1_11comp_targetILNS1_3genE10ELNS1_11target_archE1201ELNS1_3gpuE5ELNS1_3repE0EEENS1_48merge_mergepath_partition_config_static_selectorELNS0_4arch9wavefront6targetE1EEEvSL_,comdat
.Lfunc_end725:
	.size	_ZN7rocprim17ROCPRIM_400000_NS6detail17trampoline_kernelINS0_14default_configENS1_38merge_sort_block_merge_config_selectorIyNS0_10empty_typeEEEZZNS1_27merge_sort_block_merge_implIS3_N6thrust23THRUST_200600_302600_NS6detail15normal_iteratorINS9_10device_ptrIyEEEEPS5_jNS1_19radix_merge_compareILb0ELb0EyNS0_19identity_decomposerEEEEE10hipError_tT0_T1_T2_jT3_P12ihipStream_tbPNSt15iterator_traitsISK_E10value_typeEPNSQ_ISL_E10value_typeEPSM_NS1_7vsmem_tEENKUlT_SK_SL_SM_E_clIPySE_SF_SF_EESJ_SZ_SK_SL_SM_EUlSZ_E_NS1_11comp_targetILNS1_3genE10ELNS1_11target_archE1201ELNS1_3gpuE5ELNS1_3repE0EEENS1_48merge_mergepath_partition_config_static_selectorELNS0_4arch9wavefront6targetE1EEEvSL_, .Lfunc_end725-_ZN7rocprim17ROCPRIM_400000_NS6detail17trampoline_kernelINS0_14default_configENS1_38merge_sort_block_merge_config_selectorIyNS0_10empty_typeEEEZZNS1_27merge_sort_block_merge_implIS3_N6thrust23THRUST_200600_302600_NS6detail15normal_iteratorINS9_10device_ptrIyEEEEPS5_jNS1_19radix_merge_compareILb0ELb0EyNS0_19identity_decomposerEEEEE10hipError_tT0_T1_T2_jT3_P12ihipStream_tbPNSt15iterator_traitsISK_E10value_typeEPNSQ_ISL_E10value_typeEPSM_NS1_7vsmem_tEENKUlT_SK_SL_SM_E_clIPySE_SF_SF_EESJ_SZ_SK_SL_SM_EUlSZ_E_NS1_11comp_targetILNS1_3genE10ELNS1_11target_archE1201ELNS1_3gpuE5ELNS1_3repE0EEENS1_48merge_mergepath_partition_config_static_selectorELNS0_4arch9wavefront6targetE1EEEvSL_
                                        ; -- End function
	.section	.AMDGPU.csdata,"",@progbits
; Kernel info:
; codeLenInByte = 0
; NumSgprs: 4
; NumVgprs: 0
; NumAgprs: 0
; TotalNumVgprs: 0
; ScratchSize: 0
; MemoryBound: 0
; FloatMode: 240
; IeeeMode: 1
; LDSByteSize: 0 bytes/workgroup (compile time only)
; SGPRBlocks: 0
; VGPRBlocks: 0
; NumSGPRsForWavesPerEU: 4
; NumVGPRsForWavesPerEU: 1
; AccumOffset: 4
; Occupancy: 8
; WaveLimiterHint : 0
; COMPUTE_PGM_RSRC2:SCRATCH_EN: 0
; COMPUTE_PGM_RSRC2:USER_SGPR: 6
; COMPUTE_PGM_RSRC2:TRAP_HANDLER: 0
; COMPUTE_PGM_RSRC2:TGID_X_EN: 1
; COMPUTE_PGM_RSRC2:TGID_Y_EN: 0
; COMPUTE_PGM_RSRC2:TGID_Z_EN: 0
; COMPUTE_PGM_RSRC2:TIDIG_COMP_CNT: 0
; COMPUTE_PGM_RSRC3_GFX90A:ACCUM_OFFSET: 0
; COMPUTE_PGM_RSRC3_GFX90A:TG_SPLIT: 0
	.section	.text._ZN7rocprim17ROCPRIM_400000_NS6detail17trampoline_kernelINS0_14default_configENS1_38merge_sort_block_merge_config_selectorIyNS0_10empty_typeEEEZZNS1_27merge_sort_block_merge_implIS3_N6thrust23THRUST_200600_302600_NS6detail15normal_iteratorINS9_10device_ptrIyEEEEPS5_jNS1_19radix_merge_compareILb0ELb0EyNS0_19identity_decomposerEEEEE10hipError_tT0_T1_T2_jT3_P12ihipStream_tbPNSt15iterator_traitsISK_E10value_typeEPNSQ_ISL_E10value_typeEPSM_NS1_7vsmem_tEENKUlT_SK_SL_SM_E_clIPySE_SF_SF_EESJ_SZ_SK_SL_SM_EUlSZ_E_NS1_11comp_targetILNS1_3genE5ELNS1_11target_archE942ELNS1_3gpuE9ELNS1_3repE0EEENS1_48merge_mergepath_partition_config_static_selectorELNS0_4arch9wavefront6targetE1EEEvSL_,"axG",@progbits,_ZN7rocprim17ROCPRIM_400000_NS6detail17trampoline_kernelINS0_14default_configENS1_38merge_sort_block_merge_config_selectorIyNS0_10empty_typeEEEZZNS1_27merge_sort_block_merge_implIS3_N6thrust23THRUST_200600_302600_NS6detail15normal_iteratorINS9_10device_ptrIyEEEEPS5_jNS1_19radix_merge_compareILb0ELb0EyNS0_19identity_decomposerEEEEE10hipError_tT0_T1_T2_jT3_P12ihipStream_tbPNSt15iterator_traitsISK_E10value_typeEPNSQ_ISL_E10value_typeEPSM_NS1_7vsmem_tEENKUlT_SK_SL_SM_E_clIPySE_SF_SF_EESJ_SZ_SK_SL_SM_EUlSZ_E_NS1_11comp_targetILNS1_3genE5ELNS1_11target_archE942ELNS1_3gpuE9ELNS1_3repE0EEENS1_48merge_mergepath_partition_config_static_selectorELNS0_4arch9wavefront6targetE1EEEvSL_,comdat
	.protected	_ZN7rocprim17ROCPRIM_400000_NS6detail17trampoline_kernelINS0_14default_configENS1_38merge_sort_block_merge_config_selectorIyNS0_10empty_typeEEEZZNS1_27merge_sort_block_merge_implIS3_N6thrust23THRUST_200600_302600_NS6detail15normal_iteratorINS9_10device_ptrIyEEEEPS5_jNS1_19radix_merge_compareILb0ELb0EyNS0_19identity_decomposerEEEEE10hipError_tT0_T1_T2_jT3_P12ihipStream_tbPNSt15iterator_traitsISK_E10value_typeEPNSQ_ISL_E10value_typeEPSM_NS1_7vsmem_tEENKUlT_SK_SL_SM_E_clIPySE_SF_SF_EESJ_SZ_SK_SL_SM_EUlSZ_E_NS1_11comp_targetILNS1_3genE5ELNS1_11target_archE942ELNS1_3gpuE9ELNS1_3repE0EEENS1_48merge_mergepath_partition_config_static_selectorELNS0_4arch9wavefront6targetE1EEEvSL_ ; -- Begin function _ZN7rocprim17ROCPRIM_400000_NS6detail17trampoline_kernelINS0_14default_configENS1_38merge_sort_block_merge_config_selectorIyNS0_10empty_typeEEEZZNS1_27merge_sort_block_merge_implIS3_N6thrust23THRUST_200600_302600_NS6detail15normal_iteratorINS9_10device_ptrIyEEEEPS5_jNS1_19radix_merge_compareILb0ELb0EyNS0_19identity_decomposerEEEEE10hipError_tT0_T1_T2_jT3_P12ihipStream_tbPNSt15iterator_traitsISK_E10value_typeEPNSQ_ISL_E10value_typeEPSM_NS1_7vsmem_tEENKUlT_SK_SL_SM_E_clIPySE_SF_SF_EESJ_SZ_SK_SL_SM_EUlSZ_E_NS1_11comp_targetILNS1_3genE5ELNS1_11target_archE942ELNS1_3gpuE9ELNS1_3repE0EEENS1_48merge_mergepath_partition_config_static_selectorELNS0_4arch9wavefront6targetE1EEEvSL_
	.globl	_ZN7rocprim17ROCPRIM_400000_NS6detail17trampoline_kernelINS0_14default_configENS1_38merge_sort_block_merge_config_selectorIyNS0_10empty_typeEEEZZNS1_27merge_sort_block_merge_implIS3_N6thrust23THRUST_200600_302600_NS6detail15normal_iteratorINS9_10device_ptrIyEEEEPS5_jNS1_19radix_merge_compareILb0ELb0EyNS0_19identity_decomposerEEEEE10hipError_tT0_T1_T2_jT3_P12ihipStream_tbPNSt15iterator_traitsISK_E10value_typeEPNSQ_ISL_E10value_typeEPSM_NS1_7vsmem_tEENKUlT_SK_SL_SM_E_clIPySE_SF_SF_EESJ_SZ_SK_SL_SM_EUlSZ_E_NS1_11comp_targetILNS1_3genE5ELNS1_11target_archE942ELNS1_3gpuE9ELNS1_3repE0EEENS1_48merge_mergepath_partition_config_static_selectorELNS0_4arch9wavefront6targetE1EEEvSL_
	.p2align	8
	.type	_ZN7rocprim17ROCPRIM_400000_NS6detail17trampoline_kernelINS0_14default_configENS1_38merge_sort_block_merge_config_selectorIyNS0_10empty_typeEEEZZNS1_27merge_sort_block_merge_implIS3_N6thrust23THRUST_200600_302600_NS6detail15normal_iteratorINS9_10device_ptrIyEEEEPS5_jNS1_19radix_merge_compareILb0ELb0EyNS0_19identity_decomposerEEEEE10hipError_tT0_T1_T2_jT3_P12ihipStream_tbPNSt15iterator_traitsISK_E10value_typeEPNSQ_ISL_E10value_typeEPSM_NS1_7vsmem_tEENKUlT_SK_SL_SM_E_clIPySE_SF_SF_EESJ_SZ_SK_SL_SM_EUlSZ_E_NS1_11comp_targetILNS1_3genE5ELNS1_11target_archE942ELNS1_3gpuE9ELNS1_3repE0EEENS1_48merge_mergepath_partition_config_static_selectorELNS0_4arch9wavefront6targetE1EEEvSL_,@function
_ZN7rocprim17ROCPRIM_400000_NS6detail17trampoline_kernelINS0_14default_configENS1_38merge_sort_block_merge_config_selectorIyNS0_10empty_typeEEEZZNS1_27merge_sort_block_merge_implIS3_N6thrust23THRUST_200600_302600_NS6detail15normal_iteratorINS9_10device_ptrIyEEEEPS5_jNS1_19radix_merge_compareILb0ELb0EyNS0_19identity_decomposerEEEEE10hipError_tT0_T1_T2_jT3_P12ihipStream_tbPNSt15iterator_traitsISK_E10value_typeEPNSQ_ISL_E10value_typeEPSM_NS1_7vsmem_tEENKUlT_SK_SL_SM_E_clIPySE_SF_SF_EESJ_SZ_SK_SL_SM_EUlSZ_E_NS1_11comp_targetILNS1_3genE5ELNS1_11target_archE942ELNS1_3gpuE9ELNS1_3repE0EEENS1_48merge_mergepath_partition_config_static_selectorELNS0_4arch9wavefront6targetE1EEEvSL_: ; @_ZN7rocprim17ROCPRIM_400000_NS6detail17trampoline_kernelINS0_14default_configENS1_38merge_sort_block_merge_config_selectorIyNS0_10empty_typeEEEZZNS1_27merge_sort_block_merge_implIS3_N6thrust23THRUST_200600_302600_NS6detail15normal_iteratorINS9_10device_ptrIyEEEEPS5_jNS1_19radix_merge_compareILb0ELb0EyNS0_19identity_decomposerEEEEE10hipError_tT0_T1_T2_jT3_P12ihipStream_tbPNSt15iterator_traitsISK_E10value_typeEPNSQ_ISL_E10value_typeEPSM_NS1_7vsmem_tEENKUlT_SK_SL_SM_E_clIPySE_SF_SF_EESJ_SZ_SK_SL_SM_EUlSZ_E_NS1_11comp_targetILNS1_3genE5ELNS1_11target_archE942ELNS1_3gpuE9ELNS1_3repE0EEENS1_48merge_mergepath_partition_config_static_selectorELNS0_4arch9wavefront6targetE1EEEvSL_
; %bb.0:
	.section	.rodata,"a",@progbits
	.p2align	6, 0x0
	.amdhsa_kernel _ZN7rocprim17ROCPRIM_400000_NS6detail17trampoline_kernelINS0_14default_configENS1_38merge_sort_block_merge_config_selectorIyNS0_10empty_typeEEEZZNS1_27merge_sort_block_merge_implIS3_N6thrust23THRUST_200600_302600_NS6detail15normal_iteratorINS9_10device_ptrIyEEEEPS5_jNS1_19radix_merge_compareILb0ELb0EyNS0_19identity_decomposerEEEEE10hipError_tT0_T1_T2_jT3_P12ihipStream_tbPNSt15iterator_traitsISK_E10value_typeEPNSQ_ISL_E10value_typeEPSM_NS1_7vsmem_tEENKUlT_SK_SL_SM_E_clIPySE_SF_SF_EESJ_SZ_SK_SL_SM_EUlSZ_E_NS1_11comp_targetILNS1_3genE5ELNS1_11target_archE942ELNS1_3gpuE9ELNS1_3repE0EEENS1_48merge_mergepath_partition_config_static_selectorELNS0_4arch9wavefront6targetE1EEEvSL_
		.amdhsa_group_segment_fixed_size 0
		.amdhsa_private_segment_fixed_size 0
		.amdhsa_kernarg_size 40
		.amdhsa_user_sgpr_count 6
		.amdhsa_user_sgpr_private_segment_buffer 1
		.amdhsa_user_sgpr_dispatch_ptr 0
		.amdhsa_user_sgpr_queue_ptr 0
		.amdhsa_user_sgpr_kernarg_segment_ptr 1
		.amdhsa_user_sgpr_dispatch_id 0
		.amdhsa_user_sgpr_flat_scratch_init 0
		.amdhsa_user_sgpr_kernarg_preload_length 0
		.amdhsa_user_sgpr_kernarg_preload_offset 0
		.amdhsa_user_sgpr_private_segment_size 0
		.amdhsa_uses_dynamic_stack 0
		.amdhsa_system_sgpr_private_segment_wavefront_offset 0
		.amdhsa_system_sgpr_workgroup_id_x 1
		.amdhsa_system_sgpr_workgroup_id_y 0
		.amdhsa_system_sgpr_workgroup_id_z 0
		.amdhsa_system_sgpr_workgroup_info 0
		.amdhsa_system_vgpr_workitem_id 0
		.amdhsa_next_free_vgpr 1
		.amdhsa_next_free_sgpr 0
		.amdhsa_accum_offset 4
		.amdhsa_reserve_vcc 0
		.amdhsa_reserve_flat_scratch 0
		.amdhsa_float_round_mode_32 0
		.amdhsa_float_round_mode_16_64 0
		.amdhsa_float_denorm_mode_32 3
		.amdhsa_float_denorm_mode_16_64 3
		.amdhsa_dx10_clamp 1
		.amdhsa_ieee_mode 1
		.amdhsa_fp16_overflow 0
		.amdhsa_tg_split 0
		.amdhsa_exception_fp_ieee_invalid_op 0
		.amdhsa_exception_fp_denorm_src 0
		.amdhsa_exception_fp_ieee_div_zero 0
		.amdhsa_exception_fp_ieee_overflow 0
		.amdhsa_exception_fp_ieee_underflow 0
		.amdhsa_exception_fp_ieee_inexact 0
		.amdhsa_exception_int_div_zero 0
	.end_amdhsa_kernel
	.section	.text._ZN7rocprim17ROCPRIM_400000_NS6detail17trampoline_kernelINS0_14default_configENS1_38merge_sort_block_merge_config_selectorIyNS0_10empty_typeEEEZZNS1_27merge_sort_block_merge_implIS3_N6thrust23THRUST_200600_302600_NS6detail15normal_iteratorINS9_10device_ptrIyEEEEPS5_jNS1_19radix_merge_compareILb0ELb0EyNS0_19identity_decomposerEEEEE10hipError_tT0_T1_T2_jT3_P12ihipStream_tbPNSt15iterator_traitsISK_E10value_typeEPNSQ_ISL_E10value_typeEPSM_NS1_7vsmem_tEENKUlT_SK_SL_SM_E_clIPySE_SF_SF_EESJ_SZ_SK_SL_SM_EUlSZ_E_NS1_11comp_targetILNS1_3genE5ELNS1_11target_archE942ELNS1_3gpuE9ELNS1_3repE0EEENS1_48merge_mergepath_partition_config_static_selectorELNS0_4arch9wavefront6targetE1EEEvSL_,"axG",@progbits,_ZN7rocprim17ROCPRIM_400000_NS6detail17trampoline_kernelINS0_14default_configENS1_38merge_sort_block_merge_config_selectorIyNS0_10empty_typeEEEZZNS1_27merge_sort_block_merge_implIS3_N6thrust23THRUST_200600_302600_NS6detail15normal_iteratorINS9_10device_ptrIyEEEEPS5_jNS1_19radix_merge_compareILb0ELb0EyNS0_19identity_decomposerEEEEE10hipError_tT0_T1_T2_jT3_P12ihipStream_tbPNSt15iterator_traitsISK_E10value_typeEPNSQ_ISL_E10value_typeEPSM_NS1_7vsmem_tEENKUlT_SK_SL_SM_E_clIPySE_SF_SF_EESJ_SZ_SK_SL_SM_EUlSZ_E_NS1_11comp_targetILNS1_3genE5ELNS1_11target_archE942ELNS1_3gpuE9ELNS1_3repE0EEENS1_48merge_mergepath_partition_config_static_selectorELNS0_4arch9wavefront6targetE1EEEvSL_,comdat
.Lfunc_end726:
	.size	_ZN7rocprim17ROCPRIM_400000_NS6detail17trampoline_kernelINS0_14default_configENS1_38merge_sort_block_merge_config_selectorIyNS0_10empty_typeEEEZZNS1_27merge_sort_block_merge_implIS3_N6thrust23THRUST_200600_302600_NS6detail15normal_iteratorINS9_10device_ptrIyEEEEPS5_jNS1_19radix_merge_compareILb0ELb0EyNS0_19identity_decomposerEEEEE10hipError_tT0_T1_T2_jT3_P12ihipStream_tbPNSt15iterator_traitsISK_E10value_typeEPNSQ_ISL_E10value_typeEPSM_NS1_7vsmem_tEENKUlT_SK_SL_SM_E_clIPySE_SF_SF_EESJ_SZ_SK_SL_SM_EUlSZ_E_NS1_11comp_targetILNS1_3genE5ELNS1_11target_archE942ELNS1_3gpuE9ELNS1_3repE0EEENS1_48merge_mergepath_partition_config_static_selectorELNS0_4arch9wavefront6targetE1EEEvSL_, .Lfunc_end726-_ZN7rocprim17ROCPRIM_400000_NS6detail17trampoline_kernelINS0_14default_configENS1_38merge_sort_block_merge_config_selectorIyNS0_10empty_typeEEEZZNS1_27merge_sort_block_merge_implIS3_N6thrust23THRUST_200600_302600_NS6detail15normal_iteratorINS9_10device_ptrIyEEEEPS5_jNS1_19radix_merge_compareILb0ELb0EyNS0_19identity_decomposerEEEEE10hipError_tT0_T1_T2_jT3_P12ihipStream_tbPNSt15iterator_traitsISK_E10value_typeEPNSQ_ISL_E10value_typeEPSM_NS1_7vsmem_tEENKUlT_SK_SL_SM_E_clIPySE_SF_SF_EESJ_SZ_SK_SL_SM_EUlSZ_E_NS1_11comp_targetILNS1_3genE5ELNS1_11target_archE942ELNS1_3gpuE9ELNS1_3repE0EEENS1_48merge_mergepath_partition_config_static_selectorELNS0_4arch9wavefront6targetE1EEEvSL_
                                        ; -- End function
	.section	.AMDGPU.csdata,"",@progbits
; Kernel info:
; codeLenInByte = 0
; NumSgprs: 4
; NumVgprs: 0
; NumAgprs: 0
; TotalNumVgprs: 0
; ScratchSize: 0
; MemoryBound: 0
; FloatMode: 240
; IeeeMode: 1
; LDSByteSize: 0 bytes/workgroup (compile time only)
; SGPRBlocks: 0
; VGPRBlocks: 0
; NumSGPRsForWavesPerEU: 4
; NumVGPRsForWavesPerEU: 1
; AccumOffset: 4
; Occupancy: 8
; WaveLimiterHint : 0
; COMPUTE_PGM_RSRC2:SCRATCH_EN: 0
; COMPUTE_PGM_RSRC2:USER_SGPR: 6
; COMPUTE_PGM_RSRC2:TRAP_HANDLER: 0
; COMPUTE_PGM_RSRC2:TGID_X_EN: 1
; COMPUTE_PGM_RSRC2:TGID_Y_EN: 0
; COMPUTE_PGM_RSRC2:TGID_Z_EN: 0
; COMPUTE_PGM_RSRC2:TIDIG_COMP_CNT: 0
; COMPUTE_PGM_RSRC3_GFX90A:ACCUM_OFFSET: 0
; COMPUTE_PGM_RSRC3_GFX90A:TG_SPLIT: 0
	.section	.text._ZN7rocprim17ROCPRIM_400000_NS6detail17trampoline_kernelINS0_14default_configENS1_38merge_sort_block_merge_config_selectorIyNS0_10empty_typeEEEZZNS1_27merge_sort_block_merge_implIS3_N6thrust23THRUST_200600_302600_NS6detail15normal_iteratorINS9_10device_ptrIyEEEEPS5_jNS1_19radix_merge_compareILb0ELb0EyNS0_19identity_decomposerEEEEE10hipError_tT0_T1_T2_jT3_P12ihipStream_tbPNSt15iterator_traitsISK_E10value_typeEPNSQ_ISL_E10value_typeEPSM_NS1_7vsmem_tEENKUlT_SK_SL_SM_E_clIPySE_SF_SF_EESJ_SZ_SK_SL_SM_EUlSZ_E_NS1_11comp_targetILNS1_3genE4ELNS1_11target_archE910ELNS1_3gpuE8ELNS1_3repE0EEENS1_48merge_mergepath_partition_config_static_selectorELNS0_4arch9wavefront6targetE1EEEvSL_,"axG",@progbits,_ZN7rocprim17ROCPRIM_400000_NS6detail17trampoline_kernelINS0_14default_configENS1_38merge_sort_block_merge_config_selectorIyNS0_10empty_typeEEEZZNS1_27merge_sort_block_merge_implIS3_N6thrust23THRUST_200600_302600_NS6detail15normal_iteratorINS9_10device_ptrIyEEEEPS5_jNS1_19radix_merge_compareILb0ELb0EyNS0_19identity_decomposerEEEEE10hipError_tT0_T1_T2_jT3_P12ihipStream_tbPNSt15iterator_traitsISK_E10value_typeEPNSQ_ISL_E10value_typeEPSM_NS1_7vsmem_tEENKUlT_SK_SL_SM_E_clIPySE_SF_SF_EESJ_SZ_SK_SL_SM_EUlSZ_E_NS1_11comp_targetILNS1_3genE4ELNS1_11target_archE910ELNS1_3gpuE8ELNS1_3repE0EEENS1_48merge_mergepath_partition_config_static_selectorELNS0_4arch9wavefront6targetE1EEEvSL_,comdat
	.protected	_ZN7rocprim17ROCPRIM_400000_NS6detail17trampoline_kernelINS0_14default_configENS1_38merge_sort_block_merge_config_selectorIyNS0_10empty_typeEEEZZNS1_27merge_sort_block_merge_implIS3_N6thrust23THRUST_200600_302600_NS6detail15normal_iteratorINS9_10device_ptrIyEEEEPS5_jNS1_19radix_merge_compareILb0ELb0EyNS0_19identity_decomposerEEEEE10hipError_tT0_T1_T2_jT3_P12ihipStream_tbPNSt15iterator_traitsISK_E10value_typeEPNSQ_ISL_E10value_typeEPSM_NS1_7vsmem_tEENKUlT_SK_SL_SM_E_clIPySE_SF_SF_EESJ_SZ_SK_SL_SM_EUlSZ_E_NS1_11comp_targetILNS1_3genE4ELNS1_11target_archE910ELNS1_3gpuE8ELNS1_3repE0EEENS1_48merge_mergepath_partition_config_static_selectorELNS0_4arch9wavefront6targetE1EEEvSL_ ; -- Begin function _ZN7rocprim17ROCPRIM_400000_NS6detail17trampoline_kernelINS0_14default_configENS1_38merge_sort_block_merge_config_selectorIyNS0_10empty_typeEEEZZNS1_27merge_sort_block_merge_implIS3_N6thrust23THRUST_200600_302600_NS6detail15normal_iteratorINS9_10device_ptrIyEEEEPS5_jNS1_19radix_merge_compareILb0ELb0EyNS0_19identity_decomposerEEEEE10hipError_tT0_T1_T2_jT3_P12ihipStream_tbPNSt15iterator_traitsISK_E10value_typeEPNSQ_ISL_E10value_typeEPSM_NS1_7vsmem_tEENKUlT_SK_SL_SM_E_clIPySE_SF_SF_EESJ_SZ_SK_SL_SM_EUlSZ_E_NS1_11comp_targetILNS1_3genE4ELNS1_11target_archE910ELNS1_3gpuE8ELNS1_3repE0EEENS1_48merge_mergepath_partition_config_static_selectorELNS0_4arch9wavefront6targetE1EEEvSL_
	.globl	_ZN7rocprim17ROCPRIM_400000_NS6detail17trampoline_kernelINS0_14default_configENS1_38merge_sort_block_merge_config_selectorIyNS0_10empty_typeEEEZZNS1_27merge_sort_block_merge_implIS3_N6thrust23THRUST_200600_302600_NS6detail15normal_iteratorINS9_10device_ptrIyEEEEPS5_jNS1_19radix_merge_compareILb0ELb0EyNS0_19identity_decomposerEEEEE10hipError_tT0_T1_T2_jT3_P12ihipStream_tbPNSt15iterator_traitsISK_E10value_typeEPNSQ_ISL_E10value_typeEPSM_NS1_7vsmem_tEENKUlT_SK_SL_SM_E_clIPySE_SF_SF_EESJ_SZ_SK_SL_SM_EUlSZ_E_NS1_11comp_targetILNS1_3genE4ELNS1_11target_archE910ELNS1_3gpuE8ELNS1_3repE0EEENS1_48merge_mergepath_partition_config_static_selectorELNS0_4arch9wavefront6targetE1EEEvSL_
	.p2align	8
	.type	_ZN7rocprim17ROCPRIM_400000_NS6detail17trampoline_kernelINS0_14default_configENS1_38merge_sort_block_merge_config_selectorIyNS0_10empty_typeEEEZZNS1_27merge_sort_block_merge_implIS3_N6thrust23THRUST_200600_302600_NS6detail15normal_iteratorINS9_10device_ptrIyEEEEPS5_jNS1_19radix_merge_compareILb0ELb0EyNS0_19identity_decomposerEEEEE10hipError_tT0_T1_T2_jT3_P12ihipStream_tbPNSt15iterator_traitsISK_E10value_typeEPNSQ_ISL_E10value_typeEPSM_NS1_7vsmem_tEENKUlT_SK_SL_SM_E_clIPySE_SF_SF_EESJ_SZ_SK_SL_SM_EUlSZ_E_NS1_11comp_targetILNS1_3genE4ELNS1_11target_archE910ELNS1_3gpuE8ELNS1_3repE0EEENS1_48merge_mergepath_partition_config_static_selectorELNS0_4arch9wavefront6targetE1EEEvSL_,@function
_ZN7rocprim17ROCPRIM_400000_NS6detail17trampoline_kernelINS0_14default_configENS1_38merge_sort_block_merge_config_selectorIyNS0_10empty_typeEEEZZNS1_27merge_sort_block_merge_implIS3_N6thrust23THRUST_200600_302600_NS6detail15normal_iteratorINS9_10device_ptrIyEEEEPS5_jNS1_19radix_merge_compareILb0ELb0EyNS0_19identity_decomposerEEEEE10hipError_tT0_T1_T2_jT3_P12ihipStream_tbPNSt15iterator_traitsISK_E10value_typeEPNSQ_ISL_E10value_typeEPSM_NS1_7vsmem_tEENKUlT_SK_SL_SM_E_clIPySE_SF_SF_EESJ_SZ_SK_SL_SM_EUlSZ_E_NS1_11comp_targetILNS1_3genE4ELNS1_11target_archE910ELNS1_3gpuE8ELNS1_3repE0EEENS1_48merge_mergepath_partition_config_static_selectorELNS0_4arch9wavefront6targetE1EEEvSL_: ; @_ZN7rocprim17ROCPRIM_400000_NS6detail17trampoline_kernelINS0_14default_configENS1_38merge_sort_block_merge_config_selectorIyNS0_10empty_typeEEEZZNS1_27merge_sort_block_merge_implIS3_N6thrust23THRUST_200600_302600_NS6detail15normal_iteratorINS9_10device_ptrIyEEEEPS5_jNS1_19radix_merge_compareILb0ELb0EyNS0_19identity_decomposerEEEEE10hipError_tT0_T1_T2_jT3_P12ihipStream_tbPNSt15iterator_traitsISK_E10value_typeEPNSQ_ISL_E10value_typeEPSM_NS1_7vsmem_tEENKUlT_SK_SL_SM_E_clIPySE_SF_SF_EESJ_SZ_SK_SL_SM_EUlSZ_E_NS1_11comp_targetILNS1_3genE4ELNS1_11target_archE910ELNS1_3gpuE8ELNS1_3repE0EEENS1_48merge_mergepath_partition_config_static_selectorELNS0_4arch9wavefront6targetE1EEEvSL_
; %bb.0:
	s_load_dword s0, s[4:5], 0x0
	v_lshl_or_b32 v0, s6, 7, v0
	s_waitcnt lgkmcnt(0)
	v_cmp_gt_u32_e32 vcc, s0, v0
	s_and_saveexec_b64 s[0:1], vcc
	s_cbranch_execz .LBB727_6
; %bb.1:
	s_load_dwordx2 s[2:3], s[4:5], 0x4
	s_load_dwordx2 s[0:1], s[4:5], 0x20
	s_waitcnt lgkmcnt(0)
	s_lshr_b32 s6, s2, 9
	s_and_b32 s6, s6, 0x7ffffe
	s_add_i32 s7, s6, -1
	s_sub_i32 s6, 0, s6
	v_and_b32_e32 v1, s6, v0
	v_lshlrev_b32_e32 v1, 10, v1
	v_min_u32_e32 v2, s3, v1
	v_add_u32_e32 v1, s2, v1
	v_min_u32_e32 v4, s3, v1
	v_add_u32_e32 v1, s2, v4
	v_and_b32_e32 v3, s7, v0
	v_min_u32_e32 v1, s3, v1
	v_sub_u32_e32 v5, v1, v2
	v_lshlrev_b32_e32 v3, 10, v3
	v_min_u32_e32 v6, v5, v3
	v_sub_u32_e32 v3, v4, v2
	v_sub_u32_e32 v1, v1, v4
	v_sub_u32_e64 v1, v6, v1 clamp
	v_min_u32_e32 v7, v6, v3
	v_cmp_lt_u32_e32 vcc, v1, v7
	s_and_saveexec_b64 s[2:3], vcc
	s_cbranch_execz .LBB727_5
; %bb.2:
	s_load_dwordx2 s[4:5], s[4:5], 0x10
	v_mov_b32_e32 v5, 0
	v_mov_b32_e32 v3, v5
	v_lshlrev_b64 v[8:9], 3, v[2:3]
	v_lshlrev_b64 v[10:11], 3, v[4:5]
	s_waitcnt lgkmcnt(0)
	v_mov_b32_e32 v12, s5
	v_add_co_u32_e32 v3, vcc, s4, v8
	v_addc_co_u32_e32 v8, vcc, v12, v9, vcc
	v_add_co_u32_e32 v9, vcc, s4, v10
	v_addc_co_u32_e32 v10, vcc, v12, v11, vcc
	s_mov_b64 s[4:5], 0
.LBB727_3:                              ; =>This Inner Loop Header: Depth=1
	v_add_u32_e32 v4, v7, v1
	v_lshrrev_b32_e32 v4, 1, v4
	v_lshlrev_b64 v[14:15], 3, v[4:5]
	v_mov_b32_e32 v13, v5
	v_xad_u32 v12, v4, -1, v6
	v_add_co_u32_e32 v14, vcc, v3, v14
	v_addc_co_u32_e32 v15, vcc, v8, v15, vcc
	v_lshlrev_b64 v[12:13], 3, v[12:13]
	v_add_co_u32_e32 v12, vcc, v9, v12
	v_addc_co_u32_e32 v13, vcc, v10, v13, vcc
	global_load_dwordx2 v[16:17], v[14:15], off
	global_load_dwordx2 v[18:19], v[12:13], off
	v_add_u32_e32 v11, 1, v4
	s_waitcnt vmcnt(0)
	v_cmp_gt_u64_e32 vcc, v[16:17], v[18:19]
	v_cndmask_b32_e32 v7, v7, v4, vcc
	v_cndmask_b32_e32 v1, v11, v1, vcc
	v_cmp_ge_u32_e32 vcc, v1, v7
	s_or_b64 s[4:5], vcc, s[4:5]
	s_andn2_b64 exec, exec, s[4:5]
	s_cbranch_execnz .LBB727_3
; %bb.4:
	s_or_b64 exec, exec, s[4:5]
.LBB727_5:
	s_or_b64 exec, exec, s[2:3]
	v_add_u32_e32 v2, v1, v2
	v_mov_b32_e32 v1, 0
	v_lshlrev_b64 v[0:1], 2, v[0:1]
	v_mov_b32_e32 v3, s1
	v_add_co_u32_e32 v0, vcc, s0, v0
	v_addc_co_u32_e32 v1, vcc, v3, v1, vcc
	global_store_dword v[0:1], v2, off
.LBB727_6:
	s_endpgm
	.section	.rodata,"a",@progbits
	.p2align	6, 0x0
	.amdhsa_kernel _ZN7rocprim17ROCPRIM_400000_NS6detail17trampoline_kernelINS0_14default_configENS1_38merge_sort_block_merge_config_selectorIyNS0_10empty_typeEEEZZNS1_27merge_sort_block_merge_implIS3_N6thrust23THRUST_200600_302600_NS6detail15normal_iteratorINS9_10device_ptrIyEEEEPS5_jNS1_19radix_merge_compareILb0ELb0EyNS0_19identity_decomposerEEEEE10hipError_tT0_T1_T2_jT3_P12ihipStream_tbPNSt15iterator_traitsISK_E10value_typeEPNSQ_ISL_E10value_typeEPSM_NS1_7vsmem_tEENKUlT_SK_SL_SM_E_clIPySE_SF_SF_EESJ_SZ_SK_SL_SM_EUlSZ_E_NS1_11comp_targetILNS1_3genE4ELNS1_11target_archE910ELNS1_3gpuE8ELNS1_3repE0EEENS1_48merge_mergepath_partition_config_static_selectorELNS0_4arch9wavefront6targetE1EEEvSL_
		.amdhsa_group_segment_fixed_size 0
		.amdhsa_private_segment_fixed_size 0
		.amdhsa_kernarg_size 40
		.amdhsa_user_sgpr_count 6
		.amdhsa_user_sgpr_private_segment_buffer 1
		.amdhsa_user_sgpr_dispatch_ptr 0
		.amdhsa_user_sgpr_queue_ptr 0
		.amdhsa_user_sgpr_kernarg_segment_ptr 1
		.amdhsa_user_sgpr_dispatch_id 0
		.amdhsa_user_sgpr_flat_scratch_init 0
		.amdhsa_user_sgpr_kernarg_preload_length 0
		.amdhsa_user_sgpr_kernarg_preload_offset 0
		.amdhsa_user_sgpr_private_segment_size 0
		.amdhsa_uses_dynamic_stack 0
		.amdhsa_system_sgpr_private_segment_wavefront_offset 0
		.amdhsa_system_sgpr_workgroup_id_x 1
		.amdhsa_system_sgpr_workgroup_id_y 0
		.amdhsa_system_sgpr_workgroup_id_z 0
		.amdhsa_system_sgpr_workgroup_info 0
		.amdhsa_system_vgpr_workitem_id 0
		.amdhsa_next_free_vgpr 20
		.amdhsa_next_free_sgpr 8
		.amdhsa_accum_offset 20
		.amdhsa_reserve_vcc 1
		.amdhsa_reserve_flat_scratch 0
		.amdhsa_float_round_mode_32 0
		.amdhsa_float_round_mode_16_64 0
		.amdhsa_float_denorm_mode_32 3
		.amdhsa_float_denorm_mode_16_64 3
		.amdhsa_dx10_clamp 1
		.amdhsa_ieee_mode 1
		.amdhsa_fp16_overflow 0
		.amdhsa_tg_split 0
		.amdhsa_exception_fp_ieee_invalid_op 0
		.amdhsa_exception_fp_denorm_src 0
		.amdhsa_exception_fp_ieee_div_zero 0
		.amdhsa_exception_fp_ieee_overflow 0
		.amdhsa_exception_fp_ieee_underflow 0
		.amdhsa_exception_fp_ieee_inexact 0
		.amdhsa_exception_int_div_zero 0
	.end_amdhsa_kernel
	.section	.text._ZN7rocprim17ROCPRIM_400000_NS6detail17trampoline_kernelINS0_14default_configENS1_38merge_sort_block_merge_config_selectorIyNS0_10empty_typeEEEZZNS1_27merge_sort_block_merge_implIS3_N6thrust23THRUST_200600_302600_NS6detail15normal_iteratorINS9_10device_ptrIyEEEEPS5_jNS1_19radix_merge_compareILb0ELb0EyNS0_19identity_decomposerEEEEE10hipError_tT0_T1_T2_jT3_P12ihipStream_tbPNSt15iterator_traitsISK_E10value_typeEPNSQ_ISL_E10value_typeEPSM_NS1_7vsmem_tEENKUlT_SK_SL_SM_E_clIPySE_SF_SF_EESJ_SZ_SK_SL_SM_EUlSZ_E_NS1_11comp_targetILNS1_3genE4ELNS1_11target_archE910ELNS1_3gpuE8ELNS1_3repE0EEENS1_48merge_mergepath_partition_config_static_selectorELNS0_4arch9wavefront6targetE1EEEvSL_,"axG",@progbits,_ZN7rocprim17ROCPRIM_400000_NS6detail17trampoline_kernelINS0_14default_configENS1_38merge_sort_block_merge_config_selectorIyNS0_10empty_typeEEEZZNS1_27merge_sort_block_merge_implIS3_N6thrust23THRUST_200600_302600_NS6detail15normal_iteratorINS9_10device_ptrIyEEEEPS5_jNS1_19radix_merge_compareILb0ELb0EyNS0_19identity_decomposerEEEEE10hipError_tT0_T1_T2_jT3_P12ihipStream_tbPNSt15iterator_traitsISK_E10value_typeEPNSQ_ISL_E10value_typeEPSM_NS1_7vsmem_tEENKUlT_SK_SL_SM_E_clIPySE_SF_SF_EESJ_SZ_SK_SL_SM_EUlSZ_E_NS1_11comp_targetILNS1_3genE4ELNS1_11target_archE910ELNS1_3gpuE8ELNS1_3repE0EEENS1_48merge_mergepath_partition_config_static_selectorELNS0_4arch9wavefront6targetE1EEEvSL_,comdat
.Lfunc_end727:
	.size	_ZN7rocprim17ROCPRIM_400000_NS6detail17trampoline_kernelINS0_14default_configENS1_38merge_sort_block_merge_config_selectorIyNS0_10empty_typeEEEZZNS1_27merge_sort_block_merge_implIS3_N6thrust23THRUST_200600_302600_NS6detail15normal_iteratorINS9_10device_ptrIyEEEEPS5_jNS1_19radix_merge_compareILb0ELb0EyNS0_19identity_decomposerEEEEE10hipError_tT0_T1_T2_jT3_P12ihipStream_tbPNSt15iterator_traitsISK_E10value_typeEPNSQ_ISL_E10value_typeEPSM_NS1_7vsmem_tEENKUlT_SK_SL_SM_E_clIPySE_SF_SF_EESJ_SZ_SK_SL_SM_EUlSZ_E_NS1_11comp_targetILNS1_3genE4ELNS1_11target_archE910ELNS1_3gpuE8ELNS1_3repE0EEENS1_48merge_mergepath_partition_config_static_selectorELNS0_4arch9wavefront6targetE1EEEvSL_, .Lfunc_end727-_ZN7rocprim17ROCPRIM_400000_NS6detail17trampoline_kernelINS0_14default_configENS1_38merge_sort_block_merge_config_selectorIyNS0_10empty_typeEEEZZNS1_27merge_sort_block_merge_implIS3_N6thrust23THRUST_200600_302600_NS6detail15normal_iteratorINS9_10device_ptrIyEEEEPS5_jNS1_19radix_merge_compareILb0ELb0EyNS0_19identity_decomposerEEEEE10hipError_tT0_T1_T2_jT3_P12ihipStream_tbPNSt15iterator_traitsISK_E10value_typeEPNSQ_ISL_E10value_typeEPSM_NS1_7vsmem_tEENKUlT_SK_SL_SM_E_clIPySE_SF_SF_EESJ_SZ_SK_SL_SM_EUlSZ_E_NS1_11comp_targetILNS1_3genE4ELNS1_11target_archE910ELNS1_3gpuE8ELNS1_3repE0EEENS1_48merge_mergepath_partition_config_static_selectorELNS0_4arch9wavefront6targetE1EEEvSL_
                                        ; -- End function
	.section	.AMDGPU.csdata,"",@progbits
; Kernel info:
; codeLenInByte = 360
; NumSgprs: 12
; NumVgprs: 20
; NumAgprs: 0
; TotalNumVgprs: 20
; ScratchSize: 0
; MemoryBound: 0
; FloatMode: 240
; IeeeMode: 1
; LDSByteSize: 0 bytes/workgroup (compile time only)
; SGPRBlocks: 1
; VGPRBlocks: 2
; NumSGPRsForWavesPerEU: 12
; NumVGPRsForWavesPerEU: 20
; AccumOffset: 20
; Occupancy: 8
; WaveLimiterHint : 0
; COMPUTE_PGM_RSRC2:SCRATCH_EN: 0
; COMPUTE_PGM_RSRC2:USER_SGPR: 6
; COMPUTE_PGM_RSRC2:TRAP_HANDLER: 0
; COMPUTE_PGM_RSRC2:TGID_X_EN: 1
; COMPUTE_PGM_RSRC2:TGID_Y_EN: 0
; COMPUTE_PGM_RSRC2:TGID_Z_EN: 0
; COMPUTE_PGM_RSRC2:TIDIG_COMP_CNT: 0
; COMPUTE_PGM_RSRC3_GFX90A:ACCUM_OFFSET: 4
; COMPUTE_PGM_RSRC3_GFX90A:TG_SPLIT: 0
	.section	.text._ZN7rocprim17ROCPRIM_400000_NS6detail17trampoline_kernelINS0_14default_configENS1_38merge_sort_block_merge_config_selectorIyNS0_10empty_typeEEEZZNS1_27merge_sort_block_merge_implIS3_N6thrust23THRUST_200600_302600_NS6detail15normal_iteratorINS9_10device_ptrIyEEEEPS5_jNS1_19radix_merge_compareILb0ELb0EyNS0_19identity_decomposerEEEEE10hipError_tT0_T1_T2_jT3_P12ihipStream_tbPNSt15iterator_traitsISK_E10value_typeEPNSQ_ISL_E10value_typeEPSM_NS1_7vsmem_tEENKUlT_SK_SL_SM_E_clIPySE_SF_SF_EESJ_SZ_SK_SL_SM_EUlSZ_E_NS1_11comp_targetILNS1_3genE3ELNS1_11target_archE908ELNS1_3gpuE7ELNS1_3repE0EEENS1_48merge_mergepath_partition_config_static_selectorELNS0_4arch9wavefront6targetE1EEEvSL_,"axG",@progbits,_ZN7rocprim17ROCPRIM_400000_NS6detail17trampoline_kernelINS0_14default_configENS1_38merge_sort_block_merge_config_selectorIyNS0_10empty_typeEEEZZNS1_27merge_sort_block_merge_implIS3_N6thrust23THRUST_200600_302600_NS6detail15normal_iteratorINS9_10device_ptrIyEEEEPS5_jNS1_19radix_merge_compareILb0ELb0EyNS0_19identity_decomposerEEEEE10hipError_tT0_T1_T2_jT3_P12ihipStream_tbPNSt15iterator_traitsISK_E10value_typeEPNSQ_ISL_E10value_typeEPSM_NS1_7vsmem_tEENKUlT_SK_SL_SM_E_clIPySE_SF_SF_EESJ_SZ_SK_SL_SM_EUlSZ_E_NS1_11comp_targetILNS1_3genE3ELNS1_11target_archE908ELNS1_3gpuE7ELNS1_3repE0EEENS1_48merge_mergepath_partition_config_static_selectorELNS0_4arch9wavefront6targetE1EEEvSL_,comdat
	.protected	_ZN7rocprim17ROCPRIM_400000_NS6detail17trampoline_kernelINS0_14default_configENS1_38merge_sort_block_merge_config_selectorIyNS0_10empty_typeEEEZZNS1_27merge_sort_block_merge_implIS3_N6thrust23THRUST_200600_302600_NS6detail15normal_iteratorINS9_10device_ptrIyEEEEPS5_jNS1_19radix_merge_compareILb0ELb0EyNS0_19identity_decomposerEEEEE10hipError_tT0_T1_T2_jT3_P12ihipStream_tbPNSt15iterator_traitsISK_E10value_typeEPNSQ_ISL_E10value_typeEPSM_NS1_7vsmem_tEENKUlT_SK_SL_SM_E_clIPySE_SF_SF_EESJ_SZ_SK_SL_SM_EUlSZ_E_NS1_11comp_targetILNS1_3genE3ELNS1_11target_archE908ELNS1_3gpuE7ELNS1_3repE0EEENS1_48merge_mergepath_partition_config_static_selectorELNS0_4arch9wavefront6targetE1EEEvSL_ ; -- Begin function _ZN7rocprim17ROCPRIM_400000_NS6detail17trampoline_kernelINS0_14default_configENS1_38merge_sort_block_merge_config_selectorIyNS0_10empty_typeEEEZZNS1_27merge_sort_block_merge_implIS3_N6thrust23THRUST_200600_302600_NS6detail15normal_iteratorINS9_10device_ptrIyEEEEPS5_jNS1_19radix_merge_compareILb0ELb0EyNS0_19identity_decomposerEEEEE10hipError_tT0_T1_T2_jT3_P12ihipStream_tbPNSt15iterator_traitsISK_E10value_typeEPNSQ_ISL_E10value_typeEPSM_NS1_7vsmem_tEENKUlT_SK_SL_SM_E_clIPySE_SF_SF_EESJ_SZ_SK_SL_SM_EUlSZ_E_NS1_11comp_targetILNS1_3genE3ELNS1_11target_archE908ELNS1_3gpuE7ELNS1_3repE0EEENS1_48merge_mergepath_partition_config_static_selectorELNS0_4arch9wavefront6targetE1EEEvSL_
	.globl	_ZN7rocprim17ROCPRIM_400000_NS6detail17trampoline_kernelINS0_14default_configENS1_38merge_sort_block_merge_config_selectorIyNS0_10empty_typeEEEZZNS1_27merge_sort_block_merge_implIS3_N6thrust23THRUST_200600_302600_NS6detail15normal_iteratorINS9_10device_ptrIyEEEEPS5_jNS1_19radix_merge_compareILb0ELb0EyNS0_19identity_decomposerEEEEE10hipError_tT0_T1_T2_jT3_P12ihipStream_tbPNSt15iterator_traitsISK_E10value_typeEPNSQ_ISL_E10value_typeEPSM_NS1_7vsmem_tEENKUlT_SK_SL_SM_E_clIPySE_SF_SF_EESJ_SZ_SK_SL_SM_EUlSZ_E_NS1_11comp_targetILNS1_3genE3ELNS1_11target_archE908ELNS1_3gpuE7ELNS1_3repE0EEENS1_48merge_mergepath_partition_config_static_selectorELNS0_4arch9wavefront6targetE1EEEvSL_
	.p2align	8
	.type	_ZN7rocprim17ROCPRIM_400000_NS6detail17trampoline_kernelINS0_14default_configENS1_38merge_sort_block_merge_config_selectorIyNS0_10empty_typeEEEZZNS1_27merge_sort_block_merge_implIS3_N6thrust23THRUST_200600_302600_NS6detail15normal_iteratorINS9_10device_ptrIyEEEEPS5_jNS1_19radix_merge_compareILb0ELb0EyNS0_19identity_decomposerEEEEE10hipError_tT0_T1_T2_jT3_P12ihipStream_tbPNSt15iterator_traitsISK_E10value_typeEPNSQ_ISL_E10value_typeEPSM_NS1_7vsmem_tEENKUlT_SK_SL_SM_E_clIPySE_SF_SF_EESJ_SZ_SK_SL_SM_EUlSZ_E_NS1_11comp_targetILNS1_3genE3ELNS1_11target_archE908ELNS1_3gpuE7ELNS1_3repE0EEENS1_48merge_mergepath_partition_config_static_selectorELNS0_4arch9wavefront6targetE1EEEvSL_,@function
_ZN7rocprim17ROCPRIM_400000_NS6detail17trampoline_kernelINS0_14default_configENS1_38merge_sort_block_merge_config_selectorIyNS0_10empty_typeEEEZZNS1_27merge_sort_block_merge_implIS3_N6thrust23THRUST_200600_302600_NS6detail15normal_iteratorINS9_10device_ptrIyEEEEPS5_jNS1_19radix_merge_compareILb0ELb0EyNS0_19identity_decomposerEEEEE10hipError_tT0_T1_T2_jT3_P12ihipStream_tbPNSt15iterator_traitsISK_E10value_typeEPNSQ_ISL_E10value_typeEPSM_NS1_7vsmem_tEENKUlT_SK_SL_SM_E_clIPySE_SF_SF_EESJ_SZ_SK_SL_SM_EUlSZ_E_NS1_11comp_targetILNS1_3genE3ELNS1_11target_archE908ELNS1_3gpuE7ELNS1_3repE0EEENS1_48merge_mergepath_partition_config_static_selectorELNS0_4arch9wavefront6targetE1EEEvSL_: ; @_ZN7rocprim17ROCPRIM_400000_NS6detail17trampoline_kernelINS0_14default_configENS1_38merge_sort_block_merge_config_selectorIyNS0_10empty_typeEEEZZNS1_27merge_sort_block_merge_implIS3_N6thrust23THRUST_200600_302600_NS6detail15normal_iteratorINS9_10device_ptrIyEEEEPS5_jNS1_19radix_merge_compareILb0ELb0EyNS0_19identity_decomposerEEEEE10hipError_tT0_T1_T2_jT3_P12ihipStream_tbPNSt15iterator_traitsISK_E10value_typeEPNSQ_ISL_E10value_typeEPSM_NS1_7vsmem_tEENKUlT_SK_SL_SM_E_clIPySE_SF_SF_EESJ_SZ_SK_SL_SM_EUlSZ_E_NS1_11comp_targetILNS1_3genE3ELNS1_11target_archE908ELNS1_3gpuE7ELNS1_3repE0EEENS1_48merge_mergepath_partition_config_static_selectorELNS0_4arch9wavefront6targetE1EEEvSL_
; %bb.0:
	.section	.rodata,"a",@progbits
	.p2align	6, 0x0
	.amdhsa_kernel _ZN7rocprim17ROCPRIM_400000_NS6detail17trampoline_kernelINS0_14default_configENS1_38merge_sort_block_merge_config_selectorIyNS0_10empty_typeEEEZZNS1_27merge_sort_block_merge_implIS3_N6thrust23THRUST_200600_302600_NS6detail15normal_iteratorINS9_10device_ptrIyEEEEPS5_jNS1_19radix_merge_compareILb0ELb0EyNS0_19identity_decomposerEEEEE10hipError_tT0_T1_T2_jT3_P12ihipStream_tbPNSt15iterator_traitsISK_E10value_typeEPNSQ_ISL_E10value_typeEPSM_NS1_7vsmem_tEENKUlT_SK_SL_SM_E_clIPySE_SF_SF_EESJ_SZ_SK_SL_SM_EUlSZ_E_NS1_11comp_targetILNS1_3genE3ELNS1_11target_archE908ELNS1_3gpuE7ELNS1_3repE0EEENS1_48merge_mergepath_partition_config_static_selectorELNS0_4arch9wavefront6targetE1EEEvSL_
		.amdhsa_group_segment_fixed_size 0
		.amdhsa_private_segment_fixed_size 0
		.amdhsa_kernarg_size 40
		.amdhsa_user_sgpr_count 6
		.amdhsa_user_sgpr_private_segment_buffer 1
		.amdhsa_user_sgpr_dispatch_ptr 0
		.amdhsa_user_sgpr_queue_ptr 0
		.amdhsa_user_sgpr_kernarg_segment_ptr 1
		.amdhsa_user_sgpr_dispatch_id 0
		.amdhsa_user_sgpr_flat_scratch_init 0
		.amdhsa_user_sgpr_kernarg_preload_length 0
		.amdhsa_user_sgpr_kernarg_preload_offset 0
		.amdhsa_user_sgpr_private_segment_size 0
		.amdhsa_uses_dynamic_stack 0
		.amdhsa_system_sgpr_private_segment_wavefront_offset 0
		.amdhsa_system_sgpr_workgroup_id_x 1
		.amdhsa_system_sgpr_workgroup_id_y 0
		.amdhsa_system_sgpr_workgroup_id_z 0
		.amdhsa_system_sgpr_workgroup_info 0
		.amdhsa_system_vgpr_workitem_id 0
		.amdhsa_next_free_vgpr 1
		.amdhsa_next_free_sgpr 0
		.amdhsa_accum_offset 4
		.amdhsa_reserve_vcc 0
		.amdhsa_reserve_flat_scratch 0
		.amdhsa_float_round_mode_32 0
		.amdhsa_float_round_mode_16_64 0
		.amdhsa_float_denorm_mode_32 3
		.amdhsa_float_denorm_mode_16_64 3
		.amdhsa_dx10_clamp 1
		.amdhsa_ieee_mode 1
		.amdhsa_fp16_overflow 0
		.amdhsa_tg_split 0
		.amdhsa_exception_fp_ieee_invalid_op 0
		.amdhsa_exception_fp_denorm_src 0
		.amdhsa_exception_fp_ieee_div_zero 0
		.amdhsa_exception_fp_ieee_overflow 0
		.amdhsa_exception_fp_ieee_underflow 0
		.amdhsa_exception_fp_ieee_inexact 0
		.amdhsa_exception_int_div_zero 0
	.end_amdhsa_kernel
	.section	.text._ZN7rocprim17ROCPRIM_400000_NS6detail17trampoline_kernelINS0_14default_configENS1_38merge_sort_block_merge_config_selectorIyNS0_10empty_typeEEEZZNS1_27merge_sort_block_merge_implIS3_N6thrust23THRUST_200600_302600_NS6detail15normal_iteratorINS9_10device_ptrIyEEEEPS5_jNS1_19radix_merge_compareILb0ELb0EyNS0_19identity_decomposerEEEEE10hipError_tT0_T1_T2_jT3_P12ihipStream_tbPNSt15iterator_traitsISK_E10value_typeEPNSQ_ISL_E10value_typeEPSM_NS1_7vsmem_tEENKUlT_SK_SL_SM_E_clIPySE_SF_SF_EESJ_SZ_SK_SL_SM_EUlSZ_E_NS1_11comp_targetILNS1_3genE3ELNS1_11target_archE908ELNS1_3gpuE7ELNS1_3repE0EEENS1_48merge_mergepath_partition_config_static_selectorELNS0_4arch9wavefront6targetE1EEEvSL_,"axG",@progbits,_ZN7rocprim17ROCPRIM_400000_NS6detail17trampoline_kernelINS0_14default_configENS1_38merge_sort_block_merge_config_selectorIyNS0_10empty_typeEEEZZNS1_27merge_sort_block_merge_implIS3_N6thrust23THRUST_200600_302600_NS6detail15normal_iteratorINS9_10device_ptrIyEEEEPS5_jNS1_19radix_merge_compareILb0ELb0EyNS0_19identity_decomposerEEEEE10hipError_tT0_T1_T2_jT3_P12ihipStream_tbPNSt15iterator_traitsISK_E10value_typeEPNSQ_ISL_E10value_typeEPSM_NS1_7vsmem_tEENKUlT_SK_SL_SM_E_clIPySE_SF_SF_EESJ_SZ_SK_SL_SM_EUlSZ_E_NS1_11comp_targetILNS1_3genE3ELNS1_11target_archE908ELNS1_3gpuE7ELNS1_3repE0EEENS1_48merge_mergepath_partition_config_static_selectorELNS0_4arch9wavefront6targetE1EEEvSL_,comdat
.Lfunc_end728:
	.size	_ZN7rocprim17ROCPRIM_400000_NS6detail17trampoline_kernelINS0_14default_configENS1_38merge_sort_block_merge_config_selectorIyNS0_10empty_typeEEEZZNS1_27merge_sort_block_merge_implIS3_N6thrust23THRUST_200600_302600_NS6detail15normal_iteratorINS9_10device_ptrIyEEEEPS5_jNS1_19radix_merge_compareILb0ELb0EyNS0_19identity_decomposerEEEEE10hipError_tT0_T1_T2_jT3_P12ihipStream_tbPNSt15iterator_traitsISK_E10value_typeEPNSQ_ISL_E10value_typeEPSM_NS1_7vsmem_tEENKUlT_SK_SL_SM_E_clIPySE_SF_SF_EESJ_SZ_SK_SL_SM_EUlSZ_E_NS1_11comp_targetILNS1_3genE3ELNS1_11target_archE908ELNS1_3gpuE7ELNS1_3repE0EEENS1_48merge_mergepath_partition_config_static_selectorELNS0_4arch9wavefront6targetE1EEEvSL_, .Lfunc_end728-_ZN7rocprim17ROCPRIM_400000_NS6detail17trampoline_kernelINS0_14default_configENS1_38merge_sort_block_merge_config_selectorIyNS0_10empty_typeEEEZZNS1_27merge_sort_block_merge_implIS3_N6thrust23THRUST_200600_302600_NS6detail15normal_iteratorINS9_10device_ptrIyEEEEPS5_jNS1_19radix_merge_compareILb0ELb0EyNS0_19identity_decomposerEEEEE10hipError_tT0_T1_T2_jT3_P12ihipStream_tbPNSt15iterator_traitsISK_E10value_typeEPNSQ_ISL_E10value_typeEPSM_NS1_7vsmem_tEENKUlT_SK_SL_SM_E_clIPySE_SF_SF_EESJ_SZ_SK_SL_SM_EUlSZ_E_NS1_11comp_targetILNS1_3genE3ELNS1_11target_archE908ELNS1_3gpuE7ELNS1_3repE0EEENS1_48merge_mergepath_partition_config_static_selectorELNS0_4arch9wavefront6targetE1EEEvSL_
                                        ; -- End function
	.section	.AMDGPU.csdata,"",@progbits
; Kernel info:
; codeLenInByte = 0
; NumSgprs: 4
; NumVgprs: 0
; NumAgprs: 0
; TotalNumVgprs: 0
; ScratchSize: 0
; MemoryBound: 0
; FloatMode: 240
; IeeeMode: 1
; LDSByteSize: 0 bytes/workgroup (compile time only)
; SGPRBlocks: 0
; VGPRBlocks: 0
; NumSGPRsForWavesPerEU: 4
; NumVGPRsForWavesPerEU: 1
; AccumOffset: 4
; Occupancy: 8
; WaveLimiterHint : 0
; COMPUTE_PGM_RSRC2:SCRATCH_EN: 0
; COMPUTE_PGM_RSRC2:USER_SGPR: 6
; COMPUTE_PGM_RSRC2:TRAP_HANDLER: 0
; COMPUTE_PGM_RSRC2:TGID_X_EN: 1
; COMPUTE_PGM_RSRC2:TGID_Y_EN: 0
; COMPUTE_PGM_RSRC2:TGID_Z_EN: 0
; COMPUTE_PGM_RSRC2:TIDIG_COMP_CNT: 0
; COMPUTE_PGM_RSRC3_GFX90A:ACCUM_OFFSET: 0
; COMPUTE_PGM_RSRC3_GFX90A:TG_SPLIT: 0
	.section	.text._ZN7rocprim17ROCPRIM_400000_NS6detail17trampoline_kernelINS0_14default_configENS1_38merge_sort_block_merge_config_selectorIyNS0_10empty_typeEEEZZNS1_27merge_sort_block_merge_implIS3_N6thrust23THRUST_200600_302600_NS6detail15normal_iteratorINS9_10device_ptrIyEEEEPS5_jNS1_19radix_merge_compareILb0ELb0EyNS0_19identity_decomposerEEEEE10hipError_tT0_T1_T2_jT3_P12ihipStream_tbPNSt15iterator_traitsISK_E10value_typeEPNSQ_ISL_E10value_typeEPSM_NS1_7vsmem_tEENKUlT_SK_SL_SM_E_clIPySE_SF_SF_EESJ_SZ_SK_SL_SM_EUlSZ_E_NS1_11comp_targetILNS1_3genE2ELNS1_11target_archE906ELNS1_3gpuE6ELNS1_3repE0EEENS1_48merge_mergepath_partition_config_static_selectorELNS0_4arch9wavefront6targetE1EEEvSL_,"axG",@progbits,_ZN7rocprim17ROCPRIM_400000_NS6detail17trampoline_kernelINS0_14default_configENS1_38merge_sort_block_merge_config_selectorIyNS0_10empty_typeEEEZZNS1_27merge_sort_block_merge_implIS3_N6thrust23THRUST_200600_302600_NS6detail15normal_iteratorINS9_10device_ptrIyEEEEPS5_jNS1_19radix_merge_compareILb0ELb0EyNS0_19identity_decomposerEEEEE10hipError_tT0_T1_T2_jT3_P12ihipStream_tbPNSt15iterator_traitsISK_E10value_typeEPNSQ_ISL_E10value_typeEPSM_NS1_7vsmem_tEENKUlT_SK_SL_SM_E_clIPySE_SF_SF_EESJ_SZ_SK_SL_SM_EUlSZ_E_NS1_11comp_targetILNS1_3genE2ELNS1_11target_archE906ELNS1_3gpuE6ELNS1_3repE0EEENS1_48merge_mergepath_partition_config_static_selectorELNS0_4arch9wavefront6targetE1EEEvSL_,comdat
	.protected	_ZN7rocprim17ROCPRIM_400000_NS6detail17trampoline_kernelINS0_14default_configENS1_38merge_sort_block_merge_config_selectorIyNS0_10empty_typeEEEZZNS1_27merge_sort_block_merge_implIS3_N6thrust23THRUST_200600_302600_NS6detail15normal_iteratorINS9_10device_ptrIyEEEEPS5_jNS1_19radix_merge_compareILb0ELb0EyNS0_19identity_decomposerEEEEE10hipError_tT0_T1_T2_jT3_P12ihipStream_tbPNSt15iterator_traitsISK_E10value_typeEPNSQ_ISL_E10value_typeEPSM_NS1_7vsmem_tEENKUlT_SK_SL_SM_E_clIPySE_SF_SF_EESJ_SZ_SK_SL_SM_EUlSZ_E_NS1_11comp_targetILNS1_3genE2ELNS1_11target_archE906ELNS1_3gpuE6ELNS1_3repE0EEENS1_48merge_mergepath_partition_config_static_selectorELNS0_4arch9wavefront6targetE1EEEvSL_ ; -- Begin function _ZN7rocprim17ROCPRIM_400000_NS6detail17trampoline_kernelINS0_14default_configENS1_38merge_sort_block_merge_config_selectorIyNS0_10empty_typeEEEZZNS1_27merge_sort_block_merge_implIS3_N6thrust23THRUST_200600_302600_NS6detail15normal_iteratorINS9_10device_ptrIyEEEEPS5_jNS1_19radix_merge_compareILb0ELb0EyNS0_19identity_decomposerEEEEE10hipError_tT0_T1_T2_jT3_P12ihipStream_tbPNSt15iterator_traitsISK_E10value_typeEPNSQ_ISL_E10value_typeEPSM_NS1_7vsmem_tEENKUlT_SK_SL_SM_E_clIPySE_SF_SF_EESJ_SZ_SK_SL_SM_EUlSZ_E_NS1_11comp_targetILNS1_3genE2ELNS1_11target_archE906ELNS1_3gpuE6ELNS1_3repE0EEENS1_48merge_mergepath_partition_config_static_selectorELNS0_4arch9wavefront6targetE1EEEvSL_
	.globl	_ZN7rocprim17ROCPRIM_400000_NS6detail17trampoline_kernelINS0_14default_configENS1_38merge_sort_block_merge_config_selectorIyNS0_10empty_typeEEEZZNS1_27merge_sort_block_merge_implIS3_N6thrust23THRUST_200600_302600_NS6detail15normal_iteratorINS9_10device_ptrIyEEEEPS5_jNS1_19radix_merge_compareILb0ELb0EyNS0_19identity_decomposerEEEEE10hipError_tT0_T1_T2_jT3_P12ihipStream_tbPNSt15iterator_traitsISK_E10value_typeEPNSQ_ISL_E10value_typeEPSM_NS1_7vsmem_tEENKUlT_SK_SL_SM_E_clIPySE_SF_SF_EESJ_SZ_SK_SL_SM_EUlSZ_E_NS1_11comp_targetILNS1_3genE2ELNS1_11target_archE906ELNS1_3gpuE6ELNS1_3repE0EEENS1_48merge_mergepath_partition_config_static_selectorELNS0_4arch9wavefront6targetE1EEEvSL_
	.p2align	8
	.type	_ZN7rocprim17ROCPRIM_400000_NS6detail17trampoline_kernelINS0_14default_configENS1_38merge_sort_block_merge_config_selectorIyNS0_10empty_typeEEEZZNS1_27merge_sort_block_merge_implIS3_N6thrust23THRUST_200600_302600_NS6detail15normal_iteratorINS9_10device_ptrIyEEEEPS5_jNS1_19radix_merge_compareILb0ELb0EyNS0_19identity_decomposerEEEEE10hipError_tT0_T1_T2_jT3_P12ihipStream_tbPNSt15iterator_traitsISK_E10value_typeEPNSQ_ISL_E10value_typeEPSM_NS1_7vsmem_tEENKUlT_SK_SL_SM_E_clIPySE_SF_SF_EESJ_SZ_SK_SL_SM_EUlSZ_E_NS1_11comp_targetILNS1_3genE2ELNS1_11target_archE906ELNS1_3gpuE6ELNS1_3repE0EEENS1_48merge_mergepath_partition_config_static_selectorELNS0_4arch9wavefront6targetE1EEEvSL_,@function
_ZN7rocprim17ROCPRIM_400000_NS6detail17trampoline_kernelINS0_14default_configENS1_38merge_sort_block_merge_config_selectorIyNS0_10empty_typeEEEZZNS1_27merge_sort_block_merge_implIS3_N6thrust23THRUST_200600_302600_NS6detail15normal_iteratorINS9_10device_ptrIyEEEEPS5_jNS1_19radix_merge_compareILb0ELb0EyNS0_19identity_decomposerEEEEE10hipError_tT0_T1_T2_jT3_P12ihipStream_tbPNSt15iterator_traitsISK_E10value_typeEPNSQ_ISL_E10value_typeEPSM_NS1_7vsmem_tEENKUlT_SK_SL_SM_E_clIPySE_SF_SF_EESJ_SZ_SK_SL_SM_EUlSZ_E_NS1_11comp_targetILNS1_3genE2ELNS1_11target_archE906ELNS1_3gpuE6ELNS1_3repE0EEENS1_48merge_mergepath_partition_config_static_selectorELNS0_4arch9wavefront6targetE1EEEvSL_: ; @_ZN7rocprim17ROCPRIM_400000_NS6detail17trampoline_kernelINS0_14default_configENS1_38merge_sort_block_merge_config_selectorIyNS0_10empty_typeEEEZZNS1_27merge_sort_block_merge_implIS3_N6thrust23THRUST_200600_302600_NS6detail15normal_iteratorINS9_10device_ptrIyEEEEPS5_jNS1_19radix_merge_compareILb0ELb0EyNS0_19identity_decomposerEEEEE10hipError_tT0_T1_T2_jT3_P12ihipStream_tbPNSt15iterator_traitsISK_E10value_typeEPNSQ_ISL_E10value_typeEPSM_NS1_7vsmem_tEENKUlT_SK_SL_SM_E_clIPySE_SF_SF_EESJ_SZ_SK_SL_SM_EUlSZ_E_NS1_11comp_targetILNS1_3genE2ELNS1_11target_archE906ELNS1_3gpuE6ELNS1_3repE0EEENS1_48merge_mergepath_partition_config_static_selectorELNS0_4arch9wavefront6targetE1EEEvSL_
; %bb.0:
	.section	.rodata,"a",@progbits
	.p2align	6, 0x0
	.amdhsa_kernel _ZN7rocprim17ROCPRIM_400000_NS6detail17trampoline_kernelINS0_14default_configENS1_38merge_sort_block_merge_config_selectorIyNS0_10empty_typeEEEZZNS1_27merge_sort_block_merge_implIS3_N6thrust23THRUST_200600_302600_NS6detail15normal_iteratorINS9_10device_ptrIyEEEEPS5_jNS1_19radix_merge_compareILb0ELb0EyNS0_19identity_decomposerEEEEE10hipError_tT0_T1_T2_jT3_P12ihipStream_tbPNSt15iterator_traitsISK_E10value_typeEPNSQ_ISL_E10value_typeEPSM_NS1_7vsmem_tEENKUlT_SK_SL_SM_E_clIPySE_SF_SF_EESJ_SZ_SK_SL_SM_EUlSZ_E_NS1_11comp_targetILNS1_3genE2ELNS1_11target_archE906ELNS1_3gpuE6ELNS1_3repE0EEENS1_48merge_mergepath_partition_config_static_selectorELNS0_4arch9wavefront6targetE1EEEvSL_
		.amdhsa_group_segment_fixed_size 0
		.amdhsa_private_segment_fixed_size 0
		.amdhsa_kernarg_size 40
		.amdhsa_user_sgpr_count 6
		.amdhsa_user_sgpr_private_segment_buffer 1
		.amdhsa_user_sgpr_dispatch_ptr 0
		.amdhsa_user_sgpr_queue_ptr 0
		.amdhsa_user_sgpr_kernarg_segment_ptr 1
		.amdhsa_user_sgpr_dispatch_id 0
		.amdhsa_user_sgpr_flat_scratch_init 0
		.amdhsa_user_sgpr_kernarg_preload_length 0
		.amdhsa_user_sgpr_kernarg_preload_offset 0
		.amdhsa_user_sgpr_private_segment_size 0
		.amdhsa_uses_dynamic_stack 0
		.amdhsa_system_sgpr_private_segment_wavefront_offset 0
		.amdhsa_system_sgpr_workgroup_id_x 1
		.amdhsa_system_sgpr_workgroup_id_y 0
		.amdhsa_system_sgpr_workgroup_id_z 0
		.amdhsa_system_sgpr_workgroup_info 0
		.amdhsa_system_vgpr_workitem_id 0
		.amdhsa_next_free_vgpr 1
		.amdhsa_next_free_sgpr 0
		.amdhsa_accum_offset 4
		.amdhsa_reserve_vcc 0
		.amdhsa_reserve_flat_scratch 0
		.amdhsa_float_round_mode_32 0
		.amdhsa_float_round_mode_16_64 0
		.amdhsa_float_denorm_mode_32 3
		.amdhsa_float_denorm_mode_16_64 3
		.amdhsa_dx10_clamp 1
		.amdhsa_ieee_mode 1
		.amdhsa_fp16_overflow 0
		.amdhsa_tg_split 0
		.amdhsa_exception_fp_ieee_invalid_op 0
		.amdhsa_exception_fp_denorm_src 0
		.amdhsa_exception_fp_ieee_div_zero 0
		.amdhsa_exception_fp_ieee_overflow 0
		.amdhsa_exception_fp_ieee_underflow 0
		.amdhsa_exception_fp_ieee_inexact 0
		.amdhsa_exception_int_div_zero 0
	.end_amdhsa_kernel
	.section	.text._ZN7rocprim17ROCPRIM_400000_NS6detail17trampoline_kernelINS0_14default_configENS1_38merge_sort_block_merge_config_selectorIyNS0_10empty_typeEEEZZNS1_27merge_sort_block_merge_implIS3_N6thrust23THRUST_200600_302600_NS6detail15normal_iteratorINS9_10device_ptrIyEEEEPS5_jNS1_19radix_merge_compareILb0ELb0EyNS0_19identity_decomposerEEEEE10hipError_tT0_T1_T2_jT3_P12ihipStream_tbPNSt15iterator_traitsISK_E10value_typeEPNSQ_ISL_E10value_typeEPSM_NS1_7vsmem_tEENKUlT_SK_SL_SM_E_clIPySE_SF_SF_EESJ_SZ_SK_SL_SM_EUlSZ_E_NS1_11comp_targetILNS1_3genE2ELNS1_11target_archE906ELNS1_3gpuE6ELNS1_3repE0EEENS1_48merge_mergepath_partition_config_static_selectorELNS0_4arch9wavefront6targetE1EEEvSL_,"axG",@progbits,_ZN7rocprim17ROCPRIM_400000_NS6detail17trampoline_kernelINS0_14default_configENS1_38merge_sort_block_merge_config_selectorIyNS0_10empty_typeEEEZZNS1_27merge_sort_block_merge_implIS3_N6thrust23THRUST_200600_302600_NS6detail15normal_iteratorINS9_10device_ptrIyEEEEPS5_jNS1_19radix_merge_compareILb0ELb0EyNS0_19identity_decomposerEEEEE10hipError_tT0_T1_T2_jT3_P12ihipStream_tbPNSt15iterator_traitsISK_E10value_typeEPNSQ_ISL_E10value_typeEPSM_NS1_7vsmem_tEENKUlT_SK_SL_SM_E_clIPySE_SF_SF_EESJ_SZ_SK_SL_SM_EUlSZ_E_NS1_11comp_targetILNS1_3genE2ELNS1_11target_archE906ELNS1_3gpuE6ELNS1_3repE0EEENS1_48merge_mergepath_partition_config_static_selectorELNS0_4arch9wavefront6targetE1EEEvSL_,comdat
.Lfunc_end729:
	.size	_ZN7rocprim17ROCPRIM_400000_NS6detail17trampoline_kernelINS0_14default_configENS1_38merge_sort_block_merge_config_selectorIyNS0_10empty_typeEEEZZNS1_27merge_sort_block_merge_implIS3_N6thrust23THRUST_200600_302600_NS6detail15normal_iteratorINS9_10device_ptrIyEEEEPS5_jNS1_19radix_merge_compareILb0ELb0EyNS0_19identity_decomposerEEEEE10hipError_tT0_T1_T2_jT3_P12ihipStream_tbPNSt15iterator_traitsISK_E10value_typeEPNSQ_ISL_E10value_typeEPSM_NS1_7vsmem_tEENKUlT_SK_SL_SM_E_clIPySE_SF_SF_EESJ_SZ_SK_SL_SM_EUlSZ_E_NS1_11comp_targetILNS1_3genE2ELNS1_11target_archE906ELNS1_3gpuE6ELNS1_3repE0EEENS1_48merge_mergepath_partition_config_static_selectorELNS0_4arch9wavefront6targetE1EEEvSL_, .Lfunc_end729-_ZN7rocprim17ROCPRIM_400000_NS6detail17trampoline_kernelINS0_14default_configENS1_38merge_sort_block_merge_config_selectorIyNS0_10empty_typeEEEZZNS1_27merge_sort_block_merge_implIS3_N6thrust23THRUST_200600_302600_NS6detail15normal_iteratorINS9_10device_ptrIyEEEEPS5_jNS1_19radix_merge_compareILb0ELb0EyNS0_19identity_decomposerEEEEE10hipError_tT0_T1_T2_jT3_P12ihipStream_tbPNSt15iterator_traitsISK_E10value_typeEPNSQ_ISL_E10value_typeEPSM_NS1_7vsmem_tEENKUlT_SK_SL_SM_E_clIPySE_SF_SF_EESJ_SZ_SK_SL_SM_EUlSZ_E_NS1_11comp_targetILNS1_3genE2ELNS1_11target_archE906ELNS1_3gpuE6ELNS1_3repE0EEENS1_48merge_mergepath_partition_config_static_selectorELNS0_4arch9wavefront6targetE1EEEvSL_
                                        ; -- End function
	.section	.AMDGPU.csdata,"",@progbits
; Kernel info:
; codeLenInByte = 0
; NumSgprs: 4
; NumVgprs: 0
; NumAgprs: 0
; TotalNumVgprs: 0
; ScratchSize: 0
; MemoryBound: 0
; FloatMode: 240
; IeeeMode: 1
; LDSByteSize: 0 bytes/workgroup (compile time only)
; SGPRBlocks: 0
; VGPRBlocks: 0
; NumSGPRsForWavesPerEU: 4
; NumVGPRsForWavesPerEU: 1
; AccumOffset: 4
; Occupancy: 8
; WaveLimiterHint : 0
; COMPUTE_PGM_RSRC2:SCRATCH_EN: 0
; COMPUTE_PGM_RSRC2:USER_SGPR: 6
; COMPUTE_PGM_RSRC2:TRAP_HANDLER: 0
; COMPUTE_PGM_RSRC2:TGID_X_EN: 1
; COMPUTE_PGM_RSRC2:TGID_Y_EN: 0
; COMPUTE_PGM_RSRC2:TGID_Z_EN: 0
; COMPUTE_PGM_RSRC2:TIDIG_COMP_CNT: 0
; COMPUTE_PGM_RSRC3_GFX90A:ACCUM_OFFSET: 0
; COMPUTE_PGM_RSRC3_GFX90A:TG_SPLIT: 0
	.section	.text._ZN7rocprim17ROCPRIM_400000_NS6detail17trampoline_kernelINS0_14default_configENS1_38merge_sort_block_merge_config_selectorIyNS0_10empty_typeEEEZZNS1_27merge_sort_block_merge_implIS3_N6thrust23THRUST_200600_302600_NS6detail15normal_iteratorINS9_10device_ptrIyEEEEPS5_jNS1_19radix_merge_compareILb0ELb0EyNS0_19identity_decomposerEEEEE10hipError_tT0_T1_T2_jT3_P12ihipStream_tbPNSt15iterator_traitsISK_E10value_typeEPNSQ_ISL_E10value_typeEPSM_NS1_7vsmem_tEENKUlT_SK_SL_SM_E_clIPySE_SF_SF_EESJ_SZ_SK_SL_SM_EUlSZ_E_NS1_11comp_targetILNS1_3genE9ELNS1_11target_archE1100ELNS1_3gpuE3ELNS1_3repE0EEENS1_48merge_mergepath_partition_config_static_selectorELNS0_4arch9wavefront6targetE1EEEvSL_,"axG",@progbits,_ZN7rocprim17ROCPRIM_400000_NS6detail17trampoline_kernelINS0_14default_configENS1_38merge_sort_block_merge_config_selectorIyNS0_10empty_typeEEEZZNS1_27merge_sort_block_merge_implIS3_N6thrust23THRUST_200600_302600_NS6detail15normal_iteratorINS9_10device_ptrIyEEEEPS5_jNS1_19radix_merge_compareILb0ELb0EyNS0_19identity_decomposerEEEEE10hipError_tT0_T1_T2_jT3_P12ihipStream_tbPNSt15iterator_traitsISK_E10value_typeEPNSQ_ISL_E10value_typeEPSM_NS1_7vsmem_tEENKUlT_SK_SL_SM_E_clIPySE_SF_SF_EESJ_SZ_SK_SL_SM_EUlSZ_E_NS1_11comp_targetILNS1_3genE9ELNS1_11target_archE1100ELNS1_3gpuE3ELNS1_3repE0EEENS1_48merge_mergepath_partition_config_static_selectorELNS0_4arch9wavefront6targetE1EEEvSL_,comdat
	.protected	_ZN7rocprim17ROCPRIM_400000_NS6detail17trampoline_kernelINS0_14default_configENS1_38merge_sort_block_merge_config_selectorIyNS0_10empty_typeEEEZZNS1_27merge_sort_block_merge_implIS3_N6thrust23THRUST_200600_302600_NS6detail15normal_iteratorINS9_10device_ptrIyEEEEPS5_jNS1_19radix_merge_compareILb0ELb0EyNS0_19identity_decomposerEEEEE10hipError_tT0_T1_T2_jT3_P12ihipStream_tbPNSt15iterator_traitsISK_E10value_typeEPNSQ_ISL_E10value_typeEPSM_NS1_7vsmem_tEENKUlT_SK_SL_SM_E_clIPySE_SF_SF_EESJ_SZ_SK_SL_SM_EUlSZ_E_NS1_11comp_targetILNS1_3genE9ELNS1_11target_archE1100ELNS1_3gpuE3ELNS1_3repE0EEENS1_48merge_mergepath_partition_config_static_selectorELNS0_4arch9wavefront6targetE1EEEvSL_ ; -- Begin function _ZN7rocprim17ROCPRIM_400000_NS6detail17trampoline_kernelINS0_14default_configENS1_38merge_sort_block_merge_config_selectorIyNS0_10empty_typeEEEZZNS1_27merge_sort_block_merge_implIS3_N6thrust23THRUST_200600_302600_NS6detail15normal_iteratorINS9_10device_ptrIyEEEEPS5_jNS1_19radix_merge_compareILb0ELb0EyNS0_19identity_decomposerEEEEE10hipError_tT0_T1_T2_jT3_P12ihipStream_tbPNSt15iterator_traitsISK_E10value_typeEPNSQ_ISL_E10value_typeEPSM_NS1_7vsmem_tEENKUlT_SK_SL_SM_E_clIPySE_SF_SF_EESJ_SZ_SK_SL_SM_EUlSZ_E_NS1_11comp_targetILNS1_3genE9ELNS1_11target_archE1100ELNS1_3gpuE3ELNS1_3repE0EEENS1_48merge_mergepath_partition_config_static_selectorELNS0_4arch9wavefront6targetE1EEEvSL_
	.globl	_ZN7rocprim17ROCPRIM_400000_NS6detail17trampoline_kernelINS0_14default_configENS1_38merge_sort_block_merge_config_selectorIyNS0_10empty_typeEEEZZNS1_27merge_sort_block_merge_implIS3_N6thrust23THRUST_200600_302600_NS6detail15normal_iteratorINS9_10device_ptrIyEEEEPS5_jNS1_19radix_merge_compareILb0ELb0EyNS0_19identity_decomposerEEEEE10hipError_tT0_T1_T2_jT3_P12ihipStream_tbPNSt15iterator_traitsISK_E10value_typeEPNSQ_ISL_E10value_typeEPSM_NS1_7vsmem_tEENKUlT_SK_SL_SM_E_clIPySE_SF_SF_EESJ_SZ_SK_SL_SM_EUlSZ_E_NS1_11comp_targetILNS1_3genE9ELNS1_11target_archE1100ELNS1_3gpuE3ELNS1_3repE0EEENS1_48merge_mergepath_partition_config_static_selectorELNS0_4arch9wavefront6targetE1EEEvSL_
	.p2align	8
	.type	_ZN7rocprim17ROCPRIM_400000_NS6detail17trampoline_kernelINS0_14default_configENS1_38merge_sort_block_merge_config_selectorIyNS0_10empty_typeEEEZZNS1_27merge_sort_block_merge_implIS3_N6thrust23THRUST_200600_302600_NS6detail15normal_iteratorINS9_10device_ptrIyEEEEPS5_jNS1_19radix_merge_compareILb0ELb0EyNS0_19identity_decomposerEEEEE10hipError_tT0_T1_T2_jT3_P12ihipStream_tbPNSt15iterator_traitsISK_E10value_typeEPNSQ_ISL_E10value_typeEPSM_NS1_7vsmem_tEENKUlT_SK_SL_SM_E_clIPySE_SF_SF_EESJ_SZ_SK_SL_SM_EUlSZ_E_NS1_11comp_targetILNS1_3genE9ELNS1_11target_archE1100ELNS1_3gpuE3ELNS1_3repE0EEENS1_48merge_mergepath_partition_config_static_selectorELNS0_4arch9wavefront6targetE1EEEvSL_,@function
_ZN7rocprim17ROCPRIM_400000_NS6detail17trampoline_kernelINS0_14default_configENS1_38merge_sort_block_merge_config_selectorIyNS0_10empty_typeEEEZZNS1_27merge_sort_block_merge_implIS3_N6thrust23THRUST_200600_302600_NS6detail15normal_iteratorINS9_10device_ptrIyEEEEPS5_jNS1_19radix_merge_compareILb0ELb0EyNS0_19identity_decomposerEEEEE10hipError_tT0_T1_T2_jT3_P12ihipStream_tbPNSt15iterator_traitsISK_E10value_typeEPNSQ_ISL_E10value_typeEPSM_NS1_7vsmem_tEENKUlT_SK_SL_SM_E_clIPySE_SF_SF_EESJ_SZ_SK_SL_SM_EUlSZ_E_NS1_11comp_targetILNS1_3genE9ELNS1_11target_archE1100ELNS1_3gpuE3ELNS1_3repE0EEENS1_48merge_mergepath_partition_config_static_selectorELNS0_4arch9wavefront6targetE1EEEvSL_: ; @_ZN7rocprim17ROCPRIM_400000_NS6detail17trampoline_kernelINS0_14default_configENS1_38merge_sort_block_merge_config_selectorIyNS0_10empty_typeEEEZZNS1_27merge_sort_block_merge_implIS3_N6thrust23THRUST_200600_302600_NS6detail15normal_iteratorINS9_10device_ptrIyEEEEPS5_jNS1_19radix_merge_compareILb0ELb0EyNS0_19identity_decomposerEEEEE10hipError_tT0_T1_T2_jT3_P12ihipStream_tbPNSt15iterator_traitsISK_E10value_typeEPNSQ_ISL_E10value_typeEPSM_NS1_7vsmem_tEENKUlT_SK_SL_SM_E_clIPySE_SF_SF_EESJ_SZ_SK_SL_SM_EUlSZ_E_NS1_11comp_targetILNS1_3genE9ELNS1_11target_archE1100ELNS1_3gpuE3ELNS1_3repE0EEENS1_48merge_mergepath_partition_config_static_selectorELNS0_4arch9wavefront6targetE1EEEvSL_
; %bb.0:
	.section	.rodata,"a",@progbits
	.p2align	6, 0x0
	.amdhsa_kernel _ZN7rocprim17ROCPRIM_400000_NS6detail17trampoline_kernelINS0_14default_configENS1_38merge_sort_block_merge_config_selectorIyNS0_10empty_typeEEEZZNS1_27merge_sort_block_merge_implIS3_N6thrust23THRUST_200600_302600_NS6detail15normal_iteratorINS9_10device_ptrIyEEEEPS5_jNS1_19radix_merge_compareILb0ELb0EyNS0_19identity_decomposerEEEEE10hipError_tT0_T1_T2_jT3_P12ihipStream_tbPNSt15iterator_traitsISK_E10value_typeEPNSQ_ISL_E10value_typeEPSM_NS1_7vsmem_tEENKUlT_SK_SL_SM_E_clIPySE_SF_SF_EESJ_SZ_SK_SL_SM_EUlSZ_E_NS1_11comp_targetILNS1_3genE9ELNS1_11target_archE1100ELNS1_3gpuE3ELNS1_3repE0EEENS1_48merge_mergepath_partition_config_static_selectorELNS0_4arch9wavefront6targetE1EEEvSL_
		.amdhsa_group_segment_fixed_size 0
		.amdhsa_private_segment_fixed_size 0
		.amdhsa_kernarg_size 40
		.amdhsa_user_sgpr_count 6
		.amdhsa_user_sgpr_private_segment_buffer 1
		.amdhsa_user_sgpr_dispatch_ptr 0
		.amdhsa_user_sgpr_queue_ptr 0
		.amdhsa_user_sgpr_kernarg_segment_ptr 1
		.amdhsa_user_sgpr_dispatch_id 0
		.amdhsa_user_sgpr_flat_scratch_init 0
		.amdhsa_user_sgpr_kernarg_preload_length 0
		.amdhsa_user_sgpr_kernarg_preload_offset 0
		.amdhsa_user_sgpr_private_segment_size 0
		.amdhsa_uses_dynamic_stack 0
		.amdhsa_system_sgpr_private_segment_wavefront_offset 0
		.amdhsa_system_sgpr_workgroup_id_x 1
		.amdhsa_system_sgpr_workgroup_id_y 0
		.amdhsa_system_sgpr_workgroup_id_z 0
		.amdhsa_system_sgpr_workgroup_info 0
		.amdhsa_system_vgpr_workitem_id 0
		.amdhsa_next_free_vgpr 1
		.amdhsa_next_free_sgpr 0
		.amdhsa_accum_offset 4
		.amdhsa_reserve_vcc 0
		.amdhsa_reserve_flat_scratch 0
		.amdhsa_float_round_mode_32 0
		.amdhsa_float_round_mode_16_64 0
		.amdhsa_float_denorm_mode_32 3
		.amdhsa_float_denorm_mode_16_64 3
		.amdhsa_dx10_clamp 1
		.amdhsa_ieee_mode 1
		.amdhsa_fp16_overflow 0
		.amdhsa_tg_split 0
		.amdhsa_exception_fp_ieee_invalid_op 0
		.amdhsa_exception_fp_denorm_src 0
		.amdhsa_exception_fp_ieee_div_zero 0
		.amdhsa_exception_fp_ieee_overflow 0
		.amdhsa_exception_fp_ieee_underflow 0
		.amdhsa_exception_fp_ieee_inexact 0
		.amdhsa_exception_int_div_zero 0
	.end_amdhsa_kernel
	.section	.text._ZN7rocprim17ROCPRIM_400000_NS6detail17trampoline_kernelINS0_14default_configENS1_38merge_sort_block_merge_config_selectorIyNS0_10empty_typeEEEZZNS1_27merge_sort_block_merge_implIS3_N6thrust23THRUST_200600_302600_NS6detail15normal_iteratorINS9_10device_ptrIyEEEEPS5_jNS1_19radix_merge_compareILb0ELb0EyNS0_19identity_decomposerEEEEE10hipError_tT0_T1_T2_jT3_P12ihipStream_tbPNSt15iterator_traitsISK_E10value_typeEPNSQ_ISL_E10value_typeEPSM_NS1_7vsmem_tEENKUlT_SK_SL_SM_E_clIPySE_SF_SF_EESJ_SZ_SK_SL_SM_EUlSZ_E_NS1_11comp_targetILNS1_3genE9ELNS1_11target_archE1100ELNS1_3gpuE3ELNS1_3repE0EEENS1_48merge_mergepath_partition_config_static_selectorELNS0_4arch9wavefront6targetE1EEEvSL_,"axG",@progbits,_ZN7rocprim17ROCPRIM_400000_NS6detail17trampoline_kernelINS0_14default_configENS1_38merge_sort_block_merge_config_selectorIyNS0_10empty_typeEEEZZNS1_27merge_sort_block_merge_implIS3_N6thrust23THRUST_200600_302600_NS6detail15normal_iteratorINS9_10device_ptrIyEEEEPS5_jNS1_19radix_merge_compareILb0ELb0EyNS0_19identity_decomposerEEEEE10hipError_tT0_T1_T2_jT3_P12ihipStream_tbPNSt15iterator_traitsISK_E10value_typeEPNSQ_ISL_E10value_typeEPSM_NS1_7vsmem_tEENKUlT_SK_SL_SM_E_clIPySE_SF_SF_EESJ_SZ_SK_SL_SM_EUlSZ_E_NS1_11comp_targetILNS1_3genE9ELNS1_11target_archE1100ELNS1_3gpuE3ELNS1_3repE0EEENS1_48merge_mergepath_partition_config_static_selectorELNS0_4arch9wavefront6targetE1EEEvSL_,comdat
.Lfunc_end730:
	.size	_ZN7rocprim17ROCPRIM_400000_NS6detail17trampoline_kernelINS0_14default_configENS1_38merge_sort_block_merge_config_selectorIyNS0_10empty_typeEEEZZNS1_27merge_sort_block_merge_implIS3_N6thrust23THRUST_200600_302600_NS6detail15normal_iteratorINS9_10device_ptrIyEEEEPS5_jNS1_19radix_merge_compareILb0ELb0EyNS0_19identity_decomposerEEEEE10hipError_tT0_T1_T2_jT3_P12ihipStream_tbPNSt15iterator_traitsISK_E10value_typeEPNSQ_ISL_E10value_typeEPSM_NS1_7vsmem_tEENKUlT_SK_SL_SM_E_clIPySE_SF_SF_EESJ_SZ_SK_SL_SM_EUlSZ_E_NS1_11comp_targetILNS1_3genE9ELNS1_11target_archE1100ELNS1_3gpuE3ELNS1_3repE0EEENS1_48merge_mergepath_partition_config_static_selectorELNS0_4arch9wavefront6targetE1EEEvSL_, .Lfunc_end730-_ZN7rocprim17ROCPRIM_400000_NS6detail17trampoline_kernelINS0_14default_configENS1_38merge_sort_block_merge_config_selectorIyNS0_10empty_typeEEEZZNS1_27merge_sort_block_merge_implIS3_N6thrust23THRUST_200600_302600_NS6detail15normal_iteratorINS9_10device_ptrIyEEEEPS5_jNS1_19radix_merge_compareILb0ELb0EyNS0_19identity_decomposerEEEEE10hipError_tT0_T1_T2_jT3_P12ihipStream_tbPNSt15iterator_traitsISK_E10value_typeEPNSQ_ISL_E10value_typeEPSM_NS1_7vsmem_tEENKUlT_SK_SL_SM_E_clIPySE_SF_SF_EESJ_SZ_SK_SL_SM_EUlSZ_E_NS1_11comp_targetILNS1_3genE9ELNS1_11target_archE1100ELNS1_3gpuE3ELNS1_3repE0EEENS1_48merge_mergepath_partition_config_static_selectorELNS0_4arch9wavefront6targetE1EEEvSL_
                                        ; -- End function
	.section	.AMDGPU.csdata,"",@progbits
; Kernel info:
; codeLenInByte = 0
; NumSgprs: 4
; NumVgprs: 0
; NumAgprs: 0
; TotalNumVgprs: 0
; ScratchSize: 0
; MemoryBound: 0
; FloatMode: 240
; IeeeMode: 1
; LDSByteSize: 0 bytes/workgroup (compile time only)
; SGPRBlocks: 0
; VGPRBlocks: 0
; NumSGPRsForWavesPerEU: 4
; NumVGPRsForWavesPerEU: 1
; AccumOffset: 4
; Occupancy: 8
; WaveLimiterHint : 0
; COMPUTE_PGM_RSRC2:SCRATCH_EN: 0
; COMPUTE_PGM_RSRC2:USER_SGPR: 6
; COMPUTE_PGM_RSRC2:TRAP_HANDLER: 0
; COMPUTE_PGM_RSRC2:TGID_X_EN: 1
; COMPUTE_PGM_RSRC2:TGID_Y_EN: 0
; COMPUTE_PGM_RSRC2:TGID_Z_EN: 0
; COMPUTE_PGM_RSRC2:TIDIG_COMP_CNT: 0
; COMPUTE_PGM_RSRC3_GFX90A:ACCUM_OFFSET: 0
; COMPUTE_PGM_RSRC3_GFX90A:TG_SPLIT: 0
	.section	.text._ZN7rocprim17ROCPRIM_400000_NS6detail17trampoline_kernelINS0_14default_configENS1_38merge_sort_block_merge_config_selectorIyNS0_10empty_typeEEEZZNS1_27merge_sort_block_merge_implIS3_N6thrust23THRUST_200600_302600_NS6detail15normal_iteratorINS9_10device_ptrIyEEEEPS5_jNS1_19radix_merge_compareILb0ELb0EyNS0_19identity_decomposerEEEEE10hipError_tT0_T1_T2_jT3_P12ihipStream_tbPNSt15iterator_traitsISK_E10value_typeEPNSQ_ISL_E10value_typeEPSM_NS1_7vsmem_tEENKUlT_SK_SL_SM_E_clIPySE_SF_SF_EESJ_SZ_SK_SL_SM_EUlSZ_E_NS1_11comp_targetILNS1_3genE8ELNS1_11target_archE1030ELNS1_3gpuE2ELNS1_3repE0EEENS1_48merge_mergepath_partition_config_static_selectorELNS0_4arch9wavefront6targetE1EEEvSL_,"axG",@progbits,_ZN7rocprim17ROCPRIM_400000_NS6detail17trampoline_kernelINS0_14default_configENS1_38merge_sort_block_merge_config_selectorIyNS0_10empty_typeEEEZZNS1_27merge_sort_block_merge_implIS3_N6thrust23THRUST_200600_302600_NS6detail15normal_iteratorINS9_10device_ptrIyEEEEPS5_jNS1_19radix_merge_compareILb0ELb0EyNS0_19identity_decomposerEEEEE10hipError_tT0_T1_T2_jT3_P12ihipStream_tbPNSt15iterator_traitsISK_E10value_typeEPNSQ_ISL_E10value_typeEPSM_NS1_7vsmem_tEENKUlT_SK_SL_SM_E_clIPySE_SF_SF_EESJ_SZ_SK_SL_SM_EUlSZ_E_NS1_11comp_targetILNS1_3genE8ELNS1_11target_archE1030ELNS1_3gpuE2ELNS1_3repE0EEENS1_48merge_mergepath_partition_config_static_selectorELNS0_4arch9wavefront6targetE1EEEvSL_,comdat
	.protected	_ZN7rocprim17ROCPRIM_400000_NS6detail17trampoline_kernelINS0_14default_configENS1_38merge_sort_block_merge_config_selectorIyNS0_10empty_typeEEEZZNS1_27merge_sort_block_merge_implIS3_N6thrust23THRUST_200600_302600_NS6detail15normal_iteratorINS9_10device_ptrIyEEEEPS5_jNS1_19radix_merge_compareILb0ELb0EyNS0_19identity_decomposerEEEEE10hipError_tT0_T1_T2_jT3_P12ihipStream_tbPNSt15iterator_traitsISK_E10value_typeEPNSQ_ISL_E10value_typeEPSM_NS1_7vsmem_tEENKUlT_SK_SL_SM_E_clIPySE_SF_SF_EESJ_SZ_SK_SL_SM_EUlSZ_E_NS1_11comp_targetILNS1_3genE8ELNS1_11target_archE1030ELNS1_3gpuE2ELNS1_3repE0EEENS1_48merge_mergepath_partition_config_static_selectorELNS0_4arch9wavefront6targetE1EEEvSL_ ; -- Begin function _ZN7rocprim17ROCPRIM_400000_NS6detail17trampoline_kernelINS0_14default_configENS1_38merge_sort_block_merge_config_selectorIyNS0_10empty_typeEEEZZNS1_27merge_sort_block_merge_implIS3_N6thrust23THRUST_200600_302600_NS6detail15normal_iteratorINS9_10device_ptrIyEEEEPS5_jNS1_19radix_merge_compareILb0ELb0EyNS0_19identity_decomposerEEEEE10hipError_tT0_T1_T2_jT3_P12ihipStream_tbPNSt15iterator_traitsISK_E10value_typeEPNSQ_ISL_E10value_typeEPSM_NS1_7vsmem_tEENKUlT_SK_SL_SM_E_clIPySE_SF_SF_EESJ_SZ_SK_SL_SM_EUlSZ_E_NS1_11comp_targetILNS1_3genE8ELNS1_11target_archE1030ELNS1_3gpuE2ELNS1_3repE0EEENS1_48merge_mergepath_partition_config_static_selectorELNS0_4arch9wavefront6targetE1EEEvSL_
	.globl	_ZN7rocprim17ROCPRIM_400000_NS6detail17trampoline_kernelINS0_14default_configENS1_38merge_sort_block_merge_config_selectorIyNS0_10empty_typeEEEZZNS1_27merge_sort_block_merge_implIS3_N6thrust23THRUST_200600_302600_NS6detail15normal_iteratorINS9_10device_ptrIyEEEEPS5_jNS1_19radix_merge_compareILb0ELb0EyNS0_19identity_decomposerEEEEE10hipError_tT0_T1_T2_jT3_P12ihipStream_tbPNSt15iterator_traitsISK_E10value_typeEPNSQ_ISL_E10value_typeEPSM_NS1_7vsmem_tEENKUlT_SK_SL_SM_E_clIPySE_SF_SF_EESJ_SZ_SK_SL_SM_EUlSZ_E_NS1_11comp_targetILNS1_3genE8ELNS1_11target_archE1030ELNS1_3gpuE2ELNS1_3repE0EEENS1_48merge_mergepath_partition_config_static_selectorELNS0_4arch9wavefront6targetE1EEEvSL_
	.p2align	8
	.type	_ZN7rocprim17ROCPRIM_400000_NS6detail17trampoline_kernelINS0_14default_configENS1_38merge_sort_block_merge_config_selectorIyNS0_10empty_typeEEEZZNS1_27merge_sort_block_merge_implIS3_N6thrust23THRUST_200600_302600_NS6detail15normal_iteratorINS9_10device_ptrIyEEEEPS5_jNS1_19radix_merge_compareILb0ELb0EyNS0_19identity_decomposerEEEEE10hipError_tT0_T1_T2_jT3_P12ihipStream_tbPNSt15iterator_traitsISK_E10value_typeEPNSQ_ISL_E10value_typeEPSM_NS1_7vsmem_tEENKUlT_SK_SL_SM_E_clIPySE_SF_SF_EESJ_SZ_SK_SL_SM_EUlSZ_E_NS1_11comp_targetILNS1_3genE8ELNS1_11target_archE1030ELNS1_3gpuE2ELNS1_3repE0EEENS1_48merge_mergepath_partition_config_static_selectorELNS0_4arch9wavefront6targetE1EEEvSL_,@function
_ZN7rocprim17ROCPRIM_400000_NS6detail17trampoline_kernelINS0_14default_configENS1_38merge_sort_block_merge_config_selectorIyNS0_10empty_typeEEEZZNS1_27merge_sort_block_merge_implIS3_N6thrust23THRUST_200600_302600_NS6detail15normal_iteratorINS9_10device_ptrIyEEEEPS5_jNS1_19radix_merge_compareILb0ELb0EyNS0_19identity_decomposerEEEEE10hipError_tT0_T1_T2_jT3_P12ihipStream_tbPNSt15iterator_traitsISK_E10value_typeEPNSQ_ISL_E10value_typeEPSM_NS1_7vsmem_tEENKUlT_SK_SL_SM_E_clIPySE_SF_SF_EESJ_SZ_SK_SL_SM_EUlSZ_E_NS1_11comp_targetILNS1_3genE8ELNS1_11target_archE1030ELNS1_3gpuE2ELNS1_3repE0EEENS1_48merge_mergepath_partition_config_static_selectorELNS0_4arch9wavefront6targetE1EEEvSL_: ; @_ZN7rocprim17ROCPRIM_400000_NS6detail17trampoline_kernelINS0_14default_configENS1_38merge_sort_block_merge_config_selectorIyNS0_10empty_typeEEEZZNS1_27merge_sort_block_merge_implIS3_N6thrust23THRUST_200600_302600_NS6detail15normal_iteratorINS9_10device_ptrIyEEEEPS5_jNS1_19radix_merge_compareILb0ELb0EyNS0_19identity_decomposerEEEEE10hipError_tT0_T1_T2_jT3_P12ihipStream_tbPNSt15iterator_traitsISK_E10value_typeEPNSQ_ISL_E10value_typeEPSM_NS1_7vsmem_tEENKUlT_SK_SL_SM_E_clIPySE_SF_SF_EESJ_SZ_SK_SL_SM_EUlSZ_E_NS1_11comp_targetILNS1_3genE8ELNS1_11target_archE1030ELNS1_3gpuE2ELNS1_3repE0EEENS1_48merge_mergepath_partition_config_static_selectorELNS0_4arch9wavefront6targetE1EEEvSL_
; %bb.0:
	.section	.rodata,"a",@progbits
	.p2align	6, 0x0
	.amdhsa_kernel _ZN7rocprim17ROCPRIM_400000_NS6detail17trampoline_kernelINS0_14default_configENS1_38merge_sort_block_merge_config_selectorIyNS0_10empty_typeEEEZZNS1_27merge_sort_block_merge_implIS3_N6thrust23THRUST_200600_302600_NS6detail15normal_iteratorINS9_10device_ptrIyEEEEPS5_jNS1_19radix_merge_compareILb0ELb0EyNS0_19identity_decomposerEEEEE10hipError_tT0_T1_T2_jT3_P12ihipStream_tbPNSt15iterator_traitsISK_E10value_typeEPNSQ_ISL_E10value_typeEPSM_NS1_7vsmem_tEENKUlT_SK_SL_SM_E_clIPySE_SF_SF_EESJ_SZ_SK_SL_SM_EUlSZ_E_NS1_11comp_targetILNS1_3genE8ELNS1_11target_archE1030ELNS1_3gpuE2ELNS1_3repE0EEENS1_48merge_mergepath_partition_config_static_selectorELNS0_4arch9wavefront6targetE1EEEvSL_
		.amdhsa_group_segment_fixed_size 0
		.amdhsa_private_segment_fixed_size 0
		.amdhsa_kernarg_size 40
		.amdhsa_user_sgpr_count 6
		.amdhsa_user_sgpr_private_segment_buffer 1
		.amdhsa_user_sgpr_dispatch_ptr 0
		.amdhsa_user_sgpr_queue_ptr 0
		.amdhsa_user_sgpr_kernarg_segment_ptr 1
		.amdhsa_user_sgpr_dispatch_id 0
		.amdhsa_user_sgpr_flat_scratch_init 0
		.amdhsa_user_sgpr_kernarg_preload_length 0
		.amdhsa_user_sgpr_kernarg_preload_offset 0
		.amdhsa_user_sgpr_private_segment_size 0
		.amdhsa_uses_dynamic_stack 0
		.amdhsa_system_sgpr_private_segment_wavefront_offset 0
		.amdhsa_system_sgpr_workgroup_id_x 1
		.amdhsa_system_sgpr_workgroup_id_y 0
		.amdhsa_system_sgpr_workgroup_id_z 0
		.amdhsa_system_sgpr_workgroup_info 0
		.amdhsa_system_vgpr_workitem_id 0
		.amdhsa_next_free_vgpr 1
		.amdhsa_next_free_sgpr 0
		.amdhsa_accum_offset 4
		.amdhsa_reserve_vcc 0
		.amdhsa_reserve_flat_scratch 0
		.amdhsa_float_round_mode_32 0
		.amdhsa_float_round_mode_16_64 0
		.amdhsa_float_denorm_mode_32 3
		.amdhsa_float_denorm_mode_16_64 3
		.amdhsa_dx10_clamp 1
		.amdhsa_ieee_mode 1
		.amdhsa_fp16_overflow 0
		.amdhsa_tg_split 0
		.amdhsa_exception_fp_ieee_invalid_op 0
		.amdhsa_exception_fp_denorm_src 0
		.amdhsa_exception_fp_ieee_div_zero 0
		.amdhsa_exception_fp_ieee_overflow 0
		.amdhsa_exception_fp_ieee_underflow 0
		.amdhsa_exception_fp_ieee_inexact 0
		.amdhsa_exception_int_div_zero 0
	.end_amdhsa_kernel
	.section	.text._ZN7rocprim17ROCPRIM_400000_NS6detail17trampoline_kernelINS0_14default_configENS1_38merge_sort_block_merge_config_selectorIyNS0_10empty_typeEEEZZNS1_27merge_sort_block_merge_implIS3_N6thrust23THRUST_200600_302600_NS6detail15normal_iteratorINS9_10device_ptrIyEEEEPS5_jNS1_19radix_merge_compareILb0ELb0EyNS0_19identity_decomposerEEEEE10hipError_tT0_T1_T2_jT3_P12ihipStream_tbPNSt15iterator_traitsISK_E10value_typeEPNSQ_ISL_E10value_typeEPSM_NS1_7vsmem_tEENKUlT_SK_SL_SM_E_clIPySE_SF_SF_EESJ_SZ_SK_SL_SM_EUlSZ_E_NS1_11comp_targetILNS1_3genE8ELNS1_11target_archE1030ELNS1_3gpuE2ELNS1_3repE0EEENS1_48merge_mergepath_partition_config_static_selectorELNS0_4arch9wavefront6targetE1EEEvSL_,"axG",@progbits,_ZN7rocprim17ROCPRIM_400000_NS6detail17trampoline_kernelINS0_14default_configENS1_38merge_sort_block_merge_config_selectorIyNS0_10empty_typeEEEZZNS1_27merge_sort_block_merge_implIS3_N6thrust23THRUST_200600_302600_NS6detail15normal_iteratorINS9_10device_ptrIyEEEEPS5_jNS1_19radix_merge_compareILb0ELb0EyNS0_19identity_decomposerEEEEE10hipError_tT0_T1_T2_jT3_P12ihipStream_tbPNSt15iterator_traitsISK_E10value_typeEPNSQ_ISL_E10value_typeEPSM_NS1_7vsmem_tEENKUlT_SK_SL_SM_E_clIPySE_SF_SF_EESJ_SZ_SK_SL_SM_EUlSZ_E_NS1_11comp_targetILNS1_3genE8ELNS1_11target_archE1030ELNS1_3gpuE2ELNS1_3repE0EEENS1_48merge_mergepath_partition_config_static_selectorELNS0_4arch9wavefront6targetE1EEEvSL_,comdat
.Lfunc_end731:
	.size	_ZN7rocprim17ROCPRIM_400000_NS6detail17trampoline_kernelINS0_14default_configENS1_38merge_sort_block_merge_config_selectorIyNS0_10empty_typeEEEZZNS1_27merge_sort_block_merge_implIS3_N6thrust23THRUST_200600_302600_NS6detail15normal_iteratorINS9_10device_ptrIyEEEEPS5_jNS1_19radix_merge_compareILb0ELb0EyNS0_19identity_decomposerEEEEE10hipError_tT0_T1_T2_jT3_P12ihipStream_tbPNSt15iterator_traitsISK_E10value_typeEPNSQ_ISL_E10value_typeEPSM_NS1_7vsmem_tEENKUlT_SK_SL_SM_E_clIPySE_SF_SF_EESJ_SZ_SK_SL_SM_EUlSZ_E_NS1_11comp_targetILNS1_3genE8ELNS1_11target_archE1030ELNS1_3gpuE2ELNS1_3repE0EEENS1_48merge_mergepath_partition_config_static_selectorELNS0_4arch9wavefront6targetE1EEEvSL_, .Lfunc_end731-_ZN7rocprim17ROCPRIM_400000_NS6detail17trampoline_kernelINS0_14default_configENS1_38merge_sort_block_merge_config_selectorIyNS0_10empty_typeEEEZZNS1_27merge_sort_block_merge_implIS3_N6thrust23THRUST_200600_302600_NS6detail15normal_iteratorINS9_10device_ptrIyEEEEPS5_jNS1_19radix_merge_compareILb0ELb0EyNS0_19identity_decomposerEEEEE10hipError_tT0_T1_T2_jT3_P12ihipStream_tbPNSt15iterator_traitsISK_E10value_typeEPNSQ_ISL_E10value_typeEPSM_NS1_7vsmem_tEENKUlT_SK_SL_SM_E_clIPySE_SF_SF_EESJ_SZ_SK_SL_SM_EUlSZ_E_NS1_11comp_targetILNS1_3genE8ELNS1_11target_archE1030ELNS1_3gpuE2ELNS1_3repE0EEENS1_48merge_mergepath_partition_config_static_selectorELNS0_4arch9wavefront6targetE1EEEvSL_
                                        ; -- End function
	.section	.AMDGPU.csdata,"",@progbits
; Kernel info:
; codeLenInByte = 0
; NumSgprs: 4
; NumVgprs: 0
; NumAgprs: 0
; TotalNumVgprs: 0
; ScratchSize: 0
; MemoryBound: 0
; FloatMode: 240
; IeeeMode: 1
; LDSByteSize: 0 bytes/workgroup (compile time only)
; SGPRBlocks: 0
; VGPRBlocks: 0
; NumSGPRsForWavesPerEU: 4
; NumVGPRsForWavesPerEU: 1
; AccumOffset: 4
; Occupancy: 8
; WaveLimiterHint : 0
; COMPUTE_PGM_RSRC2:SCRATCH_EN: 0
; COMPUTE_PGM_RSRC2:USER_SGPR: 6
; COMPUTE_PGM_RSRC2:TRAP_HANDLER: 0
; COMPUTE_PGM_RSRC2:TGID_X_EN: 1
; COMPUTE_PGM_RSRC2:TGID_Y_EN: 0
; COMPUTE_PGM_RSRC2:TGID_Z_EN: 0
; COMPUTE_PGM_RSRC2:TIDIG_COMP_CNT: 0
; COMPUTE_PGM_RSRC3_GFX90A:ACCUM_OFFSET: 0
; COMPUTE_PGM_RSRC3_GFX90A:TG_SPLIT: 0
	.section	.text._ZN7rocprim17ROCPRIM_400000_NS6detail17trampoline_kernelINS0_14default_configENS1_38merge_sort_block_merge_config_selectorIyNS0_10empty_typeEEEZZNS1_27merge_sort_block_merge_implIS3_N6thrust23THRUST_200600_302600_NS6detail15normal_iteratorINS9_10device_ptrIyEEEEPS5_jNS1_19radix_merge_compareILb0ELb0EyNS0_19identity_decomposerEEEEE10hipError_tT0_T1_T2_jT3_P12ihipStream_tbPNSt15iterator_traitsISK_E10value_typeEPNSQ_ISL_E10value_typeEPSM_NS1_7vsmem_tEENKUlT_SK_SL_SM_E_clIPySE_SF_SF_EESJ_SZ_SK_SL_SM_EUlSZ_E0_NS1_11comp_targetILNS1_3genE0ELNS1_11target_archE4294967295ELNS1_3gpuE0ELNS1_3repE0EEENS1_38merge_mergepath_config_static_selectorELNS0_4arch9wavefront6targetE1EEEvSL_,"axG",@progbits,_ZN7rocprim17ROCPRIM_400000_NS6detail17trampoline_kernelINS0_14default_configENS1_38merge_sort_block_merge_config_selectorIyNS0_10empty_typeEEEZZNS1_27merge_sort_block_merge_implIS3_N6thrust23THRUST_200600_302600_NS6detail15normal_iteratorINS9_10device_ptrIyEEEEPS5_jNS1_19radix_merge_compareILb0ELb0EyNS0_19identity_decomposerEEEEE10hipError_tT0_T1_T2_jT3_P12ihipStream_tbPNSt15iterator_traitsISK_E10value_typeEPNSQ_ISL_E10value_typeEPSM_NS1_7vsmem_tEENKUlT_SK_SL_SM_E_clIPySE_SF_SF_EESJ_SZ_SK_SL_SM_EUlSZ_E0_NS1_11comp_targetILNS1_3genE0ELNS1_11target_archE4294967295ELNS1_3gpuE0ELNS1_3repE0EEENS1_38merge_mergepath_config_static_selectorELNS0_4arch9wavefront6targetE1EEEvSL_,comdat
	.protected	_ZN7rocprim17ROCPRIM_400000_NS6detail17trampoline_kernelINS0_14default_configENS1_38merge_sort_block_merge_config_selectorIyNS0_10empty_typeEEEZZNS1_27merge_sort_block_merge_implIS3_N6thrust23THRUST_200600_302600_NS6detail15normal_iteratorINS9_10device_ptrIyEEEEPS5_jNS1_19radix_merge_compareILb0ELb0EyNS0_19identity_decomposerEEEEE10hipError_tT0_T1_T2_jT3_P12ihipStream_tbPNSt15iterator_traitsISK_E10value_typeEPNSQ_ISL_E10value_typeEPSM_NS1_7vsmem_tEENKUlT_SK_SL_SM_E_clIPySE_SF_SF_EESJ_SZ_SK_SL_SM_EUlSZ_E0_NS1_11comp_targetILNS1_3genE0ELNS1_11target_archE4294967295ELNS1_3gpuE0ELNS1_3repE0EEENS1_38merge_mergepath_config_static_selectorELNS0_4arch9wavefront6targetE1EEEvSL_ ; -- Begin function _ZN7rocprim17ROCPRIM_400000_NS6detail17trampoline_kernelINS0_14default_configENS1_38merge_sort_block_merge_config_selectorIyNS0_10empty_typeEEEZZNS1_27merge_sort_block_merge_implIS3_N6thrust23THRUST_200600_302600_NS6detail15normal_iteratorINS9_10device_ptrIyEEEEPS5_jNS1_19radix_merge_compareILb0ELb0EyNS0_19identity_decomposerEEEEE10hipError_tT0_T1_T2_jT3_P12ihipStream_tbPNSt15iterator_traitsISK_E10value_typeEPNSQ_ISL_E10value_typeEPSM_NS1_7vsmem_tEENKUlT_SK_SL_SM_E_clIPySE_SF_SF_EESJ_SZ_SK_SL_SM_EUlSZ_E0_NS1_11comp_targetILNS1_3genE0ELNS1_11target_archE4294967295ELNS1_3gpuE0ELNS1_3repE0EEENS1_38merge_mergepath_config_static_selectorELNS0_4arch9wavefront6targetE1EEEvSL_
	.globl	_ZN7rocprim17ROCPRIM_400000_NS6detail17trampoline_kernelINS0_14default_configENS1_38merge_sort_block_merge_config_selectorIyNS0_10empty_typeEEEZZNS1_27merge_sort_block_merge_implIS3_N6thrust23THRUST_200600_302600_NS6detail15normal_iteratorINS9_10device_ptrIyEEEEPS5_jNS1_19radix_merge_compareILb0ELb0EyNS0_19identity_decomposerEEEEE10hipError_tT0_T1_T2_jT3_P12ihipStream_tbPNSt15iterator_traitsISK_E10value_typeEPNSQ_ISL_E10value_typeEPSM_NS1_7vsmem_tEENKUlT_SK_SL_SM_E_clIPySE_SF_SF_EESJ_SZ_SK_SL_SM_EUlSZ_E0_NS1_11comp_targetILNS1_3genE0ELNS1_11target_archE4294967295ELNS1_3gpuE0ELNS1_3repE0EEENS1_38merge_mergepath_config_static_selectorELNS0_4arch9wavefront6targetE1EEEvSL_
	.p2align	8
	.type	_ZN7rocprim17ROCPRIM_400000_NS6detail17trampoline_kernelINS0_14default_configENS1_38merge_sort_block_merge_config_selectorIyNS0_10empty_typeEEEZZNS1_27merge_sort_block_merge_implIS3_N6thrust23THRUST_200600_302600_NS6detail15normal_iteratorINS9_10device_ptrIyEEEEPS5_jNS1_19radix_merge_compareILb0ELb0EyNS0_19identity_decomposerEEEEE10hipError_tT0_T1_T2_jT3_P12ihipStream_tbPNSt15iterator_traitsISK_E10value_typeEPNSQ_ISL_E10value_typeEPSM_NS1_7vsmem_tEENKUlT_SK_SL_SM_E_clIPySE_SF_SF_EESJ_SZ_SK_SL_SM_EUlSZ_E0_NS1_11comp_targetILNS1_3genE0ELNS1_11target_archE4294967295ELNS1_3gpuE0ELNS1_3repE0EEENS1_38merge_mergepath_config_static_selectorELNS0_4arch9wavefront6targetE1EEEvSL_,@function
_ZN7rocprim17ROCPRIM_400000_NS6detail17trampoline_kernelINS0_14default_configENS1_38merge_sort_block_merge_config_selectorIyNS0_10empty_typeEEEZZNS1_27merge_sort_block_merge_implIS3_N6thrust23THRUST_200600_302600_NS6detail15normal_iteratorINS9_10device_ptrIyEEEEPS5_jNS1_19radix_merge_compareILb0ELb0EyNS0_19identity_decomposerEEEEE10hipError_tT0_T1_T2_jT3_P12ihipStream_tbPNSt15iterator_traitsISK_E10value_typeEPNSQ_ISL_E10value_typeEPSM_NS1_7vsmem_tEENKUlT_SK_SL_SM_E_clIPySE_SF_SF_EESJ_SZ_SK_SL_SM_EUlSZ_E0_NS1_11comp_targetILNS1_3genE0ELNS1_11target_archE4294967295ELNS1_3gpuE0ELNS1_3repE0EEENS1_38merge_mergepath_config_static_selectorELNS0_4arch9wavefront6targetE1EEEvSL_: ; @_ZN7rocprim17ROCPRIM_400000_NS6detail17trampoline_kernelINS0_14default_configENS1_38merge_sort_block_merge_config_selectorIyNS0_10empty_typeEEEZZNS1_27merge_sort_block_merge_implIS3_N6thrust23THRUST_200600_302600_NS6detail15normal_iteratorINS9_10device_ptrIyEEEEPS5_jNS1_19radix_merge_compareILb0ELb0EyNS0_19identity_decomposerEEEEE10hipError_tT0_T1_T2_jT3_P12ihipStream_tbPNSt15iterator_traitsISK_E10value_typeEPNSQ_ISL_E10value_typeEPSM_NS1_7vsmem_tEENKUlT_SK_SL_SM_E_clIPySE_SF_SF_EESJ_SZ_SK_SL_SM_EUlSZ_E0_NS1_11comp_targetILNS1_3genE0ELNS1_11target_archE4294967295ELNS1_3gpuE0ELNS1_3repE0EEENS1_38merge_mergepath_config_static_selectorELNS0_4arch9wavefront6targetE1EEEvSL_
; %bb.0:
	.section	.rodata,"a",@progbits
	.p2align	6, 0x0
	.amdhsa_kernel _ZN7rocprim17ROCPRIM_400000_NS6detail17trampoline_kernelINS0_14default_configENS1_38merge_sort_block_merge_config_selectorIyNS0_10empty_typeEEEZZNS1_27merge_sort_block_merge_implIS3_N6thrust23THRUST_200600_302600_NS6detail15normal_iteratorINS9_10device_ptrIyEEEEPS5_jNS1_19radix_merge_compareILb0ELb0EyNS0_19identity_decomposerEEEEE10hipError_tT0_T1_T2_jT3_P12ihipStream_tbPNSt15iterator_traitsISK_E10value_typeEPNSQ_ISL_E10value_typeEPSM_NS1_7vsmem_tEENKUlT_SK_SL_SM_E_clIPySE_SF_SF_EESJ_SZ_SK_SL_SM_EUlSZ_E0_NS1_11comp_targetILNS1_3genE0ELNS1_11target_archE4294967295ELNS1_3gpuE0ELNS1_3repE0EEENS1_38merge_mergepath_config_static_selectorELNS0_4arch9wavefront6targetE1EEEvSL_
		.amdhsa_group_segment_fixed_size 0
		.amdhsa_private_segment_fixed_size 0
		.amdhsa_kernarg_size 64
		.amdhsa_user_sgpr_count 6
		.amdhsa_user_sgpr_private_segment_buffer 1
		.amdhsa_user_sgpr_dispatch_ptr 0
		.amdhsa_user_sgpr_queue_ptr 0
		.amdhsa_user_sgpr_kernarg_segment_ptr 1
		.amdhsa_user_sgpr_dispatch_id 0
		.amdhsa_user_sgpr_flat_scratch_init 0
		.amdhsa_user_sgpr_kernarg_preload_length 0
		.amdhsa_user_sgpr_kernarg_preload_offset 0
		.amdhsa_user_sgpr_private_segment_size 0
		.amdhsa_uses_dynamic_stack 0
		.amdhsa_system_sgpr_private_segment_wavefront_offset 0
		.amdhsa_system_sgpr_workgroup_id_x 1
		.amdhsa_system_sgpr_workgroup_id_y 0
		.amdhsa_system_sgpr_workgroup_id_z 0
		.amdhsa_system_sgpr_workgroup_info 0
		.amdhsa_system_vgpr_workitem_id 0
		.amdhsa_next_free_vgpr 1
		.amdhsa_next_free_sgpr 0
		.amdhsa_accum_offset 4
		.amdhsa_reserve_vcc 0
		.amdhsa_reserve_flat_scratch 0
		.amdhsa_float_round_mode_32 0
		.amdhsa_float_round_mode_16_64 0
		.amdhsa_float_denorm_mode_32 3
		.amdhsa_float_denorm_mode_16_64 3
		.amdhsa_dx10_clamp 1
		.amdhsa_ieee_mode 1
		.amdhsa_fp16_overflow 0
		.amdhsa_tg_split 0
		.amdhsa_exception_fp_ieee_invalid_op 0
		.amdhsa_exception_fp_denorm_src 0
		.amdhsa_exception_fp_ieee_div_zero 0
		.amdhsa_exception_fp_ieee_overflow 0
		.amdhsa_exception_fp_ieee_underflow 0
		.amdhsa_exception_fp_ieee_inexact 0
		.amdhsa_exception_int_div_zero 0
	.end_amdhsa_kernel
	.section	.text._ZN7rocprim17ROCPRIM_400000_NS6detail17trampoline_kernelINS0_14default_configENS1_38merge_sort_block_merge_config_selectorIyNS0_10empty_typeEEEZZNS1_27merge_sort_block_merge_implIS3_N6thrust23THRUST_200600_302600_NS6detail15normal_iteratorINS9_10device_ptrIyEEEEPS5_jNS1_19radix_merge_compareILb0ELb0EyNS0_19identity_decomposerEEEEE10hipError_tT0_T1_T2_jT3_P12ihipStream_tbPNSt15iterator_traitsISK_E10value_typeEPNSQ_ISL_E10value_typeEPSM_NS1_7vsmem_tEENKUlT_SK_SL_SM_E_clIPySE_SF_SF_EESJ_SZ_SK_SL_SM_EUlSZ_E0_NS1_11comp_targetILNS1_3genE0ELNS1_11target_archE4294967295ELNS1_3gpuE0ELNS1_3repE0EEENS1_38merge_mergepath_config_static_selectorELNS0_4arch9wavefront6targetE1EEEvSL_,"axG",@progbits,_ZN7rocprim17ROCPRIM_400000_NS6detail17trampoline_kernelINS0_14default_configENS1_38merge_sort_block_merge_config_selectorIyNS0_10empty_typeEEEZZNS1_27merge_sort_block_merge_implIS3_N6thrust23THRUST_200600_302600_NS6detail15normal_iteratorINS9_10device_ptrIyEEEEPS5_jNS1_19radix_merge_compareILb0ELb0EyNS0_19identity_decomposerEEEEE10hipError_tT0_T1_T2_jT3_P12ihipStream_tbPNSt15iterator_traitsISK_E10value_typeEPNSQ_ISL_E10value_typeEPSM_NS1_7vsmem_tEENKUlT_SK_SL_SM_E_clIPySE_SF_SF_EESJ_SZ_SK_SL_SM_EUlSZ_E0_NS1_11comp_targetILNS1_3genE0ELNS1_11target_archE4294967295ELNS1_3gpuE0ELNS1_3repE0EEENS1_38merge_mergepath_config_static_selectorELNS0_4arch9wavefront6targetE1EEEvSL_,comdat
.Lfunc_end732:
	.size	_ZN7rocprim17ROCPRIM_400000_NS6detail17trampoline_kernelINS0_14default_configENS1_38merge_sort_block_merge_config_selectorIyNS0_10empty_typeEEEZZNS1_27merge_sort_block_merge_implIS3_N6thrust23THRUST_200600_302600_NS6detail15normal_iteratorINS9_10device_ptrIyEEEEPS5_jNS1_19radix_merge_compareILb0ELb0EyNS0_19identity_decomposerEEEEE10hipError_tT0_T1_T2_jT3_P12ihipStream_tbPNSt15iterator_traitsISK_E10value_typeEPNSQ_ISL_E10value_typeEPSM_NS1_7vsmem_tEENKUlT_SK_SL_SM_E_clIPySE_SF_SF_EESJ_SZ_SK_SL_SM_EUlSZ_E0_NS1_11comp_targetILNS1_3genE0ELNS1_11target_archE4294967295ELNS1_3gpuE0ELNS1_3repE0EEENS1_38merge_mergepath_config_static_selectorELNS0_4arch9wavefront6targetE1EEEvSL_, .Lfunc_end732-_ZN7rocprim17ROCPRIM_400000_NS6detail17trampoline_kernelINS0_14default_configENS1_38merge_sort_block_merge_config_selectorIyNS0_10empty_typeEEEZZNS1_27merge_sort_block_merge_implIS3_N6thrust23THRUST_200600_302600_NS6detail15normal_iteratorINS9_10device_ptrIyEEEEPS5_jNS1_19radix_merge_compareILb0ELb0EyNS0_19identity_decomposerEEEEE10hipError_tT0_T1_T2_jT3_P12ihipStream_tbPNSt15iterator_traitsISK_E10value_typeEPNSQ_ISL_E10value_typeEPSM_NS1_7vsmem_tEENKUlT_SK_SL_SM_E_clIPySE_SF_SF_EESJ_SZ_SK_SL_SM_EUlSZ_E0_NS1_11comp_targetILNS1_3genE0ELNS1_11target_archE4294967295ELNS1_3gpuE0ELNS1_3repE0EEENS1_38merge_mergepath_config_static_selectorELNS0_4arch9wavefront6targetE1EEEvSL_
                                        ; -- End function
	.section	.AMDGPU.csdata,"",@progbits
; Kernel info:
; codeLenInByte = 0
; NumSgprs: 4
; NumVgprs: 0
; NumAgprs: 0
; TotalNumVgprs: 0
; ScratchSize: 0
; MemoryBound: 0
; FloatMode: 240
; IeeeMode: 1
; LDSByteSize: 0 bytes/workgroup (compile time only)
; SGPRBlocks: 0
; VGPRBlocks: 0
; NumSGPRsForWavesPerEU: 4
; NumVGPRsForWavesPerEU: 1
; AccumOffset: 4
; Occupancy: 8
; WaveLimiterHint : 0
; COMPUTE_PGM_RSRC2:SCRATCH_EN: 0
; COMPUTE_PGM_RSRC2:USER_SGPR: 6
; COMPUTE_PGM_RSRC2:TRAP_HANDLER: 0
; COMPUTE_PGM_RSRC2:TGID_X_EN: 1
; COMPUTE_PGM_RSRC2:TGID_Y_EN: 0
; COMPUTE_PGM_RSRC2:TGID_Z_EN: 0
; COMPUTE_PGM_RSRC2:TIDIG_COMP_CNT: 0
; COMPUTE_PGM_RSRC3_GFX90A:ACCUM_OFFSET: 0
; COMPUTE_PGM_RSRC3_GFX90A:TG_SPLIT: 0
	.section	.text._ZN7rocprim17ROCPRIM_400000_NS6detail17trampoline_kernelINS0_14default_configENS1_38merge_sort_block_merge_config_selectorIyNS0_10empty_typeEEEZZNS1_27merge_sort_block_merge_implIS3_N6thrust23THRUST_200600_302600_NS6detail15normal_iteratorINS9_10device_ptrIyEEEEPS5_jNS1_19radix_merge_compareILb0ELb0EyNS0_19identity_decomposerEEEEE10hipError_tT0_T1_T2_jT3_P12ihipStream_tbPNSt15iterator_traitsISK_E10value_typeEPNSQ_ISL_E10value_typeEPSM_NS1_7vsmem_tEENKUlT_SK_SL_SM_E_clIPySE_SF_SF_EESJ_SZ_SK_SL_SM_EUlSZ_E0_NS1_11comp_targetILNS1_3genE10ELNS1_11target_archE1201ELNS1_3gpuE5ELNS1_3repE0EEENS1_38merge_mergepath_config_static_selectorELNS0_4arch9wavefront6targetE1EEEvSL_,"axG",@progbits,_ZN7rocprim17ROCPRIM_400000_NS6detail17trampoline_kernelINS0_14default_configENS1_38merge_sort_block_merge_config_selectorIyNS0_10empty_typeEEEZZNS1_27merge_sort_block_merge_implIS3_N6thrust23THRUST_200600_302600_NS6detail15normal_iteratorINS9_10device_ptrIyEEEEPS5_jNS1_19radix_merge_compareILb0ELb0EyNS0_19identity_decomposerEEEEE10hipError_tT0_T1_T2_jT3_P12ihipStream_tbPNSt15iterator_traitsISK_E10value_typeEPNSQ_ISL_E10value_typeEPSM_NS1_7vsmem_tEENKUlT_SK_SL_SM_E_clIPySE_SF_SF_EESJ_SZ_SK_SL_SM_EUlSZ_E0_NS1_11comp_targetILNS1_3genE10ELNS1_11target_archE1201ELNS1_3gpuE5ELNS1_3repE0EEENS1_38merge_mergepath_config_static_selectorELNS0_4arch9wavefront6targetE1EEEvSL_,comdat
	.protected	_ZN7rocprim17ROCPRIM_400000_NS6detail17trampoline_kernelINS0_14default_configENS1_38merge_sort_block_merge_config_selectorIyNS0_10empty_typeEEEZZNS1_27merge_sort_block_merge_implIS3_N6thrust23THRUST_200600_302600_NS6detail15normal_iteratorINS9_10device_ptrIyEEEEPS5_jNS1_19radix_merge_compareILb0ELb0EyNS0_19identity_decomposerEEEEE10hipError_tT0_T1_T2_jT3_P12ihipStream_tbPNSt15iterator_traitsISK_E10value_typeEPNSQ_ISL_E10value_typeEPSM_NS1_7vsmem_tEENKUlT_SK_SL_SM_E_clIPySE_SF_SF_EESJ_SZ_SK_SL_SM_EUlSZ_E0_NS1_11comp_targetILNS1_3genE10ELNS1_11target_archE1201ELNS1_3gpuE5ELNS1_3repE0EEENS1_38merge_mergepath_config_static_selectorELNS0_4arch9wavefront6targetE1EEEvSL_ ; -- Begin function _ZN7rocprim17ROCPRIM_400000_NS6detail17trampoline_kernelINS0_14default_configENS1_38merge_sort_block_merge_config_selectorIyNS0_10empty_typeEEEZZNS1_27merge_sort_block_merge_implIS3_N6thrust23THRUST_200600_302600_NS6detail15normal_iteratorINS9_10device_ptrIyEEEEPS5_jNS1_19radix_merge_compareILb0ELb0EyNS0_19identity_decomposerEEEEE10hipError_tT0_T1_T2_jT3_P12ihipStream_tbPNSt15iterator_traitsISK_E10value_typeEPNSQ_ISL_E10value_typeEPSM_NS1_7vsmem_tEENKUlT_SK_SL_SM_E_clIPySE_SF_SF_EESJ_SZ_SK_SL_SM_EUlSZ_E0_NS1_11comp_targetILNS1_3genE10ELNS1_11target_archE1201ELNS1_3gpuE5ELNS1_3repE0EEENS1_38merge_mergepath_config_static_selectorELNS0_4arch9wavefront6targetE1EEEvSL_
	.globl	_ZN7rocprim17ROCPRIM_400000_NS6detail17trampoline_kernelINS0_14default_configENS1_38merge_sort_block_merge_config_selectorIyNS0_10empty_typeEEEZZNS1_27merge_sort_block_merge_implIS3_N6thrust23THRUST_200600_302600_NS6detail15normal_iteratorINS9_10device_ptrIyEEEEPS5_jNS1_19radix_merge_compareILb0ELb0EyNS0_19identity_decomposerEEEEE10hipError_tT0_T1_T2_jT3_P12ihipStream_tbPNSt15iterator_traitsISK_E10value_typeEPNSQ_ISL_E10value_typeEPSM_NS1_7vsmem_tEENKUlT_SK_SL_SM_E_clIPySE_SF_SF_EESJ_SZ_SK_SL_SM_EUlSZ_E0_NS1_11comp_targetILNS1_3genE10ELNS1_11target_archE1201ELNS1_3gpuE5ELNS1_3repE0EEENS1_38merge_mergepath_config_static_selectorELNS0_4arch9wavefront6targetE1EEEvSL_
	.p2align	8
	.type	_ZN7rocprim17ROCPRIM_400000_NS6detail17trampoline_kernelINS0_14default_configENS1_38merge_sort_block_merge_config_selectorIyNS0_10empty_typeEEEZZNS1_27merge_sort_block_merge_implIS3_N6thrust23THRUST_200600_302600_NS6detail15normal_iteratorINS9_10device_ptrIyEEEEPS5_jNS1_19radix_merge_compareILb0ELb0EyNS0_19identity_decomposerEEEEE10hipError_tT0_T1_T2_jT3_P12ihipStream_tbPNSt15iterator_traitsISK_E10value_typeEPNSQ_ISL_E10value_typeEPSM_NS1_7vsmem_tEENKUlT_SK_SL_SM_E_clIPySE_SF_SF_EESJ_SZ_SK_SL_SM_EUlSZ_E0_NS1_11comp_targetILNS1_3genE10ELNS1_11target_archE1201ELNS1_3gpuE5ELNS1_3repE0EEENS1_38merge_mergepath_config_static_selectorELNS0_4arch9wavefront6targetE1EEEvSL_,@function
_ZN7rocprim17ROCPRIM_400000_NS6detail17trampoline_kernelINS0_14default_configENS1_38merge_sort_block_merge_config_selectorIyNS0_10empty_typeEEEZZNS1_27merge_sort_block_merge_implIS3_N6thrust23THRUST_200600_302600_NS6detail15normal_iteratorINS9_10device_ptrIyEEEEPS5_jNS1_19radix_merge_compareILb0ELb0EyNS0_19identity_decomposerEEEEE10hipError_tT0_T1_T2_jT3_P12ihipStream_tbPNSt15iterator_traitsISK_E10value_typeEPNSQ_ISL_E10value_typeEPSM_NS1_7vsmem_tEENKUlT_SK_SL_SM_E_clIPySE_SF_SF_EESJ_SZ_SK_SL_SM_EUlSZ_E0_NS1_11comp_targetILNS1_3genE10ELNS1_11target_archE1201ELNS1_3gpuE5ELNS1_3repE0EEENS1_38merge_mergepath_config_static_selectorELNS0_4arch9wavefront6targetE1EEEvSL_: ; @_ZN7rocprim17ROCPRIM_400000_NS6detail17trampoline_kernelINS0_14default_configENS1_38merge_sort_block_merge_config_selectorIyNS0_10empty_typeEEEZZNS1_27merge_sort_block_merge_implIS3_N6thrust23THRUST_200600_302600_NS6detail15normal_iteratorINS9_10device_ptrIyEEEEPS5_jNS1_19radix_merge_compareILb0ELb0EyNS0_19identity_decomposerEEEEE10hipError_tT0_T1_T2_jT3_P12ihipStream_tbPNSt15iterator_traitsISK_E10value_typeEPNSQ_ISL_E10value_typeEPSM_NS1_7vsmem_tEENKUlT_SK_SL_SM_E_clIPySE_SF_SF_EESJ_SZ_SK_SL_SM_EUlSZ_E0_NS1_11comp_targetILNS1_3genE10ELNS1_11target_archE1201ELNS1_3gpuE5ELNS1_3repE0EEENS1_38merge_mergepath_config_static_selectorELNS0_4arch9wavefront6targetE1EEEvSL_
; %bb.0:
	.section	.rodata,"a",@progbits
	.p2align	6, 0x0
	.amdhsa_kernel _ZN7rocprim17ROCPRIM_400000_NS6detail17trampoline_kernelINS0_14default_configENS1_38merge_sort_block_merge_config_selectorIyNS0_10empty_typeEEEZZNS1_27merge_sort_block_merge_implIS3_N6thrust23THRUST_200600_302600_NS6detail15normal_iteratorINS9_10device_ptrIyEEEEPS5_jNS1_19radix_merge_compareILb0ELb0EyNS0_19identity_decomposerEEEEE10hipError_tT0_T1_T2_jT3_P12ihipStream_tbPNSt15iterator_traitsISK_E10value_typeEPNSQ_ISL_E10value_typeEPSM_NS1_7vsmem_tEENKUlT_SK_SL_SM_E_clIPySE_SF_SF_EESJ_SZ_SK_SL_SM_EUlSZ_E0_NS1_11comp_targetILNS1_3genE10ELNS1_11target_archE1201ELNS1_3gpuE5ELNS1_3repE0EEENS1_38merge_mergepath_config_static_selectorELNS0_4arch9wavefront6targetE1EEEvSL_
		.amdhsa_group_segment_fixed_size 0
		.amdhsa_private_segment_fixed_size 0
		.amdhsa_kernarg_size 64
		.amdhsa_user_sgpr_count 6
		.amdhsa_user_sgpr_private_segment_buffer 1
		.amdhsa_user_sgpr_dispatch_ptr 0
		.amdhsa_user_sgpr_queue_ptr 0
		.amdhsa_user_sgpr_kernarg_segment_ptr 1
		.amdhsa_user_sgpr_dispatch_id 0
		.amdhsa_user_sgpr_flat_scratch_init 0
		.amdhsa_user_sgpr_kernarg_preload_length 0
		.amdhsa_user_sgpr_kernarg_preload_offset 0
		.amdhsa_user_sgpr_private_segment_size 0
		.amdhsa_uses_dynamic_stack 0
		.amdhsa_system_sgpr_private_segment_wavefront_offset 0
		.amdhsa_system_sgpr_workgroup_id_x 1
		.amdhsa_system_sgpr_workgroup_id_y 0
		.amdhsa_system_sgpr_workgroup_id_z 0
		.amdhsa_system_sgpr_workgroup_info 0
		.amdhsa_system_vgpr_workitem_id 0
		.amdhsa_next_free_vgpr 1
		.amdhsa_next_free_sgpr 0
		.amdhsa_accum_offset 4
		.amdhsa_reserve_vcc 0
		.amdhsa_reserve_flat_scratch 0
		.amdhsa_float_round_mode_32 0
		.amdhsa_float_round_mode_16_64 0
		.amdhsa_float_denorm_mode_32 3
		.amdhsa_float_denorm_mode_16_64 3
		.amdhsa_dx10_clamp 1
		.amdhsa_ieee_mode 1
		.amdhsa_fp16_overflow 0
		.amdhsa_tg_split 0
		.amdhsa_exception_fp_ieee_invalid_op 0
		.amdhsa_exception_fp_denorm_src 0
		.amdhsa_exception_fp_ieee_div_zero 0
		.amdhsa_exception_fp_ieee_overflow 0
		.amdhsa_exception_fp_ieee_underflow 0
		.amdhsa_exception_fp_ieee_inexact 0
		.amdhsa_exception_int_div_zero 0
	.end_amdhsa_kernel
	.section	.text._ZN7rocprim17ROCPRIM_400000_NS6detail17trampoline_kernelINS0_14default_configENS1_38merge_sort_block_merge_config_selectorIyNS0_10empty_typeEEEZZNS1_27merge_sort_block_merge_implIS3_N6thrust23THRUST_200600_302600_NS6detail15normal_iteratorINS9_10device_ptrIyEEEEPS5_jNS1_19radix_merge_compareILb0ELb0EyNS0_19identity_decomposerEEEEE10hipError_tT0_T1_T2_jT3_P12ihipStream_tbPNSt15iterator_traitsISK_E10value_typeEPNSQ_ISL_E10value_typeEPSM_NS1_7vsmem_tEENKUlT_SK_SL_SM_E_clIPySE_SF_SF_EESJ_SZ_SK_SL_SM_EUlSZ_E0_NS1_11comp_targetILNS1_3genE10ELNS1_11target_archE1201ELNS1_3gpuE5ELNS1_3repE0EEENS1_38merge_mergepath_config_static_selectorELNS0_4arch9wavefront6targetE1EEEvSL_,"axG",@progbits,_ZN7rocprim17ROCPRIM_400000_NS6detail17trampoline_kernelINS0_14default_configENS1_38merge_sort_block_merge_config_selectorIyNS0_10empty_typeEEEZZNS1_27merge_sort_block_merge_implIS3_N6thrust23THRUST_200600_302600_NS6detail15normal_iteratorINS9_10device_ptrIyEEEEPS5_jNS1_19radix_merge_compareILb0ELb0EyNS0_19identity_decomposerEEEEE10hipError_tT0_T1_T2_jT3_P12ihipStream_tbPNSt15iterator_traitsISK_E10value_typeEPNSQ_ISL_E10value_typeEPSM_NS1_7vsmem_tEENKUlT_SK_SL_SM_E_clIPySE_SF_SF_EESJ_SZ_SK_SL_SM_EUlSZ_E0_NS1_11comp_targetILNS1_3genE10ELNS1_11target_archE1201ELNS1_3gpuE5ELNS1_3repE0EEENS1_38merge_mergepath_config_static_selectorELNS0_4arch9wavefront6targetE1EEEvSL_,comdat
.Lfunc_end733:
	.size	_ZN7rocprim17ROCPRIM_400000_NS6detail17trampoline_kernelINS0_14default_configENS1_38merge_sort_block_merge_config_selectorIyNS0_10empty_typeEEEZZNS1_27merge_sort_block_merge_implIS3_N6thrust23THRUST_200600_302600_NS6detail15normal_iteratorINS9_10device_ptrIyEEEEPS5_jNS1_19radix_merge_compareILb0ELb0EyNS0_19identity_decomposerEEEEE10hipError_tT0_T1_T2_jT3_P12ihipStream_tbPNSt15iterator_traitsISK_E10value_typeEPNSQ_ISL_E10value_typeEPSM_NS1_7vsmem_tEENKUlT_SK_SL_SM_E_clIPySE_SF_SF_EESJ_SZ_SK_SL_SM_EUlSZ_E0_NS1_11comp_targetILNS1_3genE10ELNS1_11target_archE1201ELNS1_3gpuE5ELNS1_3repE0EEENS1_38merge_mergepath_config_static_selectorELNS0_4arch9wavefront6targetE1EEEvSL_, .Lfunc_end733-_ZN7rocprim17ROCPRIM_400000_NS6detail17trampoline_kernelINS0_14default_configENS1_38merge_sort_block_merge_config_selectorIyNS0_10empty_typeEEEZZNS1_27merge_sort_block_merge_implIS3_N6thrust23THRUST_200600_302600_NS6detail15normal_iteratorINS9_10device_ptrIyEEEEPS5_jNS1_19radix_merge_compareILb0ELb0EyNS0_19identity_decomposerEEEEE10hipError_tT0_T1_T2_jT3_P12ihipStream_tbPNSt15iterator_traitsISK_E10value_typeEPNSQ_ISL_E10value_typeEPSM_NS1_7vsmem_tEENKUlT_SK_SL_SM_E_clIPySE_SF_SF_EESJ_SZ_SK_SL_SM_EUlSZ_E0_NS1_11comp_targetILNS1_3genE10ELNS1_11target_archE1201ELNS1_3gpuE5ELNS1_3repE0EEENS1_38merge_mergepath_config_static_selectorELNS0_4arch9wavefront6targetE1EEEvSL_
                                        ; -- End function
	.section	.AMDGPU.csdata,"",@progbits
; Kernel info:
; codeLenInByte = 0
; NumSgprs: 4
; NumVgprs: 0
; NumAgprs: 0
; TotalNumVgprs: 0
; ScratchSize: 0
; MemoryBound: 0
; FloatMode: 240
; IeeeMode: 1
; LDSByteSize: 0 bytes/workgroup (compile time only)
; SGPRBlocks: 0
; VGPRBlocks: 0
; NumSGPRsForWavesPerEU: 4
; NumVGPRsForWavesPerEU: 1
; AccumOffset: 4
; Occupancy: 8
; WaveLimiterHint : 0
; COMPUTE_PGM_RSRC2:SCRATCH_EN: 0
; COMPUTE_PGM_RSRC2:USER_SGPR: 6
; COMPUTE_PGM_RSRC2:TRAP_HANDLER: 0
; COMPUTE_PGM_RSRC2:TGID_X_EN: 1
; COMPUTE_PGM_RSRC2:TGID_Y_EN: 0
; COMPUTE_PGM_RSRC2:TGID_Z_EN: 0
; COMPUTE_PGM_RSRC2:TIDIG_COMP_CNT: 0
; COMPUTE_PGM_RSRC3_GFX90A:ACCUM_OFFSET: 0
; COMPUTE_PGM_RSRC3_GFX90A:TG_SPLIT: 0
	.section	.text._ZN7rocprim17ROCPRIM_400000_NS6detail17trampoline_kernelINS0_14default_configENS1_38merge_sort_block_merge_config_selectorIyNS0_10empty_typeEEEZZNS1_27merge_sort_block_merge_implIS3_N6thrust23THRUST_200600_302600_NS6detail15normal_iteratorINS9_10device_ptrIyEEEEPS5_jNS1_19radix_merge_compareILb0ELb0EyNS0_19identity_decomposerEEEEE10hipError_tT0_T1_T2_jT3_P12ihipStream_tbPNSt15iterator_traitsISK_E10value_typeEPNSQ_ISL_E10value_typeEPSM_NS1_7vsmem_tEENKUlT_SK_SL_SM_E_clIPySE_SF_SF_EESJ_SZ_SK_SL_SM_EUlSZ_E0_NS1_11comp_targetILNS1_3genE5ELNS1_11target_archE942ELNS1_3gpuE9ELNS1_3repE0EEENS1_38merge_mergepath_config_static_selectorELNS0_4arch9wavefront6targetE1EEEvSL_,"axG",@progbits,_ZN7rocprim17ROCPRIM_400000_NS6detail17trampoline_kernelINS0_14default_configENS1_38merge_sort_block_merge_config_selectorIyNS0_10empty_typeEEEZZNS1_27merge_sort_block_merge_implIS3_N6thrust23THRUST_200600_302600_NS6detail15normal_iteratorINS9_10device_ptrIyEEEEPS5_jNS1_19radix_merge_compareILb0ELb0EyNS0_19identity_decomposerEEEEE10hipError_tT0_T1_T2_jT3_P12ihipStream_tbPNSt15iterator_traitsISK_E10value_typeEPNSQ_ISL_E10value_typeEPSM_NS1_7vsmem_tEENKUlT_SK_SL_SM_E_clIPySE_SF_SF_EESJ_SZ_SK_SL_SM_EUlSZ_E0_NS1_11comp_targetILNS1_3genE5ELNS1_11target_archE942ELNS1_3gpuE9ELNS1_3repE0EEENS1_38merge_mergepath_config_static_selectorELNS0_4arch9wavefront6targetE1EEEvSL_,comdat
	.protected	_ZN7rocprim17ROCPRIM_400000_NS6detail17trampoline_kernelINS0_14default_configENS1_38merge_sort_block_merge_config_selectorIyNS0_10empty_typeEEEZZNS1_27merge_sort_block_merge_implIS3_N6thrust23THRUST_200600_302600_NS6detail15normal_iteratorINS9_10device_ptrIyEEEEPS5_jNS1_19radix_merge_compareILb0ELb0EyNS0_19identity_decomposerEEEEE10hipError_tT0_T1_T2_jT3_P12ihipStream_tbPNSt15iterator_traitsISK_E10value_typeEPNSQ_ISL_E10value_typeEPSM_NS1_7vsmem_tEENKUlT_SK_SL_SM_E_clIPySE_SF_SF_EESJ_SZ_SK_SL_SM_EUlSZ_E0_NS1_11comp_targetILNS1_3genE5ELNS1_11target_archE942ELNS1_3gpuE9ELNS1_3repE0EEENS1_38merge_mergepath_config_static_selectorELNS0_4arch9wavefront6targetE1EEEvSL_ ; -- Begin function _ZN7rocprim17ROCPRIM_400000_NS6detail17trampoline_kernelINS0_14default_configENS1_38merge_sort_block_merge_config_selectorIyNS0_10empty_typeEEEZZNS1_27merge_sort_block_merge_implIS3_N6thrust23THRUST_200600_302600_NS6detail15normal_iteratorINS9_10device_ptrIyEEEEPS5_jNS1_19radix_merge_compareILb0ELb0EyNS0_19identity_decomposerEEEEE10hipError_tT0_T1_T2_jT3_P12ihipStream_tbPNSt15iterator_traitsISK_E10value_typeEPNSQ_ISL_E10value_typeEPSM_NS1_7vsmem_tEENKUlT_SK_SL_SM_E_clIPySE_SF_SF_EESJ_SZ_SK_SL_SM_EUlSZ_E0_NS1_11comp_targetILNS1_3genE5ELNS1_11target_archE942ELNS1_3gpuE9ELNS1_3repE0EEENS1_38merge_mergepath_config_static_selectorELNS0_4arch9wavefront6targetE1EEEvSL_
	.globl	_ZN7rocprim17ROCPRIM_400000_NS6detail17trampoline_kernelINS0_14default_configENS1_38merge_sort_block_merge_config_selectorIyNS0_10empty_typeEEEZZNS1_27merge_sort_block_merge_implIS3_N6thrust23THRUST_200600_302600_NS6detail15normal_iteratorINS9_10device_ptrIyEEEEPS5_jNS1_19radix_merge_compareILb0ELb0EyNS0_19identity_decomposerEEEEE10hipError_tT0_T1_T2_jT3_P12ihipStream_tbPNSt15iterator_traitsISK_E10value_typeEPNSQ_ISL_E10value_typeEPSM_NS1_7vsmem_tEENKUlT_SK_SL_SM_E_clIPySE_SF_SF_EESJ_SZ_SK_SL_SM_EUlSZ_E0_NS1_11comp_targetILNS1_3genE5ELNS1_11target_archE942ELNS1_3gpuE9ELNS1_3repE0EEENS1_38merge_mergepath_config_static_selectorELNS0_4arch9wavefront6targetE1EEEvSL_
	.p2align	8
	.type	_ZN7rocprim17ROCPRIM_400000_NS6detail17trampoline_kernelINS0_14default_configENS1_38merge_sort_block_merge_config_selectorIyNS0_10empty_typeEEEZZNS1_27merge_sort_block_merge_implIS3_N6thrust23THRUST_200600_302600_NS6detail15normal_iteratorINS9_10device_ptrIyEEEEPS5_jNS1_19radix_merge_compareILb0ELb0EyNS0_19identity_decomposerEEEEE10hipError_tT0_T1_T2_jT3_P12ihipStream_tbPNSt15iterator_traitsISK_E10value_typeEPNSQ_ISL_E10value_typeEPSM_NS1_7vsmem_tEENKUlT_SK_SL_SM_E_clIPySE_SF_SF_EESJ_SZ_SK_SL_SM_EUlSZ_E0_NS1_11comp_targetILNS1_3genE5ELNS1_11target_archE942ELNS1_3gpuE9ELNS1_3repE0EEENS1_38merge_mergepath_config_static_selectorELNS0_4arch9wavefront6targetE1EEEvSL_,@function
_ZN7rocprim17ROCPRIM_400000_NS6detail17trampoline_kernelINS0_14default_configENS1_38merge_sort_block_merge_config_selectorIyNS0_10empty_typeEEEZZNS1_27merge_sort_block_merge_implIS3_N6thrust23THRUST_200600_302600_NS6detail15normal_iteratorINS9_10device_ptrIyEEEEPS5_jNS1_19radix_merge_compareILb0ELb0EyNS0_19identity_decomposerEEEEE10hipError_tT0_T1_T2_jT3_P12ihipStream_tbPNSt15iterator_traitsISK_E10value_typeEPNSQ_ISL_E10value_typeEPSM_NS1_7vsmem_tEENKUlT_SK_SL_SM_E_clIPySE_SF_SF_EESJ_SZ_SK_SL_SM_EUlSZ_E0_NS1_11comp_targetILNS1_3genE5ELNS1_11target_archE942ELNS1_3gpuE9ELNS1_3repE0EEENS1_38merge_mergepath_config_static_selectorELNS0_4arch9wavefront6targetE1EEEvSL_: ; @_ZN7rocprim17ROCPRIM_400000_NS6detail17trampoline_kernelINS0_14default_configENS1_38merge_sort_block_merge_config_selectorIyNS0_10empty_typeEEEZZNS1_27merge_sort_block_merge_implIS3_N6thrust23THRUST_200600_302600_NS6detail15normal_iteratorINS9_10device_ptrIyEEEEPS5_jNS1_19radix_merge_compareILb0ELb0EyNS0_19identity_decomposerEEEEE10hipError_tT0_T1_T2_jT3_P12ihipStream_tbPNSt15iterator_traitsISK_E10value_typeEPNSQ_ISL_E10value_typeEPSM_NS1_7vsmem_tEENKUlT_SK_SL_SM_E_clIPySE_SF_SF_EESJ_SZ_SK_SL_SM_EUlSZ_E0_NS1_11comp_targetILNS1_3genE5ELNS1_11target_archE942ELNS1_3gpuE9ELNS1_3repE0EEENS1_38merge_mergepath_config_static_selectorELNS0_4arch9wavefront6targetE1EEEvSL_
; %bb.0:
	.section	.rodata,"a",@progbits
	.p2align	6, 0x0
	.amdhsa_kernel _ZN7rocprim17ROCPRIM_400000_NS6detail17trampoline_kernelINS0_14default_configENS1_38merge_sort_block_merge_config_selectorIyNS0_10empty_typeEEEZZNS1_27merge_sort_block_merge_implIS3_N6thrust23THRUST_200600_302600_NS6detail15normal_iteratorINS9_10device_ptrIyEEEEPS5_jNS1_19radix_merge_compareILb0ELb0EyNS0_19identity_decomposerEEEEE10hipError_tT0_T1_T2_jT3_P12ihipStream_tbPNSt15iterator_traitsISK_E10value_typeEPNSQ_ISL_E10value_typeEPSM_NS1_7vsmem_tEENKUlT_SK_SL_SM_E_clIPySE_SF_SF_EESJ_SZ_SK_SL_SM_EUlSZ_E0_NS1_11comp_targetILNS1_3genE5ELNS1_11target_archE942ELNS1_3gpuE9ELNS1_3repE0EEENS1_38merge_mergepath_config_static_selectorELNS0_4arch9wavefront6targetE1EEEvSL_
		.amdhsa_group_segment_fixed_size 0
		.amdhsa_private_segment_fixed_size 0
		.amdhsa_kernarg_size 64
		.amdhsa_user_sgpr_count 6
		.amdhsa_user_sgpr_private_segment_buffer 1
		.amdhsa_user_sgpr_dispatch_ptr 0
		.amdhsa_user_sgpr_queue_ptr 0
		.amdhsa_user_sgpr_kernarg_segment_ptr 1
		.amdhsa_user_sgpr_dispatch_id 0
		.amdhsa_user_sgpr_flat_scratch_init 0
		.amdhsa_user_sgpr_kernarg_preload_length 0
		.amdhsa_user_sgpr_kernarg_preload_offset 0
		.amdhsa_user_sgpr_private_segment_size 0
		.amdhsa_uses_dynamic_stack 0
		.amdhsa_system_sgpr_private_segment_wavefront_offset 0
		.amdhsa_system_sgpr_workgroup_id_x 1
		.amdhsa_system_sgpr_workgroup_id_y 0
		.amdhsa_system_sgpr_workgroup_id_z 0
		.amdhsa_system_sgpr_workgroup_info 0
		.amdhsa_system_vgpr_workitem_id 0
		.amdhsa_next_free_vgpr 1
		.amdhsa_next_free_sgpr 0
		.amdhsa_accum_offset 4
		.amdhsa_reserve_vcc 0
		.amdhsa_reserve_flat_scratch 0
		.amdhsa_float_round_mode_32 0
		.amdhsa_float_round_mode_16_64 0
		.amdhsa_float_denorm_mode_32 3
		.amdhsa_float_denorm_mode_16_64 3
		.amdhsa_dx10_clamp 1
		.amdhsa_ieee_mode 1
		.amdhsa_fp16_overflow 0
		.amdhsa_tg_split 0
		.amdhsa_exception_fp_ieee_invalid_op 0
		.amdhsa_exception_fp_denorm_src 0
		.amdhsa_exception_fp_ieee_div_zero 0
		.amdhsa_exception_fp_ieee_overflow 0
		.amdhsa_exception_fp_ieee_underflow 0
		.amdhsa_exception_fp_ieee_inexact 0
		.amdhsa_exception_int_div_zero 0
	.end_amdhsa_kernel
	.section	.text._ZN7rocprim17ROCPRIM_400000_NS6detail17trampoline_kernelINS0_14default_configENS1_38merge_sort_block_merge_config_selectorIyNS0_10empty_typeEEEZZNS1_27merge_sort_block_merge_implIS3_N6thrust23THRUST_200600_302600_NS6detail15normal_iteratorINS9_10device_ptrIyEEEEPS5_jNS1_19radix_merge_compareILb0ELb0EyNS0_19identity_decomposerEEEEE10hipError_tT0_T1_T2_jT3_P12ihipStream_tbPNSt15iterator_traitsISK_E10value_typeEPNSQ_ISL_E10value_typeEPSM_NS1_7vsmem_tEENKUlT_SK_SL_SM_E_clIPySE_SF_SF_EESJ_SZ_SK_SL_SM_EUlSZ_E0_NS1_11comp_targetILNS1_3genE5ELNS1_11target_archE942ELNS1_3gpuE9ELNS1_3repE0EEENS1_38merge_mergepath_config_static_selectorELNS0_4arch9wavefront6targetE1EEEvSL_,"axG",@progbits,_ZN7rocprim17ROCPRIM_400000_NS6detail17trampoline_kernelINS0_14default_configENS1_38merge_sort_block_merge_config_selectorIyNS0_10empty_typeEEEZZNS1_27merge_sort_block_merge_implIS3_N6thrust23THRUST_200600_302600_NS6detail15normal_iteratorINS9_10device_ptrIyEEEEPS5_jNS1_19radix_merge_compareILb0ELb0EyNS0_19identity_decomposerEEEEE10hipError_tT0_T1_T2_jT3_P12ihipStream_tbPNSt15iterator_traitsISK_E10value_typeEPNSQ_ISL_E10value_typeEPSM_NS1_7vsmem_tEENKUlT_SK_SL_SM_E_clIPySE_SF_SF_EESJ_SZ_SK_SL_SM_EUlSZ_E0_NS1_11comp_targetILNS1_3genE5ELNS1_11target_archE942ELNS1_3gpuE9ELNS1_3repE0EEENS1_38merge_mergepath_config_static_selectorELNS0_4arch9wavefront6targetE1EEEvSL_,comdat
.Lfunc_end734:
	.size	_ZN7rocprim17ROCPRIM_400000_NS6detail17trampoline_kernelINS0_14default_configENS1_38merge_sort_block_merge_config_selectorIyNS0_10empty_typeEEEZZNS1_27merge_sort_block_merge_implIS3_N6thrust23THRUST_200600_302600_NS6detail15normal_iteratorINS9_10device_ptrIyEEEEPS5_jNS1_19radix_merge_compareILb0ELb0EyNS0_19identity_decomposerEEEEE10hipError_tT0_T1_T2_jT3_P12ihipStream_tbPNSt15iterator_traitsISK_E10value_typeEPNSQ_ISL_E10value_typeEPSM_NS1_7vsmem_tEENKUlT_SK_SL_SM_E_clIPySE_SF_SF_EESJ_SZ_SK_SL_SM_EUlSZ_E0_NS1_11comp_targetILNS1_3genE5ELNS1_11target_archE942ELNS1_3gpuE9ELNS1_3repE0EEENS1_38merge_mergepath_config_static_selectorELNS0_4arch9wavefront6targetE1EEEvSL_, .Lfunc_end734-_ZN7rocprim17ROCPRIM_400000_NS6detail17trampoline_kernelINS0_14default_configENS1_38merge_sort_block_merge_config_selectorIyNS0_10empty_typeEEEZZNS1_27merge_sort_block_merge_implIS3_N6thrust23THRUST_200600_302600_NS6detail15normal_iteratorINS9_10device_ptrIyEEEEPS5_jNS1_19radix_merge_compareILb0ELb0EyNS0_19identity_decomposerEEEEE10hipError_tT0_T1_T2_jT3_P12ihipStream_tbPNSt15iterator_traitsISK_E10value_typeEPNSQ_ISL_E10value_typeEPSM_NS1_7vsmem_tEENKUlT_SK_SL_SM_E_clIPySE_SF_SF_EESJ_SZ_SK_SL_SM_EUlSZ_E0_NS1_11comp_targetILNS1_3genE5ELNS1_11target_archE942ELNS1_3gpuE9ELNS1_3repE0EEENS1_38merge_mergepath_config_static_selectorELNS0_4arch9wavefront6targetE1EEEvSL_
                                        ; -- End function
	.section	.AMDGPU.csdata,"",@progbits
; Kernel info:
; codeLenInByte = 0
; NumSgprs: 4
; NumVgprs: 0
; NumAgprs: 0
; TotalNumVgprs: 0
; ScratchSize: 0
; MemoryBound: 0
; FloatMode: 240
; IeeeMode: 1
; LDSByteSize: 0 bytes/workgroup (compile time only)
; SGPRBlocks: 0
; VGPRBlocks: 0
; NumSGPRsForWavesPerEU: 4
; NumVGPRsForWavesPerEU: 1
; AccumOffset: 4
; Occupancy: 8
; WaveLimiterHint : 0
; COMPUTE_PGM_RSRC2:SCRATCH_EN: 0
; COMPUTE_PGM_RSRC2:USER_SGPR: 6
; COMPUTE_PGM_RSRC2:TRAP_HANDLER: 0
; COMPUTE_PGM_RSRC2:TGID_X_EN: 1
; COMPUTE_PGM_RSRC2:TGID_Y_EN: 0
; COMPUTE_PGM_RSRC2:TGID_Z_EN: 0
; COMPUTE_PGM_RSRC2:TIDIG_COMP_CNT: 0
; COMPUTE_PGM_RSRC3_GFX90A:ACCUM_OFFSET: 0
; COMPUTE_PGM_RSRC3_GFX90A:TG_SPLIT: 0
	.section	.text._ZN7rocprim17ROCPRIM_400000_NS6detail17trampoline_kernelINS0_14default_configENS1_38merge_sort_block_merge_config_selectorIyNS0_10empty_typeEEEZZNS1_27merge_sort_block_merge_implIS3_N6thrust23THRUST_200600_302600_NS6detail15normal_iteratorINS9_10device_ptrIyEEEEPS5_jNS1_19radix_merge_compareILb0ELb0EyNS0_19identity_decomposerEEEEE10hipError_tT0_T1_T2_jT3_P12ihipStream_tbPNSt15iterator_traitsISK_E10value_typeEPNSQ_ISL_E10value_typeEPSM_NS1_7vsmem_tEENKUlT_SK_SL_SM_E_clIPySE_SF_SF_EESJ_SZ_SK_SL_SM_EUlSZ_E0_NS1_11comp_targetILNS1_3genE4ELNS1_11target_archE910ELNS1_3gpuE8ELNS1_3repE0EEENS1_38merge_mergepath_config_static_selectorELNS0_4arch9wavefront6targetE1EEEvSL_,"axG",@progbits,_ZN7rocprim17ROCPRIM_400000_NS6detail17trampoline_kernelINS0_14default_configENS1_38merge_sort_block_merge_config_selectorIyNS0_10empty_typeEEEZZNS1_27merge_sort_block_merge_implIS3_N6thrust23THRUST_200600_302600_NS6detail15normal_iteratorINS9_10device_ptrIyEEEEPS5_jNS1_19radix_merge_compareILb0ELb0EyNS0_19identity_decomposerEEEEE10hipError_tT0_T1_T2_jT3_P12ihipStream_tbPNSt15iterator_traitsISK_E10value_typeEPNSQ_ISL_E10value_typeEPSM_NS1_7vsmem_tEENKUlT_SK_SL_SM_E_clIPySE_SF_SF_EESJ_SZ_SK_SL_SM_EUlSZ_E0_NS1_11comp_targetILNS1_3genE4ELNS1_11target_archE910ELNS1_3gpuE8ELNS1_3repE0EEENS1_38merge_mergepath_config_static_selectorELNS0_4arch9wavefront6targetE1EEEvSL_,comdat
	.protected	_ZN7rocprim17ROCPRIM_400000_NS6detail17trampoline_kernelINS0_14default_configENS1_38merge_sort_block_merge_config_selectorIyNS0_10empty_typeEEEZZNS1_27merge_sort_block_merge_implIS3_N6thrust23THRUST_200600_302600_NS6detail15normal_iteratorINS9_10device_ptrIyEEEEPS5_jNS1_19radix_merge_compareILb0ELb0EyNS0_19identity_decomposerEEEEE10hipError_tT0_T1_T2_jT3_P12ihipStream_tbPNSt15iterator_traitsISK_E10value_typeEPNSQ_ISL_E10value_typeEPSM_NS1_7vsmem_tEENKUlT_SK_SL_SM_E_clIPySE_SF_SF_EESJ_SZ_SK_SL_SM_EUlSZ_E0_NS1_11comp_targetILNS1_3genE4ELNS1_11target_archE910ELNS1_3gpuE8ELNS1_3repE0EEENS1_38merge_mergepath_config_static_selectorELNS0_4arch9wavefront6targetE1EEEvSL_ ; -- Begin function _ZN7rocprim17ROCPRIM_400000_NS6detail17trampoline_kernelINS0_14default_configENS1_38merge_sort_block_merge_config_selectorIyNS0_10empty_typeEEEZZNS1_27merge_sort_block_merge_implIS3_N6thrust23THRUST_200600_302600_NS6detail15normal_iteratorINS9_10device_ptrIyEEEEPS5_jNS1_19radix_merge_compareILb0ELb0EyNS0_19identity_decomposerEEEEE10hipError_tT0_T1_T2_jT3_P12ihipStream_tbPNSt15iterator_traitsISK_E10value_typeEPNSQ_ISL_E10value_typeEPSM_NS1_7vsmem_tEENKUlT_SK_SL_SM_E_clIPySE_SF_SF_EESJ_SZ_SK_SL_SM_EUlSZ_E0_NS1_11comp_targetILNS1_3genE4ELNS1_11target_archE910ELNS1_3gpuE8ELNS1_3repE0EEENS1_38merge_mergepath_config_static_selectorELNS0_4arch9wavefront6targetE1EEEvSL_
	.globl	_ZN7rocprim17ROCPRIM_400000_NS6detail17trampoline_kernelINS0_14default_configENS1_38merge_sort_block_merge_config_selectorIyNS0_10empty_typeEEEZZNS1_27merge_sort_block_merge_implIS3_N6thrust23THRUST_200600_302600_NS6detail15normal_iteratorINS9_10device_ptrIyEEEEPS5_jNS1_19radix_merge_compareILb0ELb0EyNS0_19identity_decomposerEEEEE10hipError_tT0_T1_T2_jT3_P12ihipStream_tbPNSt15iterator_traitsISK_E10value_typeEPNSQ_ISL_E10value_typeEPSM_NS1_7vsmem_tEENKUlT_SK_SL_SM_E_clIPySE_SF_SF_EESJ_SZ_SK_SL_SM_EUlSZ_E0_NS1_11comp_targetILNS1_3genE4ELNS1_11target_archE910ELNS1_3gpuE8ELNS1_3repE0EEENS1_38merge_mergepath_config_static_selectorELNS0_4arch9wavefront6targetE1EEEvSL_
	.p2align	8
	.type	_ZN7rocprim17ROCPRIM_400000_NS6detail17trampoline_kernelINS0_14default_configENS1_38merge_sort_block_merge_config_selectorIyNS0_10empty_typeEEEZZNS1_27merge_sort_block_merge_implIS3_N6thrust23THRUST_200600_302600_NS6detail15normal_iteratorINS9_10device_ptrIyEEEEPS5_jNS1_19radix_merge_compareILb0ELb0EyNS0_19identity_decomposerEEEEE10hipError_tT0_T1_T2_jT3_P12ihipStream_tbPNSt15iterator_traitsISK_E10value_typeEPNSQ_ISL_E10value_typeEPSM_NS1_7vsmem_tEENKUlT_SK_SL_SM_E_clIPySE_SF_SF_EESJ_SZ_SK_SL_SM_EUlSZ_E0_NS1_11comp_targetILNS1_3genE4ELNS1_11target_archE910ELNS1_3gpuE8ELNS1_3repE0EEENS1_38merge_mergepath_config_static_selectorELNS0_4arch9wavefront6targetE1EEEvSL_,@function
_ZN7rocprim17ROCPRIM_400000_NS6detail17trampoline_kernelINS0_14default_configENS1_38merge_sort_block_merge_config_selectorIyNS0_10empty_typeEEEZZNS1_27merge_sort_block_merge_implIS3_N6thrust23THRUST_200600_302600_NS6detail15normal_iteratorINS9_10device_ptrIyEEEEPS5_jNS1_19radix_merge_compareILb0ELb0EyNS0_19identity_decomposerEEEEE10hipError_tT0_T1_T2_jT3_P12ihipStream_tbPNSt15iterator_traitsISK_E10value_typeEPNSQ_ISL_E10value_typeEPSM_NS1_7vsmem_tEENKUlT_SK_SL_SM_E_clIPySE_SF_SF_EESJ_SZ_SK_SL_SM_EUlSZ_E0_NS1_11comp_targetILNS1_3genE4ELNS1_11target_archE910ELNS1_3gpuE8ELNS1_3repE0EEENS1_38merge_mergepath_config_static_selectorELNS0_4arch9wavefront6targetE1EEEvSL_: ; @_ZN7rocprim17ROCPRIM_400000_NS6detail17trampoline_kernelINS0_14default_configENS1_38merge_sort_block_merge_config_selectorIyNS0_10empty_typeEEEZZNS1_27merge_sort_block_merge_implIS3_N6thrust23THRUST_200600_302600_NS6detail15normal_iteratorINS9_10device_ptrIyEEEEPS5_jNS1_19radix_merge_compareILb0ELb0EyNS0_19identity_decomposerEEEEE10hipError_tT0_T1_T2_jT3_P12ihipStream_tbPNSt15iterator_traitsISK_E10value_typeEPNSQ_ISL_E10value_typeEPSM_NS1_7vsmem_tEENKUlT_SK_SL_SM_E_clIPySE_SF_SF_EESJ_SZ_SK_SL_SM_EUlSZ_E0_NS1_11comp_targetILNS1_3genE4ELNS1_11target_archE910ELNS1_3gpuE8ELNS1_3repE0EEENS1_38merge_mergepath_config_static_selectorELNS0_4arch9wavefront6targetE1EEEvSL_
; %bb.0:
	s_load_dwordx2 s[14:15], s[4:5], 0x40
	s_load_dword s3, s[4:5], 0x30
	s_add_u32 s0, s4, 64
	s_addc_u32 s1, s5, 0
	s_waitcnt lgkmcnt(0)
	s_mul_i32 s2, s15, s8
	s_add_i32 s2, s2, s7
	s_mul_i32 s2, s2, s14
	s_add_i32 s2, s2, s6
	s_cmp_ge_u32 s2, s3
	s_cbranch_scc1 .LBB735_31
; %bb.1:
	s_load_dwordx2 s[8:9], s[4:5], 0x28
	s_load_dwordx2 s[10:11], s[4:5], 0x38
	;; [unrolled: 1-line block ×3, first 2 shown]
	s_mov_b32 s3, 0
	v_mov_b32_e32 v9, 0
	s_waitcnt lgkmcnt(0)
	s_lshr_b32 s7, s8, 10
	s_cmp_lg_u32 s2, s7
	s_cselect_b64 s[12:13], -1, 0
	s_lshl_b64 s[18:19], s[2:3], 2
	s_add_u32 s10, s10, s18
	s_addc_u32 s11, s11, s19
	s_load_dwordx2 s[18:19], s[10:11], 0x0
	s_lshr_b32 s10, s9, 9
	s_and_b32 s10, s10, 0x7ffffe
	s_sub_i32 s11, 0, s10
	s_and_b32 s15, s2, s11
	s_lshl_b32 s21, s15, 10
	s_lshl_b32 s10, s2, 10
	;; [unrolled: 1-line block ×3, first 2 shown]
	s_sub_i32 s20, s10, s21
	s_add_i32 s15, s15, s9
	s_add_i32 s22, s15, s20
	s_waitcnt lgkmcnt(0)
	s_sub_i32 s20, s22, s18
	s_sub_i32 s22, s22, s19
	s_sub_i32 s15, s15, s21
	s_min_u32 s20, s8, s20
	s_addk_i32 s22, 0x400
	s_or_b32 s11, s2, s11
	s_min_u32 s21, s8, s15
	s_add_i32 s15, s15, s9
	s_cmp_eq_u32 s11, -1
	s_cselect_b32 s9, s15, s22
	s_cselect_b32 s11, s21, s19
	s_min_u32 s15, s9, s8
	s_mov_b32 s19, s3
	s_sub_i32 s9, s11, s18
	s_sub_i32 s15, s15, s20
	s_lshl_b64 s[18:19], s[18:19], 3
	s_add_u32 s18, s16, s18
	s_mov_b32 s21, s3
	s_addc_u32 s19, s17, s19
	s_lshl_b64 s[20:21], s[20:21], 3
	s_add_u32 s16, s16, s20
	s_addc_u32 s17, s17, s21
	s_cmp_lt_u32 s6, s14
	s_cselect_b32 s3, 12, 18
	global_load_dword v1, v9, s[0:1] offset:14
	s_add_u32 s0, s0, s3
	s_addc_u32 s1, s1, 0
	global_load_ushort v2, v9, s[0:1]
	s_cmp_eq_u32 s2, s7
	s_waitcnt vmcnt(1)
	v_lshrrev_b32_e32 v3, 16, v1
	v_and_b32_e32 v1, 0xffff, v1
	v_mul_lo_u32 v1, v1, v3
	s_waitcnt vmcnt(0)
	v_mul_lo_u32 v14, v1, v2
	v_add_u32_e32 v12, v14, v0
	v_lshlrev_b32_e32 v1, 3, v0
	v_add_u32_e32 v10, v12, v14
	s_cbranch_scc1 .LBB735_3
; %bb.2:
	v_mov_b32_e32 v2, s19
	v_add_co_u32_e32 v4, vcc, s18, v1
	v_subrev_u32_e32 v8, s9, v0
	v_addc_co_u32_e32 v5, vcc, 0, v2, vcc
	v_lshlrev_b64 v[2:3], 3, v[8:9]
	v_mov_b32_e32 v6, s17
	v_add_co_u32_e32 v2, vcc, s16, v2
	v_addc_co_u32_e32 v3, vcc, v6, v3, vcc
	v_cmp_gt_u32_e32 vcc, s9, v0
	v_mov_b32_e32 v13, v9
	v_cndmask_b32_e32 v3, v3, v5, vcc
	v_cndmask_b32_e32 v2, v2, v4, vcc
	v_lshlrev_b64 v[4:5], 3, v[12:13]
	v_mov_b32_e32 v6, s19
	v_add_co_u32_e32 v7, vcc, s18, v4
	v_subrev_u32_e32 v8, s9, v12
	v_addc_co_u32_e32 v6, vcc, v6, v5, vcc
	v_lshlrev_b64 v[4:5], 3, v[8:9]
	v_mov_b32_e32 v8, s17
	v_add_co_u32_e32 v4, vcc, s16, v4
	v_addc_co_u32_e32 v5, vcc, v8, v5, vcc
	v_cmp_gt_u32_e32 vcc, s9, v12
	v_mov_b32_e32 v11, v9
	v_cndmask_b32_e32 v5, v5, v6, vcc
	v_cndmask_b32_e32 v4, v4, v7, vcc
	v_lshlrev_b64 v[6:7], 3, v[10:11]
	v_mov_b32_e32 v8, s19
	v_add_co_u32_e32 v11, vcc, s18, v6
	v_addc_co_u32_e32 v13, vcc, v8, v7, vcc
	v_subrev_u32_e32 v8, s9, v10
	v_lshlrev_b64 v[6:7], 3, v[8:9]
	v_mov_b32_e32 v8, s17
	v_add_co_u32_e32 v6, vcc, s16, v6
	v_addc_co_u32_e32 v7, vcc, v8, v7, vcc
	v_add_u32_e32 v8, v10, v14
	v_cmp_gt_u32_e32 vcc, s9, v10
	v_lshlrev_b64 v[16:17], 3, v[8:9]
	v_cndmask_b32_e32 v7, v7, v13, vcc
	v_cndmask_b32_e32 v6, v6, v11, vcc
	v_mov_b32_e32 v11, s19
	v_add_co_u32_e32 v13, vcc, s18, v16
	v_addc_co_u32_e32 v11, vcc, v11, v17, vcc
	v_cmp_gt_u32_e32 vcc, s9, v8
	v_subrev_u32_e32 v8, s9, v8
	v_lshlrev_b64 v[8:9], 3, v[8:9]
	v_mov_b32_e32 v15, s17
	v_add_co_u32_e64 v8, s[0:1], s16, v8
	v_addc_co_u32_e64 v9, s[0:1], v15, v9, s[0:1]
	v_cndmask_b32_e32 v9, v9, v11, vcc
	v_cndmask_b32_e32 v8, v8, v13, vcc
	global_load_dwordx2 v[2:3], v[2:3], off
	s_add_i32 s11, s15, s9
	global_load_dwordx2 v[4:5], v[4:5], off
	s_nop 0
	global_load_dwordx2 v[6:7], v[6:7], off
	s_nop 0
	global_load_dwordx2 v[8:9], v[8:9], off
	s_load_dwordx2 s[6:7], s[4:5], 0x10
	s_cbranch_execz .LBB735_4
	s_branch .LBB735_11
.LBB735_3:
                                        ; implicit-def: $vgpr2_vgpr3_vgpr4_vgpr5_vgpr6_vgpr7_vgpr8_vgpr9
                                        ; implicit-def: $sgpr11
	s_load_dwordx2 s[6:7], s[4:5], 0x10
.LBB735_4:
	s_add_i32 s11, s15, s9
	v_cmp_gt_u32_e32 vcc, s11, v0
                                        ; implicit-def: $vgpr2_vgpr3_vgpr4_vgpr5_vgpr6_vgpr7_vgpr8_vgpr9
	s_and_saveexec_b64 s[0:1], vcc
	s_cbranch_execnz .LBB735_32
; %bb.5:
	s_or_b64 exec, exec, s[0:1]
	v_cmp_gt_u32_e32 vcc, s11, v12
	s_and_saveexec_b64 s[2:3], vcc
	s_cbranch_execnz .LBB735_33
.LBB735_6:
	s_or_b64 exec, exec, s[2:3]
	v_cmp_gt_u32_e32 vcc, s11, v10
	s_and_saveexec_b64 s[0:1], vcc
	s_cbranch_execz .LBB735_8
.LBB735_7:
	v_mov_b32_e32 v11, 0
	s_waitcnt vmcnt(1)
	v_lshlrev_b64 v[6:7], 3, v[10:11]
	v_mov_b32_e32 v12, s19
	v_add_co_u32_e32 v13, vcc, s18, v6
	v_addc_co_u32_e32 v12, vcc, v12, v7, vcc
	v_subrev_u32_e32 v6, s9, v10
	v_mov_b32_e32 v7, v11
	v_lshlrev_b64 v[6:7], 3, v[6:7]
	v_mov_b32_e32 v11, s17
	v_add_co_u32_e32 v6, vcc, s16, v6
	v_addc_co_u32_e32 v7, vcc, v11, v7, vcc
	v_cmp_gt_u32_e32 vcc, s9, v10
	v_cndmask_b32_e32 v7, v7, v12, vcc
	v_cndmask_b32_e32 v6, v6, v13, vcc
	global_load_dwordx2 v[6:7], v[6:7], off
.LBB735_8:
	s_or_b64 exec, exec, s[0:1]
	v_add_u32_e32 v10, v10, v14
	v_cmp_gt_u32_e32 vcc, s11, v10
	s_and_saveexec_b64 s[2:3], vcc
	s_cbranch_execz .LBB735_10
; %bb.9:
	v_mov_b32_e32 v11, 0
	s_waitcnt vmcnt(0)
	v_lshlrev_b64 v[8:9], 3, v[10:11]
	v_mov_b32_e32 v12, s19
	v_add_co_u32_e32 v13, vcc, s18, v8
	v_addc_co_u32_e32 v12, vcc, v12, v9, vcc
	v_cmp_gt_u32_e32 vcc, s9, v10
	v_subrev_u32_e32 v10, s9, v10
	v_lshlrev_b64 v[8:9], 3, v[10:11]
	v_mov_b32_e32 v10, s17
	v_add_co_u32_e64 v8, s[0:1], s16, v8
	v_addc_co_u32_e64 v9, s[0:1], v10, v9, s[0:1]
	v_cndmask_b32_e32 v9, v9, v12, vcc
	v_cndmask_b32_e32 v8, v8, v13, vcc
	global_load_dwordx2 v[8:9], v[8:9], off
.LBB735_10:
	s_or_b64 exec, exec, s[2:3]
.LBB735_11:
	v_lshlrev_b32_e32 v10, 2, v0
	v_min_u32_e32 v12, s11, v10
	v_sub_u32_e64 v11, v12, s15 clamp
	v_min_u32_e32 v13, s9, v12
	v_cmp_lt_u32_e32 vcc, v11, v13
	s_waitcnt vmcnt(0)
	ds_write2st64_b64 v1, v[2:3], v[4:5] offset1:4
	ds_write2st64_b64 v1, v[6:7], v[8:9] offset0:8 offset1:12
	s_waitcnt lgkmcnt(0)
	s_barrier
	s_and_saveexec_b64 s[0:1], vcc
	s_cbranch_execz .LBB735_15
; %bb.12:
	v_lshlrev_b32_e32 v14, 3, v12
	v_lshl_add_u32 v14, s9, 3, v14
	s_mov_b64 s[2:3], 0
.LBB735_13:                             ; =>This Inner Loop Header: Depth=1
	v_add_u32_e32 v15, v13, v11
	v_lshrrev_b32_e32 v15, 1, v15
	v_not_b32_e32 v16, v15
	v_lshlrev_b32_e32 v17, 3, v15
	v_lshl_add_u32 v18, v16, 3, v14
	ds_read_b64 v[16:17], v17
	ds_read_b64 v[18:19], v18
	v_add_u32_e32 v20, 1, v15
	s_waitcnt lgkmcnt(0)
	v_cmp_gt_u64_e32 vcc, v[16:17], v[18:19]
	v_cndmask_b32_e32 v13, v13, v15, vcc
	v_cndmask_b32_e32 v11, v20, v11, vcc
	v_cmp_ge_u32_e32 vcc, v11, v13
	s_or_b64 s[2:3], vcc, s[2:3]
	s_andn2_b64 exec, exec, s[2:3]
	s_cbranch_execnz .LBB735_13
; %bb.14:
	s_or_b64 exec, exec, s[2:3]
.LBB735_15:
	s_or_b64 exec, exec, s[0:1]
	v_sub_u32_e32 v12, v12, v11
	v_add_u32_e32 v12, s9, v12
	v_cmp_ge_u32_e32 vcc, s9, v11
	v_cmp_ge_u32_e64 s[0:1], s11, v12
	s_or_b64 s[0:1], vcc, s[0:1]
	s_and_saveexec_b64 s[14:15], s[0:1]
	s_cbranch_execz .LBB735_21
; %bb.16:
	v_cmp_gt_u32_e32 vcc, s9, v11
                                        ; implicit-def: $vgpr2_vgpr3
	s_and_saveexec_b64 s[0:1], vcc
	s_cbranch_execz .LBB735_18
; %bb.17:
	v_lshlrev_b32_e32 v2, 3, v11
	ds_read_b64 v[2:3], v2
.LBB735_18:
	s_or_b64 exec, exec, s[0:1]
	v_cmp_le_u32_e64 s[0:1], s11, v12
	v_cmp_gt_u32_e64 s[2:3], s11, v12
                                        ; implicit-def: $vgpr4_vgpr5
	s_and_saveexec_b64 s[4:5], s[2:3]
	s_cbranch_execz .LBB735_20
; %bb.19:
	v_lshlrev_b32_e32 v4, 3, v12
	ds_read_b64 v[4:5], v4
.LBB735_20:
	s_or_b64 exec, exec, s[4:5]
	s_waitcnt lgkmcnt(0)
	v_cmp_le_u64_e64 s[2:3], v[2:3], v[4:5]
	s_and_b64 s[2:3], vcc, s[2:3]
	s_or_b64 vcc, s[0:1], s[2:3]
	v_mov_b32_e32 v16, s11
	v_mov_b32_e32 v17, s9
	v_cndmask_b32_e32 v6, v12, v11, vcc
	v_cndmask_b32_e32 v7, v16, v17, vcc
	v_add_u32_e32 v13, 1, v6
	v_add_u32_e32 v6, -1, v7
	v_min_u32_e32 v6, v13, v6
	v_lshlrev_b32_e32 v6, 3, v6
	ds_read_b64 v[6:7], v6
	v_cndmask_b32_e32 v11, v11, v13, vcc
	v_cndmask_b32_e32 v18, v13, v12, vcc
	v_cmp_gt_u32_e64 s[2:3], s9, v11
	v_cmp_le_u32_e64 s[0:1], s11, v18
	s_waitcnt lgkmcnt(0)
	v_cndmask_b32_e32 v9, v7, v5, vcc
	v_cndmask_b32_e32 v8, v6, v4, vcc
	v_cndmask_b32_e32 v7, v3, v7, vcc
	v_cndmask_b32_e32 v6, v2, v6, vcc
	v_cmp_le_u64_e64 s[4:5], v[6:7], v[8:9]
	s_and_b64 s[2:3], s[2:3], s[4:5]
	s_or_b64 s[0:1], s[0:1], s[2:3]
	v_cndmask_b32_e64 v12, v18, v11, s[0:1]
	v_cndmask_b32_e64 v13, v16, v17, s[0:1]
	v_add_u32_e32 v19, 1, v12
	v_add_u32_e32 v12, -1, v13
	v_min_u32_e32 v12, v19, v12
	v_lshlrev_b32_e32 v12, 3, v12
	ds_read_b64 v[12:13], v12
	v_cndmask_b32_e64 v11, v11, v19, s[0:1]
	v_cndmask_b32_e64 v18, v19, v18, s[0:1]
	v_cmp_gt_u32_e64 s[2:3], s9, v11
	v_cndmask_b32_e32 v3, v5, v3, vcc
	s_waitcnt lgkmcnt(0)
	v_cndmask_b32_e64 v15, v13, v9, s[0:1]
	v_cndmask_b32_e64 v14, v12, v8, s[0:1]
	;; [unrolled: 1-line block ×4, first 2 shown]
	v_cmp_le_u64_e64 s[4:5], v[12:13], v[14:15]
	v_cndmask_b32_e32 v2, v4, v2, vcc
	v_cmp_le_u32_e32 vcc, s11, v18
	s_and_b64 s[2:3], s[2:3], s[4:5]
	s_or_b64 vcc, vcc, s[2:3]
	v_cndmask_b32_e32 v4, v18, v11, vcc
	v_cndmask_b32_e32 v5, v16, v17, vcc
	v_add_u32_e32 v19, 1, v4
	v_add_u32_e32 v4, -1, v5
	v_min_u32_e32 v4, v19, v4
	v_lshlrev_b32_e32 v4, 3, v4
	ds_read_b64 v[16:17], v4
	v_cndmask_b32_e64 v5, v9, v7, s[0:1]
	v_cndmask_b32_e64 v4, v8, v6, s[0:1]
	v_cndmask_b32_e32 v7, v15, v13, vcc
	v_cndmask_b32_e32 v6, v14, v12, vcc
	s_waitcnt lgkmcnt(0)
	v_cndmask_b32_e32 v9, v17, v15, vcc
	v_cndmask_b32_e32 v8, v16, v14, vcc
	;; [unrolled: 1-line block ×6, first 2 shown]
	v_cmp_gt_u32_e64 s[0:1], s9, v11
	v_cmp_le_u64_e64 s[2:3], v[12:13], v[8:9]
	v_cmp_le_u32_e32 vcc, s11, v14
	s_and_b64 s[0:1], s[0:1], s[2:3]
	s_or_b64 vcc, vcc, s[0:1]
	v_cndmask_b32_e32 v9, v9, v13, vcc
	v_cndmask_b32_e32 v8, v8, v12, vcc
.LBB735_21:
	s_or_b64 exec, exec, s[14:15]
	v_and_b32_e32 v11, 0xf8, v0
	v_lshl_add_u32 v10, v10, 3, v11
	s_barrier
	s_barrier
	ds_write2_b64 v10, v[2:3], v[4:5] offset1:1
	ds_write2_b64 v10, v[6:7], v[8:9] offset0:2 offset1:3
	v_lshrrev_b32_e32 v2, 2, v0
	v_and_b32_e32 v2, 56, v2
	v_or_b32_e32 v12, 0x100, v0
	v_add_u32_e32 v13, v1, v2
	v_lshrrev_b32_e32 v2, 2, v12
	v_and_b32_e32 v2, 0x78, v2
	v_or_b32_e32 v11, 0x200, v0
	s_mov_b32 s11, 0
	v_add_u32_e32 v6, v1, v2
	v_lshrrev_b32_e32 v2, 2, v11
	s_lshl_b64 s[0:1], s[10:11], 3
	v_and_b32_e32 v2, 0xb8, v2
	v_or_b32_e32 v10, 0x300, v0
	s_add_u32 s0, s6, s0
	v_add_u32_e32 v7, v1, v2
	v_lshrrev_b32_e32 v2, 2, v10
	s_addc_u32 s1, s7, s1
	v_and_b32_e32 v2, 0xf8, v2
	v_add_u32_e32 v14, v1, v2
	v_mov_b32_e32 v3, s1
	v_add_co_u32_e32 v2, vcc, s0, v1
	v_addc_co_u32_e32 v3, vcc, 0, v3, vcc
	s_and_b64 vcc, exec, s[12:13]
	s_waitcnt lgkmcnt(0)
	s_cbranch_vccz .LBB735_23
; %bb.22:
	s_barrier
	ds_read_b64 v[8:9], v13
	ds_read_b64 v[16:17], v6 offset:2048
	ds_read_b64 v[18:19], v7 offset:4096
	;; [unrolled: 1-line block ×3, first 2 shown]
	s_waitcnt lgkmcnt(3)
	global_store_dwordx2 v[2:3], v[8:9], off
	s_waitcnt lgkmcnt(2)
	global_store_dwordx2 v[2:3], v[16:17], off offset:2048
	v_add_co_u32_e32 v8, vcc, 0x1000, v2
	v_addc_co_u32_e32 v9, vcc, 0, v3, vcc
	s_waitcnt lgkmcnt(1)
	global_store_dwordx2 v[8:9], v[18:19], off
	s_mov_b64 s[0:1], -1
	s_cbranch_execz .LBB735_24
	s_branch .LBB735_29
.LBB735_23:
	s_mov_b64 s[0:1], 0
                                        ; implicit-def: $vgpr4_vgpr5
.LBB735_24:
	s_barrier
	s_waitcnt lgkmcnt(0)
	ds_read_b64 v[8:9], v6 offset:2048
	ds_read_b64 v[6:7], v7 offset:4096
	;; [unrolled: 1-line block ×3, first 2 shown]
	s_sub_i32 s2, s8, s10
	v_cmp_gt_u32_e32 vcc, s2, v0
	s_and_saveexec_b64 s[0:1], vcc
	s_cbranch_execnz .LBB735_34
; %bb.25:
	s_or_b64 exec, exec, s[0:1]
	v_cmp_gt_u32_e32 vcc, s2, v12
	s_and_saveexec_b64 s[0:1], vcc
	s_cbranch_execnz .LBB735_35
.LBB735_26:
	s_or_b64 exec, exec, s[0:1]
	v_cmp_gt_u32_e32 vcc, s2, v11
	s_and_saveexec_b64 s[0:1], vcc
	s_cbranch_execz .LBB735_28
.LBB735_27:
	v_add_co_u32_e32 v0, vcc, 0x1000, v2
	v_addc_co_u32_e32 v1, vcc, 0, v3, vcc
	s_waitcnt lgkmcnt(1)
	global_store_dwordx2 v[0:1], v[6:7], off
.LBB735_28:
	s_or_b64 exec, exec, s[0:1]
	v_cmp_gt_u32_e64 s[0:1], s2, v10
.LBB735_29:
	s_and_saveexec_b64 s[2:3], s[0:1]
	s_cbranch_execz .LBB735_31
; %bb.30:
	v_add_co_u32_e32 v0, vcc, 0x1000, v2
	v_addc_co_u32_e32 v1, vcc, 0, v3, vcc
	s_waitcnt lgkmcnt(0)
	global_store_dwordx2 v[0:1], v[4:5], off offset:2048
.LBB735_31:
	s_endpgm
.LBB735_32:
	s_waitcnt vmcnt(3)
	v_mov_b32_e32 v2, s19
	s_waitcnt vmcnt(2)
	v_add_co_u32_e32 v4, vcc, s18, v1
	v_mov_b32_e32 v3, 0
	v_addc_co_u32_e32 v5, vcc, 0, v2, vcc
	v_subrev_u32_e32 v2, s9, v0
	v_lshlrev_b64 v[2:3], 3, v[2:3]
	s_waitcnt vmcnt(1)
	v_mov_b32_e32 v6, s17
	v_add_co_u32_e32 v2, vcc, s16, v2
	v_addc_co_u32_e32 v3, vcc, v6, v3, vcc
	v_cmp_gt_u32_e32 vcc, s9, v0
	v_cndmask_b32_e32 v3, v3, v5, vcc
	v_cndmask_b32_e32 v2, v2, v4, vcc
	global_load_dwordx2 v[2:3], v[2:3], off
	s_or_b64 exec, exec, s[0:1]
	v_cmp_gt_u32_e32 vcc, s11, v12
	s_and_saveexec_b64 s[2:3], vcc
	s_cbranch_execz .LBB735_6
.LBB735_33:
	v_mov_b32_e32 v13, 0
	s_waitcnt vmcnt(2)
	v_lshlrev_b64 v[4:5], 3, v[12:13]
	v_mov_b32_e32 v11, s19
	v_add_co_u32_e32 v15, vcc, s18, v4
	v_addc_co_u32_e32 v11, vcc, v11, v5, vcc
	v_cmp_gt_u32_e32 vcc, s9, v12
	v_subrev_u32_e32 v12, s9, v12
	v_lshlrev_b64 v[4:5], 3, v[12:13]
	v_mov_b32_e32 v12, s17
	v_add_co_u32_e64 v4, s[0:1], s16, v4
	v_addc_co_u32_e64 v5, s[0:1], v12, v5, s[0:1]
	v_cndmask_b32_e32 v5, v5, v11, vcc
	v_cndmask_b32_e32 v4, v4, v15, vcc
	global_load_dwordx2 v[4:5], v[4:5], off
	s_or_b64 exec, exec, s[2:3]
	v_cmp_gt_u32_e32 vcc, s11, v10
	s_and_saveexec_b64 s[0:1], vcc
	s_cbranch_execnz .LBB735_7
	s_branch .LBB735_8
.LBB735_34:
	ds_read_b64 v[0:1], v13
	s_waitcnt lgkmcnt(0)
	global_store_dwordx2 v[2:3], v[0:1], off
	s_or_b64 exec, exec, s[0:1]
	v_cmp_gt_u32_e32 vcc, s2, v12
	s_and_saveexec_b64 s[0:1], vcc
	s_cbranch_execz .LBB735_26
.LBB735_35:
	s_waitcnt lgkmcnt(2)
	global_store_dwordx2 v[2:3], v[8:9], off offset:2048
	s_or_b64 exec, exec, s[0:1]
	v_cmp_gt_u32_e32 vcc, s2, v11
	s_and_saveexec_b64 s[0:1], vcc
	s_cbranch_execnz .LBB735_27
	s_branch .LBB735_28
	.section	.rodata,"a",@progbits
	.p2align	6, 0x0
	.amdhsa_kernel _ZN7rocprim17ROCPRIM_400000_NS6detail17trampoline_kernelINS0_14default_configENS1_38merge_sort_block_merge_config_selectorIyNS0_10empty_typeEEEZZNS1_27merge_sort_block_merge_implIS3_N6thrust23THRUST_200600_302600_NS6detail15normal_iteratorINS9_10device_ptrIyEEEEPS5_jNS1_19radix_merge_compareILb0ELb0EyNS0_19identity_decomposerEEEEE10hipError_tT0_T1_T2_jT3_P12ihipStream_tbPNSt15iterator_traitsISK_E10value_typeEPNSQ_ISL_E10value_typeEPSM_NS1_7vsmem_tEENKUlT_SK_SL_SM_E_clIPySE_SF_SF_EESJ_SZ_SK_SL_SM_EUlSZ_E0_NS1_11comp_targetILNS1_3genE4ELNS1_11target_archE910ELNS1_3gpuE8ELNS1_3repE0EEENS1_38merge_mergepath_config_static_selectorELNS0_4arch9wavefront6targetE1EEEvSL_
		.amdhsa_group_segment_fixed_size 8448
		.amdhsa_private_segment_fixed_size 0
		.amdhsa_kernarg_size 320
		.amdhsa_user_sgpr_count 6
		.amdhsa_user_sgpr_private_segment_buffer 1
		.amdhsa_user_sgpr_dispatch_ptr 0
		.amdhsa_user_sgpr_queue_ptr 0
		.amdhsa_user_sgpr_kernarg_segment_ptr 1
		.amdhsa_user_sgpr_dispatch_id 0
		.amdhsa_user_sgpr_flat_scratch_init 0
		.amdhsa_user_sgpr_kernarg_preload_length 0
		.amdhsa_user_sgpr_kernarg_preload_offset 0
		.amdhsa_user_sgpr_private_segment_size 0
		.amdhsa_uses_dynamic_stack 0
		.amdhsa_system_sgpr_private_segment_wavefront_offset 0
		.amdhsa_system_sgpr_workgroup_id_x 1
		.amdhsa_system_sgpr_workgroup_id_y 1
		.amdhsa_system_sgpr_workgroup_id_z 1
		.amdhsa_system_sgpr_workgroup_info 0
		.amdhsa_system_vgpr_workitem_id 0
		.amdhsa_next_free_vgpr 21
		.amdhsa_next_free_sgpr 23
		.amdhsa_accum_offset 24
		.amdhsa_reserve_vcc 1
		.amdhsa_reserve_flat_scratch 0
		.amdhsa_float_round_mode_32 0
		.amdhsa_float_round_mode_16_64 0
		.amdhsa_float_denorm_mode_32 3
		.amdhsa_float_denorm_mode_16_64 3
		.amdhsa_dx10_clamp 1
		.amdhsa_ieee_mode 1
		.amdhsa_fp16_overflow 0
		.amdhsa_tg_split 0
		.amdhsa_exception_fp_ieee_invalid_op 0
		.amdhsa_exception_fp_denorm_src 0
		.amdhsa_exception_fp_ieee_div_zero 0
		.amdhsa_exception_fp_ieee_overflow 0
		.amdhsa_exception_fp_ieee_underflow 0
		.amdhsa_exception_fp_ieee_inexact 0
		.amdhsa_exception_int_div_zero 0
	.end_amdhsa_kernel
	.section	.text._ZN7rocprim17ROCPRIM_400000_NS6detail17trampoline_kernelINS0_14default_configENS1_38merge_sort_block_merge_config_selectorIyNS0_10empty_typeEEEZZNS1_27merge_sort_block_merge_implIS3_N6thrust23THRUST_200600_302600_NS6detail15normal_iteratorINS9_10device_ptrIyEEEEPS5_jNS1_19radix_merge_compareILb0ELb0EyNS0_19identity_decomposerEEEEE10hipError_tT0_T1_T2_jT3_P12ihipStream_tbPNSt15iterator_traitsISK_E10value_typeEPNSQ_ISL_E10value_typeEPSM_NS1_7vsmem_tEENKUlT_SK_SL_SM_E_clIPySE_SF_SF_EESJ_SZ_SK_SL_SM_EUlSZ_E0_NS1_11comp_targetILNS1_3genE4ELNS1_11target_archE910ELNS1_3gpuE8ELNS1_3repE0EEENS1_38merge_mergepath_config_static_selectorELNS0_4arch9wavefront6targetE1EEEvSL_,"axG",@progbits,_ZN7rocprim17ROCPRIM_400000_NS6detail17trampoline_kernelINS0_14default_configENS1_38merge_sort_block_merge_config_selectorIyNS0_10empty_typeEEEZZNS1_27merge_sort_block_merge_implIS3_N6thrust23THRUST_200600_302600_NS6detail15normal_iteratorINS9_10device_ptrIyEEEEPS5_jNS1_19radix_merge_compareILb0ELb0EyNS0_19identity_decomposerEEEEE10hipError_tT0_T1_T2_jT3_P12ihipStream_tbPNSt15iterator_traitsISK_E10value_typeEPNSQ_ISL_E10value_typeEPSM_NS1_7vsmem_tEENKUlT_SK_SL_SM_E_clIPySE_SF_SF_EESJ_SZ_SK_SL_SM_EUlSZ_E0_NS1_11comp_targetILNS1_3genE4ELNS1_11target_archE910ELNS1_3gpuE8ELNS1_3repE0EEENS1_38merge_mergepath_config_static_selectorELNS0_4arch9wavefront6targetE1EEEvSL_,comdat
.Lfunc_end735:
	.size	_ZN7rocprim17ROCPRIM_400000_NS6detail17trampoline_kernelINS0_14default_configENS1_38merge_sort_block_merge_config_selectorIyNS0_10empty_typeEEEZZNS1_27merge_sort_block_merge_implIS3_N6thrust23THRUST_200600_302600_NS6detail15normal_iteratorINS9_10device_ptrIyEEEEPS5_jNS1_19radix_merge_compareILb0ELb0EyNS0_19identity_decomposerEEEEE10hipError_tT0_T1_T2_jT3_P12ihipStream_tbPNSt15iterator_traitsISK_E10value_typeEPNSQ_ISL_E10value_typeEPSM_NS1_7vsmem_tEENKUlT_SK_SL_SM_E_clIPySE_SF_SF_EESJ_SZ_SK_SL_SM_EUlSZ_E0_NS1_11comp_targetILNS1_3genE4ELNS1_11target_archE910ELNS1_3gpuE8ELNS1_3repE0EEENS1_38merge_mergepath_config_static_selectorELNS0_4arch9wavefront6targetE1EEEvSL_, .Lfunc_end735-_ZN7rocprim17ROCPRIM_400000_NS6detail17trampoline_kernelINS0_14default_configENS1_38merge_sort_block_merge_config_selectorIyNS0_10empty_typeEEEZZNS1_27merge_sort_block_merge_implIS3_N6thrust23THRUST_200600_302600_NS6detail15normal_iteratorINS9_10device_ptrIyEEEEPS5_jNS1_19radix_merge_compareILb0ELb0EyNS0_19identity_decomposerEEEEE10hipError_tT0_T1_T2_jT3_P12ihipStream_tbPNSt15iterator_traitsISK_E10value_typeEPNSQ_ISL_E10value_typeEPSM_NS1_7vsmem_tEENKUlT_SK_SL_SM_E_clIPySE_SF_SF_EESJ_SZ_SK_SL_SM_EUlSZ_E0_NS1_11comp_targetILNS1_3genE4ELNS1_11target_archE910ELNS1_3gpuE8ELNS1_3repE0EEENS1_38merge_mergepath_config_static_selectorELNS0_4arch9wavefront6targetE1EEEvSL_
                                        ; -- End function
	.section	.AMDGPU.csdata,"",@progbits
; Kernel info:
; codeLenInByte = 2180
; NumSgprs: 27
; NumVgprs: 21
; NumAgprs: 0
; TotalNumVgprs: 21
; ScratchSize: 0
; MemoryBound: 0
; FloatMode: 240
; IeeeMode: 1
; LDSByteSize: 8448 bytes/workgroup (compile time only)
; SGPRBlocks: 3
; VGPRBlocks: 2
; NumSGPRsForWavesPerEU: 27
; NumVGPRsForWavesPerEU: 21
; AccumOffset: 24
; Occupancy: 7
; WaveLimiterHint : 1
; COMPUTE_PGM_RSRC2:SCRATCH_EN: 0
; COMPUTE_PGM_RSRC2:USER_SGPR: 6
; COMPUTE_PGM_RSRC2:TRAP_HANDLER: 0
; COMPUTE_PGM_RSRC2:TGID_X_EN: 1
; COMPUTE_PGM_RSRC2:TGID_Y_EN: 1
; COMPUTE_PGM_RSRC2:TGID_Z_EN: 1
; COMPUTE_PGM_RSRC2:TIDIG_COMP_CNT: 0
; COMPUTE_PGM_RSRC3_GFX90A:ACCUM_OFFSET: 5
; COMPUTE_PGM_RSRC3_GFX90A:TG_SPLIT: 0
	.section	.text._ZN7rocprim17ROCPRIM_400000_NS6detail17trampoline_kernelINS0_14default_configENS1_38merge_sort_block_merge_config_selectorIyNS0_10empty_typeEEEZZNS1_27merge_sort_block_merge_implIS3_N6thrust23THRUST_200600_302600_NS6detail15normal_iteratorINS9_10device_ptrIyEEEEPS5_jNS1_19radix_merge_compareILb0ELb0EyNS0_19identity_decomposerEEEEE10hipError_tT0_T1_T2_jT3_P12ihipStream_tbPNSt15iterator_traitsISK_E10value_typeEPNSQ_ISL_E10value_typeEPSM_NS1_7vsmem_tEENKUlT_SK_SL_SM_E_clIPySE_SF_SF_EESJ_SZ_SK_SL_SM_EUlSZ_E0_NS1_11comp_targetILNS1_3genE3ELNS1_11target_archE908ELNS1_3gpuE7ELNS1_3repE0EEENS1_38merge_mergepath_config_static_selectorELNS0_4arch9wavefront6targetE1EEEvSL_,"axG",@progbits,_ZN7rocprim17ROCPRIM_400000_NS6detail17trampoline_kernelINS0_14default_configENS1_38merge_sort_block_merge_config_selectorIyNS0_10empty_typeEEEZZNS1_27merge_sort_block_merge_implIS3_N6thrust23THRUST_200600_302600_NS6detail15normal_iteratorINS9_10device_ptrIyEEEEPS5_jNS1_19radix_merge_compareILb0ELb0EyNS0_19identity_decomposerEEEEE10hipError_tT0_T1_T2_jT3_P12ihipStream_tbPNSt15iterator_traitsISK_E10value_typeEPNSQ_ISL_E10value_typeEPSM_NS1_7vsmem_tEENKUlT_SK_SL_SM_E_clIPySE_SF_SF_EESJ_SZ_SK_SL_SM_EUlSZ_E0_NS1_11comp_targetILNS1_3genE3ELNS1_11target_archE908ELNS1_3gpuE7ELNS1_3repE0EEENS1_38merge_mergepath_config_static_selectorELNS0_4arch9wavefront6targetE1EEEvSL_,comdat
	.protected	_ZN7rocprim17ROCPRIM_400000_NS6detail17trampoline_kernelINS0_14default_configENS1_38merge_sort_block_merge_config_selectorIyNS0_10empty_typeEEEZZNS1_27merge_sort_block_merge_implIS3_N6thrust23THRUST_200600_302600_NS6detail15normal_iteratorINS9_10device_ptrIyEEEEPS5_jNS1_19radix_merge_compareILb0ELb0EyNS0_19identity_decomposerEEEEE10hipError_tT0_T1_T2_jT3_P12ihipStream_tbPNSt15iterator_traitsISK_E10value_typeEPNSQ_ISL_E10value_typeEPSM_NS1_7vsmem_tEENKUlT_SK_SL_SM_E_clIPySE_SF_SF_EESJ_SZ_SK_SL_SM_EUlSZ_E0_NS1_11comp_targetILNS1_3genE3ELNS1_11target_archE908ELNS1_3gpuE7ELNS1_3repE0EEENS1_38merge_mergepath_config_static_selectorELNS0_4arch9wavefront6targetE1EEEvSL_ ; -- Begin function _ZN7rocprim17ROCPRIM_400000_NS6detail17trampoline_kernelINS0_14default_configENS1_38merge_sort_block_merge_config_selectorIyNS0_10empty_typeEEEZZNS1_27merge_sort_block_merge_implIS3_N6thrust23THRUST_200600_302600_NS6detail15normal_iteratorINS9_10device_ptrIyEEEEPS5_jNS1_19radix_merge_compareILb0ELb0EyNS0_19identity_decomposerEEEEE10hipError_tT0_T1_T2_jT3_P12ihipStream_tbPNSt15iterator_traitsISK_E10value_typeEPNSQ_ISL_E10value_typeEPSM_NS1_7vsmem_tEENKUlT_SK_SL_SM_E_clIPySE_SF_SF_EESJ_SZ_SK_SL_SM_EUlSZ_E0_NS1_11comp_targetILNS1_3genE3ELNS1_11target_archE908ELNS1_3gpuE7ELNS1_3repE0EEENS1_38merge_mergepath_config_static_selectorELNS0_4arch9wavefront6targetE1EEEvSL_
	.globl	_ZN7rocprim17ROCPRIM_400000_NS6detail17trampoline_kernelINS0_14default_configENS1_38merge_sort_block_merge_config_selectorIyNS0_10empty_typeEEEZZNS1_27merge_sort_block_merge_implIS3_N6thrust23THRUST_200600_302600_NS6detail15normal_iteratorINS9_10device_ptrIyEEEEPS5_jNS1_19radix_merge_compareILb0ELb0EyNS0_19identity_decomposerEEEEE10hipError_tT0_T1_T2_jT3_P12ihipStream_tbPNSt15iterator_traitsISK_E10value_typeEPNSQ_ISL_E10value_typeEPSM_NS1_7vsmem_tEENKUlT_SK_SL_SM_E_clIPySE_SF_SF_EESJ_SZ_SK_SL_SM_EUlSZ_E0_NS1_11comp_targetILNS1_3genE3ELNS1_11target_archE908ELNS1_3gpuE7ELNS1_3repE0EEENS1_38merge_mergepath_config_static_selectorELNS0_4arch9wavefront6targetE1EEEvSL_
	.p2align	8
	.type	_ZN7rocprim17ROCPRIM_400000_NS6detail17trampoline_kernelINS0_14default_configENS1_38merge_sort_block_merge_config_selectorIyNS0_10empty_typeEEEZZNS1_27merge_sort_block_merge_implIS3_N6thrust23THRUST_200600_302600_NS6detail15normal_iteratorINS9_10device_ptrIyEEEEPS5_jNS1_19radix_merge_compareILb0ELb0EyNS0_19identity_decomposerEEEEE10hipError_tT0_T1_T2_jT3_P12ihipStream_tbPNSt15iterator_traitsISK_E10value_typeEPNSQ_ISL_E10value_typeEPSM_NS1_7vsmem_tEENKUlT_SK_SL_SM_E_clIPySE_SF_SF_EESJ_SZ_SK_SL_SM_EUlSZ_E0_NS1_11comp_targetILNS1_3genE3ELNS1_11target_archE908ELNS1_3gpuE7ELNS1_3repE0EEENS1_38merge_mergepath_config_static_selectorELNS0_4arch9wavefront6targetE1EEEvSL_,@function
_ZN7rocprim17ROCPRIM_400000_NS6detail17trampoline_kernelINS0_14default_configENS1_38merge_sort_block_merge_config_selectorIyNS0_10empty_typeEEEZZNS1_27merge_sort_block_merge_implIS3_N6thrust23THRUST_200600_302600_NS6detail15normal_iteratorINS9_10device_ptrIyEEEEPS5_jNS1_19radix_merge_compareILb0ELb0EyNS0_19identity_decomposerEEEEE10hipError_tT0_T1_T2_jT3_P12ihipStream_tbPNSt15iterator_traitsISK_E10value_typeEPNSQ_ISL_E10value_typeEPSM_NS1_7vsmem_tEENKUlT_SK_SL_SM_E_clIPySE_SF_SF_EESJ_SZ_SK_SL_SM_EUlSZ_E0_NS1_11comp_targetILNS1_3genE3ELNS1_11target_archE908ELNS1_3gpuE7ELNS1_3repE0EEENS1_38merge_mergepath_config_static_selectorELNS0_4arch9wavefront6targetE1EEEvSL_: ; @_ZN7rocprim17ROCPRIM_400000_NS6detail17trampoline_kernelINS0_14default_configENS1_38merge_sort_block_merge_config_selectorIyNS0_10empty_typeEEEZZNS1_27merge_sort_block_merge_implIS3_N6thrust23THRUST_200600_302600_NS6detail15normal_iteratorINS9_10device_ptrIyEEEEPS5_jNS1_19radix_merge_compareILb0ELb0EyNS0_19identity_decomposerEEEEE10hipError_tT0_T1_T2_jT3_P12ihipStream_tbPNSt15iterator_traitsISK_E10value_typeEPNSQ_ISL_E10value_typeEPSM_NS1_7vsmem_tEENKUlT_SK_SL_SM_E_clIPySE_SF_SF_EESJ_SZ_SK_SL_SM_EUlSZ_E0_NS1_11comp_targetILNS1_3genE3ELNS1_11target_archE908ELNS1_3gpuE7ELNS1_3repE0EEENS1_38merge_mergepath_config_static_selectorELNS0_4arch9wavefront6targetE1EEEvSL_
; %bb.0:
	.section	.rodata,"a",@progbits
	.p2align	6, 0x0
	.amdhsa_kernel _ZN7rocprim17ROCPRIM_400000_NS6detail17trampoline_kernelINS0_14default_configENS1_38merge_sort_block_merge_config_selectorIyNS0_10empty_typeEEEZZNS1_27merge_sort_block_merge_implIS3_N6thrust23THRUST_200600_302600_NS6detail15normal_iteratorINS9_10device_ptrIyEEEEPS5_jNS1_19radix_merge_compareILb0ELb0EyNS0_19identity_decomposerEEEEE10hipError_tT0_T1_T2_jT3_P12ihipStream_tbPNSt15iterator_traitsISK_E10value_typeEPNSQ_ISL_E10value_typeEPSM_NS1_7vsmem_tEENKUlT_SK_SL_SM_E_clIPySE_SF_SF_EESJ_SZ_SK_SL_SM_EUlSZ_E0_NS1_11comp_targetILNS1_3genE3ELNS1_11target_archE908ELNS1_3gpuE7ELNS1_3repE0EEENS1_38merge_mergepath_config_static_selectorELNS0_4arch9wavefront6targetE1EEEvSL_
		.amdhsa_group_segment_fixed_size 0
		.amdhsa_private_segment_fixed_size 0
		.amdhsa_kernarg_size 64
		.amdhsa_user_sgpr_count 6
		.amdhsa_user_sgpr_private_segment_buffer 1
		.amdhsa_user_sgpr_dispatch_ptr 0
		.amdhsa_user_sgpr_queue_ptr 0
		.amdhsa_user_sgpr_kernarg_segment_ptr 1
		.amdhsa_user_sgpr_dispatch_id 0
		.amdhsa_user_sgpr_flat_scratch_init 0
		.amdhsa_user_sgpr_kernarg_preload_length 0
		.amdhsa_user_sgpr_kernarg_preload_offset 0
		.amdhsa_user_sgpr_private_segment_size 0
		.amdhsa_uses_dynamic_stack 0
		.amdhsa_system_sgpr_private_segment_wavefront_offset 0
		.amdhsa_system_sgpr_workgroup_id_x 1
		.amdhsa_system_sgpr_workgroup_id_y 0
		.amdhsa_system_sgpr_workgroup_id_z 0
		.amdhsa_system_sgpr_workgroup_info 0
		.amdhsa_system_vgpr_workitem_id 0
		.amdhsa_next_free_vgpr 1
		.amdhsa_next_free_sgpr 0
		.amdhsa_accum_offset 4
		.amdhsa_reserve_vcc 0
		.amdhsa_reserve_flat_scratch 0
		.amdhsa_float_round_mode_32 0
		.amdhsa_float_round_mode_16_64 0
		.amdhsa_float_denorm_mode_32 3
		.amdhsa_float_denorm_mode_16_64 3
		.amdhsa_dx10_clamp 1
		.amdhsa_ieee_mode 1
		.amdhsa_fp16_overflow 0
		.amdhsa_tg_split 0
		.amdhsa_exception_fp_ieee_invalid_op 0
		.amdhsa_exception_fp_denorm_src 0
		.amdhsa_exception_fp_ieee_div_zero 0
		.amdhsa_exception_fp_ieee_overflow 0
		.amdhsa_exception_fp_ieee_underflow 0
		.amdhsa_exception_fp_ieee_inexact 0
		.amdhsa_exception_int_div_zero 0
	.end_amdhsa_kernel
	.section	.text._ZN7rocprim17ROCPRIM_400000_NS6detail17trampoline_kernelINS0_14default_configENS1_38merge_sort_block_merge_config_selectorIyNS0_10empty_typeEEEZZNS1_27merge_sort_block_merge_implIS3_N6thrust23THRUST_200600_302600_NS6detail15normal_iteratorINS9_10device_ptrIyEEEEPS5_jNS1_19radix_merge_compareILb0ELb0EyNS0_19identity_decomposerEEEEE10hipError_tT0_T1_T2_jT3_P12ihipStream_tbPNSt15iterator_traitsISK_E10value_typeEPNSQ_ISL_E10value_typeEPSM_NS1_7vsmem_tEENKUlT_SK_SL_SM_E_clIPySE_SF_SF_EESJ_SZ_SK_SL_SM_EUlSZ_E0_NS1_11comp_targetILNS1_3genE3ELNS1_11target_archE908ELNS1_3gpuE7ELNS1_3repE0EEENS1_38merge_mergepath_config_static_selectorELNS0_4arch9wavefront6targetE1EEEvSL_,"axG",@progbits,_ZN7rocprim17ROCPRIM_400000_NS6detail17trampoline_kernelINS0_14default_configENS1_38merge_sort_block_merge_config_selectorIyNS0_10empty_typeEEEZZNS1_27merge_sort_block_merge_implIS3_N6thrust23THRUST_200600_302600_NS6detail15normal_iteratorINS9_10device_ptrIyEEEEPS5_jNS1_19radix_merge_compareILb0ELb0EyNS0_19identity_decomposerEEEEE10hipError_tT0_T1_T2_jT3_P12ihipStream_tbPNSt15iterator_traitsISK_E10value_typeEPNSQ_ISL_E10value_typeEPSM_NS1_7vsmem_tEENKUlT_SK_SL_SM_E_clIPySE_SF_SF_EESJ_SZ_SK_SL_SM_EUlSZ_E0_NS1_11comp_targetILNS1_3genE3ELNS1_11target_archE908ELNS1_3gpuE7ELNS1_3repE0EEENS1_38merge_mergepath_config_static_selectorELNS0_4arch9wavefront6targetE1EEEvSL_,comdat
.Lfunc_end736:
	.size	_ZN7rocprim17ROCPRIM_400000_NS6detail17trampoline_kernelINS0_14default_configENS1_38merge_sort_block_merge_config_selectorIyNS0_10empty_typeEEEZZNS1_27merge_sort_block_merge_implIS3_N6thrust23THRUST_200600_302600_NS6detail15normal_iteratorINS9_10device_ptrIyEEEEPS5_jNS1_19radix_merge_compareILb0ELb0EyNS0_19identity_decomposerEEEEE10hipError_tT0_T1_T2_jT3_P12ihipStream_tbPNSt15iterator_traitsISK_E10value_typeEPNSQ_ISL_E10value_typeEPSM_NS1_7vsmem_tEENKUlT_SK_SL_SM_E_clIPySE_SF_SF_EESJ_SZ_SK_SL_SM_EUlSZ_E0_NS1_11comp_targetILNS1_3genE3ELNS1_11target_archE908ELNS1_3gpuE7ELNS1_3repE0EEENS1_38merge_mergepath_config_static_selectorELNS0_4arch9wavefront6targetE1EEEvSL_, .Lfunc_end736-_ZN7rocprim17ROCPRIM_400000_NS6detail17trampoline_kernelINS0_14default_configENS1_38merge_sort_block_merge_config_selectorIyNS0_10empty_typeEEEZZNS1_27merge_sort_block_merge_implIS3_N6thrust23THRUST_200600_302600_NS6detail15normal_iteratorINS9_10device_ptrIyEEEEPS5_jNS1_19radix_merge_compareILb0ELb0EyNS0_19identity_decomposerEEEEE10hipError_tT0_T1_T2_jT3_P12ihipStream_tbPNSt15iterator_traitsISK_E10value_typeEPNSQ_ISL_E10value_typeEPSM_NS1_7vsmem_tEENKUlT_SK_SL_SM_E_clIPySE_SF_SF_EESJ_SZ_SK_SL_SM_EUlSZ_E0_NS1_11comp_targetILNS1_3genE3ELNS1_11target_archE908ELNS1_3gpuE7ELNS1_3repE0EEENS1_38merge_mergepath_config_static_selectorELNS0_4arch9wavefront6targetE1EEEvSL_
                                        ; -- End function
	.section	.AMDGPU.csdata,"",@progbits
; Kernel info:
; codeLenInByte = 0
; NumSgprs: 4
; NumVgprs: 0
; NumAgprs: 0
; TotalNumVgprs: 0
; ScratchSize: 0
; MemoryBound: 0
; FloatMode: 240
; IeeeMode: 1
; LDSByteSize: 0 bytes/workgroup (compile time only)
; SGPRBlocks: 0
; VGPRBlocks: 0
; NumSGPRsForWavesPerEU: 4
; NumVGPRsForWavesPerEU: 1
; AccumOffset: 4
; Occupancy: 8
; WaveLimiterHint : 0
; COMPUTE_PGM_RSRC2:SCRATCH_EN: 0
; COMPUTE_PGM_RSRC2:USER_SGPR: 6
; COMPUTE_PGM_RSRC2:TRAP_HANDLER: 0
; COMPUTE_PGM_RSRC2:TGID_X_EN: 1
; COMPUTE_PGM_RSRC2:TGID_Y_EN: 0
; COMPUTE_PGM_RSRC2:TGID_Z_EN: 0
; COMPUTE_PGM_RSRC2:TIDIG_COMP_CNT: 0
; COMPUTE_PGM_RSRC3_GFX90A:ACCUM_OFFSET: 0
; COMPUTE_PGM_RSRC3_GFX90A:TG_SPLIT: 0
	.section	.text._ZN7rocprim17ROCPRIM_400000_NS6detail17trampoline_kernelINS0_14default_configENS1_38merge_sort_block_merge_config_selectorIyNS0_10empty_typeEEEZZNS1_27merge_sort_block_merge_implIS3_N6thrust23THRUST_200600_302600_NS6detail15normal_iteratorINS9_10device_ptrIyEEEEPS5_jNS1_19radix_merge_compareILb0ELb0EyNS0_19identity_decomposerEEEEE10hipError_tT0_T1_T2_jT3_P12ihipStream_tbPNSt15iterator_traitsISK_E10value_typeEPNSQ_ISL_E10value_typeEPSM_NS1_7vsmem_tEENKUlT_SK_SL_SM_E_clIPySE_SF_SF_EESJ_SZ_SK_SL_SM_EUlSZ_E0_NS1_11comp_targetILNS1_3genE2ELNS1_11target_archE906ELNS1_3gpuE6ELNS1_3repE0EEENS1_38merge_mergepath_config_static_selectorELNS0_4arch9wavefront6targetE1EEEvSL_,"axG",@progbits,_ZN7rocprim17ROCPRIM_400000_NS6detail17trampoline_kernelINS0_14default_configENS1_38merge_sort_block_merge_config_selectorIyNS0_10empty_typeEEEZZNS1_27merge_sort_block_merge_implIS3_N6thrust23THRUST_200600_302600_NS6detail15normal_iteratorINS9_10device_ptrIyEEEEPS5_jNS1_19radix_merge_compareILb0ELb0EyNS0_19identity_decomposerEEEEE10hipError_tT0_T1_T2_jT3_P12ihipStream_tbPNSt15iterator_traitsISK_E10value_typeEPNSQ_ISL_E10value_typeEPSM_NS1_7vsmem_tEENKUlT_SK_SL_SM_E_clIPySE_SF_SF_EESJ_SZ_SK_SL_SM_EUlSZ_E0_NS1_11comp_targetILNS1_3genE2ELNS1_11target_archE906ELNS1_3gpuE6ELNS1_3repE0EEENS1_38merge_mergepath_config_static_selectorELNS0_4arch9wavefront6targetE1EEEvSL_,comdat
	.protected	_ZN7rocprim17ROCPRIM_400000_NS6detail17trampoline_kernelINS0_14default_configENS1_38merge_sort_block_merge_config_selectorIyNS0_10empty_typeEEEZZNS1_27merge_sort_block_merge_implIS3_N6thrust23THRUST_200600_302600_NS6detail15normal_iteratorINS9_10device_ptrIyEEEEPS5_jNS1_19radix_merge_compareILb0ELb0EyNS0_19identity_decomposerEEEEE10hipError_tT0_T1_T2_jT3_P12ihipStream_tbPNSt15iterator_traitsISK_E10value_typeEPNSQ_ISL_E10value_typeEPSM_NS1_7vsmem_tEENKUlT_SK_SL_SM_E_clIPySE_SF_SF_EESJ_SZ_SK_SL_SM_EUlSZ_E0_NS1_11comp_targetILNS1_3genE2ELNS1_11target_archE906ELNS1_3gpuE6ELNS1_3repE0EEENS1_38merge_mergepath_config_static_selectorELNS0_4arch9wavefront6targetE1EEEvSL_ ; -- Begin function _ZN7rocprim17ROCPRIM_400000_NS6detail17trampoline_kernelINS0_14default_configENS1_38merge_sort_block_merge_config_selectorIyNS0_10empty_typeEEEZZNS1_27merge_sort_block_merge_implIS3_N6thrust23THRUST_200600_302600_NS6detail15normal_iteratorINS9_10device_ptrIyEEEEPS5_jNS1_19radix_merge_compareILb0ELb0EyNS0_19identity_decomposerEEEEE10hipError_tT0_T1_T2_jT3_P12ihipStream_tbPNSt15iterator_traitsISK_E10value_typeEPNSQ_ISL_E10value_typeEPSM_NS1_7vsmem_tEENKUlT_SK_SL_SM_E_clIPySE_SF_SF_EESJ_SZ_SK_SL_SM_EUlSZ_E0_NS1_11comp_targetILNS1_3genE2ELNS1_11target_archE906ELNS1_3gpuE6ELNS1_3repE0EEENS1_38merge_mergepath_config_static_selectorELNS0_4arch9wavefront6targetE1EEEvSL_
	.globl	_ZN7rocprim17ROCPRIM_400000_NS6detail17trampoline_kernelINS0_14default_configENS1_38merge_sort_block_merge_config_selectorIyNS0_10empty_typeEEEZZNS1_27merge_sort_block_merge_implIS3_N6thrust23THRUST_200600_302600_NS6detail15normal_iteratorINS9_10device_ptrIyEEEEPS5_jNS1_19radix_merge_compareILb0ELb0EyNS0_19identity_decomposerEEEEE10hipError_tT0_T1_T2_jT3_P12ihipStream_tbPNSt15iterator_traitsISK_E10value_typeEPNSQ_ISL_E10value_typeEPSM_NS1_7vsmem_tEENKUlT_SK_SL_SM_E_clIPySE_SF_SF_EESJ_SZ_SK_SL_SM_EUlSZ_E0_NS1_11comp_targetILNS1_3genE2ELNS1_11target_archE906ELNS1_3gpuE6ELNS1_3repE0EEENS1_38merge_mergepath_config_static_selectorELNS0_4arch9wavefront6targetE1EEEvSL_
	.p2align	8
	.type	_ZN7rocprim17ROCPRIM_400000_NS6detail17trampoline_kernelINS0_14default_configENS1_38merge_sort_block_merge_config_selectorIyNS0_10empty_typeEEEZZNS1_27merge_sort_block_merge_implIS3_N6thrust23THRUST_200600_302600_NS6detail15normal_iteratorINS9_10device_ptrIyEEEEPS5_jNS1_19radix_merge_compareILb0ELb0EyNS0_19identity_decomposerEEEEE10hipError_tT0_T1_T2_jT3_P12ihipStream_tbPNSt15iterator_traitsISK_E10value_typeEPNSQ_ISL_E10value_typeEPSM_NS1_7vsmem_tEENKUlT_SK_SL_SM_E_clIPySE_SF_SF_EESJ_SZ_SK_SL_SM_EUlSZ_E0_NS1_11comp_targetILNS1_3genE2ELNS1_11target_archE906ELNS1_3gpuE6ELNS1_3repE0EEENS1_38merge_mergepath_config_static_selectorELNS0_4arch9wavefront6targetE1EEEvSL_,@function
_ZN7rocprim17ROCPRIM_400000_NS6detail17trampoline_kernelINS0_14default_configENS1_38merge_sort_block_merge_config_selectorIyNS0_10empty_typeEEEZZNS1_27merge_sort_block_merge_implIS3_N6thrust23THRUST_200600_302600_NS6detail15normal_iteratorINS9_10device_ptrIyEEEEPS5_jNS1_19radix_merge_compareILb0ELb0EyNS0_19identity_decomposerEEEEE10hipError_tT0_T1_T2_jT3_P12ihipStream_tbPNSt15iterator_traitsISK_E10value_typeEPNSQ_ISL_E10value_typeEPSM_NS1_7vsmem_tEENKUlT_SK_SL_SM_E_clIPySE_SF_SF_EESJ_SZ_SK_SL_SM_EUlSZ_E0_NS1_11comp_targetILNS1_3genE2ELNS1_11target_archE906ELNS1_3gpuE6ELNS1_3repE0EEENS1_38merge_mergepath_config_static_selectorELNS0_4arch9wavefront6targetE1EEEvSL_: ; @_ZN7rocprim17ROCPRIM_400000_NS6detail17trampoline_kernelINS0_14default_configENS1_38merge_sort_block_merge_config_selectorIyNS0_10empty_typeEEEZZNS1_27merge_sort_block_merge_implIS3_N6thrust23THRUST_200600_302600_NS6detail15normal_iteratorINS9_10device_ptrIyEEEEPS5_jNS1_19radix_merge_compareILb0ELb0EyNS0_19identity_decomposerEEEEE10hipError_tT0_T1_T2_jT3_P12ihipStream_tbPNSt15iterator_traitsISK_E10value_typeEPNSQ_ISL_E10value_typeEPSM_NS1_7vsmem_tEENKUlT_SK_SL_SM_E_clIPySE_SF_SF_EESJ_SZ_SK_SL_SM_EUlSZ_E0_NS1_11comp_targetILNS1_3genE2ELNS1_11target_archE906ELNS1_3gpuE6ELNS1_3repE0EEENS1_38merge_mergepath_config_static_selectorELNS0_4arch9wavefront6targetE1EEEvSL_
; %bb.0:
	.section	.rodata,"a",@progbits
	.p2align	6, 0x0
	.amdhsa_kernel _ZN7rocprim17ROCPRIM_400000_NS6detail17trampoline_kernelINS0_14default_configENS1_38merge_sort_block_merge_config_selectorIyNS0_10empty_typeEEEZZNS1_27merge_sort_block_merge_implIS3_N6thrust23THRUST_200600_302600_NS6detail15normal_iteratorINS9_10device_ptrIyEEEEPS5_jNS1_19radix_merge_compareILb0ELb0EyNS0_19identity_decomposerEEEEE10hipError_tT0_T1_T2_jT3_P12ihipStream_tbPNSt15iterator_traitsISK_E10value_typeEPNSQ_ISL_E10value_typeEPSM_NS1_7vsmem_tEENKUlT_SK_SL_SM_E_clIPySE_SF_SF_EESJ_SZ_SK_SL_SM_EUlSZ_E0_NS1_11comp_targetILNS1_3genE2ELNS1_11target_archE906ELNS1_3gpuE6ELNS1_3repE0EEENS1_38merge_mergepath_config_static_selectorELNS0_4arch9wavefront6targetE1EEEvSL_
		.amdhsa_group_segment_fixed_size 0
		.amdhsa_private_segment_fixed_size 0
		.amdhsa_kernarg_size 64
		.amdhsa_user_sgpr_count 6
		.amdhsa_user_sgpr_private_segment_buffer 1
		.amdhsa_user_sgpr_dispatch_ptr 0
		.amdhsa_user_sgpr_queue_ptr 0
		.amdhsa_user_sgpr_kernarg_segment_ptr 1
		.amdhsa_user_sgpr_dispatch_id 0
		.amdhsa_user_sgpr_flat_scratch_init 0
		.amdhsa_user_sgpr_kernarg_preload_length 0
		.amdhsa_user_sgpr_kernarg_preload_offset 0
		.amdhsa_user_sgpr_private_segment_size 0
		.amdhsa_uses_dynamic_stack 0
		.amdhsa_system_sgpr_private_segment_wavefront_offset 0
		.amdhsa_system_sgpr_workgroup_id_x 1
		.amdhsa_system_sgpr_workgroup_id_y 0
		.amdhsa_system_sgpr_workgroup_id_z 0
		.amdhsa_system_sgpr_workgroup_info 0
		.amdhsa_system_vgpr_workitem_id 0
		.amdhsa_next_free_vgpr 1
		.amdhsa_next_free_sgpr 0
		.amdhsa_accum_offset 4
		.amdhsa_reserve_vcc 0
		.amdhsa_reserve_flat_scratch 0
		.amdhsa_float_round_mode_32 0
		.amdhsa_float_round_mode_16_64 0
		.amdhsa_float_denorm_mode_32 3
		.amdhsa_float_denorm_mode_16_64 3
		.amdhsa_dx10_clamp 1
		.amdhsa_ieee_mode 1
		.amdhsa_fp16_overflow 0
		.amdhsa_tg_split 0
		.amdhsa_exception_fp_ieee_invalid_op 0
		.amdhsa_exception_fp_denorm_src 0
		.amdhsa_exception_fp_ieee_div_zero 0
		.amdhsa_exception_fp_ieee_overflow 0
		.amdhsa_exception_fp_ieee_underflow 0
		.amdhsa_exception_fp_ieee_inexact 0
		.amdhsa_exception_int_div_zero 0
	.end_amdhsa_kernel
	.section	.text._ZN7rocprim17ROCPRIM_400000_NS6detail17trampoline_kernelINS0_14default_configENS1_38merge_sort_block_merge_config_selectorIyNS0_10empty_typeEEEZZNS1_27merge_sort_block_merge_implIS3_N6thrust23THRUST_200600_302600_NS6detail15normal_iteratorINS9_10device_ptrIyEEEEPS5_jNS1_19radix_merge_compareILb0ELb0EyNS0_19identity_decomposerEEEEE10hipError_tT0_T1_T2_jT3_P12ihipStream_tbPNSt15iterator_traitsISK_E10value_typeEPNSQ_ISL_E10value_typeEPSM_NS1_7vsmem_tEENKUlT_SK_SL_SM_E_clIPySE_SF_SF_EESJ_SZ_SK_SL_SM_EUlSZ_E0_NS1_11comp_targetILNS1_3genE2ELNS1_11target_archE906ELNS1_3gpuE6ELNS1_3repE0EEENS1_38merge_mergepath_config_static_selectorELNS0_4arch9wavefront6targetE1EEEvSL_,"axG",@progbits,_ZN7rocprim17ROCPRIM_400000_NS6detail17trampoline_kernelINS0_14default_configENS1_38merge_sort_block_merge_config_selectorIyNS0_10empty_typeEEEZZNS1_27merge_sort_block_merge_implIS3_N6thrust23THRUST_200600_302600_NS6detail15normal_iteratorINS9_10device_ptrIyEEEEPS5_jNS1_19radix_merge_compareILb0ELb0EyNS0_19identity_decomposerEEEEE10hipError_tT0_T1_T2_jT3_P12ihipStream_tbPNSt15iterator_traitsISK_E10value_typeEPNSQ_ISL_E10value_typeEPSM_NS1_7vsmem_tEENKUlT_SK_SL_SM_E_clIPySE_SF_SF_EESJ_SZ_SK_SL_SM_EUlSZ_E0_NS1_11comp_targetILNS1_3genE2ELNS1_11target_archE906ELNS1_3gpuE6ELNS1_3repE0EEENS1_38merge_mergepath_config_static_selectorELNS0_4arch9wavefront6targetE1EEEvSL_,comdat
.Lfunc_end737:
	.size	_ZN7rocprim17ROCPRIM_400000_NS6detail17trampoline_kernelINS0_14default_configENS1_38merge_sort_block_merge_config_selectorIyNS0_10empty_typeEEEZZNS1_27merge_sort_block_merge_implIS3_N6thrust23THRUST_200600_302600_NS6detail15normal_iteratorINS9_10device_ptrIyEEEEPS5_jNS1_19radix_merge_compareILb0ELb0EyNS0_19identity_decomposerEEEEE10hipError_tT0_T1_T2_jT3_P12ihipStream_tbPNSt15iterator_traitsISK_E10value_typeEPNSQ_ISL_E10value_typeEPSM_NS1_7vsmem_tEENKUlT_SK_SL_SM_E_clIPySE_SF_SF_EESJ_SZ_SK_SL_SM_EUlSZ_E0_NS1_11comp_targetILNS1_3genE2ELNS1_11target_archE906ELNS1_3gpuE6ELNS1_3repE0EEENS1_38merge_mergepath_config_static_selectorELNS0_4arch9wavefront6targetE1EEEvSL_, .Lfunc_end737-_ZN7rocprim17ROCPRIM_400000_NS6detail17trampoline_kernelINS0_14default_configENS1_38merge_sort_block_merge_config_selectorIyNS0_10empty_typeEEEZZNS1_27merge_sort_block_merge_implIS3_N6thrust23THRUST_200600_302600_NS6detail15normal_iteratorINS9_10device_ptrIyEEEEPS5_jNS1_19radix_merge_compareILb0ELb0EyNS0_19identity_decomposerEEEEE10hipError_tT0_T1_T2_jT3_P12ihipStream_tbPNSt15iterator_traitsISK_E10value_typeEPNSQ_ISL_E10value_typeEPSM_NS1_7vsmem_tEENKUlT_SK_SL_SM_E_clIPySE_SF_SF_EESJ_SZ_SK_SL_SM_EUlSZ_E0_NS1_11comp_targetILNS1_3genE2ELNS1_11target_archE906ELNS1_3gpuE6ELNS1_3repE0EEENS1_38merge_mergepath_config_static_selectorELNS0_4arch9wavefront6targetE1EEEvSL_
                                        ; -- End function
	.section	.AMDGPU.csdata,"",@progbits
; Kernel info:
; codeLenInByte = 0
; NumSgprs: 4
; NumVgprs: 0
; NumAgprs: 0
; TotalNumVgprs: 0
; ScratchSize: 0
; MemoryBound: 0
; FloatMode: 240
; IeeeMode: 1
; LDSByteSize: 0 bytes/workgroup (compile time only)
; SGPRBlocks: 0
; VGPRBlocks: 0
; NumSGPRsForWavesPerEU: 4
; NumVGPRsForWavesPerEU: 1
; AccumOffset: 4
; Occupancy: 8
; WaveLimiterHint : 0
; COMPUTE_PGM_RSRC2:SCRATCH_EN: 0
; COMPUTE_PGM_RSRC2:USER_SGPR: 6
; COMPUTE_PGM_RSRC2:TRAP_HANDLER: 0
; COMPUTE_PGM_RSRC2:TGID_X_EN: 1
; COMPUTE_PGM_RSRC2:TGID_Y_EN: 0
; COMPUTE_PGM_RSRC2:TGID_Z_EN: 0
; COMPUTE_PGM_RSRC2:TIDIG_COMP_CNT: 0
; COMPUTE_PGM_RSRC3_GFX90A:ACCUM_OFFSET: 0
; COMPUTE_PGM_RSRC3_GFX90A:TG_SPLIT: 0
	.section	.text._ZN7rocprim17ROCPRIM_400000_NS6detail17trampoline_kernelINS0_14default_configENS1_38merge_sort_block_merge_config_selectorIyNS0_10empty_typeEEEZZNS1_27merge_sort_block_merge_implIS3_N6thrust23THRUST_200600_302600_NS6detail15normal_iteratorINS9_10device_ptrIyEEEEPS5_jNS1_19radix_merge_compareILb0ELb0EyNS0_19identity_decomposerEEEEE10hipError_tT0_T1_T2_jT3_P12ihipStream_tbPNSt15iterator_traitsISK_E10value_typeEPNSQ_ISL_E10value_typeEPSM_NS1_7vsmem_tEENKUlT_SK_SL_SM_E_clIPySE_SF_SF_EESJ_SZ_SK_SL_SM_EUlSZ_E0_NS1_11comp_targetILNS1_3genE9ELNS1_11target_archE1100ELNS1_3gpuE3ELNS1_3repE0EEENS1_38merge_mergepath_config_static_selectorELNS0_4arch9wavefront6targetE1EEEvSL_,"axG",@progbits,_ZN7rocprim17ROCPRIM_400000_NS6detail17trampoline_kernelINS0_14default_configENS1_38merge_sort_block_merge_config_selectorIyNS0_10empty_typeEEEZZNS1_27merge_sort_block_merge_implIS3_N6thrust23THRUST_200600_302600_NS6detail15normal_iteratorINS9_10device_ptrIyEEEEPS5_jNS1_19radix_merge_compareILb0ELb0EyNS0_19identity_decomposerEEEEE10hipError_tT0_T1_T2_jT3_P12ihipStream_tbPNSt15iterator_traitsISK_E10value_typeEPNSQ_ISL_E10value_typeEPSM_NS1_7vsmem_tEENKUlT_SK_SL_SM_E_clIPySE_SF_SF_EESJ_SZ_SK_SL_SM_EUlSZ_E0_NS1_11comp_targetILNS1_3genE9ELNS1_11target_archE1100ELNS1_3gpuE3ELNS1_3repE0EEENS1_38merge_mergepath_config_static_selectorELNS0_4arch9wavefront6targetE1EEEvSL_,comdat
	.protected	_ZN7rocprim17ROCPRIM_400000_NS6detail17trampoline_kernelINS0_14default_configENS1_38merge_sort_block_merge_config_selectorIyNS0_10empty_typeEEEZZNS1_27merge_sort_block_merge_implIS3_N6thrust23THRUST_200600_302600_NS6detail15normal_iteratorINS9_10device_ptrIyEEEEPS5_jNS1_19radix_merge_compareILb0ELb0EyNS0_19identity_decomposerEEEEE10hipError_tT0_T1_T2_jT3_P12ihipStream_tbPNSt15iterator_traitsISK_E10value_typeEPNSQ_ISL_E10value_typeEPSM_NS1_7vsmem_tEENKUlT_SK_SL_SM_E_clIPySE_SF_SF_EESJ_SZ_SK_SL_SM_EUlSZ_E0_NS1_11comp_targetILNS1_3genE9ELNS1_11target_archE1100ELNS1_3gpuE3ELNS1_3repE0EEENS1_38merge_mergepath_config_static_selectorELNS0_4arch9wavefront6targetE1EEEvSL_ ; -- Begin function _ZN7rocprim17ROCPRIM_400000_NS6detail17trampoline_kernelINS0_14default_configENS1_38merge_sort_block_merge_config_selectorIyNS0_10empty_typeEEEZZNS1_27merge_sort_block_merge_implIS3_N6thrust23THRUST_200600_302600_NS6detail15normal_iteratorINS9_10device_ptrIyEEEEPS5_jNS1_19radix_merge_compareILb0ELb0EyNS0_19identity_decomposerEEEEE10hipError_tT0_T1_T2_jT3_P12ihipStream_tbPNSt15iterator_traitsISK_E10value_typeEPNSQ_ISL_E10value_typeEPSM_NS1_7vsmem_tEENKUlT_SK_SL_SM_E_clIPySE_SF_SF_EESJ_SZ_SK_SL_SM_EUlSZ_E0_NS1_11comp_targetILNS1_3genE9ELNS1_11target_archE1100ELNS1_3gpuE3ELNS1_3repE0EEENS1_38merge_mergepath_config_static_selectorELNS0_4arch9wavefront6targetE1EEEvSL_
	.globl	_ZN7rocprim17ROCPRIM_400000_NS6detail17trampoline_kernelINS0_14default_configENS1_38merge_sort_block_merge_config_selectorIyNS0_10empty_typeEEEZZNS1_27merge_sort_block_merge_implIS3_N6thrust23THRUST_200600_302600_NS6detail15normal_iteratorINS9_10device_ptrIyEEEEPS5_jNS1_19radix_merge_compareILb0ELb0EyNS0_19identity_decomposerEEEEE10hipError_tT0_T1_T2_jT3_P12ihipStream_tbPNSt15iterator_traitsISK_E10value_typeEPNSQ_ISL_E10value_typeEPSM_NS1_7vsmem_tEENKUlT_SK_SL_SM_E_clIPySE_SF_SF_EESJ_SZ_SK_SL_SM_EUlSZ_E0_NS1_11comp_targetILNS1_3genE9ELNS1_11target_archE1100ELNS1_3gpuE3ELNS1_3repE0EEENS1_38merge_mergepath_config_static_selectorELNS0_4arch9wavefront6targetE1EEEvSL_
	.p2align	8
	.type	_ZN7rocprim17ROCPRIM_400000_NS6detail17trampoline_kernelINS0_14default_configENS1_38merge_sort_block_merge_config_selectorIyNS0_10empty_typeEEEZZNS1_27merge_sort_block_merge_implIS3_N6thrust23THRUST_200600_302600_NS6detail15normal_iteratorINS9_10device_ptrIyEEEEPS5_jNS1_19radix_merge_compareILb0ELb0EyNS0_19identity_decomposerEEEEE10hipError_tT0_T1_T2_jT3_P12ihipStream_tbPNSt15iterator_traitsISK_E10value_typeEPNSQ_ISL_E10value_typeEPSM_NS1_7vsmem_tEENKUlT_SK_SL_SM_E_clIPySE_SF_SF_EESJ_SZ_SK_SL_SM_EUlSZ_E0_NS1_11comp_targetILNS1_3genE9ELNS1_11target_archE1100ELNS1_3gpuE3ELNS1_3repE0EEENS1_38merge_mergepath_config_static_selectorELNS0_4arch9wavefront6targetE1EEEvSL_,@function
_ZN7rocprim17ROCPRIM_400000_NS6detail17trampoline_kernelINS0_14default_configENS1_38merge_sort_block_merge_config_selectorIyNS0_10empty_typeEEEZZNS1_27merge_sort_block_merge_implIS3_N6thrust23THRUST_200600_302600_NS6detail15normal_iteratorINS9_10device_ptrIyEEEEPS5_jNS1_19radix_merge_compareILb0ELb0EyNS0_19identity_decomposerEEEEE10hipError_tT0_T1_T2_jT3_P12ihipStream_tbPNSt15iterator_traitsISK_E10value_typeEPNSQ_ISL_E10value_typeEPSM_NS1_7vsmem_tEENKUlT_SK_SL_SM_E_clIPySE_SF_SF_EESJ_SZ_SK_SL_SM_EUlSZ_E0_NS1_11comp_targetILNS1_3genE9ELNS1_11target_archE1100ELNS1_3gpuE3ELNS1_3repE0EEENS1_38merge_mergepath_config_static_selectorELNS0_4arch9wavefront6targetE1EEEvSL_: ; @_ZN7rocprim17ROCPRIM_400000_NS6detail17trampoline_kernelINS0_14default_configENS1_38merge_sort_block_merge_config_selectorIyNS0_10empty_typeEEEZZNS1_27merge_sort_block_merge_implIS3_N6thrust23THRUST_200600_302600_NS6detail15normal_iteratorINS9_10device_ptrIyEEEEPS5_jNS1_19radix_merge_compareILb0ELb0EyNS0_19identity_decomposerEEEEE10hipError_tT0_T1_T2_jT3_P12ihipStream_tbPNSt15iterator_traitsISK_E10value_typeEPNSQ_ISL_E10value_typeEPSM_NS1_7vsmem_tEENKUlT_SK_SL_SM_E_clIPySE_SF_SF_EESJ_SZ_SK_SL_SM_EUlSZ_E0_NS1_11comp_targetILNS1_3genE9ELNS1_11target_archE1100ELNS1_3gpuE3ELNS1_3repE0EEENS1_38merge_mergepath_config_static_selectorELNS0_4arch9wavefront6targetE1EEEvSL_
; %bb.0:
	.section	.rodata,"a",@progbits
	.p2align	6, 0x0
	.amdhsa_kernel _ZN7rocprim17ROCPRIM_400000_NS6detail17trampoline_kernelINS0_14default_configENS1_38merge_sort_block_merge_config_selectorIyNS0_10empty_typeEEEZZNS1_27merge_sort_block_merge_implIS3_N6thrust23THRUST_200600_302600_NS6detail15normal_iteratorINS9_10device_ptrIyEEEEPS5_jNS1_19radix_merge_compareILb0ELb0EyNS0_19identity_decomposerEEEEE10hipError_tT0_T1_T2_jT3_P12ihipStream_tbPNSt15iterator_traitsISK_E10value_typeEPNSQ_ISL_E10value_typeEPSM_NS1_7vsmem_tEENKUlT_SK_SL_SM_E_clIPySE_SF_SF_EESJ_SZ_SK_SL_SM_EUlSZ_E0_NS1_11comp_targetILNS1_3genE9ELNS1_11target_archE1100ELNS1_3gpuE3ELNS1_3repE0EEENS1_38merge_mergepath_config_static_selectorELNS0_4arch9wavefront6targetE1EEEvSL_
		.amdhsa_group_segment_fixed_size 0
		.amdhsa_private_segment_fixed_size 0
		.amdhsa_kernarg_size 64
		.amdhsa_user_sgpr_count 6
		.amdhsa_user_sgpr_private_segment_buffer 1
		.amdhsa_user_sgpr_dispatch_ptr 0
		.amdhsa_user_sgpr_queue_ptr 0
		.amdhsa_user_sgpr_kernarg_segment_ptr 1
		.amdhsa_user_sgpr_dispatch_id 0
		.amdhsa_user_sgpr_flat_scratch_init 0
		.amdhsa_user_sgpr_kernarg_preload_length 0
		.amdhsa_user_sgpr_kernarg_preload_offset 0
		.amdhsa_user_sgpr_private_segment_size 0
		.amdhsa_uses_dynamic_stack 0
		.amdhsa_system_sgpr_private_segment_wavefront_offset 0
		.amdhsa_system_sgpr_workgroup_id_x 1
		.amdhsa_system_sgpr_workgroup_id_y 0
		.amdhsa_system_sgpr_workgroup_id_z 0
		.amdhsa_system_sgpr_workgroup_info 0
		.amdhsa_system_vgpr_workitem_id 0
		.amdhsa_next_free_vgpr 1
		.amdhsa_next_free_sgpr 0
		.amdhsa_accum_offset 4
		.amdhsa_reserve_vcc 0
		.amdhsa_reserve_flat_scratch 0
		.amdhsa_float_round_mode_32 0
		.amdhsa_float_round_mode_16_64 0
		.amdhsa_float_denorm_mode_32 3
		.amdhsa_float_denorm_mode_16_64 3
		.amdhsa_dx10_clamp 1
		.amdhsa_ieee_mode 1
		.amdhsa_fp16_overflow 0
		.amdhsa_tg_split 0
		.amdhsa_exception_fp_ieee_invalid_op 0
		.amdhsa_exception_fp_denorm_src 0
		.amdhsa_exception_fp_ieee_div_zero 0
		.amdhsa_exception_fp_ieee_overflow 0
		.amdhsa_exception_fp_ieee_underflow 0
		.amdhsa_exception_fp_ieee_inexact 0
		.amdhsa_exception_int_div_zero 0
	.end_amdhsa_kernel
	.section	.text._ZN7rocprim17ROCPRIM_400000_NS6detail17trampoline_kernelINS0_14default_configENS1_38merge_sort_block_merge_config_selectorIyNS0_10empty_typeEEEZZNS1_27merge_sort_block_merge_implIS3_N6thrust23THRUST_200600_302600_NS6detail15normal_iteratorINS9_10device_ptrIyEEEEPS5_jNS1_19radix_merge_compareILb0ELb0EyNS0_19identity_decomposerEEEEE10hipError_tT0_T1_T2_jT3_P12ihipStream_tbPNSt15iterator_traitsISK_E10value_typeEPNSQ_ISL_E10value_typeEPSM_NS1_7vsmem_tEENKUlT_SK_SL_SM_E_clIPySE_SF_SF_EESJ_SZ_SK_SL_SM_EUlSZ_E0_NS1_11comp_targetILNS1_3genE9ELNS1_11target_archE1100ELNS1_3gpuE3ELNS1_3repE0EEENS1_38merge_mergepath_config_static_selectorELNS0_4arch9wavefront6targetE1EEEvSL_,"axG",@progbits,_ZN7rocprim17ROCPRIM_400000_NS6detail17trampoline_kernelINS0_14default_configENS1_38merge_sort_block_merge_config_selectorIyNS0_10empty_typeEEEZZNS1_27merge_sort_block_merge_implIS3_N6thrust23THRUST_200600_302600_NS6detail15normal_iteratorINS9_10device_ptrIyEEEEPS5_jNS1_19radix_merge_compareILb0ELb0EyNS0_19identity_decomposerEEEEE10hipError_tT0_T1_T2_jT3_P12ihipStream_tbPNSt15iterator_traitsISK_E10value_typeEPNSQ_ISL_E10value_typeEPSM_NS1_7vsmem_tEENKUlT_SK_SL_SM_E_clIPySE_SF_SF_EESJ_SZ_SK_SL_SM_EUlSZ_E0_NS1_11comp_targetILNS1_3genE9ELNS1_11target_archE1100ELNS1_3gpuE3ELNS1_3repE0EEENS1_38merge_mergepath_config_static_selectorELNS0_4arch9wavefront6targetE1EEEvSL_,comdat
.Lfunc_end738:
	.size	_ZN7rocprim17ROCPRIM_400000_NS6detail17trampoline_kernelINS0_14default_configENS1_38merge_sort_block_merge_config_selectorIyNS0_10empty_typeEEEZZNS1_27merge_sort_block_merge_implIS3_N6thrust23THRUST_200600_302600_NS6detail15normal_iteratorINS9_10device_ptrIyEEEEPS5_jNS1_19radix_merge_compareILb0ELb0EyNS0_19identity_decomposerEEEEE10hipError_tT0_T1_T2_jT3_P12ihipStream_tbPNSt15iterator_traitsISK_E10value_typeEPNSQ_ISL_E10value_typeEPSM_NS1_7vsmem_tEENKUlT_SK_SL_SM_E_clIPySE_SF_SF_EESJ_SZ_SK_SL_SM_EUlSZ_E0_NS1_11comp_targetILNS1_3genE9ELNS1_11target_archE1100ELNS1_3gpuE3ELNS1_3repE0EEENS1_38merge_mergepath_config_static_selectorELNS0_4arch9wavefront6targetE1EEEvSL_, .Lfunc_end738-_ZN7rocprim17ROCPRIM_400000_NS6detail17trampoline_kernelINS0_14default_configENS1_38merge_sort_block_merge_config_selectorIyNS0_10empty_typeEEEZZNS1_27merge_sort_block_merge_implIS3_N6thrust23THRUST_200600_302600_NS6detail15normal_iteratorINS9_10device_ptrIyEEEEPS5_jNS1_19radix_merge_compareILb0ELb0EyNS0_19identity_decomposerEEEEE10hipError_tT0_T1_T2_jT3_P12ihipStream_tbPNSt15iterator_traitsISK_E10value_typeEPNSQ_ISL_E10value_typeEPSM_NS1_7vsmem_tEENKUlT_SK_SL_SM_E_clIPySE_SF_SF_EESJ_SZ_SK_SL_SM_EUlSZ_E0_NS1_11comp_targetILNS1_3genE9ELNS1_11target_archE1100ELNS1_3gpuE3ELNS1_3repE0EEENS1_38merge_mergepath_config_static_selectorELNS0_4arch9wavefront6targetE1EEEvSL_
                                        ; -- End function
	.section	.AMDGPU.csdata,"",@progbits
; Kernel info:
; codeLenInByte = 0
; NumSgprs: 4
; NumVgprs: 0
; NumAgprs: 0
; TotalNumVgprs: 0
; ScratchSize: 0
; MemoryBound: 0
; FloatMode: 240
; IeeeMode: 1
; LDSByteSize: 0 bytes/workgroup (compile time only)
; SGPRBlocks: 0
; VGPRBlocks: 0
; NumSGPRsForWavesPerEU: 4
; NumVGPRsForWavesPerEU: 1
; AccumOffset: 4
; Occupancy: 8
; WaveLimiterHint : 0
; COMPUTE_PGM_RSRC2:SCRATCH_EN: 0
; COMPUTE_PGM_RSRC2:USER_SGPR: 6
; COMPUTE_PGM_RSRC2:TRAP_HANDLER: 0
; COMPUTE_PGM_RSRC2:TGID_X_EN: 1
; COMPUTE_PGM_RSRC2:TGID_Y_EN: 0
; COMPUTE_PGM_RSRC2:TGID_Z_EN: 0
; COMPUTE_PGM_RSRC2:TIDIG_COMP_CNT: 0
; COMPUTE_PGM_RSRC3_GFX90A:ACCUM_OFFSET: 0
; COMPUTE_PGM_RSRC3_GFX90A:TG_SPLIT: 0
	.section	.text._ZN7rocprim17ROCPRIM_400000_NS6detail17trampoline_kernelINS0_14default_configENS1_38merge_sort_block_merge_config_selectorIyNS0_10empty_typeEEEZZNS1_27merge_sort_block_merge_implIS3_N6thrust23THRUST_200600_302600_NS6detail15normal_iteratorINS9_10device_ptrIyEEEEPS5_jNS1_19radix_merge_compareILb0ELb0EyNS0_19identity_decomposerEEEEE10hipError_tT0_T1_T2_jT3_P12ihipStream_tbPNSt15iterator_traitsISK_E10value_typeEPNSQ_ISL_E10value_typeEPSM_NS1_7vsmem_tEENKUlT_SK_SL_SM_E_clIPySE_SF_SF_EESJ_SZ_SK_SL_SM_EUlSZ_E0_NS1_11comp_targetILNS1_3genE8ELNS1_11target_archE1030ELNS1_3gpuE2ELNS1_3repE0EEENS1_38merge_mergepath_config_static_selectorELNS0_4arch9wavefront6targetE1EEEvSL_,"axG",@progbits,_ZN7rocprim17ROCPRIM_400000_NS6detail17trampoline_kernelINS0_14default_configENS1_38merge_sort_block_merge_config_selectorIyNS0_10empty_typeEEEZZNS1_27merge_sort_block_merge_implIS3_N6thrust23THRUST_200600_302600_NS6detail15normal_iteratorINS9_10device_ptrIyEEEEPS5_jNS1_19radix_merge_compareILb0ELb0EyNS0_19identity_decomposerEEEEE10hipError_tT0_T1_T2_jT3_P12ihipStream_tbPNSt15iterator_traitsISK_E10value_typeEPNSQ_ISL_E10value_typeEPSM_NS1_7vsmem_tEENKUlT_SK_SL_SM_E_clIPySE_SF_SF_EESJ_SZ_SK_SL_SM_EUlSZ_E0_NS1_11comp_targetILNS1_3genE8ELNS1_11target_archE1030ELNS1_3gpuE2ELNS1_3repE0EEENS1_38merge_mergepath_config_static_selectorELNS0_4arch9wavefront6targetE1EEEvSL_,comdat
	.protected	_ZN7rocprim17ROCPRIM_400000_NS6detail17trampoline_kernelINS0_14default_configENS1_38merge_sort_block_merge_config_selectorIyNS0_10empty_typeEEEZZNS1_27merge_sort_block_merge_implIS3_N6thrust23THRUST_200600_302600_NS6detail15normal_iteratorINS9_10device_ptrIyEEEEPS5_jNS1_19radix_merge_compareILb0ELb0EyNS0_19identity_decomposerEEEEE10hipError_tT0_T1_T2_jT3_P12ihipStream_tbPNSt15iterator_traitsISK_E10value_typeEPNSQ_ISL_E10value_typeEPSM_NS1_7vsmem_tEENKUlT_SK_SL_SM_E_clIPySE_SF_SF_EESJ_SZ_SK_SL_SM_EUlSZ_E0_NS1_11comp_targetILNS1_3genE8ELNS1_11target_archE1030ELNS1_3gpuE2ELNS1_3repE0EEENS1_38merge_mergepath_config_static_selectorELNS0_4arch9wavefront6targetE1EEEvSL_ ; -- Begin function _ZN7rocprim17ROCPRIM_400000_NS6detail17trampoline_kernelINS0_14default_configENS1_38merge_sort_block_merge_config_selectorIyNS0_10empty_typeEEEZZNS1_27merge_sort_block_merge_implIS3_N6thrust23THRUST_200600_302600_NS6detail15normal_iteratorINS9_10device_ptrIyEEEEPS5_jNS1_19radix_merge_compareILb0ELb0EyNS0_19identity_decomposerEEEEE10hipError_tT0_T1_T2_jT3_P12ihipStream_tbPNSt15iterator_traitsISK_E10value_typeEPNSQ_ISL_E10value_typeEPSM_NS1_7vsmem_tEENKUlT_SK_SL_SM_E_clIPySE_SF_SF_EESJ_SZ_SK_SL_SM_EUlSZ_E0_NS1_11comp_targetILNS1_3genE8ELNS1_11target_archE1030ELNS1_3gpuE2ELNS1_3repE0EEENS1_38merge_mergepath_config_static_selectorELNS0_4arch9wavefront6targetE1EEEvSL_
	.globl	_ZN7rocprim17ROCPRIM_400000_NS6detail17trampoline_kernelINS0_14default_configENS1_38merge_sort_block_merge_config_selectorIyNS0_10empty_typeEEEZZNS1_27merge_sort_block_merge_implIS3_N6thrust23THRUST_200600_302600_NS6detail15normal_iteratorINS9_10device_ptrIyEEEEPS5_jNS1_19radix_merge_compareILb0ELb0EyNS0_19identity_decomposerEEEEE10hipError_tT0_T1_T2_jT3_P12ihipStream_tbPNSt15iterator_traitsISK_E10value_typeEPNSQ_ISL_E10value_typeEPSM_NS1_7vsmem_tEENKUlT_SK_SL_SM_E_clIPySE_SF_SF_EESJ_SZ_SK_SL_SM_EUlSZ_E0_NS1_11comp_targetILNS1_3genE8ELNS1_11target_archE1030ELNS1_3gpuE2ELNS1_3repE0EEENS1_38merge_mergepath_config_static_selectorELNS0_4arch9wavefront6targetE1EEEvSL_
	.p2align	8
	.type	_ZN7rocprim17ROCPRIM_400000_NS6detail17trampoline_kernelINS0_14default_configENS1_38merge_sort_block_merge_config_selectorIyNS0_10empty_typeEEEZZNS1_27merge_sort_block_merge_implIS3_N6thrust23THRUST_200600_302600_NS6detail15normal_iteratorINS9_10device_ptrIyEEEEPS5_jNS1_19radix_merge_compareILb0ELb0EyNS0_19identity_decomposerEEEEE10hipError_tT0_T1_T2_jT3_P12ihipStream_tbPNSt15iterator_traitsISK_E10value_typeEPNSQ_ISL_E10value_typeEPSM_NS1_7vsmem_tEENKUlT_SK_SL_SM_E_clIPySE_SF_SF_EESJ_SZ_SK_SL_SM_EUlSZ_E0_NS1_11comp_targetILNS1_3genE8ELNS1_11target_archE1030ELNS1_3gpuE2ELNS1_3repE0EEENS1_38merge_mergepath_config_static_selectorELNS0_4arch9wavefront6targetE1EEEvSL_,@function
_ZN7rocprim17ROCPRIM_400000_NS6detail17trampoline_kernelINS0_14default_configENS1_38merge_sort_block_merge_config_selectorIyNS0_10empty_typeEEEZZNS1_27merge_sort_block_merge_implIS3_N6thrust23THRUST_200600_302600_NS6detail15normal_iteratorINS9_10device_ptrIyEEEEPS5_jNS1_19radix_merge_compareILb0ELb0EyNS0_19identity_decomposerEEEEE10hipError_tT0_T1_T2_jT3_P12ihipStream_tbPNSt15iterator_traitsISK_E10value_typeEPNSQ_ISL_E10value_typeEPSM_NS1_7vsmem_tEENKUlT_SK_SL_SM_E_clIPySE_SF_SF_EESJ_SZ_SK_SL_SM_EUlSZ_E0_NS1_11comp_targetILNS1_3genE8ELNS1_11target_archE1030ELNS1_3gpuE2ELNS1_3repE0EEENS1_38merge_mergepath_config_static_selectorELNS0_4arch9wavefront6targetE1EEEvSL_: ; @_ZN7rocprim17ROCPRIM_400000_NS6detail17trampoline_kernelINS0_14default_configENS1_38merge_sort_block_merge_config_selectorIyNS0_10empty_typeEEEZZNS1_27merge_sort_block_merge_implIS3_N6thrust23THRUST_200600_302600_NS6detail15normal_iteratorINS9_10device_ptrIyEEEEPS5_jNS1_19radix_merge_compareILb0ELb0EyNS0_19identity_decomposerEEEEE10hipError_tT0_T1_T2_jT3_P12ihipStream_tbPNSt15iterator_traitsISK_E10value_typeEPNSQ_ISL_E10value_typeEPSM_NS1_7vsmem_tEENKUlT_SK_SL_SM_E_clIPySE_SF_SF_EESJ_SZ_SK_SL_SM_EUlSZ_E0_NS1_11comp_targetILNS1_3genE8ELNS1_11target_archE1030ELNS1_3gpuE2ELNS1_3repE0EEENS1_38merge_mergepath_config_static_selectorELNS0_4arch9wavefront6targetE1EEEvSL_
; %bb.0:
	.section	.rodata,"a",@progbits
	.p2align	6, 0x0
	.amdhsa_kernel _ZN7rocprim17ROCPRIM_400000_NS6detail17trampoline_kernelINS0_14default_configENS1_38merge_sort_block_merge_config_selectorIyNS0_10empty_typeEEEZZNS1_27merge_sort_block_merge_implIS3_N6thrust23THRUST_200600_302600_NS6detail15normal_iteratorINS9_10device_ptrIyEEEEPS5_jNS1_19radix_merge_compareILb0ELb0EyNS0_19identity_decomposerEEEEE10hipError_tT0_T1_T2_jT3_P12ihipStream_tbPNSt15iterator_traitsISK_E10value_typeEPNSQ_ISL_E10value_typeEPSM_NS1_7vsmem_tEENKUlT_SK_SL_SM_E_clIPySE_SF_SF_EESJ_SZ_SK_SL_SM_EUlSZ_E0_NS1_11comp_targetILNS1_3genE8ELNS1_11target_archE1030ELNS1_3gpuE2ELNS1_3repE0EEENS1_38merge_mergepath_config_static_selectorELNS0_4arch9wavefront6targetE1EEEvSL_
		.amdhsa_group_segment_fixed_size 0
		.amdhsa_private_segment_fixed_size 0
		.amdhsa_kernarg_size 64
		.amdhsa_user_sgpr_count 6
		.amdhsa_user_sgpr_private_segment_buffer 1
		.amdhsa_user_sgpr_dispatch_ptr 0
		.amdhsa_user_sgpr_queue_ptr 0
		.amdhsa_user_sgpr_kernarg_segment_ptr 1
		.amdhsa_user_sgpr_dispatch_id 0
		.amdhsa_user_sgpr_flat_scratch_init 0
		.amdhsa_user_sgpr_kernarg_preload_length 0
		.amdhsa_user_sgpr_kernarg_preload_offset 0
		.amdhsa_user_sgpr_private_segment_size 0
		.amdhsa_uses_dynamic_stack 0
		.amdhsa_system_sgpr_private_segment_wavefront_offset 0
		.amdhsa_system_sgpr_workgroup_id_x 1
		.amdhsa_system_sgpr_workgroup_id_y 0
		.amdhsa_system_sgpr_workgroup_id_z 0
		.amdhsa_system_sgpr_workgroup_info 0
		.amdhsa_system_vgpr_workitem_id 0
		.amdhsa_next_free_vgpr 1
		.amdhsa_next_free_sgpr 0
		.amdhsa_accum_offset 4
		.amdhsa_reserve_vcc 0
		.amdhsa_reserve_flat_scratch 0
		.amdhsa_float_round_mode_32 0
		.amdhsa_float_round_mode_16_64 0
		.amdhsa_float_denorm_mode_32 3
		.amdhsa_float_denorm_mode_16_64 3
		.amdhsa_dx10_clamp 1
		.amdhsa_ieee_mode 1
		.amdhsa_fp16_overflow 0
		.amdhsa_tg_split 0
		.amdhsa_exception_fp_ieee_invalid_op 0
		.amdhsa_exception_fp_denorm_src 0
		.amdhsa_exception_fp_ieee_div_zero 0
		.amdhsa_exception_fp_ieee_overflow 0
		.amdhsa_exception_fp_ieee_underflow 0
		.amdhsa_exception_fp_ieee_inexact 0
		.amdhsa_exception_int_div_zero 0
	.end_amdhsa_kernel
	.section	.text._ZN7rocprim17ROCPRIM_400000_NS6detail17trampoline_kernelINS0_14default_configENS1_38merge_sort_block_merge_config_selectorIyNS0_10empty_typeEEEZZNS1_27merge_sort_block_merge_implIS3_N6thrust23THRUST_200600_302600_NS6detail15normal_iteratorINS9_10device_ptrIyEEEEPS5_jNS1_19radix_merge_compareILb0ELb0EyNS0_19identity_decomposerEEEEE10hipError_tT0_T1_T2_jT3_P12ihipStream_tbPNSt15iterator_traitsISK_E10value_typeEPNSQ_ISL_E10value_typeEPSM_NS1_7vsmem_tEENKUlT_SK_SL_SM_E_clIPySE_SF_SF_EESJ_SZ_SK_SL_SM_EUlSZ_E0_NS1_11comp_targetILNS1_3genE8ELNS1_11target_archE1030ELNS1_3gpuE2ELNS1_3repE0EEENS1_38merge_mergepath_config_static_selectorELNS0_4arch9wavefront6targetE1EEEvSL_,"axG",@progbits,_ZN7rocprim17ROCPRIM_400000_NS6detail17trampoline_kernelINS0_14default_configENS1_38merge_sort_block_merge_config_selectorIyNS0_10empty_typeEEEZZNS1_27merge_sort_block_merge_implIS3_N6thrust23THRUST_200600_302600_NS6detail15normal_iteratorINS9_10device_ptrIyEEEEPS5_jNS1_19radix_merge_compareILb0ELb0EyNS0_19identity_decomposerEEEEE10hipError_tT0_T1_T2_jT3_P12ihipStream_tbPNSt15iterator_traitsISK_E10value_typeEPNSQ_ISL_E10value_typeEPSM_NS1_7vsmem_tEENKUlT_SK_SL_SM_E_clIPySE_SF_SF_EESJ_SZ_SK_SL_SM_EUlSZ_E0_NS1_11comp_targetILNS1_3genE8ELNS1_11target_archE1030ELNS1_3gpuE2ELNS1_3repE0EEENS1_38merge_mergepath_config_static_selectorELNS0_4arch9wavefront6targetE1EEEvSL_,comdat
.Lfunc_end739:
	.size	_ZN7rocprim17ROCPRIM_400000_NS6detail17trampoline_kernelINS0_14default_configENS1_38merge_sort_block_merge_config_selectorIyNS0_10empty_typeEEEZZNS1_27merge_sort_block_merge_implIS3_N6thrust23THRUST_200600_302600_NS6detail15normal_iteratorINS9_10device_ptrIyEEEEPS5_jNS1_19radix_merge_compareILb0ELb0EyNS0_19identity_decomposerEEEEE10hipError_tT0_T1_T2_jT3_P12ihipStream_tbPNSt15iterator_traitsISK_E10value_typeEPNSQ_ISL_E10value_typeEPSM_NS1_7vsmem_tEENKUlT_SK_SL_SM_E_clIPySE_SF_SF_EESJ_SZ_SK_SL_SM_EUlSZ_E0_NS1_11comp_targetILNS1_3genE8ELNS1_11target_archE1030ELNS1_3gpuE2ELNS1_3repE0EEENS1_38merge_mergepath_config_static_selectorELNS0_4arch9wavefront6targetE1EEEvSL_, .Lfunc_end739-_ZN7rocprim17ROCPRIM_400000_NS6detail17trampoline_kernelINS0_14default_configENS1_38merge_sort_block_merge_config_selectorIyNS0_10empty_typeEEEZZNS1_27merge_sort_block_merge_implIS3_N6thrust23THRUST_200600_302600_NS6detail15normal_iteratorINS9_10device_ptrIyEEEEPS5_jNS1_19radix_merge_compareILb0ELb0EyNS0_19identity_decomposerEEEEE10hipError_tT0_T1_T2_jT3_P12ihipStream_tbPNSt15iterator_traitsISK_E10value_typeEPNSQ_ISL_E10value_typeEPSM_NS1_7vsmem_tEENKUlT_SK_SL_SM_E_clIPySE_SF_SF_EESJ_SZ_SK_SL_SM_EUlSZ_E0_NS1_11comp_targetILNS1_3genE8ELNS1_11target_archE1030ELNS1_3gpuE2ELNS1_3repE0EEENS1_38merge_mergepath_config_static_selectorELNS0_4arch9wavefront6targetE1EEEvSL_
                                        ; -- End function
	.section	.AMDGPU.csdata,"",@progbits
; Kernel info:
; codeLenInByte = 0
; NumSgprs: 4
; NumVgprs: 0
; NumAgprs: 0
; TotalNumVgprs: 0
; ScratchSize: 0
; MemoryBound: 0
; FloatMode: 240
; IeeeMode: 1
; LDSByteSize: 0 bytes/workgroup (compile time only)
; SGPRBlocks: 0
; VGPRBlocks: 0
; NumSGPRsForWavesPerEU: 4
; NumVGPRsForWavesPerEU: 1
; AccumOffset: 4
; Occupancy: 8
; WaveLimiterHint : 0
; COMPUTE_PGM_RSRC2:SCRATCH_EN: 0
; COMPUTE_PGM_RSRC2:USER_SGPR: 6
; COMPUTE_PGM_RSRC2:TRAP_HANDLER: 0
; COMPUTE_PGM_RSRC2:TGID_X_EN: 1
; COMPUTE_PGM_RSRC2:TGID_Y_EN: 0
; COMPUTE_PGM_RSRC2:TGID_Z_EN: 0
; COMPUTE_PGM_RSRC2:TIDIG_COMP_CNT: 0
; COMPUTE_PGM_RSRC3_GFX90A:ACCUM_OFFSET: 0
; COMPUTE_PGM_RSRC3_GFX90A:TG_SPLIT: 0
	.section	.text._ZN7rocprim17ROCPRIM_400000_NS6detail17trampoline_kernelINS0_14default_configENS1_38merge_sort_block_merge_config_selectorIyNS0_10empty_typeEEEZZNS1_27merge_sort_block_merge_implIS3_N6thrust23THRUST_200600_302600_NS6detail15normal_iteratorINS9_10device_ptrIyEEEEPS5_jNS1_19radix_merge_compareILb0ELb0EyNS0_19identity_decomposerEEEEE10hipError_tT0_T1_T2_jT3_P12ihipStream_tbPNSt15iterator_traitsISK_E10value_typeEPNSQ_ISL_E10value_typeEPSM_NS1_7vsmem_tEENKUlT_SK_SL_SM_E_clIPySE_SF_SF_EESJ_SZ_SK_SL_SM_EUlSZ_E1_NS1_11comp_targetILNS1_3genE0ELNS1_11target_archE4294967295ELNS1_3gpuE0ELNS1_3repE0EEENS1_36merge_oddeven_config_static_selectorELNS0_4arch9wavefront6targetE1EEEvSL_,"axG",@progbits,_ZN7rocprim17ROCPRIM_400000_NS6detail17trampoline_kernelINS0_14default_configENS1_38merge_sort_block_merge_config_selectorIyNS0_10empty_typeEEEZZNS1_27merge_sort_block_merge_implIS3_N6thrust23THRUST_200600_302600_NS6detail15normal_iteratorINS9_10device_ptrIyEEEEPS5_jNS1_19radix_merge_compareILb0ELb0EyNS0_19identity_decomposerEEEEE10hipError_tT0_T1_T2_jT3_P12ihipStream_tbPNSt15iterator_traitsISK_E10value_typeEPNSQ_ISL_E10value_typeEPSM_NS1_7vsmem_tEENKUlT_SK_SL_SM_E_clIPySE_SF_SF_EESJ_SZ_SK_SL_SM_EUlSZ_E1_NS1_11comp_targetILNS1_3genE0ELNS1_11target_archE4294967295ELNS1_3gpuE0ELNS1_3repE0EEENS1_36merge_oddeven_config_static_selectorELNS0_4arch9wavefront6targetE1EEEvSL_,comdat
	.protected	_ZN7rocprim17ROCPRIM_400000_NS6detail17trampoline_kernelINS0_14default_configENS1_38merge_sort_block_merge_config_selectorIyNS0_10empty_typeEEEZZNS1_27merge_sort_block_merge_implIS3_N6thrust23THRUST_200600_302600_NS6detail15normal_iteratorINS9_10device_ptrIyEEEEPS5_jNS1_19radix_merge_compareILb0ELb0EyNS0_19identity_decomposerEEEEE10hipError_tT0_T1_T2_jT3_P12ihipStream_tbPNSt15iterator_traitsISK_E10value_typeEPNSQ_ISL_E10value_typeEPSM_NS1_7vsmem_tEENKUlT_SK_SL_SM_E_clIPySE_SF_SF_EESJ_SZ_SK_SL_SM_EUlSZ_E1_NS1_11comp_targetILNS1_3genE0ELNS1_11target_archE4294967295ELNS1_3gpuE0ELNS1_3repE0EEENS1_36merge_oddeven_config_static_selectorELNS0_4arch9wavefront6targetE1EEEvSL_ ; -- Begin function _ZN7rocprim17ROCPRIM_400000_NS6detail17trampoline_kernelINS0_14default_configENS1_38merge_sort_block_merge_config_selectorIyNS0_10empty_typeEEEZZNS1_27merge_sort_block_merge_implIS3_N6thrust23THRUST_200600_302600_NS6detail15normal_iteratorINS9_10device_ptrIyEEEEPS5_jNS1_19radix_merge_compareILb0ELb0EyNS0_19identity_decomposerEEEEE10hipError_tT0_T1_T2_jT3_P12ihipStream_tbPNSt15iterator_traitsISK_E10value_typeEPNSQ_ISL_E10value_typeEPSM_NS1_7vsmem_tEENKUlT_SK_SL_SM_E_clIPySE_SF_SF_EESJ_SZ_SK_SL_SM_EUlSZ_E1_NS1_11comp_targetILNS1_3genE0ELNS1_11target_archE4294967295ELNS1_3gpuE0ELNS1_3repE0EEENS1_36merge_oddeven_config_static_selectorELNS0_4arch9wavefront6targetE1EEEvSL_
	.globl	_ZN7rocprim17ROCPRIM_400000_NS6detail17trampoline_kernelINS0_14default_configENS1_38merge_sort_block_merge_config_selectorIyNS0_10empty_typeEEEZZNS1_27merge_sort_block_merge_implIS3_N6thrust23THRUST_200600_302600_NS6detail15normal_iteratorINS9_10device_ptrIyEEEEPS5_jNS1_19radix_merge_compareILb0ELb0EyNS0_19identity_decomposerEEEEE10hipError_tT0_T1_T2_jT3_P12ihipStream_tbPNSt15iterator_traitsISK_E10value_typeEPNSQ_ISL_E10value_typeEPSM_NS1_7vsmem_tEENKUlT_SK_SL_SM_E_clIPySE_SF_SF_EESJ_SZ_SK_SL_SM_EUlSZ_E1_NS1_11comp_targetILNS1_3genE0ELNS1_11target_archE4294967295ELNS1_3gpuE0ELNS1_3repE0EEENS1_36merge_oddeven_config_static_selectorELNS0_4arch9wavefront6targetE1EEEvSL_
	.p2align	8
	.type	_ZN7rocprim17ROCPRIM_400000_NS6detail17trampoline_kernelINS0_14default_configENS1_38merge_sort_block_merge_config_selectorIyNS0_10empty_typeEEEZZNS1_27merge_sort_block_merge_implIS3_N6thrust23THRUST_200600_302600_NS6detail15normal_iteratorINS9_10device_ptrIyEEEEPS5_jNS1_19radix_merge_compareILb0ELb0EyNS0_19identity_decomposerEEEEE10hipError_tT0_T1_T2_jT3_P12ihipStream_tbPNSt15iterator_traitsISK_E10value_typeEPNSQ_ISL_E10value_typeEPSM_NS1_7vsmem_tEENKUlT_SK_SL_SM_E_clIPySE_SF_SF_EESJ_SZ_SK_SL_SM_EUlSZ_E1_NS1_11comp_targetILNS1_3genE0ELNS1_11target_archE4294967295ELNS1_3gpuE0ELNS1_3repE0EEENS1_36merge_oddeven_config_static_selectorELNS0_4arch9wavefront6targetE1EEEvSL_,@function
_ZN7rocprim17ROCPRIM_400000_NS6detail17trampoline_kernelINS0_14default_configENS1_38merge_sort_block_merge_config_selectorIyNS0_10empty_typeEEEZZNS1_27merge_sort_block_merge_implIS3_N6thrust23THRUST_200600_302600_NS6detail15normal_iteratorINS9_10device_ptrIyEEEEPS5_jNS1_19radix_merge_compareILb0ELb0EyNS0_19identity_decomposerEEEEE10hipError_tT0_T1_T2_jT3_P12ihipStream_tbPNSt15iterator_traitsISK_E10value_typeEPNSQ_ISL_E10value_typeEPSM_NS1_7vsmem_tEENKUlT_SK_SL_SM_E_clIPySE_SF_SF_EESJ_SZ_SK_SL_SM_EUlSZ_E1_NS1_11comp_targetILNS1_3genE0ELNS1_11target_archE4294967295ELNS1_3gpuE0ELNS1_3repE0EEENS1_36merge_oddeven_config_static_selectorELNS0_4arch9wavefront6targetE1EEEvSL_: ; @_ZN7rocprim17ROCPRIM_400000_NS6detail17trampoline_kernelINS0_14default_configENS1_38merge_sort_block_merge_config_selectorIyNS0_10empty_typeEEEZZNS1_27merge_sort_block_merge_implIS3_N6thrust23THRUST_200600_302600_NS6detail15normal_iteratorINS9_10device_ptrIyEEEEPS5_jNS1_19radix_merge_compareILb0ELb0EyNS0_19identity_decomposerEEEEE10hipError_tT0_T1_T2_jT3_P12ihipStream_tbPNSt15iterator_traitsISK_E10value_typeEPNSQ_ISL_E10value_typeEPSM_NS1_7vsmem_tEENKUlT_SK_SL_SM_E_clIPySE_SF_SF_EESJ_SZ_SK_SL_SM_EUlSZ_E1_NS1_11comp_targetILNS1_3genE0ELNS1_11target_archE4294967295ELNS1_3gpuE0ELNS1_3repE0EEENS1_36merge_oddeven_config_static_selectorELNS0_4arch9wavefront6targetE1EEEvSL_
; %bb.0:
	.section	.rodata,"a",@progbits
	.p2align	6, 0x0
	.amdhsa_kernel _ZN7rocprim17ROCPRIM_400000_NS6detail17trampoline_kernelINS0_14default_configENS1_38merge_sort_block_merge_config_selectorIyNS0_10empty_typeEEEZZNS1_27merge_sort_block_merge_implIS3_N6thrust23THRUST_200600_302600_NS6detail15normal_iteratorINS9_10device_ptrIyEEEEPS5_jNS1_19radix_merge_compareILb0ELb0EyNS0_19identity_decomposerEEEEE10hipError_tT0_T1_T2_jT3_P12ihipStream_tbPNSt15iterator_traitsISK_E10value_typeEPNSQ_ISL_E10value_typeEPSM_NS1_7vsmem_tEENKUlT_SK_SL_SM_E_clIPySE_SF_SF_EESJ_SZ_SK_SL_SM_EUlSZ_E1_NS1_11comp_targetILNS1_3genE0ELNS1_11target_archE4294967295ELNS1_3gpuE0ELNS1_3repE0EEENS1_36merge_oddeven_config_static_selectorELNS0_4arch9wavefront6targetE1EEEvSL_
		.amdhsa_group_segment_fixed_size 0
		.amdhsa_private_segment_fixed_size 0
		.amdhsa_kernarg_size 48
		.amdhsa_user_sgpr_count 6
		.amdhsa_user_sgpr_private_segment_buffer 1
		.amdhsa_user_sgpr_dispatch_ptr 0
		.amdhsa_user_sgpr_queue_ptr 0
		.amdhsa_user_sgpr_kernarg_segment_ptr 1
		.amdhsa_user_sgpr_dispatch_id 0
		.amdhsa_user_sgpr_flat_scratch_init 0
		.amdhsa_user_sgpr_kernarg_preload_length 0
		.amdhsa_user_sgpr_kernarg_preload_offset 0
		.amdhsa_user_sgpr_private_segment_size 0
		.amdhsa_uses_dynamic_stack 0
		.amdhsa_system_sgpr_private_segment_wavefront_offset 0
		.amdhsa_system_sgpr_workgroup_id_x 1
		.amdhsa_system_sgpr_workgroup_id_y 0
		.amdhsa_system_sgpr_workgroup_id_z 0
		.amdhsa_system_sgpr_workgroup_info 0
		.amdhsa_system_vgpr_workitem_id 0
		.amdhsa_next_free_vgpr 1
		.amdhsa_next_free_sgpr 0
		.amdhsa_accum_offset 4
		.amdhsa_reserve_vcc 0
		.amdhsa_reserve_flat_scratch 0
		.amdhsa_float_round_mode_32 0
		.amdhsa_float_round_mode_16_64 0
		.amdhsa_float_denorm_mode_32 3
		.amdhsa_float_denorm_mode_16_64 3
		.amdhsa_dx10_clamp 1
		.amdhsa_ieee_mode 1
		.amdhsa_fp16_overflow 0
		.amdhsa_tg_split 0
		.amdhsa_exception_fp_ieee_invalid_op 0
		.amdhsa_exception_fp_denorm_src 0
		.amdhsa_exception_fp_ieee_div_zero 0
		.amdhsa_exception_fp_ieee_overflow 0
		.amdhsa_exception_fp_ieee_underflow 0
		.amdhsa_exception_fp_ieee_inexact 0
		.amdhsa_exception_int_div_zero 0
	.end_amdhsa_kernel
	.section	.text._ZN7rocprim17ROCPRIM_400000_NS6detail17trampoline_kernelINS0_14default_configENS1_38merge_sort_block_merge_config_selectorIyNS0_10empty_typeEEEZZNS1_27merge_sort_block_merge_implIS3_N6thrust23THRUST_200600_302600_NS6detail15normal_iteratorINS9_10device_ptrIyEEEEPS5_jNS1_19radix_merge_compareILb0ELb0EyNS0_19identity_decomposerEEEEE10hipError_tT0_T1_T2_jT3_P12ihipStream_tbPNSt15iterator_traitsISK_E10value_typeEPNSQ_ISL_E10value_typeEPSM_NS1_7vsmem_tEENKUlT_SK_SL_SM_E_clIPySE_SF_SF_EESJ_SZ_SK_SL_SM_EUlSZ_E1_NS1_11comp_targetILNS1_3genE0ELNS1_11target_archE4294967295ELNS1_3gpuE0ELNS1_3repE0EEENS1_36merge_oddeven_config_static_selectorELNS0_4arch9wavefront6targetE1EEEvSL_,"axG",@progbits,_ZN7rocprim17ROCPRIM_400000_NS6detail17trampoline_kernelINS0_14default_configENS1_38merge_sort_block_merge_config_selectorIyNS0_10empty_typeEEEZZNS1_27merge_sort_block_merge_implIS3_N6thrust23THRUST_200600_302600_NS6detail15normal_iteratorINS9_10device_ptrIyEEEEPS5_jNS1_19radix_merge_compareILb0ELb0EyNS0_19identity_decomposerEEEEE10hipError_tT0_T1_T2_jT3_P12ihipStream_tbPNSt15iterator_traitsISK_E10value_typeEPNSQ_ISL_E10value_typeEPSM_NS1_7vsmem_tEENKUlT_SK_SL_SM_E_clIPySE_SF_SF_EESJ_SZ_SK_SL_SM_EUlSZ_E1_NS1_11comp_targetILNS1_3genE0ELNS1_11target_archE4294967295ELNS1_3gpuE0ELNS1_3repE0EEENS1_36merge_oddeven_config_static_selectorELNS0_4arch9wavefront6targetE1EEEvSL_,comdat
.Lfunc_end740:
	.size	_ZN7rocprim17ROCPRIM_400000_NS6detail17trampoline_kernelINS0_14default_configENS1_38merge_sort_block_merge_config_selectorIyNS0_10empty_typeEEEZZNS1_27merge_sort_block_merge_implIS3_N6thrust23THRUST_200600_302600_NS6detail15normal_iteratorINS9_10device_ptrIyEEEEPS5_jNS1_19radix_merge_compareILb0ELb0EyNS0_19identity_decomposerEEEEE10hipError_tT0_T1_T2_jT3_P12ihipStream_tbPNSt15iterator_traitsISK_E10value_typeEPNSQ_ISL_E10value_typeEPSM_NS1_7vsmem_tEENKUlT_SK_SL_SM_E_clIPySE_SF_SF_EESJ_SZ_SK_SL_SM_EUlSZ_E1_NS1_11comp_targetILNS1_3genE0ELNS1_11target_archE4294967295ELNS1_3gpuE0ELNS1_3repE0EEENS1_36merge_oddeven_config_static_selectorELNS0_4arch9wavefront6targetE1EEEvSL_, .Lfunc_end740-_ZN7rocprim17ROCPRIM_400000_NS6detail17trampoline_kernelINS0_14default_configENS1_38merge_sort_block_merge_config_selectorIyNS0_10empty_typeEEEZZNS1_27merge_sort_block_merge_implIS3_N6thrust23THRUST_200600_302600_NS6detail15normal_iteratorINS9_10device_ptrIyEEEEPS5_jNS1_19radix_merge_compareILb0ELb0EyNS0_19identity_decomposerEEEEE10hipError_tT0_T1_T2_jT3_P12ihipStream_tbPNSt15iterator_traitsISK_E10value_typeEPNSQ_ISL_E10value_typeEPSM_NS1_7vsmem_tEENKUlT_SK_SL_SM_E_clIPySE_SF_SF_EESJ_SZ_SK_SL_SM_EUlSZ_E1_NS1_11comp_targetILNS1_3genE0ELNS1_11target_archE4294967295ELNS1_3gpuE0ELNS1_3repE0EEENS1_36merge_oddeven_config_static_selectorELNS0_4arch9wavefront6targetE1EEEvSL_
                                        ; -- End function
	.section	.AMDGPU.csdata,"",@progbits
; Kernel info:
; codeLenInByte = 0
; NumSgprs: 4
; NumVgprs: 0
; NumAgprs: 0
; TotalNumVgprs: 0
; ScratchSize: 0
; MemoryBound: 0
; FloatMode: 240
; IeeeMode: 1
; LDSByteSize: 0 bytes/workgroup (compile time only)
; SGPRBlocks: 0
; VGPRBlocks: 0
; NumSGPRsForWavesPerEU: 4
; NumVGPRsForWavesPerEU: 1
; AccumOffset: 4
; Occupancy: 8
; WaveLimiterHint : 0
; COMPUTE_PGM_RSRC2:SCRATCH_EN: 0
; COMPUTE_PGM_RSRC2:USER_SGPR: 6
; COMPUTE_PGM_RSRC2:TRAP_HANDLER: 0
; COMPUTE_PGM_RSRC2:TGID_X_EN: 1
; COMPUTE_PGM_RSRC2:TGID_Y_EN: 0
; COMPUTE_PGM_RSRC2:TGID_Z_EN: 0
; COMPUTE_PGM_RSRC2:TIDIG_COMP_CNT: 0
; COMPUTE_PGM_RSRC3_GFX90A:ACCUM_OFFSET: 0
; COMPUTE_PGM_RSRC3_GFX90A:TG_SPLIT: 0
	.section	.text._ZN7rocprim17ROCPRIM_400000_NS6detail17trampoline_kernelINS0_14default_configENS1_38merge_sort_block_merge_config_selectorIyNS0_10empty_typeEEEZZNS1_27merge_sort_block_merge_implIS3_N6thrust23THRUST_200600_302600_NS6detail15normal_iteratorINS9_10device_ptrIyEEEEPS5_jNS1_19radix_merge_compareILb0ELb0EyNS0_19identity_decomposerEEEEE10hipError_tT0_T1_T2_jT3_P12ihipStream_tbPNSt15iterator_traitsISK_E10value_typeEPNSQ_ISL_E10value_typeEPSM_NS1_7vsmem_tEENKUlT_SK_SL_SM_E_clIPySE_SF_SF_EESJ_SZ_SK_SL_SM_EUlSZ_E1_NS1_11comp_targetILNS1_3genE10ELNS1_11target_archE1201ELNS1_3gpuE5ELNS1_3repE0EEENS1_36merge_oddeven_config_static_selectorELNS0_4arch9wavefront6targetE1EEEvSL_,"axG",@progbits,_ZN7rocprim17ROCPRIM_400000_NS6detail17trampoline_kernelINS0_14default_configENS1_38merge_sort_block_merge_config_selectorIyNS0_10empty_typeEEEZZNS1_27merge_sort_block_merge_implIS3_N6thrust23THRUST_200600_302600_NS6detail15normal_iteratorINS9_10device_ptrIyEEEEPS5_jNS1_19radix_merge_compareILb0ELb0EyNS0_19identity_decomposerEEEEE10hipError_tT0_T1_T2_jT3_P12ihipStream_tbPNSt15iterator_traitsISK_E10value_typeEPNSQ_ISL_E10value_typeEPSM_NS1_7vsmem_tEENKUlT_SK_SL_SM_E_clIPySE_SF_SF_EESJ_SZ_SK_SL_SM_EUlSZ_E1_NS1_11comp_targetILNS1_3genE10ELNS1_11target_archE1201ELNS1_3gpuE5ELNS1_3repE0EEENS1_36merge_oddeven_config_static_selectorELNS0_4arch9wavefront6targetE1EEEvSL_,comdat
	.protected	_ZN7rocprim17ROCPRIM_400000_NS6detail17trampoline_kernelINS0_14default_configENS1_38merge_sort_block_merge_config_selectorIyNS0_10empty_typeEEEZZNS1_27merge_sort_block_merge_implIS3_N6thrust23THRUST_200600_302600_NS6detail15normal_iteratorINS9_10device_ptrIyEEEEPS5_jNS1_19radix_merge_compareILb0ELb0EyNS0_19identity_decomposerEEEEE10hipError_tT0_T1_T2_jT3_P12ihipStream_tbPNSt15iterator_traitsISK_E10value_typeEPNSQ_ISL_E10value_typeEPSM_NS1_7vsmem_tEENKUlT_SK_SL_SM_E_clIPySE_SF_SF_EESJ_SZ_SK_SL_SM_EUlSZ_E1_NS1_11comp_targetILNS1_3genE10ELNS1_11target_archE1201ELNS1_3gpuE5ELNS1_3repE0EEENS1_36merge_oddeven_config_static_selectorELNS0_4arch9wavefront6targetE1EEEvSL_ ; -- Begin function _ZN7rocprim17ROCPRIM_400000_NS6detail17trampoline_kernelINS0_14default_configENS1_38merge_sort_block_merge_config_selectorIyNS0_10empty_typeEEEZZNS1_27merge_sort_block_merge_implIS3_N6thrust23THRUST_200600_302600_NS6detail15normal_iteratorINS9_10device_ptrIyEEEEPS5_jNS1_19radix_merge_compareILb0ELb0EyNS0_19identity_decomposerEEEEE10hipError_tT0_T1_T2_jT3_P12ihipStream_tbPNSt15iterator_traitsISK_E10value_typeEPNSQ_ISL_E10value_typeEPSM_NS1_7vsmem_tEENKUlT_SK_SL_SM_E_clIPySE_SF_SF_EESJ_SZ_SK_SL_SM_EUlSZ_E1_NS1_11comp_targetILNS1_3genE10ELNS1_11target_archE1201ELNS1_3gpuE5ELNS1_3repE0EEENS1_36merge_oddeven_config_static_selectorELNS0_4arch9wavefront6targetE1EEEvSL_
	.globl	_ZN7rocprim17ROCPRIM_400000_NS6detail17trampoline_kernelINS0_14default_configENS1_38merge_sort_block_merge_config_selectorIyNS0_10empty_typeEEEZZNS1_27merge_sort_block_merge_implIS3_N6thrust23THRUST_200600_302600_NS6detail15normal_iteratorINS9_10device_ptrIyEEEEPS5_jNS1_19radix_merge_compareILb0ELb0EyNS0_19identity_decomposerEEEEE10hipError_tT0_T1_T2_jT3_P12ihipStream_tbPNSt15iterator_traitsISK_E10value_typeEPNSQ_ISL_E10value_typeEPSM_NS1_7vsmem_tEENKUlT_SK_SL_SM_E_clIPySE_SF_SF_EESJ_SZ_SK_SL_SM_EUlSZ_E1_NS1_11comp_targetILNS1_3genE10ELNS1_11target_archE1201ELNS1_3gpuE5ELNS1_3repE0EEENS1_36merge_oddeven_config_static_selectorELNS0_4arch9wavefront6targetE1EEEvSL_
	.p2align	8
	.type	_ZN7rocprim17ROCPRIM_400000_NS6detail17trampoline_kernelINS0_14default_configENS1_38merge_sort_block_merge_config_selectorIyNS0_10empty_typeEEEZZNS1_27merge_sort_block_merge_implIS3_N6thrust23THRUST_200600_302600_NS6detail15normal_iteratorINS9_10device_ptrIyEEEEPS5_jNS1_19radix_merge_compareILb0ELb0EyNS0_19identity_decomposerEEEEE10hipError_tT0_T1_T2_jT3_P12ihipStream_tbPNSt15iterator_traitsISK_E10value_typeEPNSQ_ISL_E10value_typeEPSM_NS1_7vsmem_tEENKUlT_SK_SL_SM_E_clIPySE_SF_SF_EESJ_SZ_SK_SL_SM_EUlSZ_E1_NS1_11comp_targetILNS1_3genE10ELNS1_11target_archE1201ELNS1_3gpuE5ELNS1_3repE0EEENS1_36merge_oddeven_config_static_selectorELNS0_4arch9wavefront6targetE1EEEvSL_,@function
_ZN7rocprim17ROCPRIM_400000_NS6detail17trampoline_kernelINS0_14default_configENS1_38merge_sort_block_merge_config_selectorIyNS0_10empty_typeEEEZZNS1_27merge_sort_block_merge_implIS3_N6thrust23THRUST_200600_302600_NS6detail15normal_iteratorINS9_10device_ptrIyEEEEPS5_jNS1_19radix_merge_compareILb0ELb0EyNS0_19identity_decomposerEEEEE10hipError_tT0_T1_T2_jT3_P12ihipStream_tbPNSt15iterator_traitsISK_E10value_typeEPNSQ_ISL_E10value_typeEPSM_NS1_7vsmem_tEENKUlT_SK_SL_SM_E_clIPySE_SF_SF_EESJ_SZ_SK_SL_SM_EUlSZ_E1_NS1_11comp_targetILNS1_3genE10ELNS1_11target_archE1201ELNS1_3gpuE5ELNS1_3repE0EEENS1_36merge_oddeven_config_static_selectorELNS0_4arch9wavefront6targetE1EEEvSL_: ; @_ZN7rocprim17ROCPRIM_400000_NS6detail17trampoline_kernelINS0_14default_configENS1_38merge_sort_block_merge_config_selectorIyNS0_10empty_typeEEEZZNS1_27merge_sort_block_merge_implIS3_N6thrust23THRUST_200600_302600_NS6detail15normal_iteratorINS9_10device_ptrIyEEEEPS5_jNS1_19radix_merge_compareILb0ELb0EyNS0_19identity_decomposerEEEEE10hipError_tT0_T1_T2_jT3_P12ihipStream_tbPNSt15iterator_traitsISK_E10value_typeEPNSQ_ISL_E10value_typeEPSM_NS1_7vsmem_tEENKUlT_SK_SL_SM_E_clIPySE_SF_SF_EESJ_SZ_SK_SL_SM_EUlSZ_E1_NS1_11comp_targetILNS1_3genE10ELNS1_11target_archE1201ELNS1_3gpuE5ELNS1_3repE0EEENS1_36merge_oddeven_config_static_selectorELNS0_4arch9wavefront6targetE1EEEvSL_
; %bb.0:
	.section	.rodata,"a",@progbits
	.p2align	6, 0x0
	.amdhsa_kernel _ZN7rocprim17ROCPRIM_400000_NS6detail17trampoline_kernelINS0_14default_configENS1_38merge_sort_block_merge_config_selectorIyNS0_10empty_typeEEEZZNS1_27merge_sort_block_merge_implIS3_N6thrust23THRUST_200600_302600_NS6detail15normal_iteratorINS9_10device_ptrIyEEEEPS5_jNS1_19radix_merge_compareILb0ELb0EyNS0_19identity_decomposerEEEEE10hipError_tT0_T1_T2_jT3_P12ihipStream_tbPNSt15iterator_traitsISK_E10value_typeEPNSQ_ISL_E10value_typeEPSM_NS1_7vsmem_tEENKUlT_SK_SL_SM_E_clIPySE_SF_SF_EESJ_SZ_SK_SL_SM_EUlSZ_E1_NS1_11comp_targetILNS1_3genE10ELNS1_11target_archE1201ELNS1_3gpuE5ELNS1_3repE0EEENS1_36merge_oddeven_config_static_selectorELNS0_4arch9wavefront6targetE1EEEvSL_
		.amdhsa_group_segment_fixed_size 0
		.amdhsa_private_segment_fixed_size 0
		.amdhsa_kernarg_size 48
		.amdhsa_user_sgpr_count 6
		.amdhsa_user_sgpr_private_segment_buffer 1
		.amdhsa_user_sgpr_dispatch_ptr 0
		.amdhsa_user_sgpr_queue_ptr 0
		.amdhsa_user_sgpr_kernarg_segment_ptr 1
		.amdhsa_user_sgpr_dispatch_id 0
		.amdhsa_user_sgpr_flat_scratch_init 0
		.amdhsa_user_sgpr_kernarg_preload_length 0
		.amdhsa_user_sgpr_kernarg_preload_offset 0
		.amdhsa_user_sgpr_private_segment_size 0
		.amdhsa_uses_dynamic_stack 0
		.amdhsa_system_sgpr_private_segment_wavefront_offset 0
		.amdhsa_system_sgpr_workgroup_id_x 1
		.amdhsa_system_sgpr_workgroup_id_y 0
		.amdhsa_system_sgpr_workgroup_id_z 0
		.amdhsa_system_sgpr_workgroup_info 0
		.amdhsa_system_vgpr_workitem_id 0
		.amdhsa_next_free_vgpr 1
		.amdhsa_next_free_sgpr 0
		.amdhsa_accum_offset 4
		.amdhsa_reserve_vcc 0
		.amdhsa_reserve_flat_scratch 0
		.amdhsa_float_round_mode_32 0
		.amdhsa_float_round_mode_16_64 0
		.amdhsa_float_denorm_mode_32 3
		.amdhsa_float_denorm_mode_16_64 3
		.amdhsa_dx10_clamp 1
		.amdhsa_ieee_mode 1
		.amdhsa_fp16_overflow 0
		.amdhsa_tg_split 0
		.amdhsa_exception_fp_ieee_invalid_op 0
		.amdhsa_exception_fp_denorm_src 0
		.amdhsa_exception_fp_ieee_div_zero 0
		.amdhsa_exception_fp_ieee_overflow 0
		.amdhsa_exception_fp_ieee_underflow 0
		.amdhsa_exception_fp_ieee_inexact 0
		.amdhsa_exception_int_div_zero 0
	.end_amdhsa_kernel
	.section	.text._ZN7rocprim17ROCPRIM_400000_NS6detail17trampoline_kernelINS0_14default_configENS1_38merge_sort_block_merge_config_selectorIyNS0_10empty_typeEEEZZNS1_27merge_sort_block_merge_implIS3_N6thrust23THRUST_200600_302600_NS6detail15normal_iteratorINS9_10device_ptrIyEEEEPS5_jNS1_19radix_merge_compareILb0ELb0EyNS0_19identity_decomposerEEEEE10hipError_tT0_T1_T2_jT3_P12ihipStream_tbPNSt15iterator_traitsISK_E10value_typeEPNSQ_ISL_E10value_typeEPSM_NS1_7vsmem_tEENKUlT_SK_SL_SM_E_clIPySE_SF_SF_EESJ_SZ_SK_SL_SM_EUlSZ_E1_NS1_11comp_targetILNS1_3genE10ELNS1_11target_archE1201ELNS1_3gpuE5ELNS1_3repE0EEENS1_36merge_oddeven_config_static_selectorELNS0_4arch9wavefront6targetE1EEEvSL_,"axG",@progbits,_ZN7rocprim17ROCPRIM_400000_NS6detail17trampoline_kernelINS0_14default_configENS1_38merge_sort_block_merge_config_selectorIyNS0_10empty_typeEEEZZNS1_27merge_sort_block_merge_implIS3_N6thrust23THRUST_200600_302600_NS6detail15normal_iteratorINS9_10device_ptrIyEEEEPS5_jNS1_19radix_merge_compareILb0ELb0EyNS0_19identity_decomposerEEEEE10hipError_tT0_T1_T2_jT3_P12ihipStream_tbPNSt15iterator_traitsISK_E10value_typeEPNSQ_ISL_E10value_typeEPSM_NS1_7vsmem_tEENKUlT_SK_SL_SM_E_clIPySE_SF_SF_EESJ_SZ_SK_SL_SM_EUlSZ_E1_NS1_11comp_targetILNS1_3genE10ELNS1_11target_archE1201ELNS1_3gpuE5ELNS1_3repE0EEENS1_36merge_oddeven_config_static_selectorELNS0_4arch9wavefront6targetE1EEEvSL_,comdat
.Lfunc_end741:
	.size	_ZN7rocprim17ROCPRIM_400000_NS6detail17trampoline_kernelINS0_14default_configENS1_38merge_sort_block_merge_config_selectorIyNS0_10empty_typeEEEZZNS1_27merge_sort_block_merge_implIS3_N6thrust23THRUST_200600_302600_NS6detail15normal_iteratorINS9_10device_ptrIyEEEEPS5_jNS1_19radix_merge_compareILb0ELb0EyNS0_19identity_decomposerEEEEE10hipError_tT0_T1_T2_jT3_P12ihipStream_tbPNSt15iterator_traitsISK_E10value_typeEPNSQ_ISL_E10value_typeEPSM_NS1_7vsmem_tEENKUlT_SK_SL_SM_E_clIPySE_SF_SF_EESJ_SZ_SK_SL_SM_EUlSZ_E1_NS1_11comp_targetILNS1_3genE10ELNS1_11target_archE1201ELNS1_3gpuE5ELNS1_3repE0EEENS1_36merge_oddeven_config_static_selectorELNS0_4arch9wavefront6targetE1EEEvSL_, .Lfunc_end741-_ZN7rocprim17ROCPRIM_400000_NS6detail17trampoline_kernelINS0_14default_configENS1_38merge_sort_block_merge_config_selectorIyNS0_10empty_typeEEEZZNS1_27merge_sort_block_merge_implIS3_N6thrust23THRUST_200600_302600_NS6detail15normal_iteratorINS9_10device_ptrIyEEEEPS5_jNS1_19radix_merge_compareILb0ELb0EyNS0_19identity_decomposerEEEEE10hipError_tT0_T1_T2_jT3_P12ihipStream_tbPNSt15iterator_traitsISK_E10value_typeEPNSQ_ISL_E10value_typeEPSM_NS1_7vsmem_tEENKUlT_SK_SL_SM_E_clIPySE_SF_SF_EESJ_SZ_SK_SL_SM_EUlSZ_E1_NS1_11comp_targetILNS1_3genE10ELNS1_11target_archE1201ELNS1_3gpuE5ELNS1_3repE0EEENS1_36merge_oddeven_config_static_selectorELNS0_4arch9wavefront6targetE1EEEvSL_
                                        ; -- End function
	.section	.AMDGPU.csdata,"",@progbits
; Kernel info:
; codeLenInByte = 0
; NumSgprs: 4
; NumVgprs: 0
; NumAgprs: 0
; TotalNumVgprs: 0
; ScratchSize: 0
; MemoryBound: 0
; FloatMode: 240
; IeeeMode: 1
; LDSByteSize: 0 bytes/workgroup (compile time only)
; SGPRBlocks: 0
; VGPRBlocks: 0
; NumSGPRsForWavesPerEU: 4
; NumVGPRsForWavesPerEU: 1
; AccumOffset: 4
; Occupancy: 8
; WaveLimiterHint : 0
; COMPUTE_PGM_RSRC2:SCRATCH_EN: 0
; COMPUTE_PGM_RSRC2:USER_SGPR: 6
; COMPUTE_PGM_RSRC2:TRAP_HANDLER: 0
; COMPUTE_PGM_RSRC2:TGID_X_EN: 1
; COMPUTE_PGM_RSRC2:TGID_Y_EN: 0
; COMPUTE_PGM_RSRC2:TGID_Z_EN: 0
; COMPUTE_PGM_RSRC2:TIDIG_COMP_CNT: 0
; COMPUTE_PGM_RSRC3_GFX90A:ACCUM_OFFSET: 0
; COMPUTE_PGM_RSRC3_GFX90A:TG_SPLIT: 0
	.section	.text._ZN7rocprim17ROCPRIM_400000_NS6detail17trampoline_kernelINS0_14default_configENS1_38merge_sort_block_merge_config_selectorIyNS0_10empty_typeEEEZZNS1_27merge_sort_block_merge_implIS3_N6thrust23THRUST_200600_302600_NS6detail15normal_iteratorINS9_10device_ptrIyEEEEPS5_jNS1_19radix_merge_compareILb0ELb0EyNS0_19identity_decomposerEEEEE10hipError_tT0_T1_T2_jT3_P12ihipStream_tbPNSt15iterator_traitsISK_E10value_typeEPNSQ_ISL_E10value_typeEPSM_NS1_7vsmem_tEENKUlT_SK_SL_SM_E_clIPySE_SF_SF_EESJ_SZ_SK_SL_SM_EUlSZ_E1_NS1_11comp_targetILNS1_3genE5ELNS1_11target_archE942ELNS1_3gpuE9ELNS1_3repE0EEENS1_36merge_oddeven_config_static_selectorELNS0_4arch9wavefront6targetE1EEEvSL_,"axG",@progbits,_ZN7rocprim17ROCPRIM_400000_NS6detail17trampoline_kernelINS0_14default_configENS1_38merge_sort_block_merge_config_selectorIyNS0_10empty_typeEEEZZNS1_27merge_sort_block_merge_implIS3_N6thrust23THRUST_200600_302600_NS6detail15normal_iteratorINS9_10device_ptrIyEEEEPS5_jNS1_19radix_merge_compareILb0ELb0EyNS0_19identity_decomposerEEEEE10hipError_tT0_T1_T2_jT3_P12ihipStream_tbPNSt15iterator_traitsISK_E10value_typeEPNSQ_ISL_E10value_typeEPSM_NS1_7vsmem_tEENKUlT_SK_SL_SM_E_clIPySE_SF_SF_EESJ_SZ_SK_SL_SM_EUlSZ_E1_NS1_11comp_targetILNS1_3genE5ELNS1_11target_archE942ELNS1_3gpuE9ELNS1_3repE0EEENS1_36merge_oddeven_config_static_selectorELNS0_4arch9wavefront6targetE1EEEvSL_,comdat
	.protected	_ZN7rocprim17ROCPRIM_400000_NS6detail17trampoline_kernelINS0_14default_configENS1_38merge_sort_block_merge_config_selectorIyNS0_10empty_typeEEEZZNS1_27merge_sort_block_merge_implIS3_N6thrust23THRUST_200600_302600_NS6detail15normal_iteratorINS9_10device_ptrIyEEEEPS5_jNS1_19radix_merge_compareILb0ELb0EyNS0_19identity_decomposerEEEEE10hipError_tT0_T1_T2_jT3_P12ihipStream_tbPNSt15iterator_traitsISK_E10value_typeEPNSQ_ISL_E10value_typeEPSM_NS1_7vsmem_tEENKUlT_SK_SL_SM_E_clIPySE_SF_SF_EESJ_SZ_SK_SL_SM_EUlSZ_E1_NS1_11comp_targetILNS1_3genE5ELNS1_11target_archE942ELNS1_3gpuE9ELNS1_3repE0EEENS1_36merge_oddeven_config_static_selectorELNS0_4arch9wavefront6targetE1EEEvSL_ ; -- Begin function _ZN7rocprim17ROCPRIM_400000_NS6detail17trampoline_kernelINS0_14default_configENS1_38merge_sort_block_merge_config_selectorIyNS0_10empty_typeEEEZZNS1_27merge_sort_block_merge_implIS3_N6thrust23THRUST_200600_302600_NS6detail15normal_iteratorINS9_10device_ptrIyEEEEPS5_jNS1_19radix_merge_compareILb0ELb0EyNS0_19identity_decomposerEEEEE10hipError_tT0_T1_T2_jT3_P12ihipStream_tbPNSt15iterator_traitsISK_E10value_typeEPNSQ_ISL_E10value_typeEPSM_NS1_7vsmem_tEENKUlT_SK_SL_SM_E_clIPySE_SF_SF_EESJ_SZ_SK_SL_SM_EUlSZ_E1_NS1_11comp_targetILNS1_3genE5ELNS1_11target_archE942ELNS1_3gpuE9ELNS1_3repE0EEENS1_36merge_oddeven_config_static_selectorELNS0_4arch9wavefront6targetE1EEEvSL_
	.globl	_ZN7rocprim17ROCPRIM_400000_NS6detail17trampoline_kernelINS0_14default_configENS1_38merge_sort_block_merge_config_selectorIyNS0_10empty_typeEEEZZNS1_27merge_sort_block_merge_implIS3_N6thrust23THRUST_200600_302600_NS6detail15normal_iteratorINS9_10device_ptrIyEEEEPS5_jNS1_19radix_merge_compareILb0ELb0EyNS0_19identity_decomposerEEEEE10hipError_tT0_T1_T2_jT3_P12ihipStream_tbPNSt15iterator_traitsISK_E10value_typeEPNSQ_ISL_E10value_typeEPSM_NS1_7vsmem_tEENKUlT_SK_SL_SM_E_clIPySE_SF_SF_EESJ_SZ_SK_SL_SM_EUlSZ_E1_NS1_11comp_targetILNS1_3genE5ELNS1_11target_archE942ELNS1_3gpuE9ELNS1_3repE0EEENS1_36merge_oddeven_config_static_selectorELNS0_4arch9wavefront6targetE1EEEvSL_
	.p2align	8
	.type	_ZN7rocprim17ROCPRIM_400000_NS6detail17trampoline_kernelINS0_14default_configENS1_38merge_sort_block_merge_config_selectorIyNS0_10empty_typeEEEZZNS1_27merge_sort_block_merge_implIS3_N6thrust23THRUST_200600_302600_NS6detail15normal_iteratorINS9_10device_ptrIyEEEEPS5_jNS1_19radix_merge_compareILb0ELb0EyNS0_19identity_decomposerEEEEE10hipError_tT0_T1_T2_jT3_P12ihipStream_tbPNSt15iterator_traitsISK_E10value_typeEPNSQ_ISL_E10value_typeEPSM_NS1_7vsmem_tEENKUlT_SK_SL_SM_E_clIPySE_SF_SF_EESJ_SZ_SK_SL_SM_EUlSZ_E1_NS1_11comp_targetILNS1_3genE5ELNS1_11target_archE942ELNS1_3gpuE9ELNS1_3repE0EEENS1_36merge_oddeven_config_static_selectorELNS0_4arch9wavefront6targetE1EEEvSL_,@function
_ZN7rocprim17ROCPRIM_400000_NS6detail17trampoline_kernelINS0_14default_configENS1_38merge_sort_block_merge_config_selectorIyNS0_10empty_typeEEEZZNS1_27merge_sort_block_merge_implIS3_N6thrust23THRUST_200600_302600_NS6detail15normal_iteratorINS9_10device_ptrIyEEEEPS5_jNS1_19radix_merge_compareILb0ELb0EyNS0_19identity_decomposerEEEEE10hipError_tT0_T1_T2_jT3_P12ihipStream_tbPNSt15iterator_traitsISK_E10value_typeEPNSQ_ISL_E10value_typeEPSM_NS1_7vsmem_tEENKUlT_SK_SL_SM_E_clIPySE_SF_SF_EESJ_SZ_SK_SL_SM_EUlSZ_E1_NS1_11comp_targetILNS1_3genE5ELNS1_11target_archE942ELNS1_3gpuE9ELNS1_3repE0EEENS1_36merge_oddeven_config_static_selectorELNS0_4arch9wavefront6targetE1EEEvSL_: ; @_ZN7rocprim17ROCPRIM_400000_NS6detail17trampoline_kernelINS0_14default_configENS1_38merge_sort_block_merge_config_selectorIyNS0_10empty_typeEEEZZNS1_27merge_sort_block_merge_implIS3_N6thrust23THRUST_200600_302600_NS6detail15normal_iteratorINS9_10device_ptrIyEEEEPS5_jNS1_19radix_merge_compareILb0ELb0EyNS0_19identity_decomposerEEEEE10hipError_tT0_T1_T2_jT3_P12ihipStream_tbPNSt15iterator_traitsISK_E10value_typeEPNSQ_ISL_E10value_typeEPSM_NS1_7vsmem_tEENKUlT_SK_SL_SM_E_clIPySE_SF_SF_EESJ_SZ_SK_SL_SM_EUlSZ_E1_NS1_11comp_targetILNS1_3genE5ELNS1_11target_archE942ELNS1_3gpuE9ELNS1_3repE0EEENS1_36merge_oddeven_config_static_selectorELNS0_4arch9wavefront6targetE1EEEvSL_
; %bb.0:
	.section	.rodata,"a",@progbits
	.p2align	6, 0x0
	.amdhsa_kernel _ZN7rocprim17ROCPRIM_400000_NS6detail17trampoline_kernelINS0_14default_configENS1_38merge_sort_block_merge_config_selectorIyNS0_10empty_typeEEEZZNS1_27merge_sort_block_merge_implIS3_N6thrust23THRUST_200600_302600_NS6detail15normal_iteratorINS9_10device_ptrIyEEEEPS5_jNS1_19radix_merge_compareILb0ELb0EyNS0_19identity_decomposerEEEEE10hipError_tT0_T1_T2_jT3_P12ihipStream_tbPNSt15iterator_traitsISK_E10value_typeEPNSQ_ISL_E10value_typeEPSM_NS1_7vsmem_tEENKUlT_SK_SL_SM_E_clIPySE_SF_SF_EESJ_SZ_SK_SL_SM_EUlSZ_E1_NS1_11comp_targetILNS1_3genE5ELNS1_11target_archE942ELNS1_3gpuE9ELNS1_3repE0EEENS1_36merge_oddeven_config_static_selectorELNS0_4arch9wavefront6targetE1EEEvSL_
		.amdhsa_group_segment_fixed_size 0
		.amdhsa_private_segment_fixed_size 0
		.amdhsa_kernarg_size 48
		.amdhsa_user_sgpr_count 6
		.amdhsa_user_sgpr_private_segment_buffer 1
		.amdhsa_user_sgpr_dispatch_ptr 0
		.amdhsa_user_sgpr_queue_ptr 0
		.amdhsa_user_sgpr_kernarg_segment_ptr 1
		.amdhsa_user_sgpr_dispatch_id 0
		.amdhsa_user_sgpr_flat_scratch_init 0
		.amdhsa_user_sgpr_kernarg_preload_length 0
		.amdhsa_user_sgpr_kernarg_preload_offset 0
		.amdhsa_user_sgpr_private_segment_size 0
		.amdhsa_uses_dynamic_stack 0
		.amdhsa_system_sgpr_private_segment_wavefront_offset 0
		.amdhsa_system_sgpr_workgroup_id_x 1
		.amdhsa_system_sgpr_workgroup_id_y 0
		.amdhsa_system_sgpr_workgroup_id_z 0
		.amdhsa_system_sgpr_workgroup_info 0
		.amdhsa_system_vgpr_workitem_id 0
		.amdhsa_next_free_vgpr 1
		.amdhsa_next_free_sgpr 0
		.amdhsa_accum_offset 4
		.amdhsa_reserve_vcc 0
		.amdhsa_reserve_flat_scratch 0
		.amdhsa_float_round_mode_32 0
		.amdhsa_float_round_mode_16_64 0
		.amdhsa_float_denorm_mode_32 3
		.amdhsa_float_denorm_mode_16_64 3
		.amdhsa_dx10_clamp 1
		.amdhsa_ieee_mode 1
		.amdhsa_fp16_overflow 0
		.amdhsa_tg_split 0
		.amdhsa_exception_fp_ieee_invalid_op 0
		.amdhsa_exception_fp_denorm_src 0
		.amdhsa_exception_fp_ieee_div_zero 0
		.amdhsa_exception_fp_ieee_overflow 0
		.amdhsa_exception_fp_ieee_underflow 0
		.amdhsa_exception_fp_ieee_inexact 0
		.amdhsa_exception_int_div_zero 0
	.end_amdhsa_kernel
	.section	.text._ZN7rocprim17ROCPRIM_400000_NS6detail17trampoline_kernelINS0_14default_configENS1_38merge_sort_block_merge_config_selectorIyNS0_10empty_typeEEEZZNS1_27merge_sort_block_merge_implIS3_N6thrust23THRUST_200600_302600_NS6detail15normal_iteratorINS9_10device_ptrIyEEEEPS5_jNS1_19radix_merge_compareILb0ELb0EyNS0_19identity_decomposerEEEEE10hipError_tT0_T1_T2_jT3_P12ihipStream_tbPNSt15iterator_traitsISK_E10value_typeEPNSQ_ISL_E10value_typeEPSM_NS1_7vsmem_tEENKUlT_SK_SL_SM_E_clIPySE_SF_SF_EESJ_SZ_SK_SL_SM_EUlSZ_E1_NS1_11comp_targetILNS1_3genE5ELNS1_11target_archE942ELNS1_3gpuE9ELNS1_3repE0EEENS1_36merge_oddeven_config_static_selectorELNS0_4arch9wavefront6targetE1EEEvSL_,"axG",@progbits,_ZN7rocprim17ROCPRIM_400000_NS6detail17trampoline_kernelINS0_14default_configENS1_38merge_sort_block_merge_config_selectorIyNS0_10empty_typeEEEZZNS1_27merge_sort_block_merge_implIS3_N6thrust23THRUST_200600_302600_NS6detail15normal_iteratorINS9_10device_ptrIyEEEEPS5_jNS1_19radix_merge_compareILb0ELb0EyNS0_19identity_decomposerEEEEE10hipError_tT0_T1_T2_jT3_P12ihipStream_tbPNSt15iterator_traitsISK_E10value_typeEPNSQ_ISL_E10value_typeEPSM_NS1_7vsmem_tEENKUlT_SK_SL_SM_E_clIPySE_SF_SF_EESJ_SZ_SK_SL_SM_EUlSZ_E1_NS1_11comp_targetILNS1_3genE5ELNS1_11target_archE942ELNS1_3gpuE9ELNS1_3repE0EEENS1_36merge_oddeven_config_static_selectorELNS0_4arch9wavefront6targetE1EEEvSL_,comdat
.Lfunc_end742:
	.size	_ZN7rocprim17ROCPRIM_400000_NS6detail17trampoline_kernelINS0_14default_configENS1_38merge_sort_block_merge_config_selectorIyNS0_10empty_typeEEEZZNS1_27merge_sort_block_merge_implIS3_N6thrust23THRUST_200600_302600_NS6detail15normal_iteratorINS9_10device_ptrIyEEEEPS5_jNS1_19radix_merge_compareILb0ELb0EyNS0_19identity_decomposerEEEEE10hipError_tT0_T1_T2_jT3_P12ihipStream_tbPNSt15iterator_traitsISK_E10value_typeEPNSQ_ISL_E10value_typeEPSM_NS1_7vsmem_tEENKUlT_SK_SL_SM_E_clIPySE_SF_SF_EESJ_SZ_SK_SL_SM_EUlSZ_E1_NS1_11comp_targetILNS1_3genE5ELNS1_11target_archE942ELNS1_3gpuE9ELNS1_3repE0EEENS1_36merge_oddeven_config_static_selectorELNS0_4arch9wavefront6targetE1EEEvSL_, .Lfunc_end742-_ZN7rocprim17ROCPRIM_400000_NS6detail17trampoline_kernelINS0_14default_configENS1_38merge_sort_block_merge_config_selectorIyNS0_10empty_typeEEEZZNS1_27merge_sort_block_merge_implIS3_N6thrust23THRUST_200600_302600_NS6detail15normal_iteratorINS9_10device_ptrIyEEEEPS5_jNS1_19radix_merge_compareILb0ELb0EyNS0_19identity_decomposerEEEEE10hipError_tT0_T1_T2_jT3_P12ihipStream_tbPNSt15iterator_traitsISK_E10value_typeEPNSQ_ISL_E10value_typeEPSM_NS1_7vsmem_tEENKUlT_SK_SL_SM_E_clIPySE_SF_SF_EESJ_SZ_SK_SL_SM_EUlSZ_E1_NS1_11comp_targetILNS1_3genE5ELNS1_11target_archE942ELNS1_3gpuE9ELNS1_3repE0EEENS1_36merge_oddeven_config_static_selectorELNS0_4arch9wavefront6targetE1EEEvSL_
                                        ; -- End function
	.section	.AMDGPU.csdata,"",@progbits
; Kernel info:
; codeLenInByte = 0
; NumSgprs: 4
; NumVgprs: 0
; NumAgprs: 0
; TotalNumVgprs: 0
; ScratchSize: 0
; MemoryBound: 0
; FloatMode: 240
; IeeeMode: 1
; LDSByteSize: 0 bytes/workgroup (compile time only)
; SGPRBlocks: 0
; VGPRBlocks: 0
; NumSGPRsForWavesPerEU: 4
; NumVGPRsForWavesPerEU: 1
; AccumOffset: 4
; Occupancy: 8
; WaveLimiterHint : 0
; COMPUTE_PGM_RSRC2:SCRATCH_EN: 0
; COMPUTE_PGM_RSRC2:USER_SGPR: 6
; COMPUTE_PGM_RSRC2:TRAP_HANDLER: 0
; COMPUTE_PGM_RSRC2:TGID_X_EN: 1
; COMPUTE_PGM_RSRC2:TGID_Y_EN: 0
; COMPUTE_PGM_RSRC2:TGID_Z_EN: 0
; COMPUTE_PGM_RSRC2:TIDIG_COMP_CNT: 0
; COMPUTE_PGM_RSRC3_GFX90A:ACCUM_OFFSET: 0
; COMPUTE_PGM_RSRC3_GFX90A:TG_SPLIT: 0
	.section	.text._ZN7rocprim17ROCPRIM_400000_NS6detail17trampoline_kernelINS0_14default_configENS1_38merge_sort_block_merge_config_selectorIyNS0_10empty_typeEEEZZNS1_27merge_sort_block_merge_implIS3_N6thrust23THRUST_200600_302600_NS6detail15normal_iteratorINS9_10device_ptrIyEEEEPS5_jNS1_19radix_merge_compareILb0ELb0EyNS0_19identity_decomposerEEEEE10hipError_tT0_T1_T2_jT3_P12ihipStream_tbPNSt15iterator_traitsISK_E10value_typeEPNSQ_ISL_E10value_typeEPSM_NS1_7vsmem_tEENKUlT_SK_SL_SM_E_clIPySE_SF_SF_EESJ_SZ_SK_SL_SM_EUlSZ_E1_NS1_11comp_targetILNS1_3genE4ELNS1_11target_archE910ELNS1_3gpuE8ELNS1_3repE0EEENS1_36merge_oddeven_config_static_selectorELNS0_4arch9wavefront6targetE1EEEvSL_,"axG",@progbits,_ZN7rocprim17ROCPRIM_400000_NS6detail17trampoline_kernelINS0_14default_configENS1_38merge_sort_block_merge_config_selectorIyNS0_10empty_typeEEEZZNS1_27merge_sort_block_merge_implIS3_N6thrust23THRUST_200600_302600_NS6detail15normal_iteratorINS9_10device_ptrIyEEEEPS5_jNS1_19radix_merge_compareILb0ELb0EyNS0_19identity_decomposerEEEEE10hipError_tT0_T1_T2_jT3_P12ihipStream_tbPNSt15iterator_traitsISK_E10value_typeEPNSQ_ISL_E10value_typeEPSM_NS1_7vsmem_tEENKUlT_SK_SL_SM_E_clIPySE_SF_SF_EESJ_SZ_SK_SL_SM_EUlSZ_E1_NS1_11comp_targetILNS1_3genE4ELNS1_11target_archE910ELNS1_3gpuE8ELNS1_3repE0EEENS1_36merge_oddeven_config_static_selectorELNS0_4arch9wavefront6targetE1EEEvSL_,comdat
	.protected	_ZN7rocprim17ROCPRIM_400000_NS6detail17trampoline_kernelINS0_14default_configENS1_38merge_sort_block_merge_config_selectorIyNS0_10empty_typeEEEZZNS1_27merge_sort_block_merge_implIS3_N6thrust23THRUST_200600_302600_NS6detail15normal_iteratorINS9_10device_ptrIyEEEEPS5_jNS1_19radix_merge_compareILb0ELb0EyNS0_19identity_decomposerEEEEE10hipError_tT0_T1_T2_jT3_P12ihipStream_tbPNSt15iterator_traitsISK_E10value_typeEPNSQ_ISL_E10value_typeEPSM_NS1_7vsmem_tEENKUlT_SK_SL_SM_E_clIPySE_SF_SF_EESJ_SZ_SK_SL_SM_EUlSZ_E1_NS1_11comp_targetILNS1_3genE4ELNS1_11target_archE910ELNS1_3gpuE8ELNS1_3repE0EEENS1_36merge_oddeven_config_static_selectorELNS0_4arch9wavefront6targetE1EEEvSL_ ; -- Begin function _ZN7rocprim17ROCPRIM_400000_NS6detail17trampoline_kernelINS0_14default_configENS1_38merge_sort_block_merge_config_selectorIyNS0_10empty_typeEEEZZNS1_27merge_sort_block_merge_implIS3_N6thrust23THRUST_200600_302600_NS6detail15normal_iteratorINS9_10device_ptrIyEEEEPS5_jNS1_19radix_merge_compareILb0ELb0EyNS0_19identity_decomposerEEEEE10hipError_tT0_T1_T2_jT3_P12ihipStream_tbPNSt15iterator_traitsISK_E10value_typeEPNSQ_ISL_E10value_typeEPSM_NS1_7vsmem_tEENKUlT_SK_SL_SM_E_clIPySE_SF_SF_EESJ_SZ_SK_SL_SM_EUlSZ_E1_NS1_11comp_targetILNS1_3genE4ELNS1_11target_archE910ELNS1_3gpuE8ELNS1_3repE0EEENS1_36merge_oddeven_config_static_selectorELNS0_4arch9wavefront6targetE1EEEvSL_
	.globl	_ZN7rocprim17ROCPRIM_400000_NS6detail17trampoline_kernelINS0_14default_configENS1_38merge_sort_block_merge_config_selectorIyNS0_10empty_typeEEEZZNS1_27merge_sort_block_merge_implIS3_N6thrust23THRUST_200600_302600_NS6detail15normal_iteratorINS9_10device_ptrIyEEEEPS5_jNS1_19radix_merge_compareILb0ELb0EyNS0_19identity_decomposerEEEEE10hipError_tT0_T1_T2_jT3_P12ihipStream_tbPNSt15iterator_traitsISK_E10value_typeEPNSQ_ISL_E10value_typeEPSM_NS1_7vsmem_tEENKUlT_SK_SL_SM_E_clIPySE_SF_SF_EESJ_SZ_SK_SL_SM_EUlSZ_E1_NS1_11comp_targetILNS1_3genE4ELNS1_11target_archE910ELNS1_3gpuE8ELNS1_3repE0EEENS1_36merge_oddeven_config_static_selectorELNS0_4arch9wavefront6targetE1EEEvSL_
	.p2align	8
	.type	_ZN7rocprim17ROCPRIM_400000_NS6detail17trampoline_kernelINS0_14default_configENS1_38merge_sort_block_merge_config_selectorIyNS0_10empty_typeEEEZZNS1_27merge_sort_block_merge_implIS3_N6thrust23THRUST_200600_302600_NS6detail15normal_iteratorINS9_10device_ptrIyEEEEPS5_jNS1_19radix_merge_compareILb0ELb0EyNS0_19identity_decomposerEEEEE10hipError_tT0_T1_T2_jT3_P12ihipStream_tbPNSt15iterator_traitsISK_E10value_typeEPNSQ_ISL_E10value_typeEPSM_NS1_7vsmem_tEENKUlT_SK_SL_SM_E_clIPySE_SF_SF_EESJ_SZ_SK_SL_SM_EUlSZ_E1_NS1_11comp_targetILNS1_3genE4ELNS1_11target_archE910ELNS1_3gpuE8ELNS1_3repE0EEENS1_36merge_oddeven_config_static_selectorELNS0_4arch9wavefront6targetE1EEEvSL_,@function
_ZN7rocprim17ROCPRIM_400000_NS6detail17trampoline_kernelINS0_14default_configENS1_38merge_sort_block_merge_config_selectorIyNS0_10empty_typeEEEZZNS1_27merge_sort_block_merge_implIS3_N6thrust23THRUST_200600_302600_NS6detail15normal_iteratorINS9_10device_ptrIyEEEEPS5_jNS1_19radix_merge_compareILb0ELb0EyNS0_19identity_decomposerEEEEE10hipError_tT0_T1_T2_jT3_P12ihipStream_tbPNSt15iterator_traitsISK_E10value_typeEPNSQ_ISL_E10value_typeEPSM_NS1_7vsmem_tEENKUlT_SK_SL_SM_E_clIPySE_SF_SF_EESJ_SZ_SK_SL_SM_EUlSZ_E1_NS1_11comp_targetILNS1_3genE4ELNS1_11target_archE910ELNS1_3gpuE8ELNS1_3repE0EEENS1_36merge_oddeven_config_static_selectorELNS0_4arch9wavefront6targetE1EEEvSL_: ; @_ZN7rocprim17ROCPRIM_400000_NS6detail17trampoline_kernelINS0_14default_configENS1_38merge_sort_block_merge_config_selectorIyNS0_10empty_typeEEEZZNS1_27merge_sort_block_merge_implIS3_N6thrust23THRUST_200600_302600_NS6detail15normal_iteratorINS9_10device_ptrIyEEEEPS5_jNS1_19radix_merge_compareILb0ELb0EyNS0_19identity_decomposerEEEEE10hipError_tT0_T1_T2_jT3_P12ihipStream_tbPNSt15iterator_traitsISK_E10value_typeEPNSQ_ISL_E10value_typeEPSM_NS1_7vsmem_tEENKUlT_SK_SL_SM_E_clIPySE_SF_SF_EESJ_SZ_SK_SL_SM_EUlSZ_E1_NS1_11comp_targetILNS1_3genE4ELNS1_11target_archE910ELNS1_3gpuE8ELNS1_3repE0EEENS1_36merge_oddeven_config_static_selectorELNS0_4arch9wavefront6targetE1EEEvSL_
; %bb.0:
	s_load_dword s18, s[4:5], 0x20
	s_waitcnt lgkmcnt(0)
	s_lshr_b32 s0, s18, 8
	s_cmp_lg_u32 s6, s0
	s_cselect_b64 s[14:15], -1, 0
	s_cmp_eq_u32 s6, s0
	s_cselect_b64 s[12:13], -1, 0
	s_lshl_b32 s16, s6, 8
	s_sub_i32 s0, s18, s16
	v_cmp_gt_u32_e64 s[2:3], s0, v0
	s_or_b64 s[0:1], s[14:15], s[2:3]
	s_and_saveexec_b64 s[8:9], s[0:1]
	s_cbranch_execz .LBB743_20
; %bb.1:
	s_load_dwordx4 s[8:11], s[4:5], 0x0
	s_load_dword s19, s[4:5], 0x24
	s_mov_b32 s17, 0
	s_lshl_b64 s[0:1], s[16:17], 3
	v_lshlrev_b32_e32 v1, 3, v0
	s_waitcnt lgkmcnt(0)
	s_add_u32 s0, s8, s0
	s_addc_u32 s1, s9, s1
	global_load_dwordx2 v[2:3], v1, s[0:1]
	s_lshr_b32 s0, s19, 8
	s_sub_i32 s1, 0, s0
	s_and_b32 s1, s6, s1
	s_and_b32 s0, s1, s0
	s_lshl_b32 s20, s1, 8
	s_sub_i32 s6, 0, s19
	s_cmp_eq_u32 s0, 0
	s_cselect_b64 s[0:1], -1, 0
	s_and_b64 s[4:5], s[0:1], exec
	s_cselect_b32 s17, s19, s6
	s_add_i32 s17, s17, s20
	s_cmp_lt_u32 s17, s18
	v_add_u32_e32 v0, s16, v0
	s_cbranch_scc1 .LBB743_3
; %bb.2:
	v_cmp_gt_u32_e32 vcc, s18, v0
	s_or_b64 s[4:5], vcc, s[14:15]
	s_and_b64 s[4:5], s[4:5], exec
	s_cbranch_execz .LBB743_4
	s_branch .LBB743_18
.LBB743_3:
	s_mov_b64 s[4:5], 0
.LBB743_4:
	s_min_u32 s14, s17, s18
	s_add_i32 s6, s14, s19
	s_min_u32 s15, s6, s18
	s_min_u32 s6, s20, s14
	s_add_i32 s20, s20, s14
	v_subrev_u32_e32 v0, s20, v0
	v_add_u32_e32 v4, s6, v0
	s_and_b64 vcc, exec, s[12:13]
	s_cbranch_vccz .LBB743_12
; %bb.5:
                                        ; implicit-def: $vgpr0
	s_and_saveexec_b64 s[6:7], s[2:3]
	s_cbranch_execz .LBB743_11
; %bb.6:
	s_cmp_ge_u32 s17, s15
	v_mov_b32_e32 v5, s14
	s_cbranch_scc1 .LBB743_10
; %bb.7:
	s_mov_b64 s[2:3], 0
	v_mov_b32_e32 v6, s15
	v_mov_b32_e32 v5, s14
	;; [unrolled: 1-line block ×4, first 2 shown]
.LBB743_8:                              ; =>This Inner Loop Header: Depth=1
	v_add_u32_e32 v0, v5, v6
	v_lshrrev_b32_e32 v0, 1, v0
	v_lshlrev_b64 v[8:9], 3, v[0:1]
	v_add_co_u32_e32 v8, vcc, s8, v8
	v_addc_co_u32_e32 v9, vcc, v7, v9, vcc
	global_load_dwordx2 v[8:9], v[8:9], off
	v_add_u32_e32 v10, 1, v0
	s_waitcnt vmcnt(0)
	v_cmp_gt_u64_e32 vcc, v[2:3], v[8:9]
	v_cndmask_b32_e64 v11, 0, 1, vcc
	v_cmp_le_u64_e32 vcc, v[8:9], v[2:3]
	v_cndmask_b32_e64 v8, 0, 1, vcc
	v_cndmask_b32_e64 v8, v8, v11, s[0:1]
	v_and_b32_e32 v8, 1, v8
	v_cmp_eq_u32_e32 vcc, 1, v8
	v_cndmask_b32_e32 v6, v0, v6, vcc
	v_cndmask_b32_e32 v5, v5, v10, vcc
	v_cmp_ge_u32_e32 vcc, v5, v6
	s_or_b64 s[2:3], vcc, s[2:3]
	s_andn2_b64 exec, exec, s[2:3]
	s_cbranch_execnz .LBB743_8
; %bb.9:
	s_or_b64 exec, exec, s[2:3]
.LBB743_10:
	v_add_u32_e32 v0, v5, v4
	s_or_b64 s[4:5], s[4:5], exec
.LBB743_11:
	s_or_b64 exec, exec, s[6:7]
	s_branch .LBB743_18
.LBB743_12:
                                        ; implicit-def: $vgpr0
	s_cbranch_execz .LBB743_18
; %bb.13:
	s_cmp_ge_u32 s17, s15
	v_mov_b32_e32 v5, s14
	s_cbranch_scc1 .LBB743_17
; %bb.14:
	s_mov_b64 s[2:3], 0
	v_mov_b32_e32 v6, s15
	v_mov_b32_e32 v5, s14
	;; [unrolled: 1-line block ×4, first 2 shown]
.LBB743_15:                             ; =>This Inner Loop Header: Depth=1
	v_add_u32_e32 v0, v5, v6
	v_lshrrev_b32_e32 v0, 1, v0
	v_lshlrev_b64 v[8:9], 3, v[0:1]
	v_add_co_u32_e32 v8, vcc, s8, v8
	v_addc_co_u32_e32 v9, vcc, v7, v9, vcc
	global_load_dwordx2 v[8:9], v[8:9], off
	v_add_u32_e32 v10, 1, v0
	s_waitcnt vmcnt(0)
	v_cmp_gt_u64_e32 vcc, v[2:3], v[8:9]
	v_cndmask_b32_e64 v11, 0, 1, vcc
	v_cmp_le_u64_e32 vcc, v[8:9], v[2:3]
	v_cndmask_b32_e64 v8, 0, 1, vcc
	v_cndmask_b32_e64 v8, v8, v11, s[0:1]
	v_and_b32_e32 v8, 1, v8
	v_cmp_eq_u32_e32 vcc, 1, v8
	v_cndmask_b32_e32 v6, v0, v6, vcc
	v_cndmask_b32_e32 v5, v5, v10, vcc
	v_cmp_ge_u32_e32 vcc, v5, v6
	s_or_b64 s[2:3], vcc, s[2:3]
	s_andn2_b64 exec, exec, s[2:3]
	s_cbranch_execnz .LBB743_15
; %bb.16:
	s_or_b64 exec, exec, s[2:3]
.LBB743_17:
	v_add_u32_e32 v0, v5, v4
	s_mov_b64 s[4:5], -1
.LBB743_18:
	s_and_b64 exec, exec, s[4:5]
	s_cbranch_execz .LBB743_20
; %bb.19:
	v_mov_b32_e32 v1, 0
	v_lshlrev_b64 v[0:1], 3, v[0:1]
	v_mov_b32_e32 v4, s11
	v_add_co_u32_e32 v0, vcc, s10, v0
	v_addc_co_u32_e32 v1, vcc, v4, v1, vcc
	s_waitcnt vmcnt(0)
	global_store_dwordx2 v[0:1], v[2:3], off
.LBB743_20:
	s_endpgm
	.section	.rodata,"a",@progbits
	.p2align	6, 0x0
	.amdhsa_kernel _ZN7rocprim17ROCPRIM_400000_NS6detail17trampoline_kernelINS0_14default_configENS1_38merge_sort_block_merge_config_selectorIyNS0_10empty_typeEEEZZNS1_27merge_sort_block_merge_implIS3_N6thrust23THRUST_200600_302600_NS6detail15normal_iteratorINS9_10device_ptrIyEEEEPS5_jNS1_19radix_merge_compareILb0ELb0EyNS0_19identity_decomposerEEEEE10hipError_tT0_T1_T2_jT3_P12ihipStream_tbPNSt15iterator_traitsISK_E10value_typeEPNSQ_ISL_E10value_typeEPSM_NS1_7vsmem_tEENKUlT_SK_SL_SM_E_clIPySE_SF_SF_EESJ_SZ_SK_SL_SM_EUlSZ_E1_NS1_11comp_targetILNS1_3genE4ELNS1_11target_archE910ELNS1_3gpuE8ELNS1_3repE0EEENS1_36merge_oddeven_config_static_selectorELNS0_4arch9wavefront6targetE1EEEvSL_
		.amdhsa_group_segment_fixed_size 0
		.amdhsa_private_segment_fixed_size 0
		.amdhsa_kernarg_size 48
		.amdhsa_user_sgpr_count 6
		.amdhsa_user_sgpr_private_segment_buffer 1
		.amdhsa_user_sgpr_dispatch_ptr 0
		.amdhsa_user_sgpr_queue_ptr 0
		.amdhsa_user_sgpr_kernarg_segment_ptr 1
		.amdhsa_user_sgpr_dispatch_id 0
		.amdhsa_user_sgpr_flat_scratch_init 0
		.amdhsa_user_sgpr_kernarg_preload_length 0
		.amdhsa_user_sgpr_kernarg_preload_offset 0
		.amdhsa_user_sgpr_private_segment_size 0
		.amdhsa_uses_dynamic_stack 0
		.amdhsa_system_sgpr_private_segment_wavefront_offset 0
		.amdhsa_system_sgpr_workgroup_id_x 1
		.amdhsa_system_sgpr_workgroup_id_y 0
		.amdhsa_system_sgpr_workgroup_id_z 0
		.amdhsa_system_sgpr_workgroup_info 0
		.amdhsa_system_vgpr_workitem_id 0
		.amdhsa_next_free_vgpr 12
		.amdhsa_next_free_sgpr 21
		.amdhsa_accum_offset 12
		.amdhsa_reserve_vcc 1
		.amdhsa_reserve_flat_scratch 0
		.amdhsa_float_round_mode_32 0
		.amdhsa_float_round_mode_16_64 0
		.amdhsa_float_denorm_mode_32 3
		.amdhsa_float_denorm_mode_16_64 3
		.amdhsa_dx10_clamp 1
		.amdhsa_ieee_mode 1
		.amdhsa_fp16_overflow 0
		.amdhsa_tg_split 0
		.amdhsa_exception_fp_ieee_invalid_op 0
		.amdhsa_exception_fp_denorm_src 0
		.amdhsa_exception_fp_ieee_div_zero 0
		.amdhsa_exception_fp_ieee_overflow 0
		.amdhsa_exception_fp_ieee_underflow 0
		.amdhsa_exception_fp_ieee_inexact 0
		.amdhsa_exception_int_div_zero 0
	.end_amdhsa_kernel
	.section	.text._ZN7rocprim17ROCPRIM_400000_NS6detail17trampoline_kernelINS0_14default_configENS1_38merge_sort_block_merge_config_selectorIyNS0_10empty_typeEEEZZNS1_27merge_sort_block_merge_implIS3_N6thrust23THRUST_200600_302600_NS6detail15normal_iteratorINS9_10device_ptrIyEEEEPS5_jNS1_19radix_merge_compareILb0ELb0EyNS0_19identity_decomposerEEEEE10hipError_tT0_T1_T2_jT3_P12ihipStream_tbPNSt15iterator_traitsISK_E10value_typeEPNSQ_ISL_E10value_typeEPSM_NS1_7vsmem_tEENKUlT_SK_SL_SM_E_clIPySE_SF_SF_EESJ_SZ_SK_SL_SM_EUlSZ_E1_NS1_11comp_targetILNS1_3genE4ELNS1_11target_archE910ELNS1_3gpuE8ELNS1_3repE0EEENS1_36merge_oddeven_config_static_selectorELNS0_4arch9wavefront6targetE1EEEvSL_,"axG",@progbits,_ZN7rocprim17ROCPRIM_400000_NS6detail17trampoline_kernelINS0_14default_configENS1_38merge_sort_block_merge_config_selectorIyNS0_10empty_typeEEEZZNS1_27merge_sort_block_merge_implIS3_N6thrust23THRUST_200600_302600_NS6detail15normal_iteratorINS9_10device_ptrIyEEEEPS5_jNS1_19radix_merge_compareILb0ELb0EyNS0_19identity_decomposerEEEEE10hipError_tT0_T1_T2_jT3_P12ihipStream_tbPNSt15iterator_traitsISK_E10value_typeEPNSQ_ISL_E10value_typeEPSM_NS1_7vsmem_tEENKUlT_SK_SL_SM_E_clIPySE_SF_SF_EESJ_SZ_SK_SL_SM_EUlSZ_E1_NS1_11comp_targetILNS1_3genE4ELNS1_11target_archE910ELNS1_3gpuE8ELNS1_3repE0EEENS1_36merge_oddeven_config_static_selectorELNS0_4arch9wavefront6targetE1EEEvSL_,comdat
.Lfunc_end743:
	.size	_ZN7rocprim17ROCPRIM_400000_NS6detail17trampoline_kernelINS0_14default_configENS1_38merge_sort_block_merge_config_selectorIyNS0_10empty_typeEEEZZNS1_27merge_sort_block_merge_implIS3_N6thrust23THRUST_200600_302600_NS6detail15normal_iteratorINS9_10device_ptrIyEEEEPS5_jNS1_19radix_merge_compareILb0ELb0EyNS0_19identity_decomposerEEEEE10hipError_tT0_T1_T2_jT3_P12ihipStream_tbPNSt15iterator_traitsISK_E10value_typeEPNSQ_ISL_E10value_typeEPSM_NS1_7vsmem_tEENKUlT_SK_SL_SM_E_clIPySE_SF_SF_EESJ_SZ_SK_SL_SM_EUlSZ_E1_NS1_11comp_targetILNS1_3genE4ELNS1_11target_archE910ELNS1_3gpuE8ELNS1_3repE0EEENS1_36merge_oddeven_config_static_selectorELNS0_4arch9wavefront6targetE1EEEvSL_, .Lfunc_end743-_ZN7rocprim17ROCPRIM_400000_NS6detail17trampoline_kernelINS0_14default_configENS1_38merge_sort_block_merge_config_selectorIyNS0_10empty_typeEEEZZNS1_27merge_sort_block_merge_implIS3_N6thrust23THRUST_200600_302600_NS6detail15normal_iteratorINS9_10device_ptrIyEEEEPS5_jNS1_19radix_merge_compareILb0ELb0EyNS0_19identity_decomposerEEEEE10hipError_tT0_T1_T2_jT3_P12ihipStream_tbPNSt15iterator_traitsISK_E10value_typeEPNSQ_ISL_E10value_typeEPSM_NS1_7vsmem_tEENKUlT_SK_SL_SM_E_clIPySE_SF_SF_EESJ_SZ_SK_SL_SM_EUlSZ_E1_NS1_11comp_targetILNS1_3genE4ELNS1_11target_archE910ELNS1_3gpuE8ELNS1_3repE0EEENS1_36merge_oddeven_config_static_selectorELNS0_4arch9wavefront6targetE1EEEvSL_
                                        ; -- End function
	.section	.AMDGPU.csdata,"",@progbits
; Kernel info:
; codeLenInByte = 588
; NumSgprs: 25
; NumVgprs: 12
; NumAgprs: 0
; TotalNumVgprs: 12
; ScratchSize: 0
; MemoryBound: 0
; FloatMode: 240
; IeeeMode: 1
; LDSByteSize: 0 bytes/workgroup (compile time only)
; SGPRBlocks: 3
; VGPRBlocks: 1
; NumSGPRsForWavesPerEU: 25
; NumVGPRsForWavesPerEU: 12
; AccumOffset: 12
; Occupancy: 8
; WaveLimiterHint : 0
; COMPUTE_PGM_RSRC2:SCRATCH_EN: 0
; COMPUTE_PGM_RSRC2:USER_SGPR: 6
; COMPUTE_PGM_RSRC2:TRAP_HANDLER: 0
; COMPUTE_PGM_RSRC2:TGID_X_EN: 1
; COMPUTE_PGM_RSRC2:TGID_Y_EN: 0
; COMPUTE_PGM_RSRC2:TGID_Z_EN: 0
; COMPUTE_PGM_RSRC2:TIDIG_COMP_CNT: 0
; COMPUTE_PGM_RSRC3_GFX90A:ACCUM_OFFSET: 2
; COMPUTE_PGM_RSRC3_GFX90A:TG_SPLIT: 0
	.section	.text._ZN7rocprim17ROCPRIM_400000_NS6detail17trampoline_kernelINS0_14default_configENS1_38merge_sort_block_merge_config_selectorIyNS0_10empty_typeEEEZZNS1_27merge_sort_block_merge_implIS3_N6thrust23THRUST_200600_302600_NS6detail15normal_iteratorINS9_10device_ptrIyEEEEPS5_jNS1_19radix_merge_compareILb0ELb0EyNS0_19identity_decomposerEEEEE10hipError_tT0_T1_T2_jT3_P12ihipStream_tbPNSt15iterator_traitsISK_E10value_typeEPNSQ_ISL_E10value_typeEPSM_NS1_7vsmem_tEENKUlT_SK_SL_SM_E_clIPySE_SF_SF_EESJ_SZ_SK_SL_SM_EUlSZ_E1_NS1_11comp_targetILNS1_3genE3ELNS1_11target_archE908ELNS1_3gpuE7ELNS1_3repE0EEENS1_36merge_oddeven_config_static_selectorELNS0_4arch9wavefront6targetE1EEEvSL_,"axG",@progbits,_ZN7rocprim17ROCPRIM_400000_NS6detail17trampoline_kernelINS0_14default_configENS1_38merge_sort_block_merge_config_selectorIyNS0_10empty_typeEEEZZNS1_27merge_sort_block_merge_implIS3_N6thrust23THRUST_200600_302600_NS6detail15normal_iteratorINS9_10device_ptrIyEEEEPS5_jNS1_19radix_merge_compareILb0ELb0EyNS0_19identity_decomposerEEEEE10hipError_tT0_T1_T2_jT3_P12ihipStream_tbPNSt15iterator_traitsISK_E10value_typeEPNSQ_ISL_E10value_typeEPSM_NS1_7vsmem_tEENKUlT_SK_SL_SM_E_clIPySE_SF_SF_EESJ_SZ_SK_SL_SM_EUlSZ_E1_NS1_11comp_targetILNS1_3genE3ELNS1_11target_archE908ELNS1_3gpuE7ELNS1_3repE0EEENS1_36merge_oddeven_config_static_selectorELNS0_4arch9wavefront6targetE1EEEvSL_,comdat
	.protected	_ZN7rocprim17ROCPRIM_400000_NS6detail17trampoline_kernelINS0_14default_configENS1_38merge_sort_block_merge_config_selectorIyNS0_10empty_typeEEEZZNS1_27merge_sort_block_merge_implIS3_N6thrust23THRUST_200600_302600_NS6detail15normal_iteratorINS9_10device_ptrIyEEEEPS5_jNS1_19radix_merge_compareILb0ELb0EyNS0_19identity_decomposerEEEEE10hipError_tT0_T1_T2_jT3_P12ihipStream_tbPNSt15iterator_traitsISK_E10value_typeEPNSQ_ISL_E10value_typeEPSM_NS1_7vsmem_tEENKUlT_SK_SL_SM_E_clIPySE_SF_SF_EESJ_SZ_SK_SL_SM_EUlSZ_E1_NS1_11comp_targetILNS1_3genE3ELNS1_11target_archE908ELNS1_3gpuE7ELNS1_3repE0EEENS1_36merge_oddeven_config_static_selectorELNS0_4arch9wavefront6targetE1EEEvSL_ ; -- Begin function _ZN7rocprim17ROCPRIM_400000_NS6detail17trampoline_kernelINS0_14default_configENS1_38merge_sort_block_merge_config_selectorIyNS0_10empty_typeEEEZZNS1_27merge_sort_block_merge_implIS3_N6thrust23THRUST_200600_302600_NS6detail15normal_iteratorINS9_10device_ptrIyEEEEPS5_jNS1_19radix_merge_compareILb0ELb0EyNS0_19identity_decomposerEEEEE10hipError_tT0_T1_T2_jT3_P12ihipStream_tbPNSt15iterator_traitsISK_E10value_typeEPNSQ_ISL_E10value_typeEPSM_NS1_7vsmem_tEENKUlT_SK_SL_SM_E_clIPySE_SF_SF_EESJ_SZ_SK_SL_SM_EUlSZ_E1_NS1_11comp_targetILNS1_3genE3ELNS1_11target_archE908ELNS1_3gpuE7ELNS1_3repE0EEENS1_36merge_oddeven_config_static_selectorELNS0_4arch9wavefront6targetE1EEEvSL_
	.globl	_ZN7rocprim17ROCPRIM_400000_NS6detail17trampoline_kernelINS0_14default_configENS1_38merge_sort_block_merge_config_selectorIyNS0_10empty_typeEEEZZNS1_27merge_sort_block_merge_implIS3_N6thrust23THRUST_200600_302600_NS6detail15normal_iteratorINS9_10device_ptrIyEEEEPS5_jNS1_19radix_merge_compareILb0ELb0EyNS0_19identity_decomposerEEEEE10hipError_tT0_T1_T2_jT3_P12ihipStream_tbPNSt15iterator_traitsISK_E10value_typeEPNSQ_ISL_E10value_typeEPSM_NS1_7vsmem_tEENKUlT_SK_SL_SM_E_clIPySE_SF_SF_EESJ_SZ_SK_SL_SM_EUlSZ_E1_NS1_11comp_targetILNS1_3genE3ELNS1_11target_archE908ELNS1_3gpuE7ELNS1_3repE0EEENS1_36merge_oddeven_config_static_selectorELNS0_4arch9wavefront6targetE1EEEvSL_
	.p2align	8
	.type	_ZN7rocprim17ROCPRIM_400000_NS6detail17trampoline_kernelINS0_14default_configENS1_38merge_sort_block_merge_config_selectorIyNS0_10empty_typeEEEZZNS1_27merge_sort_block_merge_implIS3_N6thrust23THRUST_200600_302600_NS6detail15normal_iteratorINS9_10device_ptrIyEEEEPS5_jNS1_19radix_merge_compareILb0ELb0EyNS0_19identity_decomposerEEEEE10hipError_tT0_T1_T2_jT3_P12ihipStream_tbPNSt15iterator_traitsISK_E10value_typeEPNSQ_ISL_E10value_typeEPSM_NS1_7vsmem_tEENKUlT_SK_SL_SM_E_clIPySE_SF_SF_EESJ_SZ_SK_SL_SM_EUlSZ_E1_NS1_11comp_targetILNS1_3genE3ELNS1_11target_archE908ELNS1_3gpuE7ELNS1_3repE0EEENS1_36merge_oddeven_config_static_selectorELNS0_4arch9wavefront6targetE1EEEvSL_,@function
_ZN7rocprim17ROCPRIM_400000_NS6detail17trampoline_kernelINS0_14default_configENS1_38merge_sort_block_merge_config_selectorIyNS0_10empty_typeEEEZZNS1_27merge_sort_block_merge_implIS3_N6thrust23THRUST_200600_302600_NS6detail15normal_iteratorINS9_10device_ptrIyEEEEPS5_jNS1_19radix_merge_compareILb0ELb0EyNS0_19identity_decomposerEEEEE10hipError_tT0_T1_T2_jT3_P12ihipStream_tbPNSt15iterator_traitsISK_E10value_typeEPNSQ_ISL_E10value_typeEPSM_NS1_7vsmem_tEENKUlT_SK_SL_SM_E_clIPySE_SF_SF_EESJ_SZ_SK_SL_SM_EUlSZ_E1_NS1_11comp_targetILNS1_3genE3ELNS1_11target_archE908ELNS1_3gpuE7ELNS1_3repE0EEENS1_36merge_oddeven_config_static_selectorELNS0_4arch9wavefront6targetE1EEEvSL_: ; @_ZN7rocprim17ROCPRIM_400000_NS6detail17trampoline_kernelINS0_14default_configENS1_38merge_sort_block_merge_config_selectorIyNS0_10empty_typeEEEZZNS1_27merge_sort_block_merge_implIS3_N6thrust23THRUST_200600_302600_NS6detail15normal_iteratorINS9_10device_ptrIyEEEEPS5_jNS1_19radix_merge_compareILb0ELb0EyNS0_19identity_decomposerEEEEE10hipError_tT0_T1_T2_jT3_P12ihipStream_tbPNSt15iterator_traitsISK_E10value_typeEPNSQ_ISL_E10value_typeEPSM_NS1_7vsmem_tEENKUlT_SK_SL_SM_E_clIPySE_SF_SF_EESJ_SZ_SK_SL_SM_EUlSZ_E1_NS1_11comp_targetILNS1_3genE3ELNS1_11target_archE908ELNS1_3gpuE7ELNS1_3repE0EEENS1_36merge_oddeven_config_static_selectorELNS0_4arch9wavefront6targetE1EEEvSL_
; %bb.0:
	.section	.rodata,"a",@progbits
	.p2align	6, 0x0
	.amdhsa_kernel _ZN7rocprim17ROCPRIM_400000_NS6detail17trampoline_kernelINS0_14default_configENS1_38merge_sort_block_merge_config_selectorIyNS0_10empty_typeEEEZZNS1_27merge_sort_block_merge_implIS3_N6thrust23THRUST_200600_302600_NS6detail15normal_iteratorINS9_10device_ptrIyEEEEPS5_jNS1_19radix_merge_compareILb0ELb0EyNS0_19identity_decomposerEEEEE10hipError_tT0_T1_T2_jT3_P12ihipStream_tbPNSt15iterator_traitsISK_E10value_typeEPNSQ_ISL_E10value_typeEPSM_NS1_7vsmem_tEENKUlT_SK_SL_SM_E_clIPySE_SF_SF_EESJ_SZ_SK_SL_SM_EUlSZ_E1_NS1_11comp_targetILNS1_3genE3ELNS1_11target_archE908ELNS1_3gpuE7ELNS1_3repE0EEENS1_36merge_oddeven_config_static_selectorELNS0_4arch9wavefront6targetE1EEEvSL_
		.amdhsa_group_segment_fixed_size 0
		.amdhsa_private_segment_fixed_size 0
		.amdhsa_kernarg_size 48
		.amdhsa_user_sgpr_count 6
		.amdhsa_user_sgpr_private_segment_buffer 1
		.amdhsa_user_sgpr_dispatch_ptr 0
		.amdhsa_user_sgpr_queue_ptr 0
		.amdhsa_user_sgpr_kernarg_segment_ptr 1
		.amdhsa_user_sgpr_dispatch_id 0
		.amdhsa_user_sgpr_flat_scratch_init 0
		.amdhsa_user_sgpr_kernarg_preload_length 0
		.amdhsa_user_sgpr_kernarg_preload_offset 0
		.amdhsa_user_sgpr_private_segment_size 0
		.amdhsa_uses_dynamic_stack 0
		.amdhsa_system_sgpr_private_segment_wavefront_offset 0
		.amdhsa_system_sgpr_workgroup_id_x 1
		.amdhsa_system_sgpr_workgroup_id_y 0
		.amdhsa_system_sgpr_workgroup_id_z 0
		.amdhsa_system_sgpr_workgroup_info 0
		.amdhsa_system_vgpr_workitem_id 0
		.amdhsa_next_free_vgpr 1
		.amdhsa_next_free_sgpr 0
		.amdhsa_accum_offset 4
		.amdhsa_reserve_vcc 0
		.amdhsa_reserve_flat_scratch 0
		.amdhsa_float_round_mode_32 0
		.amdhsa_float_round_mode_16_64 0
		.amdhsa_float_denorm_mode_32 3
		.amdhsa_float_denorm_mode_16_64 3
		.amdhsa_dx10_clamp 1
		.amdhsa_ieee_mode 1
		.amdhsa_fp16_overflow 0
		.amdhsa_tg_split 0
		.amdhsa_exception_fp_ieee_invalid_op 0
		.amdhsa_exception_fp_denorm_src 0
		.amdhsa_exception_fp_ieee_div_zero 0
		.amdhsa_exception_fp_ieee_overflow 0
		.amdhsa_exception_fp_ieee_underflow 0
		.amdhsa_exception_fp_ieee_inexact 0
		.amdhsa_exception_int_div_zero 0
	.end_amdhsa_kernel
	.section	.text._ZN7rocprim17ROCPRIM_400000_NS6detail17trampoline_kernelINS0_14default_configENS1_38merge_sort_block_merge_config_selectorIyNS0_10empty_typeEEEZZNS1_27merge_sort_block_merge_implIS3_N6thrust23THRUST_200600_302600_NS6detail15normal_iteratorINS9_10device_ptrIyEEEEPS5_jNS1_19radix_merge_compareILb0ELb0EyNS0_19identity_decomposerEEEEE10hipError_tT0_T1_T2_jT3_P12ihipStream_tbPNSt15iterator_traitsISK_E10value_typeEPNSQ_ISL_E10value_typeEPSM_NS1_7vsmem_tEENKUlT_SK_SL_SM_E_clIPySE_SF_SF_EESJ_SZ_SK_SL_SM_EUlSZ_E1_NS1_11comp_targetILNS1_3genE3ELNS1_11target_archE908ELNS1_3gpuE7ELNS1_3repE0EEENS1_36merge_oddeven_config_static_selectorELNS0_4arch9wavefront6targetE1EEEvSL_,"axG",@progbits,_ZN7rocprim17ROCPRIM_400000_NS6detail17trampoline_kernelINS0_14default_configENS1_38merge_sort_block_merge_config_selectorIyNS0_10empty_typeEEEZZNS1_27merge_sort_block_merge_implIS3_N6thrust23THRUST_200600_302600_NS6detail15normal_iteratorINS9_10device_ptrIyEEEEPS5_jNS1_19radix_merge_compareILb0ELb0EyNS0_19identity_decomposerEEEEE10hipError_tT0_T1_T2_jT3_P12ihipStream_tbPNSt15iterator_traitsISK_E10value_typeEPNSQ_ISL_E10value_typeEPSM_NS1_7vsmem_tEENKUlT_SK_SL_SM_E_clIPySE_SF_SF_EESJ_SZ_SK_SL_SM_EUlSZ_E1_NS1_11comp_targetILNS1_3genE3ELNS1_11target_archE908ELNS1_3gpuE7ELNS1_3repE0EEENS1_36merge_oddeven_config_static_selectorELNS0_4arch9wavefront6targetE1EEEvSL_,comdat
.Lfunc_end744:
	.size	_ZN7rocprim17ROCPRIM_400000_NS6detail17trampoline_kernelINS0_14default_configENS1_38merge_sort_block_merge_config_selectorIyNS0_10empty_typeEEEZZNS1_27merge_sort_block_merge_implIS3_N6thrust23THRUST_200600_302600_NS6detail15normal_iteratorINS9_10device_ptrIyEEEEPS5_jNS1_19radix_merge_compareILb0ELb0EyNS0_19identity_decomposerEEEEE10hipError_tT0_T1_T2_jT3_P12ihipStream_tbPNSt15iterator_traitsISK_E10value_typeEPNSQ_ISL_E10value_typeEPSM_NS1_7vsmem_tEENKUlT_SK_SL_SM_E_clIPySE_SF_SF_EESJ_SZ_SK_SL_SM_EUlSZ_E1_NS1_11comp_targetILNS1_3genE3ELNS1_11target_archE908ELNS1_3gpuE7ELNS1_3repE0EEENS1_36merge_oddeven_config_static_selectorELNS0_4arch9wavefront6targetE1EEEvSL_, .Lfunc_end744-_ZN7rocprim17ROCPRIM_400000_NS6detail17trampoline_kernelINS0_14default_configENS1_38merge_sort_block_merge_config_selectorIyNS0_10empty_typeEEEZZNS1_27merge_sort_block_merge_implIS3_N6thrust23THRUST_200600_302600_NS6detail15normal_iteratorINS9_10device_ptrIyEEEEPS5_jNS1_19radix_merge_compareILb0ELb0EyNS0_19identity_decomposerEEEEE10hipError_tT0_T1_T2_jT3_P12ihipStream_tbPNSt15iterator_traitsISK_E10value_typeEPNSQ_ISL_E10value_typeEPSM_NS1_7vsmem_tEENKUlT_SK_SL_SM_E_clIPySE_SF_SF_EESJ_SZ_SK_SL_SM_EUlSZ_E1_NS1_11comp_targetILNS1_3genE3ELNS1_11target_archE908ELNS1_3gpuE7ELNS1_3repE0EEENS1_36merge_oddeven_config_static_selectorELNS0_4arch9wavefront6targetE1EEEvSL_
                                        ; -- End function
	.section	.AMDGPU.csdata,"",@progbits
; Kernel info:
; codeLenInByte = 0
; NumSgprs: 4
; NumVgprs: 0
; NumAgprs: 0
; TotalNumVgprs: 0
; ScratchSize: 0
; MemoryBound: 0
; FloatMode: 240
; IeeeMode: 1
; LDSByteSize: 0 bytes/workgroup (compile time only)
; SGPRBlocks: 0
; VGPRBlocks: 0
; NumSGPRsForWavesPerEU: 4
; NumVGPRsForWavesPerEU: 1
; AccumOffset: 4
; Occupancy: 8
; WaveLimiterHint : 0
; COMPUTE_PGM_RSRC2:SCRATCH_EN: 0
; COMPUTE_PGM_RSRC2:USER_SGPR: 6
; COMPUTE_PGM_RSRC2:TRAP_HANDLER: 0
; COMPUTE_PGM_RSRC2:TGID_X_EN: 1
; COMPUTE_PGM_RSRC2:TGID_Y_EN: 0
; COMPUTE_PGM_RSRC2:TGID_Z_EN: 0
; COMPUTE_PGM_RSRC2:TIDIG_COMP_CNT: 0
; COMPUTE_PGM_RSRC3_GFX90A:ACCUM_OFFSET: 0
; COMPUTE_PGM_RSRC3_GFX90A:TG_SPLIT: 0
	.section	.text._ZN7rocprim17ROCPRIM_400000_NS6detail17trampoline_kernelINS0_14default_configENS1_38merge_sort_block_merge_config_selectorIyNS0_10empty_typeEEEZZNS1_27merge_sort_block_merge_implIS3_N6thrust23THRUST_200600_302600_NS6detail15normal_iteratorINS9_10device_ptrIyEEEEPS5_jNS1_19radix_merge_compareILb0ELb0EyNS0_19identity_decomposerEEEEE10hipError_tT0_T1_T2_jT3_P12ihipStream_tbPNSt15iterator_traitsISK_E10value_typeEPNSQ_ISL_E10value_typeEPSM_NS1_7vsmem_tEENKUlT_SK_SL_SM_E_clIPySE_SF_SF_EESJ_SZ_SK_SL_SM_EUlSZ_E1_NS1_11comp_targetILNS1_3genE2ELNS1_11target_archE906ELNS1_3gpuE6ELNS1_3repE0EEENS1_36merge_oddeven_config_static_selectorELNS0_4arch9wavefront6targetE1EEEvSL_,"axG",@progbits,_ZN7rocprim17ROCPRIM_400000_NS6detail17trampoline_kernelINS0_14default_configENS1_38merge_sort_block_merge_config_selectorIyNS0_10empty_typeEEEZZNS1_27merge_sort_block_merge_implIS3_N6thrust23THRUST_200600_302600_NS6detail15normal_iteratorINS9_10device_ptrIyEEEEPS5_jNS1_19radix_merge_compareILb0ELb0EyNS0_19identity_decomposerEEEEE10hipError_tT0_T1_T2_jT3_P12ihipStream_tbPNSt15iterator_traitsISK_E10value_typeEPNSQ_ISL_E10value_typeEPSM_NS1_7vsmem_tEENKUlT_SK_SL_SM_E_clIPySE_SF_SF_EESJ_SZ_SK_SL_SM_EUlSZ_E1_NS1_11comp_targetILNS1_3genE2ELNS1_11target_archE906ELNS1_3gpuE6ELNS1_3repE0EEENS1_36merge_oddeven_config_static_selectorELNS0_4arch9wavefront6targetE1EEEvSL_,comdat
	.protected	_ZN7rocprim17ROCPRIM_400000_NS6detail17trampoline_kernelINS0_14default_configENS1_38merge_sort_block_merge_config_selectorIyNS0_10empty_typeEEEZZNS1_27merge_sort_block_merge_implIS3_N6thrust23THRUST_200600_302600_NS6detail15normal_iteratorINS9_10device_ptrIyEEEEPS5_jNS1_19radix_merge_compareILb0ELb0EyNS0_19identity_decomposerEEEEE10hipError_tT0_T1_T2_jT3_P12ihipStream_tbPNSt15iterator_traitsISK_E10value_typeEPNSQ_ISL_E10value_typeEPSM_NS1_7vsmem_tEENKUlT_SK_SL_SM_E_clIPySE_SF_SF_EESJ_SZ_SK_SL_SM_EUlSZ_E1_NS1_11comp_targetILNS1_3genE2ELNS1_11target_archE906ELNS1_3gpuE6ELNS1_3repE0EEENS1_36merge_oddeven_config_static_selectorELNS0_4arch9wavefront6targetE1EEEvSL_ ; -- Begin function _ZN7rocprim17ROCPRIM_400000_NS6detail17trampoline_kernelINS0_14default_configENS1_38merge_sort_block_merge_config_selectorIyNS0_10empty_typeEEEZZNS1_27merge_sort_block_merge_implIS3_N6thrust23THRUST_200600_302600_NS6detail15normal_iteratorINS9_10device_ptrIyEEEEPS5_jNS1_19radix_merge_compareILb0ELb0EyNS0_19identity_decomposerEEEEE10hipError_tT0_T1_T2_jT3_P12ihipStream_tbPNSt15iterator_traitsISK_E10value_typeEPNSQ_ISL_E10value_typeEPSM_NS1_7vsmem_tEENKUlT_SK_SL_SM_E_clIPySE_SF_SF_EESJ_SZ_SK_SL_SM_EUlSZ_E1_NS1_11comp_targetILNS1_3genE2ELNS1_11target_archE906ELNS1_3gpuE6ELNS1_3repE0EEENS1_36merge_oddeven_config_static_selectorELNS0_4arch9wavefront6targetE1EEEvSL_
	.globl	_ZN7rocprim17ROCPRIM_400000_NS6detail17trampoline_kernelINS0_14default_configENS1_38merge_sort_block_merge_config_selectorIyNS0_10empty_typeEEEZZNS1_27merge_sort_block_merge_implIS3_N6thrust23THRUST_200600_302600_NS6detail15normal_iteratorINS9_10device_ptrIyEEEEPS5_jNS1_19radix_merge_compareILb0ELb0EyNS0_19identity_decomposerEEEEE10hipError_tT0_T1_T2_jT3_P12ihipStream_tbPNSt15iterator_traitsISK_E10value_typeEPNSQ_ISL_E10value_typeEPSM_NS1_7vsmem_tEENKUlT_SK_SL_SM_E_clIPySE_SF_SF_EESJ_SZ_SK_SL_SM_EUlSZ_E1_NS1_11comp_targetILNS1_3genE2ELNS1_11target_archE906ELNS1_3gpuE6ELNS1_3repE0EEENS1_36merge_oddeven_config_static_selectorELNS0_4arch9wavefront6targetE1EEEvSL_
	.p2align	8
	.type	_ZN7rocprim17ROCPRIM_400000_NS6detail17trampoline_kernelINS0_14default_configENS1_38merge_sort_block_merge_config_selectorIyNS0_10empty_typeEEEZZNS1_27merge_sort_block_merge_implIS3_N6thrust23THRUST_200600_302600_NS6detail15normal_iteratorINS9_10device_ptrIyEEEEPS5_jNS1_19radix_merge_compareILb0ELb0EyNS0_19identity_decomposerEEEEE10hipError_tT0_T1_T2_jT3_P12ihipStream_tbPNSt15iterator_traitsISK_E10value_typeEPNSQ_ISL_E10value_typeEPSM_NS1_7vsmem_tEENKUlT_SK_SL_SM_E_clIPySE_SF_SF_EESJ_SZ_SK_SL_SM_EUlSZ_E1_NS1_11comp_targetILNS1_3genE2ELNS1_11target_archE906ELNS1_3gpuE6ELNS1_3repE0EEENS1_36merge_oddeven_config_static_selectorELNS0_4arch9wavefront6targetE1EEEvSL_,@function
_ZN7rocprim17ROCPRIM_400000_NS6detail17trampoline_kernelINS0_14default_configENS1_38merge_sort_block_merge_config_selectorIyNS0_10empty_typeEEEZZNS1_27merge_sort_block_merge_implIS3_N6thrust23THRUST_200600_302600_NS6detail15normal_iteratorINS9_10device_ptrIyEEEEPS5_jNS1_19radix_merge_compareILb0ELb0EyNS0_19identity_decomposerEEEEE10hipError_tT0_T1_T2_jT3_P12ihipStream_tbPNSt15iterator_traitsISK_E10value_typeEPNSQ_ISL_E10value_typeEPSM_NS1_7vsmem_tEENKUlT_SK_SL_SM_E_clIPySE_SF_SF_EESJ_SZ_SK_SL_SM_EUlSZ_E1_NS1_11comp_targetILNS1_3genE2ELNS1_11target_archE906ELNS1_3gpuE6ELNS1_3repE0EEENS1_36merge_oddeven_config_static_selectorELNS0_4arch9wavefront6targetE1EEEvSL_: ; @_ZN7rocprim17ROCPRIM_400000_NS6detail17trampoline_kernelINS0_14default_configENS1_38merge_sort_block_merge_config_selectorIyNS0_10empty_typeEEEZZNS1_27merge_sort_block_merge_implIS3_N6thrust23THRUST_200600_302600_NS6detail15normal_iteratorINS9_10device_ptrIyEEEEPS5_jNS1_19radix_merge_compareILb0ELb0EyNS0_19identity_decomposerEEEEE10hipError_tT0_T1_T2_jT3_P12ihipStream_tbPNSt15iterator_traitsISK_E10value_typeEPNSQ_ISL_E10value_typeEPSM_NS1_7vsmem_tEENKUlT_SK_SL_SM_E_clIPySE_SF_SF_EESJ_SZ_SK_SL_SM_EUlSZ_E1_NS1_11comp_targetILNS1_3genE2ELNS1_11target_archE906ELNS1_3gpuE6ELNS1_3repE0EEENS1_36merge_oddeven_config_static_selectorELNS0_4arch9wavefront6targetE1EEEvSL_
; %bb.0:
	.section	.rodata,"a",@progbits
	.p2align	6, 0x0
	.amdhsa_kernel _ZN7rocprim17ROCPRIM_400000_NS6detail17trampoline_kernelINS0_14default_configENS1_38merge_sort_block_merge_config_selectorIyNS0_10empty_typeEEEZZNS1_27merge_sort_block_merge_implIS3_N6thrust23THRUST_200600_302600_NS6detail15normal_iteratorINS9_10device_ptrIyEEEEPS5_jNS1_19radix_merge_compareILb0ELb0EyNS0_19identity_decomposerEEEEE10hipError_tT0_T1_T2_jT3_P12ihipStream_tbPNSt15iterator_traitsISK_E10value_typeEPNSQ_ISL_E10value_typeEPSM_NS1_7vsmem_tEENKUlT_SK_SL_SM_E_clIPySE_SF_SF_EESJ_SZ_SK_SL_SM_EUlSZ_E1_NS1_11comp_targetILNS1_3genE2ELNS1_11target_archE906ELNS1_3gpuE6ELNS1_3repE0EEENS1_36merge_oddeven_config_static_selectorELNS0_4arch9wavefront6targetE1EEEvSL_
		.amdhsa_group_segment_fixed_size 0
		.amdhsa_private_segment_fixed_size 0
		.amdhsa_kernarg_size 48
		.amdhsa_user_sgpr_count 6
		.amdhsa_user_sgpr_private_segment_buffer 1
		.amdhsa_user_sgpr_dispatch_ptr 0
		.amdhsa_user_sgpr_queue_ptr 0
		.amdhsa_user_sgpr_kernarg_segment_ptr 1
		.amdhsa_user_sgpr_dispatch_id 0
		.amdhsa_user_sgpr_flat_scratch_init 0
		.amdhsa_user_sgpr_kernarg_preload_length 0
		.amdhsa_user_sgpr_kernarg_preload_offset 0
		.amdhsa_user_sgpr_private_segment_size 0
		.amdhsa_uses_dynamic_stack 0
		.amdhsa_system_sgpr_private_segment_wavefront_offset 0
		.amdhsa_system_sgpr_workgroup_id_x 1
		.amdhsa_system_sgpr_workgroup_id_y 0
		.amdhsa_system_sgpr_workgroup_id_z 0
		.amdhsa_system_sgpr_workgroup_info 0
		.amdhsa_system_vgpr_workitem_id 0
		.amdhsa_next_free_vgpr 1
		.amdhsa_next_free_sgpr 0
		.amdhsa_accum_offset 4
		.amdhsa_reserve_vcc 0
		.amdhsa_reserve_flat_scratch 0
		.amdhsa_float_round_mode_32 0
		.amdhsa_float_round_mode_16_64 0
		.amdhsa_float_denorm_mode_32 3
		.amdhsa_float_denorm_mode_16_64 3
		.amdhsa_dx10_clamp 1
		.amdhsa_ieee_mode 1
		.amdhsa_fp16_overflow 0
		.amdhsa_tg_split 0
		.amdhsa_exception_fp_ieee_invalid_op 0
		.amdhsa_exception_fp_denorm_src 0
		.amdhsa_exception_fp_ieee_div_zero 0
		.amdhsa_exception_fp_ieee_overflow 0
		.amdhsa_exception_fp_ieee_underflow 0
		.amdhsa_exception_fp_ieee_inexact 0
		.amdhsa_exception_int_div_zero 0
	.end_amdhsa_kernel
	.section	.text._ZN7rocprim17ROCPRIM_400000_NS6detail17trampoline_kernelINS0_14default_configENS1_38merge_sort_block_merge_config_selectorIyNS0_10empty_typeEEEZZNS1_27merge_sort_block_merge_implIS3_N6thrust23THRUST_200600_302600_NS6detail15normal_iteratorINS9_10device_ptrIyEEEEPS5_jNS1_19radix_merge_compareILb0ELb0EyNS0_19identity_decomposerEEEEE10hipError_tT0_T1_T2_jT3_P12ihipStream_tbPNSt15iterator_traitsISK_E10value_typeEPNSQ_ISL_E10value_typeEPSM_NS1_7vsmem_tEENKUlT_SK_SL_SM_E_clIPySE_SF_SF_EESJ_SZ_SK_SL_SM_EUlSZ_E1_NS1_11comp_targetILNS1_3genE2ELNS1_11target_archE906ELNS1_3gpuE6ELNS1_3repE0EEENS1_36merge_oddeven_config_static_selectorELNS0_4arch9wavefront6targetE1EEEvSL_,"axG",@progbits,_ZN7rocprim17ROCPRIM_400000_NS6detail17trampoline_kernelINS0_14default_configENS1_38merge_sort_block_merge_config_selectorIyNS0_10empty_typeEEEZZNS1_27merge_sort_block_merge_implIS3_N6thrust23THRUST_200600_302600_NS6detail15normal_iteratorINS9_10device_ptrIyEEEEPS5_jNS1_19radix_merge_compareILb0ELb0EyNS0_19identity_decomposerEEEEE10hipError_tT0_T1_T2_jT3_P12ihipStream_tbPNSt15iterator_traitsISK_E10value_typeEPNSQ_ISL_E10value_typeEPSM_NS1_7vsmem_tEENKUlT_SK_SL_SM_E_clIPySE_SF_SF_EESJ_SZ_SK_SL_SM_EUlSZ_E1_NS1_11comp_targetILNS1_3genE2ELNS1_11target_archE906ELNS1_3gpuE6ELNS1_3repE0EEENS1_36merge_oddeven_config_static_selectorELNS0_4arch9wavefront6targetE1EEEvSL_,comdat
.Lfunc_end745:
	.size	_ZN7rocprim17ROCPRIM_400000_NS6detail17trampoline_kernelINS0_14default_configENS1_38merge_sort_block_merge_config_selectorIyNS0_10empty_typeEEEZZNS1_27merge_sort_block_merge_implIS3_N6thrust23THRUST_200600_302600_NS6detail15normal_iteratorINS9_10device_ptrIyEEEEPS5_jNS1_19radix_merge_compareILb0ELb0EyNS0_19identity_decomposerEEEEE10hipError_tT0_T1_T2_jT3_P12ihipStream_tbPNSt15iterator_traitsISK_E10value_typeEPNSQ_ISL_E10value_typeEPSM_NS1_7vsmem_tEENKUlT_SK_SL_SM_E_clIPySE_SF_SF_EESJ_SZ_SK_SL_SM_EUlSZ_E1_NS1_11comp_targetILNS1_3genE2ELNS1_11target_archE906ELNS1_3gpuE6ELNS1_3repE0EEENS1_36merge_oddeven_config_static_selectorELNS0_4arch9wavefront6targetE1EEEvSL_, .Lfunc_end745-_ZN7rocprim17ROCPRIM_400000_NS6detail17trampoline_kernelINS0_14default_configENS1_38merge_sort_block_merge_config_selectorIyNS0_10empty_typeEEEZZNS1_27merge_sort_block_merge_implIS3_N6thrust23THRUST_200600_302600_NS6detail15normal_iteratorINS9_10device_ptrIyEEEEPS5_jNS1_19radix_merge_compareILb0ELb0EyNS0_19identity_decomposerEEEEE10hipError_tT0_T1_T2_jT3_P12ihipStream_tbPNSt15iterator_traitsISK_E10value_typeEPNSQ_ISL_E10value_typeEPSM_NS1_7vsmem_tEENKUlT_SK_SL_SM_E_clIPySE_SF_SF_EESJ_SZ_SK_SL_SM_EUlSZ_E1_NS1_11comp_targetILNS1_3genE2ELNS1_11target_archE906ELNS1_3gpuE6ELNS1_3repE0EEENS1_36merge_oddeven_config_static_selectorELNS0_4arch9wavefront6targetE1EEEvSL_
                                        ; -- End function
	.section	.AMDGPU.csdata,"",@progbits
; Kernel info:
; codeLenInByte = 0
; NumSgprs: 4
; NumVgprs: 0
; NumAgprs: 0
; TotalNumVgprs: 0
; ScratchSize: 0
; MemoryBound: 0
; FloatMode: 240
; IeeeMode: 1
; LDSByteSize: 0 bytes/workgroup (compile time only)
; SGPRBlocks: 0
; VGPRBlocks: 0
; NumSGPRsForWavesPerEU: 4
; NumVGPRsForWavesPerEU: 1
; AccumOffset: 4
; Occupancy: 8
; WaveLimiterHint : 0
; COMPUTE_PGM_RSRC2:SCRATCH_EN: 0
; COMPUTE_PGM_RSRC2:USER_SGPR: 6
; COMPUTE_PGM_RSRC2:TRAP_HANDLER: 0
; COMPUTE_PGM_RSRC2:TGID_X_EN: 1
; COMPUTE_PGM_RSRC2:TGID_Y_EN: 0
; COMPUTE_PGM_RSRC2:TGID_Z_EN: 0
; COMPUTE_PGM_RSRC2:TIDIG_COMP_CNT: 0
; COMPUTE_PGM_RSRC3_GFX90A:ACCUM_OFFSET: 0
; COMPUTE_PGM_RSRC3_GFX90A:TG_SPLIT: 0
	.section	.text._ZN7rocprim17ROCPRIM_400000_NS6detail17trampoline_kernelINS0_14default_configENS1_38merge_sort_block_merge_config_selectorIyNS0_10empty_typeEEEZZNS1_27merge_sort_block_merge_implIS3_N6thrust23THRUST_200600_302600_NS6detail15normal_iteratorINS9_10device_ptrIyEEEEPS5_jNS1_19radix_merge_compareILb0ELb0EyNS0_19identity_decomposerEEEEE10hipError_tT0_T1_T2_jT3_P12ihipStream_tbPNSt15iterator_traitsISK_E10value_typeEPNSQ_ISL_E10value_typeEPSM_NS1_7vsmem_tEENKUlT_SK_SL_SM_E_clIPySE_SF_SF_EESJ_SZ_SK_SL_SM_EUlSZ_E1_NS1_11comp_targetILNS1_3genE9ELNS1_11target_archE1100ELNS1_3gpuE3ELNS1_3repE0EEENS1_36merge_oddeven_config_static_selectorELNS0_4arch9wavefront6targetE1EEEvSL_,"axG",@progbits,_ZN7rocprim17ROCPRIM_400000_NS6detail17trampoline_kernelINS0_14default_configENS1_38merge_sort_block_merge_config_selectorIyNS0_10empty_typeEEEZZNS1_27merge_sort_block_merge_implIS3_N6thrust23THRUST_200600_302600_NS6detail15normal_iteratorINS9_10device_ptrIyEEEEPS5_jNS1_19radix_merge_compareILb0ELb0EyNS0_19identity_decomposerEEEEE10hipError_tT0_T1_T2_jT3_P12ihipStream_tbPNSt15iterator_traitsISK_E10value_typeEPNSQ_ISL_E10value_typeEPSM_NS1_7vsmem_tEENKUlT_SK_SL_SM_E_clIPySE_SF_SF_EESJ_SZ_SK_SL_SM_EUlSZ_E1_NS1_11comp_targetILNS1_3genE9ELNS1_11target_archE1100ELNS1_3gpuE3ELNS1_3repE0EEENS1_36merge_oddeven_config_static_selectorELNS0_4arch9wavefront6targetE1EEEvSL_,comdat
	.protected	_ZN7rocprim17ROCPRIM_400000_NS6detail17trampoline_kernelINS0_14default_configENS1_38merge_sort_block_merge_config_selectorIyNS0_10empty_typeEEEZZNS1_27merge_sort_block_merge_implIS3_N6thrust23THRUST_200600_302600_NS6detail15normal_iteratorINS9_10device_ptrIyEEEEPS5_jNS1_19radix_merge_compareILb0ELb0EyNS0_19identity_decomposerEEEEE10hipError_tT0_T1_T2_jT3_P12ihipStream_tbPNSt15iterator_traitsISK_E10value_typeEPNSQ_ISL_E10value_typeEPSM_NS1_7vsmem_tEENKUlT_SK_SL_SM_E_clIPySE_SF_SF_EESJ_SZ_SK_SL_SM_EUlSZ_E1_NS1_11comp_targetILNS1_3genE9ELNS1_11target_archE1100ELNS1_3gpuE3ELNS1_3repE0EEENS1_36merge_oddeven_config_static_selectorELNS0_4arch9wavefront6targetE1EEEvSL_ ; -- Begin function _ZN7rocprim17ROCPRIM_400000_NS6detail17trampoline_kernelINS0_14default_configENS1_38merge_sort_block_merge_config_selectorIyNS0_10empty_typeEEEZZNS1_27merge_sort_block_merge_implIS3_N6thrust23THRUST_200600_302600_NS6detail15normal_iteratorINS9_10device_ptrIyEEEEPS5_jNS1_19radix_merge_compareILb0ELb0EyNS0_19identity_decomposerEEEEE10hipError_tT0_T1_T2_jT3_P12ihipStream_tbPNSt15iterator_traitsISK_E10value_typeEPNSQ_ISL_E10value_typeEPSM_NS1_7vsmem_tEENKUlT_SK_SL_SM_E_clIPySE_SF_SF_EESJ_SZ_SK_SL_SM_EUlSZ_E1_NS1_11comp_targetILNS1_3genE9ELNS1_11target_archE1100ELNS1_3gpuE3ELNS1_3repE0EEENS1_36merge_oddeven_config_static_selectorELNS0_4arch9wavefront6targetE1EEEvSL_
	.globl	_ZN7rocprim17ROCPRIM_400000_NS6detail17trampoline_kernelINS0_14default_configENS1_38merge_sort_block_merge_config_selectorIyNS0_10empty_typeEEEZZNS1_27merge_sort_block_merge_implIS3_N6thrust23THRUST_200600_302600_NS6detail15normal_iteratorINS9_10device_ptrIyEEEEPS5_jNS1_19radix_merge_compareILb0ELb0EyNS0_19identity_decomposerEEEEE10hipError_tT0_T1_T2_jT3_P12ihipStream_tbPNSt15iterator_traitsISK_E10value_typeEPNSQ_ISL_E10value_typeEPSM_NS1_7vsmem_tEENKUlT_SK_SL_SM_E_clIPySE_SF_SF_EESJ_SZ_SK_SL_SM_EUlSZ_E1_NS1_11comp_targetILNS1_3genE9ELNS1_11target_archE1100ELNS1_3gpuE3ELNS1_3repE0EEENS1_36merge_oddeven_config_static_selectorELNS0_4arch9wavefront6targetE1EEEvSL_
	.p2align	8
	.type	_ZN7rocprim17ROCPRIM_400000_NS6detail17trampoline_kernelINS0_14default_configENS1_38merge_sort_block_merge_config_selectorIyNS0_10empty_typeEEEZZNS1_27merge_sort_block_merge_implIS3_N6thrust23THRUST_200600_302600_NS6detail15normal_iteratorINS9_10device_ptrIyEEEEPS5_jNS1_19radix_merge_compareILb0ELb0EyNS0_19identity_decomposerEEEEE10hipError_tT0_T1_T2_jT3_P12ihipStream_tbPNSt15iterator_traitsISK_E10value_typeEPNSQ_ISL_E10value_typeEPSM_NS1_7vsmem_tEENKUlT_SK_SL_SM_E_clIPySE_SF_SF_EESJ_SZ_SK_SL_SM_EUlSZ_E1_NS1_11comp_targetILNS1_3genE9ELNS1_11target_archE1100ELNS1_3gpuE3ELNS1_3repE0EEENS1_36merge_oddeven_config_static_selectorELNS0_4arch9wavefront6targetE1EEEvSL_,@function
_ZN7rocprim17ROCPRIM_400000_NS6detail17trampoline_kernelINS0_14default_configENS1_38merge_sort_block_merge_config_selectorIyNS0_10empty_typeEEEZZNS1_27merge_sort_block_merge_implIS3_N6thrust23THRUST_200600_302600_NS6detail15normal_iteratorINS9_10device_ptrIyEEEEPS5_jNS1_19radix_merge_compareILb0ELb0EyNS0_19identity_decomposerEEEEE10hipError_tT0_T1_T2_jT3_P12ihipStream_tbPNSt15iterator_traitsISK_E10value_typeEPNSQ_ISL_E10value_typeEPSM_NS1_7vsmem_tEENKUlT_SK_SL_SM_E_clIPySE_SF_SF_EESJ_SZ_SK_SL_SM_EUlSZ_E1_NS1_11comp_targetILNS1_3genE9ELNS1_11target_archE1100ELNS1_3gpuE3ELNS1_3repE0EEENS1_36merge_oddeven_config_static_selectorELNS0_4arch9wavefront6targetE1EEEvSL_: ; @_ZN7rocprim17ROCPRIM_400000_NS6detail17trampoline_kernelINS0_14default_configENS1_38merge_sort_block_merge_config_selectorIyNS0_10empty_typeEEEZZNS1_27merge_sort_block_merge_implIS3_N6thrust23THRUST_200600_302600_NS6detail15normal_iteratorINS9_10device_ptrIyEEEEPS5_jNS1_19radix_merge_compareILb0ELb0EyNS0_19identity_decomposerEEEEE10hipError_tT0_T1_T2_jT3_P12ihipStream_tbPNSt15iterator_traitsISK_E10value_typeEPNSQ_ISL_E10value_typeEPSM_NS1_7vsmem_tEENKUlT_SK_SL_SM_E_clIPySE_SF_SF_EESJ_SZ_SK_SL_SM_EUlSZ_E1_NS1_11comp_targetILNS1_3genE9ELNS1_11target_archE1100ELNS1_3gpuE3ELNS1_3repE0EEENS1_36merge_oddeven_config_static_selectorELNS0_4arch9wavefront6targetE1EEEvSL_
; %bb.0:
	.section	.rodata,"a",@progbits
	.p2align	6, 0x0
	.amdhsa_kernel _ZN7rocprim17ROCPRIM_400000_NS6detail17trampoline_kernelINS0_14default_configENS1_38merge_sort_block_merge_config_selectorIyNS0_10empty_typeEEEZZNS1_27merge_sort_block_merge_implIS3_N6thrust23THRUST_200600_302600_NS6detail15normal_iteratorINS9_10device_ptrIyEEEEPS5_jNS1_19radix_merge_compareILb0ELb0EyNS0_19identity_decomposerEEEEE10hipError_tT0_T1_T2_jT3_P12ihipStream_tbPNSt15iterator_traitsISK_E10value_typeEPNSQ_ISL_E10value_typeEPSM_NS1_7vsmem_tEENKUlT_SK_SL_SM_E_clIPySE_SF_SF_EESJ_SZ_SK_SL_SM_EUlSZ_E1_NS1_11comp_targetILNS1_3genE9ELNS1_11target_archE1100ELNS1_3gpuE3ELNS1_3repE0EEENS1_36merge_oddeven_config_static_selectorELNS0_4arch9wavefront6targetE1EEEvSL_
		.amdhsa_group_segment_fixed_size 0
		.amdhsa_private_segment_fixed_size 0
		.amdhsa_kernarg_size 48
		.amdhsa_user_sgpr_count 6
		.amdhsa_user_sgpr_private_segment_buffer 1
		.amdhsa_user_sgpr_dispatch_ptr 0
		.amdhsa_user_sgpr_queue_ptr 0
		.amdhsa_user_sgpr_kernarg_segment_ptr 1
		.amdhsa_user_sgpr_dispatch_id 0
		.amdhsa_user_sgpr_flat_scratch_init 0
		.amdhsa_user_sgpr_kernarg_preload_length 0
		.amdhsa_user_sgpr_kernarg_preload_offset 0
		.amdhsa_user_sgpr_private_segment_size 0
		.amdhsa_uses_dynamic_stack 0
		.amdhsa_system_sgpr_private_segment_wavefront_offset 0
		.amdhsa_system_sgpr_workgroup_id_x 1
		.amdhsa_system_sgpr_workgroup_id_y 0
		.amdhsa_system_sgpr_workgroup_id_z 0
		.amdhsa_system_sgpr_workgroup_info 0
		.amdhsa_system_vgpr_workitem_id 0
		.amdhsa_next_free_vgpr 1
		.amdhsa_next_free_sgpr 0
		.amdhsa_accum_offset 4
		.amdhsa_reserve_vcc 0
		.amdhsa_reserve_flat_scratch 0
		.amdhsa_float_round_mode_32 0
		.amdhsa_float_round_mode_16_64 0
		.amdhsa_float_denorm_mode_32 3
		.amdhsa_float_denorm_mode_16_64 3
		.amdhsa_dx10_clamp 1
		.amdhsa_ieee_mode 1
		.amdhsa_fp16_overflow 0
		.amdhsa_tg_split 0
		.amdhsa_exception_fp_ieee_invalid_op 0
		.amdhsa_exception_fp_denorm_src 0
		.amdhsa_exception_fp_ieee_div_zero 0
		.amdhsa_exception_fp_ieee_overflow 0
		.amdhsa_exception_fp_ieee_underflow 0
		.amdhsa_exception_fp_ieee_inexact 0
		.amdhsa_exception_int_div_zero 0
	.end_amdhsa_kernel
	.section	.text._ZN7rocprim17ROCPRIM_400000_NS6detail17trampoline_kernelINS0_14default_configENS1_38merge_sort_block_merge_config_selectorIyNS0_10empty_typeEEEZZNS1_27merge_sort_block_merge_implIS3_N6thrust23THRUST_200600_302600_NS6detail15normal_iteratorINS9_10device_ptrIyEEEEPS5_jNS1_19radix_merge_compareILb0ELb0EyNS0_19identity_decomposerEEEEE10hipError_tT0_T1_T2_jT3_P12ihipStream_tbPNSt15iterator_traitsISK_E10value_typeEPNSQ_ISL_E10value_typeEPSM_NS1_7vsmem_tEENKUlT_SK_SL_SM_E_clIPySE_SF_SF_EESJ_SZ_SK_SL_SM_EUlSZ_E1_NS1_11comp_targetILNS1_3genE9ELNS1_11target_archE1100ELNS1_3gpuE3ELNS1_3repE0EEENS1_36merge_oddeven_config_static_selectorELNS0_4arch9wavefront6targetE1EEEvSL_,"axG",@progbits,_ZN7rocprim17ROCPRIM_400000_NS6detail17trampoline_kernelINS0_14default_configENS1_38merge_sort_block_merge_config_selectorIyNS0_10empty_typeEEEZZNS1_27merge_sort_block_merge_implIS3_N6thrust23THRUST_200600_302600_NS6detail15normal_iteratorINS9_10device_ptrIyEEEEPS5_jNS1_19radix_merge_compareILb0ELb0EyNS0_19identity_decomposerEEEEE10hipError_tT0_T1_T2_jT3_P12ihipStream_tbPNSt15iterator_traitsISK_E10value_typeEPNSQ_ISL_E10value_typeEPSM_NS1_7vsmem_tEENKUlT_SK_SL_SM_E_clIPySE_SF_SF_EESJ_SZ_SK_SL_SM_EUlSZ_E1_NS1_11comp_targetILNS1_3genE9ELNS1_11target_archE1100ELNS1_3gpuE3ELNS1_3repE0EEENS1_36merge_oddeven_config_static_selectorELNS0_4arch9wavefront6targetE1EEEvSL_,comdat
.Lfunc_end746:
	.size	_ZN7rocprim17ROCPRIM_400000_NS6detail17trampoline_kernelINS0_14default_configENS1_38merge_sort_block_merge_config_selectorIyNS0_10empty_typeEEEZZNS1_27merge_sort_block_merge_implIS3_N6thrust23THRUST_200600_302600_NS6detail15normal_iteratorINS9_10device_ptrIyEEEEPS5_jNS1_19radix_merge_compareILb0ELb0EyNS0_19identity_decomposerEEEEE10hipError_tT0_T1_T2_jT3_P12ihipStream_tbPNSt15iterator_traitsISK_E10value_typeEPNSQ_ISL_E10value_typeEPSM_NS1_7vsmem_tEENKUlT_SK_SL_SM_E_clIPySE_SF_SF_EESJ_SZ_SK_SL_SM_EUlSZ_E1_NS1_11comp_targetILNS1_3genE9ELNS1_11target_archE1100ELNS1_3gpuE3ELNS1_3repE0EEENS1_36merge_oddeven_config_static_selectorELNS0_4arch9wavefront6targetE1EEEvSL_, .Lfunc_end746-_ZN7rocprim17ROCPRIM_400000_NS6detail17trampoline_kernelINS0_14default_configENS1_38merge_sort_block_merge_config_selectorIyNS0_10empty_typeEEEZZNS1_27merge_sort_block_merge_implIS3_N6thrust23THRUST_200600_302600_NS6detail15normal_iteratorINS9_10device_ptrIyEEEEPS5_jNS1_19radix_merge_compareILb0ELb0EyNS0_19identity_decomposerEEEEE10hipError_tT0_T1_T2_jT3_P12ihipStream_tbPNSt15iterator_traitsISK_E10value_typeEPNSQ_ISL_E10value_typeEPSM_NS1_7vsmem_tEENKUlT_SK_SL_SM_E_clIPySE_SF_SF_EESJ_SZ_SK_SL_SM_EUlSZ_E1_NS1_11comp_targetILNS1_3genE9ELNS1_11target_archE1100ELNS1_3gpuE3ELNS1_3repE0EEENS1_36merge_oddeven_config_static_selectorELNS0_4arch9wavefront6targetE1EEEvSL_
                                        ; -- End function
	.section	.AMDGPU.csdata,"",@progbits
; Kernel info:
; codeLenInByte = 0
; NumSgprs: 4
; NumVgprs: 0
; NumAgprs: 0
; TotalNumVgprs: 0
; ScratchSize: 0
; MemoryBound: 0
; FloatMode: 240
; IeeeMode: 1
; LDSByteSize: 0 bytes/workgroup (compile time only)
; SGPRBlocks: 0
; VGPRBlocks: 0
; NumSGPRsForWavesPerEU: 4
; NumVGPRsForWavesPerEU: 1
; AccumOffset: 4
; Occupancy: 8
; WaveLimiterHint : 0
; COMPUTE_PGM_RSRC2:SCRATCH_EN: 0
; COMPUTE_PGM_RSRC2:USER_SGPR: 6
; COMPUTE_PGM_RSRC2:TRAP_HANDLER: 0
; COMPUTE_PGM_RSRC2:TGID_X_EN: 1
; COMPUTE_PGM_RSRC2:TGID_Y_EN: 0
; COMPUTE_PGM_RSRC2:TGID_Z_EN: 0
; COMPUTE_PGM_RSRC2:TIDIG_COMP_CNT: 0
; COMPUTE_PGM_RSRC3_GFX90A:ACCUM_OFFSET: 0
; COMPUTE_PGM_RSRC3_GFX90A:TG_SPLIT: 0
	.section	.text._ZN7rocprim17ROCPRIM_400000_NS6detail17trampoline_kernelINS0_14default_configENS1_38merge_sort_block_merge_config_selectorIyNS0_10empty_typeEEEZZNS1_27merge_sort_block_merge_implIS3_N6thrust23THRUST_200600_302600_NS6detail15normal_iteratorINS9_10device_ptrIyEEEEPS5_jNS1_19radix_merge_compareILb0ELb0EyNS0_19identity_decomposerEEEEE10hipError_tT0_T1_T2_jT3_P12ihipStream_tbPNSt15iterator_traitsISK_E10value_typeEPNSQ_ISL_E10value_typeEPSM_NS1_7vsmem_tEENKUlT_SK_SL_SM_E_clIPySE_SF_SF_EESJ_SZ_SK_SL_SM_EUlSZ_E1_NS1_11comp_targetILNS1_3genE8ELNS1_11target_archE1030ELNS1_3gpuE2ELNS1_3repE0EEENS1_36merge_oddeven_config_static_selectorELNS0_4arch9wavefront6targetE1EEEvSL_,"axG",@progbits,_ZN7rocprim17ROCPRIM_400000_NS6detail17trampoline_kernelINS0_14default_configENS1_38merge_sort_block_merge_config_selectorIyNS0_10empty_typeEEEZZNS1_27merge_sort_block_merge_implIS3_N6thrust23THRUST_200600_302600_NS6detail15normal_iteratorINS9_10device_ptrIyEEEEPS5_jNS1_19radix_merge_compareILb0ELb0EyNS0_19identity_decomposerEEEEE10hipError_tT0_T1_T2_jT3_P12ihipStream_tbPNSt15iterator_traitsISK_E10value_typeEPNSQ_ISL_E10value_typeEPSM_NS1_7vsmem_tEENKUlT_SK_SL_SM_E_clIPySE_SF_SF_EESJ_SZ_SK_SL_SM_EUlSZ_E1_NS1_11comp_targetILNS1_3genE8ELNS1_11target_archE1030ELNS1_3gpuE2ELNS1_3repE0EEENS1_36merge_oddeven_config_static_selectorELNS0_4arch9wavefront6targetE1EEEvSL_,comdat
	.protected	_ZN7rocprim17ROCPRIM_400000_NS6detail17trampoline_kernelINS0_14default_configENS1_38merge_sort_block_merge_config_selectorIyNS0_10empty_typeEEEZZNS1_27merge_sort_block_merge_implIS3_N6thrust23THRUST_200600_302600_NS6detail15normal_iteratorINS9_10device_ptrIyEEEEPS5_jNS1_19radix_merge_compareILb0ELb0EyNS0_19identity_decomposerEEEEE10hipError_tT0_T1_T2_jT3_P12ihipStream_tbPNSt15iterator_traitsISK_E10value_typeEPNSQ_ISL_E10value_typeEPSM_NS1_7vsmem_tEENKUlT_SK_SL_SM_E_clIPySE_SF_SF_EESJ_SZ_SK_SL_SM_EUlSZ_E1_NS1_11comp_targetILNS1_3genE8ELNS1_11target_archE1030ELNS1_3gpuE2ELNS1_3repE0EEENS1_36merge_oddeven_config_static_selectorELNS0_4arch9wavefront6targetE1EEEvSL_ ; -- Begin function _ZN7rocprim17ROCPRIM_400000_NS6detail17trampoline_kernelINS0_14default_configENS1_38merge_sort_block_merge_config_selectorIyNS0_10empty_typeEEEZZNS1_27merge_sort_block_merge_implIS3_N6thrust23THRUST_200600_302600_NS6detail15normal_iteratorINS9_10device_ptrIyEEEEPS5_jNS1_19radix_merge_compareILb0ELb0EyNS0_19identity_decomposerEEEEE10hipError_tT0_T1_T2_jT3_P12ihipStream_tbPNSt15iterator_traitsISK_E10value_typeEPNSQ_ISL_E10value_typeEPSM_NS1_7vsmem_tEENKUlT_SK_SL_SM_E_clIPySE_SF_SF_EESJ_SZ_SK_SL_SM_EUlSZ_E1_NS1_11comp_targetILNS1_3genE8ELNS1_11target_archE1030ELNS1_3gpuE2ELNS1_3repE0EEENS1_36merge_oddeven_config_static_selectorELNS0_4arch9wavefront6targetE1EEEvSL_
	.globl	_ZN7rocprim17ROCPRIM_400000_NS6detail17trampoline_kernelINS0_14default_configENS1_38merge_sort_block_merge_config_selectorIyNS0_10empty_typeEEEZZNS1_27merge_sort_block_merge_implIS3_N6thrust23THRUST_200600_302600_NS6detail15normal_iteratorINS9_10device_ptrIyEEEEPS5_jNS1_19radix_merge_compareILb0ELb0EyNS0_19identity_decomposerEEEEE10hipError_tT0_T1_T2_jT3_P12ihipStream_tbPNSt15iterator_traitsISK_E10value_typeEPNSQ_ISL_E10value_typeEPSM_NS1_7vsmem_tEENKUlT_SK_SL_SM_E_clIPySE_SF_SF_EESJ_SZ_SK_SL_SM_EUlSZ_E1_NS1_11comp_targetILNS1_3genE8ELNS1_11target_archE1030ELNS1_3gpuE2ELNS1_3repE0EEENS1_36merge_oddeven_config_static_selectorELNS0_4arch9wavefront6targetE1EEEvSL_
	.p2align	8
	.type	_ZN7rocprim17ROCPRIM_400000_NS6detail17trampoline_kernelINS0_14default_configENS1_38merge_sort_block_merge_config_selectorIyNS0_10empty_typeEEEZZNS1_27merge_sort_block_merge_implIS3_N6thrust23THRUST_200600_302600_NS6detail15normal_iteratorINS9_10device_ptrIyEEEEPS5_jNS1_19radix_merge_compareILb0ELb0EyNS0_19identity_decomposerEEEEE10hipError_tT0_T1_T2_jT3_P12ihipStream_tbPNSt15iterator_traitsISK_E10value_typeEPNSQ_ISL_E10value_typeEPSM_NS1_7vsmem_tEENKUlT_SK_SL_SM_E_clIPySE_SF_SF_EESJ_SZ_SK_SL_SM_EUlSZ_E1_NS1_11comp_targetILNS1_3genE8ELNS1_11target_archE1030ELNS1_3gpuE2ELNS1_3repE0EEENS1_36merge_oddeven_config_static_selectorELNS0_4arch9wavefront6targetE1EEEvSL_,@function
_ZN7rocprim17ROCPRIM_400000_NS6detail17trampoline_kernelINS0_14default_configENS1_38merge_sort_block_merge_config_selectorIyNS0_10empty_typeEEEZZNS1_27merge_sort_block_merge_implIS3_N6thrust23THRUST_200600_302600_NS6detail15normal_iteratorINS9_10device_ptrIyEEEEPS5_jNS1_19radix_merge_compareILb0ELb0EyNS0_19identity_decomposerEEEEE10hipError_tT0_T1_T2_jT3_P12ihipStream_tbPNSt15iterator_traitsISK_E10value_typeEPNSQ_ISL_E10value_typeEPSM_NS1_7vsmem_tEENKUlT_SK_SL_SM_E_clIPySE_SF_SF_EESJ_SZ_SK_SL_SM_EUlSZ_E1_NS1_11comp_targetILNS1_3genE8ELNS1_11target_archE1030ELNS1_3gpuE2ELNS1_3repE0EEENS1_36merge_oddeven_config_static_selectorELNS0_4arch9wavefront6targetE1EEEvSL_: ; @_ZN7rocprim17ROCPRIM_400000_NS6detail17trampoline_kernelINS0_14default_configENS1_38merge_sort_block_merge_config_selectorIyNS0_10empty_typeEEEZZNS1_27merge_sort_block_merge_implIS3_N6thrust23THRUST_200600_302600_NS6detail15normal_iteratorINS9_10device_ptrIyEEEEPS5_jNS1_19radix_merge_compareILb0ELb0EyNS0_19identity_decomposerEEEEE10hipError_tT0_T1_T2_jT3_P12ihipStream_tbPNSt15iterator_traitsISK_E10value_typeEPNSQ_ISL_E10value_typeEPSM_NS1_7vsmem_tEENKUlT_SK_SL_SM_E_clIPySE_SF_SF_EESJ_SZ_SK_SL_SM_EUlSZ_E1_NS1_11comp_targetILNS1_3genE8ELNS1_11target_archE1030ELNS1_3gpuE2ELNS1_3repE0EEENS1_36merge_oddeven_config_static_selectorELNS0_4arch9wavefront6targetE1EEEvSL_
; %bb.0:
	.section	.rodata,"a",@progbits
	.p2align	6, 0x0
	.amdhsa_kernel _ZN7rocprim17ROCPRIM_400000_NS6detail17trampoline_kernelINS0_14default_configENS1_38merge_sort_block_merge_config_selectorIyNS0_10empty_typeEEEZZNS1_27merge_sort_block_merge_implIS3_N6thrust23THRUST_200600_302600_NS6detail15normal_iteratorINS9_10device_ptrIyEEEEPS5_jNS1_19radix_merge_compareILb0ELb0EyNS0_19identity_decomposerEEEEE10hipError_tT0_T1_T2_jT3_P12ihipStream_tbPNSt15iterator_traitsISK_E10value_typeEPNSQ_ISL_E10value_typeEPSM_NS1_7vsmem_tEENKUlT_SK_SL_SM_E_clIPySE_SF_SF_EESJ_SZ_SK_SL_SM_EUlSZ_E1_NS1_11comp_targetILNS1_3genE8ELNS1_11target_archE1030ELNS1_3gpuE2ELNS1_3repE0EEENS1_36merge_oddeven_config_static_selectorELNS0_4arch9wavefront6targetE1EEEvSL_
		.amdhsa_group_segment_fixed_size 0
		.amdhsa_private_segment_fixed_size 0
		.amdhsa_kernarg_size 48
		.amdhsa_user_sgpr_count 6
		.amdhsa_user_sgpr_private_segment_buffer 1
		.amdhsa_user_sgpr_dispatch_ptr 0
		.amdhsa_user_sgpr_queue_ptr 0
		.amdhsa_user_sgpr_kernarg_segment_ptr 1
		.amdhsa_user_sgpr_dispatch_id 0
		.amdhsa_user_sgpr_flat_scratch_init 0
		.amdhsa_user_sgpr_kernarg_preload_length 0
		.amdhsa_user_sgpr_kernarg_preload_offset 0
		.amdhsa_user_sgpr_private_segment_size 0
		.amdhsa_uses_dynamic_stack 0
		.amdhsa_system_sgpr_private_segment_wavefront_offset 0
		.amdhsa_system_sgpr_workgroup_id_x 1
		.amdhsa_system_sgpr_workgroup_id_y 0
		.amdhsa_system_sgpr_workgroup_id_z 0
		.amdhsa_system_sgpr_workgroup_info 0
		.amdhsa_system_vgpr_workitem_id 0
		.amdhsa_next_free_vgpr 1
		.amdhsa_next_free_sgpr 0
		.amdhsa_accum_offset 4
		.amdhsa_reserve_vcc 0
		.amdhsa_reserve_flat_scratch 0
		.amdhsa_float_round_mode_32 0
		.amdhsa_float_round_mode_16_64 0
		.amdhsa_float_denorm_mode_32 3
		.amdhsa_float_denorm_mode_16_64 3
		.amdhsa_dx10_clamp 1
		.amdhsa_ieee_mode 1
		.amdhsa_fp16_overflow 0
		.amdhsa_tg_split 0
		.amdhsa_exception_fp_ieee_invalid_op 0
		.amdhsa_exception_fp_denorm_src 0
		.amdhsa_exception_fp_ieee_div_zero 0
		.amdhsa_exception_fp_ieee_overflow 0
		.amdhsa_exception_fp_ieee_underflow 0
		.amdhsa_exception_fp_ieee_inexact 0
		.amdhsa_exception_int_div_zero 0
	.end_amdhsa_kernel
	.section	.text._ZN7rocprim17ROCPRIM_400000_NS6detail17trampoline_kernelINS0_14default_configENS1_38merge_sort_block_merge_config_selectorIyNS0_10empty_typeEEEZZNS1_27merge_sort_block_merge_implIS3_N6thrust23THRUST_200600_302600_NS6detail15normal_iteratorINS9_10device_ptrIyEEEEPS5_jNS1_19radix_merge_compareILb0ELb0EyNS0_19identity_decomposerEEEEE10hipError_tT0_T1_T2_jT3_P12ihipStream_tbPNSt15iterator_traitsISK_E10value_typeEPNSQ_ISL_E10value_typeEPSM_NS1_7vsmem_tEENKUlT_SK_SL_SM_E_clIPySE_SF_SF_EESJ_SZ_SK_SL_SM_EUlSZ_E1_NS1_11comp_targetILNS1_3genE8ELNS1_11target_archE1030ELNS1_3gpuE2ELNS1_3repE0EEENS1_36merge_oddeven_config_static_selectorELNS0_4arch9wavefront6targetE1EEEvSL_,"axG",@progbits,_ZN7rocprim17ROCPRIM_400000_NS6detail17trampoline_kernelINS0_14default_configENS1_38merge_sort_block_merge_config_selectorIyNS0_10empty_typeEEEZZNS1_27merge_sort_block_merge_implIS3_N6thrust23THRUST_200600_302600_NS6detail15normal_iteratorINS9_10device_ptrIyEEEEPS5_jNS1_19radix_merge_compareILb0ELb0EyNS0_19identity_decomposerEEEEE10hipError_tT0_T1_T2_jT3_P12ihipStream_tbPNSt15iterator_traitsISK_E10value_typeEPNSQ_ISL_E10value_typeEPSM_NS1_7vsmem_tEENKUlT_SK_SL_SM_E_clIPySE_SF_SF_EESJ_SZ_SK_SL_SM_EUlSZ_E1_NS1_11comp_targetILNS1_3genE8ELNS1_11target_archE1030ELNS1_3gpuE2ELNS1_3repE0EEENS1_36merge_oddeven_config_static_selectorELNS0_4arch9wavefront6targetE1EEEvSL_,comdat
.Lfunc_end747:
	.size	_ZN7rocprim17ROCPRIM_400000_NS6detail17trampoline_kernelINS0_14default_configENS1_38merge_sort_block_merge_config_selectorIyNS0_10empty_typeEEEZZNS1_27merge_sort_block_merge_implIS3_N6thrust23THRUST_200600_302600_NS6detail15normal_iteratorINS9_10device_ptrIyEEEEPS5_jNS1_19radix_merge_compareILb0ELb0EyNS0_19identity_decomposerEEEEE10hipError_tT0_T1_T2_jT3_P12ihipStream_tbPNSt15iterator_traitsISK_E10value_typeEPNSQ_ISL_E10value_typeEPSM_NS1_7vsmem_tEENKUlT_SK_SL_SM_E_clIPySE_SF_SF_EESJ_SZ_SK_SL_SM_EUlSZ_E1_NS1_11comp_targetILNS1_3genE8ELNS1_11target_archE1030ELNS1_3gpuE2ELNS1_3repE0EEENS1_36merge_oddeven_config_static_selectorELNS0_4arch9wavefront6targetE1EEEvSL_, .Lfunc_end747-_ZN7rocprim17ROCPRIM_400000_NS6detail17trampoline_kernelINS0_14default_configENS1_38merge_sort_block_merge_config_selectorIyNS0_10empty_typeEEEZZNS1_27merge_sort_block_merge_implIS3_N6thrust23THRUST_200600_302600_NS6detail15normal_iteratorINS9_10device_ptrIyEEEEPS5_jNS1_19radix_merge_compareILb0ELb0EyNS0_19identity_decomposerEEEEE10hipError_tT0_T1_T2_jT3_P12ihipStream_tbPNSt15iterator_traitsISK_E10value_typeEPNSQ_ISL_E10value_typeEPSM_NS1_7vsmem_tEENKUlT_SK_SL_SM_E_clIPySE_SF_SF_EESJ_SZ_SK_SL_SM_EUlSZ_E1_NS1_11comp_targetILNS1_3genE8ELNS1_11target_archE1030ELNS1_3gpuE2ELNS1_3repE0EEENS1_36merge_oddeven_config_static_selectorELNS0_4arch9wavefront6targetE1EEEvSL_
                                        ; -- End function
	.section	.AMDGPU.csdata,"",@progbits
; Kernel info:
; codeLenInByte = 0
; NumSgprs: 4
; NumVgprs: 0
; NumAgprs: 0
; TotalNumVgprs: 0
; ScratchSize: 0
; MemoryBound: 0
; FloatMode: 240
; IeeeMode: 1
; LDSByteSize: 0 bytes/workgroup (compile time only)
; SGPRBlocks: 0
; VGPRBlocks: 0
; NumSGPRsForWavesPerEU: 4
; NumVGPRsForWavesPerEU: 1
; AccumOffset: 4
; Occupancy: 8
; WaveLimiterHint : 0
; COMPUTE_PGM_RSRC2:SCRATCH_EN: 0
; COMPUTE_PGM_RSRC2:USER_SGPR: 6
; COMPUTE_PGM_RSRC2:TRAP_HANDLER: 0
; COMPUTE_PGM_RSRC2:TGID_X_EN: 1
; COMPUTE_PGM_RSRC2:TGID_Y_EN: 0
; COMPUTE_PGM_RSRC2:TGID_Z_EN: 0
; COMPUTE_PGM_RSRC2:TIDIG_COMP_CNT: 0
; COMPUTE_PGM_RSRC3_GFX90A:ACCUM_OFFSET: 0
; COMPUTE_PGM_RSRC3_GFX90A:TG_SPLIT: 0
	.section	.text._ZN7rocprim17ROCPRIM_400000_NS6detail17trampoline_kernelINS0_14default_configENS1_38merge_sort_block_merge_config_selectorIyNS0_10empty_typeEEEZZNS1_27merge_sort_block_merge_implIS3_N6thrust23THRUST_200600_302600_NS6detail15normal_iteratorINS9_10device_ptrIyEEEEPS5_jNS1_19radix_merge_compareILb0ELb0EyNS0_19identity_decomposerEEEEE10hipError_tT0_T1_T2_jT3_P12ihipStream_tbPNSt15iterator_traitsISK_E10value_typeEPNSQ_ISL_E10value_typeEPSM_NS1_7vsmem_tEENKUlT_SK_SL_SM_E_clISE_PySF_SF_EESJ_SZ_SK_SL_SM_EUlSZ_E_NS1_11comp_targetILNS1_3genE0ELNS1_11target_archE4294967295ELNS1_3gpuE0ELNS1_3repE0EEENS1_48merge_mergepath_partition_config_static_selectorELNS0_4arch9wavefront6targetE1EEEvSL_,"axG",@progbits,_ZN7rocprim17ROCPRIM_400000_NS6detail17trampoline_kernelINS0_14default_configENS1_38merge_sort_block_merge_config_selectorIyNS0_10empty_typeEEEZZNS1_27merge_sort_block_merge_implIS3_N6thrust23THRUST_200600_302600_NS6detail15normal_iteratorINS9_10device_ptrIyEEEEPS5_jNS1_19radix_merge_compareILb0ELb0EyNS0_19identity_decomposerEEEEE10hipError_tT0_T1_T2_jT3_P12ihipStream_tbPNSt15iterator_traitsISK_E10value_typeEPNSQ_ISL_E10value_typeEPSM_NS1_7vsmem_tEENKUlT_SK_SL_SM_E_clISE_PySF_SF_EESJ_SZ_SK_SL_SM_EUlSZ_E_NS1_11comp_targetILNS1_3genE0ELNS1_11target_archE4294967295ELNS1_3gpuE0ELNS1_3repE0EEENS1_48merge_mergepath_partition_config_static_selectorELNS0_4arch9wavefront6targetE1EEEvSL_,comdat
	.protected	_ZN7rocprim17ROCPRIM_400000_NS6detail17trampoline_kernelINS0_14default_configENS1_38merge_sort_block_merge_config_selectorIyNS0_10empty_typeEEEZZNS1_27merge_sort_block_merge_implIS3_N6thrust23THRUST_200600_302600_NS6detail15normal_iteratorINS9_10device_ptrIyEEEEPS5_jNS1_19radix_merge_compareILb0ELb0EyNS0_19identity_decomposerEEEEE10hipError_tT0_T1_T2_jT3_P12ihipStream_tbPNSt15iterator_traitsISK_E10value_typeEPNSQ_ISL_E10value_typeEPSM_NS1_7vsmem_tEENKUlT_SK_SL_SM_E_clISE_PySF_SF_EESJ_SZ_SK_SL_SM_EUlSZ_E_NS1_11comp_targetILNS1_3genE0ELNS1_11target_archE4294967295ELNS1_3gpuE0ELNS1_3repE0EEENS1_48merge_mergepath_partition_config_static_selectorELNS0_4arch9wavefront6targetE1EEEvSL_ ; -- Begin function _ZN7rocprim17ROCPRIM_400000_NS6detail17trampoline_kernelINS0_14default_configENS1_38merge_sort_block_merge_config_selectorIyNS0_10empty_typeEEEZZNS1_27merge_sort_block_merge_implIS3_N6thrust23THRUST_200600_302600_NS6detail15normal_iteratorINS9_10device_ptrIyEEEEPS5_jNS1_19radix_merge_compareILb0ELb0EyNS0_19identity_decomposerEEEEE10hipError_tT0_T1_T2_jT3_P12ihipStream_tbPNSt15iterator_traitsISK_E10value_typeEPNSQ_ISL_E10value_typeEPSM_NS1_7vsmem_tEENKUlT_SK_SL_SM_E_clISE_PySF_SF_EESJ_SZ_SK_SL_SM_EUlSZ_E_NS1_11comp_targetILNS1_3genE0ELNS1_11target_archE4294967295ELNS1_3gpuE0ELNS1_3repE0EEENS1_48merge_mergepath_partition_config_static_selectorELNS0_4arch9wavefront6targetE1EEEvSL_
	.globl	_ZN7rocprim17ROCPRIM_400000_NS6detail17trampoline_kernelINS0_14default_configENS1_38merge_sort_block_merge_config_selectorIyNS0_10empty_typeEEEZZNS1_27merge_sort_block_merge_implIS3_N6thrust23THRUST_200600_302600_NS6detail15normal_iteratorINS9_10device_ptrIyEEEEPS5_jNS1_19radix_merge_compareILb0ELb0EyNS0_19identity_decomposerEEEEE10hipError_tT0_T1_T2_jT3_P12ihipStream_tbPNSt15iterator_traitsISK_E10value_typeEPNSQ_ISL_E10value_typeEPSM_NS1_7vsmem_tEENKUlT_SK_SL_SM_E_clISE_PySF_SF_EESJ_SZ_SK_SL_SM_EUlSZ_E_NS1_11comp_targetILNS1_3genE0ELNS1_11target_archE4294967295ELNS1_3gpuE0ELNS1_3repE0EEENS1_48merge_mergepath_partition_config_static_selectorELNS0_4arch9wavefront6targetE1EEEvSL_
	.p2align	8
	.type	_ZN7rocprim17ROCPRIM_400000_NS6detail17trampoline_kernelINS0_14default_configENS1_38merge_sort_block_merge_config_selectorIyNS0_10empty_typeEEEZZNS1_27merge_sort_block_merge_implIS3_N6thrust23THRUST_200600_302600_NS6detail15normal_iteratorINS9_10device_ptrIyEEEEPS5_jNS1_19radix_merge_compareILb0ELb0EyNS0_19identity_decomposerEEEEE10hipError_tT0_T1_T2_jT3_P12ihipStream_tbPNSt15iterator_traitsISK_E10value_typeEPNSQ_ISL_E10value_typeEPSM_NS1_7vsmem_tEENKUlT_SK_SL_SM_E_clISE_PySF_SF_EESJ_SZ_SK_SL_SM_EUlSZ_E_NS1_11comp_targetILNS1_3genE0ELNS1_11target_archE4294967295ELNS1_3gpuE0ELNS1_3repE0EEENS1_48merge_mergepath_partition_config_static_selectorELNS0_4arch9wavefront6targetE1EEEvSL_,@function
_ZN7rocprim17ROCPRIM_400000_NS6detail17trampoline_kernelINS0_14default_configENS1_38merge_sort_block_merge_config_selectorIyNS0_10empty_typeEEEZZNS1_27merge_sort_block_merge_implIS3_N6thrust23THRUST_200600_302600_NS6detail15normal_iteratorINS9_10device_ptrIyEEEEPS5_jNS1_19radix_merge_compareILb0ELb0EyNS0_19identity_decomposerEEEEE10hipError_tT0_T1_T2_jT3_P12ihipStream_tbPNSt15iterator_traitsISK_E10value_typeEPNSQ_ISL_E10value_typeEPSM_NS1_7vsmem_tEENKUlT_SK_SL_SM_E_clISE_PySF_SF_EESJ_SZ_SK_SL_SM_EUlSZ_E_NS1_11comp_targetILNS1_3genE0ELNS1_11target_archE4294967295ELNS1_3gpuE0ELNS1_3repE0EEENS1_48merge_mergepath_partition_config_static_selectorELNS0_4arch9wavefront6targetE1EEEvSL_: ; @_ZN7rocprim17ROCPRIM_400000_NS6detail17trampoline_kernelINS0_14default_configENS1_38merge_sort_block_merge_config_selectorIyNS0_10empty_typeEEEZZNS1_27merge_sort_block_merge_implIS3_N6thrust23THRUST_200600_302600_NS6detail15normal_iteratorINS9_10device_ptrIyEEEEPS5_jNS1_19radix_merge_compareILb0ELb0EyNS0_19identity_decomposerEEEEE10hipError_tT0_T1_T2_jT3_P12ihipStream_tbPNSt15iterator_traitsISK_E10value_typeEPNSQ_ISL_E10value_typeEPSM_NS1_7vsmem_tEENKUlT_SK_SL_SM_E_clISE_PySF_SF_EESJ_SZ_SK_SL_SM_EUlSZ_E_NS1_11comp_targetILNS1_3genE0ELNS1_11target_archE4294967295ELNS1_3gpuE0ELNS1_3repE0EEENS1_48merge_mergepath_partition_config_static_selectorELNS0_4arch9wavefront6targetE1EEEvSL_
; %bb.0:
	.section	.rodata,"a",@progbits
	.p2align	6, 0x0
	.amdhsa_kernel _ZN7rocprim17ROCPRIM_400000_NS6detail17trampoline_kernelINS0_14default_configENS1_38merge_sort_block_merge_config_selectorIyNS0_10empty_typeEEEZZNS1_27merge_sort_block_merge_implIS3_N6thrust23THRUST_200600_302600_NS6detail15normal_iteratorINS9_10device_ptrIyEEEEPS5_jNS1_19radix_merge_compareILb0ELb0EyNS0_19identity_decomposerEEEEE10hipError_tT0_T1_T2_jT3_P12ihipStream_tbPNSt15iterator_traitsISK_E10value_typeEPNSQ_ISL_E10value_typeEPSM_NS1_7vsmem_tEENKUlT_SK_SL_SM_E_clISE_PySF_SF_EESJ_SZ_SK_SL_SM_EUlSZ_E_NS1_11comp_targetILNS1_3genE0ELNS1_11target_archE4294967295ELNS1_3gpuE0ELNS1_3repE0EEENS1_48merge_mergepath_partition_config_static_selectorELNS0_4arch9wavefront6targetE1EEEvSL_
		.amdhsa_group_segment_fixed_size 0
		.amdhsa_private_segment_fixed_size 0
		.amdhsa_kernarg_size 40
		.amdhsa_user_sgpr_count 6
		.amdhsa_user_sgpr_private_segment_buffer 1
		.amdhsa_user_sgpr_dispatch_ptr 0
		.amdhsa_user_sgpr_queue_ptr 0
		.amdhsa_user_sgpr_kernarg_segment_ptr 1
		.amdhsa_user_sgpr_dispatch_id 0
		.amdhsa_user_sgpr_flat_scratch_init 0
		.amdhsa_user_sgpr_kernarg_preload_length 0
		.amdhsa_user_sgpr_kernarg_preload_offset 0
		.amdhsa_user_sgpr_private_segment_size 0
		.amdhsa_uses_dynamic_stack 0
		.amdhsa_system_sgpr_private_segment_wavefront_offset 0
		.amdhsa_system_sgpr_workgroup_id_x 1
		.amdhsa_system_sgpr_workgroup_id_y 0
		.amdhsa_system_sgpr_workgroup_id_z 0
		.amdhsa_system_sgpr_workgroup_info 0
		.amdhsa_system_vgpr_workitem_id 0
		.amdhsa_next_free_vgpr 1
		.amdhsa_next_free_sgpr 0
		.amdhsa_accum_offset 4
		.amdhsa_reserve_vcc 0
		.amdhsa_reserve_flat_scratch 0
		.amdhsa_float_round_mode_32 0
		.amdhsa_float_round_mode_16_64 0
		.amdhsa_float_denorm_mode_32 3
		.amdhsa_float_denorm_mode_16_64 3
		.amdhsa_dx10_clamp 1
		.amdhsa_ieee_mode 1
		.amdhsa_fp16_overflow 0
		.amdhsa_tg_split 0
		.amdhsa_exception_fp_ieee_invalid_op 0
		.amdhsa_exception_fp_denorm_src 0
		.amdhsa_exception_fp_ieee_div_zero 0
		.amdhsa_exception_fp_ieee_overflow 0
		.amdhsa_exception_fp_ieee_underflow 0
		.amdhsa_exception_fp_ieee_inexact 0
		.amdhsa_exception_int_div_zero 0
	.end_amdhsa_kernel
	.section	.text._ZN7rocprim17ROCPRIM_400000_NS6detail17trampoline_kernelINS0_14default_configENS1_38merge_sort_block_merge_config_selectorIyNS0_10empty_typeEEEZZNS1_27merge_sort_block_merge_implIS3_N6thrust23THRUST_200600_302600_NS6detail15normal_iteratorINS9_10device_ptrIyEEEEPS5_jNS1_19radix_merge_compareILb0ELb0EyNS0_19identity_decomposerEEEEE10hipError_tT0_T1_T2_jT3_P12ihipStream_tbPNSt15iterator_traitsISK_E10value_typeEPNSQ_ISL_E10value_typeEPSM_NS1_7vsmem_tEENKUlT_SK_SL_SM_E_clISE_PySF_SF_EESJ_SZ_SK_SL_SM_EUlSZ_E_NS1_11comp_targetILNS1_3genE0ELNS1_11target_archE4294967295ELNS1_3gpuE0ELNS1_3repE0EEENS1_48merge_mergepath_partition_config_static_selectorELNS0_4arch9wavefront6targetE1EEEvSL_,"axG",@progbits,_ZN7rocprim17ROCPRIM_400000_NS6detail17trampoline_kernelINS0_14default_configENS1_38merge_sort_block_merge_config_selectorIyNS0_10empty_typeEEEZZNS1_27merge_sort_block_merge_implIS3_N6thrust23THRUST_200600_302600_NS6detail15normal_iteratorINS9_10device_ptrIyEEEEPS5_jNS1_19radix_merge_compareILb0ELb0EyNS0_19identity_decomposerEEEEE10hipError_tT0_T1_T2_jT3_P12ihipStream_tbPNSt15iterator_traitsISK_E10value_typeEPNSQ_ISL_E10value_typeEPSM_NS1_7vsmem_tEENKUlT_SK_SL_SM_E_clISE_PySF_SF_EESJ_SZ_SK_SL_SM_EUlSZ_E_NS1_11comp_targetILNS1_3genE0ELNS1_11target_archE4294967295ELNS1_3gpuE0ELNS1_3repE0EEENS1_48merge_mergepath_partition_config_static_selectorELNS0_4arch9wavefront6targetE1EEEvSL_,comdat
.Lfunc_end748:
	.size	_ZN7rocprim17ROCPRIM_400000_NS6detail17trampoline_kernelINS0_14default_configENS1_38merge_sort_block_merge_config_selectorIyNS0_10empty_typeEEEZZNS1_27merge_sort_block_merge_implIS3_N6thrust23THRUST_200600_302600_NS6detail15normal_iteratorINS9_10device_ptrIyEEEEPS5_jNS1_19radix_merge_compareILb0ELb0EyNS0_19identity_decomposerEEEEE10hipError_tT0_T1_T2_jT3_P12ihipStream_tbPNSt15iterator_traitsISK_E10value_typeEPNSQ_ISL_E10value_typeEPSM_NS1_7vsmem_tEENKUlT_SK_SL_SM_E_clISE_PySF_SF_EESJ_SZ_SK_SL_SM_EUlSZ_E_NS1_11comp_targetILNS1_3genE0ELNS1_11target_archE4294967295ELNS1_3gpuE0ELNS1_3repE0EEENS1_48merge_mergepath_partition_config_static_selectorELNS0_4arch9wavefront6targetE1EEEvSL_, .Lfunc_end748-_ZN7rocprim17ROCPRIM_400000_NS6detail17trampoline_kernelINS0_14default_configENS1_38merge_sort_block_merge_config_selectorIyNS0_10empty_typeEEEZZNS1_27merge_sort_block_merge_implIS3_N6thrust23THRUST_200600_302600_NS6detail15normal_iteratorINS9_10device_ptrIyEEEEPS5_jNS1_19radix_merge_compareILb0ELb0EyNS0_19identity_decomposerEEEEE10hipError_tT0_T1_T2_jT3_P12ihipStream_tbPNSt15iterator_traitsISK_E10value_typeEPNSQ_ISL_E10value_typeEPSM_NS1_7vsmem_tEENKUlT_SK_SL_SM_E_clISE_PySF_SF_EESJ_SZ_SK_SL_SM_EUlSZ_E_NS1_11comp_targetILNS1_3genE0ELNS1_11target_archE4294967295ELNS1_3gpuE0ELNS1_3repE0EEENS1_48merge_mergepath_partition_config_static_selectorELNS0_4arch9wavefront6targetE1EEEvSL_
                                        ; -- End function
	.section	.AMDGPU.csdata,"",@progbits
; Kernel info:
; codeLenInByte = 0
; NumSgprs: 4
; NumVgprs: 0
; NumAgprs: 0
; TotalNumVgprs: 0
; ScratchSize: 0
; MemoryBound: 0
; FloatMode: 240
; IeeeMode: 1
; LDSByteSize: 0 bytes/workgroup (compile time only)
; SGPRBlocks: 0
; VGPRBlocks: 0
; NumSGPRsForWavesPerEU: 4
; NumVGPRsForWavesPerEU: 1
; AccumOffset: 4
; Occupancy: 8
; WaveLimiterHint : 0
; COMPUTE_PGM_RSRC2:SCRATCH_EN: 0
; COMPUTE_PGM_RSRC2:USER_SGPR: 6
; COMPUTE_PGM_RSRC2:TRAP_HANDLER: 0
; COMPUTE_PGM_RSRC2:TGID_X_EN: 1
; COMPUTE_PGM_RSRC2:TGID_Y_EN: 0
; COMPUTE_PGM_RSRC2:TGID_Z_EN: 0
; COMPUTE_PGM_RSRC2:TIDIG_COMP_CNT: 0
; COMPUTE_PGM_RSRC3_GFX90A:ACCUM_OFFSET: 0
; COMPUTE_PGM_RSRC3_GFX90A:TG_SPLIT: 0
	.section	.text._ZN7rocprim17ROCPRIM_400000_NS6detail17trampoline_kernelINS0_14default_configENS1_38merge_sort_block_merge_config_selectorIyNS0_10empty_typeEEEZZNS1_27merge_sort_block_merge_implIS3_N6thrust23THRUST_200600_302600_NS6detail15normal_iteratorINS9_10device_ptrIyEEEEPS5_jNS1_19radix_merge_compareILb0ELb0EyNS0_19identity_decomposerEEEEE10hipError_tT0_T1_T2_jT3_P12ihipStream_tbPNSt15iterator_traitsISK_E10value_typeEPNSQ_ISL_E10value_typeEPSM_NS1_7vsmem_tEENKUlT_SK_SL_SM_E_clISE_PySF_SF_EESJ_SZ_SK_SL_SM_EUlSZ_E_NS1_11comp_targetILNS1_3genE10ELNS1_11target_archE1201ELNS1_3gpuE5ELNS1_3repE0EEENS1_48merge_mergepath_partition_config_static_selectorELNS0_4arch9wavefront6targetE1EEEvSL_,"axG",@progbits,_ZN7rocprim17ROCPRIM_400000_NS6detail17trampoline_kernelINS0_14default_configENS1_38merge_sort_block_merge_config_selectorIyNS0_10empty_typeEEEZZNS1_27merge_sort_block_merge_implIS3_N6thrust23THRUST_200600_302600_NS6detail15normal_iteratorINS9_10device_ptrIyEEEEPS5_jNS1_19radix_merge_compareILb0ELb0EyNS0_19identity_decomposerEEEEE10hipError_tT0_T1_T2_jT3_P12ihipStream_tbPNSt15iterator_traitsISK_E10value_typeEPNSQ_ISL_E10value_typeEPSM_NS1_7vsmem_tEENKUlT_SK_SL_SM_E_clISE_PySF_SF_EESJ_SZ_SK_SL_SM_EUlSZ_E_NS1_11comp_targetILNS1_3genE10ELNS1_11target_archE1201ELNS1_3gpuE5ELNS1_3repE0EEENS1_48merge_mergepath_partition_config_static_selectorELNS0_4arch9wavefront6targetE1EEEvSL_,comdat
	.protected	_ZN7rocprim17ROCPRIM_400000_NS6detail17trampoline_kernelINS0_14default_configENS1_38merge_sort_block_merge_config_selectorIyNS0_10empty_typeEEEZZNS1_27merge_sort_block_merge_implIS3_N6thrust23THRUST_200600_302600_NS6detail15normal_iteratorINS9_10device_ptrIyEEEEPS5_jNS1_19radix_merge_compareILb0ELb0EyNS0_19identity_decomposerEEEEE10hipError_tT0_T1_T2_jT3_P12ihipStream_tbPNSt15iterator_traitsISK_E10value_typeEPNSQ_ISL_E10value_typeEPSM_NS1_7vsmem_tEENKUlT_SK_SL_SM_E_clISE_PySF_SF_EESJ_SZ_SK_SL_SM_EUlSZ_E_NS1_11comp_targetILNS1_3genE10ELNS1_11target_archE1201ELNS1_3gpuE5ELNS1_3repE0EEENS1_48merge_mergepath_partition_config_static_selectorELNS0_4arch9wavefront6targetE1EEEvSL_ ; -- Begin function _ZN7rocprim17ROCPRIM_400000_NS6detail17trampoline_kernelINS0_14default_configENS1_38merge_sort_block_merge_config_selectorIyNS0_10empty_typeEEEZZNS1_27merge_sort_block_merge_implIS3_N6thrust23THRUST_200600_302600_NS6detail15normal_iteratorINS9_10device_ptrIyEEEEPS5_jNS1_19radix_merge_compareILb0ELb0EyNS0_19identity_decomposerEEEEE10hipError_tT0_T1_T2_jT3_P12ihipStream_tbPNSt15iterator_traitsISK_E10value_typeEPNSQ_ISL_E10value_typeEPSM_NS1_7vsmem_tEENKUlT_SK_SL_SM_E_clISE_PySF_SF_EESJ_SZ_SK_SL_SM_EUlSZ_E_NS1_11comp_targetILNS1_3genE10ELNS1_11target_archE1201ELNS1_3gpuE5ELNS1_3repE0EEENS1_48merge_mergepath_partition_config_static_selectorELNS0_4arch9wavefront6targetE1EEEvSL_
	.globl	_ZN7rocprim17ROCPRIM_400000_NS6detail17trampoline_kernelINS0_14default_configENS1_38merge_sort_block_merge_config_selectorIyNS0_10empty_typeEEEZZNS1_27merge_sort_block_merge_implIS3_N6thrust23THRUST_200600_302600_NS6detail15normal_iteratorINS9_10device_ptrIyEEEEPS5_jNS1_19radix_merge_compareILb0ELb0EyNS0_19identity_decomposerEEEEE10hipError_tT0_T1_T2_jT3_P12ihipStream_tbPNSt15iterator_traitsISK_E10value_typeEPNSQ_ISL_E10value_typeEPSM_NS1_7vsmem_tEENKUlT_SK_SL_SM_E_clISE_PySF_SF_EESJ_SZ_SK_SL_SM_EUlSZ_E_NS1_11comp_targetILNS1_3genE10ELNS1_11target_archE1201ELNS1_3gpuE5ELNS1_3repE0EEENS1_48merge_mergepath_partition_config_static_selectorELNS0_4arch9wavefront6targetE1EEEvSL_
	.p2align	8
	.type	_ZN7rocprim17ROCPRIM_400000_NS6detail17trampoline_kernelINS0_14default_configENS1_38merge_sort_block_merge_config_selectorIyNS0_10empty_typeEEEZZNS1_27merge_sort_block_merge_implIS3_N6thrust23THRUST_200600_302600_NS6detail15normal_iteratorINS9_10device_ptrIyEEEEPS5_jNS1_19radix_merge_compareILb0ELb0EyNS0_19identity_decomposerEEEEE10hipError_tT0_T1_T2_jT3_P12ihipStream_tbPNSt15iterator_traitsISK_E10value_typeEPNSQ_ISL_E10value_typeEPSM_NS1_7vsmem_tEENKUlT_SK_SL_SM_E_clISE_PySF_SF_EESJ_SZ_SK_SL_SM_EUlSZ_E_NS1_11comp_targetILNS1_3genE10ELNS1_11target_archE1201ELNS1_3gpuE5ELNS1_3repE0EEENS1_48merge_mergepath_partition_config_static_selectorELNS0_4arch9wavefront6targetE1EEEvSL_,@function
_ZN7rocprim17ROCPRIM_400000_NS6detail17trampoline_kernelINS0_14default_configENS1_38merge_sort_block_merge_config_selectorIyNS0_10empty_typeEEEZZNS1_27merge_sort_block_merge_implIS3_N6thrust23THRUST_200600_302600_NS6detail15normal_iteratorINS9_10device_ptrIyEEEEPS5_jNS1_19radix_merge_compareILb0ELb0EyNS0_19identity_decomposerEEEEE10hipError_tT0_T1_T2_jT3_P12ihipStream_tbPNSt15iterator_traitsISK_E10value_typeEPNSQ_ISL_E10value_typeEPSM_NS1_7vsmem_tEENKUlT_SK_SL_SM_E_clISE_PySF_SF_EESJ_SZ_SK_SL_SM_EUlSZ_E_NS1_11comp_targetILNS1_3genE10ELNS1_11target_archE1201ELNS1_3gpuE5ELNS1_3repE0EEENS1_48merge_mergepath_partition_config_static_selectorELNS0_4arch9wavefront6targetE1EEEvSL_: ; @_ZN7rocprim17ROCPRIM_400000_NS6detail17trampoline_kernelINS0_14default_configENS1_38merge_sort_block_merge_config_selectorIyNS0_10empty_typeEEEZZNS1_27merge_sort_block_merge_implIS3_N6thrust23THRUST_200600_302600_NS6detail15normal_iteratorINS9_10device_ptrIyEEEEPS5_jNS1_19radix_merge_compareILb0ELb0EyNS0_19identity_decomposerEEEEE10hipError_tT0_T1_T2_jT3_P12ihipStream_tbPNSt15iterator_traitsISK_E10value_typeEPNSQ_ISL_E10value_typeEPSM_NS1_7vsmem_tEENKUlT_SK_SL_SM_E_clISE_PySF_SF_EESJ_SZ_SK_SL_SM_EUlSZ_E_NS1_11comp_targetILNS1_3genE10ELNS1_11target_archE1201ELNS1_3gpuE5ELNS1_3repE0EEENS1_48merge_mergepath_partition_config_static_selectorELNS0_4arch9wavefront6targetE1EEEvSL_
; %bb.0:
	.section	.rodata,"a",@progbits
	.p2align	6, 0x0
	.amdhsa_kernel _ZN7rocprim17ROCPRIM_400000_NS6detail17trampoline_kernelINS0_14default_configENS1_38merge_sort_block_merge_config_selectorIyNS0_10empty_typeEEEZZNS1_27merge_sort_block_merge_implIS3_N6thrust23THRUST_200600_302600_NS6detail15normal_iteratorINS9_10device_ptrIyEEEEPS5_jNS1_19radix_merge_compareILb0ELb0EyNS0_19identity_decomposerEEEEE10hipError_tT0_T1_T2_jT3_P12ihipStream_tbPNSt15iterator_traitsISK_E10value_typeEPNSQ_ISL_E10value_typeEPSM_NS1_7vsmem_tEENKUlT_SK_SL_SM_E_clISE_PySF_SF_EESJ_SZ_SK_SL_SM_EUlSZ_E_NS1_11comp_targetILNS1_3genE10ELNS1_11target_archE1201ELNS1_3gpuE5ELNS1_3repE0EEENS1_48merge_mergepath_partition_config_static_selectorELNS0_4arch9wavefront6targetE1EEEvSL_
		.amdhsa_group_segment_fixed_size 0
		.amdhsa_private_segment_fixed_size 0
		.amdhsa_kernarg_size 40
		.amdhsa_user_sgpr_count 6
		.amdhsa_user_sgpr_private_segment_buffer 1
		.amdhsa_user_sgpr_dispatch_ptr 0
		.amdhsa_user_sgpr_queue_ptr 0
		.amdhsa_user_sgpr_kernarg_segment_ptr 1
		.amdhsa_user_sgpr_dispatch_id 0
		.amdhsa_user_sgpr_flat_scratch_init 0
		.amdhsa_user_sgpr_kernarg_preload_length 0
		.amdhsa_user_sgpr_kernarg_preload_offset 0
		.amdhsa_user_sgpr_private_segment_size 0
		.amdhsa_uses_dynamic_stack 0
		.amdhsa_system_sgpr_private_segment_wavefront_offset 0
		.amdhsa_system_sgpr_workgroup_id_x 1
		.amdhsa_system_sgpr_workgroup_id_y 0
		.amdhsa_system_sgpr_workgroup_id_z 0
		.amdhsa_system_sgpr_workgroup_info 0
		.amdhsa_system_vgpr_workitem_id 0
		.amdhsa_next_free_vgpr 1
		.amdhsa_next_free_sgpr 0
		.amdhsa_accum_offset 4
		.amdhsa_reserve_vcc 0
		.amdhsa_reserve_flat_scratch 0
		.amdhsa_float_round_mode_32 0
		.amdhsa_float_round_mode_16_64 0
		.amdhsa_float_denorm_mode_32 3
		.amdhsa_float_denorm_mode_16_64 3
		.amdhsa_dx10_clamp 1
		.amdhsa_ieee_mode 1
		.amdhsa_fp16_overflow 0
		.amdhsa_tg_split 0
		.amdhsa_exception_fp_ieee_invalid_op 0
		.amdhsa_exception_fp_denorm_src 0
		.amdhsa_exception_fp_ieee_div_zero 0
		.amdhsa_exception_fp_ieee_overflow 0
		.amdhsa_exception_fp_ieee_underflow 0
		.amdhsa_exception_fp_ieee_inexact 0
		.amdhsa_exception_int_div_zero 0
	.end_amdhsa_kernel
	.section	.text._ZN7rocprim17ROCPRIM_400000_NS6detail17trampoline_kernelINS0_14default_configENS1_38merge_sort_block_merge_config_selectorIyNS0_10empty_typeEEEZZNS1_27merge_sort_block_merge_implIS3_N6thrust23THRUST_200600_302600_NS6detail15normal_iteratorINS9_10device_ptrIyEEEEPS5_jNS1_19radix_merge_compareILb0ELb0EyNS0_19identity_decomposerEEEEE10hipError_tT0_T1_T2_jT3_P12ihipStream_tbPNSt15iterator_traitsISK_E10value_typeEPNSQ_ISL_E10value_typeEPSM_NS1_7vsmem_tEENKUlT_SK_SL_SM_E_clISE_PySF_SF_EESJ_SZ_SK_SL_SM_EUlSZ_E_NS1_11comp_targetILNS1_3genE10ELNS1_11target_archE1201ELNS1_3gpuE5ELNS1_3repE0EEENS1_48merge_mergepath_partition_config_static_selectorELNS0_4arch9wavefront6targetE1EEEvSL_,"axG",@progbits,_ZN7rocprim17ROCPRIM_400000_NS6detail17trampoline_kernelINS0_14default_configENS1_38merge_sort_block_merge_config_selectorIyNS0_10empty_typeEEEZZNS1_27merge_sort_block_merge_implIS3_N6thrust23THRUST_200600_302600_NS6detail15normal_iteratorINS9_10device_ptrIyEEEEPS5_jNS1_19radix_merge_compareILb0ELb0EyNS0_19identity_decomposerEEEEE10hipError_tT0_T1_T2_jT3_P12ihipStream_tbPNSt15iterator_traitsISK_E10value_typeEPNSQ_ISL_E10value_typeEPSM_NS1_7vsmem_tEENKUlT_SK_SL_SM_E_clISE_PySF_SF_EESJ_SZ_SK_SL_SM_EUlSZ_E_NS1_11comp_targetILNS1_3genE10ELNS1_11target_archE1201ELNS1_3gpuE5ELNS1_3repE0EEENS1_48merge_mergepath_partition_config_static_selectorELNS0_4arch9wavefront6targetE1EEEvSL_,comdat
.Lfunc_end749:
	.size	_ZN7rocprim17ROCPRIM_400000_NS6detail17trampoline_kernelINS0_14default_configENS1_38merge_sort_block_merge_config_selectorIyNS0_10empty_typeEEEZZNS1_27merge_sort_block_merge_implIS3_N6thrust23THRUST_200600_302600_NS6detail15normal_iteratorINS9_10device_ptrIyEEEEPS5_jNS1_19radix_merge_compareILb0ELb0EyNS0_19identity_decomposerEEEEE10hipError_tT0_T1_T2_jT3_P12ihipStream_tbPNSt15iterator_traitsISK_E10value_typeEPNSQ_ISL_E10value_typeEPSM_NS1_7vsmem_tEENKUlT_SK_SL_SM_E_clISE_PySF_SF_EESJ_SZ_SK_SL_SM_EUlSZ_E_NS1_11comp_targetILNS1_3genE10ELNS1_11target_archE1201ELNS1_3gpuE5ELNS1_3repE0EEENS1_48merge_mergepath_partition_config_static_selectorELNS0_4arch9wavefront6targetE1EEEvSL_, .Lfunc_end749-_ZN7rocprim17ROCPRIM_400000_NS6detail17trampoline_kernelINS0_14default_configENS1_38merge_sort_block_merge_config_selectorIyNS0_10empty_typeEEEZZNS1_27merge_sort_block_merge_implIS3_N6thrust23THRUST_200600_302600_NS6detail15normal_iteratorINS9_10device_ptrIyEEEEPS5_jNS1_19radix_merge_compareILb0ELb0EyNS0_19identity_decomposerEEEEE10hipError_tT0_T1_T2_jT3_P12ihipStream_tbPNSt15iterator_traitsISK_E10value_typeEPNSQ_ISL_E10value_typeEPSM_NS1_7vsmem_tEENKUlT_SK_SL_SM_E_clISE_PySF_SF_EESJ_SZ_SK_SL_SM_EUlSZ_E_NS1_11comp_targetILNS1_3genE10ELNS1_11target_archE1201ELNS1_3gpuE5ELNS1_3repE0EEENS1_48merge_mergepath_partition_config_static_selectorELNS0_4arch9wavefront6targetE1EEEvSL_
                                        ; -- End function
	.section	.AMDGPU.csdata,"",@progbits
; Kernel info:
; codeLenInByte = 0
; NumSgprs: 4
; NumVgprs: 0
; NumAgprs: 0
; TotalNumVgprs: 0
; ScratchSize: 0
; MemoryBound: 0
; FloatMode: 240
; IeeeMode: 1
; LDSByteSize: 0 bytes/workgroup (compile time only)
; SGPRBlocks: 0
; VGPRBlocks: 0
; NumSGPRsForWavesPerEU: 4
; NumVGPRsForWavesPerEU: 1
; AccumOffset: 4
; Occupancy: 8
; WaveLimiterHint : 0
; COMPUTE_PGM_RSRC2:SCRATCH_EN: 0
; COMPUTE_PGM_RSRC2:USER_SGPR: 6
; COMPUTE_PGM_RSRC2:TRAP_HANDLER: 0
; COMPUTE_PGM_RSRC2:TGID_X_EN: 1
; COMPUTE_PGM_RSRC2:TGID_Y_EN: 0
; COMPUTE_PGM_RSRC2:TGID_Z_EN: 0
; COMPUTE_PGM_RSRC2:TIDIG_COMP_CNT: 0
; COMPUTE_PGM_RSRC3_GFX90A:ACCUM_OFFSET: 0
; COMPUTE_PGM_RSRC3_GFX90A:TG_SPLIT: 0
	.section	.text._ZN7rocprim17ROCPRIM_400000_NS6detail17trampoline_kernelINS0_14default_configENS1_38merge_sort_block_merge_config_selectorIyNS0_10empty_typeEEEZZNS1_27merge_sort_block_merge_implIS3_N6thrust23THRUST_200600_302600_NS6detail15normal_iteratorINS9_10device_ptrIyEEEEPS5_jNS1_19radix_merge_compareILb0ELb0EyNS0_19identity_decomposerEEEEE10hipError_tT0_T1_T2_jT3_P12ihipStream_tbPNSt15iterator_traitsISK_E10value_typeEPNSQ_ISL_E10value_typeEPSM_NS1_7vsmem_tEENKUlT_SK_SL_SM_E_clISE_PySF_SF_EESJ_SZ_SK_SL_SM_EUlSZ_E_NS1_11comp_targetILNS1_3genE5ELNS1_11target_archE942ELNS1_3gpuE9ELNS1_3repE0EEENS1_48merge_mergepath_partition_config_static_selectorELNS0_4arch9wavefront6targetE1EEEvSL_,"axG",@progbits,_ZN7rocprim17ROCPRIM_400000_NS6detail17trampoline_kernelINS0_14default_configENS1_38merge_sort_block_merge_config_selectorIyNS0_10empty_typeEEEZZNS1_27merge_sort_block_merge_implIS3_N6thrust23THRUST_200600_302600_NS6detail15normal_iteratorINS9_10device_ptrIyEEEEPS5_jNS1_19radix_merge_compareILb0ELb0EyNS0_19identity_decomposerEEEEE10hipError_tT0_T1_T2_jT3_P12ihipStream_tbPNSt15iterator_traitsISK_E10value_typeEPNSQ_ISL_E10value_typeEPSM_NS1_7vsmem_tEENKUlT_SK_SL_SM_E_clISE_PySF_SF_EESJ_SZ_SK_SL_SM_EUlSZ_E_NS1_11comp_targetILNS1_3genE5ELNS1_11target_archE942ELNS1_3gpuE9ELNS1_3repE0EEENS1_48merge_mergepath_partition_config_static_selectorELNS0_4arch9wavefront6targetE1EEEvSL_,comdat
	.protected	_ZN7rocprim17ROCPRIM_400000_NS6detail17trampoline_kernelINS0_14default_configENS1_38merge_sort_block_merge_config_selectorIyNS0_10empty_typeEEEZZNS1_27merge_sort_block_merge_implIS3_N6thrust23THRUST_200600_302600_NS6detail15normal_iteratorINS9_10device_ptrIyEEEEPS5_jNS1_19radix_merge_compareILb0ELb0EyNS0_19identity_decomposerEEEEE10hipError_tT0_T1_T2_jT3_P12ihipStream_tbPNSt15iterator_traitsISK_E10value_typeEPNSQ_ISL_E10value_typeEPSM_NS1_7vsmem_tEENKUlT_SK_SL_SM_E_clISE_PySF_SF_EESJ_SZ_SK_SL_SM_EUlSZ_E_NS1_11comp_targetILNS1_3genE5ELNS1_11target_archE942ELNS1_3gpuE9ELNS1_3repE0EEENS1_48merge_mergepath_partition_config_static_selectorELNS0_4arch9wavefront6targetE1EEEvSL_ ; -- Begin function _ZN7rocprim17ROCPRIM_400000_NS6detail17trampoline_kernelINS0_14default_configENS1_38merge_sort_block_merge_config_selectorIyNS0_10empty_typeEEEZZNS1_27merge_sort_block_merge_implIS3_N6thrust23THRUST_200600_302600_NS6detail15normal_iteratorINS9_10device_ptrIyEEEEPS5_jNS1_19radix_merge_compareILb0ELb0EyNS0_19identity_decomposerEEEEE10hipError_tT0_T1_T2_jT3_P12ihipStream_tbPNSt15iterator_traitsISK_E10value_typeEPNSQ_ISL_E10value_typeEPSM_NS1_7vsmem_tEENKUlT_SK_SL_SM_E_clISE_PySF_SF_EESJ_SZ_SK_SL_SM_EUlSZ_E_NS1_11comp_targetILNS1_3genE5ELNS1_11target_archE942ELNS1_3gpuE9ELNS1_3repE0EEENS1_48merge_mergepath_partition_config_static_selectorELNS0_4arch9wavefront6targetE1EEEvSL_
	.globl	_ZN7rocprim17ROCPRIM_400000_NS6detail17trampoline_kernelINS0_14default_configENS1_38merge_sort_block_merge_config_selectorIyNS0_10empty_typeEEEZZNS1_27merge_sort_block_merge_implIS3_N6thrust23THRUST_200600_302600_NS6detail15normal_iteratorINS9_10device_ptrIyEEEEPS5_jNS1_19radix_merge_compareILb0ELb0EyNS0_19identity_decomposerEEEEE10hipError_tT0_T1_T2_jT3_P12ihipStream_tbPNSt15iterator_traitsISK_E10value_typeEPNSQ_ISL_E10value_typeEPSM_NS1_7vsmem_tEENKUlT_SK_SL_SM_E_clISE_PySF_SF_EESJ_SZ_SK_SL_SM_EUlSZ_E_NS1_11comp_targetILNS1_3genE5ELNS1_11target_archE942ELNS1_3gpuE9ELNS1_3repE0EEENS1_48merge_mergepath_partition_config_static_selectorELNS0_4arch9wavefront6targetE1EEEvSL_
	.p2align	8
	.type	_ZN7rocprim17ROCPRIM_400000_NS6detail17trampoline_kernelINS0_14default_configENS1_38merge_sort_block_merge_config_selectorIyNS0_10empty_typeEEEZZNS1_27merge_sort_block_merge_implIS3_N6thrust23THRUST_200600_302600_NS6detail15normal_iteratorINS9_10device_ptrIyEEEEPS5_jNS1_19radix_merge_compareILb0ELb0EyNS0_19identity_decomposerEEEEE10hipError_tT0_T1_T2_jT3_P12ihipStream_tbPNSt15iterator_traitsISK_E10value_typeEPNSQ_ISL_E10value_typeEPSM_NS1_7vsmem_tEENKUlT_SK_SL_SM_E_clISE_PySF_SF_EESJ_SZ_SK_SL_SM_EUlSZ_E_NS1_11comp_targetILNS1_3genE5ELNS1_11target_archE942ELNS1_3gpuE9ELNS1_3repE0EEENS1_48merge_mergepath_partition_config_static_selectorELNS0_4arch9wavefront6targetE1EEEvSL_,@function
_ZN7rocprim17ROCPRIM_400000_NS6detail17trampoline_kernelINS0_14default_configENS1_38merge_sort_block_merge_config_selectorIyNS0_10empty_typeEEEZZNS1_27merge_sort_block_merge_implIS3_N6thrust23THRUST_200600_302600_NS6detail15normal_iteratorINS9_10device_ptrIyEEEEPS5_jNS1_19radix_merge_compareILb0ELb0EyNS0_19identity_decomposerEEEEE10hipError_tT0_T1_T2_jT3_P12ihipStream_tbPNSt15iterator_traitsISK_E10value_typeEPNSQ_ISL_E10value_typeEPSM_NS1_7vsmem_tEENKUlT_SK_SL_SM_E_clISE_PySF_SF_EESJ_SZ_SK_SL_SM_EUlSZ_E_NS1_11comp_targetILNS1_3genE5ELNS1_11target_archE942ELNS1_3gpuE9ELNS1_3repE0EEENS1_48merge_mergepath_partition_config_static_selectorELNS0_4arch9wavefront6targetE1EEEvSL_: ; @_ZN7rocprim17ROCPRIM_400000_NS6detail17trampoline_kernelINS0_14default_configENS1_38merge_sort_block_merge_config_selectorIyNS0_10empty_typeEEEZZNS1_27merge_sort_block_merge_implIS3_N6thrust23THRUST_200600_302600_NS6detail15normal_iteratorINS9_10device_ptrIyEEEEPS5_jNS1_19radix_merge_compareILb0ELb0EyNS0_19identity_decomposerEEEEE10hipError_tT0_T1_T2_jT3_P12ihipStream_tbPNSt15iterator_traitsISK_E10value_typeEPNSQ_ISL_E10value_typeEPSM_NS1_7vsmem_tEENKUlT_SK_SL_SM_E_clISE_PySF_SF_EESJ_SZ_SK_SL_SM_EUlSZ_E_NS1_11comp_targetILNS1_3genE5ELNS1_11target_archE942ELNS1_3gpuE9ELNS1_3repE0EEENS1_48merge_mergepath_partition_config_static_selectorELNS0_4arch9wavefront6targetE1EEEvSL_
; %bb.0:
	.section	.rodata,"a",@progbits
	.p2align	6, 0x0
	.amdhsa_kernel _ZN7rocprim17ROCPRIM_400000_NS6detail17trampoline_kernelINS0_14default_configENS1_38merge_sort_block_merge_config_selectorIyNS0_10empty_typeEEEZZNS1_27merge_sort_block_merge_implIS3_N6thrust23THRUST_200600_302600_NS6detail15normal_iteratorINS9_10device_ptrIyEEEEPS5_jNS1_19radix_merge_compareILb0ELb0EyNS0_19identity_decomposerEEEEE10hipError_tT0_T1_T2_jT3_P12ihipStream_tbPNSt15iterator_traitsISK_E10value_typeEPNSQ_ISL_E10value_typeEPSM_NS1_7vsmem_tEENKUlT_SK_SL_SM_E_clISE_PySF_SF_EESJ_SZ_SK_SL_SM_EUlSZ_E_NS1_11comp_targetILNS1_3genE5ELNS1_11target_archE942ELNS1_3gpuE9ELNS1_3repE0EEENS1_48merge_mergepath_partition_config_static_selectorELNS0_4arch9wavefront6targetE1EEEvSL_
		.amdhsa_group_segment_fixed_size 0
		.amdhsa_private_segment_fixed_size 0
		.amdhsa_kernarg_size 40
		.amdhsa_user_sgpr_count 6
		.amdhsa_user_sgpr_private_segment_buffer 1
		.amdhsa_user_sgpr_dispatch_ptr 0
		.amdhsa_user_sgpr_queue_ptr 0
		.amdhsa_user_sgpr_kernarg_segment_ptr 1
		.amdhsa_user_sgpr_dispatch_id 0
		.amdhsa_user_sgpr_flat_scratch_init 0
		.amdhsa_user_sgpr_kernarg_preload_length 0
		.amdhsa_user_sgpr_kernarg_preload_offset 0
		.amdhsa_user_sgpr_private_segment_size 0
		.amdhsa_uses_dynamic_stack 0
		.amdhsa_system_sgpr_private_segment_wavefront_offset 0
		.amdhsa_system_sgpr_workgroup_id_x 1
		.amdhsa_system_sgpr_workgroup_id_y 0
		.amdhsa_system_sgpr_workgroup_id_z 0
		.amdhsa_system_sgpr_workgroup_info 0
		.amdhsa_system_vgpr_workitem_id 0
		.amdhsa_next_free_vgpr 1
		.amdhsa_next_free_sgpr 0
		.amdhsa_accum_offset 4
		.amdhsa_reserve_vcc 0
		.amdhsa_reserve_flat_scratch 0
		.amdhsa_float_round_mode_32 0
		.amdhsa_float_round_mode_16_64 0
		.amdhsa_float_denorm_mode_32 3
		.amdhsa_float_denorm_mode_16_64 3
		.amdhsa_dx10_clamp 1
		.amdhsa_ieee_mode 1
		.amdhsa_fp16_overflow 0
		.amdhsa_tg_split 0
		.amdhsa_exception_fp_ieee_invalid_op 0
		.amdhsa_exception_fp_denorm_src 0
		.amdhsa_exception_fp_ieee_div_zero 0
		.amdhsa_exception_fp_ieee_overflow 0
		.amdhsa_exception_fp_ieee_underflow 0
		.amdhsa_exception_fp_ieee_inexact 0
		.amdhsa_exception_int_div_zero 0
	.end_amdhsa_kernel
	.section	.text._ZN7rocprim17ROCPRIM_400000_NS6detail17trampoline_kernelINS0_14default_configENS1_38merge_sort_block_merge_config_selectorIyNS0_10empty_typeEEEZZNS1_27merge_sort_block_merge_implIS3_N6thrust23THRUST_200600_302600_NS6detail15normal_iteratorINS9_10device_ptrIyEEEEPS5_jNS1_19radix_merge_compareILb0ELb0EyNS0_19identity_decomposerEEEEE10hipError_tT0_T1_T2_jT3_P12ihipStream_tbPNSt15iterator_traitsISK_E10value_typeEPNSQ_ISL_E10value_typeEPSM_NS1_7vsmem_tEENKUlT_SK_SL_SM_E_clISE_PySF_SF_EESJ_SZ_SK_SL_SM_EUlSZ_E_NS1_11comp_targetILNS1_3genE5ELNS1_11target_archE942ELNS1_3gpuE9ELNS1_3repE0EEENS1_48merge_mergepath_partition_config_static_selectorELNS0_4arch9wavefront6targetE1EEEvSL_,"axG",@progbits,_ZN7rocprim17ROCPRIM_400000_NS6detail17trampoline_kernelINS0_14default_configENS1_38merge_sort_block_merge_config_selectorIyNS0_10empty_typeEEEZZNS1_27merge_sort_block_merge_implIS3_N6thrust23THRUST_200600_302600_NS6detail15normal_iteratorINS9_10device_ptrIyEEEEPS5_jNS1_19radix_merge_compareILb0ELb0EyNS0_19identity_decomposerEEEEE10hipError_tT0_T1_T2_jT3_P12ihipStream_tbPNSt15iterator_traitsISK_E10value_typeEPNSQ_ISL_E10value_typeEPSM_NS1_7vsmem_tEENKUlT_SK_SL_SM_E_clISE_PySF_SF_EESJ_SZ_SK_SL_SM_EUlSZ_E_NS1_11comp_targetILNS1_3genE5ELNS1_11target_archE942ELNS1_3gpuE9ELNS1_3repE0EEENS1_48merge_mergepath_partition_config_static_selectorELNS0_4arch9wavefront6targetE1EEEvSL_,comdat
.Lfunc_end750:
	.size	_ZN7rocprim17ROCPRIM_400000_NS6detail17trampoline_kernelINS0_14default_configENS1_38merge_sort_block_merge_config_selectorIyNS0_10empty_typeEEEZZNS1_27merge_sort_block_merge_implIS3_N6thrust23THRUST_200600_302600_NS6detail15normal_iteratorINS9_10device_ptrIyEEEEPS5_jNS1_19radix_merge_compareILb0ELb0EyNS0_19identity_decomposerEEEEE10hipError_tT0_T1_T2_jT3_P12ihipStream_tbPNSt15iterator_traitsISK_E10value_typeEPNSQ_ISL_E10value_typeEPSM_NS1_7vsmem_tEENKUlT_SK_SL_SM_E_clISE_PySF_SF_EESJ_SZ_SK_SL_SM_EUlSZ_E_NS1_11comp_targetILNS1_3genE5ELNS1_11target_archE942ELNS1_3gpuE9ELNS1_3repE0EEENS1_48merge_mergepath_partition_config_static_selectorELNS0_4arch9wavefront6targetE1EEEvSL_, .Lfunc_end750-_ZN7rocprim17ROCPRIM_400000_NS6detail17trampoline_kernelINS0_14default_configENS1_38merge_sort_block_merge_config_selectorIyNS0_10empty_typeEEEZZNS1_27merge_sort_block_merge_implIS3_N6thrust23THRUST_200600_302600_NS6detail15normal_iteratorINS9_10device_ptrIyEEEEPS5_jNS1_19radix_merge_compareILb0ELb0EyNS0_19identity_decomposerEEEEE10hipError_tT0_T1_T2_jT3_P12ihipStream_tbPNSt15iterator_traitsISK_E10value_typeEPNSQ_ISL_E10value_typeEPSM_NS1_7vsmem_tEENKUlT_SK_SL_SM_E_clISE_PySF_SF_EESJ_SZ_SK_SL_SM_EUlSZ_E_NS1_11comp_targetILNS1_3genE5ELNS1_11target_archE942ELNS1_3gpuE9ELNS1_3repE0EEENS1_48merge_mergepath_partition_config_static_selectorELNS0_4arch9wavefront6targetE1EEEvSL_
                                        ; -- End function
	.section	.AMDGPU.csdata,"",@progbits
; Kernel info:
; codeLenInByte = 0
; NumSgprs: 4
; NumVgprs: 0
; NumAgprs: 0
; TotalNumVgprs: 0
; ScratchSize: 0
; MemoryBound: 0
; FloatMode: 240
; IeeeMode: 1
; LDSByteSize: 0 bytes/workgroup (compile time only)
; SGPRBlocks: 0
; VGPRBlocks: 0
; NumSGPRsForWavesPerEU: 4
; NumVGPRsForWavesPerEU: 1
; AccumOffset: 4
; Occupancy: 8
; WaveLimiterHint : 0
; COMPUTE_PGM_RSRC2:SCRATCH_EN: 0
; COMPUTE_PGM_RSRC2:USER_SGPR: 6
; COMPUTE_PGM_RSRC2:TRAP_HANDLER: 0
; COMPUTE_PGM_RSRC2:TGID_X_EN: 1
; COMPUTE_PGM_RSRC2:TGID_Y_EN: 0
; COMPUTE_PGM_RSRC2:TGID_Z_EN: 0
; COMPUTE_PGM_RSRC2:TIDIG_COMP_CNT: 0
; COMPUTE_PGM_RSRC3_GFX90A:ACCUM_OFFSET: 0
; COMPUTE_PGM_RSRC3_GFX90A:TG_SPLIT: 0
	.section	.text._ZN7rocprim17ROCPRIM_400000_NS6detail17trampoline_kernelINS0_14default_configENS1_38merge_sort_block_merge_config_selectorIyNS0_10empty_typeEEEZZNS1_27merge_sort_block_merge_implIS3_N6thrust23THRUST_200600_302600_NS6detail15normal_iteratorINS9_10device_ptrIyEEEEPS5_jNS1_19radix_merge_compareILb0ELb0EyNS0_19identity_decomposerEEEEE10hipError_tT0_T1_T2_jT3_P12ihipStream_tbPNSt15iterator_traitsISK_E10value_typeEPNSQ_ISL_E10value_typeEPSM_NS1_7vsmem_tEENKUlT_SK_SL_SM_E_clISE_PySF_SF_EESJ_SZ_SK_SL_SM_EUlSZ_E_NS1_11comp_targetILNS1_3genE4ELNS1_11target_archE910ELNS1_3gpuE8ELNS1_3repE0EEENS1_48merge_mergepath_partition_config_static_selectorELNS0_4arch9wavefront6targetE1EEEvSL_,"axG",@progbits,_ZN7rocprim17ROCPRIM_400000_NS6detail17trampoline_kernelINS0_14default_configENS1_38merge_sort_block_merge_config_selectorIyNS0_10empty_typeEEEZZNS1_27merge_sort_block_merge_implIS3_N6thrust23THRUST_200600_302600_NS6detail15normal_iteratorINS9_10device_ptrIyEEEEPS5_jNS1_19radix_merge_compareILb0ELb0EyNS0_19identity_decomposerEEEEE10hipError_tT0_T1_T2_jT3_P12ihipStream_tbPNSt15iterator_traitsISK_E10value_typeEPNSQ_ISL_E10value_typeEPSM_NS1_7vsmem_tEENKUlT_SK_SL_SM_E_clISE_PySF_SF_EESJ_SZ_SK_SL_SM_EUlSZ_E_NS1_11comp_targetILNS1_3genE4ELNS1_11target_archE910ELNS1_3gpuE8ELNS1_3repE0EEENS1_48merge_mergepath_partition_config_static_selectorELNS0_4arch9wavefront6targetE1EEEvSL_,comdat
	.protected	_ZN7rocprim17ROCPRIM_400000_NS6detail17trampoline_kernelINS0_14default_configENS1_38merge_sort_block_merge_config_selectorIyNS0_10empty_typeEEEZZNS1_27merge_sort_block_merge_implIS3_N6thrust23THRUST_200600_302600_NS6detail15normal_iteratorINS9_10device_ptrIyEEEEPS5_jNS1_19radix_merge_compareILb0ELb0EyNS0_19identity_decomposerEEEEE10hipError_tT0_T1_T2_jT3_P12ihipStream_tbPNSt15iterator_traitsISK_E10value_typeEPNSQ_ISL_E10value_typeEPSM_NS1_7vsmem_tEENKUlT_SK_SL_SM_E_clISE_PySF_SF_EESJ_SZ_SK_SL_SM_EUlSZ_E_NS1_11comp_targetILNS1_3genE4ELNS1_11target_archE910ELNS1_3gpuE8ELNS1_3repE0EEENS1_48merge_mergepath_partition_config_static_selectorELNS0_4arch9wavefront6targetE1EEEvSL_ ; -- Begin function _ZN7rocprim17ROCPRIM_400000_NS6detail17trampoline_kernelINS0_14default_configENS1_38merge_sort_block_merge_config_selectorIyNS0_10empty_typeEEEZZNS1_27merge_sort_block_merge_implIS3_N6thrust23THRUST_200600_302600_NS6detail15normal_iteratorINS9_10device_ptrIyEEEEPS5_jNS1_19radix_merge_compareILb0ELb0EyNS0_19identity_decomposerEEEEE10hipError_tT0_T1_T2_jT3_P12ihipStream_tbPNSt15iterator_traitsISK_E10value_typeEPNSQ_ISL_E10value_typeEPSM_NS1_7vsmem_tEENKUlT_SK_SL_SM_E_clISE_PySF_SF_EESJ_SZ_SK_SL_SM_EUlSZ_E_NS1_11comp_targetILNS1_3genE4ELNS1_11target_archE910ELNS1_3gpuE8ELNS1_3repE0EEENS1_48merge_mergepath_partition_config_static_selectorELNS0_4arch9wavefront6targetE1EEEvSL_
	.globl	_ZN7rocprim17ROCPRIM_400000_NS6detail17trampoline_kernelINS0_14default_configENS1_38merge_sort_block_merge_config_selectorIyNS0_10empty_typeEEEZZNS1_27merge_sort_block_merge_implIS3_N6thrust23THRUST_200600_302600_NS6detail15normal_iteratorINS9_10device_ptrIyEEEEPS5_jNS1_19radix_merge_compareILb0ELb0EyNS0_19identity_decomposerEEEEE10hipError_tT0_T1_T2_jT3_P12ihipStream_tbPNSt15iterator_traitsISK_E10value_typeEPNSQ_ISL_E10value_typeEPSM_NS1_7vsmem_tEENKUlT_SK_SL_SM_E_clISE_PySF_SF_EESJ_SZ_SK_SL_SM_EUlSZ_E_NS1_11comp_targetILNS1_3genE4ELNS1_11target_archE910ELNS1_3gpuE8ELNS1_3repE0EEENS1_48merge_mergepath_partition_config_static_selectorELNS0_4arch9wavefront6targetE1EEEvSL_
	.p2align	8
	.type	_ZN7rocprim17ROCPRIM_400000_NS6detail17trampoline_kernelINS0_14default_configENS1_38merge_sort_block_merge_config_selectorIyNS0_10empty_typeEEEZZNS1_27merge_sort_block_merge_implIS3_N6thrust23THRUST_200600_302600_NS6detail15normal_iteratorINS9_10device_ptrIyEEEEPS5_jNS1_19radix_merge_compareILb0ELb0EyNS0_19identity_decomposerEEEEE10hipError_tT0_T1_T2_jT3_P12ihipStream_tbPNSt15iterator_traitsISK_E10value_typeEPNSQ_ISL_E10value_typeEPSM_NS1_7vsmem_tEENKUlT_SK_SL_SM_E_clISE_PySF_SF_EESJ_SZ_SK_SL_SM_EUlSZ_E_NS1_11comp_targetILNS1_3genE4ELNS1_11target_archE910ELNS1_3gpuE8ELNS1_3repE0EEENS1_48merge_mergepath_partition_config_static_selectorELNS0_4arch9wavefront6targetE1EEEvSL_,@function
_ZN7rocprim17ROCPRIM_400000_NS6detail17trampoline_kernelINS0_14default_configENS1_38merge_sort_block_merge_config_selectorIyNS0_10empty_typeEEEZZNS1_27merge_sort_block_merge_implIS3_N6thrust23THRUST_200600_302600_NS6detail15normal_iteratorINS9_10device_ptrIyEEEEPS5_jNS1_19radix_merge_compareILb0ELb0EyNS0_19identity_decomposerEEEEE10hipError_tT0_T1_T2_jT3_P12ihipStream_tbPNSt15iterator_traitsISK_E10value_typeEPNSQ_ISL_E10value_typeEPSM_NS1_7vsmem_tEENKUlT_SK_SL_SM_E_clISE_PySF_SF_EESJ_SZ_SK_SL_SM_EUlSZ_E_NS1_11comp_targetILNS1_3genE4ELNS1_11target_archE910ELNS1_3gpuE8ELNS1_3repE0EEENS1_48merge_mergepath_partition_config_static_selectorELNS0_4arch9wavefront6targetE1EEEvSL_: ; @_ZN7rocprim17ROCPRIM_400000_NS6detail17trampoline_kernelINS0_14default_configENS1_38merge_sort_block_merge_config_selectorIyNS0_10empty_typeEEEZZNS1_27merge_sort_block_merge_implIS3_N6thrust23THRUST_200600_302600_NS6detail15normal_iteratorINS9_10device_ptrIyEEEEPS5_jNS1_19radix_merge_compareILb0ELb0EyNS0_19identity_decomposerEEEEE10hipError_tT0_T1_T2_jT3_P12ihipStream_tbPNSt15iterator_traitsISK_E10value_typeEPNSQ_ISL_E10value_typeEPSM_NS1_7vsmem_tEENKUlT_SK_SL_SM_E_clISE_PySF_SF_EESJ_SZ_SK_SL_SM_EUlSZ_E_NS1_11comp_targetILNS1_3genE4ELNS1_11target_archE910ELNS1_3gpuE8ELNS1_3repE0EEENS1_48merge_mergepath_partition_config_static_selectorELNS0_4arch9wavefront6targetE1EEEvSL_
; %bb.0:
	s_load_dword s0, s[4:5], 0x0
	v_lshl_or_b32 v0, s6, 7, v0
	s_waitcnt lgkmcnt(0)
	v_cmp_gt_u32_e32 vcc, s0, v0
	s_and_saveexec_b64 s[0:1], vcc
	s_cbranch_execz .LBB751_6
; %bb.1:
	s_load_dwordx2 s[2:3], s[4:5], 0x4
	s_load_dwordx2 s[0:1], s[4:5], 0x20
	s_waitcnt lgkmcnt(0)
	s_lshr_b32 s6, s2, 9
	s_and_b32 s6, s6, 0x7ffffe
	s_add_i32 s7, s6, -1
	s_sub_i32 s6, 0, s6
	v_and_b32_e32 v1, s6, v0
	v_lshlrev_b32_e32 v1, 10, v1
	v_min_u32_e32 v2, s3, v1
	v_add_u32_e32 v1, s2, v1
	v_min_u32_e32 v4, s3, v1
	v_add_u32_e32 v1, s2, v4
	v_and_b32_e32 v3, s7, v0
	v_min_u32_e32 v1, s3, v1
	v_sub_u32_e32 v5, v1, v2
	v_lshlrev_b32_e32 v3, 10, v3
	v_min_u32_e32 v6, v5, v3
	v_sub_u32_e32 v3, v4, v2
	v_sub_u32_e32 v1, v1, v4
	v_sub_u32_e64 v1, v6, v1 clamp
	v_min_u32_e32 v7, v6, v3
	v_cmp_lt_u32_e32 vcc, v1, v7
	s_and_saveexec_b64 s[2:3], vcc
	s_cbranch_execz .LBB751_5
; %bb.2:
	s_load_dwordx2 s[4:5], s[4:5], 0x10
	v_mov_b32_e32 v5, 0
	v_mov_b32_e32 v3, v5
	v_lshlrev_b64 v[8:9], 3, v[2:3]
	v_lshlrev_b64 v[10:11], 3, v[4:5]
	s_waitcnt lgkmcnt(0)
	v_mov_b32_e32 v12, s5
	v_add_co_u32_e32 v3, vcc, s4, v8
	v_addc_co_u32_e32 v8, vcc, v12, v9, vcc
	v_add_co_u32_e32 v9, vcc, s4, v10
	v_addc_co_u32_e32 v10, vcc, v12, v11, vcc
	s_mov_b64 s[4:5], 0
.LBB751_3:                              ; =>This Inner Loop Header: Depth=1
	v_add_u32_e32 v4, v7, v1
	v_lshrrev_b32_e32 v4, 1, v4
	v_lshlrev_b64 v[14:15], 3, v[4:5]
	v_mov_b32_e32 v13, v5
	v_xad_u32 v12, v4, -1, v6
	v_add_co_u32_e32 v14, vcc, v3, v14
	v_addc_co_u32_e32 v15, vcc, v8, v15, vcc
	v_lshlrev_b64 v[12:13], 3, v[12:13]
	v_add_co_u32_e32 v12, vcc, v9, v12
	v_addc_co_u32_e32 v13, vcc, v10, v13, vcc
	flat_load_dwordx2 v[16:17], v[14:15]
	flat_load_dwordx2 v[18:19], v[12:13]
	v_add_u32_e32 v11, 1, v4
	s_waitcnt vmcnt(0) lgkmcnt(0)
	v_cmp_gt_u64_e32 vcc, v[16:17], v[18:19]
	v_cndmask_b32_e32 v7, v7, v4, vcc
	v_cndmask_b32_e32 v1, v11, v1, vcc
	v_cmp_ge_u32_e32 vcc, v1, v7
	s_or_b64 s[4:5], vcc, s[4:5]
	s_andn2_b64 exec, exec, s[4:5]
	s_cbranch_execnz .LBB751_3
; %bb.4:
	s_or_b64 exec, exec, s[4:5]
.LBB751_5:
	s_or_b64 exec, exec, s[2:3]
	v_add_u32_e32 v2, v1, v2
	v_mov_b32_e32 v1, 0
	v_lshlrev_b64 v[0:1], 2, v[0:1]
	v_mov_b32_e32 v3, s1
	v_add_co_u32_e32 v0, vcc, s0, v0
	v_addc_co_u32_e32 v1, vcc, v3, v1, vcc
	global_store_dword v[0:1], v2, off
.LBB751_6:
	s_endpgm
	.section	.rodata,"a",@progbits
	.p2align	6, 0x0
	.amdhsa_kernel _ZN7rocprim17ROCPRIM_400000_NS6detail17trampoline_kernelINS0_14default_configENS1_38merge_sort_block_merge_config_selectorIyNS0_10empty_typeEEEZZNS1_27merge_sort_block_merge_implIS3_N6thrust23THRUST_200600_302600_NS6detail15normal_iteratorINS9_10device_ptrIyEEEEPS5_jNS1_19radix_merge_compareILb0ELb0EyNS0_19identity_decomposerEEEEE10hipError_tT0_T1_T2_jT3_P12ihipStream_tbPNSt15iterator_traitsISK_E10value_typeEPNSQ_ISL_E10value_typeEPSM_NS1_7vsmem_tEENKUlT_SK_SL_SM_E_clISE_PySF_SF_EESJ_SZ_SK_SL_SM_EUlSZ_E_NS1_11comp_targetILNS1_3genE4ELNS1_11target_archE910ELNS1_3gpuE8ELNS1_3repE0EEENS1_48merge_mergepath_partition_config_static_selectorELNS0_4arch9wavefront6targetE1EEEvSL_
		.amdhsa_group_segment_fixed_size 0
		.amdhsa_private_segment_fixed_size 0
		.amdhsa_kernarg_size 40
		.amdhsa_user_sgpr_count 6
		.amdhsa_user_sgpr_private_segment_buffer 1
		.amdhsa_user_sgpr_dispatch_ptr 0
		.amdhsa_user_sgpr_queue_ptr 0
		.amdhsa_user_sgpr_kernarg_segment_ptr 1
		.amdhsa_user_sgpr_dispatch_id 0
		.amdhsa_user_sgpr_flat_scratch_init 0
		.amdhsa_user_sgpr_kernarg_preload_length 0
		.amdhsa_user_sgpr_kernarg_preload_offset 0
		.amdhsa_user_sgpr_private_segment_size 0
		.amdhsa_uses_dynamic_stack 0
		.amdhsa_system_sgpr_private_segment_wavefront_offset 0
		.amdhsa_system_sgpr_workgroup_id_x 1
		.amdhsa_system_sgpr_workgroup_id_y 0
		.amdhsa_system_sgpr_workgroup_id_z 0
		.amdhsa_system_sgpr_workgroup_info 0
		.amdhsa_system_vgpr_workitem_id 0
		.amdhsa_next_free_vgpr 20
		.amdhsa_next_free_sgpr 8
		.amdhsa_accum_offset 20
		.amdhsa_reserve_vcc 1
		.amdhsa_reserve_flat_scratch 0
		.amdhsa_float_round_mode_32 0
		.amdhsa_float_round_mode_16_64 0
		.amdhsa_float_denorm_mode_32 3
		.amdhsa_float_denorm_mode_16_64 3
		.amdhsa_dx10_clamp 1
		.amdhsa_ieee_mode 1
		.amdhsa_fp16_overflow 0
		.amdhsa_tg_split 0
		.amdhsa_exception_fp_ieee_invalid_op 0
		.amdhsa_exception_fp_denorm_src 0
		.amdhsa_exception_fp_ieee_div_zero 0
		.amdhsa_exception_fp_ieee_overflow 0
		.amdhsa_exception_fp_ieee_underflow 0
		.amdhsa_exception_fp_ieee_inexact 0
		.amdhsa_exception_int_div_zero 0
	.end_amdhsa_kernel
	.section	.text._ZN7rocprim17ROCPRIM_400000_NS6detail17trampoline_kernelINS0_14default_configENS1_38merge_sort_block_merge_config_selectorIyNS0_10empty_typeEEEZZNS1_27merge_sort_block_merge_implIS3_N6thrust23THRUST_200600_302600_NS6detail15normal_iteratorINS9_10device_ptrIyEEEEPS5_jNS1_19radix_merge_compareILb0ELb0EyNS0_19identity_decomposerEEEEE10hipError_tT0_T1_T2_jT3_P12ihipStream_tbPNSt15iterator_traitsISK_E10value_typeEPNSQ_ISL_E10value_typeEPSM_NS1_7vsmem_tEENKUlT_SK_SL_SM_E_clISE_PySF_SF_EESJ_SZ_SK_SL_SM_EUlSZ_E_NS1_11comp_targetILNS1_3genE4ELNS1_11target_archE910ELNS1_3gpuE8ELNS1_3repE0EEENS1_48merge_mergepath_partition_config_static_selectorELNS0_4arch9wavefront6targetE1EEEvSL_,"axG",@progbits,_ZN7rocprim17ROCPRIM_400000_NS6detail17trampoline_kernelINS0_14default_configENS1_38merge_sort_block_merge_config_selectorIyNS0_10empty_typeEEEZZNS1_27merge_sort_block_merge_implIS3_N6thrust23THRUST_200600_302600_NS6detail15normal_iteratorINS9_10device_ptrIyEEEEPS5_jNS1_19radix_merge_compareILb0ELb0EyNS0_19identity_decomposerEEEEE10hipError_tT0_T1_T2_jT3_P12ihipStream_tbPNSt15iterator_traitsISK_E10value_typeEPNSQ_ISL_E10value_typeEPSM_NS1_7vsmem_tEENKUlT_SK_SL_SM_E_clISE_PySF_SF_EESJ_SZ_SK_SL_SM_EUlSZ_E_NS1_11comp_targetILNS1_3genE4ELNS1_11target_archE910ELNS1_3gpuE8ELNS1_3repE0EEENS1_48merge_mergepath_partition_config_static_selectorELNS0_4arch9wavefront6targetE1EEEvSL_,comdat
.Lfunc_end751:
	.size	_ZN7rocprim17ROCPRIM_400000_NS6detail17trampoline_kernelINS0_14default_configENS1_38merge_sort_block_merge_config_selectorIyNS0_10empty_typeEEEZZNS1_27merge_sort_block_merge_implIS3_N6thrust23THRUST_200600_302600_NS6detail15normal_iteratorINS9_10device_ptrIyEEEEPS5_jNS1_19radix_merge_compareILb0ELb0EyNS0_19identity_decomposerEEEEE10hipError_tT0_T1_T2_jT3_P12ihipStream_tbPNSt15iterator_traitsISK_E10value_typeEPNSQ_ISL_E10value_typeEPSM_NS1_7vsmem_tEENKUlT_SK_SL_SM_E_clISE_PySF_SF_EESJ_SZ_SK_SL_SM_EUlSZ_E_NS1_11comp_targetILNS1_3genE4ELNS1_11target_archE910ELNS1_3gpuE8ELNS1_3repE0EEENS1_48merge_mergepath_partition_config_static_selectorELNS0_4arch9wavefront6targetE1EEEvSL_, .Lfunc_end751-_ZN7rocprim17ROCPRIM_400000_NS6detail17trampoline_kernelINS0_14default_configENS1_38merge_sort_block_merge_config_selectorIyNS0_10empty_typeEEEZZNS1_27merge_sort_block_merge_implIS3_N6thrust23THRUST_200600_302600_NS6detail15normal_iteratorINS9_10device_ptrIyEEEEPS5_jNS1_19radix_merge_compareILb0ELb0EyNS0_19identity_decomposerEEEEE10hipError_tT0_T1_T2_jT3_P12ihipStream_tbPNSt15iterator_traitsISK_E10value_typeEPNSQ_ISL_E10value_typeEPSM_NS1_7vsmem_tEENKUlT_SK_SL_SM_E_clISE_PySF_SF_EESJ_SZ_SK_SL_SM_EUlSZ_E_NS1_11comp_targetILNS1_3genE4ELNS1_11target_archE910ELNS1_3gpuE8ELNS1_3repE0EEENS1_48merge_mergepath_partition_config_static_selectorELNS0_4arch9wavefront6targetE1EEEvSL_
                                        ; -- End function
	.section	.AMDGPU.csdata,"",@progbits
; Kernel info:
; codeLenInByte = 360
; NumSgprs: 12
; NumVgprs: 20
; NumAgprs: 0
; TotalNumVgprs: 20
; ScratchSize: 0
; MemoryBound: 0
; FloatMode: 240
; IeeeMode: 1
; LDSByteSize: 0 bytes/workgroup (compile time only)
; SGPRBlocks: 1
; VGPRBlocks: 2
; NumSGPRsForWavesPerEU: 12
; NumVGPRsForWavesPerEU: 20
; AccumOffset: 20
; Occupancy: 8
; WaveLimiterHint : 0
; COMPUTE_PGM_RSRC2:SCRATCH_EN: 0
; COMPUTE_PGM_RSRC2:USER_SGPR: 6
; COMPUTE_PGM_RSRC2:TRAP_HANDLER: 0
; COMPUTE_PGM_RSRC2:TGID_X_EN: 1
; COMPUTE_PGM_RSRC2:TGID_Y_EN: 0
; COMPUTE_PGM_RSRC2:TGID_Z_EN: 0
; COMPUTE_PGM_RSRC2:TIDIG_COMP_CNT: 0
; COMPUTE_PGM_RSRC3_GFX90A:ACCUM_OFFSET: 4
; COMPUTE_PGM_RSRC3_GFX90A:TG_SPLIT: 0
	.section	.text._ZN7rocprim17ROCPRIM_400000_NS6detail17trampoline_kernelINS0_14default_configENS1_38merge_sort_block_merge_config_selectorIyNS0_10empty_typeEEEZZNS1_27merge_sort_block_merge_implIS3_N6thrust23THRUST_200600_302600_NS6detail15normal_iteratorINS9_10device_ptrIyEEEEPS5_jNS1_19radix_merge_compareILb0ELb0EyNS0_19identity_decomposerEEEEE10hipError_tT0_T1_T2_jT3_P12ihipStream_tbPNSt15iterator_traitsISK_E10value_typeEPNSQ_ISL_E10value_typeEPSM_NS1_7vsmem_tEENKUlT_SK_SL_SM_E_clISE_PySF_SF_EESJ_SZ_SK_SL_SM_EUlSZ_E_NS1_11comp_targetILNS1_3genE3ELNS1_11target_archE908ELNS1_3gpuE7ELNS1_3repE0EEENS1_48merge_mergepath_partition_config_static_selectorELNS0_4arch9wavefront6targetE1EEEvSL_,"axG",@progbits,_ZN7rocprim17ROCPRIM_400000_NS6detail17trampoline_kernelINS0_14default_configENS1_38merge_sort_block_merge_config_selectorIyNS0_10empty_typeEEEZZNS1_27merge_sort_block_merge_implIS3_N6thrust23THRUST_200600_302600_NS6detail15normal_iteratorINS9_10device_ptrIyEEEEPS5_jNS1_19radix_merge_compareILb0ELb0EyNS0_19identity_decomposerEEEEE10hipError_tT0_T1_T2_jT3_P12ihipStream_tbPNSt15iterator_traitsISK_E10value_typeEPNSQ_ISL_E10value_typeEPSM_NS1_7vsmem_tEENKUlT_SK_SL_SM_E_clISE_PySF_SF_EESJ_SZ_SK_SL_SM_EUlSZ_E_NS1_11comp_targetILNS1_3genE3ELNS1_11target_archE908ELNS1_3gpuE7ELNS1_3repE0EEENS1_48merge_mergepath_partition_config_static_selectorELNS0_4arch9wavefront6targetE1EEEvSL_,comdat
	.protected	_ZN7rocprim17ROCPRIM_400000_NS6detail17trampoline_kernelINS0_14default_configENS1_38merge_sort_block_merge_config_selectorIyNS0_10empty_typeEEEZZNS1_27merge_sort_block_merge_implIS3_N6thrust23THRUST_200600_302600_NS6detail15normal_iteratorINS9_10device_ptrIyEEEEPS5_jNS1_19radix_merge_compareILb0ELb0EyNS0_19identity_decomposerEEEEE10hipError_tT0_T1_T2_jT3_P12ihipStream_tbPNSt15iterator_traitsISK_E10value_typeEPNSQ_ISL_E10value_typeEPSM_NS1_7vsmem_tEENKUlT_SK_SL_SM_E_clISE_PySF_SF_EESJ_SZ_SK_SL_SM_EUlSZ_E_NS1_11comp_targetILNS1_3genE3ELNS1_11target_archE908ELNS1_3gpuE7ELNS1_3repE0EEENS1_48merge_mergepath_partition_config_static_selectorELNS0_4arch9wavefront6targetE1EEEvSL_ ; -- Begin function _ZN7rocprim17ROCPRIM_400000_NS6detail17trampoline_kernelINS0_14default_configENS1_38merge_sort_block_merge_config_selectorIyNS0_10empty_typeEEEZZNS1_27merge_sort_block_merge_implIS3_N6thrust23THRUST_200600_302600_NS6detail15normal_iteratorINS9_10device_ptrIyEEEEPS5_jNS1_19radix_merge_compareILb0ELb0EyNS0_19identity_decomposerEEEEE10hipError_tT0_T1_T2_jT3_P12ihipStream_tbPNSt15iterator_traitsISK_E10value_typeEPNSQ_ISL_E10value_typeEPSM_NS1_7vsmem_tEENKUlT_SK_SL_SM_E_clISE_PySF_SF_EESJ_SZ_SK_SL_SM_EUlSZ_E_NS1_11comp_targetILNS1_3genE3ELNS1_11target_archE908ELNS1_3gpuE7ELNS1_3repE0EEENS1_48merge_mergepath_partition_config_static_selectorELNS0_4arch9wavefront6targetE1EEEvSL_
	.globl	_ZN7rocprim17ROCPRIM_400000_NS6detail17trampoline_kernelINS0_14default_configENS1_38merge_sort_block_merge_config_selectorIyNS0_10empty_typeEEEZZNS1_27merge_sort_block_merge_implIS3_N6thrust23THRUST_200600_302600_NS6detail15normal_iteratorINS9_10device_ptrIyEEEEPS5_jNS1_19radix_merge_compareILb0ELb0EyNS0_19identity_decomposerEEEEE10hipError_tT0_T1_T2_jT3_P12ihipStream_tbPNSt15iterator_traitsISK_E10value_typeEPNSQ_ISL_E10value_typeEPSM_NS1_7vsmem_tEENKUlT_SK_SL_SM_E_clISE_PySF_SF_EESJ_SZ_SK_SL_SM_EUlSZ_E_NS1_11comp_targetILNS1_3genE3ELNS1_11target_archE908ELNS1_3gpuE7ELNS1_3repE0EEENS1_48merge_mergepath_partition_config_static_selectorELNS0_4arch9wavefront6targetE1EEEvSL_
	.p2align	8
	.type	_ZN7rocprim17ROCPRIM_400000_NS6detail17trampoline_kernelINS0_14default_configENS1_38merge_sort_block_merge_config_selectorIyNS0_10empty_typeEEEZZNS1_27merge_sort_block_merge_implIS3_N6thrust23THRUST_200600_302600_NS6detail15normal_iteratorINS9_10device_ptrIyEEEEPS5_jNS1_19radix_merge_compareILb0ELb0EyNS0_19identity_decomposerEEEEE10hipError_tT0_T1_T2_jT3_P12ihipStream_tbPNSt15iterator_traitsISK_E10value_typeEPNSQ_ISL_E10value_typeEPSM_NS1_7vsmem_tEENKUlT_SK_SL_SM_E_clISE_PySF_SF_EESJ_SZ_SK_SL_SM_EUlSZ_E_NS1_11comp_targetILNS1_3genE3ELNS1_11target_archE908ELNS1_3gpuE7ELNS1_3repE0EEENS1_48merge_mergepath_partition_config_static_selectorELNS0_4arch9wavefront6targetE1EEEvSL_,@function
_ZN7rocprim17ROCPRIM_400000_NS6detail17trampoline_kernelINS0_14default_configENS1_38merge_sort_block_merge_config_selectorIyNS0_10empty_typeEEEZZNS1_27merge_sort_block_merge_implIS3_N6thrust23THRUST_200600_302600_NS6detail15normal_iteratorINS9_10device_ptrIyEEEEPS5_jNS1_19radix_merge_compareILb0ELb0EyNS0_19identity_decomposerEEEEE10hipError_tT0_T1_T2_jT3_P12ihipStream_tbPNSt15iterator_traitsISK_E10value_typeEPNSQ_ISL_E10value_typeEPSM_NS1_7vsmem_tEENKUlT_SK_SL_SM_E_clISE_PySF_SF_EESJ_SZ_SK_SL_SM_EUlSZ_E_NS1_11comp_targetILNS1_3genE3ELNS1_11target_archE908ELNS1_3gpuE7ELNS1_3repE0EEENS1_48merge_mergepath_partition_config_static_selectorELNS0_4arch9wavefront6targetE1EEEvSL_: ; @_ZN7rocprim17ROCPRIM_400000_NS6detail17trampoline_kernelINS0_14default_configENS1_38merge_sort_block_merge_config_selectorIyNS0_10empty_typeEEEZZNS1_27merge_sort_block_merge_implIS3_N6thrust23THRUST_200600_302600_NS6detail15normal_iteratorINS9_10device_ptrIyEEEEPS5_jNS1_19radix_merge_compareILb0ELb0EyNS0_19identity_decomposerEEEEE10hipError_tT0_T1_T2_jT3_P12ihipStream_tbPNSt15iterator_traitsISK_E10value_typeEPNSQ_ISL_E10value_typeEPSM_NS1_7vsmem_tEENKUlT_SK_SL_SM_E_clISE_PySF_SF_EESJ_SZ_SK_SL_SM_EUlSZ_E_NS1_11comp_targetILNS1_3genE3ELNS1_11target_archE908ELNS1_3gpuE7ELNS1_3repE0EEENS1_48merge_mergepath_partition_config_static_selectorELNS0_4arch9wavefront6targetE1EEEvSL_
; %bb.0:
	.section	.rodata,"a",@progbits
	.p2align	6, 0x0
	.amdhsa_kernel _ZN7rocprim17ROCPRIM_400000_NS6detail17trampoline_kernelINS0_14default_configENS1_38merge_sort_block_merge_config_selectorIyNS0_10empty_typeEEEZZNS1_27merge_sort_block_merge_implIS3_N6thrust23THRUST_200600_302600_NS6detail15normal_iteratorINS9_10device_ptrIyEEEEPS5_jNS1_19radix_merge_compareILb0ELb0EyNS0_19identity_decomposerEEEEE10hipError_tT0_T1_T2_jT3_P12ihipStream_tbPNSt15iterator_traitsISK_E10value_typeEPNSQ_ISL_E10value_typeEPSM_NS1_7vsmem_tEENKUlT_SK_SL_SM_E_clISE_PySF_SF_EESJ_SZ_SK_SL_SM_EUlSZ_E_NS1_11comp_targetILNS1_3genE3ELNS1_11target_archE908ELNS1_3gpuE7ELNS1_3repE0EEENS1_48merge_mergepath_partition_config_static_selectorELNS0_4arch9wavefront6targetE1EEEvSL_
		.amdhsa_group_segment_fixed_size 0
		.amdhsa_private_segment_fixed_size 0
		.amdhsa_kernarg_size 40
		.amdhsa_user_sgpr_count 6
		.amdhsa_user_sgpr_private_segment_buffer 1
		.amdhsa_user_sgpr_dispatch_ptr 0
		.amdhsa_user_sgpr_queue_ptr 0
		.amdhsa_user_sgpr_kernarg_segment_ptr 1
		.amdhsa_user_sgpr_dispatch_id 0
		.amdhsa_user_sgpr_flat_scratch_init 0
		.amdhsa_user_sgpr_kernarg_preload_length 0
		.amdhsa_user_sgpr_kernarg_preload_offset 0
		.amdhsa_user_sgpr_private_segment_size 0
		.amdhsa_uses_dynamic_stack 0
		.amdhsa_system_sgpr_private_segment_wavefront_offset 0
		.amdhsa_system_sgpr_workgroup_id_x 1
		.amdhsa_system_sgpr_workgroup_id_y 0
		.amdhsa_system_sgpr_workgroup_id_z 0
		.amdhsa_system_sgpr_workgroup_info 0
		.amdhsa_system_vgpr_workitem_id 0
		.amdhsa_next_free_vgpr 1
		.amdhsa_next_free_sgpr 0
		.amdhsa_accum_offset 4
		.amdhsa_reserve_vcc 0
		.amdhsa_reserve_flat_scratch 0
		.amdhsa_float_round_mode_32 0
		.amdhsa_float_round_mode_16_64 0
		.amdhsa_float_denorm_mode_32 3
		.amdhsa_float_denorm_mode_16_64 3
		.amdhsa_dx10_clamp 1
		.amdhsa_ieee_mode 1
		.amdhsa_fp16_overflow 0
		.amdhsa_tg_split 0
		.amdhsa_exception_fp_ieee_invalid_op 0
		.amdhsa_exception_fp_denorm_src 0
		.amdhsa_exception_fp_ieee_div_zero 0
		.amdhsa_exception_fp_ieee_overflow 0
		.amdhsa_exception_fp_ieee_underflow 0
		.amdhsa_exception_fp_ieee_inexact 0
		.amdhsa_exception_int_div_zero 0
	.end_amdhsa_kernel
	.section	.text._ZN7rocprim17ROCPRIM_400000_NS6detail17trampoline_kernelINS0_14default_configENS1_38merge_sort_block_merge_config_selectorIyNS0_10empty_typeEEEZZNS1_27merge_sort_block_merge_implIS3_N6thrust23THRUST_200600_302600_NS6detail15normal_iteratorINS9_10device_ptrIyEEEEPS5_jNS1_19radix_merge_compareILb0ELb0EyNS0_19identity_decomposerEEEEE10hipError_tT0_T1_T2_jT3_P12ihipStream_tbPNSt15iterator_traitsISK_E10value_typeEPNSQ_ISL_E10value_typeEPSM_NS1_7vsmem_tEENKUlT_SK_SL_SM_E_clISE_PySF_SF_EESJ_SZ_SK_SL_SM_EUlSZ_E_NS1_11comp_targetILNS1_3genE3ELNS1_11target_archE908ELNS1_3gpuE7ELNS1_3repE0EEENS1_48merge_mergepath_partition_config_static_selectorELNS0_4arch9wavefront6targetE1EEEvSL_,"axG",@progbits,_ZN7rocprim17ROCPRIM_400000_NS6detail17trampoline_kernelINS0_14default_configENS1_38merge_sort_block_merge_config_selectorIyNS0_10empty_typeEEEZZNS1_27merge_sort_block_merge_implIS3_N6thrust23THRUST_200600_302600_NS6detail15normal_iteratorINS9_10device_ptrIyEEEEPS5_jNS1_19radix_merge_compareILb0ELb0EyNS0_19identity_decomposerEEEEE10hipError_tT0_T1_T2_jT3_P12ihipStream_tbPNSt15iterator_traitsISK_E10value_typeEPNSQ_ISL_E10value_typeEPSM_NS1_7vsmem_tEENKUlT_SK_SL_SM_E_clISE_PySF_SF_EESJ_SZ_SK_SL_SM_EUlSZ_E_NS1_11comp_targetILNS1_3genE3ELNS1_11target_archE908ELNS1_3gpuE7ELNS1_3repE0EEENS1_48merge_mergepath_partition_config_static_selectorELNS0_4arch9wavefront6targetE1EEEvSL_,comdat
.Lfunc_end752:
	.size	_ZN7rocprim17ROCPRIM_400000_NS6detail17trampoline_kernelINS0_14default_configENS1_38merge_sort_block_merge_config_selectorIyNS0_10empty_typeEEEZZNS1_27merge_sort_block_merge_implIS3_N6thrust23THRUST_200600_302600_NS6detail15normal_iteratorINS9_10device_ptrIyEEEEPS5_jNS1_19radix_merge_compareILb0ELb0EyNS0_19identity_decomposerEEEEE10hipError_tT0_T1_T2_jT3_P12ihipStream_tbPNSt15iterator_traitsISK_E10value_typeEPNSQ_ISL_E10value_typeEPSM_NS1_7vsmem_tEENKUlT_SK_SL_SM_E_clISE_PySF_SF_EESJ_SZ_SK_SL_SM_EUlSZ_E_NS1_11comp_targetILNS1_3genE3ELNS1_11target_archE908ELNS1_3gpuE7ELNS1_3repE0EEENS1_48merge_mergepath_partition_config_static_selectorELNS0_4arch9wavefront6targetE1EEEvSL_, .Lfunc_end752-_ZN7rocprim17ROCPRIM_400000_NS6detail17trampoline_kernelINS0_14default_configENS1_38merge_sort_block_merge_config_selectorIyNS0_10empty_typeEEEZZNS1_27merge_sort_block_merge_implIS3_N6thrust23THRUST_200600_302600_NS6detail15normal_iteratorINS9_10device_ptrIyEEEEPS5_jNS1_19radix_merge_compareILb0ELb0EyNS0_19identity_decomposerEEEEE10hipError_tT0_T1_T2_jT3_P12ihipStream_tbPNSt15iterator_traitsISK_E10value_typeEPNSQ_ISL_E10value_typeEPSM_NS1_7vsmem_tEENKUlT_SK_SL_SM_E_clISE_PySF_SF_EESJ_SZ_SK_SL_SM_EUlSZ_E_NS1_11comp_targetILNS1_3genE3ELNS1_11target_archE908ELNS1_3gpuE7ELNS1_3repE0EEENS1_48merge_mergepath_partition_config_static_selectorELNS0_4arch9wavefront6targetE1EEEvSL_
                                        ; -- End function
	.section	.AMDGPU.csdata,"",@progbits
; Kernel info:
; codeLenInByte = 0
; NumSgprs: 4
; NumVgprs: 0
; NumAgprs: 0
; TotalNumVgprs: 0
; ScratchSize: 0
; MemoryBound: 0
; FloatMode: 240
; IeeeMode: 1
; LDSByteSize: 0 bytes/workgroup (compile time only)
; SGPRBlocks: 0
; VGPRBlocks: 0
; NumSGPRsForWavesPerEU: 4
; NumVGPRsForWavesPerEU: 1
; AccumOffset: 4
; Occupancy: 8
; WaveLimiterHint : 0
; COMPUTE_PGM_RSRC2:SCRATCH_EN: 0
; COMPUTE_PGM_RSRC2:USER_SGPR: 6
; COMPUTE_PGM_RSRC2:TRAP_HANDLER: 0
; COMPUTE_PGM_RSRC2:TGID_X_EN: 1
; COMPUTE_PGM_RSRC2:TGID_Y_EN: 0
; COMPUTE_PGM_RSRC2:TGID_Z_EN: 0
; COMPUTE_PGM_RSRC2:TIDIG_COMP_CNT: 0
; COMPUTE_PGM_RSRC3_GFX90A:ACCUM_OFFSET: 0
; COMPUTE_PGM_RSRC3_GFX90A:TG_SPLIT: 0
	.section	.text._ZN7rocprim17ROCPRIM_400000_NS6detail17trampoline_kernelINS0_14default_configENS1_38merge_sort_block_merge_config_selectorIyNS0_10empty_typeEEEZZNS1_27merge_sort_block_merge_implIS3_N6thrust23THRUST_200600_302600_NS6detail15normal_iteratorINS9_10device_ptrIyEEEEPS5_jNS1_19radix_merge_compareILb0ELb0EyNS0_19identity_decomposerEEEEE10hipError_tT0_T1_T2_jT3_P12ihipStream_tbPNSt15iterator_traitsISK_E10value_typeEPNSQ_ISL_E10value_typeEPSM_NS1_7vsmem_tEENKUlT_SK_SL_SM_E_clISE_PySF_SF_EESJ_SZ_SK_SL_SM_EUlSZ_E_NS1_11comp_targetILNS1_3genE2ELNS1_11target_archE906ELNS1_3gpuE6ELNS1_3repE0EEENS1_48merge_mergepath_partition_config_static_selectorELNS0_4arch9wavefront6targetE1EEEvSL_,"axG",@progbits,_ZN7rocprim17ROCPRIM_400000_NS6detail17trampoline_kernelINS0_14default_configENS1_38merge_sort_block_merge_config_selectorIyNS0_10empty_typeEEEZZNS1_27merge_sort_block_merge_implIS3_N6thrust23THRUST_200600_302600_NS6detail15normal_iteratorINS9_10device_ptrIyEEEEPS5_jNS1_19radix_merge_compareILb0ELb0EyNS0_19identity_decomposerEEEEE10hipError_tT0_T1_T2_jT3_P12ihipStream_tbPNSt15iterator_traitsISK_E10value_typeEPNSQ_ISL_E10value_typeEPSM_NS1_7vsmem_tEENKUlT_SK_SL_SM_E_clISE_PySF_SF_EESJ_SZ_SK_SL_SM_EUlSZ_E_NS1_11comp_targetILNS1_3genE2ELNS1_11target_archE906ELNS1_3gpuE6ELNS1_3repE0EEENS1_48merge_mergepath_partition_config_static_selectorELNS0_4arch9wavefront6targetE1EEEvSL_,comdat
	.protected	_ZN7rocprim17ROCPRIM_400000_NS6detail17trampoline_kernelINS0_14default_configENS1_38merge_sort_block_merge_config_selectorIyNS0_10empty_typeEEEZZNS1_27merge_sort_block_merge_implIS3_N6thrust23THRUST_200600_302600_NS6detail15normal_iteratorINS9_10device_ptrIyEEEEPS5_jNS1_19radix_merge_compareILb0ELb0EyNS0_19identity_decomposerEEEEE10hipError_tT0_T1_T2_jT3_P12ihipStream_tbPNSt15iterator_traitsISK_E10value_typeEPNSQ_ISL_E10value_typeEPSM_NS1_7vsmem_tEENKUlT_SK_SL_SM_E_clISE_PySF_SF_EESJ_SZ_SK_SL_SM_EUlSZ_E_NS1_11comp_targetILNS1_3genE2ELNS1_11target_archE906ELNS1_3gpuE6ELNS1_3repE0EEENS1_48merge_mergepath_partition_config_static_selectorELNS0_4arch9wavefront6targetE1EEEvSL_ ; -- Begin function _ZN7rocprim17ROCPRIM_400000_NS6detail17trampoline_kernelINS0_14default_configENS1_38merge_sort_block_merge_config_selectorIyNS0_10empty_typeEEEZZNS1_27merge_sort_block_merge_implIS3_N6thrust23THRUST_200600_302600_NS6detail15normal_iteratorINS9_10device_ptrIyEEEEPS5_jNS1_19radix_merge_compareILb0ELb0EyNS0_19identity_decomposerEEEEE10hipError_tT0_T1_T2_jT3_P12ihipStream_tbPNSt15iterator_traitsISK_E10value_typeEPNSQ_ISL_E10value_typeEPSM_NS1_7vsmem_tEENKUlT_SK_SL_SM_E_clISE_PySF_SF_EESJ_SZ_SK_SL_SM_EUlSZ_E_NS1_11comp_targetILNS1_3genE2ELNS1_11target_archE906ELNS1_3gpuE6ELNS1_3repE0EEENS1_48merge_mergepath_partition_config_static_selectorELNS0_4arch9wavefront6targetE1EEEvSL_
	.globl	_ZN7rocprim17ROCPRIM_400000_NS6detail17trampoline_kernelINS0_14default_configENS1_38merge_sort_block_merge_config_selectorIyNS0_10empty_typeEEEZZNS1_27merge_sort_block_merge_implIS3_N6thrust23THRUST_200600_302600_NS6detail15normal_iteratorINS9_10device_ptrIyEEEEPS5_jNS1_19radix_merge_compareILb0ELb0EyNS0_19identity_decomposerEEEEE10hipError_tT0_T1_T2_jT3_P12ihipStream_tbPNSt15iterator_traitsISK_E10value_typeEPNSQ_ISL_E10value_typeEPSM_NS1_7vsmem_tEENKUlT_SK_SL_SM_E_clISE_PySF_SF_EESJ_SZ_SK_SL_SM_EUlSZ_E_NS1_11comp_targetILNS1_3genE2ELNS1_11target_archE906ELNS1_3gpuE6ELNS1_3repE0EEENS1_48merge_mergepath_partition_config_static_selectorELNS0_4arch9wavefront6targetE1EEEvSL_
	.p2align	8
	.type	_ZN7rocprim17ROCPRIM_400000_NS6detail17trampoline_kernelINS0_14default_configENS1_38merge_sort_block_merge_config_selectorIyNS0_10empty_typeEEEZZNS1_27merge_sort_block_merge_implIS3_N6thrust23THRUST_200600_302600_NS6detail15normal_iteratorINS9_10device_ptrIyEEEEPS5_jNS1_19radix_merge_compareILb0ELb0EyNS0_19identity_decomposerEEEEE10hipError_tT0_T1_T2_jT3_P12ihipStream_tbPNSt15iterator_traitsISK_E10value_typeEPNSQ_ISL_E10value_typeEPSM_NS1_7vsmem_tEENKUlT_SK_SL_SM_E_clISE_PySF_SF_EESJ_SZ_SK_SL_SM_EUlSZ_E_NS1_11comp_targetILNS1_3genE2ELNS1_11target_archE906ELNS1_3gpuE6ELNS1_3repE0EEENS1_48merge_mergepath_partition_config_static_selectorELNS0_4arch9wavefront6targetE1EEEvSL_,@function
_ZN7rocprim17ROCPRIM_400000_NS6detail17trampoline_kernelINS0_14default_configENS1_38merge_sort_block_merge_config_selectorIyNS0_10empty_typeEEEZZNS1_27merge_sort_block_merge_implIS3_N6thrust23THRUST_200600_302600_NS6detail15normal_iteratorINS9_10device_ptrIyEEEEPS5_jNS1_19radix_merge_compareILb0ELb0EyNS0_19identity_decomposerEEEEE10hipError_tT0_T1_T2_jT3_P12ihipStream_tbPNSt15iterator_traitsISK_E10value_typeEPNSQ_ISL_E10value_typeEPSM_NS1_7vsmem_tEENKUlT_SK_SL_SM_E_clISE_PySF_SF_EESJ_SZ_SK_SL_SM_EUlSZ_E_NS1_11comp_targetILNS1_3genE2ELNS1_11target_archE906ELNS1_3gpuE6ELNS1_3repE0EEENS1_48merge_mergepath_partition_config_static_selectorELNS0_4arch9wavefront6targetE1EEEvSL_: ; @_ZN7rocprim17ROCPRIM_400000_NS6detail17trampoline_kernelINS0_14default_configENS1_38merge_sort_block_merge_config_selectorIyNS0_10empty_typeEEEZZNS1_27merge_sort_block_merge_implIS3_N6thrust23THRUST_200600_302600_NS6detail15normal_iteratorINS9_10device_ptrIyEEEEPS5_jNS1_19radix_merge_compareILb0ELb0EyNS0_19identity_decomposerEEEEE10hipError_tT0_T1_T2_jT3_P12ihipStream_tbPNSt15iterator_traitsISK_E10value_typeEPNSQ_ISL_E10value_typeEPSM_NS1_7vsmem_tEENKUlT_SK_SL_SM_E_clISE_PySF_SF_EESJ_SZ_SK_SL_SM_EUlSZ_E_NS1_11comp_targetILNS1_3genE2ELNS1_11target_archE906ELNS1_3gpuE6ELNS1_3repE0EEENS1_48merge_mergepath_partition_config_static_selectorELNS0_4arch9wavefront6targetE1EEEvSL_
; %bb.0:
	.section	.rodata,"a",@progbits
	.p2align	6, 0x0
	.amdhsa_kernel _ZN7rocprim17ROCPRIM_400000_NS6detail17trampoline_kernelINS0_14default_configENS1_38merge_sort_block_merge_config_selectorIyNS0_10empty_typeEEEZZNS1_27merge_sort_block_merge_implIS3_N6thrust23THRUST_200600_302600_NS6detail15normal_iteratorINS9_10device_ptrIyEEEEPS5_jNS1_19radix_merge_compareILb0ELb0EyNS0_19identity_decomposerEEEEE10hipError_tT0_T1_T2_jT3_P12ihipStream_tbPNSt15iterator_traitsISK_E10value_typeEPNSQ_ISL_E10value_typeEPSM_NS1_7vsmem_tEENKUlT_SK_SL_SM_E_clISE_PySF_SF_EESJ_SZ_SK_SL_SM_EUlSZ_E_NS1_11comp_targetILNS1_3genE2ELNS1_11target_archE906ELNS1_3gpuE6ELNS1_3repE0EEENS1_48merge_mergepath_partition_config_static_selectorELNS0_4arch9wavefront6targetE1EEEvSL_
		.amdhsa_group_segment_fixed_size 0
		.amdhsa_private_segment_fixed_size 0
		.amdhsa_kernarg_size 40
		.amdhsa_user_sgpr_count 6
		.amdhsa_user_sgpr_private_segment_buffer 1
		.amdhsa_user_sgpr_dispatch_ptr 0
		.amdhsa_user_sgpr_queue_ptr 0
		.amdhsa_user_sgpr_kernarg_segment_ptr 1
		.amdhsa_user_sgpr_dispatch_id 0
		.amdhsa_user_sgpr_flat_scratch_init 0
		.amdhsa_user_sgpr_kernarg_preload_length 0
		.amdhsa_user_sgpr_kernarg_preload_offset 0
		.amdhsa_user_sgpr_private_segment_size 0
		.amdhsa_uses_dynamic_stack 0
		.amdhsa_system_sgpr_private_segment_wavefront_offset 0
		.amdhsa_system_sgpr_workgroup_id_x 1
		.amdhsa_system_sgpr_workgroup_id_y 0
		.amdhsa_system_sgpr_workgroup_id_z 0
		.amdhsa_system_sgpr_workgroup_info 0
		.amdhsa_system_vgpr_workitem_id 0
		.amdhsa_next_free_vgpr 1
		.amdhsa_next_free_sgpr 0
		.amdhsa_accum_offset 4
		.amdhsa_reserve_vcc 0
		.amdhsa_reserve_flat_scratch 0
		.amdhsa_float_round_mode_32 0
		.amdhsa_float_round_mode_16_64 0
		.amdhsa_float_denorm_mode_32 3
		.amdhsa_float_denorm_mode_16_64 3
		.amdhsa_dx10_clamp 1
		.amdhsa_ieee_mode 1
		.amdhsa_fp16_overflow 0
		.amdhsa_tg_split 0
		.amdhsa_exception_fp_ieee_invalid_op 0
		.amdhsa_exception_fp_denorm_src 0
		.amdhsa_exception_fp_ieee_div_zero 0
		.amdhsa_exception_fp_ieee_overflow 0
		.amdhsa_exception_fp_ieee_underflow 0
		.amdhsa_exception_fp_ieee_inexact 0
		.amdhsa_exception_int_div_zero 0
	.end_amdhsa_kernel
	.section	.text._ZN7rocprim17ROCPRIM_400000_NS6detail17trampoline_kernelINS0_14default_configENS1_38merge_sort_block_merge_config_selectorIyNS0_10empty_typeEEEZZNS1_27merge_sort_block_merge_implIS3_N6thrust23THRUST_200600_302600_NS6detail15normal_iteratorINS9_10device_ptrIyEEEEPS5_jNS1_19radix_merge_compareILb0ELb0EyNS0_19identity_decomposerEEEEE10hipError_tT0_T1_T2_jT3_P12ihipStream_tbPNSt15iterator_traitsISK_E10value_typeEPNSQ_ISL_E10value_typeEPSM_NS1_7vsmem_tEENKUlT_SK_SL_SM_E_clISE_PySF_SF_EESJ_SZ_SK_SL_SM_EUlSZ_E_NS1_11comp_targetILNS1_3genE2ELNS1_11target_archE906ELNS1_3gpuE6ELNS1_3repE0EEENS1_48merge_mergepath_partition_config_static_selectorELNS0_4arch9wavefront6targetE1EEEvSL_,"axG",@progbits,_ZN7rocprim17ROCPRIM_400000_NS6detail17trampoline_kernelINS0_14default_configENS1_38merge_sort_block_merge_config_selectorIyNS0_10empty_typeEEEZZNS1_27merge_sort_block_merge_implIS3_N6thrust23THRUST_200600_302600_NS6detail15normal_iteratorINS9_10device_ptrIyEEEEPS5_jNS1_19radix_merge_compareILb0ELb0EyNS0_19identity_decomposerEEEEE10hipError_tT0_T1_T2_jT3_P12ihipStream_tbPNSt15iterator_traitsISK_E10value_typeEPNSQ_ISL_E10value_typeEPSM_NS1_7vsmem_tEENKUlT_SK_SL_SM_E_clISE_PySF_SF_EESJ_SZ_SK_SL_SM_EUlSZ_E_NS1_11comp_targetILNS1_3genE2ELNS1_11target_archE906ELNS1_3gpuE6ELNS1_3repE0EEENS1_48merge_mergepath_partition_config_static_selectorELNS0_4arch9wavefront6targetE1EEEvSL_,comdat
.Lfunc_end753:
	.size	_ZN7rocprim17ROCPRIM_400000_NS6detail17trampoline_kernelINS0_14default_configENS1_38merge_sort_block_merge_config_selectorIyNS0_10empty_typeEEEZZNS1_27merge_sort_block_merge_implIS3_N6thrust23THRUST_200600_302600_NS6detail15normal_iteratorINS9_10device_ptrIyEEEEPS5_jNS1_19radix_merge_compareILb0ELb0EyNS0_19identity_decomposerEEEEE10hipError_tT0_T1_T2_jT3_P12ihipStream_tbPNSt15iterator_traitsISK_E10value_typeEPNSQ_ISL_E10value_typeEPSM_NS1_7vsmem_tEENKUlT_SK_SL_SM_E_clISE_PySF_SF_EESJ_SZ_SK_SL_SM_EUlSZ_E_NS1_11comp_targetILNS1_3genE2ELNS1_11target_archE906ELNS1_3gpuE6ELNS1_3repE0EEENS1_48merge_mergepath_partition_config_static_selectorELNS0_4arch9wavefront6targetE1EEEvSL_, .Lfunc_end753-_ZN7rocprim17ROCPRIM_400000_NS6detail17trampoline_kernelINS0_14default_configENS1_38merge_sort_block_merge_config_selectorIyNS0_10empty_typeEEEZZNS1_27merge_sort_block_merge_implIS3_N6thrust23THRUST_200600_302600_NS6detail15normal_iteratorINS9_10device_ptrIyEEEEPS5_jNS1_19radix_merge_compareILb0ELb0EyNS0_19identity_decomposerEEEEE10hipError_tT0_T1_T2_jT3_P12ihipStream_tbPNSt15iterator_traitsISK_E10value_typeEPNSQ_ISL_E10value_typeEPSM_NS1_7vsmem_tEENKUlT_SK_SL_SM_E_clISE_PySF_SF_EESJ_SZ_SK_SL_SM_EUlSZ_E_NS1_11comp_targetILNS1_3genE2ELNS1_11target_archE906ELNS1_3gpuE6ELNS1_3repE0EEENS1_48merge_mergepath_partition_config_static_selectorELNS0_4arch9wavefront6targetE1EEEvSL_
                                        ; -- End function
	.section	.AMDGPU.csdata,"",@progbits
; Kernel info:
; codeLenInByte = 0
; NumSgprs: 4
; NumVgprs: 0
; NumAgprs: 0
; TotalNumVgprs: 0
; ScratchSize: 0
; MemoryBound: 0
; FloatMode: 240
; IeeeMode: 1
; LDSByteSize: 0 bytes/workgroup (compile time only)
; SGPRBlocks: 0
; VGPRBlocks: 0
; NumSGPRsForWavesPerEU: 4
; NumVGPRsForWavesPerEU: 1
; AccumOffset: 4
; Occupancy: 8
; WaveLimiterHint : 0
; COMPUTE_PGM_RSRC2:SCRATCH_EN: 0
; COMPUTE_PGM_RSRC2:USER_SGPR: 6
; COMPUTE_PGM_RSRC2:TRAP_HANDLER: 0
; COMPUTE_PGM_RSRC2:TGID_X_EN: 1
; COMPUTE_PGM_RSRC2:TGID_Y_EN: 0
; COMPUTE_PGM_RSRC2:TGID_Z_EN: 0
; COMPUTE_PGM_RSRC2:TIDIG_COMP_CNT: 0
; COMPUTE_PGM_RSRC3_GFX90A:ACCUM_OFFSET: 0
; COMPUTE_PGM_RSRC3_GFX90A:TG_SPLIT: 0
	.section	.text._ZN7rocprim17ROCPRIM_400000_NS6detail17trampoline_kernelINS0_14default_configENS1_38merge_sort_block_merge_config_selectorIyNS0_10empty_typeEEEZZNS1_27merge_sort_block_merge_implIS3_N6thrust23THRUST_200600_302600_NS6detail15normal_iteratorINS9_10device_ptrIyEEEEPS5_jNS1_19radix_merge_compareILb0ELb0EyNS0_19identity_decomposerEEEEE10hipError_tT0_T1_T2_jT3_P12ihipStream_tbPNSt15iterator_traitsISK_E10value_typeEPNSQ_ISL_E10value_typeEPSM_NS1_7vsmem_tEENKUlT_SK_SL_SM_E_clISE_PySF_SF_EESJ_SZ_SK_SL_SM_EUlSZ_E_NS1_11comp_targetILNS1_3genE9ELNS1_11target_archE1100ELNS1_3gpuE3ELNS1_3repE0EEENS1_48merge_mergepath_partition_config_static_selectorELNS0_4arch9wavefront6targetE1EEEvSL_,"axG",@progbits,_ZN7rocprim17ROCPRIM_400000_NS6detail17trampoline_kernelINS0_14default_configENS1_38merge_sort_block_merge_config_selectorIyNS0_10empty_typeEEEZZNS1_27merge_sort_block_merge_implIS3_N6thrust23THRUST_200600_302600_NS6detail15normal_iteratorINS9_10device_ptrIyEEEEPS5_jNS1_19radix_merge_compareILb0ELb0EyNS0_19identity_decomposerEEEEE10hipError_tT0_T1_T2_jT3_P12ihipStream_tbPNSt15iterator_traitsISK_E10value_typeEPNSQ_ISL_E10value_typeEPSM_NS1_7vsmem_tEENKUlT_SK_SL_SM_E_clISE_PySF_SF_EESJ_SZ_SK_SL_SM_EUlSZ_E_NS1_11comp_targetILNS1_3genE9ELNS1_11target_archE1100ELNS1_3gpuE3ELNS1_3repE0EEENS1_48merge_mergepath_partition_config_static_selectorELNS0_4arch9wavefront6targetE1EEEvSL_,comdat
	.protected	_ZN7rocprim17ROCPRIM_400000_NS6detail17trampoline_kernelINS0_14default_configENS1_38merge_sort_block_merge_config_selectorIyNS0_10empty_typeEEEZZNS1_27merge_sort_block_merge_implIS3_N6thrust23THRUST_200600_302600_NS6detail15normal_iteratorINS9_10device_ptrIyEEEEPS5_jNS1_19radix_merge_compareILb0ELb0EyNS0_19identity_decomposerEEEEE10hipError_tT0_T1_T2_jT3_P12ihipStream_tbPNSt15iterator_traitsISK_E10value_typeEPNSQ_ISL_E10value_typeEPSM_NS1_7vsmem_tEENKUlT_SK_SL_SM_E_clISE_PySF_SF_EESJ_SZ_SK_SL_SM_EUlSZ_E_NS1_11comp_targetILNS1_3genE9ELNS1_11target_archE1100ELNS1_3gpuE3ELNS1_3repE0EEENS1_48merge_mergepath_partition_config_static_selectorELNS0_4arch9wavefront6targetE1EEEvSL_ ; -- Begin function _ZN7rocprim17ROCPRIM_400000_NS6detail17trampoline_kernelINS0_14default_configENS1_38merge_sort_block_merge_config_selectorIyNS0_10empty_typeEEEZZNS1_27merge_sort_block_merge_implIS3_N6thrust23THRUST_200600_302600_NS6detail15normal_iteratorINS9_10device_ptrIyEEEEPS5_jNS1_19radix_merge_compareILb0ELb0EyNS0_19identity_decomposerEEEEE10hipError_tT0_T1_T2_jT3_P12ihipStream_tbPNSt15iterator_traitsISK_E10value_typeEPNSQ_ISL_E10value_typeEPSM_NS1_7vsmem_tEENKUlT_SK_SL_SM_E_clISE_PySF_SF_EESJ_SZ_SK_SL_SM_EUlSZ_E_NS1_11comp_targetILNS1_3genE9ELNS1_11target_archE1100ELNS1_3gpuE3ELNS1_3repE0EEENS1_48merge_mergepath_partition_config_static_selectorELNS0_4arch9wavefront6targetE1EEEvSL_
	.globl	_ZN7rocprim17ROCPRIM_400000_NS6detail17trampoline_kernelINS0_14default_configENS1_38merge_sort_block_merge_config_selectorIyNS0_10empty_typeEEEZZNS1_27merge_sort_block_merge_implIS3_N6thrust23THRUST_200600_302600_NS6detail15normal_iteratorINS9_10device_ptrIyEEEEPS5_jNS1_19radix_merge_compareILb0ELb0EyNS0_19identity_decomposerEEEEE10hipError_tT0_T1_T2_jT3_P12ihipStream_tbPNSt15iterator_traitsISK_E10value_typeEPNSQ_ISL_E10value_typeEPSM_NS1_7vsmem_tEENKUlT_SK_SL_SM_E_clISE_PySF_SF_EESJ_SZ_SK_SL_SM_EUlSZ_E_NS1_11comp_targetILNS1_3genE9ELNS1_11target_archE1100ELNS1_3gpuE3ELNS1_3repE0EEENS1_48merge_mergepath_partition_config_static_selectorELNS0_4arch9wavefront6targetE1EEEvSL_
	.p2align	8
	.type	_ZN7rocprim17ROCPRIM_400000_NS6detail17trampoline_kernelINS0_14default_configENS1_38merge_sort_block_merge_config_selectorIyNS0_10empty_typeEEEZZNS1_27merge_sort_block_merge_implIS3_N6thrust23THRUST_200600_302600_NS6detail15normal_iteratorINS9_10device_ptrIyEEEEPS5_jNS1_19radix_merge_compareILb0ELb0EyNS0_19identity_decomposerEEEEE10hipError_tT0_T1_T2_jT3_P12ihipStream_tbPNSt15iterator_traitsISK_E10value_typeEPNSQ_ISL_E10value_typeEPSM_NS1_7vsmem_tEENKUlT_SK_SL_SM_E_clISE_PySF_SF_EESJ_SZ_SK_SL_SM_EUlSZ_E_NS1_11comp_targetILNS1_3genE9ELNS1_11target_archE1100ELNS1_3gpuE3ELNS1_3repE0EEENS1_48merge_mergepath_partition_config_static_selectorELNS0_4arch9wavefront6targetE1EEEvSL_,@function
_ZN7rocprim17ROCPRIM_400000_NS6detail17trampoline_kernelINS0_14default_configENS1_38merge_sort_block_merge_config_selectorIyNS0_10empty_typeEEEZZNS1_27merge_sort_block_merge_implIS3_N6thrust23THRUST_200600_302600_NS6detail15normal_iteratorINS9_10device_ptrIyEEEEPS5_jNS1_19radix_merge_compareILb0ELb0EyNS0_19identity_decomposerEEEEE10hipError_tT0_T1_T2_jT3_P12ihipStream_tbPNSt15iterator_traitsISK_E10value_typeEPNSQ_ISL_E10value_typeEPSM_NS1_7vsmem_tEENKUlT_SK_SL_SM_E_clISE_PySF_SF_EESJ_SZ_SK_SL_SM_EUlSZ_E_NS1_11comp_targetILNS1_3genE9ELNS1_11target_archE1100ELNS1_3gpuE3ELNS1_3repE0EEENS1_48merge_mergepath_partition_config_static_selectorELNS0_4arch9wavefront6targetE1EEEvSL_: ; @_ZN7rocprim17ROCPRIM_400000_NS6detail17trampoline_kernelINS0_14default_configENS1_38merge_sort_block_merge_config_selectorIyNS0_10empty_typeEEEZZNS1_27merge_sort_block_merge_implIS3_N6thrust23THRUST_200600_302600_NS6detail15normal_iteratorINS9_10device_ptrIyEEEEPS5_jNS1_19radix_merge_compareILb0ELb0EyNS0_19identity_decomposerEEEEE10hipError_tT0_T1_T2_jT3_P12ihipStream_tbPNSt15iterator_traitsISK_E10value_typeEPNSQ_ISL_E10value_typeEPSM_NS1_7vsmem_tEENKUlT_SK_SL_SM_E_clISE_PySF_SF_EESJ_SZ_SK_SL_SM_EUlSZ_E_NS1_11comp_targetILNS1_3genE9ELNS1_11target_archE1100ELNS1_3gpuE3ELNS1_3repE0EEENS1_48merge_mergepath_partition_config_static_selectorELNS0_4arch9wavefront6targetE1EEEvSL_
; %bb.0:
	.section	.rodata,"a",@progbits
	.p2align	6, 0x0
	.amdhsa_kernel _ZN7rocprim17ROCPRIM_400000_NS6detail17trampoline_kernelINS0_14default_configENS1_38merge_sort_block_merge_config_selectorIyNS0_10empty_typeEEEZZNS1_27merge_sort_block_merge_implIS3_N6thrust23THRUST_200600_302600_NS6detail15normal_iteratorINS9_10device_ptrIyEEEEPS5_jNS1_19radix_merge_compareILb0ELb0EyNS0_19identity_decomposerEEEEE10hipError_tT0_T1_T2_jT3_P12ihipStream_tbPNSt15iterator_traitsISK_E10value_typeEPNSQ_ISL_E10value_typeEPSM_NS1_7vsmem_tEENKUlT_SK_SL_SM_E_clISE_PySF_SF_EESJ_SZ_SK_SL_SM_EUlSZ_E_NS1_11comp_targetILNS1_3genE9ELNS1_11target_archE1100ELNS1_3gpuE3ELNS1_3repE0EEENS1_48merge_mergepath_partition_config_static_selectorELNS0_4arch9wavefront6targetE1EEEvSL_
		.amdhsa_group_segment_fixed_size 0
		.amdhsa_private_segment_fixed_size 0
		.amdhsa_kernarg_size 40
		.amdhsa_user_sgpr_count 6
		.amdhsa_user_sgpr_private_segment_buffer 1
		.amdhsa_user_sgpr_dispatch_ptr 0
		.amdhsa_user_sgpr_queue_ptr 0
		.amdhsa_user_sgpr_kernarg_segment_ptr 1
		.amdhsa_user_sgpr_dispatch_id 0
		.amdhsa_user_sgpr_flat_scratch_init 0
		.amdhsa_user_sgpr_kernarg_preload_length 0
		.amdhsa_user_sgpr_kernarg_preload_offset 0
		.amdhsa_user_sgpr_private_segment_size 0
		.amdhsa_uses_dynamic_stack 0
		.amdhsa_system_sgpr_private_segment_wavefront_offset 0
		.amdhsa_system_sgpr_workgroup_id_x 1
		.amdhsa_system_sgpr_workgroup_id_y 0
		.amdhsa_system_sgpr_workgroup_id_z 0
		.amdhsa_system_sgpr_workgroup_info 0
		.amdhsa_system_vgpr_workitem_id 0
		.amdhsa_next_free_vgpr 1
		.amdhsa_next_free_sgpr 0
		.amdhsa_accum_offset 4
		.amdhsa_reserve_vcc 0
		.amdhsa_reserve_flat_scratch 0
		.amdhsa_float_round_mode_32 0
		.amdhsa_float_round_mode_16_64 0
		.amdhsa_float_denorm_mode_32 3
		.amdhsa_float_denorm_mode_16_64 3
		.amdhsa_dx10_clamp 1
		.amdhsa_ieee_mode 1
		.amdhsa_fp16_overflow 0
		.amdhsa_tg_split 0
		.amdhsa_exception_fp_ieee_invalid_op 0
		.amdhsa_exception_fp_denorm_src 0
		.amdhsa_exception_fp_ieee_div_zero 0
		.amdhsa_exception_fp_ieee_overflow 0
		.amdhsa_exception_fp_ieee_underflow 0
		.amdhsa_exception_fp_ieee_inexact 0
		.amdhsa_exception_int_div_zero 0
	.end_amdhsa_kernel
	.section	.text._ZN7rocprim17ROCPRIM_400000_NS6detail17trampoline_kernelINS0_14default_configENS1_38merge_sort_block_merge_config_selectorIyNS0_10empty_typeEEEZZNS1_27merge_sort_block_merge_implIS3_N6thrust23THRUST_200600_302600_NS6detail15normal_iteratorINS9_10device_ptrIyEEEEPS5_jNS1_19radix_merge_compareILb0ELb0EyNS0_19identity_decomposerEEEEE10hipError_tT0_T1_T2_jT3_P12ihipStream_tbPNSt15iterator_traitsISK_E10value_typeEPNSQ_ISL_E10value_typeEPSM_NS1_7vsmem_tEENKUlT_SK_SL_SM_E_clISE_PySF_SF_EESJ_SZ_SK_SL_SM_EUlSZ_E_NS1_11comp_targetILNS1_3genE9ELNS1_11target_archE1100ELNS1_3gpuE3ELNS1_3repE0EEENS1_48merge_mergepath_partition_config_static_selectorELNS0_4arch9wavefront6targetE1EEEvSL_,"axG",@progbits,_ZN7rocprim17ROCPRIM_400000_NS6detail17trampoline_kernelINS0_14default_configENS1_38merge_sort_block_merge_config_selectorIyNS0_10empty_typeEEEZZNS1_27merge_sort_block_merge_implIS3_N6thrust23THRUST_200600_302600_NS6detail15normal_iteratorINS9_10device_ptrIyEEEEPS5_jNS1_19radix_merge_compareILb0ELb0EyNS0_19identity_decomposerEEEEE10hipError_tT0_T1_T2_jT3_P12ihipStream_tbPNSt15iterator_traitsISK_E10value_typeEPNSQ_ISL_E10value_typeEPSM_NS1_7vsmem_tEENKUlT_SK_SL_SM_E_clISE_PySF_SF_EESJ_SZ_SK_SL_SM_EUlSZ_E_NS1_11comp_targetILNS1_3genE9ELNS1_11target_archE1100ELNS1_3gpuE3ELNS1_3repE0EEENS1_48merge_mergepath_partition_config_static_selectorELNS0_4arch9wavefront6targetE1EEEvSL_,comdat
.Lfunc_end754:
	.size	_ZN7rocprim17ROCPRIM_400000_NS6detail17trampoline_kernelINS0_14default_configENS1_38merge_sort_block_merge_config_selectorIyNS0_10empty_typeEEEZZNS1_27merge_sort_block_merge_implIS3_N6thrust23THRUST_200600_302600_NS6detail15normal_iteratorINS9_10device_ptrIyEEEEPS5_jNS1_19radix_merge_compareILb0ELb0EyNS0_19identity_decomposerEEEEE10hipError_tT0_T1_T2_jT3_P12ihipStream_tbPNSt15iterator_traitsISK_E10value_typeEPNSQ_ISL_E10value_typeEPSM_NS1_7vsmem_tEENKUlT_SK_SL_SM_E_clISE_PySF_SF_EESJ_SZ_SK_SL_SM_EUlSZ_E_NS1_11comp_targetILNS1_3genE9ELNS1_11target_archE1100ELNS1_3gpuE3ELNS1_3repE0EEENS1_48merge_mergepath_partition_config_static_selectorELNS0_4arch9wavefront6targetE1EEEvSL_, .Lfunc_end754-_ZN7rocprim17ROCPRIM_400000_NS6detail17trampoline_kernelINS0_14default_configENS1_38merge_sort_block_merge_config_selectorIyNS0_10empty_typeEEEZZNS1_27merge_sort_block_merge_implIS3_N6thrust23THRUST_200600_302600_NS6detail15normal_iteratorINS9_10device_ptrIyEEEEPS5_jNS1_19radix_merge_compareILb0ELb0EyNS0_19identity_decomposerEEEEE10hipError_tT0_T1_T2_jT3_P12ihipStream_tbPNSt15iterator_traitsISK_E10value_typeEPNSQ_ISL_E10value_typeEPSM_NS1_7vsmem_tEENKUlT_SK_SL_SM_E_clISE_PySF_SF_EESJ_SZ_SK_SL_SM_EUlSZ_E_NS1_11comp_targetILNS1_3genE9ELNS1_11target_archE1100ELNS1_3gpuE3ELNS1_3repE0EEENS1_48merge_mergepath_partition_config_static_selectorELNS0_4arch9wavefront6targetE1EEEvSL_
                                        ; -- End function
	.section	.AMDGPU.csdata,"",@progbits
; Kernel info:
; codeLenInByte = 0
; NumSgprs: 4
; NumVgprs: 0
; NumAgprs: 0
; TotalNumVgprs: 0
; ScratchSize: 0
; MemoryBound: 0
; FloatMode: 240
; IeeeMode: 1
; LDSByteSize: 0 bytes/workgroup (compile time only)
; SGPRBlocks: 0
; VGPRBlocks: 0
; NumSGPRsForWavesPerEU: 4
; NumVGPRsForWavesPerEU: 1
; AccumOffset: 4
; Occupancy: 8
; WaveLimiterHint : 0
; COMPUTE_PGM_RSRC2:SCRATCH_EN: 0
; COMPUTE_PGM_RSRC2:USER_SGPR: 6
; COMPUTE_PGM_RSRC2:TRAP_HANDLER: 0
; COMPUTE_PGM_RSRC2:TGID_X_EN: 1
; COMPUTE_PGM_RSRC2:TGID_Y_EN: 0
; COMPUTE_PGM_RSRC2:TGID_Z_EN: 0
; COMPUTE_PGM_RSRC2:TIDIG_COMP_CNT: 0
; COMPUTE_PGM_RSRC3_GFX90A:ACCUM_OFFSET: 0
; COMPUTE_PGM_RSRC3_GFX90A:TG_SPLIT: 0
	.section	.text._ZN7rocprim17ROCPRIM_400000_NS6detail17trampoline_kernelINS0_14default_configENS1_38merge_sort_block_merge_config_selectorIyNS0_10empty_typeEEEZZNS1_27merge_sort_block_merge_implIS3_N6thrust23THRUST_200600_302600_NS6detail15normal_iteratorINS9_10device_ptrIyEEEEPS5_jNS1_19radix_merge_compareILb0ELb0EyNS0_19identity_decomposerEEEEE10hipError_tT0_T1_T2_jT3_P12ihipStream_tbPNSt15iterator_traitsISK_E10value_typeEPNSQ_ISL_E10value_typeEPSM_NS1_7vsmem_tEENKUlT_SK_SL_SM_E_clISE_PySF_SF_EESJ_SZ_SK_SL_SM_EUlSZ_E_NS1_11comp_targetILNS1_3genE8ELNS1_11target_archE1030ELNS1_3gpuE2ELNS1_3repE0EEENS1_48merge_mergepath_partition_config_static_selectorELNS0_4arch9wavefront6targetE1EEEvSL_,"axG",@progbits,_ZN7rocprim17ROCPRIM_400000_NS6detail17trampoline_kernelINS0_14default_configENS1_38merge_sort_block_merge_config_selectorIyNS0_10empty_typeEEEZZNS1_27merge_sort_block_merge_implIS3_N6thrust23THRUST_200600_302600_NS6detail15normal_iteratorINS9_10device_ptrIyEEEEPS5_jNS1_19radix_merge_compareILb0ELb0EyNS0_19identity_decomposerEEEEE10hipError_tT0_T1_T2_jT3_P12ihipStream_tbPNSt15iterator_traitsISK_E10value_typeEPNSQ_ISL_E10value_typeEPSM_NS1_7vsmem_tEENKUlT_SK_SL_SM_E_clISE_PySF_SF_EESJ_SZ_SK_SL_SM_EUlSZ_E_NS1_11comp_targetILNS1_3genE8ELNS1_11target_archE1030ELNS1_3gpuE2ELNS1_3repE0EEENS1_48merge_mergepath_partition_config_static_selectorELNS0_4arch9wavefront6targetE1EEEvSL_,comdat
	.protected	_ZN7rocprim17ROCPRIM_400000_NS6detail17trampoline_kernelINS0_14default_configENS1_38merge_sort_block_merge_config_selectorIyNS0_10empty_typeEEEZZNS1_27merge_sort_block_merge_implIS3_N6thrust23THRUST_200600_302600_NS6detail15normal_iteratorINS9_10device_ptrIyEEEEPS5_jNS1_19radix_merge_compareILb0ELb0EyNS0_19identity_decomposerEEEEE10hipError_tT0_T1_T2_jT3_P12ihipStream_tbPNSt15iterator_traitsISK_E10value_typeEPNSQ_ISL_E10value_typeEPSM_NS1_7vsmem_tEENKUlT_SK_SL_SM_E_clISE_PySF_SF_EESJ_SZ_SK_SL_SM_EUlSZ_E_NS1_11comp_targetILNS1_3genE8ELNS1_11target_archE1030ELNS1_3gpuE2ELNS1_3repE0EEENS1_48merge_mergepath_partition_config_static_selectorELNS0_4arch9wavefront6targetE1EEEvSL_ ; -- Begin function _ZN7rocprim17ROCPRIM_400000_NS6detail17trampoline_kernelINS0_14default_configENS1_38merge_sort_block_merge_config_selectorIyNS0_10empty_typeEEEZZNS1_27merge_sort_block_merge_implIS3_N6thrust23THRUST_200600_302600_NS6detail15normal_iteratorINS9_10device_ptrIyEEEEPS5_jNS1_19radix_merge_compareILb0ELb0EyNS0_19identity_decomposerEEEEE10hipError_tT0_T1_T2_jT3_P12ihipStream_tbPNSt15iterator_traitsISK_E10value_typeEPNSQ_ISL_E10value_typeEPSM_NS1_7vsmem_tEENKUlT_SK_SL_SM_E_clISE_PySF_SF_EESJ_SZ_SK_SL_SM_EUlSZ_E_NS1_11comp_targetILNS1_3genE8ELNS1_11target_archE1030ELNS1_3gpuE2ELNS1_3repE0EEENS1_48merge_mergepath_partition_config_static_selectorELNS0_4arch9wavefront6targetE1EEEvSL_
	.globl	_ZN7rocprim17ROCPRIM_400000_NS6detail17trampoline_kernelINS0_14default_configENS1_38merge_sort_block_merge_config_selectorIyNS0_10empty_typeEEEZZNS1_27merge_sort_block_merge_implIS3_N6thrust23THRUST_200600_302600_NS6detail15normal_iteratorINS9_10device_ptrIyEEEEPS5_jNS1_19radix_merge_compareILb0ELb0EyNS0_19identity_decomposerEEEEE10hipError_tT0_T1_T2_jT3_P12ihipStream_tbPNSt15iterator_traitsISK_E10value_typeEPNSQ_ISL_E10value_typeEPSM_NS1_7vsmem_tEENKUlT_SK_SL_SM_E_clISE_PySF_SF_EESJ_SZ_SK_SL_SM_EUlSZ_E_NS1_11comp_targetILNS1_3genE8ELNS1_11target_archE1030ELNS1_3gpuE2ELNS1_3repE0EEENS1_48merge_mergepath_partition_config_static_selectorELNS0_4arch9wavefront6targetE1EEEvSL_
	.p2align	8
	.type	_ZN7rocprim17ROCPRIM_400000_NS6detail17trampoline_kernelINS0_14default_configENS1_38merge_sort_block_merge_config_selectorIyNS0_10empty_typeEEEZZNS1_27merge_sort_block_merge_implIS3_N6thrust23THRUST_200600_302600_NS6detail15normal_iteratorINS9_10device_ptrIyEEEEPS5_jNS1_19radix_merge_compareILb0ELb0EyNS0_19identity_decomposerEEEEE10hipError_tT0_T1_T2_jT3_P12ihipStream_tbPNSt15iterator_traitsISK_E10value_typeEPNSQ_ISL_E10value_typeEPSM_NS1_7vsmem_tEENKUlT_SK_SL_SM_E_clISE_PySF_SF_EESJ_SZ_SK_SL_SM_EUlSZ_E_NS1_11comp_targetILNS1_3genE8ELNS1_11target_archE1030ELNS1_3gpuE2ELNS1_3repE0EEENS1_48merge_mergepath_partition_config_static_selectorELNS0_4arch9wavefront6targetE1EEEvSL_,@function
_ZN7rocprim17ROCPRIM_400000_NS6detail17trampoline_kernelINS0_14default_configENS1_38merge_sort_block_merge_config_selectorIyNS0_10empty_typeEEEZZNS1_27merge_sort_block_merge_implIS3_N6thrust23THRUST_200600_302600_NS6detail15normal_iteratorINS9_10device_ptrIyEEEEPS5_jNS1_19radix_merge_compareILb0ELb0EyNS0_19identity_decomposerEEEEE10hipError_tT0_T1_T2_jT3_P12ihipStream_tbPNSt15iterator_traitsISK_E10value_typeEPNSQ_ISL_E10value_typeEPSM_NS1_7vsmem_tEENKUlT_SK_SL_SM_E_clISE_PySF_SF_EESJ_SZ_SK_SL_SM_EUlSZ_E_NS1_11comp_targetILNS1_3genE8ELNS1_11target_archE1030ELNS1_3gpuE2ELNS1_3repE0EEENS1_48merge_mergepath_partition_config_static_selectorELNS0_4arch9wavefront6targetE1EEEvSL_: ; @_ZN7rocprim17ROCPRIM_400000_NS6detail17trampoline_kernelINS0_14default_configENS1_38merge_sort_block_merge_config_selectorIyNS0_10empty_typeEEEZZNS1_27merge_sort_block_merge_implIS3_N6thrust23THRUST_200600_302600_NS6detail15normal_iteratorINS9_10device_ptrIyEEEEPS5_jNS1_19radix_merge_compareILb0ELb0EyNS0_19identity_decomposerEEEEE10hipError_tT0_T1_T2_jT3_P12ihipStream_tbPNSt15iterator_traitsISK_E10value_typeEPNSQ_ISL_E10value_typeEPSM_NS1_7vsmem_tEENKUlT_SK_SL_SM_E_clISE_PySF_SF_EESJ_SZ_SK_SL_SM_EUlSZ_E_NS1_11comp_targetILNS1_3genE8ELNS1_11target_archE1030ELNS1_3gpuE2ELNS1_3repE0EEENS1_48merge_mergepath_partition_config_static_selectorELNS0_4arch9wavefront6targetE1EEEvSL_
; %bb.0:
	.section	.rodata,"a",@progbits
	.p2align	6, 0x0
	.amdhsa_kernel _ZN7rocprim17ROCPRIM_400000_NS6detail17trampoline_kernelINS0_14default_configENS1_38merge_sort_block_merge_config_selectorIyNS0_10empty_typeEEEZZNS1_27merge_sort_block_merge_implIS3_N6thrust23THRUST_200600_302600_NS6detail15normal_iteratorINS9_10device_ptrIyEEEEPS5_jNS1_19radix_merge_compareILb0ELb0EyNS0_19identity_decomposerEEEEE10hipError_tT0_T1_T2_jT3_P12ihipStream_tbPNSt15iterator_traitsISK_E10value_typeEPNSQ_ISL_E10value_typeEPSM_NS1_7vsmem_tEENKUlT_SK_SL_SM_E_clISE_PySF_SF_EESJ_SZ_SK_SL_SM_EUlSZ_E_NS1_11comp_targetILNS1_3genE8ELNS1_11target_archE1030ELNS1_3gpuE2ELNS1_3repE0EEENS1_48merge_mergepath_partition_config_static_selectorELNS0_4arch9wavefront6targetE1EEEvSL_
		.amdhsa_group_segment_fixed_size 0
		.amdhsa_private_segment_fixed_size 0
		.amdhsa_kernarg_size 40
		.amdhsa_user_sgpr_count 6
		.amdhsa_user_sgpr_private_segment_buffer 1
		.amdhsa_user_sgpr_dispatch_ptr 0
		.amdhsa_user_sgpr_queue_ptr 0
		.amdhsa_user_sgpr_kernarg_segment_ptr 1
		.amdhsa_user_sgpr_dispatch_id 0
		.amdhsa_user_sgpr_flat_scratch_init 0
		.amdhsa_user_sgpr_kernarg_preload_length 0
		.amdhsa_user_sgpr_kernarg_preload_offset 0
		.amdhsa_user_sgpr_private_segment_size 0
		.amdhsa_uses_dynamic_stack 0
		.amdhsa_system_sgpr_private_segment_wavefront_offset 0
		.amdhsa_system_sgpr_workgroup_id_x 1
		.amdhsa_system_sgpr_workgroup_id_y 0
		.amdhsa_system_sgpr_workgroup_id_z 0
		.amdhsa_system_sgpr_workgroup_info 0
		.amdhsa_system_vgpr_workitem_id 0
		.amdhsa_next_free_vgpr 1
		.amdhsa_next_free_sgpr 0
		.amdhsa_accum_offset 4
		.amdhsa_reserve_vcc 0
		.amdhsa_reserve_flat_scratch 0
		.amdhsa_float_round_mode_32 0
		.amdhsa_float_round_mode_16_64 0
		.amdhsa_float_denorm_mode_32 3
		.amdhsa_float_denorm_mode_16_64 3
		.amdhsa_dx10_clamp 1
		.amdhsa_ieee_mode 1
		.amdhsa_fp16_overflow 0
		.amdhsa_tg_split 0
		.amdhsa_exception_fp_ieee_invalid_op 0
		.amdhsa_exception_fp_denorm_src 0
		.amdhsa_exception_fp_ieee_div_zero 0
		.amdhsa_exception_fp_ieee_overflow 0
		.amdhsa_exception_fp_ieee_underflow 0
		.amdhsa_exception_fp_ieee_inexact 0
		.amdhsa_exception_int_div_zero 0
	.end_amdhsa_kernel
	.section	.text._ZN7rocprim17ROCPRIM_400000_NS6detail17trampoline_kernelINS0_14default_configENS1_38merge_sort_block_merge_config_selectorIyNS0_10empty_typeEEEZZNS1_27merge_sort_block_merge_implIS3_N6thrust23THRUST_200600_302600_NS6detail15normal_iteratorINS9_10device_ptrIyEEEEPS5_jNS1_19radix_merge_compareILb0ELb0EyNS0_19identity_decomposerEEEEE10hipError_tT0_T1_T2_jT3_P12ihipStream_tbPNSt15iterator_traitsISK_E10value_typeEPNSQ_ISL_E10value_typeEPSM_NS1_7vsmem_tEENKUlT_SK_SL_SM_E_clISE_PySF_SF_EESJ_SZ_SK_SL_SM_EUlSZ_E_NS1_11comp_targetILNS1_3genE8ELNS1_11target_archE1030ELNS1_3gpuE2ELNS1_3repE0EEENS1_48merge_mergepath_partition_config_static_selectorELNS0_4arch9wavefront6targetE1EEEvSL_,"axG",@progbits,_ZN7rocprim17ROCPRIM_400000_NS6detail17trampoline_kernelINS0_14default_configENS1_38merge_sort_block_merge_config_selectorIyNS0_10empty_typeEEEZZNS1_27merge_sort_block_merge_implIS3_N6thrust23THRUST_200600_302600_NS6detail15normal_iteratorINS9_10device_ptrIyEEEEPS5_jNS1_19radix_merge_compareILb0ELb0EyNS0_19identity_decomposerEEEEE10hipError_tT0_T1_T2_jT3_P12ihipStream_tbPNSt15iterator_traitsISK_E10value_typeEPNSQ_ISL_E10value_typeEPSM_NS1_7vsmem_tEENKUlT_SK_SL_SM_E_clISE_PySF_SF_EESJ_SZ_SK_SL_SM_EUlSZ_E_NS1_11comp_targetILNS1_3genE8ELNS1_11target_archE1030ELNS1_3gpuE2ELNS1_3repE0EEENS1_48merge_mergepath_partition_config_static_selectorELNS0_4arch9wavefront6targetE1EEEvSL_,comdat
.Lfunc_end755:
	.size	_ZN7rocprim17ROCPRIM_400000_NS6detail17trampoline_kernelINS0_14default_configENS1_38merge_sort_block_merge_config_selectorIyNS0_10empty_typeEEEZZNS1_27merge_sort_block_merge_implIS3_N6thrust23THRUST_200600_302600_NS6detail15normal_iteratorINS9_10device_ptrIyEEEEPS5_jNS1_19radix_merge_compareILb0ELb0EyNS0_19identity_decomposerEEEEE10hipError_tT0_T1_T2_jT3_P12ihipStream_tbPNSt15iterator_traitsISK_E10value_typeEPNSQ_ISL_E10value_typeEPSM_NS1_7vsmem_tEENKUlT_SK_SL_SM_E_clISE_PySF_SF_EESJ_SZ_SK_SL_SM_EUlSZ_E_NS1_11comp_targetILNS1_3genE8ELNS1_11target_archE1030ELNS1_3gpuE2ELNS1_3repE0EEENS1_48merge_mergepath_partition_config_static_selectorELNS0_4arch9wavefront6targetE1EEEvSL_, .Lfunc_end755-_ZN7rocprim17ROCPRIM_400000_NS6detail17trampoline_kernelINS0_14default_configENS1_38merge_sort_block_merge_config_selectorIyNS0_10empty_typeEEEZZNS1_27merge_sort_block_merge_implIS3_N6thrust23THRUST_200600_302600_NS6detail15normal_iteratorINS9_10device_ptrIyEEEEPS5_jNS1_19radix_merge_compareILb0ELb0EyNS0_19identity_decomposerEEEEE10hipError_tT0_T1_T2_jT3_P12ihipStream_tbPNSt15iterator_traitsISK_E10value_typeEPNSQ_ISL_E10value_typeEPSM_NS1_7vsmem_tEENKUlT_SK_SL_SM_E_clISE_PySF_SF_EESJ_SZ_SK_SL_SM_EUlSZ_E_NS1_11comp_targetILNS1_3genE8ELNS1_11target_archE1030ELNS1_3gpuE2ELNS1_3repE0EEENS1_48merge_mergepath_partition_config_static_selectorELNS0_4arch9wavefront6targetE1EEEvSL_
                                        ; -- End function
	.section	.AMDGPU.csdata,"",@progbits
; Kernel info:
; codeLenInByte = 0
; NumSgprs: 4
; NumVgprs: 0
; NumAgprs: 0
; TotalNumVgprs: 0
; ScratchSize: 0
; MemoryBound: 0
; FloatMode: 240
; IeeeMode: 1
; LDSByteSize: 0 bytes/workgroup (compile time only)
; SGPRBlocks: 0
; VGPRBlocks: 0
; NumSGPRsForWavesPerEU: 4
; NumVGPRsForWavesPerEU: 1
; AccumOffset: 4
; Occupancy: 8
; WaveLimiterHint : 0
; COMPUTE_PGM_RSRC2:SCRATCH_EN: 0
; COMPUTE_PGM_RSRC2:USER_SGPR: 6
; COMPUTE_PGM_RSRC2:TRAP_HANDLER: 0
; COMPUTE_PGM_RSRC2:TGID_X_EN: 1
; COMPUTE_PGM_RSRC2:TGID_Y_EN: 0
; COMPUTE_PGM_RSRC2:TGID_Z_EN: 0
; COMPUTE_PGM_RSRC2:TIDIG_COMP_CNT: 0
; COMPUTE_PGM_RSRC3_GFX90A:ACCUM_OFFSET: 0
; COMPUTE_PGM_RSRC3_GFX90A:TG_SPLIT: 0
	.section	.text._ZN7rocprim17ROCPRIM_400000_NS6detail17trampoline_kernelINS0_14default_configENS1_38merge_sort_block_merge_config_selectorIyNS0_10empty_typeEEEZZNS1_27merge_sort_block_merge_implIS3_N6thrust23THRUST_200600_302600_NS6detail15normal_iteratorINS9_10device_ptrIyEEEEPS5_jNS1_19radix_merge_compareILb0ELb0EyNS0_19identity_decomposerEEEEE10hipError_tT0_T1_T2_jT3_P12ihipStream_tbPNSt15iterator_traitsISK_E10value_typeEPNSQ_ISL_E10value_typeEPSM_NS1_7vsmem_tEENKUlT_SK_SL_SM_E_clISE_PySF_SF_EESJ_SZ_SK_SL_SM_EUlSZ_E0_NS1_11comp_targetILNS1_3genE0ELNS1_11target_archE4294967295ELNS1_3gpuE0ELNS1_3repE0EEENS1_38merge_mergepath_config_static_selectorELNS0_4arch9wavefront6targetE1EEEvSL_,"axG",@progbits,_ZN7rocprim17ROCPRIM_400000_NS6detail17trampoline_kernelINS0_14default_configENS1_38merge_sort_block_merge_config_selectorIyNS0_10empty_typeEEEZZNS1_27merge_sort_block_merge_implIS3_N6thrust23THRUST_200600_302600_NS6detail15normal_iteratorINS9_10device_ptrIyEEEEPS5_jNS1_19radix_merge_compareILb0ELb0EyNS0_19identity_decomposerEEEEE10hipError_tT0_T1_T2_jT3_P12ihipStream_tbPNSt15iterator_traitsISK_E10value_typeEPNSQ_ISL_E10value_typeEPSM_NS1_7vsmem_tEENKUlT_SK_SL_SM_E_clISE_PySF_SF_EESJ_SZ_SK_SL_SM_EUlSZ_E0_NS1_11comp_targetILNS1_3genE0ELNS1_11target_archE4294967295ELNS1_3gpuE0ELNS1_3repE0EEENS1_38merge_mergepath_config_static_selectorELNS0_4arch9wavefront6targetE1EEEvSL_,comdat
	.protected	_ZN7rocprim17ROCPRIM_400000_NS6detail17trampoline_kernelINS0_14default_configENS1_38merge_sort_block_merge_config_selectorIyNS0_10empty_typeEEEZZNS1_27merge_sort_block_merge_implIS3_N6thrust23THRUST_200600_302600_NS6detail15normal_iteratorINS9_10device_ptrIyEEEEPS5_jNS1_19radix_merge_compareILb0ELb0EyNS0_19identity_decomposerEEEEE10hipError_tT0_T1_T2_jT3_P12ihipStream_tbPNSt15iterator_traitsISK_E10value_typeEPNSQ_ISL_E10value_typeEPSM_NS1_7vsmem_tEENKUlT_SK_SL_SM_E_clISE_PySF_SF_EESJ_SZ_SK_SL_SM_EUlSZ_E0_NS1_11comp_targetILNS1_3genE0ELNS1_11target_archE4294967295ELNS1_3gpuE0ELNS1_3repE0EEENS1_38merge_mergepath_config_static_selectorELNS0_4arch9wavefront6targetE1EEEvSL_ ; -- Begin function _ZN7rocprim17ROCPRIM_400000_NS6detail17trampoline_kernelINS0_14default_configENS1_38merge_sort_block_merge_config_selectorIyNS0_10empty_typeEEEZZNS1_27merge_sort_block_merge_implIS3_N6thrust23THRUST_200600_302600_NS6detail15normal_iteratorINS9_10device_ptrIyEEEEPS5_jNS1_19radix_merge_compareILb0ELb0EyNS0_19identity_decomposerEEEEE10hipError_tT0_T1_T2_jT3_P12ihipStream_tbPNSt15iterator_traitsISK_E10value_typeEPNSQ_ISL_E10value_typeEPSM_NS1_7vsmem_tEENKUlT_SK_SL_SM_E_clISE_PySF_SF_EESJ_SZ_SK_SL_SM_EUlSZ_E0_NS1_11comp_targetILNS1_3genE0ELNS1_11target_archE4294967295ELNS1_3gpuE0ELNS1_3repE0EEENS1_38merge_mergepath_config_static_selectorELNS0_4arch9wavefront6targetE1EEEvSL_
	.globl	_ZN7rocprim17ROCPRIM_400000_NS6detail17trampoline_kernelINS0_14default_configENS1_38merge_sort_block_merge_config_selectorIyNS0_10empty_typeEEEZZNS1_27merge_sort_block_merge_implIS3_N6thrust23THRUST_200600_302600_NS6detail15normal_iteratorINS9_10device_ptrIyEEEEPS5_jNS1_19radix_merge_compareILb0ELb0EyNS0_19identity_decomposerEEEEE10hipError_tT0_T1_T2_jT3_P12ihipStream_tbPNSt15iterator_traitsISK_E10value_typeEPNSQ_ISL_E10value_typeEPSM_NS1_7vsmem_tEENKUlT_SK_SL_SM_E_clISE_PySF_SF_EESJ_SZ_SK_SL_SM_EUlSZ_E0_NS1_11comp_targetILNS1_3genE0ELNS1_11target_archE4294967295ELNS1_3gpuE0ELNS1_3repE0EEENS1_38merge_mergepath_config_static_selectorELNS0_4arch9wavefront6targetE1EEEvSL_
	.p2align	8
	.type	_ZN7rocprim17ROCPRIM_400000_NS6detail17trampoline_kernelINS0_14default_configENS1_38merge_sort_block_merge_config_selectorIyNS0_10empty_typeEEEZZNS1_27merge_sort_block_merge_implIS3_N6thrust23THRUST_200600_302600_NS6detail15normal_iteratorINS9_10device_ptrIyEEEEPS5_jNS1_19radix_merge_compareILb0ELb0EyNS0_19identity_decomposerEEEEE10hipError_tT0_T1_T2_jT3_P12ihipStream_tbPNSt15iterator_traitsISK_E10value_typeEPNSQ_ISL_E10value_typeEPSM_NS1_7vsmem_tEENKUlT_SK_SL_SM_E_clISE_PySF_SF_EESJ_SZ_SK_SL_SM_EUlSZ_E0_NS1_11comp_targetILNS1_3genE0ELNS1_11target_archE4294967295ELNS1_3gpuE0ELNS1_3repE0EEENS1_38merge_mergepath_config_static_selectorELNS0_4arch9wavefront6targetE1EEEvSL_,@function
_ZN7rocprim17ROCPRIM_400000_NS6detail17trampoline_kernelINS0_14default_configENS1_38merge_sort_block_merge_config_selectorIyNS0_10empty_typeEEEZZNS1_27merge_sort_block_merge_implIS3_N6thrust23THRUST_200600_302600_NS6detail15normal_iteratorINS9_10device_ptrIyEEEEPS5_jNS1_19radix_merge_compareILb0ELb0EyNS0_19identity_decomposerEEEEE10hipError_tT0_T1_T2_jT3_P12ihipStream_tbPNSt15iterator_traitsISK_E10value_typeEPNSQ_ISL_E10value_typeEPSM_NS1_7vsmem_tEENKUlT_SK_SL_SM_E_clISE_PySF_SF_EESJ_SZ_SK_SL_SM_EUlSZ_E0_NS1_11comp_targetILNS1_3genE0ELNS1_11target_archE4294967295ELNS1_3gpuE0ELNS1_3repE0EEENS1_38merge_mergepath_config_static_selectorELNS0_4arch9wavefront6targetE1EEEvSL_: ; @_ZN7rocprim17ROCPRIM_400000_NS6detail17trampoline_kernelINS0_14default_configENS1_38merge_sort_block_merge_config_selectorIyNS0_10empty_typeEEEZZNS1_27merge_sort_block_merge_implIS3_N6thrust23THRUST_200600_302600_NS6detail15normal_iteratorINS9_10device_ptrIyEEEEPS5_jNS1_19radix_merge_compareILb0ELb0EyNS0_19identity_decomposerEEEEE10hipError_tT0_T1_T2_jT3_P12ihipStream_tbPNSt15iterator_traitsISK_E10value_typeEPNSQ_ISL_E10value_typeEPSM_NS1_7vsmem_tEENKUlT_SK_SL_SM_E_clISE_PySF_SF_EESJ_SZ_SK_SL_SM_EUlSZ_E0_NS1_11comp_targetILNS1_3genE0ELNS1_11target_archE4294967295ELNS1_3gpuE0ELNS1_3repE0EEENS1_38merge_mergepath_config_static_selectorELNS0_4arch9wavefront6targetE1EEEvSL_
; %bb.0:
	.section	.rodata,"a",@progbits
	.p2align	6, 0x0
	.amdhsa_kernel _ZN7rocprim17ROCPRIM_400000_NS6detail17trampoline_kernelINS0_14default_configENS1_38merge_sort_block_merge_config_selectorIyNS0_10empty_typeEEEZZNS1_27merge_sort_block_merge_implIS3_N6thrust23THRUST_200600_302600_NS6detail15normal_iteratorINS9_10device_ptrIyEEEEPS5_jNS1_19radix_merge_compareILb0ELb0EyNS0_19identity_decomposerEEEEE10hipError_tT0_T1_T2_jT3_P12ihipStream_tbPNSt15iterator_traitsISK_E10value_typeEPNSQ_ISL_E10value_typeEPSM_NS1_7vsmem_tEENKUlT_SK_SL_SM_E_clISE_PySF_SF_EESJ_SZ_SK_SL_SM_EUlSZ_E0_NS1_11comp_targetILNS1_3genE0ELNS1_11target_archE4294967295ELNS1_3gpuE0ELNS1_3repE0EEENS1_38merge_mergepath_config_static_selectorELNS0_4arch9wavefront6targetE1EEEvSL_
		.amdhsa_group_segment_fixed_size 0
		.amdhsa_private_segment_fixed_size 0
		.amdhsa_kernarg_size 64
		.amdhsa_user_sgpr_count 6
		.amdhsa_user_sgpr_private_segment_buffer 1
		.amdhsa_user_sgpr_dispatch_ptr 0
		.amdhsa_user_sgpr_queue_ptr 0
		.amdhsa_user_sgpr_kernarg_segment_ptr 1
		.amdhsa_user_sgpr_dispatch_id 0
		.amdhsa_user_sgpr_flat_scratch_init 0
		.amdhsa_user_sgpr_kernarg_preload_length 0
		.amdhsa_user_sgpr_kernarg_preload_offset 0
		.amdhsa_user_sgpr_private_segment_size 0
		.amdhsa_uses_dynamic_stack 0
		.amdhsa_system_sgpr_private_segment_wavefront_offset 0
		.amdhsa_system_sgpr_workgroup_id_x 1
		.amdhsa_system_sgpr_workgroup_id_y 0
		.amdhsa_system_sgpr_workgroup_id_z 0
		.amdhsa_system_sgpr_workgroup_info 0
		.amdhsa_system_vgpr_workitem_id 0
		.amdhsa_next_free_vgpr 1
		.amdhsa_next_free_sgpr 0
		.amdhsa_accum_offset 4
		.amdhsa_reserve_vcc 0
		.amdhsa_reserve_flat_scratch 0
		.amdhsa_float_round_mode_32 0
		.amdhsa_float_round_mode_16_64 0
		.amdhsa_float_denorm_mode_32 3
		.amdhsa_float_denorm_mode_16_64 3
		.amdhsa_dx10_clamp 1
		.amdhsa_ieee_mode 1
		.amdhsa_fp16_overflow 0
		.amdhsa_tg_split 0
		.amdhsa_exception_fp_ieee_invalid_op 0
		.amdhsa_exception_fp_denorm_src 0
		.amdhsa_exception_fp_ieee_div_zero 0
		.amdhsa_exception_fp_ieee_overflow 0
		.amdhsa_exception_fp_ieee_underflow 0
		.amdhsa_exception_fp_ieee_inexact 0
		.amdhsa_exception_int_div_zero 0
	.end_amdhsa_kernel
	.section	.text._ZN7rocprim17ROCPRIM_400000_NS6detail17trampoline_kernelINS0_14default_configENS1_38merge_sort_block_merge_config_selectorIyNS0_10empty_typeEEEZZNS1_27merge_sort_block_merge_implIS3_N6thrust23THRUST_200600_302600_NS6detail15normal_iteratorINS9_10device_ptrIyEEEEPS5_jNS1_19radix_merge_compareILb0ELb0EyNS0_19identity_decomposerEEEEE10hipError_tT0_T1_T2_jT3_P12ihipStream_tbPNSt15iterator_traitsISK_E10value_typeEPNSQ_ISL_E10value_typeEPSM_NS1_7vsmem_tEENKUlT_SK_SL_SM_E_clISE_PySF_SF_EESJ_SZ_SK_SL_SM_EUlSZ_E0_NS1_11comp_targetILNS1_3genE0ELNS1_11target_archE4294967295ELNS1_3gpuE0ELNS1_3repE0EEENS1_38merge_mergepath_config_static_selectorELNS0_4arch9wavefront6targetE1EEEvSL_,"axG",@progbits,_ZN7rocprim17ROCPRIM_400000_NS6detail17trampoline_kernelINS0_14default_configENS1_38merge_sort_block_merge_config_selectorIyNS0_10empty_typeEEEZZNS1_27merge_sort_block_merge_implIS3_N6thrust23THRUST_200600_302600_NS6detail15normal_iteratorINS9_10device_ptrIyEEEEPS5_jNS1_19radix_merge_compareILb0ELb0EyNS0_19identity_decomposerEEEEE10hipError_tT0_T1_T2_jT3_P12ihipStream_tbPNSt15iterator_traitsISK_E10value_typeEPNSQ_ISL_E10value_typeEPSM_NS1_7vsmem_tEENKUlT_SK_SL_SM_E_clISE_PySF_SF_EESJ_SZ_SK_SL_SM_EUlSZ_E0_NS1_11comp_targetILNS1_3genE0ELNS1_11target_archE4294967295ELNS1_3gpuE0ELNS1_3repE0EEENS1_38merge_mergepath_config_static_selectorELNS0_4arch9wavefront6targetE1EEEvSL_,comdat
.Lfunc_end756:
	.size	_ZN7rocprim17ROCPRIM_400000_NS6detail17trampoline_kernelINS0_14default_configENS1_38merge_sort_block_merge_config_selectorIyNS0_10empty_typeEEEZZNS1_27merge_sort_block_merge_implIS3_N6thrust23THRUST_200600_302600_NS6detail15normal_iteratorINS9_10device_ptrIyEEEEPS5_jNS1_19radix_merge_compareILb0ELb0EyNS0_19identity_decomposerEEEEE10hipError_tT0_T1_T2_jT3_P12ihipStream_tbPNSt15iterator_traitsISK_E10value_typeEPNSQ_ISL_E10value_typeEPSM_NS1_7vsmem_tEENKUlT_SK_SL_SM_E_clISE_PySF_SF_EESJ_SZ_SK_SL_SM_EUlSZ_E0_NS1_11comp_targetILNS1_3genE0ELNS1_11target_archE4294967295ELNS1_3gpuE0ELNS1_3repE0EEENS1_38merge_mergepath_config_static_selectorELNS0_4arch9wavefront6targetE1EEEvSL_, .Lfunc_end756-_ZN7rocprim17ROCPRIM_400000_NS6detail17trampoline_kernelINS0_14default_configENS1_38merge_sort_block_merge_config_selectorIyNS0_10empty_typeEEEZZNS1_27merge_sort_block_merge_implIS3_N6thrust23THRUST_200600_302600_NS6detail15normal_iteratorINS9_10device_ptrIyEEEEPS5_jNS1_19radix_merge_compareILb0ELb0EyNS0_19identity_decomposerEEEEE10hipError_tT0_T1_T2_jT3_P12ihipStream_tbPNSt15iterator_traitsISK_E10value_typeEPNSQ_ISL_E10value_typeEPSM_NS1_7vsmem_tEENKUlT_SK_SL_SM_E_clISE_PySF_SF_EESJ_SZ_SK_SL_SM_EUlSZ_E0_NS1_11comp_targetILNS1_3genE0ELNS1_11target_archE4294967295ELNS1_3gpuE0ELNS1_3repE0EEENS1_38merge_mergepath_config_static_selectorELNS0_4arch9wavefront6targetE1EEEvSL_
                                        ; -- End function
	.section	.AMDGPU.csdata,"",@progbits
; Kernel info:
; codeLenInByte = 0
; NumSgprs: 4
; NumVgprs: 0
; NumAgprs: 0
; TotalNumVgprs: 0
; ScratchSize: 0
; MemoryBound: 0
; FloatMode: 240
; IeeeMode: 1
; LDSByteSize: 0 bytes/workgroup (compile time only)
; SGPRBlocks: 0
; VGPRBlocks: 0
; NumSGPRsForWavesPerEU: 4
; NumVGPRsForWavesPerEU: 1
; AccumOffset: 4
; Occupancy: 8
; WaveLimiterHint : 0
; COMPUTE_PGM_RSRC2:SCRATCH_EN: 0
; COMPUTE_PGM_RSRC2:USER_SGPR: 6
; COMPUTE_PGM_RSRC2:TRAP_HANDLER: 0
; COMPUTE_PGM_RSRC2:TGID_X_EN: 1
; COMPUTE_PGM_RSRC2:TGID_Y_EN: 0
; COMPUTE_PGM_RSRC2:TGID_Z_EN: 0
; COMPUTE_PGM_RSRC2:TIDIG_COMP_CNT: 0
; COMPUTE_PGM_RSRC3_GFX90A:ACCUM_OFFSET: 0
; COMPUTE_PGM_RSRC3_GFX90A:TG_SPLIT: 0
	.section	.text._ZN7rocprim17ROCPRIM_400000_NS6detail17trampoline_kernelINS0_14default_configENS1_38merge_sort_block_merge_config_selectorIyNS0_10empty_typeEEEZZNS1_27merge_sort_block_merge_implIS3_N6thrust23THRUST_200600_302600_NS6detail15normal_iteratorINS9_10device_ptrIyEEEEPS5_jNS1_19radix_merge_compareILb0ELb0EyNS0_19identity_decomposerEEEEE10hipError_tT0_T1_T2_jT3_P12ihipStream_tbPNSt15iterator_traitsISK_E10value_typeEPNSQ_ISL_E10value_typeEPSM_NS1_7vsmem_tEENKUlT_SK_SL_SM_E_clISE_PySF_SF_EESJ_SZ_SK_SL_SM_EUlSZ_E0_NS1_11comp_targetILNS1_3genE10ELNS1_11target_archE1201ELNS1_3gpuE5ELNS1_3repE0EEENS1_38merge_mergepath_config_static_selectorELNS0_4arch9wavefront6targetE1EEEvSL_,"axG",@progbits,_ZN7rocprim17ROCPRIM_400000_NS6detail17trampoline_kernelINS0_14default_configENS1_38merge_sort_block_merge_config_selectorIyNS0_10empty_typeEEEZZNS1_27merge_sort_block_merge_implIS3_N6thrust23THRUST_200600_302600_NS6detail15normal_iteratorINS9_10device_ptrIyEEEEPS5_jNS1_19radix_merge_compareILb0ELb0EyNS0_19identity_decomposerEEEEE10hipError_tT0_T1_T2_jT3_P12ihipStream_tbPNSt15iterator_traitsISK_E10value_typeEPNSQ_ISL_E10value_typeEPSM_NS1_7vsmem_tEENKUlT_SK_SL_SM_E_clISE_PySF_SF_EESJ_SZ_SK_SL_SM_EUlSZ_E0_NS1_11comp_targetILNS1_3genE10ELNS1_11target_archE1201ELNS1_3gpuE5ELNS1_3repE0EEENS1_38merge_mergepath_config_static_selectorELNS0_4arch9wavefront6targetE1EEEvSL_,comdat
	.protected	_ZN7rocprim17ROCPRIM_400000_NS6detail17trampoline_kernelINS0_14default_configENS1_38merge_sort_block_merge_config_selectorIyNS0_10empty_typeEEEZZNS1_27merge_sort_block_merge_implIS3_N6thrust23THRUST_200600_302600_NS6detail15normal_iteratorINS9_10device_ptrIyEEEEPS5_jNS1_19radix_merge_compareILb0ELb0EyNS0_19identity_decomposerEEEEE10hipError_tT0_T1_T2_jT3_P12ihipStream_tbPNSt15iterator_traitsISK_E10value_typeEPNSQ_ISL_E10value_typeEPSM_NS1_7vsmem_tEENKUlT_SK_SL_SM_E_clISE_PySF_SF_EESJ_SZ_SK_SL_SM_EUlSZ_E0_NS1_11comp_targetILNS1_3genE10ELNS1_11target_archE1201ELNS1_3gpuE5ELNS1_3repE0EEENS1_38merge_mergepath_config_static_selectorELNS0_4arch9wavefront6targetE1EEEvSL_ ; -- Begin function _ZN7rocprim17ROCPRIM_400000_NS6detail17trampoline_kernelINS0_14default_configENS1_38merge_sort_block_merge_config_selectorIyNS0_10empty_typeEEEZZNS1_27merge_sort_block_merge_implIS3_N6thrust23THRUST_200600_302600_NS6detail15normal_iteratorINS9_10device_ptrIyEEEEPS5_jNS1_19radix_merge_compareILb0ELb0EyNS0_19identity_decomposerEEEEE10hipError_tT0_T1_T2_jT3_P12ihipStream_tbPNSt15iterator_traitsISK_E10value_typeEPNSQ_ISL_E10value_typeEPSM_NS1_7vsmem_tEENKUlT_SK_SL_SM_E_clISE_PySF_SF_EESJ_SZ_SK_SL_SM_EUlSZ_E0_NS1_11comp_targetILNS1_3genE10ELNS1_11target_archE1201ELNS1_3gpuE5ELNS1_3repE0EEENS1_38merge_mergepath_config_static_selectorELNS0_4arch9wavefront6targetE1EEEvSL_
	.globl	_ZN7rocprim17ROCPRIM_400000_NS6detail17trampoline_kernelINS0_14default_configENS1_38merge_sort_block_merge_config_selectorIyNS0_10empty_typeEEEZZNS1_27merge_sort_block_merge_implIS3_N6thrust23THRUST_200600_302600_NS6detail15normal_iteratorINS9_10device_ptrIyEEEEPS5_jNS1_19radix_merge_compareILb0ELb0EyNS0_19identity_decomposerEEEEE10hipError_tT0_T1_T2_jT3_P12ihipStream_tbPNSt15iterator_traitsISK_E10value_typeEPNSQ_ISL_E10value_typeEPSM_NS1_7vsmem_tEENKUlT_SK_SL_SM_E_clISE_PySF_SF_EESJ_SZ_SK_SL_SM_EUlSZ_E0_NS1_11comp_targetILNS1_3genE10ELNS1_11target_archE1201ELNS1_3gpuE5ELNS1_3repE0EEENS1_38merge_mergepath_config_static_selectorELNS0_4arch9wavefront6targetE1EEEvSL_
	.p2align	8
	.type	_ZN7rocprim17ROCPRIM_400000_NS6detail17trampoline_kernelINS0_14default_configENS1_38merge_sort_block_merge_config_selectorIyNS0_10empty_typeEEEZZNS1_27merge_sort_block_merge_implIS3_N6thrust23THRUST_200600_302600_NS6detail15normal_iteratorINS9_10device_ptrIyEEEEPS5_jNS1_19radix_merge_compareILb0ELb0EyNS0_19identity_decomposerEEEEE10hipError_tT0_T1_T2_jT3_P12ihipStream_tbPNSt15iterator_traitsISK_E10value_typeEPNSQ_ISL_E10value_typeEPSM_NS1_7vsmem_tEENKUlT_SK_SL_SM_E_clISE_PySF_SF_EESJ_SZ_SK_SL_SM_EUlSZ_E0_NS1_11comp_targetILNS1_3genE10ELNS1_11target_archE1201ELNS1_3gpuE5ELNS1_3repE0EEENS1_38merge_mergepath_config_static_selectorELNS0_4arch9wavefront6targetE1EEEvSL_,@function
_ZN7rocprim17ROCPRIM_400000_NS6detail17trampoline_kernelINS0_14default_configENS1_38merge_sort_block_merge_config_selectorIyNS0_10empty_typeEEEZZNS1_27merge_sort_block_merge_implIS3_N6thrust23THRUST_200600_302600_NS6detail15normal_iteratorINS9_10device_ptrIyEEEEPS5_jNS1_19radix_merge_compareILb0ELb0EyNS0_19identity_decomposerEEEEE10hipError_tT0_T1_T2_jT3_P12ihipStream_tbPNSt15iterator_traitsISK_E10value_typeEPNSQ_ISL_E10value_typeEPSM_NS1_7vsmem_tEENKUlT_SK_SL_SM_E_clISE_PySF_SF_EESJ_SZ_SK_SL_SM_EUlSZ_E0_NS1_11comp_targetILNS1_3genE10ELNS1_11target_archE1201ELNS1_3gpuE5ELNS1_3repE0EEENS1_38merge_mergepath_config_static_selectorELNS0_4arch9wavefront6targetE1EEEvSL_: ; @_ZN7rocprim17ROCPRIM_400000_NS6detail17trampoline_kernelINS0_14default_configENS1_38merge_sort_block_merge_config_selectorIyNS0_10empty_typeEEEZZNS1_27merge_sort_block_merge_implIS3_N6thrust23THRUST_200600_302600_NS6detail15normal_iteratorINS9_10device_ptrIyEEEEPS5_jNS1_19radix_merge_compareILb0ELb0EyNS0_19identity_decomposerEEEEE10hipError_tT0_T1_T2_jT3_P12ihipStream_tbPNSt15iterator_traitsISK_E10value_typeEPNSQ_ISL_E10value_typeEPSM_NS1_7vsmem_tEENKUlT_SK_SL_SM_E_clISE_PySF_SF_EESJ_SZ_SK_SL_SM_EUlSZ_E0_NS1_11comp_targetILNS1_3genE10ELNS1_11target_archE1201ELNS1_3gpuE5ELNS1_3repE0EEENS1_38merge_mergepath_config_static_selectorELNS0_4arch9wavefront6targetE1EEEvSL_
; %bb.0:
	.section	.rodata,"a",@progbits
	.p2align	6, 0x0
	.amdhsa_kernel _ZN7rocprim17ROCPRIM_400000_NS6detail17trampoline_kernelINS0_14default_configENS1_38merge_sort_block_merge_config_selectorIyNS0_10empty_typeEEEZZNS1_27merge_sort_block_merge_implIS3_N6thrust23THRUST_200600_302600_NS6detail15normal_iteratorINS9_10device_ptrIyEEEEPS5_jNS1_19radix_merge_compareILb0ELb0EyNS0_19identity_decomposerEEEEE10hipError_tT0_T1_T2_jT3_P12ihipStream_tbPNSt15iterator_traitsISK_E10value_typeEPNSQ_ISL_E10value_typeEPSM_NS1_7vsmem_tEENKUlT_SK_SL_SM_E_clISE_PySF_SF_EESJ_SZ_SK_SL_SM_EUlSZ_E0_NS1_11comp_targetILNS1_3genE10ELNS1_11target_archE1201ELNS1_3gpuE5ELNS1_3repE0EEENS1_38merge_mergepath_config_static_selectorELNS0_4arch9wavefront6targetE1EEEvSL_
		.amdhsa_group_segment_fixed_size 0
		.amdhsa_private_segment_fixed_size 0
		.amdhsa_kernarg_size 64
		.amdhsa_user_sgpr_count 6
		.amdhsa_user_sgpr_private_segment_buffer 1
		.amdhsa_user_sgpr_dispatch_ptr 0
		.amdhsa_user_sgpr_queue_ptr 0
		.amdhsa_user_sgpr_kernarg_segment_ptr 1
		.amdhsa_user_sgpr_dispatch_id 0
		.amdhsa_user_sgpr_flat_scratch_init 0
		.amdhsa_user_sgpr_kernarg_preload_length 0
		.amdhsa_user_sgpr_kernarg_preload_offset 0
		.amdhsa_user_sgpr_private_segment_size 0
		.amdhsa_uses_dynamic_stack 0
		.amdhsa_system_sgpr_private_segment_wavefront_offset 0
		.amdhsa_system_sgpr_workgroup_id_x 1
		.amdhsa_system_sgpr_workgroup_id_y 0
		.amdhsa_system_sgpr_workgroup_id_z 0
		.amdhsa_system_sgpr_workgroup_info 0
		.amdhsa_system_vgpr_workitem_id 0
		.amdhsa_next_free_vgpr 1
		.amdhsa_next_free_sgpr 0
		.amdhsa_accum_offset 4
		.amdhsa_reserve_vcc 0
		.amdhsa_reserve_flat_scratch 0
		.amdhsa_float_round_mode_32 0
		.amdhsa_float_round_mode_16_64 0
		.amdhsa_float_denorm_mode_32 3
		.amdhsa_float_denorm_mode_16_64 3
		.amdhsa_dx10_clamp 1
		.amdhsa_ieee_mode 1
		.amdhsa_fp16_overflow 0
		.amdhsa_tg_split 0
		.amdhsa_exception_fp_ieee_invalid_op 0
		.amdhsa_exception_fp_denorm_src 0
		.amdhsa_exception_fp_ieee_div_zero 0
		.amdhsa_exception_fp_ieee_overflow 0
		.amdhsa_exception_fp_ieee_underflow 0
		.amdhsa_exception_fp_ieee_inexact 0
		.amdhsa_exception_int_div_zero 0
	.end_amdhsa_kernel
	.section	.text._ZN7rocprim17ROCPRIM_400000_NS6detail17trampoline_kernelINS0_14default_configENS1_38merge_sort_block_merge_config_selectorIyNS0_10empty_typeEEEZZNS1_27merge_sort_block_merge_implIS3_N6thrust23THRUST_200600_302600_NS6detail15normal_iteratorINS9_10device_ptrIyEEEEPS5_jNS1_19radix_merge_compareILb0ELb0EyNS0_19identity_decomposerEEEEE10hipError_tT0_T1_T2_jT3_P12ihipStream_tbPNSt15iterator_traitsISK_E10value_typeEPNSQ_ISL_E10value_typeEPSM_NS1_7vsmem_tEENKUlT_SK_SL_SM_E_clISE_PySF_SF_EESJ_SZ_SK_SL_SM_EUlSZ_E0_NS1_11comp_targetILNS1_3genE10ELNS1_11target_archE1201ELNS1_3gpuE5ELNS1_3repE0EEENS1_38merge_mergepath_config_static_selectorELNS0_4arch9wavefront6targetE1EEEvSL_,"axG",@progbits,_ZN7rocprim17ROCPRIM_400000_NS6detail17trampoline_kernelINS0_14default_configENS1_38merge_sort_block_merge_config_selectorIyNS0_10empty_typeEEEZZNS1_27merge_sort_block_merge_implIS3_N6thrust23THRUST_200600_302600_NS6detail15normal_iteratorINS9_10device_ptrIyEEEEPS5_jNS1_19radix_merge_compareILb0ELb0EyNS0_19identity_decomposerEEEEE10hipError_tT0_T1_T2_jT3_P12ihipStream_tbPNSt15iterator_traitsISK_E10value_typeEPNSQ_ISL_E10value_typeEPSM_NS1_7vsmem_tEENKUlT_SK_SL_SM_E_clISE_PySF_SF_EESJ_SZ_SK_SL_SM_EUlSZ_E0_NS1_11comp_targetILNS1_3genE10ELNS1_11target_archE1201ELNS1_3gpuE5ELNS1_3repE0EEENS1_38merge_mergepath_config_static_selectorELNS0_4arch9wavefront6targetE1EEEvSL_,comdat
.Lfunc_end757:
	.size	_ZN7rocprim17ROCPRIM_400000_NS6detail17trampoline_kernelINS0_14default_configENS1_38merge_sort_block_merge_config_selectorIyNS0_10empty_typeEEEZZNS1_27merge_sort_block_merge_implIS3_N6thrust23THRUST_200600_302600_NS6detail15normal_iteratorINS9_10device_ptrIyEEEEPS5_jNS1_19radix_merge_compareILb0ELb0EyNS0_19identity_decomposerEEEEE10hipError_tT0_T1_T2_jT3_P12ihipStream_tbPNSt15iterator_traitsISK_E10value_typeEPNSQ_ISL_E10value_typeEPSM_NS1_7vsmem_tEENKUlT_SK_SL_SM_E_clISE_PySF_SF_EESJ_SZ_SK_SL_SM_EUlSZ_E0_NS1_11comp_targetILNS1_3genE10ELNS1_11target_archE1201ELNS1_3gpuE5ELNS1_3repE0EEENS1_38merge_mergepath_config_static_selectorELNS0_4arch9wavefront6targetE1EEEvSL_, .Lfunc_end757-_ZN7rocprim17ROCPRIM_400000_NS6detail17trampoline_kernelINS0_14default_configENS1_38merge_sort_block_merge_config_selectorIyNS0_10empty_typeEEEZZNS1_27merge_sort_block_merge_implIS3_N6thrust23THRUST_200600_302600_NS6detail15normal_iteratorINS9_10device_ptrIyEEEEPS5_jNS1_19radix_merge_compareILb0ELb0EyNS0_19identity_decomposerEEEEE10hipError_tT0_T1_T2_jT3_P12ihipStream_tbPNSt15iterator_traitsISK_E10value_typeEPNSQ_ISL_E10value_typeEPSM_NS1_7vsmem_tEENKUlT_SK_SL_SM_E_clISE_PySF_SF_EESJ_SZ_SK_SL_SM_EUlSZ_E0_NS1_11comp_targetILNS1_3genE10ELNS1_11target_archE1201ELNS1_3gpuE5ELNS1_3repE0EEENS1_38merge_mergepath_config_static_selectorELNS0_4arch9wavefront6targetE1EEEvSL_
                                        ; -- End function
	.section	.AMDGPU.csdata,"",@progbits
; Kernel info:
; codeLenInByte = 0
; NumSgprs: 4
; NumVgprs: 0
; NumAgprs: 0
; TotalNumVgprs: 0
; ScratchSize: 0
; MemoryBound: 0
; FloatMode: 240
; IeeeMode: 1
; LDSByteSize: 0 bytes/workgroup (compile time only)
; SGPRBlocks: 0
; VGPRBlocks: 0
; NumSGPRsForWavesPerEU: 4
; NumVGPRsForWavesPerEU: 1
; AccumOffset: 4
; Occupancy: 8
; WaveLimiterHint : 0
; COMPUTE_PGM_RSRC2:SCRATCH_EN: 0
; COMPUTE_PGM_RSRC2:USER_SGPR: 6
; COMPUTE_PGM_RSRC2:TRAP_HANDLER: 0
; COMPUTE_PGM_RSRC2:TGID_X_EN: 1
; COMPUTE_PGM_RSRC2:TGID_Y_EN: 0
; COMPUTE_PGM_RSRC2:TGID_Z_EN: 0
; COMPUTE_PGM_RSRC2:TIDIG_COMP_CNT: 0
; COMPUTE_PGM_RSRC3_GFX90A:ACCUM_OFFSET: 0
; COMPUTE_PGM_RSRC3_GFX90A:TG_SPLIT: 0
	.section	.text._ZN7rocprim17ROCPRIM_400000_NS6detail17trampoline_kernelINS0_14default_configENS1_38merge_sort_block_merge_config_selectorIyNS0_10empty_typeEEEZZNS1_27merge_sort_block_merge_implIS3_N6thrust23THRUST_200600_302600_NS6detail15normal_iteratorINS9_10device_ptrIyEEEEPS5_jNS1_19radix_merge_compareILb0ELb0EyNS0_19identity_decomposerEEEEE10hipError_tT0_T1_T2_jT3_P12ihipStream_tbPNSt15iterator_traitsISK_E10value_typeEPNSQ_ISL_E10value_typeEPSM_NS1_7vsmem_tEENKUlT_SK_SL_SM_E_clISE_PySF_SF_EESJ_SZ_SK_SL_SM_EUlSZ_E0_NS1_11comp_targetILNS1_3genE5ELNS1_11target_archE942ELNS1_3gpuE9ELNS1_3repE0EEENS1_38merge_mergepath_config_static_selectorELNS0_4arch9wavefront6targetE1EEEvSL_,"axG",@progbits,_ZN7rocprim17ROCPRIM_400000_NS6detail17trampoline_kernelINS0_14default_configENS1_38merge_sort_block_merge_config_selectorIyNS0_10empty_typeEEEZZNS1_27merge_sort_block_merge_implIS3_N6thrust23THRUST_200600_302600_NS6detail15normal_iteratorINS9_10device_ptrIyEEEEPS5_jNS1_19radix_merge_compareILb0ELb0EyNS0_19identity_decomposerEEEEE10hipError_tT0_T1_T2_jT3_P12ihipStream_tbPNSt15iterator_traitsISK_E10value_typeEPNSQ_ISL_E10value_typeEPSM_NS1_7vsmem_tEENKUlT_SK_SL_SM_E_clISE_PySF_SF_EESJ_SZ_SK_SL_SM_EUlSZ_E0_NS1_11comp_targetILNS1_3genE5ELNS1_11target_archE942ELNS1_3gpuE9ELNS1_3repE0EEENS1_38merge_mergepath_config_static_selectorELNS0_4arch9wavefront6targetE1EEEvSL_,comdat
	.protected	_ZN7rocprim17ROCPRIM_400000_NS6detail17trampoline_kernelINS0_14default_configENS1_38merge_sort_block_merge_config_selectorIyNS0_10empty_typeEEEZZNS1_27merge_sort_block_merge_implIS3_N6thrust23THRUST_200600_302600_NS6detail15normal_iteratorINS9_10device_ptrIyEEEEPS5_jNS1_19radix_merge_compareILb0ELb0EyNS0_19identity_decomposerEEEEE10hipError_tT0_T1_T2_jT3_P12ihipStream_tbPNSt15iterator_traitsISK_E10value_typeEPNSQ_ISL_E10value_typeEPSM_NS1_7vsmem_tEENKUlT_SK_SL_SM_E_clISE_PySF_SF_EESJ_SZ_SK_SL_SM_EUlSZ_E0_NS1_11comp_targetILNS1_3genE5ELNS1_11target_archE942ELNS1_3gpuE9ELNS1_3repE0EEENS1_38merge_mergepath_config_static_selectorELNS0_4arch9wavefront6targetE1EEEvSL_ ; -- Begin function _ZN7rocprim17ROCPRIM_400000_NS6detail17trampoline_kernelINS0_14default_configENS1_38merge_sort_block_merge_config_selectorIyNS0_10empty_typeEEEZZNS1_27merge_sort_block_merge_implIS3_N6thrust23THRUST_200600_302600_NS6detail15normal_iteratorINS9_10device_ptrIyEEEEPS5_jNS1_19radix_merge_compareILb0ELb0EyNS0_19identity_decomposerEEEEE10hipError_tT0_T1_T2_jT3_P12ihipStream_tbPNSt15iterator_traitsISK_E10value_typeEPNSQ_ISL_E10value_typeEPSM_NS1_7vsmem_tEENKUlT_SK_SL_SM_E_clISE_PySF_SF_EESJ_SZ_SK_SL_SM_EUlSZ_E0_NS1_11comp_targetILNS1_3genE5ELNS1_11target_archE942ELNS1_3gpuE9ELNS1_3repE0EEENS1_38merge_mergepath_config_static_selectorELNS0_4arch9wavefront6targetE1EEEvSL_
	.globl	_ZN7rocprim17ROCPRIM_400000_NS6detail17trampoline_kernelINS0_14default_configENS1_38merge_sort_block_merge_config_selectorIyNS0_10empty_typeEEEZZNS1_27merge_sort_block_merge_implIS3_N6thrust23THRUST_200600_302600_NS6detail15normal_iteratorINS9_10device_ptrIyEEEEPS5_jNS1_19radix_merge_compareILb0ELb0EyNS0_19identity_decomposerEEEEE10hipError_tT0_T1_T2_jT3_P12ihipStream_tbPNSt15iterator_traitsISK_E10value_typeEPNSQ_ISL_E10value_typeEPSM_NS1_7vsmem_tEENKUlT_SK_SL_SM_E_clISE_PySF_SF_EESJ_SZ_SK_SL_SM_EUlSZ_E0_NS1_11comp_targetILNS1_3genE5ELNS1_11target_archE942ELNS1_3gpuE9ELNS1_3repE0EEENS1_38merge_mergepath_config_static_selectorELNS0_4arch9wavefront6targetE1EEEvSL_
	.p2align	8
	.type	_ZN7rocprim17ROCPRIM_400000_NS6detail17trampoline_kernelINS0_14default_configENS1_38merge_sort_block_merge_config_selectorIyNS0_10empty_typeEEEZZNS1_27merge_sort_block_merge_implIS3_N6thrust23THRUST_200600_302600_NS6detail15normal_iteratorINS9_10device_ptrIyEEEEPS5_jNS1_19radix_merge_compareILb0ELb0EyNS0_19identity_decomposerEEEEE10hipError_tT0_T1_T2_jT3_P12ihipStream_tbPNSt15iterator_traitsISK_E10value_typeEPNSQ_ISL_E10value_typeEPSM_NS1_7vsmem_tEENKUlT_SK_SL_SM_E_clISE_PySF_SF_EESJ_SZ_SK_SL_SM_EUlSZ_E0_NS1_11comp_targetILNS1_3genE5ELNS1_11target_archE942ELNS1_3gpuE9ELNS1_3repE0EEENS1_38merge_mergepath_config_static_selectorELNS0_4arch9wavefront6targetE1EEEvSL_,@function
_ZN7rocprim17ROCPRIM_400000_NS6detail17trampoline_kernelINS0_14default_configENS1_38merge_sort_block_merge_config_selectorIyNS0_10empty_typeEEEZZNS1_27merge_sort_block_merge_implIS3_N6thrust23THRUST_200600_302600_NS6detail15normal_iteratorINS9_10device_ptrIyEEEEPS5_jNS1_19radix_merge_compareILb0ELb0EyNS0_19identity_decomposerEEEEE10hipError_tT0_T1_T2_jT3_P12ihipStream_tbPNSt15iterator_traitsISK_E10value_typeEPNSQ_ISL_E10value_typeEPSM_NS1_7vsmem_tEENKUlT_SK_SL_SM_E_clISE_PySF_SF_EESJ_SZ_SK_SL_SM_EUlSZ_E0_NS1_11comp_targetILNS1_3genE5ELNS1_11target_archE942ELNS1_3gpuE9ELNS1_3repE0EEENS1_38merge_mergepath_config_static_selectorELNS0_4arch9wavefront6targetE1EEEvSL_: ; @_ZN7rocprim17ROCPRIM_400000_NS6detail17trampoline_kernelINS0_14default_configENS1_38merge_sort_block_merge_config_selectorIyNS0_10empty_typeEEEZZNS1_27merge_sort_block_merge_implIS3_N6thrust23THRUST_200600_302600_NS6detail15normal_iteratorINS9_10device_ptrIyEEEEPS5_jNS1_19radix_merge_compareILb0ELb0EyNS0_19identity_decomposerEEEEE10hipError_tT0_T1_T2_jT3_P12ihipStream_tbPNSt15iterator_traitsISK_E10value_typeEPNSQ_ISL_E10value_typeEPSM_NS1_7vsmem_tEENKUlT_SK_SL_SM_E_clISE_PySF_SF_EESJ_SZ_SK_SL_SM_EUlSZ_E0_NS1_11comp_targetILNS1_3genE5ELNS1_11target_archE942ELNS1_3gpuE9ELNS1_3repE0EEENS1_38merge_mergepath_config_static_selectorELNS0_4arch9wavefront6targetE1EEEvSL_
; %bb.0:
	.section	.rodata,"a",@progbits
	.p2align	6, 0x0
	.amdhsa_kernel _ZN7rocprim17ROCPRIM_400000_NS6detail17trampoline_kernelINS0_14default_configENS1_38merge_sort_block_merge_config_selectorIyNS0_10empty_typeEEEZZNS1_27merge_sort_block_merge_implIS3_N6thrust23THRUST_200600_302600_NS6detail15normal_iteratorINS9_10device_ptrIyEEEEPS5_jNS1_19radix_merge_compareILb0ELb0EyNS0_19identity_decomposerEEEEE10hipError_tT0_T1_T2_jT3_P12ihipStream_tbPNSt15iterator_traitsISK_E10value_typeEPNSQ_ISL_E10value_typeEPSM_NS1_7vsmem_tEENKUlT_SK_SL_SM_E_clISE_PySF_SF_EESJ_SZ_SK_SL_SM_EUlSZ_E0_NS1_11comp_targetILNS1_3genE5ELNS1_11target_archE942ELNS1_3gpuE9ELNS1_3repE0EEENS1_38merge_mergepath_config_static_selectorELNS0_4arch9wavefront6targetE1EEEvSL_
		.amdhsa_group_segment_fixed_size 0
		.amdhsa_private_segment_fixed_size 0
		.amdhsa_kernarg_size 64
		.amdhsa_user_sgpr_count 6
		.amdhsa_user_sgpr_private_segment_buffer 1
		.amdhsa_user_sgpr_dispatch_ptr 0
		.amdhsa_user_sgpr_queue_ptr 0
		.amdhsa_user_sgpr_kernarg_segment_ptr 1
		.amdhsa_user_sgpr_dispatch_id 0
		.amdhsa_user_sgpr_flat_scratch_init 0
		.amdhsa_user_sgpr_kernarg_preload_length 0
		.amdhsa_user_sgpr_kernarg_preload_offset 0
		.amdhsa_user_sgpr_private_segment_size 0
		.amdhsa_uses_dynamic_stack 0
		.amdhsa_system_sgpr_private_segment_wavefront_offset 0
		.amdhsa_system_sgpr_workgroup_id_x 1
		.amdhsa_system_sgpr_workgroup_id_y 0
		.amdhsa_system_sgpr_workgroup_id_z 0
		.amdhsa_system_sgpr_workgroup_info 0
		.amdhsa_system_vgpr_workitem_id 0
		.amdhsa_next_free_vgpr 1
		.amdhsa_next_free_sgpr 0
		.amdhsa_accum_offset 4
		.amdhsa_reserve_vcc 0
		.amdhsa_reserve_flat_scratch 0
		.amdhsa_float_round_mode_32 0
		.amdhsa_float_round_mode_16_64 0
		.amdhsa_float_denorm_mode_32 3
		.amdhsa_float_denorm_mode_16_64 3
		.amdhsa_dx10_clamp 1
		.amdhsa_ieee_mode 1
		.amdhsa_fp16_overflow 0
		.amdhsa_tg_split 0
		.amdhsa_exception_fp_ieee_invalid_op 0
		.amdhsa_exception_fp_denorm_src 0
		.amdhsa_exception_fp_ieee_div_zero 0
		.amdhsa_exception_fp_ieee_overflow 0
		.amdhsa_exception_fp_ieee_underflow 0
		.amdhsa_exception_fp_ieee_inexact 0
		.amdhsa_exception_int_div_zero 0
	.end_amdhsa_kernel
	.section	.text._ZN7rocprim17ROCPRIM_400000_NS6detail17trampoline_kernelINS0_14default_configENS1_38merge_sort_block_merge_config_selectorIyNS0_10empty_typeEEEZZNS1_27merge_sort_block_merge_implIS3_N6thrust23THRUST_200600_302600_NS6detail15normal_iteratorINS9_10device_ptrIyEEEEPS5_jNS1_19radix_merge_compareILb0ELb0EyNS0_19identity_decomposerEEEEE10hipError_tT0_T1_T2_jT3_P12ihipStream_tbPNSt15iterator_traitsISK_E10value_typeEPNSQ_ISL_E10value_typeEPSM_NS1_7vsmem_tEENKUlT_SK_SL_SM_E_clISE_PySF_SF_EESJ_SZ_SK_SL_SM_EUlSZ_E0_NS1_11comp_targetILNS1_3genE5ELNS1_11target_archE942ELNS1_3gpuE9ELNS1_3repE0EEENS1_38merge_mergepath_config_static_selectorELNS0_4arch9wavefront6targetE1EEEvSL_,"axG",@progbits,_ZN7rocprim17ROCPRIM_400000_NS6detail17trampoline_kernelINS0_14default_configENS1_38merge_sort_block_merge_config_selectorIyNS0_10empty_typeEEEZZNS1_27merge_sort_block_merge_implIS3_N6thrust23THRUST_200600_302600_NS6detail15normal_iteratorINS9_10device_ptrIyEEEEPS5_jNS1_19radix_merge_compareILb0ELb0EyNS0_19identity_decomposerEEEEE10hipError_tT0_T1_T2_jT3_P12ihipStream_tbPNSt15iterator_traitsISK_E10value_typeEPNSQ_ISL_E10value_typeEPSM_NS1_7vsmem_tEENKUlT_SK_SL_SM_E_clISE_PySF_SF_EESJ_SZ_SK_SL_SM_EUlSZ_E0_NS1_11comp_targetILNS1_3genE5ELNS1_11target_archE942ELNS1_3gpuE9ELNS1_3repE0EEENS1_38merge_mergepath_config_static_selectorELNS0_4arch9wavefront6targetE1EEEvSL_,comdat
.Lfunc_end758:
	.size	_ZN7rocprim17ROCPRIM_400000_NS6detail17trampoline_kernelINS0_14default_configENS1_38merge_sort_block_merge_config_selectorIyNS0_10empty_typeEEEZZNS1_27merge_sort_block_merge_implIS3_N6thrust23THRUST_200600_302600_NS6detail15normal_iteratorINS9_10device_ptrIyEEEEPS5_jNS1_19radix_merge_compareILb0ELb0EyNS0_19identity_decomposerEEEEE10hipError_tT0_T1_T2_jT3_P12ihipStream_tbPNSt15iterator_traitsISK_E10value_typeEPNSQ_ISL_E10value_typeEPSM_NS1_7vsmem_tEENKUlT_SK_SL_SM_E_clISE_PySF_SF_EESJ_SZ_SK_SL_SM_EUlSZ_E0_NS1_11comp_targetILNS1_3genE5ELNS1_11target_archE942ELNS1_3gpuE9ELNS1_3repE0EEENS1_38merge_mergepath_config_static_selectorELNS0_4arch9wavefront6targetE1EEEvSL_, .Lfunc_end758-_ZN7rocprim17ROCPRIM_400000_NS6detail17trampoline_kernelINS0_14default_configENS1_38merge_sort_block_merge_config_selectorIyNS0_10empty_typeEEEZZNS1_27merge_sort_block_merge_implIS3_N6thrust23THRUST_200600_302600_NS6detail15normal_iteratorINS9_10device_ptrIyEEEEPS5_jNS1_19radix_merge_compareILb0ELb0EyNS0_19identity_decomposerEEEEE10hipError_tT0_T1_T2_jT3_P12ihipStream_tbPNSt15iterator_traitsISK_E10value_typeEPNSQ_ISL_E10value_typeEPSM_NS1_7vsmem_tEENKUlT_SK_SL_SM_E_clISE_PySF_SF_EESJ_SZ_SK_SL_SM_EUlSZ_E0_NS1_11comp_targetILNS1_3genE5ELNS1_11target_archE942ELNS1_3gpuE9ELNS1_3repE0EEENS1_38merge_mergepath_config_static_selectorELNS0_4arch9wavefront6targetE1EEEvSL_
                                        ; -- End function
	.section	.AMDGPU.csdata,"",@progbits
; Kernel info:
; codeLenInByte = 0
; NumSgprs: 4
; NumVgprs: 0
; NumAgprs: 0
; TotalNumVgprs: 0
; ScratchSize: 0
; MemoryBound: 0
; FloatMode: 240
; IeeeMode: 1
; LDSByteSize: 0 bytes/workgroup (compile time only)
; SGPRBlocks: 0
; VGPRBlocks: 0
; NumSGPRsForWavesPerEU: 4
; NumVGPRsForWavesPerEU: 1
; AccumOffset: 4
; Occupancy: 8
; WaveLimiterHint : 0
; COMPUTE_PGM_RSRC2:SCRATCH_EN: 0
; COMPUTE_PGM_RSRC2:USER_SGPR: 6
; COMPUTE_PGM_RSRC2:TRAP_HANDLER: 0
; COMPUTE_PGM_RSRC2:TGID_X_EN: 1
; COMPUTE_PGM_RSRC2:TGID_Y_EN: 0
; COMPUTE_PGM_RSRC2:TGID_Z_EN: 0
; COMPUTE_PGM_RSRC2:TIDIG_COMP_CNT: 0
; COMPUTE_PGM_RSRC3_GFX90A:ACCUM_OFFSET: 0
; COMPUTE_PGM_RSRC3_GFX90A:TG_SPLIT: 0
	.section	.text._ZN7rocprim17ROCPRIM_400000_NS6detail17trampoline_kernelINS0_14default_configENS1_38merge_sort_block_merge_config_selectorIyNS0_10empty_typeEEEZZNS1_27merge_sort_block_merge_implIS3_N6thrust23THRUST_200600_302600_NS6detail15normal_iteratorINS9_10device_ptrIyEEEEPS5_jNS1_19radix_merge_compareILb0ELb0EyNS0_19identity_decomposerEEEEE10hipError_tT0_T1_T2_jT3_P12ihipStream_tbPNSt15iterator_traitsISK_E10value_typeEPNSQ_ISL_E10value_typeEPSM_NS1_7vsmem_tEENKUlT_SK_SL_SM_E_clISE_PySF_SF_EESJ_SZ_SK_SL_SM_EUlSZ_E0_NS1_11comp_targetILNS1_3genE4ELNS1_11target_archE910ELNS1_3gpuE8ELNS1_3repE0EEENS1_38merge_mergepath_config_static_selectorELNS0_4arch9wavefront6targetE1EEEvSL_,"axG",@progbits,_ZN7rocprim17ROCPRIM_400000_NS6detail17trampoline_kernelINS0_14default_configENS1_38merge_sort_block_merge_config_selectorIyNS0_10empty_typeEEEZZNS1_27merge_sort_block_merge_implIS3_N6thrust23THRUST_200600_302600_NS6detail15normal_iteratorINS9_10device_ptrIyEEEEPS5_jNS1_19radix_merge_compareILb0ELb0EyNS0_19identity_decomposerEEEEE10hipError_tT0_T1_T2_jT3_P12ihipStream_tbPNSt15iterator_traitsISK_E10value_typeEPNSQ_ISL_E10value_typeEPSM_NS1_7vsmem_tEENKUlT_SK_SL_SM_E_clISE_PySF_SF_EESJ_SZ_SK_SL_SM_EUlSZ_E0_NS1_11comp_targetILNS1_3genE4ELNS1_11target_archE910ELNS1_3gpuE8ELNS1_3repE0EEENS1_38merge_mergepath_config_static_selectorELNS0_4arch9wavefront6targetE1EEEvSL_,comdat
	.protected	_ZN7rocprim17ROCPRIM_400000_NS6detail17trampoline_kernelINS0_14default_configENS1_38merge_sort_block_merge_config_selectorIyNS0_10empty_typeEEEZZNS1_27merge_sort_block_merge_implIS3_N6thrust23THRUST_200600_302600_NS6detail15normal_iteratorINS9_10device_ptrIyEEEEPS5_jNS1_19radix_merge_compareILb0ELb0EyNS0_19identity_decomposerEEEEE10hipError_tT0_T1_T2_jT3_P12ihipStream_tbPNSt15iterator_traitsISK_E10value_typeEPNSQ_ISL_E10value_typeEPSM_NS1_7vsmem_tEENKUlT_SK_SL_SM_E_clISE_PySF_SF_EESJ_SZ_SK_SL_SM_EUlSZ_E0_NS1_11comp_targetILNS1_3genE4ELNS1_11target_archE910ELNS1_3gpuE8ELNS1_3repE0EEENS1_38merge_mergepath_config_static_selectorELNS0_4arch9wavefront6targetE1EEEvSL_ ; -- Begin function _ZN7rocprim17ROCPRIM_400000_NS6detail17trampoline_kernelINS0_14default_configENS1_38merge_sort_block_merge_config_selectorIyNS0_10empty_typeEEEZZNS1_27merge_sort_block_merge_implIS3_N6thrust23THRUST_200600_302600_NS6detail15normal_iteratorINS9_10device_ptrIyEEEEPS5_jNS1_19radix_merge_compareILb0ELb0EyNS0_19identity_decomposerEEEEE10hipError_tT0_T1_T2_jT3_P12ihipStream_tbPNSt15iterator_traitsISK_E10value_typeEPNSQ_ISL_E10value_typeEPSM_NS1_7vsmem_tEENKUlT_SK_SL_SM_E_clISE_PySF_SF_EESJ_SZ_SK_SL_SM_EUlSZ_E0_NS1_11comp_targetILNS1_3genE4ELNS1_11target_archE910ELNS1_3gpuE8ELNS1_3repE0EEENS1_38merge_mergepath_config_static_selectorELNS0_4arch9wavefront6targetE1EEEvSL_
	.globl	_ZN7rocprim17ROCPRIM_400000_NS6detail17trampoline_kernelINS0_14default_configENS1_38merge_sort_block_merge_config_selectorIyNS0_10empty_typeEEEZZNS1_27merge_sort_block_merge_implIS3_N6thrust23THRUST_200600_302600_NS6detail15normal_iteratorINS9_10device_ptrIyEEEEPS5_jNS1_19radix_merge_compareILb0ELb0EyNS0_19identity_decomposerEEEEE10hipError_tT0_T1_T2_jT3_P12ihipStream_tbPNSt15iterator_traitsISK_E10value_typeEPNSQ_ISL_E10value_typeEPSM_NS1_7vsmem_tEENKUlT_SK_SL_SM_E_clISE_PySF_SF_EESJ_SZ_SK_SL_SM_EUlSZ_E0_NS1_11comp_targetILNS1_3genE4ELNS1_11target_archE910ELNS1_3gpuE8ELNS1_3repE0EEENS1_38merge_mergepath_config_static_selectorELNS0_4arch9wavefront6targetE1EEEvSL_
	.p2align	8
	.type	_ZN7rocprim17ROCPRIM_400000_NS6detail17trampoline_kernelINS0_14default_configENS1_38merge_sort_block_merge_config_selectorIyNS0_10empty_typeEEEZZNS1_27merge_sort_block_merge_implIS3_N6thrust23THRUST_200600_302600_NS6detail15normal_iteratorINS9_10device_ptrIyEEEEPS5_jNS1_19radix_merge_compareILb0ELb0EyNS0_19identity_decomposerEEEEE10hipError_tT0_T1_T2_jT3_P12ihipStream_tbPNSt15iterator_traitsISK_E10value_typeEPNSQ_ISL_E10value_typeEPSM_NS1_7vsmem_tEENKUlT_SK_SL_SM_E_clISE_PySF_SF_EESJ_SZ_SK_SL_SM_EUlSZ_E0_NS1_11comp_targetILNS1_3genE4ELNS1_11target_archE910ELNS1_3gpuE8ELNS1_3repE0EEENS1_38merge_mergepath_config_static_selectorELNS0_4arch9wavefront6targetE1EEEvSL_,@function
_ZN7rocprim17ROCPRIM_400000_NS6detail17trampoline_kernelINS0_14default_configENS1_38merge_sort_block_merge_config_selectorIyNS0_10empty_typeEEEZZNS1_27merge_sort_block_merge_implIS3_N6thrust23THRUST_200600_302600_NS6detail15normal_iteratorINS9_10device_ptrIyEEEEPS5_jNS1_19radix_merge_compareILb0ELb0EyNS0_19identity_decomposerEEEEE10hipError_tT0_T1_T2_jT3_P12ihipStream_tbPNSt15iterator_traitsISK_E10value_typeEPNSQ_ISL_E10value_typeEPSM_NS1_7vsmem_tEENKUlT_SK_SL_SM_E_clISE_PySF_SF_EESJ_SZ_SK_SL_SM_EUlSZ_E0_NS1_11comp_targetILNS1_3genE4ELNS1_11target_archE910ELNS1_3gpuE8ELNS1_3repE0EEENS1_38merge_mergepath_config_static_selectorELNS0_4arch9wavefront6targetE1EEEvSL_: ; @_ZN7rocprim17ROCPRIM_400000_NS6detail17trampoline_kernelINS0_14default_configENS1_38merge_sort_block_merge_config_selectorIyNS0_10empty_typeEEEZZNS1_27merge_sort_block_merge_implIS3_N6thrust23THRUST_200600_302600_NS6detail15normal_iteratorINS9_10device_ptrIyEEEEPS5_jNS1_19radix_merge_compareILb0ELb0EyNS0_19identity_decomposerEEEEE10hipError_tT0_T1_T2_jT3_P12ihipStream_tbPNSt15iterator_traitsISK_E10value_typeEPNSQ_ISL_E10value_typeEPSM_NS1_7vsmem_tEENKUlT_SK_SL_SM_E_clISE_PySF_SF_EESJ_SZ_SK_SL_SM_EUlSZ_E0_NS1_11comp_targetILNS1_3genE4ELNS1_11target_archE910ELNS1_3gpuE8ELNS1_3repE0EEENS1_38merge_mergepath_config_static_selectorELNS0_4arch9wavefront6targetE1EEEvSL_
; %bb.0:
	s_load_dwordx2 s[14:15], s[4:5], 0x40
	s_load_dword s3, s[4:5], 0x30
	s_add_u32 s0, s4, 64
	s_addc_u32 s1, s5, 0
	s_waitcnt lgkmcnt(0)
	s_mul_i32 s2, s15, s8
	s_add_i32 s2, s2, s7
	s_mul_i32 s2, s2, s14
	s_add_i32 s2, s2, s6
	s_cmp_ge_u32 s2, s3
	s_cbranch_scc1 .LBB759_31
; %bb.1:
	s_load_dwordx2 s[8:9], s[4:5], 0x28
	s_load_dwordx2 s[10:11], s[4:5], 0x38
	;; [unrolled: 1-line block ×3, first 2 shown]
	s_mov_b32 s3, 0
	v_mov_b32_e32 v7, 0
	s_waitcnt lgkmcnt(0)
	s_lshr_b32 s22, s8, 10
	s_cmp_lg_u32 s2, s22
	s_cselect_b64 s[12:13], -1, 0
	s_lshl_b64 s[18:19], s[2:3], 2
	s_add_u32 s10, s10, s18
	s_addc_u32 s11, s11, s19
	s_lshr_b32 s7, s9, 9
	s_and_b32 s7, s7, 0x7ffffe
	s_load_dwordx2 s[18:19], s[10:11], 0x0
	s_sub_i32 s7, 0, s7
	s_and_b32 s11, s2, s7
	s_lshl_b32 s15, s11, 10
	s_lshl_b32 s10, s2, 10
	;; [unrolled: 1-line block ×3, first 2 shown]
	s_sub_i32 s20, s10, s15
	s_add_i32 s11, s11, s9
	s_add_i32 s21, s11, s20
	s_waitcnt lgkmcnt(0)
	s_sub_i32 s20, s21, s18
	s_sub_i32 s21, s21, s19
	;; [unrolled: 1-line block ×3, first 2 shown]
	s_min_u32 s20, s8, s20
	s_addk_i32 s21, 0x400
	s_or_b32 s7, s2, s7
	s_min_u32 s15, s8, s11
	s_add_i32 s11, s11, s9
	s_cmp_eq_u32 s7, -1
	s_cselect_b32 s7, s11, s21
	s_cselect_b32 s9, s15, s19
	s_min_u32 s7, s7, s8
	s_mov_b32 s19, s3
	s_sub_i32 s9, s9, s18
	s_sub_i32 s11, s7, s20
	s_lshl_b64 s[18:19], s[18:19], 3
	s_add_u32 s7, s16, s18
	s_mov_b32 s21, s3
	s_addc_u32 s15, s17, s19
	s_lshl_b64 s[18:19], s[20:21], 3
	s_add_u32 s16, s16, s18
	s_addc_u32 s17, s17, s19
	s_cmp_lt_u32 s6, s14
	s_cselect_b32 s3, 12, 18
	global_load_dword v1, v7, s[0:1] offset:14
	s_add_u32 s0, s0, s3
	s_addc_u32 s1, s1, 0
	global_load_ushort v2, v7, s[0:1]
	s_cmp_eq_u32 s2, s22
	s_waitcnt vmcnt(1)
	v_lshrrev_b32_e32 v3, 16, v1
	v_and_b32_e32 v1, 0xffff, v1
	v_mul_lo_u32 v1, v1, v3
	s_waitcnt vmcnt(0)
	v_mul_lo_u32 v15, v1, v2
	v_add_u32_e32 v12, v15, v0
	v_lshlrev_b32_e32 v1, 3, v0
	v_add_u32_e32 v10, v12, v15
	s_cbranch_scc1 .LBB759_3
; %bb.2:
	v_subrev_u32_e32 v6, s9, v0
	v_lshlrev_b64 v[2:3], 3, v[6:7]
	v_mov_b32_e32 v4, s17
	v_add_co_u32_e32 v2, vcc, s16, v2
	v_addc_co_u32_e32 v3, vcc, v4, v3, vcc
	v_mov_b32_e32 v4, s15
	v_add_co_u32_e32 v5, vcc, s7, v1
	v_addc_co_u32_e32 v4, vcc, 0, v4, vcc
	v_cmp_gt_u32_e32 vcc, s9, v0
	v_subrev_u32_e32 v6, s9, v12
	v_cndmask_b32_e32 v3, v3, v4, vcc
	v_cndmask_b32_e32 v2, v2, v5, vcc
	v_lshlrev_b64 v[4:5], 3, v[6:7]
	v_mov_b32_e32 v6, s17
	v_add_co_u32_e32 v8, vcc, s16, v4
	v_mov_b32_e32 v13, v7
	v_addc_co_u32_e32 v6, vcc, v6, v5, vcc
	v_lshlrev_b64 v[4:5], 3, v[12:13]
	v_mov_b32_e32 v9, s15
	v_add_co_u32_e32 v4, vcc, s7, v4
	v_addc_co_u32_e32 v5, vcc, v9, v5, vcc
	v_cmp_gt_u32_e32 vcc, s9, v12
	v_cndmask_b32_e32 v5, v6, v5, vcc
	v_subrev_u32_e32 v6, s9, v10
	v_cndmask_b32_e32 v4, v8, v4, vcc
	v_lshlrev_b64 v[8:9], 3, v[6:7]
	v_mov_b32_e32 v6, s17
	v_add_co_u32_e32 v8, vcc, s16, v8
	v_mov_b32_e32 v11, v7
	v_addc_co_u32_e32 v9, vcc, v6, v9, vcc
	v_lshlrev_b64 v[6:7], 3, v[10:11]
	v_mov_b32_e32 v11, s15
	v_add_co_u32_e32 v6, vcc, s7, v6
	v_addc_co_u32_e32 v7, vcc, v11, v7, vcc
	v_cmp_gt_u32_e32 vcc, s9, v10
	v_cndmask_b32_e32 v7, v9, v7, vcc
	v_cndmask_b32_e32 v6, v8, v6, vcc
	global_load_dwordx2 v[2:3], v[2:3], off
	v_add_u32_e32 v14, v10, v15
	global_load_dwordx2 v[4:5], v[4:5], off
	s_add_i32 s6, s11, s9
	global_load_dwordx2 v[6:7], v[6:7], off
	s_mov_b64 s[0:1], -1
	s_cbranch_execz .LBB759_4
	s_branch .LBB759_9
.LBB759_3:
	s_mov_b64 s[0:1], 0
                                        ; implicit-def: $vgpr14
                                        ; implicit-def: $vgpr2_vgpr3_vgpr4_vgpr5_vgpr6_vgpr7_vgpr8_vgpr9
                                        ; implicit-def: $sgpr6
.LBB759_4:
	s_add_i32 s6, s11, s9
	v_cmp_gt_u32_e32 vcc, s6, v0
                                        ; implicit-def: $vgpr2_vgpr3_vgpr4_vgpr5_vgpr6_vgpr7_vgpr8_vgpr9
	s_and_saveexec_b64 s[0:1], vcc
	s_cbranch_execnz .LBB759_32
; %bb.5:
	s_or_b64 exec, exec, s[0:1]
	v_cmp_gt_u32_e32 vcc, s6, v12
	s_and_saveexec_b64 s[2:3], vcc
	s_cbranch_execnz .LBB759_33
.LBB759_6:
	s_or_b64 exec, exec, s[2:3]
	v_cmp_gt_u32_e32 vcc, s6, v10
	s_and_saveexec_b64 s[0:1], vcc
	s_cbranch_execz .LBB759_8
.LBB759_7:
	v_mov_b32_e32 v11, 0
	s_waitcnt vmcnt(0)
	v_lshlrev_b64 v[6:7], 3, v[10:11]
	v_mov_b32_e32 v12, s15
	v_add_co_u32_e32 v13, vcc, s7, v6
	v_addc_co_u32_e32 v12, vcc, v12, v7, vcc
	v_subrev_u32_e32 v6, s9, v10
	v_mov_b32_e32 v7, v11
	v_lshlrev_b64 v[6:7], 3, v[6:7]
	v_mov_b32_e32 v11, s17
	v_add_co_u32_e32 v6, vcc, s16, v6
	v_addc_co_u32_e32 v7, vcc, v11, v7, vcc
	v_cmp_gt_u32_e32 vcc, s9, v10
	v_cndmask_b32_e32 v7, v7, v12, vcc
	v_cndmask_b32_e32 v6, v6, v13, vcc
	global_load_dwordx2 v[6:7], v[6:7], off
.LBB759_8:
	s_or_b64 exec, exec, s[0:1]
	v_add_u32_e32 v14, v10, v15
	v_cmp_gt_u32_e64 s[0:1], s6, v14
.LBB759_9:
	v_mov_b32_e32 v10, s6
	s_and_saveexec_b64 s[2:3], s[0:1]
	s_cbranch_execz .LBB759_11
; %bb.10:
	v_subrev_u32_e32 v8, s9, v14
	v_mov_b32_e32 v9, 0
	v_lshlrev_b64 v[10:11], 3, v[8:9]
	v_mov_b32_e32 v8, s17
	v_add_co_u32_e32 v10, vcc, s16, v10
	v_mov_b32_e32 v15, v9
	v_addc_co_u32_e32 v11, vcc, v8, v11, vcc
	v_lshlrev_b64 v[8:9], 3, v[14:15]
	v_mov_b32_e32 v12, s15
	v_add_co_u32_e32 v8, vcc, s7, v8
	v_addc_co_u32_e32 v9, vcc, v12, v9, vcc
	v_cmp_gt_u32_e32 vcc, s9, v14
	v_cndmask_b32_e32 v9, v11, v9, vcc
	v_cndmask_b32_e32 v8, v10, v8, vcc
	global_load_dwordx2 v[8:9], v[8:9], off
	v_mov_b32_e32 v10, s6
.LBB759_11:
	s_or_b64 exec, exec, s[2:3]
	s_load_dwordx2 s[6:7], s[4:5], 0x10
	v_lshlrev_b32_e32 v11, 2, v0
	v_min_u32_e32 v13, v10, v11
	v_sub_u32_e64 v12, v13, s11 clamp
	v_min_u32_e32 v14, s9, v13
	v_cmp_lt_u32_e32 vcc, v12, v14
	s_waitcnt vmcnt(0)
	ds_write2st64_b64 v1, v[2:3], v[4:5] offset1:4
	ds_write2st64_b64 v1, v[6:7], v[8:9] offset0:8 offset1:12
	s_waitcnt lgkmcnt(0)
	s_barrier
	s_and_saveexec_b64 s[0:1], vcc
	s_cbranch_execz .LBB759_15
; %bb.12:
	v_lshlrev_b32_e32 v15, 3, v13
	v_lshl_add_u32 v15, s9, 3, v15
	s_mov_b64 s[2:3], 0
.LBB759_13:                             ; =>This Inner Loop Header: Depth=1
	v_add_u32_e32 v16, v14, v12
	v_lshrrev_b32_e32 v20, 1, v16
	v_not_b32_e32 v16, v20
	v_lshlrev_b32_e32 v17, 3, v20
	v_lshl_add_u32 v18, v16, 3, v15
	ds_read_b64 v[16:17], v17
	ds_read_b64 v[18:19], v18
	v_add_u32_e32 v21, 1, v20
	s_waitcnt lgkmcnt(0)
	v_cmp_gt_u64_e32 vcc, v[16:17], v[18:19]
	v_cndmask_b32_e32 v14, v14, v20, vcc
	v_cndmask_b32_e32 v12, v21, v12, vcc
	v_cmp_ge_u32_e32 vcc, v12, v14
	s_or_b64 s[2:3], vcc, s[2:3]
	s_andn2_b64 exec, exec, s[2:3]
	s_cbranch_execnz .LBB759_13
; %bb.14:
	s_or_b64 exec, exec, s[2:3]
.LBB759_15:
	s_or_b64 exec, exec, s[0:1]
	v_sub_u32_e32 v13, v13, v12
	v_add_u32_e32 v13, s9, v13
	v_cmp_ge_u32_e32 vcc, s9, v12
	v_cmp_le_u32_e64 s[0:1], v13, v10
	s_or_b64 s[0:1], vcc, s[0:1]
	s_and_saveexec_b64 s[14:15], s[0:1]
	s_cbranch_execz .LBB759_21
; %bb.16:
	v_cmp_gt_u32_e32 vcc, s9, v12
                                        ; implicit-def: $vgpr2_vgpr3
	s_and_saveexec_b64 s[0:1], vcc
	s_cbranch_execz .LBB759_18
; %bb.17:
	v_lshlrev_b32_e32 v2, 3, v12
	ds_read_b64 v[2:3], v2
.LBB759_18:
	s_or_b64 exec, exec, s[0:1]
	v_cmp_ge_u32_e64 s[0:1], v13, v10
	v_cmp_lt_u32_e64 s[2:3], v13, v10
                                        ; implicit-def: $vgpr4_vgpr5
	s_and_saveexec_b64 s[4:5], s[2:3]
	s_cbranch_execz .LBB759_20
; %bb.19:
	v_lshlrev_b32_e32 v4, 3, v13
	ds_read_b64 v[4:5], v4
.LBB759_20:
	s_or_b64 exec, exec, s[4:5]
	s_waitcnt lgkmcnt(0)
	v_cmp_le_u64_e64 s[2:3], v[2:3], v[4:5]
	s_and_b64 s[2:3], vcc, s[2:3]
	s_or_b64 vcc, s[0:1], s[2:3]
	v_mov_b32_e32 v16, s9
	v_cndmask_b32_e32 v6, v13, v12, vcc
	v_cndmask_b32_e32 v7, v10, v16, vcc
	v_add_u32_e32 v14, 1, v6
	v_add_u32_e32 v6, -1, v7
	v_min_u32_e32 v6, v14, v6
	v_lshlrev_b32_e32 v6, 3, v6
	ds_read_b64 v[6:7], v6
	v_cndmask_b32_e32 v18, v12, v14, vcc
	v_cndmask_b32_e32 v17, v14, v13, vcc
	v_cmp_gt_u32_e64 s[2:3], s9, v18
	v_cmp_ge_u32_e64 s[0:1], v17, v10
	s_waitcnt lgkmcnt(0)
	v_cndmask_b32_e32 v9, v7, v5, vcc
	v_cndmask_b32_e32 v8, v6, v4, vcc
	;; [unrolled: 1-line block ×4, first 2 shown]
	v_cmp_le_u64_e64 s[4:5], v[6:7], v[8:9]
	s_and_b64 s[2:3], s[2:3], s[4:5]
	s_or_b64 s[0:1], s[0:1], s[2:3]
	v_cndmask_b32_e64 v12, v17, v18, s[0:1]
	v_cndmask_b32_e64 v13, v10, v16, s[0:1]
	v_add_u32_e32 v19, 1, v12
	v_add_u32_e32 v12, -1, v13
	v_min_u32_e32 v12, v19, v12
	v_lshlrev_b32_e32 v12, 3, v12
	ds_read_b64 v[12:13], v12
	v_cndmask_b32_e64 v18, v18, v19, s[0:1]
	v_cndmask_b32_e64 v20, v19, v17, s[0:1]
	v_cmp_gt_u32_e64 s[2:3], s9, v18
	v_cndmask_b32_e32 v3, v5, v3, vcc
	s_waitcnt lgkmcnt(0)
	v_cndmask_b32_e64 v15, v13, v9, s[0:1]
	v_cndmask_b32_e64 v14, v12, v8, s[0:1]
	;; [unrolled: 1-line block ×4, first 2 shown]
	v_cmp_le_u64_e64 s[4:5], v[12:13], v[14:15]
	v_cndmask_b32_e32 v2, v4, v2, vcc
	v_cmp_ge_u32_e32 vcc, v20, v10
	s_and_b64 s[2:3], s[2:3], s[4:5]
	s_or_b64 vcc, vcc, s[2:3]
	v_cndmask_b32_e32 v4, v20, v18, vcc
	v_cndmask_b32_e32 v5, v10, v16, vcc
	v_add_u32_e32 v19, 1, v4
	v_add_u32_e32 v4, -1, v5
	v_min_u32_e32 v4, v19, v4
	v_lshlrev_b32_e32 v4, 3, v4
	ds_read_b64 v[16:17], v4
	v_cndmask_b32_e64 v5, v9, v7, s[0:1]
	v_cndmask_b32_e64 v4, v8, v6, s[0:1]
	v_cndmask_b32_e32 v7, v15, v13, vcc
	v_cndmask_b32_e32 v6, v14, v12, vcc
	s_waitcnt lgkmcnt(0)
	v_cndmask_b32_e32 v9, v17, v15, vcc
	v_cndmask_b32_e32 v8, v16, v14, vcc
	v_cndmask_b32_e32 v13, v13, v17, vcc
	v_cndmask_b32_e32 v12, v12, v16, vcc
	v_cndmask_b32_e32 v15, v18, v19, vcc
	v_cndmask_b32_e32 v14, v19, v20, vcc
	v_cmp_gt_u32_e64 s[0:1], s9, v15
	v_cmp_le_u64_e64 s[2:3], v[12:13], v[8:9]
	v_cmp_ge_u32_e32 vcc, v14, v10
	s_and_b64 s[0:1], s[0:1], s[2:3]
	s_or_b64 vcc, vcc, s[0:1]
	v_cndmask_b32_e32 v9, v9, v13, vcc
	v_cndmask_b32_e32 v8, v8, v12, vcc
.LBB759_21:
	s_or_b64 exec, exec, s[14:15]
	v_and_b32_e32 v10, 0xf8, v0
	v_lshl_add_u32 v10, v11, 3, v10
	s_barrier
	s_barrier
	ds_write2_b64 v10, v[2:3], v[4:5] offset1:1
	ds_write2_b64 v10, v[6:7], v[8:9] offset0:2 offset1:3
	v_lshrrev_b32_e32 v2, 2, v0
	v_and_b32_e32 v2, 56, v2
	v_or_b32_e32 v12, 0x100, v0
	v_add_u32_e32 v13, v1, v2
	v_lshrrev_b32_e32 v2, 2, v12
	v_and_b32_e32 v2, 0x78, v2
	v_or_b32_e32 v11, 0x200, v0
	s_mov_b32 s11, 0
	v_add_u32_e32 v6, v1, v2
	v_lshrrev_b32_e32 v2, 2, v11
	s_lshl_b64 s[0:1], s[10:11], 3
	v_and_b32_e32 v2, 0xb8, v2
	v_or_b32_e32 v10, 0x300, v0
	s_add_u32 s0, s6, s0
	v_add_u32_e32 v7, v1, v2
	v_lshrrev_b32_e32 v2, 2, v10
	s_addc_u32 s1, s7, s1
	v_and_b32_e32 v2, 0xf8, v2
	v_add_u32_e32 v14, v1, v2
	v_mov_b32_e32 v3, s1
	v_add_co_u32_e32 v2, vcc, s0, v1
	v_addc_co_u32_e32 v3, vcc, 0, v3, vcc
	s_and_b64 vcc, exec, s[12:13]
	s_waitcnt lgkmcnt(0)
	s_cbranch_vccz .LBB759_23
; %bb.22:
	s_barrier
	ds_read_b64 v[8:9], v13
	ds_read_b64 v[16:17], v6 offset:2048
	ds_read_b64 v[18:19], v7 offset:4096
	ds_read_b64 v[4:5], v14 offset:6144
	s_waitcnt lgkmcnt(3)
	global_store_dwordx2 v[2:3], v[8:9], off
	s_waitcnt lgkmcnt(2)
	global_store_dwordx2 v[2:3], v[16:17], off offset:2048
	v_add_co_u32_e32 v8, vcc, 0x1000, v2
	v_addc_co_u32_e32 v9, vcc, 0, v3, vcc
	s_waitcnt lgkmcnt(1)
	global_store_dwordx2 v[8:9], v[18:19], off
	s_mov_b64 s[0:1], -1
	s_cbranch_execz .LBB759_24
	s_branch .LBB759_29
.LBB759_23:
	s_mov_b64 s[0:1], 0
                                        ; implicit-def: $vgpr4_vgpr5
.LBB759_24:
	s_barrier
	s_waitcnt lgkmcnt(0)
	ds_read_b64 v[8:9], v6 offset:2048
	ds_read_b64 v[6:7], v7 offset:4096
	;; [unrolled: 1-line block ×3, first 2 shown]
	s_sub_i32 s2, s8, s10
	v_cmp_gt_u32_e32 vcc, s2, v0
	s_and_saveexec_b64 s[0:1], vcc
	s_cbranch_execnz .LBB759_34
; %bb.25:
	s_or_b64 exec, exec, s[0:1]
	v_cmp_gt_u32_e32 vcc, s2, v12
	s_and_saveexec_b64 s[0:1], vcc
	s_cbranch_execnz .LBB759_35
.LBB759_26:
	s_or_b64 exec, exec, s[0:1]
	v_cmp_gt_u32_e32 vcc, s2, v11
	s_and_saveexec_b64 s[0:1], vcc
	s_cbranch_execz .LBB759_28
.LBB759_27:
	v_add_co_u32_e32 v0, vcc, 0x1000, v2
	v_addc_co_u32_e32 v1, vcc, 0, v3, vcc
	s_waitcnt lgkmcnt(1)
	global_store_dwordx2 v[0:1], v[6:7], off
.LBB759_28:
	s_or_b64 exec, exec, s[0:1]
	v_cmp_gt_u32_e64 s[0:1], s2, v10
.LBB759_29:
	s_and_saveexec_b64 s[2:3], s[0:1]
	s_cbranch_execz .LBB759_31
; %bb.30:
	v_add_co_u32_e32 v0, vcc, 0x1000, v2
	v_addc_co_u32_e32 v1, vcc, 0, v3, vcc
	s_waitcnt lgkmcnt(0)
	global_store_dwordx2 v[0:1], v[4:5], off offset:2048
.LBB759_31:
	s_endpgm
.LBB759_32:
	s_waitcnt vmcnt(2)
	v_mov_b32_e32 v2, s15
	s_waitcnt vmcnt(1)
	v_add_co_u32_e32 v4, vcc, s7, v1
	v_mov_b32_e32 v3, 0
	v_addc_co_u32_e32 v5, vcc, 0, v2, vcc
	v_subrev_u32_e32 v2, s9, v0
	v_lshlrev_b64 v[2:3], 3, v[2:3]
	s_waitcnt vmcnt(0)
	v_mov_b32_e32 v6, s17
	v_add_co_u32_e32 v2, vcc, s16, v2
	v_addc_co_u32_e32 v3, vcc, v6, v3, vcc
	v_cmp_gt_u32_e32 vcc, s9, v0
	v_cndmask_b32_e32 v3, v3, v5, vcc
	v_cndmask_b32_e32 v2, v2, v4, vcc
	global_load_dwordx2 v[2:3], v[2:3], off
	s_or_b64 exec, exec, s[0:1]
	v_cmp_gt_u32_e32 vcc, s6, v12
	s_and_saveexec_b64 s[2:3], vcc
	s_cbranch_execz .LBB759_6
.LBB759_33:
	v_mov_b32_e32 v13, 0
	s_waitcnt vmcnt(1)
	v_lshlrev_b64 v[4:5], 3, v[12:13]
	v_mov_b32_e32 v11, s15
	v_add_co_u32_e32 v14, vcc, s7, v4
	v_addc_co_u32_e32 v11, vcc, v11, v5, vcc
	v_cmp_gt_u32_e32 vcc, s9, v12
	v_subrev_u32_e32 v12, s9, v12
	v_lshlrev_b64 v[4:5], 3, v[12:13]
	v_mov_b32_e32 v12, s17
	v_add_co_u32_e64 v4, s[0:1], s16, v4
	v_addc_co_u32_e64 v5, s[0:1], v12, v5, s[0:1]
	v_cndmask_b32_e32 v5, v5, v11, vcc
	v_cndmask_b32_e32 v4, v4, v14, vcc
	global_load_dwordx2 v[4:5], v[4:5], off
	s_or_b64 exec, exec, s[2:3]
	v_cmp_gt_u32_e32 vcc, s6, v10
	s_and_saveexec_b64 s[0:1], vcc
	s_cbranch_execnz .LBB759_7
	s_branch .LBB759_8
.LBB759_34:
	ds_read_b64 v[0:1], v13
	s_waitcnt lgkmcnt(0)
	global_store_dwordx2 v[2:3], v[0:1], off
	s_or_b64 exec, exec, s[0:1]
	v_cmp_gt_u32_e32 vcc, s2, v12
	s_and_saveexec_b64 s[0:1], vcc
	s_cbranch_execz .LBB759_26
.LBB759_35:
	s_waitcnt lgkmcnt(2)
	global_store_dwordx2 v[2:3], v[8:9], off offset:2048
	s_or_b64 exec, exec, s[0:1]
	v_cmp_gt_u32_e32 vcc, s2, v11
	s_and_saveexec_b64 s[0:1], vcc
	s_cbranch_execnz .LBB759_27
	s_branch .LBB759_28
	.section	.rodata,"a",@progbits
	.p2align	6, 0x0
	.amdhsa_kernel _ZN7rocprim17ROCPRIM_400000_NS6detail17trampoline_kernelINS0_14default_configENS1_38merge_sort_block_merge_config_selectorIyNS0_10empty_typeEEEZZNS1_27merge_sort_block_merge_implIS3_N6thrust23THRUST_200600_302600_NS6detail15normal_iteratorINS9_10device_ptrIyEEEEPS5_jNS1_19radix_merge_compareILb0ELb0EyNS0_19identity_decomposerEEEEE10hipError_tT0_T1_T2_jT3_P12ihipStream_tbPNSt15iterator_traitsISK_E10value_typeEPNSQ_ISL_E10value_typeEPSM_NS1_7vsmem_tEENKUlT_SK_SL_SM_E_clISE_PySF_SF_EESJ_SZ_SK_SL_SM_EUlSZ_E0_NS1_11comp_targetILNS1_3genE4ELNS1_11target_archE910ELNS1_3gpuE8ELNS1_3repE0EEENS1_38merge_mergepath_config_static_selectorELNS0_4arch9wavefront6targetE1EEEvSL_
		.amdhsa_group_segment_fixed_size 8448
		.amdhsa_private_segment_fixed_size 0
		.amdhsa_kernarg_size 320
		.amdhsa_user_sgpr_count 6
		.amdhsa_user_sgpr_private_segment_buffer 1
		.amdhsa_user_sgpr_dispatch_ptr 0
		.amdhsa_user_sgpr_queue_ptr 0
		.amdhsa_user_sgpr_kernarg_segment_ptr 1
		.amdhsa_user_sgpr_dispatch_id 0
		.amdhsa_user_sgpr_flat_scratch_init 0
		.amdhsa_user_sgpr_kernarg_preload_length 0
		.amdhsa_user_sgpr_kernarg_preload_offset 0
		.amdhsa_user_sgpr_private_segment_size 0
		.amdhsa_uses_dynamic_stack 0
		.amdhsa_system_sgpr_private_segment_wavefront_offset 0
		.amdhsa_system_sgpr_workgroup_id_x 1
		.amdhsa_system_sgpr_workgroup_id_y 1
		.amdhsa_system_sgpr_workgroup_id_z 1
		.amdhsa_system_sgpr_workgroup_info 0
		.amdhsa_system_vgpr_workitem_id 0
		.amdhsa_next_free_vgpr 22
		.amdhsa_next_free_sgpr 23
		.amdhsa_accum_offset 24
		.amdhsa_reserve_vcc 1
		.amdhsa_reserve_flat_scratch 0
		.amdhsa_float_round_mode_32 0
		.amdhsa_float_round_mode_16_64 0
		.amdhsa_float_denorm_mode_32 3
		.amdhsa_float_denorm_mode_16_64 3
		.amdhsa_dx10_clamp 1
		.amdhsa_ieee_mode 1
		.amdhsa_fp16_overflow 0
		.amdhsa_tg_split 0
		.amdhsa_exception_fp_ieee_invalid_op 0
		.amdhsa_exception_fp_denorm_src 0
		.amdhsa_exception_fp_ieee_div_zero 0
		.amdhsa_exception_fp_ieee_overflow 0
		.amdhsa_exception_fp_ieee_underflow 0
		.amdhsa_exception_fp_ieee_inexact 0
		.amdhsa_exception_int_div_zero 0
	.end_amdhsa_kernel
	.section	.text._ZN7rocprim17ROCPRIM_400000_NS6detail17trampoline_kernelINS0_14default_configENS1_38merge_sort_block_merge_config_selectorIyNS0_10empty_typeEEEZZNS1_27merge_sort_block_merge_implIS3_N6thrust23THRUST_200600_302600_NS6detail15normal_iteratorINS9_10device_ptrIyEEEEPS5_jNS1_19radix_merge_compareILb0ELb0EyNS0_19identity_decomposerEEEEE10hipError_tT0_T1_T2_jT3_P12ihipStream_tbPNSt15iterator_traitsISK_E10value_typeEPNSQ_ISL_E10value_typeEPSM_NS1_7vsmem_tEENKUlT_SK_SL_SM_E_clISE_PySF_SF_EESJ_SZ_SK_SL_SM_EUlSZ_E0_NS1_11comp_targetILNS1_3genE4ELNS1_11target_archE910ELNS1_3gpuE8ELNS1_3repE0EEENS1_38merge_mergepath_config_static_selectorELNS0_4arch9wavefront6targetE1EEEvSL_,"axG",@progbits,_ZN7rocprim17ROCPRIM_400000_NS6detail17trampoline_kernelINS0_14default_configENS1_38merge_sort_block_merge_config_selectorIyNS0_10empty_typeEEEZZNS1_27merge_sort_block_merge_implIS3_N6thrust23THRUST_200600_302600_NS6detail15normal_iteratorINS9_10device_ptrIyEEEEPS5_jNS1_19radix_merge_compareILb0ELb0EyNS0_19identity_decomposerEEEEE10hipError_tT0_T1_T2_jT3_P12ihipStream_tbPNSt15iterator_traitsISK_E10value_typeEPNSQ_ISL_E10value_typeEPSM_NS1_7vsmem_tEENKUlT_SK_SL_SM_E_clISE_PySF_SF_EESJ_SZ_SK_SL_SM_EUlSZ_E0_NS1_11comp_targetILNS1_3genE4ELNS1_11target_archE910ELNS1_3gpuE8ELNS1_3repE0EEENS1_38merge_mergepath_config_static_selectorELNS0_4arch9wavefront6targetE1EEEvSL_,comdat
.Lfunc_end759:
	.size	_ZN7rocprim17ROCPRIM_400000_NS6detail17trampoline_kernelINS0_14default_configENS1_38merge_sort_block_merge_config_selectorIyNS0_10empty_typeEEEZZNS1_27merge_sort_block_merge_implIS3_N6thrust23THRUST_200600_302600_NS6detail15normal_iteratorINS9_10device_ptrIyEEEEPS5_jNS1_19radix_merge_compareILb0ELb0EyNS0_19identity_decomposerEEEEE10hipError_tT0_T1_T2_jT3_P12ihipStream_tbPNSt15iterator_traitsISK_E10value_typeEPNSQ_ISL_E10value_typeEPSM_NS1_7vsmem_tEENKUlT_SK_SL_SM_E_clISE_PySF_SF_EESJ_SZ_SK_SL_SM_EUlSZ_E0_NS1_11comp_targetILNS1_3genE4ELNS1_11target_archE910ELNS1_3gpuE8ELNS1_3repE0EEENS1_38merge_mergepath_config_static_selectorELNS0_4arch9wavefront6targetE1EEEvSL_, .Lfunc_end759-_ZN7rocprim17ROCPRIM_400000_NS6detail17trampoline_kernelINS0_14default_configENS1_38merge_sort_block_merge_config_selectorIyNS0_10empty_typeEEEZZNS1_27merge_sort_block_merge_implIS3_N6thrust23THRUST_200600_302600_NS6detail15normal_iteratorINS9_10device_ptrIyEEEEPS5_jNS1_19radix_merge_compareILb0ELb0EyNS0_19identity_decomposerEEEEE10hipError_tT0_T1_T2_jT3_P12ihipStream_tbPNSt15iterator_traitsISK_E10value_typeEPNSQ_ISL_E10value_typeEPSM_NS1_7vsmem_tEENKUlT_SK_SL_SM_E_clISE_PySF_SF_EESJ_SZ_SK_SL_SM_EUlSZ_E0_NS1_11comp_targetILNS1_3genE4ELNS1_11target_archE910ELNS1_3gpuE8ELNS1_3repE0EEENS1_38merge_mergepath_config_static_selectorELNS0_4arch9wavefront6targetE1EEEvSL_
                                        ; -- End function
	.section	.AMDGPU.csdata,"",@progbits
; Kernel info:
; codeLenInByte = 2100
; NumSgprs: 27
; NumVgprs: 22
; NumAgprs: 0
; TotalNumVgprs: 22
; ScratchSize: 0
; MemoryBound: 0
; FloatMode: 240
; IeeeMode: 1
; LDSByteSize: 8448 bytes/workgroup (compile time only)
; SGPRBlocks: 3
; VGPRBlocks: 2
; NumSGPRsForWavesPerEU: 27
; NumVGPRsForWavesPerEU: 22
; AccumOffset: 24
; Occupancy: 7
; WaveLimiterHint : 1
; COMPUTE_PGM_RSRC2:SCRATCH_EN: 0
; COMPUTE_PGM_RSRC2:USER_SGPR: 6
; COMPUTE_PGM_RSRC2:TRAP_HANDLER: 0
; COMPUTE_PGM_RSRC2:TGID_X_EN: 1
; COMPUTE_PGM_RSRC2:TGID_Y_EN: 1
; COMPUTE_PGM_RSRC2:TGID_Z_EN: 1
; COMPUTE_PGM_RSRC2:TIDIG_COMP_CNT: 0
; COMPUTE_PGM_RSRC3_GFX90A:ACCUM_OFFSET: 5
; COMPUTE_PGM_RSRC3_GFX90A:TG_SPLIT: 0
	.section	.text._ZN7rocprim17ROCPRIM_400000_NS6detail17trampoline_kernelINS0_14default_configENS1_38merge_sort_block_merge_config_selectorIyNS0_10empty_typeEEEZZNS1_27merge_sort_block_merge_implIS3_N6thrust23THRUST_200600_302600_NS6detail15normal_iteratorINS9_10device_ptrIyEEEEPS5_jNS1_19radix_merge_compareILb0ELb0EyNS0_19identity_decomposerEEEEE10hipError_tT0_T1_T2_jT3_P12ihipStream_tbPNSt15iterator_traitsISK_E10value_typeEPNSQ_ISL_E10value_typeEPSM_NS1_7vsmem_tEENKUlT_SK_SL_SM_E_clISE_PySF_SF_EESJ_SZ_SK_SL_SM_EUlSZ_E0_NS1_11comp_targetILNS1_3genE3ELNS1_11target_archE908ELNS1_3gpuE7ELNS1_3repE0EEENS1_38merge_mergepath_config_static_selectorELNS0_4arch9wavefront6targetE1EEEvSL_,"axG",@progbits,_ZN7rocprim17ROCPRIM_400000_NS6detail17trampoline_kernelINS0_14default_configENS1_38merge_sort_block_merge_config_selectorIyNS0_10empty_typeEEEZZNS1_27merge_sort_block_merge_implIS3_N6thrust23THRUST_200600_302600_NS6detail15normal_iteratorINS9_10device_ptrIyEEEEPS5_jNS1_19radix_merge_compareILb0ELb0EyNS0_19identity_decomposerEEEEE10hipError_tT0_T1_T2_jT3_P12ihipStream_tbPNSt15iterator_traitsISK_E10value_typeEPNSQ_ISL_E10value_typeEPSM_NS1_7vsmem_tEENKUlT_SK_SL_SM_E_clISE_PySF_SF_EESJ_SZ_SK_SL_SM_EUlSZ_E0_NS1_11comp_targetILNS1_3genE3ELNS1_11target_archE908ELNS1_3gpuE7ELNS1_3repE0EEENS1_38merge_mergepath_config_static_selectorELNS0_4arch9wavefront6targetE1EEEvSL_,comdat
	.protected	_ZN7rocprim17ROCPRIM_400000_NS6detail17trampoline_kernelINS0_14default_configENS1_38merge_sort_block_merge_config_selectorIyNS0_10empty_typeEEEZZNS1_27merge_sort_block_merge_implIS3_N6thrust23THRUST_200600_302600_NS6detail15normal_iteratorINS9_10device_ptrIyEEEEPS5_jNS1_19radix_merge_compareILb0ELb0EyNS0_19identity_decomposerEEEEE10hipError_tT0_T1_T2_jT3_P12ihipStream_tbPNSt15iterator_traitsISK_E10value_typeEPNSQ_ISL_E10value_typeEPSM_NS1_7vsmem_tEENKUlT_SK_SL_SM_E_clISE_PySF_SF_EESJ_SZ_SK_SL_SM_EUlSZ_E0_NS1_11comp_targetILNS1_3genE3ELNS1_11target_archE908ELNS1_3gpuE7ELNS1_3repE0EEENS1_38merge_mergepath_config_static_selectorELNS0_4arch9wavefront6targetE1EEEvSL_ ; -- Begin function _ZN7rocprim17ROCPRIM_400000_NS6detail17trampoline_kernelINS0_14default_configENS1_38merge_sort_block_merge_config_selectorIyNS0_10empty_typeEEEZZNS1_27merge_sort_block_merge_implIS3_N6thrust23THRUST_200600_302600_NS6detail15normal_iteratorINS9_10device_ptrIyEEEEPS5_jNS1_19radix_merge_compareILb0ELb0EyNS0_19identity_decomposerEEEEE10hipError_tT0_T1_T2_jT3_P12ihipStream_tbPNSt15iterator_traitsISK_E10value_typeEPNSQ_ISL_E10value_typeEPSM_NS1_7vsmem_tEENKUlT_SK_SL_SM_E_clISE_PySF_SF_EESJ_SZ_SK_SL_SM_EUlSZ_E0_NS1_11comp_targetILNS1_3genE3ELNS1_11target_archE908ELNS1_3gpuE7ELNS1_3repE0EEENS1_38merge_mergepath_config_static_selectorELNS0_4arch9wavefront6targetE1EEEvSL_
	.globl	_ZN7rocprim17ROCPRIM_400000_NS6detail17trampoline_kernelINS0_14default_configENS1_38merge_sort_block_merge_config_selectorIyNS0_10empty_typeEEEZZNS1_27merge_sort_block_merge_implIS3_N6thrust23THRUST_200600_302600_NS6detail15normal_iteratorINS9_10device_ptrIyEEEEPS5_jNS1_19radix_merge_compareILb0ELb0EyNS0_19identity_decomposerEEEEE10hipError_tT0_T1_T2_jT3_P12ihipStream_tbPNSt15iterator_traitsISK_E10value_typeEPNSQ_ISL_E10value_typeEPSM_NS1_7vsmem_tEENKUlT_SK_SL_SM_E_clISE_PySF_SF_EESJ_SZ_SK_SL_SM_EUlSZ_E0_NS1_11comp_targetILNS1_3genE3ELNS1_11target_archE908ELNS1_3gpuE7ELNS1_3repE0EEENS1_38merge_mergepath_config_static_selectorELNS0_4arch9wavefront6targetE1EEEvSL_
	.p2align	8
	.type	_ZN7rocprim17ROCPRIM_400000_NS6detail17trampoline_kernelINS0_14default_configENS1_38merge_sort_block_merge_config_selectorIyNS0_10empty_typeEEEZZNS1_27merge_sort_block_merge_implIS3_N6thrust23THRUST_200600_302600_NS6detail15normal_iteratorINS9_10device_ptrIyEEEEPS5_jNS1_19radix_merge_compareILb0ELb0EyNS0_19identity_decomposerEEEEE10hipError_tT0_T1_T2_jT3_P12ihipStream_tbPNSt15iterator_traitsISK_E10value_typeEPNSQ_ISL_E10value_typeEPSM_NS1_7vsmem_tEENKUlT_SK_SL_SM_E_clISE_PySF_SF_EESJ_SZ_SK_SL_SM_EUlSZ_E0_NS1_11comp_targetILNS1_3genE3ELNS1_11target_archE908ELNS1_3gpuE7ELNS1_3repE0EEENS1_38merge_mergepath_config_static_selectorELNS0_4arch9wavefront6targetE1EEEvSL_,@function
_ZN7rocprim17ROCPRIM_400000_NS6detail17trampoline_kernelINS0_14default_configENS1_38merge_sort_block_merge_config_selectorIyNS0_10empty_typeEEEZZNS1_27merge_sort_block_merge_implIS3_N6thrust23THRUST_200600_302600_NS6detail15normal_iteratorINS9_10device_ptrIyEEEEPS5_jNS1_19radix_merge_compareILb0ELb0EyNS0_19identity_decomposerEEEEE10hipError_tT0_T1_T2_jT3_P12ihipStream_tbPNSt15iterator_traitsISK_E10value_typeEPNSQ_ISL_E10value_typeEPSM_NS1_7vsmem_tEENKUlT_SK_SL_SM_E_clISE_PySF_SF_EESJ_SZ_SK_SL_SM_EUlSZ_E0_NS1_11comp_targetILNS1_3genE3ELNS1_11target_archE908ELNS1_3gpuE7ELNS1_3repE0EEENS1_38merge_mergepath_config_static_selectorELNS0_4arch9wavefront6targetE1EEEvSL_: ; @_ZN7rocprim17ROCPRIM_400000_NS6detail17trampoline_kernelINS0_14default_configENS1_38merge_sort_block_merge_config_selectorIyNS0_10empty_typeEEEZZNS1_27merge_sort_block_merge_implIS3_N6thrust23THRUST_200600_302600_NS6detail15normal_iteratorINS9_10device_ptrIyEEEEPS5_jNS1_19radix_merge_compareILb0ELb0EyNS0_19identity_decomposerEEEEE10hipError_tT0_T1_T2_jT3_P12ihipStream_tbPNSt15iterator_traitsISK_E10value_typeEPNSQ_ISL_E10value_typeEPSM_NS1_7vsmem_tEENKUlT_SK_SL_SM_E_clISE_PySF_SF_EESJ_SZ_SK_SL_SM_EUlSZ_E0_NS1_11comp_targetILNS1_3genE3ELNS1_11target_archE908ELNS1_3gpuE7ELNS1_3repE0EEENS1_38merge_mergepath_config_static_selectorELNS0_4arch9wavefront6targetE1EEEvSL_
; %bb.0:
	.section	.rodata,"a",@progbits
	.p2align	6, 0x0
	.amdhsa_kernel _ZN7rocprim17ROCPRIM_400000_NS6detail17trampoline_kernelINS0_14default_configENS1_38merge_sort_block_merge_config_selectorIyNS0_10empty_typeEEEZZNS1_27merge_sort_block_merge_implIS3_N6thrust23THRUST_200600_302600_NS6detail15normal_iteratorINS9_10device_ptrIyEEEEPS5_jNS1_19radix_merge_compareILb0ELb0EyNS0_19identity_decomposerEEEEE10hipError_tT0_T1_T2_jT3_P12ihipStream_tbPNSt15iterator_traitsISK_E10value_typeEPNSQ_ISL_E10value_typeEPSM_NS1_7vsmem_tEENKUlT_SK_SL_SM_E_clISE_PySF_SF_EESJ_SZ_SK_SL_SM_EUlSZ_E0_NS1_11comp_targetILNS1_3genE3ELNS1_11target_archE908ELNS1_3gpuE7ELNS1_3repE0EEENS1_38merge_mergepath_config_static_selectorELNS0_4arch9wavefront6targetE1EEEvSL_
		.amdhsa_group_segment_fixed_size 0
		.amdhsa_private_segment_fixed_size 0
		.amdhsa_kernarg_size 64
		.amdhsa_user_sgpr_count 6
		.amdhsa_user_sgpr_private_segment_buffer 1
		.amdhsa_user_sgpr_dispatch_ptr 0
		.amdhsa_user_sgpr_queue_ptr 0
		.amdhsa_user_sgpr_kernarg_segment_ptr 1
		.amdhsa_user_sgpr_dispatch_id 0
		.amdhsa_user_sgpr_flat_scratch_init 0
		.amdhsa_user_sgpr_kernarg_preload_length 0
		.amdhsa_user_sgpr_kernarg_preload_offset 0
		.amdhsa_user_sgpr_private_segment_size 0
		.amdhsa_uses_dynamic_stack 0
		.amdhsa_system_sgpr_private_segment_wavefront_offset 0
		.amdhsa_system_sgpr_workgroup_id_x 1
		.amdhsa_system_sgpr_workgroup_id_y 0
		.amdhsa_system_sgpr_workgroup_id_z 0
		.amdhsa_system_sgpr_workgroup_info 0
		.amdhsa_system_vgpr_workitem_id 0
		.amdhsa_next_free_vgpr 1
		.amdhsa_next_free_sgpr 0
		.amdhsa_accum_offset 4
		.amdhsa_reserve_vcc 0
		.amdhsa_reserve_flat_scratch 0
		.amdhsa_float_round_mode_32 0
		.amdhsa_float_round_mode_16_64 0
		.amdhsa_float_denorm_mode_32 3
		.amdhsa_float_denorm_mode_16_64 3
		.amdhsa_dx10_clamp 1
		.amdhsa_ieee_mode 1
		.amdhsa_fp16_overflow 0
		.amdhsa_tg_split 0
		.amdhsa_exception_fp_ieee_invalid_op 0
		.amdhsa_exception_fp_denorm_src 0
		.amdhsa_exception_fp_ieee_div_zero 0
		.amdhsa_exception_fp_ieee_overflow 0
		.amdhsa_exception_fp_ieee_underflow 0
		.amdhsa_exception_fp_ieee_inexact 0
		.amdhsa_exception_int_div_zero 0
	.end_amdhsa_kernel
	.section	.text._ZN7rocprim17ROCPRIM_400000_NS6detail17trampoline_kernelINS0_14default_configENS1_38merge_sort_block_merge_config_selectorIyNS0_10empty_typeEEEZZNS1_27merge_sort_block_merge_implIS3_N6thrust23THRUST_200600_302600_NS6detail15normal_iteratorINS9_10device_ptrIyEEEEPS5_jNS1_19radix_merge_compareILb0ELb0EyNS0_19identity_decomposerEEEEE10hipError_tT0_T1_T2_jT3_P12ihipStream_tbPNSt15iterator_traitsISK_E10value_typeEPNSQ_ISL_E10value_typeEPSM_NS1_7vsmem_tEENKUlT_SK_SL_SM_E_clISE_PySF_SF_EESJ_SZ_SK_SL_SM_EUlSZ_E0_NS1_11comp_targetILNS1_3genE3ELNS1_11target_archE908ELNS1_3gpuE7ELNS1_3repE0EEENS1_38merge_mergepath_config_static_selectorELNS0_4arch9wavefront6targetE1EEEvSL_,"axG",@progbits,_ZN7rocprim17ROCPRIM_400000_NS6detail17trampoline_kernelINS0_14default_configENS1_38merge_sort_block_merge_config_selectorIyNS0_10empty_typeEEEZZNS1_27merge_sort_block_merge_implIS3_N6thrust23THRUST_200600_302600_NS6detail15normal_iteratorINS9_10device_ptrIyEEEEPS5_jNS1_19radix_merge_compareILb0ELb0EyNS0_19identity_decomposerEEEEE10hipError_tT0_T1_T2_jT3_P12ihipStream_tbPNSt15iterator_traitsISK_E10value_typeEPNSQ_ISL_E10value_typeEPSM_NS1_7vsmem_tEENKUlT_SK_SL_SM_E_clISE_PySF_SF_EESJ_SZ_SK_SL_SM_EUlSZ_E0_NS1_11comp_targetILNS1_3genE3ELNS1_11target_archE908ELNS1_3gpuE7ELNS1_3repE0EEENS1_38merge_mergepath_config_static_selectorELNS0_4arch9wavefront6targetE1EEEvSL_,comdat
.Lfunc_end760:
	.size	_ZN7rocprim17ROCPRIM_400000_NS6detail17trampoline_kernelINS0_14default_configENS1_38merge_sort_block_merge_config_selectorIyNS0_10empty_typeEEEZZNS1_27merge_sort_block_merge_implIS3_N6thrust23THRUST_200600_302600_NS6detail15normal_iteratorINS9_10device_ptrIyEEEEPS5_jNS1_19radix_merge_compareILb0ELb0EyNS0_19identity_decomposerEEEEE10hipError_tT0_T1_T2_jT3_P12ihipStream_tbPNSt15iterator_traitsISK_E10value_typeEPNSQ_ISL_E10value_typeEPSM_NS1_7vsmem_tEENKUlT_SK_SL_SM_E_clISE_PySF_SF_EESJ_SZ_SK_SL_SM_EUlSZ_E0_NS1_11comp_targetILNS1_3genE3ELNS1_11target_archE908ELNS1_3gpuE7ELNS1_3repE0EEENS1_38merge_mergepath_config_static_selectorELNS0_4arch9wavefront6targetE1EEEvSL_, .Lfunc_end760-_ZN7rocprim17ROCPRIM_400000_NS6detail17trampoline_kernelINS0_14default_configENS1_38merge_sort_block_merge_config_selectorIyNS0_10empty_typeEEEZZNS1_27merge_sort_block_merge_implIS3_N6thrust23THRUST_200600_302600_NS6detail15normal_iteratorINS9_10device_ptrIyEEEEPS5_jNS1_19radix_merge_compareILb0ELb0EyNS0_19identity_decomposerEEEEE10hipError_tT0_T1_T2_jT3_P12ihipStream_tbPNSt15iterator_traitsISK_E10value_typeEPNSQ_ISL_E10value_typeEPSM_NS1_7vsmem_tEENKUlT_SK_SL_SM_E_clISE_PySF_SF_EESJ_SZ_SK_SL_SM_EUlSZ_E0_NS1_11comp_targetILNS1_3genE3ELNS1_11target_archE908ELNS1_3gpuE7ELNS1_3repE0EEENS1_38merge_mergepath_config_static_selectorELNS0_4arch9wavefront6targetE1EEEvSL_
                                        ; -- End function
	.section	.AMDGPU.csdata,"",@progbits
; Kernel info:
; codeLenInByte = 0
; NumSgprs: 4
; NumVgprs: 0
; NumAgprs: 0
; TotalNumVgprs: 0
; ScratchSize: 0
; MemoryBound: 0
; FloatMode: 240
; IeeeMode: 1
; LDSByteSize: 0 bytes/workgroup (compile time only)
; SGPRBlocks: 0
; VGPRBlocks: 0
; NumSGPRsForWavesPerEU: 4
; NumVGPRsForWavesPerEU: 1
; AccumOffset: 4
; Occupancy: 8
; WaveLimiterHint : 0
; COMPUTE_PGM_RSRC2:SCRATCH_EN: 0
; COMPUTE_PGM_RSRC2:USER_SGPR: 6
; COMPUTE_PGM_RSRC2:TRAP_HANDLER: 0
; COMPUTE_PGM_RSRC2:TGID_X_EN: 1
; COMPUTE_PGM_RSRC2:TGID_Y_EN: 0
; COMPUTE_PGM_RSRC2:TGID_Z_EN: 0
; COMPUTE_PGM_RSRC2:TIDIG_COMP_CNT: 0
; COMPUTE_PGM_RSRC3_GFX90A:ACCUM_OFFSET: 0
; COMPUTE_PGM_RSRC3_GFX90A:TG_SPLIT: 0
	.section	.text._ZN7rocprim17ROCPRIM_400000_NS6detail17trampoline_kernelINS0_14default_configENS1_38merge_sort_block_merge_config_selectorIyNS0_10empty_typeEEEZZNS1_27merge_sort_block_merge_implIS3_N6thrust23THRUST_200600_302600_NS6detail15normal_iteratorINS9_10device_ptrIyEEEEPS5_jNS1_19radix_merge_compareILb0ELb0EyNS0_19identity_decomposerEEEEE10hipError_tT0_T1_T2_jT3_P12ihipStream_tbPNSt15iterator_traitsISK_E10value_typeEPNSQ_ISL_E10value_typeEPSM_NS1_7vsmem_tEENKUlT_SK_SL_SM_E_clISE_PySF_SF_EESJ_SZ_SK_SL_SM_EUlSZ_E0_NS1_11comp_targetILNS1_3genE2ELNS1_11target_archE906ELNS1_3gpuE6ELNS1_3repE0EEENS1_38merge_mergepath_config_static_selectorELNS0_4arch9wavefront6targetE1EEEvSL_,"axG",@progbits,_ZN7rocprim17ROCPRIM_400000_NS6detail17trampoline_kernelINS0_14default_configENS1_38merge_sort_block_merge_config_selectorIyNS0_10empty_typeEEEZZNS1_27merge_sort_block_merge_implIS3_N6thrust23THRUST_200600_302600_NS6detail15normal_iteratorINS9_10device_ptrIyEEEEPS5_jNS1_19radix_merge_compareILb0ELb0EyNS0_19identity_decomposerEEEEE10hipError_tT0_T1_T2_jT3_P12ihipStream_tbPNSt15iterator_traitsISK_E10value_typeEPNSQ_ISL_E10value_typeEPSM_NS1_7vsmem_tEENKUlT_SK_SL_SM_E_clISE_PySF_SF_EESJ_SZ_SK_SL_SM_EUlSZ_E0_NS1_11comp_targetILNS1_3genE2ELNS1_11target_archE906ELNS1_3gpuE6ELNS1_3repE0EEENS1_38merge_mergepath_config_static_selectorELNS0_4arch9wavefront6targetE1EEEvSL_,comdat
	.protected	_ZN7rocprim17ROCPRIM_400000_NS6detail17trampoline_kernelINS0_14default_configENS1_38merge_sort_block_merge_config_selectorIyNS0_10empty_typeEEEZZNS1_27merge_sort_block_merge_implIS3_N6thrust23THRUST_200600_302600_NS6detail15normal_iteratorINS9_10device_ptrIyEEEEPS5_jNS1_19radix_merge_compareILb0ELb0EyNS0_19identity_decomposerEEEEE10hipError_tT0_T1_T2_jT3_P12ihipStream_tbPNSt15iterator_traitsISK_E10value_typeEPNSQ_ISL_E10value_typeEPSM_NS1_7vsmem_tEENKUlT_SK_SL_SM_E_clISE_PySF_SF_EESJ_SZ_SK_SL_SM_EUlSZ_E0_NS1_11comp_targetILNS1_3genE2ELNS1_11target_archE906ELNS1_3gpuE6ELNS1_3repE0EEENS1_38merge_mergepath_config_static_selectorELNS0_4arch9wavefront6targetE1EEEvSL_ ; -- Begin function _ZN7rocprim17ROCPRIM_400000_NS6detail17trampoline_kernelINS0_14default_configENS1_38merge_sort_block_merge_config_selectorIyNS0_10empty_typeEEEZZNS1_27merge_sort_block_merge_implIS3_N6thrust23THRUST_200600_302600_NS6detail15normal_iteratorINS9_10device_ptrIyEEEEPS5_jNS1_19radix_merge_compareILb0ELb0EyNS0_19identity_decomposerEEEEE10hipError_tT0_T1_T2_jT3_P12ihipStream_tbPNSt15iterator_traitsISK_E10value_typeEPNSQ_ISL_E10value_typeEPSM_NS1_7vsmem_tEENKUlT_SK_SL_SM_E_clISE_PySF_SF_EESJ_SZ_SK_SL_SM_EUlSZ_E0_NS1_11comp_targetILNS1_3genE2ELNS1_11target_archE906ELNS1_3gpuE6ELNS1_3repE0EEENS1_38merge_mergepath_config_static_selectorELNS0_4arch9wavefront6targetE1EEEvSL_
	.globl	_ZN7rocprim17ROCPRIM_400000_NS6detail17trampoline_kernelINS0_14default_configENS1_38merge_sort_block_merge_config_selectorIyNS0_10empty_typeEEEZZNS1_27merge_sort_block_merge_implIS3_N6thrust23THRUST_200600_302600_NS6detail15normal_iteratorINS9_10device_ptrIyEEEEPS5_jNS1_19radix_merge_compareILb0ELb0EyNS0_19identity_decomposerEEEEE10hipError_tT0_T1_T2_jT3_P12ihipStream_tbPNSt15iterator_traitsISK_E10value_typeEPNSQ_ISL_E10value_typeEPSM_NS1_7vsmem_tEENKUlT_SK_SL_SM_E_clISE_PySF_SF_EESJ_SZ_SK_SL_SM_EUlSZ_E0_NS1_11comp_targetILNS1_3genE2ELNS1_11target_archE906ELNS1_3gpuE6ELNS1_3repE0EEENS1_38merge_mergepath_config_static_selectorELNS0_4arch9wavefront6targetE1EEEvSL_
	.p2align	8
	.type	_ZN7rocprim17ROCPRIM_400000_NS6detail17trampoline_kernelINS0_14default_configENS1_38merge_sort_block_merge_config_selectorIyNS0_10empty_typeEEEZZNS1_27merge_sort_block_merge_implIS3_N6thrust23THRUST_200600_302600_NS6detail15normal_iteratorINS9_10device_ptrIyEEEEPS5_jNS1_19radix_merge_compareILb0ELb0EyNS0_19identity_decomposerEEEEE10hipError_tT0_T1_T2_jT3_P12ihipStream_tbPNSt15iterator_traitsISK_E10value_typeEPNSQ_ISL_E10value_typeEPSM_NS1_7vsmem_tEENKUlT_SK_SL_SM_E_clISE_PySF_SF_EESJ_SZ_SK_SL_SM_EUlSZ_E0_NS1_11comp_targetILNS1_3genE2ELNS1_11target_archE906ELNS1_3gpuE6ELNS1_3repE0EEENS1_38merge_mergepath_config_static_selectorELNS0_4arch9wavefront6targetE1EEEvSL_,@function
_ZN7rocprim17ROCPRIM_400000_NS6detail17trampoline_kernelINS0_14default_configENS1_38merge_sort_block_merge_config_selectorIyNS0_10empty_typeEEEZZNS1_27merge_sort_block_merge_implIS3_N6thrust23THRUST_200600_302600_NS6detail15normal_iteratorINS9_10device_ptrIyEEEEPS5_jNS1_19radix_merge_compareILb0ELb0EyNS0_19identity_decomposerEEEEE10hipError_tT0_T1_T2_jT3_P12ihipStream_tbPNSt15iterator_traitsISK_E10value_typeEPNSQ_ISL_E10value_typeEPSM_NS1_7vsmem_tEENKUlT_SK_SL_SM_E_clISE_PySF_SF_EESJ_SZ_SK_SL_SM_EUlSZ_E0_NS1_11comp_targetILNS1_3genE2ELNS1_11target_archE906ELNS1_3gpuE6ELNS1_3repE0EEENS1_38merge_mergepath_config_static_selectorELNS0_4arch9wavefront6targetE1EEEvSL_: ; @_ZN7rocprim17ROCPRIM_400000_NS6detail17trampoline_kernelINS0_14default_configENS1_38merge_sort_block_merge_config_selectorIyNS0_10empty_typeEEEZZNS1_27merge_sort_block_merge_implIS3_N6thrust23THRUST_200600_302600_NS6detail15normal_iteratorINS9_10device_ptrIyEEEEPS5_jNS1_19radix_merge_compareILb0ELb0EyNS0_19identity_decomposerEEEEE10hipError_tT0_T1_T2_jT3_P12ihipStream_tbPNSt15iterator_traitsISK_E10value_typeEPNSQ_ISL_E10value_typeEPSM_NS1_7vsmem_tEENKUlT_SK_SL_SM_E_clISE_PySF_SF_EESJ_SZ_SK_SL_SM_EUlSZ_E0_NS1_11comp_targetILNS1_3genE2ELNS1_11target_archE906ELNS1_3gpuE6ELNS1_3repE0EEENS1_38merge_mergepath_config_static_selectorELNS0_4arch9wavefront6targetE1EEEvSL_
; %bb.0:
	.section	.rodata,"a",@progbits
	.p2align	6, 0x0
	.amdhsa_kernel _ZN7rocprim17ROCPRIM_400000_NS6detail17trampoline_kernelINS0_14default_configENS1_38merge_sort_block_merge_config_selectorIyNS0_10empty_typeEEEZZNS1_27merge_sort_block_merge_implIS3_N6thrust23THRUST_200600_302600_NS6detail15normal_iteratorINS9_10device_ptrIyEEEEPS5_jNS1_19radix_merge_compareILb0ELb0EyNS0_19identity_decomposerEEEEE10hipError_tT0_T1_T2_jT3_P12ihipStream_tbPNSt15iterator_traitsISK_E10value_typeEPNSQ_ISL_E10value_typeEPSM_NS1_7vsmem_tEENKUlT_SK_SL_SM_E_clISE_PySF_SF_EESJ_SZ_SK_SL_SM_EUlSZ_E0_NS1_11comp_targetILNS1_3genE2ELNS1_11target_archE906ELNS1_3gpuE6ELNS1_3repE0EEENS1_38merge_mergepath_config_static_selectorELNS0_4arch9wavefront6targetE1EEEvSL_
		.amdhsa_group_segment_fixed_size 0
		.amdhsa_private_segment_fixed_size 0
		.amdhsa_kernarg_size 64
		.amdhsa_user_sgpr_count 6
		.amdhsa_user_sgpr_private_segment_buffer 1
		.amdhsa_user_sgpr_dispatch_ptr 0
		.amdhsa_user_sgpr_queue_ptr 0
		.amdhsa_user_sgpr_kernarg_segment_ptr 1
		.amdhsa_user_sgpr_dispatch_id 0
		.amdhsa_user_sgpr_flat_scratch_init 0
		.amdhsa_user_sgpr_kernarg_preload_length 0
		.amdhsa_user_sgpr_kernarg_preload_offset 0
		.amdhsa_user_sgpr_private_segment_size 0
		.amdhsa_uses_dynamic_stack 0
		.amdhsa_system_sgpr_private_segment_wavefront_offset 0
		.amdhsa_system_sgpr_workgroup_id_x 1
		.amdhsa_system_sgpr_workgroup_id_y 0
		.amdhsa_system_sgpr_workgroup_id_z 0
		.amdhsa_system_sgpr_workgroup_info 0
		.amdhsa_system_vgpr_workitem_id 0
		.amdhsa_next_free_vgpr 1
		.amdhsa_next_free_sgpr 0
		.amdhsa_accum_offset 4
		.amdhsa_reserve_vcc 0
		.amdhsa_reserve_flat_scratch 0
		.amdhsa_float_round_mode_32 0
		.amdhsa_float_round_mode_16_64 0
		.amdhsa_float_denorm_mode_32 3
		.amdhsa_float_denorm_mode_16_64 3
		.amdhsa_dx10_clamp 1
		.amdhsa_ieee_mode 1
		.amdhsa_fp16_overflow 0
		.amdhsa_tg_split 0
		.amdhsa_exception_fp_ieee_invalid_op 0
		.amdhsa_exception_fp_denorm_src 0
		.amdhsa_exception_fp_ieee_div_zero 0
		.amdhsa_exception_fp_ieee_overflow 0
		.amdhsa_exception_fp_ieee_underflow 0
		.amdhsa_exception_fp_ieee_inexact 0
		.amdhsa_exception_int_div_zero 0
	.end_amdhsa_kernel
	.section	.text._ZN7rocprim17ROCPRIM_400000_NS6detail17trampoline_kernelINS0_14default_configENS1_38merge_sort_block_merge_config_selectorIyNS0_10empty_typeEEEZZNS1_27merge_sort_block_merge_implIS3_N6thrust23THRUST_200600_302600_NS6detail15normal_iteratorINS9_10device_ptrIyEEEEPS5_jNS1_19radix_merge_compareILb0ELb0EyNS0_19identity_decomposerEEEEE10hipError_tT0_T1_T2_jT3_P12ihipStream_tbPNSt15iterator_traitsISK_E10value_typeEPNSQ_ISL_E10value_typeEPSM_NS1_7vsmem_tEENKUlT_SK_SL_SM_E_clISE_PySF_SF_EESJ_SZ_SK_SL_SM_EUlSZ_E0_NS1_11comp_targetILNS1_3genE2ELNS1_11target_archE906ELNS1_3gpuE6ELNS1_3repE0EEENS1_38merge_mergepath_config_static_selectorELNS0_4arch9wavefront6targetE1EEEvSL_,"axG",@progbits,_ZN7rocprim17ROCPRIM_400000_NS6detail17trampoline_kernelINS0_14default_configENS1_38merge_sort_block_merge_config_selectorIyNS0_10empty_typeEEEZZNS1_27merge_sort_block_merge_implIS3_N6thrust23THRUST_200600_302600_NS6detail15normal_iteratorINS9_10device_ptrIyEEEEPS5_jNS1_19radix_merge_compareILb0ELb0EyNS0_19identity_decomposerEEEEE10hipError_tT0_T1_T2_jT3_P12ihipStream_tbPNSt15iterator_traitsISK_E10value_typeEPNSQ_ISL_E10value_typeEPSM_NS1_7vsmem_tEENKUlT_SK_SL_SM_E_clISE_PySF_SF_EESJ_SZ_SK_SL_SM_EUlSZ_E0_NS1_11comp_targetILNS1_3genE2ELNS1_11target_archE906ELNS1_3gpuE6ELNS1_3repE0EEENS1_38merge_mergepath_config_static_selectorELNS0_4arch9wavefront6targetE1EEEvSL_,comdat
.Lfunc_end761:
	.size	_ZN7rocprim17ROCPRIM_400000_NS6detail17trampoline_kernelINS0_14default_configENS1_38merge_sort_block_merge_config_selectorIyNS0_10empty_typeEEEZZNS1_27merge_sort_block_merge_implIS3_N6thrust23THRUST_200600_302600_NS6detail15normal_iteratorINS9_10device_ptrIyEEEEPS5_jNS1_19radix_merge_compareILb0ELb0EyNS0_19identity_decomposerEEEEE10hipError_tT0_T1_T2_jT3_P12ihipStream_tbPNSt15iterator_traitsISK_E10value_typeEPNSQ_ISL_E10value_typeEPSM_NS1_7vsmem_tEENKUlT_SK_SL_SM_E_clISE_PySF_SF_EESJ_SZ_SK_SL_SM_EUlSZ_E0_NS1_11comp_targetILNS1_3genE2ELNS1_11target_archE906ELNS1_3gpuE6ELNS1_3repE0EEENS1_38merge_mergepath_config_static_selectorELNS0_4arch9wavefront6targetE1EEEvSL_, .Lfunc_end761-_ZN7rocprim17ROCPRIM_400000_NS6detail17trampoline_kernelINS0_14default_configENS1_38merge_sort_block_merge_config_selectorIyNS0_10empty_typeEEEZZNS1_27merge_sort_block_merge_implIS3_N6thrust23THRUST_200600_302600_NS6detail15normal_iteratorINS9_10device_ptrIyEEEEPS5_jNS1_19radix_merge_compareILb0ELb0EyNS0_19identity_decomposerEEEEE10hipError_tT0_T1_T2_jT3_P12ihipStream_tbPNSt15iterator_traitsISK_E10value_typeEPNSQ_ISL_E10value_typeEPSM_NS1_7vsmem_tEENKUlT_SK_SL_SM_E_clISE_PySF_SF_EESJ_SZ_SK_SL_SM_EUlSZ_E0_NS1_11comp_targetILNS1_3genE2ELNS1_11target_archE906ELNS1_3gpuE6ELNS1_3repE0EEENS1_38merge_mergepath_config_static_selectorELNS0_4arch9wavefront6targetE1EEEvSL_
                                        ; -- End function
	.section	.AMDGPU.csdata,"",@progbits
; Kernel info:
; codeLenInByte = 0
; NumSgprs: 4
; NumVgprs: 0
; NumAgprs: 0
; TotalNumVgprs: 0
; ScratchSize: 0
; MemoryBound: 0
; FloatMode: 240
; IeeeMode: 1
; LDSByteSize: 0 bytes/workgroup (compile time only)
; SGPRBlocks: 0
; VGPRBlocks: 0
; NumSGPRsForWavesPerEU: 4
; NumVGPRsForWavesPerEU: 1
; AccumOffset: 4
; Occupancy: 8
; WaveLimiterHint : 0
; COMPUTE_PGM_RSRC2:SCRATCH_EN: 0
; COMPUTE_PGM_RSRC2:USER_SGPR: 6
; COMPUTE_PGM_RSRC2:TRAP_HANDLER: 0
; COMPUTE_PGM_RSRC2:TGID_X_EN: 1
; COMPUTE_PGM_RSRC2:TGID_Y_EN: 0
; COMPUTE_PGM_RSRC2:TGID_Z_EN: 0
; COMPUTE_PGM_RSRC2:TIDIG_COMP_CNT: 0
; COMPUTE_PGM_RSRC3_GFX90A:ACCUM_OFFSET: 0
; COMPUTE_PGM_RSRC3_GFX90A:TG_SPLIT: 0
	.section	.text._ZN7rocprim17ROCPRIM_400000_NS6detail17trampoline_kernelINS0_14default_configENS1_38merge_sort_block_merge_config_selectorIyNS0_10empty_typeEEEZZNS1_27merge_sort_block_merge_implIS3_N6thrust23THRUST_200600_302600_NS6detail15normal_iteratorINS9_10device_ptrIyEEEEPS5_jNS1_19radix_merge_compareILb0ELb0EyNS0_19identity_decomposerEEEEE10hipError_tT0_T1_T2_jT3_P12ihipStream_tbPNSt15iterator_traitsISK_E10value_typeEPNSQ_ISL_E10value_typeEPSM_NS1_7vsmem_tEENKUlT_SK_SL_SM_E_clISE_PySF_SF_EESJ_SZ_SK_SL_SM_EUlSZ_E0_NS1_11comp_targetILNS1_3genE9ELNS1_11target_archE1100ELNS1_3gpuE3ELNS1_3repE0EEENS1_38merge_mergepath_config_static_selectorELNS0_4arch9wavefront6targetE1EEEvSL_,"axG",@progbits,_ZN7rocprim17ROCPRIM_400000_NS6detail17trampoline_kernelINS0_14default_configENS1_38merge_sort_block_merge_config_selectorIyNS0_10empty_typeEEEZZNS1_27merge_sort_block_merge_implIS3_N6thrust23THRUST_200600_302600_NS6detail15normal_iteratorINS9_10device_ptrIyEEEEPS5_jNS1_19radix_merge_compareILb0ELb0EyNS0_19identity_decomposerEEEEE10hipError_tT0_T1_T2_jT3_P12ihipStream_tbPNSt15iterator_traitsISK_E10value_typeEPNSQ_ISL_E10value_typeEPSM_NS1_7vsmem_tEENKUlT_SK_SL_SM_E_clISE_PySF_SF_EESJ_SZ_SK_SL_SM_EUlSZ_E0_NS1_11comp_targetILNS1_3genE9ELNS1_11target_archE1100ELNS1_3gpuE3ELNS1_3repE0EEENS1_38merge_mergepath_config_static_selectorELNS0_4arch9wavefront6targetE1EEEvSL_,comdat
	.protected	_ZN7rocprim17ROCPRIM_400000_NS6detail17trampoline_kernelINS0_14default_configENS1_38merge_sort_block_merge_config_selectorIyNS0_10empty_typeEEEZZNS1_27merge_sort_block_merge_implIS3_N6thrust23THRUST_200600_302600_NS6detail15normal_iteratorINS9_10device_ptrIyEEEEPS5_jNS1_19radix_merge_compareILb0ELb0EyNS0_19identity_decomposerEEEEE10hipError_tT0_T1_T2_jT3_P12ihipStream_tbPNSt15iterator_traitsISK_E10value_typeEPNSQ_ISL_E10value_typeEPSM_NS1_7vsmem_tEENKUlT_SK_SL_SM_E_clISE_PySF_SF_EESJ_SZ_SK_SL_SM_EUlSZ_E0_NS1_11comp_targetILNS1_3genE9ELNS1_11target_archE1100ELNS1_3gpuE3ELNS1_3repE0EEENS1_38merge_mergepath_config_static_selectorELNS0_4arch9wavefront6targetE1EEEvSL_ ; -- Begin function _ZN7rocprim17ROCPRIM_400000_NS6detail17trampoline_kernelINS0_14default_configENS1_38merge_sort_block_merge_config_selectorIyNS0_10empty_typeEEEZZNS1_27merge_sort_block_merge_implIS3_N6thrust23THRUST_200600_302600_NS6detail15normal_iteratorINS9_10device_ptrIyEEEEPS5_jNS1_19radix_merge_compareILb0ELb0EyNS0_19identity_decomposerEEEEE10hipError_tT0_T1_T2_jT3_P12ihipStream_tbPNSt15iterator_traitsISK_E10value_typeEPNSQ_ISL_E10value_typeEPSM_NS1_7vsmem_tEENKUlT_SK_SL_SM_E_clISE_PySF_SF_EESJ_SZ_SK_SL_SM_EUlSZ_E0_NS1_11comp_targetILNS1_3genE9ELNS1_11target_archE1100ELNS1_3gpuE3ELNS1_3repE0EEENS1_38merge_mergepath_config_static_selectorELNS0_4arch9wavefront6targetE1EEEvSL_
	.globl	_ZN7rocprim17ROCPRIM_400000_NS6detail17trampoline_kernelINS0_14default_configENS1_38merge_sort_block_merge_config_selectorIyNS0_10empty_typeEEEZZNS1_27merge_sort_block_merge_implIS3_N6thrust23THRUST_200600_302600_NS6detail15normal_iteratorINS9_10device_ptrIyEEEEPS5_jNS1_19radix_merge_compareILb0ELb0EyNS0_19identity_decomposerEEEEE10hipError_tT0_T1_T2_jT3_P12ihipStream_tbPNSt15iterator_traitsISK_E10value_typeEPNSQ_ISL_E10value_typeEPSM_NS1_7vsmem_tEENKUlT_SK_SL_SM_E_clISE_PySF_SF_EESJ_SZ_SK_SL_SM_EUlSZ_E0_NS1_11comp_targetILNS1_3genE9ELNS1_11target_archE1100ELNS1_3gpuE3ELNS1_3repE0EEENS1_38merge_mergepath_config_static_selectorELNS0_4arch9wavefront6targetE1EEEvSL_
	.p2align	8
	.type	_ZN7rocprim17ROCPRIM_400000_NS6detail17trampoline_kernelINS0_14default_configENS1_38merge_sort_block_merge_config_selectorIyNS0_10empty_typeEEEZZNS1_27merge_sort_block_merge_implIS3_N6thrust23THRUST_200600_302600_NS6detail15normal_iteratorINS9_10device_ptrIyEEEEPS5_jNS1_19radix_merge_compareILb0ELb0EyNS0_19identity_decomposerEEEEE10hipError_tT0_T1_T2_jT3_P12ihipStream_tbPNSt15iterator_traitsISK_E10value_typeEPNSQ_ISL_E10value_typeEPSM_NS1_7vsmem_tEENKUlT_SK_SL_SM_E_clISE_PySF_SF_EESJ_SZ_SK_SL_SM_EUlSZ_E0_NS1_11comp_targetILNS1_3genE9ELNS1_11target_archE1100ELNS1_3gpuE3ELNS1_3repE0EEENS1_38merge_mergepath_config_static_selectorELNS0_4arch9wavefront6targetE1EEEvSL_,@function
_ZN7rocprim17ROCPRIM_400000_NS6detail17trampoline_kernelINS0_14default_configENS1_38merge_sort_block_merge_config_selectorIyNS0_10empty_typeEEEZZNS1_27merge_sort_block_merge_implIS3_N6thrust23THRUST_200600_302600_NS6detail15normal_iteratorINS9_10device_ptrIyEEEEPS5_jNS1_19radix_merge_compareILb0ELb0EyNS0_19identity_decomposerEEEEE10hipError_tT0_T1_T2_jT3_P12ihipStream_tbPNSt15iterator_traitsISK_E10value_typeEPNSQ_ISL_E10value_typeEPSM_NS1_7vsmem_tEENKUlT_SK_SL_SM_E_clISE_PySF_SF_EESJ_SZ_SK_SL_SM_EUlSZ_E0_NS1_11comp_targetILNS1_3genE9ELNS1_11target_archE1100ELNS1_3gpuE3ELNS1_3repE0EEENS1_38merge_mergepath_config_static_selectorELNS0_4arch9wavefront6targetE1EEEvSL_: ; @_ZN7rocprim17ROCPRIM_400000_NS6detail17trampoline_kernelINS0_14default_configENS1_38merge_sort_block_merge_config_selectorIyNS0_10empty_typeEEEZZNS1_27merge_sort_block_merge_implIS3_N6thrust23THRUST_200600_302600_NS6detail15normal_iteratorINS9_10device_ptrIyEEEEPS5_jNS1_19radix_merge_compareILb0ELb0EyNS0_19identity_decomposerEEEEE10hipError_tT0_T1_T2_jT3_P12ihipStream_tbPNSt15iterator_traitsISK_E10value_typeEPNSQ_ISL_E10value_typeEPSM_NS1_7vsmem_tEENKUlT_SK_SL_SM_E_clISE_PySF_SF_EESJ_SZ_SK_SL_SM_EUlSZ_E0_NS1_11comp_targetILNS1_3genE9ELNS1_11target_archE1100ELNS1_3gpuE3ELNS1_3repE0EEENS1_38merge_mergepath_config_static_selectorELNS0_4arch9wavefront6targetE1EEEvSL_
; %bb.0:
	.section	.rodata,"a",@progbits
	.p2align	6, 0x0
	.amdhsa_kernel _ZN7rocprim17ROCPRIM_400000_NS6detail17trampoline_kernelINS0_14default_configENS1_38merge_sort_block_merge_config_selectorIyNS0_10empty_typeEEEZZNS1_27merge_sort_block_merge_implIS3_N6thrust23THRUST_200600_302600_NS6detail15normal_iteratorINS9_10device_ptrIyEEEEPS5_jNS1_19radix_merge_compareILb0ELb0EyNS0_19identity_decomposerEEEEE10hipError_tT0_T1_T2_jT3_P12ihipStream_tbPNSt15iterator_traitsISK_E10value_typeEPNSQ_ISL_E10value_typeEPSM_NS1_7vsmem_tEENKUlT_SK_SL_SM_E_clISE_PySF_SF_EESJ_SZ_SK_SL_SM_EUlSZ_E0_NS1_11comp_targetILNS1_3genE9ELNS1_11target_archE1100ELNS1_3gpuE3ELNS1_3repE0EEENS1_38merge_mergepath_config_static_selectorELNS0_4arch9wavefront6targetE1EEEvSL_
		.amdhsa_group_segment_fixed_size 0
		.amdhsa_private_segment_fixed_size 0
		.amdhsa_kernarg_size 64
		.amdhsa_user_sgpr_count 6
		.amdhsa_user_sgpr_private_segment_buffer 1
		.amdhsa_user_sgpr_dispatch_ptr 0
		.amdhsa_user_sgpr_queue_ptr 0
		.amdhsa_user_sgpr_kernarg_segment_ptr 1
		.amdhsa_user_sgpr_dispatch_id 0
		.amdhsa_user_sgpr_flat_scratch_init 0
		.amdhsa_user_sgpr_kernarg_preload_length 0
		.amdhsa_user_sgpr_kernarg_preload_offset 0
		.amdhsa_user_sgpr_private_segment_size 0
		.amdhsa_uses_dynamic_stack 0
		.amdhsa_system_sgpr_private_segment_wavefront_offset 0
		.amdhsa_system_sgpr_workgroup_id_x 1
		.amdhsa_system_sgpr_workgroup_id_y 0
		.amdhsa_system_sgpr_workgroup_id_z 0
		.amdhsa_system_sgpr_workgroup_info 0
		.amdhsa_system_vgpr_workitem_id 0
		.amdhsa_next_free_vgpr 1
		.amdhsa_next_free_sgpr 0
		.amdhsa_accum_offset 4
		.amdhsa_reserve_vcc 0
		.amdhsa_reserve_flat_scratch 0
		.amdhsa_float_round_mode_32 0
		.amdhsa_float_round_mode_16_64 0
		.amdhsa_float_denorm_mode_32 3
		.amdhsa_float_denorm_mode_16_64 3
		.amdhsa_dx10_clamp 1
		.amdhsa_ieee_mode 1
		.amdhsa_fp16_overflow 0
		.amdhsa_tg_split 0
		.amdhsa_exception_fp_ieee_invalid_op 0
		.amdhsa_exception_fp_denorm_src 0
		.amdhsa_exception_fp_ieee_div_zero 0
		.amdhsa_exception_fp_ieee_overflow 0
		.amdhsa_exception_fp_ieee_underflow 0
		.amdhsa_exception_fp_ieee_inexact 0
		.amdhsa_exception_int_div_zero 0
	.end_amdhsa_kernel
	.section	.text._ZN7rocprim17ROCPRIM_400000_NS6detail17trampoline_kernelINS0_14default_configENS1_38merge_sort_block_merge_config_selectorIyNS0_10empty_typeEEEZZNS1_27merge_sort_block_merge_implIS3_N6thrust23THRUST_200600_302600_NS6detail15normal_iteratorINS9_10device_ptrIyEEEEPS5_jNS1_19radix_merge_compareILb0ELb0EyNS0_19identity_decomposerEEEEE10hipError_tT0_T1_T2_jT3_P12ihipStream_tbPNSt15iterator_traitsISK_E10value_typeEPNSQ_ISL_E10value_typeEPSM_NS1_7vsmem_tEENKUlT_SK_SL_SM_E_clISE_PySF_SF_EESJ_SZ_SK_SL_SM_EUlSZ_E0_NS1_11comp_targetILNS1_3genE9ELNS1_11target_archE1100ELNS1_3gpuE3ELNS1_3repE0EEENS1_38merge_mergepath_config_static_selectorELNS0_4arch9wavefront6targetE1EEEvSL_,"axG",@progbits,_ZN7rocprim17ROCPRIM_400000_NS6detail17trampoline_kernelINS0_14default_configENS1_38merge_sort_block_merge_config_selectorIyNS0_10empty_typeEEEZZNS1_27merge_sort_block_merge_implIS3_N6thrust23THRUST_200600_302600_NS6detail15normal_iteratorINS9_10device_ptrIyEEEEPS5_jNS1_19radix_merge_compareILb0ELb0EyNS0_19identity_decomposerEEEEE10hipError_tT0_T1_T2_jT3_P12ihipStream_tbPNSt15iterator_traitsISK_E10value_typeEPNSQ_ISL_E10value_typeEPSM_NS1_7vsmem_tEENKUlT_SK_SL_SM_E_clISE_PySF_SF_EESJ_SZ_SK_SL_SM_EUlSZ_E0_NS1_11comp_targetILNS1_3genE9ELNS1_11target_archE1100ELNS1_3gpuE3ELNS1_3repE0EEENS1_38merge_mergepath_config_static_selectorELNS0_4arch9wavefront6targetE1EEEvSL_,comdat
.Lfunc_end762:
	.size	_ZN7rocprim17ROCPRIM_400000_NS6detail17trampoline_kernelINS0_14default_configENS1_38merge_sort_block_merge_config_selectorIyNS0_10empty_typeEEEZZNS1_27merge_sort_block_merge_implIS3_N6thrust23THRUST_200600_302600_NS6detail15normal_iteratorINS9_10device_ptrIyEEEEPS5_jNS1_19radix_merge_compareILb0ELb0EyNS0_19identity_decomposerEEEEE10hipError_tT0_T1_T2_jT3_P12ihipStream_tbPNSt15iterator_traitsISK_E10value_typeEPNSQ_ISL_E10value_typeEPSM_NS1_7vsmem_tEENKUlT_SK_SL_SM_E_clISE_PySF_SF_EESJ_SZ_SK_SL_SM_EUlSZ_E0_NS1_11comp_targetILNS1_3genE9ELNS1_11target_archE1100ELNS1_3gpuE3ELNS1_3repE0EEENS1_38merge_mergepath_config_static_selectorELNS0_4arch9wavefront6targetE1EEEvSL_, .Lfunc_end762-_ZN7rocprim17ROCPRIM_400000_NS6detail17trampoline_kernelINS0_14default_configENS1_38merge_sort_block_merge_config_selectorIyNS0_10empty_typeEEEZZNS1_27merge_sort_block_merge_implIS3_N6thrust23THRUST_200600_302600_NS6detail15normal_iteratorINS9_10device_ptrIyEEEEPS5_jNS1_19radix_merge_compareILb0ELb0EyNS0_19identity_decomposerEEEEE10hipError_tT0_T1_T2_jT3_P12ihipStream_tbPNSt15iterator_traitsISK_E10value_typeEPNSQ_ISL_E10value_typeEPSM_NS1_7vsmem_tEENKUlT_SK_SL_SM_E_clISE_PySF_SF_EESJ_SZ_SK_SL_SM_EUlSZ_E0_NS1_11comp_targetILNS1_3genE9ELNS1_11target_archE1100ELNS1_3gpuE3ELNS1_3repE0EEENS1_38merge_mergepath_config_static_selectorELNS0_4arch9wavefront6targetE1EEEvSL_
                                        ; -- End function
	.section	.AMDGPU.csdata,"",@progbits
; Kernel info:
; codeLenInByte = 0
; NumSgprs: 4
; NumVgprs: 0
; NumAgprs: 0
; TotalNumVgprs: 0
; ScratchSize: 0
; MemoryBound: 0
; FloatMode: 240
; IeeeMode: 1
; LDSByteSize: 0 bytes/workgroup (compile time only)
; SGPRBlocks: 0
; VGPRBlocks: 0
; NumSGPRsForWavesPerEU: 4
; NumVGPRsForWavesPerEU: 1
; AccumOffset: 4
; Occupancy: 8
; WaveLimiterHint : 0
; COMPUTE_PGM_RSRC2:SCRATCH_EN: 0
; COMPUTE_PGM_RSRC2:USER_SGPR: 6
; COMPUTE_PGM_RSRC2:TRAP_HANDLER: 0
; COMPUTE_PGM_RSRC2:TGID_X_EN: 1
; COMPUTE_PGM_RSRC2:TGID_Y_EN: 0
; COMPUTE_PGM_RSRC2:TGID_Z_EN: 0
; COMPUTE_PGM_RSRC2:TIDIG_COMP_CNT: 0
; COMPUTE_PGM_RSRC3_GFX90A:ACCUM_OFFSET: 0
; COMPUTE_PGM_RSRC3_GFX90A:TG_SPLIT: 0
	.section	.text._ZN7rocprim17ROCPRIM_400000_NS6detail17trampoline_kernelINS0_14default_configENS1_38merge_sort_block_merge_config_selectorIyNS0_10empty_typeEEEZZNS1_27merge_sort_block_merge_implIS3_N6thrust23THRUST_200600_302600_NS6detail15normal_iteratorINS9_10device_ptrIyEEEEPS5_jNS1_19radix_merge_compareILb0ELb0EyNS0_19identity_decomposerEEEEE10hipError_tT0_T1_T2_jT3_P12ihipStream_tbPNSt15iterator_traitsISK_E10value_typeEPNSQ_ISL_E10value_typeEPSM_NS1_7vsmem_tEENKUlT_SK_SL_SM_E_clISE_PySF_SF_EESJ_SZ_SK_SL_SM_EUlSZ_E0_NS1_11comp_targetILNS1_3genE8ELNS1_11target_archE1030ELNS1_3gpuE2ELNS1_3repE0EEENS1_38merge_mergepath_config_static_selectorELNS0_4arch9wavefront6targetE1EEEvSL_,"axG",@progbits,_ZN7rocprim17ROCPRIM_400000_NS6detail17trampoline_kernelINS0_14default_configENS1_38merge_sort_block_merge_config_selectorIyNS0_10empty_typeEEEZZNS1_27merge_sort_block_merge_implIS3_N6thrust23THRUST_200600_302600_NS6detail15normal_iteratorINS9_10device_ptrIyEEEEPS5_jNS1_19radix_merge_compareILb0ELb0EyNS0_19identity_decomposerEEEEE10hipError_tT0_T1_T2_jT3_P12ihipStream_tbPNSt15iterator_traitsISK_E10value_typeEPNSQ_ISL_E10value_typeEPSM_NS1_7vsmem_tEENKUlT_SK_SL_SM_E_clISE_PySF_SF_EESJ_SZ_SK_SL_SM_EUlSZ_E0_NS1_11comp_targetILNS1_3genE8ELNS1_11target_archE1030ELNS1_3gpuE2ELNS1_3repE0EEENS1_38merge_mergepath_config_static_selectorELNS0_4arch9wavefront6targetE1EEEvSL_,comdat
	.protected	_ZN7rocprim17ROCPRIM_400000_NS6detail17trampoline_kernelINS0_14default_configENS1_38merge_sort_block_merge_config_selectorIyNS0_10empty_typeEEEZZNS1_27merge_sort_block_merge_implIS3_N6thrust23THRUST_200600_302600_NS6detail15normal_iteratorINS9_10device_ptrIyEEEEPS5_jNS1_19radix_merge_compareILb0ELb0EyNS0_19identity_decomposerEEEEE10hipError_tT0_T1_T2_jT3_P12ihipStream_tbPNSt15iterator_traitsISK_E10value_typeEPNSQ_ISL_E10value_typeEPSM_NS1_7vsmem_tEENKUlT_SK_SL_SM_E_clISE_PySF_SF_EESJ_SZ_SK_SL_SM_EUlSZ_E0_NS1_11comp_targetILNS1_3genE8ELNS1_11target_archE1030ELNS1_3gpuE2ELNS1_3repE0EEENS1_38merge_mergepath_config_static_selectorELNS0_4arch9wavefront6targetE1EEEvSL_ ; -- Begin function _ZN7rocprim17ROCPRIM_400000_NS6detail17trampoline_kernelINS0_14default_configENS1_38merge_sort_block_merge_config_selectorIyNS0_10empty_typeEEEZZNS1_27merge_sort_block_merge_implIS3_N6thrust23THRUST_200600_302600_NS6detail15normal_iteratorINS9_10device_ptrIyEEEEPS5_jNS1_19radix_merge_compareILb0ELb0EyNS0_19identity_decomposerEEEEE10hipError_tT0_T1_T2_jT3_P12ihipStream_tbPNSt15iterator_traitsISK_E10value_typeEPNSQ_ISL_E10value_typeEPSM_NS1_7vsmem_tEENKUlT_SK_SL_SM_E_clISE_PySF_SF_EESJ_SZ_SK_SL_SM_EUlSZ_E0_NS1_11comp_targetILNS1_3genE8ELNS1_11target_archE1030ELNS1_3gpuE2ELNS1_3repE0EEENS1_38merge_mergepath_config_static_selectorELNS0_4arch9wavefront6targetE1EEEvSL_
	.globl	_ZN7rocprim17ROCPRIM_400000_NS6detail17trampoline_kernelINS0_14default_configENS1_38merge_sort_block_merge_config_selectorIyNS0_10empty_typeEEEZZNS1_27merge_sort_block_merge_implIS3_N6thrust23THRUST_200600_302600_NS6detail15normal_iteratorINS9_10device_ptrIyEEEEPS5_jNS1_19radix_merge_compareILb0ELb0EyNS0_19identity_decomposerEEEEE10hipError_tT0_T1_T2_jT3_P12ihipStream_tbPNSt15iterator_traitsISK_E10value_typeEPNSQ_ISL_E10value_typeEPSM_NS1_7vsmem_tEENKUlT_SK_SL_SM_E_clISE_PySF_SF_EESJ_SZ_SK_SL_SM_EUlSZ_E0_NS1_11comp_targetILNS1_3genE8ELNS1_11target_archE1030ELNS1_3gpuE2ELNS1_3repE0EEENS1_38merge_mergepath_config_static_selectorELNS0_4arch9wavefront6targetE1EEEvSL_
	.p2align	8
	.type	_ZN7rocprim17ROCPRIM_400000_NS6detail17trampoline_kernelINS0_14default_configENS1_38merge_sort_block_merge_config_selectorIyNS0_10empty_typeEEEZZNS1_27merge_sort_block_merge_implIS3_N6thrust23THRUST_200600_302600_NS6detail15normal_iteratorINS9_10device_ptrIyEEEEPS5_jNS1_19radix_merge_compareILb0ELb0EyNS0_19identity_decomposerEEEEE10hipError_tT0_T1_T2_jT3_P12ihipStream_tbPNSt15iterator_traitsISK_E10value_typeEPNSQ_ISL_E10value_typeEPSM_NS1_7vsmem_tEENKUlT_SK_SL_SM_E_clISE_PySF_SF_EESJ_SZ_SK_SL_SM_EUlSZ_E0_NS1_11comp_targetILNS1_3genE8ELNS1_11target_archE1030ELNS1_3gpuE2ELNS1_3repE0EEENS1_38merge_mergepath_config_static_selectorELNS0_4arch9wavefront6targetE1EEEvSL_,@function
_ZN7rocprim17ROCPRIM_400000_NS6detail17trampoline_kernelINS0_14default_configENS1_38merge_sort_block_merge_config_selectorIyNS0_10empty_typeEEEZZNS1_27merge_sort_block_merge_implIS3_N6thrust23THRUST_200600_302600_NS6detail15normal_iteratorINS9_10device_ptrIyEEEEPS5_jNS1_19radix_merge_compareILb0ELb0EyNS0_19identity_decomposerEEEEE10hipError_tT0_T1_T2_jT3_P12ihipStream_tbPNSt15iterator_traitsISK_E10value_typeEPNSQ_ISL_E10value_typeEPSM_NS1_7vsmem_tEENKUlT_SK_SL_SM_E_clISE_PySF_SF_EESJ_SZ_SK_SL_SM_EUlSZ_E0_NS1_11comp_targetILNS1_3genE8ELNS1_11target_archE1030ELNS1_3gpuE2ELNS1_3repE0EEENS1_38merge_mergepath_config_static_selectorELNS0_4arch9wavefront6targetE1EEEvSL_: ; @_ZN7rocprim17ROCPRIM_400000_NS6detail17trampoline_kernelINS0_14default_configENS1_38merge_sort_block_merge_config_selectorIyNS0_10empty_typeEEEZZNS1_27merge_sort_block_merge_implIS3_N6thrust23THRUST_200600_302600_NS6detail15normal_iteratorINS9_10device_ptrIyEEEEPS5_jNS1_19radix_merge_compareILb0ELb0EyNS0_19identity_decomposerEEEEE10hipError_tT0_T1_T2_jT3_P12ihipStream_tbPNSt15iterator_traitsISK_E10value_typeEPNSQ_ISL_E10value_typeEPSM_NS1_7vsmem_tEENKUlT_SK_SL_SM_E_clISE_PySF_SF_EESJ_SZ_SK_SL_SM_EUlSZ_E0_NS1_11comp_targetILNS1_3genE8ELNS1_11target_archE1030ELNS1_3gpuE2ELNS1_3repE0EEENS1_38merge_mergepath_config_static_selectorELNS0_4arch9wavefront6targetE1EEEvSL_
; %bb.0:
	.section	.rodata,"a",@progbits
	.p2align	6, 0x0
	.amdhsa_kernel _ZN7rocprim17ROCPRIM_400000_NS6detail17trampoline_kernelINS0_14default_configENS1_38merge_sort_block_merge_config_selectorIyNS0_10empty_typeEEEZZNS1_27merge_sort_block_merge_implIS3_N6thrust23THRUST_200600_302600_NS6detail15normal_iteratorINS9_10device_ptrIyEEEEPS5_jNS1_19radix_merge_compareILb0ELb0EyNS0_19identity_decomposerEEEEE10hipError_tT0_T1_T2_jT3_P12ihipStream_tbPNSt15iterator_traitsISK_E10value_typeEPNSQ_ISL_E10value_typeEPSM_NS1_7vsmem_tEENKUlT_SK_SL_SM_E_clISE_PySF_SF_EESJ_SZ_SK_SL_SM_EUlSZ_E0_NS1_11comp_targetILNS1_3genE8ELNS1_11target_archE1030ELNS1_3gpuE2ELNS1_3repE0EEENS1_38merge_mergepath_config_static_selectorELNS0_4arch9wavefront6targetE1EEEvSL_
		.amdhsa_group_segment_fixed_size 0
		.amdhsa_private_segment_fixed_size 0
		.amdhsa_kernarg_size 64
		.amdhsa_user_sgpr_count 6
		.amdhsa_user_sgpr_private_segment_buffer 1
		.amdhsa_user_sgpr_dispatch_ptr 0
		.amdhsa_user_sgpr_queue_ptr 0
		.amdhsa_user_sgpr_kernarg_segment_ptr 1
		.amdhsa_user_sgpr_dispatch_id 0
		.amdhsa_user_sgpr_flat_scratch_init 0
		.amdhsa_user_sgpr_kernarg_preload_length 0
		.amdhsa_user_sgpr_kernarg_preload_offset 0
		.amdhsa_user_sgpr_private_segment_size 0
		.amdhsa_uses_dynamic_stack 0
		.amdhsa_system_sgpr_private_segment_wavefront_offset 0
		.amdhsa_system_sgpr_workgroup_id_x 1
		.amdhsa_system_sgpr_workgroup_id_y 0
		.amdhsa_system_sgpr_workgroup_id_z 0
		.amdhsa_system_sgpr_workgroup_info 0
		.amdhsa_system_vgpr_workitem_id 0
		.amdhsa_next_free_vgpr 1
		.amdhsa_next_free_sgpr 0
		.amdhsa_accum_offset 4
		.amdhsa_reserve_vcc 0
		.amdhsa_reserve_flat_scratch 0
		.amdhsa_float_round_mode_32 0
		.amdhsa_float_round_mode_16_64 0
		.amdhsa_float_denorm_mode_32 3
		.amdhsa_float_denorm_mode_16_64 3
		.amdhsa_dx10_clamp 1
		.amdhsa_ieee_mode 1
		.amdhsa_fp16_overflow 0
		.amdhsa_tg_split 0
		.amdhsa_exception_fp_ieee_invalid_op 0
		.amdhsa_exception_fp_denorm_src 0
		.amdhsa_exception_fp_ieee_div_zero 0
		.amdhsa_exception_fp_ieee_overflow 0
		.amdhsa_exception_fp_ieee_underflow 0
		.amdhsa_exception_fp_ieee_inexact 0
		.amdhsa_exception_int_div_zero 0
	.end_amdhsa_kernel
	.section	.text._ZN7rocprim17ROCPRIM_400000_NS6detail17trampoline_kernelINS0_14default_configENS1_38merge_sort_block_merge_config_selectorIyNS0_10empty_typeEEEZZNS1_27merge_sort_block_merge_implIS3_N6thrust23THRUST_200600_302600_NS6detail15normal_iteratorINS9_10device_ptrIyEEEEPS5_jNS1_19radix_merge_compareILb0ELb0EyNS0_19identity_decomposerEEEEE10hipError_tT0_T1_T2_jT3_P12ihipStream_tbPNSt15iterator_traitsISK_E10value_typeEPNSQ_ISL_E10value_typeEPSM_NS1_7vsmem_tEENKUlT_SK_SL_SM_E_clISE_PySF_SF_EESJ_SZ_SK_SL_SM_EUlSZ_E0_NS1_11comp_targetILNS1_3genE8ELNS1_11target_archE1030ELNS1_3gpuE2ELNS1_3repE0EEENS1_38merge_mergepath_config_static_selectorELNS0_4arch9wavefront6targetE1EEEvSL_,"axG",@progbits,_ZN7rocprim17ROCPRIM_400000_NS6detail17trampoline_kernelINS0_14default_configENS1_38merge_sort_block_merge_config_selectorIyNS0_10empty_typeEEEZZNS1_27merge_sort_block_merge_implIS3_N6thrust23THRUST_200600_302600_NS6detail15normal_iteratorINS9_10device_ptrIyEEEEPS5_jNS1_19radix_merge_compareILb0ELb0EyNS0_19identity_decomposerEEEEE10hipError_tT0_T1_T2_jT3_P12ihipStream_tbPNSt15iterator_traitsISK_E10value_typeEPNSQ_ISL_E10value_typeEPSM_NS1_7vsmem_tEENKUlT_SK_SL_SM_E_clISE_PySF_SF_EESJ_SZ_SK_SL_SM_EUlSZ_E0_NS1_11comp_targetILNS1_3genE8ELNS1_11target_archE1030ELNS1_3gpuE2ELNS1_3repE0EEENS1_38merge_mergepath_config_static_selectorELNS0_4arch9wavefront6targetE1EEEvSL_,comdat
.Lfunc_end763:
	.size	_ZN7rocprim17ROCPRIM_400000_NS6detail17trampoline_kernelINS0_14default_configENS1_38merge_sort_block_merge_config_selectorIyNS0_10empty_typeEEEZZNS1_27merge_sort_block_merge_implIS3_N6thrust23THRUST_200600_302600_NS6detail15normal_iteratorINS9_10device_ptrIyEEEEPS5_jNS1_19radix_merge_compareILb0ELb0EyNS0_19identity_decomposerEEEEE10hipError_tT0_T1_T2_jT3_P12ihipStream_tbPNSt15iterator_traitsISK_E10value_typeEPNSQ_ISL_E10value_typeEPSM_NS1_7vsmem_tEENKUlT_SK_SL_SM_E_clISE_PySF_SF_EESJ_SZ_SK_SL_SM_EUlSZ_E0_NS1_11comp_targetILNS1_3genE8ELNS1_11target_archE1030ELNS1_3gpuE2ELNS1_3repE0EEENS1_38merge_mergepath_config_static_selectorELNS0_4arch9wavefront6targetE1EEEvSL_, .Lfunc_end763-_ZN7rocprim17ROCPRIM_400000_NS6detail17trampoline_kernelINS0_14default_configENS1_38merge_sort_block_merge_config_selectorIyNS0_10empty_typeEEEZZNS1_27merge_sort_block_merge_implIS3_N6thrust23THRUST_200600_302600_NS6detail15normal_iteratorINS9_10device_ptrIyEEEEPS5_jNS1_19radix_merge_compareILb0ELb0EyNS0_19identity_decomposerEEEEE10hipError_tT0_T1_T2_jT3_P12ihipStream_tbPNSt15iterator_traitsISK_E10value_typeEPNSQ_ISL_E10value_typeEPSM_NS1_7vsmem_tEENKUlT_SK_SL_SM_E_clISE_PySF_SF_EESJ_SZ_SK_SL_SM_EUlSZ_E0_NS1_11comp_targetILNS1_3genE8ELNS1_11target_archE1030ELNS1_3gpuE2ELNS1_3repE0EEENS1_38merge_mergepath_config_static_selectorELNS0_4arch9wavefront6targetE1EEEvSL_
                                        ; -- End function
	.section	.AMDGPU.csdata,"",@progbits
; Kernel info:
; codeLenInByte = 0
; NumSgprs: 4
; NumVgprs: 0
; NumAgprs: 0
; TotalNumVgprs: 0
; ScratchSize: 0
; MemoryBound: 0
; FloatMode: 240
; IeeeMode: 1
; LDSByteSize: 0 bytes/workgroup (compile time only)
; SGPRBlocks: 0
; VGPRBlocks: 0
; NumSGPRsForWavesPerEU: 4
; NumVGPRsForWavesPerEU: 1
; AccumOffset: 4
; Occupancy: 8
; WaveLimiterHint : 0
; COMPUTE_PGM_RSRC2:SCRATCH_EN: 0
; COMPUTE_PGM_RSRC2:USER_SGPR: 6
; COMPUTE_PGM_RSRC2:TRAP_HANDLER: 0
; COMPUTE_PGM_RSRC2:TGID_X_EN: 1
; COMPUTE_PGM_RSRC2:TGID_Y_EN: 0
; COMPUTE_PGM_RSRC2:TGID_Z_EN: 0
; COMPUTE_PGM_RSRC2:TIDIG_COMP_CNT: 0
; COMPUTE_PGM_RSRC3_GFX90A:ACCUM_OFFSET: 0
; COMPUTE_PGM_RSRC3_GFX90A:TG_SPLIT: 0
	.section	.text._ZN7rocprim17ROCPRIM_400000_NS6detail17trampoline_kernelINS0_14default_configENS1_38merge_sort_block_merge_config_selectorIyNS0_10empty_typeEEEZZNS1_27merge_sort_block_merge_implIS3_N6thrust23THRUST_200600_302600_NS6detail15normal_iteratorINS9_10device_ptrIyEEEEPS5_jNS1_19radix_merge_compareILb0ELb0EyNS0_19identity_decomposerEEEEE10hipError_tT0_T1_T2_jT3_P12ihipStream_tbPNSt15iterator_traitsISK_E10value_typeEPNSQ_ISL_E10value_typeEPSM_NS1_7vsmem_tEENKUlT_SK_SL_SM_E_clISE_PySF_SF_EESJ_SZ_SK_SL_SM_EUlSZ_E1_NS1_11comp_targetILNS1_3genE0ELNS1_11target_archE4294967295ELNS1_3gpuE0ELNS1_3repE0EEENS1_36merge_oddeven_config_static_selectorELNS0_4arch9wavefront6targetE1EEEvSL_,"axG",@progbits,_ZN7rocprim17ROCPRIM_400000_NS6detail17trampoline_kernelINS0_14default_configENS1_38merge_sort_block_merge_config_selectorIyNS0_10empty_typeEEEZZNS1_27merge_sort_block_merge_implIS3_N6thrust23THRUST_200600_302600_NS6detail15normal_iteratorINS9_10device_ptrIyEEEEPS5_jNS1_19radix_merge_compareILb0ELb0EyNS0_19identity_decomposerEEEEE10hipError_tT0_T1_T2_jT3_P12ihipStream_tbPNSt15iterator_traitsISK_E10value_typeEPNSQ_ISL_E10value_typeEPSM_NS1_7vsmem_tEENKUlT_SK_SL_SM_E_clISE_PySF_SF_EESJ_SZ_SK_SL_SM_EUlSZ_E1_NS1_11comp_targetILNS1_3genE0ELNS1_11target_archE4294967295ELNS1_3gpuE0ELNS1_3repE0EEENS1_36merge_oddeven_config_static_selectorELNS0_4arch9wavefront6targetE1EEEvSL_,comdat
	.protected	_ZN7rocprim17ROCPRIM_400000_NS6detail17trampoline_kernelINS0_14default_configENS1_38merge_sort_block_merge_config_selectorIyNS0_10empty_typeEEEZZNS1_27merge_sort_block_merge_implIS3_N6thrust23THRUST_200600_302600_NS6detail15normal_iteratorINS9_10device_ptrIyEEEEPS5_jNS1_19radix_merge_compareILb0ELb0EyNS0_19identity_decomposerEEEEE10hipError_tT0_T1_T2_jT3_P12ihipStream_tbPNSt15iterator_traitsISK_E10value_typeEPNSQ_ISL_E10value_typeEPSM_NS1_7vsmem_tEENKUlT_SK_SL_SM_E_clISE_PySF_SF_EESJ_SZ_SK_SL_SM_EUlSZ_E1_NS1_11comp_targetILNS1_3genE0ELNS1_11target_archE4294967295ELNS1_3gpuE0ELNS1_3repE0EEENS1_36merge_oddeven_config_static_selectorELNS0_4arch9wavefront6targetE1EEEvSL_ ; -- Begin function _ZN7rocprim17ROCPRIM_400000_NS6detail17trampoline_kernelINS0_14default_configENS1_38merge_sort_block_merge_config_selectorIyNS0_10empty_typeEEEZZNS1_27merge_sort_block_merge_implIS3_N6thrust23THRUST_200600_302600_NS6detail15normal_iteratorINS9_10device_ptrIyEEEEPS5_jNS1_19radix_merge_compareILb0ELb0EyNS0_19identity_decomposerEEEEE10hipError_tT0_T1_T2_jT3_P12ihipStream_tbPNSt15iterator_traitsISK_E10value_typeEPNSQ_ISL_E10value_typeEPSM_NS1_7vsmem_tEENKUlT_SK_SL_SM_E_clISE_PySF_SF_EESJ_SZ_SK_SL_SM_EUlSZ_E1_NS1_11comp_targetILNS1_3genE0ELNS1_11target_archE4294967295ELNS1_3gpuE0ELNS1_3repE0EEENS1_36merge_oddeven_config_static_selectorELNS0_4arch9wavefront6targetE1EEEvSL_
	.globl	_ZN7rocprim17ROCPRIM_400000_NS6detail17trampoline_kernelINS0_14default_configENS1_38merge_sort_block_merge_config_selectorIyNS0_10empty_typeEEEZZNS1_27merge_sort_block_merge_implIS3_N6thrust23THRUST_200600_302600_NS6detail15normal_iteratorINS9_10device_ptrIyEEEEPS5_jNS1_19radix_merge_compareILb0ELb0EyNS0_19identity_decomposerEEEEE10hipError_tT0_T1_T2_jT3_P12ihipStream_tbPNSt15iterator_traitsISK_E10value_typeEPNSQ_ISL_E10value_typeEPSM_NS1_7vsmem_tEENKUlT_SK_SL_SM_E_clISE_PySF_SF_EESJ_SZ_SK_SL_SM_EUlSZ_E1_NS1_11comp_targetILNS1_3genE0ELNS1_11target_archE4294967295ELNS1_3gpuE0ELNS1_3repE0EEENS1_36merge_oddeven_config_static_selectorELNS0_4arch9wavefront6targetE1EEEvSL_
	.p2align	8
	.type	_ZN7rocprim17ROCPRIM_400000_NS6detail17trampoline_kernelINS0_14default_configENS1_38merge_sort_block_merge_config_selectorIyNS0_10empty_typeEEEZZNS1_27merge_sort_block_merge_implIS3_N6thrust23THRUST_200600_302600_NS6detail15normal_iteratorINS9_10device_ptrIyEEEEPS5_jNS1_19radix_merge_compareILb0ELb0EyNS0_19identity_decomposerEEEEE10hipError_tT0_T1_T2_jT3_P12ihipStream_tbPNSt15iterator_traitsISK_E10value_typeEPNSQ_ISL_E10value_typeEPSM_NS1_7vsmem_tEENKUlT_SK_SL_SM_E_clISE_PySF_SF_EESJ_SZ_SK_SL_SM_EUlSZ_E1_NS1_11comp_targetILNS1_3genE0ELNS1_11target_archE4294967295ELNS1_3gpuE0ELNS1_3repE0EEENS1_36merge_oddeven_config_static_selectorELNS0_4arch9wavefront6targetE1EEEvSL_,@function
_ZN7rocprim17ROCPRIM_400000_NS6detail17trampoline_kernelINS0_14default_configENS1_38merge_sort_block_merge_config_selectorIyNS0_10empty_typeEEEZZNS1_27merge_sort_block_merge_implIS3_N6thrust23THRUST_200600_302600_NS6detail15normal_iteratorINS9_10device_ptrIyEEEEPS5_jNS1_19radix_merge_compareILb0ELb0EyNS0_19identity_decomposerEEEEE10hipError_tT0_T1_T2_jT3_P12ihipStream_tbPNSt15iterator_traitsISK_E10value_typeEPNSQ_ISL_E10value_typeEPSM_NS1_7vsmem_tEENKUlT_SK_SL_SM_E_clISE_PySF_SF_EESJ_SZ_SK_SL_SM_EUlSZ_E1_NS1_11comp_targetILNS1_3genE0ELNS1_11target_archE4294967295ELNS1_3gpuE0ELNS1_3repE0EEENS1_36merge_oddeven_config_static_selectorELNS0_4arch9wavefront6targetE1EEEvSL_: ; @_ZN7rocprim17ROCPRIM_400000_NS6detail17trampoline_kernelINS0_14default_configENS1_38merge_sort_block_merge_config_selectorIyNS0_10empty_typeEEEZZNS1_27merge_sort_block_merge_implIS3_N6thrust23THRUST_200600_302600_NS6detail15normal_iteratorINS9_10device_ptrIyEEEEPS5_jNS1_19radix_merge_compareILb0ELb0EyNS0_19identity_decomposerEEEEE10hipError_tT0_T1_T2_jT3_P12ihipStream_tbPNSt15iterator_traitsISK_E10value_typeEPNSQ_ISL_E10value_typeEPSM_NS1_7vsmem_tEENKUlT_SK_SL_SM_E_clISE_PySF_SF_EESJ_SZ_SK_SL_SM_EUlSZ_E1_NS1_11comp_targetILNS1_3genE0ELNS1_11target_archE4294967295ELNS1_3gpuE0ELNS1_3repE0EEENS1_36merge_oddeven_config_static_selectorELNS0_4arch9wavefront6targetE1EEEvSL_
; %bb.0:
	.section	.rodata,"a",@progbits
	.p2align	6, 0x0
	.amdhsa_kernel _ZN7rocprim17ROCPRIM_400000_NS6detail17trampoline_kernelINS0_14default_configENS1_38merge_sort_block_merge_config_selectorIyNS0_10empty_typeEEEZZNS1_27merge_sort_block_merge_implIS3_N6thrust23THRUST_200600_302600_NS6detail15normal_iteratorINS9_10device_ptrIyEEEEPS5_jNS1_19radix_merge_compareILb0ELb0EyNS0_19identity_decomposerEEEEE10hipError_tT0_T1_T2_jT3_P12ihipStream_tbPNSt15iterator_traitsISK_E10value_typeEPNSQ_ISL_E10value_typeEPSM_NS1_7vsmem_tEENKUlT_SK_SL_SM_E_clISE_PySF_SF_EESJ_SZ_SK_SL_SM_EUlSZ_E1_NS1_11comp_targetILNS1_3genE0ELNS1_11target_archE4294967295ELNS1_3gpuE0ELNS1_3repE0EEENS1_36merge_oddeven_config_static_selectorELNS0_4arch9wavefront6targetE1EEEvSL_
		.amdhsa_group_segment_fixed_size 0
		.amdhsa_private_segment_fixed_size 0
		.amdhsa_kernarg_size 48
		.amdhsa_user_sgpr_count 6
		.amdhsa_user_sgpr_private_segment_buffer 1
		.amdhsa_user_sgpr_dispatch_ptr 0
		.amdhsa_user_sgpr_queue_ptr 0
		.amdhsa_user_sgpr_kernarg_segment_ptr 1
		.amdhsa_user_sgpr_dispatch_id 0
		.amdhsa_user_sgpr_flat_scratch_init 0
		.amdhsa_user_sgpr_kernarg_preload_length 0
		.amdhsa_user_sgpr_kernarg_preload_offset 0
		.amdhsa_user_sgpr_private_segment_size 0
		.amdhsa_uses_dynamic_stack 0
		.amdhsa_system_sgpr_private_segment_wavefront_offset 0
		.amdhsa_system_sgpr_workgroup_id_x 1
		.amdhsa_system_sgpr_workgroup_id_y 0
		.amdhsa_system_sgpr_workgroup_id_z 0
		.amdhsa_system_sgpr_workgroup_info 0
		.amdhsa_system_vgpr_workitem_id 0
		.amdhsa_next_free_vgpr 1
		.amdhsa_next_free_sgpr 0
		.amdhsa_accum_offset 4
		.amdhsa_reserve_vcc 0
		.amdhsa_reserve_flat_scratch 0
		.amdhsa_float_round_mode_32 0
		.amdhsa_float_round_mode_16_64 0
		.amdhsa_float_denorm_mode_32 3
		.amdhsa_float_denorm_mode_16_64 3
		.amdhsa_dx10_clamp 1
		.amdhsa_ieee_mode 1
		.amdhsa_fp16_overflow 0
		.amdhsa_tg_split 0
		.amdhsa_exception_fp_ieee_invalid_op 0
		.amdhsa_exception_fp_denorm_src 0
		.amdhsa_exception_fp_ieee_div_zero 0
		.amdhsa_exception_fp_ieee_overflow 0
		.amdhsa_exception_fp_ieee_underflow 0
		.amdhsa_exception_fp_ieee_inexact 0
		.amdhsa_exception_int_div_zero 0
	.end_amdhsa_kernel
	.section	.text._ZN7rocprim17ROCPRIM_400000_NS6detail17trampoline_kernelINS0_14default_configENS1_38merge_sort_block_merge_config_selectorIyNS0_10empty_typeEEEZZNS1_27merge_sort_block_merge_implIS3_N6thrust23THRUST_200600_302600_NS6detail15normal_iteratorINS9_10device_ptrIyEEEEPS5_jNS1_19radix_merge_compareILb0ELb0EyNS0_19identity_decomposerEEEEE10hipError_tT0_T1_T2_jT3_P12ihipStream_tbPNSt15iterator_traitsISK_E10value_typeEPNSQ_ISL_E10value_typeEPSM_NS1_7vsmem_tEENKUlT_SK_SL_SM_E_clISE_PySF_SF_EESJ_SZ_SK_SL_SM_EUlSZ_E1_NS1_11comp_targetILNS1_3genE0ELNS1_11target_archE4294967295ELNS1_3gpuE0ELNS1_3repE0EEENS1_36merge_oddeven_config_static_selectorELNS0_4arch9wavefront6targetE1EEEvSL_,"axG",@progbits,_ZN7rocprim17ROCPRIM_400000_NS6detail17trampoline_kernelINS0_14default_configENS1_38merge_sort_block_merge_config_selectorIyNS0_10empty_typeEEEZZNS1_27merge_sort_block_merge_implIS3_N6thrust23THRUST_200600_302600_NS6detail15normal_iteratorINS9_10device_ptrIyEEEEPS5_jNS1_19radix_merge_compareILb0ELb0EyNS0_19identity_decomposerEEEEE10hipError_tT0_T1_T2_jT3_P12ihipStream_tbPNSt15iterator_traitsISK_E10value_typeEPNSQ_ISL_E10value_typeEPSM_NS1_7vsmem_tEENKUlT_SK_SL_SM_E_clISE_PySF_SF_EESJ_SZ_SK_SL_SM_EUlSZ_E1_NS1_11comp_targetILNS1_3genE0ELNS1_11target_archE4294967295ELNS1_3gpuE0ELNS1_3repE0EEENS1_36merge_oddeven_config_static_selectorELNS0_4arch9wavefront6targetE1EEEvSL_,comdat
.Lfunc_end764:
	.size	_ZN7rocprim17ROCPRIM_400000_NS6detail17trampoline_kernelINS0_14default_configENS1_38merge_sort_block_merge_config_selectorIyNS0_10empty_typeEEEZZNS1_27merge_sort_block_merge_implIS3_N6thrust23THRUST_200600_302600_NS6detail15normal_iteratorINS9_10device_ptrIyEEEEPS5_jNS1_19radix_merge_compareILb0ELb0EyNS0_19identity_decomposerEEEEE10hipError_tT0_T1_T2_jT3_P12ihipStream_tbPNSt15iterator_traitsISK_E10value_typeEPNSQ_ISL_E10value_typeEPSM_NS1_7vsmem_tEENKUlT_SK_SL_SM_E_clISE_PySF_SF_EESJ_SZ_SK_SL_SM_EUlSZ_E1_NS1_11comp_targetILNS1_3genE0ELNS1_11target_archE4294967295ELNS1_3gpuE0ELNS1_3repE0EEENS1_36merge_oddeven_config_static_selectorELNS0_4arch9wavefront6targetE1EEEvSL_, .Lfunc_end764-_ZN7rocprim17ROCPRIM_400000_NS6detail17trampoline_kernelINS0_14default_configENS1_38merge_sort_block_merge_config_selectorIyNS0_10empty_typeEEEZZNS1_27merge_sort_block_merge_implIS3_N6thrust23THRUST_200600_302600_NS6detail15normal_iteratorINS9_10device_ptrIyEEEEPS5_jNS1_19radix_merge_compareILb0ELb0EyNS0_19identity_decomposerEEEEE10hipError_tT0_T1_T2_jT3_P12ihipStream_tbPNSt15iterator_traitsISK_E10value_typeEPNSQ_ISL_E10value_typeEPSM_NS1_7vsmem_tEENKUlT_SK_SL_SM_E_clISE_PySF_SF_EESJ_SZ_SK_SL_SM_EUlSZ_E1_NS1_11comp_targetILNS1_3genE0ELNS1_11target_archE4294967295ELNS1_3gpuE0ELNS1_3repE0EEENS1_36merge_oddeven_config_static_selectorELNS0_4arch9wavefront6targetE1EEEvSL_
                                        ; -- End function
	.section	.AMDGPU.csdata,"",@progbits
; Kernel info:
; codeLenInByte = 0
; NumSgprs: 4
; NumVgprs: 0
; NumAgprs: 0
; TotalNumVgprs: 0
; ScratchSize: 0
; MemoryBound: 0
; FloatMode: 240
; IeeeMode: 1
; LDSByteSize: 0 bytes/workgroup (compile time only)
; SGPRBlocks: 0
; VGPRBlocks: 0
; NumSGPRsForWavesPerEU: 4
; NumVGPRsForWavesPerEU: 1
; AccumOffset: 4
; Occupancy: 8
; WaveLimiterHint : 0
; COMPUTE_PGM_RSRC2:SCRATCH_EN: 0
; COMPUTE_PGM_RSRC2:USER_SGPR: 6
; COMPUTE_PGM_RSRC2:TRAP_HANDLER: 0
; COMPUTE_PGM_RSRC2:TGID_X_EN: 1
; COMPUTE_PGM_RSRC2:TGID_Y_EN: 0
; COMPUTE_PGM_RSRC2:TGID_Z_EN: 0
; COMPUTE_PGM_RSRC2:TIDIG_COMP_CNT: 0
; COMPUTE_PGM_RSRC3_GFX90A:ACCUM_OFFSET: 0
; COMPUTE_PGM_RSRC3_GFX90A:TG_SPLIT: 0
	.section	.text._ZN7rocprim17ROCPRIM_400000_NS6detail17trampoline_kernelINS0_14default_configENS1_38merge_sort_block_merge_config_selectorIyNS0_10empty_typeEEEZZNS1_27merge_sort_block_merge_implIS3_N6thrust23THRUST_200600_302600_NS6detail15normal_iteratorINS9_10device_ptrIyEEEEPS5_jNS1_19radix_merge_compareILb0ELb0EyNS0_19identity_decomposerEEEEE10hipError_tT0_T1_T2_jT3_P12ihipStream_tbPNSt15iterator_traitsISK_E10value_typeEPNSQ_ISL_E10value_typeEPSM_NS1_7vsmem_tEENKUlT_SK_SL_SM_E_clISE_PySF_SF_EESJ_SZ_SK_SL_SM_EUlSZ_E1_NS1_11comp_targetILNS1_3genE10ELNS1_11target_archE1201ELNS1_3gpuE5ELNS1_3repE0EEENS1_36merge_oddeven_config_static_selectorELNS0_4arch9wavefront6targetE1EEEvSL_,"axG",@progbits,_ZN7rocprim17ROCPRIM_400000_NS6detail17trampoline_kernelINS0_14default_configENS1_38merge_sort_block_merge_config_selectorIyNS0_10empty_typeEEEZZNS1_27merge_sort_block_merge_implIS3_N6thrust23THRUST_200600_302600_NS6detail15normal_iteratorINS9_10device_ptrIyEEEEPS5_jNS1_19radix_merge_compareILb0ELb0EyNS0_19identity_decomposerEEEEE10hipError_tT0_T1_T2_jT3_P12ihipStream_tbPNSt15iterator_traitsISK_E10value_typeEPNSQ_ISL_E10value_typeEPSM_NS1_7vsmem_tEENKUlT_SK_SL_SM_E_clISE_PySF_SF_EESJ_SZ_SK_SL_SM_EUlSZ_E1_NS1_11comp_targetILNS1_3genE10ELNS1_11target_archE1201ELNS1_3gpuE5ELNS1_3repE0EEENS1_36merge_oddeven_config_static_selectorELNS0_4arch9wavefront6targetE1EEEvSL_,comdat
	.protected	_ZN7rocprim17ROCPRIM_400000_NS6detail17trampoline_kernelINS0_14default_configENS1_38merge_sort_block_merge_config_selectorIyNS0_10empty_typeEEEZZNS1_27merge_sort_block_merge_implIS3_N6thrust23THRUST_200600_302600_NS6detail15normal_iteratorINS9_10device_ptrIyEEEEPS5_jNS1_19radix_merge_compareILb0ELb0EyNS0_19identity_decomposerEEEEE10hipError_tT0_T1_T2_jT3_P12ihipStream_tbPNSt15iterator_traitsISK_E10value_typeEPNSQ_ISL_E10value_typeEPSM_NS1_7vsmem_tEENKUlT_SK_SL_SM_E_clISE_PySF_SF_EESJ_SZ_SK_SL_SM_EUlSZ_E1_NS1_11comp_targetILNS1_3genE10ELNS1_11target_archE1201ELNS1_3gpuE5ELNS1_3repE0EEENS1_36merge_oddeven_config_static_selectorELNS0_4arch9wavefront6targetE1EEEvSL_ ; -- Begin function _ZN7rocprim17ROCPRIM_400000_NS6detail17trampoline_kernelINS0_14default_configENS1_38merge_sort_block_merge_config_selectorIyNS0_10empty_typeEEEZZNS1_27merge_sort_block_merge_implIS3_N6thrust23THRUST_200600_302600_NS6detail15normal_iteratorINS9_10device_ptrIyEEEEPS5_jNS1_19radix_merge_compareILb0ELb0EyNS0_19identity_decomposerEEEEE10hipError_tT0_T1_T2_jT3_P12ihipStream_tbPNSt15iterator_traitsISK_E10value_typeEPNSQ_ISL_E10value_typeEPSM_NS1_7vsmem_tEENKUlT_SK_SL_SM_E_clISE_PySF_SF_EESJ_SZ_SK_SL_SM_EUlSZ_E1_NS1_11comp_targetILNS1_3genE10ELNS1_11target_archE1201ELNS1_3gpuE5ELNS1_3repE0EEENS1_36merge_oddeven_config_static_selectorELNS0_4arch9wavefront6targetE1EEEvSL_
	.globl	_ZN7rocprim17ROCPRIM_400000_NS6detail17trampoline_kernelINS0_14default_configENS1_38merge_sort_block_merge_config_selectorIyNS0_10empty_typeEEEZZNS1_27merge_sort_block_merge_implIS3_N6thrust23THRUST_200600_302600_NS6detail15normal_iteratorINS9_10device_ptrIyEEEEPS5_jNS1_19radix_merge_compareILb0ELb0EyNS0_19identity_decomposerEEEEE10hipError_tT0_T1_T2_jT3_P12ihipStream_tbPNSt15iterator_traitsISK_E10value_typeEPNSQ_ISL_E10value_typeEPSM_NS1_7vsmem_tEENKUlT_SK_SL_SM_E_clISE_PySF_SF_EESJ_SZ_SK_SL_SM_EUlSZ_E1_NS1_11comp_targetILNS1_3genE10ELNS1_11target_archE1201ELNS1_3gpuE5ELNS1_3repE0EEENS1_36merge_oddeven_config_static_selectorELNS0_4arch9wavefront6targetE1EEEvSL_
	.p2align	8
	.type	_ZN7rocprim17ROCPRIM_400000_NS6detail17trampoline_kernelINS0_14default_configENS1_38merge_sort_block_merge_config_selectorIyNS0_10empty_typeEEEZZNS1_27merge_sort_block_merge_implIS3_N6thrust23THRUST_200600_302600_NS6detail15normal_iteratorINS9_10device_ptrIyEEEEPS5_jNS1_19radix_merge_compareILb0ELb0EyNS0_19identity_decomposerEEEEE10hipError_tT0_T1_T2_jT3_P12ihipStream_tbPNSt15iterator_traitsISK_E10value_typeEPNSQ_ISL_E10value_typeEPSM_NS1_7vsmem_tEENKUlT_SK_SL_SM_E_clISE_PySF_SF_EESJ_SZ_SK_SL_SM_EUlSZ_E1_NS1_11comp_targetILNS1_3genE10ELNS1_11target_archE1201ELNS1_3gpuE5ELNS1_3repE0EEENS1_36merge_oddeven_config_static_selectorELNS0_4arch9wavefront6targetE1EEEvSL_,@function
_ZN7rocprim17ROCPRIM_400000_NS6detail17trampoline_kernelINS0_14default_configENS1_38merge_sort_block_merge_config_selectorIyNS0_10empty_typeEEEZZNS1_27merge_sort_block_merge_implIS3_N6thrust23THRUST_200600_302600_NS6detail15normal_iteratorINS9_10device_ptrIyEEEEPS5_jNS1_19radix_merge_compareILb0ELb0EyNS0_19identity_decomposerEEEEE10hipError_tT0_T1_T2_jT3_P12ihipStream_tbPNSt15iterator_traitsISK_E10value_typeEPNSQ_ISL_E10value_typeEPSM_NS1_7vsmem_tEENKUlT_SK_SL_SM_E_clISE_PySF_SF_EESJ_SZ_SK_SL_SM_EUlSZ_E1_NS1_11comp_targetILNS1_3genE10ELNS1_11target_archE1201ELNS1_3gpuE5ELNS1_3repE0EEENS1_36merge_oddeven_config_static_selectorELNS0_4arch9wavefront6targetE1EEEvSL_: ; @_ZN7rocprim17ROCPRIM_400000_NS6detail17trampoline_kernelINS0_14default_configENS1_38merge_sort_block_merge_config_selectorIyNS0_10empty_typeEEEZZNS1_27merge_sort_block_merge_implIS3_N6thrust23THRUST_200600_302600_NS6detail15normal_iteratorINS9_10device_ptrIyEEEEPS5_jNS1_19radix_merge_compareILb0ELb0EyNS0_19identity_decomposerEEEEE10hipError_tT0_T1_T2_jT3_P12ihipStream_tbPNSt15iterator_traitsISK_E10value_typeEPNSQ_ISL_E10value_typeEPSM_NS1_7vsmem_tEENKUlT_SK_SL_SM_E_clISE_PySF_SF_EESJ_SZ_SK_SL_SM_EUlSZ_E1_NS1_11comp_targetILNS1_3genE10ELNS1_11target_archE1201ELNS1_3gpuE5ELNS1_3repE0EEENS1_36merge_oddeven_config_static_selectorELNS0_4arch9wavefront6targetE1EEEvSL_
; %bb.0:
	.section	.rodata,"a",@progbits
	.p2align	6, 0x0
	.amdhsa_kernel _ZN7rocprim17ROCPRIM_400000_NS6detail17trampoline_kernelINS0_14default_configENS1_38merge_sort_block_merge_config_selectorIyNS0_10empty_typeEEEZZNS1_27merge_sort_block_merge_implIS3_N6thrust23THRUST_200600_302600_NS6detail15normal_iteratorINS9_10device_ptrIyEEEEPS5_jNS1_19radix_merge_compareILb0ELb0EyNS0_19identity_decomposerEEEEE10hipError_tT0_T1_T2_jT3_P12ihipStream_tbPNSt15iterator_traitsISK_E10value_typeEPNSQ_ISL_E10value_typeEPSM_NS1_7vsmem_tEENKUlT_SK_SL_SM_E_clISE_PySF_SF_EESJ_SZ_SK_SL_SM_EUlSZ_E1_NS1_11comp_targetILNS1_3genE10ELNS1_11target_archE1201ELNS1_3gpuE5ELNS1_3repE0EEENS1_36merge_oddeven_config_static_selectorELNS0_4arch9wavefront6targetE1EEEvSL_
		.amdhsa_group_segment_fixed_size 0
		.amdhsa_private_segment_fixed_size 0
		.amdhsa_kernarg_size 48
		.amdhsa_user_sgpr_count 6
		.amdhsa_user_sgpr_private_segment_buffer 1
		.amdhsa_user_sgpr_dispatch_ptr 0
		.amdhsa_user_sgpr_queue_ptr 0
		.amdhsa_user_sgpr_kernarg_segment_ptr 1
		.amdhsa_user_sgpr_dispatch_id 0
		.amdhsa_user_sgpr_flat_scratch_init 0
		.amdhsa_user_sgpr_kernarg_preload_length 0
		.amdhsa_user_sgpr_kernarg_preload_offset 0
		.amdhsa_user_sgpr_private_segment_size 0
		.amdhsa_uses_dynamic_stack 0
		.amdhsa_system_sgpr_private_segment_wavefront_offset 0
		.amdhsa_system_sgpr_workgroup_id_x 1
		.amdhsa_system_sgpr_workgroup_id_y 0
		.amdhsa_system_sgpr_workgroup_id_z 0
		.amdhsa_system_sgpr_workgroup_info 0
		.amdhsa_system_vgpr_workitem_id 0
		.amdhsa_next_free_vgpr 1
		.amdhsa_next_free_sgpr 0
		.amdhsa_accum_offset 4
		.amdhsa_reserve_vcc 0
		.amdhsa_reserve_flat_scratch 0
		.amdhsa_float_round_mode_32 0
		.amdhsa_float_round_mode_16_64 0
		.amdhsa_float_denorm_mode_32 3
		.amdhsa_float_denorm_mode_16_64 3
		.amdhsa_dx10_clamp 1
		.amdhsa_ieee_mode 1
		.amdhsa_fp16_overflow 0
		.amdhsa_tg_split 0
		.amdhsa_exception_fp_ieee_invalid_op 0
		.amdhsa_exception_fp_denorm_src 0
		.amdhsa_exception_fp_ieee_div_zero 0
		.amdhsa_exception_fp_ieee_overflow 0
		.amdhsa_exception_fp_ieee_underflow 0
		.amdhsa_exception_fp_ieee_inexact 0
		.amdhsa_exception_int_div_zero 0
	.end_amdhsa_kernel
	.section	.text._ZN7rocprim17ROCPRIM_400000_NS6detail17trampoline_kernelINS0_14default_configENS1_38merge_sort_block_merge_config_selectorIyNS0_10empty_typeEEEZZNS1_27merge_sort_block_merge_implIS3_N6thrust23THRUST_200600_302600_NS6detail15normal_iteratorINS9_10device_ptrIyEEEEPS5_jNS1_19radix_merge_compareILb0ELb0EyNS0_19identity_decomposerEEEEE10hipError_tT0_T1_T2_jT3_P12ihipStream_tbPNSt15iterator_traitsISK_E10value_typeEPNSQ_ISL_E10value_typeEPSM_NS1_7vsmem_tEENKUlT_SK_SL_SM_E_clISE_PySF_SF_EESJ_SZ_SK_SL_SM_EUlSZ_E1_NS1_11comp_targetILNS1_3genE10ELNS1_11target_archE1201ELNS1_3gpuE5ELNS1_3repE0EEENS1_36merge_oddeven_config_static_selectorELNS0_4arch9wavefront6targetE1EEEvSL_,"axG",@progbits,_ZN7rocprim17ROCPRIM_400000_NS6detail17trampoline_kernelINS0_14default_configENS1_38merge_sort_block_merge_config_selectorIyNS0_10empty_typeEEEZZNS1_27merge_sort_block_merge_implIS3_N6thrust23THRUST_200600_302600_NS6detail15normal_iteratorINS9_10device_ptrIyEEEEPS5_jNS1_19radix_merge_compareILb0ELb0EyNS0_19identity_decomposerEEEEE10hipError_tT0_T1_T2_jT3_P12ihipStream_tbPNSt15iterator_traitsISK_E10value_typeEPNSQ_ISL_E10value_typeEPSM_NS1_7vsmem_tEENKUlT_SK_SL_SM_E_clISE_PySF_SF_EESJ_SZ_SK_SL_SM_EUlSZ_E1_NS1_11comp_targetILNS1_3genE10ELNS1_11target_archE1201ELNS1_3gpuE5ELNS1_3repE0EEENS1_36merge_oddeven_config_static_selectorELNS0_4arch9wavefront6targetE1EEEvSL_,comdat
.Lfunc_end765:
	.size	_ZN7rocprim17ROCPRIM_400000_NS6detail17trampoline_kernelINS0_14default_configENS1_38merge_sort_block_merge_config_selectorIyNS0_10empty_typeEEEZZNS1_27merge_sort_block_merge_implIS3_N6thrust23THRUST_200600_302600_NS6detail15normal_iteratorINS9_10device_ptrIyEEEEPS5_jNS1_19radix_merge_compareILb0ELb0EyNS0_19identity_decomposerEEEEE10hipError_tT0_T1_T2_jT3_P12ihipStream_tbPNSt15iterator_traitsISK_E10value_typeEPNSQ_ISL_E10value_typeEPSM_NS1_7vsmem_tEENKUlT_SK_SL_SM_E_clISE_PySF_SF_EESJ_SZ_SK_SL_SM_EUlSZ_E1_NS1_11comp_targetILNS1_3genE10ELNS1_11target_archE1201ELNS1_3gpuE5ELNS1_3repE0EEENS1_36merge_oddeven_config_static_selectorELNS0_4arch9wavefront6targetE1EEEvSL_, .Lfunc_end765-_ZN7rocprim17ROCPRIM_400000_NS6detail17trampoline_kernelINS0_14default_configENS1_38merge_sort_block_merge_config_selectorIyNS0_10empty_typeEEEZZNS1_27merge_sort_block_merge_implIS3_N6thrust23THRUST_200600_302600_NS6detail15normal_iteratorINS9_10device_ptrIyEEEEPS5_jNS1_19radix_merge_compareILb0ELb0EyNS0_19identity_decomposerEEEEE10hipError_tT0_T1_T2_jT3_P12ihipStream_tbPNSt15iterator_traitsISK_E10value_typeEPNSQ_ISL_E10value_typeEPSM_NS1_7vsmem_tEENKUlT_SK_SL_SM_E_clISE_PySF_SF_EESJ_SZ_SK_SL_SM_EUlSZ_E1_NS1_11comp_targetILNS1_3genE10ELNS1_11target_archE1201ELNS1_3gpuE5ELNS1_3repE0EEENS1_36merge_oddeven_config_static_selectorELNS0_4arch9wavefront6targetE1EEEvSL_
                                        ; -- End function
	.section	.AMDGPU.csdata,"",@progbits
; Kernel info:
; codeLenInByte = 0
; NumSgprs: 4
; NumVgprs: 0
; NumAgprs: 0
; TotalNumVgprs: 0
; ScratchSize: 0
; MemoryBound: 0
; FloatMode: 240
; IeeeMode: 1
; LDSByteSize: 0 bytes/workgroup (compile time only)
; SGPRBlocks: 0
; VGPRBlocks: 0
; NumSGPRsForWavesPerEU: 4
; NumVGPRsForWavesPerEU: 1
; AccumOffset: 4
; Occupancy: 8
; WaveLimiterHint : 0
; COMPUTE_PGM_RSRC2:SCRATCH_EN: 0
; COMPUTE_PGM_RSRC2:USER_SGPR: 6
; COMPUTE_PGM_RSRC2:TRAP_HANDLER: 0
; COMPUTE_PGM_RSRC2:TGID_X_EN: 1
; COMPUTE_PGM_RSRC2:TGID_Y_EN: 0
; COMPUTE_PGM_RSRC2:TGID_Z_EN: 0
; COMPUTE_PGM_RSRC2:TIDIG_COMP_CNT: 0
; COMPUTE_PGM_RSRC3_GFX90A:ACCUM_OFFSET: 0
; COMPUTE_PGM_RSRC3_GFX90A:TG_SPLIT: 0
	.section	.text._ZN7rocprim17ROCPRIM_400000_NS6detail17trampoline_kernelINS0_14default_configENS1_38merge_sort_block_merge_config_selectorIyNS0_10empty_typeEEEZZNS1_27merge_sort_block_merge_implIS3_N6thrust23THRUST_200600_302600_NS6detail15normal_iteratorINS9_10device_ptrIyEEEEPS5_jNS1_19radix_merge_compareILb0ELb0EyNS0_19identity_decomposerEEEEE10hipError_tT0_T1_T2_jT3_P12ihipStream_tbPNSt15iterator_traitsISK_E10value_typeEPNSQ_ISL_E10value_typeEPSM_NS1_7vsmem_tEENKUlT_SK_SL_SM_E_clISE_PySF_SF_EESJ_SZ_SK_SL_SM_EUlSZ_E1_NS1_11comp_targetILNS1_3genE5ELNS1_11target_archE942ELNS1_3gpuE9ELNS1_3repE0EEENS1_36merge_oddeven_config_static_selectorELNS0_4arch9wavefront6targetE1EEEvSL_,"axG",@progbits,_ZN7rocprim17ROCPRIM_400000_NS6detail17trampoline_kernelINS0_14default_configENS1_38merge_sort_block_merge_config_selectorIyNS0_10empty_typeEEEZZNS1_27merge_sort_block_merge_implIS3_N6thrust23THRUST_200600_302600_NS6detail15normal_iteratorINS9_10device_ptrIyEEEEPS5_jNS1_19radix_merge_compareILb0ELb0EyNS0_19identity_decomposerEEEEE10hipError_tT0_T1_T2_jT3_P12ihipStream_tbPNSt15iterator_traitsISK_E10value_typeEPNSQ_ISL_E10value_typeEPSM_NS1_7vsmem_tEENKUlT_SK_SL_SM_E_clISE_PySF_SF_EESJ_SZ_SK_SL_SM_EUlSZ_E1_NS1_11comp_targetILNS1_3genE5ELNS1_11target_archE942ELNS1_3gpuE9ELNS1_3repE0EEENS1_36merge_oddeven_config_static_selectorELNS0_4arch9wavefront6targetE1EEEvSL_,comdat
	.protected	_ZN7rocprim17ROCPRIM_400000_NS6detail17trampoline_kernelINS0_14default_configENS1_38merge_sort_block_merge_config_selectorIyNS0_10empty_typeEEEZZNS1_27merge_sort_block_merge_implIS3_N6thrust23THRUST_200600_302600_NS6detail15normal_iteratorINS9_10device_ptrIyEEEEPS5_jNS1_19radix_merge_compareILb0ELb0EyNS0_19identity_decomposerEEEEE10hipError_tT0_T1_T2_jT3_P12ihipStream_tbPNSt15iterator_traitsISK_E10value_typeEPNSQ_ISL_E10value_typeEPSM_NS1_7vsmem_tEENKUlT_SK_SL_SM_E_clISE_PySF_SF_EESJ_SZ_SK_SL_SM_EUlSZ_E1_NS1_11comp_targetILNS1_3genE5ELNS1_11target_archE942ELNS1_3gpuE9ELNS1_3repE0EEENS1_36merge_oddeven_config_static_selectorELNS0_4arch9wavefront6targetE1EEEvSL_ ; -- Begin function _ZN7rocprim17ROCPRIM_400000_NS6detail17trampoline_kernelINS0_14default_configENS1_38merge_sort_block_merge_config_selectorIyNS0_10empty_typeEEEZZNS1_27merge_sort_block_merge_implIS3_N6thrust23THRUST_200600_302600_NS6detail15normal_iteratorINS9_10device_ptrIyEEEEPS5_jNS1_19radix_merge_compareILb0ELb0EyNS0_19identity_decomposerEEEEE10hipError_tT0_T1_T2_jT3_P12ihipStream_tbPNSt15iterator_traitsISK_E10value_typeEPNSQ_ISL_E10value_typeEPSM_NS1_7vsmem_tEENKUlT_SK_SL_SM_E_clISE_PySF_SF_EESJ_SZ_SK_SL_SM_EUlSZ_E1_NS1_11comp_targetILNS1_3genE5ELNS1_11target_archE942ELNS1_3gpuE9ELNS1_3repE0EEENS1_36merge_oddeven_config_static_selectorELNS0_4arch9wavefront6targetE1EEEvSL_
	.globl	_ZN7rocprim17ROCPRIM_400000_NS6detail17trampoline_kernelINS0_14default_configENS1_38merge_sort_block_merge_config_selectorIyNS0_10empty_typeEEEZZNS1_27merge_sort_block_merge_implIS3_N6thrust23THRUST_200600_302600_NS6detail15normal_iteratorINS9_10device_ptrIyEEEEPS5_jNS1_19radix_merge_compareILb0ELb0EyNS0_19identity_decomposerEEEEE10hipError_tT0_T1_T2_jT3_P12ihipStream_tbPNSt15iterator_traitsISK_E10value_typeEPNSQ_ISL_E10value_typeEPSM_NS1_7vsmem_tEENKUlT_SK_SL_SM_E_clISE_PySF_SF_EESJ_SZ_SK_SL_SM_EUlSZ_E1_NS1_11comp_targetILNS1_3genE5ELNS1_11target_archE942ELNS1_3gpuE9ELNS1_3repE0EEENS1_36merge_oddeven_config_static_selectorELNS0_4arch9wavefront6targetE1EEEvSL_
	.p2align	8
	.type	_ZN7rocprim17ROCPRIM_400000_NS6detail17trampoline_kernelINS0_14default_configENS1_38merge_sort_block_merge_config_selectorIyNS0_10empty_typeEEEZZNS1_27merge_sort_block_merge_implIS3_N6thrust23THRUST_200600_302600_NS6detail15normal_iteratorINS9_10device_ptrIyEEEEPS5_jNS1_19radix_merge_compareILb0ELb0EyNS0_19identity_decomposerEEEEE10hipError_tT0_T1_T2_jT3_P12ihipStream_tbPNSt15iterator_traitsISK_E10value_typeEPNSQ_ISL_E10value_typeEPSM_NS1_7vsmem_tEENKUlT_SK_SL_SM_E_clISE_PySF_SF_EESJ_SZ_SK_SL_SM_EUlSZ_E1_NS1_11comp_targetILNS1_3genE5ELNS1_11target_archE942ELNS1_3gpuE9ELNS1_3repE0EEENS1_36merge_oddeven_config_static_selectorELNS0_4arch9wavefront6targetE1EEEvSL_,@function
_ZN7rocprim17ROCPRIM_400000_NS6detail17trampoline_kernelINS0_14default_configENS1_38merge_sort_block_merge_config_selectorIyNS0_10empty_typeEEEZZNS1_27merge_sort_block_merge_implIS3_N6thrust23THRUST_200600_302600_NS6detail15normal_iteratorINS9_10device_ptrIyEEEEPS5_jNS1_19radix_merge_compareILb0ELb0EyNS0_19identity_decomposerEEEEE10hipError_tT0_T1_T2_jT3_P12ihipStream_tbPNSt15iterator_traitsISK_E10value_typeEPNSQ_ISL_E10value_typeEPSM_NS1_7vsmem_tEENKUlT_SK_SL_SM_E_clISE_PySF_SF_EESJ_SZ_SK_SL_SM_EUlSZ_E1_NS1_11comp_targetILNS1_3genE5ELNS1_11target_archE942ELNS1_3gpuE9ELNS1_3repE0EEENS1_36merge_oddeven_config_static_selectorELNS0_4arch9wavefront6targetE1EEEvSL_: ; @_ZN7rocprim17ROCPRIM_400000_NS6detail17trampoline_kernelINS0_14default_configENS1_38merge_sort_block_merge_config_selectorIyNS0_10empty_typeEEEZZNS1_27merge_sort_block_merge_implIS3_N6thrust23THRUST_200600_302600_NS6detail15normal_iteratorINS9_10device_ptrIyEEEEPS5_jNS1_19radix_merge_compareILb0ELb0EyNS0_19identity_decomposerEEEEE10hipError_tT0_T1_T2_jT3_P12ihipStream_tbPNSt15iterator_traitsISK_E10value_typeEPNSQ_ISL_E10value_typeEPSM_NS1_7vsmem_tEENKUlT_SK_SL_SM_E_clISE_PySF_SF_EESJ_SZ_SK_SL_SM_EUlSZ_E1_NS1_11comp_targetILNS1_3genE5ELNS1_11target_archE942ELNS1_3gpuE9ELNS1_3repE0EEENS1_36merge_oddeven_config_static_selectorELNS0_4arch9wavefront6targetE1EEEvSL_
; %bb.0:
	.section	.rodata,"a",@progbits
	.p2align	6, 0x0
	.amdhsa_kernel _ZN7rocprim17ROCPRIM_400000_NS6detail17trampoline_kernelINS0_14default_configENS1_38merge_sort_block_merge_config_selectorIyNS0_10empty_typeEEEZZNS1_27merge_sort_block_merge_implIS3_N6thrust23THRUST_200600_302600_NS6detail15normal_iteratorINS9_10device_ptrIyEEEEPS5_jNS1_19radix_merge_compareILb0ELb0EyNS0_19identity_decomposerEEEEE10hipError_tT0_T1_T2_jT3_P12ihipStream_tbPNSt15iterator_traitsISK_E10value_typeEPNSQ_ISL_E10value_typeEPSM_NS1_7vsmem_tEENKUlT_SK_SL_SM_E_clISE_PySF_SF_EESJ_SZ_SK_SL_SM_EUlSZ_E1_NS1_11comp_targetILNS1_3genE5ELNS1_11target_archE942ELNS1_3gpuE9ELNS1_3repE0EEENS1_36merge_oddeven_config_static_selectorELNS0_4arch9wavefront6targetE1EEEvSL_
		.amdhsa_group_segment_fixed_size 0
		.amdhsa_private_segment_fixed_size 0
		.amdhsa_kernarg_size 48
		.amdhsa_user_sgpr_count 6
		.amdhsa_user_sgpr_private_segment_buffer 1
		.amdhsa_user_sgpr_dispatch_ptr 0
		.amdhsa_user_sgpr_queue_ptr 0
		.amdhsa_user_sgpr_kernarg_segment_ptr 1
		.amdhsa_user_sgpr_dispatch_id 0
		.amdhsa_user_sgpr_flat_scratch_init 0
		.amdhsa_user_sgpr_kernarg_preload_length 0
		.amdhsa_user_sgpr_kernarg_preload_offset 0
		.amdhsa_user_sgpr_private_segment_size 0
		.amdhsa_uses_dynamic_stack 0
		.amdhsa_system_sgpr_private_segment_wavefront_offset 0
		.amdhsa_system_sgpr_workgroup_id_x 1
		.amdhsa_system_sgpr_workgroup_id_y 0
		.amdhsa_system_sgpr_workgroup_id_z 0
		.amdhsa_system_sgpr_workgroup_info 0
		.amdhsa_system_vgpr_workitem_id 0
		.amdhsa_next_free_vgpr 1
		.amdhsa_next_free_sgpr 0
		.amdhsa_accum_offset 4
		.amdhsa_reserve_vcc 0
		.amdhsa_reserve_flat_scratch 0
		.amdhsa_float_round_mode_32 0
		.amdhsa_float_round_mode_16_64 0
		.amdhsa_float_denorm_mode_32 3
		.amdhsa_float_denorm_mode_16_64 3
		.amdhsa_dx10_clamp 1
		.amdhsa_ieee_mode 1
		.amdhsa_fp16_overflow 0
		.amdhsa_tg_split 0
		.amdhsa_exception_fp_ieee_invalid_op 0
		.amdhsa_exception_fp_denorm_src 0
		.amdhsa_exception_fp_ieee_div_zero 0
		.amdhsa_exception_fp_ieee_overflow 0
		.amdhsa_exception_fp_ieee_underflow 0
		.amdhsa_exception_fp_ieee_inexact 0
		.amdhsa_exception_int_div_zero 0
	.end_amdhsa_kernel
	.section	.text._ZN7rocprim17ROCPRIM_400000_NS6detail17trampoline_kernelINS0_14default_configENS1_38merge_sort_block_merge_config_selectorIyNS0_10empty_typeEEEZZNS1_27merge_sort_block_merge_implIS3_N6thrust23THRUST_200600_302600_NS6detail15normal_iteratorINS9_10device_ptrIyEEEEPS5_jNS1_19radix_merge_compareILb0ELb0EyNS0_19identity_decomposerEEEEE10hipError_tT0_T1_T2_jT3_P12ihipStream_tbPNSt15iterator_traitsISK_E10value_typeEPNSQ_ISL_E10value_typeEPSM_NS1_7vsmem_tEENKUlT_SK_SL_SM_E_clISE_PySF_SF_EESJ_SZ_SK_SL_SM_EUlSZ_E1_NS1_11comp_targetILNS1_3genE5ELNS1_11target_archE942ELNS1_3gpuE9ELNS1_3repE0EEENS1_36merge_oddeven_config_static_selectorELNS0_4arch9wavefront6targetE1EEEvSL_,"axG",@progbits,_ZN7rocprim17ROCPRIM_400000_NS6detail17trampoline_kernelINS0_14default_configENS1_38merge_sort_block_merge_config_selectorIyNS0_10empty_typeEEEZZNS1_27merge_sort_block_merge_implIS3_N6thrust23THRUST_200600_302600_NS6detail15normal_iteratorINS9_10device_ptrIyEEEEPS5_jNS1_19radix_merge_compareILb0ELb0EyNS0_19identity_decomposerEEEEE10hipError_tT0_T1_T2_jT3_P12ihipStream_tbPNSt15iterator_traitsISK_E10value_typeEPNSQ_ISL_E10value_typeEPSM_NS1_7vsmem_tEENKUlT_SK_SL_SM_E_clISE_PySF_SF_EESJ_SZ_SK_SL_SM_EUlSZ_E1_NS1_11comp_targetILNS1_3genE5ELNS1_11target_archE942ELNS1_3gpuE9ELNS1_3repE0EEENS1_36merge_oddeven_config_static_selectorELNS0_4arch9wavefront6targetE1EEEvSL_,comdat
.Lfunc_end766:
	.size	_ZN7rocprim17ROCPRIM_400000_NS6detail17trampoline_kernelINS0_14default_configENS1_38merge_sort_block_merge_config_selectorIyNS0_10empty_typeEEEZZNS1_27merge_sort_block_merge_implIS3_N6thrust23THRUST_200600_302600_NS6detail15normal_iteratorINS9_10device_ptrIyEEEEPS5_jNS1_19radix_merge_compareILb0ELb0EyNS0_19identity_decomposerEEEEE10hipError_tT0_T1_T2_jT3_P12ihipStream_tbPNSt15iterator_traitsISK_E10value_typeEPNSQ_ISL_E10value_typeEPSM_NS1_7vsmem_tEENKUlT_SK_SL_SM_E_clISE_PySF_SF_EESJ_SZ_SK_SL_SM_EUlSZ_E1_NS1_11comp_targetILNS1_3genE5ELNS1_11target_archE942ELNS1_3gpuE9ELNS1_3repE0EEENS1_36merge_oddeven_config_static_selectorELNS0_4arch9wavefront6targetE1EEEvSL_, .Lfunc_end766-_ZN7rocprim17ROCPRIM_400000_NS6detail17trampoline_kernelINS0_14default_configENS1_38merge_sort_block_merge_config_selectorIyNS0_10empty_typeEEEZZNS1_27merge_sort_block_merge_implIS3_N6thrust23THRUST_200600_302600_NS6detail15normal_iteratorINS9_10device_ptrIyEEEEPS5_jNS1_19radix_merge_compareILb0ELb0EyNS0_19identity_decomposerEEEEE10hipError_tT0_T1_T2_jT3_P12ihipStream_tbPNSt15iterator_traitsISK_E10value_typeEPNSQ_ISL_E10value_typeEPSM_NS1_7vsmem_tEENKUlT_SK_SL_SM_E_clISE_PySF_SF_EESJ_SZ_SK_SL_SM_EUlSZ_E1_NS1_11comp_targetILNS1_3genE5ELNS1_11target_archE942ELNS1_3gpuE9ELNS1_3repE0EEENS1_36merge_oddeven_config_static_selectorELNS0_4arch9wavefront6targetE1EEEvSL_
                                        ; -- End function
	.section	.AMDGPU.csdata,"",@progbits
; Kernel info:
; codeLenInByte = 0
; NumSgprs: 4
; NumVgprs: 0
; NumAgprs: 0
; TotalNumVgprs: 0
; ScratchSize: 0
; MemoryBound: 0
; FloatMode: 240
; IeeeMode: 1
; LDSByteSize: 0 bytes/workgroup (compile time only)
; SGPRBlocks: 0
; VGPRBlocks: 0
; NumSGPRsForWavesPerEU: 4
; NumVGPRsForWavesPerEU: 1
; AccumOffset: 4
; Occupancy: 8
; WaveLimiterHint : 0
; COMPUTE_PGM_RSRC2:SCRATCH_EN: 0
; COMPUTE_PGM_RSRC2:USER_SGPR: 6
; COMPUTE_PGM_RSRC2:TRAP_HANDLER: 0
; COMPUTE_PGM_RSRC2:TGID_X_EN: 1
; COMPUTE_PGM_RSRC2:TGID_Y_EN: 0
; COMPUTE_PGM_RSRC2:TGID_Z_EN: 0
; COMPUTE_PGM_RSRC2:TIDIG_COMP_CNT: 0
; COMPUTE_PGM_RSRC3_GFX90A:ACCUM_OFFSET: 0
; COMPUTE_PGM_RSRC3_GFX90A:TG_SPLIT: 0
	.section	.text._ZN7rocprim17ROCPRIM_400000_NS6detail17trampoline_kernelINS0_14default_configENS1_38merge_sort_block_merge_config_selectorIyNS0_10empty_typeEEEZZNS1_27merge_sort_block_merge_implIS3_N6thrust23THRUST_200600_302600_NS6detail15normal_iteratorINS9_10device_ptrIyEEEEPS5_jNS1_19radix_merge_compareILb0ELb0EyNS0_19identity_decomposerEEEEE10hipError_tT0_T1_T2_jT3_P12ihipStream_tbPNSt15iterator_traitsISK_E10value_typeEPNSQ_ISL_E10value_typeEPSM_NS1_7vsmem_tEENKUlT_SK_SL_SM_E_clISE_PySF_SF_EESJ_SZ_SK_SL_SM_EUlSZ_E1_NS1_11comp_targetILNS1_3genE4ELNS1_11target_archE910ELNS1_3gpuE8ELNS1_3repE0EEENS1_36merge_oddeven_config_static_selectorELNS0_4arch9wavefront6targetE1EEEvSL_,"axG",@progbits,_ZN7rocprim17ROCPRIM_400000_NS6detail17trampoline_kernelINS0_14default_configENS1_38merge_sort_block_merge_config_selectorIyNS0_10empty_typeEEEZZNS1_27merge_sort_block_merge_implIS3_N6thrust23THRUST_200600_302600_NS6detail15normal_iteratorINS9_10device_ptrIyEEEEPS5_jNS1_19radix_merge_compareILb0ELb0EyNS0_19identity_decomposerEEEEE10hipError_tT0_T1_T2_jT3_P12ihipStream_tbPNSt15iterator_traitsISK_E10value_typeEPNSQ_ISL_E10value_typeEPSM_NS1_7vsmem_tEENKUlT_SK_SL_SM_E_clISE_PySF_SF_EESJ_SZ_SK_SL_SM_EUlSZ_E1_NS1_11comp_targetILNS1_3genE4ELNS1_11target_archE910ELNS1_3gpuE8ELNS1_3repE0EEENS1_36merge_oddeven_config_static_selectorELNS0_4arch9wavefront6targetE1EEEvSL_,comdat
	.protected	_ZN7rocprim17ROCPRIM_400000_NS6detail17trampoline_kernelINS0_14default_configENS1_38merge_sort_block_merge_config_selectorIyNS0_10empty_typeEEEZZNS1_27merge_sort_block_merge_implIS3_N6thrust23THRUST_200600_302600_NS6detail15normal_iteratorINS9_10device_ptrIyEEEEPS5_jNS1_19radix_merge_compareILb0ELb0EyNS0_19identity_decomposerEEEEE10hipError_tT0_T1_T2_jT3_P12ihipStream_tbPNSt15iterator_traitsISK_E10value_typeEPNSQ_ISL_E10value_typeEPSM_NS1_7vsmem_tEENKUlT_SK_SL_SM_E_clISE_PySF_SF_EESJ_SZ_SK_SL_SM_EUlSZ_E1_NS1_11comp_targetILNS1_3genE4ELNS1_11target_archE910ELNS1_3gpuE8ELNS1_3repE0EEENS1_36merge_oddeven_config_static_selectorELNS0_4arch9wavefront6targetE1EEEvSL_ ; -- Begin function _ZN7rocprim17ROCPRIM_400000_NS6detail17trampoline_kernelINS0_14default_configENS1_38merge_sort_block_merge_config_selectorIyNS0_10empty_typeEEEZZNS1_27merge_sort_block_merge_implIS3_N6thrust23THRUST_200600_302600_NS6detail15normal_iteratorINS9_10device_ptrIyEEEEPS5_jNS1_19radix_merge_compareILb0ELb0EyNS0_19identity_decomposerEEEEE10hipError_tT0_T1_T2_jT3_P12ihipStream_tbPNSt15iterator_traitsISK_E10value_typeEPNSQ_ISL_E10value_typeEPSM_NS1_7vsmem_tEENKUlT_SK_SL_SM_E_clISE_PySF_SF_EESJ_SZ_SK_SL_SM_EUlSZ_E1_NS1_11comp_targetILNS1_3genE4ELNS1_11target_archE910ELNS1_3gpuE8ELNS1_3repE0EEENS1_36merge_oddeven_config_static_selectorELNS0_4arch9wavefront6targetE1EEEvSL_
	.globl	_ZN7rocprim17ROCPRIM_400000_NS6detail17trampoline_kernelINS0_14default_configENS1_38merge_sort_block_merge_config_selectorIyNS0_10empty_typeEEEZZNS1_27merge_sort_block_merge_implIS3_N6thrust23THRUST_200600_302600_NS6detail15normal_iteratorINS9_10device_ptrIyEEEEPS5_jNS1_19radix_merge_compareILb0ELb0EyNS0_19identity_decomposerEEEEE10hipError_tT0_T1_T2_jT3_P12ihipStream_tbPNSt15iterator_traitsISK_E10value_typeEPNSQ_ISL_E10value_typeEPSM_NS1_7vsmem_tEENKUlT_SK_SL_SM_E_clISE_PySF_SF_EESJ_SZ_SK_SL_SM_EUlSZ_E1_NS1_11comp_targetILNS1_3genE4ELNS1_11target_archE910ELNS1_3gpuE8ELNS1_3repE0EEENS1_36merge_oddeven_config_static_selectorELNS0_4arch9wavefront6targetE1EEEvSL_
	.p2align	8
	.type	_ZN7rocprim17ROCPRIM_400000_NS6detail17trampoline_kernelINS0_14default_configENS1_38merge_sort_block_merge_config_selectorIyNS0_10empty_typeEEEZZNS1_27merge_sort_block_merge_implIS3_N6thrust23THRUST_200600_302600_NS6detail15normal_iteratorINS9_10device_ptrIyEEEEPS5_jNS1_19radix_merge_compareILb0ELb0EyNS0_19identity_decomposerEEEEE10hipError_tT0_T1_T2_jT3_P12ihipStream_tbPNSt15iterator_traitsISK_E10value_typeEPNSQ_ISL_E10value_typeEPSM_NS1_7vsmem_tEENKUlT_SK_SL_SM_E_clISE_PySF_SF_EESJ_SZ_SK_SL_SM_EUlSZ_E1_NS1_11comp_targetILNS1_3genE4ELNS1_11target_archE910ELNS1_3gpuE8ELNS1_3repE0EEENS1_36merge_oddeven_config_static_selectorELNS0_4arch9wavefront6targetE1EEEvSL_,@function
_ZN7rocprim17ROCPRIM_400000_NS6detail17trampoline_kernelINS0_14default_configENS1_38merge_sort_block_merge_config_selectorIyNS0_10empty_typeEEEZZNS1_27merge_sort_block_merge_implIS3_N6thrust23THRUST_200600_302600_NS6detail15normal_iteratorINS9_10device_ptrIyEEEEPS5_jNS1_19radix_merge_compareILb0ELb0EyNS0_19identity_decomposerEEEEE10hipError_tT0_T1_T2_jT3_P12ihipStream_tbPNSt15iterator_traitsISK_E10value_typeEPNSQ_ISL_E10value_typeEPSM_NS1_7vsmem_tEENKUlT_SK_SL_SM_E_clISE_PySF_SF_EESJ_SZ_SK_SL_SM_EUlSZ_E1_NS1_11comp_targetILNS1_3genE4ELNS1_11target_archE910ELNS1_3gpuE8ELNS1_3repE0EEENS1_36merge_oddeven_config_static_selectorELNS0_4arch9wavefront6targetE1EEEvSL_: ; @_ZN7rocprim17ROCPRIM_400000_NS6detail17trampoline_kernelINS0_14default_configENS1_38merge_sort_block_merge_config_selectorIyNS0_10empty_typeEEEZZNS1_27merge_sort_block_merge_implIS3_N6thrust23THRUST_200600_302600_NS6detail15normal_iteratorINS9_10device_ptrIyEEEEPS5_jNS1_19radix_merge_compareILb0ELb0EyNS0_19identity_decomposerEEEEE10hipError_tT0_T1_T2_jT3_P12ihipStream_tbPNSt15iterator_traitsISK_E10value_typeEPNSQ_ISL_E10value_typeEPSM_NS1_7vsmem_tEENKUlT_SK_SL_SM_E_clISE_PySF_SF_EESJ_SZ_SK_SL_SM_EUlSZ_E1_NS1_11comp_targetILNS1_3genE4ELNS1_11target_archE910ELNS1_3gpuE8ELNS1_3repE0EEENS1_36merge_oddeven_config_static_selectorELNS0_4arch9wavefront6targetE1EEEvSL_
; %bb.0:
	s_load_dword s18, s[4:5], 0x20
	s_waitcnt lgkmcnt(0)
	s_lshr_b32 s0, s18, 8
	s_cmp_lg_u32 s6, s0
	s_cselect_b64 s[14:15], -1, 0
	s_cmp_eq_u32 s6, s0
	s_cselect_b64 s[12:13], -1, 0
	s_lshl_b32 s16, s6, 8
	s_sub_i32 s0, s18, s16
	v_cmp_gt_u32_e64 s[2:3], s0, v0
	s_or_b64 s[0:1], s[14:15], s[2:3]
	s_and_saveexec_b64 s[8:9], s[0:1]
	s_cbranch_execz .LBB767_20
; %bb.1:
	s_load_dwordx4 s[8:11], s[4:5], 0x0
	s_load_dword s19, s[4:5], 0x24
	s_mov_b32 s17, 0
	s_lshl_b64 s[0:1], s[16:17], 3
	v_lshlrev_b32_e32 v1, 3, v0
	s_waitcnt lgkmcnt(0)
	s_add_u32 s0, s8, s0
	s_addc_u32 s1, s9, s1
	global_load_dwordx2 v[2:3], v1, s[0:1]
	s_lshr_b32 s0, s19, 8
	s_sub_i32 s1, 0, s0
	s_and_b32 s1, s6, s1
	s_and_b32 s0, s1, s0
	s_lshl_b32 s20, s1, 8
	s_sub_i32 s6, 0, s19
	s_cmp_eq_u32 s0, 0
	s_cselect_b64 s[0:1], -1, 0
	s_and_b64 s[4:5], s[0:1], exec
	s_cselect_b32 s17, s19, s6
	s_add_i32 s17, s17, s20
	s_cmp_lt_u32 s17, s18
	v_add_u32_e32 v0, s16, v0
	s_cbranch_scc1 .LBB767_3
; %bb.2:
	v_cmp_gt_u32_e32 vcc, s18, v0
	s_or_b64 s[4:5], vcc, s[14:15]
	s_and_b64 s[4:5], s[4:5], exec
	s_cbranch_execz .LBB767_4
	s_branch .LBB767_18
.LBB767_3:
	s_mov_b64 s[4:5], 0
.LBB767_4:
	s_min_u32 s14, s17, s18
	s_add_i32 s6, s14, s19
	s_min_u32 s15, s6, s18
	s_min_u32 s6, s20, s14
	s_add_i32 s20, s20, s14
	v_subrev_u32_e32 v0, s20, v0
	v_add_u32_e32 v4, s6, v0
	s_and_b64 vcc, exec, s[12:13]
	s_cbranch_vccz .LBB767_12
; %bb.5:
                                        ; implicit-def: $vgpr0
	s_and_saveexec_b64 s[6:7], s[2:3]
	s_cbranch_execz .LBB767_11
; %bb.6:
	s_cmp_ge_u32 s17, s15
	v_mov_b32_e32 v5, s14
	s_cbranch_scc1 .LBB767_10
; %bb.7:
	s_mov_b64 s[2:3], 0
	v_mov_b32_e32 v6, s15
	v_mov_b32_e32 v5, s14
	;; [unrolled: 1-line block ×4, first 2 shown]
.LBB767_8:                              ; =>This Inner Loop Header: Depth=1
	v_add_u32_e32 v0, v5, v6
	v_lshrrev_b32_e32 v0, 1, v0
	v_lshlrev_b64 v[8:9], 3, v[0:1]
	v_add_co_u32_e32 v8, vcc, s8, v8
	v_addc_co_u32_e32 v9, vcc, v7, v9, vcc
	global_load_dwordx2 v[8:9], v[8:9], off
	v_add_u32_e32 v10, 1, v0
	s_waitcnt vmcnt(0)
	v_cmp_gt_u64_e32 vcc, v[2:3], v[8:9]
	v_cndmask_b32_e64 v11, 0, 1, vcc
	v_cmp_le_u64_e32 vcc, v[8:9], v[2:3]
	v_cndmask_b32_e64 v8, 0, 1, vcc
	v_cndmask_b32_e64 v8, v8, v11, s[0:1]
	v_and_b32_e32 v8, 1, v8
	v_cmp_eq_u32_e32 vcc, 1, v8
	v_cndmask_b32_e32 v6, v0, v6, vcc
	v_cndmask_b32_e32 v5, v5, v10, vcc
	v_cmp_ge_u32_e32 vcc, v5, v6
	s_or_b64 s[2:3], vcc, s[2:3]
	s_andn2_b64 exec, exec, s[2:3]
	s_cbranch_execnz .LBB767_8
; %bb.9:
	s_or_b64 exec, exec, s[2:3]
.LBB767_10:
	v_add_u32_e32 v0, v5, v4
	s_or_b64 s[4:5], s[4:5], exec
.LBB767_11:
	s_or_b64 exec, exec, s[6:7]
	s_branch .LBB767_18
.LBB767_12:
                                        ; implicit-def: $vgpr0
	s_cbranch_execz .LBB767_18
; %bb.13:
	s_cmp_ge_u32 s17, s15
	v_mov_b32_e32 v5, s14
	s_cbranch_scc1 .LBB767_17
; %bb.14:
	s_mov_b64 s[2:3], 0
	v_mov_b32_e32 v6, s15
	v_mov_b32_e32 v5, s14
	;; [unrolled: 1-line block ×4, first 2 shown]
.LBB767_15:                             ; =>This Inner Loop Header: Depth=1
	v_add_u32_e32 v0, v5, v6
	v_lshrrev_b32_e32 v0, 1, v0
	v_lshlrev_b64 v[8:9], 3, v[0:1]
	v_add_co_u32_e32 v8, vcc, s8, v8
	v_addc_co_u32_e32 v9, vcc, v7, v9, vcc
	global_load_dwordx2 v[8:9], v[8:9], off
	v_add_u32_e32 v10, 1, v0
	s_waitcnt vmcnt(0)
	v_cmp_gt_u64_e32 vcc, v[2:3], v[8:9]
	v_cndmask_b32_e64 v11, 0, 1, vcc
	v_cmp_le_u64_e32 vcc, v[8:9], v[2:3]
	v_cndmask_b32_e64 v8, 0, 1, vcc
	v_cndmask_b32_e64 v8, v8, v11, s[0:1]
	v_and_b32_e32 v8, 1, v8
	v_cmp_eq_u32_e32 vcc, 1, v8
	v_cndmask_b32_e32 v6, v0, v6, vcc
	v_cndmask_b32_e32 v5, v5, v10, vcc
	v_cmp_ge_u32_e32 vcc, v5, v6
	s_or_b64 s[2:3], vcc, s[2:3]
	s_andn2_b64 exec, exec, s[2:3]
	s_cbranch_execnz .LBB767_15
; %bb.16:
	s_or_b64 exec, exec, s[2:3]
.LBB767_17:
	v_add_u32_e32 v0, v5, v4
	s_mov_b64 s[4:5], -1
.LBB767_18:
	s_and_b64 exec, exec, s[4:5]
	s_cbranch_execz .LBB767_20
; %bb.19:
	v_mov_b32_e32 v1, 0
	v_lshlrev_b64 v[0:1], 3, v[0:1]
	v_mov_b32_e32 v4, s11
	v_add_co_u32_e32 v0, vcc, s10, v0
	v_addc_co_u32_e32 v1, vcc, v4, v1, vcc
	s_waitcnt vmcnt(0)
	global_store_dwordx2 v[0:1], v[2:3], off
.LBB767_20:
	s_endpgm
	.section	.rodata,"a",@progbits
	.p2align	6, 0x0
	.amdhsa_kernel _ZN7rocprim17ROCPRIM_400000_NS6detail17trampoline_kernelINS0_14default_configENS1_38merge_sort_block_merge_config_selectorIyNS0_10empty_typeEEEZZNS1_27merge_sort_block_merge_implIS3_N6thrust23THRUST_200600_302600_NS6detail15normal_iteratorINS9_10device_ptrIyEEEEPS5_jNS1_19radix_merge_compareILb0ELb0EyNS0_19identity_decomposerEEEEE10hipError_tT0_T1_T2_jT3_P12ihipStream_tbPNSt15iterator_traitsISK_E10value_typeEPNSQ_ISL_E10value_typeEPSM_NS1_7vsmem_tEENKUlT_SK_SL_SM_E_clISE_PySF_SF_EESJ_SZ_SK_SL_SM_EUlSZ_E1_NS1_11comp_targetILNS1_3genE4ELNS1_11target_archE910ELNS1_3gpuE8ELNS1_3repE0EEENS1_36merge_oddeven_config_static_selectorELNS0_4arch9wavefront6targetE1EEEvSL_
		.amdhsa_group_segment_fixed_size 0
		.amdhsa_private_segment_fixed_size 0
		.amdhsa_kernarg_size 48
		.amdhsa_user_sgpr_count 6
		.amdhsa_user_sgpr_private_segment_buffer 1
		.amdhsa_user_sgpr_dispatch_ptr 0
		.amdhsa_user_sgpr_queue_ptr 0
		.amdhsa_user_sgpr_kernarg_segment_ptr 1
		.amdhsa_user_sgpr_dispatch_id 0
		.amdhsa_user_sgpr_flat_scratch_init 0
		.amdhsa_user_sgpr_kernarg_preload_length 0
		.amdhsa_user_sgpr_kernarg_preload_offset 0
		.amdhsa_user_sgpr_private_segment_size 0
		.amdhsa_uses_dynamic_stack 0
		.amdhsa_system_sgpr_private_segment_wavefront_offset 0
		.amdhsa_system_sgpr_workgroup_id_x 1
		.amdhsa_system_sgpr_workgroup_id_y 0
		.amdhsa_system_sgpr_workgroup_id_z 0
		.amdhsa_system_sgpr_workgroup_info 0
		.amdhsa_system_vgpr_workitem_id 0
		.amdhsa_next_free_vgpr 12
		.amdhsa_next_free_sgpr 21
		.amdhsa_accum_offset 12
		.amdhsa_reserve_vcc 1
		.amdhsa_reserve_flat_scratch 0
		.amdhsa_float_round_mode_32 0
		.amdhsa_float_round_mode_16_64 0
		.amdhsa_float_denorm_mode_32 3
		.amdhsa_float_denorm_mode_16_64 3
		.amdhsa_dx10_clamp 1
		.amdhsa_ieee_mode 1
		.amdhsa_fp16_overflow 0
		.amdhsa_tg_split 0
		.amdhsa_exception_fp_ieee_invalid_op 0
		.amdhsa_exception_fp_denorm_src 0
		.amdhsa_exception_fp_ieee_div_zero 0
		.amdhsa_exception_fp_ieee_overflow 0
		.amdhsa_exception_fp_ieee_underflow 0
		.amdhsa_exception_fp_ieee_inexact 0
		.amdhsa_exception_int_div_zero 0
	.end_amdhsa_kernel
	.section	.text._ZN7rocprim17ROCPRIM_400000_NS6detail17trampoline_kernelINS0_14default_configENS1_38merge_sort_block_merge_config_selectorIyNS0_10empty_typeEEEZZNS1_27merge_sort_block_merge_implIS3_N6thrust23THRUST_200600_302600_NS6detail15normal_iteratorINS9_10device_ptrIyEEEEPS5_jNS1_19radix_merge_compareILb0ELb0EyNS0_19identity_decomposerEEEEE10hipError_tT0_T1_T2_jT3_P12ihipStream_tbPNSt15iterator_traitsISK_E10value_typeEPNSQ_ISL_E10value_typeEPSM_NS1_7vsmem_tEENKUlT_SK_SL_SM_E_clISE_PySF_SF_EESJ_SZ_SK_SL_SM_EUlSZ_E1_NS1_11comp_targetILNS1_3genE4ELNS1_11target_archE910ELNS1_3gpuE8ELNS1_3repE0EEENS1_36merge_oddeven_config_static_selectorELNS0_4arch9wavefront6targetE1EEEvSL_,"axG",@progbits,_ZN7rocprim17ROCPRIM_400000_NS6detail17trampoline_kernelINS0_14default_configENS1_38merge_sort_block_merge_config_selectorIyNS0_10empty_typeEEEZZNS1_27merge_sort_block_merge_implIS3_N6thrust23THRUST_200600_302600_NS6detail15normal_iteratorINS9_10device_ptrIyEEEEPS5_jNS1_19radix_merge_compareILb0ELb0EyNS0_19identity_decomposerEEEEE10hipError_tT0_T1_T2_jT3_P12ihipStream_tbPNSt15iterator_traitsISK_E10value_typeEPNSQ_ISL_E10value_typeEPSM_NS1_7vsmem_tEENKUlT_SK_SL_SM_E_clISE_PySF_SF_EESJ_SZ_SK_SL_SM_EUlSZ_E1_NS1_11comp_targetILNS1_3genE4ELNS1_11target_archE910ELNS1_3gpuE8ELNS1_3repE0EEENS1_36merge_oddeven_config_static_selectorELNS0_4arch9wavefront6targetE1EEEvSL_,comdat
.Lfunc_end767:
	.size	_ZN7rocprim17ROCPRIM_400000_NS6detail17trampoline_kernelINS0_14default_configENS1_38merge_sort_block_merge_config_selectorIyNS0_10empty_typeEEEZZNS1_27merge_sort_block_merge_implIS3_N6thrust23THRUST_200600_302600_NS6detail15normal_iteratorINS9_10device_ptrIyEEEEPS5_jNS1_19radix_merge_compareILb0ELb0EyNS0_19identity_decomposerEEEEE10hipError_tT0_T1_T2_jT3_P12ihipStream_tbPNSt15iterator_traitsISK_E10value_typeEPNSQ_ISL_E10value_typeEPSM_NS1_7vsmem_tEENKUlT_SK_SL_SM_E_clISE_PySF_SF_EESJ_SZ_SK_SL_SM_EUlSZ_E1_NS1_11comp_targetILNS1_3genE4ELNS1_11target_archE910ELNS1_3gpuE8ELNS1_3repE0EEENS1_36merge_oddeven_config_static_selectorELNS0_4arch9wavefront6targetE1EEEvSL_, .Lfunc_end767-_ZN7rocprim17ROCPRIM_400000_NS6detail17trampoline_kernelINS0_14default_configENS1_38merge_sort_block_merge_config_selectorIyNS0_10empty_typeEEEZZNS1_27merge_sort_block_merge_implIS3_N6thrust23THRUST_200600_302600_NS6detail15normal_iteratorINS9_10device_ptrIyEEEEPS5_jNS1_19radix_merge_compareILb0ELb0EyNS0_19identity_decomposerEEEEE10hipError_tT0_T1_T2_jT3_P12ihipStream_tbPNSt15iterator_traitsISK_E10value_typeEPNSQ_ISL_E10value_typeEPSM_NS1_7vsmem_tEENKUlT_SK_SL_SM_E_clISE_PySF_SF_EESJ_SZ_SK_SL_SM_EUlSZ_E1_NS1_11comp_targetILNS1_3genE4ELNS1_11target_archE910ELNS1_3gpuE8ELNS1_3repE0EEENS1_36merge_oddeven_config_static_selectorELNS0_4arch9wavefront6targetE1EEEvSL_
                                        ; -- End function
	.section	.AMDGPU.csdata,"",@progbits
; Kernel info:
; codeLenInByte = 588
; NumSgprs: 25
; NumVgprs: 12
; NumAgprs: 0
; TotalNumVgprs: 12
; ScratchSize: 0
; MemoryBound: 0
; FloatMode: 240
; IeeeMode: 1
; LDSByteSize: 0 bytes/workgroup (compile time only)
; SGPRBlocks: 3
; VGPRBlocks: 1
; NumSGPRsForWavesPerEU: 25
; NumVGPRsForWavesPerEU: 12
; AccumOffset: 12
; Occupancy: 8
; WaveLimiterHint : 0
; COMPUTE_PGM_RSRC2:SCRATCH_EN: 0
; COMPUTE_PGM_RSRC2:USER_SGPR: 6
; COMPUTE_PGM_RSRC2:TRAP_HANDLER: 0
; COMPUTE_PGM_RSRC2:TGID_X_EN: 1
; COMPUTE_PGM_RSRC2:TGID_Y_EN: 0
; COMPUTE_PGM_RSRC2:TGID_Z_EN: 0
; COMPUTE_PGM_RSRC2:TIDIG_COMP_CNT: 0
; COMPUTE_PGM_RSRC3_GFX90A:ACCUM_OFFSET: 2
; COMPUTE_PGM_RSRC3_GFX90A:TG_SPLIT: 0
	.section	.text._ZN7rocprim17ROCPRIM_400000_NS6detail17trampoline_kernelINS0_14default_configENS1_38merge_sort_block_merge_config_selectorIyNS0_10empty_typeEEEZZNS1_27merge_sort_block_merge_implIS3_N6thrust23THRUST_200600_302600_NS6detail15normal_iteratorINS9_10device_ptrIyEEEEPS5_jNS1_19radix_merge_compareILb0ELb0EyNS0_19identity_decomposerEEEEE10hipError_tT0_T1_T2_jT3_P12ihipStream_tbPNSt15iterator_traitsISK_E10value_typeEPNSQ_ISL_E10value_typeEPSM_NS1_7vsmem_tEENKUlT_SK_SL_SM_E_clISE_PySF_SF_EESJ_SZ_SK_SL_SM_EUlSZ_E1_NS1_11comp_targetILNS1_3genE3ELNS1_11target_archE908ELNS1_3gpuE7ELNS1_3repE0EEENS1_36merge_oddeven_config_static_selectorELNS0_4arch9wavefront6targetE1EEEvSL_,"axG",@progbits,_ZN7rocprim17ROCPRIM_400000_NS6detail17trampoline_kernelINS0_14default_configENS1_38merge_sort_block_merge_config_selectorIyNS0_10empty_typeEEEZZNS1_27merge_sort_block_merge_implIS3_N6thrust23THRUST_200600_302600_NS6detail15normal_iteratorINS9_10device_ptrIyEEEEPS5_jNS1_19radix_merge_compareILb0ELb0EyNS0_19identity_decomposerEEEEE10hipError_tT0_T1_T2_jT3_P12ihipStream_tbPNSt15iterator_traitsISK_E10value_typeEPNSQ_ISL_E10value_typeEPSM_NS1_7vsmem_tEENKUlT_SK_SL_SM_E_clISE_PySF_SF_EESJ_SZ_SK_SL_SM_EUlSZ_E1_NS1_11comp_targetILNS1_3genE3ELNS1_11target_archE908ELNS1_3gpuE7ELNS1_3repE0EEENS1_36merge_oddeven_config_static_selectorELNS0_4arch9wavefront6targetE1EEEvSL_,comdat
	.protected	_ZN7rocprim17ROCPRIM_400000_NS6detail17trampoline_kernelINS0_14default_configENS1_38merge_sort_block_merge_config_selectorIyNS0_10empty_typeEEEZZNS1_27merge_sort_block_merge_implIS3_N6thrust23THRUST_200600_302600_NS6detail15normal_iteratorINS9_10device_ptrIyEEEEPS5_jNS1_19radix_merge_compareILb0ELb0EyNS0_19identity_decomposerEEEEE10hipError_tT0_T1_T2_jT3_P12ihipStream_tbPNSt15iterator_traitsISK_E10value_typeEPNSQ_ISL_E10value_typeEPSM_NS1_7vsmem_tEENKUlT_SK_SL_SM_E_clISE_PySF_SF_EESJ_SZ_SK_SL_SM_EUlSZ_E1_NS1_11comp_targetILNS1_3genE3ELNS1_11target_archE908ELNS1_3gpuE7ELNS1_3repE0EEENS1_36merge_oddeven_config_static_selectorELNS0_4arch9wavefront6targetE1EEEvSL_ ; -- Begin function _ZN7rocprim17ROCPRIM_400000_NS6detail17trampoline_kernelINS0_14default_configENS1_38merge_sort_block_merge_config_selectorIyNS0_10empty_typeEEEZZNS1_27merge_sort_block_merge_implIS3_N6thrust23THRUST_200600_302600_NS6detail15normal_iteratorINS9_10device_ptrIyEEEEPS5_jNS1_19radix_merge_compareILb0ELb0EyNS0_19identity_decomposerEEEEE10hipError_tT0_T1_T2_jT3_P12ihipStream_tbPNSt15iterator_traitsISK_E10value_typeEPNSQ_ISL_E10value_typeEPSM_NS1_7vsmem_tEENKUlT_SK_SL_SM_E_clISE_PySF_SF_EESJ_SZ_SK_SL_SM_EUlSZ_E1_NS1_11comp_targetILNS1_3genE3ELNS1_11target_archE908ELNS1_3gpuE7ELNS1_3repE0EEENS1_36merge_oddeven_config_static_selectorELNS0_4arch9wavefront6targetE1EEEvSL_
	.globl	_ZN7rocprim17ROCPRIM_400000_NS6detail17trampoline_kernelINS0_14default_configENS1_38merge_sort_block_merge_config_selectorIyNS0_10empty_typeEEEZZNS1_27merge_sort_block_merge_implIS3_N6thrust23THRUST_200600_302600_NS6detail15normal_iteratorINS9_10device_ptrIyEEEEPS5_jNS1_19radix_merge_compareILb0ELb0EyNS0_19identity_decomposerEEEEE10hipError_tT0_T1_T2_jT3_P12ihipStream_tbPNSt15iterator_traitsISK_E10value_typeEPNSQ_ISL_E10value_typeEPSM_NS1_7vsmem_tEENKUlT_SK_SL_SM_E_clISE_PySF_SF_EESJ_SZ_SK_SL_SM_EUlSZ_E1_NS1_11comp_targetILNS1_3genE3ELNS1_11target_archE908ELNS1_3gpuE7ELNS1_3repE0EEENS1_36merge_oddeven_config_static_selectorELNS0_4arch9wavefront6targetE1EEEvSL_
	.p2align	8
	.type	_ZN7rocprim17ROCPRIM_400000_NS6detail17trampoline_kernelINS0_14default_configENS1_38merge_sort_block_merge_config_selectorIyNS0_10empty_typeEEEZZNS1_27merge_sort_block_merge_implIS3_N6thrust23THRUST_200600_302600_NS6detail15normal_iteratorINS9_10device_ptrIyEEEEPS5_jNS1_19radix_merge_compareILb0ELb0EyNS0_19identity_decomposerEEEEE10hipError_tT0_T1_T2_jT3_P12ihipStream_tbPNSt15iterator_traitsISK_E10value_typeEPNSQ_ISL_E10value_typeEPSM_NS1_7vsmem_tEENKUlT_SK_SL_SM_E_clISE_PySF_SF_EESJ_SZ_SK_SL_SM_EUlSZ_E1_NS1_11comp_targetILNS1_3genE3ELNS1_11target_archE908ELNS1_3gpuE7ELNS1_3repE0EEENS1_36merge_oddeven_config_static_selectorELNS0_4arch9wavefront6targetE1EEEvSL_,@function
_ZN7rocprim17ROCPRIM_400000_NS6detail17trampoline_kernelINS0_14default_configENS1_38merge_sort_block_merge_config_selectorIyNS0_10empty_typeEEEZZNS1_27merge_sort_block_merge_implIS3_N6thrust23THRUST_200600_302600_NS6detail15normal_iteratorINS9_10device_ptrIyEEEEPS5_jNS1_19radix_merge_compareILb0ELb0EyNS0_19identity_decomposerEEEEE10hipError_tT0_T1_T2_jT3_P12ihipStream_tbPNSt15iterator_traitsISK_E10value_typeEPNSQ_ISL_E10value_typeEPSM_NS1_7vsmem_tEENKUlT_SK_SL_SM_E_clISE_PySF_SF_EESJ_SZ_SK_SL_SM_EUlSZ_E1_NS1_11comp_targetILNS1_3genE3ELNS1_11target_archE908ELNS1_3gpuE7ELNS1_3repE0EEENS1_36merge_oddeven_config_static_selectorELNS0_4arch9wavefront6targetE1EEEvSL_: ; @_ZN7rocprim17ROCPRIM_400000_NS6detail17trampoline_kernelINS0_14default_configENS1_38merge_sort_block_merge_config_selectorIyNS0_10empty_typeEEEZZNS1_27merge_sort_block_merge_implIS3_N6thrust23THRUST_200600_302600_NS6detail15normal_iteratorINS9_10device_ptrIyEEEEPS5_jNS1_19radix_merge_compareILb0ELb0EyNS0_19identity_decomposerEEEEE10hipError_tT0_T1_T2_jT3_P12ihipStream_tbPNSt15iterator_traitsISK_E10value_typeEPNSQ_ISL_E10value_typeEPSM_NS1_7vsmem_tEENKUlT_SK_SL_SM_E_clISE_PySF_SF_EESJ_SZ_SK_SL_SM_EUlSZ_E1_NS1_11comp_targetILNS1_3genE3ELNS1_11target_archE908ELNS1_3gpuE7ELNS1_3repE0EEENS1_36merge_oddeven_config_static_selectorELNS0_4arch9wavefront6targetE1EEEvSL_
; %bb.0:
	.section	.rodata,"a",@progbits
	.p2align	6, 0x0
	.amdhsa_kernel _ZN7rocprim17ROCPRIM_400000_NS6detail17trampoline_kernelINS0_14default_configENS1_38merge_sort_block_merge_config_selectorIyNS0_10empty_typeEEEZZNS1_27merge_sort_block_merge_implIS3_N6thrust23THRUST_200600_302600_NS6detail15normal_iteratorINS9_10device_ptrIyEEEEPS5_jNS1_19radix_merge_compareILb0ELb0EyNS0_19identity_decomposerEEEEE10hipError_tT0_T1_T2_jT3_P12ihipStream_tbPNSt15iterator_traitsISK_E10value_typeEPNSQ_ISL_E10value_typeEPSM_NS1_7vsmem_tEENKUlT_SK_SL_SM_E_clISE_PySF_SF_EESJ_SZ_SK_SL_SM_EUlSZ_E1_NS1_11comp_targetILNS1_3genE3ELNS1_11target_archE908ELNS1_3gpuE7ELNS1_3repE0EEENS1_36merge_oddeven_config_static_selectorELNS0_4arch9wavefront6targetE1EEEvSL_
		.amdhsa_group_segment_fixed_size 0
		.amdhsa_private_segment_fixed_size 0
		.amdhsa_kernarg_size 48
		.amdhsa_user_sgpr_count 6
		.amdhsa_user_sgpr_private_segment_buffer 1
		.amdhsa_user_sgpr_dispatch_ptr 0
		.amdhsa_user_sgpr_queue_ptr 0
		.amdhsa_user_sgpr_kernarg_segment_ptr 1
		.amdhsa_user_sgpr_dispatch_id 0
		.amdhsa_user_sgpr_flat_scratch_init 0
		.amdhsa_user_sgpr_kernarg_preload_length 0
		.amdhsa_user_sgpr_kernarg_preload_offset 0
		.amdhsa_user_sgpr_private_segment_size 0
		.amdhsa_uses_dynamic_stack 0
		.amdhsa_system_sgpr_private_segment_wavefront_offset 0
		.amdhsa_system_sgpr_workgroup_id_x 1
		.amdhsa_system_sgpr_workgroup_id_y 0
		.amdhsa_system_sgpr_workgroup_id_z 0
		.amdhsa_system_sgpr_workgroup_info 0
		.amdhsa_system_vgpr_workitem_id 0
		.amdhsa_next_free_vgpr 1
		.amdhsa_next_free_sgpr 0
		.amdhsa_accum_offset 4
		.amdhsa_reserve_vcc 0
		.amdhsa_reserve_flat_scratch 0
		.amdhsa_float_round_mode_32 0
		.amdhsa_float_round_mode_16_64 0
		.amdhsa_float_denorm_mode_32 3
		.amdhsa_float_denorm_mode_16_64 3
		.amdhsa_dx10_clamp 1
		.amdhsa_ieee_mode 1
		.amdhsa_fp16_overflow 0
		.amdhsa_tg_split 0
		.amdhsa_exception_fp_ieee_invalid_op 0
		.amdhsa_exception_fp_denorm_src 0
		.amdhsa_exception_fp_ieee_div_zero 0
		.amdhsa_exception_fp_ieee_overflow 0
		.amdhsa_exception_fp_ieee_underflow 0
		.amdhsa_exception_fp_ieee_inexact 0
		.amdhsa_exception_int_div_zero 0
	.end_amdhsa_kernel
	.section	.text._ZN7rocprim17ROCPRIM_400000_NS6detail17trampoline_kernelINS0_14default_configENS1_38merge_sort_block_merge_config_selectorIyNS0_10empty_typeEEEZZNS1_27merge_sort_block_merge_implIS3_N6thrust23THRUST_200600_302600_NS6detail15normal_iteratorINS9_10device_ptrIyEEEEPS5_jNS1_19radix_merge_compareILb0ELb0EyNS0_19identity_decomposerEEEEE10hipError_tT0_T1_T2_jT3_P12ihipStream_tbPNSt15iterator_traitsISK_E10value_typeEPNSQ_ISL_E10value_typeEPSM_NS1_7vsmem_tEENKUlT_SK_SL_SM_E_clISE_PySF_SF_EESJ_SZ_SK_SL_SM_EUlSZ_E1_NS1_11comp_targetILNS1_3genE3ELNS1_11target_archE908ELNS1_3gpuE7ELNS1_3repE0EEENS1_36merge_oddeven_config_static_selectorELNS0_4arch9wavefront6targetE1EEEvSL_,"axG",@progbits,_ZN7rocprim17ROCPRIM_400000_NS6detail17trampoline_kernelINS0_14default_configENS1_38merge_sort_block_merge_config_selectorIyNS0_10empty_typeEEEZZNS1_27merge_sort_block_merge_implIS3_N6thrust23THRUST_200600_302600_NS6detail15normal_iteratorINS9_10device_ptrIyEEEEPS5_jNS1_19radix_merge_compareILb0ELb0EyNS0_19identity_decomposerEEEEE10hipError_tT0_T1_T2_jT3_P12ihipStream_tbPNSt15iterator_traitsISK_E10value_typeEPNSQ_ISL_E10value_typeEPSM_NS1_7vsmem_tEENKUlT_SK_SL_SM_E_clISE_PySF_SF_EESJ_SZ_SK_SL_SM_EUlSZ_E1_NS1_11comp_targetILNS1_3genE3ELNS1_11target_archE908ELNS1_3gpuE7ELNS1_3repE0EEENS1_36merge_oddeven_config_static_selectorELNS0_4arch9wavefront6targetE1EEEvSL_,comdat
.Lfunc_end768:
	.size	_ZN7rocprim17ROCPRIM_400000_NS6detail17trampoline_kernelINS0_14default_configENS1_38merge_sort_block_merge_config_selectorIyNS0_10empty_typeEEEZZNS1_27merge_sort_block_merge_implIS3_N6thrust23THRUST_200600_302600_NS6detail15normal_iteratorINS9_10device_ptrIyEEEEPS5_jNS1_19radix_merge_compareILb0ELb0EyNS0_19identity_decomposerEEEEE10hipError_tT0_T1_T2_jT3_P12ihipStream_tbPNSt15iterator_traitsISK_E10value_typeEPNSQ_ISL_E10value_typeEPSM_NS1_7vsmem_tEENKUlT_SK_SL_SM_E_clISE_PySF_SF_EESJ_SZ_SK_SL_SM_EUlSZ_E1_NS1_11comp_targetILNS1_3genE3ELNS1_11target_archE908ELNS1_3gpuE7ELNS1_3repE0EEENS1_36merge_oddeven_config_static_selectorELNS0_4arch9wavefront6targetE1EEEvSL_, .Lfunc_end768-_ZN7rocprim17ROCPRIM_400000_NS6detail17trampoline_kernelINS0_14default_configENS1_38merge_sort_block_merge_config_selectorIyNS0_10empty_typeEEEZZNS1_27merge_sort_block_merge_implIS3_N6thrust23THRUST_200600_302600_NS6detail15normal_iteratorINS9_10device_ptrIyEEEEPS5_jNS1_19radix_merge_compareILb0ELb0EyNS0_19identity_decomposerEEEEE10hipError_tT0_T1_T2_jT3_P12ihipStream_tbPNSt15iterator_traitsISK_E10value_typeEPNSQ_ISL_E10value_typeEPSM_NS1_7vsmem_tEENKUlT_SK_SL_SM_E_clISE_PySF_SF_EESJ_SZ_SK_SL_SM_EUlSZ_E1_NS1_11comp_targetILNS1_3genE3ELNS1_11target_archE908ELNS1_3gpuE7ELNS1_3repE0EEENS1_36merge_oddeven_config_static_selectorELNS0_4arch9wavefront6targetE1EEEvSL_
                                        ; -- End function
	.section	.AMDGPU.csdata,"",@progbits
; Kernel info:
; codeLenInByte = 0
; NumSgprs: 4
; NumVgprs: 0
; NumAgprs: 0
; TotalNumVgprs: 0
; ScratchSize: 0
; MemoryBound: 0
; FloatMode: 240
; IeeeMode: 1
; LDSByteSize: 0 bytes/workgroup (compile time only)
; SGPRBlocks: 0
; VGPRBlocks: 0
; NumSGPRsForWavesPerEU: 4
; NumVGPRsForWavesPerEU: 1
; AccumOffset: 4
; Occupancy: 8
; WaveLimiterHint : 0
; COMPUTE_PGM_RSRC2:SCRATCH_EN: 0
; COMPUTE_PGM_RSRC2:USER_SGPR: 6
; COMPUTE_PGM_RSRC2:TRAP_HANDLER: 0
; COMPUTE_PGM_RSRC2:TGID_X_EN: 1
; COMPUTE_PGM_RSRC2:TGID_Y_EN: 0
; COMPUTE_PGM_RSRC2:TGID_Z_EN: 0
; COMPUTE_PGM_RSRC2:TIDIG_COMP_CNT: 0
; COMPUTE_PGM_RSRC3_GFX90A:ACCUM_OFFSET: 0
; COMPUTE_PGM_RSRC3_GFX90A:TG_SPLIT: 0
	.section	.text._ZN7rocprim17ROCPRIM_400000_NS6detail17trampoline_kernelINS0_14default_configENS1_38merge_sort_block_merge_config_selectorIyNS0_10empty_typeEEEZZNS1_27merge_sort_block_merge_implIS3_N6thrust23THRUST_200600_302600_NS6detail15normal_iteratorINS9_10device_ptrIyEEEEPS5_jNS1_19radix_merge_compareILb0ELb0EyNS0_19identity_decomposerEEEEE10hipError_tT0_T1_T2_jT3_P12ihipStream_tbPNSt15iterator_traitsISK_E10value_typeEPNSQ_ISL_E10value_typeEPSM_NS1_7vsmem_tEENKUlT_SK_SL_SM_E_clISE_PySF_SF_EESJ_SZ_SK_SL_SM_EUlSZ_E1_NS1_11comp_targetILNS1_3genE2ELNS1_11target_archE906ELNS1_3gpuE6ELNS1_3repE0EEENS1_36merge_oddeven_config_static_selectorELNS0_4arch9wavefront6targetE1EEEvSL_,"axG",@progbits,_ZN7rocprim17ROCPRIM_400000_NS6detail17trampoline_kernelINS0_14default_configENS1_38merge_sort_block_merge_config_selectorIyNS0_10empty_typeEEEZZNS1_27merge_sort_block_merge_implIS3_N6thrust23THRUST_200600_302600_NS6detail15normal_iteratorINS9_10device_ptrIyEEEEPS5_jNS1_19radix_merge_compareILb0ELb0EyNS0_19identity_decomposerEEEEE10hipError_tT0_T1_T2_jT3_P12ihipStream_tbPNSt15iterator_traitsISK_E10value_typeEPNSQ_ISL_E10value_typeEPSM_NS1_7vsmem_tEENKUlT_SK_SL_SM_E_clISE_PySF_SF_EESJ_SZ_SK_SL_SM_EUlSZ_E1_NS1_11comp_targetILNS1_3genE2ELNS1_11target_archE906ELNS1_3gpuE6ELNS1_3repE0EEENS1_36merge_oddeven_config_static_selectorELNS0_4arch9wavefront6targetE1EEEvSL_,comdat
	.protected	_ZN7rocprim17ROCPRIM_400000_NS6detail17trampoline_kernelINS0_14default_configENS1_38merge_sort_block_merge_config_selectorIyNS0_10empty_typeEEEZZNS1_27merge_sort_block_merge_implIS3_N6thrust23THRUST_200600_302600_NS6detail15normal_iteratorINS9_10device_ptrIyEEEEPS5_jNS1_19radix_merge_compareILb0ELb0EyNS0_19identity_decomposerEEEEE10hipError_tT0_T1_T2_jT3_P12ihipStream_tbPNSt15iterator_traitsISK_E10value_typeEPNSQ_ISL_E10value_typeEPSM_NS1_7vsmem_tEENKUlT_SK_SL_SM_E_clISE_PySF_SF_EESJ_SZ_SK_SL_SM_EUlSZ_E1_NS1_11comp_targetILNS1_3genE2ELNS1_11target_archE906ELNS1_3gpuE6ELNS1_3repE0EEENS1_36merge_oddeven_config_static_selectorELNS0_4arch9wavefront6targetE1EEEvSL_ ; -- Begin function _ZN7rocprim17ROCPRIM_400000_NS6detail17trampoline_kernelINS0_14default_configENS1_38merge_sort_block_merge_config_selectorIyNS0_10empty_typeEEEZZNS1_27merge_sort_block_merge_implIS3_N6thrust23THRUST_200600_302600_NS6detail15normal_iteratorINS9_10device_ptrIyEEEEPS5_jNS1_19radix_merge_compareILb0ELb0EyNS0_19identity_decomposerEEEEE10hipError_tT0_T1_T2_jT3_P12ihipStream_tbPNSt15iterator_traitsISK_E10value_typeEPNSQ_ISL_E10value_typeEPSM_NS1_7vsmem_tEENKUlT_SK_SL_SM_E_clISE_PySF_SF_EESJ_SZ_SK_SL_SM_EUlSZ_E1_NS1_11comp_targetILNS1_3genE2ELNS1_11target_archE906ELNS1_3gpuE6ELNS1_3repE0EEENS1_36merge_oddeven_config_static_selectorELNS0_4arch9wavefront6targetE1EEEvSL_
	.globl	_ZN7rocprim17ROCPRIM_400000_NS6detail17trampoline_kernelINS0_14default_configENS1_38merge_sort_block_merge_config_selectorIyNS0_10empty_typeEEEZZNS1_27merge_sort_block_merge_implIS3_N6thrust23THRUST_200600_302600_NS6detail15normal_iteratorINS9_10device_ptrIyEEEEPS5_jNS1_19radix_merge_compareILb0ELb0EyNS0_19identity_decomposerEEEEE10hipError_tT0_T1_T2_jT3_P12ihipStream_tbPNSt15iterator_traitsISK_E10value_typeEPNSQ_ISL_E10value_typeEPSM_NS1_7vsmem_tEENKUlT_SK_SL_SM_E_clISE_PySF_SF_EESJ_SZ_SK_SL_SM_EUlSZ_E1_NS1_11comp_targetILNS1_3genE2ELNS1_11target_archE906ELNS1_3gpuE6ELNS1_3repE0EEENS1_36merge_oddeven_config_static_selectorELNS0_4arch9wavefront6targetE1EEEvSL_
	.p2align	8
	.type	_ZN7rocprim17ROCPRIM_400000_NS6detail17trampoline_kernelINS0_14default_configENS1_38merge_sort_block_merge_config_selectorIyNS0_10empty_typeEEEZZNS1_27merge_sort_block_merge_implIS3_N6thrust23THRUST_200600_302600_NS6detail15normal_iteratorINS9_10device_ptrIyEEEEPS5_jNS1_19radix_merge_compareILb0ELb0EyNS0_19identity_decomposerEEEEE10hipError_tT0_T1_T2_jT3_P12ihipStream_tbPNSt15iterator_traitsISK_E10value_typeEPNSQ_ISL_E10value_typeEPSM_NS1_7vsmem_tEENKUlT_SK_SL_SM_E_clISE_PySF_SF_EESJ_SZ_SK_SL_SM_EUlSZ_E1_NS1_11comp_targetILNS1_3genE2ELNS1_11target_archE906ELNS1_3gpuE6ELNS1_3repE0EEENS1_36merge_oddeven_config_static_selectorELNS0_4arch9wavefront6targetE1EEEvSL_,@function
_ZN7rocprim17ROCPRIM_400000_NS6detail17trampoline_kernelINS0_14default_configENS1_38merge_sort_block_merge_config_selectorIyNS0_10empty_typeEEEZZNS1_27merge_sort_block_merge_implIS3_N6thrust23THRUST_200600_302600_NS6detail15normal_iteratorINS9_10device_ptrIyEEEEPS5_jNS1_19radix_merge_compareILb0ELb0EyNS0_19identity_decomposerEEEEE10hipError_tT0_T1_T2_jT3_P12ihipStream_tbPNSt15iterator_traitsISK_E10value_typeEPNSQ_ISL_E10value_typeEPSM_NS1_7vsmem_tEENKUlT_SK_SL_SM_E_clISE_PySF_SF_EESJ_SZ_SK_SL_SM_EUlSZ_E1_NS1_11comp_targetILNS1_3genE2ELNS1_11target_archE906ELNS1_3gpuE6ELNS1_3repE0EEENS1_36merge_oddeven_config_static_selectorELNS0_4arch9wavefront6targetE1EEEvSL_: ; @_ZN7rocprim17ROCPRIM_400000_NS6detail17trampoline_kernelINS0_14default_configENS1_38merge_sort_block_merge_config_selectorIyNS0_10empty_typeEEEZZNS1_27merge_sort_block_merge_implIS3_N6thrust23THRUST_200600_302600_NS6detail15normal_iteratorINS9_10device_ptrIyEEEEPS5_jNS1_19radix_merge_compareILb0ELb0EyNS0_19identity_decomposerEEEEE10hipError_tT0_T1_T2_jT3_P12ihipStream_tbPNSt15iterator_traitsISK_E10value_typeEPNSQ_ISL_E10value_typeEPSM_NS1_7vsmem_tEENKUlT_SK_SL_SM_E_clISE_PySF_SF_EESJ_SZ_SK_SL_SM_EUlSZ_E1_NS1_11comp_targetILNS1_3genE2ELNS1_11target_archE906ELNS1_3gpuE6ELNS1_3repE0EEENS1_36merge_oddeven_config_static_selectorELNS0_4arch9wavefront6targetE1EEEvSL_
; %bb.0:
	.section	.rodata,"a",@progbits
	.p2align	6, 0x0
	.amdhsa_kernel _ZN7rocprim17ROCPRIM_400000_NS6detail17trampoline_kernelINS0_14default_configENS1_38merge_sort_block_merge_config_selectorIyNS0_10empty_typeEEEZZNS1_27merge_sort_block_merge_implIS3_N6thrust23THRUST_200600_302600_NS6detail15normal_iteratorINS9_10device_ptrIyEEEEPS5_jNS1_19radix_merge_compareILb0ELb0EyNS0_19identity_decomposerEEEEE10hipError_tT0_T1_T2_jT3_P12ihipStream_tbPNSt15iterator_traitsISK_E10value_typeEPNSQ_ISL_E10value_typeEPSM_NS1_7vsmem_tEENKUlT_SK_SL_SM_E_clISE_PySF_SF_EESJ_SZ_SK_SL_SM_EUlSZ_E1_NS1_11comp_targetILNS1_3genE2ELNS1_11target_archE906ELNS1_3gpuE6ELNS1_3repE0EEENS1_36merge_oddeven_config_static_selectorELNS0_4arch9wavefront6targetE1EEEvSL_
		.amdhsa_group_segment_fixed_size 0
		.amdhsa_private_segment_fixed_size 0
		.amdhsa_kernarg_size 48
		.amdhsa_user_sgpr_count 6
		.amdhsa_user_sgpr_private_segment_buffer 1
		.amdhsa_user_sgpr_dispatch_ptr 0
		.amdhsa_user_sgpr_queue_ptr 0
		.amdhsa_user_sgpr_kernarg_segment_ptr 1
		.amdhsa_user_sgpr_dispatch_id 0
		.amdhsa_user_sgpr_flat_scratch_init 0
		.amdhsa_user_sgpr_kernarg_preload_length 0
		.amdhsa_user_sgpr_kernarg_preload_offset 0
		.amdhsa_user_sgpr_private_segment_size 0
		.amdhsa_uses_dynamic_stack 0
		.amdhsa_system_sgpr_private_segment_wavefront_offset 0
		.amdhsa_system_sgpr_workgroup_id_x 1
		.amdhsa_system_sgpr_workgroup_id_y 0
		.amdhsa_system_sgpr_workgroup_id_z 0
		.amdhsa_system_sgpr_workgroup_info 0
		.amdhsa_system_vgpr_workitem_id 0
		.amdhsa_next_free_vgpr 1
		.amdhsa_next_free_sgpr 0
		.amdhsa_accum_offset 4
		.amdhsa_reserve_vcc 0
		.amdhsa_reserve_flat_scratch 0
		.amdhsa_float_round_mode_32 0
		.amdhsa_float_round_mode_16_64 0
		.amdhsa_float_denorm_mode_32 3
		.amdhsa_float_denorm_mode_16_64 3
		.amdhsa_dx10_clamp 1
		.amdhsa_ieee_mode 1
		.amdhsa_fp16_overflow 0
		.amdhsa_tg_split 0
		.amdhsa_exception_fp_ieee_invalid_op 0
		.amdhsa_exception_fp_denorm_src 0
		.amdhsa_exception_fp_ieee_div_zero 0
		.amdhsa_exception_fp_ieee_overflow 0
		.amdhsa_exception_fp_ieee_underflow 0
		.amdhsa_exception_fp_ieee_inexact 0
		.amdhsa_exception_int_div_zero 0
	.end_amdhsa_kernel
	.section	.text._ZN7rocprim17ROCPRIM_400000_NS6detail17trampoline_kernelINS0_14default_configENS1_38merge_sort_block_merge_config_selectorIyNS0_10empty_typeEEEZZNS1_27merge_sort_block_merge_implIS3_N6thrust23THRUST_200600_302600_NS6detail15normal_iteratorINS9_10device_ptrIyEEEEPS5_jNS1_19radix_merge_compareILb0ELb0EyNS0_19identity_decomposerEEEEE10hipError_tT0_T1_T2_jT3_P12ihipStream_tbPNSt15iterator_traitsISK_E10value_typeEPNSQ_ISL_E10value_typeEPSM_NS1_7vsmem_tEENKUlT_SK_SL_SM_E_clISE_PySF_SF_EESJ_SZ_SK_SL_SM_EUlSZ_E1_NS1_11comp_targetILNS1_3genE2ELNS1_11target_archE906ELNS1_3gpuE6ELNS1_3repE0EEENS1_36merge_oddeven_config_static_selectorELNS0_4arch9wavefront6targetE1EEEvSL_,"axG",@progbits,_ZN7rocprim17ROCPRIM_400000_NS6detail17trampoline_kernelINS0_14default_configENS1_38merge_sort_block_merge_config_selectorIyNS0_10empty_typeEEEZZNS1_27merge_sort_block_merge_implIS3_N6thrust23THRUST_200600_302600_NS6detail15normal_iteratorINS9_10device_ptrIyEEEEPS5_jNS1_19radix_merge_compareILb0ELb0EyNS0_19identity_decomposerEEEEE10hipError_tT0_T1_T2_jT3_P12ihipStream_tbPNSt15iterator_traitsISK_E10value_typeEPNSQ_ISL_E10value_typeEPSM_NS1_7vsmem_tEENKUlT_SK_SL_SM_E_clISE_PySF_SF_EESJ_SZ_SK_SL_SM_EUlSZ_E1_NS1_11comp_targetILNS1_3genE2ELNS1_11target_archE906ELNS1_3gpuE6ELNS1_3repE0EEENS1_36merge_oddeven_config_static_selectorELNS0_4arch9wavefront6targetE1EEEvSL_,comdat
.Lfunc_end769:
	.size	_ZN7rocprim17ROCPRIM_400000_NS6detail17trampoline_kernelINS0_14default_configENS1_38merge_sort_block_merge_config_selectorIyNS0_10empty_typeEEEZZNS1_27merge_sort_block_merge_implIS3_N6thrust23THRUST_200600_302600_NS6detail15normal_iteratorINS9_10device_ptrIyEEEEPS5_jNS1_19radix_merge_compareILb0ELb0EyNS0_19identity_decomposerEEEEE10hipError_tT0_T1_T2_jT3_P12ihipStream_tbPNSt15iterator_traitsISK_E10value_typeEPNSQ_ISL_E10value_typeEPSM_NS1_7vsmem_tEENKUlT_SK_SL_SM_E_clISE_PySF_SF_EESJ_SZ_SK_SL_SM_EUlSZ_E1_NS1_11comp_targetILNS1_3genE2ELNS1_11target_archE906ELNS1_3gpuE6ELNS1_3repE0EEENS1_36merge_oddeven_config_static_selectorELNS0_4arch9wavefront6targetE1EEEvSL_, .Lfunc_end769-_ZN7rocprim17ROCPRIM_400000_NS6detail17trampoline_kernelINS0_14default_configENS1_38merge_sort_block_merge_config_selectorIyNS0_10empty_typeEEEZZNS1_27merge_sort_block_merge_implIS3_N6thrust23THRUST_200600_302600_NS6detail15normal_iteratorINS9_10device_ptrIyEEEEPS5_jNS1_19radix_merge_compareILb0ELb0EyNS0_19identity_decomposerEEEEE10hipError_tT0_T1_T2_jT3_P12ihipStream_tbPNSt15iterator_traitsISK_E10value_typeEPNSQ_ISL_E10value_typeEPSM_NS1_7vsmem_tEENKUlT_SK_SL_SM_E_clISE_PySF_SF_EESJ_SZ_SK_SL_SM_EUlSZ_E1_NS1_11comp_targetILNS1_3genE2ELNS1_11target_archE906ELNS1_3gpuE6ELNS1_3repE0EEENS1_36merge_oddeven_config_static_selectorELNS0_4arch9wavefront6targetE1EEEvSL_
                                        ; -- End function
	.section	.AMDGPU.csdata,"",@progbits
; Kernel info:
; codeLenInByte = 0
; NumSgprs: 4
; NumVgprs: 0
; NumAgprs: 0
; TotalNumVgprs: 0
; ScratchSize: 0
; MemoryBound: 0
; FloatMode: 240
; IeeeMode: 1
; LDSByteSize: 0 bytes/workgroup (compile time only)
; SGPRBlocks: 0
; VGPRBlocks: 0
; NumSGPRsForWavesPerEU: 4
; NumVGPRsForWavesPerEU: 1
; AccumOffset: 4
; Occupancy: 8
; WaveLimiterHint : 0
; COMPUTE_PGM_RSRC2:SCRATCH_EN: 0
; COMPUTE_PGM_RSRC2:USER_SGPR: 6
; COMPUTE_PGM_RSRC2:TRAP_HANDLER: 0
; COMPUTE_PGM_RSRC2:TGID_X_EN: 1
; COMPUTE_PGM_RSRC2:TGID_Y_EN: 0
; COMPUTE_PGM_RSRC2:TGID_Z_EN: 0
; COMPUTE_PGM_RSRC2:TIDIG_COMP_CNT: 0
; COMPUTE_PGM_RSRC3_GFX90A:ACCUM_OFFSET: 0
; COMPUTE_PGM_RSRC3_GFX90A:TG_SPLIT: 0
	.section	.text._ZN7rocprim17ROCPRIM_400000_NS6detail17trampoline_kernelINS0_14default_configENS1_38merge_sort_block_merge_config_selectorIyNS0_10empty_typeEEEZZNS1_27merge_sort_block_merge_implIS3_N6thrust23THRUST_200600_302600_NS6detail15normal_iteratorINS9_10device_ptrIyEEEEPS5_jNS1_19radix_merge_compareILb0ELb0EyNS0_19identity_decomposerEEEEE10hipError_tT0_T1_T2_jT3_P12ihipStream_tbPNSt15iterator_traitsISK_E10value_typeEPNSQ_ISL_E10value_typeEPSM_NS1_7vsmem_tEENKUlT_SK_SL_SM_E_clISE_PySF_SF_EESJ_SZ_SK_SL_SM_EUlSZ_E1_NS1_11comp_targetILNS1_3genE9ELNS1_11target_archE1100ELNS1_3gpuE3ELNS1_3repE0EEENS1_36merge_oddeven_config_static_selectorELNS0_4arch9wavefront6targetE1EEEvSL_,"axG",@progbits,_ZN7rocprim17ROCPRIM_400000_NS6detail17trampoline_kernelINS0_14default_configENS1_38merge_sort_block_merge_config_selectorIyNS0_10empty_typeEEEZZNS1_27merge_sort_block_merge_implIS3_N6thrust23THRUST_200600_302600_NS6detail15normal_iteratorINS9_10device_ptrIyEEEEPS5_jNS1_19radix_merge_compareILb0ELb0EyNS0_19identity_decomposerEEEEE10hipError_tT0_T1_T2_jT3_P12ihipStream_tbPNSt15iterator_traitsISK_E10value_typeEPNSQ_ISL_E10value_typeEPSM_NS1_7vsmem_tEENKUlT_SK_SL_SM_E_clISE_PySF_SF_EESJ_SZ_SK_SL_SM_EUlSZ_E1_NS1_11comp_targetILNS1_3genE9ELNS1_11target_archE1100ELNS1_3gpuE3ELNS1_3repE0EEENS1_36merge_oddeven_config_static_selectorELNS0_4arch9wavefront6targetE1EEEvSL_,comdat
	.protected	_ZN7rocprim17ROCPRIM_400000_NS6detail17trampoline_kernelINS0_14default_configENS1_38merge_sort_block_merge_config_selectorIyNS0_10empty_typeEEEZZNS1_27merge_sort_block_merge_implIS3_N6thrust23THRUST_200600_302600_NS6detail15normal_iteratorINS9_10device_ptrIyEEEEPS5_jNS1_19radix_merge_compareILb0ELb0EyNS0_19identity_decomposerEEEEE10hipError_tT0_T1_T2_jT3_P12ihipStream_tbPNSt15iterator_traitsISK_E10value_typeEPNSQ_ISL_E10value_typeEPSM_NS1_7vsmem_tEENKUlT_SK_SL_SM_E_clISE_PySF_SF_EESJ_SZ_SK_SL_SM_EUlSZ_E1_NS1_11comp_targetILNS1_3genE9ELNS1_11target_archE1100ELNS1_3gpuE3ELNS1_3repE0EEENS1_36merge_oddeven_config_static_selectorELNS0_4arch9wavefront6targetE1EEEvSL_ ; -- Begin function _ZN7rocprim17ROCPRIM_400000_NS6detail17trampoline_kernelINS0_14default_configENS1_38merge_sort_block_merge_config_selectorIyNS0_10empty_typeEEEZZNS1_27merge_sort_block_merge_implIS3_N6thrust23THRUST_200600_302600_NS6detail15normal_iteratorINS9_10device_ptrIyEEEEPS5_jNS1_19radix_merge_compareILb0ELb0EyNS0_19identity_decomposerEEEEE10hipError_tT0_T1_T2_jT3_P12ihipStream_tbPNSt15iterator_traitsISK_E10value_typeEPNSQ_ISL_E10value_typeEPSM_NS1_7vsmem_tEENKUlT_SK_SL_SM_E_clISE_PySF_SF_EESJ_SZ_SK_SL_SM_EUlSZ_E1_NS1_11comp_targetILNS1_3genE9ELNS1_11target_archE1100ELNS1_3gpuE3ELNS1_3repE0EEENS1_36merge_oddeven_config_static_selectorELNS0_4arch9wavefront6targetE1EEEvSL_
	.globl	_ZN7rocprim17ROCPRIM_400000_NS6detail17trampoline_kernelINS0_14default_configENS1_38merge_sort_block_merge_config_selectorIyNS0_10empty_typeEEEZZNS1_27merge_sort_block_merge_implIS3_N6thrust23THRUST_200600_302600_NS6detail15normal_iteratorINS9_10device_ptrIyEEEEPS5_jNS1_19radix_merge_compareILb0ELb0EyNS0_19identity_decomposerEEEEE10hipError_tT0_T1_T2_jT3_P12ihipStream_tbPNSt15iterator_traitsISK_E10value_typeEPNSQ_ISL_E10value_typeEPSM_NS1_7vsmem_tEENKUlT_SK_SL_SM_E_clISE_PySF_SF_EESJ_SZ_SK_SL_SM_EUlSZ_E1_NS1_11comp_targetILNS1_3genE9ELNS1_11target_archE1100ELNS1_3gpuE3ELNS1_3repE0EEENS1_36merge_oddeven_config_static_selectorELNS0_4arch9wavefront6targetE1EEEvSL_
	.p2align	8
	.type	_ZN7rocprim17ROCPRIM_400000_NS6detail17trampoline_kernelINS0_14default_configENS1_38merge_sort_block_merge_config_selectorIyNS0_10empty_typeEEEZZNS1_27merge_sort_block_merge_implIS3_N6thrust23THRUST_200600_302600_NS6detail15normal_iteratorINS9_10device_ptrIyEEEEPS5_jNS1_19radix_merge_compareILb0ELb0EyNS0_19identity_decomposerEEEEE10hipError_tT0_T1_T2_jT3_P12ihipStream_tbPNSt15iterator_traitsISK_E10value_typeEPNSQ_ISL_E10value_typeEPSM_NS1_7vsmem_tEENKUlT_SK_SL_SM_E_clISE_PySF_SF_EESJ_SZ_SK_SL_SM_EUlSZ_E1_NS1_11comp_targetILNS1_3genE9ELNS1_11target_archE1100ELNS1_3gpuE3ELNS1_3repE0EEENS1_36merge_oddeven_config_static_selectorELNS0_4arch9wavefront6targetE1EEEvSL_,@function
_ZN7rocprim17ROCPRIM_400000_NS6detail17trampoline_kernelINS0_14default_configENS1_38merge_sort_block_merge_config_selectorIyNS0_10empty_typeEEEZZNS1_27merge_sort_block_merge_implIS3_N6thrust23THRUST_200600_302600_NS6detail15normal_iteratorINS9_10device_ptrIyEEEEPS5_jNS1_19radix_merge_compareILb0ELb0EyNS0_19identity_decomposerEEEEE10hipError_tT0_T1_T2_jT3_P12ihipStream_tbPNSt15iterator_traitsISK_E10value_typeEPNSQ_ISL_E10value_typeEPSM_NS1_7vsmem_tEENKUlT_SK_SL_SM_E_clISE_PySF_SF_EESJ_SZ_SK_SL_SM_EUlSZ_E1_NS1_11comp_targetILNS1_3genE9ELNS1_11target_archE1100ELNS1_3gpuE3ELNS1_3repE0EEENS1_36merge_oddeven_config_static_selectorELNS0_4arch9wavefront6targetE1EEEvSL_: ; @_ZN7rocprim17ROCPRIM_400000_NS6detail17trampoline_kernelINS0_14default_configENS1_38merge_sort_block_merge_config_selectorIyNS0_10empty_typeEEEZZNS1_27merge_sort_block_merge_implIS3_N6thrust23THRUST_200600_302600_NS6detail15normal_iteratorINS9_10device_ptrIyEEEEPS5_jNS1_19radix_merge_compareILb0ELb0EyNS0_19identity_decomposerEEEEE10hipError_tT0_T1_T2_jT3_P12ihipStream_tbPNSt15iterator_traitsISK_E10value_typeEPNSQ_ISL_E10value_typeEPSM_NS1_7vsmem_tEENKUlT_SK_SL_SM_E_clISE_PySF_SF_EESJ_SZ_SK_SL_SM_EUlSZ_E1_NS1_11comp_targetILNS1_3genE9ELNS1_11target_archE1100ELNS1_3gpuE3ELNS1_3repE0EEENS1_36merge_oddeven_config_static_selectorELNS0_4arch9wavefront6targetE1EEEvSL_
; %bb.0:
	.section	.rodata,"a",@progbits
	.p2align	6, 0x0
	.amdhsa_kernel _ZN7rocprim17ROCPRIM_400000_NS6detail17trampoline_kernelINS0_14default_configENS1_38merge_sort_block_merge_config_selectorIyNS0_10empty_typeEEEZZNS1_27merge_sort_block_merge_implIS3_N6thrust23THRUST_200600_302600_NS6detail15normal_iteratorINS9_10device_ptrIyEEEEPS5_jNS1_19radix_merge_compareILb0ELb0EyNS0_19identity_decomposerEEEEE10hipError_tT0_T1_T2_jT3_P12ihipStream_tbPNSt15iterator_traitsISK_E10value_typeEPNSQ_ISL_E10value_typeEPSM_NS1_7vsmem_tEENKUlT_SK_SL_SM_E_clISE_PySF_SF_EESJ_SZ_SK_SL_SM_EUlSZ_E1_NS1_11comp_targetILNS1_3genE9ELNS1_11target_archE1100ELNS1_3gpuE3ELNS1_3repE0EEENS1_36merge_oddeven_config_static_selectorELNS0_4arch9wavefront6targetE1EEEvSL_
		.amdhsa_group_segment_fixed_size 0
		.amdhsa_private_segment_fixed_size 0
		.amdhsa_kernarg_size 48
		.amdhsa_user_sgpr_count 6
		.amdhsa_user_sgpr_private_segment_buffer 1
		.amdhsa_user_sgpr_dispatch_ptr 0
		.amdhsa_user_sgpr_queue_ptr 0
		.amdhsa_user_sgpr_kernarg_segment_ptr 1
		.amdhsa_user_sgpr_dispatch_id 0
		.amdhsa_user_sgpr_flat_scratch_init 0
		.amdhsa_user_sgpr_kernarg_preload_length 0
		.amdhsa_user_sgpr_kernarg_preload_offset 0
		.amdhsa_user_sgpr_private_segment_size 0
		.amdhsa_uses_dynamic_stack 0
		.amdhsa_system_sgpr_private_segment_wavefront_offset 0
		.amdhsa_system_sgpr_workgroup_id_x 1
		.amdhsa_system_sgpr_workgroup_id_y 0
		.amdhsa_system_sgpr_workgroup_id_z 0
		.amdhsa_system_sgpr_workgroup_info 0
		.amdhsa_system_vgpr_workitem_id 0
		.amdhsa_next_free_vgpr 1
		.amdhsa_next_free_sgpr 0
		.amdhsa_accum_offset 4
		.amdhsa_reserve_vcc 0
		.amdhsa_reserve_flat_scratch 0
		.amdhsa_float_round_mode_32 0
		.amdhsa_float_round_mode_16_64 0
		.amdhsa_float_denorm_mode_32 3
		.amdhsa_float_denorm_mode_16_64 3
		.amdhsa_dx10_clamp 1
		.amdhsa_ieee_mode 1
		.amdhsa_fp16_overflow 0
		.amdhsa_tg_split 0
		.amdhsa_exception_fp_ieee_invalid_op 0
		.amdhsa_exception_fp_denorm_src 0
		.amdhsa_exception_fp_ieee_div_zero 0
		.amdhsa_exception_fp_ieee_overflow 0
		.amdhsa_exception_fp_ieee_underflow 0
		.amdhsa_exception_fp_ieee_inexact 0
		.amdhsa_exception_int_div_zero 0
	.end_amdhsa_kernel
	.section	.text._ZN7rocprim17ROCPRIM_400000_NS6detail17trampoline_kernelINS0_14default_configENS1_38merge_sort_block_merge_config_selectorIyNS0_10empty_typeEEEZZNS1_27merge_sort_block_merge_implIS3_N6thrust23THRUST_200600_302600_NS6detail15normal_iteratorINS9_10device_ptrIyEEEEPS5_jNS1_19radix_merge_compareILb0ELb0EyNS0_19identity_decomposerEEEEE10hipError_tT0_T1_T2_jT3_P12ihipStream_tbPNSt15iterator_traitsISK_E10value_typeEPNSQ_ISL_E10value_typeEPSM_NS1_7vsmem_tEENKUlT_SK_SL_SM_E_clISE_PySF_SF_EESJ_SZ_SK_SL_SM_EUlSZ_E1_NS1_11comp_targetILNS1_3genE9ELNS1_11target_archE1100ELNS1_3gpuE3ELNS1_3repE0EEENS1_36merge_oddeven_config_static_selectorELNS0_4arch9wavefront6targetE1EEEvSL_,"axG",@progbits,_ZN7rocprim17ROCPRIM_400000_NS6detail17trampoline_kernelINS0_14default_configENS1_38merge_sort_block_merge_config_selectorIyNS0_10empty_typeEEEZZNS1_27merge_sort_block_merge_implIS3_N6thrust23THRUST_200600_302600_NS6detail15normal_iteratorINS9_10device_ptrIyEEEEPS5_jNS1_19radix_merge_compareILb0ELb0EyNS0_19identity_decomposerEEEEE10hipError_tT0_T1_T2_jT3_P12ihipStream_tbPNSt15iterator_traitsISK_E10value_typeEPNSQ_ISL_E10value_typeEPSM_NS1_7vsmem_tEENKUlT_SK_SL_SM_E_clISE_PySF_SF_EESJ_SZ_SK_SL_SM_EUlSZ_E1_NS1_11comp_targetILNS1_3genE9ELNS1_11target_archE1100ELNS1_3gpuE3ELNS1_3repE0EEENS1_36merge_oddeven_config_static_selectorELNS0_4arch9wavefront6targetE1EEEvSL_,comdat
.Lfunc_end770:
	.size	_ZN7rocprim17ROCPRIM_400000_NS6detail17trampoline_kernelINS0_14default_configENS1_38merge_sort_block_merge_config_selectorIyNS0_10empty_typeEEEZZNS1_27merge_sort_block_merge_implIS3_N6thrust23THRUST_200600_302600_NS6detail15normal_iteratorINS9_10device_ptrIyEEEEPS5_jNS1_19radix_merge_compareILb0ELb0EyNS0_19identity_decomposerEEEEE10hipError_tT0_T1_T2_jT3_P12ihipStream_tbPNSt15iterator_traitsISK_E10value_typeEPNSQ_ISL_E10value_typeEPSM_NS1_7vsmem_tEENKUlT_SK_SL_SM_E_clISE_PySF_SF_EESJ_SZ_SK_SL_SM_EUlSZ_E1_NS1_11comp_targetILNS1_3genE9ELNS1_11target_archE1100ELNS1_3gpuE3ELNS1_3repE0EEENS1_36merge_oddeven_config_static_selectorELNS0_4arch9wavefront6targetE1EEEvSL_, .Lfunc_end770-_ZN7rocprim17ROCPRIM_400000_NS6detail17trampoline_kernelINS0_14default_configENS1_38merge_sort_block_merge_config_selectorIyNS0_10empty_typeEEEZZNS1_27merge_sort_block_merge_implIS3_N6thrust23THRUST_200600_302600_NS6detail15normal_iteratorINS9_10device_ptrIyEEEEPS5_jNS1_19radix_merge_compareILb0ELb0EyNS0_19identity_decomposerEEEEE10hipError_tT0_T1_T2_jT3_P12ihipStream_tbPNSt15iterator_traitsISK_E10value_typeEPNSQ_ISL_E10value_typeEPSM_NS1_7vsmem_tEENKUlT_SK_SL_SM_E_clISE_PySF_SF_EESJ_SZ_SK_SL_SM_EUlSZ_E1_NS1_11comp_targetILNS1_3genE9ELNS1_11target_archE1100ELNS1_3gpuE3ELNS1_3repE0EEENS1_36merge_oddeven_config_static_selectorELNS0_4arch9wavefront6targetE1EEEvSL_
                                        ; -- End function
	.section	.AMDGPU.csdata,"",@progbits
; Kernel info:
; codeLenInByte = 0
; NumSgprs: 4
; NumVgprs: 0
; NumAgprs: 0
; TotalNumVgprs: 0
; ScratchSize: 0
; MemoryBound: 0
; FloatMode: 240
; IeeeMode: 1
; LDSByteSize: 0 bytes/workgroup (compile time only)
; SGPRBlocks: 0
; VGPRBlocks: 0
; NumSGPRsForWavesPerEU: 4
; NumVGPRsForWavesPerEU: 1
; AccumOffset: 4
; Occupancy: 8
; WaveLimiterHint : 0
; COMPUTE_PGM_RSRC2:SCRATCH_EN: 0
; COMPUTE_PGM_RSRC2:USER_SGPR: 6
; COMPUTE_PGM_RSRC2:TRAP_HANDLER: 0
; COMPUTE_PGM_RSRC2:TGID_X_EN: 1
; COMPUTE_PGM_RSRC2:TGID_Y_EN: 0
; COMPUTE_PGM_RSRC2:TGID_Z_EN: 0
; COMPUTE_PGM_RSRC2:TIDIG_COMP_CNT: 0
; COMPUTE_PGM_RSRC3_GFX90A:ACCUM_OFFSET: 0
; COMPUTE_PGM_RSRC3_GFX90A:TG_SPLIT: 0
	.section	.text._ZN7rocprim17ROCPRIM_400000_NS6detail17trampoline_kernelINS0_14default_configENS1_38merge_sort_block_merge_config_selectorIyNS0_10empty_typeEEEZZNS1_27merge_sort_block_merge_implIS3_N6thrust23THRUST_200600_302600_NS6detail15normal_iteratorINS9_10device_ptrIyEEEEPS5_jNS1_19radix_merge_compareILb0ELb0EyNS0_19identity_decomposerEEEEE10hipError_tT0_T1_T2_jT3_P12ihipStream_tbPNSt15iterator_traitsISK_E10value_typeEPNSQ_ISL_E10value_typeEPSM_NS1_7vsmem_tEENKUlT_SK_SL_SM_E_clISE_PySF_SF_EESJ_SZ_SK_SL_SM_EUlSZ_E1_NS1_11comp_targetILNS1_3genE8ELNS1_11target_archE1030ELNS1_3gpuE2ELNS1_3repE0EEENS1_36merge_oddeven_config_static_selectorELNS0_4arch9wavefront6targetE1EEEvSL_,"axG",@progbits,_ZN7rocprim17ROCPRIM_400000_NS6detail17trampoline_kernelINS0_14default_configENS1_38merge_sort_block_merge_config_selectorIyNS0_10empty_typeEEEZZNS1_27merge_sort_block_merge_implIS3_N6thrust23THRUST_200600_302600_NS6detail15normal_iteratorINS9_10device_ptrIyEEEEPS5_jNS1_19radix_merge_compareILb0ELb0EyNS0_19identity_decomposerEEEEE10hipError_tT0_T1_T2_jT3_P12ihipStream_tbPNSt15iterator_traitsISK_E10value_typeEPNSQ_ISL_E10value_typeEPSM_NS1_7vsmem_tEENKUlT_SK_SL_SM_E_clISE_PySF_SF_EESJ_SZ_SK_SL_SM_EUlSZ_E1_NS1_11comp_targetILNS1_3genE8ELNS1_11target_archE1030ELNS1_3gpuE2ELNS1_3repE0EEENS1_36merge_oddeven_config_static_selectorELNS0_4arch9wavefront6targetE1EEEvSL_,comdat
	.protected	_ZN7rocprim17ROCPRIM_400000_NS6detail17trampoline_kernelINS0_14default_configENS1_38merge_sort_block_merge_config_selectorIyNS0_10empty_typeEEEZZNS1_27merge_sort_block_merge_implIS3_N6thrust23THRUST_200600_302600_NS6detail15normal_iteratorINS9_10device_ptrIyEEEEPS5_jNS1_19radix_merge_compareILb0ELb0EyNS0_19identity_decomposerEEEEE10hipError_tT0_T1_T2_jT3_P12ihipStream_tbPNSt15iterator_traitsISK_E10value_typeEPNSQ_ISL_E10value_typeEPSM_NS1_7vsmem_tEENKUlT_SK_SL_SM_E_clISE_PySF_SF_EESJ_SZ_SK_SL_SM_EUlSZ_E1_NS1_11comp_targetILNS1_3genE8ELNS1_11target_archE1030ELNS1_3gpuE2ELNS1_3repE0EEENS1_36merge_oddeven_config_static_selectorELNS0_4arch9wavefront6targetE1EEEvSL_ ; -- Begin function _ZN7rocprim17ROCPRIM_400000_NS6detail17trampoline_kernelINS0_14default_configENS1_38merge_sort_block_merge_config_selectorIyNS0_10empty_typeEEEZZNS1_27merge_sort_block_merge_implIS3_N6thrust23THRUST_200600_302600_NS6detail15normal_iteratorINS9_10device_ptrIyEEEEPS5_jNS1_19radix_merge_compareILb0ELb0EyNS0_19identity_decomposerEEEEE10hipError_tT0_T1_T2_jT3_P12ihipStream_tbPNSt15iterator_traitsISK_E10value_typeEPNSQ_ISL_E10value_typeEPSM_NS1_7vsmem_tEENKUlT_SK_SL_SM_E_clISE_PySF_SF_EESJ_SZ_SK_SL_SM_EUlSZ_E1_NS1_11comp_targetILNS1_3genE8ELNS1_11target_archE1030ELNS1_3gpuE2ELNS1_3repE0EEENS1_36merge_oddeven_config_static_selectorELNS0_4arch9wavefront6targetE1EEEvSL_
	.globl	_ZN7rocprim17ROCPRIM_400000_NS6detail17trampoline_kernelINS0_14default_configENS1_38merge_sort_block_merge_config_selectorIyNS0_10empty_typeEEEZZNS1_27merge_sort_block_merge_implIS3_N6thrust23THRUST_200600_302600_NS6detail15normal_iteratorINS9_10device_ptrIyEEEEPS5_jNS1_19radix_merge_compareILb0ELb0EyNS0_19identity_decomposerEEEEE10hipError_tT0_T1_T2_jT3_P12ihipStream_tbPNSt15iterator_traitsISK_E10value_typeEPNSQ_ISL_E10value_typeEPSM_NS1_7vsmem_tEENKUlT_SK_SL_SM_E_clISE_PySF_SF_EESJ_SZ_SK_SL_SM_EUlSZ_E1_NS1_11comp_targetILNS1_3genE8ELNS1_11target_archE1030ELNS1_3gpuE2ELNS1_3repE0EEENS1_36merge_oddeven_config_static_selectorELNS0_4arch9wavefront6targetE1EEEvSL_
	.p2align	8
	.type	_ZN7rocprim17ROCPRIM_400000_NS6detail17trampoline_kernelINS0_14default_configENS1_38merge_sort_block_merge_config_selectorIyNS0_10empty_typeEEEZZNS1_27merge_sort_block_merge_implIS3_N6thrust23THRUST_200600_302600_NS6detail15normal_iteratorINS9_10device_ptrIyEEEEPS5_jNS1_19radix_merge_compareILb0ELb0EyNS0_19identity_decomposerEEEEE10hipError_tT0_T1_T2_jT3_P12ihipStream_tbPNSt15iterator_traitsISK_E10value_typeEPNSQ_ISL_E10value_typeEPSM_NS1_7vsmem_tEENKUlT_SK_SL_SM_E_clISE_PySF_SF_EESJ_SZ_SK_SL_SM_EUlSZ_E1_NS1_11comp_targetILNS1_3genE8ELNS1_11target_archE1030ELNS1_3gpuE2ELNS1_3repE0EEENS1_36merge_oddeven_config_static_selectorELNS0_4arch9wavefront6targetE1EEEvSL_,@function
_ZN7rocprim17ROCPRIM_400000_NS6detail17trampoline_kernelINS0_14default_configENS1_38merge_sort_block_merge_config_selectorIyNS0_10empty_typeEEEZZNS1_27merge_sort_block_merge_implIS3_N6thrust23THRUST_200600_302600_NS6detail15normal_iteratorINS9_10device_ptrIyEEEEPS5_jNS1_19radix_merge_compareILb0ELb0EyNS0_19identity_decomposerEEEEE10hipError_tT0_T1_T2_jT3_P12ihipStream_tbPNSt15iterator_traitsISK_E10value_typeEPNSQ_ISL_E10value_typeEPSM_NS1_7vsmem_tEENKUlT_SK_SL_SM_E_clISE_PySF_SF_EESJ_SZ_SK_SL_SM_EUlSZ_E1_NS1_11comp_targetILNS1_3genE8ELNS1_11target_archE1030ELNS1_3gpuE2ELNS1_3repE0EEENS1_36merge_oddeven_config_static_selectorELNS0_4arch9wavefront6targetE1EEEvSL_: ; @_ZN7rocprim17ROCPRIM_400000_NS6detail17trampoline_kernelINS0_14default_configENS1_38merge_sort_block_merge_config_selectorIyNS0_10empty_typeEEEZZNS1_27merge_sort_block_merge_implIS3_N6thrust23THRUST_200600_302600_NS6detail15normal_iteratorINS9_10device_ptrIyEEEEPS5_jNS1_19radix_merge_compareILb0ELb0EyNS0_19identity_decomposerEEEEE10hipError_tT0_T1_T2_jT3_P12ihipStream_tbPNSt15iterator_traitsISK_E10value_typeEPNSQ_ISL_E10value_typeEPSM_NS1_7vsmem_tEENKUlT_SK_SL_SM_E_clISE_PySF_SF_EESJ_SZ_SK_SL_SM_EUlSZ_E1_NS1_11comp_targetILNS1_3genE8ELNS1_11target_archE1030ELNS1_3gpuE2ELNS1_3repE0EEENS1_36merge_oddeven_config_static_selectorELNS0_4arch9wavefront6targetE1EEEvSL_
; %bb.0:
	.section	.rodata,"a",@progbits
	.p2align	6, 0x0
	.amdhsa_kernel _ZN7rocprim17ROCPRIM_400000_NS6detail17trampoline_kernelINS0_14default_configENS1_38merge_sort_block_merge_config_selectorIyNS0_10empty_typeEEEZZNS1_27merge_sort_block_merge_implIS3_N6thrust23THRUST_200600_302600_NS6detail15normal_iteratorINS9_10device_ptrIyEEEEPS5_jNS1_19radix_merge_compareILb0ELb0EyNS0_19identity_decomposerEEEEE10hipError_tT0_T1_T2_jT3_P12ihipStream_tbPNSt15iterator_traitsISK_E10value_typeEPNSQ_ISL_E10value_typeEPSM_NS1_7vsmem_tEENKUlT_SK_SL_SM_E_clISE_PySF_SF_EESJ_SZ_SK_SL_SM_EUlSZ_E1_NS1_11comp_targetILNS1_3genE8ELNS1_11target_archE1030ELNS1_3gpuE2ELNS1_3repE0EEENS1_36merge_oddeven_config_static_selectorELNS0_4arch9wavefront6targetE1EEEvSL_
		.amdhsa_group_segment_fixed_size 0
		.amdhsa_private_segment_fixed_size 0
		.amdhsa_kernarg_size 48
		.amdhsa_user_sgpr_count 6
		.amdhsa_user_sgpr_private_segment_buffer 1
		.amdhsa_user_sgpr_dispatch_ptr 0
		.amdhsa_user_sgpr_queue_ptr 0
		.amdhsa_user_sgpr_kernarg_segment_ptr 1
		.amdhsa_user_sgpr_dispatch_id 0
		.amdhsa_user_sgpr_flat_scratch_init 0
		.amdhsa_user_sgpr_kernarg_preload_length 0
		.amdhsa_user_sgpr_kernarg_preload_offset 0
		.amdhsa_user_sgpr_private_segment_size 0
		.amdhsa_uses_dynamic_stack 0
		.amdhsa_system_sgpr_private_segment_wavefront_offset 0
		.amdhsa_system_sgpr_workgroup_id_x 1
		.amdhsa_system_sgpr_workgroup_id_y 0
		.amdhsa_system_sgpr_workgroup_id_z 0
		.amdhsa_system_sgpr_workgroup_info 0
		.amdhsa_system_vgpr_workitem_id 0
		.amdhsa_next_free_vgpr 1
		.amdhsa_next_free_sgpr 0
		.amdhsa_accum_offset 4
		.amdhsa_reserve_vcc 0
		.amdhsa_reserve_flat_scratch 0
		.amdhsa_float_round_mode_32 0
		.amdhsa_float_round_mode_16_64 0
		.amdhsa_float_denorm_mode_32 3
		.amdhsa_float_denorm_mode_16_64 3
		.amdhsa_dx10_clamp 1
		.amdhsa_ieee_mode 1
		.amdhsa_fp16_overflow 0
		.amdhsa_tg_split 0
		.amdhsa_exception_fp_ieee_invalid_op 0
		.amdhsa_exception_fp_denorm_src 0
		.amdhsa_exception_fp_ieee_div_zero 0
		.amdhsa_exception_fp_ieee_overflow 0
		.amdhsa_exception_fp_ieee_underflow 0
		.amdhsa_exception_fp_ieee_inexact 0
		.amdhsa_exception_int_div_zero 0
	.end_amdhsa_kernel
	.section	.text._ZN7rocprim17ROCPRIM_400000_NS6detail17trampoline_kernelINS0_14default_configENS1_38merge_sort_block_merge_config_selectorIyNS0_10empty_typeEEEZZNS1_27merge_sort_block_merge_implIS3_N6thrust23THRUST_200600_302600_NS6detail15normal_iteratorINS9_10device_ptrIyEEEEPS5_jNS1_19radix_merge_compareILb0ELb0EyNS0_19identity_decomposerEEEEE10hipError_tT0_T1_T2_jT3_P12ihipStream_tbPNSt15iterator_traitsISK_E10value_typeEPNSQ_ISL_E10value_typeEPSM_NS1_7vsmem_tEENKUlT_SK_SL_SM_E_clISE_PySF_SF_EESJ_SZ_SK_SL_SM_EUlSZ_E1_NS1_11comp_targetILNS1_3genE8ELNS1_11target_archE1030ELNS1_3gpuE2ELNS1_3repE0EEENS1_36merge_oddeven_config_static_selectorELNS0_4arch9wavefront6targetE1EEEvSL_,"axG",@progbits,_ZN7rocprim17ROCPRIM_400000_NS6detail17trampoline_kernelINS0_14default_configENS1_38merge_sort_block_merge_config_selectorIyNS0_10empty_typeEEEZZNS1_27merge_sort_block_merge_implIS3_N6thrust23THRUST_200600_302600_NS6detail15normal_iteratorINS9_10device_ptrIyEEEEPS5_jNS1_19radix_merge_compareILb0ELb0EyNS0_19identity_decomposerEEEEE10hipError_tT0_T1_T2_jT3_P12ihipStream_tbPNSt15iterator_traitsISK_E10value_typeEPNSQ_ISL_E10value_typeEPSM_NS1_7vsmem_tEENKUlT_SK_SL_SM_E_clISE_PySF_SF_EESJ_SZ_SK_SL_SM_EUlSZ_E1_NS1_11comp_targetILNS1_3genE8ELNS1_11target_archE1030ELNS1_3gpuE2ELNS1_3repE0EEENS1_36merge_oddeven_config_static_selectorELNS0_4arch9wavefront6targetE1EEEvSL_,comdat
.Lfunc_end771:
	.size	_ZN7rocprim17ROCPRIM_400000_NS6detail17trampoline_kernelINS0_14default_configENS1_38merge_sort_block_merge_config_selectorIyNS0_10empty_typeEEEZZNS1_27merge_sort_block_merge_implIS3_N6thrust23THRUST_200600_302600_NS6detail15normal_iteratorINS9_10device_ptrIyEEEEPS5_jNS1_19radix_merge_compareILb0ELb0EyNS0_19identity_decomposerEEEEE10hipError_tT0_T1_T2_jT3_P12ihipStream_tbPNSt15iterator_traitsISK_E10value_typeEPNSQ_ISL_E10value_typeEPSM_NS1_7vsmem_tEENKUlT_SK_SL_SM_E_clISE_PySF_SF_EESJ_SZ_SK_SL_SM_EUlSZ_E1_NS1_11comp_targetILNS1_3genE8ELNS1_11target_archE1030ELNS1_3gpuE2ELNS1_3repE0EEENS1_36merge_oddeven_config_static_selectorELNS0_4arch9wavefront6targetE1EEEvSL_, .Lfunc_end771-_ZN7rocprim17ROCPRIM_400000_NS6detail17trampoline_kernelINS0_14default_configENS1_38merge_sort_block_merge_config_selectorIyNS0_10empty_typeEEEZZNS1_27merge_sort_block_merge_implIS3_N6thrust23THRUST_200600_302600_NS6detail15normal_iteratorINS9_10device_ptrIyEEEEPS5_jNS1_19radix_merge_compareILb0ELb0EyNS0_19identity_decomposerEEEEE10hipError_tT0_T1_T2_jT3_P12ihipStream_tbPNSt15iterator_traitsISK_E10value_typeEPNSQ_ISL_E10value_typeEPSM_NS1_7vsmem_tEENKUlT_SK_SL_SM_E_clISE_PySF_SF_EESJ_SZ_SK_SL_SM_EUlSZ_E1_NS1_11comp_targetILNS1_3genE8ELNS1_11target_archE1030ELNS1_3gpuE2ELNS1_3repE0EEENS1_36merge_oddeven_config_static_selectorELNS0_4arch9wavefront6targetE1EEEvSL_
                                        ; -- End function
	.section	.AMDGPU.csdata,"",@progbits
; Kernel info:
; codeLenInByte = 0
; NumSgprs: 4
; NumVgprs: 0
; NumAgprs: 0
; TotalNumVgprs: 0
; ScratchSize: 0
; MemoryBound: 0
; FloatMode: 240
; IeeeMode: 1
; LDSByteSize: 0 bytes/workgroup (compile time only)
; SGPRBlocks: 0
; VGPRBlocks: 0
; NumSGPRsForWavesPerEU: 4
; NumVGPRsForWavesPerEU: 1
; AccumOffset: 4
; Occupancy: 8
; WaveLimiterHint : 0
; COMPUTE_PGM_RSRC2:SCRATCH_EN: 0
; COMPUTE_PGM_RSRC2:USER_SGPR: 6
; COMPUTE_PGM_RSRC2:TRAP_HANDLER: 0
; COMPUTE_PGM_RSRC2:TGID_X_EN: 1
; COMPUTE_PGM_RSRC2:TGID_Y_EN: 0
; COMPUTE_PGM_RSRC2:TGID_Z_EN: 0
; COMPUTE_PGM_RSRC2:TIDIG_COMP_CNT: 0
; COMPUTE_PGM_RSRC3_GFX90A:ACCUM_OFFSET: 0
; COMPUTE_PGM_RSRC3_GFX90A:TG_SPLIT: 0
	.section	.text._ZN7rocprim17ROCPRIM_400000_NS6detail17trampoline_kernelINS0_14default_configENS1_25transform_config_selectorIyLb0EEEZNS1_14transform_implILb0ES3_S5_PyN6thrust23THRUST_200600_302600_NS6detail15normal_iteratorINS9_10device_ptrIyEEEENS0_8identityIyEEEE10hipError_tT2_T3_mT4_P12ihipStream_tbEUlT_E_NS1_11comp_targetILNS1_3genE0ELNS1_11target_archE4294967295ELNS1_3gpuE0ELNS1_3repE0EEENS1_30default_config_static_selectorELNS0_4arch9wavefront6targetE1EEEvT1_,"axG",@progbits,_ZN7rocprim17ROCPRIM_400000_NS6detail17trampoline_kernelINS0_14default_configENS1_25transform_config_selectorIyLb0EEEZNS1_14transform_implILb0ES3_S5_PyN6thrust23THRUST_200600_302600_NS6detail15normal_iteratorINS9_10device_ptrIyEEEENS0_8identityIyEEEE10hipError_tT2_T3_mT4_P12ihipStream_tbEUlT_E_NS1_11comp_targetILNS1_3genE0ELNS1_11target_archE4294967295ELNS1_3gpuE0ELNS1_3repE0EEENS1_30default_config_static_selectorELNS0_4arch9wavefront6targetE1EEEvT1_,comdat
	.protected	_ZN7rocprim17ROCPRIM_400000_NS6detail17trampoline_kernelINS0_14default_configENS1_25transform_config_selectorIyLb0EEEZNS1_14transform_implILb0ES3_S5_PyN6thrust23THRUST_200600_302600_NS6detail15normal_iteratorINS9_10device_ptrIyEEEENS0_8identityIyEEEE10hipError_tT2_T3_mT4_P12ihipStream_tbEUlT_E_NS1_11comp_targetILNS1_3genE0ELNS1_11target_archE4294967295ELNS1_3gpuE0ELNS1_3repE0EEENS1_30default_config_static_selectorELNS0_4arch9wavefront6targetE1EEEvT1_ ; -- Begin function _ZN7rocprim17ROCPRIM_400000_NS6detail17trampoline_kernelINS0_14default_configENS1_25transform_config_selectorIyLb0EEEZNS1_14transform_implILb0ES3_S5_PyN6thrust23THRUST_200600_302600_NS6detail15normal_iteratorINS9_10device_ptrIyEEEENS0_8identityIyEEEE10hipError_tT2_T3_mT4_P12ihipStream_tbEUlT_E_NS1_11comp_targetILNS1_3genE0ELNS1_11target_archE4294967295ELNS1_3gpuE0ELNS1_3repE0EEENS1_30default_config_static_selectorELNS0_4arch9wavefront6targetE1EEEvT1_
	.globl	_ZN7rocprim17ROCPRIM_400000_NS6detail17trampoline_kernelINS0_14default_configENS1_25transform_config_selectorIyLb0EEEZNS1_14transform_implILb0ES3_S5_PyN6thrust23THRUST_200600_302600_NS6detail15normal_iteratorINS9_10device_ptrIyEEEENS0_8identityIyEEEE10hipError_tT2_T3_mT4_P12ihipStream_tbEUlT_E_NS1_11comp_targetILNS1_3genE0ELNS1_11target_archE4294967295ELNS1_3gpuE0ELNS1_3repE0EEENS1_30default_config_static_selectorELNS0_4arch9wavefront6targetE1EEEvT1_
	.p2align	8
	.type	_ZN7rocprim17ROCPRIM_400000_NS6detail17trampoline_kernelINS0_14default_configENS1_25transform_config_selectorIyLb0EEEZNS1_14transform_implILb0ES3_S5_PyN6thrust23THRUST_200600_302600_NS6detail15normal_iteratorINS9_10device_ptrIyEEEENS0_8identityIyEEEE10hipError_tT2_T3_mT4_P12ihipStream_tbEUlT_E_NS1_11comp_targetILNS1_3genE0ELNS1_11target_archE4294967295ELNS1_3gpuE0ELNS1_3repE0EEENS1_30default_config_static_selectorELNS0_4arch9wavefront6targetE1EEEvT1_,@function
_ZN7rocprim17ROCPRIM_400000_NS6detail17trampoline_kernelINS0_14default_configENS1_25transform_config_selectorIyLb0EEEZNS1_14transform_implILb0ES3_S5_PyN6thrust23THRUST_200600_302600_NS6detail15normal_iteratorINS9_10device_ptrIyEEEENS0_8identityIyEEEE10hipError_tT2_T3_mT4_P12ihipStream_tbEUlT_E_NS1_11comp_targetILNS1_3genE0ELNS1_11target_archE4294967295ELNS1_3gpuE0ELNS1_3repE0EEENS1_30default_config_static_selectorELNS0_4arch9wavefront6targetE1EEEvT1_: ; @_ZN7rocprim17ROCPRIM_400000_NS6detail17trampoline_kernelINS0_14default_configENS1_25transform_config_selectorIyLb0EEEZNS1_14transform_implILb0ES3_S5_PyN6thrust23THRUST_200600_302600_NS6detail15normal_iteratorINS9_10device_ptrIyEEEENS0_8identityIyEEEE10hipError_tT2_T3_mT4_P12ihipStream_tbEUlT_E_NS1_11comp_targetILNS1_3genE0ELNS1_11target_archE4294967295ELNS1_3gpuE0ELNS1_3repE0EEENS1_30default_config_static_selectorELNS0_4arch9wavefront6targetE1EEEvT1_
; %bb.0:
	.section	.rodata,"a",@progbits
	.p2align	6, 0x0
	.amdhsa_kernel _ZN7rocprim17ROCPRIM_400000_NS6detail17trampoline_kernelINS0_14default_configENS1_25transform_config_selectorIyLb0EEEZNS1_14transform_implILb0ES3_S5_PyN6thrust23THRUST_200600_302600_NS6detail15normal_iteratorINS9_10device_ptrIyEEEENS0_8identityIyEEEE10hipError_tT2_T3_mT4_P12ihipStream_tbEUlT_E_NS1_11comp_targetILNS1_3genE0ELNS1_11target_archE4294967295ELNS1_3gpuE0ELNS1_3repE0EEENS1_30default_config_static_selectorELNS0_4arch9wavefront6targetE1EEEvT1_
		.amdhsa_group_segment_fixed_size 0
		.amdhsa_private_segment_fixed_size 0
		.amdhsa_kernarg_size 40
		.amdhsa_user_sgpr_count 6
		.amdhsa_user_sgpr_private_segment_buffer 1
		.amdhsa_user_sgpr_dispatch_ptr 0
		.amdhsa_user_sgpr_queue_ptr 0
		.amdhsa_user_sgpr_kernarg_segment_ptr 1
		.amdhsa_user_sgpr_dispatch_id 0
		.amdhsa_user_sgpr_flat_scratch_init 0
		.amdhsa_user_sgpr_kernarg_preload_length 0
		.amdhsa_user_sgpr_kernarg_preload_offset 0
		.amdhsa_user_sgpr_private_segment_size 0
		.amdhsa_uses_dynamic_stack 0
		.amdhsa_system_sgpr_private_segment_wavefront_offset 0
		.amdhsa_system_sgpr_workgroup_id_x 1
		.amdhsa_system_sgpr_workgroup_id_y 0
		.amdhsa_system_sgpr_workgroup_id_z 0
		.amdhsa_system_sgpr_workgroup_info 0
		.amdhsa_system_vgpr_workitem_id 0
		.amdhsa_next_free_vgpr 1
		.amdhsa_next_free_sgpr 0
		.amdhsa_accum_offset 4
		.amdhsa_reserve_vcc 0
		.amdhsa_reserve_flat_scratch 0
		.amdhsa_float_round_mode_32 0
		.amdhsa_float_round_mode_16_64 0
		.amdhsa_float_denorm_mode_32 3
		.amdhsa_float_denorm_mode_16_64 3
		.amdhsa_dx10_clamp 1
		.amdhsa_ieee_mode 1
		.amdhsa_fp16_overflow 0
		.amdhsa_tg_split 0
		.amdhsa_exception_fp_ieee_invalid_op 0
		.amdhsa_exception_fp_denorm_src 0
		.amdhsa_exception_fp_ieee_div_zero 0
		.amdhsa_exception_fp_ieee_overflow 0
		.amdhsa_exception_fp_ieee_underflow 0
		.amdhsa_exception_fp_ieee_inexact 0
		.amdhsa_exception_int_div_zero 0
	.end_amdhsa_kernel
	.section	.text._ZN7rocprim17ROCPRIM_400000_NS6detail17trampoline_kernelINS0_14default_configENS1_25transform_config_selectorIyLb0EEEZNS1_14transform_implILb0ES3_S5_PyN6thrust23THRUST_200600_302600_NS6detail15normal_iteratorINS9_10device_ptrIyEEEENS0_8identityIyEEEE10hipError_tT2_T3_mT4_P12ihipStream_tbEUlT_E_NS1_11comp_targetILNS1_3genE0ELNS1_11target_archE4294967295ELNS1_3gpuE0ELNS1_3repE0EEENS1_30default_config_static_selectorELNS0_4arch9wavefront6targetE1EEEvT1_,"axG",@progbits,_ZN7rocprim17ROCPRIM_400000_NS6detail17trampoline_kernelINS0_14default_configENS1_25transform_config_selectorIyLb0EEEZNS1_14transform_implILb0ES3_S5_PyN6thrust23THRUST_200600_302600_NS6detail15normal_iteratorINS9_10device_ptrIyEEEENS0_8identityIyEEEE10hipError_tT2_T3_mT4_P12ihipStream_tbEUlT_E_NS1_11comp_targetILNS1_3genE0ELNS1_11target_archE4294967295ELNS1_3gpuE0ELNS1_3repE0EEENS1_30default_config_static_selectorELNS0_4arch9wavefront6targetE1EEEvT1_,comdat
.Lfunc_end772:
	.size	_ZN7rocprim17ROCPRIM_400000_NS6detail17trampoline_kernelINS0_14default_configENS1_25transform_config_selectorIyLb0EEEZNS1_14transform_implILb0ES3_S5_PyN6thrust23THRUST_200600_302600_NS6detail15normal_iteratorINS9_10device_ptrIyEEEENS0_8identityIyEEEE10hipError_tT2_T3_mT4_P12ihipStream_tbEUlT_E_NS1_11comp_targetILNS1_3genE0ELNS1_11target_archE4294967295ELNS1_3gpuE0ELNS1_3repE0EEENS1_30default_config_static_selectorELNS0_4arch9wavefront6targetE1EEEvT1_, .Lfunc_end772-_ZN7rocprim17ROCPRIM_400000_NS6detail17trampoline_kernelINS0_14default_configENS1_25transform_config_selectorIyLb0EEEZNS1_14transform_implILb0ES3_S5_PyN6thrust23THRUST_200600_302600_NS6detail15normal_iteratorINS9_10device_ptrIyEEEENS0_8identityIyEEEE10hipError_tT2_T3_mT4_P12ihipStream_tbEUlT_E_NS1_11comp_targetILNS1_3genE0ELNS1_11target_archE4294967295ELNS1_3gpuE0ELNS1_3repE0EEENS1_30default_config_static_selectorELNS0_4arch9wavefront6targetE1EEEvT1_
                                        ; -- End function
	.section	.AMDGPU.csdata,"",@progbits
; Kernel info:
; codeLenInByte = 0
; NumSgprs: 4
; NumVgprs: 0
; NumAgprs: 0
; TotalNumVgprs: 0
; ScratchSize: 0
; MemoryBound: 0
; FloatMode: 240
; IeeeMode: 1
; LDSByteSize: 0 bytes/workgroup (compile time only)
; SGPRBlocks: 0
; VGPRBlocks: 0
; NumSGPRsForWavesPerEU: 4
; NumVGPRsForWavesPerEU: 1
; AccumOffset: 4
; Occupancy: 8
; WaveLimiterHint : 0
; COMPUTE_PGM_RSRC2:SCRATCH_EN: 0
; COMPUTE_PGM_RSRC2:USER_SGPR: 6
; COMPUTE_PGM_RSRC2:TRAP_HANDLER: 0
; COMPUTE_PGM_RSRC2:TGID_X_EN: 1
; COMPUTE_PGM_RSRC2:TGID_Y_EN: 0
; COMPUTE_PGM_RSRC2:TGID_Z_EN: 0
; COMPUTE_PGM_RSRC2:TIDIG_COMP_CNT: 0
; COMPUTE_PGM_RSRC3_GFX90A:ACCUM_OFFSET: 0
; COMPUTE_PGM_RSRC3_GFX90A:TG_SPLIT: 0
	.section	.text._ZN7rocprim17ROCPRIM_400000_NS6detail17trampoline_kernelINS0_14default_configENS1_25transform_config_selectorIyLb0EEEZNS1_14transform_implILb0ES3_S5_PyN6thrust23THRUST_200600_302600_NS6detail15normal_iteratorINS9_10device_ptrIyEEEENS0_8identityIyEEEE10hipError_tT2_T3_mT4_P12ihipStream_tbEUlT_E_NS1_11comp_targetILNS1_3genE5ELNS1_11target_archE942ELNS1_3gpuE9ELNS1_3repE0EEENS1_30default_config_static_selectorELNS0_4arch9wavefront6targetE1EEEvT1_,"axG",@progbits,_ZN7rocprim17ROCPRIM_400000_NS6detail17trampoline_kernelINS0_14default_configENS1_25transform_config_selectorIyLb0EEEZNS1_14transform_implILb0ES3_S5_PyN6thrust23THRUST_200600_302600_NS6detail15normal_iteratorINS9_10device_ptrIyEEEENS0_8identityIyEEEE10hipError_tT2_T3_mT4_P12ihipStream_tbEUlT_E_NS1_11comp_targetILNS1_3genE5ELNS1_11target_archE942ELNS1_3gpuE9ELNS1_3repE0EEENS1_30default_config_static_selectorELNS0_4arch9wavefront6targetE1EEEvT1_,comdat
	.protected	_ZN7rocprim17ROCPRIM_400000_NS6detail17trampoline_kernelINS0_14default_configENS1_25transform_config_selectorIyLb0EEEZNS1_14transform_implILb0ES3_S5_PyN6thrust23THRUST_200600_302600_NS6detail15normal_iteratorINS9_10device_ptrIyEEEENS0_8identityIyEEEE10hipError_tT2_T3_mT4_P12ihipStream_tbEUlT_E_NS1_11comp_targetILNS1_3genE5ELNS1_11target_archE942ELNS1_3gpuE9ELNS1_3repE0EEENS1_30default_config_static_selectorELNS0_4arch9wavefront6targetE1EEEvT1_ ; -- Begin function _ZN7rocprim17ROCPRIM_400000_NS6detail17trampoline_kernelINS0_14default_configENS1_25transform_config_selectorIyLb0EEEZNS1_14transform_implILb0ES3_S5_PyN6thrust23THRUST_200600_302600_NS6detail15normal_iteratorINS9_10device_ptrIyEEEENS0_8identityIyEEEE10hipError_tT2_T3_mT4_P12ihipStream_tbEUlT_E_NS1_11comp_targetILNS1_3genE5ELNS1_11target_archE942ELNS1_3gpuE9ELNS1_3repE0EEENS1_30default_config_static_selectorELNS0_4arch9wavefront6targetE1EEEvT1_
	.globl	_ZN7rocprim17ROCPRIM_400000_NS6detail17trampoline_kernelINS0_14default_configENS1_25transform_config_selectorIyLb0EEEZNS1_14transform_implILb0ES3_S5_PyN6thrust23THRUST_200600_302600_NS6detail15normal_iteratorINS9_10device_ptrIyEEEENS0_8identityIyEEEE10hipError_tT2_T3_mT4_P12ihipStream_tbEUlT_E_NS1_11comp_targetILNS1_3genE5ELNS1_11target_archE942ELNS1_3gpuE9ELNS1_3repE0EEENS1_30default_config_static_selectorELNS0_4arch9wavefront6targetE1EEEvT1_
	.p2align	8
	.type	_ZN7rocprim17ROCPRIM_400000_NS6detail17trampoline_kernelINS0_14default_configENS1_25transform_config_selectorIyLb0EEEZNS1_14transform_implILb0ES3_S5_PyN6thrust23THRUST_200600_302600_NS6detail15normal_iteratorINS9_10device_ptrIyEEEENS0_8identityIyEEEE10hipError_tT2_T3_mT4_P12ihipStream_tbEUlT_E_NS1_11comp_targetILNS1_3genE5ELNS1_11target_archE942ELNS1_3gpuE9ELNS1_3repE0EEENS1_30default_config_static_selectorELNS0_4arch9wavefront6targetE1EEEvT1_,@function
_ZN7rocprim17ROCPRIM_400000_NS6detail17trampoline_kernelINS0_14default_configENS1_25transform_config_selectorIyLb0EEEZNS1_14transform_implILb0ES3_S5_PyN6thrust23THRUST_200600_302600_NS6detail15normal_iteratorINS9_10device_ptrIyEEEENS0_8identityIyEEEE10hipError_tT2_T3_mT4_P12ihipStream_tbEUlT_E_NS1_11comp_targetILNS1_3genE5ELNS1_11target_archE942ELNS1_3gpuE9ELNS1_3repE0EEENS1_30default_config_static_selectorELNS0_4arch9wavefront6targetE1EEEvT1_: ; @_ZN7rocprim17ROCPRIM_400000_NS6detail17trampoline_kernelINS0_14default_configENS1_25transform_config_selectorIyLb0EEEZNS1_14transform_implILb0ES3_S5_PyN6thrust23THRUST_200600_302600_NS6detail15normal_iteratorINS9_10device_ptrIyEEEENS0_8identityIyEEEE10hipError_tT2_T3_mT4_P12ihipStream_tbEUlT_E_NS1_11comp_targetILNS1_3genE5ELNS1_11target_archE942ELNS1_3gpuE9ELNS1_3repE0EEENS1_30default_config_static_selectorELNS0_4arch9wavefront6targetE1EEEvT1_
; %bb.0:
	.section	.rodata,"a",@progbits
	.p2align	6, 0x0
	.amdhsa_kernel _ZN7rocprim17ROCPRIM_400000_NS6detail17trampoline_kernelINS0_14default_configENS1_25transform_config_selectorIyLb0EEEZNS1_14transform_implILb0ES3_S5_PyN6thrust23THRUST_200600_302600_NS6detail15normal_iteratorINS9_10device_ptrIyEEEENS0_8identityIyEEEE10hipError_tT2_T3_mT4_P12ihipStream_tbEUlT_E_NS1_11comp_targetILNS1_3genE5ELNS1_11target_archE942ELNS1_3gpuE9ELNS1_3repE0EEENS1_30default_config_static_selectorELNS0_4arch9wavefront6targetE1EEEvT1_
		.amdhsa_group_segment_fixed_size 0
		.amdhsa_private_segment_fixed_size 0
		.amdhsa_kernarg_size 40
		.amdhsa_user_sgpr_count 6
		.amdhsa_user_sgpr_private_segment_buffer 1
		.amdhsa_user_sgpr_dispatch_ptr 0
		.amdhsa_user_sgpr_queue_ptr 0
		.amdhsa_user_sgpr_kernarg_segment_ptr 1
		.amdhsa_user_sgpr_dispatch_id 0
		.amdhsa_user_sgpr_flat_scratch_init 0
		.amdhsa_user_sgpr_kernarg_preload_length 0
		.amdhsa_user_sgpr_kernarg_preload_offset 0
		.amdhsa_user_sgpr_private_segment_size 0
		.amdhsa_uses_dynamic_stack 0
		.amdhsa_system_sgpr_private_segment_wavefront_offset 0
		.amdhsa_system_sgpr_workgroup_id_x 1
		.amdhsa_system_sgpr_workgroup_id_y 0
		.amdhsa_system_sgpr_workgroup_id_z 0
		.amdhsa_system_sgpr_workgroup_info 0
		.amdhsa_system_vgpr_workitem_id 0
		.amdhsa_next_free_vgpr 1
		.amdhsa_next_free_sgpr 0
		.amdhsa_accum_offset 4
		.amdhsa_reserve_vcc 0
		.amdhsa_reserve_flat_scratch 0
		.amdhsa_float_round_mode_32 0
		.amdhsa_float_round_mode_16_64 0
		.amdhsa_float_denorm_mode_32 3
		.amdhsa_float_denorm_mode_16_64 3
		.amdhsa_dx10_clamp 1
		.amdhsa_ieee_mode 1
		.amdhsa_fp16_overflow 0
		.amdhsa_tg_split 0
		.amdhsa_exception_fp_ieee_invalid_op 0
		.amdhsa_exception_fp_denorm_src 0
		.amdhsa_exception_fp_ieee_div_zero 0
		.amdhsa_exception_fp_ieee_overflow 0
		.amdhsa_exception_fp_ieee_underflow 0
		.amdhsa_exception_fp_ieee_inexact 0
		.amdhsa_exception_int_div_zero 0
	.end_amdhsa_kernel
	.section	.text._ZN7rocprim17ROCPRIM_400000_NS6detail17trampoline_kernelINS0_14default_configENS1_25transform_config_selectorIyLb0EEEZNS1_14transform_implILb0ES3_S5_PyN6thrust23THRUST_200600_302600_NS6detail15normal_iteratorINS9_10device_ptrIyEEEENS0_8identityIyEEEE10hipError_tT2_T3_mT4_P12ihipStream_tbEUlT_E_NS1_11comp_targetILNS1_3genE5ELNS1_11target_archE942ELNS1_3gpuE9ELNS1_3repE0EEENS1_30default_config_static_selectorELNS0_4arch9wavefront6targetE1EEEvT1_,"axG",@progbits,_ZN7rocprim17ROCPRIM_400000_NS6detail17trampoline_kernelINS0_14default_configENS1_25transform_config_selectorIyLb0EEEZNS1_14transform_implILb0ES3_S5_PyN6thrust23THRUST_200600_302600_NS6detail15normal_iteratorINS9_10device_ptrIyEEEENS0_8identityIyEEEE10hipError_tT2_T3_mT4_P12ihipStream_tbEUlT_E_NS1_11comp_targetILNS1_3genE5ELNS1_11target_archE942ELNS1_3gpuE9ELNS1_3repE0EEENS1_30default_config_static_selectorELNS0_4arch9wavefront6targetE1EEEvT1_,comdat
.Lfunc_end773:
	.size	_ZN7rocprim17ROCPRIM_400000_NS6detail17trampoline_kernelINS0_14default_configENS1_25transform_config_selectorIyLb0EEEZNS1_14transform_implILb0ES3_S5_PyN6thrust23THRUST_200600_302600_NS6detail15normal_iteratorINS9_10device_ptrIyEEEENS0_8identityIyEEEE10hipError_tT2_T3_mT4_P12ihipStream_tbEUlT_E_NS1_11comp_targetILNS1_3genE5ELNS1_11target_archE942ELNS1_3gpuE9ELNS1_3repE0EEENS1_30default_config_static_selectorELNS0_4arch9wavefront6targetE1EEEvT1_, .Lfunc_end773-_ZN7rocprim17ROCPRIM_400000_NS6detail17trampoline_kernelINS0_14default_configENS1_25transform_config_selectorIyLb0EEEZNS1_14transform_implILb0ES3_S5_PyN6thrust23THRUST_200600_302600_NS6detail15normal_iteratorINS9_10device_ptrIyEEEENS0_8identityIyEEEE10hipError_tT2_T3_mT4_P12ihipStream_tbEUlT_E_NS1_11comp_targetILNS1_3genE5ELNS1_11target_archE942ELNS1_3gpuE9ELNS1_3repE0EEENS1_30default_config_static_selectorELNS0_4arch9wavefront6targetE1EEEvT1_
                                        ; -- End function
	.section	.AMDGPU.csdata,"",@progbits
; Kernel info:
; codeLenInByte = 0
; NumSgprs: 4
; NumVgprs: 0
; NumAgprs: 0
; TotalNumVgprs: 0
; ScratchSize: 0
; MemoryBound: 0
; FloatMode: 240
; IeeeMode: 1
; LDSByteSize: 0 bytes/workgroup (compile time only)
; SGPRBlocks: 0
; VGPRBlocks: 0
; NumSGPRsForWavesPerEU: 4
; NumVGPRsForWavesPerEU: 1
; AccumOffset: 4
; Occupancy: 8
; WaveLimiterHint : 0
; COMPUTE_PGM_RSRC2:SCRATCH_EN: 0
; COMPUTE_PGM_RSRC2:USER_SGPR: 6
; COMPUTE_PGM_RSRC2:TRAP_HANDLER: 0
; COMPUTE_PGM_RSRC2:TGID_X_EN: 1
; COMPUTE_PGM_RSRC2:TGID_Y_EN: 0
; COMPUTE_PGM_RSRC2:TGID_Z_EN: 0
; COMPUTE_PGM_RSRC2:TIDIG_COMP_CNT: 0
; COMPUTE_PGM_RSRC3_GFX90A:ACCUM_OFFSET: 0
; COMPUTE_PGM_RSRC3_GFX90A:TG_SPLIT: 0
	.section	.text._ZN7rocprim17ROCPRIM_400000_NS6detail17trampoline_kernelINS0_14default_configENS1_25transform_config_selectorIyLb0EEEZNS1_14transform_implILb0ES3_S5_PyN6thrust23THRUST_200600_302600_NS6detail15normal_iteratorINS9_10device_ptrIyEEEENS0_8identityIyEEEE10hipError_tT2_T3_mT4_P12ihipStream_tbEUlT_E_NS1_11comp_targetILNS1_3genE4ELNS1_11target_archE910ELNS1_3gpuE8ELNS1_3repE0EEENS1_30default_config_static_selectorELNS0_4arch9wavefront6targetE1EEEvT1_,"axG",@progbits,_ZN7rocprim17ROCPRIM_400000_NS6detail17trampoline_kernelINS0_14default_configENS1_25transform_config_selectorIyLb0EEEZNS1_14transform_implILb0ES3_S5_PyN6thrust23THRUST_200600_302600_NS6detail15normal_iteratorINS9_10device_ptrIyEEEENS0_8identityIyEEEE10hipError_tT2_T3_mT4_P12ihipStream_tbEUlT_E_NS1_11comp_targetILNS1_3genE4ELNS1_11target_archE910ELNS1_3gpuE8ELNS1_3repE0EEENS1_30default_config_static_selectorELNS0_4arch9wavefront6targetE1EEEvT1_,comdat
	.protected	_ZN7rocprim17ROCPRIM_400000_NS6detail17trampoline_kernelINS0_14default_configENS1_25transform_config_selectorIyLb0EEEZNS1_14transform_implILb0ES3_S5_PyN6thrust23THRUST_200600_302600_NS6detail15normal_iteratorINS9_10device_ptrIyEEEENS0_8identityIyEEEE10hipError_tT2_T3_mT4_P12ihipStream_tbEUlT_E_NS1_11comp_targetILNS1_3genE4ELNS1_11target_archE910ELNS1_3gpuE8ELNS1_3repE0EEENS1_30default_config_static_selectorELNS0_4arch9wavefront6targetE1EEEvT1_ ; -- Begin function _ZN7rocprim17ROCPRIM_400000_NS6detail17trampoline_kernelINS0_14default_configENS1_25transform_config_selectorIyLb0EEEZNS1_14transform_implILb0ES3_S5_PyN6thrust23THRUST_200600_302600_NS6detail15normal_iteratorINS9_10device_ptrIyEEEENS0_8identityIyEEEE10hipError_tT2_T3_mT4_P12ihipStream_tbEUlT_E_NS1_11comp_targetILNS1_3genE4ELNS1_11target_archE910ELNS1_3gpuE8ELNS1_3repE0EEENS1_30default_config_static_selectorELNS0_4arch9wavefront6targetE1EEEvT1_
	.globl	_ZN7rocprim17ROCPRIM_400000_NS6detail17trampoline_kernelINS0_14default_configENS1_25transform_config_selectorIyLb0EEEZNS1_14transform_implILb0ES3_S5_PyN6thrust23THRUST_200600_302600_NS6detail15normal_iteratorINS9_10device_ptrIyEEEENS0_8identityIyEEEE10hipError_tT2_T3_mT4_P12ihipStream_tbEUlT_E_NS1_11comp_targetILNS1_3genE4ELNS1_11target_archE910ELNS1_3gpuE8ELNS1_3repE0EEENS1_30default_config_static_selectorELNS0_4arch9wavefront6targetE1EEEvT1_
	.p2align	8
	.type	_ZN7rocprim17ROCPRIM_400000_NS6detail17trampoline_kernelINS0_14default_configENS1_25transform_config_selectorIyLb0EEEZNS1_14transform_implILb0ES3_S5_PyN6thrust23THRUST_200600_302600_NS6detail15normal_iteratorINS9_10device_ptrIyEEEENS0_8identityIyEEEE10hipError_tT2_T3_mT4_P12ihipStream_tbEUlT_E_NS1_11comp_targetILNS1_3genE4ELNS1_11target_archE910ELNS1_3gpuE8ELNS1_3repE0EEENS1_30default_config_static_selectorELNS0_4arch9wavefront6targetE1EEEvT1_,@function
_ZN7rocprim17ROCPRIM_400000_NS6detail17trampoline_kernelINS0_14default_configENS1_25transform_config_selectorIyLb0EEEZNS1_14transform_implILb0ES3_S5_PyN6thrust23THRUST_200600_302600_NS6detail15normal_iteratorINS9_10device_ptrIyEEEENS0_8identityIyEEEE10hipError_tT2_T3_mT4_P12ihipStream_tbEUlT_E_NS1_11comp_targetILNS1_3genE4ELNS1_11target_archE910ELNS1_3gpuE8ELNS1_3repE0EEENS1_30default_config_static_selectorELNS0_4arch9wavefront6targetE1EEEvT1_: ; @_ZN7rocprim17ROCPRIM_400000_NS6detail17trampoline_kernelINS0_14default_configENS1_25transform_config_selectorIyLb0EEEZNS1_14transform_implILb0ES3_S5_PyN6thrust23THRUST_200600_302600_NS6detail15normal_iteratorINS9_10device_ptrIyEEEENS0_8identityIyEEEE10hipError_tT2_T3_mT4_P12ihipStream_tbEUlT_E_NS1_11comp_targetILNS1_3genE4ELNS1_11target_archE910ELNS1_3gpuE8ELNS1_3repE0EEENS1_30default_config_static_selectorELNS0_4arch9wavefront6targetE1EEEvT1_
; %bb.0:
	s_load_dwordx8 s[8:15], s[4:5], 0x0
	s_load_dword s2, s[4:5], 0x28
	v_lshlrev_b32_e32 v8, 3, v0
	s_waitcnt lgkmcnt(0)
	s_lshl_b64 s[0:1], s[10:11], 3
	s_add_u32 s3, s8, s0
	s_addc_u32 s4, s9, s1
	s_add_u32 s7, s14, s0
	s_addc_u32 s13, s15, s1
	s_lshl_b32 s0, s6, 9
	s_mov_b32 s1, 0
	s_add_i32 s2, s2, -1
	s_lshl_b64 s[8:9], s[0:1], 3
	s_add_u32 s10, s3, s8
	s_addc_u32 s11, s4, s9
	s_cmp_lg_u32 s6, s2
	s_cbranch_scc0 .LBB774_2
; %bb.1:
	global_load_dwordx2 v[2:3], v8, s[10:11]
	global_load_dwordx2 v[4:5], v8, s[10:11] offset:2048
	s_add_u32 s1, s7, s8
	s_addc_u32 s4, s13, s9
	v_mov_b32_e32 v1, s4
	v_add_co_u32_e32 v6, vcc, s1, v8
	v_addc_co_u32_e32 v7, vcc, 0, v1, vcc
	s_mov_b64 s[4:5], -1
	s_waitcnt vmcnt(1)
	flat_store_dwordx2 v[6:7], v[2:3]
	s_cbranch_execz .LBB774_3
	s_branch .LBB774_14
.LBB774_2:
	s_mov_b64 s[4:5], 0
                                        ; implicit-def: $vgpr4_vgpr5
                                        ; implicit-def: $vgpr6_vgpr7
.LBB774_3:
	s_sub_i32 s2, s12, s0
	v_cmp_gt_u32_e32 vcc, s2, v0
                                        ; implicit-def: $vgpr2_vgpr3_vgpr4_vgpr5
	s_and_saveexec_b64 s[0:1], vcc
	s_cbranch_execz .LBB774_5
; %bb.4:
	global_load_dwordx2 v[2:3], v8, s[10:11]
.LBB774_5:
	s_or_b64 exec, exec, s[0:1]
	v_or_b32_e32 v1, 0x100, v0
	v_cmp_gt_u32_e64 s[0:1], s2, v1
	v_cmp_le_u32_e64 s[2:3], s2, v1
	s_and_saveexec_b64 s[14:15], s[2:3]
	s_xor_b64 s[2:3], exec, s[14:15]
; %bb.6:
	v_mov_b32_e32 v1, 0
                                        ; implicit-def: $vgpr8
; %bb.7:
	s_andn2_saveexec_b64 s[2:3], s[2:3]
	s_cbranch_execz .LBB774_9
; %bb.8:
	global_load_dwordx2 v[4:5], v8, s[10:11] offset:2048
	v_mov_b32_e32 v1, 0
.LBB774_9:
	s_or_b64 exec, exec, s[2:3]
	s_add_u32 s2, s7, s8
	s_addc_u32 s3, s13, s9
	v_lshlrev_b64 v[0:1], 3, v[0:1]
	v_mov_b32_e32 v7, s3
	v_add_co_u32_e64 v6, s[2:3], s2, v0
	v_addc_co_u32_e64 v7, s[2:3], v7, v1, s[2:3]
	s_and_saveexec_b64 s[2:3], vcc
	s_cbranch_execz .LBB774_11
; %bb.10:
	s_waitcnt vmcnt(0)
	flat_store_dwordx2 v[6:7], v[2:3]
.LBB774_11:
	s_or_b64 exec, exec, s[2:3]
	s_and_saveexec_b64 s[2:3], s[0:1]
; %bb.12:
	s_or_b64 s[4:5], s[4:5], exec
; %bb.13:
	s_or_b64 exec, exec, s[2:3]
.LBB774_14:
	s_and_saveexec_b64 s[0:1], s[4:5]
	s_cbranch_execnz .LBB774_16
; %bb.15:
	s_endpgm
.LBB774_16:
	s_waitcnt vmcnt(0)
	flat_store_dwordx2 v[6:7], v[4:5] offset:2048
	s_endpgm
	.section	.rodata,"a",@progbits
	.p2align	6, 0x0
	.amdhsa_kernel _ZN7rocprim17ROCPRIM_400000_NS6detail17trampoline_kernelINS0_14default_configENS1_25transform_config_selectorIyLb0EEEZNS1_14transform_implILb0ES3_S5_PyN6thrust23THRUST_200600_302600_NS6detail15normal_iteratorINS9_10device_ptrIyEEEENS0_8identityIyEEEE10hipError_tT2_T3_mT4_P12ihipStream_tbEUlT_E_NS1_11comp_targetILNS1_3genE4ELNS1_11target_archE910ELNS1_3gpuE8ELNS1_3repE0EEENS1_30default_config_static_selectorELNS0_4arch9wavefront6targetE1EEEvT1_
		.amdhsa_group_segment_fixed_size 0
		.amdhsa_private_segment_fixed_size 0
		.amdhsa_kernarg_size 296
		.amdhsa_user_sgpr_count 6
		.amdhsa_user_sgpr_private_segment_buffer 1
		.amdhsa_user_sgpr_dispatch_ptr 0
		.amdhsa_user_sgpr_queue_ptr 0
		.amdhsa_user_sgpr_kernarg_segment_ptr 1
		.amdhsa_user_sgpr_dispatch_id 0
		.amdhsa_user_sgpr_flat_scratch_init 0
		.amdhsa_user_sgpr_kernarg_preload_length 0
		.amdhsa_user_sgpr_kernarg_preload_offset 0
		.amdhsa_user_sgpr_private_segment_size 0
		.amdhsa_uses_dynamic_stack 0
		.amdhsa_system_sgpr_private_segment_wavefront_offset 0
		.amdhsa_system_sgpr_workgroup_id_x 1
		.amdhsa_system_sgpr_workgroup_id_y 0
		.amdhsa_system_sgpr_workgroup_id_z 0
		.amdhsa_system_sgpr_workgroup_info 0
		.amdhsa_system_vgpr_workitem_id 0
		.amdhsa_next_free_vgpr 9
		.amdhsa_next_free_sgpr 16
		.amdhsa_accum_offset 12
		.amdhsa_reserve_vcc 1
		.amdhsa_reserve_flat_scratch 0
		.amdhsa_float_round_mode_32 0
		.amdhsa_float_round_mode_16_64 0
		.amdhsa_float_denorm_mode_32 3
		.amdhsa_float_denorm_mode_16_64 3
		.amdhsa_dx10_clamp 1
		.amdhsa_ieee_mode 1
		.amdhsa_fp16_overflow 0
		.amdhsa_tg_split 0
		.amdhsa_exception_fp_ieee_invalid_op 0
		.amdhsa_exception_fp_denorm_src 0
		.amdhsa_exception_fp_ieee_div_zero 0
		.amdhsa_exception_fp_ieee_overflow 0
		.amdhsa_exception_fp_ieee_underflow 0
		.amdhsa_exception_fp_ieee_inexact 0
		.amdhsa_exception_int_div_zero 0
	.end_amdhsa_kernel
	.section	.text._ZN7rocprim17ROCPRIM_400000_NS6detail17trampoline_kernelINS0_14default_configENS1_25transform_config_selectorIyLb0EEEZNS1_14transform_implILb0ES3_S5_PyN6thrust23THRUST_200600_302600_NS6detail15normal_iteratorINS9_10device_ptrIyEEEENS0_8identityIyEEEE10hipError_tT2_T3_mT4_P12ihipStream_tbEUlT_E_NS1_11comp_targetILNS1_3genE4ELNS1_11target_archE910ELNS1_3gpuE8ELNS1_3repE0EEENS1_30default_config_static_selectorELNS0_4arch9wavefront6targetE1EEEvT1_,"axG",@progbits,_ZN7rocprim17ROCPRIM_400000_NS6detail17trampoline_kernelINS0_14default_configENS1_25transform_config_selectorIyLb0EEEZNS1_14transform_implILb0ES3_S5_PyN6thrust23THRUST_200600_302600_NS6detail15normal_iteratorINS9_10device_ptrIyEEEENS0_8identityIyEEEE10hipError_tT2_T3_mT4_P12ihipStream_tbEUlT_E_NS1_11comp_targetILNS1_3genE4ELNS1_11target_archE910ELNS1_3gpuE8ELNS1_3repE0EEENS1_30default_config_static_selectorELNS0_4arch9wavefront6targetE1EEEvT1_,comdat
.Lfunc_end774:
	.size	_ZN7rocprim17ROCPRIM_400000_NS6detail17trampoline_kernelINS0_14default_configENS1_25transform_config_selectorIyLb0EEEZNS1_14transform_implILb0ES3_S5_PyN6thrust23THRUST_200600_302600_NS6detail15normal_iteratorINS9_10device_ptrIyEEEENS0_8identityIyEEEE10hipError_tT2_T3_mT4_P12ihipStream_tbEUlT_E_NS1_11comp_targetILNS1_3genE4ELNS1_11target_archE910ELNS1_3gpuE8ELNS1_3repE0EEENS1_30default_config_static_selectorELNS0_4arch9wavefront6targetE1EEEvT1_, .Lfunc_end774-_ZN7rocprim17ROCPRIM_400000_NS6detail17trampoline_kernelINS0_14default_configENS1_25transform_config_selectorIyLb0EEEZNS1_14transform_implILb0ES3_S5_PyN6thrust23THRUST_200600_302600_NS6detail15normal_iteratorINS9_10device_ptrIyEEEENS0_8identityIyEEEE10hipError_tT2_T3_mT4_P12ihipStream_tbEUlT_E_NS1_11comp_targetILNS1_3genE4ELNS1_11target_archE910ELNS1_3gpuE8ELNS1_3repE0EEENS1_30default_config_static_selectorELNS0_4arch9wavefront6targetE1EEEvT1_
                                        ; -- End function
	.section	.AMDGPU.csdata,"",@progbits
; Kernel info:
; codeLenInByte = 328
; NumSgprs: 20
; NumVgprs: 9
; NumAgprs: 0
; TotalNumVgprs: 9
; ScratchSize: 0
; MemoryBound: 0
; FloatMode: 240
; IeeeMode: 1
; LDSByteSize: 0 bytes/workgroup (compile time only)
; SGPRBlocks: 2
; VGPRBlocks: 1
; NumSGPRsForWavesPerEU: 20
; NumVGPRsForWavesPerEU: 9
; AccumOffset: 12
; Occupancy: 8
; WaveLimiterHint : 1
; COMPUTE_PGM_RSRC2:SCRATCH_EN: 0
; COMPUTE_PGM_RSRC2:USER_SGPR: 6
; COMPUTE_PGM_RSRC2:TRAP_HANDLER: 0
; COMPUTE_PGM_RSRC2:TGID_X_EN: 1
; COMPUTE_PGM_RSRC2:TGID_Y_EN: 0
; COMPUTE_PGM_RSRC2:TGID_Z_EN: 0
; COMPUTE_PGM_RSRC2:TIDIG_COMP_CNT: 0
; COMPUTE_PGM_RSRC3_GFX90A:ACCUM_OFFSET: 2
; COMPUTE_PGM_RSRC3_GFX90A:TG_SPLIT: 0
	.section	.text._ZN7rocprim17ROCPRIM_400000_NS6detail17trampoline_kernelINS0_14default_configENS1_25transform_config_selectorIyLb0EEEZNS1_14transform_implILb0ES3_S5_PyN6thrust23THRUST_200600_302600_NS6detail15normal_iteratorINS9_10device_ptrIyEEEENS0_8identityIyEEEE10hipError_tT2_T3_mT4_P12ihipStream_tbEUlT_E_NS1_11comp_targetILNS1_3genE3ELNS1_11target_archE908ELNS1_3gpuE7ELNS1_3repE0EEENS1_30default_config_static_selectorELNS0_4arch9wavefront6targetE1EEEvT1_,"axG",@progbits,_ZN7rocprim17ROCPRIM_400000_NS6detail17trampoline_kernelINS0_14default_configENS1_25transform_config_selectorIyLb0EEEZNS1_14transform_implILb0ES3_S5_PyN6thrust23THRUST_200600_302600_NS6detail15normal_iteratorINS9_10device_ptrIyEEEENS0_8identityIyEEEE10hipError_tT2_T3_mT4_P12ihipStream_tbEUlT_E_NS1_11comp_targetILNS1_3genE3ELNS1_11target_archE908ELNS1_3gpuE7ELNS1_3repE0EEENS1_30default_config_static_selectorELNS0_4arch9wavefront6targetE1EEEvT1_,comdat
	.protected	_ZN7rocprim17ROCPRIM_400000_NS6detail17trampoline_kernelINS0_14default_configENS1_25transform_config_selectorIyLb0EEEZNS1_14transform_implILb0ES3_S5_PyN6thrust23THRUST_200600_302600_NS6detail15normal_iteratorINS9_10device_ptrIyEEEENS0_8identityIyEEEE10hipError_tT2_T3_mT4_P12ihipStream_tbEUlT_E_NS1_11comp_targetILNS1_3genE3ELNS1_11target_archE908ELNS1_3gpuE7ELNS1_3repE0EEENS1_30default_config_static_selectorELNS0_4arch9wavefront6targetE1EEEvT1_ ; -- Begin function _ZN7rocprim17ROCPRIM_400000_NS6detail17trampoline_kernelINS0_14default_configENS1_25transform_config_selectorIyLb0EEEZNS1_14transform_implILb0ES3_S5_PyN6thrust23THRUST_200600_302600_NS6detail15normal_iteratorINS9_10device_ptrIyEEEENS0_8identityIyEEEE10hipError_tT2_T3_mT4_P12ihipStream_tbEUlT_E_NS1_11comp_targetILNS1_3genE3ELNS1_11target_archE908ELNS1_3gpuE7ELNS1_3repE0EEENS1_30default_config_static_selectorELNS0_4arch9wavefront6targetE1EEEvT1_
	.globl	_ZN7rocprim17ROCPRIM_400000_NS6detail17trampoline_kernelINS0_14default_configENS1_25transform_config_selectorIyLb0EEEZNS1_14transform_implILb0ES3_S5_PyN6thrust23THRUST_200600_302600_NS6detail15normal_iteratorINS9_10device_ptrIyEEEENS0_8identityIyEEEE10hipError_tT2_T3_mT4_P12ihipStream_tbEUlT_E_NS1_11comp_targetILNS1_3genE3ELNS1_11target_archE908ELNS1_3gpuE7ELNS1_3repE0EEENS1_30default_config_static_selectorELNS0_4arch9wavefront6targetE1EEEvT1_
	.p2align	8
	.type	_ZN7rocprim17ROCPRIM_400000_NS6detail17trampoline_kernelINS0_14default_configENS1_25transform_config_selectorIyLb0EEEZNS1_14transform_implILb0ES3_S5_PyN6thrust23THRUST_200600_302600_NS6detail15normal_iteratorINS9_10device_ptrIyEEEENS0_8identityIyEEEE10hipError_tT2_T3_mT4_P12ihipStream_tbEUlT_E_NS1_11comp_targetILNS1_3genE3ELNS1_11target_archE908ELNS1_3gpuE7ELNS1_3repE0EEENS1_30default_config_static_selectorELNS0_4arch9wavefront6targetE1EEEvT1_,@function
_ZN7rocprim17ROCPRIM_400000_NS6detail17trampoline_kernelINS0_14default_configENS1_25transform_config_selectorIyLb0EEEZNS1_14transform_implILb0ES3_S5_PyN6thrust23THRUST_200600_302600_NS6detail15normal_iteratorINS9_10device_ptrIyEEEENS0_8identityIyEEEE10hipError_tT2_T3_mT4_P12ihipStream_tbEUlT_E_NS1_11comp_targetILNS1_3genE3ELNS1_11target_archE908ELNS1_3gpuE7ELNS1_3repE0EEENS1_30default_config_static_selectorELNS0_4arch9wavefront6targetE1EEEvT1_: ; @_ZN7rocprim17ROCPRIM_400000_NS6detail17trampoline_kernelINS0_14default_configENS1_25transform_config_selectorIyLb0EEEZNS1_14transform_implILb0ES3_S5_PyN6thrust23THRUST_200600_302600_NS6detail15normal_iteratorINS9_10device_ptrIyEEEENS0_8identityIyEEEE10hipError_tT2_T3_mT4_P12ihipStream_tbEUlT_E_NS1_11comp_targetILNS1_3genE3ELNS1_11target_archE908ELNS1_3gpuE7ELNS1_3repE0EEENS1_30default_config_static_selectorELNS0_4arch9wavefront6targetE1EEEvT1_
; %bb.0:
	.section	.rodata,"a",@progbits
	.p2align	6, 0x0
	.amdhsa_kernel _ZN7rocprim17ROCPRIM_400000_NS6detail17trampoline_kernelINS0_14default_configENS1_25transform_config_selectorIyLb0EEEZNS1_14transform_implILb0ES3_S5_PyN6thrust23THRUST_200600_302600_NS6detail15normal_iteratorINS9_10device_ptrIyEEEENS0_8identityIyEEEE10hipError_tT2_T3_mT4_P12ihipStream_tbEUlT_E_NS1_11comp_targetILNS1_3genE3ELNS1_11target_archE908ELNS1_3gpuE7ELNS1_3repE0EEENS1_30default_config_static_selectorELNS0_4arch9wavefront6targetE1EEEvT1_
		.amdhsa_group_segment_fixed_size 0
		.amdhsa_private_segment_fixed_size 0
		.amdhsa_kernarg_size 40
		.amdhsa_user_sgpr_count 6
		.amdhsa_user_sgpr_private_segment_buffer 1
		.amdhsa_user_sgpr_dispatch_ptr 0
		.amdhsa_user_sgpr_queue_ptr 0
		.amdhsa_user_sgpr_kernarg_segment_ptr 1
		.amdhsa_user_sgpr_dispatch_id 0
		.amdhsa_user_sgpr_flat_scratch_init 0
		.amdhsa_user_sgpr_kernarg_preload_length 0
		.amdhsa_user_sgpr_kernarg_preload_offset 0
		.amdhsa_user_sgpr_private_segment_size 0
		.amdhsa_uses_dynamic_stack 0
		.amdhsa_system_sgpr_private_segment_wavefront_offset 0
		.amdhsa_system_sgpr_workgroup_id_x 1
		.amdhsa_system_sgpr_workgroup_id_y 0
		.amdhsa_system_sgpr_workgroup_id_z 0
		.amdhsa_system_sgpr_workgroup_info 0
		.amdhsa_system_vgpr_workitem_id 0
		.amdhsa_next_free_vgpr 1
		.amdhsa_next_free_sgpr 0
		.amdhsa_accum_offset 4
		.amdhsa_reserve_vcc 0
		.amdhsa_reserve_flat_scratch 0
		.amdhsa_float_round_mode_32 0
		.amdhsa_float_round_mode_16_64 0
		.amdhsa_float_denorm_mode_32 3
		.amdhsa_float_denorm_mode_16_64 3
		.amdhsa_dx10_clamp 1
		.amdhsa_ieee_mode 1
		.amdhsa_fp16_overflow 0
		.amdhsa_tg_split 0
		.amdhsa_exception_fp_ieee_invalid_op 0
		.amdhsa_exception_fp_denorm_src 0
		.amdhsa_exception_fp_ieee_div_zero 0
		.amdhsa_exception_fp_ieee_overflow 0
		.amdhsa_exception_fp_ieee_underflow 0
		.amdhsa_exception_fp_ieee_inexact 0
		.amdhsa_exception_int_div_zero 0
	.end_amdhsa_kernel
	.section	.text._ZN7rocprim17ROCPRIM_400000_NS6detail17trampoline_kernelINS0_14default_configENS1_25transform_config_selectorIyLb0EEEZNS1_14transform_implILb0ES3_S5_PyN6thrust23THRUST_200600_302600_NS6detail15normal_iteratorINS9_10device_ptrIyEEEENS0_8identityIyEEEE10hipError_tT2_T3_mT4_P12ihipStream_tbEUlT_E_NS1_11comp_targetILNS1_3genE3ELNS1_11target_archE908ELNS1_3gpuE7ELNS1_3repE0EEENS1_30default_config_static_selectorELNS0_4arch9wavefront6targetE1EEEvT1_,"axG",@progbits,_ZN7rocprim17ROCPRIM_400000_NS6detail17trampoline_kernelINS0_14default_configENS1_25transform_config_selectorIyLb0EEEZNS1_14transform_implILb0ES3_S5_PyN6thrust23THRUST_200600_302600_NS6detail15normal_iteratorINS9_10device_ptrIyEEEENS0_8identityIyEEEE10hipError_tT2_T3_mT4_P12ihipStream_tbEUlT_E_NS1_11comp_targetILNS1_3genE3ELNS1_11target_archE908ELNS1_3gpuE7ELNS1_3repE0EEENS1_30default_config_static_selectorELNS0_4arch9wavefront6targetE1EEEvT1_,comdat
.Lfunc_end775:
	.size	_ZN7rocprim17ROCPRIM_400000_NS6detail17trampoline_kernelINS0_14default_configENS1_25transform_config_selectorIyLb0EEEZNS1_14transform_implILb0ES3_S5_PyN6thrust23THRUST_200600_302600_NS6detail15normal_iteratorINS9_10device_ptrIyEEEENS0_8identityIyEEEE10hipError_tT2_T3_mT4_P12ihipStream_tbEUlT_E_NS1_11comp_targetILNS1_3genE3ELNS1_11target_archE908ELNS1_3gpuE7ELNS1_3repE0EEENS1_30default_config_static_selectorELNS0_4arch9wavefront6targetE1EEEvT1_, .Lfunc_end775-_ZN7rocprim17ROCPRIM_400000_NS6detail17trampoline_kernelINS0_14default_configENS1_25transform_config_selectorIyLb0EEEZNS1_14transform_implILb0ES3_S5_PyN6thrust23THRUST_200600_302600_NS6detail15normal_iteratorINS9_10device_ptrIyEEEENS0_8identityIyEEEE10hipError_tT2_T3_mT4_P12ihipStream_tbEUlT_E_NS1_11comp_targetILNS1_3genE3ELNS1_11target_archE908ELNS1_3gpuE7ELNS1_3repE0EEENS1_30default_config_static_selectorELNS0_4arch9wavefront6targetE1EEEvT1_
                                        ; -- End function
	.section	.AMDGPU.csdata,"",@progbits
; Kernel info:
; codeLenInByte = 0
; NumSgprs: 4
; NumVgprs: 0
; NumAgprs: 0
; TotalNumVgprs: 0
; ScratchSize: 0
; MemoryBound: 0
; FloatMode: 240
; IeeeMode: 1
; LDSByteSize: 0 bytes/workgroup (compile time only)
; SGPRBlocks: 0
; VGPRBlocks: 0
; NumSGPRsForWavesPerEU: 4
; NumVGPRsForWavesPerEU: 1
; AccumOffset: 4
; Occupancy: 8
; WaveLimiterHint : 0
; COMPUTE_PGM_RSRC2:SCRATCH_EN: 0
; COMPUTE_PGM_RSRC2:USER_SGPR: 6
; COMPUTE_PGM_RSRC2:TRAP_HANDLER: 0
; COMPUTE_PGM_RSRC2:TGID_X_EN: 1
; COMPUTE_PGM_RSRC2:TGID_Y_EN: 0
; COMPUTE_PGM_RSRC2:TGID_Z_EN: 0
; COMPUTE_PGM_RSRC2:TIDIG_COMP_CNT: 0
; COMPUTE_PGM_RSRC3_GFX90A:ACCUM_OFFSET: 0
; COMPUTE_PGM_RSRC3_GFX90A:TG_SPLIT: 0
	.section	.text._ZN7rocprim17ROCPRIM_400000_NS6detail17trampoline_kernelINS0_14default_configENS1_25transform_config_selectorIyLb0EEEZNS1_14transform_implILb0ES3_S5_PyN6thrust23THRUST_200600_302600_NS6detail15normal_iteratorINS9_10device_ptrIyEEEENS0_8identityIyEEEE10hipError_tT2_T3_mT4_P12ihipStream_tbEUlT_E_NS1_11comp_targetILNS1_3genE2ELNS1_11target_archE906ELNS1_3gpuE6ELNS1_3repE0EEENS1_30default_config_static_selectorELNS0_4arch9wavefront6targetE1EEEvT1_,"axG",@progbits,_ZN7rocprim17ROCPRIM_400000_NS6detail17trampoline_kernelINS0_14default_configENS1_25transform_config_selectorIyLb0EEEZNS1_14transform_implILb0ES3_S5_PyN6thrust23THRUST_200600_302600_NS6detail15normal_iteratorINS9_10device_ptrIyEEEENS0_8identityIyEEEE10hipError_tT2_T3_mT4_P12ihipStream_tbEUlT_E_NS1_11comp_targetILNS1_3genE2ELNS1_11target_archE906ELNS1_3gpuE6ELNS1_3repE0EEENS1_30default_config_static_selectorELNS0_4arch9wavefront6targetE1EEEvT1_,comdat
	.protected	_ZN7rocprim17ROCPRIM_400000_NS6detail17trampoline_kernelINS0_14default_configENS1_25transform_config_selectorIyLb0EEEZNS1_14transform_implILb0ES3_S5_PyN6thrust23THRUST_200600_302600_NS6detail15normal_iteratorINS9_10device_ptrIyEEEENS0_8identityIyEEEE10hipError_tT2_T3_mT4_P12ihipStream_tbEUlT_E_NS1_11comp_targetILNS1_3genE2ELNS1_11target_archE906ELNS1_3gpuE6ELNS1_3repE0EEENS1_30default_config_static_selectorELNS0_4arch9wavefront6targetE1EEEvT1_ ; -- Begin function _ZN7rocprim17ROCPRIM_400000_NS6detail17trampoline_kernelINS0_14default_configENS1_25transform_config_selectorIyLb0EEEZNS1_14transform_implILb0ES3_S5_PyN6thrust23THRUST_200600_302600_NS6detail15normal_iteratorINS9_10device_ptrIyEEEENS0_8identityIyEEEE10hipError_tT2_T3_mT4_P12ihipStream_tbEUlT_E_NS1_11comp_targetILNS1_3genE2ELNS1_11target_archE906ELNS1_3gpuE6ELNS1_3repE0EEENS1_30default_config_static_selectorELNS0_4arch9wavefront6targetE1EEEvT1_
	.globl	_ZN7rocprim17ROCPRIM_400000_NS6detail17trampoline_kernelINS0_14default_configENS1_25transform_config_selectorIyLb0EEEZNS1_14transform_implILb0ES3_S5_PyN6thrust23THRUST_200600_302600_NS6detail15normal_iteratorINS9_10device_ptrIyEEEENS0_8identityIyEEEE10hipError_tT2_T3_mT4_P12ihipStream_tbEUlT_E_NS1_11comp_targetILNS1_3genE2ELNS1_11target_archE906ELNS1_3gpuE6ELNS1_3repE0EEENS1_30default_config_static_selectorELNS0_4arch9wavefront6targetE1EEEvT1_
	.p2align	8
	.type	_ZN7rocprim17ROCPRIM_400000_NS6detail17trampoline_kernelINS0_14default_configENS1_25transform_config_selectorIyLb0EEEZNS1_14transform_implILb0ES3_S5_PyN6thrust23THRUST_200600_302600_NS6detail15normal_iteratorINS9_10device_ptrIyEEEENS0_8identityIyEEEE10hipError_tT2_T3_mT4_P12ihipStream_tbEUlT_E_NS1_11comp_targetILNS1_3genE2ELNS1_11target_archE906ELNS1_3gpuE6ELNS1_3repE0EEENS1_30default_config_static_selectorELNS0_4arch9wavefront6targetE1EEEvT1_,@function
_ZN7rocprim17ROCPRIM_400000_NS6detail17trampoline_kernelINS0_14default_configENS1_25transform_config_selectorIyLb0EEEZNS1_14transform_implILb0ES3_S5_PyN6thrust23THRUST_200600_302600_NS6detail15normal_iteratorINS9_10device_ptrIyEEEENS0_8identityIyEEEE10hipError_tT2_T3_mT4_P12ihipStream_tbEUlT_E_NS1_11comp_targetILNS1_3genE2ELNS1_11target_archE906ELNS1_3gpuE6ELNS1_3repE0EEENS1_30default_config_static_selectorELNS0_4arch9wavefront6targetE1EEEvT1_: ; @_ZN7rocprim17ROCPRIM_400000_NS6detail17trampoline_kernelINS0_14default_configENS1_25transform_config_selectorIyLb0EEEZNS1_14transform_implILb0ES3_S5_PyN6thrust23THRUST_200600_302600_NS6detail15normal_iteratorINS9_10device_ptrIyEEEENS0_8identityIyEEEE10hipError_tT2_T3_mT4_P12ihipStream_tbEUlT_E_NS1_11comp_targetILNS1_3genE2ELNS1_11target_archE906ELNS1_3gpuE6ELNS1_3repE0EEENS1_30default_config_static_selectorELNS0_4arch9wavefront6targetE1EEEvT1_
; %bb.0:
	.section	.rodata,"a",@progbits
	.p2align	6, 0x0
	.amdhsa_kernel _ZN7rocprim17ROCPRIM_400000_NS6detail17trampoline_kernelINS0_14default_configENS1_25transform_config_selectorIyLb0EEEZNS1_14transform_implILb0ES3_S5_PyN6thrust23THRUST_200600_302600_NS6detail15normal_iteratorINS9_10device_ptrIyEEEENS0_8identityIyEEEE10hipError_tT2_T3_mT4_P12ihipStream_tbEUlT_E_NS1_11comp_targetILNS1_3genE2ELNS1_11target_archE906ELNS1_3gpuE6ELNS1_3repE0EEENS1_30default_config_static_selectorELNS0_4arch9wavefront6targetE1EEEvT1_
		.amdhsa_group_segment_fixed_size 0
		.amdhsa_private_segment_fixed_size 0
		.amdhsa_kernarg_size 40
		.amdhsa_user_sgpr_count 6
		.amdhsa_user_sgpr_private_segment_buffer 1
		.amdhsa_user_sgpr_dispatch_ptr 0
		.amdhsa_user_sgpr_queue_ptr 0
		.amdhsa_user_sgpr_kernarg_segment_ptr 1
		.amdhsa_user_sgpr_dispatch_id 0
		.amdhsa_user_sgpr_flat_scratch_init 0
		.amdhsa_user_sgpr_kernarg_preload_length 0
		.amdhsa_user_sgpr_kernarg_preload_offset 0
		.amdhsa_user_sgpr_private_segment_size 0
		.amdhsa_uses_dynamic_stack 0
		.amdhsa_system_sgpr_private_segment_wavefront_offset 0
		.amdhsa_system_sgpr_workgroup_id_x 1
		.amdhsa_system_sgpr_workgroup_id_y 0
		.amdhsa_system_sgpr_workgroup_id_z 0
		.amdhsa_system_sgpr_workgroup_info 0
		.amdhsa_system_vgpr_workitem_id 0
		.amdhsa_next_free_vgpr 1
		.amdhsa_next_free_sgpr 0
		.amdhsa_accum_offset 4
		.amdhsa_reserve_vcc 0
		.amdhsa_reserve_flat_scratch 0
		.amdhsa_float_round_mode_32 0
		.amdhsa_float_round_mode_16_64 0
		.amdhsa_float_denorm_mode_32 3
		.amdhsa_float_denorm_mode_16_64 3
		.amdhsa_dx10_clamp 1
		.amdhsa_ieee_mode 1
		.amdhsa_fp16_overflow 0
		.amdhsa_tg_split 0
		.amdhsa_exception_fp_ieee_invalid_op 0
		.amdhsa_exception_fp_denorm_src 0
		.amdhsa_exception_fp_ieee_div_zero 0
		.amdhsa_exception_fp_ieee_overflow 0
		.amdhsa_exception_fp_ieee_underflow 0
		.amdhsa_exception_fp_ieee_inexact 0
		.amdhsa_exception_int_div_zero 0
	.end_amdhsa_kernel
	.section	.text._ZN7rocprim17ROCPRIM_400000_NS6detail17trampoline_kernelINS0_14default_configENS1_25transform_config_selectorIyLb0EEEZNS1_14transform_implILb0ES3_S5_PyN6thrust23THRUST_200600_302600_NS6detail15normal_iteratorINS9_10device_ptrIyEEEENS0_8identityIyEEEE10hipError_tT2_T3_mT4_P12ihipStream_tbEUlT_E_NS1_11comp_targetILNS1_3genE2ELNS1_11target_archE906ELNS1_3gpuE6ELNS1_3repE0EEENS1_30default_config_static_selectorELNS0_4arch9wavefront6targetE1EEEvT1_,"axG",@progbits,_ZN7rocprim17ROCPRIM_400000_NS6detail17trampoline_kernelINS0_14default_configENS1_25transform_config_selectorIyLb0EEEZNS1_14transform_implILb0ES3_S5_PyN6thrust23THRUST_200600_302600_NS6detail15normal_iteratorINS9_10device_ptrIyEEEENS0_8identityIyEEEE10hipError_tT2_T3_mT4_P12ihipStream_tbEUlT_E_NS1_11comp_targetILNS1_3genE2ELNS1_11target_archE906ELNS1_3gpuE6ELNS1_3repE0EEENS1_30default_config_static_selectorELNS0_4arch9wavefront6targetE1EEEvT1_,comdat
.Lfunc_end776:
	.size	_ZN7rocprim17ROCPRIM_400000_NS6detail17trampoline_kernelINS0_14default_configENS1_25transform_config_selectorIyLb0EEEZNS1_14transform_implILb0ES3_S5_PyN6thrust23THRUST_200600_302600_NS6detail15normal_iteratorINS9_10device_ptrIyEEEENS0_8identityIyEEEE10hipError_tT2_T3_mT4_P12ihipStream_tbEUlT_E_NS1_11comp_targetILNS1_3genE2ELNS1_11target_archE906ELNS1_3gpuE6ELNS1_3repE0EEENS1_30default_config_static_selectorELNS0_4arch9wavefront6targetE1EEEvT1_, .Lfunc_end776-_ZN7rocprim17ROCPRIM_400000_NS6detail17trampoline_kernelINS0_14default_configENS1_25transform_config_selectorIyLb0EEEZNS1_14transform_implILb0ES3_S5_PyN6thrust23THRUST_200600_302600_NS6detail15normal_iteratorINS9_10device_ptrIyEEEENS0_8identityIyEEEE10hipError_tT2_T3_mT4_P12ihipStream_tbEUlT_E_NS1_11comp_targetILNS1_3genE2ELNS1_11target_archE906ELNS1_3gpuE6ELNS1_3repE0EEENS1_30default_config_static_selectorELNS0_4arch9wavefront6targetE1EEEvT1_
                                        ; -- End function
	.section	.AMDGPU.csdata,"",@progbits
; Kernel info:
; codeLenInByte = 0
; NumSgprs: 4
; NumVgprs: 0
; NumAgprs: 0
; TotalNumVgprs: 0
; ScratchSize: 0
; MemoryBound: 0
; FloatMode: 240
; IeeeMode: 1
; LDSByteSize: 0 bytes/workgroup (compile time only)
; SGPRBlocks: 0
; VGPRBlocks: 0
; NumSGPRsForWavesPerEU: 4
; NumVGPRsForWavesPerEU: 1
; AccumOffset: 4
; Occupancy: 8
; WaveLimiterHint : 0
; COMPUTE_PGM_RSRC2:SCRATCH_EN: 0
; COMPUTE_PGM_RSRC2:USER_SGPR: 6
; COMPUTE_PGM_RSRC2:TRAP_HANDLER: 0
; COMPUTE_PGM_RSRC2:TGID_X_EN: 1
; COMPUTE_PGM_RSRC2:TGID_Y_EN: 0
; COMPUTE_PGM_RSRC2:TGID_Z_EN: 0
; COMPUTE_PGM_RSRC2:TIDIG_COMP_CNT: 0
; COMPUTE_PGM_RSRC3_GFX90A:ACCUM_OFFSET: 0
; COMPUTE_PGM_RSRC3_GFX90A:TG_SPLIT: 0
	.section	.text._ZN7rocprim17ROCPRIM_400000_NS6detail17trampoline_kernelINS0_14default_configENS1_25transform_config_selectorIyLb0EEEZNS1_14transform_implILb0ES3_S5_PyN6thrust23THRUST_200600_302600_NS6detail15normal_iteratorINS9_10device_ptrIyEEEENS0_8identityIyEEEE10hipError_tT2_T3_mT4_P12ihipStream_tbEUlT_E_NS1_11comp_targetILNS1_3genE10ELNS1_11target_archE1201ELNS1_3gpuE5ELNS1_3repE0EEENS1_30default_config_static_selectorELNS0_4arch9wavefront6targetE1EEEvT1_,"axG",@progbits,_ZN7rocprim17ROCPRIM_400000_NS6detail17trampoline_kernelINS0_14default_configENS1_25transform_config_selectorIyLb0EEEZNS1_14transform_implILb0ES3_S5_PyN6thrust23THRUST_200600_302600_NS6detail15normal_iteratorINS9_10device_ptrIyEEEENS0_8identityIyEEEE10hipError_tT2_T3_mT4_P12ihipStream_tbEUlT_E_NS1_11comp_targetILNS1_3genE10ELNS1_11target_archE1201ELNS1_3gpuE5ELNS1_3repE0EEENS1_30default_config_static_selectorELNS0_4arch9wavefront6targetE1EEEvT1_,comdat
	.protected	_ZN7rocprim17ROCPRIM_400000_NS6detail17trampoline_kernelINS0_14default_configENS1_25transform_config_selectorIyLb0EEEZNS1_14transform_implILb0ES3_S5_PyN6thrust23THRUST_200600_302600_NS6detail15normal_iteratorINS9_10device_ptrIyEEEENS0_8identityIyEEEE10hipError_tT2_T3_mT4_P12ihipStream_tbEUlT_E_NS1_11comp_targetILNS1_3genE10ELNS1_11target_archE1201ELNS1_3gpuE5ELNS1_3repE0EEENS1_30default_config_static_selectorELNS0_4arch9wavefront6targetE1EEEvT1_ ; -- Begin function _ZN7rocprim17ROCPRIM_400000_NS6detail17trampoline_kernelINS0_14default_configENS1_25transform_config_selectorIyLb0EEEZNS1_14transform_implILb0ES3_S5_PyN6thrust23THRUST_200600_302600_NS6detail15normal_iteratorINS9_10device_ptrIyEEEENS0_8identityIyEEEE10hipError_tT2_T3_mT4_P12ihipStream_tbEUlT_E_NS1_11comp_targetILNS1_3genE10ELNS1_11target_archE1201ELNS1_3gpuE5ELNS1_3repE0EEENS1_30default_config_static_selectorELNS0_4arch9wavefront6targetE1EEEvT1_
	.globl	_ZN7rocprim17ROCPRIM_400000_NS6detail17trampoline_kernelINS0_14default_configENS1_25transform_config_selectorIyLb0EEEZNS1_14transform_implILb0ES3_S5_PyN6thrust23THRUST_200600_302600_NS6detail15normal_iteratorINS9_10device_ptrIyEEEENS0_8identityIyEEEE10hipError_tT2_T3_mT4_P12ihipStream_tbEUlT_E_NS1_11comp_targetILNS1_3genE10ELNS1_11target_archE1201ELNS1_3gpuE5ELNS1_3repE0EEENS1_30default_config_static_selectorELNS0_4arch9wavefront6targetE1EEEvT1_
	.p2align	8
	.type	_ZN7rocprim17ROCPRIM_400000_NS6detail17trampoline_kernelINS0_14default_configENS1_25transform_config_selectorIyLb0EEEZNS1_14transform_implILb0ES3_S5_PyN6thrust23THRUST_200600_302600_NS6detail15normal_iteratorINS9_10device_ptrIyEEEENS0_8identityIyEEEE10hipError_tT2_T3_mT4_P12ihipStream_tbEUlT_E_NS1_11comp_targetILNS1_3genE10ELNS1_11target_archE1201ELNS1_3gpuE5ELNS1_3repE0EEENS1_30default_config_static_selectorELNS0_4arch9wavefront6targetE1EEEvT1_,@function
_ZN7rocprim17ROCPRIM_400000_NS6detail17trampoline_kernelINS0_14default_configENS1_25transform_config_selectorIyLb0EEEZNS1_14transform_implILb0ES3_S5_PyN6thrust23THRUST_200600_302600_NS6detail15normal_iteratorINS9_10device_ptrIyEEEENS0_8identityIyEEEE10hipError_tT2_T3_mT4_P12ihipStream_tbEUlT_E_NS1_11comp_targetILNS1_3genE10ELNS1_11target_archE1201ELNS1_3gpuE5ELNS1_3repE0EEENS1_30default_config_static_selectorELNS0_4arch9wavefront6targetE1EEEvT1_: ; @_ZN7rocprim17ROCPRIM_400000_NS6detail17trampoline_kernelINS0_14default_configENS1_25transform_config_selectorIyLb0EEEZNS1_14transform_implILb0ES3_S5_PyN6thrust23THRUST_200600_302600_NS6detail15normal_iteratorINS9_10device_ptrIyEEEENS0_8identityIyEEEE10hipError_tT2_T3_mT4_P12ihipStream_tbEUlT_E_NS1_11comp_targetILNS1_3genE10ELNS1_11target_archE1201ELNS1_3gpuE5ELNS1_3repE0EEENS1_30default_config_static_selectorELNS0_4arch9wavefront6targetE1EEEvT1_
; %bb.0:
	.section	.rodata,"a",@progbits
	.p2align	6, 0x0
	.amdhsa_kernel _ZN7rocprim17ROCPRIM_400000_NS6detail17trampoline_kernelINS0_14default_configENS1_25transform_config_selectorIyLb0EEEZNS1_14transform_implILb0ES3_S5_PyN6thrust23THRUST_200600_302600_NS6detail15normal_iteratorINS9_10device_ptrIyEEEENS0_8identityIyEEEE10hipError_tT2_T3_mT4_P12ihipStream_tbEUlT_E_NS1_11comp_targetILNS1_3genE10ELNS1_11target_archE1201ELNS1_3gpuE5ELNS1_3repE0EEENS1_30default_config_static_selectorELNS0_4arch9wavefront6targetE1EEEvT1_
		.amdhsa_group_segment_fixed_size 0
		.amdhsa_private_segment_fixed_size 0
		.amdhsa_kernarg_size 40
		.amdhsa_user_sgpr_count 6
		.amdhsa_user_sgpr_private_segment_buffer 1
		.amdhsa_user_sgpr_dispatch_ptr 0
		.amdhsa_user_sgpr_queue_ptr 0
		.amdhsa_user_sgpr_kernarg_segment_ptr 1
		.amdhsa_user_sgpr_dispatch_id 0
		.amdhsa_user_sgpr_flat_scratch_init 0
		.amdhsa_user_sgpr_kernarg_preload_length 0
		.amdhsa_user_sgpr_kernarg_preload_offset 0
		.amdhsa_user_sgpr_private_segment_size 0
		.amdhsa_uses_dynamic_stack 0
		.amdhsa_system_sgpr_private_segment_wavefront_offset 0
		.amdhsa_system_sgpr_workgroup_id_x 1
		.amdhsa_system_sgpr_workgroup_id_y 0
		.amdhsa_system_sgpr_workgroup_id_z 0
		.amdhsa_system_sgpr_workgroup_info 0
		.amdhsa_system_vgpr_workitem_id 0
		.amdhsa_next_free_vgpr 1
		.amdhsa_next_free_sgpr 0
		.amdhsa_accum_offset 4
		.amdhsa_reserve_vcc 0
		.amdhsa_reserve_flat_scratch 0
		.amdhsa_float_round_mode_32 0
		.amdhsa_float_round_mode_16_64 0
		.amdhsa_float_denorm_mode_32 3
		.amdhsa_float_denorm_mode_16_64 3
		.amdhsa_dx10_clamp 1
		.amdhsa_ieee_mode 1
		.amdhsa_fp16_overflow 0
		.amdhsa_tg_split 0
		.amdhsa_exception_fp_ieee_invalid_op 0
		.amdhsa_exception_fp_denorm_src 0
		.amdhsa_exception_fp_ieee_div_zero 0
		.amdhsa_exception_fp_ieee_overflow 0
		.amdhsa_exception_fp_ieee_underflow 0
		.amdhsa_exception_fp_ieee_inexact 0
		.amdhsa_exception_int_div_zero 0
	.end_amdhsa_kernel
	.section	.text._ZN7rocprim17ROCPRIM_400000_NS6detail17trampoline_kernelINS0_14default_configENS1_25transform_config_selectorIyLb0EEEZNS1_14transform_implILb0ES3_S5_PyN6thrust23THRUST_200600_302600_NS6detail15normal_iteratorINS9_10device_ptrIyEEEENS0_8identityIyEEEE10hipError_tT2_T3_mT4_P12ihipStream_tbEUlT_E_NS1_11comp_targetILNS1_3genE10ELNS1_11target_archE1201ELNS1_3gpuE5ELNS1_3repE0EEENS1_30default_config_static_selectorELNS0_4arch9wavefront6targetE1EEEvT1_,"axG",@progbits,_ZN7rocprim17ROCPRIM_400000_NS6detail17trampoline_kernelINS0_14default_configENS1_25transform_config_selectorIyLb0EEEZNS1_14transform_implILb0ES3_S5_PyN6thrust23THRUST_200600_302600_NS6detail15normal_iteratorINS9_10device_ptrIyEEEENS0_8identityIyEEEE10hipError_tT2_T3_mT4_P12ihipStream_tbEUlT_E_NS1_11comp_targetILNS1_3genE10ELNS1_11target_archE1201ELNS1_3gpuE5ELNS1_3repE0EEENS1_30default_config_static_selectorELNS0_4arch9wavefront6targetE1EEEvT1_,comdat
.Lfunc_end777:
	.size	_ZN7rocprim17ROCPRIM_400000_NS6detail17trampoline_kernelINS0_14default_configENS1_25transform_config_selectorIyLb0EEEZNS1_14transform_implILb0ES3_S5_PyN6thrust23THRUST_200600_302600_NS6detail15normal_iteratorINS9_10device_ptrIyEEEENS0_8identityIyEEEE10hipError_tT2_T3_mT4_P12ihipStream_tbEUlT_E_NS1_11comp_targetILNS1_3genE10ELNS1_11target_archE1201ELNS1_3gpuE5ELNS1_3repE0EEENS1_30default_config_static_selectorELNS0_4arch9wavefront6targetE1EEEvT1_, .Lfunc_end777-_ZN7rocprim17ROCPRIM_400000_NS6detail17trampoline_kernelINS0_14default_configENS1_25transform_config_selectorIyLb0EEEZNS1_14transform_implILb0ES3_S5_PyN6thrust23THRUST_200600_302600_NS6detail15normal_iteratorINS9_10device_ptrIyEEEENS0_8identityIyEEEE10hipError_tT2_T3_mT4_P12ihipStream_tbEUlT_E_NS1_11comp_targetILNS1_3genE10ELNS1_11target_archE1201ELNS1_3gpuE5ELNS1_3repE0EEENS1_30default_config_static_selectorELNS0_4arch9wavefront6targetE1EEEvT1_
                                        ; -- End function
	.section	.AMDGPU.csdata,"",@progbits
; Kernel info:
; codeLenInByte = 0
; NumSgprs: 4
; NumVgprs: 0
; NumAgprs: 0
; TotalNumVgprs: 0
; ScratchSize: 0
; MemoryBound: 0
; FloatMode: 240
; IeeeMode: 1
; LDSByteSize: 0 bytes/workgroup (compile time only)
; SGPRBlocks: 0
; VGPRBlocks: 0
; NumSGPRsForWavesPerEU: 4
; NumVGPRsForWavesPerEU: 1
; AccumOffset: 4
; Occupancy: 8
; WaveLimiterHint : 0
; COMPUTE_PGM_RSRC2:SCRATCH_EN: 0
; COMPUTE_PGM_RSRC2:USER_SGPR: 6
; COMPUTE_PGM_RSRC2:TRAP_HANDLER: 0
; COMPUTE_PGM_RSRC2:TGID_X_EN: 1
; COMPUTE_PGM_RSRC2:TGID_Y_EN: 0
; COMPUTE_PGM_RSRC2:TGID_Z_EN: 0
; COMPUTE_PGM_RSRC2:TIDIG_COMP_CNT: 0
; COMPUTE_PGM_RSRC3_GFX90A:ACCUM_OFFSET: 0
; COMPUTE_PGM_RSRC3_GFX90A:TG_SPLIT: 0
	.section	.text._ZN7rocprim17ROCPRIM_400000_NS6detail17trampoline_kernelINS0_14default_configENS1_25transform_config_selectorIyLb0EEEZNS1_14transform_implILb0ES3_S5_PyN6thrust23THRUST_200600_302600_NS6detail15normal_iteratorINS9_10device_ptrIyEEEENS0_8identityIyEEEE10hipError_tT2_T3_mT4_P12ihipStream_tbEUlT_E_NS1_11comp_targetILNS1_3genE10ELNS1_11target_archE1200ELNS1_3gpuE4ELNS1_3repE0EEENS1_30default_config_static_selectorELNS0_4arch9wavefront6targetE1EEEvT1_,"axG",@progbits,_ZN7rocprim17ROCPRIM_400000_NS6detail17trampoline_kernelINS0_14default_configENS1_25transform_config_selectorIyLb0EEEZNS1_14transform_implILb0ES3_S5_PyN6thrust23THRUST_200600_302600_NS6detail15normal_iteratorINS9_10device_ptrIyEEEENS0_8identityIyEEEE10hipError_tT2_T3_mT4_P12ihipStream_tbEUlT_E_NS1_11comp_targetILNS1_3genE10ELNS1_11target_archE1200ELNS1_3gpuE4ELNS1_3repE0EEENS1_30default_config_static_selectorELNS0_4arch9wavefront6targetE1EEEvT1_,comdat
	.protected	_ZN7rocprim17ROCPRIM_400000_NS6detail17trampoline_kernelINS0_14default_configENS1_25transform_config_selectorIyLb0EEEZNS1_14transform_implILb0ES3_S5_PyN6thrust23THRUST_200600_302600_NS6detail15normal_iteratorINS9_10device_ptrIyEEEENS0_8identityIyEEEE10hipError_tT2_T3_mT4_P12ihipStream_tbEUlT_E_NS1_11comp_targetILNS1_3genE10ELNS1_11target_archE1200ELNS1_3gpuE4ELNS1_3repE0EEENS1_30default_config_static_selectorELNS0_4arch9wavefront6targetE1EEEvT1_ ; -- Begin function _ZN7rocprim17ROCPRIM_400000_NS6detail17trampoline_kernelINS0_14default_configENS1_25transform_config_selectorIyLb0EEEZNS1_14transform_implILb0ES3_S5_PyN6thrust23THRUST_200600_302600_NS6detail15normal_iteratorINS9_10device_ptrIyEEEENS0_8identityIyEEEE10hipError_tT2_T3_mT4_P12ihipStream_tbEUlT_E_NS1_11comp_targetILNS1_3genE10ELNS1_11target_archE1200ELNS1_3gpuE4ELNS1_3repE0EEENS1_30default_config_static_selectorELNS0_4arch9wavefront6targetE1EEEvT1_
	.globl	_ZN7rocprim17ROCPRIM_400000_NS6detail17trampoline_kernelINS0_14default_configENS1_25transform_config_selectorIyLb0EEEZNS1_14transform_implILb0ES3_S5_PyN6thrust23THRUST_200600_302600_NS6detail15normal_iteratorINS9_10device_ptrIyEEEENS0_8identityIyEEEE10hipError_tT2_T3_mT4_P12ihipStream_tbEUlT_E_NS1_11comp_targetILNS1_3genE10ELNS1_11target_archE1200ELNS1_3gpuE4ELNS1_3repE0EEENS1_30default_config_static_selectorELNS0_4arch9wavefront6targetE1EEEvT1_
	.p2align	8
	.type	_ZN7rocprim17ROCPRIM_400000_NS6detail17trampoline_kernelINS0_14default_configENS1_25transform_config_selectorIyLb0EEEZNS1_14transform_implILb0ES3_S5_PyN6thrust23THRUST_200600_302600_NS6detail15normal_iteratorINS9_10device_ptrIyEEEENS0_8identityIyEEEE10hipError_tT2_T3_mT4_P12ihipStream_tbEUlT_E_NS1_11comp_targetILNS1_3genE10ELNS1_11target_archE1200ELNS1_3gpuE4ELNS1_3repE0EEENS1_30default_config_static_selectorELNS0_4arch9wavefront6targetE1EEEvT1_,@function
_ZN7rocprim17ROCPRIM_400000_NS6detail17trampoline_kernelINS0_14default_configENS1_25transform_config_selectorIyLb0EEEZNS1_14transform_implILb0ES3_S5_PyN6thrust23THRUST_200600_302600_NS6detail15normal_iteratorINS9_10device_ptrIyEEEENS0_8identityIyEEEE10hipError_tT2_T3_mT4_P12ihipStream_tbEUlT_E_NS1_11comp_targetILNS1_3genE10ELNS1_11target_archE1200ELNS1_3gpuE4ELNS1_3repE0EEENS1_30default_config_static_selectorELNS0_4arch9wavefront6targetE1EEEvT1_: ; @_ZN7rocprim17ROCPRIM_400000_NS6detail17trampoline_kernelINS0_14default_configENS1_25transform_config_selectorIyLb0EEEZNS1_14transform_implILb0ES3_S5_PyN6thrust23THRUST_200600_302600_NS6detail15normal_iteratorINS9_10device_ptrIyEEEENS0_8identityIyEEEE10hipError_tT2_T3_mT4_P12ihipStream_tbEUlT_E_NS1_11comp_targetILNS1_3genE10ELNS1_11target_archE1200ELNS1_3gpuE4ELNS1_3repE0EEENS1_30default_config_static_selectorELNS0_4arch9wavefront6targetE1EEEvT1_
; %bb.0:
	.section	.rodata,"a",@progbits
	.p2align	6, 0x0
	.amdhsa_kernel _ZN7rocprim17ROCPRIM_400000_NS6detail17trampoline_kernelINS0_14default_configENS1_25transform_config_selectorIyLb0EEEZNS1_14transform_implILb0ES3_S5_PyN6thrust23THRUST_200600_302600_NS6detail15normal_iteratorINS9_10device_ptrIyEEEENS0_8identityIyEEEE10hipError_tT2_T3_mT4_P12ihipStream_tbEUlT_E_NS1_11comp_targetILNS1_3genE10ELNS1_11target_archE1200ELNS1_3gpuE4ELNS1_3repE0EEENS1_30default_config_static_selectorELNS0_4arch9wavefront6targetE1EEEvT1_
		.amdhsa_group_segment_fixed_size 0
		.amdhsa_private_segment_fixed_size 0
		.amdhsa_kernarg_size 40
		.amdhsa_user_sgpr_count 6
		.amdhsa_user_sgpr_private_segment_buffer 1
		.amdhsa_user_sgpr_dispatch_ptr 0
		.amdhsa_user_sgpr_queue_ptr 0
		.amdhsa_user_sgpr_kernarg_segment_ptr 1
		.amdhsa_user_sgpr_dispatch_id 0
		.amdhsa_user_sgpr_flat_scratch_init 0
		.amdhsa_user_sgpr_kernarg_preload_length 0
		.amdhsa_user_sgpr_kernarg_preload_offset 0
		.amdhsa_user_sgpr_private_segment_size 0
		.amdhsa_uses_dynamic_stack 0
		.amdhsa_system_sgpr_private_segment_wavefront_offset 0
		.amdhsa_system_sgpr_workgroup_id_x 1
		.amdhsa_system_sgpr_workgroup_id_y 0
		.amdhsa_system_sgpr_workgroup_id_z 0
		.amdhsa_system_sgpr_workgroup_info 0
		.amdhsa_system_vgpr_workitem_id 0
		.amdhsa_next_free_vgpr 1
		.amdhsa_next_free_sgpr 0
		.amdhsa_accum_offset 4
		.amdhsa_reserve_vcc 0
		.amdhsa_reserve_flat_scratch 0
		.amdhsa_float_round_mode_32 0
		.amdhsa_float_round_mode_16_64 0
		.amdhsa_float_denorm_mode_32 3
		.amdhsa_float_denorm_mode_16_64 3
		.amdhsa_dx10_clamp 1
		.amdhsa_ieee_mode 1
		.amdhsa_fp16_overflow 0
		.amdhsa_tg_split 0
		.amdhsa_exception_fp_ieee_invalid_op 0
		.amdhsa_exception_fp_denorm_src 0
		.amdhsa_exception_fp_ieee_div_zero 0
		.amdhsa_exception_fp_ieee_overflow 0
		.amdhsa_exception_fp_ieee_underflow 0
		.amdhsa_exception_fp_ieee_inexact 0
		.amdhsa_exception_int_div_zero 0
	.end_amdhsa_kernel
	.section	.text._ZN7rocprim17ROCPRIM_400000_NS6detail17trampoline_kernelINS0_14default_configENS1_25transform_config_selectorIyLb0EEEZNS1_14transform_implILb0ES3_S5_PyN6thrust23THRUST_200600_302600_NS6detail15normal_iteratorINS9_10device_ptrIyEEEENS0_8identityIyEEEE10hipError_tT2_T3_mT4_P12ihipStream_tbEUlT_E_NS1_11comp_targetILNS1_3genE10ELNS1_11target_archE1200ELNS1_3gpuE4ELNS1_3repE0EEENS1_30default_config_static_selectorELNS0_4arch9wavefront6targetE1EEEvT1_,"axG",@progbits,_ZN7rocprim17ROCPRIM_400000_NS6detail17trampoline_kernelINS0_14default_configENS1_25transform_config_selectorIyLb0EEEZNS1_14transform_implILb0ES3_S5_PyN6thrust23THRUST_200600_302600_NS6detail15normal_iteratorINS9_10device_ptrIyEEEENS0_8identityIyEEEE10hipError_tT2_T3_mT4_P12ihipStream_tbEUlT_E_NS1_11comp_targetILNS1_3genE10ELNS1_11target_archE1200ELNS1_3gpuE4ELNS1_3repE0EEENS1_30default_config_static_selectorELNS0_4arch9wavefront6targetE1EEEvT1_,comdat
.Lfunc_end778:
	.size	_ZN7rocprim17ROCPRIM_400000_NS6detail17trampoline_kernelINS0_14default_configENS1_25transform_config_selectorIyLb0EEEZNS1_14transform_implILb0ES3_S5_PyN6thrust23THRUST_200600_302600_NS6detail15normal_iteratorINS9_10device_ptrIyEEEENS0_8identityIyEEEE10hipError_tT2_T3_mT4_P12ihipStream_tbEUlT_E_NS1_11comp_targetILNS1_3genE10ELNS1_11target_archE1200ELNS1_3gpuE4ELNS1_3repE0EEENS1_30default_config_static_selectorELNS0_4arch9wavefront6targetE1EEEvT1_, .Lfunc_end778-_ZN7rocprim17ROCPRIM_400000_NS6detail17trampoline_kernelINS0_14default_configENS1_25transform_config_selectorIyLb0EEEZNS1_14transform_implILb0ES3_S5_PyN6thrust23THRUST_200600_302600_NS6detail15normal_iteratorINS9_10device_ptrIyEEEENS0_8identityIyEEEE10hipError_tT2_T3_mT4_P12ihipStream_tbEUlT_E_NS1_11comp_targetILNS1_3genE10ELNS1_11target_archE1200ELNS1_3gpuE4ELNS1_3repE0EEENS1_30default_config_static_selectorELNS0_4arch9wavefront6targetE1EEEvT1_
                                        ; -- End function
	.section	.AMDGPU.csdata,"",@progbits
; Kernel info:
; codeLenInByte = 0
; NumSgprs: 4
; NumVgprs: 0
; NumAgprs: 0
; TotalNumVgprs: 0
; ScratchSize: 0
; MemoryBound: 0
; FloatMode: 240
; IeeeMode: 1
; LDSByteSize: 0 bytes/workgroup (compile time only)
; SGPRBlocks: 0
; VGPRBlocks: 0
; NumSGPRsForWavesPerEU: 4
; NumVGPRsForWavesPerEU: 1
; AccumOffset: 4
; Occupancy: 8
; WaveLimiterHint : 0
; COMPUTE_PGM_RSRC2:SCRATCH_EN: 0
; COMPUTE_PGM_RSRC2:USER_SGPR: 6
; COMPUTE_PGM_RSRC2:TRAP_HANDLER: 0
; COMPUTE_PGM_RSRC2:TGID_X_EN: 1
; COMPUTE_PGM_RSRC2:TGID_Y_EN: 0
; COMPUTE_PGM_RSRC2:TGID_Z_EN: 0
; COMPUTE_PGM_RSRC2:TIDIG_COMP_CNT: 0
; COMPUTE_PGM_RSRC3_GFX90A:ACCUM_OFFSET: 0
; COMPUTE_PGM_RSRC3_GFX90A:TG_SPLIT: 0
	.section	.text._ZN7rocprim17ROCPRIM_400000_NS6detail17trampoline_kernelINS0_14default_configENS1_25transform_config_selectorIyLb0EEEZNS1_14transform_implILb0ES3_S5_PyN6thrust23THRUST_200600_302600_NS6detail15normal_iteratorINS9_10device_ptrIyEEEENS0_8identityIyEEEE10hipError_tT2_T3_mT4_P12ihipStream_tbEUlT_E_NS1_11comp_targetILNS1_3genE9ELNS1_11target_archE1100ELNS1_3gpuE3ELNS1_3repE0EEENS1_30default_config_static_selectorELNS0_4arch9wavefront6targetE1EEEvT1_,"axG",@progbits,_ZN7rocprim17ROCPRIM_400000_NS6detail17trampoline_kernelINS0_14default_configENS1_25transform_config_selectorIyLb0EEEZNS1_14transform_implILb0ES3_S5_PyN6thrust23THRUST_200600_302600_NS6detail15normal_iteratorINS9_10device_ptrIyEEEENS0_8identityIyEEEE10hipError_tT2_T3_mT4_P12ihipStream_tbEUlT_E_NS1_11comp_targetILNS1_3genE9ELNS1_11target_archE1100ELNS1_3gpuE3ELNS1_3repE0EEENS1_30default_config_static_selectorELNS0_4arch9wavefront6targetE1EEEvT1_,comdat
	.protected	_ZN7rocprim17ROCPRIM_400000_NS6detail17trampoline_kernelINS0_14default_configENS1_25transform_config_selectorIyLb0EEEZNS1_14transform_implILb0ES3_S5_PyN6thrust23THRUST_200600_302600_NS6detail15normal_iteratorINS9_10device_ptrIyEEEENS0_8identityIyEEEE10hipError_tT2_T3_mT4_P12ihipStream_tbEUlT_E_NS1_11comp_targetILNS1_3genE9ELNS1_11target_archE1100ELNS1_3gpuE3ELNS1_3repE0EEENS1_30default_config_static_selectorELNS0_4arch9wavefront6targetE1EEEvT1_ ; -- Begin function _ZN7rocprim17ROCPRIM_400000_NS6detail17trampoline_kernelINS0_14default_configENS1_25transform_config_selectorIyLb0EEEZNS1_14transform_implILb0ES3_S5_PyN6thrust23THRUST_200600_302600_NS6detail15normal_iteratorINS9_10device_ptrIyEEEENS0_8identityIyEEEE10hipError_tT2_T3_mT4_P12ihipStream_tbEUlT_E_NS1_11comp_targetILNS1_3genE9ELNS1_11target_archE1100ELNS1_3gpuE3ELNS1_3repE0EEENS1_30default_config_static_selectorELNS0_4arch9wavefront6targetE1EEEvT1_
	.globl	_ZN7rocprim17ROCPRIM_400000_NS6detail17trampoline_kernelINS0_14default_configENS1_25transform_config_selectorIyLb0EEEZNS1_14transform_implILb0ES3_S5_PyN6thrust23THRUST_200600_302600_NS6detail15normal_iteratorINS9_10device_ptrIyEEEENS0_8identityIyEEEE10hipError_tT2_T3_mT4_P12ihipStream_tbEUlT_E_NS1_11comp_targetILNS1_3genE9ELNS1_11target_archE1100ELNS1_3gpuE3ELNS1_3repE0EEENS1_30default_config_static_selectorELNS0_4arch9wavefront6targetE1EEEvT1_
	.p2align	8
	.type	_ZN7rocprim17ROCPRIM_400000_NS6detail17trampoline_kernelINS0_14default_configENS1_25transform_config_selectorIyLb0EEEZNS1_14transform_implILb0ES3_S5_PyN6thrust23THRUST_200600_302600_NS6detail15normal_iteratorINS9_10device_ptrIyEEEENS0_8identityIyEEEE10hipError_tT2_T3_mT4_P12ihipStream_tbEUlT_E_NS1_11comp_targetILNS1_3genE9ELNS1_11target_archE1100ELNS1_3gpuE3ELNS1_3repE0EEENS1_30default_config_static_selectorELNS0_4arch9wavefront6targetE1EEEvT1_,@function
_ZN7rocprim17ROCPRIM_400000_NS6detail17trampoline_kernelINS0_14default_configENS1_25transform_config_selectorIyLb0EEEZNS1_14transform_implILb0ES3_S5_PyN6thrust23THRUST_200600_302600_NS6detail15normal_iteratorINS9_10device_ptrIyEEEENS0_8identityIyEEEE10hipError_tT2_T3_mT4_P12ihipStream_tbEUlT_E_NS1_11comp_targetILNS1_3genE9ELNS1_11target_archE1100ELNS1_3gpuE3ELNS1_3repE0EEENS1_30default_config_static_selectorELNS0_4arch9wavefront6targetE1EEEvT1_: ; @_ZN7rocprim17ROCPRIM_400000_NS6detail17trampoline_kernelINS0_14default_configENS1_25transform_config_selectorIyLb0EEEZNS1_14transform_implILb0ES3_S5_PyN6thrust23THRUST_200600_302600_NS6detail15normal_iteratorINS9_10device_ptrIyEEEENS0_8identityIyEEEE10hipError_tT2_T3_mT4_P12ihipStream_tbEUlT_E_NS1_11comp_targetILNS1_3genE9ELNS1_11target_archE1100ELNS1_3gpuE3ELNS1_3repE0EEENS1_30default_config_static_selectorELNS0_4arch9wavefront6targetE1EEEvT1_
; %bb.0:
	.section	.rodata,"a",@progbits
	.p2align	6, 0x0
	.amdhsa_kernel _ZN7rocprim17ROCPRIM_400000_NS6detail17trampoline_kernelINS0_14default_configENS1_25transform_config_selectorIyLb0EEEZNS1_14transform_implILb0ES3_S5_PyN6thrust23THRUST_200600_302600_NS6detail15normal_iteratorINS9_10device_ptrIyEEEENS0_8identityIyEEEE10hipError_tT2_T3_mT4_P12ihipStream_tbEUlT_E_NS1_11comp_targetILNS1_3genE9ELNS1_11target_archE1100ELNS1_3gpuE3ELNS1_3repE0EEENS1_30default_config_static_selectorELNS0_4arch9wavefront6targetE1EEEvT1_
		.amdhsa_group_segment_fixed_size 0
		.amdhsa_private_segment_fixed_size 0
		.amdhsa_kernarg_size 40
		.amdhsa_user_sgpr_count 6
		.amdhsa_user_sgpr_private_segment_buffer 1
		.amdhsa_user_sgpr_dispatch_ptr 0
		.amdhsa_user_sgpr_queue_ptr 0
		.amdhsa_user_sgpr_kernarg_segment_ptr 1
		.amdhsa_user_sgpr_dispatch_id 0
		.amdhsa_user_sgpr_flat_scratch_init 0
		.amdhsa_user_sgpr_kernarg_preload_length 0
		.amdhsa_user_sgpr_kernarg_preload_offset 0
		.amdhsa_user_sgpr_private_segment_size 0
		.amdhsa_uses_dynamic_stack 0
		.amdhsa_system_sgpr_private_segment_wavefront_offset 0
		.amdhsa_system_sgpr_workgroup_id_x 1
		.amdhsa_system_sgpr_workgroup_id_y 0
		.amdhsa_system_sgpr_workgroup_id_z 0
		.amdhsa_system_sgpr_workgroup_info 0
		.amdhsa_system_vgpr_workitem_id 0
		.amdhsa_next_free_vgpr 1
		.amdhsa_next_free_sgpr 0
		.amdhsa_accum_offset 4
		.amdhsa_reserve_vcc 0
		.amdhsa_reserve_flat_scratch 0
		.amdhsa_float_round_mode_32 0
		.amdhsa_float_round_mode_16_64 0
		.amdhsa_float_denorm_mode_32 3
		.amdhsa_float_denorm_mode_16_64 3
		.amdhsa_dx10_clamp 1
		.amdhsa_ieee_mode 1
		.amdhsa_fp16_overflow 0
		.amdhsa_tg_split 0
		.amdhsa_exception_fp_ieee_invalid_op 0
		.amdhsa_exception_fp_denorm_src 0
		.amdhsa_exception_fp_ieee_div_zero 0
		.amdhsa_exception_fp_ieee_overflow 0
		.amdhsa_exception_fp_ieee_underflow 0
		.amdhsa_exception_fp_ieee_inexact 0
		.amdhsa_exception_int_div_zero 0
	.end_amdhsa_kernel
	.section	.text._ZN7rocprim17ROCPRIM_400000_NS6detail17trampoline_kernelINS0_14default_configENS1_25transform_config_selectorIyLb0EEEZNS1_14transform_implILb0ES3_S5_PyN6thrust23THRUST_200600_302600_NS6detail15normal_iteratorINS9_10device_ptrIyEEEENS0_8identityIyEEEE10hipError_tT2_T3_mT4_P12ihipStream_tbEUlT_E_NS1_11comp_targetILNS1_3genE9ELNS1_11target_archE1100ELNS1_3gpuE3ELNS1_3repE0EEENS1_30default_config_static_selectorELNS0_4arch9wavefront6targetE1EEEvT1_,"axG",@progbits,_ZN7rocprim17ROCPRIM_400000_NS6detail17trampoline_kernelINS0_14default_configENS1_25transform_config_selectorIyLb0EEEZNS1_14transform_implILb0ES3_S5_PyN6thrust23THRUST_200600_302600_NS6detail15normal_iteratorINS9_10device_ptrIyEEEENS0_8identityIyEEEE10hipError_tT2_T3_mT4_P12ihipStream_tbEUlT_E_NS1_11comp_targetILNS1_3genE9ELNS1_11target_archE1100ELNS1_3gpuE3ELNS1_3repE0EEENS1_30default_config_static_selectorELNS0_4arch9wavefront6targetE1EEEvT1_,comdat
.Lfunc_end779:
	.size	_ZN7rocprim17ROCPRIM_400000_NS6detail17trampoline_kernelINS0_14default_configENS1_25transform_config_selectorIyLb0EEEZNS1_14transform_implILb0ES3_S5_PyN6thrust23THRUST_200600_302600_NS6detail15normal_iteratorINS9_10device_ptrIyEEEENS0_8identityIyEEEE10hipError_tT2_T3_mT4_P12ihipStream_tbEUlT_E_NS1_11comp_targetILNS1_3genE9ELNS1_11target_archE1100ELNS1_3gpuE3ELNS1_3repE0EEENS1_30default_config_static_selectorELNS0_4arch9wavefront6targetE1EEEvT1_, .Lfunc_end779-_ZN7rocprim17ROCPRIM_400000_NS6detail17trampoline_kernelINS0_14default_configENS1_25transform_config_selectorIyLb0EEEZNS1_14transform_implILb0ES3_S5_PyN6thrust23THRUST_200600_302600_NS6detail15normal_iteratorINS9_10device_ptrIyEEEENS0_8identityIyEEEE10hipError_tT2_T3_mT4_P12ihipStream_tbEUlT_E_NS1_11comp_targetILNS1_3genE9ELNS1_11target_archE1100ELNS1_3gpuE3ELNS1_3repE0EEENS1_30default_config_static_selectorELNS0_4arch9wavefront6targetE1EEEvT1_
                                        ; -- End function
	.section	.AMDGPU.csdata,"",@progbits
; Kernel info:
; codeLenInByte = 0
; NumSgprs: 4
; NumVgprs: 0
; NumAgprs: 0
; TotalNumVgprs: 0
; ScratchSize: 0
; MemoryBound: 0
; FloatMode: 240
; IeeeMode: 1
; LDSByteSize: 0 bytes/workgroup (compile time only)
; SGPRBlocks: 0
; VGPRBlocks: 0
; NumSGPRsForWavesPerEU: 4
; NumVGPRsForWavesPerEU: 1
; AccumOffset: 4
; Occupancy: 8
; WaveLimiterHint : 0
; COMPUTE_PGM_RSRC2:SCRATCH_EN: 0
; COMPUTE_PGM_RSRC2:USER_SGPR: 6
; COMPUTE_PGM_RSRC2:TRAP_HANDLER: 0
; COMPUTE_PGM_RSRC2:TGID_X_EN: 1
; COMPUTE_PGM_RSRC2:TGID_Y_EN: 0
; COMPUTE_PGM_RSRC2:TGID_Z_EN: 0
; COMPUTE_PGM_RSRC2:TIDIG_COMP_CNT: 0
; COMPUTE_PGM_RSRC3_GFX90A:ACCUM_OFFSET: 0
; COMPUTE_PGM_RSRC3_GFX90A:TG_SPLIT: 0
	.section	.text._ZN7rocprim17ROCPRIM_400000_NS6detail17trampoline_kernelINS0_14default_configENS1_25transform_config_selectorIyLb0EEEZNS1_14transform_implILb0ES3_S5_PyN6thrust23THRUST_200600_302600_NS6detail15normal_iteratorINS9_10device_ptrIyEEEENS0_8identityIyEEEE10hipError_tT2_T3_mT4_P12ihipStream_tbEUlT_E_NS1_11comp_targetILNS1_3genE8ELNS1_11target_archE1030ELNS1_3gpuE2ELNS1_3repE0EEENS1_30default_config_static_selectorELNS0_4arch9wavefront6targetE1EEEvT1_,"axG",@progbits,_ZN7rocprim17ROCPRIM_400000_NS6detail17trampoline_kernelINS0_14default_configENS1_25transform_config_selectorIyLb0EEEZNS1_14transform_implILb0ES3_S5_PyN6thrust23THRUST_200600_302600_NS6detail15normal_iteratorINS9_10device_ptrIyEEEENS0_8identityIyEEEE10hipError_tT2_T3_mT4_P12ihipStream_tbEUlT_E_NS1_11comp_targetILNS1_3genE8ELNS1_11target_archE1030ELNS1_3gpuE2ELNS1_3repE0EEENS1_30default_config_static_selectorELNS0_4arch9wavefront6targetE1EEEvT1_,comdat
	.protected	_ZN7rocprim17ROCPRIM_400000_NS6detail17trampoline_kernelINS0_14default_configENS1_25transform_config_selectorIyLb0EEEZNS1_14transform_implILb0ES3_S5_PyN6thrust23THRUST_200600_302600_NS6detail15normal_iteratorINS9_10device_ptrIyEEEENS0_8identityIyEEEE10hipError_tT2_T3_mT4_P12ihipStream_tbEUlT_E_NS1_11comp_targetILNS1_3genE8ELNS1_11target_archE1030ELNS1_3gpuE2ELNS1_3repE0EEENS1_30default_config_static_selectorELNS0_4arch9wavefront6targetE1EEEvT1_ ; -- Begin function _ZN7rocprim17ROCPRIM_400000_NS6detail17trampoline_kernelINS0_14default_configENS1_25transform_config_selectorIyLb0EEEZNS1_14transform_implILb0ES3_S5_PyN6thrust23THRUST_200600_302600_NS6detail15normal_iteratorINS9_10device_ptrIyEEEENS0_8identityIyEEEE10hipError_tT2_T3_mT4_P12ihipStream_tbEUlT_E_NS1_11comp_targetILNS1_3genE8ELNS1_11target_archE1030ELNS1_3gpuE2ELNS1_3repE0EEENS1_30default_config_static_selectorELNS0_4arch9wavefront6targetE1EEEvT1_
	.globl	_ZN7rocprim17ROCPRIM_400000_NS6detail17trampoline_kernelINS0_14default_configENS1_25transform_config_selectorIyLb0EEEZNS1_14transform_implILb0ES3_S5_PyN6thrust23THRUST_200600_302600_NS6detail15normal_iteratorINS9_10device_ptrIyEEEENS0_8identityIyEEEE10hipError_tT2_T3_mT4_P12ihipStream_tbEUlT_E_NS1_11comp_targetILNS1_3genE8ELNS1_11target_archE1030ELNS1_3gpuE2ELNS1_3repE0EEENS1_30default_config_static_selectorELNS0_4arch9wavefront6targetE1EEEvT1_
	.p2align	8
	.type	_ZN7rocprim17ROCPRIM_400000_NS6detail17trampoline_kernelINS0_14default_configENS1_25transform_config_selectorIyLb0EEEZNS1_14transform_implILb0ES3_S5_PyN6thrust23THRUST_200600_302600_NS6detail15normal_iteratorINS9_10device_ptrIyEEEENS0_8identityIyEEEE10hipError_tT2_T3_mT4_P12ihipStream_tbEUlT_E_NS1_11comp_targetILNS1_3genE8ELNS1_11target_archE1030ELNS1_3gpuE2ELNS1_3repE0EEENS1_30default_config_static_selectorELNS0_4arch9wavefront6targetE1EEEvT1_,@function
_ZN7rocprim17ROCPRIM_400000_NS6detail17trampoline_kernelINS0_14default_configENS1_25transform_config_selectorIyLb0EEEZNS1_14transform_implILb0ES3_S5_PyN6thrust23THRUST_200600_302600_NS6detail15normal_iteratorINS9_10device_ptrIyEEEENS0_8identityIyEEEE10hipError_tT2_T3_mT4_P12ihipStream_tbEUlT_E_NS1_11comp_targetILNS1_3genE8ELNS1_11target_archE1030ELNS1_3gpuE2ELNS1_3repE0EEENS1_30default_config_static_selectorELNS0_4arch9wavefront6targetE1EEEvT1_: ; @_ZN7rocprim17ROCPRIM_400000_NS6detail17trampoline_kernelINS0_14default_configENS1_25transform_config_selectorIyLb0EEEZNS1_14transform_implILb0ES3_S5_PyN6thrust23THRUST_200600_302600_NS6detail15normal_iteratorINS9_10device_ptrIyEEEENS0_8identityIyEEEE10hipError_tT2_T3_mT4_P12ihipStream_tbEUlT_E_NS1_11comp_targetILNS1_3genE8ELNS1_11target_archE1030ELNS1_3gpuE2ELNS1_3repE0EEENS1_30default_config_static_selectorELNS0_4arch9wavefront6targetE1EEEvT1_
; %bb.0:
	.section	.rodata,"a",@progbits
	.p2align	6, 0x0
	.amdhsa_kernel _ZN7rocprim17ROCPRIM_400000_NS6detail17trampoline_kernelINS0_14default_configENS1_25transform_config_selectorIyLb0EEEZNS1_14transform_implILb0ES3_S5_PyN6thrust23THRUST_200600_302600_NS6detail15normal_iteratorINS9_10device_ptrIyEEEENS0_8identityIyEEEE10hipError_tT2_T3_mT4_P12ihipStream_tbEUlT_E_NS1_11comp_targetILNS1_3genE8ELNS1_11target_archE1030ELNS1_3gpuE2ELNS1_3repE0EEENS1_30default_config_static_selectorELNS0_4arch9wavefront6targetE1EEEvT1_
		.amdhsa_group_segment_fixed_size 0
		.amdhsa_private_segment_fixed_size 0
		.amdhsa_kernarg_size 40
		.amdhsa_user_sgpr_count 6
		.amdhsa_user_sgpr_private_segment_buffer 1
		.amdhsa_user_sgpr_dispatch_ptr 0
		.amdhsa_user_sgpr_queue_ptr 0
		.amdhsa_user_sgpr_kernarg_segment_ptr 1
		.amdhsa_user_sgpr_dispatch_id 0
		.amdhsa_user_sgpr_flat_scratch_init 0
		.amdhsa_user_sgpr_kernarg_preload_length 0
		.amdhsa_user_sgpr_kernarg_preload_offset 0
		.amdhsa_user_sgpr_private_segment_size 0
		.amdhsa_uses_dynamic_stack 0
		.amdhsa_system_sgpr_private_segment_wavefront_offset 0
		.amdhsa_system_sgpr_workgroup_id_x 1
		.amdhsa_system_sgpr_workgroup_id_y 0
		.amdhsa_system_sgpr_workgroup_id_z 0
		.amdhsa_system_sgpr_workgroup_info 0
		.amdhsa_system_vgpr_workitem_id 0
		.amdhsa_next_free_vgpr 1
		.amdhsa_next_free_sgpr 0
		.amdhsa_accum_offset 4
		.amdhsa_reserve_vcc 0
		.amdhsa_reserve_flat_scratch 0
		.amdhsa_float_round_mode_32 0
		.amdhsa_float_round_mode_16_64 0
		.amdhsa_float_denorm_mode_32 3
		.amdhsa_float_denorm_mode_16_64 3
		.amdhsa_dx10_clamp 1
		.amdhsa_ieee_mode 1
		.amdhsa_fp16_overflow 0
		.amdhsa_tg_split 0
		.amdhsa_exception_fp_ieee_invalid_op 0
		.amdhsa_exception_fp_denorm_src 0
		.amdhsa_exception_fp_ieee_div_zero 0
		.amdhsa_exception_fp_ieee_overflow 0
		.amdhsa_exception_fp_ieee_underflow 0
		.amdhsa_exception_fp_ieee_inexact 0
		.amdhsa_exception_int_div_zero 0
	.end_amdhsa_kernel
	.section	.text._ZN7rocprim17ROCPRIM_400000_NS6detail17trampoline_kernelINS0_14default_configENS1_25transform_config_selectorIyLb0EEEZNS1_14transform_implILb0ES3_S5_PyN6thrust23THRUST_200600_302600_NS6detail15normal_iteratorINS9_10device_ptrIyEEEENS0_8identityIyEEEE10hipError_tT2_T3_mT4_P12ihipStream_tbEUlT_E_NS1_11comp_targetILNS1_3genE8ELNS1_11target_archE1030ELNS1_3gpuE2ELNS1_3repE0EEENS1_30default_config_static_selectorELNS0_4arch9wavefront6targetE1EEEvT1_,"axG",@progbits,_ZN7rocprim17ROCPRIM_400000_NS6detail17trampoline_kernelINS0_14default_configENS1_25transform_config_selectorIyLb0EEEZNS1_14transform_implILb0ES3_S5_PyN6thrust23THRUST_200600_302600_NS6detail15normal_iteratorINS9_10device_ptrIyEEEENS0_8identityIyEEEE10hipError_tT2_T3_mT4_P12ihipStream_tbEUlT_E_NS1_11comp_targetILNS1_3genE8ELNS1_11target_archE1030ELNS1_3gpuE2ELNS1_3repE0EEENS1_30default_config_static_selectorELNS0_4arch9wavefront6targetE1EEEvT1_,comdat
.Lfunc_end780:
	.size	_ZN7rocprim17ROCPRIM_400000_NS6detail17trampoline_kernelINS0_14default_configENS1_25transform_config_selectorIyLb0EEEZNS1_14transform_implILb0ES3_S5_PyN6thrust23THRUST_200600_302600_NS6detail15normal_iteratorINS9_10device_ptrIyEEEENS0_8identityIyEEEE10hipError_tT2_T3_mT4_P12ihipStream_tbEUlT_E_NS1_11comp_targetILNS1_3genE8ELNS1_11target_archE1030ELNS1_3gpuE2ELNS1_3repE0EEENS1_30default_config_static_selectorELNS0_4arch9wavefront6targetE1EEEvT1_, .Lfunc_end780-_ZN7rocprim17ROCPRIM_400000_NS6detail17trampoline_kernelINS0_14default_configENS1_25transform_config_selectorIyLb0EEEZNS1_14transform_implILb0ES3_S5_PyN6thrust23THRUST_200600_302600_NS6detail15normal_iteratorINS9_10device_ptrIyEEEENS0_8identityIyEEEE10hipError_tT2_T3_mT4_P12ihipStream_tbEUlT_E_NS1_11comp_targetILNS1_3genE8ELNS1_11target_archE1030ELNS1_3gpuE2ELNS1_3repE0EEENS1_30default_config_static_selectorELNS0_4arch9wavefront6targetE1EEEvT1_
                                        ; -- End function
	.section	.AMDGPU.csdata,"",@progbits
; Kernel info:
; codeLenInByte = 0
; NumSgprs: 4
; NumVgprs: 0
; NumAgprs: 0
; TotalNumVgprs: 0
; ScratchSize: 0
; MemoryBound: 0
; FloatMode: 240
; IeeeMode: 1
; LDSByteSize: 0 bytes/workgroup (compile time only)
; SGPRBlocks: 0
; VGPRBlocks: 0
; NumSGPRsForWavesPerEU: 4
; NumVGPRsForWavesPerEU: 1
; AccumOffset: 4
; Occupancy: 8
; WaveLimiterHint : 0
; COMPUTE_PGM_RSRC2:SCRATCH_EN: 0
; COMPUTE_PGM_RSRC2:USER_SGPR: 6
; COMPUTE_PGM_RSRC2:TRAP_HANDLER: 0
; COMPUTE_PGM_RSRC2:TGID_X_EN: 1
; COMPUTE_PGM_RSRC2:TGID_Y_EN: 0
; COMPUTE_PGM_RSRC2:TGID_Z_EN: 0
; COMPUTE_PGM_RSRC2:TIDIG_COMP_CNT: 0
; COMPUTE_PGM_RSRC3_GFX90A:ACCUM_OFFSET: 0
; COMPUTE_PGM_RSRC3_GFX90A:TG_SPLIT: 0
	.section	.text._ZN7rocprim17ROCPRIM_400000_NS6detail17trampoline_kernelINS0_14default_configENS1_25transform_config_selectorINS0_10empty_typeELb1EEEZNS1_14transform_implILb1ES3_S6_PS5_S8_NS0_8identityIS5_EEEE10hipError_tT2_T3_mT4_P12ihipStream_tbEUlT_E_NS1_11comp_targetILNS1_3genE0ELNS1_11target_archE4294967295ELNS1_3gpuE0ELNS1_3repE0EEENS1_30default_config_static_selectorELNS0_4arch9wavefront6targetE1EEEvT1_,"axG",@progbits,_ZN7rocprim17ROCPRIM_400000_NS6detail17trampoline_kernelINS0_14default_configENS1_25transform_config_selectorINS0_10empty_typeELb1EEEZNS1_14transform_implILb1ES3_S6_PS5_S8_NS0_8identityIS5_EEEE10hipError_tT2_T3_mT4_P12ihipStream_tbEUlT_E_NS1_11comp_targetILNS1_3genE0ELNS1_11target_archE4294967295ELNS1_3gpuE0ELNS1_3repE0EEENS1_30default_config_static_selectorELNS0_4arch9wavefront6targetE1EEEvT1_,comdat
	.protected	_ZN7rocprim17ROCPRIM_400000_NS6detail17trampoline_kernelINS0_14default_configENS1_25transform_config_selectorINS0_10empty_typeELb1EEEZNS1_14transform_implILb1ES3_S6_PS5_S8_NS0_8identityIS5_EEEE10hipError_tT2_T3_mT4_P12ihipStream_tbEUlT_E_NS1_11comp_targetILNS1_3genE0ELNS1_11target_archE4294967295ELNS1_3gpuE0ELNS1_3repE0EEENS1_30default_config_static_selectorELNS0_4arch9wavefront6targetE1EEEvT1_ ; -- Begin function _ZN7rocprim17ROCPRIM_400000_NS6detail17trampoline_kernelINS0_14default_configENS1_25transform_config_selectorINS0_10empty_typeELb1EEEZNS1_14transform_implILb1ES3_S6_PS5_S8_NS0_8identityIS5_EEEE10hipError_tT2_T3_mT4_P12ihipStream_tbEUlT_E_NS1_11comp_targetILNS1_3genE0ELNS1_11target_archE4294967295ELNS1_3gpuE0ELNS1_3repE0EEENS1_30default_config_static_selectorELNS0_4arch9wavefront6targetE1EEEvT1_
	.globl	_ZN7rocprim17ROCPRIM_400000_NS6detail17trampoline_kernelINS0_14default_configENS1_25transform_config_selectorINS0_10empty_typeELb1EEEZNS1_14transform_implILb1ES3_S6_PS5_S8_NS0_8identityIS5_EEEE10hipError_tT2_T3_mT4_P12ihipStream_tbEUlT_E_NS1_11comp_targetILNS1_3genE0ELNS1_11target_archE4294967295ELNS1_3gpuE0ELNS1_3repE0EEENS1_30default_config_static_selectorELNS0_4arch9wavefront6targetE1EEEvT1_
	.p2align	8
	.type	_ZN7rocprim17ROCPRIM_400000_NS6detail17trampoline_kernelINS0_14default_configENS1_25transform_config_selectorINS0_10empty_typeELb1EEEZNS1_14transform_implILb1ES3_S6_PS5_S8_NS0_8identityIS5_EEEE10hipError_tT2_T3_mT4_P12ihipStream_tbEUlT_E_NS1_11comp_targetILNS1_3genE0ELNS1_11target_archE4294967295ELNS1_3gpuE0ELNS1_3repE0EEENS1_30default_config_static_selectorELNS0_4arch9wavefront6targetE1EEEvT1_,@function
_ZN7rocprim17ROCPRIM_400000_NS6detail17trampoline_kernelINS0_14default_configENS1_25transform_config_selectorINS0_10empty_typeELb1EEEZNS1_14transform_implILb1ES3_S6_PS5_S8_NS0_8identityIS5_EEEE10hipError_tT2_T3_mT4_P12ihipStream_tbEUlT_E_NS1_11comp_targetILNS1_3genE0ELNS1_11target_archE4294967295ELNS1_3gpuE0ELNS1_3repE0EEENS1_30default_config_static_selectorELNS0_4arch9wavefront6targetE1EEEvT1_: ; @_ZN7rocprim17ROCPRIM_400000_NS6detail17trampoline_kernelINS0_14default_configENS1_25transform_config_selectorINS0_10empty_typeELb1EEEZNS1_14transform_implILb1ES3_S6_PS5_S8_NS0_8identityIS5_EEEE10hipError_tT2_T3_mT4_P12ihipStream_tbEUlT_E_NS1_11comp_targetILNS1_3genE0ELNS1_11target_archE4294967295ELNS1_3gpuE0ELNS1_3repE0EEENS1_30default_config_static_selectorELNS0_4arch9wavefront6targetE1EEEvT1_
; %bb.0:
	.section	.rodata,"a",@progbits
	.p2align	6, 0x0
	.amdhsa_kernel _ZN7rocprim17ROCPRIM_400000_NS6detail17trampoline_kernelINS0_14default_configENS1_25transform_config_selectorINS0_10empty_typeELb1EEEZNS1_14transform_implILb1ES3_S6_PS5_S8_NS0_8identityIS5_EEEE10hipError_tT2_T3_mT4_P12ihipStream_tbEUlT_E_NS1_11comp_targetILNS1_3genE0ELNS1_11target_archE4294967295ELNS1_3gpuE0ELNS1_3repE0EEENS1_30default_config_static_selectorELNS0_4arch9wavefront6targetE1EEEvT1_
		.amdhsa_group_segment_fixed_size 0
		.amdhsa_private_segment_fixed_size 0
		.amdhsa_kernarg_size 40
		.amdhsa_user_sgpr_count 6
		.amdhsa_user_sgpr_private_segment_buffer 1
		.amdhsa_user_sgpr_dispatch_ptr 0
		.amdhsa_user_sgpr_queue_ptr 0
		.amdhsa_user_sgpr_kernarg_segment_ptr 1
		.amdhsa_user_sgpr_dispatch_id 0
		.amdhsa_user_sgpr_flat_scratch_init 0
		.amdhsa_user_sgpr_kernarg_preload_length 0
		.amdhsa_user_sgpr_kernarg_preload_offset 0
		.amdhsa_user_sgpr_private_segment_size 0
		.amdhsa_uses_dynamic_stack 0
		.amdhsa_system_sgpr_private_segment_wavefront_offset 0
		.amdhsa_system_sgpr_workgroup_id_x 1
		.amdhsa_system_sgpr_workgroup_id_y 0
		.amdhsa_system_sgpr_workgroup_id_z 0
		.amdhsa_system_sgpr_workgroup_info 0
		.amdhsa_system_vgpr_workitem_id 0
		.amdhsa_next_free_vgpr 1
		.amdhsa_next_free_sgpr 0
		.amdhsa_accum_offset 4
		.amdhsa_reserve_vcc 0
		.amdhsa_reserve_flat_scratch 0
		.amdhsa_float_round_mode_32 0
		.amdhsa_float_round_mode_16_64 0
		.amdhsa_float_denorm_mode_32 3
		.amdhsa_float_denorm_mode_16_64 3
		.amdhsa_dx10_clamp 1
		.amdhsa_ieee_mode 1
		.amdhsa_fp16_overflow 0
		.amdhsa_tg_split 0
		.amdhsa_exception_fp_ieee_invalid_op 0
		.amdhsa_exception_fp_denorm_src 0
		.amdhsa_exception_fp_ieee_div_zero 0
		.amdhsa_exception_fp_ieee_overflow 0
		.amdhsa_exception_fp_ieee_underflow 0
		.amdhsa_exception_fp_ieee_inexact 0
		.amdhsa_exception_int_div_zero 0
	.end_amdhsa_kernel
	.section	.text._ZN7rocprim17ROCPRIM_400000_NS6detail17trampoline_kernelINS0_14default_configENS1_25transform_config_selectorINS0_10empty_typeELb1EEEZNS1_14transform_implILb1ES3_S6_PS5_S8_NS0_8identityIS5_EEEE10hipError_tT2_T3_mT4_P12ihipStream_tbEUlT_E_NS1_11comp_targetILNS1_3genE0ELNS1_11target_archE4294967295ELNS1_3gpuE0ELNS1_3repE0EEENS1_30default_config_static_selectorELNS0_4arch9wavefront6targetE1EEEvT1_,"axG",@progbits,_ZN7rocprim17ROCPRIM_400000_NS6detail17trampoline_kernelINS0_14default_configENS1_25transform_config_selectorINS0_10empty_typeELb1EEEZNS1_14transform_implILb1ES3_S6_PS5_S8_NS0_8identityIS5_EEEE10hipError_tT2_T3_mT4_P12ihipStream_tbEUlT_E_NS1_11comp_targetILNS1_3genE0ELNS1_11target_archE4294967295ELNS1_3gpuE0ELNS1_3repE0EEENS1_30default_config_static_selectorELNS0_4arch9wavefront6targetE1EEEvT1_,comdat
.Lfunc_end781:
	.size	_ZN7rocprim17ROCPRIM_400000_NS6detail17trampoline_kernelINS0_14default_configENS1_25transform_config_selectorINS0_10empty_typeELb1EEEZNS1_14transform_implILb1ES3_S6_PS5_S8_NS0_8identityIS5_EEEE10hipError_tT2_T3_mT4_P12ihipStream_tbEUlT_E_NS1_11comp_targetILNS1_3genE0ELNS1_11target_archE4294967295ELNS1_3gpuE0ELNS1_3repE0EEENS1_30default_config_static_selectorELNS0_4arch9wavefront6targetE1EEEvT1_, .Lfunc_end781-_ZN7rocprim17ROCPRIM_400000_NS6detail17trampoline_kernelINS0_14default_configENS1_25transform_config_selectorINS0_10empty_typeELb1EEEZNS1_14transform_implILb1ES3_S6_PS5_S8_NS0_8identityIS5_EEEE10hipError_tT2_T3_mT4_P12ihipStream_tbEUlT_E_NS1_11comp_targetILNS1_3genE0ELNS1_11target_archE4294967295ELNS1_3gpuE0ELNS1_3repE0EEENS1_30default_config_static_selectorELNS0_4arch9wavefront6targetE1EEEvT1_
                                        ; -- End function
	.section	.AMDGPU.csdata,"",@progbits
; Kernel info:
; codeLenInByte = 0
; NumSgprs: 4
; NumVgprs: 0
; NumAgprs: 0
; TotalNumVgprs: 0
; ScratchSize: 0
; MemoryBound: 0
; FloatMode: 240
; IeeeMode: 1
; LDSByteSize: 0 bytes/workgroup (compile time only)
; SGPRBlocks: 0
; VGPRBlocks: 0
; NumSGPRsForWavesPerEU: 4
; NumVGPRsForWavesPerEU: 1
; AccumOffset: 4
; Occupancy: 8
; WaveLimiterHint : 0
; COMPUTE_PGM_RSRC2:SCRATCH_EN: 0
; COMPUTE_PGM_RSRC2:USER_SGPR: 6
; COMPUTE_PGM_RSRC2:TRAP_HANDLER: 0
; COMPUTE_PGM_RSRC2:TGID_X_EN: 1
; COMPUTE_PGM_RSRC2:TGID_Y_EN: 0
; COMPUTE_PGM_RSRC2:TGID_Z_EN: 0
; COMPUTE_PGM_RSRC2:TIDIG_COMP_CNT: 0
; COMPUTE_PGM_RSRC3_GFX90A:ACCUM_OFFSET: 0
; COMPUTE_PGM_RSRC3_GFX90A:TG_SPLIT: 0
	.section	.text._ZN7rocprim17ROCPRIM_400000_NS6detail17trampoline_kernelINS0_14default_configENS1_25transform_config_selectorINS0_10empty_typeELb1EEEZNS1_14transform_implILb1ES3_S6_PS5_S8_NS0_8identityIS5_EEEE10hipError_tT2_T3_mT4_P12ihipStream_tbEUlT_E_NS1_11comp_targetILNS1_3genE10ELNS1_11target_archE1201ELNS1_3gpuE5ELNS1_3repE0EEENS1_30default_config_static_selectorELNS0_4arch9wavefront6targetE1EEEvT1_,"axG",@progbits,_ZN7rocprim17ROCPRIM_400000_NS6detail17trampoline_kernelINS0_14default_configENS1_25transform_config_selectorINS0_10empty_typeELb1EEEZNS1_14transform_implILb1ES3_S6_PS5_S8_NS0_8identityIS5_EEEE10hipError_tT2_T3_mT4_P12ihipStream_tbEUlT_E_NS1_11comp_targetILNS1_3genE10ELNS1_11target_archE1201ELNS1_3gpuE5ELNS1_3repE0EEENS1_30default_config_static_selectorELNS0_4arch9wavefront6targetE1EEEvT1_,comdat
	.protected	_ZN7rocprim17ROCPRIM_400000_NS6detail17trampoline_kernelINS0_14default_configENS1_25transform_config_selectorINS0_10empty_typeELb1EEEZNS1_14transform_implILb1ES3_S6_PS5_S8_NS0_8identityIS5_EEEE10hipError_tT2_T3_mT4_P12ihipStream_tbEUlT_E_NS1_11comp_targetILNS1_3genE10ELNS1_11target_archE1201ELNS1_3gpuE5ELNS1_3repE0EEENS1_30default_config_static_selectorELNS0_4arch9wavefront6targetE1EEEvT1_ ; -- Begin function _ZN7rocprim17ROCPRIM_400000_NS6detail17trampoline_kernelINS0_14default_configENS1_25transform_config_selectorINS0_10empty_typeELb1EEEZNS1_14transform_implILb1ES3_S6_PS5_S8_NS0_8identityIS5_EEEE10hipError_tT2_T3_mT4_P12ihipStream_tbEUlT_E_NS1_11comp_targetILNS1_3genE10ELNS1_11target_archE1201ELNS1_3gpuE5ELNS1_3repE0EEENS1_30default_config_static_selectorELNS0_4arch9wavefront6targetE1EEEvT1_
	.globl	_ZN7rocprim17ROCPRIM_400000_NS6detail17trampoline_kernelINS0_14default_configENS1_25transform_config_selectorINS0_10empty_typeELb1EEEZNS1_14transform_implILb1ES3_S6_PS5_S8_NS0_8identityIS5_EEEE10hipError_tT2_T3_mT4_P12ihipStream_tbEUlT_E_NS1_11comp_targetILNS1_3genE10ELNS1_11target_archE1201ELNS1_3gpuE5ELNS1_3repE0EEENS1_30default_config_static_selectorELNS0_4arch9wavefront6targetE1EEEvT1_
	.p2align	8
	.type	_ZN7rocprim17ROCPRIM_400000_NS6detail17trampoline_kernelINS0_14default_configENS1_25transform_config_selectorINS0_10empty_typeELb1EEEZNS1_14transform_implILb1ES3_S6_PS5_S8_NS0_8identityIS5_EEEE10hipError_tT2_T3_mT4_P12ihipStream_tbEUlT_E_NS1_11comp_targetILNS1_3genE10ELNS1_11target_archE1201ELNS1_3gpuE5ELNS1_3repE0EEENS1_30default_config_static_selectorELNS0_4arch9wavefront6targetE1EEEvT1_,@function
_ZN7rocprim17ROCPRIM_400000_NS6detail17trampoline_kernelINS0_14default_configENS1_25transform_config_selectorINS0_10empty_typeELb1EEEZNS1_14transform_implILb1ES3_S6_PS5_S8_NS0_8identityIS5_EEEE10hipError_tT2_T3_mT4_P12ihipStream_tbEUlT_E_NS1_11comp_targetILNS1_3genE10ELNS1_11target_archE1201ELNS1_3gpuE5ELNS1_3repE0EEENS1_30default_config_static_selectorELNS0_4arch9wavefront6targetE1EEEvT1_: ; @_ZN7rocprim17ROCPRIM_400000_NS6detail17trampoline_kernelINS0_14default_configENS1_25transform_config_selectorINS0_10empty_typeELb1EEEZNS1_14transform_implILb1ES3_S6_PS5_S8_NS0_8identityIS5_EEEE10hipError_tT2_T3_mT4_P12ihipStream_tbEUlT_E_NS1_11comp_targetILNS1_3genE10ELNS1_11target_archE1201ELNS1_3gpuE5ELNS1_3repE0EEENS1_30default_config_static_selectorELNS0_4arch9wavefront6targetE1EEEvT1_
; %bb.0:
	.section	.rodata,"a",@progbits
	.p2align	6, 0x0
	.amdhsa_kernel _ZN7rocprim17ROCPRIM_400000_NS6detail17trampoline_kernelINS0_14default_configENS1_25transform_config_selectorINS0_10empty_typeELb1EEEZNS1_14transform_implILb1ES3_S6_PS5_S8_NS0_8identityIS5_EEEE10hipError_tT2_T3_mT4_P12ihipStream_tbEUlT_E_NS1_11comp_targetILNS1_3genE10ELNS1_11target_archE1201ELNS1_3gpuE5ELNS1_3repE0EEENS1_30default_config_static_selectorELNS0_4arch9wavefront6targetE1EEEvT1_
		.amdhsa_group_segment_fixed_size 0
		.amdhsa_private_segment_fixed_size 0
		.amdhsa_kernarg_size 40
		.amdhsa_user_sgpr_count 6
		.amdhsa_user_sgpr_private_segment_buffer 1
		.amdhsa_user_sgpr_dispatch_ptr 0
		.amdhsa_user_sgpr_queue_ptr 0
		.amdhsa_user_sgpr_kernarg_segment_ptr 1
		.amdhsa_user_sgpr_dispatch_id 0
		.amdhsa_user_sgpr_flat_scratch_init 0
		.amdhsa_user_sgpr_kernarg_preload_length 0
		.amdhsa_user_sgpr_kernarg_preload_offset 0
		.amdhsa_user_sgpr_private_segment_size 0
		.amdhsa_uses_dynamic_stack 0
		.amdhsa_system_sgpr_private_segment_wavefront_offset 0
		.amdhsa_system_sgpr_workgroup_id_x 1
		.amdhsa_system_sgpr_workgroup_id_y 0
		.amdhsa_system_sgpr_workgroup_id_z 0
		.amdhsa_system_sgpr_workgroup_info 0
		.amdhsa_system_vgpr_workitem_id 0
		.amdhsa_next_free_vgpr 1
		.amdhsa_next_free_sgpr 0
		.amdhsa_accum_offset 4
		.amdhsa_reserve_vcc 0
		.amdhsa_reserve_flat_scratch 0
		.amdhsa_float_round_mode_32 0
		.amdhsa_float_round_mode_16_64 0
		.amdhsa_float_denorm_mode_32 3
		.amdhsa_float_denorm_mode_16_64 3
		.amdhsa_dx10_clamp 1
		.amdhsa_ieee_mode 1
		.amdhsa_fp16_overflow 0
		.amdhsa_tg_split 0
		.amdhsa_exception_fp_ieee_invalid_op 0
		.amdhsa_exception_fp_denorm_src 0
		.amdhsa_exception_fp_ieee_div_zero 0
		.amdhsa_exception_fp_ieee_overflow 0
		.amdhsa_exception_fp_ieee_underflow 0
		.amdhsa_exception_fp_ieee_inexact 0
		.amdhsa_exception_int_div_zero 0
	.end_amdhsa_kernel
	.section	.text._ZN7rocprim17ROCPRIM_400000_NS6detail17trampoline_kernelINS0_14default_configENS1_25transform_config_selectorINS0_10empty_typeELb1EEEZNS1_14transform_implILb1ES3_S6_PS5_S8_NS0_8identityIS5_EEEE10hipError_tT2_T3_mT4_P12ihipStream_tbEUlT_E_NS1_11comp_targetILNS1_3genE10ELNS1_11target_archE1201ELNS1_3gpuE5ELNS1_3repE0EEENS1_30default_config_static_selectorELNS0_4arch9wavefront6targetE1EEEvT1_,"axG",@progbits,_ZN7rocprim17ROCPRIM_400000_NS6detail17trampoline_kernelINS0_14default_configENS1_25transform_config_selectorINS0_10empty_typeELb1EEEZNS1_14transform_implILb1ES3_S6_PS5_S8_NS0_8identityIS5_EEEE10hipError_tT2_T3_mT4_P12ihipStream_tbEUlT_E_NS1_11comp_targetILNS1_3genE10ELNS1_11target_archE1201ELNS1_3gpuE5ELNS1_3repE0EEENS1_30default_config_static_selectorELNS0_4arch9wavefront6targetE1EEEvT1_,comdat
.Lfunc_end782:
	.size	_ZN7rocprim17ROCPRIM_400000_NS6detail17trampoline_kernelINS0_14default_configENS1_25transform_config_selectorINS0_10empty_typeELb1EEEZNS1_14transform_implILb1ES3_S6_PS5_S8_NS0_8identityIS5_EEEE10hipError_tT2_T3_mT4_P12ihipStream_tbEUlT_E_NS1_11comp_targetILNS1_3genE10ELNS1_11target_archE1201ELNS1_3gpuE5ELNS1_3repE0EEENS1_30default_config_static_selectorELNS0_4arch9wavefront6targetE1EEEvT1_, .Lfunc_end782-_ZN7rocprim17ROCPRIM_400000_NS6detail17trampoline_kernelINS0_14default_configENS1_25transform_config_selectorINS0_10empty_typeELb1EEEZNS1_14transform_implILb1ES3_S6_PS5_S8_NS0_8identityIS5_EEEE10hipError_tT2_T3_mT4_P12ihipStream_tbEUlT_E_NS1_11comp_targetILNS1_3genE10ELNS1_11target_archE1201ELNS1_3gpuE5ELNS1_3repE0EEENS1_30default_config_static_selectorELNS0_4arch9wavefront6targetE1EEEvT1_
                                        ; -- End function
	.section	.AMDGPU.csdata,"",@progbits
; Kernel info:
; codeLenInByte = 0
; NumSgprs: 4
; NumVgprs: 0
; NumAgprs: 0
; TotalNumVgprs: 0
; ScratchSize: 0
; MemoryBound: 0
; FloatMode: 240
; IeeeMode: 1
; LDSByteSize: 0 bytes/workgroup (compile time only)
; SGPRBlocks: 0
; VGPRBlocks: 0
; NumSGPRsForWavesPerEU: 4
; NumVGPRsForWavesPerEU: 1
; AccumOffset: 4
; Occupancy: 8
; WaveLimiterHint : 0
; COMPUTE_PGM_RSRC2:SCRATCH_EN: 0
; COMPUTE_PGM_RSRC2:USER_SGPR: 6
; COMPUTE_PGM_RSRC2:TRAP_HANDLER: 0
; COMPUTE_PGM_RSRC2:TGID_X_EN: 1
; COMPUTE_PGM_RSRC2:TGID_Y_EN: 0
; COMPUTE_PGM_RSRC2:TGID_Z_EN: 0
; COMPUTE_PGM_RSRC2:TIDIG_COMP_CNT: 0
; COMPUTE_PGM_RSRC3_GFX90A:ACCUM_OFFSET: 0
; COMPUTE_PGM_RSRC3_GFX90A:TG_SPLIT: 0
	.section	.text._ZN7rocprim17ROCPRIM_400000_NS6detail17trampoline_kernelINS0_14default_configENS1_25transform_config_selectorINS0_10empty_typeELb1EEEZNS1_14transform_implILb1ES3_S6_PS5_S8_NS0_8identityIS5_EEEE10hipError_tT2_T3_mT4_P12ihipStream_tbEUlT_E_NS1_11comp_targetILNS1_3genE5ELNS1_11target_archE942ELNS1_3gpuE9ELNS1_3repE0EEENS1_30default_config_static_selectorELNS0_4arch9wavefront6targetE1EEEvT1_,"axG",@progbits,_ZN7rocprim17ROCPRIM_400000_NS6detail17trampoline_kernelINS0_14default_configENS1_25transform_config_selectorINS0_10empty_typeELb1EEEZNS1_14transform_implILb1ES3_S6_PS5_S8_NS0_8identityIS5_EEEE10hipError_tT2_T3_mT4_P12ihipStream_tbEUlT_E_NS1_11comp_targetILNS1_3genE5ELNS1_11target_archE942ELNS1_3gpuE9ELNS1_3repE0EEENS1_30default_config_static_selectorELNS0_4arch9wavefront6targetE1EEEvT1_,comdat
	.protected	_ZN7rocprim17ROCPRIM_400000_NS6detail17trampoline_kernelINS0_14default_configENS1_25transform_config_selectorINS0_10empty_typeELb1EEEZNS1_14transform_implILb1ES3_S6_PS5_S8_NS0_8identityIS5_EEEE10hipError_tT2_T3_mT4_P12ihipStream_tbEUlT_E_NS1_11comp_targetILNS1_3genE5ELNS1_11target_archE942ELNS1_3gpuE9ELNS1_3repE0EEENS1_30default_config_static_selectorELNS0_4arch9wavefront6targetE1EEEvT1_ ; -- Begin function _ZN7rocprim17ROCPRIM_400000_NS6detail17trampoline_kernelINS0_14default_configENS1_25transform_config_selectorINS0_10empty_typeELb1EEEZNS1_14transform_implILb1ES3_S6_PS5_S8_NS0_8identityIS5_EEEE10hipError_tT2_T3_mT4_P12ihipStream_tbEUlT_E_NS1_11comp_targetILNS1_3genE5ELNS1_11target_archE942ELNS1_3gpuE9ELNS1_3repE0EEENS1_30default_config_static_selectorELNS0_4arch9wavefront6targetE1EEEvT1_
	.globl	_ZN7rocprim17ROCPRIM_400000_NS6detail17trampoline_kernelINS0_14default_configENS1_25transform_config_selectorINS0_10empty_typeELb1EEEZNS1_14transform_implILb1ES3_S6_PS5_S8_NS0_8identityIS5_EEEE10hipError_tT2_T3_mT4_P12ihipStream_tbEUlT_E_NS1_11comp_targetILNS1_3genE5ELNS1_11target_archE942ELNS1_3gpuE9ELNS1_3repE0EEENS1_30default_config_static_selectorELNS0_4arch9wavefront6targetE1EEEvT1_
	.p2align	8
	.type	_ZN7rocprim17ROCPRIM_400000_NS6detail17trampoline_kernelINS0_14default_configENS1_25transform_config_selectorINS0_10empty_typeELb1EEEZNS1_14transform_implILb1ES3_S6_PS5_S8_NS0_8identityIS5_EEEE10hipError_tT2_T3_mT4_P12ihipStream_tbEUlT_E_NS1_11comp_targetILNS1_3genE5ELNS1_11target_archE942ELNS1_3gpuE9ELNS1_3repE0EEENS1_30default_config_static_selectorELNS0_4arch9wavefront6targetE1EEEvT1_,@function
_ZN7rocprim17ROCPRIM_400000_NS6detail17trampoline_kernelINS0_14default_configENS1_25transform_config_selectorINS0_10empty_typeELb1EEEZNS1_14transform_implILb1ES3_S6_PS5_S8_NS0_8identityIS5_EEEE10hipError_tT2_T3_mT4_P12ihipStream_tbEUlT_E_NS1_11comp_targetILNS1_3genE5ELNS1_11target_archE942ELNS1_3gpuE9ELNS1_3repE0EEENS1_30default_config_static_selectorELNS0_4arch9wavefront6targetE1EEEvT1_: ; @_ZN7rocprim17ROCPRIM_400000_NS6detail17trampoline_kernelINS0_14default_configENS1_25transform_config_selectorINS0_10empty_typeELb1EEEZNS1_14transform_implILb1ES3_S6_PS5_S8_NS0_8identityIS5_EEEE10hipError_tT2_T3_mT4_P12ihipStream_tbEUlT_E_NS1_11comp_targetILNS1_3genE5ELNS1_11target_archE942ELNS1_3gpuE9ELNS1_3repE0EEENS1_30default_config_static_selectorELNS0_4arch9wavefront6targetE1EEEvT1_
; %bb.0:
	.section	.rodata,"a",@progbits
	.p2align	6, 0x0
	.amdhsa_kernel _ZN7rocprim17ROCPRIM_400000_NS6detail17trampoline_kernelINS0_14default_configENS1_25transform_config_selectorINS0_10empty_typeELb1EEEZNS1_14transform_implILb1ES3_S6_PS5_S8_NS0_8identityIS5_EEEE10hipError_tT2_T3_mT4_P12ihipStream_tbEUlT_E_NS1_11comp_targetILNS1_3genE5ELNS1_11target_archE942ELNS1_3gpuE9ELNS1_3repE0EEENS1_30default_config_static_selectorELNS0_4arch9wavefront6targetE1EEEvT1_
		.amdhsa_group_segment_fixed_size 0
		.amdhsa_private_segment_fixed_size 0
		.amdhsa_kernarg_size 40
		.amdhsa_user_sgpr_count 6
		.amdhsa_user_sgpr_private_segment_buffer 1
		.amdhsa_user_sgpr_dispatch_ptr 0
		.amdhsa_user_sgpr_queue_ptr 0
		.amdhsa_user_sgpr_kernarg_segment_ptr 1
		.amdhsa_user_sgpr_dispatch_id 0
		.amdhsa_user_sgpr_flat_scratch_init 0
		.amdhsa_user_sgpr_kernarg_preload_length 0
		.amdhsa_user_sgpr_kernarg_preload_offset 0
		.amdhsa_user_sgpr_private_segment_size 0
		.amdhsa_uses_dynamic_stack 0
		.amdhsa_system_sgpr_private_segment_wavefront_offset 0
		.amdhsa_system_sgpr_workgroup_id_x 1
		.amdhsa_system_sgpr_workgroup_id_y 0
		.amdhsa_system_sgpr_workgroup_id_z 0
		.amdhsa_system_sgpr_workgroup_info 0
		.amdhsa_system_vgpr_workitem_id 0
		.amdhsa_next_free_vgpr 1
		.amdhsa_next_free_sgpr 0
		.amdhsa_accum_offset 4
		.amdhsa_reserve_vcc 0
		.amdhsa_reserve_flat_scratch 0
		.amdhsa_float_round_mode_32 0
		.amdhsa_float_round_mode_16_64 0
		.amdhsa_float_denorm_mode_32 3
		.amdhsa_float_denorm_mode_16_64 3
		.amdhsa_dx10_clamp 1
		.amdhsa_ieee_mode 1
		.amdhsa_fp16_overflow 0
		.amdhsa_tg_split 0
		.amdhsa_exception_fp_ieee_invalid_op 0
		.amdhsa_exception_fp_denorm_src 0
		.amdhsa_exception_fp_ieee_div_zero 0
		.amdhsa_exception_fp_ieee_overflow 0
		.amdhsa_exception_fp_ieee_underflow 0
		.amdhsa_exception_fp_ieee_inexact 0
		.amdhsa_exception_int_div_zero 0
	.end_amdhsa_kernel
	.section	.text._ZN7rocprim17ROCPRIM_400000_NS6detail17trampoline_kernelINS0_14default_configENS1_25transform_config_selectorINS0_10empty_typeELb1EEEZNS1_14transform_implILb1ES3_S6_PS5_S8_NS0_8identityIS5_EEEE10hipError_tT2_T3_mT4_P12ihipStream_tbEUlT_E_NS1_11comp_targetILNS1_3genE5ELNS1_11target_archE942ELNS1_3gpuE9ELNS1_3repE0EEENS1_30default_config_static_selectorELNS0_4arch9wavefront6targetE1EEEvT1_,"axG",@progbits,_ZN7rocprim17ROCPRIM_400000_NS6detail17trampoline_kernelINS0_14default_configENS1_25transform_config_selectorINS0_10empty_typeELb1EEEZNS1_14transform_implILb1ES3_S6_PS5_S8_NS0_8identityIS5_EEEE10hipError_tT2_T3_mT4_P12ihipStream_tbEUlT_E_NS1_11comp_targetILNS1_3genE5ELNS1_11target_archE942ELNS1_3gpuE9ELNS1_3repE0EEENS1_30default_config_static_selectorELNS0_4arch9wavefront6targetE1EEEvT1_,comdat
.Lfunc_end783:
	.size	_ZN7rocprim17ROCPRIM_400000_NS6detail17trampoline_kernelINS0_14default_configENS1_25transform_config_selectorINS0_10empty_typeELb1EEEZNS1_14transform_implILb1ES3_S6_PS5_S8_NS0_8identityIS5_EEEE10hipError_tT2_T3_mT4_P12ihipStream_tbEUlT_E_NS1_11comp_targetILNS1_3genE5ELNS1_11target_archE942ELNS1_3gpuE9ELNS1_3repE0EEENS1_30default_config_static_selectorELNS0_4arch9wavefront6targetE1EEEvT1_, .Lfunc_end783-_ZN7rocprim17ROCPRIM_400000_NS6detail17trampoline_kernelINS0_14default_configENS1_25transform_config_selectorINS0_10empty_typeELb1EEEZNS1_14transform_implILb1ES3_S6_PS5_S8_NS0_8identityIS5_EEEE10hipError_tT2_T3_mT4_P12ihipStream_tbEUlT_E_NS1_11comp_targetILNS1_3genE5ELNS1_11target_archE942ELNS1_3gpuE9ELNS1_3repE0EEENS1_30default_config_static_selectorELNS0_4arch9wavefront6targetE1EEEvT1_
                                        ; -- End function
	.section	.AMDGPU.csdata,"",@progbits
; Kernel info:
; codeLenInByte = 0
; NumSgprs: 4
; NumVgprs: 0
; NumAgprs: 0
; TotalNumVgprs: 0
; ScratchSize: 0
; MemoryBound: 0
; FloatMode: 240
; IeeeMode: 1
; LDSByteSize: 0 bytes/workgroup (compile time only)
; SGPRBlocks: 0
; VGPRBlocks: 0
; NumSGPRsForWavesPerEU: 4
; NumVGPRsForWavesPerEU: 1
; AccumOffset: 4
; Occupancy: 8
; WaveLimiterHint : 0
; COMPUTE_PGM_RSRC2:SCRATCH_EN: 0
; COMPUTE_PGM_RSRC2:USER_SGPR: 6
; COMPUTE_PGM_RSRC2:TRAP_HANDLER: 0
; COMPUTE_PGM_RSRC2:TGID_X_EN: 1
; COMPUTE_PGM_RSRC2:TGID_Y_EN: 0
; COMPUTE_PGM_RSRC2:TGID_Z_EN: 0
; COMPUTE_PGM_RSRC2:TIDIG_COMP_CNT: 0
; COMPUTE_PGM_RSRC3_GFX90A:ACCUM_OFFSET: 0
; COMPUTE_PGM_RSRC3_GFX90A:TG_SPLIT: 0
	.section	.text._ZN7rocprim17ROCPRIM_400000_NS6detail17trampoline_kernelINS0_14default_configENS1_25transform_config_selectorINS0_10empty_typeELb1EEEZNS1_14transform_implILb1ES3_S6_PS5_S8_NS0_8identityIS5_EEEE10hipError_tT2_T3_mT4_P12ihipStream_tbEUlT_E_NS1_11comp_targetILNS1_3genE4ELNS1_11target_archE910ELNS1_3gpuE8ELNS1_3repE0EEENS1_30default_config_static_selectorELNS0_4arch9wavefront6targetE1EEEvT1_,"axG",@progbits,_ZN7rocprim17ROCPRIM_400000_NS6detail17trampoline_kernelINS0_14default_configENS1_25transform_config_selectorINS0_10empty_typeELb1EEEZNS1_14transform_implILb1ES3_S6_PS5_S8_NS0_8identityIS5_EEEE10hipError_tT2_T3_mT4_P12ihipStream_tbEUlT_E_NS1_11comp_targetILNS1_3genE4ELNS1_11target_archE910ELNS1_3gpuE8ELNS1_3repE0EEENS1_30default_config_static_selectorELNS0_4arch9wavefront6targetE1EEEvT1_,comdat
	.protected	_ZN7rocprim17ROCPRIM_400000_NS6detail17trampoline_kernelINS0_14default_configENS1_25transform_config_selectorINS0_10empty_typeELb1EEEZNS1_14transform_implILb1ES3_S6_PS5_S8_NS0_8identityIS5_EEEE10hipError_tT2_T3_mT4_P12ihipStream_tbEUlT_E_NS1_11comp_targetILNS1_3genE4ELNS1_11target_archE910ELNS1_3gpuE8ELNS1_3repE0EEENS1_30default_config_static_selectorELNS0_4arch9wavefront6targetE1EEEvT1_ ; -- Begin function _ZN7rocprim17ROCPRIM_400000_NS6detail17trampoline_kernelINS0_14default_configENS1_25transform_config_selectorINS0_10empty_typeELb1EEEZNS1_14transform_implILb1ES3_S6_PS5_S8_NS0_8identityIS5_EEEE10hipError_tT2_T3_mT4_P12ihipStream_tbEUlT_E_NS1_11comp_targetILNS1_3genE4ELNS1_11target_archE910ELNS1_3gpuE8ELNS1_3repE0EEENS1_30default_config_static_selectorELNS0_4arch9wavefront6targetE1EEEvT1_
	.globl	_ZN7rocprim17ROCPRIM_400000_NS6detail17trampoline_kernelINS0_14default_configENS1_25transform_config_selectorINS0_10empty_typeELb1EEEZNS1_14transform_implILb1ES3_S6_PS5_S8_NS0_8identityIS5_EEEE10hipError_tT2_T3_mT4_P12ihipStream_tbEUlT_E_NS1_11comp_targetILNS1_3genE4ELNS1_11target_archE910ELNS1_3gpuE8ELNS1_3repE0EEENS1_30default_config_static_selectorELNS0_4arch9wavefront6targetE1EEEvT1_
	.p2align	8
	.type	_ZN7rocprim17ROCPRIM_400000_NS6detail17trampoline_kernelINS0_14default_configENS1_25transform_config_selectorINS0_10empty_typeELb1EEEZNS1_14transform_implILb1ES3_S6_PS5_S8_NS0_8identityIS5_EEEE10hipError_tT2_T3_mT4_P12ihipStream_tbEUlT_E_NS1_11comp_targetILNS1_3genE4ELNS1_11target_archE910ELNS1_3gpuE8ELNS1_3repE0EEENS1_30default_config_static_selectorELNS0_4arch9wavefront6targetE1EEEvT1_,@function
_ZN7rocprim17ROCPRIM_400000_NS6detail17trampoline_kernelINS0_14default_configENS1_25transform_config_selectorINS0_10empty_typeELb1EEEZNS1_14transform_implILb1ES3_S6_PS5_S8_NS0_8identityIS5_EEEE10hipError_tT2_T3_mT4_P12ihipStream_tbEUlT_E_NS1_11comp_targetILNS1_3genE4ELNS1_11target_archE910ELNS1_3gpuE8ELNS1_3repE0EEENS1_30default_config_static_selectorELNS0_4arch9wavefront6targetE1EEEvT1_: ; @_ZN7rocprim17ROCPRIM_400000_NS6detail17trampoline_kernelINS0_14default_configENS1_25transform_config_selectorINS0_10empty_typeELb1EEEZNS1_14transform_implILb1ES3_S6_PS5_S8_NS0_8identityIS5_EEEE10hipError_tT2_T3_mT4_P12ihipStream_tbEUlT_E_NS1_11comp_targetILNS1_3genE4ELNS1_11target_archE910ELNS1_3gpuE8ELNS1_3repE0EEENS1_30default_config_static_selectorELNS0_4arch9wavefront6targetE1EEEvT1_
; %bb.0:
	s_endpgm
	.section	.rodata,"a",@progbits
	.p2align	6, 0x0
	.amdhsa_kernel _ZN7rocprim17ROCPRIM_400000_NS6detail17trampoline_kernelINS0_14default_configENS1_25transform_config_selectorINS0_10empty_typeELb1EEEZNS1_14transform_implILb1ES3_S6_PS5_S8_NS0_8identityIS5_EEEE10hipError_tT2_T3_mT4_P12ihipStream_tbEUlT_E_NS1_11comp_targetILNS1_3genE4ELNS1_11target_archE910ELNS1_3gpuE8ELNS1_3repE0EEENS1_30default_config_static_selectorELNS0_4arch9wavefront6targetE1EEEvT1_
		.amdhsa_group_segment_fixed_size 0
		.amdhsa_private_segment_fixed_size 0
		.amdhsa_kernarg_size 40
		.amdhsa_user_sgpr_count 6
		.amdhsa_user_sgpr_private_segment_buffer 1
		.amdhsa_user_sgpr_dispatch_ptr 0
		.amdhsa_user_sgpr_queue_ptr 0
		.amdhsa_user_sgpr_kernarg_segment_ptr 1
		.amdhsa_user_sgpr_dispatch_id 0
		.amdhsa_user_sgpr_flat_scratch_init 0
		.amdhsa_user_sgpr_kernarg_preload_length 0
		.amdhsa_user_sgpr_kernarg_preload_offset 0
		.amdhsa_user_sgpr_private_segment_size 0
		.amdhsa_uses_dynamic_stack 0
		.amdhsa_system_sgpr_private_segment_wavefront_offset 0
		.amdhsa_system_sgpr_workgroup_id_x 1
		.amdhsa_system_sgpr_workgroup_id_y 0
		.amdhsa_system_sgpr_workgroup_id_z 0
		.amdhsa_system_sgpr_workgroup_info 0
		.amdhsa_system_vgpr_workitem_id 0
		.amdhsa_next_free_vgpr 1
		.amdhsa_next_free_sgpr 0
		.amdhsa_accum_offset 4
		.amdhsa_reserve_vcc 0
		.amdhsa_reserve_flat_scratch 0
		.amdhsa_float_round_mode_32 0
		.amdhsa_float_round_mode_16_64 0
		.amdhsa_float_denorm_mode_32 3
		.amdhsa_float_denorm_mode_16_64 3
		.amdhsa_dx10_clamp 1
		.amdhsa_ieee_mode 1
		.amdhsa_fp16_overflow 0
		.amdhsa_tg_split 0
		.amdhsa_exception_fp_ieee_invalid_op 0
		.amdhsa_exception_fp_denorm_src 0
		.amdhsa_exception_fp_ieee_div_zero 0
		.amdhsa_exception_fp_ieee_overflow 0
		.amdhsa_exception_fp_ieee_underflow 0
		.amdhsa_exception_fp_ieee_inexact 0
		.amdhsa_exception_int_div_zero 0
	.end_amdhsa_kernel
	.section	.text._ZN7rocprim17ROCPRIM_400000_NS6detail17trampoline_kernelINS0_14default_configENS1_25transform_config_selectorINS0_10empty_typeELb1EEEZNS1_14transform_implILb1ES3_S6_PS5_S8_NS0_8identityIS5_EEEE10hipError_tT2_T3_mT4_P12ihipStream_tbEUlT_E_NS1_11comp_targetILNS1_3genE4ELNS1_11target_archE910ELNS1_3gpuE8ELNS1_3repE0EEENS1_30default_config_static_selectorELNS0_4arch9wavefront6targetE1EEEvT1_,"axG",@progbits,_ZN7rocprim17ROCPRIM_400000_NS6detail17trampoline_kernelINS0_14default_configENS1_25transform_config_selectorINS0_10empty_typeELb1EEEZNS1_14transform_implILb1ES3_S6_PS5_S8_NS0_8identityIS5_EEEE10hipError_tT2_T3_mT4_P12ihipStream_tbEUlT_E_NS1_11comp_targetILNS1_3genE4ELNS1_11target_archE910ELNS1_3gpuE8ELNS1_3repE0EEENS1_30default_config_static_selectorELNS0_4arch9wavefront6targetE1EEEvT1_,comdat
.Lfunc_end784:
	.size	_ZN7rocprim17ROCPRIM_400000_NS6detail17trampoline_kernelINS0_14default_configENS1_25transform_config_selectorINS0_10empty_typeELb1EEEZNS1_14transform_implILb1ES3_S6_PS5_S8_NS0_8identityIS5_EEEE10hipError_tT2_T3_mT4_P12ihipStream_tbEUlT_E_NS1_11comp_targetILNS1_3genE4ELNS1_11target_archE910ELNS1_3gpuE8ELNS1_3repE0EEENS1_30default_config_static_selectorELNS0_4arch9wavefront6targetE1EEEvT1_, .Lfunc_end784-_ZN7rocprim17ROCPRIM_400000_NS6detail17trampoline_kernelINS0_14default_configENS1_25transform_config_selectorINS0_10empty_typeELb1EEEZNS1_14transform_implILb1ES3_S6_PS5_S8_NS0_8identityIS5_EEEE10hipError_tT2_T3_mT4_P12ihipStream_tbEUlT_E_NS1_11comp_targetILNS1_3genE4ELNS1_11target_archE910ELNS1_3gpuE8ELNS1_3repE0EEENS1_30default_config_static_selectorELNS0_4arch9wavefront6targetE1EEEvT1_
                                        ; -- End function
	.section	.AMDGPU.csdata,"",@progbits
; Kernel info:
; codeLenInByte = 4
; NumSgprs: 4
; NumVgprs: 0
; NumAgprs: 0
; TotalNumVgprs: 0
; ScratchSize: 0
; MemoryBound: 0
; FloatMode: 240
; IeeeMode: 1
; LDSByteSize: 0 bytes/workgroup (compile time only)
; SGPRBlocks: 0
; VGPRBlocks: 0
; NumSGPRsForWavesPerEU: 4
; NumVGPRsForWavesPerEU: 1
; AccumOffset: 4
; Occupancy: 8
; WaveLimiterHint : 0
; COMPUTE_PGM_RSRC2:SCRATCH_EN: 0
; COMPUTE_PGM_RSRC2:USER_SGPR: 6
; COMPUTE_PGM_RSRC2:TRAP_HANDLER: 0
; COMPUTE_PGM_RSRC2:TGID_X_EN: 1
; COMPUTE_PGM_RSRC2:TGID_Y_EN: 0
; COMPUTE_PGM_RSRC2:TGID_Z_EN: 0
; COMPUTE_PGM_RSRC2:TIDIG_COMP_CNT: 0
; COMPUTE_PGM_RSRC3_GFX90A:ACCUM_OFFSET: 0
; COMPUTE_PGM_RSRC3_GFX90A:TG_SPLIT: 0
	.section	.text._ZN7rocprim17ROCPRIM_400000_NS6detail17trampoline_kernelINS0_14default_configENS1_25transform_config_selectorINS0_10empty_typeELb1EEEZNS1_14transform_implILb1ES3_S6_PS5_S8_NS0_8identityIS5_EEEE10hipError_tT2_T3_mT4_P12ihipStream_tbEUlT_E_NS1_11comp_targetILNS1_3genE3ELNS1_11target_archE908ELNS1_3gpuE7ELNS1_3repE0EEENS1_30default_config_static_selectorELNS0_4arch9wavefront6targetE1EEEvT1_,"axG",@progbits,_ZN7rocprim17ROCPRIM_400000_NS6detail17trampoline_kernelINS0_14default_configENS1_25transform_config_selectorINS0_10empty_typeELb1EEEZNS1_14transform_implILb1ES3_S6_PS5_S8_NS0_8identityIS5_EEEE10hipError_tT2_T3_mT4_P12ihipStream_tbEUlT_E_NS1_11comp_targetILNS1_3genE3ELNS1_11target_archE908ELNS1_3gpuE7ELNS1_3repE0EEENS1_30default_config_static_selectorELNS0_4arch9wavefront6targetE1EEEvT1_,comdat
	.protected	_ZN7rocprim17ROCPRIM_400000_NS6detail17trampoline_kernelINS0_14default_configENS1_25transform_config_selectorINS0_10empty_typeELb1EEEZNS1_14transform_implILb1ES3_S6_PS5_S8_NS0_8identityIS5_EEEE10hipError_tT2_T3_mT4_P12ihipStream_tbEUlT_E_NS1_11comp_targetILNS1_3genE3ELNS1_11target_archE908ELNS1_3gpuE7ELNS1_3repE0EEENS1_30default_config_static_selectorELNS0_4arch9wavefront6targetE1EEEvT1_ ; -- Begin function _ZN7rocprim17ROCPRIM_400000_NS6detail17trampoline_kernelINS0_14default_configENS1_25transform_config_selectorINS0_10empty_typeELb1EEEZNS1_14transform_implILb1ES3_S6_PS5_S8_NS0_8identityIS5_EEEE10hipError_tT2_T3_mT4_P12ihipStream_tbEUlT_E_NS1_11comp_targetILNS1_3genE3ELNS1_11target_archE908ELNS1_3gpuE7ELNS1_3repE0EEENS1_30default_config_static_selectorELNS0_4arch9wavefront6targetE1EEEvT1_
	.globl	_ZN7rocprim17ROCPRIM_400000_NS6detail17trampoline_kernelINS0_14default_configENS1_25transform_config_selectorINS0_10empty_typeELb1EEEZNS1_14transform_implILb1ES3_S6_PS5_S8_NS0_8identityIS5_EEEE10hipError_tT2_T3_mT4_P12ihipStream_tbEUlT_E_NS1_11comp_targetILNS1_3genE3ELNS1_11target_archE908ELNS1_3gpuE7ELNS1_3repE0EEENS1_30default_config_static_selectorELNS0_4arch9wavefront6targetE1EEEvT1_
	.p2align	8
	.type	_ZN7rocprim17ROCPRIM_400000_NS6detail17trampoline_kernelINS0_14default_configENS1_25transform_config_selectorINS0_10empty_typeELb1EEEZNS1_14transform_implILb1ES3_S6_PS5_S8_NS0_8identityIS5_EEEE10hipError_tT2_T3_mT4_P12ihipStream_tbEUlT_E_NS1_11comp_targetILNS1_3genE3ELNS1_11target_archE908ELNS1_3gpuE7ELNS1_3repE0EEENS1_30default_config_static_selectorELNS0_4arch9wavefront6targetE1EEEvT1_,@function
_ZN7rocprim17ROCPRIM_400000_NS6detail17trampoline_kernelINS0_14default_configENS1_25transform_config_selectorINS0_10empty_typeELb1EEEZNS1_14transform_implILb1ES3_S6_PS5_S8_NS0_8identityIS5_EEEE10hipError_tT2_T3_mT4_P12ihipStream_tbEUlT_E_NS1_11comp_targetILNS1_3genE3ELNS1_11target_archE908ELNS1_3gpuE7ELNS1_3repE0EEENS1_30default_config_static_selectorELNS0_4arch9wavefront6targetE1EEEvT1_: ; @_ZN7rocprim17ROCPRIM_400000_NS6detail17trampoline_kernelINS0_14default_configENS1_25transform_config_selectorINS0_10empty_typeELb1EEEZNS1_14transform_implILb1ES3_S6_PS5_S8_NS0_8identityIS5_EEEE10hipError_tT2_T3_mT4_P12ihipStream_tbEUlT_E_NS1_11comp_targetILNS1_3genE3ELNS1_11target_archE908ELNS1_3gpuE7ELNS1_3repE0EEENS1_30default_config_static_selectorELNS0_4arch9wavefront6targetE1EEEvT1_
; %bb.0:
	.section	.rodata,"a",@progbits
	.p2align	6, 0x0
	.amdhsa_kernel _ZN7rocprim17ROCPRIM_400000_NS6detail17trampoline_kernelINS0_14default_configENS1_25transform_config_selectorINS0_10empty_typeELb1EEEZNS1_14transform_implILb1ES3_S6_PS5_S8_NS0_8identityIS5_EEEE10hipError_tT2_T3_mT4_P12ihipStream_tbEUlT_E_NS1_11comp_targetILNS1_3genE3ELNS1_11target_archE908ELNS1_3gpuE7ELNS1_3repE0EEENS1_30default_config_static_selectorELNS0_4arch9wavefront6targetE1EEEvT1_
		.amdhsa_group_segment_fixed_size 0
		.amdhsa_private_segment_fixed_size 0
		.amdhsa_kernarg_size 40
		.amdhsa_user_sgpr_count 6
		.amdhsa_user_sgpr_private_segment_buffer 1
		.amdhsa_user_sgpr_dispatch_ptr 0
		.amdhsa_user_sgpr_queue_ptr 0
		.amdhsa_user_sgpr_kernarg_segment_ptr 1
		.amdhsa_user_sgpr_dispatch_id 0
		.amdhsa_user_sgpr_flat_scratch_init 0
		.amdhsa_user_sgpr_kernarg_preload_length 0
		.amdhsa_user_sgpr_kernarg_preload_offset 0
		.amdhsa_user_sgpr_private_segment_size 0
		.amdhsa_uses_dynamic_stack 0
		.amdhsa_system_sgpr_private_segment_wavefront_offset 0
		.amdhsa_system_sgpr_workgroup_id_x 1
		.amdhsa_system_sgpr_workgroup_id_y 0
		.amdhsa_system_sgpr_workgroup_id_z 0
		.amdhsa_system_sgpr_workgroup_info 0
		.amdhsa_system_vgpr_workitem_id 0
		.amdhsa_next_free_vgpr 1
		.amdhsa_next_free_sgpr 0
		.amdhsa_accum_offset 4
		.amdhsa_reserve_vcc 0
		.amdhsa_reserve_flat_scratch 0
		.amdhsa_float_round_mode_32 0
		.amdhsa_float_round_mode_16_64 0
		.amdhsa_float_denorm_mode_32 3
		.amdhsa_float_denorm_mode_16_64 3
		.amdhsa_dx10_clamp 1
		.amdhsa_ieee_mode 1
		.amdhsa_fp16_overflow 0
		.amdhsa_tg_split 0
		.amdhsa_exception_fp_ieee_invalid_op 0
		.amdhsa_exception_fp_denorm_src 0
		.amdhsa_exception_fp_ieee_div_zero 0
		.amdhsa_exception_fp_ieee_overflow 0
		.amdhsa_exception_fp_ieee_underflow 0
		.amdhsa_exception_fp_ieee_inexact 0
		.amdhsa_exception_int_div_zero 0
	.end_amdhsa_kernel
	.section	.text._ZN7rocprim17ROCPRIM_400000_NS6detail17trampoline_kernelINS0_14default_configENS1_25transform_config_selectorINS0_10empty_typeELb1EEEZNS1_14transform_implILb1ES3_S6_PS5_S8_NS0_8identityIS5_EEEE10hipError_tT2_T3_mT4_P12ihipStream_tbEUlT_E_NS1_11comp_targetILNS1_3genE3ELNS1_11target_archE908ELNS1_3gpuE7ELNS1_3repE0EEENS1_30default_config_static_selectorELNS0_4arch9wavefront6targetE1EEEvT1_,"axG",@progbits,_ZN7rocprim17ROCPRIM_400000_NS6detail17trampoline_kernelINS0_14default_configENS1_25transform_config_selectorINS0_10empty_typeELb1EEEZNS1_14transform_implILb1ES3_S6_PS5_S8_NS0_8identityIS5_EEEE10hipError_tT2_T3_mT4_P12ihipStream_tbEUlT_E_NS1_11comp_targetILNS1_3genE3ELNS1_11target_archE908ELNS1_3gpuE7ELNS1_3repE0EEENS1_30default_config_static_selectorELNS0_4arch9wavefront6targetE1EEEvT1_,comdat
.Lfunc_end785:
	.size	_ZN7rocprim17ROCPRIM_400000_NS6detail17trampoline_kernelINS0_14default_configENS1_25transform_config_selectorINS0_10empty_typeELb1EEEZNS1_14transform_implILb1ES3_S6_PS5_S8_NS0_8identityIS5_EEEE10hipError_tT2_T3_mT4_P12ihipStream_tbEUlT_E_NS1_11comp_targetILNS1_3genE3ELNS1_11target_archE908ELNS1_3gpuE7ELNS1_3repE0EEENS1_30default_config_static_selectorELNS0_4arch9wavefront6targetE1EEEvT1_, .Lfunc_end785-_ZN7rocprim17ROCPRIM_400000_NS6detail17trampoline_kernelINS0_14default_configENS1_25transform_config_selectorINS0_10empty_typeELb1EEEZNS1_14transform_implILb1ES3_S6_PS5_S8_NS0_8identityIS5_EEEE10hipError_tT2_T3_mT4_P12ihipStream_tbEUlT_E_NS1_11comp_targetILNS1_3genE3ELNS1_11target_archE908ELNS1_3gpuE7ELNS1_3repE0EEENS1_30default_config_static_selectorELNS0_4arch9wavefront6targetE1EEEvT1_
                                        ; -- End function
	.section	.AMDGPU.csdata,"",@progbits
; Kernel info:
; codeLenInByte = 0
; NumSgprs: 4
; NumVgprs: 0
; NumAgprs: 0
; TotalNumVgprs: 0
; ScratchSize: 0
; MemoryBound: 0
; FloatMode: 240
; IeeeMode: 1
; LDSByteSize: 0 bytes/workgroup (compile time only)
; SGPRBlocks: 0
; VGPRBlocks: 0
; NumSGPRsForWavesPerEU: 4
; NumVGPRsForWavesPerEU: 1
; AccumOffset: 4
; Occupancy: 8
; WaveLimiterHint : 0
; COMPUTE_PGM_RSRC2:SCRATCH_EN: 0
; COMPUTE_PGM_RSRC2:USER_SGPR: 6
; COMPUTE_PGM_RSRC2:TRAP_HANDLER: 0
; COMPUTE_PGM_RSRC2:TGID_X_EN: 1
; COMPUTE_PGM_RSRC2:TGID_Y_EN: 0
; COMPUTE_PGM_RSRC2:TGID_Z_EN: 0
; COMPUTE_PGM_RSRC2:TIDIG_COMP_CNT: 0
; COMPUTE_PGM_RSRC3_GFX90A:ACCUM_OFFSET: 0
; COMPUTE_PGM_RSRC3_GFX90A:TG_SPLIT: 0
	.section	.text._ZN7rocprim17ROCPRIM_400000_NS6detail17trampoline_kernelINS0_14default_configENS1_25transform_config_selectorINS0_10empty_typeELb1EEEZNS1_14transform_implILb1ES3_S6_PS5_S8_NS0_8identityIS5_EEEE10hipError_tT2_T3_mT4_P12ihipStream_tbEUlT_E_NS1_11comp_targetILNS1_3genE2ELNS1_11target_archE906ELNS1_3gpuE6ELNS1_3repE0EEENS1_30default_config_static_selectorELNS0_4arch9wavefront6targetE1EEEvT1_,"axG",@progbits,_ZN7rocprim17ROCPRIM_400000_NS6detail17trampoline_kernelINS0_14default_configENS1_25transform_config_selectorINS0_10empty_typeELb1EEEZNS1_14transform_implILb1ES3_S6_PS5_S8_NS0_8identityIS5_EEEE10hipError_tT2_T3_mT4_P12ihipStream_tbEUlT_E_NS1_11comp_targetILNS1_3genE2ELNS1_11target_archE906ELNS1_3gpuE6ELNS1_3repE0EEENS1_30default_config_static_selectorELNS0_4arch9wavefront6targetE1EEEvT1_,comdat
	.protected	_ZN7rocprim17ROCPRIM_400000_NS6detail17trampoline_kernelINS0_14default_configENS1_25transform_config_selectorINS0_10empty_typeELb1EEEZNS1_14transform_implILb1ES3_S6_PS5_S8_NS0_8identityIS5_EEEE10hipError_tT2_T3_mT4_P12ihipStream_tbEUlT_E_NS1_11comp_targetILNS1_3genE2ELNS1_11target_archE906ELNS1_3gpuE6ELNS1_3repE0EEENS1_30default_config_static_selectorELNS0_4arch9wavefront6targetE1EEEvT1_ ; -- Begin function _ZN7rocprim17ROCPRIM_400000_NS6detail17trampoline_kernelINS0_14default_configENS1_25transform_config_selectorINS0_10empty_typeELb1EEEZNS1_14transform_implILb1ES3_S6_PS5_S8_NS0_8identityIS5_EEEE10hipError_tT2_T3_mT4_P12ihipStream_tbEUlT_E_NS1_11comp_targetILNS1_3genE2ELNS1_11target_archE906ELNS1_3gpuE6ELNS1_3repE0EEENS1_30default_config_static_selectorELNS0_4arch9wavefront6targetE1EEEvT1_
	.globl	_ZN7rocprim17ROCPRIM_400000_NS6detail17trampoline_kernelINS0_14default_configENS1_25transform_config_selectorINS0_10empty_typeELb1EEEZNS1_14transform_implILb1ES3_S6_PS5_S8_NS0_8identityIS5_EEEE10hipError_tT2_T3_mT4_P12ihipStream_tbEUlT_E_NS1_11comp_targetILNS1_3genE2ELNS1_11target_archE906ELNS1_3gpuE6ELNS1_3repE0EEENS1_30default_config_static_selectorELNS0_4arch9wavefront6targetE1EEEvT1_
	.p2align	8
	.type	_ZN7rocprim17ROCPRIM_400000_NS6detail17trampoline_kernelINS0_14default_configENS1_25transform_config_selectorINS0_10empty_typeELb1EEEZNS1_14transform_implILb1ES3_S6_PS5_S8_NS0_8identityIS5_EEEE10hipError_tT2_T3_mT4_P12ihipStream_tbEUlT_E_NS1_11comp_targetILNS1_3genE2ELNS1_11target_archE906ELNS1_3gpuE6ELNS1_3repE0EEENS1_30default_config_static_selectorELNS0_4arch9wavefront6targetE1EEEvT1_,@function
_ZN7rocprim17ROCPRIM_400000_NS6detail17trampoline_kernelINS0_14default_configENS1_25transform_config_selectorINS0_10empty_typeELb1EEEZNS1_14transform_implILb1ES3_S6_PS5_S8_NS0_8identityIS5_EEEE10hipError_tT2_T3_mT4_P12ihipStream_tbEUlT_E_NS1_11comp_targetILNS1_3genE2ELNS1_11target_archE906ELNS1_3gpuE6ELNS1_3repE0EEENS1_30default_config_static_selectorELNS0_4arch9wavefront6targetE1EEEvT1_: ; @_ZN7rocprim17ROCPRIM_400000_NS6detail17trampoline_kernelINS0_14default_configENS1_25transform_config_selectorINS0_10empty_typeELb1EEEZNS1_14transform_implILb1ES3_S6_PS5_S8_NS0_8identityIS5_EEEE10hipError_tT2_T3_mT4_P12ihipStream_tbEUlT_E_NS1_11comp_targetILNS1_3genE2ELNS1_11target_archE906ELNS1_3gpuE6ELNS1_3repE0EEENS1_30default_config_static_selectorELNS0_4arch9wavefront6targetE1EEEvT1_
; %bb.0:
	.section	.rodata,"a",@progbits
	.p2align	6, 0x0
	.amdhsa_kernel _ZN7rocprim17ROCPRIM_400000_NS6detail17trampoline_kernelINS0_14default_configENS1_25transform_config_selectorINS0_10empty_typeELb1EEEZNS1_14transform_implILb1ES3_S6_PS5_S8_NS0_8identityIS5_EEEE10hipError_tT2_T3_mT4_P12ihipStream_tbEUlT_E_NS1_11comp_targetILNS1_3genE2ELNS1_11target_archE906ELNS1_3gpuE6ELNS1_3repE0EEENS1_30default_config_static_selectorELNS0_4arch9wavefront6targetE1EEEvT1_
		.amdhsa_group_segment_fixed_size 0
		.amdhsa_private_segment_fixed_size 0
		.amdhsa_kernarg_size 40
		.amdhsa_user_sgpr_count 6
		.amdhsa_user_sgpr_private_segment_buffer 1
		.amdhsa_user_sgpr_dispatch_ptr 0
		.amdhsa_user_sgpr_queue_ptr 0
		.amdhsa_user_sgpr_kernarg_segment_ptr 1
		.amdhsa_user_sgpr_dispatch_id 0
		.amdhsa_user_sgpr_flat_scratch_init 0
		.amdhsa_user_sgpr_kernarg_preload_length 0
		.amdhsa_user_sgpr_kernarg_preload_offset 0
		.amdhsa_user_sgpr_private_segment_size 0
		.amdhsa_uses_dynamic_stack 0
		.amdhsa_system_sgpr_private_segment_wavefront_offset 0
		.amdhsa_system_sgpr_workgroup_id_x 1
		.amdhsa_system_sgpr_workgroup_id_y 0
		.amdhsa_system_sgpr_workgroup_id_z 0
		.amdhsa_system_sgpr_workgroup_info 0
		.amdhsa_system_vgpr_workitem_id 0
		.amdhsa_next_free_vgpr 1
		.amdhsa_next_free_sgpr 0
		.amdhsa_accum_offset 4
		.amdhsa_reserve_vcc 0
		.amdhsa_reserve_flat_scratch 0
		.amdhsa_float_round_mode_32 0
		.amdhsa_float_round_mode_16_64 0
		.amdhsa_float_denorm_mode_32 3
		.amdhsa_float_denorm_mode_16_64 3
		.amdhsa_dx10_clamp 1
		.amdhsa_ieee_mode 1
		.amdhsa_fp16_overflow 0
		.amdhsa_tg_split 0
		.amdhsa_exception_fp_ieee_invalid_op 0
		.amdhsa_exception_fp_denorm_src 0
		.amdhsa_exception_fp_ieee_div_zero 0
		.amdhsa_exception_fp_ieee_overflow 0
		.amdhsa_exception_fp_ieee_underflow 0
		.amdhsa_exception_fp_ieee_inexact 0
		.amdhsa_exception_int_div_zero 0
	.end_amdhsa_kernel
	.section	.text._ZN7rocprim17ROCPRIM_400000_NS6detail17trampoline_kernelINS0_14default_configENS1_25transform_config_selectorINS0_10empty_typeELb1EEEZNS1_14transform_implILb1ES3_S6_PS5_S8_NS0_8identityIS5_EEEE10hipError_tT2_T3_mT4_P12ihipStream_tbEUlT_E_NS1_11comp_targetILNS1_3genE2ELNS1_11target_archE906ELNS1_3gpuE6ELNS1_3repE0EEENS1_30default_config_static_selectorELNS0_4arch9wavefront6targetE1EEEvT1_,"axG",@progbits,_ZN7rocprim17ROCPRIM_400000_NS6detail17trampoline_kernelINS0_14default_configENS1_25transform_config_selectorINS0_10empty_typeELb1EEEZNS1_14transform_implILb1ES3_S6_PS5_S8_NS0_8identityIS5_EEEE10hipError_tT2_T3_mT4_P12ihipStream_tbEUlT_E_NS1_11comp_targetILNS1_3genE2ELNS1_11target_archE906ELNS1_3gpuE6ELNS1_3repE0EEENS1_30default_config_static_selectorELNS0_4arch9wavefront6targetE1EEEvT1_,comdat
.Lfunc_end786:
	.size	_ZN7rocprim17ROCPRIM_400000_NS6detail17trampoline_kernelINS0_14default_configENS1_25transform_config_selectorINS0_10empty_typeELb1EEEZNS1_14transform_implILb1ES3_S6_PS5_S8_NS0_8identityIS5_EEEE10hipError_tT2_T3_mT4_P12ihipStream_tbEUlT_E_NS1_11comp_targetILNS1_3genE2ELNS1_11target_archE906ELNS1_3gpuE6ELNS1_3repE0EEENS1_30default_config_static_selectorELNS0_4arch9wavefront6targetE1EEEvT1_, .Lfunc_end786-_ZN7rocprim17ROCPRIM_400000_NS6detail17trampoline_kernelINS0_14default_configENS1_25transform_config_selectorINS0_10empty_typeELb1EEEZNS1_14transform_implILb1ES3_S6_PS5_S8_NS0_8identityIS5_EEEE10hipError_tT2_T3_mT4_P12ihipStream_tbEUlT_E_NS1_11comp_targetILNS1_3genE2ELNS1_11target_archE906ELNS1_3gpuE6ELNS1_3repE0EEENS1_30default_config_static_selectorELNS0_4arch9wavefront6targetE1EEEvT1_
                                        ; -- End function
	.section	.AMDGPU.csdata,"",@progbits
; Kernel info:
; codeLenInByte = 0
; NumSgprs: 4
; NumVgprs: 0
; NumAgprs: 0
; TotalNumVgprs: 0
; ScratchSize: 0
; MemoryBound: 0
; FloatMode: 240
; IeeeMode: 1
; LDSByteSize: 0 bytes/workgroup (compile time only)
; SGPRBlocks: 0
; VGPRBlocks: 0
; NumSGPRsForWavesPerEU: 4
; NumVGPRsForWavesPerEU: 1
; AccumOffset: 4
; Occupancy: 8
; WaveLimiterHint : 0
; COMPUTE_PGM_RSRC2:SCRATCH_EN: 0
; COMPUTE_PGM_RSRC2:USER_SGPR: 6
; COMPUTE_PGM_RSRC2:TRAP_HANDLER: 0
; COMPUTE_PGM_RSRC2:TGID_X_EN: 1
; COMPUTE_PGM_RSRC2:TGID_Y_EN: 0
; COMPUTE_PGM_RSRC2:TGID_Z_EN: 0
; COMPUTE_PGM_RSRC2:TIDIG_COMP_CNT: 0
; COMPUTE_PGM_RSRC3_GFX90A:ACCUM_OFFSET: 0
; COMPUTE_PGM_RSRC3_GFX90A:TG_SPLIT: 0
	.section	.text._ZN7rocprim17ROCPRIM_400000_NS6detail17trampoline_kernelINS0_14default_configENS1_25transform_config_selectorINS0_10empty_typeELb1EEEZNS1_14transform_implILb1ES3_S6_PS5_S8_NS0_8identityIS5_EEEE10hipError_tT2_T3_mT4_P12ihipStream_tbEUlT_E_NS1_11comp_targetILNS1_3genE9ELNS1_11target_archE1100ELNS1_3gpuE3ELNS1_3repE0EEENS1_30default_config_static_selectorELNS0_4arch9wavefront6targetE1EEEvT1_,"axG",@progbits,_ZN7rocprim17ROCPRIM_400000_NS6detail17trampoline_kernelINS0_14default_configENS1_25transform_config_selectorINS0_10empty_typeELb1EEEZNS1_14transform_implILb1ES3_S6_PS5_S8_NS0_8identityIS5_EEEE10hipError_tT2_T3_mT4_P12ihipStream_tbEUlT_E_NS1_11comp_targetILNS1_3genE9ELNS1_11target_archE1100ELNS1_3gpuE3ELNS1_3repE0EEENS1_30default_config_static_selectorELNS0_4arch9wavefront6targetE1EEEvT1_,comdat
	.protected	_ZN7rocprim17ROCPRIM_400000_NS6detail17trampoline_kernelINS0_14default_configENS1_25transform_config_selectorINS0_10empty_typeELb1EEEZNS1_14transform_implILb1ES3_S6_PS5_S8_NS0_8identityIS5_EEEE10hipError_tT2_T3_mT4_P12ihipStream_tbEUlT_E_NS1_11comp_targetILNS1_3genE9ELNS1_11target_archE1100ELNS1_3gpuE3ELNS1_3repE0EEENS1_30default_config_static_selectorELNS0_4arch9wavefront6targetE1EEEvT1_ ; -- Begin function _ZN7rocprim17ROCPRIM_400000_NS6detail17trampoline_kernelINS0_14default_configENS1_25transform_config_selectorINS0_10empty_typeELb1EEEZNS1_14transform_implILb1ES3_S6_PS5_S8_NS0_8identityIS5_EEEE10hipError_tT2_T3_mT4_P12ihipStream_tbEUlT_E_NS1_11comp_targetILNS1_3genE9ELNS1_11target_archE1100ELNS1_3gpuE3ELNS1_3repE0EEENS1_30default_config_static_selectorELNS0_4arch9wavefront6targetE1EEEvT1_
	.globl	_ZN7rocprim17ROCPRIM_400000_NS6detail17trampoline_kernelINS0_14default_configENS1_25transform_config_selectorINS0_10empty_typeELb1EEEZNS1_14transform_implILb1ES3_S6_PS5_S8_NS0_8identityIS5_EEEE10hipError_tT2_T3_mT4_P12ihipStream_tbEUlT_E_NS1_11comp_targetILNS1_3genE9ELNS1_11target_archE1100ELNS1_3gpuE3ELNS1_3repE0EEENS1_30default_config_static_selectorELNS0_4arch9wavefront6targetE1EEEvT1_
	.p2align	8
	.type	_ZN7rocprim17ROCPRIM_400000_NS6detail17trampoline_kernelINS0_14default_configENS1_25transform_config_selectorINS0_10empty_typeELb1EEEZNS1_14transform_implILb1ES3_S6_PS5_S8_NS0_8identityIS5_EEEE10hipError_tT2_T3_mT4_P12ihipStream_tbEUlT_E_NS1_11comp_targetILNS1_3genE9ELNS1_11target_archE1100ELNS1_3gpuE3ELNS1_3repE0EEENS1_30default_config_static_selectorELNS0_4arch9wavefront6targetE1EEEvT1_,@function
_ZN7rocprim17ROCPRIM_400000_NS6detail17trampoline_kernelINS0_14default_configENS1_25transform_config_selectorINS0_10empty_typeELb1EEEZNS1_14transform_implILb1ES3_S6_PS5_S8_NS0_8identityIS5_EEEE10hipError_tT2_T3_mT4_P12ihipStream_tbEUlT_E_NS1_11comp_targetILNS1_3genE9ELNS1_11target_archE1100ELNS1_3gpuE3ELNS1_3repE0EEENS1_30default_config_static_selectorELNS0_4arch9wavefront6targetE1EEEvT1_: ; @_ZN7rocprim17ROCPRIM_400000_NS6detail17trampoline_kernelINS0_14default_configENS1_25transform_config_selectorINS0_10empty_typeELb1EEEZNS1_14transform_implILb1ES3_S6_PS5_S8_NS0_8identityIS5_EEEE10hipError_tT2_T3_mT4_P12ihipStream_tbEUlT_E_NS1_11comp_targetILNS1_3genE9ELNS1_11target_archE1100ELNS1_3gpuE3ELNS1_3repE0EEENS1_30default_config_static_selectorELNS0_4arch9wavefront6targetE1EEEvT1_
; %bb.0:
	.section	.rodata,"a",@progbits
	.p2align	6, 0x0
	.amdhsa_kernel _ZN7rocprim17ROCPRIM_400000_NS6detail17trampoline_kernelINS0_14default_configENS1_25transform_config_selectorINS0_10empty_typeELb1EEEZNS1_14transform_implILb1ES3_S6_PS5_S8_NS0_8identityIS5_EEEE10hipError_tT2_T3_mT4_P12ihipStream_tbEUlT_E_NS1_11comp_targetILNS1_3genE9ELNS1_11target_archE1100ELNS1_3gpuE3ELNS1_3repE0EEENS1_30default_config_static_selectorELNS0_4arch9wavefront6targetE1EEEvT1_
		.amdhsa_group_segment_fixed_size 0
		.amdhsa_private_segment_fixed_size 0
		.amdhsa_kernarg_size 40
		.amdhsa_user_sgpr_count 6
		.amdhsa_user_sgpr_private_segment_buffer 1
		.amdhsa_user_sgpr_dispatch_ptr 0
		.amdhsa_user_sgpr_queue_ptr 0
		.amdhsa_user_sgpr_kernarg_segment_ptr 1
		.amdhsa_user_sgpr_dispatch_id 0
		.amdhsa_user_sgpr_flat_scratch_init 0
		.amdhsa_user_sgpr_kernarg_preload_length 0
		.amdhsa_user_sgpr_kernarg_preload_offset 0
		.amdhsa_user_sgpr_private_segment_size 0
		.amdhsa_uses_dynamic_stack 0
		.amdhsa_system_sgpr_private_segment_wavefront_offset 0
		.amdhsa_system_sgpr_workgroup_id_x 1
		.amdhsa_system_sgpr_workgroup_id_y 0
		.amdhsa_system_sgpr_workgroup_id_z 0
		.amdhsa_system_sgpr_workgroup_info 0
		.amdhsa_system_vgpr_workitem_id 0
		.amdhsa_next_free_vgpr 1
		.amdhsa_next_free_sgpr 0
		.amdhsa_accum_offset 4
		.amdhsa_reserve_vcc 0
		.amdhsa_reserve_flat_scratch 0
		.amdhsa_float_round_mode_32 0
		.amdhsa_float_round_mode_16_64 0
		.amdhsa_float_denorm_mode_32 3
		.amdhsa_float_denorm_mode_16_64 3
		.amdhsa_dx10_clamp 1
		.amdhsa_ieee_mode 1
		.amdhsa_fp16_overflow 0
		.amdhsa_tg_split 0
		.amdhsa_exception_fp_ieee_invalid_op 0
		.amdhsa_exception_fp_denorm_src 0
		.amdhsa_exception_fp_ieee_div_zero 0
		.amdhsa_exception_fp_ieee_overflow 0
		.amdhsa_exception_fp_ieee_underflow 0
		.amdhsa_exception_fp_ieee_inexact 0
		.amdhsa_exception_int_div_zero 0
	.end_amdhsa_kernel
	.section	.text._ZN7rocprim17ROCPRIM_400000_NS6detail17trampoline_kernelINS0_14default_configENS1_25transform_config_selectorINS0_10empty_typeELb1EEEZNS1_14transform_implILb1ES3_S6_PS5_S8_NS0_8identityIS5_EEEE10hipError_tT2_T3_mT4_P12ihipStream_tbEUlT_E_NS1_11comp_targetILNS1_3genE9ELNS1_11target_archE1100ELNS1_3gpuE3ELNS1_3repE0EEENS1_30default_config_static_selectorELNS0_4arch9wavefront6targetE1EEEvT1_,"axG",@progbits,_ZN7rocprim17ROCPRIM_400000_NS6detail17trampoline_kernelINS0_14default_configENS1_25transform_config_selectorINS0_10empty_typeELb1EEEZNS1_14transform_implILb1ES3_S6_PS5_S8_NS0_8identityIS5_EEEE10hipError_tT2_T3_mT4_P12ihipStream_tbEUlT_E_NS1_11comp_targetILNS1_3genE9ELNS1_11target_archE1100ELNS1_3gpuE3ELNS1_3repE0EEENS1_30default_config_static_selectorELNS0_4arch9wavefront6targetE1EEEvT1_,comdat
.Lfunc_end787:
	.size	_ZN7rocprim17ROCPRIM_400000_NS6detail17trampoline_kernelINS0_14default_configENS1_25transform_config_selectorINS0_10empty_typeELb1EEEZNS1_14transform_implILb1ES3_S6_PS5_S8_NS0_8identityIS5_EEEE10hipError_tT2_T3_mT4_P12ihipStream_tbEUlT_E_NS1_11comp_targetILNS1_3genE9ELNS1_11target_archE1100ELNS1_3gpuE3ELNS1_3repE0EEENS1_30default_config_static_selectorELNS0_4arch9wavefront6targetE1EEEvT1_, .Lfunc_end787-_ZN7rocprim17ROCPRIM_400000_NS6detail17trampoline_kernelINS0_14default_configENS1_25transform_config_selectorINS0_10empty_typeELb1EEEZNS1_14transform_implILb1ES3_S6_PS5_S8_NS0_8identityIS5_EEEE10hipError_tT2_T3_mT4_P12ihipStream_tbEUlT_E_NS1_11comp_targetILNS1_3genE9ELNS1_11target_archE1100ELNS1_3gpuE3ELNS1_3repE0EEENS1_30default_config_static_selectorELNS0_4arch9wavefront6targetE1EEEvT1_
                                        ; -- End function
	.section	.AMDGPU.csdata,"",@progbits
; Kernel info:
; codeLenInByte = 0
; NumSgprs: 4
; NumVgprs: 0
; NumAgprs: 0
; TotalNumVgprs: 0
; ScratchSize: 0
; MemoryBound: 0
; FloatMode: 240
; IeeeMode: 1
; LDSByteSize: 0 bytes/workgroup (compile time only)
; SGPRBlocks: 0
; VGPRBlocks: 0
; NumSGPRsForWavesPerEU: 4
; NumVGPRsForWavesPerEU: 1
; AccumOffset: 4
; Occupancy: 8
; WaveLimiterHint : 0
; COMPUTE_PGM_RSRC2:SCRATCH_EN: 0
; COMPUTE_PGM_RSRC2:USER_SGPR: 6
; COMPUTE_PGM_RSRC2:TRAP_HANDLER: 0
; COMPUTE_PGM_RSRC2:TGID_X_EN: 1
; COMPUTE_PGM_RSRC2:TGID_Y_EN: 0
; COMPUTE_PGM_RSRC2:TGID_Z_EN: 0
; COMPUTE_PGM_RSRC2:TIDIG_COMP_CNT: 0
; COMPUTE_PGM_RSRC3_GFX90A:ACCUM_OFFSET: 0
; COMPUTE_PGM_RSRC3_GFX90A:TG_SPLIT: 0
	.section	.text._ZN7rocprim17ROCPRIM_400000_NS6detail17trampoline_kernelINS0_14default_configENS1_25transform_config_selectorINS0_10empty_typeELb1EEEZNS1_14transform_implILb1ES3_S6_PS5_S8_NS0_8identityIS5_EEEE10hipError_tT2_T3_mT4_P12ihipStream_tbEUlT_E_NS1_11comp_targetILNS1_3genE8ELNS1_11target_archE1030ELNS1_3gpuE2ELNS1_3repE0EEENS1_30default_config_static_selectorELNS0_4arch9wavefront6targetE1EEEvT1_,"axG",@progbits,_ZN7rocprim17ROCPRIM_400000_NS6detail17trampoline_kernelINS0_14default_configENS1_25transform_config_selectorINS0_10empty_typeELb1EEEZNS1_14transform_implILb1ES3_S6_PS5_S8_NS0_8identityIS5_EEEE10hipError_tT2_T3_mT4_P12ihipStream_tbEUlT_E_NS1_11comp_targetILNS1_3genE8ELNS1_11target_archE1030ELNS1_3gpuE2ELNS1_3repE0EEENS1_30default_config_static_selectorELNS0_4arch9wavefront6targetE1EEEvT1_,comdat
	.protected	_ZN7rocprim17ROCPRIM_400000_NS6detail17trampoline_kernelINS0_14default_configENS1_25transform_config_selectorINS0_10empty_typeELb1EEEZNS1_14transform_implILb1ES3_S6_PS5_S8_NS0_8identityIS5_EEEE10hipError_tT2_T3_mT4_P12ihipStream_tbEUlT_E_NS1_11comp_targetILNS1_3genE8ELNS1_11target_archE1030ELNS1_3gpuE2ELNS1_3repE0EEENS1_30default_config_static_selectorELNS0_4arch9wavefront6targetE1EEEvT1_ ; -- Begin function _ZN7rocprim17ROCPRIM_400000_NS6detail17trampoline_kernelINS0_14default_configENS1_25transform_config_selectorINS0_10empty_typeELb1EEEZNS1_14transform_implILb1ES3_S6_PS5_S8_NS0_8identityIS5_EEEE10hipError_tT2_T3_mT4_P12ihipStream_tbEUlT_E_NS1_11comp_targetILNS1_3genE8ELNS1_11target_archE1030ELNS1_3gpuE2ELNS1_3repE0EEENS1_30default_config_static_selectorELNS0_4arch9wavefront6targetE1EEEvT1_
	.globl	_ZN7rocprim17ROCPRIM_400000_NS6detail17trampoline_kernelINS0_14default_configENS1_25transform_config_selectorINS0_10empty_typeELb1EEEZNS1_14transform_implILb1ES3_S6_PS5_S8_NS0_8identityIS5_EEEE10hipError_tT2_T3_mT4_P12ihipStream_tbEUlT_E_NS1_11comp_targetILNS1_3genE8ELNS1_11target_archE1030ELNS1_3gpuE2ELNS1_3repE0EEENS1_30default_config_static_selectorELNS0_4arch9wavefront6targetE1EEEvT1_
	.p2align	8
	.type	_ZN7rocprim17ROCPRIM_400000_NS6detail17trampoline_kernelINS0_14default_configENS1_25transform_config_selectorINS0_10empty_typeELb1EEEZNS1_14transform_implILb1ES3_S6_PS5_S8_NS0_8identityIS5_EEEE10hipError_tT2_T3_mT4_P12ihipStream_tbEUlT_E_NS1_11comp_targetILNS1_3genE8ELNS1_11target_archE1030ELNS1_3gpuE2ELNS1_3repE0EEENS1_30default_config_static_selectorELNS0_4arch9wavefront6targetE1EEEvT1_,@function
_ZN7rocprim17ROCPRIM_400000_NS6detail17trampoline_kernelINS0_14default_configENS1_25transform_config_selectorINS0_10empty_typeELb1EEEZNS1_14transform_implILb1ES3_S6_PS5_S8_NS0_8identityIS5_EEEE10hipError_tT2_T3_mT4_P12ihipStream_tbEUlT_E_NS1_11comp_targetILNS1_3genE8ELNS1_11target_archE1030ELNS1_3gpuE2ELNS1_3repE0EEENS1_30default_config_static_selectorELNS0_4arch9wavefront6targetE1EEEvT1_: ; @_ZN7rocprim17ROCPRIM_400000_NS6detail17trampoline_kernelINS0_14default_configENS1_25transform_config_selectorINS0_10empty_typeELb1EEEZNS1_14transform_implILb1ES3_S6_PS5_S8_NS0_8identityIS5_EEEE10hipError_tT2_T3_mT4_P12ihipStream_tbEUlT_E_NS1_11comp_targetILNS1_3genE8ELNS1_11target_archE1030ELNS1_3gpuE2ELNS1_3repE0EEENS1_30default_config_static_selectorELNS0_4arch9wavefront6targetE1EEEvT1_
; %bb.0:
	.section	.rodata,"a",@progbits
	.p2align	6, 0x0
	.amdhsa_kernel _ZN7rocprim17ROCPRIM_400000_NS6detail17trampoline_kernelINS0_14default_configENS1_25transform_config_selectorINS0_10empty_typeELb1EEEZNS1_14transform_implILb1ES3_S6_PS5_S8_NS0_8identityIS5_EEEE10hipError_tT2_T3_mT4_P12ihipStream_tbEUlT_E_NS1_11comp_targetILNS1_3genE8ELNS1_11target_archE1030ELNS1_3gpuE2ELNS1_3repE0EEENS1_30default_config_static_selectorELNS0_4arch9wavefront6targetE1EEEvT1_
		.amdhsa_group_segment_fixed_size 0
		.amdhsa_private_segment_fixed_size 0
		.amdhsa_kernarg_size 40
		.amdhsa_user_sgpr_count 6
		.amdhsa_user_sgpr_private_segment_buffer 1
		.amdhsa_user_sgpr_dispatch_ptr 0
		.amdhsa_user_sgpr_queue_ptr 0
		.amdhsa_user_sgpr_kernarg_segment_ptr 1
		.amdhsa_user_sgpr_dispatch_id 0
		.amdhsa_user_sgpr_flat_scratch_init 0
		.amdhsa_user_sgpr_kernarg_preload_length 0
		.amdhsa_user_sgpr_kernarg_preload_offset 0
		.amdhsa_user_sgpr_private_segment_size 0
		.amdhsa_uses_dynamic_stack 0
		.amdhsa_system_sgpr_private_segment_wavefront_offset 0
		.amdhsa_system_sgpr_workgroup_id_x 1
		.amdhsa_system_sgpr_workgroup_id_y 0
		.amdhsa_system_sgpr_workgroup_id_z 0
		.amdhsa_system_sgpr_workgroup_info 0
		.amdhsa_system_vgpr_workitem_id 0
		.amdhsa_next_free_vgpr 1
		.amdhsa_next_free_sgpr 0
		.amdhsa_accum_offset 4
		.amdhsa_reserve_vcc 0
		.amdhsa_reserve_flat_scratch 0
		.amdhsa_float_round_mode_32 0
		.amdhsa_float_round_mode_16_64 0
		.amdhsa_float_denorm_mode_32 3
		.amdhsa_float_denorm_mode_16_64 3
		.amdhsa_dx10_clamp 1
		.amdhsa_ieee_mode 1
		.amdhsa_fp16_overflow 0
		.amdhsa_tg_split 0
		.amdhsa_exception_fp_ieee_invalid_op 0
		.amdhsa_exception_fp_denorm_src 0
		.amdhsa_exception_fp_ieee_div_zero 0
		.amdhsa_exception_fp_ieee_overflow 0
		.amdhsa_exception_fp_ieee_underflow 0
		.amdhsa_exception_fp_ieee_inexact 0
		.amdhsa_exception_int_div_zero 0
	.end_amdhsa_kernel
	.section	.text._ZN7rocprim17ROCPRIM_400000_NS6detail17trampoline_kernelINS0_14default_configENS1_25transform_config_selectorINS0_10empty_typeELb1EEEZNS1_14transform_implILb1ES3_S6_PS5_S8_NS0_8identityIS5_EEEE10hipError_tT2_T3_mT4_P12ihipStream_tbEUlT_E_NS1_11comp_targetILNS1_3genE8ELNS1_11target_archE1030ELNS1_3gpuE2ELNS1_3repE0EEENS1_30default_config_static_selectorELNS0_4arch9wavefront6targetE1EEEvT1_,"axG",@progbits,_ZN7rocprim17ROCPRIM_400000_NS6detail17trampoline_kernelINS0_14default_configENS1_25transform_config_selectorINS0_10empty_typeELb1EEEZNS1_14transform_implILb1ES3_S6_PS5_S8_NS0_8identityIS5_EEEE10hipError_tT2_T3_mT4_P12ihipStream_tbEUlT_E_NS1_11comp_targetILNS1_3genE8ELNS1_11target_archE1030ELNS1_3gpuE2ELNS1_3repE0EEENS1_30default_config_static_selectorELNS0_4arch9wavefront6targetE1EEEvT1_,comdat
.Lfunc_end788:
	.size	_ZN7rocprim17ROCPRIM_400000_NS6detail17trampoline_kernelINS0_14default_configENS1_25transform_config_selectorINS0_10empty_typeELb1EEEZNS1_14transform_implILb1ES3_S6_PS5_S8_NS0_8identityIS5_EEEE10hipError_tT2_T3_mT4_P12ihipStream_tbEUlT_E_NS1_11comp_targetILNS1_3genE8ELNS1_11target_archE1030ELNS1_3gpuE2ELNS1_3repE0EEENS1_30default_config_static_selectorELNS0_4arch9wavefront6targetE1EEEvT1_, .Lfunc_end788-_ZN7rocprim17ROCPRIM_400000_NS6detail17trampoline_kernelINS0_14default_configENS1_25transform_config_selectorINS0_10empty_typeELb1EEEZNS1_14transform_implILb1ES3_S6_PS5_S8_NS0_8identityIS5_EEEE10hipError_tT2_T3_mT4_P12ihipStream_tbEUlT_E_NS1_11comp_targetILNS1_3genE8ELNS1_11target_archE1030ELNS1_3gpuE2ELNS1_3repE0EEENS1_30default_config_static_selectorELNS0_4arch9wavefront6targetE1EEEvT1_
                                        ; -- End function
	.section	.AMDGPU.csdata,"",@progbits
; Kernel info:
; codeLenInByte = 0
; NumSgprs: 4
; NumVgprs: 0
; NumAgprs: 0
; TotalNumVgprs: 0
; ScratchSize: 0
; MemoryBound: 0
; FloatMode: 240
; IeeeMode: 1
; LDSByteSize: 0 bytes/workgroup (compile time only)
; SGPRBlocks: 0
; VGPRBlocks: 0
; NumSGPRsForWavesPerEU: 4
; NumVGPRsForWavesPerEU: 1
; AccumOffset: 4
; Occupancy: 8
; WaveLimiterHint : 0
; COMPUTE_PGM_RSRC2:SCRATCH_EN: 0
; COMPUTE_PGM_RSRC2:USER_SGPR: 6
; COMPUTE_PGM_RSRC2:TRAP_HANDLER: 0
; COMPUTE_PGM_RSRC2:TGID_X_EN: 1
; COMPUTE_PGM_RSRC2:TGID_Y_EN: 0
; COMPUTE_PGM_RSRC2:TGID_Z_EN: 0
; COMPUTE_PGM_RSRC2:TIDIG_COMP_CNT: 0
; COMPUTE_PGM_RSRC3_GFX90A:ACCUM_OFFSET: 0
; COMPUTE_PGM_RSRC3_GFX90A:TG_SPLIT: 0
	.section	.text._ZN7rocprim17ROCPRIM_400000_NS6detail17trampoline_kernelINS0_14default_configENS1_38merge_sort_block_merge_config_selectorIyNS0_10empty_typeEEEZZNS1_27merge_sort_block_merge_implIS3_N6thrust23THRUST_200600_302600_NS6detail15normal_iteratorINS9_10device_ptrIyEEEEPS5_jNS1_19radix_merge_compareILb0ELb1EyNS0_19identity_decomposerEEEEE10hipError_tT0_T1_T2_jT3_P12ihipStream_tbPNSt15iterator_traitsISK_E10value_typeEPNSQ_ISL_E10value_typeEPSM_NS1_7vsmem_tEENKUlT_SK_SL_SM_E_clIPySE_SF_SF_EESJ_SZ_SK_SL_SM_EUlSZ_E_NS1_11comp_targetILNS1_3genE0ELNS1_11target_archE4294967295ELNS1_3gpuE0ELNS1_3repE0EEENS1_48merge_mergepath_partition_config_static_selectorELNS0_4arch9wavefront6targetE1EEEvSL_,"axG",@progbits,_ZN7rocprim17ROCPRIM_400000_NS6detail17trampoline_kernelINS0_14default_configENS1_38merge_sort_block_merge_config_selectorIyNS0_10empty_typeEEEZZNS1_27merge_sort_block_merge_implIS3_N6thrust23THRUST_200600_302600_NS6detail15normal_iteratorINS9_10device_ptrIyEEEEPS5_jNS1_19radix_merge_compareILb0ELb1EyNS0_19identity_decomposerEEEEE10hipError_tT0_T1_T2_jT3_P12ihipStream_tbPNSt15iterator_traitsISK_E10value_typeEPNSQ_ISL_E10value_typeEPSM_NS1_7vsmem_tEENKUlT_SK_SL_SM_E_clIPySE_SF_SF_EESJ_SZ_SK_SL_SM_EUlSZ_E_NS1_11comp_targetILNS1_3genE0ELNS1_11target_archE4294967295ELNS1_3gpuE0ELNS1_3repE0EEENS1_48merge_mergepath_partition_config_static_selectorELNS0_4arch9wavefront6targetE1EEEvSL_,comdat
	.protected	_ZN7rocprim17ROCPRIM_400000_NS6detail17trampoline_kernelINS0_14default_configENS1_38merge_sort_block_merge_config_selectorIyNS0_10empty_typeEEEZZNS1_27merge_sort_block_merge_implIS3_N6thrust23THRUST_200600_302600_NS6detail15normal_iteratorINS9_10device_ptrIyEEEEPS5_jNS1_19radix_merge_compareILb0ELb1EyNS0_19identity_decomposerEEEEE10hipError_tT0_T1_T2_jT3_P12ihipStream_tbPNSt15iterator_traitsISK_E10value_typeEPNSQ_ISL_E10value_typeEPSM_NS1_7vsmem_tEENKUlT_SK_SL_SM_E_clIPySE_SF_SF_EESJ_SZ_SK_SL_SM_EUlSZ_E_NS1_11comp_targetILNS1_3genE0ELNS1_11target_archE4294967295ELNS1_3gpuE0ELNS1_3repE0EEENS1_48merge_mergepath_partition_config_static_selectorELNS0_4arch9wavefront6targetE1EEEvSL_ ; -- Begin function _ZN7rocprim17ROCPRIM_400000_NS6detail17trampoline_kernelINS0_14default_configENS1_38merge_sort_block_merge_config_selectorIyNS0_10empty_typeEEEZZNS1_27merge_sort_block_merge_implIS3_N6thrust23THRUST_200600_302600_NS6detail15normal_iteratorINS9_10device_ptrIyEEEEPS5_jNS1_19radix_merge_compareILb0ELb1EyNS0_19identity_decomposerEEEEE10hipError_tT0_T1_T2_jT3_P12ihipStream_tbPNSt15iterator_traitsISK_E10value_typeEPNSQ_ISL_E10value_typeEPSM_NS1_7vsmem_tEENKUlT_SK_SL_SM_E_clIPySE_SF_SF_EESJ_SZ_SK_SL_SM_EUlSZ_E_NS1_11comp_targetILNS1_3genE0ELNS1_11target_archE4294967295ELNS1_3gpuE0ELNS1_3repE0EEENS1_48merge_mergepath_partition_config_static_selectorELNS0_4arch9wavefront6targetE1EEEvSL_
	.globl	_ZN7rocprim17ROCPRIM_400000_NS6detail17trampoline_kernelINS0_14default_configENS1_38merge_sort_block_merge_config_selectorIyNS0_10empty_typeEEEZZNS1_27merge_sort_block_merge_implIS3_N6thrust23THRUST_200600_302600_NS6detail15normal_iteratorINS9_10device_ptrIyEEEEPS5_jNS1_19radix_merge_compareILb0ELb1EyNS0_19identity_decomposerEEEEE10hipError_tT0_T1_T2_jT3_P12ihipStream_tbPNSt15iterator_traitsISK_E10value_typeEPNSQ_ISL_E10value_typeEPSM_NS1_7vsmem_tEENKUlT_SK_SL_SM_E_clIPySE_SF_SF_EESJ_SZ_SK_SL_SM_EUlSZ_E_NS1_11comp_targetILNS1_3genE0ELNS1_11target_archE4294967295ELNS1_3gpuE0ELNS1_3repE0EEENS1_48merge_mergepath_partition_config_static_selectorELNS0_4arch9wavefront6targetE1EEEvSL_
	.p2align	8
	.type	_ZN7rocprim17ROCPRIM_400000_NS6detail17trampoline_kernelINS0_14default_configENS1_38merge_sort_block_merge_config_selectorIyNS0_10empty_typeEEEZZNS1_27merge_sort_block_merge_implIS3_N6thrust23THRUST_200600_302600_NS6detail15normal_iteratorINS9_10device_ptrIyEEEEPS5_jNS1_19radix_merge_compareILb0ELb1EyNS0_19identity_decomposerEEEEE10hipError_tT0_T1_T2_jT3_P12ihipStream_tbPNSt15iterator_traitsISK_E10value_typeEPNSQ_ISL_E10value_typeEPSM_NS1_7vsmem_tEENKUlT_SK_SL_SM_E_clIPySE_SF_SF_EESJ_SZ_SK_SL_SM_EUlSZ_E_NS1_11comp_targetILNS1_3genE0ELNS1_11target_archE4294967295ELNS1_3gpuE0ELNS1_3repE0EEENS1_48merge_mergepath_partition_config_static_selectorELNS0_4arch9wavefront6targetE1EEEvSL_,@function
_ZN7rocprim17ROCPRIM_400000_NS6detail17trampoline_kernelINS0_14default_configENS1_38merge_sort_block_merge_config_selectorIyNS0_10empty_typeEEEZZNS1_27merge_sort_block_merge_implIS3_N6thrust23THRUST_200600_302600_NS6detail15normal_iteratorINS9_10device_ptrIyEEEEPS5_jNS1_19radix_merge_compareILb0ELb1EyNS0_19identity_decomposerEEEEE10hipError_tT0_T1_T2_jT3_P12ihipStream_tbPNSt15iterator_traitsISK_E10value_typeEPNSQ_ISL_E10value_typeEPSM_NS1_7vsmem_tEENKUlT_SK_SL_SM_E_clIPySE_SF_SF_EESJ_SZ_SK_SL_SM_EUlSZ_E_NS1_11comp_targetILNS1_3genE0ELNS1_11target_archE4294967295ELNS1_3gpuE0ELNS1_3repE0EEENS1_48merge_mergepath_partition_config_static_selectorELNS0_4arch9wavefront6targetE1EEEvSL_: ; @_ZN7rocprim17ROCPRIM_400000_NS6detail17trampoline_kernelINS0_14default_configENS1_38merge_sort_block_merge_config_selectorIyNS0_10empty_typeEEEZZNS1_27merge_sort_block_merge_implIS3_N6thrust23THRUST_200600_302600_NS6detail15normal_iteratorINS9_10device_ptrIyEEEEPS5_jNS1_19radix_merge_compareILb0ELb1EyNS0_19identity_decomposerEEEEE10hipError_tT0_T1_T2_jT3_P12ihipStream_tbPNSt15iterator_traitsISK_E10value_typeEPNSQ_ISL_E10value_typeEPSM_NS1_7vsmem_tEENKUlT_SK_SL_SM_E_clIPySE_SF_SF_EESJ_SZ_SK_SL_SM_EUlSZ_E_NS1_11comp_targetILNS1_3genE0ELNS1_11target_archE4294967295ELNS1_3gpuE0ELNS1_3repE0EEENS1_48merge_mergepath_partition_config_static_selectorELNS0_4arch9wavefront6targetE1EEEvSL_
; %bb.0:
	.section	.rodata,"a",@progbits
	.p2align	6, 0x0
	.amdhsa_kernel _ZN7rocprim17ROCPRIM_400000_NS6detail17trampoline_kernelINS0_14default_configENS1_38merge_sort_block_merge_config_selectorIyNS0_10empty_typeEEEZZNS1_27merge_sort_block_merge_implIS3_N6thrust23THRUST_200600_302600_NS6detail15normal_iteratorINS9_10device_ptrIyEEEEPS5_jNS1_19radix_merge_compareILb0ELb1EyNS0_19identity_decomposerEEEEE10hipError_tT0_T1_T2_jT3_P12ihipStream_tbPNSt15iterator_traitsISK_E10value_typeEPNSQ_ISL_E10value_typeEPSM_NS1_7vsmem_tEENKUlT_SK_SL_SM_E_clIPySE_SF_SF_EESJ_SZ_SK_SL_SM_EUlSZ_E_NS1_11comp_targetILNS1_3genE0ELNS1_11target_archE4294967295ELNS1_3gpuE0ELNS1_3repE0EEENS1_48merge_mergepath_partition_config_static_selectorELNS0_4arch9wavefront6targetE1EEEvSL_
		.amdhsa_group_segment_fixed_size 0
		.amdhsa_private_segment_fixed_size 0
		.amdhsa_kernarg_size 40
		.amdhsa_user_sgpr_count 6
		.amdhsa_user_sgpr_private_segment_buffer 1
		.amdhsa_user_sgpr_dispatch_ptr 0
		.amdhsa_user_sgpr_queue_ptr 0
		.amdhsa_user_sgpr_kernarg_segment_ptr 1
		.amdhsa_user_sgpr_dispatch_id 0
		.amdhsa_user_sgpr_flat_scratch_init 0
		.amdhsa_user_sgpr_kernarg_preload_length 0
		.amdhsa_user_sgpr_kernarg_preload_offset 0
		.amdhsa_user_sgpr_private_segment_size 0
		.amdhsa_uses_dynamic_stack 0
		.amdhsa_system_sgpr_private_segment_wavefront_offset 0
		.amdhsa_system_sgpr_workgroup_id_x 1
		.amdhsa_system_sgpr_workgroup_id_y 0
		.amdhsa_system_sgpr_workgroup_id_z 0
		.amdhsa_system_sgpr_workgroup_info 0
		.amdhsa_system_vgpr_workitem_id 0
		.amdhsa_next_free_vgpr 1
		.amdhsa_next_free_sgpr 0
		.amdhsa_accum_offset 4
		.amdhsa_reserve_vcc 0
		.amdhsa_reserve_flat_scratch 0
		.amdhsa_float_round_mode_32 0
		.amdhsa_float_round_mode_16_64 0
		.amdhsa_float_denorm_mode_32 3
		.amdhsa_float_denorm_mode_16_64 3
		.amdhsa_dx10_clamp 1
		.amdhsa_ieee_mode 1
		.amdhsa_fp16_overflow 0
		.amdhsa_tg_split 0
		.amdhsa_exception_fp_ieee_invalid_op 0
		.amdhsa_exception_fp_denorm_src 0
		.amdhsa_exception_fp_ieee_div_zero 0
		.amdhsa_exception_fp_ieee_overflow 0
		.amdhsa_exception_fp_ieee_underflow 0
		.amdhsa_exception_fp_ieee_inexact 0
		.amdhsa_exception_int_div_zero 0
	.end_amdhsa_kernel
	.section	.text._ZN7rocprim17ROCPRIM_400000_NS6detail17trampoline_kernelINS0_14default_configENS1_38merge_sort_block_merge_config_selectorIyNS0_10empty_typeEEEZZNS1_27merge_sort_block_merge_implIS3_N6thrust23THRUST_200600_302600_NS6detail15normal_iteratorINS9_10device_ptrIyEEEEPS5_jNS1_19radix_merge_compareILb0ELb1EyNS0_19identity_decomposerEEEEE10hipError_tT0_T1_T2_jT3_P12ihipStream_tbPNSt15iterator_traitsISK_E10value_typeEPNSQ_ISL_E10value_typeEPSM_NS1_7vsmem_tEENKUlT_SK_SL_SM_E_clIPySE_SF_SF_EESJ_SZ_SK_SL_SM_EUlSZ_E_NS1_11comp_targetILNS1_3genE0ELNS1_11target_archE4294967295ELNS1_3gpuE0ELNS1_3repE0EEENS1_48merge_mergepath_partition_config_static_selectorELNS0_4arch9wavefront6targetE1EEEvSL_,"axG",@progbits,_ZN7rocprim17ROCPRIM_400000_NS6detail17trampoline_kernelINS0_14default_configENS1_38merge_sort_block_merge_config_selectorIyNS0_10empty_typeEEEZZNS1_27merge_sort_block_merge_implIS3_N6thrust23THRUST_200600_302600_NS6detail15normal_iteratorINS9_10device_ptrIyEEEEPS5_jNS1_19radix_merge_compareILb0ELb1EyNS0_19identity_decomposerEEEEE10hipError_tT0_T1_T2_jT3_P12ihipStream_tbPNSt15iterator_traitsISK_E10value_typeEPNSQ_ISL_E10value_typeEPSM_NS1_7vsmem_tEENKUlT_SK_SL_SM_E_clIPySE_SF_SF_EESJ_SZ_SK_SL_SM_EUlSZ_E_NS1_11comp_targetILNS1_3genE0ELNS1_11target_archE4294967295ELNS1_3gpuE0ELNS1_3repE0EEENS1_48merge_mergepath_partition_config_static_selectorELNS0_4arch9wavefront6targetE1EEEvSL_,comdat
.Lfunc_end789:
	.size	_ZN7rocprim17ROCPRIM_400000_NS6detail17trampoline_kernelINS0_14default_configENS1_38merge_sort_block_merge_config_selectorIyNS0_10empty_typeEEEZZNS1_27merge_sort_block_merge_implIS3_N6thrust23THRUST_200600_302600_NS6detail15normal_iteratorINS9_10device_ptrIyEEEEPS5_jNS1_19radix_merge_compareILb0ELb1EyNS0_19identity_decomposerEEEEE10hipError_tT0_T1_T2_jT3_P12ihipStream_tbPNSt15iterator_traitsISK_E10value_typeEPNSQ_ISL_E10value_typeEPSM_NS1_7vsmem_tEENKUlT_SK_SL_SM_E_clIPySE_SF_SF_EESJ_SZ_SK_SL_SM_EUlSZ_E_NS1_11comp_targetILNS1_3genE0ELNS1_11target_archE4294967295ELNS1_3gpuE0ELNS1_3repE0EEENS1_48merge_mergepath_partition_config_static_selectorELNS0_4arch9wavefront6targetE1EEEvSL_, .Lfunc_end789-_ZN7rocprim17ROCPRIM_400000_NS6detail17trampoline_kernelINS0_14default_configENS1_38merge_sort_block_merge_config_selectorIyNS0_10empty_typeEEEZZNS1_27merge_sort_block_merge_implIS3_N6thrust23THRUST_200600_302600_NS6detail15normal_iteratorINS9_10device_ptrIyEEEEPS5_jNS1_19radix_merge_compareILb0ELb1EyNS0_19identity_decomposerEEEEE10hipError_tT0_T1_T2_jT3_P12ihipStream_tbPNSt15iterator_traitsISK_E10value_typeEPNSQ_ISL_E10value_typeEPSM_NS1_7vsmem_tEENKUlT_SK_SL_SM_E_clIPySE_SF_SF_EESJ_SZ_SK_SL_SM_EUlSZ_E_NS1_11comp_targetILNS1_3genE0ELNS1_11target_archE4294967295ELNS1_3gpuE0ELNS1_3repE0EEENS1_48merge_mergepath_partition_config_static_selectorELNS0_4arch9wavefront6targetE1EEEvSL_
                                        ; -- End function
	.section	.AMDGPU.csdata,"",@progbits
; Kernel info:
; codeLenInByte = 0
; NumSgprs: 4
; NumVgprs: 0
; NumAgprs: 0
; TotalNumVgprs: 0
; ScratchSize: 0
; MemoryBound: 0
; FloatMode: 240
; IeeeMode: 1
; LDSByteSize: 0 bytes/workgroup (compile time only)
; SGPRBlocks: 0
; VGPRBlocks: 0
; NumSGPRsForWavesPerEU: 4
; NumVGPRsForWavesPerEU: 1
; AccumOffset: 4
; Occupancy: 8
; WaveLimiterHint : 0
; COMPUTE_PGM_RSRC2:SCRATCH_EN: 0
; COMPUTE_PGM_RSRC2:USER_SGPR: 6
; COMPUTE_PGM_RSRC2:TRAP_HANDLER: 0
; COMPUTE_PGM_RSRC2:TGID_X_EN: 1
; COMPUTE_PGM_RSRC2:TGID_Y_EN: 0
; COMPUTE_PGM_RSRC2:TGID_Z_EN: 0
; COMPUTE_PGM_RSRC2:TIDIG_COMP_CNT: 0
; COMPUTE_PGM_RSRC3_GFX90A:ACCUM_OFFSET: 0
; COMPUTE_PGM_RSRC3_GFX90A:TG_SPLIT: 0
	.section	.text._ZN7rocprim17ROCPRIM_400000_NS6detail17trampoline_kernelINS0_14default_configENS1_38merge_sort_block_merge_config_selectorIyNS0_10empty_typeEEEZZNS1_27merge_sort_block_merge_implIS3_N6thrust23THRUST_200600_302600_NS6detail15normal_iteratorINS9_10device_ptrIyEEEEPS5_jNS1_19radix_merge_compareILb0ELb1EyNS0_19identity_decomposerEEEEE10hipError_tT0_T1_T2_jT3_P12ihipStream_tbPNSt15iterator_traitsISK_E10value_typeEPNSQ_ISL_E10value_typeEPSM_NS1_7vsmem_tEENKUlT_SK_SL_SM_E_clIPySE_SF_SF_EESJ_SZ_SK_SL_SM_EUlSZ_E_NS1_11comp_targetILNS1_3genE10ELNS1_11target_archE1201ELNS1_3gpuE5ELNS1_3repE0EEENS1_48merge_mergepath_partition_config_static_selectorELNS0_4arch9wavefront6targetE1EEEvSL_,"axG",@progbits,_ZN7rocprim17ROCPRIM_400000_NS6detail17trampoline_kernelINS0_14default_configENS1_38merge_sort_block_merge_config_selectorIyNS0_10empty_typeEEEZZNS1_27merge_sort_block_merge_implIS3_N6thrust23THRUST_200600_302600_NS6detail15normal_iteratorINS9_10device_ptrIyEEEEPS5_jNS1_19radix_merge_compareILb0ELb1EyNS0_19identity_decomposerEEEEE10hipError_tT0_T1_T2_jT3_P12ihipStream_tbPNSt15iterator_traitsISK_E10value_typeEPNSQ_ISL_E10value_typeEPSM_NS1_7vsmem_tEENKUlT_SK_SL_SM_E_clIPySE_SF_SF_EESJ_SZ_SK_SL_SM_EUlSZ_E_NS1_11comp_targetILNS1_3genE10ELNS1_11target_archE1201ELNS1_3gpuE5ELNS1_3repE0EEENS1_48merge_mergepath_partition_config_static_selectorELNS0_4arch9wavefront6targetE1EEEvSL_,comdat
	.protected	_ZN7rocprim17ROCPRIM_400000_NS6detail17trampoline_kernelINS0_14default_configENS1_38merge_sort_block_merge_config_selectorIyNS0_10empty_typeEEEZZNS1_27merge_sort_block_merge_implIS3_N6thrust23THRUST_200600_302600_NS6detail15normal_iteratorINS9_10device_ptrIyEEEEPS5_jNS1_19radix_merge_compareILb0ELb1EyNS0_19identity_decomposerEEEEE10hipError_tT0_T1_T2_jT3_P12ihipStream_tbPNSt15iterator_traitsISK_E10value_typeEPNSQ_ISL_E10value_typeEPSM_NS1_7vsmem_tEENKUlT_SK_SL_SM_E_clIPySE_SF_SF_EESJ_SZ_SK_SL_SM_EUlSZ_E_NS1_11comp_targetILNS1_3genE10ELNS1_11target_archE1201ELNS1_3gpuE5ELNS1_3repE0EEENS1_48merge_mergepath_partition_config_static_selectorELNS0_4arch9wavefront6targetE1EEEvSL_ ; -- Begin function _ZN7rocprim17ROCPRIM_400000_NS6detail17trampoline_kernelINS0_14default_configENS1_38merge_sort_block_merge_config_selectorIyNS0_10empty_typeEEEZZNS1_27merge_sort_block_merge_implIS3_N6thrust23THRUST_200600_302600_NS6detail15normal_iteratorINS9_10device_ptrIyEEEEPS5_jNS1_19radix_merge_compareILb0ELb1EyNS0_19identity_decomposerEEEEE10hipError_tT0_T1_T2_jT3_P12ihipStream_tbPNSt15iterator_traitsISK_E10value_typeEPNSQ_ISL_E10value_typeEPSM_NS1_7vsmem_tEENKUlT_SK_SL_SM_E_clIPySE_SF_SF_EESJ_SZ_SK_SL_SM_EUlSZ_E_NS1_11comp_targetILNS1_3genE10ELNS1_11target_archE1201ELNS1_3gpuE5ELNS1_3repE0EEENS1_48merge_mergepath_partition_config_static_selectorELNS0_4arch9wavefront6targetE1EEEvSL_
	.globl	_ZN7rocprim17ROCPRIM_400000_NS6detail17trampoline_kernelINS0_14default_configENS1_38merge_sort_block_merge_config_selectorIyNS0_10empty_typeEEEZZNS1_27merge_sort_block_merge_implIS3_N6thrust23THRUST_200600_302600_NS6detail15normal_iteratorINS9_10device_ptrIyEEEEPS5_jNS1_19radix_merge_compareILb0ELb1EyNS0_19identity_decomposerEEEEE10hipError_tT0_T1_T2_jT3_P12ihipStream_tbPNSt15iterator_traitsISK_E10value_typeEPNSQ_ISL_E10value_typeEPSM_NS1_7vsmem_tEENKUlT_SK_SL_SM_E_clIPySE_SF_SF_EESJ_SZ_SK_SL_SM_EUlSZ_E_NS1_11comp_targetILNS1_3genE10ELNS1_11target_archE1201ELNS1_3gpuE5ELNS1_3repE0EEENS1_48merge_mergepath_partition_config_static_selectorELNS0_4arch9wavefront6targetE1EEEvSL_
	.p2align	8
	.type	_ZN7rocprim17ROCPRIM_400000_NS6detail17trampoline_kernelINS0_14default_configENS1_38merge_sort_block_merge_config_selectorIyNS0_10empty_typeEEEZZNS1_27merge_sort_block_merge_implIS3_N6thrust23THRUST_200600_302600_NS6detail15normal_iteratorINS9_10device_ptrIyEEEEPS5_jNS1_19radix_merge_compareILb0ELb1EyNS0_19identity_decomposerEEEEE10hipError_tT0_T1_T2_jT3_P12ihipStream_tbPNSt15iterator_traitsISK_E10value_typeEPNSQ_ISL_E10value_typeEPSM_NS1_7vsmem_tEENKUlT_SK_SL_SM_E_clIPySE_SF_SF_EESJ_SZ_SK_SL_SM_EUlSZ_E_NS1_11comp_targetILNS1_3genE10ELNS1_11target_archE1201ELNS1_3gpuE5ELNS1_3repE0EEENS1_48merge_mergepath_partition_config_static_selectorELNS0_4arch9wavefront6targetE1EEEvSL_,@function
_ZN7rocprim17ROCPRIM_400000_NS6detail17trampoline_kernelINS0_14default_configENS1_38merge_sort_block_merge_config_selectorIyNS0_10empty_typeEEEZZNS1_27merge_sort_block_merge_implIS3_N6thrust23THRUST_200600_302600_NS6detail15normal_iteratorINS9_10device_ptrIyEEEEPS5_jNS1_19radix_merge_compareILb0ELb1EyNS0_19identity_decomposerEEEEE10hipError_tT0_T1_T2_jT3_P12ihipStream_tbPNSt15iterator_traitsISK_E10value_typeEPNSQ_ISL_E10value_typeEPSM_NS1_7vsmem_tEENKUlT_SK_SL_SM_E_clIPySE_SF_SF_EESJ_SZ_SK_SL_SM_EUlSZ_E_NS1_11comp_targetILNS1_3genE10ELNS1_11target_archE1201ELNS1_3gpuE5ELNS1_3repE0EEENS1_48merge_mergepath_partition_config_static_selectorELNS0_4arch9wavefront6targetE1EEEvSL_: ; @_ZN7rocprim17ROCPRIM_400000_NS6detail17trampoline_kernelINS0_14default_configENS1_38merge_sort_block_merge_config_selectorIyNS0_10empty_typeEEEZZNS1_27merge_sort_block_merge_implIS3_N6thrust23THRUST_200600_302600_NS6detail15normal_iteratorINS9_10device_ptrIyEEEEPS5_jNS1_19radix_merge_compareILb0ELb1EyNS0_19identity_decomposerEEEEE10hipError_tT0_T1_T2_jT3_P12ihipStream_tbPNSt15iterator_traitsISK_E10value_typeEPNSQ_ISL_E10value_typeEPSM_NS1_7vsmem_tEENKUlT_SK_SL_SM_E_clIPySE_SF_SF_EESJ_SZ_SK_SL_SM_EUlSZ_E_NS1_11comp_targetILNS1_3genE10ELNS1_11target_archE1201ELNS1_3gpuE5ELNS1_3repE0EEENS1_48merge_mergepath_partition_config_static_selectorELNS0_4arch9wavefront6targetE1EEEvSL_
; %bb.0:
	.section	.rodata,"a",@progbits
	.p2align	6, 0x0
	.amdhsa_kernel _ZN7rocprim17ROCPRIM_400000_NS6detail17trampoline_kernelINS0_14default_configENS1_38merge_sort_block_merge_config_selectorIyNS0_10empty_typeEEEZZNS1_27merge_sort_block_merge_implIS3_N6thrust23THRUST_200600_302600_NS6detail15normal_iteratorINS9_10device_ptrIyEEEEPS5_jNS1_19radix_merge_compareILb0ELb1EyNS0_19identity_decomposerEEEEE10hipError_tT0_T1_T2_jT3_P12ihipStream_tbPNSt15iterator_traitsISK_E10value_typeEPNSQ_ISL_E10value_typeEPSM_NS1_7vsmem_tEENKUlT_SK_SL_SM_E_clIPySE_SF_SF_EESJ_SZ_SK_SL_SM_EUlSZ_E_NS1_11comp_targetILNS1_3genE10ELNS1_11target_archE1201ELNS1_3gpuE5ELNS1_3repE0EEENS1_48merge_mergepath_partition_config_static_selectorELNS0_4arch9wavefront6targetE1EEEvSL_
		.amdhsa_group_segment_fixed_size 0
		.amdhsa_private_segment_fixed_size 0
		.amdhsa_kernarg_size 40
		.amdhsa_user_sgpr_count 6
		.amdhsa_user_sgpr_private_segment_buffer 1
		.amdhsa_user_sgpr_dispatch_ptr 0
		.amdhsa_user_sgpr_queue_ptr 0
		.amdhsa_user_sgpr_kernarg_segment_ptr 1
		.amdhsa_user_sgpr_dispatch_id 0
		.amdhsa_user_sgpr_flat_scratch_init 0
		.amdhsa_user_sgpr_kernarg_preload_length 0
		.amdhsa_user_sgpr_kernarg_preload_offset 0
		.amdhsa_user_sgpr_private_segment_size 0
		.amdhsa_uses_dynamic_stack 0
		.amdhsa_system_sgpr_private_segment_wavefront_offset 0
		.amdhsa_system_sgpr_workgroup_id_x 1
		.amdhsa_system_sgpr_workgroup_id_y 0
		.amdhsa_system_sgpr_workgroup_id_z 0
		.amdhsa_system_sgpr_workgroup_info 0
		.amdhsa_system_vgpr_workitem_id 0
		.amdhsa_next_free_vgpr 1
		.amdhsa_next_free_sgpr 0
		.amdhsa_accum_offset 4
		.amdhsa_reserve_vcc 0
		.amdhsa_reserve_flat_scratch 0
		.amdhsa_float_round_mode_32 0
		.amdhsa_float_round_mode_16_64 0
		.amdhsa_float_denorm_mode_32 3
		.amdhsa_float_denorm_mode_16_64 3
		.amdhsa_dx10_clamp 1
		.amdhsa_ieee_mode 1
		.amdhsa_fp16_overflow 0
		.amdhsa_tg_split 0
		.amdhsa_exception_fp_ieee_invalid_op 0
		.amdhsa_exception_fp_denorm_src 0
		.amdhsa_exception_fp_ieee_div_zero 0
		.amdhsa_exception_fp_ieee_overflow 0
		.amdhsa_exception_fp_ieee_underflow 0
		.amdhsa_exception_fp_ieee_inexact 0
		.amdhsa_exception_int_div_zero 0
	.end_amdhsa_kernel
	.section	.text._ZN7rocprim17ROCPRIM_400000_NS6detail17trampoline_kernelINS0_14default_configENS1_38merge_sort_block_merge_config_selectorIyNS0_10empty_typeEEEZZNS1_27merge_sort_block_merge_implIS3_N6thrust23THRUST_200600_302600_NS6detail15normal_iteratorINS9_10device_ptrIyEEEEPS5_jNS1_19radix_merge_compareILb0ELb1EyNS0_19identity_decomposerEEEEE10hipError_tT0_T1_T2_jT3_P12ihipStream_tbPNSt15iterator_traitsISK_E10value_typeEPNSQ_ISL_E10value_typeEPSM_NS1_7vsmem_tEENKUlT_SK_SL_SM_E_clIPySE_SF_SF_EESJ_SZ_SK_SL_SM_EUlSZ_E_NS1_11comp_targetILNS1_3genE10ELNS1_11target_archE1201ELNS1_3gpuE5ELNS1_3repE0EEENS1_48merge_mergepath_partition_config_static_selectorELNS0_4arch9wavefront6targetE1EEEvSL_,"axG",@progbits,_ZN7rocprim17ROCPRIM_400000_NS6detail17trampoline_kernelINS0_14default_configENS1_38merge_sort_block_merge_config_selectorIyNS0_10empty_typeEEEZZNS1_27merge_sort_block_merge_implIS3_N6thrust23THRUST_200600_302600_NS6detail15normal_iteratorINS9_10device_ptrIyEEEEPS5_jNS1_19radix_merge_compareILb0ELb1EyNS0_19identity_decomposerEEEEE10hipError_tT0_T1_T2_jT3_P12ihipStream_tbPNSt15iterator_traitsISK_E10value_typeEPNSQ_ISL_E10value_typeEPSM_NS1_7vsmem_tEENKUlT_SK_SL_SM_E_clIPySE_SF_SF_EESJ_SZ_SK_SL_SM_EUlSZ_E_NS1_11comp_targetILNS1_3genE10ELNS1_11target_archE1201ELNS1_3gpuE5ELNS1_3repE0EEENS1_48merge_mergepath_partition_config_static_selectorELNS0_4arch9wavefront6targetE1EEEvSL_,comdat
.Lfunc_end790:
	.size	_ZN7rocprim17ROCPRIM_400000_NS6detail17trampoline_kernelINS0_14default_configENS1_38merge_sort_block_merge_config_selectorIyNS0_10empty_typeEEEZZNS1_27merge_sort_block_merge_implIS3_N6thrust23THRUST_200600_302600_NS6detail15normal_iteratorINS9_10device_ptrIyEEEEPS5_jNS1_19radix_merge_compareILb0ELb1EyNS0_19identity_decomposerEEEEE10hipError_tT0_T1_T2_jT3_P12ihipStream_tbPNSt15iterator_traitsISK_E10value_typeEPNSQ_ISL_E10value_typeEPSM_NS1_7vsmem_tEENKUlT_SK_SL_SM_E_clIPySE_SF_SF_EESJ_SZ_SK_SL_SM_EUlSZ_E_NS1_11comp_targetILNS1_3genE10ELNS1_11target_archE1201ELNS1_3gpuE5ELNS1_3repE0EEENS1_48merge_mergepath_partition_config_static_selectorELNS0_4arch9wavefront6targetE1EEEvSL_, .Lfunc_end790-_ZN7rocprim17ROCPRIM_400000_NS6detail17trampoline_kernelINS0_14default_configENS1_38merge_sort_block_merge_config_selectorIyNS0_10empty_typeEEEZZNS1_27merge_sort_block_merge_implIS3_N6thrust23THRUST_200600_302600_NS6detail15normal_iteratorINS9_10device_ptrIyEEEEPS5_jNS1_19radix_merge_compareILb0ELb1EyNS0_19identity_decomposerEEEEE10hipError_tT0_T1_T2_jT3_P12ihipStream_tbPNSt15iterator_traitsISK_E10value_typeEPNSQ_ISL_E10value_typeEPSM_NS1_7vsmem_tEENKUlT_SK_SL_SM_E_clIPySE_SF_SF_EESJ_SZ_SK_SL_SM_EUlSZ_E_NS1_11comp_targetILNS1_3genE10ELNS1_11target_archE1201ELNS1_3gpuE5ELNS1_3repE0EEENS1_48merge_mergepath_partition_config_static_selectorELNS0_4arch9wavefront6targetE1EEEvSL_
                                        ; -- End function
	.section	.AMDGPU.csdata,"",@progbits
; Kernel info:
; codeLenInByte = 0
; NumSgprs: 4
; NumVgprs: 0
; NumAgprs: 0
; TotalNumVgprs: 0
; ScratchSize: 0
; MemoryBound: 0
; FloatMode: 240
; IeeeMode: 1
; LDSByteSize: 0 bytes/workgroup (compile time only)
; SGPRBlocks: 0
; VGPRBlocks: 0
; NumSGPRsForWavesPerEU: 4
; NumVGPRsForWavesPerEU: 1
; AccumOffset: 4
; Occupancy: 8
; WaveLimiterHint : 0
; COMPUTE_PGM_RSRC2:SCRATCH_EN: 0
; COMPUTE_PGM_RSRC2:USER_SGPR: 6
; COMPUTE_PGM_RSRC2:TRAP_HANDLER: 0
; COMPUTE_PGM_RSRC2:TGID_X_EN: 1
; COMPUTE_PGM_RSRC2:TGID_Y_EN: 0
; COMPUTE_PGM_RSRC2:TGID_Z_EN: 0
; COMPUTE_PGM_RSRC2:TIDIG_COMP_CNT: 0
; COMPUTE_PGM_RSRC3_GFX90A:ACCUM_OFFSET: 0
; COMPUTE_PGM_RSRC3_GFX90A:TG_SPLIT: 0
	.section	.text._ZN7rocprim17ROCPRIM_400000_NS6detail17trampoline_kernelINS0_14default_configENS1_38merge_sort_block_merge_config_selectorIyNS0_10empty_typeEEEZZNS1_27merge_sort_block_merge_implIS3_N6thrust23THRUST_200600_302600_NS6detail15normal_iteratorINS9_10device_ptrIyEEEEPS5_jNS1_19radix_merge_compareILb0ELb1EyNS0_19identity_decomposerEEEEE10hipError_tT0_T1_T2_jT3_P12ihipStream_tbPNSt15iterator_traitsISK_E10value_typeEPNSQ_ISL_E10value_typeEPSM_NS1_7vsmem_tEENKUlT_SK_SL_SM_E_clIPySE_SF_SF_EESJ_SZ_SK_SL_SM_EUlSZ_E_NS1_11comp_targetILNS1_3genE5ELNS1_11target_archE942ELNS1_3gpuE9ELNS1_3repE0EEENS1_48merge_mergepath_partition_config_static_selectorELNS0_4arch9wavefront6targetE1EEEvSL_,"axG",@progbits,_ZN7rocprim17ROCPRIM_400000_NS6detail17trampoline_kernelINS0_14default_configENS1_38merge_sort_block_merge_config_selectorIyNS0_10empty_typeEEEZZNS1_27merge_sort_block_merge_implIS3_N6thrust23THRUST_200600_302600_NS6detail15normal_iteratorINS9_10device_ptrIyEEEEPS5_jNS1_19radix_merge_compareILb0ELb1EyNS0_19identity_decomposerEEEEE10hipError_tT0_T1_T2_jT3_P12ihipStream_tbPNSt15iterator_traitsISK_E10value_typeEPNSQ_ISL_E10value_typeEPSM_NS1_7vsmem_tEENKUlT_SK_SL_SM_E_clIPySE_SF_SF_EESJ_SZ_SK_SL_SM_EUlSZ_E_NS1_11comp_targetILNS1_3genE5ELNS1_11target_archE942ELNS1_3gpuE9ELNS1_3repE0EEENS1_48merge_mergepath_partition_config_static_selectorELNS0_4arch9wavefront6targetE1EEEvSL_,comdat
	.protected	_ZN7rocprim17ROCPRIM_400000_NS6detail17trampoline_kernelINS0_14default_configENS1_38merge_sort_block_merge_config_selectorIyNS0_10empty_typeEEEZZNS1_27merge_sort_block_merge_implIS3_N6thrust23THRUST_200600_302600_NS6detail15normal_iteratorINS9_10device_ptrIyEEEEPS5_jNS1_19radix_merge_compareILb0ELb1EyNS0_19identity_decomposerEEEEE10hipError_tT0_T1_T2_jT3_P12ihipStream_tbPNSt15iterator_traitsISK_E10value_typeEPNSQ_ISL_E10value_typeEPSM_NS1_7vsmem_tEENKUlT_SK_SL_SM_E_clIPySE_SF_SF_EESJ_SZ_SK_SL_SM_EUlSZ_E_NS1_11comp_targetILNS1_3genE5ELNS1_11target_archE942ELNS1_3gpuE9ELNS1_3repE0EEENS1_48merge_mergepath_partition_config_static_selectorELNS0_4arch9wavefront6targetE1EEEvSL_ ; -- Begin function _ZN7rocprim17ROCPRIM_400000_NS6detail17trampoline_kernelINS0_14default_configENS1_38merge_sort_block_merge_config_selectorIyNS0_10empty_typeEEEZZNS1_27merge_sort_block_merge_implIS3_N6thrust23THRUST_200600_302600_NS6detail15normal_iteratorINS9_10device_ptrIyEEEEPS5_jNS1_19radix_merge_compareILb0ELb1EyNS0_19identity_decomposerEEEEE10hipError_tT0_T1_T2_jT3_P12ihipStream_tbPNSt15iterator_traitsISK_E10value_typeEPNSQ_ISL_E10value_typeEPSM_NS1_7vsmem_tEENKUlT_SK_SL_SM_E_clIPySE_SF_SF_EESJ_SZ_SK_SL_SM_EUlSZ_E_NS1_11comp_targetILNS1_3genE5ELNS1_11target_archE942ELNS1_3gpuE9ELNS1_3repE0EEENS1_48merge_mergepath_partition_config_static_selectorELNS0_4arch9wavefront6targetE1EEEvSL_
	.globl	_ZN7rocprim17ROCPRIM_400000_NS6detail17trampoline_kernelINS0_14default_configENS1_38merge_sort_block_merge_config_selectorIyNS0_10empty_typeEEEZZNS1_27merge_sort_block_merge_implIS3_N6thrust23THRUST_200600_302600_NS6detail15normal_iteratorINS9_10device_ptrIyEEEEPS5_jNS1_19radix_merge_compareILb0ELb1EyNS0_19identity_decomposerEEEEE10hipError_tT0_T1_T2_jT3_P12ihipStream_tbPNSt15iterator_traitsISK_E10value_typeEPNSQ_ISL_E10value_typeEPSM_NS1_7vsmem_tEENKUlT_SK_SL_SM_E_clIPySE_SF_SF_EESJ_SZ_SK_SL_SM_EUlSZ_E_NS1_11comp_targetILNS1_3genE5ELNS1_11target_archE942ELNS1_3gpuE9ELNS1_3repE0EEENS1_48merge_mergepath_partition_config_static_selectorELNS0_4arch9wavefront6targetE1EEEvSL_
	.p2align	8
	.type	_ZN7rocprim17ROCPRIM_400000_NS6detail17trampoline_kernelINS0_14default_configENS1_38merge_sort_block_merge_config_selectorIyNS0_10empty_typeEEEZZNS1_27merge_sort_block_merge_implIS3_N6thrust23THRUST_200600_302600_NS6detail15normal_iteratorINS9_10device_ptrIyEEEEPS5_jNS1_19radix_merge_compareILb0ELb1EyNS0_19identity_decomposerEEEEE10hipError_tT0_T1_T2_jT3_P12ihipStream_tbPNSt15iterator_traitsISK_E10value_typeEPNSQ_ISL_E10value_typeEPSM_NS1_7vsmem_tEENKUlT_SK_SL_SM_E_clIPySE_SF_SF_EESJ_SZ_SK_SL_SM_EUlSZ_E_NS1_11comp_targetILNS1_3genE5ELNS1_11target_archE942ELNS1_3gpuE9ELNS1_3repE0EEENS1_48merge_mergepath_partition_config_static_selectorELNS0_4arch9wavefront6targetE1EEEvSL_,@function
_ZN7rocprim17ROCPRIM_400000_NS6detail17trampoline_kernelINS0_14default_configENS1_38merge_sort_block_merge_config_selectorIyNS0_10empty_typeEEEZZNS1_27merge_sort_block_merge_implIS3_N6thrust23THRUST_200600_302600_NS6detail15normal_iteratorINS9_10device_ptrIyEEEEPS5_jNS1_19radix_merge_compareILb0ELb1EyNS0_19identity_decomposerEEEEE10hipError_tT0_T1_T2_jT3_P12ihipStream_tbPNSt15iterator_traitsISK_E10value_typeEPNSQ_ISL_E10value_typeEPSM_NS1_7vsmem_tEENKUlT_SK_SL_SM_E_clIPySE_SF_SF_EESJ_SZ_SK_SL_SM_EUlSZ_E_NS1_11comp_targetILNS1_3genE5ELNS1_11target_archE942ELNS1_3gpuE9ELNS1_3repE0EEENS1_48merge_mergepath_partition_config_static_selectorELNS0_4arch9wavefront6targetE1EEEvSL_: ; @_ZN7rocprim17ROCPRIM_400000_NS6detail17trampoline_kernelINS0_14default_configENS1_38merge_sort_block_merge_config_selectorIyNS0_10empty_typeEEEZZNS1_27merge_sort_block_merge_implIS3_N6thrust23THRUST_200600_302600_NS6detail15normal_iteratorINS9_10device_ptrIyEEEEPS5_jNS1_19radix_merge_compareILb0ELb1EyNS0_19identity_decomposerEEEEE10hipError_tT0_T1_T2_jT3_P12ihipStream_tbPNSt15iterator_traitsISK_E10value_typeEPNSQ_ISL_E10value_typeEPSM_NS1_7vsmem_tEENKUlT_SK_SL_SM_E_clIPySE_SF_SF_EESJ_SZ_SK_SL_SM_EUlSZ_E_NS1_11comp_targetILNS1_3genE5ELNS1_11target_archE942ELNS1_3gpuE9ELNS1_3repE0EEENS1_48merge_mergepath_partition_config_static_selectorELNS0_4arch9wavefront6targetE1EEEvSL_
; %bb.0:
	.section	.rodata,"a",@progbits
	.p2align	6, 0x0
	.amdhsa_kernel _ZN7rocprim17ROCPRIM_400000_NS6detail17trampoline_kernelINS0_14default_configENS1_38merge_sort_block_merge_config_selectorIyNS0_10empty_typeEEEZZNS1_27merge_sort_block_merge_implIS3_N6thrust23THRUST_200600_302600_NS6detail15normal_iteratorINS9_10device_ptrIyEEEEPS5_jNS1_19radix_merge_compareILb0ELb1EyNS0_19identity_decomposerEEEEE10hipError_tT0_T1_T2_jT3_P12ihipStream_tbPNSt15iterator_traitsISK_E10value_typeEPNSQ_ISL_E10value_typeEPSM_NS1_7vsmem_tEENKUlT_SK_SL_SM_E_clIPySE_SF_SF_EESJ_SZ_SK_SL_SM_EUlSZ_E_NS1_11comp_targetILNS1_3genE5ELNS1_11target_archE942ELNS1_3gpuE9ELNS1_3repE0EEENS1_48merge_mergepath_partition_config_static_selectorELNS0_4arch9wavefront6targetE1EEEvSL_
		.amdhsa_group_segment_fixed_size 0
		.amdhsa_private_segment_fixed_size 0
		.amdhsa_kernarg_size 40
		.amdhsa_user_sgpr_count 6
		.amdhsa_user_sgpr_private_segment_buffer 1
		.amdhsa_user_sgpr_dispatch_ptr 0
		.amdhsa_user_sgpr_queue_ptr 0
		.amdhsa_user_sgpr_kernarg_segment_ptr 1
		.amdhsa_user_sgpr_dispatch_id 0
		.amdhsa_user_sgpr_flat_scratch_init 0
		.amdhsa_user_sgpr_kernarg_preload_length 0
		.amdhsa_user_sgpr_kernarg_preload_offset 0
		.amdhsa_user_sgpr_private_segment_size 0
		.amdhsa_uses_dynamic_stack 0
		.amdhsa_system_sgpr_private_segment_wavefront_offset 0
		.amdhsa_system_sgpr_workgroup_id_x 1
		.amdhsa_system_sgpr_workgroup_id_y 0
		.amdhsa_system_sgpr_workgroup_id_z 0
		.amdhsa_system_sgpr_workgroup_info 0
		.amdhsa_system_vgpr_workitem_id 0
		.amdhsa_next_free_vgpr 1
		.amdhsa_next_free_sgpr 0
		.amdhsa_accum_offset 4
		.amdhsa_reserve_vcc 0
		.amdhsa_reserve_flat_scratch 0
		.amdhsa_float_round_mode_32 0
		.amdhsa_float_round_mode_16_64 0
		.amdhsa_float_denorm_mode_32 3
		.amdhsa_float_denorm_mode_16_64 3
		.amdhsa_dx10_clamp 1
		.amdhsa_ieee_mode 1
		.amdhsa_fp16_overflow 0
		.amdhsa_tg_split 0
		.amdhsa_exception_fp_ieee_invalid_op 0
		.amdhsa_exception_fp_denorm_src 0
		.amdhsa_exception_fp_ieee_div_zero 0
		.amdhsa_exception_fp_ieee_overflow 0
		.amdhsa_exception_fp_ieee_underflow 0
		.amdhsa_exception_fp_ieee_inexact 0
		.amdhsa_exception_int_div_zero 0
	.end_amdhsa_kernel
	.section	.text._ZN7rocprim17ROCPRIM_400000_NS6detail17trampoline_kernelINS0_14default_configENS1_38merge_sort_block_merge_config_selectorIyNS0_10empty_typeEEEZZNS1_27merge_sort_block_merge_implIS3_N6thrust23THRUST_200600_302600_NS6detail15normal_iteratorINS9_10device_ptrIyEEEEPS5_jNS1_19radix_merge_compareILb0ELb1EyNS0_19identity_decomposerEEEEE10hipError_tT0_T1_T2_jT3_P12ihipStream_tbPNSt15iterator_traitsISK_E10value_typeEPNSQ_ISL_E10value_typeEPSM_NS1_7vsmem_tEENKUlT_SK_SL_SM_E_clIPySE_SF_SF_EESJ_SZ_SK_SL_SM_EUlSZ_E_NS1_11comp_targetILNS1_3genE5ELNS1_11target_archE942ELNS1_3gpuE9ELNS1_3repE0EEENS1_48merge_mergepath_partition_config_static_selectorELNS0_4arch9wavefront6targetE1EEEvSL_,"axG",@progbits,_ZN7rocprim17ROCPRIM_400000_NS6detail17trampoline_kernelINS0_14default_configENS1_38merge_sort_block_merge_config_selectorIyNS0_10empty_typeEEEZZNS1_27merge_sort_block_merge_implIS3_N6thrust23THRUST_200600_302600_NS6detail15normal_iteratorINS9_10device_ptrIyEEEEPS5_jNS1_19radix_merge_compareILb0ELb1EyNS0_19identity_decomposerEEEEE10hipError_tT0_T1_T2_jT3_P12ihipStream_tbPNSt15iterator_traitsISK_E10value_typeEPNSQ_ISL_E10value_typeEPSM_NS1_7vsmem_tEENKUlT_SK_SL_SM_E_clIPySE_SF_SF_EESJ_SZ_SK_SL_SM_EUlSZ_E_NS1_11comp_targetILNS1_3genE5ELNS1_11target_archE942ELNS1_3gpuE9ELNS1_3repE0EEENS1_48merge_mergepath_partition_config_static_selectorELNS0_4arch9wavefront6targetE1EEEvSL_,comdat
.Lfunc_end791:
	.size	_ZN7rocprim17ROCPRIM_400000_NS6detail17trampoline_kernelINS0_14default_configENS1_38merge_sort_block_merge_config_selectorIyNS0_10empty_typeEEEZZNS1_27merge_sort_block_merge_implIS3_N6thrust23THRUST_200600_302600_NS6detail15normal_iteratorINS9_10device_ptrIyEEEEPS5_jNS1_19radix_merge_compareILb0ELb1EyNS0_19identity_decomposerEEEEE10hipError_tT0_T1_T2_jT3_P12ihipStream_tbPNSt15iterator_traitsISK_E10value_typeEPNSQ_ISL_E10value_typeEPSM_NS1_7vsmem_tEENKUlT_SK_SL_SM_E_clIPySE_SF_SF_EESJ_SZ_SK_SL_SM_EUlSZ_E_NS1_11comp_targetILNS1_3genE5ELNS1_11target_archE942ELNS1_3gpuE9ELNS1_3repE0EEENS1_48merge_mergepath_partition_config_static_selectorELNS0_4arch9wavefront6targetE1EEEvSL_, .Lfunc_end791-_ZN7rocprim17ROCPRIM_400000_NS6detail17trampoline_kernelINS0_14default_configENS1_38merge_sort_block_merge_config_selectorIyNS0_10empty_typeEEEZZNS1_27merge_sort_block_merge_implIS3_N6thrust23THRUST_200600_302600_NS6detail15normal_iteratorINS9_10device_ptrIyEEEEPS5_jNS1_19radix_merge_compareILb0ELb1EyNS0_19identity_decomposerEEEEE10hipError_tT0_T1_T2_jT3_P12ihipStream_tbPNSt15iterator_traitsISK_E10value_typeEPNSQ_ISL_E10value_typeEPSM_NS1_7vsmem_tEENKUlT_SK_SL_SM_E_clIPySE_SF_SF_EESJ_SZ_SK_SL_SM_EUlSZ_E_NS1_11comp_targetILNS1_3genE5ELNS1_11target_archE942ELNS1_3gpuE9ELNS1_3repE0EEENS1_48merge_mergepath_partition_config_static_selectorELNS0_4arch9wavefront6targetE1EEEvSL_
                                        ; -- End function
	.section	.AMDGPU.csdata,"",@progbits
; Kernel info:
; codeLenInByte = 0
; NumSgprs: 4
; NumVgprs: 0
; NumAgprs: 0
; TotalNumVgprs: 0
; ScratchSize: 0
; MemoryBound: 0
; FloatMode: 240
; IeeeMode: 1
; LDSByteSize: 0 bytes/workgroup (compile time only)
; SGPRBlocks: 0
; VGPRBlocks: 0
; NumSGPRsForWavesPerEU: 4
; NumVGPRsForWavesPerEU: 1
; AccumOffset: 4
; Occupancy: 8
; WaveLimiterHint : 0
; COMPUTE_PGM_RSRC2:SCRATCH_EN: 0
; COMPUTE_PGM_RSRC2:USER_SGPR: 6
; COMPUTE_PGM_RSRC2:TRAP_HANDLER: 0
; COMPUTE_PGM_RSRC2:TGID_X_EN: 1
; COMPUTE_PGM_RSRC2:TGID_Y_EN: 0
; COMPUTE_PGM_RSRC2:TGID_Z_EN: 0
; COMPUTE_PGM_RSRC2:TIDIG_COMP_CNT: 0
; COMPUTE_PGM_RSRC3_GFX90A:ACCUM_OFFSET: 0
; COMPUTE_PGM_RSRC3_GFX90A:TG_SPLIT: 0
	.section	.text._ZN7rocprim17ROCPRIM_400000_NS6detail17trampoline_kernelINS0_14default_configENS1_38merge_sort_block_merge_config_selectorIyNS0_10empty_typeEEEZZNS1_27merge_sort_block_merge_implIS3_N6thrust23THRUST_200600_302600_NS6detail15normal_iteratorINS9_10device_ptrIyEEEEPS5_jNS1_19radix_merge_compareILb0ELb1EyNS0_19identity_decomposerEEEEE10hipError_tT0_T1_T2_jT3_P12ihipStream_tbPNSt15iterator_traitsISK_E10value_typeEPNSQ_ISL_E10value_typeEPSM_NS1_7vsmem_tEENKUlT_SK_SL_SM_E_clIPySE_SF_SF_EESJ_SZ_SK_SL_SM_EUlSZ_E_NS1_11comp_targetILNS1_3genE4ELNS1_11target_archE910ELNS1_3gpuE8ELNS1_3repE0EEENS1_48merge_mergepath_partition_config_static_selectorELNS0_4arch9wavefront6targetE1EEEvSL_,"axG",@progbits,_ZN7rocprim17ROCPRIM_400000_NS6detail17trampoline_kernelINS0_14default_configENS1_38merge_sort_block_merge_config_selectorIyNS0_10empty_typeEEEZZNS1_27merge_sort_block_merge_implIS3_N6thrust23THRUST_200600_302600_NS6detail15normal_iteratorINS9_10device_ptrIyEEEEPS5_jNS1_19radix_merge_compareILb0ELb1EyNS0_19identity_decomposerEEEEE10hipError_tT0_T1_T2_jT3_P12ihipStream_tbPNSt15iterator_traitsISK_E10value_typeEPNSQ_ISL_E10value_typeEPSM_NS1_7vsmem_tEENKUlT_SK_SL_SM_E_clIPySE_SF_SF_EESJ_SZ_SK_SL_SM_EUlSZ_E_NS1_11comp_targetILNS1_3genE4ELNS1_11target_archE910ELNS1_3gpuE8ELNS1_3repE0EEENS1_48merge_mergepath_partition_config_static_selectorELNS0_4arch9wavefront6targetE1EEEvSL_,comdat
	.protected	_ZN7rocprim17ROCPRIM_400000_NS6detail17trampoline_kernelINS0_14default_configENS1_38merge_sort_block_merge_config_selectorIyNS0_10empty_typeEEEZZNS1_27merge_sort_block_merge_implIS3_N6thrust23THRUST_200600_302600_NS6detail15normal_iteratorINS9_10device_ptrIyEEEEPS5_jNS1_19radix_merge_compareILb0ELb1EyNS0_19identity_decomposerEEEEE10hipError_tT0_T1_T2_jT3_P12ihipStream_tbPNSt15iterator_traitsISK_E10value_typeEPNSQ_ISL_E10value_typeEPSM_NS1_7vsmem_tEENKUlT_SK_SL_SM_E_clIPySE_SF_SF_EESJ_SZ_SK_SL_SM_EUlSZ_E_NS1_11comp_targetILNS1_3genE4ELNS1_11target_archE910ELNS1_3gpuE8ELNS1_3repE0EEENS1_48merge_mergepath_partition_config_static_selectorELNS0_4arch9wavefront6targetE1EEEvSL_ ; -- Begin function _ZN7rocprim17ROCPRIM_400000_NS6detail17trampoline_kernelINS0_14default_configENS1_38merge_sort_block_merge_config_selectorIyNS0_10empty_typeEEEZZNS1_27merge_sort_block_merge_implIS3_N6thrust23THRUST_200600_302600_NS6detail15normal_iteratorINS9_10device_ptrIyEEEEPS5_jNS1_19radix_merge_compareILb0ELb1EyNS0_19identity_decomposerEEEEE10hipError_tT0_T1_T2_jT3_P12ihipStream_tbPNSt15iterator_traitsISK_E10value_typeEPNSQ_ISL_E10value_typeEPSM_NS1_7vsmem_tEENKUlT_SK_SL_SM_E_clIPySE_SF_SF_EESJ_SZ_SK_SL_SM_EUlSZ_E_NS1_11comp_targetILNS1_3genE4ELNS1_11target_archE910ELNS1_3gpuE8ELNS1_3repE0EEENS1_48merge_mergepath_partition_config_static_selectorELNS0_4arch9wavefront6targetE1EEEvSL_
	.globl	_ZN7rocprim17ROCPRIM_400000_NS6detail17trampoline_kernelINS0_14default_configENS1_38merge_sort_block_merge_config_selectorIyNS0_10empty_typeEEEZZNS1_27merge_sort_block_merge_implIS3_N6thrust23THRUST_200600_302600_NS6detail15normal_iteratorINS9_10device_ptrIyEEEEPS5_jNS1_19radix_merge_compareILb0ELb1EyNS0_19identity_decomposerEEEEE10hipError_tT0_T1_T2_jT3_P12ihipStream_tbPNSt15iterator_traitsISK_E10value_typeEPNSQ_ISL_E10value_typeEPSM_NS1_7vsmem_tEENKUlT_SK_SL_SM_E_clIPySE_SF_SF_EESJ_SZ_SK_SL_SM_EUlSZ_E_NS1_11comp_targetILNS1_3genE4ELNS1_11target_archE910ELNS1_3gpuE8ELNS1_3repE0EEENS1_48merge_mergepath_partition_config_static_selectorELNS0_4arch9wavefront6targetE1EEEvSL_
	.p2align	8
	.type	_ZN7rocprim17ROCPRIM_400000_NS6detail17trampoline_kernelINS0_14default_configENS1_38merge_sort_block_merge_config_selectorIyNS0_10empty_typeEEEZZNS1_27merge_sort_block_merge_implIS3_N6thrust23THRUST_200600_302600_NS6detail15normal_iteratorINS9_10device_ptrIyEEEEPS5_jNS1_19radix_merge_compareILb0ELb1EyNS0_19identity_decomposerEEEEE10hipError_tT0_T1_T2_jT3_P12ihipStream_tbPNSt15iterator_traitsISK_E10value_typeEPNSQ_ISL_E10value_typeEPSM_NS1_7vsmem_tEENKUlT_SK_SL_SM_E_clIPySE_SF_SF_EESJ_SZ_SK_SL_SM_EUlSZ_E_NS1_11comp_targetILNS1_3genE4ELNS1_11target_archE910ELNS1_3gpuE8ELNS1_3repE0EEENS1_48merge_mergepath_partition_config_static_selectorELNS0_4arch9wavefront6targetE1EEEvSL_,@function
_ZN7rocprim17ROCPRIM_400000_NS6detail17trampoline_kernelINS0_14default_configENS1_38merge_sort_block_merge_config_selectorIyNS0_10empty_typeEEEZZNS1_27merge_sort_block_merge_implIS3_N6thrust23THRUST_200600_302600_NS6detail15normal_iteratorINS9_10device_ptrIyEEEEPS5_jNS1_19radix_merge_compareILb0ELb1EyNS0_19identity_decomposerEEEEE10hipError_tT0_T1_T2_jT3_P12ihipStream_tbPNSt15iterator_traitsISK_E10value_typeEPNSQ_ISL_E10value_typeEPSM_NS1_7vsmem_tEENKUlT_SK_SL_SM_E_clIPySE_SF_SF_EESJ_SZ_SK_SL_SM_EUlSZ_E_NS1_11comp_targetILNS1_3genE4ELNS1_11target_archE910ELNS1_3gpuE8ELNS1_3repE0EEENS1_48merge_mergepath_partition_config_static_selectorELNS0_4arch9wavefront6targetE1EEEvSL_: ; @_ZN7rocprim17ROCPRIM_400000_NS6detail17trampoline_kernelINS0_14default_configENS1_38merge_sort_block_merge_config_selectorIyNS0_10empty_typeEEEZZNS1_27merge_sort_block_merge_implIS3_N6thrust23THRUST_200600_302600_NS6detail15normal_iteratorINS9_10device_ptrIyEEEEPS5_jNS1_19radix_merge_compareILb0ELb1EyNS0_19identity_decomposerEEEEE10hipError_tT0_T1_T2_jT3_P12ihipStream_tbPNSt15iterator_traitsISK_E10value_typeEPNSQ_ISL_E10value_typeEPSM_NS1_7vsmem_tEENKUlT_SK_SL_SM_E_clIPySE_SF_SF_EESJ_SZ_SK_SL_SM_EUlSZ_E_NS1_11comp_targetILNS1_3genE4ELNS1_11target_archE910ELNS1_3gpuE8ELNS1_3repE0EEENS1_48merge_mergepath_partition_config_static_selectorELNS0_4arch9wavefront6targetE1EEEvSL_
; %bb.0:
	s_load_dword s0, s[4:5], 0x0
	v_lshl_or_b32 v0, s6, 7, v0
	s_waitcnt lgkmcnt(0)
	v_cmp_gt_u32_e32 vcc, s0, v0
	s_and_saveexec_b64 s[0:1], vcc
	s_cbranch_execz .LBB792_6
; %bb.1:
	s_load_dwordx2 s[6:7], s[4:5], 0x4
	s_load_dwordx4 s[0:3], s[4:5], 0x18
	s_waitcnt lgkmcnt(0)
	s_lshr_b32 s8, s6, 9
	s_and_b32 s8, s8, 0x7ffffe
	s_add_i32 s9, s8, -1
	s_sub_i32 s8, 0, s8
	v_and_b32_e32 v1, s8, v0
	v_lshlrev_b32_e32 v1, 10, v1
	v_min_u32_e32 v2, s7, v1
	v_add_u32_e32 v1, s6, v1
	v_min_u32_e32 v4, s7, v1
	v_add_u32_e32 v1, s6, v4
	v_and_b32_e32 v3, s9, v0
	v_min_u32_e32 v1, s7, v1
	v_sub_u32_e32 v5, v1, v2
	v_lshlrev_b32_e32 v3, 10, v3
	v_min_u32_e32 v6, v5, v3
	v_sub_u32_e32 v3, v4, v2
	v_sub_u32_e32 v1, v1, v4
	v_sub_u32_e64 v1, v6, v1 clamp
	v_min_u32_e32 v7, v6, v3
	v_cmp_lt_u32_e32 vcc, v1, v7
	s_and_saveexec_b64 s[6:7], vcc
	s_cbranch_execz .LBB792_5
; %bb.2:
	s_load_dwordx2 s[4:5], s[4:5], 0x10
	v_mov_b32_e32 v5, 0
	v_mov_b32_e32 v3, v5
	v_lshlrev_b64 v[8:9], 3, v[2:3]
	v_lshlrev_b64 v[10:11], 3, v[4:5]
	s_waitcnt lgkmcnt(0)
	v_mov_b32_e32 v12, s5
	v_add_co_u32_e32 v3, vcc, s4, v8
	v_addc_co_u32_e32 v8, vcc, v12, v9, vcc
	v_add_co_u32_e32 v9, vcc, s4, v10
	v_addc_co_u32_e32 v10, vcc, v12, v11, vcc
	s_mov_b64 s[4:5], 0
.LBB792_3:                              ; =>This Inner Loop Header: Depth=1
	v_add_u32_e32 v4, v7, v1
	v_lshrrev_b32_e32 v4, 1, v4
	v_lshlrev_b64 v[14:15], 3, v[4:5]
	v_mov_b32_e32 v13, v5
	v_xad_u32 v12, v4, -1, v6
	v_add_co_u32_e32 v14, vcc, v3, v14
	v_addc_co_u32_e32 v15, vcc, v8, v15, vcc
	v_lshlrev_b64 v[12:13], 3, v[12:13]
	v_add_co_u32_e32 v12, vcc, v9, v12
	v_addc_co_u32_e32 v13, vcc, v10, v13, vcc
	global_load_dwordx2 v[14:15], v[14:15], off
	v_add_u32_e32 v11, 1, v4
	global_load_dwordx2 v[12:13], v[12:13], off
	s_waitcnt vmcnt(1)
	v_and_b32_e32 v15, s1, v15
	v_and_b32_e32 v14, s0, v14
	s_waitcnt vmcnt(0)
	v_and_b32_e32 v13, s1, v13
	v_and_b32_e32 v12, s0, v12
	v_cmp_gt_u64_e32 vcc, v[14:15], v[12:13]
	v_cndmask_b32_e32 v7, v7, v4, vcc
	v_cndmask_b32_e32 v1, v11, v1, vcc
	v_cmp_ge_u32_e32 vcc, v1, v7
	s_or_b64 s[4:5], vcc, s[4:5]
	s_andn2_b64 exec, exec, s[4:5]
	s_cbranch_execnz .LBB792_3
; %bb.4:
	s_or_b64 exec, exec, s[4:5]
.LBB792_5:
	s_or_b64 exec, exec, s[6:7]
	v_add_u32_e32 v2, v1, v2
	v_mov_b32_e32 v1, 0
	v_lshlrev_b64 v[0:1], 2, v[0:1]
	v_mov_b32_e32 v3, s3
	v_add_co_u32_e32 v0, vcc, s2, v0
	v_addc_co_u32_e32 v1, vcc, v3, v1, vcc
	global_store_dword v[0:1], v2, off
.LBB792_6:
	s_endpgm
	.section	.rodata,"a",@progbits
	.p2align	6, 0x0
	.amdhsa_kernel _ZN7rocprim17ROCPRIM_400000_NS6detail17trampoline_kernelINS0_14default_configENS1_38merge_sort_block_merge_config_selectorIyNS0_10empty_typeEEEZZNS1_27merge_sort_block_merge_implIS3_N6thrust23THRUST_200600_302600_NS6detail15normal_iteratorINS9_10device_ptrIyEEEEPS5_jNS1_19radix_merge_compareILb0ELb1EyNS0_19identity_decomposerEEEEE10hipError_tT0_T1_T2_jT3_P12ihipStream_tbPNSt15iterator_traitsISK_E10value_typeEPNSQ_ISL_E10value_typeEPSM_NS1_7vsmem_tEENKUlT_SK_SL_SM_E_clIPySE_SF_SF_EESJ_SZ_SK_SL_SM_EUlSZ_E_NS1_11comp_targetILNS1_3genE4ELNS1_11target_archE910ELNS1_3gpuE8ELNS1_3repE0EEENS1_48merge_mergepath_partition_config_static_selectorELNS0_4arch9wavefront6targetE1EEEvSL_
		.amdhsa_group_segment_fixed_size 0
		.amdhsa_private_segment_fixed_size 0
		.amdhsa_kernarg_size 40
		.amdhsa_user_sgpr_count 6
		.amdhsa_user_sgpr_private_segment_buffer 1
		.amdhsa_user_sgpr_dispatch_ptr 0
		.amdhsa_user_sgpr_queue_ptr 0
		.amdhsa_user_sgpr_kernarg_segment_ptr 1
		.amdhsa_user_sgpr_dispatch_id 0
		.amdhsa_user_sgpr_flat_scratch_init 0
		.amdhsa_user_sgpr_kernarg_preload_length 0
		.amdhsa_user_sgpr_kernarg_preload_offset 0
		.amdhsa_user_sgpr_private_segment_size 0
		.amdhsa_uses_dynamic_stack 0
		.amdhsa_system_sgpr_private_segment_wavefront_offset 0
		.amdhsa_system_sgpr_workgroup_id_x 1
		.amdhsa_system_sgpr_workgroup_id_y 0
		.amdhsa_system_sgpr_workgroup_id_z 0
		.amdhsa_system_sgpr_workgroup_info 0
		.amdhsa_system_vgpr_workitem_id 0
		.amdhsa_next_free_vgpr 16
		.amdhsa_next_free_sgpr 10
		.amdhsa_accum_offset 16
		.amdhsa_reserve_vcc 1
		.amdhsa_reserve_flat_scratch 0
		.amdhsa_float_round_mode_32 0
		.amdhsa_float_round_mode_16_64 0
		.amdhsa_float_denorm_mode_32 3
		.amdhsa_float_denorm_mode_16_64 3
		.amdhsa_dx10_clamp 1
		.amdhsa_ieee_mode 1
		.amdhsa_fp16_overflow 0
		.amdhsa_tg_split 0
		.amdhsa_exception_fp_ieee_invalid_op 0
		.amdhsa_exception_fp_denorm_src 0
		.amdhsa_exception_fp_ieee_div_zero 0
		.amdhsa_exception_fp_ieee_overflow 0
		.amdhsa_exception_fp_ieee_underflow 0
		.amdhsa_exception_fp_ieee_inexact 0
		.amdhsa_exception_int_div_zero 0
	.end_amdhsa_kernel
	.section	.text._ZN7rocprim17ROCPRIM_400000_NS6detail17trampoline_kernelINS0_14default_configENS1_38merge_sort_block_merge_config_selectorIyNS0_10empty_typeEEEZZNS1_27merge_sort_block_merge_implIS3_N6thrust23THRUST_200600_302600_NS6detail15normal_iteratorINS9_10device_ptrIyEEEEPS5_jNS1_19radix_merge_compareILb0ELb1EyNS0_19identity_decomposerEEEEE10hipError_tT0_T1_T2_jT3_P12ihipStream_tbPNSt15iterator_traitsISK_E10value_typeEPNSQ_ISL_E10value_typeEPSM_NS1_7vsmem_tEENKUlT_SK_SL_SM_E_clIPySE_SF_SF_EESJ_SZ_SK_SL_SM_EUlSZ_E_NS1_11comp_targetILNS1_3genE4ELNS1_11target_archE910ELNS1_3gpuE8ELNS1_3repE0EEENS1_48merge_mergepath_partition_config_static_selectorELNS0_4arch9wavefront6targetE1EEEvSL_,"axG",@progbits,_ZN7rocprim17ROCPRIM_400000_NS6detail17trampoline_kernelINS0_14default_configENS1_38merge_sort_block_merge_config_selectorIyNS0_10empty_typeEEEZZNS1_27merge_sort_block_merge_implIS3_N6thrust23THRUST_200600_302600_NS6detail15normal_iteratorINS9_10device_ptrIyEEEEPS5_jNS1_19radix_merge_compareILb0ELb1EyNS0_19identity_decomposerEEEEE10hipError_tT0_T1_T2_jT3_P12ihipStream_tbPNSt15iterator_traitsISK_E10value_typeEPNSQ_ISL_E10value_typeEPSM_NS1_7vsmem_tEENKUlT_SK_SL_SM_E_clIPySE_SF_SF_EESJ_SZ_SK_SL_SM_EUlSZ_E_NS1_11comp_targetILNS1_3genE4ELNS1_11target_archE910ELNS1_3gpuE8ELNS1_3repE0EEENS1_48merge_mergepath_partition_config_static_selectorELNS0_4arch9wavefront6targetE1EEEvSL_,comdat
.Lfunc_end792:
	.size	_ZN7rocprim17ROCPRIM_400000_NS6detail17trampoline_kernelINS0_14default_configENS1_38merge_sort_block_merge_config_selectorIyNS0_10empty_typeEEEZZNS1_27merge_sort_block_merge_implIS3_N6thrust23THRUST_200600_302600_NS6detail15normal_iteratorINS9_10device_ptrIyEEEEPS5_jNS1_19radix_merge_compareILb0ELb1EyNS0_19identity_decomposerEEEEE10hipError_tT0_T1_T2_jT3_P12ihipStream_tbPNSt15iterator_traitsISK_E10value_typeEPNSQ_ISL_E10value_typeEPSM_NS1_7vsmem_tEENKUlT_SK_SL_SM_E_clIPySE_SF_SF_EESJ_SZ_SK_SL_SM_EUlSZ_E_NS1_11comp_targetILNS1_3genE4ELNS1_11target_archE910ELNS1_3gpuE8ELNS1_3repE0EEENS1_48merge_mergepath_partition_config_static_selectorELNS0_4arch9wavefront6targetE1EEEvSL_, .Lfunc_end792-_ZN7rocprim17ROCPRIM_400000_NS6detail17trampoline_kernelINS0_14default_configENS1_38merge_sort_block_merge_config_selectorIyNS0_10empty_typeEEEZZNS1_27merge_sort_block_merge_implIS3_N6thrust23THRUST_200600_302600_NS6detail15normal_iteratorINS9_10device_ptrIyEEEEPS5_jNS1_19radix_merge_compareILb0ELb1EyNS0_19identity_decomposerEEEEE10hipError_tT0_T1_T2_jT3_P12ihipStream_tbPNSt15iterator_traitsISK_E10value_typeEPNSQ_ISL_E10value_typeEPSM_NS1_7vsmem_tEENKUlT_SK_SL_SM_E_clIPySE_SF_SF_EESJ_SZ_SK_SL_SM_EUlSZ_E_NS1_11comp_targetILNS1_3genE4ELNS1_11target_archE910ELNS1_3gpuE8ELNS1_3repE0EEENS1_48merge_mergepath_partition_config_static_selectorELNS0_4arch9wavefront6targetE1EEEvSL_
                                        ; -- End function
	.section	.AMDGPU.csdata,"",@progbits
; Kernel info:
; codeLenInByte = 380
; NumSgprs: 14
; NumVgprs: 16
; NumAgprs: 0
; TotalNumVgprs: 16
; ScratchSize: 0
; MemoryBound: 0
; FloatMode: 240
; IeeeMode: 1
; LDSByteSize: 0 bytes/workgroup (compile time only)
; SGPRBlocks: 1
; VGPRBlocks: 1
; NumSGPRsForWavesPerEU: 14
; NumVGPRsForWavesPerEU: 16
; AccumOffset: 16
; Occupancy: 8
; WaveLimiterHint : 0
; COMPUTE_PGM_RSRC2:SCRATCH_EN: 0
; COMPUTE_PGM_RSRC2:USER_SGPR: 6
; COMPUTE_PGM_RSRC2:TRAP_HANDLER: 0
; COMPUTE_PGM_RSRC2:TGID_X_EN: 1
; COMPUTE_PGM_RSRC2:TGID_Y_EN: 0
; COMPUTE_PGM_RSRC2:TGID_Z_EN: 0
; COMPUTE_PGM_RSRC2:TIDIG_COMP_CNT: 0
; COMPUTE_PGM_RSRC3_GFX90A:ACCUM_OFFSET: 3
; COMPUTE_PGM_RSRC3_GFX90A:TG_SPLIT: 0
	.section	.text._ZN7rocprim17ROCPRIM_400000_NS6detail17trampoline_kernelINS0_14default_configENS1_38merge_sort_block_merge_config_selectorIyNS0_10empty_typeEEEZZNS1_27merge_sort_block_merge_implIS3_N6thrust23THRUST_200600_302600_NS6detail15normal_iteratorINS9_10device_ptrIyEEEEPS5_jNS1_19radix_merge_compareILb0ELb1EyNS0_19identity_decomposerEEEEE10hipError_tT0_T1_T2_jT3_P12ihipStream_tbPNSt15iterator_traitsISK_E10value_typeEPNSQ_ISL_E10value_typeEPSM_NS1_7vsmem_tEENKUlT_SK_SL_SM_E_clIPySE_SF_SF_EESJ_SZ_SK_SL_SM_EUlSZ_E_NS1_11comp_targetILNS1_3genE3ELNS1_11target_archE908ELNS1_3gpuE7ELNS1_3repE0EEENS1_48merge_mergepath_partition_config_static_selectorELNS0_4arch9wavefront6targetE1EEEvSL_,"axG",@progbits,_ZN7rocprim17ROCPRIM_400000_NS6detail17trampoline_kernelINS0_14default_configENS1_38merge_sort_block_merge_config_selectorIyNS0_10empty_typeEEEZZNS1_27merge_sort_block_merge_implIS3_N6thrust23THRUST_200600_302600_NS6detail15normal_iteratorINS9_10device_ptrIyEEEEPS5_jNS1_19radix_merge_compareILb0ELb1EyNS0_19identity_decomposerEEEEE10hipError_tT0_T1_T2_jT3_P12ihipStream_tbPNSt15iterator_traitsISK_E10value_typeEPNSQ_ISL_E10value_typeEPSM_NS1_7vsmem_tEENKUlT_SK_SL_SM_E_clIPySE_SF_SF_EESJ_SZ_SK_SL_SM_EUlSZ_E_NS1_11comp_targetILNS1_3genE3ELNS1_11target_archE908ELNS1_3gpuE7ELNS1_3repE0EEENS1_48merge_mergepath_partition_config_static_selectorELNS0_4arch9wavefront6targetE1EEEvSL_,comdat
	.protected	_ZN7rocprim17ROCPRIM_400000_NS6detail17trampoline_kernelINS0_14default_configENS1_38merge_sort_block_merge_config_selectorIyNS0_10empty_typeEEEZZNS1_27merge_sort_block_merge_implIS3_N6thrust23THRUST_200600_302600_NS6detail15normal_iteratorINS9_10device_ptrIyEEEEPS5_jNS1_19radix_merge_compareILb0ELb1EyNS0_19identity_decomposerEEEEE10hipError_tT0_T1_T2_jT3_P12ihipStream_tbPNSt15iterator_traitsISK_E10value_typeEPNSQ_ISL_E10value_typeEPSM_NS1_7vsmem_tEENKUlT_SK_SL_SM_E_clIPySE_SF_SF_EESJ_SZ_SK_SL_SM_EUlSZ_E_NS1_11comp_targetILNS1_3genE3ELNS1_11target_archE908ELNS1_3gpuE7ELNS1_3repE0EEENS1_48merge_mergepath_partition_config_static_selectorELNS0_4arch9wavefront6targetE1EEEvSL_ ; -- Begin function _ZN7rocprim17ROCPRIM_400000_NS6detail17trampoline_kernelINS0_14default_configENS1_38merge_sort_block_merge_config_selectorIyNS0_10empty_typeEEEZZNS1_27merge_sort_block_merge_implIS3_N6thrust23THRUST_200600_302600_NS6detail15normal_iteratorINS9_10device_ptrIyEEEEPS5_jNS1_19radix_merge_compareILb0ELb1EyNS0_19identity_decomposerEEEEE10hipError_tT0_T1_T2_jT3_P12ihipStream_tbPNSt15iterator_traitsISK_E10value_typeEPNSQ_ISL_E10value_typeEPSM_NS1_7vsmem_tEENKUlT_SK_SL_SM_E_clIPySE_SF_SF_EESJ_SZ_SK_SL_SM_EUlSZ_E_NS1_11comp_targetILNS1_3genE3ELNS1_11target_archE908ELNS1_3gpuE7ELNS1_3repE0EEENS1_48merge_mergepath_partition_config_static_selectorELNS0_4arch9wavefront6targetE1EEEvSL_
	.globl	_ZN7rocprim17ROCPRIM_400000_NS6detail17trampoline_kernelINS0_14default_configENS1_38merge_sort_block_merge_config_selectorIyNS0_10empty_typeEEEZZNS1_27merge_sort_block_merge_implIS3_N6thrust23THRUST_200600_302600_NS6detail15normal_iteratorINS9_10device_ptrIyEEEEPS5_jNS1_19radix_merge_compareILb0ELb1EyNS0_19identity_decomposerEEEEE10hipError_tT0_T1_T2_jT3_P12ihipStream_tbPNSt15iterator_traitsISK_E10value_typeEPNSQ_ISL_E10value_typeEPSM_NS1_7vsmem_tEENKUlT_SK_SL_SM_E_clIPySE_SF_SF_EESJ_SZ_SK_SL_SM_EUlSZ_E_NS1_11comp_targetILNS1_3genE3ELNS1_11target_archE908ELNS1_3gpuE7ELNS1_3repE0EEENS1_48merge_mergepath_partition_config_static_selectorELNS0_4arch9wavefront6targetE1EEEvSL_
	.p2align	8
	.type	_ZN7rocprim17ROCPRIM_400000_NS6detail17trampoline_kernelINS0_14default_configENS1_38merge_sort_block_merge_config_selectorIyNS0_10empty_typeEEEZZNS1_27merge_sort_block_merge_implIS3_N6thrust23THRUST_200600_302600_NS6detail15normal_iteratorINS9_10device_ptrIyEEEEPS5_jNS1_19radix_merge_compareILb0ELb1EyNS0_19identity_decomposerEEEEE10hipError_tT0_T1_T2_jT3_P12ihipStream_tbPNSt15iterator_traitsISK_E10value_typeEPNSQ_ISL_E10value_typeEPSM_NS1_7vsmem_tEENKUlT_SK_SL_SM_E_clIPySE_SF_SF_EESJ_SZ_SK_SL_SM_EUlSZ_E_NS1_11comp_targetILNS1_3genE3ELNS1_11target_archE908ELNS1_3gpuE7ELNS1_3repE0EEENS1_48merge_mergepath_partition_config_static_selectorELNS0_4arch9wavefront6targetE1EEEvSL_,@function
_ZN7rocprim17ROCPRIM_400000_NS6detail17trampoline_kernelINS0_14default_configENS1_38merge_sort_block_merge_config_selectorIyNS0_10empty_typeEEEZZNS1_27merge_sort_block_merge_implIS3_N6thrust23THRUST_200600_302600_NS6detail15normal_iteratorINS9_10device_ptrIyEEEEPS5_jNS1_19radix_merge_compareILb0ELb1EyNS0_19identity_decomposerEEEEE10hipError_tT0_T1_T2_jT3_P12ihipStream_tbPNSt15iterator_traitsISK_E10value_typeEPNSQ_ISL_E10value_typeEPSM_NS1_7vsmem_tEENKUlT_SK_SL_SM_E_clIPySE_SF_SF_EESJ_SZ_SK_SL_SM_EUlSZ_E_NS1_11comp_targetILNS1_3genE3ELNS1_11target_archE908ELNS1_3gpuE7ELNS1_3repE0EEENS1_48merge_mergepath_partition_config_static_selectorELNS0_4arch9wavefront6targetE1EEEvSL_: ; @_ZN7rocprim17ROCPRIM_400000_NS6detail17trampoline_kernelINS0_14default_configENS1_38merge_sort_block_merge_config_selectorIyNS0_10empty_typeEEEZZNS1_27merge_sort_block_merge_implIS3_N6thrust23THRUST_200600_302600_NS6detail15normal_iteratorINS9_10device_ptrIyEEEEPS5_jNS1_19radix_merge_compareILb0ELb1EyNS0_19identity_decomposerEEEEE10hipError_tT0_T1_T2_jT3_P12ihipStream_tbPNSt15iterator_traitsISK_E10value_typeEPNSQ_ISL_E10value_typeEPSM_NS1_7vsmem_tEENKUlT_SK_SL_SM_E_clIPySE_SF_SF_EESJ_SZ_SK_SL_SM_EUlSZ_E_NS1_11comp_targetILNS1_3genE3ELNS1_11target_archE908ELNS1_3gpuE7ELNS1_3repE0EEENS1_48merge_mergepath_partition_config_static_selectorELNS0_4arch9wavefront6targetE1EEEvSL_
; %bb.0:
	.section	.rodata,"a",@progbits
	.p2align	6, 0x0
	.amdhsa_kernel _ZN7rocprim17ROCPRIM_400000_NS6detail17trampoline_kernelINS0_14default_configENS1_38merge_sort_block_merge_config_selectorIyNS0_10empty_typeEEEZZNS1_27merge_sort_block_merge_implIS3_N6thrust23THRUST_200600_302600_NS6detail15normal_iteratorINS9_10device_ptrIyEEEEPS5_jNS1_19radix_merge_compareILb0ELb1EyNS0_19identity_decomposerEEEEE10hipError_tT0_T1_T2_jT3_P12ihipStream_tbPNSt15iterator_traitsISK_E10value_typeEPNSQ_ISL_E10value_typeEPSM_NS1_7vsmem_tEENKUlT_SK_SL_SM_E_clIPySE_SF_SF_EESJ_SZ_SK_SL_SM_EUlSZ_E_NS1_11comp_targetILNS1_3genE3ELNS1_11target_archE908ELNS1_3gpuE7ELNS1_3repE0EEENS1_48merge_mergepath_partition_config_static_selectorELNS0_4arch9wavefront6targetE1EEEvSL_
		.amdhsa_group_segment_fixed_size 0
		.amdhsa_private_segment_fixed_size 0
		.amdhsa_kernarg_size 40
		.amdhsa_user_sgpr_count 6
		.amdhsa_user_sgpr_private_segment_buffer 1
		.amdhsa_user_sgpr_dispatch_ptr 0
		.amdhsa_user_sgpr_queue_ptr 0
		.amdhsa_user_sgpr_kernarg_segment_ptr 1
		.amdhsa_user_sgpr_dispatch_id 0
		.amdhsa_user_sgpr_flat_scratch_init 0
		.amdhsa_user_sgpr_kernarg_preload_length 0
		.amdhsa_user_sgpr_kernarg_preload_offset 0
		.amdhsa_user_sgpr_private_segment_size 0
		.amdhsa_uses_dynamic_stack 0
		.amdhsa_system_sgpr_private_segment_wavefront_offset 0
		.amdhsa_system_sgpr_workgroup_id_x 1
		.amdhsa_system_sgpr_workgroup_id_y 0
		.amdhsa_system_sgpr_workgroup_id_z 0
		.amdhsa_system_sgpr_workgroup_info 0
		.amdhsa_system_vgpr_workitem_id 0
		.amdhsa_next_free_vgpr 1
		.amdhsa_next_free_sgpr 0
		.amdhsa_accum_offset 4
		.amdhsa_reserve_vcc 0
		.amdhsa_reserve_flat_scratch 0
		.amdhsa_float_round_mode_32 0
		.amdhsa_float_round_mode_16_64 0
		.amdhsa_float_denorm_mode_32 3
		.amdhsa_float_denorm_mode_16_64 3
		.amdhsa_dx10_clamp 1
		.amdhsa_ieee_mode 1
		.amdhsa_fp16_overflow 0
		.amdhsa_tg_split 0
		.amdhsa_exception_fp_ieee_invalid_op 0
		.amdhsa_exception_fp_denorm_src 0
		.amdhsa_exception_fp_ieee_div_zero 0
		.amdhsa_exception_fp_ieee_overflow 0
		.amdhsa_exception_fp_ieee_underflow 0
		.amdhsa_exception_fp_ieee_inexact 0
		.amdhsa_exception_int_div_zero 0
	.end_amdhsa_kernel
	.section	.text._ZN7rocprim17ROCPRIM_400000_NS6detail17trampoline_kernelINS0_14default_configENS1_38merge_sort_block_merge_config_selectorIyNS0_10empty_typeEEEZZNS1_27merge_sort_block_merge_implIS3_N6thrust23THRUST_200600_302600_NS6detail15normal_iteratorINS9_10device_ptrIyEEEEPS5_jNS1_19radix_merge_compareILb0ELb1EyNS0_19identity_decomposerEEEEE10hipError_tT0_T1_T2_jT3_P12ihipStream_tbPNSt15iterator_traitsISK_E10value_typeEPNSQ_ISL_E10value_typeEPSM_NS1_7vsmem_tEENKUlT_SK_SL_SM_E_clIPySE_SF_SF_EESJ_SZ_SK_SL_SM_EUlSZ_E_NS1_11comp_targetILNS1_3genE3ELNS1_11target_archE908ELNS1_3gpuE7ELNS1_3repE0EEENS1_48merge_mergepath_partition_config_static_selectorELNS0_4arch9wavefront6targetE1EEEvSL_,"axG",@progbits,_ZN7rocprim17ROCPRIM_400000_NS6detail17trampoline_kernelINS0_14default_configENS1_38merge_sort_block_merge_config_selectorIyNS0_10empty_typeEEEZZNS1_27merge_sort_block_merge_implIS3_N6thrust23THRUST_200600_302600_NS6detail15normal_iteratorINS9_10device_ptrIyEEEEPS5_jNS1_19radix_merge_compareILb0ELb1EyNS0_19identity_decomposerEEEEE10hipError_tT0_T1_T2_jT3_P12ihipStream_tbPNSt15iterator_traitsISK_E10value_typeEPNSQ_ISL_E10value_typeEPSM_NS1_7vsmem_tEENKUlT_SK_SL_SM_E_clIPySE_SF_SF_EESJ_SZ_SK_SL_SM_EUlSZ_E_NS1_11comp_targetILNS1_3genE3ELNS1_11target_archE908ELNS1_3gpuE7ELNS1_3repE0EEENS1_48merge_mergepath_partition_config_static_selectorELNS0_4arch9wavefront6targetE1EEEvSL_,comdat
.Lfunc_end793:
	.size	_ZN7rocprim17ROCPRIM_400000_NS6detail17trampoline_kernelINS0_14default_configENS1_38merge_sort_block_merge_config_selectorIyNS0_10empty_typeEEEZZNS1_27merge_sort_block_merge_implIS3_N6thrust23THRUST_200600_302600_NS6detail15normal_iteratorINS9_10device_ptrIyEEEEPS5_jNS1_19radix_merge_compareILb0ELb1EyNS0_19identity_decomposerEEEEE10hipError_tT0_T1_T2_jT3_P12ihipStream_tbPNSt15iterator_traitsISK_E10value_typeEPNSQ_ISL_E10value_typeEPSM_NS1_7vsmem_tEENKUlT_SK_SL_SM_E_clIPySE_SF_SF_EESJ_SZ_SK_SL_SM_EUlSZ_E_NS1_11comp_targetILNS1_3genE3ELNS1_11target_archE908ELNS1_3gpuE7ELNS1_3repE0EEENS1_48merge_mergepath_partition_config_static_selectorELNS0_4arch9wavefront6targetE1EEEvSL_, .Lfunc_end793-_ZN7rocprim17ROCPRIM_400000_NS6detail17trampoline_kernelINS0_14default_configENS1_38merge_sort_block_merge_config_selectorIyNS0_10empty_typeEEEZZNS1_27merge_sort_block_merge_implIS3_N6thrust23THRUST_200600_302600_NS6detail15normal_iteratorINS9_10device_ptrIyEEEEPS5_jNS1_19radix_merge_compareILb0ELb1EyNS0_19identity_decomposerEEEEE10hipError_tT0_T1_T2_jT3_P12ihipStream_tbPNSt15iterator_traitsISK_E10value_typeEPNSQ_ISL_E10value_typeEPSM_NS1_7vsmem_tEENKUlT_SK_SL_SM_E_clIPySE_SF_SF_EESJ_SZ_SK_SL_SM_EUlSZ_E_NS1_11comp_targetILNS1_3genE3ELNS1_11target_archE908ELNS1_3gpuE7ELNS1_3repE0EEENS1_48merge_mergepath_partition_config_static_selectorELNS0_4arch9wavefront6targetE1EEEvSL_
                                        ; -- End function
	.section	.AMDGPU.csdata,"",@progbits
; Kernel info:
; codeLenInByte = 0
; NumSgprs: 4
; NumVgprs: 0
; NumAgprs: 0
; TotalNumVgprs: 0
; ScratchSize: 0
; MemoryBound: 0
; FloatMode: 240
; IeeeMode: 1
; LDSByteSize: 0 bytes/workgroup (compile time only)
; SGPRBlocks: 0
; VGPRBlocks: 0
; NumSGPRsForWavesPerEU: 4
; NumVGPRsForWavesPerEU: 1
; AccumOffset: 4
; Occupancy: 8
; WaveLimiterHint : 0
; COMPUTE_PGM_RSRC2:SCRATCH_EN: 0
; COMPUTE_PGM_RSRC2:USER_SGPR: 6
; COMPUTE_PGM_RSRC2:TRAP_HANDLER: 0
; COMPUTE_PGM_RSRC2:TGID_X_EN: 1
; COMPUTE_PGM_RSRC2:TGID_Y_EN: 0
; COMPUTE_PGM_RSRC2:TGID_Z_EN: 0
; COMPUTE_PGM_RSRC2:TIDIG_COMP_CNT: 0
; COMPUTE_PGM_RSRC3_GFX90A:ACCUM_OFFSET: 0
; COMPUTE_PGM_RSRC3_GFX90A:TG_SPLIT: 0
	.section	.text._ZN7rocprim17ROCPRIM_400000_NS6detail17trampoline_kernelINS0_14default_configENS1_38merge_sort_block_merge_config_selectorIyNS0_10empty_typeEEEZZNS1_27merge_sort_block_merge_implIS3_N6thrust23THRUST_200600_302600_NS6detail15normal_iteratorINS9_10device_ptrIyEEEEPS5_jNS1_19radix_merge_compareILb0ELb1EyNS0_19identity_decomposerEEEEE10hipError_tT0_T1_T2_jT3_P12ihipStream_tbPNSt15iterator_traitsISK_E10value_typeEPNSQ_ISL_E10value_typeEPSM_NS1_7vsmem_tEENKUlT_SK_SL_SM_E_clIPySE_SF_SF_EESJ_SZ_SK_SL_SM_EUlSZ_E_NS1_11comp_targetILNS1_3genE2ELNS1_11target_archE906ELNS1_3gpuE6ELNS1_3repE0EEENS1_48merge_mergepath_partition_config_static_selectorELNS0_4arch9wavefront6targetE1EEEvSL_,"axG",@progbits,_ZN7rocprim17ROCPRIM_400000_NS6detail17trampoline_kernelINS0_14default_configENS1_38merge_sort_block_merge_config_selectorIyNS0_10empty_typeEEEZZNS1_27merge_sort_block_merge_implIS3_N6thrust23THRUST_200600_302600_NS6detail15normal_iteratorINS9_10device_ptrIyEEEEPS5_jNS1_19radix_merge_compareILb0ELb1EyNS0_19identity_decomposerEEEEE10hipError_tT0_T1_T2_jT3_P12ihipStream_tbPNSt15iterator_traitsISK_E10value_typeEPNSQ_ISL_E10value_typeEPSM_NS1_7vsmem_tEENKUlT_SK_SL_SM_E_clIPySE_SF_SF_EESJ_SZ_SK_SL_SM_EUlSZ_E_NS1_11comp_targetILNS1_3genE2ELNS1_11target_archE906ELNS1_3gpuE6ELNS1_3repE0EEENS1_48merge_mergepath_partition_config_static_selectorELNS0_4arch9wavefront6targetE1EEEvSL_,comdat
	.protected	_ZN7rocprim17ROCPRIM_400000_NS6detail17trampoline_kernelINS0_14default_configENS1_38merge_sort_block_merge_config_selectorIyNS0_10empty_typeEEEZZNS1_27merge_sort_block_merge_implIS3_N6thrust23THRUST_200600_302600_NS6detail15normal_iteratorINS9_10device_ptrIyEEEEPS5_jNS1_19radix_merge_compareILb0ELb1EyNS0_19identity_decomposerEEEEE10hipError_tT0_T1_T2_jT3_P12ihipStream_tbPNSt15iterator_traitsISK_E10value_typeEPNSQ_ISL_E10value_typeEPSM_NS1_7vsmem_tEENKUlT_SK_SL_SM_E_clIPySE_SF_SF_EESJ_SZ_SK_SL_SM_EUlSZ_E_NS1_11comp_targetILNS1_3genE2ELNS1_11target_archE906ELNS1_3gpuE6ELNS1_3repE0EEENS1_48merge_mergepath_partition_config_static_selectorELNS0_4arch9wavefront6targetE1EEEvSL_ ; -- Begin function _ZN7rocprim17ROCPRIM_400000_NS6detail17trampoline_kernelINS0_14default_configENS1_38merge_sort_block_merge_config_selectorIyNS0_10empty_typeEEEZZNS1_27merge_sort_block_merge_implIS3_N6thrust23THRUST_200600_302600_NS6detail15normal_iteratorINS9_10device_ptrIyEEEEPS5_jNS1_19radix_merge_compareILb0ELb1EyNS0_19identity_decomposerEEEEE10hipError_tT0_T1_T2_jT3_P12ihipStream_tbPNSt15iterator_traitsISK_E10value_typeEPNSQ_ISL_E10value_typeEPSM_NS1_7vsmem_tEENKUlT_SK_SL_SM_E_clIPySE_SF_SF_EESJ_SZ_SK_SL_SM_EUlSZ_E_NS1_11comp_targetILNS1_3genE2ELNS1_11target_archE906ELNS1_3gpuE6ELNS1_3repE0EEENS1_48merge_mergepath_partition_config_static_selectorELNS0_4arch9wavefront6targetE1EEEvSL_
	.globl	_ZN7rocprim17ROCPRIM_400000_NS6detail17trampoline_kernelINS0_14default_configENS1_38merge_sort_block_merge_config_selectorIyNS0_10empty_typeEEEZZNS1_27merge_sort_block_merge_implIS3_N6thrust23THRUST_200600_302600_NS6detail15normal_iteratorINS9_10device_ptrIyEEEEPS5_jNS1_19radix_merge_compareILb0ELb1EyNS0_19identity_decomposerEEEEE10hipError_tT0_T1_T2_jT3_P12ihipStream_tbPNSt15iterator_traitsISK_E10value_typeEPNSQ_ISL_E10value_typeEPSM_NS1_7vsmem_tEENKUlT_SK_SL_SM_E_clIPySE_SF_SF_EESJ_SZ_SK_SL_SM_EUlSZ_E_NS1_11comp_targetILNS1_3genE2ELNS1_11target_archE906ELNS1_3gpuE6ELNS1_3repE0EEENS1_48merge_mergepath_partition_config_static_selectorELNS0_4arch9wavefront6targetE1EEEvSL_
	.p2align	8
	.type	_ZN7rocprim17ROCPRIM_400000_NS6detail17trampoline_kernelINS0_14default_configENS1_38merge_sort_block_merge_config_selectorIyNS0_10empty_typeEEEZZNS1_27merge_sort_block_merge_implIS3_N6thrust23THRUST_200600_302600_NS6detail15normal_iteratorINS9_10device_ptrIyEEEEPS5_jNS1_19radix_merge_compareILb0ELb1EyNS0_19identity_decomposerEEEEE10hipError_tT0_T1_T2_jT3_P12ihipStream_tbPNSt15iterator_traitsISK_E10value_typeEPNSQ_ISL_E10value_typeEPSM_NS1_7vsmem_tEENKUlT_SK_SL_SM_E_clIPySE_SF_SF_EESJ_SZ_SK_SL_SM_EUlSZ_E_NS1_11comp_targetILNS1_3genE2ELNS1_11target_archE906ELNS1_3gpuE6ELNS1_3repE0EEENS1_48merge_mergepath_partition_config_static_selectorELNS0_4arch9wavefront6targetE1EEEvSL_,@function
_ZN7rocprim17ROCPRIM_400000_NS6detail17trampoline_kernelINS0_14default_configENS1_38merge_sort_block_merge_config_selectorIyNS0_10empty_typeEEEZZNS1_27merge_sort_block_merge_implIS3_N6thrust23THRUST_200600_302600_NS6detail15normal_iteratorINS9_10device_ptrIyEEEEPS5_jNS1_19radix_merge_compareILb0ELb1EyNS0_19identity_decomposerEEEEE10hipError_tT0_T1_T2_jT3_P12ihipStream_tbPNSt15iterator_traitsISK_E10value_typeEPNSQ_ISL_E10value_typeEPSM_NS1_7vsmem_tEENKUlT_SK_SL_SM_E_clIPySE_SF_SF_EESJ_SZ_SK_SL_SM_EUlSZ_E_NS1_11comp_targetILNS1_3genE2ELNS1_11target_archE906ELNS1_3gpuE6ELNS1_3repE0EEENS1_48merge_mergepath_partition_config_static_selectorELNS0_4arch9wavefront6targetE1EEEvSL_: ; @_ZN7rocprim17ROCPRIM_400000_NS6detail17trampoline_kernelINS0_14default_configENS1_38merge_sort_block_merge_config_selectorIyNS0_10empty_typeEEEZZNS1_27merge_sort_block_merge_implIS3_N6thrust23THRUST_200600_302600_NS6detail15normal_iteratorINS9_10device_ptrIyEEEEPS5_jNS1_19radix_merge_compareILb0ELb1EyNS0_19identity_decomposerEEEEE10hipError_tT0_T1_T2_jT3_P12ihipStream_tbPNSt15iterator_traitsISK_E10value_typeEPNSQ_ISL_E10value_typeEPSM_NS1_7vsmem_tEENKUlT_SK_SL_SM_E_clIPySE_SF_SF_EESJ_SZ_SK_SL_SM_EUlSZ_E_NS1_11comp_targetILNS1_3genE2ELNS1_11target_archE906ELNS1_3gpuE6ELNS1_3repE0EEENS1_48merge_mergepath_partition_config_static_selectorELNS0_4arch9wavefront6targetE1EEEvSL_
; %bb.0:
	.section	.rodata,"a",@progbits
	.p2align	6, 0x0
	.amdhsa_kernel _ZN7rocprim17ROCPRIM_400000_NS6detail17trampoline_kernelINS0_14default_configENS1_38merge_sort_block_merge_config_selectorIyNS0_10empty_typeEEEZZNS1_27merge_sort_block_merge_implIS3_N6thrust23THRUST_200600_302600_NS6detail15normal_iteratorINS9_10device_ptrIyEEEEPS5_jNS1_19radix_merge_compareILb0ELb1EyNS0_19identity_decomposerEEEEE10hipError_tT0_T1_T2_jT3_P12ihipStream_tbPNSt15iterator_traitsISK_E10value_typeEPNSQ_ISL_E10value_typeEPSM_NS1_7vsmem_tEENKUlT_SK_SL_SM_E_clIPySE_SF_SF_EESJ_SZ_SK_SL_SM_EUlSZ_E_NS1_11comp_targetILNS1_3genE2ELNS1_11target_archE906ELNS1_3gpuE6ELNS1_3repE0EEENS1_48merge_mergepath_partition_config_static_selectorELNS0_4arch9wavefront6targetE1EEEvSL_
		.amdhsa_group_segment_fixed_size 0
		.amdhsa_private_segment_fixed_size 0
		.amdhsa_kernarg_size 40
		.amdhsa_user_sgpr_count 6
		.amdhsa_user_sgpr_private_segment_buffer 1
		.amdhsa_user_sgpr_dispatch_ptr 0
		.amdhsa_user_sgpr_queue_ptr 0
		.amdhsa_user_sgpr_kernarg_segment_ptr 1
		.amdhsa_user_sgpr_dispatch_id 0
		.amdhsa_user_sgpr_flat_scratch_init 0
		.amdhsa_user_sgpr_kernarg_preload_length 0
		.amdhsa_user_sgpr_kernarg_preload_offset 0
		.amdhsa_user_sgpr_private_segment_size 0
		.amdhsa_uses_dynamic_stack 0
		.amdhsa_system_sgpr_private_segment_wavefront_offset 0
		.amdhsa_system_sgpr_workgroup_id_x 1
		.amdhsa_system_sgpr_workgroup_id_y 0
		.amdhsa_system_sgpr_workgroup_id_z 0
		.amdhsa_system_sgpr_workgroup_info 0
		.amdhsa_system_vgpr_workitem_id 0
		.amdhsa_next_free_vgpr 1
		.amdhsa_next_free_sgpr 0
		.amdhsa_accum_offset 4
		.amdhsa_reserve_vcc 0
		.amdhsa_reserve_flat_scratch 0
		.amdhsa_float_round_mode_32 0
		.amdhsa_float_round_mode_16_64 0
		.amdhsa_float_denorm_mode_32 3
		.amdhsa_float_denorm_mode_16_64 3
		.amdhsa_dx10_clamp 1
		.amdhsa_ieee_mode 1
		.amdhsa_fp16_overflow 0
		.amdhsa_tg_split 0
		.amdhsa_exception_fp_ieee_invalid_op 0
		.amdhsa_exception_fp_denorm_src 0
		.amdhsa_exception_fp_ieee_div_zero 0
		.amdhsa_exception_fp_ieee_overflow 0
		.amdhsa_exception_fp_ieee_underflow 0
		.amdhsa_exception_fp_ieee_inexact 0
		.amdhsa_exception_int_div_zero 0
	.end_amdhsa_kernel
	.section	.text._ZN7rocprim17ROCPRIM_400000_NS6detail17trampoline_kernelINS0_14default_configENS1_38merge_sort_block_merge_config_selectorIyNS0_10empty_typeEEEZZNS1_27merge_sort_block_merge_implIS3_N6thrust23THRUST_200600_302600_NS6detail15normal_iteratorINS9_10device_ptrIyEEEEPS5_jNS1_19radix_merge_compareILb0ELb1EyNS0_19identity_decomposerEEEEE10hipError_tT0_T1_T2_jT3_P12ihipStream_tbPNSt15iterator_traitsISK_E10value_typeEPNSQ_ISL_E10value_typeEPSM_NS1_7vsmem_tEENKUlT_SK_SL_SM_E_clIPySE_SF_SF_EESJ_SZ_SK_SL_SM_EUlSZ_E_NS1_11comp_targetILNS1_3genE2ELNS1_11target_archE906ELNS1_3gpuE6ELNS1_3repE0EEENS1_48merge_mergepath_partition_config_static_selectorELNS0_4arch9wavefront6targetE1EEEvSL_,"axG",@progbits,_ZN7rocprim17ROCPRIM_400000_NS6detail17trampoline_kernelINS0_14default_configENS1_38merge_sort_block_merge_config_selectorIyNS0_10empty_typeEEEZZNS1_27merge_sort_block_merge_implIS3_N6thrust23THRUST_200600_302600_NS6detail15normal_iteratorINS9_10device_ptrIyEEEEPS5_jNS1_19radix_merge_compareILb0ELb1EyNS0_19identity_decomposerEEEEE10hipError_tT0_T1_T2_jT3_P12ihipStream_tbPNSt15iterator_traitsISK_E10value_typeEPNSQ_ISL_E10value_typeEPSM_NS1_7vsmem_tEENKUlT_SK_SL_SM_E_clIPySE_SF_SF_EESJ_SZ_SK_SL_SM_EUlSZ_E_NS1_11comp_targetILNS1_3genE2ELNS1_11target_archE906ELNS1_3gpuE6ELNS1_3repE0EEENS1_48merge_mergepath_partition_config_static_selectorELNS0_4arch9wavefront6targetE1EEEvSL_,comdat
.Lfunc_end794:
	.size	_ZN7rocprim17ROCPRIM_400000_NS6detail17trampoline_kernelINS0_14default_configENS1_38merge_sort_block_merge_config_selectorIyNS0_10empty_typeEEEZZNS1_27merge_sort_block_merge_implIS3_N6thrust23THRUST_200600_302600_NS6detail15normal_iteratorINS9_10device_ptrIyEEEEPS5_jNS1_19radix_merge_compareILb0ELb1EyNS0_19identity_decomposerEEEEE10hipError_tT0_T1_T2_jT3_P12ihipStream_tbPNSt15iterator_traitsISK_E10value_typeEPNSQ_ISL_E10value_typeEPSM_NS1_7vsmem_tEENKUlT_SK_SL_SM_E_clIPySE_SF_SF_EESJ_SZ_SK_SL_SM_EUlSZ_E_NS1_11comp_targetILNS1_3genE2ELNS1_11target_archE906ELNS1_3gpuE6ELNS1_3repE0EEENS1_48merge_mergepath_partition_config_static_selectorELNS0_4arch9wavefront6targetE1EEEvSL_, .Lfunc_end794-_ZN7rocprim17ROCPRIM_400000_NS6detail17trampoline_kernelINS0_14default_configENS1_38merge_sort_block_merge_config_selectorIyNS0_10empty_typeEEEZZNS1_27merge_sort_block_merge_implIS3_N6thrust23THRUST_200600_302600_NS6detail15normal_iteratorINS9_10device_ptrIyEEEEPS5_jNS1_19radix_merge_compareILb0ELb1EyNS0_19identity_decomposerEEEEE10hipError_tT0_T1_T2_jT3_P12ihipStream_tbPNSt15iterator_traitsISK_E10value_typeEPNSQ_ISL_E10value_typeEPSM_NS1_7vsmem_tEENKUlT_SK_SL_SM_E_clIPySE_SF_SF_EESJ_SZ_SK_SL_SM_EUlSZ_E_NS1_11comp_targetILNS1_3genE2ELNS1_11target_archE906ELNS1_3gpuE6ELNS1_3repE0EEENS1_48merge_mergepath_partition_config_static_selectorELNS0_4arch9wavefront6targetE1EEEvSL_
                                        ; -- End function
	.section	.AMDGPU.csdata,"",@progbits
; Kernel info:
; codeLenInByte = 0
; NumSgprs: 4
; NumVgprs: 0
; NumAgprs: 0
; TotalNumVgprs: 0
; ScratchSize: 0
; MemoryBound: 0
; FloatMode: 240
; IeeeMode: 1
; LDSByteSize: 0 bytes/workgroup (compile time only)
; SGPRBlocks: 0
; VGPRBlocks: 0
; NumSGPRsForWavesPerEU: 4
; NumVGPRsForWavesPerEU: 1
; AccumOffset: 4
; Occupancy: 8
; WaveLimiterHint : 0
; COMPUTE_PGM_RSRC2:SCRATCH_EN: 0
; COMPUTE_PGM_RSRC2:USER_SGPR: 6
; COMPUTE_PGM_RSRC2:TRAP_HANDLER: 0
; COMPUTE_PGM_RSRC2:TGID_X_EN: 1
; COMPUTE_PGM_RSRC2:TGID_Y_EN: 0
; COMPUTE_PGM_RSRC2:TGID_Z_EN: 0
; COMPUTE_PGM_RSRC2:TIDIG_COMP_CNT: 0
; COMPUTE_PGM_RSRC3_GFX90A:ACCUM_OFFSET: 0
; COMPUTE_PGM_RSRC3_GFX90A:TG_SPLIT: 0
	.section	.text._ZN7rocprim17ROCPRIM_400000_NS6detail17trampoline_kernelINS0_14default_configENS1_38merge_sort_block_merge_config_selectorIyNS0_10empty_typeEEEZZNS1_27merge_sort_block_merge_implIS3_N6thrust23THRUST_200600_302600_NS6detail15normal_iteratorINS9_10device_ptrIyEEEEPS5_jNS1_19radix_merge_compareILb0ELb1EyNS0_19identity_decomposerEEEEE10hipError_tT0_T1_T2_jT3_P12ihipStream_tbPNSt15iterator_traitsISK_E10value_typeEPNSQ_ISL_E10value_typeEPSM_NS1_7vsmem_tEENKUlT_SK_SL_SM_E_clIPySE_SF_SF_EESJ_SZ_SK_SL_SM_EUlSZ_E_NS1_11comp_targetILNS1_3genE9ELNS1_11target_archE1100ELNS1_3gpuE3ELNS1_3repE0EEENS1_48merge_mergepath_partition_config_static_selectorELNS0_4arch9wavefront6targetE1EEEvSL_,"axG",@progbits,_ZN7rocprim17ROCPRIM_400000_NS6detail17trampoline_kernelINS0_14default_configENS1_38merge_sort_block_merge_config_selectorIyNS0_10empty_typeEEEZZNS1_27merge_sort_block_merge_implIS3_N6thrust23THRUST_200600_302600_NS6detail15normal_iteratorINS9_10device_ptrIyEEEEPS5_jNS1_19radix_merge_compareILb0ELb1EyNS0_19identity_decomposerEEEEE10hipError_tT0_T1_T2_jT3_P12ihipStream_tbPNSt15iterator_traitsISK_E10value_typeEPNSQ_ISL_E10value_typeEPSM_NS1_7vsmem_tEENKUlT_SK_SL_SM_E_clIPySE_SF_SF_EESJ_SZ_SK_SL_SM_EUlSZ_E_NS1_11comp_targetILNS1_3genE9ELNS1_11target_archE1100ELNS1_3gpuE3ELNS1_3repE0EEENS1_48merge_mergepath_partition_config_static_selectorELNS0_4arch9wavefront6targetE1EEEvSL_,comdat
	.protected	_ZN7rocprim17ROCPRIM_400000_NS6detail17trampoline_kernelINS0_14default_configENS1_38merge_sort_block_merge_config_selectorIyNS0_10empty_typeEEEZZNS1_27merge_sort_block_merge_implIS3_N6thrust23THRUST_200600_302600_NS6detail15normal_iteratorINS9_10device_ptrIyEEEEPS5_jNS1_19radix_merge_compareILb0ELb1EyNS0_19identity_decomposerEEEEE10hipError_tT0_T1_T2_jT3_P12ihipStream_tbPNSt15iterator_traitsISK_E10value_typeEPNSQ_ISL_E10value_typeEPSM_NS1_7vsmem_tEENKUlT_SK_SL_SM_E_clIPySE_SF_SF_EESJ_SZ_SK_SL_SM_EUlSZ_E_NS1_11comp_targetILNS1_3genE9ELNS1_11target_archE1100ELNS1_3gpuE3ELNS1_3repE0EEENS1_48merge_mergepath_partition_config_static_selectorELNS0_4arch9wavefront6targetE1EEEvSL_ ; -- Begin function _ZN7rocprim17ROCPRIM_400000_NS6detail17trampoline_kernelINS0_14default_configENS1_38merge_sort_block_merge_config_selectorIyNS0_10empty_typeEEEZZNS1_27merge_sort_block_merge_implIS3_N6thrust23THRUST_200600_302600_NS6detail15normal_iteratorINS9_10device_ptrIyEEEEPS5_jNS1_19radix_merge_compareILb0ELb1EyNS0_19identity_decomposerEEEEE10hipError_tT0_T1_T2_jT3_P12ihipStream_tbPNSt15iterator_traitsISK_E10value_typeEPNSQ_ISL_E10value_typeEPSM_NS1_7vsmem_tEENKUlT_SK_SL_SM_E_clIPySE_SF_SF_EESJ_SZ_SK_SL_SM_EUlSZ_E_NS1_11comp_targetILNS1_3genE9ELNS1_11target_archE1100ELNS1_3gpuE3ELNS1_3repE0EEENS1_48merge_mergepath_partition_config_static_selectorELNS0_4arch9wavefront6targetE1EEEvSL_
	.globl	_ZN7rocprim17ROCPRIM_400000_NS6detail17trampoline_kernelINS0_14default_configENS1_38merge_sort_block_merge_config_selectorIyNS0_10empty_typeEEEZZNS1_27merge_sort_block_merge_implIS3_N6thrust23THRUST_200600_302600_NS6detail15normal_iteratorINS9_10device_ptrIyEEEEPS5_jNS1_19radix_merge_compareILb0ELb1EyNS0_19identity_decomposerEEEEE10hipError_tT0_T1_T2_jT3_P12ihipStream_tbPNSt15iterator_traitsISK_E10value_typeEPNSQ_ISL_E10value_typeEPSM_NS1_7vsmem_tEENKUlT_SK_SL_SM_E_clIPySE_SF_SF_EESJ_SZ_SK_SL_SM_EUlSZ_E_NS1_11comp_targetILNS1_3genE9ELNS1_11target_archE1100ELNS1_3gpuE3ELNS1_3repE0EEENS1_48merge_mergepath_partition_config_static_selectorELNS0_4arch9wavefront6targetE1EEEvSL_
	.p2align	8
	.type	_ZN7rocprim17ROCPRIM_400000_NS6detail17trampoline_kernelINS0_14default_configENS1_38merge_sort_block_merge_config_selectorIyNS0_10empty_typeEEEZZNS1_27merge_sort_block_merge_implIS3_N6thrust23THRUST_200600_302600_NS6detail15normal_iteratorINS9_10device_ptrIyEEEEPS5_jNS1_19radix_merge_compareILb0ELb1EyNS0_19identity_decomposerEEEEE10hipError_tT0_T1_T2_jT3_P12ihipStream_tbPNSt15iterator_traitsISK_E10value_typeEPNSQ_ISL_E10value_typeEPSM_NS1_7vsmem_tEENKUlT_SK_SL_SM_E_clIPySE_SF_SF_EESJ_SZ_SK_SL_SM_EUlSZ_E_NS1_11comp_targetILNS1_3genE9ELNS1_11target_archE1100ELNS1_3gpuE3ELNS1_3repE0EEENS1_48merge_mergepath_partition_config_static_selectorELNS0_4arch9wavefront6targetE1EEEvSL_,@function
_ZN7rocprim17ROCPRIM_400000_NS6detail17trampoline_kernelINS0_14default_configENS1_38merge_sort_block_merge_config_selectorIyNS0_10empty_typeEEEZZNS1_27merge_sort_block_merge_implIS3_N6thrust23THRUST_200600_302600_NS6detail15normal_iteratorINS9_10device_ptrIyEEEEPS5_jNS1_19radix_merge_compareILb0ELb1EyNS0_19identity_decomposerEEEEE10hipError_tT0_T1_T2_jT3_P12ihipStream_tbPNSt15iterator_traitsISK_E10value_typeEPNSQ_ISL_E10value_typeEPSM_NS1_7vsmem_tEENKUlT_SK_SL_SM_E_clIPySE_SF_SF_EESJ_SZ_SK_SL_SM_EUlSZ_E_NS1_11comp_targetILNS1_3genE9ELNS1_11target_archE1100ELNS1_3gpuE3ELNS1_3repE0EEENS1_48merge_mergepath_partition_config_static_selectorELNS0_4arch9wavefront6targetE1EEEvSL_: ; @_ZN7rocprim17ROCPRIM_400000_NS6detail17trampoline_kernelINS0_14default_configENS1_38merge_sort_block_merge_config_selectorIyNS0_10empty_typeEEEZZNS1_27merge_sort_block_merge_implIS3_N6thrust23THRUST_200600_302600_NS6detail15normal_iteratorINS9_10device_ptrIyEEEEPS5_jNS1_19radix_merge_compareILb0ELb1EyNS0_19identity_decomposerEEEEE10hipError_tT0_T1_T2_jT3_P12ihipStream_tbPNSt15iterator_traitsISK_E10value_typeEPNSQ_ISL_E10value_typeEPSM_NS1_7vsmem_tEENKUlT_SK_SL_SM_E_clIPySE_SF_SF_EESJ_SZ_SK_SL_SM_EUlSZ_E_NS1_11comp_targetILNS1_3genE9ELNS1_11target_archE1100ELNS1_3gpuE3ELNS1_3repE0EEENS1_48merge_mergepath_partition_config_static_selectorELNS0_4arch9wavefront6targetE1EEEvSL_
; %bb.0:
	.section	.rodata,"a",@progbits
	.p2align	6, 0x0
	.amdhsa_kernel _ZN7rocprim17ROCPRIM_400000_NS6detail17trampoline_kernelINS0_14default_configENS1_38merge_sort_block_merge_config_selectorIyNS0_10empty_typeEEEZZNS1_27merge_sort_block_merge_implIS3_N6thrust23THRUST_200600_302600_NS6detail15normal_iteratorINS9_10device_ptrIyEEEEPS5_jNS1_19radix_merge_compareILb0ELb1EyNS0_19identity_decomposerEEEEE10hipError_tT0_T1_T2_jT3_P12ihipStream_tbPNSt15iterator_traitsISK_E10value_typeEPNSQ_ISL_E10value_typeEPSM_NS1_7vsmem_tEENKUlT_SK_SL_SM_E_clIPySE_SF_SF_EESJ_SZ_SK_SL_SM_EUlSZ_E_NS1_11comp_targetILNS1_3genE9ELNS1_11target_archE1100ELNS1_3gpuE3ELNS1_3repE0EEENS1_48merge_mergepath_partition_config_static_selectorELNS0_4arch9wavefront6targetE1EEEvSL_
		.amdhsa_group_segment_fixed_size 0
		.amdhsa_private_segment_fixed_size 0
		.amdhsa_kernarg_size 40
		.amdhsa_user_sgpr_count 6
		.amdhsa_user_sgpr_private_segment_buffer 1
		.amdhsa_user_sgpr_dispatch_ptr 0
		.amdhsa_user_sgpr_queue_ptr 0
		.amdhsa_user_sgpr_kernarg_segment_ptr 1
		.amdhsa_user_sgpr_dispatch_id 0
		.amdhsa_user_sgpr_flat_scratch_init 0
		.amdhsa_user_sgpr_kernarg_preload_length 0
		.amdhsa_user_sgpr_kernarg_preload_offset 0
		.amdhsa_user_sgpr_private_segment_size 0
		.amdhsa_uses_dynamic_stack 0
		.amdhsa_system_sgpr_private_segment_wavefront_offset 0
		.amdhsa_system_sgpr_workgroup_id_x 1
		.amdhsa_system_sgpr_workgroup_id_y 0
		.amdhsa_system_sgpr_workgroup_id_z 0
		.amdhsa_system_sgpr_workgroup_info 0
		.amdhsa_system_vgpr_workitem_id 0
		.amdhsa_next_free_vgpr 1
		.amdhsa_next_free_sgpr 0
		.amdhsa_accum_offset 4
		.amdhsa_reserve_vcc 0
		.amdhsa_reserve_flat_scratch 0
		.amdhsa_float_round_mode_32 0
		.amdhsa_float_round_mode_16_64 0
		.amdhsa_float_denorm_mode_32 3
		.amdhsa_float_denorm_mode_16_64 3
		.amdhsa_dx10_clamp 1
		.amdhsa_ieee_mode 1
		.amdhsa_fp16_overflow 0
		.amdhsa_tg_split 0
		.amdhsa_exception_fp_ieee_invalid_op 0
		.amdhsa_exception_fp_denorm_src 0
		.amdhsa_exception_fp_ieee_div_zero 0
		.amdhsa_exception_fp_ieee_overflow 0
		.amdhsa_exception_fp_ieee_underflow 0
		.amdhsa_exception_fp_ieee_inexact 0
		.amdhsa_exception_int_div_zero 0
	.end_amdhsa_kernel
	.section	.text._ZN7rocprim17ROCPRIM_400000_NS6detail17trampoline_kernelINS0_14default_configENS1_38merge_sort_block_merge_config_selectorIyNS0_10empty_typeEEEZZNS1_27merge_sort_block_merge_implIS3_N6thrust23THRUST_200600_302600_NS6detail15normal_iteratorINS9_10device_ptrIyEEEEPS5_jNS1_19radix_merge_compareILb0ELb1EyNS0_19identity_decomposerEEEEE10hipError_tT0_T1_T2_jT3_P12ihipStream_tbPNSt15iterator_traitsISK_E10value_typeEPNSQ_ISL_E10value_typeEPSM_NS1_7vsmem_tEENKUlT_SK_SL_SM_E_clIPySE_SF_SF_EESJ_SZ_SK_SL_SM_EUlSZ_E_NS1_11comp_targetILNS1_3genE9ELNS1_11target_archE1100ELNS1_3gpuE3ELNS1_3repE0EEENS1_48merge_mergepath_partition_config_static_selectorELNS0_4arch9wavefront6targetE1EEEvSL_,"axG",@progbits,_ZN7rocprim17ROCPRIM_400000_NS6detail17trampoline_kernelINS0_14default_configENS1_38merge_sort_block_merge_config_selectorIyNS0_10empty_typeEEEZZNS1_27merge_sort_block_merge_implIS3_N6thrust23THRUST_200600_302600_NS6detail15normal_iteratorINS9_10device_ptrIyEEEEPS5_jNS1_19radix_merge_compareILb0ELb1EyNS0_19identity_decomposerEEEEE10hipError_tT0_T1_T2_jT3_P12ihipStream_tbPNSt15iterator_traitsISK_E10value_typeEPNSQ_ISL_E10value_typeEPSM_NS1_7vsmem_tEENKUlT_SK_SL_SM_E_clIPySE_SF_SF_EESJ_SZ_SK_SL_SM_EUlSZ_E_NS1_11comp_targetILNS1_3genE9ELNS1_11target_archE1100ELNS1_3gpuE3ELNS1_3repE0EEENS1_48merge_mergepath_partition_config_static_selectorELNS0_4arch9wavefront6targetE1EEEvSL_,comdat
.Lfunc_end795:
	.size	_ZN7rocprim17ROCPRIM_400000_NS6detail17trampoline_kernelINS0_14default_configENS1_38merge_sort_block_merge_config_selectorIyNS0_10empty_typeEEEZZNS1_27merge_sort_block_merge_implIS3_N6thrust23THRUST_200600_302600_NS6detail15normal_iteratorINS9_10device_ptrIyEEEEPS5_jNS1_19radix_merge_compareILb0ELb1EyNS0_19identity_decomposerEEEEE10hipError_tT0_T1_T2_jT3_P12ihipStream_tbPNSt15iterator_traitsISK_E10value_typeEPNSQ_ISL_E10value_typeEPSM_NS1_7vsmem_tEENKUlT_SK_SL_SM_E_clIPySE_SF_SF_EESJ_SZ_SK_SL_SM_EUlSZ_E_NS1_11comp_targetILNS1_3genE9ELNS1_11target_archE1100ELNS1_3gpuE3ELNS1_3repE0EEENS1_48merge_mergepath_partition_config_static_selectorELNS0_4arch9wavefront6targetE1EEEvSL_, .Lfunc_end795-_ZN7rocprim17ROCPRIM_400000_NS6detail17trampoline_kernelINS0_14default_configENS1_38merge_sort_block_merge_config_selectorIyNS0_10empty_typeEEEZZNS1_27merge_sort_block_merge_implIS3_N6thrust23THRUST_200600_302600_NS6detail15normal_iteratorINS9_10device_ptrIyEEEEPS5_jNS1_19radix_merge_compareILb0ELb1EyNS0_19identity_decomposerEEEEE10hipError_tT0_T1_T2_jT3_P12ihipStream_tbPNSt15iterator_traitsISK_E10value_typeEPNSQ_ISL_E10value_typeEPSM_NS1_7vsmem_tEENKUlT_SK_SL_SM_E_clIPySE_SF_SF_EESJ_SZ_SK_SL_SM_EUlSZ_E_NS1_11comp_targetILNS1_3genE9ELNS1_11target_archE1100ELNS1_3gpuE3ELNS1_3repE0EEENS1_48merge_mergepath_partition_config_static_selectorELNS0_4arch9wavefront6targetE1EEEvSL_
                                        ; -- End function
	.section	.AMDGPU.csdata,"",@progbits
; Kernel info:
; codeLenInByte = 0
; NumSgprs: 4
; NumVgprs: 0
; NumAgprs: 0
; TotalNumVgprs: 0
; ScratchSize: 0
; MemoryBound: 0
; FloatMode: 240
; IeeeMode: 1
; LDSByteSize: 0 bytes/workgroup (compile time only)
; SGPRBlocks: 0
; VGPRBlocks: 0
; NumSGPRsForWavesPerEU: 4
; NumVGPRsForWavesPerEU: 1
; AccumOffset: 4
; Occupancy: 8
; WaveLimiterHint : 0
; COMPUTE_PGM_RSRC2:SCRATCH_EN: 0
; COMPUTE_PGM_RSRC2:USER_SGPR: 6
; COMPUTE_PGM_RSRC2:TRAP_HANDLER: 0
; COMPUTE_PGM_RSRC2:TGID_X_EN: 1
; COMPUTE_PGM_RSRC2:TGID_Y_EN: 0
; COMPUTE_PGM_RSRC2:TGID_Z_EN: 0
; COMPUTE_PGM_RSRC2:TIDIG_COMP_CNT: 0
; COMPUTE_PGM_RSRC3_GFX90A:ACCUM_OFFSET: 0
; COMPUTE_PGM_RSRC3_GFX90A:TG_SPLIT: 0
	.section	.text._ZN7rocprim17ROCPRIM_400000_NS6detail17trampoline_kernelINS0_14default_configENS1_38merge_sort_block_merge_config_selectorIyNS0_10empty_typeEEEZZNS1_27merge_sort_block_merge_implIS3_N6thrust23THRUST_200600_302600_NS6detail15normal_iteratorINS9_10device_ptrIyEEEEPS5_jNS1_19radix_merge_compareILb0ELb1EyNS0_19identity_decomposerEEEEE10hipError_tT0_T1_T2_jT3_P12ihipStream_tbPNSt15iterator_traitsISK_E10value_typeEPNSQ_ISL_E10value_typeEPSM_NS1_7vsmem_tEENKUlT_SK_SL_SM_E_clIPySE_SF_SF_EESJ_SZ_SK_SL_SM_EUlSZ_E_NS1_11comp_targetILNS1_3genE8ELNS1_11target_archE1030ELNS1_3gpuE2ELNS1_3repE0EEENS1_48merge_mergepath_partition_config_static_selectorELNS0_4arch9wavefront6targetE1EEEvSL_,"axG",@progbits,_ZN7rocprim17ROCPRIM_400000_NS6detail17trampoline_kernelINS0_14default_configENS1_38merge_sort_block_merge_config_selectorIyNS0_10empty_typeEEEZZNS1_27merge_sort_block_merge_implIS3_N6thrust23THRUST_200600_302600_NS6detail15normal_iteratorINS9_10device_ptrIyEEEEPS5_jNS1_19radix_merge_compareILb0ELb1EyNS0_19identity_decomposerEEEEE10hipError_tT0_T1_T2_jT3_P12ihipStream_tbPNSt15iterator_traitsISK_E10value_typeEPNSQ_ISL_E10value_typeEPSM_NS1_7vsmem_tEENKUlT_SK_SL_SM_E_clIPySE_SF_SF_EESJ_SZ_SK_SL_SM_EUlSZ_E_NS1_11comp_targetILNS1_3genE8ELNS1_11target_archE1030ELNS1_3gpuE2ELNS1_3repE0EEENS1_48merge_mergepath_partition_config_static_selectorELNS0_4arch9wavefront6targetE1EEEvSL_,comdat
	.protected	_ZN7rocprim17ROCPRIM_400000_NS6detail17trampoline_kernelINS0_14default_configENS1_38merge_sort_block_merge_config_selectorIyNS0_10empty_typeEEEZZNS1_27merge_sort_block_merge_implIS3_N6thrust23THRUST_200600_302600_NS6detail15normal_iteratorINS9_10device_ptrIyEEEEPS5_jNS1_19radix_merge_compareILb0ELb1EyNS0_19identity_decomposerEEEEE10hipError_tT0_T1_T2_jT3_P12ihipStream_tbPNSt15iterator_traitsISK_E10value_typeEPNSQ_ISL_E10value_typeEPSM_NS1_7vsmem_tEENKUlT_SK_SL_SM_E_clIPySE_SF_SF_EESJ_SZ_SK_SL_SM_EUlSZ_E_NS1_11comp_targetILNS1_3genE8ELNS1_11target_archE1030ELNS1_3gpuE2ELNS1_3repE0EEENS1_48merge_mergepath_partition_config_static_selectorELNS0_4arch9wavefront6targetE1EEEvSL_ ; -- Begin function _ZN7rocprim17ROCPRIM_400000_NS6detail17trampoline_kernelINS0_14default_configENS1_38merge_sort_block_merge_config_selectorIyNS0_10empty_typeEEEZZNS1_27merge_sort_block_merge_implIS3_N6thrust23THRUST_200600_302600_NS6detail15normal_iteratorINS9_10device_ptrIyEEEEPS5_jNS1_19radix_merge_compareILb0ELb1EyNS0_19identity_decomposerEEEEE10hipError_tT0_T1_T2_jT3_P12ihipStream_tbPNSt15iterator_traitsISK_E10value_typeEPNSQ_ISL_E10value_typeEPSM_NS1_7vsmem_tEENKUlT_SK_SL_SM_E_clIPySE_SF_SF_EESJ_SZ_SK_SL_SM_EUlSZ_E_NS1_11comp_targetILNS1_3genE8ELNS1_11target_archE1030ELNS1_3gpuE2ELNS1_3repE0EEENS1_48merge_mergepath_partition_config_static_selectorELNS0_4arch9wavefront6targetE1EEEvSL_
	.globl	_ZN7rocprim17ROCPRIM_400000_NS6detail17trampoline_kernelINS0_14default_configENS1_38merge_sort_block_merge_config_selectorIyNS0_10empty_typeEEEZZNS1_27merge_sort_block_merge_implIS3_N6thrust23THRUST_200600_302600_NS6detail15normal_iteratorINS9_10device_ptrIyEEEEPS5_jNS1_19radix_merge_compareILb0ELb1EyNS0_19identity_decomposerEEEEE10hipError_tT0_T1_T2_jT3_P12ihipStream_tbPNSt15iterator_traitsISK_E10value_typeEPNSQ_ISL_E10value_typeEPSM_NS1_7vsmem_tEENKUlT_SK_SL_SM_E_clIPySE_SF_SF_EESJ_SZ_SK_SL_SM_EUlSZ_E_NS1_11comp_targetILNS1_3genE8ELNS1_11target_archE1030ELNS1_3gpuE2ELNS1_3repE0EEENS1_48merge_mergepath_partition_config_static_selectorELNS0_4arch9wavefront6targetE1EEEvSL_
	.p2align	8
	.type	_ZN7rocprim17ROCPRIM_400000_NS6detail17trampoline_kernelINS0_14default_configENS1_38merge_sort_block_merge_config_selectorIyNS0_10empty_typeEEEZZNS1_27merge_sort_block_merge_implIS3_N6thrust23THRUST_200600_302600_NS6detail15normal_iteratorINS9_10device_ptrIyEEEEPS5_jNS1_19radix_merge_compareILb0ELb1EyNS0_19identity_decomposerEEEEE10hipError_tT0_T1_T2_jT3_P12ihipStream_tbPNSt15iterator_traitsISK_E10value_typeEPNSQ_ISL_E10value_typeEPSM_NS1_7vsmem_tEENKUlT_SK_SL_SM_E_clIPySE_SF_SF_EESJ_SZ_SK_SL_SM_EUlSZ_E_NS1_11comp_targetILNS1_3genE8ELNS1_11target_archE1030ELNS1_3gpuE2ELNS1_3repE0EEENS1_48merge_mergepath_partition_config_static_selectorELNS0_4arch9wavefront6targetE1EEEvSL_,@function
_ZN7rocprim17ROCPRIM_400000_NS6detail17trampoline_kernelINS0_14default_configENS1_38merge_sort_block_merge_config_selectorIyNS0_10empty_typeEEEZZNS1_27merge_sort_block_merge_implIS3_N6thrust23THRUST_200600_302600_NS6detail15normal_iteratorINS9_10device_ptrIyEEEEPS5_jNS1_19radix_merge_compareILb0ELb1EyNS0_19identity_decomposerEEEEE10hipError_tT0_T1_T2_jT3_P12ihipStream_tbPNSt15iterator_traitsISK_E10value_typeEPNSQ_ISL_E10value_typeEPSM_NS1_7vsmem_tEENKUlT_SK_SL_SM_E_clIPySE_SF_SF_EESJ_SZ_SK_SL_SM_EUlSZ_E_NS1_11comp_targetILNS1_3genE8ELNS1_11target_archE1030ELNS1_3gpuE2ELNS1_3repE0EEENS1_48merge_mergepath_partition_config_static_selectorELNS0_4arch9wavefront6targetE1EEEvSL_: ; @_ZN7rocprim17ROCPRIM_400000_NS6detail17trampoline_kernelINS0_14default_configENS1_38merge_sort_block_merge_config_selectorIyNS0_10empty_typeEEEZZNS1_27merge_sort_block_merge_implIS3_N6thrust23THRUST_200600_302600_NS6detail15normal_iteratorINS9_10device_ptrIyEEEEPS5_jNS1_19radix_merge_compareILb0ELb1EyNS0_19identity_decomposerEEEEE10hipError_tT0_T1_T2_jT3_P12ihipStream_tbPNSt15iterator_traitsISK_E10value_typeEPNSQ_ISL_E10value_typeEPSM_NS1_7vsmem_tEENKUlT_SK_SL_SM_E_clIPySE_SF_SF_EESJ_SZ_SK_SL_SM_EUlSZ_E_NS1_11comp_targetILNS1_3genE8ELNS1_11target_archE1030ELNS1_3gpuE2ELNS1_3repE0EEENS1_48merge_mergepath_partition_config_static_selectorELNS0_4arch9wavefront6targetE1EEEvSL_
; %bb.0:
	.section	.rodata,"a",@progbits
	.p2align	6, 0x0
	.amdhsa_kernel _ZN7rocprim17ROCPRIM_400000_NS6detail17trampoline_kernelINS0_14default_configENS1_38merge_sort_block_merge_config_selectorIyNS0_10empty_typeEEEZZNS1_27merge_sort_block_merge_implIS3_N6thrust23THRUST_200600_302600_NS6detail15normal_iteratorINS9_10device_ptrIyEEEEPS5_jNS1_19radix_merge_compareILb0ELb1EyNS0_19identity_decomposerEEEEE10hipError_tT0_T1_T2_jT3_P12ihipStream_tbPNSt15iterator_traitsISK_E10value_typeEPNSQ_ISL_E10value_typeEPSM_NS1_7vsmem_tEENKUlT_SK_SL_SM_E_clIPySE_SF_SF_EESJ_SZ_SK_SL_SM_EUlSZ_E_NS1_11comp_targetILNS1_3genE8ELNS1_11target_archE1030ELNS1_3gpuE2ELNS1_3repE0EEENS1_48merge_mergepath_partition_config_static_selectorELNS0_4arch9wavefront6targetE1EEEvSL_
		.amdhsa_group_segment_fixed_size 0
		.amdhsa_private_segment_fixed_size 0
		.amdhsa_kernarg_size 40
		.amdhsa_user_sgpr_count 6
		.amdhsa_user_sgpr_private_segment_buffer 1
		.amdhsa_user_sgpr_dispatch_ptr 0
		.amdhsa_user_sgpr_queue_ptr 0
		.amdhsa_user_sgpr_kernarg_segment_ptr 1
		.amdhsa_user_sgpr_dispatch_id 0
		.amdhsa_user_sgpr_flat_scratch_init 0
		.amdhsa_user_sgpr_kernarg_preload_length 0
		.amdhsa_user_sgpr_kernarg_preload_offset 0
		.amdhsa_user_sgpr_private_segment_size 0
		.amdhsa_uses_dynamic_stack 0
		.amdhsa_system_sgpr_private_segment_wavefront_offset 0
		.amdhsa_system_sgpr_workgroup_id_x 1
		.amdhsa_system_sgpr_workgroup_id_y 0
		.amdhsa_system_sgpr_workgroup_id_z 0
		.amdhsa_system_sgpr_workgroup_info 0
		.amdhsa_system_vgpr_workitem_id 0
		.amdhsa_next_free_vgpr 1
		.amdhsa_next_free_sgpr 0
		.amdhsa_accum_offset 4
		.amdhsa_reserve_vcc 0
		.amdhsa_reserve_flat_scratch 0
		.amdhsa_float_round_mode_32 0
		.amdhsa_float_round_mode_16_64 0
		.amdhsa_float_denorm_mode_32 3
		.amdhsa_float_denorm_mode_16_64 3
		.amdhsa_dx10_clamp 1
		.amdhsa_ieee_mode 1
		.amdhsa_fp16_overflow 0
		.amdhsa_tg_split 0
		.amdhsa_exception_fp_ieee_invalid_op 0
		.amdhsa_exception_fp_denorm_src 0
		.amdhsa_exception_fp_ieee_div_zero 0
		.amdhsa_exception_fp_ieee_overflow 0
		.amdhsa_exception_fp_ieee_underflow 0
		.amdhsa_exception_fp_ieee_inexact 0
		.amdhsa_exception_int_div_zero 0
	.end_amdhsa_kernel
	.section	.text._ZN7rocprim17ROCPRIM_400000_NS6detail17trampoline_kernelINS0_14default_configENS1_38merge_sort_block_merge_config_selectorIyNS0_10empty_typeEEEZZNS1_27merge_sort_block_merge_implIS3_N6thrust23THRUST_200600_302600_NS6detail15normal_iteratorINS9_10device_ptrIyEEEEPS5_jNS1_19radix_merge_compareILb0ELb1EyNS0_19identity_decomposerEEEEE10hipError_tT0_T1_T2_jT3_P12ihipStream_tbPNSt15iterator_traitsISK_E10value_typeEPNSQ_ISL_E10value_typeEPSM_NS1_7vsmem_tEENKUlT_SK_SL_SM_E_clIPySE_SF_SF_EESJ_SZ_SK_SL_SM_EUlSZ_E_NS1_11comp_targetILNS1_3genE8ELNS1_11target_archE1030ELNS1_3gpuE2ELNS1_3repE0EEENS1_48merge_mergepath_partition_config_static_selectorELNS0_4arch9wavefront6targetE1EEEvSL_,"axG",@progbits,_ZN7rocprim17ROCPRIM_400000_NS6detail17trampoline_kernelINS0_14default_configENS1_38merge_sort_block_merge_config_selectorIyNS0_10empty_typeEEEZZNS1_27merge_sort_block_merge_implIS3_N6thrust23THRUST_200600_302600_NS6detail15normal_iteratorINS9_10device_ptrIyEEEEPS5_jNS1_19radix_merge_compareILb0ELb1EyNS0_19identity_decomposerEEEEE10hipError_tT0_T1_T2_jT3_P12ihipStream_tbPNSt15iterator_traitsISK_E10value_typeEPNSQ_ISL_E10value_typeEPSM_NS1_7vsmem_tEENKUlT_SK_SL_SM_E_clIPySE_SF_SF_EESJ_SZ_SK_SL_SM_EUlSZ_E_NS1_11comp_targetILNS1_3genE8ELNS1_11target_archE1030ELNS1_3gpuE2ELNS1_3repE0EEENS1_48merge_mergepath_partition_config_static_selectorELNS0_4arch9wavefront6targetE1EEEvSL_,comdat
.Lfunc_end796:
	.size	_ZN7rocprim17ROCPRIM_400000_NS6detail17trampoline_kernelINS0_14default_configENS1_38merge_sort_block_merge_config_selectorIyNS0_10empty_typeEEEZZNS1_27merge_sort_block_merge_implIS3_N6thrust23THRUST_200600_302600_NS6detail15normal_iteratorINS9_10device_ptrIyEEEEPS5_jNS1_19radix_merge_compareILb0ELb1EyNS0_19identity_decomposerEEEEE10hipError_tT0_T1_T2_jT3_P12ihipStream_tbPNSt15iterator_traitsISK_E10value_typeEPNSQ_ISL_E10value_typeEPSM_NS1_7vsmem_tEENKUlT_SK_SL_SM_E_clIPySE_SF_SF_EESJ_SZ_SK_SL_SM_EUlSZ_E_NS1_11comp_targetILNS1_3genE8ELNS1_11target_archE1030ELNS1_3gpuE2ELNS1_3repE0EEENS1_48merge_mergepath_partition_config_static_selectorELNS0_4arch9wavefront6targetE1EEEvSL_, .Lfunc_end796-_ZN7rocprim17ROCPRIM_400000_NS6detail17trampoline_kernelINS0_14default_configENS1_38merge_sort_block_merge_config_selectorIyNS0_10empty_typeEEEZZNS1_27merge_sort_block_merge_implIS3_N6thrust23THRUST_200600_302600_NS6detail15normal_iteratorINS9_10device_ptrIyEEEEPS5_jNS1_19radix_merge_compareILb0ELb1EyNS0_19identity_decomposerEEEEE10hipError_tT0_T1_T2_jT3_P12ihipStream_tbPNSt15iterator_traitsISK_E10value_typeEPNSQ_ISL_E10value_typeEPSM_NS1_7vsmem_tEENKUlT_SK_SL_SM_E_clIPySE_SF_SF_EESJ_SZ_SK_SL_SM_EUlSZ_E_NS1_11comp_targetILNS1_3genE8ELNS1_11target_archE1030ELNS1_3gpuE2ELNS1_3repE0EEENS1_48merge_mergepath_partition_config_static_selectorELNS0_4arch9wavefront6targetE1EEEvSL_
                                        ; -- End function
	.section	.AMDGPU.csdata,"",@progbits
; Kernel info:
; codeLenInByte = 0
; NumSgprs: 4
; NumVgprs: 0
; NumAgprs: 0
; TotalNumVgprs: 0
; ScratchSize: 0
; MemoryBound: 0
; FloatMode: 240
; IeeeMode: 1
; LDSByteSize: 0 bytes/workgroup (compile time only)
; SGPRBlocks: 0
; VGPRBlocks: 0
; NumSGPRsForWavesPerEU: 4
; NumVGPRsForWavesPerEU: 1
; AccumOffset: 4
; Occupancy: 8
; WaveLimiterHint : 0
; COMPUTE_PGM_RSRC2:SCRATCH_EN: 0
; COMPUTE_PGM_RSRC2:USER_SGPR: 6
; COMPUTE_PGM_RSRC2:TRAP_HANDLER: 0
; COMPUTE_PGM_RSRC2:TGID_X_EN: 1
; COMPUTE_PGM_RSRC2:TGID_Y_EN: 0
; COMPUTE_PGM_RSRC2:TGID_Z_EN: 0
; COMPUTE_PGM_RSRC2:TIDIG_COMP_CNT: 0
; COMPUTE_PGM_RSRC3_GFX90A:ACCUM_OFFSET: 0
; COMPUTE_PGM_RSRC3_GFX90A:TG_SPLIT: 0
	.section	.text._ZN7rocprim17ROCPRIM_400000_NS6detail17trampoline_kernelINS0_14default_configENS1_38merge_sort_block_merge_config_selectorIyNS0_10empty_typeEEEZZNS1_27merge_sort_block_merge_implIS3_N6thrust23THRUST_200600_302600_NS6detail15normal_iteratorINS9_10device_ptrIyEEEEPS5_jNS1_19radix_merge_compareILb0ELb1EyNS0_19identity_decomposerEEEEE10hipError_tT0_T1_T2_jT3_P12ihipStream_tbPNSt15iterator_traitsISK_E10value_typeEPNSQ_ISL_E10value_typeEPSM_NS1_7vsmem_tEENKUlT_SK_SL_SM_E_clIPySE_SF_SF_EESJ_SZ_SK_SL_SM_EUlSZ_E0_NS1_11comp_targetILNS1_3genE0ELNS1_11target_archE4294967295ELNS1_3gpuE0ELNS1_3repE0EEENS1_38merge_mergepath_config_static_selectorELNS0_4arch9wavefront6targetE1EEEvSL_,"axG",@progbits,_ZN7rocprim17ROCPRIM_400000_NS6detail17trampoline_kernelINS0_14default_configENS1_38merge_sort_block_merge_config_selectorIyNS0_10empty_typeEEEZZNS1_27merge_sort_block_merge_implIS3_N6thrust23THRUST_200600_302600_NS6detail15normal_iteratorINS9_10device_ptrIyEEEEPS5_jNS1_19radix_merge_compareILb0ELb1EyNS0_19identity_decomposerEEEEE10hipError_tT0_T1_T2_jT3_P12ihipStream_tbPNSt15iterator_traitsISK_E10value_typeEPNSQ_ISL_E10value_typeEPSM_NS1_7vsmem_tEENKUlT_SK_SL_SM_E_clIPySE_SF_SF_EESJ_SZ_SK_SL_SM_EUlSZ_E0_NS1_11comp_targetILNS1_3genE0ELNS1_11target_archE4294967295ELNS1_3gpuE0ELNS1_3repE0EEENS1_38merge_mergepath_config_static_selectorELNS0_4arch9wavefront6targetE1EEEvSL_,comdat
	.protected	_ZN7rocprim17ROCPRIM_400000_NS6detail17trampoline_kernelINS0_14default_configENS1_38merge_sort_block_merge_config_selectorIyNS0_10empty_typeEEEZZNS1_27merge_sort_block_merge_implIS3_N6thrust23THRUST_200600_302600_NS6detail15normal_iteratorINS9_10device_ptrIyEEEEPS5_jNS1_19radix_merge_compareILb0ELb1EyNS0_19identity_decomposerEEEEE10hipError_tT0_T1_T2_jT3_P12ihipStream_tbPNSt15iterator_traitsISK_E10value_typeEPNSQ_ISL_E10value_typeEPSM_NS1_7vsmem_tEENKUlT_SK_SL_SM_E_clIPySE_SF_SF_EESJ_SZ_SK_SL_SM_EUlSZ_E0_NS1_11comp_targetILNS1_3genE0ELNS1_11target_archE4294967295ELNS1_3gpuE0ELNS1_3repE0EEENS1_38merge_mergepath_config_static_selectorELNS0_4arch9wavefront6targetE1EEEvSL_ ; -- Begin function _ZN7rocprim17ROCPRIM_400000_NS6detail17trampoline_kernelINS0_14default_configENS1_38merge_sort_block_merge_config_selectorIyNS0_10empty_typeEEEZZNS1_27merge_sort_block_merge_implIS3_N6thrust23THRUST_200600_302600_NS6detail15normal_iteratorINS9_10device_ptrIyEEEEPS5_jNS1_19radix_merge_compareILb0ELb1EyNS0_19identity_decomposerEEEEE10hipError_tT0_T1_T2_jT3_P12ihipStream_tbPNSt15iterator_traitsISK_E10value_typeEPNSQ_ISL_E10value_typeEPSM_NS1_7vsmem_tEENKUlT_SK_SL_SM_E_clIPySE_SF_SF_EESJ_SZ_SK_SL_SM_EUlSZ_E0_NS1_11comp_targetILNS1_3genE0ELNS1_11target_archE4294967295ELNS1_3gpuE0ELNS1_3repE0EEENS1_38merge_mergepath_config_static_selectorELNS0_4arch9wavefront6targetE1EEEvSL_
	.globl	_ZN7rocprim17ROCPRIM_400000_NS6detail17trampoline_kernelINS0_14default_configENS1_38merge_sort_block_merge_config_selectorIyNS0_10empty_typeEEEZZNS1_27merge_sort_block_merge_implIS3_N6thrust23THRUST_200600_302600_NS6detail15normal_iteratorINS9_10device_ptrIyEEEEPS5_jNS1_19radix_merge_compareILb0ELb1EyNS0_19identity_decomposerEEEEE10hipError_tT0_T1_T2_jT3_P12ihipStream_tbPNSt15iterator_traitsISK_E10value_typeEPNSQ_ISL_E10value_typeEPSM_NS1_7vsmem_tEENKUlT_SK_SL_SM_E_clIPySE_SF_SF_EESJ_SZ_SK_SL_SM_EUlSZ_E0_NS1_11comp_targetILNS1_3genE0ELNS1_11target_archE4294967295ELNS1_3gpuE0ELNS1_3repE0EEENS1_38merge_mergepath_config_static_selectorELNS0_4arch9wavefront6targetE1EEEvSL_
	.p2align	8
	.type	_ZN7rocprim17ROCPRIM_400000_NS6detail17trampoline_kernelINS0_14default_configENS1_38merge_sort_block_merge_config_selectorIyNS0_10empty_typeEEEZZNS1_27merge_sort_block_merge_implIS3_N6thrust23THRUST_200600_302600_NS6detail15normal_iteratorINS9_10device_ptrIyEEEEPS5_jNS1_19radix_merge_compareILb0ELb1EyNS0_19identity_decomposerEEEEE10hipError_tT0_T1_T2_jT3_P12ihipStream_tbPNSt15iterator_traitsISK_E10value_typeEPNSQ_ISL_E10value_typeEPSM_NS1_7vsmem_tEENKUlT_SK_SL_SM_E_clIPySE_SF_SF_EESJ_SZ_SK_SL_SM_EUlSZ_E0_NS1_11comp_targetILNS1_3genE0ELNS1_11target_archE4294967295ELNS1_3gpuE0ELNS1_3repE0EEENS1_38merge_mergepath_config_static_selectorELNS0_4arch9wavefront6targetE1EEEvSL_,@function
_ZN7rocprim17ROCPRIM_400000_NS6detail17trampoline_kernelINS0_14default_configENS1_38merge_sort_block_merge_config_selectorIyNS0_10empty_typeEEEZZNS1_27merge_sort_block_merge_implIS3_N6thrust23THRUST_200600_302600_NS6detail15normal_iteratorINS9_10device_ptrIyEEEEPS5_jNS1_19radix_merge_compareILb0ELb1EyNS0_19identity_decomposerEEEEE10hipError_tT0_T1_T2_jT3_P12ihipStream_tbPNSt15iterator_traitsISK_E10value_typeEPNSQ_ISL_E10value_typeEPSM_NS1_7vsmem_tEENKUlT_SK_SL_SM_E_clIPySE_SF_SF_EESJ_SZ_SK_SL_SM_EUlSZ_E0_NS1_11comp_targetILNS1_3genE0ELNS1_11target_archE4294967295ELNS1_3gpuE0ELNS1_3repE0EEENS1_38merge_mergepath_config_static_selectorELNS0_4arch9wavefront6targetE1EEEvSL_: ; @_ZN7rocprim17ROCPRIM_400000_NS6detail17trampoline_kernelINS0_14default_configENS1_38merge_sort_block_merge_config_selectorIyNS0_10empty_typeEEEZZNS1_27merge_sort_block_merge_implIS3_N6thrust23THRUST_200600_302600_NS6detail15normal_iteratorINS9_10device_ptrIyEEEEPS5_jNS1_19radix_merge_compareILb0ELb1EyNS0_19identity_decomposerEEEEE10hipError_tT0_T1_T2_jT3_P12ihipStream_tbPNSt15iterator_traitsISK_E10value_typeEPNSQ_ISL_E10value_typeEPSM_NS1_7vsmem_tEENKUlT_SK_SL_SM_E_clIPySE_SF_SF_EESJ_SZ_SK_SL_SM_EUlSZ_E0_NS1_11comp_targetILNS1_3genE0ELNS1_11target_archE4294967295ELNS1_3gpuE0ELNS1_3repE0EEENS1_38merge_mergepath_config_static_selectorELNS0_4arch9wavefront6targetE1EEEvSL_
; %bb.0:
	.section	.rodata,"a",@progbits
	.p2align	6, 0x0
	.amdhsa_kernel _ZN7rocprim17ROCPRIM_400000_NS6detail17trampoline_kernelINS0_14default_configENS1_38merge_sort_block_merge_config_selectorIyNS0_10empty_typeEEEZZNS1_27merge_sort_block_merge_implIS3_N6thrust23THRUST_200600_302600_NS6detail15normal_iteratorINS9_10device_ptrIyEEEEPS5_jNS1_19radix_merge_compareILb0ELb1EyNS0_19identity_decomposerEEEEE10hipError_tT0_T1_T2_jT3_P12ihipStream_tbPNSt15iterator_traitsISK_E10value_typeEPNSQ_ISL_E10value_typeEPSM_NS1_7vsmem_tEENKUlT_SK_SL_SM_E_clIPySE_SF_SF_EESJ_SZ_SK_SL_SM_EUlSZ_E0_NS1_11comp_targetILNS1_3genE0ELNS1_11target_archE4294967295ELNS1_3gpuE0ELNS1_3repE0EEENS1_38merge_mergepath_config_static_selectorELNS0_4arch9wavefront6targetE1EEEvSL_
		.amdhsa_group_segment_fixed_size 0
		.amdhsa_private_segment_fixed_size 0
		.amdhsa_kernarg_size 72
		.amdhsa_user_sgpr_count 6
		.amdhsa_user_sgpr_private_segment_buffer 1
		.amdhsa_user_sgpr_dispatch_ptr 0
		.amdhsa_user_sgpr_queue_ptr 0
		.amdhsa_user_sgpr_kernarg_segment_ptr 1
		.amdhsa_user_sgpr_dispatch_id 0
		.amdhsa_user_sgpr_flat_scratch_init 0
		.amdhsa_user_sgpr_kernarg_preload_length 0
		.amdhsa_user_sgpr_kernarg_preload_offset 0
		.amdhsa_user_sgpr_private_segment_size 0
		.amdhsa_uses_dynamic_stack 0
		.amdhsa_system_sgpr_private_segment_wavefront_offset 0
		.amdhsa_system_sgpr_workgroup_id_x 1
		.amdhsa_system_sgpr_workgroup_id_y 0
		.amdhsa_system_sgpr_workgroup_id_z 0
		.amdhsa_system_sgpr_workgroup_info 0
		.amdhsa_system_vgpr_workitem_id 0
		.amdhsa_next_free_vgpr 1
		.amdhsa_next_free_sgpr 0
		.amdhsa_accum_offset 4
		.amdhsa_reserve_vcc 0
		.amdhsa_reserve_flat_scratch 0
		.amdhsa_float_round_mode_32 0
		.amdhsa_float_round_mode_16_64 0
		.amdhsa_float_denorm_mode_32 3
		.amdhsa_float_denorm_mode_16_64 3
		.amdhsa_dx10_clamp 1
		.amdhsa_ieee_mode 1
		.amdhsa_fp16_overflow 0
		.amdhsa_tg_split 0
		.amdhsa_exception_fp_ieee_invalid_op 0
		.amdhsa_exception_fp_denorm_src 0
		.amdhsa_exception_fp_ieee_div_zero 0
		.amdhsa_exception_fp_ieee_overflow 0
		.amdhsa_exception_fp_ieee_underflow 0
		.amdhsa_exception_fp_ieee_inexact 0
		.amdhsa_exception_int_div_zero 0
	.end_amdhsa_kernel
	.section	.text._ZN7rocprim17ROCPRIM_400000_NS6detail17trampoline_kernelINS0_14default_configENS1_38merge_sort_block_merge_config_selectorIyNS0_10empty_typeEEEZZNS1_27merge_sort_block_merge_implIS3_N6thrust23THRUST_200600_302600_NS6detail15normal_iteratorINS9_10device_ptrIyEEEEPS5_jNS1_19radix_merge_compareILb0ELb1EyNS0_19identity_decomposerEEEEE10hipError_tT0_T1_T2_jT3_P12ihipStream_tbPNSt15iterator_traitsISK_E10value_typeEPNSQ_ISL_E10value_typeEPSM_NS1_7vsmem_tEENKUlT_SK_SL_SM_E_clIPySE_SF_SF_EESJ_SZ_SK_SL_SM_EUlSZ_E0_NS1_11comp_targetILNS1_3genE0ELNS1_11target_archE4294967295ELNS1_3gpuE0ELNS1_3repE0EEENS1_38merge_mergepath_config_static_selectorELNS0_4arch9wavefront6targetE1EEEvSL_,"axG",@progbits,_ZN7rocprim17ROCPRIM_400000_NS6detail17trampoline_kernelINS0_14default_configENS1_38merge_sort_block_merge_config_selectorIyNS0_10empty_typeEEEZZNS1_27merge_sort_block_merge_implIS3_N6thrust23THRUST_200600_302600_NS6detail15normal_iteratorINS9_10device_ptrIyEEEEPS5_jNS1_19radix_merge_compareILb0ELb1EyNS0_19identity_decomposerEEEEE10hipError_tT0_T1_T2_jT3_P12ihipStream_tbPNSt15iterator_traitsISK_E10value_typeEPNSQ_ISL_E10value_typeEPSM_NS1_7vsmem_tEENKUlT_SK_SL_SM_E_clIPySE_SF_SF_EESJ_SZ_SK_SL_SM_EUlSZ_E0_NS1_11comp_targetILNS1_3genE0ELNS1_11target_archE4294967295ELNS1_3gpuE0ELNS1_3repE0EEENS1_38merge_mergepath_config_static_selectorELNS0_4arch9wavefront6targetE1EEEvSL_,comdat
.Lfunc_end797:
	.size	_ZN7rocprim17ROCPRIM_400000_NS6detail17trampoline_kernelINS0_14default_configENS1_38merge_sort_block_merge_config_selectorIyNS0_10empty_typeEEEZZNS1_27merge_sort_block_merge_implIS3_N6thrust23THRUST_200600_302600_NS6detail15normal_iteratorINS9_10device_ptrIyEEEEPS5_jNS1_19radix_merge_compareILb0ELb1EyNS0_19identity_decomposerEEEEE10hipError_tT0_T1_T2_jT3_P12ihipStream_tbPNSt15iterator_traitsISK_E10value_typeEPNSQ_ISL_E10value_typeEPSM_NS1_7vsmem_tEENKUlT_SK_SL_SM_E_clIPySE_SF_SF_EESJ_SZ_SK_SL_SM_EUlSZ_E0_NS1_11comp_targetILNS1_3genE0ELNS1_11target_archE4294967295ELNS1_3gpuE0ELNS1_3repE0EEENS1_38merge_mergepath_config_static_selectorELNS0_4arch9wavefront6targetE1EEEvSL_, .Lfunc_end797-_ZN7rocprim17ROCPRIM_400000_NS6detail17trampoline_kernelINS0_14default_configENS1_38merge_sort_block_merge_config_selectorIyNS0_10empty_typeEEEZZNS1_27merge_sort_block_merge_implIS3_N6thrust23THRUST_200600_302600_NS6detail15normal_iteratorINS9_10device_ptrIyEEEEPS5_jNS1_19radix_merge_compareILb0ELb1EyNS0_19identity_decomposerEEEEE10hipError_tT0_T1_T2_jT3_P12ihipStream_tbPNSt15iterator_traitsISK_E10value_typeEPNSQ_ISL_E10value_typeEPSM_NS1_7vsmem_tEENKUlT_SK_SL_SM_E_clIPySE_SF_SF_EESJ_SZ_SK_SL_SM_EUlSZ_E0_NS1_11comp_targetILNS1_3genE0ELNS1_11target_archE4294967295ELNS1_3gpuE0ELNS1_3repE0EEENS1_38merge_mergepath_config_static_selectorELNS0_4arch9wavefront6targetE1EEEvSL_
                                        ; -- End function
	.section	.AMDGPU.csdata,"",@progbits
; Kernel info:
; codeLenInByte = 0
; NumSgprs: 4
; NumVgprs: 0
; NumAgprs: 0
; TotalNumVgprs: 0
; ScratchSize: 0
; MemoryBound: 0
; FloatMode: 240
; IeeeMode: 1
; LDSByteSize: 0 bytes/workgroup (compile time only)
; SGPRBlocks: 0
; VGPRBlocks: 0
; NumSGPRsForWavesPerEU: 4
; NumVGPRsForWavesPerEU: 1
; AccumOffset: 4
; Occupancy: 8
; WaveLimiterHint : 0
; COMPUTE_PGM_RSRC2:SCRATCH_EN: 0
; COMPUTE_PGM_RSRC2:USER_SGPR: 6
; COMPUTE_PGM_RSRC2:TRAP_HANDLER: 0
; COMPUTE_PGM_RSRC2:TGID_X_EN: 1
; COMPUTE_PGM_RSRC2:TGID_Y_EN: 0
; COMPUTE_PGM_RSRC2:TGID_Z_EN: 0
; COMPUTE_PGM_RSRC2:TIDIG_COMP_CNT: 0
; COMPUTE_PGM_RSRC3_GFX90A:ACCUM_OFFSET: 0
; COMPUTE_PGM_RSRC3_GFX90A:TG_SPLIT: 0
	.section	.text._ZN7rocprim17ROCPRIM_400000_NS6detail17trampoline_kernelINS0_14default_configENS1_38merge_sort_block_merge_config_selectorIyNS0_10empty_typeEEEZZNS1_27merge_sort_block_merge_implIS3_N6thrust23THRUST_200600_302600_NS6detail15normal_iteratorINS9_10device_ptrIyEEEEPS5_jNS1_19radix_merge_compareILb0ELb1EyNS0_19identity_decomposerEEEEE10hipError_tT0_T1_T2_jT3_P12ihipStream_tbPNSt15iterator_traitsISK_E10value_typeEPNSQ_ISL_E10value_typeEPSM_NS1_7vsmem_tEENKUlT_SK_SL_SM_E_clIPySE_SF_SF_EESJ_SZ_SK_SL_SM_EUlSZ_E0_NS1_11comp_targetILNS1_3genE10ELNS1_11target_archE1201ELNS1_3gpuE5ELNS1_3repE0EEENS1_38merge_mergepath_config_static_selectorELNS0_4arch9wavefront6targetE1EEEvSL_,"axG",@progbits,_ZN7rocprim17ROCPRIM_400000_NS6detail17trampoline_kernelINS0_14default_configENS1_38merge_sort_block_merge_config_selectorIyNS0_10empty_typeEEEZZNS1_27merge_sort_block_merge_implIS3_N6thrust23THRUST_200600_302600_NS6detail15normal_iteratorINS9_10device_ptrIyEEEEPS5_jNS1_19radix_merge_compareILb0ELb1EyNS0_19identity_decomposerEEEEE10hipError_tT0_T1_T2_jT3_P12ihipStream_tbPNSt15iterator_traitsISK_E10value_typeEPNSQ_ISL_E10value_typeEPSM_NS1_7vsmem_tEENKUlT_SK_SL_SM_E_clIPySE_SF_SF_EESJ_SZ_SK_SL_SM_EUlSZ_E0_NS1_11comp_targetILNS1_3genE10ELNS1_11target_archE1201ELNS1_3gpuE5ELNS1_3repE0EEENS1_38merge_mergepath_config_static_selectorELNS0_4arch9wavefront6targetE1EEEvSL_,comdat
	.protected	_ZN7rocprim17ROCPRIM_400000_NS6detail17trampoline_kernelINS0_14default_configENS1_38merge_sort_block_merge_config_selectorIyNS0_10empty_typeEEEZZNS1_27merge_sort_block_merge_implIS3_N6thrust23THRUST_200600_302600_NS6detail15normal_iteratorINS9_10device_ptrIyEEEEPS5_jNS1_19radix_merge_compareILb0ELb1EyNS0_19identity_decomposerEEEEE10hipError_tT0_T1_T2_jT3_P12ihipStream_tbPNSt15iterator_traitsISK_E10value_typeEPNSQ_ISL_E10value_typeEPSM_NS1_7vsmem_tEENKUlT_SK_SL_SM_E_clIPySE_SF_SF_EESJ_SZ_SK_SL_SM_EUlSZ_E0_NS1_11comp_targetILNS1_3genE10ELNS1_11target_archE1201ELNS1_3gpuE5ELNS1_3repE0EEENS1_38merge_mergepath_config_static_selectorELNS0_4arch9wavefront6targetE1EEEvSL_ ; -- Begin function _ZN7rocprim17ROCPRIM_400000_NS6detail17trampoline_kernelINS0_14default_configENS1_38merge_sort_block_merge_config_selectorIyNS0_10empty_typeEEEZZNS1_27merge_sort_block_merge_implIS3_N6thrust23THRUST_200600_302600_NS6detail15normal_iteratorINS9_10device_ptrIyEEEEPS5_jNS1_19radix_merge_compareILb0ELb1EyNS0_19identity_decomposerEEEEE10hipError_tT0_T1_T2_jT3_P12ihipStream_tbPNSt15iterator_traitsISK_E10value_typeEPNSQ_ISL_E10value_typeEPSM_NS1_7vsmem_tEENKUlT_SK_SL_SM_E_clIPySE_SF_SF_EESJ_SZ_SK_SL_SM_EUlSZ_E0_NS1_11comp_targetILNS1_3genE10ELNS1_11target_archE1201ELNS1_3gpuE5ELNS1_3repE0EEENS1_38merge_mergepath_config_static_selectorELNS0_4arch9wavefront6targetE1EEEvSL_
	.globl	_ZN7rocprim17ROCPRIM_400000_NS6detail17trampoline_kernelINS0_14default_configENS1_38merge_sort_block_merge_config_selectorIyNS0_10empty_typeEEEZZNS1_27merge_sort_block_merge_implIS3_N6thrust23THRUST_200600_302600_NS6detail15normal_iteratorINS9_10device_ptrIyEEEEPS5_jNS1_19radix_merge_compareILb0ELb1EyNS0_19identity_decomposerEEEEE10hipError_tT0_T1_T2_jT3_P12ihipStream_tbPNSt15iterator_traitsISK_E10value_typeEPNSQ_ISL_E10value_typeEPSM_NS1_7vsmem_tEENKUlT_SK_SL_SM_E_clIPySE_SF_SF_EESJ_SZ_SK_SL_SM_EUlSZ_E0_NS1_11comp_targetILNS1_3genE10ELNS1_11target_archE1201ELNS1_3gpuE5ELNS1_3repE0EEENS1_38merge_mergepath_config_static_selectorELNS0_4arch9wavefront6targetE1EEEvSL_
	.p2align	8
	.type	_ZN7rocprim17ROCPRIM_400000_NS6detail17trampoline_kernelINS0_14default_configENS1_38merge_sort_block_merge_config_selectorIyNS0_10empty_typeEEEZZNS1_27merge_sort_block_merge_implIS3_N6thrust23THRUST_200600_302600_NS6detail15normal_iteratorINS9_10device_ptrIyEEEEPS5_jNS1_19radix_merge_compareILb0ELb1EyNS0_19identity_decomposerEEEEE10hipError_tT0_T1_T2_jT3_P12ihipStream_tbPNSt15iterator_traitsISK_E10value_typeEPNSQ_ISL_E10value_typeEPSM_NS1_7vsmem_tEENKUlT_SK_SL_SM_E_clIPySE_SF_SF_EESJ_SZ_SK_SL_SM_EUlSZ_E0_NS1_11comp_targetILNS1_3genE10ELNS1_11target_archE1201ELNS1_3gpuE5ELNS1_3repE0EEENS1_38merge_mergepath_config_static_selectorELNS0_4arch9wavefront6targetE1EEEvSL_,@function
_ZN7rocprim17ROCPRIM_400000_NS6detail17trampoline_kernelINS0_14default_configENS1_38merge_sort_block_merge_config_selectorIyNS0_10empty_typeEEEZZNS1_27merge_sort_block_merge_implIS3_N6thrust23THRUST_200600_302600_NS6detail15normal_iteratorINS9_10device_ptrIyEEEEPS5_jNS1_19radix_merge_compareILb0ELb1EyNS0_19identity_decomposerEEEEE10hipError_tT0_T1_T2_jT3_P12ihipStream_tbPNSt15iterator_traitsISK_E10value_typeEPNSQ_ISL_E10value_typeEPSM_NS1_7vsmem_tEENKUlT_SK_SL_SM_E_clIPySE_SF_SF_EESJ_SZ_SK_SL_SM_EUlSZ_E0_NS1_11comp_targetILNS1_3genE10ELNS1_11target_archE1201ELNS1_3gpuE5ELNS1_3repE0EEENS1_38merge_mergepath_config_static_selectorELNS0_4arch9wavefront6targetE1EEEvSL_: ; @_ZN7rocprim17ROCPRIM_400000_NS6detail17trampoline_kernelINS0_14default_configENS1_38merge_sort_block_merge_config_selectorIyNS0_10empty_typeEEEZZNS1_27merge_sort_block_merge_implIS3_N6thrust23THRUST_200600_302600_NS6detail15normal_iteratorINS9_10device_ptrIyEEEEPS5_jNS1_19radix_merge_compareILb0ELb1EyNS0_19identity_decomposerEEEEE10hipError_tT0_T1_T2_jT3_P12ihipStream_tbPNSt15iterator_traitsISK_E10value_typeEPNSQ_ISL_E10value_typeEPSM_NS1_7vsmem_tEENKUlT_SK_SL_SM_E_clIPySE_SF_SF_EESJ_SZ_SK_SL_SM_EUlSZ_E0_NS1_11comp_targetILNS1_3genE10ELNS1_11target_archE1201ELNS1_3gpuE5ELNS1_3repE0EEENS1_38merge_mergepath_config_static_selectorELNS0_4arch9wavefront6targetE1EEEvSL_
; %bb.0:
	.section	.rodata,"a",@progbits
	.p2align	6, 0x0
	.amdhsa_kernel _ZN7rocprim17ROCPRIM_400000_NS6detail17trampoline_kernelINS0_14default_configENS1_38merge_sort_block_merge_config_selectorIyNS0_10empty_typeEEEZZNS1_27merge_sort_block_merge_implIS3_N6thrust23THRUST_200600_302600_NS6detail15normal_iteratorINS9_10device_ptrIyEEEEPS5_jNS1_19radix_merge_compareILb0ELb1EyNS0_19identity_decomposerEEEEE10hipError_tT0_T1_T2_jT3_P12ihipStream_tbPNSt15iterator_traitsISK_E10value_typeEPNSQ_ISL_E10value_typeEPSM_NS1_7vsmem_tEENKUlT_SK_SL_SM_E_clIPySE_SF_SF_EESJ_SZ_SK_SL_SM_EUlSZ_E0_NS1_11comp_targetILNS1_3genE10ELNS1_11target_archE1201ELNS1_3gpuE5ELNS1_3repE0EEENS1_38merge_mergepath_config_static_selectorELNS0_4arch9wavefront6targetE1EEEvSL_
		.amdhsa_group_segment_fixed_size 0
		.amdhsa_private_segment_fixed_size 0
		.amdhsa_kernarg_size 72
		.amdhsa_user_sgpr_count 6
		.amdhsa_user_sgpr_private_segment_buffer 1
		.amdhsa_user_sgpr_dispatch_ptr 0
		.amdhsa_user_sgpr_queue_ptr 0
		.amdhsa_user_sgpr_kernarg_segment_ptr 1
		.amdhsa_user_sgpr_dispatch_id 0
		.amdhsa_user_sgpr_flat_scratch_init 0
		.amdhsa_user_sgpr_kernarg_preload_length 0
		.amdhsa_user_sgpr_kernarg_preload_offset 0
		.amdhsa_user_sgpr_private_segment_size 0
		.amdhsa_uses_dynamic_stack 0
		.amdhsa_system_sgpr_private_segment_wavefront_offset 0
		.amdhsa_system_sgpr_workgroup_id_x 1
		.amdhsa_system_sgpr_workgroup_id_y 0
		.amdhsa_system_sgpr_workgroup_id_z 0
		.amdhsa_system_sgpr_workgroup_info 0
		.amdhsa_system_vgpr_workitem_id 0
		.amdhsa_next_free_vgpr 1
		.amdhsa_next_free_sgpr 0
		.amdhsa_accum_offset 4
		.amdhsa_reserve_vcc 0
		.amdhsa_reserve_flat_scratch 0
		.amdhsa_float_round_mode_32 0
		.amdhsa_float_round_mode_16_64 0
		.amdhsa_float_denorm_mode_32 3
		.amdhsa_float_denorm_mode_16_64 3
		.amdhsa_dx10_clamp 1
		.amdhsa_ieee_mode 1
		.amdhsa_fp16_overflow 0
		.amdhsa_tg_split 0
		.amdhsa_exception_fp_ieee_invalid_op 0
		.amdhsa_exception_fp_denorm_src 0
		.amdhsa_exception_fp_ieee_div_zero 0
		.amdhsa_exception_fp_ieee_overflow 0
		.amdhsa_exception_fp_ieee_underflow 0
		.amdhsa_exception_fp_ieee_inexact 0
		.amdhsa_exception_int_div_zero 0
	.end_amdhsa_kernel
	.section	.text._ZN7rocprim17ROCPRIM_400000_NS6detail17trampoline_kernelINS0_14default_configENS1_38merge_sort_block_merge_config_selectorIyNS0_10empty_typeEEEZZNS1_27merge_sort_block_merge_implIS3_N6thrust23THRUST_200600_302600_NS6detail15normal_iteratorINS9_10device_ptrIyEEEEPS5_jNS1_19radix_merge_compareILb0ELb1EyNS0_19identity_decomposerEEEEE10hipError_tT0_T1_T2_jT3_P12ihipStream_tbPNSt15iterator_traitsISK_E10value_typeEPNSQ_ISL_E10value_typeEPSM_NS1_7vsmem_tEENKUlT_SK_SL_SM_E_clIPySE_SF_SF_EESJ_SZ_SK_SL_SM_EUlSZ_E0_NS1_11comp_targetILNS1_3genE10ELNS1_11target_archE1201ELNS1_3gpuE5ELNS1_3repE0EEENS1_38merge_mergepath_config_static_selectorELNS0_4arch9wavefront6targetE1EEEvSL_,"axG",@progbits,_ZN7rocprim17ROCPRIM_400000_NS6detail17trampoline_kernelINS0_14default_configENS1_38merge_sort_block_merge_config_selectorIyNS0_10empty_typeEEEZZNS1_27merge_sort_block_merge_implIS3_N6thrust23THRUST_200600_302600_NS6detail15normal_iteratorINS9_10device_ptrIyEEEEPS5_jNS1_19radix_merge_compareILb0ELb1EyNS0_19identity_decomposerEEEEE10hipError_tT0_T1_T2_jT3_P12ihipStream_tbPNSt15iterator_traitsISK_E10value_typeEPNSQ_ISL_E10value_typeEPSM_NS1_7vsmem_tEENKUlT_SK_SL_SM_E_clIPySE_SF_SF_EESJ_SZ_SK_SL_SM_EUlSZ_E0_NS1_11comp_targetILNS1_3genE10ELNS1_11target_archE1201ELNS1_3gpuE5ELNS1_3repE0EEENS1_38merge_mergepath_config_static_selectorELNS0_4arch9wavefront6targetE1EEEvSL_,comdat
.Lfunc_end798:
	.size	_ZN7rocprim17ROCPRIM_400000_NS6detail17trampoline_kernelINS0_14default_configENS1_38merge_sort_block_merge_config_selectorIyNS0_10empty_typeEEEZZNS1_27merge_sort_block_merge_implIS3_N6thrust23THRUST_200600_302600_NS6detail15normal_iteratorINS9_10device_ptrIyEEEEPS5_jNS1_19radix_merge_compareILb0ELb1EyNS0_19identity_decomposerEEEEE10hipError_tT0_T1_T2_jT3_P12ihipStream_tbPNSt15iterator_traitsISK_E10value_typeEPNSQ_ISL_E10value_typeEPSM_NS1_7vsmem_tEENKUlT_SK_SL_SM_E_clIPySE_SF_SF_EESJ_SZ_SK_SL_SM_EUlSZ_E0_NS1_11comp_targetILNS1_3genE10ELNS1_11target_archE1201ELNS1_3gpuE5ELNS1_3repE0EEENS1_38merge_mergepath_config_static_selectorELNS0_4arch9wavefront6targetE1EEEvSL_, .Lfunc_end798-_ZN7rocprim17ROCPRIM_400000_NS6detail17trampoline_kernelINS0_14default_configENS1_38merge_sort_block_merge_config_selectorIyNS0_10empty_typeEEEZZNS1_27merge_sort_block_merge_implIS3_N6thrust23THRUST_200600_302600_NS6detail15normal_iteratorINS9_10device_ptrIyEEEEPS5_jNS1_19radix_merge_compareILb0ELb1EyNS0_19identity_decomposerEEEEE10hipError_tT0_T1_T2_jT3_P12ihipStream_tbPNSt15iterator_traitsISK_E10value_typeEPNSQ_ISL_E10value_typeEPSM_NS1_7vsmem_tEENKUlT_SK_SL_SM_E_clIPySE_SF_SF_EESJ_SZ_SK_SL_SM_EUlSZ_E0_NS1_11comp_targetILNS1_3genE10ELNS1_11target_archE1201ELNS1_3gpuE5ELNS1_3repE0EEENS1_38merge_mergepath_config_static_selectorELNS0_4arch9wavefront6targetE1EEEvSL_
                                        ; -- End function
	.section	.AMDGPU.csdata,"",@progbits
; Kernel info:
; codeLenInByte = 0
; NumSgprs: 4
; NumVgprs: 0
; NumAgprs: 0
; TotalNumVgprs: 0
; ScratchSize: 0
; MemoryBound: 0
; FloatMode: 240
; IeeeMode: 1
; LDSByteSize: 0 bytes/workgroup (compile time only)
; SGPRBlocks: 0
; VGPRBlocks: 0
; NumSGPRsForWavesPerEU: 4
; NumVGPRsForWavesPerEU: 1
; AccumOffset: 4
; Occupancy: 8
; WaveLimiterHint : 0
; COMPUTE_PGM_RSRC2:SCRATCH_EN: 0
; COMPUTE_PGM_RSRC2:USER_SGPR: 6
; COMPUTE_PGM_RSRC2:TRAP_HANDLER: 0
; COMPUTE_PGM_RSRC2:TGID_X_EN: 1
; COMPUTE_PGM_RSRC2:TGID_Y_EN: 0
; COMPUTE_PGM_RSRC2:TGID_Z_EN: 0
; COMPUTE_PGM_RSRC2:TIDIG_COMP_CNT: 0
; COMPUTE_PGM_RSRC3_GFX90A:ACCUM_OFFSET: 0
; COMPUTE_PGM_RSRC3_GFX90A:TG_SPLIT: 0
	.section	.text._ZN7rocprim17ROCPRIM_400000_NS6detail17trampoline_kernelINS0_14default_configENS1_38merge_sort_block_merge_config_selectorIyNS0_10empty_typeEEEZZNS1_27merge_sort_block_merge_implIS3_N6thrust23THRUST_200600_302600_NS6detail15normal_iteratorINS9_10device_ptrIyEEEEPS5_jNS1_19radix_merge_compareILb0ELb1EyNS0_19identity_decomposerEEEEE10hipError_tT0_T1_T2_jT3_P12ihipStream_tbPNSt15iterator_traitsISK_E10value_typeEPNSQ_ISL_E10value_typeEPSM_NS1_7vsmem_tEENKUlT_SK_SL_SM_E_clIPySE_SF_SF_EESJ_SZ_SK_SL_SM_EUlSZ_E0_NS1_11comp_targetILNS1_3genE5ELNS1_11target_archE942ELNS1_3gpuE9ELNS1_3repE0EEENS1_38merge_mergepath_config_static_selectorELNS0_4arch9wavefront6targetE1EEEvSL_,"axG",@progbits,_ZN7rocprim17ROCPRIM_400000_NS6detail17trampoline_kernelINS0_14default_configENS1_38merge_sort_block_merge_config_selectorIyNS0_10empty_typeEEEZZNS1_27merge_sort_block_merge_implIS3_N6thrust23THRUST_200600_302600_NS6detail15normal_iteratorINS9_10device_ptrIyEEEEPS5_jNS1_19radix_merge_compareILb0ELb1EyNS0_19identity_decomposerEEEEE10hipError_tT0_T1_T2_jT3_P12ihipStream_tbPNSt15iterator_traitsISK_E10value_typeEPNSQ_ISL_E10value_typeEPSM_NS1_7vsmem_tEENKUlT_SK_SL_SM_E_clIPySE_SF_SF_EESJ_SZ_SK_SL_SM_EUlSZ_E0_NS1_11comp_targetILNS1_3genE5ELNS1_11target_archE942ELNS1_3gpuE9ELNS1_3repE0EEENS1_38merge_mergepath_config_static_selectorELNS0_4arch9wavefront6targetE1EEEvSL_,comdat
	.protected	_ZN7rocprim17ROCPRIM_400000_NS6detail17trampoline_kernelINS0_14default_configENS1_38merge_sort_block_merge_config_selectorIyNS0_10empty_typeEEEZZNS1_27merge_sort_block_merge_implIS3_N6thrust23THRUST_200600_302600_NS6detail15normal_iteratorINS9_10device_ptrIyEEEEPS5_jNS1_19radix_merge_compareILb0ELb1EyNS0_19identity_decomposerEEEEE10hipError_tT0_T1_T2_jT3_P12ihipStream_tbPNSt15iterator_traitsISK_E10value_typeEPNSQ_ISL_E10value_typeEPSM_NS1_7vsmem_tEENKUlT_SK_SL_SM_E_clIPySE_SF_SF_EESJ_SZ_SK_SL_SM_EUlSZ_E0_NS1_11comp_targetILNS1_3genE5ELNS1_11target_archE942ELNS1_3gpuE9ELNS1_3repE0EEENS1_38merge_mergepath_config_static_selectorELNS0_4arch9wavefront6targetE1EEEvSL_ ; -- Begin function _ZN7rocprim17ROCPRIM_400000_NS6detail17trampoline_kernelINS0_14default_configENS1_38merge_sort_block_merge_config_selectorIyNS0_10empty_typeEEEZZNS1_27merge_sort_block_merge_implIS3_N6thrust23THRUST_200600_302600_NS6detail15normal_iteratorINS9_10device_ptrIyEEEEPS5_jNS1_19radix_merge_compareILb0ELb1EyNS0_19identity_decomposerEEEEE10hipError_tT0_T1_T2_jT3_P12ihipStream_tbPNSt15iterator_traitsISK_E10value_typeEPNSQ_ISL_E10value_typeEPSM_NS1_7vsmem_tEENKUlT_SK_SL_SM_E_clIPySE_SF_SF_EESJ_SZ_SK_SL_SM_EUlSZ_E0_NS1_11comp_targetILNS1_3genE5ELNS1_11target_archE942ELNS1_3gpuE9ELNS1_3repE0EEENS1_38merge_mergepath_config_static_selectorELNS0_4arch9wavefront6targetE1EEEvSL_
	.globl	_ZN7rocprim17ROCPRIM_400000_NS6detail17trampoline_kernelINS0_14default_configENS1_38merge_sort_block_merge_config_selectorIyNS0_10empty_typeEEEZZNS1_27merge_sort_block_merge_implIS3_N6thrust23THRUST_200600_302600_NS6detail15normal_iteratorINS9_10device_ptrIyEEEEPS5_jNS1_19radix_merge_compareILb0ELb1EyNS0_19identity_decomposerEEEEE10hipError_tT0_T1_T2_jT3_P12ihipStream_tbPNSt15iterator_traitsISK_E10value_typeEPNSQ_ISL_E10value_typeEPSM_NS1_7vsmem_tEENKUlT_SK_SL_SM_E_clIPySE_SF_SF_EESJ_SZ_SK_SL_SM_EUlSZ_E0_NS1_11comp_targetILNS1_3genE5ELNS1_11target_archE942ELNS1_3gpuE9ELNS1_3repE0EEENS1_38merge_mergepath_config_static_selectorELNS0_4arch9wavefront6targetE1EEEvSL_
	.p2align	8
	.type	_ZN7rocprim17ROCPRIM_400000_NS6detail17trampoline_kernelINS0_14default_configENS1_38merge_sort_block_merge_config_selectorIyNS0_10empty_typeEEEZZNS1_27merge_sort_block_merge_implIS3_N6thrust23THRUST_200600_302600_NS6detail15normal_iteratorINS9_10device_ptrIyEEEEPS5_jNS1_19radix_merge_compareILb0ELb1EyNS0_19identity_decomposerEEEEE10hipError_tT0_T1_T2_jT3_P12ihipStream_tbPNSt15iterator_traitsISK_E10value_typeEPNSQ_ISL_E10value_typeEPSM_NS1_7vsmem_tEENKUlT_SK_SL_SM_E_clIPySE_SF_SF_EESJ_SZ_SK_SL_SM_EUlSZ_E0_NS1_11comp_targetILNS1_3genE5ELNS1_11target_archE942ELNS1_3gpuE9ELNS1_3repE0EEENS1_38merge_mergepath_config_static_selectorELNS0_4arch9wavefront6targetE1EEEvSL_,@function
_ZN7rocprim17ROCPRIM_400000_NS6detail17trampoline_kernelINS0_14default_configENS1_38merge_sort_block_merge_config_selectorIyNS0_10empty_typeEEEZZNS1_27merge_sort_block_merge_implIS3_N6thrust23THRUST_200600_302600_NS6detail15normal_iteratorINS9_10device_ptrIyEEEEPS5_jNS1_19radix_merge_compareILb0ELb1EyNS0_19identity_decomposerEEEEE10hipError_tT0_T1_T2_jT3_P12ihipStream_tbPNSt15iterator_traitsISK_E10value_typeEPNSQ_ISL_E10value_typeEPSM_NS1_7vsmem_tEENKUlT_SK_SL_SM_E_clIPySE_SF_SF_EESJ_SZ_SK_SL_SM_EUlSZ_E0_NS1_11comp_targetILNS1_3genE5ELNS1_11target_archE942ELNS1_3gpuE9ELNS1_3repE0EEENS1_38merge_mergepath_config_static_selectorELNS0_4arch9wavefront6targetE1EEEvSL_: ; @_ZN7rocprim17ROCPRIM_400000_NS6detail17trampoline_kernelINS0_14default_configENS1_38merge_sort_block_merge_config_selectorIyNS0_10empty_typeEEEZZNS1_27merge_sort_block_merge_implIS3_N6thrust23THRUST_200600_302600_NS6detail15normal_iteratorINS9_10device_ptrIyEEEEPS5_jNS1_19radix_merge_compareILb0ELb1EyNS0_19identity_decomposerEEEEE10hipError_tT0_T1_T2_jT3_P12ihipStream_tbPNSt15iterator_traitsISK_E10value_typeEPNSQ_ISL_E10value_typeEPSM_NS1_7vsmem_tEENKUlT_SK_SL_SM_E_clIPySE_SF_SF_EESJ_SZ_SK_SL_SM_EUlSZ_E0_NS1_11comp_targetILNS1_3genE5ELNS1_11target_archE942ELNS1_3gpuE9ELNS1_3repE0EEENS1_38merge_mergepath_config_static_selectorELNS0_4arch9wavefront6targetE1EEEvSL_
; %bb.0:
	.section	.rodata,"a",@progbits
	.p2align	6, 0x0
	.amdhsa_kernel _ZN7rocprim17ROCPRIM_400000_NS6detail17trampoline_kernelINS0_14default_configENS1_38merge_sort_block_merge_config_selectorIyNS0_10empty_typeEEEZZNS1_27merge_sort_block_merge_implIS3_N6thrust23THRUST_200600_302600_NS6detail15normal_iteratorINS9_10device_ptrIyEEEEPS5_jNS1_19radix_merge_compareILb0ELb1EyNS0_19identity_decomposerEEEEE10hipError_tT0_T1_T2_jT3_P12ihipStream_tbPNSt15iterator_traitsISK_E10value_typeEPNSQ_ISL_E10value_typeEPSM_NS1_7vsmem_tEENKUlT_SK_SL_SM_E_clIPySE_SF_SF_EESJ_SZ_SK_SL_SM_EUlSZ_E0_NS1_11comp_targetILNS1_3genE5ELNS1_11target_archE942ELNS1_3gpuE9ELNS1_3repE0EEENS1_38merge_mergepath_config_static_selectorELNS0_4arch9wavefront6targetE1EEEvSL_
		.amdhsa_group_segment_fixed_size 0
		.amdhsa_private_segment_fixed_size 0
		.amdhsa_kernarg_size 72
		.amdhsa_user_sgpr_count 6
		.amdhsa_user_sgpr_private_segment_buffer 1
		.amdhsa_user_sgpr_dispatch_ptr 0
		.amdhsa_user_sgpr_queue_ptr 0
		.amdhsa_user_sgpr_kernarg_segment_ptr 1
		.amdhsa_user_sgpr_dispatch_id 0
		.amdhsa_user_sgpr_flat_scratch_init 0
		.amdhsa_user_sgpr_kernarg_preload_length 0
		.amdhsa_user_sgpr_kernarg_preload_offset 0
		.amdhsa_user_sgpr_private_segment_size 0
		.amdhsa_uses_dynamic_stack 0
		.amdhsa_system_sgpr_private_segment_wavefront_offset 0
		.amdhsa_system_sgpr_workgroup_id_x 1
		.amdhsa_system_sgpr_workgroup_id_y 0
		.amdhsa_system_sgpr_workgroup_id_z 0
		.amdhsa_system_sgpr_workgroup_info 0
		.amdhsa_system_vgpr_workitem_id 0
		.amdhsa_next_free_vgpr 1
		.amdhsa_next_free_sgpr 0
		.amdhsa_accum_offset 4
		.amdhsa_reserve_vcc 0
		.amdhsa_reserve_flat_scratch 0
		.amdhsa_float_round_mode_32 0
		.amdhsa_float_round_mode_16_64 0
		.amdhsa_float_denorm_mode_32 3
		.amdhsa_float_denorm_mode_16_64 3
		.amdhsa_dx10_clamp 1
		.amdhsa_ieee_mode 1
		.amdhsa_fp16_overflow 0
		.amdhsa_tg_split 0
		.amdhsa_exception_fp_ieee_invalid_op 0
		.amdhsa_exception_fp_denorm_src 0
		.amdhsa_exception_fp_ieee_div_zero 0
		.amdhsa_exception_fp_ieee_overflow 0
		.amdhsa_exception_fp_ieee_underflow 0
		.amdhsa_exception_fp_ieee_inexact 0
		.amdhsa_exception_int_div_zero 0
	.end_amdhsa_kernel
	.section	.text._ZN7rocprim17ROCPRIM_400000_NS6detail17trampoline_kernelINS0_14default_configENS1_38merge_sort_block_merge_config_selectorIyNS0_10empty_typeEEEZZNS1_27merge_sort_block_merge_implIS3_N6thrust23THRUST_200600_302600_NS6detail15normal_iteratorINS9_10device_ptrIyEEEEPS5_jNS1_19radix_merge_compareILb0ELb1EyNS0_19identity_decomposerEEEEE10hipError_tT0_T1_T2_jT3_P12ihipStream_tbPNSt15iterator_traitsISK_E10value_typeEPNSQ_ISL_E10value_typeEPSM_NS1_7vsmem_tEENKUlT_SK_SL_SM_E_clIPySE_SF_SF_EESJ_SZ_SK_SL_SM_EUlSZ_E0_NS1_11comp_targetILNS1_3genE5ELNS1_11target_archE942ELNS1_3gpuE9ELNS1_3repE0EEENS1_38merge_mergepath_config_static_selectorELNS0_4arch9wavefront6targetE1EEEvSL_,"axG",@progbits,_ZN7rocprim17ROCPRIM_400000_NS6detail17trampoline_kernelINS0_14default_configENS1_38merge_sort_block_merge_config_selectorIyNS0_10empty_typeEEEZZNS1_27merge_sort_block_merge_implIS3_N6thrust23THRUST_200600_302600_NS6detail15normal_iteratorINS9_10device_ptrIyEEEEPS5_jNS1_19radix_merge_compareILb0ELb1EyNS0_19identity_decomposerEEEEE10hipError_tT0_T1_T2_jT3_P12ihipStream_tbPNSt15iterator_traitsISK_E10value_typeEPNSQ_ISL_E10value_typeEPSM_NS1_7vsmem_tEENKUlT_SK_SL_SM_E_clIPySE_SF_SF_EESJ_SZ_SK_SL_SM_EUlSZ_E0_NS1_11comp_targetILNS1_3genE5ELNS1_11target_archE942ELNS1_3gpuE9ELNS1_3repE0EEENS1_38merge_mergepath_config_static_selectorELNS0_4arch9wavefront6targetE1EEEvSL_,comdat
.Lfunc_end799:
	.size	_ZN7rocprim17ROCPRIM_400000_NS6detail17trampoline_kernelINS0_14default_configENS1_38merge_sort_block_merge_config_selectorIyNS0_10empty_typeEEEZZNS1_27merge_sort_block_merge_implIS3_N6thrust23THRUST_200600_302600_NS6detail15normal_iteratorINS9_10device_ptrIyEEEEPS5_jNS1_19radix_merge_compareILb0ELb1EyNS0_19identity_decomposerEEEEE10hipError_tT0_T1_T2_jT3_P12ihipStream_tbPNSt15iterator_traitsISK_E10value_typeEPNSQ_ISL_E10value_typeEPSM_NS1_7vsmem_tEENKUlT_SK_SL_SM_E_clIPySE_SF_SF_EESJ_SZ_SK_SL_SM_EUlSZ_E0_NS1_11comp_targetILNS1_3genE5ELNS1_11target_archE942ELNS1_3gpuE9ELNS1_3repE0EEENS1_38merge_mergepath_config_static_selectorELNS0_4arch9wavefront6targetE1EEEvSL_, .Lfunc_end799-_ZN7rocprim17ROCPRIM_400000_NS6detail17trampoline_kernelINS0_14default_configENS1_38merge_sort_block_merge_config_selectorIyNS0_10empty_typeEEEZZNS1_27merge_sort_block_merge_implIS3_N6thrust23THRUST_200600_302600_NS6detail15normal_iteratorINS9_10device_ptrIyEEEEPS5_jNS1_19radix_merge_compareILb0ELb1EyNS0_19identity_decomposerEEEEE10hipError_tT0_T1_T2_jT3_P12ihipStream_tbPNSt15iterator_traitsISK_E10value_typeEPNSQ_ISL_E10value_typeEPSM_NS1_7vsmem_tEENKUlT_SK_SL_SM_E_clIPySE_SF_SF_EESJ_SZ_SK_SL_SM_EUlSZ_E0_NS1_11comp_targetILNS1_3genE5ELNS1_11target_archE942ELNS1_3gpuE9ELNS1_3repE0EEENS1_38merge_mergepath_config_static_selectorELNS0_4arch9wavefront6targetE1EEEvSL_
                                        ; -- End function
	.section	.AMDGPU.csdata,"",@progbits
; Kernel info:
; codeLenInByte = 0
; NumSgprs: 4
; NumVgprs: 0
; NumAgprs: 0
; TotalNumVgprs: 0
; ScratchSize: 0
; MemoryBound: 0
; FloatMode: 240
; IeeeMode: 1
; LDSByteSize: 0 bytes/workgroup (compile time only)
; SGPRBlocks: 0
; VGPRBlocks: 0
; NumSGPRsForWavesPerEU: 4
; NumVGPRsForWavesPerEU: 1
; AccumOffset: 4
; Occupancy: 8
; WaveLimiterHint : 0
; COMPUTE_PGM_RSRC2:SCRATCH_EN: 0
; COMPUTE_PGM_RSRC2:USER_SGPR: 6
; COMPUTE_PGM_RSRC2:TRAP_HANDLER: 0
; COMPUTE_PGM_RSRC2:TGID_X_EN: 1
; COMPUTE_PGM_RSRC2:TGID_Y_EN: 0
; COMPUTE_PGM_RSRC2:TGID_Z_EN: 0
; COMPUTE_PGM_RSRC2:TIDIG_COMP_CNT: 0
; COMPUTE_PGM_RSRC3_GFX90A:ACCUM_OFFSET: 0
; COMPUTE_PGM_RSRC3_GFX90A:TG_SPLIT: 0
	.section	.text._ZN7rocprim17ROCPRIM_400000_NS6detail17trampoline_kernelINS0_14default_configENS1_38merge_sort_block_merge_config_selectorIyNS0_10empty_typeEEEZZNS1_27merge_sort_block_merge_implIS3_N6thrust23THRUST_200600_302600_NS6detail15normal_iteratorINS9_10device_ptrIyEEEEPS5_jNS1_19radix_merge_compareILb0ELb1EyNS0_19identity_decomposerEEEEE10hipError_tT0_T1_T2_jT3_P12ihipStream_tbPNSt15iterator_traitsISK_E10value_typeEPNSQ_ISL_E10value_typeEPSM_NS1_7vsmem_tEENKUlT_SK_SL_SM_E_clIPySE_SF_SF_EESJ_SZ_SK_SL_SM_EUlSZ_E0_NS1_11comp_targetILNS1_3genE4ELNS1_11target_archE910ELNS1_3gpuE8ELNS1_3repE0EEENS1_38merge_mergepath_config_static_selectorELNS0_4arch9wavefront6targetE1EEEvSL_,"axG",@progbits,_ZN7rocprim17ROCPRIM_400000_NS6detail17trampoline_kernelINS0_14default_configENS1_38merge_sort_block_merge_config_selectorIyNS0_10empty_typeEEEZZNS1_27merge_sort_block_merge_implIS3_N6thrust23THRUST_200600_302600_NS6detail15normal_iteratorINS9_10device_ptrIyEEEEPS5_jNS1_19radix_merge_compareILb0ELb1EyNS0_19identity_decomposerEEEEE10hipError_tT0_T1_T2_jT3_P12ihipStream_tbPNSt15iterator_traitsISK_E10value_typeEPNSQ_ISL_E10value_typeEPSM_NS1_7vsmem_tEENKUlT_SK_SL_SM_E_clIPySE_SF_SF_EESJ_SZ_SK_SL_SM_EUlSZ_E0_NS1_11comp_targetILNS1_3genE4ELNS1_11target_archE910ELNS1_3gpuE8ELNS1_3repE0EEENS1_38merge_mergepath_config_static_selectorELNS0_4arch9wavefront6targetE1EEEvSL_,comdat
	.protected	_ZN7rocprim17ROCPRIM_400000_NS6detail17trampoline_kernelINS0_14default_configENS1_38merge_sort_block_merge_config_selectorIyNS0_10empty_typeEEEZZNS1_27merge_sort_block_merge_implIS3_N6thrust23THRUST_200600_302600_NS6detail15normal_iteratorINS9_10device_ptrIyEEEEPS5_jNS1_19radix_merge_compareILb0ELb1EyNS0_19identity_decomposerEEEEE10hipError_tT0_T1_T2_jT3_P12ihipStream_tbPNSt15iterator_traitsISK_E10value_typeEPNSQ_ISL_E10value_typeEPSM_NS1_7vsmem_tEENKUlT_SK_SL_SM_E_clIPySE_SF_SF_EESJ_SZ_SK_SL_SM_EUlSZ_E0_NS1_11comp_targetILNS1_3genE4ELNS1_11target_archE910ELNS1_3gpuE8ELNS1_3repE0EEENS1_38merge_mergepath_config_static_selectorELNS0_4arch9wavefront6targetE1EEEvSL_ ; -- Begin function _ZN7rocprim17ROCPRIM_400000_NS6detail17trampoline_kernelINS0_14default_configENS1_38merge_sort_block_merge_config_selectorIyNS0_10empty_typeEEEZZNS1_27merge_sort_block_merge_implIS3_N6thrust23THRUST_200600_302600_NS6detail15normal_iteratorINS9_10device_ptrIyEEEEPS5_jNS1_19radix_merge_compareILb0ELb1EyNS0_19identity_decomposerEEEEE10hipError_tT0_T1_T2_jT3_P12ihipStream_tbPNSt15iterator_traitsISK_E10value_typeEPNSQ_ISL_E10value_typeEPSM_NS1_7vsmem_tEENKUlT_SK_SL_SM_E_clIPySE_SF_SF_EESJ_SZ_SK_SL_SM_EUlSZ_E0_NS1_11comp_targetILNS1_3genE4ELNS1_11target_archE910ELNS1_3gpuE8ELNS1_3repE0EEENS1_38merge_mergepath_config_static_selectorELNS0_4arch9wavefront6targetE1EEEvSL_
	.globl	_ZN7rocprim17ROCPRIM_400000_NS6detail17trampoline_kernelINS0_14default_configENS1_38merge_sort_block_merge_config_selectorIyNS0_10empty_typeEEEZZNS1_27merge_sort_block_merge_implIS3_N6thrust23THRUST_200600_302600_NS6detail15normal_iteratorINS9_10device_ptrIyEEEEPS5_jNS1_19radix_merge_compareILb0ELb1EyNS0_19identity_decomposerEEEEE10hipError_tT0_T1_T2_jT3_P12ihipStream_tbPNSt15iterator_traitsISK_E10value_typeEPNSQ_ISL_E10value_typeEPSM_NS1_7vsmem_tEENKUlT_SK_SL_SM_E_clIPySE_SF_SF_EESJ_SZ_SK_SL_SM_EUlSZ_E0_NS1_11comp_targetILNS1_3genE4ELNS1_11target_archE910ELNS1_3gpuE8ELNS1_3repE0EEENS1_38merge_mergepath_config_static_selectorELNS0_4arch9wavefront6targetE1EEEvSL_
	.p2align	8
	.type	_ZN7rocprim17ROCPRIM_400000_NS6detail17trampoline_kernelINS0_14default_configENS1_38merge_sort_block_merge_config_selectorIyNS0_10empty_typeEEEZZNS1_27merge_sort_block_merge_implIS3_N6thrust23THRUST_200600_302600_NS6detail15normal_iteratorINS9_10device_ptrIyEEEEPS5_jNS1_19radix_merge_compareILb0ELb1EyNS0_19identity_decomposerEEEEE10hipError_tT0_T1_T2_jT3_P12ihipStream_tbPNSt15iterator_traitsISK_E10value_typeEPNSQ_ISL_E10value_typeEPSM_NS1_7vsmem_tEENKUlT_SK_SL_SM_E_clIPySE_SF_SF_EESJ_SZ_SK_SL_SM_EUlSZ_E0_NS1_11comp_targetILNS1_3genE4ELNS1_11target_archE910ELNS1_3gpuE8ELNS1_3repE0EEENS1_38merge_mergepath_config_static_selectorELNS0_4arch9wavefront6targetE1EEEvSL_,@function
_ZN7rocprim17ROCPRIM_400000_NS6detail17trampoline_kernelINS0_14default_configENS1_38merge_sort_block_merge_config_selectorIyNS0_10empty_typeEEEZZNS1_27merge_sort_block_merge_implIS3_N6thrust23THRUST_200600_302600_NS6detail15normal_iteratorINS9_10device_ptrIyEEEEPS5_jNS1_19radix_merge_compareILb0ELb1EyNS0_19identity_decomposerEEEEE10hipError_tT0_T1_T2_jT3_P12ihipStream_tbPNSt15iterator_traitsISK_E10value_typeEPNSQ_ISL_E10value_typeEPSM_NS1_7vsmem_tEENKUlT_SK_SL_SM_E_clIPySE_SF_SF_EESJ_SZ_SK_SL_SM_EUlSZ_E0_NS1_11comp_targetILNS1_3genE4ELNS1_11target_archE910ELNS1_3gpuE8ELNS1_3repE0EEENS1_38merge_mergepath_config_static_selectorELNS0_4arch9wavefront6targetE1EEEvSL_: ; @_ZN7rocprim17ROCPRIM_400000_NS6detail17trampoline_kernelINS0_14default_configENS1_38merge_sort_block_merge_config_selectorIyNS0_10empty_typeEEEZZNS1_27merge_sort_block_merge_implIS3_N6thrust23THRUST_200600_302600_NS6detail15normal_iteratorINS9_10device_ptrIyEEEEPS5_jNS1_19radix_merge_compareILb0ELb1EyNS0_19identity_decomposerEEEEE10hipError_tT0_T1_T2_jT3_P12ihipStream_tbPNSt15iterator_traitsISK_E10value_typeEPNSQ_ISL_E10value_typeEPSM_NS1_7vsmem_tEENKUlT_SK_SL_SM_E_clIPySE_SF_SF_EESJ_SZ_SK_SL_SM_EUlSZ_E0_NS1_11comp_targetILNS1_3genE4ELNS1_11target_archE910ELNS1_3gpuE8ELNS1_3repE0EEENS1_38merge_mergepath_config_static_selectorELNS0_4arch9wavefront6targetE1EEEvSL_
; %bb.0:
	s_load_dwordx2 s[14:15], s[4:5], 0x48
	s_load_dword s3, s[4:5], 0x30
	s_add_u32 s0, s4, 0x48
	s_addc_u32 s1, s5, 0
	s_waitcnt lgkmcnt(0)
	s_mul_i32 s2, s15, s8
	s_add_i32 s2, s2, s7
	s_mul_i32 s2, s2, s14
	s_add_i32 s2, s2, s6
	s_cmp_ge_u32 s2, s3
	s_cbranch_scc1 .LBB800_31
; %bb.1:
	s_load_dwordx2 s[8:9], s[4:5], 0x28
	s_load_dwordx2 s[10:11], s[4:5], 0x40
	;; [unrolled: 1-line block ×3, first 2 shown]
	s_mov_b32 s3, 0
	s_mov_b32 s25, s3
	s_waitcnt lgkmcnt(0)
	s_lshr_b32 s7, s8, 10
	s_cmp_lg_u32 s2, s7
	s_cselect_b64 s[12:13], -1, 0
	s_lshl_b64 s[16:17], s[2:3], 2
	s_add_u32 s10, s10, s16
	s_addc_u32 s11, s11, s17
	s_load_dwordx2 s[18:19], s[10:11], 0x0
	s_lshr_b32 s10, s9, 9
	s_and_b32 s10, s10, 0x7ffffe
	s_sub_i32 s11, 0, s10
	s_and_b32 s15, s2, s11
	s_lshl_b32 s16, s15, 10
	s_lshl_b32 s10, s2, 10
	;; [unrolled: 1-line block ×3, first 2 shown]
	s_sub_i32 s17, s10, s16
	s_add_i32 s15, s15, s9
	s_add_i32 s17, s15, s17
	s_waitcnt lgkmcnt(0)
	s_sub_i32 s20, s17, s18
	s_sub_i32 s17, s17, s19
	;; [unrolled: 1-line block ×3, first 2 shown]
	s_min_u32 s24, s8, s20
	s_addk_i32 s17, 0x400
	s_or_b32 s11, s2, s11
	s_min_u32 s16, s8, s15
	s_add_i32 s15, s15, s9
	s_cmp_eq_u32 s11, -1
	s_cselect_b32 s9, s15, s17
	s_cselect_b32 s11, s16, s19
	s_min_u32 s15, s9, s8
	s_mov_b32 s19, s3
	s_sub_i32 s9, s11, s18
	s_sub_i32 s16, s15, s24
	s_lshl_b64 s[20:21], s[18:19], 3
	s_add_u32 s19, s22, s20
	s_addc_u32 s20, s23, s21
	s_lshl_b64 s[24:25], s[24:25], 3
	s_add_u32 s17, s22, s24
	s_addc_u32 s18, s23, s25
	s_cmp_lt_u32 s6, s14
	v_mov_b32_e32 v9, 0
	s_cselect_b32 s3, 12, 18
	global_load_dword v1, v9, s[0:1] offset:14
	s_add_u32 s0, s0, s3
	s_addc_u32 s1, s1, 0
	global_load_ushort v2, v9, s[0:1]
	s_cmp_eq_u32 s2, s7
	s_waitcnt vmcnt(1)
	v_lshrrev_b32_e32 v3, 16, v1
	v_and_b32_e32 v1, 0xffff, v1
	v_mul_lo_u32 v1, v1, v3
	s_waitcnt vmcnt(0)
	v_mul_lo_u32 v14, v1, v2
	v_add_u32_e32 v12, v14, v0
	v_lshlrev_b32_e32 v1, 3, v0
	v_add_u32_e32 v10, v12, v14
	s_cbranch_scc1 .LBB800_3
; %bb.2:
	v_mov_b32_e32 v2, s20
	v_add_co_u32_e32 v4, vcc, s19, v1
	v_subrev_u32_e32 v8, s9, v0
	v_addc_co_u32_e32 v5, vcc, 0, v2, vcc
	v_lshlrev_b64 v[2:3], 3, v[8:9]
	v_mov_b32_e32 v6, s18
	v_add_co_u32_e32 v2, vcc, s17, v2
	v_addc_co_u32_e32 v3, vcc, v6, v3, vcc
	v_cmp_gt_u32_e32 vcc, s9, v0
	v_mov_b32_e32 v13, v9
	v_cndmask_b32_e32 v3, v3, v5, vcc
	v_cndmask_b32_e32 v2, v2, v4, vcc
	v_lshlrev_b64 v[4:5], 3, v[12:13]
	v_mov_b32_e32 v6, s20
	v_add_co_u32_e32 v7, vcc, s19, v4
	v_subrev_u32_e32 v8, s9, v12
	v_addc_co_u32_e32 v6, vcc, v6, v5, vcc
	v_lshlrev_b64 v[4:5], 3, v[8:9]
	v_mov_b32_e32 v8, s18
	v_add_co_u32_e32 v4, vcc, s17, v4
	v_addc_co_u32_e32 v5, vcc, v8, v5, vcc
	v_cmp_gt_u32_e32 vcc, s9, v12
	v_mov_b32_e32 v11, v9
	v_cndmask_b32_e32 v5, v5, v6, vcc
	v_cndmask_b32_e32 v4, v4, v7, vcc
	v_lshlrev_b64 v[6:7], 3, v[10:11]
	v_mov_b32_e32 v8, s20
	v_add_co_u32_e32 v11, vcc, s19, v6
	v_addc_co_u32_e32 v13, vcc, v8, v7, vcc
	v_subrev_u32_e32 v8, s9, v10
	v_lshlrev_b64 v[6:7], 3, v[8:9]
	v_mov_b32_e32 v8, s18
	v_add_co_u32_e32 v6, vcc, s17, v6
	v_addc_co_u32_e32 v7, vcc, v8, v7, vcc
	v_add_u32_e32 v8, v10, v14
	v_cmp_gt_u32_e32 vcc, s9, v10
	v_lshlrev_b64 v[16:17], 3, v[8:9]
	v_cndmask_b32_e32 v7, v7, v13, vcc
	v_cndmask_b32_e32 v6, v6, v11, vcc
	v_mov_b32_e32 v11, s20
	v_add_co_u32_e32 v13, vcc, s19, v16
	v_addc_co_u32_e32 v11, vcc, v11, v17, vcc
	v_cmp_gt_u32_e32 vcc, s9, v8
	v_subrev_u32_e32 v8, s9, v8
	v_lshlrev_b64 v[8:9], 3, v[8:9]
	v_mov_b32_e32 v15, s18
	v_add_co_u32_e64 v8, s[0:1], s17, v8
	v_addc_co_u32_e64 v9, s[0:1], v15, v9, s[0:1]
	v_cndmask_b32_e32 v9, v9, v11, vcc
	v_cndmask_b32_e32 v8, v8, v13, vcc
	global_load_dwordx2 v[2:3], v[2:3], off
	s_add_i32 s11, s16, s9
	global_load_dwordx2 v[4:5], v[4:5], off
	s_nop 0
	global_load_dwordx2 v[6:7], v[6:7], off
	s_nop 0
	global_load_dwordx2 v[8:9], v[8:9], off
	s_load_dwordx2 s[6:7], s[4:5], 0x10
	s_load_dwordx2 s[14:15], s[4:5], 0x38
	s_cbranch_execz .LBB800_4
	s_branch .LBB800_11
.LBB800_3:
                                        ; implicit-def: $vgpr2_vgpr3_vgpr4_vgpr5_vgpr6_vgpr7_vgpr8_vgpr9
                                        ; implicit-def: $sgpr11
	s_load_dwordx2 s[6:7], s[4:5], 0x10
	s_load_dwordx2 s[14:15], s[4:5], 0x38
.LBB800_4:
	s_add_i32 s11, s16, s9
	v_cmp_gt_u32_e32 vcc, s11, v0
                                        ; implicit-def: $vgpr2_vgpr3_vgpr4_vgpr5_vgpr6_vgpr7_vgpr8_vgpr9
	s_and_saveexec_b64 s[0:1], vcc
	s_cbranch_execnz .LBB800_32
; %bb.5:
	s_or_b64 exec, exec, s[0:1]
	v_cmp_gt_u32_e32 vcc, s11, v12
	s_and_saveexec_b64 s[2:3], vcc
	s_cbranch_execnz .LBB800_33
.LBB800_6:
	s_or_b64 exec, exec, s[2:3]
	v_cmp_gt_u32_e32 vcc, s11, v10
	s_and_saveexec_b64 s[0:1], vcc
	s_cbranch_execz .LBB800_8
.LBB800_7:
	v_mov_b32_e32 v11, 0
	s_waitcnt vmcnt(1)
	v_lshlrev_b64 v[6:7], 3, v[10:11]
	v_mov_b32_e32 v12, s20
	v_add_co_u32_e32 v13, vcc, s19, v6
	v_addc_co_u32_e32 v12, vcc, v12, v7, vcc
	v_subrev_u32_e32 v6, s9, v10
	v_mov_b32_e32 v7, v11
	v_lshlrev_b64 v[6:7], 3, v[6:7]
	v_mov_b32_e32 v11, s18
	v_add_co_u32_e32 v6, vcc, s17, v6
	v_addc_co_u32_e32 v7, vcc, v11, v7, vcc
	v_cmp_gt_u32_e32 vcc, s9, v10
	v_cndmask_b32_e32 v7, v7, v12, vcc
	v_cndmask_b32_e32 v6, v6, v13, vcc
	global_load_dwordx2 v[6:7], v[6:7], off
.LBB800_8:
	s_or_b64 exec, exec, s[0:1]
	v_add_u32_e32 v10, v10, v14
	v_cmp_gt_u32_e32 vcc, s11, v10
	s_and_saveexec_b64 s[2:3], vcc
	s_cbranch_execz .LBB800_10
; %bb.9:
	v_mov_b32_e32 v11, 0
	s_waitcnt vmcnt(0)
	v_lshlrev_b64 v[8:9], 3, v[10:11]
	v_mov_b32_e32 v12, s20
	v_add_co_u32_e32 v13, vcc, s19, v8
	v_addc_co_u32_e32 v12, vcc, v12, v9, vcc
	v_cmp_gt_u32_e32 vcc, s9, v10
	v_subrev_u32_e32 v10, s9, v10
	v_lshlrev_b64 v[8:9], 3, v[10:11]
	v_mov_b32_e32 v10, s18
	v_add_co_u32_e64 v8, s[0:1], s17, v8
	v_addc_co_u32_e64 v9, s[0:1], v10, v9, s[0:1]
	v_cndmask_b32_e32 v9, v9, v12, vcc
	v_cndmask_b32_e32 v8, v8, v13, vcc
	global_load_dwordx2 v[8:9], v[8:9], off
.LBB800_10:
	s_or_b64 exec, exec, s[2:3]
.LBB800_11:
	v_lshlrev_b32_e32 v10, 2, v0
	v_min_u32_e32 v12, s11, v10
	v_sub_u32_e64 v11, v12, s16 clamp
	v_min_u32_e32 v13, s9, v12
	v_cmp_lt_u32_e32 vcc, v11, v13
	s_waitcnt vmcnt(0)
	ds_write2st64_b64 v1, v[2:3], v[4:5] offset1:4
	ds_write2st64_b64 v1, v[6:7], v[8:9] offset0:8 offset1:12
	s_waitcnt lgkmcnt(0)
	s_barrier
	s_and_saveexec_b64 s[0:1], vcc
	s_cbranch_execz .LBB800_15
; %bb.12:
	v_lshlrev_b32_e32 v14, 3, v12
	v_lshl_add_u32 v14, s9, 3, v14
	s_mov_b64 s[2:3], 0
.LBB800_13:                             ; =>This Inner Loop Header: Depth=1
	v_add_u32_e32 v15, v13, v11
	v_lshrrev_b32_e32 v15, 1, v15
	v_not_b32_e32 v18, v15
	v_lshlrev_b32_e32 v16, 3, v15
	v_lshl_add_u32 v18, v18, 3, v14
	ds_read_b64 v[16:17], v16
	ds_read_b64 v[18:19], v18
	v_add_u32_e32 v20, 1, v15
	s_waitcnt lgkmcnt(1)
	v_and_b32_e32 v17, s15, v17
	v_and_b32_e32 v16, s14, v16
	s_waitcnt lgkmcnt(0)
	v_and_b32_e32 v19, s15, v19
	v_and_b32_e32 v18, s14, v18
	v_cmp_gt_u64_e32 vcc, v[16:17], v[18:19]
	v_cndmask_b32_e32 v13, v13, v15, vcc
	v_cndmask_b32_e32 v11, v20, v11, vcc
	v_cmp_ge_u32_e32 vcc, v11, v13
	s_or_b64 s[2:3], vcc, s[2:3]
	s_andn2_b64 exec, exec, s[2:3]
	s_cbranch_execnz .LBB800_13
; %bb.14:
	s_or_b64 exec, exec, s[2:3]
.LBB800_15:
	s_or_b64 exec, exec, s[0:1]
	v_sub_u32_e32 v12, v12, v11
	v_add_u32_e32 v12, s9, v12
	v_cmp_ge_u32_e32 vcc, s9, v11
	v_cmp_ge_u32_e64 s[0:1], s11, v12
	s_or_b64 s[0:1], vcc, s[0:1]
	s_and_saveexec_b64 s[16:17], s[0:1]
	s_cbranch_execz .LBB800_21
; %bb.16:
	v_cmp_gt_u32_e32 vcc, s9, v11
                                        ; implicit-def: $vgpr2_vgpr3
	s_and_saveexec_b64 s[0:1], vcc
	s_cbranch_execz .LBB800_18
; %bb.17:
	v_lshlrev_b32_e32 v2, 3, v11
	ds_read_b64 v[2:3], v2
.LBB800_18:
	s_or_b64 exec, exec, s[0:1]
	v_cmp_le_u32_e64 s[0:1], s11, v12
	v_cmp_gt_u32_e64 s[2:3], s11, v12
                                        ; implicit-def: $vgpr4_vgpr5
	s_and_saveexec_b64 s[4:5], s[2:3]
	s_cbranch_execz .LBB800_20
; %bb.19:
	v_lshlrev_b32_e32 v4, 3, v12
	ds_read_b64 v[4:5], v4
.LBB800_20:
	s_or_b64 exec, exec, s[4:5]
	s_waitcnt lgkmcnt(0)
	v_and_b32_e32 v7, s15, v5
	v_and_b32_e32 v6, s14, v4
	;; [unrolled: 1-line block ×4, first 2 shown]
	v_cmp_le_u64_e64 s[2:3], v[8:9], v[6:7]
	s_and_b64 s[2:3], vcc, s[2:3]
	s_or_b64 vcc, s[0:1], s[2:3]
	v_mov_b32_e32 v13, s11
	v_mov_b32_e32 v14, s9
	v_cndmask_b32_e32 v6, v12, v11, vcc
	v_cndmask_b32_e32 v7, v13, v14, vcc
	v_add_u32_e32 v8, 1, v6
	v_add_u32_e32 v6, -1, v7
	v_min_u32_e32 v6, v8, v6
	v_lshlrev_b32_e32 v6, 3, v6
	ds_read_b64 v[6:7], v6
	v_cndmask_b32_e32 v12, v8, v12, vcc
	v_cndmask_b32_e32 v11, v11, v8, vcc
	v_cmp_gt_u32_e64 s[2:3], s9, v11
	v_cmp_le_u32_e64 s[0:1], s11, v12
	s_waitcnt lgkmcnt(0)
	v_cndmask_b32_e32 v15, v7, v5, vcc
	v_cndmask_b32_e32 v16, v6, v4, vcc
	;; [unrolled: 1-line block ×4, first 2 shown]
	v_and_b32_e32 v7, s15, v15
	v_and_b32_e32 v6, s14, v16
	;; [unrolled: 1-line block ×4, first 2 shown]
	v_cmp_le_u64_e64 s[4:5], v[8:9], v[6:7]
	s_and_b64 s[2:3], s[2:3], s[4:5]
	s_or_b64 s[0:1], s[0:1], s[2:3]
	v_cndmask_b32_e64 v6, v12, v11, s[0:1]
	v_cndmask_b32_e64 v7, v13, v14, s[0:1]
	v_add_u32_e32 v8, 1, v6
	v_add_u32_e32 v6, -1, v7
	v_min_u32_e32 v6, v8, v6
	v_lshlrev_b32_e32 v6, 3, v6
	ds_read_b64 v[6:7], v6
	v_cndmask_b32_e32 v3, v5, v3, vcc
	v_cndmask_b32_e32 v2, v4, v2, vcc
	v_cndmask_b32_e64 v11, v11, v8, s[0:1]
	v_cndmask_b32_e64 v12, v8, v12, s[0:1]
	s_waitcnt lgkmcnt(0)
	v_cndmask_b32_e64 v19, v7, v15, s[0:1]
	v_cndmask_b32_e64 v20, v6, v16, s[0:1]
	;; [unrolled: 1-line block ×4, first 2 shown]
	v_and_b32_e32 v5, s15, v19
	v_and_b32_e32 v4, s14, v20
	;; [unrolled: 1-line block ×4, first 2 shown]
	v_cmp_gt_u32_e64 s[2:3], s9, v11
	v_cmp_le_u64_e64 s[4:5], v[6:7], v[4:5]
	v_cmp_le_u32_e32 vcc, s11, v12
	s_and_b64 s[2:3], s[2:3], s[4:5]
	s_or_b64 vcc, vcc, s[2:3]
	v_cndmask_b32_e32 v4, v12, v11, vcc
	v_cndmask_b32_e32 v5, v13, v14, vcc
	v_add_u32_e32 v13, 1, v4
	v_add_u32_e32 v4, -1, v5
	v_min_u32_e32 v4, v13, v4
	v_lshlrev_b32_e32 v4, 3, v4
	ds_read_b64 v[8:9], v4
	v_cndmask_b32_e64 v5, v15, v17, s[0:1]
	v_cndmask_b32_e64 v4, v16, v18, s[0:1]
	v_cndmask_b32_e32 v7, v19, v21, vcc
	v_cndmask_b32_e32 v6, v20, v22, vcc
	s_waitcnt lgkmcnt(0)
	v_cndmask_b32_e32 v14, v9, v19, vcc
	v_cndmask_b32_e32 v15, v8, v20, vcc
	;; [unrolled: 1-line block ×6, first 2 shown]
	v_cmp_le_u32_e32 vcc, s11, v8
	v_cmp_gt_u32_e64 s[0:1], s9, v9
	v_and_b32_e32 v9, s15, v14
	v_and_b32_e32 v8, s14, v15
	;; [unrolled: 1-line block ×4, first 2 shown]
	v_cmp_le_u64_e64 s[2:3], v[12:13], v[8:9]
	s_and_b64 s[0:1], s[0:1], s[2:3]
	s_or_b64 vcc, vcc, s[0:1]
	v_cndmask_b32_e32 v9, v14, v16, vcc
	v_cndmask_b32_e32 v8, v15, v17, vcc
.LBB800_21:
	s_or_b64 exec, exec, s[16:17]
	v_and_b32_e32 v11, 0xf8, v0
	v_lshl_add_u32 v10, v10, 3, v11
	s_barrier
	s_barrier
	ds_write2_b64 v10, v[2:3], v[4:5] offset1:1
	ds_write2_b64 v10, v[6:7], v[8:9] offset0:2 offset1:3
	v_lshrrev_b32_e32 v2, 2, v0
	v_and_b32_e32 v2, 56, v2
	v_or_b32_e32 v12, 0x100, v0
	v_add_u32_e32 v13, v1, v2
	v_lshrrev_b32_e32 v2, 2, v12
	v_and_b32_e32 v2, 0x78, v2
	v_or_b32_e32 v11, 0x200, v0
	s_mov_b32 s11, 0
	v_add_u32_e32 v6, v1, v2
	v_lshrrev_b32_e32 v2, 2, v11
	s_lshl_b64 s[0:1], s[10:11], 3
	v_and_b32_e32 v2, 0xb8, v2
	v_or_b32_e32 v10, 0x300, v0
	s_add_u32 s0, s6, s0
	v_add_u32_e32 v7, v1, v2
	v_lshrrev_b32_e32 v2, 2, v10
	s_addc_u32 s1, s7, s1
	v_and_b32_e32 v2, 0xf8, v2
	v_add_u32_e32 v14, v1, v2
	v_mov_b32_e32 v3, s1
	v_add_co_u32_e32 v2, vcc, s0, v1
	v_addc_co_u32_e32 v3, vcc, 0, v3, vcc
	s_and_b64 vcc, exec, s[12:13]
	s_waitcnt lgkmcnt(0)
	s_cbranch_vccz .LBB800_23
; %bb.22:
	s_barrier
	ds_read_b64 v[8:9], v13
	ds_read_b64 v[16:17], v6 offset:2048
	ds_read_b64 v[18:19], v7 offset:4096
	;; [unrolled: 1-line block ×3, first 2 shown]
	s_waitcnt lgkmcnt(3)
	global_store_dwordx2 v[2:3], v[8:9], off
	s_waitcnt lgkmcnt(2)
	global_store_dwordx2 v[2:3], v[16:17], off offset:2048
	v_add_co_u32_e32 v8, vcc, 0x1000, v2
	v_addc_co_u32_e32 v9, vcc, 0, v3, vcc
	s_waitcnt lgkmcnt(1)
	global_store_dwordx2 v[8:9], v[18:19], off
	s_mov_b64 s[0:1], -1
	s_cbranch_execz .LBB800_24
	s_branch .LBB800_29
.LBB800_23:
	s_mov_b64 s[0:1], 0
                                        ; implicit-def: $vgpr4_vgpr5
.LBB800_24:
	s_barrier
	s_waitcnt lgkmcnt(0)
	ds_read_b64 v[8:9], v6 offset:2048
	ds_read_b64 v[6:7], v7 offset:4096
	;; [unrolled: 1-line block ×3, first 2 shown]
	s_sub_i32 s2, s8, s10
	v_cmp_gt_u32_e32 vcc, s2, v0
	s_and_saveexec_b64 s[0:1], vcc
	s_cbranch_execnz .LBB800_34
; %bb.25:
	s_or_b64 exec, exec, s[0:1]
	v_cmp_gt_u32_e32 vcc, s2, v12
	s_and_saveexec_b64 s[0:1], vcc
	s_cbranch_execnz .LBB800_35
.LBB800_26:
	s_or_b64 exec, exec, s[0:1]
	v_cmp_gt_u32_e32 vcc, s2, v11
	s_and_saveexec_b64 s[0:1], vcc
	s_cbranch_execz .LBB800_28
.LBB800_27:
	v_add_co_u32_e32 v0, vcc, 0x1000, v2
	v_addc_co_u32_e32 v1, vcc, 0, v3, vcc
	s_waitcnt lgkmcnt(1)
	global_store_dwordx2 v[0:1], v[6:7], off
.LBB800_28:
	s_or_b64 exec, exec, s[0:1]
	v_cmp_gt_u32_e64 s[0:1], s2, v10
.LBB800_29:
	s_and_saveexec_b64 s[2:3], s[0:1]
	s_cbranch_execz .LBB800_31
; %bb.30:
	v_add_co_u32_e32 v0, vcc, 0x1000, v2
	v_addc_co_u32_e32 v1, vcc, 0, v3, vcc
	s_waitcnt lgkmcnt(0)
	global_store_dwordx2 v[0:1], v[4:5], off offset:2048
.LBB800_31:
	s_endpgm
.LBB800_32:
	s_waitcnt vmcnt(3)
	v_mov_b32_e32 v2, s20
	s_waitcnt vmcnt(2)
	v_add_co_u32_e32 v4, vcc, s19, v1
	v_mov_b32_e32 v3, 0
	v_addc_co_u32_e32 v5, vcc, 0, v2, vcc
	v_subrev_u32_e32 v2, s9, v0
	v_lshlrev_b64 v[2:3], 3, v[2:3]
	s_waitcnt vmcnt(1)
	v_mov_b32_e32 v6, s18
	v_add_co_u32_e32 v2, vcc, s17, v2
	v_addc_co_u32_e32 v3, vcc, v6, v3, vcc
	v_cmp_gt_u32_e32 vcc, s9, v0
	v_cndmask_b32_e32 v3, v3, v5, vcc
	v_cndmask_b32_e32 v2, v2, v4, vcc
	global_load_dwordx2 v[2:3], v[2:3], off
	s_or_b64 exec, exec, s[0:1]
	v_cmp_gt_u32_e32 vcc, s11, v12
	s_and_saveexec_b64 s[2:3], vcc
	s_cbranch_execz .LBB800_6
.LBB800_33:
	v_mov_b32_e32 v13, 0
	s_waitcnt vmcnt(2)
	v_lshlrev_b64 v[4:5], 3, v[12:13]
	v_mov_b32_e32 v11, s20
	v_add_co_u32_e32 v15, vcc, s19, v4
	v_addc_co_u32_e32 v11, vcc, v11, v5, vcc
	v_cmp_gt_u32_e32 vcc, s9, v12
	v_subrev_u32_e32 v12, s9, v12
	v_lshlrev_b64 v[4:5], 3, v[12:13]
	v_mov_b32_e32 v12, s18
	v_add_co_u32_e64 v4, s[0:1], s17, v4
	v_addc_co_u32_e64 v5, s[0:1], v12, v5, s[0:1]
	v_cndmask_b32_e32 v5, v5, v11, vcc
	v_cndmask_b32_e32 v4, v4, v15, vcc
	global_load_dwordx2 v[4:5], v[4:5], off
	s_or_b64 exec, exec, s[2:3]
	v_cmp_gt_u32_e32 vcc, s11, v10
	s_and_saveexec_b64 s[0:1], vcc
	s_cbranch_execnz .LBB800_7
	s_branch .LBB800_8
.LBB800_34:
	ds_read_b64 v[0:1], v13
	s_waitcnt lgkmcnt(0)
	global_store_dwordx2 v[2:3], v[0:1], off
	s_or_b64 exec, exec, s[0:1]
	v_cmp_gt_u32_e32 vcc, s2, v12
	s_and_saveexec_b64 s[0:1], vcc
	s_cbranch_execz .LBB800_26
.LBB800_35:
	s_waitcnt lgkmcnt(2)
	global_store_dwordx2 v[2:3], v[8:9], off offset:2048
	s_or_b64 exec, exec, s[0:1]
	v_cmp_gt_u32_e32 vcc, s2, v11
	s_and_saveexec_b64 s[0:1], vcc
	s_cbranch_execnz .LBB800_27
	s_branch .LBB800_28
	.section	.rodata,"a",@progbits
	.p2align	6, 0x0
	.amdhsa_kernel _ZN7rocprim17ROCPRIM_400000_NS6detail17trampoline_kernelINS0_14default_configENS1_38merge_sort_block_merge_config_selectorIyNS0_10empty_typeEEEZZNS1_27merge_sort_block_merge_implIS3_N6thrust23THRUST_200600_302600_NS6detail15normal_iteratorINS9_10device_ptrIyEEEEPS5_jNS1_19radix_merge_compareILb0ELb1EyNS0_19identity_decomposerEEEEE10hipError_tT0_T1_T2_jT3_P12ihipStream_tbPNSt15iterator_traitsISK_E10value_typeEPNSQ_ISL_E10value_typeEPSM_NS1_7vsmem_tEENKUlT_SK_SL_SM_E_clIPySE_SF_SF_EESJ_SZ_SK_SL_SM_EUlSZ_E0_NS1_11comp_targetILNS1_3genE4ELNS1_11target_archE910ELNS1_3gpuE8ELNS1_3repE0EEENS1_38merge_mergepath_config_static_selectorELNS0_4arch9wavefront6targetE1EEEvSL_
		.amdhsa_group_segment_fixed_size 8448
		.amdhsa_private_segment_fixed_size 0
		.amdhsa_kernarg_size 328
		.amdhsa_user_sgpr_count 6
		.amdhsa_user_sgpr_private_segment_buffer 1
		.amdhsa_user_sgpr_dispatch_ptr 0
		.amdhsa_user_sgpr_queue_ptr 0
		.amdhsa_user_sgpr_kernarg_segment_ptr 1
		.amdhsa_user_sgpr_dispatch_id 0
		.amdhsa_user_sgpr_flat_scratch_init 0
		.amdhsa_user_sgpr_kernarg_preload_length 0
		.amdhsa_user_sgpr_kernarg_preload_offset 0
		.amdhsa_user_sgpr_private_segment_size 0
		.amdhsa_uses_dynamic_stack 0
		.amdhsa_system_sgpr_private_segment_wavefront_offset 0
		.amdhsa_system_sgpr_workgroup_id_x 1
		.amdhsa_system_sgpr_workgroup_id_y 1
		.amdhsa_system_sgpr_workgroup_id_z 1
		.amdhsa_system_sgpr_workgroup_info 0
		.amdhsa_system_vgpr_workitem_id 0
		.amdhsa_next_free_vgpr 23
		.amdhsa_next_free_sgpr 26
		.amdhsa_accum_offset 24
		.amdhsa_reserve_vcc 1
		.amdhsa_reserve_flat_scratch 0
		.amdhsa_float_round_mode_32 0
		.amdhsa_float_round_mode_16_64 0
		.amdhsa_float_denorm_mode_32 3
		.amdhsa_float_denorm_mode_16_64 3
		.amdhsa_dx10_clamp 1
		.amdhsa_ieee_mode 1
		.amdhsa_fp16_overflow 0
		.amdhsa_tg_split 0
		.amdhsa_exception_fp_ieee_invalid_op 0
		.amdhsa_exception_fp_denorm_src 0
		.amdhsa_exception_fp_ieee_div_zero 0
		.amdhsa_exception_fp_ieee_overflow 0
		.amdhsa_exception_fp_ieee_underflow 0
		.amdhsa_exception_fp_ieee_inexact 0
		.amdhsa_exception_int_div_zero 0
	.end_amdhsa_kernel
	.section	.text._ZN7rocprim17ROCPRIM_400000_NS6detail17trampoline_kernelINS0_14default_configENS1_38merge_sort_block_merge_config_selectorIyNS0_10empty_typeEEEZZNS1_27merge_sort_block_merge_implIS3_N6thrust23THRUST_200600_302600_NS6detail15normal_iteratorINS9_10device_ptrIyEEEEPS5_jNS1_19radix_merge_compareILb0ELb1EyNS0_19identity_decomposerEEEEE10hipError_tT0_T1_T2_jT3_P12ihipStream_tbPNSt15iterator_traitsISK_E10value_typeEPNSQ_ISL_E10value_typeEPSM_NS1_7vsmem_tEENKUlT_SK_SL_SM_E_clIPySE_SF_SF_EESJ_SZ_SK_SL_SM_EUlSZ_E0_NS1_11comp_targetILNS1_3genE4ELNS1_11target_archE910ELNS1_3gpuE8ELNS1_3repE0EEENS1_38merge_mergepath_config_static_selectorELNS0_4arch9wavefront6targetE1EEEvSL_,"axG",@progbits,_ZN7rocprim17ROCPRIM_400000_NS6detail17trampoline_kernelINS0_14default_configENS1_38merge_sort_block_merge_config_selectorIyNS0_10empty_typeEEEZZNS1_27merge_sort_block_merge_implIS3_N6thrust23THRUST_200600_302600_NS6detail15normal_iteratorINS9_10device_ptrIyEEEEPS5_jNS1_19radix_merge_compareILb0ELb1EyNS0_19identity_decomposerEEEEE10hipError_tT0_T1_T2_jT3_P12ihipStream_tbPNSt15iterator_traitsISK_E10value_typeEPNSQ_ISL_E10value_typeEPSM_NS1_7vsmem_tEENKUlT_SK_SL_SM_E_clIPySE_SF_SF_EESJ_SZ_SK_SL_SM_EUlSZ_E0_NS1_11comp_targetILNS1_3genE4ELNS1_11target_archE910ELNS1_3gpuE8ELNS1_3repE0EEENS1_38merge_mergepath_config_static_selectorELNS0_4arch9wavefront6targetE1EEEvSL_,comdat
.Lfunc_end800:
	.size	_ZN7rocprim17ROCPRIM_400000_NS6detail17trampoline_kernelINS0_14default_configENS1_38merge_sort_block_merge_config_selectorIyNS0_10empty_typeEEEZZNS1_27merge_sort_block_merge_implIS3_N6thrust23THRUST_200600_302600_NS6detail15normal_iteratorINS9_10device_ptrIyEEEEPS5_jNS1_19radix_merge_compareILb0ELb1EyNS0_19identity_decomposerEEEEE10hipError_tT0_T1_T2_jT3_P12ihipStream_tbPNSt15iterator_traitsISK_E10value_typeEPNSQ_ISL_E10value_typeEPSM_NS1_7vsmem_tEENKUlT_SK_SL_SM_E_clIPySE_SF_SF_EESJ_SZ_SK_SL_SM_EUlSZ_E0_NS1_11comp_targetILNS1_3genE4ELNS1_11target_archE910ELNS1_3gpuE8ELNS1_3repE0EEENS1_38merge_mergepath_config_static_selectorELNS0_4arch9wavefront6targetE1EEEvSL_, .Lfunc_end800-_ZN7rocprim17ROCPRIM_400000_NS6detail17trampoline_kernelINS0_14default_configENS1_38merge_sort_block_merge_config_selectorIyNS0_10empty_typeEEEZZNS1_27merge_sort_block_merge_implIS3_N6thrust23THRUST_200600_302600_NS6detail15normal_iteratorINS9_10device_ptrIyEEEEPS5_jNS1_19radix_merge_compareILb0ELb1EyNS0_19identity_decomposerEEEEE10hipError_tT0_T1_T2_jT3_P12ihipStream_tbPNSt15iterator_traitsISK_E10value_typeEPNSQ_ISL_E10value_typeEPSM_NS1_7vsmem_tEENKUlT_SK_SL_SM_E_clIPySE_SF_SF_EESJ_SZ_SK_SL_SM_EUlSZ_E0_NS1_11comp_targetILNS1_3genE4ELNS1_11target_archE910ELNS1_3gpuE8ELNS1_3repE0EEENS1_38merge_mergepath_config_static_selectorELNS0_4arch9wavefront6targetE1EEEvSL_
                                        ; -- End function
	.section	.AMDGPU.csdata,"",@progbits
; Kernel info:
; codeLenInByte = 2284
; NumSgprs: 30
; NumVgprs: 23
; NumAgprs: 0
; TotalNumVgprs: 23
; ScratchSize: 0
; MemoryBound: 0
; FloatMode: 240
; IeeeMode: 1
; LDSByteSize: 8448 bytes/workgroup (compile time only)
; SGPRBlocks: 3
; VGPRBlocks: 2
; NumSGPRsForWavesPerEU: 30
; NumVGPRsForWavesPerEU: 23
; AccumOffset: 24
; Occupancy: 7
; WaveLimiterHint : 1
; COMPUTE_PGM_RSRC2:SCRATCH_EN: 0
; COMPUTE_PGM_RSRC2:USER_SGPR: 6
; COMPUTE_PGM_RSRC2:TRAP_HANDLER: 0
; COMPUTE_PGM_RSRC2:TGID_X_EN: 1
; COMPUTE_PGM_RSRC2:TGID_Y_EN: 1
; COMPUTE_PGM_RSRC2:TGID_Z_EN: 1
; COMPUTE_PGM_RSRC2:TIDIG_COMP_CNT: 0
; COMPUTE_PGM_RSRC3_GFX90A:ACCUM_OFFSET: 5
; COMPUTE_PGM_RSRC3_GFX90A:TG_SPLIT: 0
	.section	.text._ZN7rocprim17ROCPRIM_400000_NS6detail17trampoline_kernelINS0_14default_configENS1_38merge_sort_block_merge_config_selectorIyNS0_10empty_typeEEEZZNS1_27merge_sort_block_merge_implIS3_N6thrust23THRUST_200600_302600_NS6detail15normal_iteratorINS9_10device_ptrIyEEEEPS5_jNS1_19radix_merge_compareILb0ELb1EyNS0_19identity_decomposerEEEEE10hipError_tT0_T1_T2_jT3_P12ihipStream_tbPNSt15iterator_traitsISK_E10value_typeEPNSQ_ISL_E10value_typeEPSM_NS1_7vsmem_tEENKUlT_SK_SL_SM_E_clIPySE_SF_SF_EESJ_SZ_SK_SL_SM_EUlSZ_E0_NS1_11comp_targetILNS1_3genE3ELNS1_11target_archE908ELNS1_3gpuE7ELNS1_3repE0EEENS1_38merge_mergepath_config_static_selectorELNS0_4arch9wavefront6targetE1EEEvSL_,"axG",@progbits,_ZN7rocprim17ROCPRIM_400000_NS6detail17trampoline_kernelINS0_14default_configENS1_38merge_sort_block_merge_config_selectorIyNS0_10empty_typeEEEZZNS1_27merge_sort_block_merge_implIS3_N6thrust23THRUST_200600_302600_NS6detail15normal_iteratorINS9_10device_ptrIyEEEEPS5_jNS1_19radix_merge_compareILb0ELb1EyNS0_19identity_decomposerEEEEE10hipError_tT0_T1_T2_jT3_P12ihipStream_tbPNSt15iterator_traitsISK_E10value_typeEPNSQ_ISL_E10value_typeEPSM_NS1_7vsmem_tEENKUlT_SK_SL_SM_E_clIPySE_SF_SF_EESJ_SZ_SK_SL_SM_EUlSZ_E0_NS1_11comp_targetILNS1_3genE3ELNS1_11target_archE908ELNS1_3gpuE7ELNS1_3repE0EEENS1_38merge_mergepath_config_static_selectorELNS0_4arch9wavefront6targetE1EEEvSL_,comdat
	.protected	_ZN7rocprim17ROCPRIM_400000_NS6detail17trampoline_kernelINS0_14default_configENS1_38merge_sort_block_merge_config_selectorIyNS0_10empty_typeEEEZZNS1_27merge_sort_block_merge_implIS3_N6thrust23THRUST_200600_302600_NS6detail15normal_iteratorINS9_10device_ptrIyEEEEPS5_jNS1_19radix_merge_compareILb0ELb1EyNS0_19identity_decomposerEEEEE10hipError_tT0_T1_T2_jT3_P12ihipStream_tbPNSt15iterator_traitsISK_E10value_typeEPNSQ_ISL_E10value_typeEPSM_NS1_7vsmem_tEENKUlT_SK_SL_SM_E_clIPySE_SF_SF_EESJ_SZ_SK_SL_SM_EUlSZ_E0_NS1_11comp_targetILNS1_3genE3ELNS1_11target_archE908ELNS1_3gpuE7ELNS1_3repE0EEENS1_38merge_mergepath_config_static_selectorELNS0_4arch9wavefront6targetE1EEEvSL_ ; -- Begin function _ZN7rocprim17ROCPRIM_400000_NS6detail17trampoline_kernelINS0_14default_configENS1_38merge_sort_block_merge_config_selectorIyNS0_10empty_typeEEEZZNS1_27merge_sort_block_merge_implIS3_N6thrust23THRUST_200600_302600_NS6detail15normal_iteratorINS9_10device_ptrIyEEEEPS5_jNS1_19radix_merge_compareILb0ELb1EyNS0_19identity_decomposerEEEEE10hipError_tT0_T1_T2_jT3_P12ihipStream_tbPNSt15iterator_traitsISK_E10value_typeEPNSQ_ISL_E10value_typeEPSM_NS1_7vsmem_tEENKUlT_SK_SL_SM_E_clIPySE_SF_SF_EESJ_SZ_SK_SL_SM_EUlSZ_E0_NS1_11comp_targetILNS1_3genE3ELNS1_11target_archE908ELNS1_3gpuE7ELNS1_3repE0EEENS1_38merge_mergepath_config_static_selectorELNS0_4arch9wavefront6targetE1EEEvSL_
	.globl	_ZN7rocprim17ROCPRIM_400000_NS6detail17trampoline_kernelINS0_14default_configENS1_38merge_sort_block_merge_config_selectorIyNS0_10empty_typeEEEZZNS1_27merge_sort_block_merge_implIS3_N6thrust23THRUST_200600_302600_NS6detail15normal_iteratorINS9_10device_ptrIyEEEEPS5_jNS1_19radix_merge_compareILb0ELb1EyNS0_19identity_decomposerEEEEE10hipError_tT0_T1_T2_jT3_P12ihipStream_tbPNSt15iterator_traitsISK_E10value_typeEPNSQ_ISL_E10value_typeEPSM_NS1_7vsmem_tEENKUlT_SK_SL_SM_E_clIPySE_SF_SF_EESJ_SZ_SK_SL_SM_EUlSZ_E0_NS1_11comp_targetILNS1_3genE3ELNS1_11target_archE908ELNS1_3gpuE7ELNS1_3repE0EEENS1_38merge_mergepath_config_static_selectorELNS0_4arch9wavefront6targetE1EEEvSL_
	.p2align	8
	.type	_ZN7rocprim17ROCPRIM_400000_NS6detail17trampoline_kernelINS0_14default_configENS1_38merge_sort_block_merge_config_selectorIyNS0_10empty_typeEEEZZNS1_27merge_sort_block_merge_implIS3_N6thrust23THRUST_200600_302600_NS6detail15normal_iteratorINS9_10device_ptrIyEEEEPS5_jNS1_19radix_merge_compareILb0ELb1EyNS0_19identity_decomposerEEEEE10hipError_tT0_T1_T2_jT3_P12ihipStream_tbPNSt15iterator_traitsISK_E10value_typeEPNSQ_ISL_E10value_typeEPSM_NS1_7vsmem_tEENKUlT_SK_SL_SM_E_clIPySE_SF_SF_EESJ_SZ_SK_SL_SM_EUlSZ_E0_NS1_11comp_targetILNS1_3genE3ELNS1_11target_archE908ELNS1_3gpuE7ELNS1_3repE0EEENS1_38merge_mergepath_config_static_selectorELNS0_4arch9wavefront6targetE1EEEvSL_,@function
_ZN7rocprim17ROCPRIM_400000_NS6detail17trampoline_kernelINS0_14default_configENS1_38merge_sort_block_merge_config_selectorIyNS0_10empty_typeEEEZZNS1_27merge_sort_block_merge_implIS3_N6thrust23THRUST_200600_302600_NS6detail15normal_iteratorINS9_10device_ptrIyEEEEPS5_jNS1_19radix_merge_compareILb0ELb1EyNS0_19identity_decomposerEEEEE10hipError_tT0_T1_T2_jT3_P12ihipStream_tbPNSt15iterator_traitsISK_E10value_typeEPNSQ_ISL_E10value_typeEPSM_NS1_7vsmem_tEENKUlT_SK_SL_SM_E_clIPySE_SF_SF_EESJ_SZ_SK_SL_SM_EUlSZ_E0_NS1_11comp_targetILNS1_3genE3ELNS1_11target_archE908ELNS1_3gpuE7ELNS1_3repE0EEENS1_38merge_mergepath_config_static_selectorELNS0_4arch9wavefront6targetE1EEEvSL_: ; @_ZN7rocprim17ROCPRIM_400000_NS6detail17trampoline_kernelINS0_14default_configENS1_38merge_sort_block_merge_config_selectorIyNS0_10empty_typeEEEZZNS1_27merge_sort_block_merge_implIS3_N6thrust23THRUST_200600_302600_NS6detail15normal_iteratorINS9_10device_ptrIyEEEEPS5_jNS1_19radix_merge_compareILb0ELb1EyNS0_19identity_decomposerEEEEE10hipError_tT0_T1_T2_jT3_P12ihipStream_tbPNSt15iterator_traitsISK_E10value_typeEPNSQ_ISL_E10value_typeEPSM_NS1_7vsmem_tEENKUlT_SK_SL_SM_E_clIPySE_SF_SF_EESJ_SZ_SK_SL_SM_EUlSZ_E0_NS1_11comp_targetILNS1_3genE3ELNS1_11target_archE908ELNS1_3gpuE7ELNS1_3repE0EEENS1_38merge_mergepath_config_static_selectorELNS0_4arch9wavefront6targetE1EEEvSL_
; %bb.0:
	.section	.rodata,"a",@progbits
	.p2align	6, 0x0
	.amdhsa_kernel _ZN7rocprim17ROCPRIM_400000_NS6detail17trampoline_kernelINS0_14default_configENS1_38merge_sort_block_merge_config_selectorIyNS0_10empty_typeEEEZZNS1_27merge_sort_block_merge_implIS3_N6thrust23THRUST_200600_302600_NS6detail15normal_iteratorINS9_10device_ptrIyEEEEPS5_jNS1_19radix_merge_compareILb0ELb1EyNS0_19identity_decomposerEEEEE10hipError_tT0_T1_T2_jT3_P12ihipStream_tbPNSt15iterator_traitsISK_E10value_typeEPNSQ_ISL_E10value_typeEPSM_NS1_7vsmem_tEENKUlT_SK_SL_SM_E_clIPySE_SF_SF_EESJ_SZ_SK_SL_SM_EUlSZ_E0_NS1_11comp_targetILNS1_3genE3ELNS1_11target_archE908ELNS1_3gpuE7ELNS1_3repE0EEENS1_38merge_mergepath_config_static_selectorELNS0_4arch9wavefront6targetE1EEEvSL_
		.amdhsa_group_segment_fixed_size 0
		.amdhsa_private_segment_fixed_size 0
		.amdhsa_kernarg_size 72
		.amdhsa_user_sgpr_count 6
		.amdhsa_user_sgpr_private_segment_buffer 1
		.amdhsa_user_sgpr_dispatch_ptr 0
		.amdhsa_user_sgpr_queue_ptr 0
		.amdhsa_user_sgpr_kernarg_segment_ptr 1
		.amdhsa_user_sgpr_dispatch_id 0
		.amdhsa_user_sgpr_flat_scratch_init 0
		.amdhsa_user_sgpr_kernarg_preload_length 0
		.amdhsa_user_sgpr_kernarg_preload_offset 0
		.amdhsa_user_sgpr_private_segment_size 0
		.amdhsa_uses_dynamic_stack 0
		.amdhsa_system_sgpr_private_segment_wavefront_offset 0
		.amdhsa_system_sgpr_workgroup_id_x 1
		.amdhsa_system_sgpr_workgroup_id_y 0
		.amdhsa_system_sgpr_workgroup_id_z 0
		.amdhsa_system_sgpr_workgroup_info 0
		.amdhsa_system_vgpr_workitem_id 0
		.amdhsa_next_free_vgpr 1
		.amdhsa_next_free_sgpr 0
		.amdhsa_accum_offset 4
		.amdhsa_reserve_vcc 0
		.amdhsa_reserve_flat_scratch 0
		.amdhsa_float_round_mode_32 0
		.amdhsa_float_round_mode_16_64 0
		.amdhsa_float_denorm_mode_32 3
		.amdhsa_float_denorm_mode_16_64 3
		.amdhsa_dx10_clamp 1
		.amdhsa_ieee_mode 1
		.amdhsa_fp16_overflow 0
		.amdhsa_tg_split 0
		.amdhsa_exception_fp_ieee_invalid_op 0
		.amdhsa_exception_fp_denorm_src 0
		.amdhsa_exception_fp_ieee_div_zero 0
		.amdhsa_exception_fp_ieee_overflow 0
		.amdhsa_exception_fp_ieee_underflow 0
		.amdhsa_exception_fp_ieee_inexact 0
		.amdhsa_exception_int_div_zero 0
	.end_amdhsa_kernel
	.section	.text._ZN7rocprim17ROCPRIM_400000_NS6detail17trampoline_kernelINS0_14default_configENS1_38merge_sort_block_merge_config_selectorIyNS0_10empty_typeEEEZZNS1_27merge_sort_block_merge_implIS3_N6thrust23THRUST_200600_302600_NS6detail15normal_iteratorINS9_10device_ptrIyEEEEPS5_jNS1_19radix_merge_compareILb0ELb1EyNS0_19identity_decomposerEEEEE10hipError_tT0_T1_T2_jT3_P12ihipStream_tbPNSt15iterator_traitsISK_E10value_typeEPNSQ_ISL_E10value_typeEPSM_NS1_7vsmem_tEENKUlT_SK_SL_SM_E_clIPySE_SF_SF_EESJ_SZ_SK_SL_SM_EUlSZ_E0_NS1_11comp_targetILNS1_3genE3ELNS1_11target_archE908ELNS1_3gpuE7ELNS1_3repE0EEENS1_38merge_mergepath_config_static_selectorELNS0_4arch9wavefront6targetE1EEEvSL_,"axG",@progbits,_ZN7rocprim17ROCPRIM_400000_NS6detail17trampoline_kernelINS0_14default_configENS1_38merge_sort_block_merge_config_selectorIyNS0_10empty_typeEEEZZNS1_27merge_sort_block_merge_implIS3_N6thrust23THRUST_200600_302600_NS6detail15normal_iteratorINS9_10device_ptrIyEEEEPS5_jNS1_19radix_merge_compareILb0ELb1EyNS0_19identity_decomposerEEEEE10hipError_tT0_T1_T2_jT3_P12ihipStream_tbPNSt15iterator_traitsISK_E10value_typeEPNSQ_ISL_E10value_typeEPSM_NS1_7vsmem_tEENKUlT_SK_SL_SM_E_clIPySE_SF_SF_EESJ_SZ_SK_SL_SM_EUlSZ_E0_NS1_11comp_targetILNS1_3genE3ELNS1_11target_archE908ELNS1_3gpuE7ELNS1_3repE0EEENS1_38merge_mergepath_config_static_selectorELNS0_4arch9wavefront6targetE1EEEvSL_,comdat
.Lfunc_end801:
	.size	_ZN7rocprim17ROCPRIM_400000_NS6detail17trampoline_kernelINS0_14default_configENS1_38merge_sort_block_merge_config_selectorIyNS0_10empty_typeEEEZZNS1_27merge_sort_block_merge_implIS3_N6thrust23THRUST_200600_302600_NS6detail15normal_iteratorINS9_10device_ptrIyEEEEPS5_jNS1_19radix_merge_compareILb0ELb1EyNS0_19identity_decomposerEEEEE10hipError_tT0_T1_T2_jT3_P12ihipStream_tbPNSt15iterator_traitsISK_E10value_typeEPNSQ_ISL_E10value_typeEPSM_NS1_7vsmem_tEENKUlT_SK_SL_SM_E_clIPySE_SF_SF_EESJ_SZ_SK_SL_SM_EUlSZ_E0_NS1_11comp_targetILNS1_3genE3ELNS1_11target_archE908ELNS1_3gpuE7ELNS1_3repE0EEENS1_38merge_mergepath_config_static_selectorELNS0_4arch9wavefront6targetE1EEEvSL_, .Lfunc_end801-_ZN7rocprim17ROCPRIM_400000_NS6detail17trampoline_kernelINS0_14default_configENS1_38merge_sort_block_merge_config_selectorIyNS0_10empty_typeEEEZZNS1_27merge_sort_block_merge_implIS3_N6thrust23THRUST_200600_302600_NS6detail15normal_iteratorINS9_10device_ptrIyEEEEPS5_jNS1_19radix_merge_compareILb0ELb1EyNS0_19identity_decomposerEEEEE10hipError_tT0_T1_T2_jT3_P12ihipStream_tbPNSt15iterator_traitsISK_E10value_typeEPNSQ_ISL_E10value_typeEPSM_NS1_7vsmem_tEENKUlT_SK_SL_SM_E_clIPySE_SF_SF_EESJ_SZ_SK_SL_SM_EUlSZ_E0_NS1_11comp_targetILNS1_3genE3ELNS1_11target_archE908ELNS1_3gpuE7ELNS1_3repE0EEENS1_38merge_mergepath_config_static_selectorELNS0_4arch9wavefront6targetE1EEEvSL_
                                        ; -- End function
	.section	.AMDGPU.csdata,"",@progbits
; Kernel info:
; codeLenInByte = 0
; NumSgprs: 4
; NumVgprs: 0
; NumAgprs: 0
; TotalNumVgprs: 0
; ScratchSize: 0
; MemoryBound: 0
; FloatMode: 240
; IeeeMode: 1
; LDSByteSize: 0 bytes/workgroup (compile time only)
; SGPRBlocks: 0
; VGPRBlocks: 0
; NumSGPRsForWavesPerEU: 4
; NumVGPRsForWavesPerEU: 1
; AccumOffset: 4
; Occupancy: 8
; WaveLimiterHint : 0
; COMPUTE_PGM_RSRC2:SCRATCH_EN: 0
; COMPUTE_PGM_RSRC2:USER_SGPR: 6
; COMPUTE_PGM_RSRC2:TRAP_HANDLER: 0
; COMPUTE_PGM_RSRC2:TGID_X_EN: 1
; COMPUTE_PGM_RSRC2:TGID_Y_EN: 0
; COMPUTE_PGM_RSRC2:TGID_Z_EN: 0
; COMPUTE_PGM_RSRC2:TIDIG_COMP_CNT: 0
; COMPUTE_PGM_RSRC3_GFX90A:ACCUM_OFFSET: 0
; COMPUTE_PGM_RSRC3_GFX90A:TG_SPLIT: 0
	.section	.text._ZN7rocprim17ROCPRIM_400000_NS6detail17trampoline_kernelINS0_14default_configENS1_38merge_sort_block_merge_config_selectorIyNS0_10empty_typeEEEZZNS1_27merge_sort_block_merge_implIS3_N6thrust23THRUST_200600_302600_NS6detail15normal_iteratorINS9_10device_ptrIyEEEEPS5_jNS1_19radix_merge_compareILb0ELb1EyNS0_19identity_decomposerEEEEE10hipError_tT0_T1_T2_jT3_P12ihipStream_tbPNSt15iterator_traitsISK_E10value_typeEPNSQ_ISL_E10value_typeEPSM_NS1_7vsmem_tEENKUlT_SK_SL_SM_E_clIPySE_SF_SF_EESJ_SZ_SK_SL_SM_EUlSZ_E0_NS1_11comp_targetILNS1_3genE2ELNS1_11target_archE906ELNS1_3gpuE6ELNS1_3repE0EEENS1_38merge_mergepath_config_static_selectorELNS0_4arch9wavefront6targetE1EEEvSL_,"axG",@progbits,_ZN7rocprim17ROCPRIM_400000_NS6detail17trampoline_kernelINS0_14default_configENS1_38merge_sort_block_merge_config_selectorIyNS0_10empty_typeEEEZZNS1_27merge_sort_block_merge_implIS3_N6thrust23THRUST_200600_302600_NS6detail15normal_iteratorINS9_10device_ptrIyEEEEPS5_jNS1_19radix_merge_compareILb0ELb1EyNS0_19identity_decomposerEEEEE10hipError_tT0_T1_T2_jT3_P12ihipStream_tbPNSt15iterator_traitsISK_E10value_typeEPNSQ_ISL_E10value_typeEPSM_NS1_7vsmem_tEENKUlT_SK_SL_SM_E_clIPySE_SF_SF_EESJ_SZ_SK_SL_SM_EUlSZ_E0_NS1_11comp_targetILNS1_3genE2ELNS1_11target_archE906ELNS1_3gpuE6ELNS1_3repE0EEENS1_38merge_mergepath_config_static_selectorELNS0_4arch9wavefront6targetE1EEEvSL_,comdat
	.protected	_ZN7rocprim17ROCPRIM_400000_NS6detail17trampoline_kernelINS0_14default_configENS1_38merge_sort_block_merge_config_selectorIyNS0_10empty_typeEEEZZNS1_27merge_sort_block_merge_implIS3_N6thrust23THRUST_200600_302600_NS6detail15normal_iteratorINS9_10device_ptrIyEEEEPS5_jNS1_19radix_merge_compareILb0ELb1EyNS0_19identity_decomposerEEEEE10hipError_tT0_T1_T2_jT3_P12ihipStream_tbPNSt15iterator_traitsISK_E10value_typeEPNSQ_ISL_E10value_typeEPSM_NS1_7vsmem_tEENKUlT_SK_SL_SM_E_clIPySE_SF_SF_EESJ_SZ_SK_SL_SM_EUlSZ_E0_NS1_11comp_targetILNS1_3genE2ELNS1_11target_archE906ELNS1_3gpuE6ELNS1_3repE0EEENS1_38merge_mergepath_config_static_selectorELNS0_4arch9wavefront6targetE1EEEvSL_ ; -- Begin function _ZN7rocprim17ROCPRIM_400000_NS6detail17trampoline_kernelINS0_14default_configENS1_38merge_sort_block_merge_config_selectorIyNS0_10empty_typeEEEZZNS1_27merge_sort_block_merge_implIS3_N6thrust23THRUST_200600_302600_NS6detail15normal_iteratorINS9_10device_ptrIyEEEEPS5_jNS1_19radix_merge_compareILb0ELb1EyNS0_19identity_decomposerEEEEE10hipError_tT0_T1_T2_jT3_P12ihipStream_tbPNSt15iterator_traitsISK_E10value_typeEPNSQ_ISL_E10value_typeEPSM_NS1_7vsmem_tEENKUlT_SK_SL_SM_E_clIPySE_SF_SF_EESJ_SZ_SK_SL_SM_EUlSZ_E0_NS1_11comp_targetILNS1_3genE2ELNS1_11target_archE906ELNS1_3gpuE6ELNS1_3repE0EEENS1_38merge_mergepath_config_static_selectorELNS0_4arch9wavefront6targetE1EEEvSL_
	.globl	_ZN7rocprim17ROCPRIM_400000_NS6detail17trampoline_kernelINS0_14default_configENS1_38merge_sort_block_merge_config_selectorIyNS0_10empty_typeEEEZZNS1_27merge_sort_block_merge_implIS3_N6thrust23THRUST_200600_302600_NS6detail15normal_iteratorINS9_10device_ptrIyEEEEPS5_jNS1_19radix_merge_compareILb0ELb1EyNS0_19identity_decomposerEEEEE10hipError_tT0_T1_T2_jT3_P12ihipStream_tbPNSt15iterator_traitsISK_E10value_typeEPNSQ_ISL_E10value_typeEPSM_NS1_7vsmem_tEENKUlT_SK_SL_SM_E_clIPySE_SF_SF_EESJ_SZ_SK_SL_SM_EUlSZ_E0_NS1_11comp_targetILNS1_3genE2ELNS1_11target_archE906ELNS1_3gpuE6ELNS1_3repE0EEENS1_38merge_mergepath_config_static_selectorELNS0_4arch9wavefront6targetE1EEEvSL_
	.p2align	8
	.type	_ZN7rocprim17ROCPRIM_400000_NS6detail17trampoline_kernelINS0_14default_configENS1_38merge_sort_block_merge_config_selectorIyNS0_10empty_typeEEEZZNS1_27merge_sort_block_merge_implIS3_N6thrust23THRUST_200600_302600_NS6detail15normal_iteratorINS9_10device_ptrIyEEEEPS5_jNS1_19radix_merge_compareILb0ELb1EyNS0_19identity_decomposerEEEEE10hipError_tT0_T1_T2_jT3_P12ihipStream_tbPNSt15iterator_traitsISK_E10value_typeEPNSQ_ISL_E10value_typeEPSM_NS1_7vsmem_tEENKUlT_SK_SL_SM_E_clIPySE_SF_SF_EESJ_SZ_SK_SL_SM_EUlSZ_E0_NS1_11comp_targetILNS1_3genE2ELNS1_11target_archE906ELNS1_3gpuE6ELNS1_3repE0EEENS1_38merge_mergepath_config_static_selectorELNS0_4arch9wavefront6targetE1EEEvSL_,@function
_ZN7rocprim17ROCPRIM_400000_NS6detail17trampoline_kernelINS0_14default_configENS1_38merge_sort_block_merge_config_selectorIyNS0_10empty_typeEEEZZNS1_27merge_sort_block_merge_implIS3_N6thrust23THRUST_200600_302600_NS6detail15normal_iteratorINS9_10device_ptrIyEEEEPS5_jNS1_19radix_merge_compareILb0ELb1EyNS0_19identity_decomposerEEEEE10hipError_tT0_T1_T2_jT3_P12ihipStream_tbPNSt15iterator_traitsISK_E10value_typeEPNSQ_ISL_E10value_typeEPSM_NS1_7vsmem_tEENKUlT_SK_SL_SM_E_clIPySE_SF_SF_EESJ_SZ_SK_SL_SM_EUlSZ_E0_NS1_11comp_targetILNS1_3genE2ELNS1_11target_archE906ELNS1_3gpuE6ELNS1_3repE0EEENS1_38merge_mergepath_config_static_selectorELNS0_4arch9wavefront6targetE1EEEvSL_: ; @_ZN7rocprim17ROCPRIM_400000_NS6detail17trampoline_kernelINS0_14default_configENS1_38merge_sort_block_merge_config_selectorIyNS0_10empty_typeEEEZZNS1_27merge_sort_block_merge_implIS3_N6thrust23THRUST_200600_302600_NS6detail15normal_iteratorINS9_10device_ptrIyEEEEPS5_jNS1_19radix_merge_compareILb0ELb1EyNS0_19identity_decomposerEEEEE10hipError_tT0_T1_T2_jT3_P12ihipStream_tbPNSt15iterator_traitsISK_E10value_typeEPNSQ_ISL_E10value_typeEPSM_NS1_7vsmem_tEENKUlT_SK_SL_SM_E_clIPySE_SF_SF_EESJ_SZ_SK_SL_SM_EUlSZ_E0_NS1_11comp_targetILNS1_3genE2ELNS1_11target_archE906ELNS1_3gpuE6ELNS1_3repE0EEENS1_38merge_mergepath_config_static_selectorELNS0_4arch9wavefront6targetE1EEEvSL_
; %bb.0:
	.section	.rodata,"a",@progbits
	.p2align	6, 0x0
	.amdhsa_kernel _ZN7rocprim17ROCPRIM_400000_NS6detail17trampoline_kernelINS0_14default_configENS1_38merge_sort_block_merge_config_selectorIyNS0_10empty_typeEEEZZNS1_27merge_sort_block_merge_implIS3_N6thrust23THRUST_200600_302600_NS6detail15normal_iteratorINS9_10device_ptrIyEEEEPS5_jNS1_19radix_merge_compareILb0ELb1EyNS0_19identity_decomposerEEEEE10hipError_tT0_T1_T2_jT3_P12ihipStream_tbPNSt15iterator_traitsISK_E10value_typeEPNSQ_ISL_E10value_typeEPSM_NS1_7vsmem_tEENKUlT_SK_SL_SM_E_clIPySE_SF_SF_EESJ_SZ_SK_SL_SM_EUlSZ_E0_NS1_11comp_targetILNS1_3genE2ELNS1_11target_archE906ELNS1_3gpuE6ELNS1_3repE0EEENS1_38merge_mergepath_config_static_selectorELNS0_4arch9wavefront6targetE1EEEvSL_
		.amdhsa_group_segment_fixed_size 0
		.amdhsa_private_segment_fixed_size 0
		.amdhsa_kernarg_size 72
		.amdhsa_user_sgpr_count 6
		.amdhsa_user_sgpr_private_segment_buffer 1
		.amdhsa_user_sgpr_dispatch_ptr 0
		.amdhsa_user_sgpr_queue_ptr 0
		.amdhsa_user_sgpr_kernarg_segment_ptr 1
		.amdhsa_user_sgpr_dispatch_id 0
		.amdhsa_user_sgpr_flat_scratch_init 0
		.amdhsa_user_sgpr_kernarg_preload_length 0
		.amdhsa_user_sgpr_kernarg_preload_offset 0
		.amdhsa_user_sgpr_private_segment_size 0
		.amdhsa_uses_dynamic_stack 0
		.amdhsa_system_sgpr_private_segment_wavefront_offset 0
		.amdhsa_system_sgpr_workgroup_id_x 1
		.amdhsa_system_sgpr_workgroup_id_y 0
		.amdhsa_system_sgpr_workgroup_id_z 0
		.amdhsa_system_sgpr_workgroup_info 0
		.amdhsa_system_vgpr_workitem_id 0
		.amdhsa_next_free_vgpr 1
		.amdhsa_next_free_sgpr 0
		.amdhsa_accum_offset 4
		.amdhsa_reserve_vcc 0
		.amdhsa_reserve_flat_scratch 0
		.amdhsa_float_round_mode_32 0
		.amdhsa_float_round_mode_16_64 0
		.amdhsa_float_denorm_mode_32 3
		.amdhsa_float_denorm_mode_16_64 3
		.amdhsa_dx10_clamp 1
		.amdhsa_ieee_mode 1
		.amdhsa_fp16_overflow 0
		.amdhsa_tg_split 0
		.amdhsa_exception_fp_ieee_invalid_op 0
		.amdhsa_exception_fp_denorm_src 0
		.amdhsa_exception_fp_ieee_div_zero 0
		.amdhsa_exception_fp_ieee_overflow 0
		.amdhsa_exception_fp_ieee_underflow 0
		.amdhsa_exception_fp_ieee_inexact 0
		.amdhsa_exception_int_div_zero 0
	.end_amdhsa_kernel
	.section	.text._ZN7rocprim17ROCPRIM_400000_NS6detail17trampoline_kernelINS0_14default_configENS1_38merge_sort_block_merge_config_selectorIyNS0_10empty_typeEEEZZNS1_27merge_sort_block_merge_implIS3_N6thrust23THRUST_200600_302600_NS6detail15normal_iteratorINS9_10device_ptrIyEEEEPS5_jNS1_19radix_merge_compareILb0ELb1EyNS0_19identity_decomposerEEEEE10hipError_tT0_T1_T2_jT3_P12ihipStream_tbPNSt15iterator_traitsISK_E10value_typeEPNSQ_ISL_E10value_typeEPSM_NS1_7vsmem_tEENKUlT_SK_SL_SM_E_clIPySE_SF_SF_EESJ_SZ_SK_SL_SM_EUlSZ_E0_NS1_11comp_targetILNS1_3genE2ELNS1_11target_archE906ELNS1_3gpuE6ELNS1_3repE0EEENS1_38merge_mergepath_config_static_selectorELNS0_4arch9wavefront6targetE1EEEvSL_,"axG",@progbits,_ZN7rocprim17ROCPRIM_400000_NS6detail17trampoline_kernelINS0_14default_configENS1_38merge_sort_block_merge_config_selectorIyNS0_10empty_typeEEEZZNS1_27merge_sort_block_merge_implIS3_N6thrust23THRUST_200600_302600_NS6detail15normal_iteratorINS9_10device_ptrIyEEEEPS5_jNS1_19radix_merge_compareILb0ELb1EyNS0_19identity_decomposerEEEEE10hipError_tT0_T1_T2_jT3_P12ihipStream_tbPNSt15iterator_traitsISK_E10value_typeEPNSQ_ISL_E10value_typeEPSM_NS1_7vsmem_tEENKUlT_SK_SL_SM_E_clIPySE_SF_SF_EESJ_SZ_SK_SL_SM_EUlSZ_E0_NS1_11comp_targetILNS1_3genE2ELNS1_11target_archE906ELNS1_3gpuE6ELNS1_3repE0EEENS1_38merge_mergepath_config_static_selectorELNS0_4arch9wavefront6targetE1EEEvSL_,comdat
.Lfunc_end802:
	.size	_ZN7rocprim17ROCPRIM_400000_NS6detail17trampoline_kernelINS0_14default_configENS1_38merge_sort_block_merge_config_selectorIyNS0_10empty_typeEEEZZNS1_27merge_sort_block_merge_implIS3_N6thrust23THRUST_200600_302600_NS6detail15normal_iteratorINS9_10device_ptrIyEEEEPS5_jNS1_19radix_merge_compareILb0ELb1EyNS0_19identity_decomposerEEEEE10hipError_tT0_T1_T2_jT3_P12ihipStream_tbPNSt15iterator_traitsISK_E10value_typeEPNSQ_ISL_E10value_typeEPSM_NS1_7vsmem_tEENKUlT_SK_SL_SM_E_clIPySE_SF_SF_EESJ_SZ_SK_SL_SM_EUlSZ_E0_NS1_11comp_targetILNS1_3genE2ELNS1_11target_archE906ELNS1_3gpuE6ELNS1_3repE0EEENS1_38merge_mergepath_config_static_selectorELNS0_4arch9wavefront6targetE1EEEvSL_, .Lfunc_end802-_ZN7rocprim17ROCPRIM_400000_NS6detail17trampoline_kernelINS0_14default_configENS1_38merge_sort_block_merge_config_selectorIyNS0_10empty_typeEEEZZNS1_27merge_sort_block_merge_implIS3_N6thrust23THRUST_200600_302600_NS6detail15normal_iteratorINS9_10device_ptrIyEEEEPS5_jNS1_19radix_merge_compareILb0ELb1EyNS0_19identity_decomposerEEEEE10hipError_tT0_T1_T2_jT3_P12ihipStream_tbPNSt15iterator_traitsISK_E10value_typeEPNSQ_ISL_E10value_typeEPSM_NS1_7vsmem_tEENKUlT_SK_SL_SM_E_clIPySE_SF_SF_EESJ_SZ_SK_SL_SM_EUlSZ_E0_NS1_11comp_targetILNS1_3genE2ELNS1_11target_archE906ELNS1_3gpuE6ELNS1_3repE0EEENS1_38merge_mergepath_config_static_selectorELNS0_4arch9wavefront6targetE1EEEvSL_
                                        ; -- End function
	.section	.AMDGPU.csdata,"",@progbits
; Kernel info:
; codeLenInByte = 0
; NumSgprs: 4
; NumVgprs: 0
; NumAgprs: 0
; TotalNumVgprs: 0
; ScratchSize: 0
; MemoryBound: 0
; FloatMode: 240
; IeeeMode: 1
; LDSByteSize: 0 bytes/workgroup (compile time only)
; SGPRBlocks: 0
; VGPRBlocks: 0
; NumSGPRsForWavesPerEU: 4
; NumVGPRsForWavesPerEU: 1
; AccumOffset: 4
; Occupancy: 8
; WaveLimiterHint : 0
; COMPUTE_PGM_RSRC2:SCRATCH_EN: 0
; COMPUTE_PGM_RSRC2:USER_SGPR: 6
; COMPUTE_PGM_RSRC2:TRAP_HANDLER: 0
; COMPUTE_PGM_RSRC2:TGID_X_EN: 1
; COMPUTE_PGM_RSRC2:TGID_Y_EN: 0
; COMPUTE_PGM_RSRC2:TGID_Z_EN: 0
; COMPUTE_PGM_RSRC2:TIDIG_COMP_CNT: 0
; COMPUTE_PGM_RSRC3_GFX90A:ACCUM_OFFSET: 0
; COMPUTE_PGM_RSRC3_GFX90A:TG_SPLIT: 0
	.section	.text._ZN7rocprim17ROCPRIM_400000_NS6detail17trampoline_kernelINS0_14default_configENS1_38merge_sort_block_merge_config_selectorIyNS0_10empty_typeEEEZZNS1_27merge_sort_block_merge_implIS3_N6thrust23THRUST_200600_302600_NS6detail15normal_iteratorINS9_10device_ptrIyEEEEPS5_jNS1_19radix_merge_compareILb0ELb1EyNS0_19identity_decomposerEEEEE10hipError_tT0_T1_T2_jT3_P12ihipStream_tbPNSt15iterator_traitsISK_E10value_typeEPNSQ_ISL_E10value_typeEPSM_NS1_7vsmem_tEENKUlT_SK_SL_SM_E_clIPySE_SF_SF_EESJ_SZ_SK_SL_SM_EUlSZ_E0_NS1_11comp_targetILNS1_3genE9ELNS1_11target_archE1100ELNS1_3gpuE3ELNS1_3repE0EEENS1_38merge_mergepath_config_static_selectorELNS0_4arch9wavefront6targetE1EEEvSL_,"axG",@progbits,_ZN7rocprim17ROCPRIM_400000_NS6detail17trampoline_kernelINS0_14default_configENS1_38merge_sort_block_merge_config_selectorIyNS0_10empty_typeEEEZZNS1_27merge_sort_block_merge_implIS3_N6thrust23THRUST_200600_302600_NS6detail15normal_iteratorINS9_10device_ptrIyEEEEPS5_jNS1_19radix_merge_compareILb0ELb1EyNS0_19identity_decomposerEEEEE10hipError_tT0_T1_T2_jT3_P12ihipStream_tbPNSt15iterator_traitsISK_E10value_typeEPNSQ_ISL_E10value_typeEPSM_NS1_7vsmem_tEENKUlT_SK_SL_SM_E_clIPySE_SF_SF_EESJ_SZ_SK_SL_SM_EUlSZ_E0_NS1_11comp_targetILNS1_3genE9ELNS1_11target_archE1100ELNS1_3gpuE3ELNS1_3repE0EEENS1_38merge_mergepath_config_static_selectorELNS0_4arch9wavefront6targetE1EEEvSL_,comdat
	.protected	_ZN7rocprim17ROCPRIM_400000_NS6detail17trampoline_kernelINS0_14default_configENS1_38merge_sort_block_merge_config_selectorIyNS0_10empty_typeEEEZZNS1_27merge_sort_block_merge_implIS3_N6thrust23THRUST_200600_302600_NS6detail15normal_iteratorINS9_10device_ptrIyEEEEPS5_jNS1_19radix_merge_compareILb0ELb1EyNS0_19identity_decomposerEEEEE10hipError_tT0_T1_T2_jT3_P12ihipStream_tbPNSt15iterator_traitsISK_E10value_typeEPNSQ_ISL_E10value_typeEPSM_NS1_7vsmem_tEENKUlT_SK_SL_SM_E_clIPySE_SF_SF_EESJ_SZ_SK_SL_SM_EUlSZ_E0_NS1_11comp_targetILNS1_3genE9ELNS1_11target_archE1100ELNS1_3gpuE3ELNS1_3repE0EEENS1_38merge_mergepath_config_static_selectorELNS0_4arch9wavefront6targetE1EEEvSL_ ; -- Begin function _ZN7rocprim17ROCPRIM_400000_NS6detail17trampoline_kernelINS0_14default_configENS1_38merge_sort_block_merge_config_selectorIyNS0_10empty_typeEEEZZNS1_27merge_sort_block_merge_implIS3_N6thrust23THRUST_200600_302600_NS6detail15normal_iteratorINS9_10device_ptrIyEEEEPS5_jNS1_19radix_merge_compareILb0ELb1EyNS0_19identity_decomposerEEEEE10hipError_tT0_T1_T2_jT3_P12ihipStream_tbPNSt15iterator_traitsISK_E10value_typeEPNSQ_ISL_E10value_typeEPSM_NS1_7vsmem_tEENKUlT_SK_SL_SM_E_clIPySE_SF_SF_EESJ_SZ_SK_SL_SM_EUlSZ_E0_NS1_11comp_targetILNS1_3genE9ELNS1_11target_archE1100ELNS1_3gpuE3ELNS1_3repE0EEENS1_38merge_mergepath_config_static_selectorELNS0_4arch9wavefront6targetE1EEEvSL_
	.globl	_ZN7rocprim17ROCPRIM_400000_NS6detail17trampoline_kernelINS0_14default_configENS1_38merge_sort_block_merge_config_selectorIyNS0_10empty_typeEEEZZNS1_27merge_sort_block_merge_implIS3_N6thrust23THRUST_200600_302600_NS6detail15normal_iteratorINS9_10device_ptrIyEEEEPS5_jNS1_19radix_merge_compareILb0ELb1EyNS0_19identity_decomposerEEEEE10hipError_tT0_T1_T2_jT3_P12ihipStream_tbPNSt15iterator_traitsISK_E10value_typeEPNSQ_ISL_E10value_typeEPSM_NS1_7vsmem_tEENKUlT_SK_SL_SM_E_clIPySE_SF_SF_EESJ_SZ_SK_SL_SM_EUlSZ_E0_NS1_11comp_targetILNS1_3genE9ELNS1_11target_archE1100ELNS1_3gpuE3ELNS1_3repE0EEENS1_38merge_mergepath_config_static_selectorELNS0_4arch9wavefront6targetE1EEEvSL_
	.p2align	8
	.type	_ZN7rocprim17ROCPRIM_400000_NS6detail17trampoline_kernelINS0_14default_configENS1_38merge_sort_block_merge_config_selectorIyNS0_10empty_typeEEEZZNS1_27merge_sort_block_merge_implIS3_N6thrust23THRUST_200600_302600_NS6detail15normal_iteratorINS9_10device_ptrIyEEEEPS5_jNS1_19radix_merge_compareILb0ELb1EyNS0_19identity_decomposerEEEEE10hipError_tT0_T1_T2_jT3_P12ihipStream_tbPNSt15iterator_traitsISK_E10value_typeEPNSQ_ISL_E10value_typeEPSM_NS1_7vsmem_tEENKUlT_SK_SL_SM_E_clIPySE_SF_SF_EESJ_SZ_SK_SL_SM_EUlSZ_E0_NS1_11comp_targetILNS1_3genE9ELNS1_11target_archE1100ELNS1_3gpuE3ELNS1_3repE0EEENS1_38merge_mergepath_config_static_selectorELNS0_4arch9wavefront6targetE1EEEvSL_,@function
_ZN7rocprim17ROCPRIM_400000_NS6detail17trampoline_kernelINS0_14default_configENS1_38merge_sort_block_merge_config_selectorIyNS0_10empty_typeEEEZZNS1_27merge_sort_block_merge_implIS3_N6thrust23THRUST_200600_302600_NS6detail15normal_iteratorINS9_10device_ptrIyEEEEPS5_jNS1_19radix_merge_compareILb0ELb1EyNS0_19identity_decomposerEEEEE10hipError_tT0_T1_T2_jT3_P12ihipStream_tbPNSt15iterator_traitsISK_E10value_typeEPNSQ_ISL_E10value_typeEPSM_NS1_7vsmem_tEENKUlT_SK_SL_SM_E_clIPySE_SF_SF_EESJ_SZ_SK_SL_SM_EUlSZ_E0_NS1_11comp_targetILNS1_3genE9ELNS1_11target_archE1100ELNS1_3gpuE3ELNS1_3repE0EEENS1_38merge_mergepath_config_static_selectorELNS0_4arch9wavefront6targetE1EEEvSL_: ; @_ZN7rocprim17ROCPRIM_400000_NS6detail17trampoline_kernelINS0_14default_configENS1_38merge_sort_block_merge_config_selectorIyNS0_10empty_typeEEEZZNS1_27merge_sort_block_merge_implIS3_N6thrust23THRUST_200600_302600_NS6detail15normal_iteratorINS9_10device_ptrIyEEEEPS5_jNS1_19radix_merge_compareILb0ELb1EyNS0_19identity_decomposerEEEEE10hipError_tT0_T1_T2_jT3_P12ihipStream_tbPNSt15iterator_traitsISK_E10value_typeEPNSQ_ISL_E10value_typeEPSM_NS1_7vsmem_tEENKUlT_SK_SL_SM_E_clIPySE_SF_SF_EESJ_SZ_SK_SL_SM_EUlSZ_E0_NS1_11comp_targetILNS1_3genE9ELNS1_11target_archE1100ELNS1_3gpuE3ELNS1_3repE0EEENS1_38merge_mergepath_config_static_selectorELNS0_4arch9wavefront6targetE1EEEvSL_
; %bb.0:
	.section	.rodata,"a",@progbits
	.p2align	6, 0x0
	.amdhsa_kernel _ZN7rocprim17ROCPRIM_400000_NS6detail17trampoline_kernelINS0_14default_configENS1_38merge_sort_block_merge_config_selectorIyNS0_10empty_typeEEEZZNS1_27merge_sort_block_merge_implIS3_N6thrust23THRUST_200600_302600_NS6detail15normal_iteratorINS9_10device_ptrIyEEEEPS5_jNS1_19radix_merge_compareILb0ELb1EyNS0_19identity_decomposerEEEEE10hipError_tT0_T1_T2_jT3_P12ihipStream_tbPNSt15iterator_traitsISK_E10value_typeEPNSQ_ISL_E10value_typeEPSM_NS1_7vsmem_tEENKUlT_SK_SL_SM_E_clIPySE_SF_SF_EESJ_SZ_SK_SL_SM_EUlSZ_E0_NS1_11comp_targetILNS1_3genE9ELNS1_11target_archE1100ELNS1_3gpuE3ELNS1_3repE0EEENS1_38merge_mergepath_config_static_selectorELNS0_4arch9wavefront6targetE1EEEvSL_
		.amdhsa_group_segment_fixed_size 0
		.amdhsa_private_segment_fixed_size 0
		.amdhsa_kernarg_size 72
		.amdhsa_user_sgpr_count 6
		.amdhsa_user_sgpr_private_segment_buffer 1
		.amdhsa_user_sgpr_dispatch_ptr 0
		.amdhsa_user_sgpr_queue_ptr 0
		.amdhsa_user_sgpr_kernarg_segment_ptr 1
		.amdhsa_user_sgpr_dispatch_id 0
		.amdhsa_user_sgpr_flat_scratch_init 0
		.amdhsa_user_sgpr_kernarg_preload_length 0
		.amdhsa_user_sgpr_kernarg_preload_offset 0
		.amdhsa_user_sgpr_private_segment_size 0
		.amdhsa_uses_dynamic_stack 0
		.amdhsa_system_sgpr_private_segment_wavefront_offset 0
		.amdhsa_system_sgpr_workgroup_id_x 1
		.amdhsa_system_sgpr_workgroup_id_y 0
		.amdhsa_system_sgpr_workgroup_id_z 0
		.amdhsa_system_sgpr_workgroup_info 0
		.amdhsa_system_vgpr_workitem_id 0
		.amdhsa_next_free_vgpr 1
		.amdhsa_next_free_sgpr 0
		.amdhsa_accum_offset 4
		.amdhsa_reserve_vcc 0
		.amdhsa_reserve_flat_scratch 0
		.amdhsa_float_round_mode_32 0
		.amdhsa_float_round_mode_16_64 0
		.amdhsa_float_denorm_mode_32 3
		.amdhsa_float_denorm_mode_16_64 3
		.amdhsa_dx10_clamp 1
		.amdhsa_ieee_mode 1
		.amdhsa_fp16_overflow 0
		.amdhsa_tg_split 0
		.amdhsa_exception_fp_ieee_invalid_op 0
		.amdhsa_exception_fp_denorm_src 0
		.amdhsa_exception_fp_ieee_div_zero 0
		.amdhsa_exception_fp_ieee_overflow 0
		.amdhsa_exception_fp_ieee_underflow 0
		.amdhsa_exception_fp_ieee_inexact 0
		.amdhsa_exception_int_div_zero 0
	.end_amdhsa_kernel
	.section	.text._ZN7rocprim17ROCPRIM_400000_NS6detail17trampoline_kernelINS0_14default_configENS1_38merge_sort_block_merge_config_selectorIyNS0_10empty_typeEEEZZNS1_27merge_sort_block_merge_implIS3_N6thrust23THRUST_200600_302600_NS6detail15normal_iteratorINS9_10device_ptrIyEEEEPS5_jNS1_19radix_merge_compareILb0ELb1EyNS0_19identity_decomposerEEEEE10hipError_tT0_T1_T2_jT3_P12ihipStream_tbPNSt15iterator_traitsISK_E10value_typeEPNSQ_ISL_E10value_typeEPSM_NS1_7vsmem_tEENKUlT_SK_SL_SM_E_clIPySE_SF_SF_EESJ_SZ_SK_SL_SM_EUlSZ_E0_NS1_11comp_targetILNS1_3genE9ELNS1_11target_archE1100ELNS1_3gpuE3ELNS1_3repE0EEENS1_38merge_mergepath_config_static_selectorELNS0_4arch9wavefront6targetE1EEEvSL_,"axG",@progbits,_ZN7rocprim17ROCPRIM_400000_NS6detail17trampoline_kernelINS0_14default_configENS1_38merge_sort_block_merge_config_selectorIyNS0_10empty_typeEEEZZNS1_27merge_sort_block_merge_implIS3_N6thrust23THRUST_200600_302600_NS6detail15normal_iteratorINS9_10device_ptrIyEEEEPS5_jNS1_19radix_merge_compareILb0ELb1EyNS0_19identity_decomposerEEEEE10hipError_tT0_T1_T2_jT3_P12ihipStream_tbPNSt15iterator_traitsISK_E10value_typeEPNSQ_ISL_E10value_typeEPSM_NS1_7vsmem_tEENKUlT_SK_SL_SM_E_clIPySE_SF_SF_EESJ_SZ_SK_SL_SM_EUlSZ_E0_NS1_11comp_targetILNS1_3genE9ELNS1_11target_archE1100ELNS1_3gpuE3ELNS1_3repE0EEENS1_38merge_mergepath_config_static_selectorELNS0_4arch9wavefront6targetE1EEEvSL_,comdat
.Lfunc_end803:
	.size	_ZN7rocprim17ROCPRIM_400000_NS6detail17trampoline_kernelINS0_14default_configENS1_38merge_sort_block_merge_config_selectorIyNS0_10empty_typeEEEZZNS1_27merge_sort_block_merge_implIS3_N6thrust23THRUST_200600_302600_NS6detail15normal_iteratorINS9_10device_ptrIyEEEEPS5_jNS1_19radix_merge_compareILb0ELb1EyNS0_19identity_decomposerEEEEE10hipError_tT0_T1_T2_jT3_P12ihipStream_tbPNSt15iterator_traitsISK_E10value_typeEPNSQ_ISL_E10value_typeEPSM_NS1_7vsmem_tEENKUlT_SK_SL_SM_E_clIPySE_SF_SF_EESJ_SZ_SK_SL_SM_EUlSZ_E0_NS1_11comp_targetILNS1_3genE9ELNS1_11target_archE1100ELNS1_3gpuE3ELNS1_3repE0EEENS1_38merge_mergepath_config_static_selectorELNS0_4arch9wavefront6targetE1EEEvSL_, .Lfunc_end803-_ZN7rocprim17ROCPRIM_400000_NS6detail17trampoline_kernelINS0_14default_configENS1_38merge_sort_block_merge_config_selectorIyNS0_10empty_typeEEEZZNS1_27merge_sort_block_merge_implIS3_N6thrust23THRUST_200600_302600_NS6detail15normal_iteratorINS9_10device_ptrIyEEEEPS5_jNS1_19radix_merge_compareILb0ELb1EyNS0_19identity_decomposerEEEEE10hipError_tT0_T1_T2_jT3_P12ihipStream_tbPNSt15iterator_traitsISK_E10value_typeEPNSQ_ISL_E10value_typeEPSM_NS1_7vsmem_tEENKUlT_SK_SL_SM_E_clIPySE_SF_SF_EESJ_SZ_SK_SL_SM_EUlSZ_E0_NS1_11comp_targetILNS1_3genE9ELNS1_11target_archE1100ELNS1_3gpuE3ELNS1_3repE0EEENS1_38merge_mergepath_config_static_selectorELNS0_4arch9wavefront6targetE1EEEvSL_
                                        ; -- End function
	.section	.AMDGPU.csdata,"",@progbits
; Kernel info:
; codeLenInByte = 0
; NumSgprs: 4
; NumVgprs: 0
; NumAgprs: 0
; TotalNumVgprs: 0
; ScratchSize: 0
; MemoryBound: 0
; FloatMode: 240
; IeeeMode: 1
; LDSByteSize: 0 bytes/workgroup (compile time only)
; SGPRBlocks: 0
; VGPRBlocks: 0
; NumSGPRsForWavesPerEU: 4
; NumVGPRsForWavesPerEU: 1
; AccumOffset: 4
; Occupancy: 8
; WaveLimiterHint : 0
; COMPUTE_PGM_RSRC2:SCRATCH_EN: 0
; COMPUTE_PGM_RSRC2:USER_SGPR: 6
; COMPUTE_PGM_RSRC2:TRAP_HANDLER: 0
; COMPUTE_PGM_RSRC2:TGID_X_EN: 1
; COMPUTE_PGM_RSRC2:TGID_Y_EN: 0
; COMPUTE_PGM_RSRC2:TGID_Z_EN: 0
; COMPUTE_PGM_RSRC2:TIDIG_COMP_CNT: 0
; COMPUTE_PGM_RSRC3_GFX90A:ACCUM_OFFSET: 0
; COMPUTE_PGM_RSRC3_GFX90A:TG_SPLIT: 0
	.section	.text._ZN7rocprim17ROCPRIM_400000_NS6detail17trampoline_kernelINS0_14default_configENS1_38merge_sort_block_merge_config_selectorIyNS0_10empty_typeEEEZZNS1_27merge_sort_block_merge_implIS3_N6thrust23THRUST_200600_302600_NS6detail15normal_iteratorINS9_10device_ptrIyEEEEPS5_jNS1_19radix_merge_compareILb0ELb1EyNS0_19identity_decomposerEEEEE10hipError_tT0_T1_T2_jT3_P12ihipStream_tbPNSt15iterator_traitsISK_E10value_typeEPNSQ_ISL_E10value_typeEPSM_NS1_7vsmem_tEENKUlT_SK_SL_SM_E_clIPySE_SF_SF_EESJ_SZ_SK_SL_SM_EUlSZ_E0_NS1_11comp_targetILNS1_3genE8ELNS1_11target_archE1030ELNS1_3gpuE2ELNS1_3repE0EEENS1_38merge_mergepath_config_static_selectorELNS0_4arch9wavefront6targetE1EEEvSL_,"axG",@progbits,_ZN7rocprim17ROCPRIM_400000_NS6detail17trampoline_kernelINS0_14default_configENS1_38merge_sort_block_merge_config_selectorIyNS0_10empty_typeEEEZZNS1_27merge_sort_block_merge_implIS3_N6thrust23THRUST_200600_302600_NS6detail15normal_iteratorINS9_10device_ptrIyEEEEPS5_jNS1_19radix_merge_compareILb0ELb1EyNS0_19identity_decomposerEEEEE10hipError_tT0_T1_T2_jT3_P12ihipStream_tbPNSt15iterator_traitsISK_E10value_typeEPNSQ_ISL_E10value_typeEPSM_NS1_7vsmem_tEENKUlT_SK_SL_SM_E_clIPySE_SF_SF_EESJ_SZ_SK_SL_SM_EUlSZ_E0_NS1_11comp_targetILNS1_3genE8ELNS1_11target_archE1030ELNS1_3gpuE2ELNS1_3repE0EEENS1_38merge_mergepath_config_static_selectorELNS0_4arch9wavefront6targetE1EEEvSL_,comdat
	.protected	_ZN7rocprim17ROCPRIM_400000_NS6detail17trampoline_kernelINS0_14default_configENS1_38merge_sort_block_merge_config_selectorIyNS0_10empty_typeEEEZZNS1_27merge_sort_block_merge_implIS3_N6thrust23THRUST_200600_302600_NS6detail15normal_iteratorINS9_10device_ptrIyEEEEPS5_jNS1_19radix_merge_compareILb0ELb1EyNS0_19identity_decomposerEEEEE10hipError_tT0_T1_T2_jT3_P12ihipStream_tbPNSt15iterator_traitsISK_E10value_typeEPNSQ_ISL_E10value_typeEPSM_NS1_7vsmem_tEENKUlT_SK_SL_SM_E_clIPySE_SF_SF_EESJ_SZ_SK_SL_SM_EUlSZ_E0_NS1_11comp_targetILNS1_3genE8ELNS1_11target_archE1030ELNS1_3gpuE2ELNS1_3repE0EEENS1_38merge_mergepath_config_static_selectorELNS0_4arch9wavefront6targetE1EEEvSL_ ; -- Begin function _ZN7rocprim17ROCPRIM_400000_NS6detail17trampoline_kernelINS0_14default_configENS1_38merge_sort_block_merge_config_selectorIyNS0_10empty_typeEEEZZNS1_27merge_sort_block_merge_implIS3_N6thrust23THRUST_200600_302600_NS6detail15normal_iteratorINS9_10device_ptrIyEEEEPS5_jNS1_19radix_merge_compareILb0ELb1EyNS0_19identity_decomposerEEEEE10hipError_tT0_T1_T2_jT3_P12ihipStream_tbPNSt15iterator_traitsISK_E10value_typeEPNSQ_ISL_E10value_typeEPSM_NS1_7vsmem_tEENKUlT_SK_SL_SM_E_clIPySE_SF_SF_EESJ_SZ_SK_SL_SM_EUlSZ_E0_NS1_11comp_targetILNS1_3genE8ELNS1_11target_archE1030ELNS1_3gpuE2ELNS1_3repE0EEENS1_38merge_mergepath_config_static_selectorELNS0_4arch9wavefront6targetE1EEEvSL_
	.globl	_ZN7rocprim17ROCPRIM_400000_NS6detail17trampoline_kernelINS0_14default_configENS1_38merge_sort_block_merge_config_selectorIyNS0_10empty_typeEEEZZNS1_27merge_sort_block_merge_implIS3_N6thrust23THRUST_200600_302600_NS6detail15normal_iteratorINS9_10device_ptrIyEEEEPS5_jNS1_19radix_merge_compareILb0ELb1EyNS0_19identity_decomposerEEEEE10hipError_tT0_T1_T2_jT3_P12ihipStream_tbPNSt15iterator_traitsISK_E10value_typeEPNSQ_ISL_E10value_typeEPSM_NS1_7vsmem_tEENKUlT_SK_SL_SM_E_clIPySE_SF_SF_EESJ_SZ_SK_SL_SM_EUlSZ_E0_NS1_11comp_targetILNS1_3genE8ELNS1_11target_archE1030ELNS1_3gpuE2ELNS1_3repE0EEENS1_38merge_mergepath_config_static_selectorELNS0_4arch9wavefront6targetE1EEEvSL_
	.p2align	8
	.type	_ZN7rocprim17ROCPRIM_400000_NS6detail17trampoline_kernelINS0_14default_configENS1_38merge_sort_block_merge_config_selectorIyNS0_10empty_typeEEEZZNS1_27merge_sort_block_merge_implIS3_N6thrust23THRUST_200600_302600_NS6detail15normal_iteratorINS9_10device_ptrIyEEEEPS5_jNS1_19radix_merge_compareILb0ELb1EyNS0_19identity_decomposerEEEEE10hipError_tT0_T1_T2_jT3_P12ihipStream_tbPNSt15iterator_traitsISK_E10value_typeEPNSQ_ISL_E10value_typeEPSM_NS1_7vsmem_tEENKUlT_SK_SL_SM_E_clIPySE_SF_SF_EESJ_SZ_SK_SL_SM_EUlSZ_E0_NS1_11comp_targetILNS1_3genE8ELNS1_11target_archE1030ELNS1_3gpuE2ELNS1_3repE0EEENS1_38merge_mergepath_config_static_selectorELNS0_4arch9wavefront6targetE1EEEvSL_,@function
_ZN7rocprim17ROCPRIM_400000_NS6detail17trampoline_kernelINS0_14default_configENS1_38merge_sort_block_merge_config_selectorIyNS0_10empty_typeEEEZZNS1_27merge_sort_block_merge_implIS3_N6thrust23THRUST_200600_302600_NS6detail15normal_iteratorINS9_10device_ptrIyEEEEPS5_jNS1_19radix_merge_compareILb0ELb1EyNS0_19identity_decomposerEEEEE10hipError_tT0_T1_T2_jT3_P12ihipStream_tbPNSt15iterator_traitsISK_E10value_typeEPNSQ_ISL_E10value_typeEPSM_NS1_7vsmem_tEENKUlT_SK_SL_SM_E_clIPySE_SF_SF_EESJ_SZ_SK_SL_SM_EUlSZ_E0_NS1_11comp_targetILNS1_3genE8ELNS1_11target_archE1030ELNS1_3gpuE2ELNS1_3repE0EEENS1_38merge_mergepath_config_static_selectorELNS0_4arch9wavefront6targetE1EEEvSL_: ; @_ZN7rocprim17ROCPRIM_400000_NS6detail17trampoline_kernelINS0_14default_configENS1_38merge_sort_block_merge_config_selectorIyNS0_10empty_typeEEEZZNS1_27merge_sort_block_merge_implIS3_N6thrust23THRUST_200600_302600_NS6detail15normal_iteratorINS9_10device_ptrIyEEEEPS5_jNS1_19radix_merge_compareILb0ELb1EyNS0_19identity_decomposerEEEEE10hipError_tT0_T1_T2_jT3_P12ihipStream_tbPNSt15iterator_traitsISK_E10value_typeEPNSQ_ISL_E10value_typeEPSM_NS1_7vsmem_tEENKUlT_SK_SL_SM_E_clIPySE_SF_SF_EESJ_SZ_SK_SL_SM_EUlSZ_E0_NS1_11comp_targetILNS1_3genE8ELNS1_11target_archE1030ELNS1_3gpuE2ELNS1_3repE0EEENS1_38merge_mergepath_config_static_selectorELNS0_4arch9wavefront6targetE1EEEvSL_
; %bb.0:
	.section	.rodata,"a",@progbits
	.p2align	6, 0x0
	.amdhsa_kernel _ZN7rocprim17ROCPRIM_400000_NS6detail17trampoline_kernelINS0_14default_configENS1_38merge_sort_block_merge_config_selectorIyNS0_10empty_typeEEEZZNS1_27merge_sort_block_merge_implIS3_N6thrust23THRUST_200600_302600_NS6detail15normal_iteratorINS9_10device_ptrIyEEEEPS5_jNS1_19radix_merge_compareILb0ELb1EyNS0_19identity_decomposerEEEEE10hipError_tT0_T1_T2_jT3_P12ihipStream_tbPNSt15iterator_traitsISK_E10value_typeEPNSQ_ISL_E10value_typeEPSM_NS1_7vsmem_tEENKUlT_SK_SL_SM_E_clIPySE_SF_SF_EESJ_SZ_SK_SL_SM_EUlSZ_E0_NS1_11comp_targetILNS1_3genE8ELNS1_11target_archE1030ELNS1_3gpuE2ELNS1_3repE0EEENS1_38merge_mergepath_config_static_selectorELNS0_4arch9wavefront6targetE1EEEvSL_
		.amdhsa_group_segment_fixed_size 0
		.amdhsa_private_segment_fixed_size 0
		.amdhsa_kernarg_size 72
		.amdhsa_user_sgpr_count 6
		.amdhsa_user_sgpr_private_segment_buffer 1
		.amdhsa_user_sgpr_dispatch_ptr 0
		.amdhsa_user_sgpr_queue_ptr 0
		.amdhsa_user_sgpr_kernarg_segment_ptr 1
		.amdhsa_user_sgpr_dispatch_id 0
		.amdhsa_user_sgpr_flat_scratch_init 0
		.amdhsa_user_sgpr_kernarg_preload_length 0
		.amdhsa_user_sgpr_kernarg_preload_offset 0
		.amdhsa_user_sgpr_private_segment_size 0
		.amdhsa_uses_dynamic_stack 0
		.amdhsa_system_sgpr_private_segment_wavefront_offset 0
		.amdhsa_system_sgpr_workgroup_id_x 1
		.amdhsa_system_sgpr_workgroup_id_y 0
		.amdhsa_system_sgpr_workgroup_id_z 0
		.amdhsa_system_sgpr_workgroup_info 0
		.amdhsa_system_vgpr_workitem_id 0
		.amdhsa_next_free_vgpr 1
		.amdhsa_next_free_sgpr 0
		.amdhsa_accum_offset 4
		.amdhsa_reserve_vcc 0
		.amdhsa_reserve_flat_scratch 0
		.amdhsa_float_round_mode_32 0
		.amdhsa_float_round_mode_16_64 0
		.amdhsa_float_denorm_mode_32 3
		.amdhsa_float_denorm_mode_16_64 3
		.amdhsa_dx10_clamp 1
		.amdhsa_ieee_mode 1
		.amdhsa_fp16_overflow 0
		.amdhsa_tg_split 0
		.amdhsa_exception_fp_ieee_invalid_op 0
		.amdhsa_exception_fp_denorm_src 0
		.amdhsa_exception_fp_ieee_div_zero 0
		.amdhsa_exception_fp_ieee_overflow 0
		.amdhsa_exception_fp_ieee_underflow 0
		.amdhsa_exception_fp_ieee_inexact 0
		.amdhsa_exception_int_div_zero 0
	.end_amdhsa_kernel
	.section	.text._ZN7rocprim17ROCPRIM_400000_NS6detail17trampoline_kernelINS0_14default_configENS1_38merge_sort_block_merge_config_selectorIyNS0_10empty_typeEEEZZNS1_27merge_sort_block_merge_implIS3_N6thrust23THRUST_200600_302600_NS6detail15normal_iteratorINS9_10device_ptrIyEEEEPS5_jNS1_19radix_merge_compareILb0ELb1EyNS0_19identity_decomposerEEEEE10hipError_tT0_T1_T2_jT3_P12ihipStream_tbPNSt15iterator_traitsISK_E10value_typeEPNSQ_ISL_E10value_typeEPSM_NS1_7vsmem_tEENKUlT_SK_SL_SM_E_clIPySE_SF_SF_EESJ_SZ_SK_SL_SM_EUlSZ_E0_NS1_11comp_targetILNS1_3genE8ELNS1_11target_archE1030ELNS1_3gpuE2ELNS1_3repE0EEENS1_38merge_mergepath_config_static_selectorELNS0_4arch9wavefront6targetE1EEEvSL_,"axG",@progbits,_ZN7rocprim17ROCPRIM_400000_NS6detail17trampoline_kernelINS0_14default_configENS1_38merge_sort_block_merge_config_selectorIyNS0_10empty_typeEEEZZNS1_27merge_sort_block_merge_implIS3_N6thrust23THRUST_200600_302600_NS6detail15normal_iteratorINS9_10device_ptrIyEEEEPS5_jNS1_19radix_merge_compareILb0ELb1EyNS0_19identity_decomposerEEEEE10hipError_tT0_T1_T2_jT3_P12ihipStream_tbPNSt15iterator_traitsISK_E10value_typeEPNSQ_ISL_E10value_typeEPSM_NS1_7vsmem_tEENKUlT_SK_SL_SM_E_clIPySE_SF_SF_EESJ_SZ_SK_SL_SM_EUlSZ_E0_NS1_11comp_targetILNS1_3genE8ELNS1_11target_archE1030ELNS1_3gpuE2ELNS1_3repE0EEENS1_38merge_mergepath_config_static_selectorELNS0_4arch9wavefront6targetE1EEEvSL_,comdat
.Lfunc_end804:
	.size	_ZN7rocprim17ROCPRIM_400000_NS6detail17trampoline_kernelINS0_14default_configENS1_38merge_sort_block_merge_config_selectorIyNS0_10empty_typeEEEZZNS1_27merge_sort_block_merge_implIS3_N6thrust23THRUST_200600_302600_NS6detail15normal_iteratorINS9_10device_ptrIyEEEEPS5_jNS1_19radix_merge_compareILb0ELb1EyNS0_19identity_decomposerEEEEE10hipError_tT0_T1_T2_jT3_P12ihipStream_tbPNSt15iterator_traitsISK_E10value_typeEPNSQ_ISL_E10value_typeEPSM_NS1_7vsmem_tEENKUlT_SK_SL_SM_E_clIPySE_SF_SF_EESJ_SZ_SK_SL_SM_EUlSZ_E0_NS1_11comp_targetILNS1_3genE8ELNS1_11target_archE1030ELNS1_3gpuE2ELNS1_3repE0EEENS1_38merge_mergepath_config_static_selectorELNS0_4arch9wavefront6targetE1EEEvSL_, .Lfunc_end804-_ZN7rocprim17ROCPRIM_400000_NS6detail17trampoline_kernelINS0_14default_configENS1_38merge_sort_block_merge_config_selectorIyNS0_10empty_typeEEEZZNS1_27merge_sort_block_merge_implIS3_N6thrust23THRUST_200600_302600_NS6detail15normal_iteratorINS9_10device_ptrIyEEEEPS5_jNS1_19radix_merge_compareILb0ELb1EyNS0_19identity_decomposerEEEEE10hipError_tT0_T1_T2_jT3_P12ihipStream_tbPNSt15iterator_traitsISK_E10value_typeEPNSQ_ISL_E10value_typeEPSM_NS1_7vsmem_tEENKUlT_SK_SL_SM_E_clIPySE_SF_SF_EESJ_SZ_SK_SL_SM_EUlSZ_E0_NS1_11comp_targetILNS1_3genE8ELNS1_11target_archE1030ELNS1_3gpuE2ELNS1_3repE0EEENS1_38merge_mergepath_config_static_selectorELNS0_4arch9wavefront6targetE1EEEvSL_
                                        ; -- End function
	.section	.AMDGPU.csdata,"",@progbits
; Kernel info:
; codeLenInByte = 0
; NumSgprs: 4
; NumVgprs: 0
; NumAgprs: 0
; TotalNumVgprs: 0
; ScratchSize: 0
; MemoryBound: 0
; FloatMode: 240
; IeeeMode: 1
; LDSByteSize: 0 bytes/workgroup (compile time only)
; SGPRBlocks: 0
; VGPRBlocks: 0
; NumSGPRsForWavesPerEU: 4
; NumVGPRsForWavesPerEU: 1
; AccumOffset: 4
; Occupancy: 8
; WaveLimiterHint : 0
; COMPUTE_PGM_RSRC2:SCRATCH_EN: 0
; COMPUTE_PGM_RSRC2:USER_SGPR: 6
; COMPUTE_PGM_RSRC2:TRAP_HANDLER: 0
; COMPUTE_PGM_RSRC2:TGID_X_EN: 1
; COMPUTE_PGM_RSRC2:TGID_Y_EN: 0
; COMPUTE_PGM_RSRC2:TGID_Z_EN: 0
; COMPUTE_PGM_RSRC2:TIDIG_COMP_CNT: 0
; COMPUTE_PGM_RSRC3_GFX90A:ACCUM_OFFSET: 0
; COMPUTE_PGM_RSRC3_GFX90A:TG_SPLIT: 0
	.section	.text._ZN7rocprim17ROCPRIM_400000_NS6detail17trampoline_kernelINS0_14default_configENS1_38merge_sort_block_merge_config_selectorIyNS0_10empty_typeEEEZZNS1_27merge_sort_block_merge_implIS3_N6thrust23THRUST_200600_302600_NS6detail15normal_iteratorINS9_10device_ptrIyEEEEPS5_jNS1_19radix_merge_compareILb0ELb1EyNS0_19identity_decomposerEEEEE10hipError_tT0_T1_T2_jT3_P12ihipStream_tbPNSt15iterator_traitsISK_E10value_typeEPNSQ_ISL_E10value_typeEPSM_NS1_7vsmem_tEENKUlT_SK_SL_SM_E_clIPySE_SF_SF_EESJ_SZ_SK_SL_SM_EUlSZ_E1_NS1_11comp_targetILNS1_3genE0ELNS1_11target_archE4294967295ELNS1_3gpuE0ELNS1_3repE0EEENS1_36merge_oddeven_config_static_selectorELNS0_4arch9wavefront6targetE1EEEvSL_,"axG",@progbits,_ZN7rocprim17ROCPRIM_400000_NS6detail17trampoline_kernelINS0_14default_configENS1_38merge_sort_block_merge_config_selectorIyNS0_10empty_typeEEEZZNS1_27merge_sort_block_merge_implIS3_N6thrust23THRUST_200600_302600_NS6detail15normal_iteratorINS9_10device_ptrIyEEEEPS5_jNS1_19radix_merge_compareILb0ELb1EyNS0_19identity_decomposerEEEEE10hipError_tT0_T1_T2_jT3_P12ihipStream_tbPNSt15iterator_traitsISK_E10value_typeEPNSQ_ISL_E10value_typeEPSM_NS1_7vsmem_tEENKUlT_SK_SL_SM_E_clIPySE_SF_SF_EESJ_SZ_SK_SL_SM_EUlSZ_E1_NS1_11comp_targetILNS1_3genE0ELNS1_11target_archE4294967295ELNS1_3gpuE0ELNS1_3repE0EEENS1_36merge_oddeven_config_static_selectorELNS0_4arch9wavefront6targetE1EEEvSL_,comdat
	.protected	_ZN7rocprim17ROCPRIM_400000_NS6detail17trampoline_kernelINS0_14default_configENS1_38merge_sort_block_merge_config_selectorIyNS0_10empty_typeEEEZZNS1_27merge_sort_block_merge_implIS3_N6thrust23THRUST_200600_302600_NS6detail15normal_iteratorINS9_10device_ptrIyEEEEPS5_jNS1_19radix_merge_compareILb0ELb1EyNS0_19identity_decomposerEEEEE10hipError_tT0_T1_T2_jT3_P12ihipStream_tbPNSt15iterator_traitsISK_E10value_typeEPNSQ_ISL_E10value_typeEPSM_NS1_7vsmem_tEENKUlT_SK_SL_SM_E_clIPySE_SF_SF_EESJ_SZ_SK_SL_SM_EUlSZ_E1_NS1_11comp_targetILNS1_3genE0ELNS1_11target_archE4294967295ELNS1_3gpuE0ELNS1_3repE0EEENS1_36merge_oddeven_config_static_selectorELNS0_4arch9wavefront6targetE1EEEvSL_ ; -- Begin function _ZN7rocprim17ROCPRIM_400000_NS6detail17trampoline_kernelINS0_14default_configENS1_38merge_sort_block_merge_config_selectorIyNS0_10empty_typeEEEZZNS1_27merge_sort_block_merge_implIS3_N6thrust23THRUST_200600_302600_NS6detail15normal_iteratorINS9_10device_ptrIyEEEEPS5_jNS1_19radix_merge_compareILb0ELb1EyNS0_19identity_decomposerEEEEE10hipError_tT0_T1_T2_jT3_P12ihipStream_tbPNSt15iterator_traitsISK_E10value_typeEPNSQ_ISL_E10value_typeEPSM_NS1_7vsmem_tEENKUlT_SK_SL_SM_E_clIPySE_SF_SF_EESJ_SZ_SK_SL_SM_EUlSZ_E1_NS1_11comp_targetILNS1_3genE0ELNS1_11target_archE4294967295ELNS1_3gpuE0ELNS1_3repE0EEENS1_36merge_oddeven_config_static_selectorELNS0_4arch9wavefront6targetE1EEEvSL_
	.globl	_ZN7rocprim17ROCPRIM_400000_NS6detail17trampoline_kernelINS0_14default_configENS1_38merge_sort_block_merge_config_selectorIyNS0_10empty_typeEEEZZNS1_27merge_sort_block_merge_implIS3_N6thrust23THRUST_200600_302600_NS6detail15normal_iteratorINS9_10device_ptrIyEEEEPS5_jNS1_19radix_merge_compareILb0ELb1EyNS0_19identity_decomposerEEEEE10hipError_tT0_T1_T2_jT3_P12ihipStream_tbPNSt15iterator_traitsISK_E10value_typeEPNSQ_ISL_E10value_typeEPSM_NS1_7vsmem_tEENKUlT_SK_SL_SM_E_clIPySE_SF_SF_EESJ_SZ_SK_SL_SM_EUlSZ_E1_NS1_11comp_targetILNS1_3genE0ELNS1_11target_archE4294967295ELNS1_3gpuE0ELNS1_3repE0EEENS1_36merge_oddeven_config_static_selectorELNS0_4arch9wavefront6targetE1EEEvSL_
	.p2align	8
	.type	_ZN7rocprim17ROCPRIM_400000_NS6detail17trampoline_kernelINS0_14default_configENS1_38merge_sort_block_merge_config_selectorIyNS0_10empty_typeEEEZZNS1_27merge_sort_block_merge_implIS3_N6thrust23THRUST_200600_302600_NS6detail15normal_iteratorINS9_10device_ptrIyEEEEPS5_jNS1_19radix_merge_compareILb0ELb1EyNS0_19identity_decomposerEEEEE10hipError_tT0_T1_T2_jT3_P12ihipStream_tbPNSt15iterator_traitsISK_E10value_typeEPNSQ_ISL_E10value_typeEPSM_NS1_7vsmem_tEENKUlT_SK_SL_SM_E_clIPySE_SF_SF_EESJ_SZ_SK_SL_SM_EUlSZ_E1_NS1_11comp_targetILNS1_3genE0ELNS1_11target_archE4294967295ELNS1_3gpuE0ELNS1_3repE0EEENS1_36merge_oddeven_config_static_selectorELNS0_4arch9wavefront6targetE1EEEvSL_,@function
_ZN7rocprim17ROCPRIM_400000_NS6detail17trampoline_kernelINS0_14default_configENS1_38merge_sort_block_merge_config_selectorIyNS0_10empty_typeEEEZZNS1_27merge_sort_block_merge_implIS3_N6thrust23THRUST_200600_302600_NS6detail15normal_iteratorINS9_10device_ptrIyEEEEPS5_jNS1_19radix_merge_compareILb0ELb1EyNS0_19identity_decomposerEEEEE10hipError_tT0_T1_T2_jT3_P12ihipStream_tbPNSt15iterator_traitsISK_E10value_typeEPNSQ_ISL_E10value_typeEPSM_NS1_7vsmem_tEENKUlT_SK_SL_SM_E_clIPySE_SF_SF_EESJ_SZ_SK_SL_SM_EUlSZ_E1_NS1_11comp_targetILNS1_3genE0ELNS1_11target_archE4294967295ELNS1_3gpuE0ELNS1_3repE0EEENS1_36merge_oddeven_config_static_selectorELNS0_4arch9wavefront6targetE1EEEvSL_: ; @_ZN7rocprim17ROCPRIM_400000_NS6detail17trampoline_kernelINS0_14default_configENS1_38merge_sort_block_merge_config_selectorIyNS0_10empty_typeEEEZZNS1_27merge_sort_block_merge_implIS3_N6thrust23THRUST_200600_302600_NS6detail15normal_iteratorINS9_10device_ptrIyEEEEPS5_jNS1_19radix_merge_compareILb0ELb1EyNS0_19identity_decomposerEEEEE10hipError_tT0_T1_T2_jT3_P12ihipStream_tbPNSt15iterator_traitsISK_E10value_typeEPNSQ_ISL_E10value_typeEPSM_NS1_7vsmem_tEENKUlT_SK_SL_SM_E_clIPySE_SF_SF_EESJ_SZ_SK_SL_SM_EUlSZ_E1_NS1_11comp_targetILNS1_3genE0ELNS1_11target_archE4294967295ELNS1_3gpuE0ELNS1_3repE0EEENS1_36merge_oddeven_config_static_selectorELNS0_4arch9wavefront6targetE1EEEvSL_
; %bb.0:
	.section	.rodata,"a",@progbits
	.p2align	6, 0x0
	.amdhsa_kernel _ZN7rocprim17ROCPRIM_400000_NS6detail17trampoline_kernelINS0_14default_configENS1_38merge_sort_block_merge_config_selectorIyNS0_10empty_typeEEEZZNS1_27merge_sort_block_merge_implIS3_N6thrust23THRUST_200600_302600_NS6detail15normal_iteratorINS9_10device_ptrIyEEEEPS5_jNS1_19radix_merge_compareILb0ELb1EyNS0_19identity_decomposerEEEEE10hipError_tT0_T1_T2_jT3_P12ihipStream_tbPNSt15iterator_traitsISK_E10value_typeEPNSQ_ISL_E10value_typeEPSM_NS1_7vsmem_tEENKUlT_SK_SL_SM_E_clIPySE_SF_SF_EESJ_SZ_SK_SL_SM_EUlSZ_E1_NS1_11comp_targetILNS1_3genE0ELNS1_11target_archE4294967295ELNS1_3gpuE0ELNS1_3repE0EEENS1_36merge_oddeven_config_static_selectorELNS0_4arch9wavefront6targetE1EEEvSL_
		.amdhsa_group_segment_fixed_size 0
		.amdhsa_private_segment_fixed_size 0
		.amdhsa_kernarg_size 48
		.amdhsa_user_sgpr_count 6
		.amdhsa_user_sgpr_private_segment_buffer 1
		.amdhsa_user_sgpr_dispatch_ptr 0
		.amdhsa_user_sgpr_queue_ptr 0
		.amdhsa_user_sgpr_kernarg_segment_ptr 1
		.amdhsa_user_sgpr_dispatch_id 0
		.amdhsa_user_sgpr_flat_scratch_init 0
		.amdhsa_user_sgpr_kernarg_preload_length 0
		.amdhsa_user_sgpr_kernarg_preload_offset 0
		.amdhsa_user_sgpr_private_segment_size 0
		.amdhsa_uses_dynamic_stack 0
		.amdhsa_system_sgpr_private_segment_wavefront_offset 0
		.amdhsa_system_sgpr_workgroup_id_x 1
		.amdhsa_system_sgpr_workgroup_id_y 0
		.amdhsa_system_sgpr_workgroup_id_z 0
		.amdhsa_system_sgpr_workgroup_info 0
		.amdhsa_system_vgpr_workitem_id 0
		.amdhsa_next_free_vgpr 1
		.amdhsa_next_free_sgpr 0
		.amdhsa_accum_offset 4
		.amdhsa_reserve_vcc 0
		.amdhsa_reserve_flat_scratch 0
		.amdhsa_float_round_mode_32 0
		.amdhsa_float_round_mode_16_64 0
		.amdhsa_float_denorm_mode_32 3
		.amdhsa_float_denorm_mode_16_64 3
		.amdhsa_dx10_clamp 1
		.amdhsa_ieee_mode 1
		.amdhsa_fp16_overflow 0
		.amdhsa_tg_split 0
		.amdhsa_exception_fp_ieee_invalid_op 0
		.amdhsa_exception_fp_denorm_src 0
		.amdhsa_exception_fp_ieee_div_zero 0
		.amdhsa_exception_fp_ieee_overflow 0
		.amdhsa_exception_fp_ieee_underflow 0
		.amdhsa_exception_fp_ieee_inexact 0
		.amdhsa_exception_int_div_zero 0
	.end_amdhsa_kernel
	.section	.text._ZN7rocprim17ROCPRIM_400000_NS6detail17trampoline_kernelINS0_14default_configENS1_38merge_sort_block_merge_config_selectorIyNS0_10empty_typeEEEZZNS1_27merge_sort_block_merge_implIS3_N6thrust23THRUST_200600_302600_NS6detail15normal_iteratorINS9_10device_ptrIyEEEEPS5_jNS1_19radix_merge_compareILb0ELb1EyNS0_19identity_decomposerEEEEE10hipError_tT0_T1_T2_jT3_P12ihipStream_tbPNSt15iterator_traitsISK_E10value_typeEPNSQ_ISL_E10value_typeEPSM_NS1_7vsmem_tEENKUlT_SK_SL_SM_E_clIPySE_SF_SF_EESJ_SZ_SK_SL_SM_EUlSZ_E1_NS1_11comp_targetILNS1_3genE0ELNS1_11target_archE4294967295ELNS1_3gpuE0ELNS1_3repE0EEENS1_36merge_oddeven_config_static_selectorELNS0_4arch9wavefront6targetE1EEEvSL_,"axG",@progbits,_ZN7rocprim17ROCPRIM_400000_NS6detail17trampoline_kernelINS0_14default_configENS1_38merge_sort_block_merge_config_selectorIyNS0_10empty_typeEEEZZNS1_27merge_sort_block_merge_implIS3_N6thrust23THRUST_200600_302600_NS6detail15normal_iteratorINS9_10device_ptrIyEEEEPS5_jNS1_19radix_merge_compareILb0ELb1EyNS0_19identity_decomposerEEEEE10hipError_tT0_T1_T2_jT3_P12ihipStream_tbPNSt15iterator_traitsISK_E10value_typeEPNSQ_ISL_E10value_typeEPSM_NS1_7vsmem_tEENKUlT_SK_SL_SM_E_clIPySE_SF_SF_EESJ_SZ_SK_SL_SM_EUlSZ_E1_NS1_11comp_targetILNS1_3genE0ELNS1_11target_archE4294967295ELNS1_3gpuE0ELNS1_3repE0EEENS1_36merge_oddeven_config_static_selectorELNS0_4arch9wavefront6targetE1EEEvSL_,comdat
.Lfunc_end805:
	.size	_ZN7rocprim17ROCPRIM_400000_NS6detail17trampoline_kernelINS0_14default_configENS1_38merge_sort_block_merge_config_selectorIyNS0_10empty_typeEEEZZNS1_27merge_sort_block_merge_implIS3_N6thrust23THRUST_200600_302600_NS6detail15normal_iteratorINS9_10device_ptrIyEEEEPS5_jNS1_19radix_merge_compareILb0ELb1EyNS0_19identity_decomposerEEEEE10hipError_tT0_T1_T2_jT3_P12ihipStream_tbPNSt15iterator_traitsISK_E10value_typeEPNSQ_ISL_E10value_typeEPSM_NS1_7vsmem_tEENKUlT_SK_SL_SM_E_clIPySE_SF_SF_EESJ_SZ_SK_SL_SM_EUlSZ_E1_NS1_11comp_targetILNS1_3genE0ELNS1_11target_archE4294967295ELNS1_3gpuE0ELNS1_3repE0EEENS1_36merge_oddeven_config_static_selectorELNS0_4arch9wavefront6targetE1EEEvSL_, .Lfunc_end805-_ZN7rocprim17ROCPRIM_400000_NS6detail17trampoline_kernelINS0_14default_configENS1_38merge_sort_block_merge_config_selectorIyNS0_10empty_typeEEEZZNS1_27merge_sort_block_merge_implIS3_N6thrust23THRUST_200600_302600_NS6detail15normal_iteratorINS9_10device_ptrIyEEEEPS5_jNS1_19radix_merge_compareILb0ELb1EyNS0_19identity_decomposerEEEEE10hipError_tT0_T1_T2_jT3_P12ihipStream_tbPNSt15iterator_traitsISK_E10value_typeEPNSQ_ISL_E10value_typeEPSM_NS1_7vsmem_tEENKUlT_SK_SL_SM_E_clIPySE_SF_SF_EESJ_SZ_SK_SL_SM_EUlSZ_E1_NS1_11comp_targetILNS1_3genE0ELNS1_11target_archE4294967295ELNS1_3gpuE0ELNS1_3repE0EEENS1_36merge_oddeven_config_static_selectorELNS0_4arch9wavefront6targetE1EEEvSL_
                                        ; -- End function
	.section	.AMDGPU.csdata,"",@progbits
; Kernel info:
; codeLenInByte = 0
; NumSgprs: 4
; NumVgprs: 0
; NumAgprs: 0
; TotalNumVgprs: 0
; ScratchSize: 0
; MemoryBound: 0
; FloatMode: 240
; IeeeMode: 1
; LDSByteSize: 0 bytes/workgroup (compile time only)
; SGPRBlocks: 0
; VGPRBlocks: 0
; NumSGPRsForWavesPerEU: 4
; NumVGPRsForWavesPerEU: 1
; AccumOffset: 4
; Occupancy: 8
; WaveLimiterHint : 0
; COMPUTE_PGM_RSRC2:SCRATCH_EN: 0
; COMPUTE_PGM_RSRC2:USER_SGPR: 6
; COMPUTE_PGM_RSRC2:TRAP_HANDLER: 0
; COMPUTE_PGM_RSRC2:TGID_X_EN: 1
; COMPUTE_PGM_RSRC2:TGID_Y_EN: 0
; COMPUTE_PGM_RSRC2:TGID_Z_EN: 0
; COMPUTE_PGM_RSRC2:TIDIG_COMP_CNT: 0
; COMPUTE_PGM_RSRC3_GFX90A:ACCUM_OFFSET: 0
; COMPUTE_PGM_RSRC3_GFX90A:TG_SPLIT: 0
	.section	.text._ZN7rocprim17ROCPRIM_400000_NS6detail17trampoline_kernelINS0_14default_configENS1_38merge_sort_block_merge_config_selectorIyNS0_10empty_typeEEEZZNS1_27merge_sort_block_merge_implIS3_N6thrust23THRUST_200600_302600_NS6detail15normal_iteratorINS9_10device_ptrIyEEEEPS5_jNS1_19radix_merge_compareILb0ELb1EyNS0_19identity_decomposerEEEEE10hipError_tT0_T1_T2_jT3_P12ihipStream_tbPNSt15iterator_traitsISK_E10value_typeEPNSQ_ISL_E10value_typeEPSM_NS1_7vsmem_tEENKUlT_SK_SL_SM_E_clIPySE_SF_SF_EESJ_SZ_SK_SL_SM_EUlSZ_E1_NS1_11comp_targetILNS1_3genE10ELNS1_11target_archE1201ELNS1_3gpuE5ELNS1_3repE0EEENS1_36merge_oddeven_config_static_selectorELNS0_4arch9wavefront6targetE1EEEvSL_,"axG",@progbits,_ZN7rocprim17ROCPRIM_400000_NS6detail17trampoline_kernelINS0_14default_configENS1_38merge_sort_block_merge_config_selectorIyNS0_10empty_typeEEEZZNS1_27merge_sort_block_merge_implIS3_N6thrust23THRUST_200600_302600_NS6detail15normal_iteratorINS9_10device_ptrIyEEEEPS5_jNS1_19radix_merge_compareILb0ELb1EyNS0_19identity_decomposerEEEEE10hipError_tT0_T1_T2_jT3_P12ihipStream_tbPNSt15iterator_traitsISK_E10value_typeEPNSQ_ISL_E10value_typeEPSM_NS1_7vsmem_tEENKUlT_SK_SL_SM_E_clIPySE_SF_SF_EESJ_SZ_SK_SL_SM_EUlSZ_E1_NS1_11comp_targetILNS1_3genE10ELNS1_11target_archE1201ELNS1_3gpuE5ELNS1_3repE0EEENS1_36merge_oddeven_config_static_selectorELNS0_4arch9wavefront6targetE1EEEvSL_,comdat
	.protected	_ZN7rocprim17ROCPRIM_400000_NS6detail17trampoline_kernelINS0_14default_configENS1_38merge_sort_block_merge_config_selectorIyNS0_10empty_typeEEEZZNS1_27merge_sort_block_merge_implIS3_N6thrust23THRUST_200600_302600_NS6detail15normal_iteratorINS9_10device_ptrIyEEEEPS5_jNS1_19radix_merge_compareILb0ELb1EyNS0_19identity_decomposerEEEEE10hipError_tT0_T1_T2_jT3_P12ihipStream_tbPNSt15iterator_traitsISK_E10value_typeEPNSQ_ISL_E10value_typeEPSM_NS1_7vsmem_tEENKUlT_SK_SL_SM_E_clIPySE_SF_SF_EESJ_SZ_SK_SL_SM_EUlSZ_E1_NS1_11comp_targetILNS1_3genE10ELNS1_11target_archE1201ELNS1_3gpuE5ELNS1_3repE0EEENS1_36merge_oddeven_config_static_selectorELNS0_4arch9wavefront6targetE1EEEvSL_ ; -- Begin function _ZN7rocprim17ROCPRIM_400000_NS6detail17trampoline_kernelINS0_14default_configENS1_38merge_sort_block_merge_config_selectorIyNS0_10empty_typeEEEZZNS1_27merge_sort_block_merge_implIS3_N6thrust23THRUST_200600_302600_NS6detail15normal_iteratorINS9_10device_ptrIyEEEEPS5_jNS1_19radix_merge_compareILb0ELb1EyNS0_19identity_decomposerEEEEE10hipError_tT0_T1_T2_jT3_P12ihipStream_tbPNSt15iterator_traitsISK_E10value_typeEPNSQ_ISL_E10value_typeEPSM_NS1_7vsmem_tEENKUlT_SK_SL_SM_E_clIPySE_SF_SF_EESJ_SZ_SK_SL_SM_EUlSZ_E1_NS1_11comp_targetILNS1_3genE10ELNS1_11target_archE1201ELNS1_3gpuE5ELNS1_3repE0EEENS1_36merge_oddeven_config_static_selectorELNS0_4arch9wavefront6targetE1EEEvSL_
	.globl	_ZN7rocprim17ROCPRIM_400000_NS6detail17trampoline_kernelINS0_14default_configENS1_38merge_sort_block_merge_config_selectorIyNS0_10empty_typeEEEZZNS1_27merge_sort_block_merge_implIS3_N6thrust23THRUST_200600_302600_NS6detail15normal_iteratorINS9_10device_ptrIyEEEEPS5_jNS1_19radix_merge_compareILb0ELb1EyNS0_19identity_decomposerEEEEE10hipError_tT0_T1_T2_jT3_P12ihipStream_tbPNSt15iterator_traitsISK_E10value_typeEPNSQ_ISL_E10value_typeEPSM_NS1_7vsmem_tEENKUlT_SK_SL_SM_E_clIPySE_SF_SF_EESJ_SZ_SK_SL_SM_EUlSZ_E1_NS1_11comp_targetILNS1_3genE10ELNS1_11target_archE1201ELNS1_3gpuE5ELNS1_3repE0EEENS1_36merge_oddeven_config_static_selectorELNS0_4arch9wavefront6targetE1EEEvSL_
	.p2align	8
	.type	_ZN7rocprim17ROCPRIM_400000_NS6detail17trampoline_kernelINS0_14default_configENS1_38merge_sort_block_merge_config_selectorIyNS0_10empty_typeEEEZZNS1_27merge_sort_block_merge_implIS3_N6thrust23THRUST_200600_302600_NS6detail15normal_iteratorINS9_10device_ptrIyEEEEPS5_jNS1_19radix_merge_compareILb0ELb1EyNS0_19identity_decomposerEEEEE10hipError_tT0_T1_T2_jT3_P12ihipStream_tbPNSt15iterator_traitsISK_E10value_typeEPNSQ_ISL_E10value_typeEPSM_NS1_7vsmem_tEENKUlT_SK_SL_SM_E_clIPySE_SF_SF_EESJ_SZ_SK_SL_SM_EUlSZ_E1_NS1_11comp_targetILNS1_3genE10ELNS1_11target_archE1201ELNS1_3gpuE5ELNS1_3repE0EEENS1_36merge_oddeven_config_static_selectorELNS0_4arch9wavefront6targetE1EEEvSL_,@function
_ZN7rocprim17ROCPRIM_400000_NS6detail17trampoline_kernelINS0_14default_configENS1_38merge_sort_block_merge_config_selectorIyNS0_10empty_typeEEEZZNS1_27merge_sort_block_merge_implIS3_N6thrust23THRUST_200600_302600_NS6detail15normal_iteratorINS9_10device_ptrIyEEEEPS5_jNS1_19radix_merge_compareILb0ELb1EyNS0_19identity_decomposerEEEEE10hipError_tT0_T1_T2_jT3_P12ihipStream_tbPNSt15iterator_traitsISK_E10value_typeEPNSQ_ISL_E10value_typeEPSM_NS1_7vsmem_tEENKUlT_SK_SL_SM_E_clIPySE_SF_SF_EESJ_SZ_SK_SL_SM_EUlSZ_E1_NS1_11comp_targetILNS1_3genE10ELNS1_11target_archE1201ELNS1_3gpuE5ELNS1_3repE0EEENS1_36merge_oddeven_config_static_selectorELNS0_4arch9wavefront6targetE1EEEvSL_: ; @_ZN7rocprim17ROCPRIM_400000_NS6detail17trampoline_kernelINS0_14default_configENS1_38merge_sort_block_merge_config_selectorIyNS0_10empty_typeEEEZZNS1_27merge_sort_block_merge_implIS3_N6thrust23THRUST_200600_302600_NS6detail15normal_iteratorINS9_10device_ptrIyEEEEPS5_jNS1_19radix_merge_compareILb0ELb1EyNS0_19identity_decomposerEEEEE10hipError_tT0_T1_T2_jT3_P12ihipStream_tbPNSt15iterator_traitsISK_E10value_typeEPNSQ_ISL_E10value_typeEPSM_NS1_7vsmem_tEENKUlT_SK_SL_SM_E_clIPySE_SF_SF_EESJ_SZ_SK_SL_SM_EUlSZ_E1_NS1_11comp_targetILNS1_3genE10ELNS1_11target_archE1201ELNS1_3gpuE5ELNS1_3repE0EEENS1_36merge_oddeven_config_static_selectorELNS0_4arch9wavefront6targetE1EEEvSL_
; %bb.0:
	.section	.rodata,"a",@progbits
	.p2align	6, 0x0
	.amdhsa_kernel _ZN7rocprim17ROCPRIM_400000_NS6detail17trampoline_kernelINS0_14default_configENS1_38merge_sort_block_merge_config_selectorIyNS0_10empty_typeEEEZZNS1_27merge_sort_block_merge_implIS3_N6thrust23THRUST_200600_302600_NS6detail15normal_iteratorINS9_10device_ptrIyEEEEPS5_jNS1_19radix_merge_compareILb0ELb1EyNS0_19identity_decomposerEEEEE10hipError_tT0_T1_T2_jT3_P12ihipStream_tbPNSt15iterator_traitsISK_E10value_typeEPNSQ_ISL_E10value_typeEPSM_NS1_7vsmem_tEENKUlT_SK_SL_SM_E_clIPySE_SF_SF_EESJ_SZ_SK_SL_SM_EUlSZ_E1_NS1_11comp_targetILNS1_3genE10ELNS1_11target_archE1201ELNS1_3gpuE5ELNS1_3repE0EEENS1_36merge_oddeven_config_static_selectorELNS0_4arch9wavefront6targetE1EEEvSL_
		.amdhsa_group_segment_fixed_size 0
		.amdhsa_private_segment_fixed_size 0
		.amdhsa_kernarg_size 48
		.amdhsa_user_sgpr_count 6
		.amdhsa_user_sgpr_private_segment_buffer 1
		.amdhsa_user_sgpr_dispatch_ptr 0
		.amdhsa_user_sgpr_queue_ptr 0
		.amdhsa_user_sgpr_kernarg_segment_ptr 1
		.amdhsa_user_sgpr_dispatch_id 0
		.amdhsa_user_sgpr_flat_scratch_init 0
		.amdhsa_user_sgpr_kernarg_preload_length 0
		.amdhsa_user_sgpr_kernarg_preload_offset 0
		.amdhsa_user_sgpr_private_segment_size 0
		.amdhsa_uses_dynamic_stack 0
		.amdhsa_system_sgpr_private_segment_wavefront_offset 0
		.amdhsa_system_sgpr_workgroup_id_x 1
		.amdhsa_system_sgpr_workgroup_id_y 0
		.amdhsa_system_sgpr_workgroup_id_z 0
		.amdhsa_system_sgpr_workgroup_info 0
		.amdhsa_system_vgpr_workitem_id 0
		.amdhsa_next_free_vgpr 1
		.amdhsa_next_free_sgpr 0
		.amdhsa_accum_offset 4
		.amdhsa_reserve_vcc 0
		.amdhsa_reserve_flat_scratch 0
		.amdhsa_float_round_mode_32 0
		.amdhsa_float_round_mode_16_64 0
		.amdhsa_float_denorm_mode_32 3
		.amdhsa_float_denorm_mode_16_64 3
		.amdhsa_dx10_clamp 1
		.amdhsa_ieee_mode 1
		.amdhsa_fp16_overflow 0
		.amdhsa_tg_split 0
		.amdhsa_exception_fp_ieee_invalid_op 0
		.amdhsa_exception_fp_denorm_src 0
		.amdhsa_exception_fp_ieee_div_zero 0
		.amdhsa_exception_fp_ieee_overflow 0
		.amdhsa_exception_fp_ieee_underflow 0
		.amdhsa_exception_fp_ieee_inexact 0
		.amdhsa_exception_int_div_zero 0
	.end_amdhsa_kernel
	.section	.text._ZN7rocprim17ROCPRIM_400000_NS6detail17trampoline_kernelINS0_14default_configENS1_38merge_sort_block_merge_config_selectorIyNS0_10empty_typeEEEZZNS1_27merge_sort_block_merge_implIS3_N6thrust23THRUST_200600_302600_NS6detail15normal_iteratorINS9_10device_ptrIyEEEEPS5_jNS1_19radix_merge_compareILb0ELb1EyNS0_19identity_decomposerEEEEE10hipError_tT0_T1_T2_jT3_P12ihipStream_tbPNSt15iterator_traitsISK_E10value_typeEPNSQ_ISL_E10value_typeEPSM_NS1_7vsmem_tEENKUlT_SK_SL_SM_E_clIPySE_SF_SF_EESJ_SZ_SK_SL_SM_EUlSZ_E1_NS1_11comp_targetILNS1_3genE10ELNS1_11target_archE1201ELNS1_3gpuE5ELNS1_3repE0EEENS1_36merge_oddeven_config_static_selectorELNS0_4arch9wavefront6targetE1EEEvSL_,"axG",@progbits,_ZN7rocprim17ROCPRIM_400000_NS6detail17trampoline_kernelINS0_14default_configENS1_38merge_sort_block_merge_config_selectorIyNS0_10empty_typeEEEZZNS1_27merge_sort_block_merge_implIS3_N6thrust23THRUST_200600_302600_NS6detail15normal_iteratorINS9_10device_ptrIyEEEEPS5_jNS1_19radix_merge_compareILb0ELb1EyNS0_19identity_decomposerEEEEE10hipError_tT0_T1_T2_jT3_P12ihipStream_tbPNSt15iterator_traitsISK_E10value_typeEPNSQ_ISL_E10value_typeEPSM_NS1_7vsmem_tEENKUlT_SK_SL_SM_E_clIPySE_SF_SF_EESJ_SZ_SK_SL_SM_EUlSZ_E1_NS1_11comp_targetILNS1_3genE10ELNS1_11target_archE1201ELNS1_3gpuE5ELNS1_3repE0EEENS1_36merge_oddeven_config_static_selectorELNS0_4arch9wavefront6targetE1EEEvSL_,comdat
.Lfunc_end806:
	.size	_ZN7rocprim17ROCPRIM_400000_NS6detail17trampoline_kernelINS0_14default_configENS1_38merge_sort_block_merge_config_selectorIyNS0_10empty_typeEEEZZNS1_27merge_sort_block_merge_implIS3_N6thrust23THRUST_200600_302600_NS6detail15normal_iteratorINS9_10device_ptrIyEEEEPS5_jNS1_19radix_merge_compareILb0ELb1EyNS0_19identity_decomposerEEEEE10hipError_tT0_T1_T2_jT3_P12ihipStream_tbPNSt15iterator_traitsISK_E10value_typeEPNSQ_ISL_E10value_typeEPSM_NS1_7vsmem_tEENKUlT_SK_SL_SM_E_clIPySE_SF_SF_EESJ_SZ_SK_SL_SM_EUlSZ_E1_NS1_11comp_targetILNS1_3genE10ELNS1_11target_archE1201ELNS1_3gpuE5ELNS1_3repE0EEENS1_36merge_oddeven_config_static_selectorELNS0_4arch9wavefront6targetE1EEEvSL_, .Lfunc_end806-_ZN7rocprim17ROCPRIM_400000_NS6detail17trampoline_kernelINS0_14default_configENS1_38merge_sort_block_merge_config_selectorIyNS0_10empty_typeEEEZZNS1_27merge_sort_block_merge_implIS3_N6thrust23THRUST_200600_302600_NS6detail15normal_iteratorINS9_10device_ptrIyEEEEPS5_jNS1_19radix_merge_compareILb0ELb1EyNS0_19identity_decomposerEEEEE10hipError_tT0_T1_T2_jT3_P12ihipStream_tbPNSt15iterator_traitsISK_E10value_typeEPNSQ_ISL_E10value_typeEPSM_NS1_7vsmem_tEENKUlT_SK_SL_SM_E_clIPySE_SF_SF_EESJ_SZ_SK_SL_SM_EUlSZ_E1_NS1_11comp_targetILNS1_3genE10ELNS1_11target_archE1201ELNS1_3gpuE5ELNS1_3repE0EEENS1_36merge_oddeven_config_static_selectorELNS0_4arch9wavefront6targetE1EEEvSL_
                                        ; -- End function
	.section	.AMDGPU.csdata,"",@progbits
; Kernel info:
; codeLenInByte = 0
; NumSgprs: 4
; NumVgprs: 0
; NumAgprs: 0
; TotalNumVgprs: 0
; ScratchSize: 0
; MemoryBound: 0
; FloatMode: 240
; IeeeMode: 1
; LDSByteSize: 0 bytes/workgroup (compile time only)
; SGPRBlocks: 0
; VGPRBlocks: 0
; NumSGPRsForWavesPerEU: 4
; NumVGPRsForWavesPerEU: 1
; AccumOffset: 4
; Occupancy: 8
; WaveLimiterHint : 0
; COMPUTE_PGM_RSRC2:SCRATCH_EN: 0
; COMPUTE_PGM_RSRC2:USER_SGPR: 6
; COMPUTE_PGM_RSRC2:TRAP_HANDLER: 0
; COMPUTE_PGM_RSRC2:TGID_X_EN: 1
; COMPUTE_PGM_RSRC2:TGID_Y_EN: 0
; COMPUTE_PGM_RSRC2:TGID_Z_EN: 0
; COMPUTE_PGM_RSRC2:TIDIG_COMP_CNT: 0
; COMPUTE_PGM_RSRC3_GFX90A:ACCUM_OFFSET: 0
; COMPUTE_PGM_RSRC3_GFX90A:TG_SPLIT: 0
	.section	.text._ZN7rocprim17ROCPRIM_400000_NS6detail17trampoline_kernelINS0_14default_configENS1_38merge_sort_block_merge_config_selectorIyNS0_10empty_typeEEEZZNS1_27merge_sort_block_merge_implIS3_N6thrust23THRUST_200600_302600_NS6detail15normal_iteratorINS9_10device_ptrIyEEEEPS5_jNS1_19radix_merge_compareILb0ELb1EyNS0_19identity_decomposerEEEEE10hipError_tT0_T1_T2_jT3_P12ihipStream_tbPNSt15iterator_traitsISK_E10value_typeEPNSQ_ISL_E10value_typeEPSM_NS1_7vsmem_tEENKUlT_SK_SL_SM_E_clIPySE_SF_SF_EESJ_SZ_SK_SL_SM_EUlSZ_E1_NS1_11comp_targetILNS1_3genE5ELNS1_11target_archE942ELNS1_3gpuE9ELNS1_3repE0EEENS1_36merge_oddeven_config_static_selectorELNS0_4arch9wavefront6targetE1EEEvSL_,"axG",@progbits,_ZN7rocprim17ROCPRIM_400000_NS6detail17trampoline_kernelINS0_14default_configENS1_38merge_sort_block_merge_config_selectorIyNS0_10empty_typeEEEZZNS1_27merge_sort_block_merge_implIS3_N6thrust23THRUST_200600_302600_NS6detail15normal_iteratorINS9_10device_ptrIyEEEEPS5_jNS1_19radix_merge_compareILb0ELb1EyNS0_19identity_decomposerEEEEE10hipError_tT0_T1_T2_jT3_P12ihipStream_tbPNSt15iterator_traitsISK_E10value_typeEPNSQ_ISL_E10value_typeEPSM_NS1_7vsmem_tEENKUlT_SK_SL_SM_E_clIPySE_SF_SF_EESJ_SZ_SK_SL_SM_EUlSZ_E1_NS1_11comp_targetILNS1_3genE5ELNS1_11target_archE942ELNS1_3gpuE9ELNS1_3repE0EEENS1_36merge_oddeven_config_static_selectorELNS0_4arch9wavefront6targetE1EEEvSL_,comdat
	.protected	_ZN7rocprim17ROCPRIM_400000_NS6detail17trampoline_kernelINS0_14default_configENS1_38merge_sort_block_merge_config_selectorIyNS0_10empty_typeEEEZZNS1_27merge_sort_block_merge_implIS3_N6thrust23THRUST_200600_302600_NS6detail15normal_iteratorINS9_10device_ptrIyEEEEPS5_jNS1_19radix_merge_compareILb0ELb1EyNS0_19identity_decomposerEEEEE10hipError_tT0_T1_T2_jT3_P12ihipStream_tbPNSt15iterator_traitsISK_E10value_typeEPNSQ_ISL_E10value_typeEPSM_NS1_7vsmem_tEENKUlT_SK_SL_SM_E_clIPySE_SF_SF_EESJ_SZ_SK_SL_SM_EUlSZ_E1_NS1_11comp_targetILNS1_3genE5ELNS1_11target_archE942ELNS1_3gpuE9ELNS1_3repE0EEENS1_36merge_oddeven_config_static_selectorELNS0_4arch9wavefront6targetE1EEEvSL_ ; -- Begin function _ZN7rocprim17ROCPRIM_400000_NS6detail17trampoline_kernelINS0_14default_configENS1_38merge_sort_block_merge_config_selectorIyNS0_10empty_typeEEEZZNS1_27merge_sort_block_merge_implIS3_N6thrust23THRUST_200600_302600_NS6detail15normal_iteratorINS9_10device_ptrIyEEEEPS5_jNS1_19radix_merge_compareILb0ELb1EyNS0_19identity_decomposerEEEEE10hipError_tT0_T1_T2_jT3_P12ihipStream_tbPNSt15iterator_traitsISK_E10value_typeEPNSQ_ISL_E10value_typeEPSM_NS1_7vsmem_tEENKUlT_SK_SL_SM_E_clIPySE_SF_SF_EESJ_SZ_SK_SL_SM_EUlSZ_E1_NS1_11comp_targetILNS1_3genE5ELNS1_11target_archE942ELNS1_3gpuE9ELNS1_3repE0EEENS1_36merge_oddeven_config_static_selectorELNS0_4arch9wavefront6targetE1EEEvSL_
	.globl	_ZN7rocprim17ROCPRIM_400000_NS6detail17trampoline_kernelINS0_14default_configENS1_38merge_sort_block_merge_config_selectorIyNS0_10empty_typeEEEZZNS1_27merge_sort_block_merge_implIS3_N6thrust23THRUST_200600_302600_NS6detail15normal_iteratorINS9_10device_ptrIyEEEEPS5_jNS1_19radix_merge_compareILb0ELb1EyNS0_19identity_decomposerEEEEE10hipError_tT0_T1_T2_jT3_P12ihipStream_tbPNSt15iterator_traitsISK_E10value_typeEPNSQ_ISL_E10value_typeEPSM_NS1_7vsmem_tEENKUlT_SK_SL_SM_E_clIPySE_SF_SF_EESJ_SZ_SK_SL_SM_EUlSZ_E1_NS1_11comp_targetILNS1_3genE5ELNS1_11target_archE942ELNS1_3gpuE9ELNS1_3repE0EEENS1_36merge_oddeven_config_static_selectorELNS0_4arch9wavefront6targetE1EEEvSL_
	.p2align	8
	.type	_ZN7rocprim17ROCPRIM_400000_NS6detail17trampoline_kernelINS0_14default_configENS1_38merge_sort_block_merge_config_selectorIyNS0_10empty_typeEEEZZNS1_27merge_sort_block_merge_implIS3_N6thrust23THRUST_200600_302600_NS6detail15normal_iteratorINS9_10device_ptrIyEEEEPS5_jNS1_19radix_merge_compareILb0ELb1EyNS0_19identity_decomposerEEEEE10hipError_tT0_T1_T2_jT3_P12ihipStream_tbPNSt15iterator_traitsISK_E10value_typeEPNSQ_ISL_E10value_typeEPSM_NS1_7vsmem_tEENKUlT_SK_SL_SM_E_clIPySE_SF_SF_EESJ_SZ_SK_SL_SM_EUlSZ_E1_NS1_11comp_targetILNS1_3genE5ELNS1_11target_archE942ELNS1_3gpuE9ELNS1_3repE0EEENS1_36merge_oddeven_config_static_selectorELNS0_4arch9wavefront6targetE1EEEvSL_,@function
_ZN7rocprim17ROCPRIM_400000_NS6detail17trampoline_kernelINS0_14default_configENS1_38merge_sort_block_merge_config_selectorIyNS0_10empty_typeEEEZZNS1_27merge_sort_block_merge_implIS3_N6thrust23THRUST_200600_302600_NS6detail15normal_iteratorINS9_10device_ptrIyEEEEPS5_jNS1_19radix_merge_compareILb0ELb1EyNS0_19identity_decomposerEEEEE10hipError_tT0_T1_T2_jT3_P12ihipStream_tbPNSt15iterator_traitsISK_E10value_typeEPNSQ_ISL_E10value_typeEPSM_NS1_7vsmem_tEENKUlT_SK_SL_SM_E_clIPySE_SF_SF_EESJ_SZ_SK_SL_SM_EUlSZ_E1_NS1_11comp_targetILNS1_3genE5ELNS1_11target_archE942ELNS1_3gpuE9ELNS1_3repE0EEENS1_36merge_oddeven_config_static_selectorELNS0_4arch9wavefront6targetE1EEEvSL_: ; @_ZN7rocprim17ROCPRIM_400000_NS6detail17trampoline_kernelINS0_14default_configENS1_38merge_sort_block_merge_config_selectorIyNS0_10empty_typeEEEZZNS1_27merge_sort_block_merge_implIS3_N6thrust23THRUST_200600_302600_NS6detail15normal_iteratorINS9_10device_ptrIyEEEEPS5_jNS1_19radix_merge_compareILb0ELb1EyNS0_19identity_decomposerEEEEE10hipError_tT0_T1_T2_jT3_P12ihipStream_tbPNSt15iterator_traitsISK_E10value_typeEPNSQ_ISL_E10value_typeEPSM_NS1_7vsmem_tEENKUlT_SK_SL_SM_E_clIPySE_SF_SF_EESJ_SZ_SK_SL_SM_EUlSZ_E1_NS1_11comp_targetILNS1_3genE5ELNS1_11target_archE942ELNS1_3gpuE9ELNS1_3repE0EEENS1_36merge_oddeven_config_static_selectorELNS0_4arch9wavefront6targetE1EEEvSL_
; %bb.0:
	.section	.rodata,"a",@progbits
	.p2align	6, 0x0
	.amdhsa_kernel _ZN7rocprim17ROCPRIM_400000_NS6detail17trampoline_kernelINS0_14default_configENS1_38merge_sort_block_merge_config_selectorIyNS0_10empty_typeEEEZZNS1_27merge_sort_block_merge_implIS3_N6thrust23THRUST_200600_302600_NS6detail15normal_iteratorINS9_10device_ptrIyEEEEPS5_jNS1_19radix_merge_compareILb0ELb1EyNS0_19identity_decomposerEEEEE10hipError_tT0_T1_T2_jT3_P12ihipStream_tbPNSt15iterator_traitsISK_E10value_typeEPNSQ_ISL_E10value_typeEPSM_NS1_7vsmem_tEENKUlT_SK_SL_SM_E_clIPySE_SF_SF_EESJ_SZ_SK_SL_SM_EUlSZ_E1_NS1_11comp_targetILNS1_3genE5ELNS1_11target_archE942ELNS1_3gpuE9ELNS1_3repE0EEENS1_36merge_oddeven_config_static_selectorELNS0_4arch9wavefront6targetE1EEEvSL_
		.amdhsa_group_segment_fixed_size 0
		.amdhsa_private_segment_fixed_size 0
		.amdhsa_kernarg_size 48
		.amdhsa_user_sgpr_count 6
		.amdhsa_user_sgpr_private_segment_buffer 1
		.amdhsa_user_sgpr_dispatch_ptr 0
		.amdhsa_user_sgpr_queue_ptr 0
		.amdhsa_user_sgpr_kernarg_segment_ptr 1
		.amdhsa_user_sgpr_dispatch_id 0
		.amdhsa_user_sgpr_flat_scratch_init 0
		.amdhsa_user_sgpr_kernarg_preload_length 0
		.amdhsa_user_sgpr_kernarg_preload_offset 0
		.amdhsa_user_sgpr_private_segment_size 0
		.amdhsa_uses_dynamic_stack 0
		.amdhsa_system_sgpr_private_segment_wavefront_offset 0
		.amdhsa_system_sgpr_workgroup_id_x 1
		.amdhsa_system_sgpr_workgroup_id_y 0
		.amdhsa_system_sgpr_workgroup_id_z 0
		.amdhsa_system_sgpr_workgroup_info 0
		.amdhsa_system_vgpr_workitem_id 0
		.amdhsa_next_free_vgpr 1
		.amdhsa_next_free_sgpr 0
		.amdhsa_accum_offset 4
		.amdhsa_reserve_vcc 0
		.amdhsa_reserve_flat_scratch 0
		.amdhsa_float_round_mode_32 0
		.amdhsa_float_round_mode_16_64 0
		.amdhsa_float_denorm_mode_32 3
		.amdhsa_float_denorm_mode_16_64 3
		.amdhsa_dx10_clamp 1
		.amdhsa_ieee_mode 1
		.amdhsa_fp16_overflow 0
		.amdhsa_tg_split 0
		.amdhsa_exception_fp_ieee_invalid_op 0
		.amdhsa_exception_fp_denorm_src 0
		.amdhsa_exception_fp_ieee_div_zero 0
		.amdhsa_exception_fp_ieee_overflow 0
		.amdhsa_exception_fp_ieee_underflow 0
		.amdhsa_exception_fp_ieee_inexact 0
		.amdhsa_exception_int_div_zero 0
	.end_amdhsa_kernel
	.section	.text._ZN7rocprim17ROCPRIM_400000_NS6detail17trampoline_kernelINS0_14default_configENS1_38merge_sort_block_merge_config_selectorIyNS0_10empty_typeEEEZZNS1_27merge_sort_block_merge_implIS3_N6thrust23THRUST_200600_302600_NS6detail15normal_iteratorINS9_10device_ptrIyEEEEPS5_jNS1_19radix_merge_compareILb0ELb1EyNS0_19identity_decomposerEEEEE10hipError_tT0_T1_T2_jT3_P12ihipStream_tbPNSt15iterator_traitsISK_E10value_typeEPNSQ_ISL_E10value_typeEPSM_NS1_7vsmem_tEENKUlT_SK_SL_SM_E_clIPySE_SF_SF_EESJ_SZ_SK_SL_SM_EUlSZ_E1_NS1_11comp_targetILNS1_3genE5ELNS1_11target_archE942ELNS1_3gpuE9ELNS1_3repE0EEENS1_36merge_oddeven_config_static_selectorELNS0_4arch9wavefront6targetE1EEEvSL_,"axG",@progbits,_ZN7rocprim17ROCPRIM_400000_NS6detail17trampoline_kernelINS0_14default_configENS1_38merge_sort_block_merge_config_selectorIyNS0_10empty_typeEEEZZNS1_27merge_sort_block_merge_implIS3_N6thrust23THRUST_200600_302600_NS6detail15normal_iteratorINS9_10device_ptrIyEEEEPS5_jNS1_19radix_merge_compareILb0ELb1EyNS0_19identity_decomposerEEEEE10hipError_tT0_T1_T2_jT3_P12ihipStream_tbPNSt15iterator_traitsISK_E10value_typeEPNSQ_ISL_E10value_typeEPSM_NS1_7vsmem_tEENKUlT_SK_SL_SM_E_clIPySE_SF_SF_EESJ_SZ_SK_SL_SM_EUlSZ_E1_NS1_11comp_targetILNS1_3genE5ELNS1_11target_archE942ELNS1_3gpuE9ELNS1_3repE0EEENS1_36merge_oddeven_config_static_selectorELNS0_4arch9wavefront6targetE1EEEvSL_,comdat
.Lfunc_end807:
	.size	_ZN7rocprim17ROCPRIM_400000_NS6detail17trampoline_kernelINS0_14default_configENS1_38merge_sort_block_merge_config_selectorIyNS0_10empty_typeEEEZZNS1_27merge_sort_block_merge_implIS3_N6thrust23THRUST_200600_302600_NS6detail15normal_iteratorINS9_10device_ptrIyEEEEPS5_jNS1_19radix_merge_compareILb0ELb1EyNS0_19identity_decomposerEEEEE10hipError_tT0_T1_T2_jT3_P12ihipStream_tbPNSt15iterator_traitsISK_E10value_typeEPNSQ_ISL_E10value_typeEPSM_NS1_7vsmem_tEENKUlT_SK_SL_SM_E_clIPySE_SF_SF_EESJ_SZ_SK_SL_SM_EUlSZ_E1_NS1_11comp_targetILNS1_3genE5ELNS1_11target_archE942ELNS1_3gpuE9ELNS1_3repE0EEENS1_36merge_oddeven_config_static_selectorELNS0_4arch9wavefront6targetE1EEEvSL_, .Lfunc_end807-_ZN7rocprim17ROCPRIM_400000_NS6detail17trampoline_kernelINS0_14default_configENS1_38merge_sort_block_merge_config_selectorIyNS0_10empty_typeEEEZZNS1_27merge_sort_block_merge_implIS3_N6thrust23THRUST_200600_302600_NS6detail15normal_iteratorINS9_10device_ptrIyEEEEPS5_jNS1_19radix_merge_compareILb0ELb1EyNS0_19identity_decomposerEEEEE10hipError_tT0_T1_T2_jT3_P12ihipStream_tbPNSt15iterator_traitsISK_E10value_typeEPNSQ_ISL_E10value_typeEPSM_NS1_7vsmem_tEENKUlT_SK_SL_SM_E_clIPySE_SF_SF_EESJ_SZ_SK_SL_SM_EUlSZ_E1_NS1_11comp_targetILNS1_3genE5ELNS1_11target_archE942ELNS1_3gpuE9ELNS1_3repE0EEENS1_36merge_oddeven_config_static_selectorELNS0_4arch9wavefront6targetE1EEEvSL_
                                        ; -- End function
	.section	.AMDGPU.csdata,"",@progbits
; Kernel info:
; codeLenInByte = 0
; NumSgprs: 4
; NumVgprs: 0
; NumAgprs: 0
; TotalNumVgprs: 0
; ScratchSize: 0
; MemoryBound: 0
; FloatMode: 240
; IeeeMode: 1
; LDSByteSize: 0 bytes/workgroup (compile time only)
; SGPRBlocks: 0
; VGPRBlocks: 0
; NumSGPRsForWavesPerEU: 4
; NumVGPRsForWavesPerEU: 1
; AccumOffset: 4
; Occupancy: 8
; WaveLimiterHint : 0
; COMPUTE_PGM_RSRC2:SCRATCH_EN: 0
; COMPUTE_PGM_RSRC2:USER_SGPR: 6
; COMPUTE_PGM_RSRC2:TRAP_HANDLER: 0
; COMPUTE_PGM_RSRC2:TGID_X_EN: 1
; COMPUTE_PGM_RSRC2:TGID_Y_EN: 0
; COMPUTE_PGM_RSRC2:TGID_Z_EN: 0
; COMPUTE_PGM_RSRC2:TIDIG_COMP_CNT: 0
; COMPUTE_PGM_RSRC3_GFX90A:ACCUM_OFFSET: 0
; COMPUTE_PGM_RSRC3_GFX90A:TG_SPLIT: 0
	.section	.text._ZN7rocprim17ROCPRIM_400000_NS6detail17trampoline_kernelINS0_14default_configENS1_38merge_sort_block_merge_config_selectorIyNS0_10empty_typeEEEZZNS1_27merge_sort_block_merge_implIS3_N6thrust23THRUST_200600_302600_NS6detail15normal_iteratorINS9_10device_ptrIyEEEEPS5_jNS1_19radix_merge_compareILb0ELb1EyNS0_19identity_decomposerEEEEE10hipError_tT0_T1_T2_jT3_P12ihipStream_tbPNSt15iterator_traitsISK_E10value_typeEPNSQ_ISL_E10value_typeEPSM_NS1_7vsmem_tEENKUlT_SK_SL_SM_E_clIPySE_SF_SF_EESJ_SZ_SK_SL_SM_EUlSZ_E1_NS1_11comp_targetILNS1_3genE4ELNS1_11target_archE910ELNS1_3gpuE8ELNS1_3repE0EEENS1_36merge_oddeven_config_static_selectorELNS0_4arch9wavefront6targetE1EEEvSL_,"axG",@progbits,_ZN7rocprim17ROCPRIM_400000_NS6detail17trampoline_kernelINS0_14default_configENS1_38merge_sort_block_merge_config_selectorIyNS0_10empty_typeEEEZZNS1_27merge_sort_block_merge_implIS3_N6thrust23THRUST_200600_302600_NS6detail15normal_iteratorINS9_10device_ptrIyEEEEPS5_jNS1_19radix_merge_compareILb0ELb1EyNS0_19identity_decomposerEEEEE10hipError_tT0_T1_T2_jT3_P12ihipStream_tbPNSt15iterator_traitsISK_E10value_typeEPNSQ_ISL_E10value_typeEPSM_NS1_7vsmem_tEENKUlT_SK_SL_SM_E_clIPySE_SF_SF_EESJ_SZ_SK_SL_SM_EUlSZ_E1_NS1_11comp_targetILNS1_3genE4ELNS1_11target_archE910ELNS1_3gpuE8ELNS1_3repE0EEENS1_36merge_oddeven_config_static_selectorELNS0_4arch9wavefront6targetE1EEEvSL_,comdat
	.protected	_ZN7rocprim17ROCPRIM_400000_NS6detail17trampoline_kernelINS0_14default_configENS1_38merge_sort_block_merge_config_selectorIyNS0_10empty_typeEEEZZNS1_27merge_sort_block_merge_implIS3_N6thrust23THRUST_200600_302600_NS6detail15normal_iteratorINS9_10device_ptrIyEEEEPS5_jNS1_19radix_merge_compareILb0ELb1EyNS0_19identity_decomposerEEEEE10hipError_tT0_T1_T2_jT3_P12ihipStream_tbPNSt15iterator_traitsISK_E10value_typeEPNSQ_ISL_E10value_typeEPSM_NS1_7vsmem_tEENKUlT_SK_SL_SM_E_clIPySE_SF_SF_EESJ_SZ_SK_SL_SM_EUlSZ_E1_NS1_11comp_targetILNS1_3genE4ELNS1_11target_archE910ELNS1_3gpuE8ELNS1_3repE0EEENS1_36merge_oddeven_config_static_selectorELNS0_4arch9wavefront6targetE1EEEvSL_ ; -- Begin function _ZN7rocprim17ROCPRIM_400000_NS6detail17trampoline_kernelINS0_14default_configENS1_38merge_sort_block_merge_config_selectorIyNS0_10empty_typeEEEZZNS1_27merge_sort_block_merge_implIS3_N6thrust23THRUST_200600_302600_NS6detail15normal_iteratorINS9_10device_ptrIyEEEEPS5_jNS1_19radix_merge_compareILb0ELb1EyNS0_19identity_decomposerEEEEE10hipError_tT0_T1_T2_jT3_P12ihipStream_tbPNSt15iterator_traitsISK_E10value_typeEPNSQ_ISL_E10value_typeEPSM_NS1_7vsmem_tEENKUlT_SK_SL_SM_E_clIPySE_SF_SF_EESJ_SZ_SK_SL_SM_EUlSZ_E1_NS1_11comp_targetILNS1_3genE4ELNS1_11target_archE910ELNS1_3gpuE8ELNS1_3repE0EEENS1_36merge_oddeven_config_static_selectorELNS0_4arch9wavefront6targetE1EEEvSL_
	.globl	_ZN7rocprim17ROCPRIM_400000_NS6detail17trampoline_kernelINS0_14default_configENS1_38merge_sort_block_merge_config_selectorIyNS0_10empty_typeEEEZZNS1_27merge_sort_block_merge_implIS3_N6thrust23THRUST_200600_302600_NS6detail15normal_iteratorINS9_10device_ptrIyEEEEPS5_jNS1_19radix_merge_compareILb0ELb1EyNS0_19identity_decomposerEEEEE10hipError_tT0_T1_T2_jT3_P12ihipStream_tbPNSt15iterator_traitsISK_E10value_typeEPNSQ_ISL_E10value_typeEPSM_NS1_7vsmem_tEENKUlT_SK_SL_SM_E_clIPySE_SF_SF_EESJ_SZ_SK_SL_SM_EUlSZ_E1_NS1_11comp_targetILNS1_3genE4ELNS1_11target_archE910ELNS1_3gpuE8ELNS1_3repE0EEENS1_36merge_oddeven_config_static_selectorELNS0_4arch9wavefront6targetE1EEEvSL_
	.p2align	8
	.type	_ZN7rocprim17ROCPRIM_400000_NS6detail17trampoline_kernelINS0_14default_configENS1_38merge_sort_block_merge_config_selectorIyNS0_10empty_typeEEEZZNS1_27merge_sort_block_merge_implIS3_N6thrust23THRUST_200600_302600_NS6detail15normal_iteratorINS9_10device_ptrIyEEEEPS5_jNS1_19radix_merge_compareILb0ELb1EyNS0_19identity_decomposerEEEEE10hipError_tT0_T1_T2_jT3_P12ihipStream_tbPNSt15iterator_traitsISK_E10value_typeEPNSQ_ISL_E10value_typeEPSM_NS1_7vsmem_tEENKUlT_SK_SL_SM_E_clIPySE_SF_SF_EESJ_SZ_SK_SL_SM_EUlSZ_E1_NS1_11comp_targetILNS1_3genE4ELNS1_11target_archE910ELNS1_3gpuE8ELNS1_3repE0EEENS1_36merge_oddeven_config_static_selectorELNS0_4arch9wavefront6targetE1EEEvSL_,@function
_ZN7rocprim17ROCPRIM_400000_NS6detail17trampoline_kernelINS0_14default_configENS1_38merge_sort_block_merge_config_selectorIyNS0_10empty_typeEEEZZNS1_27merge_sort_block_merge_implIS3_N6thrust23THRUST_200600_302600_NS6detail15normal_iteratorINS9_10device_ptrIyEEEEPS5_jNS1_19radix_merge_compareILb0ELb1EyNS0_19identity_decomposerEEEEE10hipError_tT0_T1_T2_jT3_P12ihipStream_tbPNSt15iterator_traitsISK_E10value_typeEPNSQ_ISL_E10value_typeEPSM_NS1_7vsmem_tEENKUlT_SK_SL_SM_E_clIPySE_SF_SF_EESJ_SZ_SK_SL_SM_EUlSZ_E1_NS1_11comp_targetILNS1_3genE4ELNS1_11target_archE910ELNS1_3gpuE8ELNS1_3repE0EEENS1_36merge_oddeven_config_static_selectorELNS0_4arch9wavefront6targetE1EEEvSL_: ; @_ZN7rocprim17ROCPRIM_400000_NS6detail17trampoline_kernelINS0_14default_configENS1_38merge_sort_block_merge_config_selectorIyNS0_10empty_typeEEEZZNS1_27merge_sort_block_merge_implIS3_N6thrust23THRUST_200600_302600_NS6detail15normal_iteratorINS9_10device_ptrIyEEEEPS5_jNS1_19radix_merge_compareILb0ELb1EyNS0_19identity_decomposerEEEEE10hipError_tT0_T1_T2_jT3_P12ihipStream_tbPNSt15iterator_traitsISK_E10value_typeEPNSQ_ISL_E10value_typeEPSM_NS1_7vsmem_tEENKUlT_SK_SL_SM_E_clIPySE_SF_SF_EESJ_SZ_SK_SL_SM_EUlSZ_E1_NS1_11comp_targetILNS1_3genE4ELNS1_11target_archE910ELNS1_3gpuE8ELNS1_3repE0EEENS1_36merge_oddeven_config_static_selectorELNS0_4arch9wavefront6targetE1EEEvSL_
; %bb.0:
	s_load_dword s18, s[4:5], 0x20
	s_waitcnt lgkmcnt(0)
	s_lshr_b32 s0, s18, 8
	s_cmp_lg_u32 s6, s0
	s_cselect_b64 s[14:15], -1, 0
	s_cmp_eq_u32 s6, s0
	s_cselect_b64 s[12:13], -1, 0
	s_lshl_b32 s16, s6, 8
	s_sub_i32 s0, s18, s16
	v_cmp_gt_u32_e64 s[2:3], s0, v0
	s_or_b64 s[0:1], s[14:15], s[2:3]
	s_and_saveexec_b64 s[8:9], s[0:1]
	s_cbranch_execz .LBB808_20
; %bb.1:
	s_load_dwordx4 s[8:11], s[4:5], 0x0
	s_load_dword s19, s[4:5], 0x24
	s_mov_b32 s17, 0
	s_lshl_b64 s[0:1], s[16:17], 3
	v_lshlrev_b32_e32 v1, 3, v0
	s_waitcnt lgkmcnt(0)
	s_add_u32 s0, s8, s0
	s_addc_u32 s1, s9, s1
	global_load_dwordx2 v[2:3], v1, s[0:1]
	s_lshr_b32 s0, s19, 8
	s_sub_i32 s1, 0, s0
	s_and_b32 s1, s6, s1
	s_and_b32 s0, s1, s0
	s_lshl_b32 s20, s1, 8
	s_sub_i32 s17, 0, s19
	s_cmp_eq_u32 s0, 0
	s_cselect_b64 s[0:1], -1, 0
	s_and_b64 s[6:7], s[0:1], exec
	s_cselect_b32 s17, s19, s17
	s_add_i32 s17, s17, s20
	s_cmp_lt_u32 s17, s18
	v_add_u32_e32 v0, s16, v0
	s_cbranch_scc1 .LBB808_3
; %bb.2:
	v_cmp_gt_u32_e32 vcc, s18, v0
	s_or_b64 s[6:7], vcc, s[14:15]
	s_and_b64 s[6:7], s[6:7], exec
	s_cbranch_execz .LBB808_4
	s_branch .LBB808_18
.LBB808_3:
	s_mov_b64 s[6:7], 0
.LBB808_4:
	s_load_dwordx2 s[4:5], s[4:5], 0x28
	s_min_u32 s14, s17, s18
	s_min_u32 s16, s20, s14
	s_add_i32 s20, s20, s14
	s_add_i32 s15, s14, s19
	v_subrev_u32_e32 v0, s20, v0
	s_min_u32 s15, s15, s18
	v_add_u32_e32 v6, s16, v0
	s_and_b64 vcc, exec, s[12:13]
	s_cbranch_vccz .LBB808_12
; %bb.5:
                                        ; implicit-def: $vgpr0
	s_and_saveexec_b64 s[12:13], s[2:3]
	s_cbranch_execz .LBB808_11
; %bb.6:
	s_cmp_ge_u32 s17, s15
	v_mov_b32_e32 v7, s14
	s_cbranch_scc1 .LBB808_10
; %bb.7:
	s_waitcnt vmcnt(0) lgkmcnt(0)
	v_and_b32_e32 v1, s5, v3
	v_and_b32_e32 v0, s4, v2
	s_mov_b64 s[2:3], 0
	v_mov_b32_e32 v8, s15
	v_mov_b32_e32 v7, s14
	;; [unrolled: 1-line block ×4, first 2 shown]
.LBB808_8:                              ; =>This Inner Loop Header: Depth=1
	v_add_u32_e32 v4, v7, v8
	v_lshrrev_b32_e32 v4, 1, v4
	v_lshlrev_b64 v[10:11], 3, v[4:5]
	v_add_co_u32_e32 v10, vcc, s8, v10
	v_addc_co_u32_e32 v11, vcc, v9, v11, vcc
	global_load_dwordx2 v[10:11], v[10:11], off
	v_add_u32_e32 v12, 1, v4
	s_waitcnt vmcnt(0)
	v_and_b32_e32 v11, s5, v11
	v_and_b32_e32 v10, s4, v10
	v_cmp_gt_u64_e32 vcc, v[0:1], v[10:11]
	v_cndmask_b32_e64 v13, 0, 1, vcc
	v_cmp_le_u64_e32 vcc, v[10:11], v[0:1]
	v_cndmask_b32_e64 v10, 0, 1, vcc
	v_cndmask_b32_e64 v10, v10, v13, s[0:1]
	v_and_b32_e32 v10, 1, v10
	v_cmp_eq_u32_e32 vcc, 1, v10
	v_cndmask_b32_e32 v8, v4, v8, vcc
	v_cndmask_b32_e32 v7, v7, v12, vcc
	v_cmp_ge_u32_e32 vcc, v7, v8
	s_or_b64 s[2:3], vcc, s[2:3]
	s_andn2_b64 exec, exec, s[2:3]
	s_cbranch_execnz .LBB808_8
; %bb.9:
	s_or_b64 exec, exec, s[2:3]
.LBB808_10:
	v_add_u32_e32 v0, v7, v6
	s_or_b64 s[6:7], s[6:7], exec
.LBB808_11:
	s_or_b64 exec, exec, s[12:13]
	s_branch .LBB808_18
.LBB808_12:
                                        ; implicit-def: $vgpr0
	s_cbranch_execz .LBB808_18
; %bb.13:
	s_cmp_ge_u32 s17, s15
	v_mov_b32_e32 v7, s14
	s_cbranch_scc1 .LBB808_17
; %bb.14:
	s_waitcnt vmcnt(0) lgkmcnt(0)
	v_and_b32_e32 v1, s5, v3
	v_and_b32_e32 v0, s4, v2
	s_mov_b64 s[2:3], 0
	v_mov_b32_e32 v8, s15
	v_mov_b32_e32 v7, s14
	;; [unrolled: 1-line block ×4, first 2 shown]
.LBB808_15:                             ; =>This Inner Loop Header: Depth=1
	v_add_u32_e32 v4, v7, v8
	v_lshrrev_b32_e32 v4, 1, v4
	v_lshlrev_b64 v[10:11], 3, v[4:5]
	v_add_co_u32_e32 v10, vcc, s8, v10
	v_addc_co_u32_e32 v11, vcc, v9, v11, vcc
	global_load_dwordx2 v[10:11], v[10:11], off
	v_add_u32_e32 v12, 1, v4
	s_waitcnt vmcnt(0)
	v_and_b32_e32 v11, s5, v11
	v_and_b32_e32 v10, s4, v10
	v_cmp_gt_u64_e32 vcc, v[0:1], v[10:11]
	v_cndmask_b32_e64 v13, 0, 1, vcc
	v_cmp_le_u64_e32 vcc, v[10:11], v[0:1]
	v_cndmask_b32_e64 v10, 0, 1, vcc
	v_cndmask_b32_e64 v10, v10, v13, s[0:1]
	v_and_b32_e32 v10, 1, v10
	v_cmp_eq_u32_e32 vcc, 1, v10
	v_cndmask_b32_e32 v8, v4, v8, vcc
	v_cndmask_b32_e32 v7, v7, v12, vcc
	v_cmp_ge_u32_e32 vcc, v7, v8
	s_or_b64 s[2:3], vcc, s[2:3]
	s_andn2_b64 exec, exec, s[2:3]
	s_cbranch_execnz .LBB808_15
; %bb.16:
	s_or_b64 exec, exec, s[2:3]
.LBB808_17:
	v_add_u32_e32 v0, v7, v6
	s_mov_b64 s[6:7], -1
.LBB808_18:
	s_and_b64 exec, exec, s[6:7]
	s_cbranch_execz .LBB808_20
; %bb.19:
	v_mov_b32_e32 v1, 0
	v_lshlrev_b64 v[0:1], 3, v[0:1]
	v_mov_b32_e32 v4, s11
	v_add_co_u32_e32 v0, vcc, s10, v0
	v_addc_co_u32_e32 v1, vcc, v4, v1, vcc
	s_waitcnt vmcnt(0)
	global_store_dwordx2 v[0:1], v[2:3], off
.LBB808_20:
	s_endpgm
	.section	.rodata,"a",@progbits
	.p2align	6, 0x0
	.amdhsa_kernel _ZN7rocprim17ROCPRIM_400000_NS6detail17trampoline_kernelINS0_14default_configENS1_38merge_sort_block_merge_config_selectorIyNS0_10empty_typeEEEZZNS1_27merge_sort_block_merge_implIS3_N6thrust23THRUST_200600_302600_NS6detail15normal_iteratorINS9_10device_ptrIyEEEEPS5_jNS1_19radix_merge_compareILb0ELb1EyNS0_19identity_decomposerEEEEE10hipError_tT0_T1_T2_jT3_P12ihipStream_tbPNSt15iterator_traitsISK_E10value_typeEPNSQ_ISL_E10value_typeEPSM_NS1_7vsmem_tEENKUlT_SK_SL_SM_E_clIPySE_SF_SF_EESJ_SZ_SK_SL_SM_EUlSZ_E1_NS1_11comp_targetILNS1_3genE4ELNS1_11target_archE910ELNS1_3gpuE8ELNS1_3repE0EEENS1_36merge_oddeven_config_static_selectorELNS0_4arch9wavefront6targetE1EEEvSL_
		.amdhsa_group_segment_fixed_size 0
		.amdhsa_private_segment_fixed_size 0
		.amdhsa_kernarg_size 48
		.amdhsa_user_sgpr_count 6
		.amdhsa_user_sgpr_private_segment_buffer 1
		.amdhsa_user_sgpr_dispatch_ptr 0
		.amdhsa_user_sgpr_queue_ptr 0
		.amdhsa_user_sgpr_kernarg_segment_ptr 1
		.amdhsa_user_sgpr_dispatch_id 0
		.amdhsa_user_sgpr_flat_scratch_init 0
		.amdhsa_user_sgpr_kernarg_preload_length 0
		.amdhsa_user_sgpr_kernarg_preload_offset 0
		.amdhsa_user_sgpr_private_segment_size 0
		.amdhsa_uses_dynamic_stack 0
		.amdhsa_system_sgpr_private_segment_wavefront_offset 0
		.amdhsa_system_sgpr_workgroup_id_x 1
		.amdhsa_system_sgpr_workgroup_id_y 0
		.amdhsa_system_sgpr_workgroup_id_z 0
		.amdhsa_system_sgpr_workgroup_info 0
		.amdhsa_system_vgpr_workitem_id 0
		.amdhsa_next_free_vgpr 14
		.amdhsa_next_free_sgpr 21
		.amdhsa_accum_offset 16
		.amdhsa_reserve_vcc 1
		.amdhsa_reserve_flat_scratch 0
		.amdhsa_float_round_mode_32 0
		.amdhsa_float_round_mode_16_64 0
		.amdhsa_float_denorm_mode_32 3
		.amdhsa_float_denorm_mode_16_64 3
		.amdhsa_dx10_clamp 1
		.amdhsa_ieee_mode 1
		.amdhsa_fp16_overflow 0
		.amdhsa_tg_split 0
		.amdhsa_exception_fp_ieee_invalid_op 0
		.amdhsa_exception_fp_denorm_src 0
		.amdhsa_exception_fp_ieee_div_zero 0
		.amdhsa_exception_fp_ieee_overflow 0
		.amdhsa_exception_fp_ieee_underflow 0
		.amdhsa_exception_fp_ieee_inexact 0
		.amdhsa_exception_int_div_zero 0
	.end_amdhsa_kernel
	.section	.text._ZN7rocprim17ROCPRIM_400000_NS6detail17trampoline_kernelINS0_14default_configENS1_38merge_sort_block_merge_config_selectorIyNS0_10empty_typeEEEZZNS1_27merge_sort_block_merge_implIS3_N6thrust23THRUST_200600_302600_NS6detail15normal_iteratorINS9_10device_ptrIyEEEEPS5_jNS1_19radix_merge_compareILb0ELb1EyNS0_19identity_decomposerEEEEE10hipError_tT0_T1_T2_jT3_P12ihipStream_tbPNSt15iterator_traitsISK_E10value_typeEPNSQ_ISL_E10value_typeEPSM_NS1_7vsmem_tEENKUlT_SK_SL_SM_E_clIPySE_SF_SF_EESJ_SZ_SK_SL_SM_EUlSZ_E1_NS1_11comp_targetILNS1_3genE4ELNS1_11target_archE910ELNS1_3gpuE8ELNS1_3repE0EEENS1_36merge_oddeven_config_static_selectorELNS0_4arch9wavefront6targetE1EEEvSL_,"axG",@progbits,_ZN7rocprim17ROCPRIM_400000_NS6detail17trampoline_kernelINS0_14default_configENS1_38merge_sort_block_merge_config_selectorIyNS0_10empty_typeEEEZZNS1_27merge_sort_block_merge_implIS3_N6thrust23THRUST_200600_302600_NS6detail15normal_iteratorINS9_10device_ptrIyEEEEPS5_jNS1_19radix_merge_compareILb0ELb1EyNS0_19identity_decomposerEEEEE10hipError_tT0_T1_T2_jT3_P12ihipStream_tbPNSt15iterator_traitsISK_E10value_typeEPNSQ_ISL_E10value_typeEPSM_NS1_7vsmem_tEENKUlT_SK_SL_SM_E_clIPySE_SF_SF_EESJ_SZ_SK_SL_SM_EUlSZ_E1_NS1_11comp_targetILNS1_3genE4ELNS1_11target_archE910ELNS1_3gpuE8ELNS1_3repE0EEENS1_36merge_oddeven_config_static_selectorELNS0_4arch9wavefront6targetE1EEEvSL_,comdat
.Lfunc_end808:
	.size	_ZN7rocprim17ROCPRIM_400000_NS6detail17trampoline_kernelINS0_14default_configENS1_38merge_sort_block_merge_config_selectorIyNS0_10empty_typeEEEZZNS1_27merge_sort_block_merge_implIS3_N6thrust23THRUST_200600_302600_NS6detail15normal_iteratorINS9_10device_ptrIyEEEEPS5_jNS1_19radix_merge_compareILb0ELb1EyNS0_19identity_decomposerEEEEE10hipError_tT0_T1_T2_jT3_P12ihipStream_tbPNSt15iterator_traitsISK_E10value_typeEPNSQ_ISL_E10value_typeEPSM_NS1_7vsmem_tEENKUlT_SK_SL_SM_E_clIPySE_SF_SF_EESJ_SZ_SK_SL_SM_EUlSZ_E1_NS1_11comp_targetILNS1_3genE4ELNS1_11target_archE910ELNS1_3gpuE8ELNS1_3repE0EEENS1_36merge_oddeven_config_static_selectorELNS0_4arch9wavefront6targetE1EEEvSL_, .Lfunc_end808-_ZN7rocprim17ROCPRIM_400000_NS6detail17trampoline_kernelINS0_14default_configENS1_38merge_sort_block_merge_config_selectorIyNS0_10empty_typeEEEZZNS1_27merge_sort_block_merge_implIS3_N6thrust23THRUST_200600_302600_NS6detail15normal_iteratorINS9_10device_ptrIyEEEEPS5_jNS1_19radix_merge_compareILb0ELb1EyNS0_19identity_decomposerEEEEE10hipError_tT0_T1_T2_jT3_P12ihipStream_tbPNSt15iterator_traitsISK_E10value_typeEPNSQ_ISL_E10value_typeEPSM_NS1_7vsmem_tEENKUlT_SK_SL_SM_E_clIPySE_SF_SF_EESJ_SZ_SK_SL_SM_EUlSZ_E1_NS1_11comp_targetILNS1_3genE4ELNS1_11target_archE910ELNS1_3gpuE8ELNS1_3repE0EEENS1_36merge_oddeven_config_static_selectorELNS0_4arch9wavefront6targetE1EEEvSL_
                                        ; -- End function
	.section	.AMDGPU.csdata,"",@progbits
; Kernel info:
; codeLenInByte = 636
; NumSgprs: 25
; NumVgprs: 14
; NumAgprs: 0
; TotalNumVgprs: 14
; ScratchSize: 0
; MemoryBound: 0
; FloatMode: 240
; IeeeMode: 1
; LDSByteSize: 0 bytes/workgroup (compile time only)
; SGPRBlocks: 3
; VGPRBlocks: 1
; NumSGPRsForWavesPerEU: 25
; NumVGPRsForWavesPerEU: 14
; AccumOffset: 16
; Occupancy: 8
; WaveLimiterHint : 0
; COMPUTE_PGM_RSRC2:SCRATCH_EN: 0
; COMPUTE_PGM_RSRC2:USER_SGPR: 6
; COMPUTE_PGM_RSRC2:TRAP_HANDLER: 0
; COMPUTE_PGM_RSRC2:TGID_X_EN: 1
; COMPUTE_PGM_RSRC2:TGID_Y_EN: 0
; COMPUTE_PGM_RSRC2:TGID_Z_EN: 0
; COMPUTE_PGM_RSRC2:TIDIG_COMP_CNT: 0
; COMPUTE_PGM_RSRC3_GFX90A:ACCUM_OFFSET: 3
; COMPUTE_PGM_RSRC3_GFX90A:TG_SPLIT: 0
	.section	.text._ZN7rocprim17ROCPRIM_400000_NS6detail17trampoline_kernelINS0_14default_configENS1_38merge_sort_block_merge_config_selectorIyNS0_10empty_typeEEEZZNS1_27merge_sort_block_merge_implIS3_N6thrust23THRUST_200600_302600_NS6detail15normal_iteratorINS9_10device_ptrIyEEEEPS5_jNS1_19radix_merge_compareILb0ELb1EyNS0_19identity_decomposerEEEEE10hipError_tT0_T1_T2_jT3_P12ihipStream_tbPNSt15iterator_traitsISK_E10value_typeEPNSQ_ISL_E10value_typeEPSM_NS1_7vsmem_tEENKUlT_SK_SL_SM_E_clIPySE_SF_SF_EESJ_SZ_SK_SL_SM_EUlSZ_E1_NS1_11comp_targetILNS1_3genE3ELNS1_11target_archE908ELNS1_3gpuE7ELNS1_3repE0EEENS1_36merge_oddeven_config_static_selectorELNS0_4arch9wavefront6targetE1EEEvSL_,"axG",@progbits,_ZN7rocprim17ROCPRIM_400000_NS6detail17trampoline_kernelINS0_14default_configENS1_38merge_sort_block_merge_config_selectorIyNS0_10empty_typeEEEZZNS1_27merge_sort_block_merge_implIS3_N6thrust23THRUST_200600_302600_NS6detail15normal_iteratorINS9_10device_ptrIyEEEEPS5_jNS1_19radix_merge_compareILb0ELb1EyNS0_19identity_decomposerEEEEE10hipError_tT0_T1_T2_jT3_P12ihipStream_tbPNSt15iterator_traitsISK_E10value_typeEPNSQ_ISL_E10value_typeEPSM_NS1_7vsmem_tEENKUlT_SK_SL_SM_E_clIPySE_SF_SF_EESJ_SZ_SK_SL_SM_EUlSZ_E1_NS1_11comp_targetILNS1_3genE3ELNS1_11target_archE908ELNS1_3gpuE7ELNS1_3repE0EEENS1_36merge_oddeven_config_static_selectorELNS0_4arch9wavefront6targetE1EEEvSL_,comdat
	.protected	_ZN7rocprim17ROCPRIM_400000_NS6detail17trampoline_kernelINS0_14default_configENS1_38merge_sort_block_merge_config_selectorIyNS0_10empty_typeEEEZZNS1_27merge_sort_block_merge_implIS3_N6thrust23THRUST_200600_302600_NS6detail15normal_iteratorINS9_10device_ptrIyEEEEPS5_jNS1_19radix_merge_compareILb0ELb1EyNS0_19identity_decomposerEEEEE10hipError_tT0_T1_T2_jT3_P12ihipStream_tbPNSt15iterator_traitsISK_E10value_typeEPNSQ_ISL_E10value_typeEPSM_NS1_7vsmem_tEENKUlT_SK_SL_SM_E_clIPySE_SF_SF_EESJ_SZ_SK_SL_SM_EUlSZ_E1_NS1_11comp_targetILNS1_3genE3ELNS1_11target_archE908ELNS1_3gpuE7ELNS1_3repE0EEENS1_36merge_oddeven_config_static_selectorELNS0_4arch9wavefront6targetE1EEEvSL_ ; -- Begin function _ZN7rocprim17ROCPRIM_400000_NS6detail17trampoline_kernelINS0_14default_configENS1_38merge_sort_block_merge_config_selectorIyNS0_10empty_typeEEEZZNS1_27merge_sort_block_merge_implIS3_N6thrust23THRUST_200600_302600_NS6detail15normal_iteratorINS9_10device_ptrIyEEEEPS5_jNS1_19radix_merge_compareILb0ELb1EyNS0_19identity_decomposerEEEEE10hipError_tT0_T1_T2_jT3_P12ihipStream_tbPNSt15iterator_traitsISK_E10value_typeEPNSQ_ISL_E10value_typeEPSM_NS1_7vsmem_tEENKUlT_SK_SL_SM_E_clIPySE_SF_SF_EESJ_SZ_SK_SL_SM_EUlSZ_E1_NS1_11comp_targetILNS1_3genE3ELNS1_11target_archE908ELNS1_3gpuE7ELNS1_3repE0EEENS1_36merge_oddeven_config_static_selectorELNS0_4arch9wavefront6targetE1EEEvSL_
	.globl	_ZN7rocprim17ROCPRIM_400000_NS6detail17trampoline_kernelINS0_14default_configENS1_38merge_sort_block_merge_config_selectorIyNS0_10empty_typeEEEZZNS1_27merge_sort_block_merge_implIS3_N6thrust23THRUST_200600_302600_NS6detail15normal_iteratorINS9_10device_ptrIyEEEEPS5_jNS1_19radix_merge_compareILb0ELb1EyNS0_19identity_decomposerEEEEE10hipError_tT0_T1_T2_jT3_P12ihipStream_tbPNSt15iterator_traitsISK_E10value_typeEPNSQ_ISL_E10value_typeEPSM_NS1_7vsmem_tEENKUlT_SK_SL_SM_E_clIPySE_SF_SF_EESJ_SZ_SK_SL_SM_EUlSZ_E1_NS1_11comp_targetILNS1_3genE3ELNS1_11target_archE908ELNS1_3gpuE7ELNS1_3repE0EEENS1_36merge_oddeven_config_static_selectorELNS0_4arch9wavefront6targetE1EEEvSL_
	.p2align	8
	.type	_ZN7rocprim17ROCPRIM_400000_NS6detail17trampoline_kernelINS0_14default_configENS1_38merge_sort_block_merge_config_selectorIyNS0_10empty_typeEEEZZNS1_27merge_sort_block_merge_implIS3_N6thrust23THRUST_200600_302600_NS6detail15normal_iteratorINS9_10device_ptrIyEEEEPS5_jNS1_19radix_merge_compareILb0ELb1EyNS0_19identity_decomposerEEEEE10hipError_tT0_T1_T2_jT3_P12ihipStream_tbPNSt15iterator_traitsISK_E10value_typeEPNSQ_ISL_E10value_typeEPSM_NS1_7vsmem_tEENKUlT_SK_SL_SM_E_clIPySE_SF_SF_EESJ_SZ_SK_SL_SM_EUlSZ_E1_NS1_11comp_targetILNS1_3genE3ELNS1_11target_archE908ELNS1_3gpuE7ELNS1_3repE0EEENS1_36merge_oddeven_config_static_selectorELNS0_4arch9wavefront6targetE1EEEvSL_,@function
_ZN7rocprim17ROCPRIM_400000_NS6detail17trampoline_kernelINS0_14default_configENS1_38merge_sort_block_merge_config_selectorIyNS0_10empty_typeEEEZZNS1_27merge_sort_block_merge_implIS3_N6thrust23THRUST_200600_302600_NS6detail15normal_iteratorINS9_10device_ptrIyEEEEPS5_jNS1_19radix_merge_compareILb0ELb1EyNS0_19identity_decomposerEEEEE10hipError_tT0_T1_T2_jT3_P12ihipStream_tbPNSt15iterator_traitsISK_E10value_typeEPNSQ_ISL_E10value_typeEPSM_NS1_7vsmem_tEENKUlT_SK_SL_SM_E_clIPySE_SF_SF_EESJ_SZ_SK_SL_SM_EUlSZ_E1_NS1_11comp_targetILNS1_3genE3ELNS1_11target_archE908ELNS1_3gpuE7ELNS1_3repE0EEENS1_36merge_oddeven_config_static_selectorELNS0_4arch9wavefront6targetE1EEEvSL_: ; @_ZN7rocprim17ROCPRIM_400000_NS6detail17trampoline_kernelINS0_14default_configENS1_38merge_sort_block_merge_config_selectorIyNS0_10empty_typeEEEZZNS1_27merge_sort_block_merge_implIS3_N6thrust23THRUST_200600_302600_NS6detail15normal_iteratorINS9_10device_ptrIyEEEEPS5_jNS1_19radix_merge_compareILb0ELb1EyNS0_19identity_decomposerEEEEE10hipError_tT0_T1_T2_jT3_P12ihipStream_tbPNSt15iterator_traitsISK_E10value_typeEPNSQ_ISL_E10value_typeEPSM_NS1_7vsmem_tEENKUlT_SK_SL_SM_E_clIPySE_SF_SF_EESJ_SZ_SK_SL_SM_EUlSZ_E1_NS1_11comp_targetILNS1_3genE3ELNS1_11target_archE908ELNS1_3gpuE7ELNS1_3repE0EEENS1_36merge_oddeven_config_static_selectorELNS0_4arch9wavefront6targetE1EEEvSL_
; %bb.0:
	.section	.rodata,"a",@progbits
	.p2align	6, 0x0
	.amdhsa_kernel _ZN7rocprim17ROCPRIM_400000_NS6detail17trampoline_kernelINS0_14default_configENS1_38merge_sort_block_merge_config_selectorIyNS0_10empty_typeEEEZZNS1_27merge_sort_block_merge_implIS3_N6thrust23THRUST_200600_302600_NS6detail15normal_iteratorINS9_10device_ptrIyEEEEPS5_jNS1_19radix_merge_compareILb0ELb1EyNS0_19identity_decomposerEEEEE10hipError_tT0_T1_T2_jT3_P12ihipStream_tbPNSt15iterator_traitsISK_E10value_typeEPNSQ_ISL_E10value_typeEPSM_NS1_7vsmem_tEENKUlT_SK_SL_SM_E_clIPySE_SF_SF_EESJ_SZ_SK_SL_SM_EUlSZ_E1_NS1_11comp_targetILNS1_3genE3ELNS1_11target_archE908ELNS1_3gpuE7ELNS1_3repE0EEENS1_36merge_oddeven_config_static_selectorELNS0_4arch9wavefront6targetE1EEEvSL_
		.amdhsa_group_segment_fixed_size 0
		.amdhsa_private_segment_fixed_size 0
		.amdhsa_kernarg_size 48
		.amdhsa_user_sgpr_count 6
		.amdhsa_user_sgpr_private_segment_buffer 1
		.amdhsa_user_sgpr_dispatch_ptr 0
		.amdhsa_user_sgpr_queue_ptr 0
		.amdhsa_user_sgpr_kernarg_segment_ptr 1
		.amdhsa_user_sgpr_dispatch_id 0
		.amdhsa_user_sgpr_flat_scratch_init 0
		.amdhsa_user_sgpr_kernarg_preload_length 0
		.amdhsa_user_sgpr_kernarg_preload_offset 0
		.amdhsa_user_sgpr_private_segment_size 0
		.amdhsa_uses_dynamic_stack 0
		.amdhsa_system_sgpr_private_segment_wavefront_offset 0
		.amdhsa_system_sgpr_workgroup_id_x 1
		.amdhsa_system_sgpr_workgroup_id_y 0
		.amdhsa_system_sgpr_workgroup_id_z 0
		.amdhsa_system_sgpr_workgroup_info 0
		.amdhsa_system_vgpr_workitem_id 0
		.amdhsa_next_free_vgpr 1
		.amdhsa_next_free_sgpr 0
		.amdhsa_accum_offset 4
		.amdhsa_reserve_vcc 0
		.amdhsa_reserve_flat_scratch 0
		.amdhsa_float_round_mode_32 0
		.amdhsa_float_round_mode_16_64 0
		.amdhsa_float_denorm_mode_32 3
		.amdhsa_float_denorm_mode_16_64 3
		.amdhsa_dx10_clamp 1
		.amdhsa_ieee_mode 1
		.amdhsa_fp16_overflow 0
		.amdhsa_tg_split 0
		.amdhsa_exception_fp_ieee_invalid_op 0
		.amdhsa_exception_fp_denorm_src 0
		.amdhsa_exception_fp_ieee_div_zero 0
		.amdhsa_exception_fp_ieee_overflow 0
		.amdhsa_exception_fp_ieee_underflow 0
		.amdhsa_exception_fp_ieee_inexact 0
		.amdhsa_exception_int_div_zero 0
	.end_amdhsa_kernel
	.section	.text._ZN7rocprim17ROCPRIM_400000_NS6detail17trampoline_kernelINS0_14default_configENS1_38merge_sort_block_merge_config_selectorIyNS0_10empty_typeEEEZZNS1_27merge_sort_block_merge_implIS3_N6thrust23THRUST_200600_302600_NS6detail15normal_iteratorINS9_10device_ptrIyEEEEPS5_jNS1_19radix_merge_compareILb0ELb1EyNS0_19identity_decomposerEEEEE10hipError_tT0_T1_T2_jT3_P12ihipStream_tbPNSt15iterator_traitsISK_E10value_typeEPNSQ_ISL_E10value_typeEPSM_NS1_7vsmem_tEENKUlT_SK_SL_SM_E_clIPySE_SF_SF_EESJ_SZ_SK_SL_SM_EUlSZ_E1_NS1_11comp_targetILNS1_3genE3ELNS1_11target_archE908ELNS1_3gpuE7ELNS1_3repE0EEENS1_36merge_oddeven_config_static_selectorELNS0_4arch9wavefront6targetE1EEEvSL_,"axG",@progbits,_ZN7rocprim17ROCPRIM_400000_NS6detail17trampoline_kernelINS0_14default_configENS1_38merge_sort_block_merge_config_selectorIyNS0_10empty_typeEEEZZNS1_27merge_sort_block_merge_implIS3_N6thrust23THRUST_200600_302600_NS6detail15normal_iteratorINS9_10device_ptrIyEEEEPS5_jNS1_19radix_merge_compareILb0ELb1EyNS0_19identity_decomposerEEEEE10hipError_tT0_T1_T2_jT3_P12ihipStream_tbPNSt15iterator_traitsISK_E10value_typeEPNSQ_ISL_E10value_typeEPSM_NS1_7vsmem_tEENKUlT_SK_SL_SM_E_clIPySE_SF_SF_EESJ_SZ_SK_SL_SM_EUlSZ_E1_NS1_11comp_targetILNS1_3genE3ELNS1_11target_archE908ELNS1_3gpuE7ELNS1_3repE0EEENS1_36merge_oddeven_config_static_selectorELNS0_4arch9wavefront6targetE1EEEvSL_,comdat
.Lfunc_end809:
	.size	_ZN7rocprim17ROCPRIM_400000_NS6detail17trampoline_kernelINS0_14default_configENS1_38merge_sort_block_merge_config_selectorIyNS0_10empty_typeEEEZZNS1_27merge_sort_block_merge_implIS3_N6thrust23THRUST_200600_302600_NS6detail15normal_iteratorINS9_10device_ptrIyEEEEPS5_jNS1_19radix_merge_compareILb0ELb1EyNS0_19identity_decomposerEEEEE10hipError_tT0_T1_T2_jT3_P12ihipStream_tbPNSt15iterator_traitsISK_E10value_typeEPNSQ_ISL_E10value_typeEPSM_NS1_7vsmem_tEENKUlT_SK_SL_SM_E_clIPySE_SF_SF_EESJ_SZ_SK_SL_SM_EUlSZ_E1_NS1_11comp_targetILNS1_3genE3ELNS1_11target_archE908ELNS1_3gpuE7ELNS1_3repE0EEENS1_36merge_oddeven_config_static_selectorELNS0_4arch9wavefront6targetE1EEEvSL_, .Lfunc_end809-_ZN7rocprim17ROCPRIM_400000_NS6detail17trampoline_kernelINS0_14default_configENS1_38merge_sort_block_merge_config_selectorIyNS0_10empty_typeEEEZZNS1_27merge_sort_block_merge_implIS3_N6thrust23THRUST_200600_302600_NS6detail15normal_iteratorINS9_10device_ptrIyEEEEPS5_jNS1_19radix_merge_compareILb0ELb1EyNS0_19identity_decomposerEEEEE10hipError_tT0_T1_T2_jT3_P12ihipStream_tbPNSt15iterator_traitsISK_E10value_typeEPNSQ_ISL_E10value_typeEPSM_NS1_7vsmem_tEENKUlT_SK_SL_SM_E_clIPySE_SF_SF_EESJ_SZ_SK_SL_SM_EUlSZ_E1_NS1_11comp_targetILNS1_3genE3ELNS1_11target_archE908ELNS1_3gpuE7ELNS1_3repE0EEENS1_36merge_oddeven_config_static_selectorELNS0_4arch9wavefront6targetE1EEEvSL_
                                        ; -- End function
	.section	.AMDGPU.csdata,"",@progbits
; Kernel info:
; codeLenInByte = 0
; NumSgprs: 4
; NumVgprs: 0
; NumAgprs: 0
; TotalNumVgprs: 0
; ScratchSize: 0
; MemoryBound: 0
; FloatMode: 240
; IeeeMode: 1
; LDSByteSize: 0 bytes/workgroup (compile time only)
; SGPRBlocks: 0
; VGPRBlocks: 0
; NumSGPRsForWavesPerEU: 4
; NumVGPRsForWavesPerEU: 1
; AccumOffset: 4
; Occupancy: 8
; WaveLimiterHint : 0
; COMPUTE_PGM_RSRC2:SCRATCH_EN: 0
; COMPUTE_PGM_RSRC2:USER_SGPR: 6
; COMPUTE_PGM_RSRC2:TRAP_HANDLER: 0
; COMPUTE_PGM_RSRC2:TGID_X_EN: 1
; COMPUTE_PGM_RSRC2:TGID_Y_EN: 0
; COMPUTE_PGM_RSRC2:TGID_Z_EN: 0
; COMPUTE_PGM_RSRC2:TIDIG_COMP_CNT: 0
; COMPUTE_PGM_RSRC3_GFX90A:ACCUM_OFFSET: 0
; COMPUTE_PGM_RSRC3_GFX90A:TG_SPLIT: 0
	.section	.text._ZN7rocprim17ROCPRIM_400000_NS6detail17trampoline_kernelINS0_14default_configENS1_38merge_sort_block_merge_config_selectorIyNS0_10empty_typeEEEZZNS1_27merge_sort_block_merge_implIS3_N6thrust23THRUST_200600_302600_NS6detail15normal_iteratorINS9_10device_ptrIyEEEEPS5_jNS1_19radix_merge_compareILb0ELb1EyNS0_19identity_decomposerEEEEE10hipError_tT0_T1_T2_jT3_P12ihipStream_tbPNSt15iterator_traitsISK_E10value_typeEPNSQ_ISL_E10value_typeEPSM_NS1_7vsmem_tEENKUlT_SK_SL_SM_E_clIPySE_SF_SF_EESJ_SZ_SK_SL_SM_EUlSZ_E1_NS1_11comp_targetILNS1_3genE2ELNS1_11target_archE906ELNS1_3gpuE6ELNS1_3repE0EEENS1_36merge_oddeven_config_static_selectorELNS0_4arch9wavefront6targetE1EEEvSL_,"axG",@progbits,_ZN7rocprim17ROCPRIM_400000_NS6detail17trampoline_kernelINS0_14default_configENS1_38merge_sort_block_merge_config_selectorIyNS0_10empty_typeEEEZZNS1_27merge_sort_block_merge_implIS3_N6thrust23THRUST_200600_302600_NS6detail15normal_iteratorINS9_10device_ptrIyEEEEPS5_jNS1_19radix_merge_compareILb0ELb1EyNS0_19identity_decomposerEEEEE10hipError_tT0_T1_T2_jT3_P12ihipStream_tbPNSt15iterator_traitsISK_E10value_typeEPNSQ_ISL_E10value_typeEPSM_NS1_7vsmem_tEENKUlT_SK_SL_SM_E_clIPySE_SF_SF_EESJ_SZ_SK_SL_SM_EUlSZ_E1_NS1_11comp_targetILNS1_3genE2ELNS1_11target_archE906ELNS1_3gpuE6ELNS1_3repE0EEENS1_36merge_oddeven_config_static_selectorELNS0_4arch9wavefront6targetE1EEEvSL_,comdat
	.protected	_ZN7rocprim17ROCPRIM_400000_NS6detail17trampoline_kernelINS0_14default_configENS1_38merge_sort_block_merge_config_selectorIyNS0_10empty_typeEEEZZNS1_27merge_sort_block_merge_implIS3_N6thrust23THRUST_200600_302600_NS6detail15normal_iteratorINS9_10device_ptrIyEEEEPS5_jNS1_19radix_merge_compareILb0ELb1EyNS0_19identity_decomposerEEEEE10hipError_tT0_T1_T2_jT3_P12ihipStream_tbPNSt15iterator_traitsISK_E10value_typeEPNSQ_ISL_E10value_typeEPSM_NS1_7vsmem_tEENKUlT_SK_SL_SM_E_clIPySE_SF_SF_EESJ_SZ_SK_SL_SM_EUlSZ_E1_NS1_11comp_targetILNS1_3genE2ELNS1_11target_archE906ELNS1_3gpuE6ELNS1_3repE0EEENS1_36merge_oddeven_config_static_selectorELNS0_4arch9wavefront6targetE1EEEvSL_ ; -- Begin function _ZN7rocprim17ROCPRIM_400000_NS6detail17trampoline_kernelINS0_14default_configENS1_38merge_sort_block_merge_config_selectorIyNS0_10empty_typeEEEZZNS1_27merge_sort_block_merge_implIS3_N6thrust23THRUST_200600_302600_NS6detail15normal_iteratorINS9_10device_ptrIyEEEEPS5_jNS1_19radix_merge_compareILb0ELb1EyNS0_19identity_decomposerEEEEE10hipError_tT0_T1_T2_jT3_P12ihipStream_tbPNSt15iterator_traitsISK_E10value_typeEPNSQ_ISL_E10value_typeEPSM_NS1_7vsmem_tEENKUlT_SK_SL_SM_E_clIPySE_SF_SF_EESJ_SZ_SK_SL_SM_EUlSZ_E1_NS1_11comp_targetILNS1_3genE2ELNS1_11target_archE906ELNS1_3gpuE6ELNS1_3repE0EEENS1_36merge_oddeven_config_static_selectorELNS0_4arch9wavefront6targetE1EEEvSL_
	.globl	_ZN7rocprim17ROCPRIM_400000_NS6detail17trampoline_kernelINS0_14default_configENS1_38merge_sort_block_merge_config_selectorIyNS0_10empty_typeEEEZZNS1_27merge_sort_block_merge_implIS3_N6thrust23THRUST_200600_302600_NS6detail15normal_iteratorINS9_10device_ptrIyEEEEPS5_jNS1_19radix_merge_compareILb0ELb1EyNS0_19identity_decomposerEEEEE10hipError_tT0_T1_T2_jT3_P12ihipStream_tbPNSt15iterator_traitsISK_E10value_typeEPNSQ_ISL_E10value_typeEPSM_NS1_7vsmem_tEENKUlT_SK_SL_SM_E_clIPySE_SF_SF_EESJ_SZ_SK_SL_SM_EUlSZ_E1_NS1_11comp_targetILNS1_3genE2ELNS1_11target_archE906ELNS1_3gpuE6ELNS1_3repE0EEENS1_36merge_oddeven_config_static_selectorELNS0_4arch9wavefront6targetE1EEEvSL_
	.p2align	8
	.type	_ZN7rocprim17ROCPRIM_400000_NS6detail17trampoline_kernelINS0_14default_configENS1_38merge_sort_block_merge_config_selectorIyNS0_10empty_typeEEEZZNS1_27merge_sort_block_merge_implIS3_N6thrust23THRUST_200600_302600_NS6detail15normal_iteratorINS9_10device_ptrIyEEEEPS5_jNS1_19radix_merge_compareILb0ELb1EyNS0_19identity_decomposerEEEEE10hipError_tT0_T1_T2_jT3_P12ihipStream_tbPNSt15iterator_traitsISK_E10value_typeEPNSQ_ISL_E10value_typeEPSM_NS1_7vsmem_tEENKUlT_SK_SL_SM_E_clIPySE_SF_SF_EESJ_SZ_SK_SL_SM_EUlSZ_E1_NS1_11comp_targetILNS1_3genE2ELNS1_11target_archE906ELNS1_3gpuE6ELNS1_3repE0EEENS1_36merge_oddeven_config_static_selectorELNS0_4arch9wavefront6targetE1EEEvSL_,@function
_ZN7rocprim17ROCPRIM_400000_NS6detail17trampoline_kernelINS0_14default_configENS1_38merge_sort_block_merge_config_selectorIyNS0_10empty_typeEEEZZNS1_27merge_sort_block_merge_implIS3_N6thrust23THRUST_200600_302600_NS6detail15normal_iteratorINS9_10device_ptrIyEEEEPS5_jNS1_19radix_merge_compareILb0ELb1EyNS0_19identity_decomposerEEEEE10hipError_tT0_T1_T2_jT3_P12ihipStream_tbPNSt15iterator_traitsISK_E10value_typeEPNSQ_ISL_E10value_typeEPSM_NS1_7vsmem_tEENKUlT_SK_SL_SM_E_clIPySE_SF_SF_EESJ_SZ_SK_SL_SM_EUlSZ_E1_NS1_11comp_targetILNS1_3genE2ELNS1_11target_archE906ELNS1_3gpuE6ELNS1_3repE0EEENS1_36merge_oddeven_config_static_selectorELNS0_4arch9wavefront6targetE1EEEvSL_: ; @_ZN7rocprim17ROCPRIM_400000_NS6detail17trampoline_kernelINS0_14default_configENS1_38merge_sort_block_merge_config_selectorIyNS0_10empty_typeEEEZZNS1_27merge_sort_block_merge_implIS3_N6thrust23THRUST_200600_302600_NS6detail15normal_iteratorINS9_10device_ptrIyEEEEPS5_jNS1_19radix_merge_compareILb0ELb1EyNS0_19identity_decomposerEEEEE10hipError_tT0_T1_T2_jT3_P12ihipStream_tbPNSt15iterator_traitsISK_E10value_typeEPNSQ_ISL_E10value_typeEPSM_NS1_7vsmem_tEENKUlT_SK_SL_SM_E_clIPySE_SF_SF_EESJ_SZ_SK_SL_SM_EUlSZ_E1_NS1_11comp_targetILNS1_3genE2ELNS1_11target_archE906ELNS1_3gpuE6ELNS1_3repE0EEENS1_36merge_oddeven_config_static_selectorELNS0_4arch9wavefront6targetE1EEEvSL_
; %bb.0:
	.section	.rodata,"a",@progbits
	.p2align	6, 0x0
	.amdhsa_kernel _ZN7rocprim17ROCPRIM_400000_NS6detail17trampoline_kernelINS0_14default_configENS1_38merge_sort_block_merge_config_selectorIyNS0_10empty_typeEEEZZNS1_27merge_sort_block_merge_implIS3_N6thrust23THRUST_200600_302600_NS6detail15normal_iteratorINS9_10device_ptrIyEEEEPS5_jNS1_19radix_merge_compareILb0ELb1EyNS0_19identity_decomposerEEEEE10hipError_tT0_T1_T2_jT3_P12ihipStream_tbPNSt15iterator_traitsISK_E10value_typeEPNSQ_ISL_E10value_typeEPSM_NS1_7vsmem_tEENKUlT_SK_SL_SM_E_clIPySE_SF_SF_EESJ_SZ_SK_SL_SM_EUlSZ_E1_NS1_11comp_targetILNS1_3genE2ELNS1_11target_archE906ELNS1_3gpuE6ELNS1_3repE0EEENS1_36merge_oddeven_config_static_selectorELNS0_4arch9wavefront6targetE1EEEvSL_
		.amdhsa_group_segment_fixed_size 0
		.amdhsa_private_segment_fixed_size 0
		.amdhsa_kernarg_size 48
		.amdhsa_user_sgpr_count 6
		.amdhsa_user_sgpr_private_segment_buffer 1
		.amdhsa_user_sgpr_dispatch_ptr 0
		.amdhsa_user_sgpr_queue_ptr 0
		.amdhsa_user_sgpr_kernarg_segment_ptr 1
		.amdhsa_user_sgpr_dispatch_id 0
		.amdhsa_user_sgpr_flat_scratch_init 0
		.amdhsa_user_sgpr_kernarg_preload_length 0
		.amdhsa_user_sgpr_kernarg_preload_offset 0
		.amdhsa_user_sgpr_private_segment_size 0
		.amdhsa_uses_dynamic_stack 0
		.amdhsa_system_sgpr_private_segment_wavefront_offset 0
		.amdhsa_system_sgpr_workgroup_id_x 1
		.amdhsa_system_sgpr_workgroup_id_y 0
		.amdhsa_system_sgpr_workgroup_id_z 0
		.amdhsa_system_sgpr_workgroup_info 0
		.amdhsa_system_vgpr_workitem_id 0
		.amdhsa_next_free_vgpr 1
		.amdhsa_next_free_sgpr 0
		.amdhsa_accum_offset 4
		.amdhsa_reserve_vcc 0
		.amdhsa_reserve_flat_scratch 0
		.amdhsa_float_round_mode_32 0
		.amdhsa_float_round_mode_16_64 0
		.amdhsa_float_denorm_mode_32 3
		.amdhsa_float_denorm_mode_16_64 3
		.amdhsa_dx10_clamp 1
		.amdhsa_ieee_mode 1
		.amdhsa_fp16_overflow 0
		.amdhsa_tg_split 0
		.amdhsa_exception_fp_ieee_invalid_op 0
		.amdhsa_exception_fp_denorm_src 0
		.amdhsa_exception_fp_ieee_div_zero 0
		.amdhsa_exception_fp_ieee_overflow 0
		.amdhsa_exception_fp_ieee_underflow 0
		.amdhsa_exception_fp_ieee_inexact 0
		.amdhsa_exception_int_div_zero 0
	.end_amdhsa_kernel
	.section	.text._ZN7rocprim17ROCPRIM_400000_NS6detail17trampoline_kernelINS0_14default_configENS1_38merge_sort_block_merge_config_selectorIyNS0_10empty_typeEEEZZNS1_27merge_sort_block_merge_implIS3_N6thrust23THRUST_200600_302600_NS6detail15normal_iteratorINS9_10device_ptrIyEEEEPS5_jNS1_19radix_merge_compareILb0ELb1EyNS0_19identity_decomposerEEEEE10hipError_tT0_T1_T2_jT3_P12ihipStream_tbPNSt15iterator_traitsISK_E10value_typeEPNSQ_ISL_E10value_typeEPSM_NS1_7vsmem_tEENKUlT_SK_SL_SM_E_clIPySE_SF_SF_EESJ_SZ_SK_SL_SM_EUlSZ_E1_NS1_11comp_targetILNS1_3genE2ELNS1_11target_archE906ELNS1_3gpuE6ELNS1_3repE0EEENS1_36merge_oddeven_config_static_selectorELNS0_4arch9wavefront6targetE1EEEvSL_,"axG",@progbits,_ZN7rocprim17ROCPRIM_400000_NS6detail17trampoline_kernelINS0_14default_configENS1_38merge_sort_block_merge_config_selectorIyNS0_10empty_typeEEEZZNS1_27merge_sort_block_merge_implIS3_N6thrust23THRUST_200600_302600_NS6detail15normal_iteratorINS9_10device_ptrIyEEEEPS5_jNS1_19radix_merge_compareILb0ELb1EyNS0_19identity_decomposerEEEEE10hipError_tT0_T1_T2_jT3_P12ihipStream_tbPNSt15iterator_traitsISK_E10value_typeEPNSQ_ISL_E10value_typeEPSM_NS1_7vsmem_tEENKUlT_SK_SL_SM_E_clIPySE_SF_SF_EESJ_SZ_SK_SL_SM_EUlSZ_E1_NS1_11comp_targetILNS1_3genE2ELNS1_11target_archE906ELNS1_3gpuE6ELNS1_3repE0EEENS1_36merge_oddeven_config_static_selectorELNS0_4arch9wavefront6targetE1EEEvSL_,comdat
.Lfunc_end810:
	.size	_ZN7rocprim17ROCPRIM_400000_NS6detail17trampoline_kernelINS0_14default_configENS1_38merge_sort_block_merge_config_selectorIyNS0_10empty_typeEEEZZNS1_27merge_sort_block_merge_implIS3_N6thrust23THRUST_200600_302600_NS6detail15normal_iteratorINS9_10device_ptrIyEEEEPS5_jNS1_19radix_merge_compareILb0ELb1EyNS0_19identity_decomposerEEEEE10hipError_tT0_T1_T2_jT3_P12ihipStream_tbPNSt15iterator_traitsISK_E10value_typeEPNSQ_ISL_E10value_typeEPSM_NS1_7vsmem_tEENKUlT_SK_SL_SM_E_clIPySE_SF_SF_EESJ_SZ_SK_SL_SM_EUlSZ_E1_NS1_11comp_targetILNS1_3genE2ELNS1_11target_archE906ELNS1_3gpuE6ELNS1_3repE0EEENS1_36merge_oddeven_config_static_selectorELNS0_4arch9wavefront6targetE1EEEvSL_, .Lfunc_end810-_ZN7rocprim17ROCPRIM_400000_NS6detail17trampoline_kernelINS0_14default_configENS1_38merge_sort_block_merge_config_selectorIyNS0_10empty_typeEEEZZNS1_27merge_sort_block_merge_implIS3_N6thrust23THRUST_200600_302600_NS6detail15normal_iteratorINS9_10device_ptrIyEEEEPS5_jNS1_19radix_merge_compareILb0ELb1EyNS0_19identity_decomposerEEEEE10hipError_tT0_T1_T2_jT3_P12ihipStream_tbPNSt15iterator_traitsISK_E10value_typeEPNSQ_ISL_E10value_typeEPSM_NS1_7vsmem_tEENKUlT_SK_SL_SM_E_clIPySE_SF_SF_EESJ_SZ_SK_SL_SM_EUlSZ_E1_NS1_11comp_targetILNS1_3genE2ELNS1_11target_archE906ELNS1_3gpuE6ELNS1_3repE0EEENS1_36merge_oddeven_config_static_selectorELNS0_4arch9wavefront6targetE1EEEvSL_
                                        ; -- End function
	.section	.AMDGPU.csdata,"",@progbits
; Kernel info:
; codeLenInByte = 0
; NumSgprs: 4
; NumVgprs: 0
; NumAgprs: 0
; TotalNumVgprs: 0
; ScratchSize: 0
; MemoryBound: 0
; FloatMode: 240
; IeeeMode: 1
; LDSByteSize: 0 bytes/workgroup (compile time only)
; SGPRBlocks: 0
; VGPRBlocks: 0
; NumSGPRsForWavesPerEU: 4
; NumVGPRsForWavesPerEU: 1
; AccumOffset: 4
; Occupancy: 8
; WaveLimiterHint : 0
; COMPUTE_PGM_RSRC2:SCRATCH_EN: 0
; COMPUTE_PGM_RSRC2:USER_SGPR: 6
; COMPUTE_PGM_RSRC2:TRAP_HANDLER: 0
; COMPUTE_PGM_RSRC2:TGID_X_EN: 1
; COMPUTE_PGM_RSRC2:TGID_Y_EN: 0
; COMPUTE_PGM_RSRC2:TGID_Z_EN: 0
; COMPUTE_PGM_RSRC2:TIDIG_COMP_CNT: 0
; COMPUTE_PGM_RSRC3_GFX90A:ACCUM_OFFSET: 0
; COMPUTE_PGM_RSRC3_GFX90A:TG_SPLIT: 0
	.section	.text._ZN7rocprim17ROCPRIM_400000_NS6detail17trampoline_kernelINS0_14default_configENS1_38merge_sort_block_merge_config_selectorIyNS0_10empty_typeEEEZZNS1_27merge_sort_block_merge_implIS3_N6thrust23THRUST_200600_302600_NS6detail15normal_iteratorINS9_10device_ptrIyEEEEPS5_jNS1_19radix_merge_compareILb0ELb1EyNS0_19identity_decomposerEEEEE10hipError_tT0_T1_T2_jT3_P12ihipStream_tbPNSt15iterator_traitsISK_E10value_typeEPNSQ_ISL_E10value_typeEPSM_NS1_7vsmem_tEENKUlT_SK_SL_SM_E_clIPySE_SF_SF_EESJ_SZ_SK_SL_SM_EUlSZ_E1_NS1_11comp_targetILNS1_3genE9ELNS1_11target_archE1100ELNS1_3gpuE3ELNS1_3repE0EEENS1_36merge_oddeven_config_static_selectorELNS0_4arch9wavefront6targetE1EEEvSL_,"axG",@progbits,_ZN7rocprim17ROCPRIM_400000_NS6detail17trampoline_kernelINS0_14default_configENS1_38merge_sort_block_merge_config_selectorIyNS0_10empty_typeEEEZZNS1_27merge_sort_block_merge_implIS3_N6thrust23THRUST_200600_302600_NS6detail15normal_iteratorINS9_10device_ptrIyEEEEPS5_jNS1_19radix_merge_compareILb0ELb1EyNS0_19identity_decomposerEEEEE10hipError_tT0_T1_T2_jT3_P12ihipStream_tbPNSt15iterator_traitsISK_E10value_typeEPNSQ_ISL_E10value_typeEPSM_NS1_7vsmem_tEENKUlT_SK_SL_SM_E_clIPySE_SF_SF_EESJ_SZ_SK_SL_SM_EUlSZ_E1_NS1_11comp_targetILNS1_3genE9ELNS1_11target_archE1100ELNS1_3gpuE3ELNS1_3repE0EEENS1_36merge_oddeven_config_static_selectorELNS0_4arch9wavefront6targetE1EEEvSL_,comdat
	.protected	_ZN7rocprim17ROCPRIM_400000_NS6detail17trampoline_kernelINS0_14default_configENS1_38merge_sort_block_merge_config_selectorIyNS0_10empty_typeEEEZZNS1_27merge_sort_block_merge_implIS3_N6thrust23THRUST_200600_302600_NS6detail15normal_iteratorINS9_10device_ptrIyEEEEPS5_jNS1_19radix_merge_compareILb0ELb1EyNS0_19identity_decomposerEEEEE10hipError_tT0_T1_T2_jT3_P12ihipStream_tbPNSt15iterator_traitsISK_E10value_typeEPNSQ_ISL_E10value_typeEPSM_NS1_7vsmem_tEENKUlT_SK_SL_SM_E_clIPySE_SF_SF_EESJ_SZ_SK_SL_SM_EUlSZ_E1_NS1_11comp_targetILNS1_3genE9ELNS1_11target_archE1100ELNS1_3gpuE3ELNS1_3repE0EEENS1_36merge_oddeven_config_static_selectorELNS0_4arch9wavefront6targetE1EEEvSL_ ; -- Begin function _ZN7rocprim17ROCPRIM_400000_NS6detail17trampoline_kernelINS0_14default_configENS1_38merge_sort_block_merge_config_selectorIyNS0_10empty_typeEEEZZNS1_27merge_sort_block_merge_implIS3_N6thrust23THRUST_200600_302600_NS6detail15normal_iteratorINS9_10device_ptrIyEEEEPS5_jNS1_19radix_merge_compareILb0ELb1EyNS0_19identity_decomposerEEEEE10hipError_tT0_T1_T2_jT3_P12ihipStream_tbPNSt15iterator_traitsISK_E10value_typeEPNSQ_ISL_E10value_typeEPSM_NS1_7vsmem_tEENKUlT_SK_SL_SM_E_clIPySE_SF_SF_EESJ_SZ_SK_SL_SM_EUlSZ_E1_NS1_11comp_targetILNS1_3genE9ELNS1_11target_archE1100ELNS1_3gpuE3ELNS1_3repE0EEENS1_36merge_oddeven_config_static_selectorELNS0_4arch9wavefront6targetE1EEEvSL_
	.globl	_ZN7rocprim17ROCPRIM_400000_NS6detail17trampoline_kernelINS0_14default_configENS1_38merge_sort_block_merge_config_selectorIyNS0_10empty_typeEEEZZNS1_27merge_sort_block_merge_implIS3_N6thrust23THRUST_200600_302600_NS6detail15normal_iteratorINS9_10device_ptrIyEEEEPS5_jNS1_19radix_merge_compareILb0ELb1EyNS0_19identity_decomposerEEEEE10hipError_tT0_T1_T2_jT3_P12ihipStream_tbPNSt15iterator_traitsISK_E10value_typeEPNSQ_ISL_E10value_typeEPSM_NS1_7vsmem_tEENKUlT_SK_SL_SM_E_clIPySE_SF_SF_EESJ_SZ_SK_SL_SM_EUlSZ_E1_NS1_11comp_targetILNS1_3genE9ELNS1_11target_archE1100ELNS1_3gpuE3ELNS1_3repE0EEENS1_36merge_oddeven_config_static_selectorELNS0_4arch9wavefront6targetE1EEEvSL_
	.p2align	8
	.type	_ZN7rocprim17ROCPRIM_400000_NS6detail17trampoline_kernelINS0_14default_configENS1_38merge_sort_block_merge_config_selectorIyNS0_10empty_typeEEEZZNS1_27merge_sort_block_merge_implIS3_N6thrust23THRUST_200600_302600_NS6detail15normal_iteratorINS9_10device_ptrIyEEEEPS5_jNS1_19radix_merge_compareILb0ELb1EyNS0_19identity_decomposerEEEEE10hipError_tT0_T1_T2_jT3_P12ihipStream_tbPNSt15iterator_traitsISK_E10value_typeEPNSQ_ISL_E10value_typeEPSM_NS1_7vsmem_tEENKUlT_SK_SL_SM_E_clIPySE_SF_SF_EESJ_SZ_SK_SL_SM_EUlSZ_E1_NS1_11comp_targetILNS1_3genE9ELNS1_11target_archE1100ELNS1_3gpuE3ELNS1_3repE0EEENS1_36merge_oddeven_config_static_selectorELNS0_4arch9wavefront6targetE1EEEvSL_,@function
_ZN7rocprim17ROCPRIM_400000_NS6detail17trampoline_kernelINS0_14default_configENS1_38merge_sort_block_merge_config_selectorIyNS0_10empty_typeEEEZZNS1_27merge_sort_block_merge_implIS3_N6thrust23THRUST_200600_302600_NS6detail15normal_iteratorINS9_10device_ptrIyEEEEPS5_jNS1_19radix_merge_compareILb0ELb1EyNS0_19identity_decomposerEEEEE10hipError_tT0_T1_T2_jT3_P12ihipStream_tbPNSt15iterator_traitsISK_E10value_typeEPNSQ_ISL_E10value_typeEPSM_NS1_7vsmem_tEENKUlT_SK_SL_SM_E_clIPySE_SF_SF_EESJ_SZ_SK_SL_SM_EUlSZ_E1_NS1_11comp_targetILNS1_3genE9ELNS1_11target_archE1100ELNS1_3gpuE3ELNS1_3repE0EEENS1_36merge_oddeven_config_static_selectorELNS0_4arch9wavefront6targetE1EEEvSL_: ; @_ZN7rocprim17ROCPRIM_400000_NS6detail17trampoline_kernelINS0_14default_configENS1_38merge_sort_block_merge_config_selectorIyNS0_10empty_typeEEEZZNS1_27merge_sort_block_merge_implIS3_N6thrust23THRUST_200600_302600_NS6detail15normal_iteratorINS9_10device_ptrIyEEEEPS5_jNS1_19radix_merge_compareILb0ELb1EyNS0_19identity_decomposerEEEEE10hipError_tT0_T1_T2_jT3_P12ihipStream_tbPNSt15iterator_traitsISK_E10value_typeEPNSQ_ISL_E10value_typeEPSM_NS1_7vsmem_tEENKUlT_SK_SL_SM_E_clIPySE_SF_SF_EESJ_SZ_SK_SL_SM_EUlSZ_E1_NS1_11comp_targetILNS1_3genE9ELNS1_11target_archE1100ELNS1_3gpuE3ELNS1_3repE0EEENS1_36merge_oddeven_config_static_selectorELNS0_4arch9wavefront6targetE1EEEvSL_
; %bb.0:
	.section	.rodata,"a",@progbits
	.p2align	6, 0x0
	.amdhsa_kernel _ZN7rocprim17ROCPRIM_400000_NS6detail17trampoline_kernelINS0_14default_configENS1_38merge_sort_block_merge_config_selectorIyNS0_10empty_typeEEEZZNS1_27merge_sort_block_merge_implIS3_N6thrust23THRUST_200600_302600_NS6detail15normal_iteratorINS9_10device_ptrIyEEEEPS5_jNS1_19radix_merge_compareILb0ELb1EyNS0_19identity_decomposerEEEEE10hipError_tT0_T1_T2_jT3_P12ihipStream_tbPNSt15iterator_traitsISK_E10value_typeEPNSQ_ISL_E10value_typeEPSM_NS1_7vsmem_tEENKUlT_SK_SL_SM_E_clIPySE_SF_SF_EESJ_SZ_SK_SL_SM_EUlSZ_E1_NS1_11comp_targetILNS1_3genE9ELNS1_11target_archE1100ELNS1_3gpuE3ELNS1_3repE0EEENS1_36merge_oddeven_config_static_selectorELNS0_4arch9wavefront6targetE1EEEvSL_
		.amdhsa_group_segment_fixed_size 0
		.amdhsa_private_segment_fixed_size 0
		.amdhsa_kernarg_size 48
		.amdhsa_user_sgpr_count 6
		.amdhsa_user_sgpr_private_segment_buffer 1
		.amdhsa_user_sgpr_dispatch_ptr 0
		.amdhsa_user_sgpr_queue_ptr 0
		.amdhsa_user_sgpr_kernarg_segment_ptr 1
		.amdhsa_user_sgpr_dispatch_id 0
		.amdhsa_user_sgpr_flat_scratch_init 0
		.amdhsa_user_sgpr_kernarg_preload_length 0
		.amdhsa_user_sgpr_kernarg_preload_offset 0
		.amdhsa_user_sgpr_private_segment_size 0
		.amdhsa_uses_dynamic_stack 0
		.amdhsa_system_sgpr_private_segment_wavefront_offset 0
		.amdhsa_system_sgpr_workgroup_id_x 1
		.amdhsa_system_sgpr_workgroup_id_y 0
		.amdhsa_system_sgpr_workgroup_id_z 0
		.amdhsa_system_sgpr_workgroup_info 0
		.amdhsa_system_vgpr_workitem_id 0
		.amdhsa_next_free_vgpr 1
		.amdhsa_next_free_sgpr 0
		.amdhsa_accum_offset 4
		.amdhsa_reserve_vcc 0
		.amdhsa_reserve_flat_scratch 0
		.amdhsa_float_round_mode_32 0
		.amdhsa_float_round_mode_16_64 0
		.amdhsa_float_denorm_mode_32 3
		.amdhsa_float_denorm_mode_16_64 3
		.amdhsa_dx10_clamp 1
		.amdhsa_ieee_mode 1
		.amdhsa_fp16_overflow 0
		.amdhsa_tg_split 0
		.amdhsa_exception_fp_ieee_invalid_op 0
		.amdhsa_exception_fp_denorm_src 0
		.amdhsa_exception_fp_ieee_div_zero 0
		.amdhsa_exception_fp_ieee_overflow 0
		.amdhsa_exception_fp_ieee_underflow 0
		.amdhsa_exception_fp_ieee_inexact 0
		.amdhsa_exception_int_div_zero 0
	.end_amdhsa_kernel
	.section	.text._ZN7rocprim17ROCPRIM_400000_NS6detail17trampoline_kernelINS0_14default_configENS1_38merge_sort_block_merge_config_selectorIyNS0_10empty_typeEEEZZNS1_27merge_sort_block_merge_implIS3_N6thrust23THRUST_200600_302600_NS6detail15normal_iteratorINS9_10device_ptrIyEEEEPS5_jNS1_19radix_merge_compareILb0ELb1EyNS0_19identity_decomposerEEEEE10hipError_tT0_T1_T2_jT3_P12ihipStream_tbPNSt15iterator_traitsISK_E10value_typeEPNSQ_ISL_E10value_typeEPSM_NS1_7vsmem_tEENKUlT_SK_SL_SM_E_clIPySE_SF_SF_EESJ_SZ_SK_SL_SM_EUlSZ_E1_NS1_11comp_targetILNS1_3genE9ELNS1_11target_archE1100ELNS1_3gpuE3ELNS1_3repE0EEENS1_36merge_oddeven_config_static_selectorELNS0_4arch9wavefront6targetE1EEEvSL_,"axG",@progbits,_ZN7rocprim17ROCPRIM_400000_NS6detail17trampoline_kernelINS0_14default_configENS1_38merge_sort_block_merge_config_selectorIyNS0_10empty_typeEEEZZNS1_27merge_sort_block_merge_implIS3_N6thrust23THRUST_200600_302600_NS6detail15normal_iteratorINS9_10device_ptrIyEEEEPS5_jNS1_19radix_merge_compareILb0ELb1EyNS0_19identity_decomposerEEEEE10hipError_tT0_T1_T2_jT3_P12ihipStream_tbPNSt15iterator_traitsISK_E10value_typeEPNSQ_ISL_E10value_typeEPSM_NS1_7vsmem_tEENKUlT_SK_SL_SM_E_clIPySE_SF_SF_EESJ_SZ_SK_SL_SM_EUlSZ_E1_NS1_11comp_targetILNS1_3genE9ELNS1_11target_archE1100ELNS1_3gpuE3ELNS1_3repE0EEENS1_36merge_oddeven_config_static_selectorELNS0_4arch9wavefront6targetE1EEEvSL_,comdat
.Lfunc_end811:
	.size	_ZN7rocprim17ROCPRIM_400000_NS6detail17trampoline_kernelINS0_14default_configENS1_38merge_sort_block_merge_config_selectorIyNS0_10empty_typeEEEZZNS1_27merge_sort_block_merge_implIS3_N6thrust23THRUST_200600_302600_NS6detail15normal_iteratorINS9_10device_ptrIyEEEEPS5_jNS1_19radix_merge_compareILb0ELb1EyNS0_19identity_decomposerEEEEE10hipError_tT0_T1_T2_jT3_P12ihipStream_tbPNSt15iterator_traitsISK_E10value_typeEPNSQ_ISL_E10value_typeEPSM_NS1_7vsmem_tEENKUlT_SK_SL_SM_E_clIPySE_SF_SF_EESJ_SZ_SK_SL_SM_EUlSZ_E1_NS1_11comp_targetILNS1_3genE9ELNS1_11target_archE1100ELNS1_3gpuE3ELNS1_3repE0EEENS1_36merge_oddeven_config_static_selectorELNS0_4arch9wavefront6targetE1EEEvSL_, .Lfunc_end811-_ZN7rocprim17ROCPRIM_400000_NS6detail17trampoline_kernelINS0_14default_configENS1_38merge_sort_block_merge_config_selectorIyNS0_10empty_typeEEEZZNS1_27merge_sort_block_merge_implIS3_N6thrust23THRUST_200600_302600_NS6detail15normal_iteratorINS9_10device_ptrIyEEEEPS5_jNS1_19radix_merge_compareILb0ELb1EyNS0_19identity_decomposerEEEEE10hipError_tT0_T1_T2_jT3_P12ihipStream_tbPNSt15iterator_traitsISK_E10value_typeEPNSQ_ISL_E10value_typeEPSM_NS1_7vsmem_tEENKUlT_SK_SL_SM_E_clIPySE_SF_SF_EESJ_SZ_SK_SL_SM_EUlSZ_E1_NS1_11comp_targetILNS1_3genE9ELNS1_11target_archE1100ELNS1_3gpuE3ELNS1_3repE0EEENS1_36merge_oddeven_config_static_selectorELNS0_4arch9wavefront6targetE1EEEvSL_
                                        ; -- End function
	.section	.AMDGPU.csdata,"",@progbits
; Kernel info:
; codeLenInByte = 0
; NumSgprs: 4
; NumVgprs: 0
; NumAgprs: 0
; TotalNumVgprs: 0
; ScratchSize: 0
; MemoryBound: 0
; FloatMode: 240
; IeeeMode: 1
; LDSByteSize: 0 bytes/workgroup (compile time only)
; SGPRBlocks: 0
; VGPRBlocks: 0
; NumSGPRsForWavesPerEU: 4
; NumVGPRsForWavesPerEU: 1
; AccumOffset: 4
; Occupancy: 8
; WaveLimiterHint : 0
; COMPUTE_PGM_RSRC2:SCRATCH_EN: 0
; COMPUTE_PGM_RSRC2:USER_SGPR: 6
; COMPUTE_PGM_RSRC2:TRAP_HANDLER: 0
; COMPUTE_PGM_RSRC2:TGID_X_EN: 1
; COMPUTE_PGM_RSRC2:TGID_Y_EN: 0
; COMPUTE_PGM_RSRC2:TGID_Z_EN: 0
; COMPUTE_PGM_RSRC2:TIDIG_COMP_CNT: 0
; COMPUTE_PGM_RSRC3_GFX90A:ACCUM_OFFSET: 0
; COMPUTE_PGM_RSRC3_GFX90A:TG_SPLIT: 0
	.section	.text._ZN7rocprim17ROCPRIM_400000_NS6detail17trampoline_kernelINS0_14default_configENS1_38merge_sort_block_merge_config_selectorIyNS0_10empty_typeEEEZZNS1_27merge_sort_block_merge_implIS3_N6thrust23THRUST_200600_302600_NS6detail15normal_iteratorINS9_10device_ptrIyEEEEPS5_jNS1_19radix_merge_compareILb0ELb1EyNS0_19identity_decomposerEEEEE10hipError_tT0_T1_T2_jT3_P12ihipStream_tbPNSt15iterator_traitsISK_E10value_typeEPNSQ_ISL_E10value_typeEPSM_NS1_7vsmem_tEENKUlT_SK_SL_SM_E_clIPySE_SF_SF_EESJ_SZ_SK_SL_SM_EUlSZ_E1_NS1_11comp_targetILNS1_3genE8ELNS1_11target_archE1030ELNS1_3gpuE2ELNS1_3repE0EEENS1_36merge_oddeven_config_static_selectorELNS0_4arch9wavefront6targetE1EEEvSL_,"axG",@progbits,_ZN7rocprim17ROCPRIM_400000_NS6detail17trampoline_kernelINS0_14default_configENS1_38merge_sort_block_merge_config_selectorIyNS0_10empty_typeEEEZZNS1_27merge_sort_block_merge_implIS3_N6thrust23THRUST_200600_302600_NS6detail15normal_iteratorINS9_10device_ptrIyEEEEPS5_jNS1_19radix_merge_compareILb0ELb1EyNS0_19identity_decomposerEEEEE10hipError_tT0_T1_T2_jT3_P12ihipStream_tbPNSt15iterator_traitsISK_E10value_typeEPNSQ_ISL_E10value_typeEPSM_NS1_7vsmem_tEENKUlT_SK_SL_SM_E_clIPySE_SF_SF_EESJ_SZ_SK_SL_SM_EUlSZ_E1_NS1_11comp_targetILNS1_3genE8ELNS1_11target_archE1030ELNS1_3gpuE2ELNS1_3repE0EEENS1_36merge_oddeven_config_static_selectorELNS0_4arch9wavefront6targetE1EEEvSL_,comdat
	.protected	_ZN7rocprim17ROCPRIM_400000_NS6detail17trampoline_kernelINS0_14default_configENS1_38merge_sort_block_merge_config_selectorIyNS0_10empty_typeEEEZZNS1_27merge_sort_block_merge_implIS3_N6thrust23THRUST_200600_302600_NS6detail15normal_iteratorINS9_10device_ptrIyEEEEPS5_jNS1_19radix_merge_compareILb0ELb1EyNS0_19identity_decomposerEEEEE10hipError_tT0_T1_T2_jT3_P12ihipStream_tbPNSt15iterator_traitsISK_E10value_typeEPNSQ_ISL_E10value_typeEPSM_NS1_7vsmem_tEENKUlT_SK_SL_SM_E_clIPySE_SF_SF_EESJ_SZ_SK_SL_SM_EUlSZ_E1_NS1_11comp_targetILNS1_3genE8ELNS1_11target_archE1030ELNS1_3gpuE2ELNS1_3repE0EEENS1_36merge_oddeven_config_static_selectorELNS0_4arch9wavefront6targetE1EEEvSL_ ; -- Begin function _ZN7rocprim17ROCPRIM_400000_NS6detail17trampoline_kernelINS0_14default_configENS1_38merge_sort_block_merge_config_selectorIyNS0_10empty_typeEEEZZNS1_27merge_sort_block_merge_implIS3_N6thrust23THRUST_200600_302600_NS6detail15normal_iteratorINS9_10device_ptrIyEEEEPS5_jNS1_19radix_merge_compareILb0ELb1EyNS0_19identity_decomposerEEEEE10hipError_tT0_T1_T2_jT3_P12ihipStream_tbPNSt15iterator_traitsISK_E10value_typeEPNSQ_ISL_E10value_typeEPSM_NS1_7vsmem_tEENKUlT_SK_SL_SM_E_clIPySE_SF_SF_EESJ_SZ_SK_SL_SM_EUlSZ_E1_NS1_11comp_targetILNS1_3genE8ELNS1_11target_archE1030ELNS1_3gpuE2ELNS1_3repE0EEENS1_36merge_oddeven_config_static_selectorELNS0_4arch9wavefront6targetE1EEEvSL_
	.globl	_ZN7rocprim17ROCPRIM_400000_NS6detail17trampoline_kernelINS0_14default_configENS1_38merge_sort_block_merge_config_selectorIyNS0_10empty_typeEEEZZNS1_27merge_sort_block_merge_implIS3_N6thrust23THRUST_200600_302600_NS6detail15normal_iteratorINS9_10device_ptrIyEEEEPS5_jNS1_19radix_merge_compareILb0ELb1EyNS0_19identity_decomposerEEEEE10hipError_tT0_T1_T2_jT3_P12ihipStream_tbPNSt15iterator_traitsISK_E10value_typeEPNSQ_ISL_E10value_typeEPSM_NS1_7vsmem_tEENKUlT_SK_SL_SM_E_clIPySE_SF_SF_EESJ_SZ_SK_SL_SM_EUlSZ_E1_NS1_11comp_targetILNS1_3genE8ELNS1_11target_archE1030ELNS1_3gpuE2ELNS1_3repE0EEENS1_36merge_oddeven_config_static_selectorELNS0_4arch9wavefront6targetE1EEEvSL_
	.p2align	8
	.type	_ZN7rocprim17ROCPRIM_400000_NS6detail17trampoline_kernelINS0_14default_configENS1_38merge_sort_block_merge_config_selectorIyNS0_10empty_typeEEEZZNS1_27merge_sort_block_merge_implIS3_N6thrust23THRUST_200600_302600_NS6detail15normal_iteratorINS9_10device_ptrIyEEEEPS5_jNS1_19radix_merge_compareILb0ELb1EyNS0_19identity_decomposerEEEEE10hipError_tT0_T1_T2_jT3_P12ihipStream_tbPNSt15iterator_traitsISK_E10value_typeEPNSQ_ISL_E10value_typeEPSM_NS1_7vsmem_tEENKUlT_SK_SL_SM_E_clIPySE_SF_SF_EESJ_SZ_SK_SL_SM_EUlSZ_E1_NS1_11comp_targetILNS1_3genE8ELNS1_11target_archE1030ELNS1_3gpuE2ELNS1_3repE0EEENS1_36merge_oddeven_config_static_selectorELNS0_4arch9wavefront6targetE1EEEvSL_,@function
_ZN7rocprim17ROCPRIM_400000_NS6detail17trampoline_kernelINS0_14default_configENS1_38merge_sort_block_merge_config_selectorIyNS0_10empty_typeEEEZZNS1_27merge_sort_block_merge_implIS3_N6thrust23THRUST_200600_302600_NS6detail15normal_iteratorINS9_10device_ptrIyEEEEPS5_jNS1_19radix_merge_compareILb0ELb1EyNS0_19identity_decomposerEEEEE10hipError_tT0_T1_T2_jT3_P12ihipStream_tbPNSt15iterator_traitsISK_E10value_typeEPNSQ_ISL_E10value_typeEPSM_NS1_7vsmem_tEENKUlT_SK_SL_SM_E_clIPySE_SF_SF_EESJ_SZ_SK_SL_SM_EUlSZ_E1_NS1_11comp_targetILNS1_3genE8ELNS1_11target_archE1030ELNS1_3gpuE2ELNS1_3repE0EEENS1_36merge_oddeven_config_static_selectorELNS0_4arch9wavefront6targetE1EEEvSL_: ; @_ZN7rocprim17ROCPRIM_400000_NS6detail17trampoline_kernelINS0_14default_configENS1_38merge_sort_block_merge_config_selectorIyNS0_10empty_typeEEEZZNS1_27merge_sort_block_merge_implIS3_N6thrust23THRUST_200600_302600_NS6detail15normal_iteratorINS9_10device_ptrIyEEEEPS5_jNS1_19radix_merge_compareILb0ELb1EyNS0_19identity_decomposerEEEEE10hipError_tT0_T1_T2_jT3_P12ihipStream_tbPNSt15iterator_traitsISK_E10value_typeEPNSQ_ISL_E10value_typeEPSM_NS1_7vsmem_tEENKUlT_SK_SL_SM_E_clIPySE_SF_SF_EESJ_SZ_SK_SL_SM_EUlSZ_E1_NS1_11comp_targetILNS1_3genE8ELNS1_11target_archE1030ELNS1_3gpuE2ELNS1_3repE0EEENS1_36merge_oddeven_config_static_selectorELNS0_4arch9wavefront6targetE1EEEvSL_
; %bb.0:
	.section	.rodata,"a",@progbits
	.p2align	6, 0x0
	.amdhsa_kernel _ZN7rocprim17ROCPRIM_400000_NS6detail17trampoline_kernelINS0_14default_configENS1_38merge_sort_block_merge_config_selectorIyNS0_10empty_typeEEEZZNS1_27merge_sort_block_merge_implIS3_N6thrust23THRUST_200600_302600_NS6detail15normal_iteratorINS9_10device_ptrIyEEEEPS5_jNS1_19radix_merge_compareILb0ELb1EyNS0_19identity_decomposerEEEEE10hipError_tT0_T1_T2_jT3_P12ihipStream_tbPNSt15iterator_traitsISK_E10value_typeEPNSQ_ISL_E10value_typeEPSM_NS1_7vsmem_tEENKUlT_SK_SL_SM_E_clIPySE_SF_SF_EESJ_SZ_SK_SL_SM_EUlSZ_E1_NS1_11comp_targetILNS1_3genE8ELNS1_11target_archE1030ELNS1_3gpuE2ELNS1_3repE0EEENS1_36merge_oddeven_config_static_selectorELNS0_4arch9wavefront6targetE1EEEvSL_
		.amdhsa_group_segment_fixed_size 0
		.amdhsa_private_segment_fixed_size 0
		.amdhsa_kernarg_size 48
		.amdhsa_user_sgpr_count 6
		.amdhsa_user_sgpr_private_segment_buffer 1
		.amdhsa_user_sgpr_dispatch_ptr 0
		.amdhsa_user_sgpr_queue_ptr 0
		.amdhsa_user_sgpr_kernarg_segment_ptr 1
		.amdhsa_user_sgpr_dispatch_id 0
		.amdhsa_user_sgpr_flat_scratch_init 0
		.amdhsa_user_sgpr_kernarg_preload_length 0
		.amdhsa_user_sgpr_kernarg_preload_offset 0
		.amdhsa_user_sgpr_private_segment_size 0
		.amdhsa_uses_dynamic_stack 0
		.amdhsa_system_sgpr_private_segment_wavefront_offset 0
		.amdhsa_system_sgpr_workgroup_id_x 1
		.amdhsa_system_sgpr_workgroup_id_y 0
		.amdhsa_system_sgpr_workgroup_id_z 0
		.amdhsa_system_sgpr_workgroup_info 0
		.amdhsa_system_vgpr_workitem_id 0
		.amdhsa_next_free_vgpr 1
		.amdhsa_next_free_sgpr 0
		.amdhsa_accum_offset 4
		.amdhsa_reserve_vcc 0
		.amdhsa_reserve_flat_scratch 0
		.amdhsa_float_round_mode_32 0
		.amdhsa_float_round_mode_16_64 0
		.amdhsa_float_denorm_mode_32 3
		.amdhsa_float_denorm_mode_16_64 3
		.amdhsa_dx10_clamp 1
		.amdhsa_ieee_mode 1
		.amdhsa_fp16_overflow 0
		.amdhsa_tg_split 0
		.amdhsa_exception_fp_ieee_invalid_op 0
		.amdhsa_exception_fp_denorm_src 0
		.amdhsa_exception_fp_ieee_div_zero 0
		.amdhsa_exception_fp_ieee_overflow 0
		.amdhsa_exception_fp_ieee_underflow 0
		.amdhsa_exception_fp_ieee_inexact 0
		.amdhsa_exception_int_div_zero 0
	.end_amdhsa_kernel
	.section	.text._ZN7rocprim17ROCPRIM_400000_NS6detail17trampoline_kernelINS0_14default_configENS1_38merge_sort_block_merge_config_selectorIyNS0_10empty_typeEEEZZNS1_27merge_sort_block_merge_implIS3_N6thrust23THRUST_200600_302600_NS6detail15normal_iteratorINS9_10device_ptrIyEEEEPS5_jNS1_19radix_merge_compareILb0ELb1EyNS0_19identity_decomposerEEEEE10hipError_tT0_T1_T2_jT3_P12ihipStream_tbPNSt15iterator_traitsISK_E10value_typeEPNSQ_ISL_E10value_typeEPSM_NS1_7vsmem_tEENKUlT_SK_SL_SM_E_clIPySE_SF_SF_EESJ_SZ_SK_SL_SM_EUlSZ_E1_NS1_11comp_targetILNS1_3genE8ELNS1_11target_archE1030ELNS1_3gpuE2ELNS1_3repE0EEENS1_36merge_oddeven_config_static_selectorELNS0_4arch9wavefront6targetE1EEEvSL_,"axG",@progbits,_ZN7rocprim17ROCPRIM_400000_NS6detail17trampoline_kernelINS0_14default_configENS1_38merge_sort_block_merge_config_selectorIyNS0_10empty_typeEEEZZNS1_27merge_sort_block_merge_implIS3_N6thrust23THRUST_200600_302600_NS6detail15normal_iteratorINS9_10device_ptrIyEEEEPS5_jNS1_19radix_merge_compareILb0ELb1EyNS0_19identity_decomposerEEEEE10hipError_tT0_T1_T2_jT3_P12ihipStream_tbPNSt15iterator_traitsISK_E10value_typeEPNSQ_ISL_E10value_typeEPSM_NS1_7vsmem_tEENKUlT_SK_SL_SM_E_clIPySE_SF_SF_EESJ_SZ_SK_SL_SM_EUlSZ_E1_NS1_11comp_targetILNS1_3genE8ELNS1_11target_archE1030ELNS1_3gpuE2ELNS1_3repE0EEENS1_36merge_oddeven_config_static_selectorELNS0_4arch9wavefront6targetE1EEEvSL_,comdat
.Lfunc_end812:
	.size	_ZN7rocprim17ROCPRIM_400000_NS6detail17trampoline_kernelINS0_14default_configENS1_38merge_sort_block_merge_config_selectorIyNS0_10empty_typeEEEZZNS1_27merge_sort_block_merge_implIS3_N6thrust23THRUST_200600_302600_NS6detail15normal_iteratorINS9_10device_ptrIyEEEEPS5_jNS1_19radix_merge_compareILb0ELb1EyNS0_19identity_decomposerEEEEE10hipError_tT0_T1_T2_jT3_P12ihipStream_tbPNSt15iterator_traitsISK_E10value_typeEPNSQ_ISL_E10value_typeEPSM_NS1_7vsmem_tEENKUlT_SK_SL_SM_E_clIPySE_SF_SF_EESJ_SZ_SK_SL_SM_EUlSZ_E1_NS1_11comp_targetILNS1_3genE8ELNS1_11target_archE1030ELNS1_3gpuE2ELNS1_3repE0EEENS1_36merge_oddeven_config_static_selectorELNS0_4arch9wavefront6targetE1EEEvSL_, .Lfunc_end812-_ZN7rocprim17ROCPRIM_400000_NS6detail17trampoline_kernelINS0_14default_configENS1_38merge_sort_block_merge_config_selectorIyNS0_10empty_typeEEEZZNS1_27merge_sort_block_merge_implIS3_N6thrust23THRUST_200600_302600_NS6detail15normal_iteratorINS9_10device_ptrIyEEEEPS5_jNS1_19radix_merge_compareILb0ELb1EyNS0_19identity_decomposerEEEEE10hipError_tT0_T1_T2_jT3_P12ihipStream_tbPNSt15iterator_traitsISK_E10value_typeEPNSQ_ISL_E10value_typeEPSM_NS1_7vsmem_tEENKUlT_SK_SL_SM_E_clIPySE_SF_SF_EESJ_SZ_SK_SL_SM_EUlSZ_E1_NS1_11comp_targetILNS1_3genE8ELNS1_11target_archE1030ELNS1_3gpuE2ELNS1_3repE0EEENS1_36merge_oddeven_config_static_selectorELNS0_4arch9wavefront6targetE1EEEvSL_
                                        ; -- End function
	.section	.AMDGPU.csdata,"",@progbits
; Kernel info:
; codeLenInByte = 0
; NumSgprs: 4
; NumVgprs: 0
; NumAgprs: 0
; TotalNumVgprs: 0
; ScratchSize: 0
; MemoryBound: 0
; FloatMode: 240
; IeeeMode: 1
; LDSByteSize: 0 bytes/workgroup (compile time only)
; SGPRBlocks: 0
; VGPRBlocks: 0
; NumSGPRsForWavesPerEU: 4
; NumVGPRsForWavesPerEU: 1
; AccumOffset: 4
; Occupancy: 8
; WaveLimiterHint : 0
; COMPUTE_PGM_RSRC2:SCRATCH_EN: 0
; COMPUTE_PGM_RSRC2:USER_SGPR: 6
; COMPUTE_PGM_RSRC2:TRAP_HANDLER: 0
; COMPUTE_PGM_RSRC2:TGID_X_EN: 1
; COMPUTE_PGM_RSRC2:TGID_Y_EN: 0
; COMPUTE_PGM_RSRC2:TGID_Z_EN: 0
; COMPUTE_PGM_RSRC2:TIDIG_COMP_CNT: 0
; COMPUTE_PGM_RSRC3_GFX90A:ACCUM_OFFSET: 0
; COMPUTE_PGM_RSRC3_GFX90A:TG_SPLIT: 0
	.section	.text._ZN7rocprim17ROCPRIM_400000_NS6detail17trampoline_kernelINS0_14default_configENS1_38merge_sort_block_merge_config_selectorIyNS0_10empty_typeEEEZZNS1_27merge_sort_block_merge_implIS3_N6thrust23THRUST_200600_302600_NS6detail15normal_iteratorINS9_10device_ptrIyEEEEPS5_jNS1_19radix_merge_compareILb0ELb1EyNS0_19identity_decomposerEEEEE10hipError_tT0_T1_T2_jT3_P12ihipStream_tbPNSt15iterator_traitsISK_E10value_typeEPNSQ_ISL_E10value_typeEPSM_NS1_7vsmem_tEENKUlT_SK_SL_SM_E_clISE_PySF_SF_EESJ_SZ_SK_SL_SM_EUlSZ_E_NS1_11comp_targetILNS1_3genE0ELNS1_11target_archE4294967295ELNS1_3gpuE0ELNS1_3repE0EEENS1_48merge_mergepath_partition_config_static_selectorELNS0_4arch9wavefront6targetE1EEEvSL_,"axG",@progbits,_ZN7rocprim17ROCPRIM_400000_NS6detail17trampoline_kernelINS0_14default_configENS1_38merge_sort_block_merge_config_selectorIyNS0_10empty_typeEEEZZNS1_27merge_sort_block_merge_implIS3_N6thrust23THRUST_200600_302600_NS6detail15normal_iteratorINS9_10device_ptrIyEEEEPS5_jNS1_19radix_merge_compareILb0ELb1EyNS0_19identity_decomposerEEEEE10hipError_tT0_T1_T2_jT3_P12ihipStream_tbPNSt15iterator_traitsISK_E10value_typeEPNSQ_ISL_E10value_typeEPSM_NS1_7vsmem_tEENKUlT_SK_SL_SM_E_clISE_PySF_SF_EESJ_SZ_SK_SL_SM_EUlSZ_E_NS1_11comp_targetILNS1_3genE0ELNS1_11target_archE4294967295ELNS1_3gpuE0ELNS1_3repE0EEENS1_48merge_mergepath_partition_config_static_selectorELNS0_4arch9wavefront6targetE1EEEvSL_,comdat
	.protected	_ZN7rocprim17ROCPRIM_400000_NS6detail17trampoline_kernelINS0_14default_configENS1_38merge_sort_block_merge_config_selectorIyNS0_10empty_typeEEEZZNS1_27merge_sort_block_merge_implIS3_N6thrust23THRUST_200600_302600_NS6detail15normal_iteratorINS9_10device_ptrIyEEEEPS5_jNS1_19radix_merge_compareILb0ELb1EyNS0_19identity_decomposerEEEEE10hipError_tT0_T1_T2_jT3_P12ihipStream_tbPNSt15iterator_traitsISK_E10value_typeEPNSQ_ISL_E10value_typeEPSM_NS1_7vsmem_tEENKUlT_SK_SL_SM_E_clISE_PySF_SF_EESJ_SZ_SK_SL_SM_EUlSZ_E_NS1_11comp_targetILNS1_3genE0ELNS1_11target_archE4294967295ELNS1_3gpuE0ELNS1_3repE0EEENS1_48merge_mergepath_partition_config_static_selectorELNS0_4arch9wavefront6targetE1EEEvSL_ ; -- Begin function _ZN7rocprim17ROCPRIM_400000_NS6detail17trampoline_kernelINS0_14default_configENS1_38merge_sort_block_merge_config_selectorIyNS0_10empty_typeEEEZZNS1_27merge_sort_block_merge_implIS3_N6thrust23THRUST_200600_302600_NS6detail15normal_iteratorINS9_10device_ptrIyEEEEPS5_jNS1_19radix_merge_compareILb0ELb1EyNS0_19identity_decomposerEEEEE10hipError_tT0_T1_T2_jT3_P12ihipStream_tbPNSt15iterator_traitsISK_E10value_typeEPNSQ_ISL_E10value_typeEPSM_NS1_7vsmem_tEENKUlT_SK_SL_SM_E_clISE_PySF_SF_EESJ_SZ_SK_SL_SM_EUlSZ_E_NS1_11comp_targetILNS1_3genE0ELNS1_11target_archE4294967295ELNS1_3gpuE0ELNS1_3repE0EEENS1_48merge_mergepath_partition_config_static_selectorELNS0_4arch9wavefront6targetE1EEEvSL_
	.globl	_ZN7rocprim17ROCPRIM_400000_NS6detail17trampoline_kernelINS0_14default_configENS1_38merge_sort_block_merge_config_selectorIyNS0_10empty_typeEEEZZNS1_27merge_sort_block_merge_implIS3_N6thrust23THRUST_200600_302600_NS6detail15normal_iteratorINS9_10device_ptrIyEEEEPS5_jNS1_19radix_merge_compareILb0ELb1EyNS0_19identity_decomposerEEEEE10hipError_tT0_T1_T2_jT3_P12ihipStream_tbPNSt15iterator_traitsISK_E10value_typeEPNSQ_ISL_E10value_typeEPSM_NS1_7vsmem_tEENKUlT_SK_SL_SM_E_clISE_PySF_SF_EESJ_SZ_SK_SL_SM_EUlSZ_E_NS1_11comp_targetILNS1_3genE0ELNS1_11target_archE4294967295ELNS1_3gpuE0ELNS1_3repE0EEENS1_48merge_mergepath_partition_config_static_selectorELNS0_4arch9wavefront6targetE1EEEvSL_
	.p2align	8
	.type	_ZN7rocprim17ROCPRIM_400000_NS6detail17trampoline_kernelINS0_14default_configENS1_38merge_sort_block_merge_config_selectorIyNS0_10empty_typeEEEZZNS1_27merge_sort_block_merge_implIS3_N6thrust23THRUST_200600_302600_NS6detail15normal_iteratorINS9_10device_ptrIyEEEEPS5_jNS1_19radix_merge_compareILb0ELb1EyNS0_19identity_decomposerEEEEE10hipError_tT0_T1_T2_jT3_P12ihipStream_tbPNSt15iterator_traitsISK_E10value_typeEPNSQ_ISL_E10value_typeEPSM_NS1_7vsmem_tEENKUlT_SK_SL_SM_E_clISE_PySF_SF_EESJ_SZ_SK_SL_SM_EUlSZ_E_NS1_11comp_targetILNS1_3genE0ELNS1_11target_archE4294967295ELNS1_3gpuE0ELNS1_3repE0EEENS1_48merge_mergepath_partition_config_static_selectorELNS0_4arch9wavefront6targetE1EEEvSL_,@function
_ZN7rocprim17ROCPRIM_400000_NS6detail17trampoline_kernelINS0_14default_configENS1_38merge_sort_block_merge_config_selectorIyNS0_10empty_typeEEEZZNS1_27merge_sort_block_merge_implIS3_N6thrust23THRUST_200600_302600_NS6detail15normal_iteratorINS9_10device_ptrIyEEEEPS5_jNS1_19radix_merge_compareILb0ELb1EyNS0_19identity_decomposerEEEEE10hipError_tT0_T1_T2_jT3_P12ihipStream_tbPNSt15iterator_traitsISK_E10value_typeEPNSQ_ISL_E10value_typeEPSM_NS1_7vsmem_tEENKUlT_SK_SL_SM_E_clISE_PySF_SF_EESJ_SZ_SK_SL_SM_EUlSZ_E_NS1_11comp_targetILNS1_3genE0ELNS1_11target_archE4294967295ELNS1_3gpuE0ELNS1_3repE0EEENS1_48merge_mergepath_partition_config_static_selectorELNS0_4arch9wavefront6targetE1EEEvSL_: ; @_ZN7rocprim17ROCPRIM_400000_NS6detail17trampoline_kernelINS0_14default_configENS1_38merge_sort_block_merge_config_selectorIyNS0_10empty_typeEEEZZNS1_27merge_sort_block_merge_implIS3_N6thrust23THRUST_200600_302600_NS6detail15normal_iteratorINS9_10device_ptrIyEEEEPS5_jNS1_19radix_merge_compareILb0ELb1EyNS0_19identity_decomposerEEEEE10hipError_tT0_T1_T2_jT3_P12ihipStream_tbPNSt15iterator_traitsISK_E10value_typeEPNSQ_ISL_E10value_typeEPSM_NS1_7vsmem_tEENKUlT_SK_SL_SM_E_clISE_PySF_SF_EESJ_SZ_SK_SL_SM_EUlSZ_E_NS1_11comp_targetILNS1_3genE0ELNS1_11target_archE4294967295ELNS1_3gpuE0ELNS1_3repE0EEENS1_48merge_mergepath_partition_config_static_selectorELNS0_4arch9wavefront6targetE1EEEvSL_
; %bb.0:
	.section	.rodata,"a",@progbits
	.p2align	6, 0x0
	.amdhsa_kernel _ZN7rocprim17ROCPRIM_400000_NS6detail17trampoline_kernelINS0_14default_configENS1_38merge_sort_block_merge_config_selectorIyNS0_10empty_typeEEEZZNS1_27merge_sort_block_merge_implIS3_N6thrust23THRUST_200600_302600_NS6detail15normal_iteratorINS9_10device_ptrIyEEEEPS5_jNS1_19radix_merge_compareILb0ELb1EyNS0_19identity_decomposerEEEEE10hipError_tT0_T1_T2_jT3_P12ihipStream_tbPNSt15iterator_traitsISK_E10value_typeEPNSQ_ISL_E10value_typeEPSM_NS1_7vsmem_tEENKUlT_SK_SL_SM_E_clISE_PySF_SF_EESJ_SZ_SK_SL_SM_EUlSZ_E_NS1_11comp_targetILNS1_3genE0ELNS1_11target_archE4294967295ELNS1_3gpuE0ELNS1_3repE0EEENS1_48merge_mergepath_partition_config_static_selectorELNS0_4arch9wavefront6targetE1EEEvSL_
		.amdhsa_group_segment_fixed_size 0
		.amdhsa_private_segment_fixed_size 0
		.amdhsa_kernarg_size 40
		.amdhsa_user_sgpr_count 6
		.amdhsa_user_sgpr_private_segment_buffer 1
		.amdhsa_user_sgpr_dispatch_ptr 0
		.amdhsa_user_sgpr_queue_ptr 0
		.amdhsa_user_sgpr_kernarg_segment_ptr 1
		.amdhsa_user_sgpr_dispatch_id 0
		.amdhsa_user_sgpr_flat_scratch_init 0
		.amdhsa_user_sgpr_kernarg_preload_length 0
		.amdhsa_user_sgpr_kernarg_preload_offset 0
		.amdhsa_user_sgpr_private_segment_size 0
		.amdhsa_uses_dynamic_stack 0
		.amdhsa_system_sgpr_private_segment_wavefront_offset 0
		.amdhsa_system_sgpr_workgroup_id_x 1
		.amdhsa_system_sgpr_workgroup_id_y 0
		.amdhsa_system_sgpr_workgroup_id_z 0
		.amdhsa_system_sgpr_workgroup_info 0
		.amdhsa_system_vgpr_workitem_id 0
		.amdhsa_next_free_vgpr 1
		.amdhsa_next_free_sgpr 0
		.amdhsa_accum_offset 4
		.amdhsa_reserve_vcc 0
		.amdhsa_reserve_flat_scratch 0
		.amdhsa_float_round_mode_32 0
		.amdhsa_float_round_mode_16_64 0
		.amdhsa_float_denorm_mode_32 3
		.amdhsa_float_denorm_mode_16_64 3
		.amdhsa_dx10_clamp 1
		.amdhsa_ieee_mode 1
		.amdhsa_fp16_overflow 0
		.amdhsa_tg_split 0
		.amdhsa_exception_fp_ieee_invalid_op 0
		.amdhsa_exception_fp_denorm_src 0
		.amdhsa_exception_fp_ieee_div_zero 0
		.amdhsa_exception_fp_ieee_overflow 0
		.amdhsa_exception_fp_ieee_underflow 0
		.amdhsa_exception_fp_ieee_inexact 0
		.amdhsa_exception_int_div_zero 0
	.end_amdhsa_kernel
	.section	.text._ZN7rocprim17ROCPRIM_400000_NS6detail17trampoline_kernelINS0_14default_configENS1_38merge_sort_block_merge_config_selectorIyNS0_10empty_typeEEEZZNS1_27merge_sort_block_merge_implIS3_N6thrust23THRUST_200600_302600_NS6detail15normal_iteratorINS9_10device_ptrIyEEEEPS5_jNS1_19radix_merge_compareILb0ELb1EyNS0_19identity_decomposerEEEEE10hipError_tT0_T1_T2_jT3_P12ihipStream_tbPNSt15iterator_traitsISK_E10value_typeEPNSQ_ISL_E10value_typeEPSM_NS1_7vsmem_tEENKUlT_SK_SL_SM_E_clISE_PySF_SF_EESJ_SZ_SK_SL_SM_EUlSZ_E_NS1_11comp_targetILNS1_3genE0ELNS1_11target_archE4294967295ELNS1_3gpuE0ELNS1_3repE0EEENS1_48merge_mergepath_partition_config_static_selectorELNS0_4arch9wavefront6targetE1EEEvSL_,"axG",@progbits,_ZN7rocprim17ROCPRIM_400000_NS6detail17trampoline_kernelINS0_14default_configENS1_38merge_sort_block_merge_config_selectorIyNS0_10empty_typeEEEZZNS1_27merge_sort_block_merge_implIS3_N6thrust23THRUST_200600_302600_NS6detail15normal_iteratorINS9_10device_ptrIyEEEEPS5_jNS1_19radix_merge_compareILb0ELb1EyNS0_19identity_decomposerEEEEE10hipError_tT0_T1_T2_jT3_P12ihipStream_tbPNSt15iterator_traitsISK_E10value_typeEPNSQ_ISL_E10value_typeEPSM_NS1_7vsmem_tEENKUlT_SK_SL_SM_E_clISE_PySF_SF_EESJ_SZ_SK_SL_SM_EUlSZ_E_NS1_11comp_targetILNS1_3genE0ELNS1_11target_archE4294967295ELNS1_3gpuE0ELNS1_3repE0EEENS1_48merge_mergepath_partition_config_static_selectorELNS0_4arch9wavefront6targetE1EEEvSL_,comdat
.Lfunc_end813:
	.size	_ZN7rocprim17ROCPRIM_400000_NS6detail17trampoline_kernelINS0_14default_configENS1_38merge_sort_block_merge_config_selectorIyNS0_10empty_typeEEEZZNS1_27merge_sort_block_merge_implIS3_N6thrust23THRUST_200600_302600_NS6detail15normal_iteratorINS9_10device_ptrIyEEEEPS5_jNS1_19radix_merge_compareILb0ELb1EyNS0_19identity_decomposerEEEEE10hipError_tT0_T1_T2_jT3_P12ihipStream_tbPNSt15iterator_traitsISK_E10value_typeEPNSQ_ISL_E10value_typeEPSM_NS1_7vsmem_tEENKUlT_SK_SL_SM_E_clISE_PySF_SF_EESJ_SZ_SK_SL_SM_EUlSZ_E_NS1_11comp_targetILNS1_3genE0ELNS1_11target_archE4294967295ELNS1_3gpuE0ELNS1_3repE0EEENS1_48merge_mergepath_partition_config_static_selectorELNS0_4arch9wavefront6targetE1EEEvSL_, .Lfunc_end813-_ZN7rocprim17ROCPRIM_400000_NS6detail17trampoline_kernelINS0_14default_configENS1_38merge_sort_block_merge_config_selectorIyNS0_10empty_typeEEEZZNS1_27merge_sort_block_merge_implIS3_N6thrust23THRUST_200600_302600_NS6detail15normal_iteratorINS9_10device_ptrIyEEEEPS5_jNS1_19radix_merge_compareILb0ELb1EyNS0_19identity_decomposerEEEEE10hipError_tT0_T1_T2_jT3_P12ihipStream_tbPNSt15iterator_traitsISK_E10value_typeEPNSQ_ISL_E10value_typeEPSM_NS1_7vsmem_tEENKUlT_SK_SL_SM_E_clISE_PySF_SF_EESJ_SZ_SK_SL_SM_EUlSZ_E_NS1_11comp_targetILNS1_3genE0ELNS1_11target_archE4294967295ELNS1_3gpuE0ELNS1_3repE0EEENS1_48merge_mergepath_partition_config_static_selectorELNS0_4arch9wavefront6targetE1EEEvSL_
                                        ; -- End function
	.section	.AMDGPU.csdata,"",@progbits
; Kernel info:
; codeLenInByte = 0
; NumSgprs: 4
; NumVgprs: 0
; NumAgprs: 0
; TotalNumVgprs: 0
; ScratchSize: 0
; MemoryBound: 0
; FloatMode: 240
; IeeeMode: 1
; LDSByteSize: 0 bytes/workgroup (compile time only)
; SGPRBlocks: 0
; VGPRBlocks: 0
; NumSGPRsForWavesPerEU: 4
; NumVGPRsForWavesPerEU: 1
; AccumOffset: 4
; Occupancy: 8
; WaveLimiterHint : 0
; COMPUTE_PGM_RSRC2:SCRATCH_EN: 0
; COMPUTE_PGM_RSRC2:USER_SGPR: 6
; COMPUTE_PGM_RSRC2:TRAP_HANDLER: 0
; COMPUTE_PGM_RSRC2:TGID_X_EN: 1
; COMPUTE_PGM_RSRC2:TGID_Y_EN: 0
; COMPUTE_PGM_RSRC2:TGID_Z_EN: 0
; COMPUTE_PGM_RSRC2:TIDIG_COMP_CNT: 0
; COMPUTE_PGM_RSRC3_GFX90A:ACCUM_OFFSET: 0
; COMPUTE_PGM_RSRC3_GFX90A:TG_SPLIT: 0
	.section	.text._ZN7rocprim17ROCPRIM_400000_NS6detail17trampoline_kernelINS0_14default_configENS1_38merge_sort_block_merge_config_selectorIyNS0_10empty_typeEEEZZNS1_27merge_sort_block_merge_implIS3_N6thrust23THRUST_200600_302600_NS6detail15normal_iteratorINS9_10device_ptrIyEEEEPS5_jNS1_19radix_merge_compareILb0ELb1EyNS0_19identity_decomposerEEEEE10hipError_tT0_T1_T2_jT3_P12ihipStream_tbPNSt15iterator_traitsISK_E10value_typeEPNSQ_ISL_E10value_typeEPSM_NS1_7vsmem_tEENKUlT_SK_SL_SM_E_clISE_PySF_SF_EESJ_SZ_SK_SL_SM_EUlSZ_E_NS1_11comp_targetILNS1_3genE10ELNS1_11target_archE1201ELNS1_3gpuE5ELNS1_3repE0EEENS1_48merge_mergepath_partition_config_static_selectorELNS0_4arch9wavefront6targetE1EEEvSL_,"axG",@progbits,_ZN7rocprim17ROCPRIM_400000_NS6detail17trampoline_kernelINS0_14default_configENS1_38merge_sort_block_merge_config_selectorIyNS0_10empty_typeEEEZZNS1_27merge_sort_block_merge_implIS3_N6thrust23THRUST_200600_302600_NS6detail15normal_iteratorINS9_10device_ptrIyEEEEPS5_jNS1_19radix_merge_compareILb0ELb1EyNS0_19identity_decomposerEEEEE10hipError_tT0_T1_T2_jT3_P12ihipStream_tbPNSt15iterator_traitsISK_E10value_typeEPNSQ_ISL_E10value_typeEPSM_NS1_7vsmem_tEENKUlT_SK_SL_SM_E_clISE_PySF_SF_EESJ_SZ_SK_SL_SM_EUlSZ_E_NS1_11comp_targetILNS1_3genE10ELNS1_11target_archE1201ELNS1_3gpuE5ELNS1_3repE0EEENS1_48merge_mergepath_partition_config_static_selectorELNS0_4arch9wavefront6targetE1EEEvSL_,comdat
	.protected	_ZN7rocprim17ROCPRIM_400000_NS6detail17trampoline_kernelINS0_14default_configENS1_38merge_sort_block_merge_config_selectorIyNS0_10empty_typeEEEZZNS1_27merge_sort_block_merge_implIS3_N6thrust23THRUST_200600_302600_NS6detail15normal_iteratorINS9_10device_ptrIyEEEEPS5_jNS1_19radix_merge_compareILb0ELb1EyNS0_19identity_decomposerEEEEE10hipError_tT0_T1_T2_jT3_P12ihipStream_tbPNSt15iterator_traitsISK_E10value_typeEPNSQ_ISL_E10value_typeEPSM_NS1_7vsmem_tEENKUlT_SK_SL_SM_E_clISE_PySF_SF_EESJ_SZ_SK_SL_SM_EUlSZ_E_NS1_11comp_targetILNS1_3genE10ELNS1_11target_archE1201ELNS1_3gpuE5ELNS1_3repE0EEENS1_48merge_mergepath_partition_config_static_selectorELNS0_4arch9wavefront6targetE1EEEvSL_ ; -- Begin function _ZN7rocprim17ROCPRIM_400000_NS6detail17trampoline_kernelINS0_14default_configENS1_38merge_sort_block_merge_config_selectorIyNS0_10empty_typeEEEZZNS1_27merge_sort_block_merge_implIS3_N6thrust23THRUST_200600_302600_NS6detail15normal_iteratorINS9_10device_ptrIyEEEEPS5_jNS1_19radix_merge_compareILb0ELb1EyNS0_19identity_decomposerEEEEE10hipError_tT0_T1_T2_jT3_P12ihipStream_tbPNSt15iterator_traitsISK_E10value_typeEPNSQ_ISL_E10value_typeEPSM_NS1_7vsmem_tEENKUlT_SK_SL_SM_E_clISE_PySF_SF_EESJ_SZ_SK_SL_SM_EUlSZ_E_NS1_11comp_targetILNS1_3genE10ELNS1_11target_archE1201ELNS1_3gpuE5ELNS1_3repE0EEENS1_48merge_mergepath_partition_config_static_selectorELNS0_4arch9wavefront6targetE1EEEvSL_
	.globl	_ZN7rocprim17ROCPRIM_400000_NS6detail17trampoline_kernelINS0_14default_configENS1_38merge_sort_block_merge_config_selectorIyNS0_10empty_typeEEEZZNS1_27merge_sort_block_merge_implIS3_N6thrust23THRUST_200600_302600_NS6detail15normal_iteratorINS9_10device_ptrIyEEEEPS5_jNS1_19radix_merge_compareILb0ELb1EyNS0_19identity_decomposerEEEEE10hipError_tT0_T1_T2_jT3_P12ihipStream_tbPNSt15iterator_traitsISK_E10value_typeEPNSQ_ISL_E10value_typeEPSM_NS1_7vsmem_tEENKUlT_SK_SL_SM_E_clISE_PySF_SF_EESJ_SZ_SK_SL_SM_EUlSZ_E_NS1_11comp_targetILNS1_3genE10ELNS1_11target_archE1201ELNS1_3gpuE5ELNS1_3repE0EEENS1_48merge_mergepath_partition_config_static_selectorELNS0_4arch9wavefront6targetE1EEEvSL_
	.p2align	8
	.type	_ZN7rocprim17ROCPRIM_400000_NS6detail17trampoline_kernelINS0_14default_configENS1_38merge_sort_block_merge_config_selectorIyNS0_10empty_typeEEEZZNS1_27merge_sort_block_merge_implIS3_N6thrust23THRUST_200600_302600_NS6detail15normal_iteratorINS9_10device_ptrIyEEEEPS5_jNS1_19radix_merge_compareILb0ELb1EyNS0_19identity_decomposerEEEEE10hipError_tT0_T1_T2_jT3_P12ihipStream_tbPNSt15iterator_traitsISK_E10value_typeEPNSQ_ISL_E10value_typeEPSM_NS1_7vsmem_tEENKUlT_SK_SL_SM_E_clISE_PySF_SF_EESJ_SZ_SK_SL_SM_EUlSZ_E_NS1_11comp_targetILNS1_3genE10ELNS1_11target_archE1201ELNS1_3gpuE5ELNS1_3repE0EEENS1_48merge_mergepath_partition_config_static_selectorELNS0_4arch9wavefront6targetE1EEEvSL_,@function
_ZN7rocprim17ROCPRIM_400000_NS6detail17trampoline_kernelINS0_14default_configENS1_38merge_sort_block_merge_config_selectorIyNS0_10empty_typeEEEZZNS1_27merge_sort_block_merge_implIS3_N6thrust23THRUST_200600_302600_NS6detail15normal_iteratorINS9_10device_ptrIyEEEEPS5_jNS1_19radix_merge_compareILb0ELb1EyNS0_19identity_decomposerEEEEE10hipError_tT0_T1_T2_jT3_P12ihipStream_tbPNSt15iterator_traitsISK_E10value_typeEPNSQ_ISL_E10value_typeEPSM_NS1_7vsmem_tEENKUlT_SK_SL_SM_E_clISE_PySF_SF_EESJ_SZ_SK_SL_SM_EUlSZ_E_NS1_11comp_targetILNS1_3genE10ELNS1_11target_archE1201ELNS1_3gpuE5ELNS1_3repE0EEENS1_48merge_mergepath_partition_config_static_selectorELNS0_4arch9wavefront6targetE1EEEvSL_: ; @_ZN7rocprim17ROCPRIM_400000_NS6detail17trampoline_kernelINS0_14default_configENS1_38merge_sort_block_merge_config_selectorIyNS0_10empty_typeEEEZZNS1_27merge_sort_block_merge_implIS3_N6thrust23THRUST_200600_302600_NS6detail15normal_iteratorINS9_10device_ptrIyEEEEPS5_jNS1_19radix_merge_compareILb0ELb1EyNS0_19identity_decomposerEEEEE10hipError_tT0_T1_T2_jT3_P12ihipStream_tbPNSt15iterator_traitsISK_E10value_typeEPNSQ_ISL_E10value_typeEPSM_NS1_7vsmem_tEENKUlT_SK_SL_SM_E_clISE_PySF_SF_EESJ_SZ_SK_SL_SM_EUlSZ_E_NS1_11comp_targetILNS1_3genE10ELNS1_11target_archE1201ELNS1_3gpuE5ELNS1_3repE0EEENS1_48merge_mergepath_partition_config_static_selectorELNS0_4arch9wavefront6targetE1EEEvSL_
; %bb.0:
	.section	.rodata,"a",@progbits
	.p2align	6, 0x0
	.amdhsa_kernel _ZN7rocprim17ROCPRIM_400000_NS6detail17trampoline_kernelINS0_14default_configENS1_38merge_sort_block_merge_config_selectorIyNS0_10empty_typeEEEZZNS1_27merge_sort_block_merge_implIS3_N6thrust23THRUST_200600_302600_NS6detail15normal_iteratorINS9_10device_ptrIyEEEEPS5_jNS1_19radix_merge_compareILb0ELb1EyNS0_19identity_decomposerEEEEE10hipError_tT0_T1_T2_jT3_P12ihipStream_tbPNSt15iterator_traitsISK_E10value_typeEPNSQ_ISL_E10value_typeEPSM_NS1_7vsmem_tEENKUlT_SK_SL_SM_E_clISE_PySF_SF_EESJ_SZ_SK_SL_SM_EUlSZ_E_NS1_11comp_targetILNS1_3genE10ELNS1_11target_archE1201ELNS1_3gpuE5ELNS1_3repE0EEENS1_48merge_mergepath_partition_config_static_selectorELNS0_4arch9wavefront6targetE1EEEvSL_
		.amdhsa_group_segment_fixed_size 0
		.amdhsa_private_segment_fixed_size 0
		.amdhsa_kernarg_size 40
		.amdhsa_user_sgpr_count 6
		.amdhsa_user_sgpr_private_segment_buffer 1
		.amdhsa_user_sgpr_dispatch_ptr 0
		.amdhsa_user_sgpr_queue_ptr 0
		.amdhsa_user_sgpr_kernarg_segment_ptr 1
		.amdhsa_user_sgpr_dispatch_id 0
		.amdhsa_user_sgpr_flat_scratch_init 0
		.amdhsa_user_sgpr_kernarg_preload_length 0
		.amdhsa_user_sgpr_kernarg_preload_offset 0
		.amdhsa_user_sgpr_private_segment_size 0
		.amdhsa_uses_dynamic_stack 0
		.amdhsa_system_sgpr_private_segment_wavefront_offset 0
		.amdhsa_system_sgpr_workgroup_id_x 1
		.amdhsa_system_sgpr_workgroup_id_y 0
		.amdhsa_system_sgpr_workgroup_id_z 0
		.amdhsa_system_sgpr_workgroup_info 0
		.amdhsa_system_vgpr_workitem_id 0
		.amdhsa_next_free_vgpr 1
		.amdhsa_next_free_sgpr 0
		.amdhsa_accum_offset 4
		.amdhsa_reserve_vcc 0
		.amdhsa_reserve_flat_scratch 0
		.amdhsa_float_round_mode_32 0
		.amdhsa_float_round_mode_16_64 0
		.amdhsa_float_denorm_mode_32 3
		.amdhsa_float_denorm_mode_16_64 3
		.amdhsa_dx10_clamp 1
		.amdhsa_ieee_mode 1
		.amdhsa_fp16_overflow 0
		.amdhsa_tg_split 0
		.amdhsa_exception_fp_ieee_invalid_op 0
		.amdhsa_exception_fp_denorm_src 0
		.amdhsa_exception_fp_ieee_div_zero 0
		.amdhsa_exception_fp_ieee_overflow 0
		.amdhsa_exception_fp_ieee_underflow 0
		.amdhsa_exception_fp_ieee_inexact 0
		.amdhsa_exception_int_div_zero 0
	.end_amdhsa_kernel
	.section	.text._ZN7rocprim17ROCPRIM_400000_NS6detail17trampoline_kernelINS0_14default_configENS1_38merge_sort_block_merge_config_selectorIyNS0_10empty_typeEEEZZNS1_27merge_sort_block_merge_implIS3_N6thrust23THRUST_200600_302600_NS6detail15normal_iteratorINS9_10device_ptrIyEEEEPS5_jNS1_19radix_merge_compareILb0ELb1EyNS0_19identity_decomposerEEEEE10hipError_tT0_T1_T2_jT3_P12ihipStream_tbPNSt15iterator_traitsISK_E10value_typeEPNSQ_ISL_E10value_typeEPSM_NS1_7vsmem_tEENKUlT_SK_SL_SM_E_clISE_PySF_SF_EESJ_SZ_SK_SL_SM_EUlSZ_E_NS1_11comp_targetILNS1_3genE10ELNS1_11target_archE1201ELNS1_3gpuE5ELNS1_3repE0EEENS1_48merge_mergepath_partition_config_static_selectorELNS0_4arch9wavefront6targetE1EEEvSL_,"axG",@progbits,_ZN7rocprim17ROCPRIM_400000_NS6detail17trampoline_kernelINS0_14default_configENS1_38merge_sort_block_merge_config_selectorIyNS0_10empty_typeEEEZZNS1_27merge_sort_block_merge_implIS3_N6thrust23THRUST_200600_302600_NS6detail15normal_iteratorINS9_10device_ptrIyEEEEPS5_jNS1_19radix_merge_compareILb0ELb1EyNS0_19identity_decomposerEEEEE10hipError_tT0_T1_T2_jT3_P12ihipStream_tbPNSt15iterator_traitsISK_E10value_typeEPNSQ_ISL_E10value_typeEPSM_NS1_7vsmem_tEENKUlT_SK_SL_SM_E_clISE_PySF_SF_EESJ_SZ_SK_SL_SM_EUlSZ_E_NS1_11comp_targetILNS1_3genE10ELNS1_11target_archE1201ELNS1_3gpuE5ELNS1_3repE0EEENS1_48merge_mergepath_partition_config_static_selectorELNS0_4arch9wavefront6targetE1EEEvSL_,comdat
.Lfunc_end814:
	.size	_ZN7rocprim17ROCPRIM_400000_NS6detail17trampoline_kernelINS0_14default_configENS1_38merge_sort_block_merge_config_selectorIyNS0_10empty_typeEEEZZNS1_27merge_sort_block_merge_implIS3_N6thrust23THRUST_200600_302600_NS6detail15normal_iteratorINS9_10device_ptrIyEEEEPS5_jNS1_19radix_merge_compareILb0ELb1EyNS0_19identity_decomposerEEEEE10hipError_tT0_T1_T2_jT3_P12ihipStream_tbPNSt15iterator_traitsISK_E10value_typeEPNSQ_ISL_E10value_typeEPSM_NS1_7vsmem_tEENKUlT_SK_SL_SM_E_clISE_PySF_SF_EESJ_SZ_SK_SL_SM_EUlSZ_E_NS1_11comp_targetILNS1_3genE10ELNS1_11target_archE1201ELNS1_3gpuE5ELNS1_3repE0EEENS1_48merge_mergepath_partition_config_static_selectorELNS0_4arch9wavefront6targetE1EEEvSL_, .Lfunc_end814-_ZN7rocprim17ROCPRIM_400000_NS6detail17trampoline_kernelINS0_14default_configENS1_38merge_sort_block_merge_config_selectorIyNS0_10empty_typeEEEZZNS1_27merge_sort_block_merge_implIS3_N6thrust23THRUST_200600_302600_NS6detail15normal_iteratorINS9_10device_ptrIyEEEEPS5_jNS1_19radix_merge_compareILb0ELb1EyNS0_19identity_decomposerEEEEE10hipError_tT0_T1_T2_jT3_P12ihipStream_tbPNSt15iterator_traitsISK_E10value_typeEPNSQ_ISL_E10value_typeEPSM_NS1_7vsmem_tEENKUlT_SK_SL_SM_E_clISE_PySF_SF_EESJ_SZ_SK_SL_SM_EUlSZ_E_NS1_11comp_targetILNS1_3genE10ELNS1_11target_archE1201ELNS1_3gpuE5ELNS1_3repE0EEENS1_48merge_mergepath_partition_config_static_selectorELNS0_4arch9wavefront6targetE1EEEvSL_
                                        ; -- End function
	.section	.AMDGPU.csdata,"",@progbits
; Kernel info:
; codeLenInByte = 0
; NumSgprs: 4
; NumVgprs: 0
; NumAgprs: 0
; TotalNumVgprs: 0
; ScratchSize: 0
; MemoryBound: 0
; FloatMode: 240
; IeeeMode: 1
; LDSByteSize: 0 bytes/workgroup (compile time only)
; SGPRBlocks: 0
; VGPRBlocks: 0
; NumSGPRsForWavesPerEU: 4
; NumVGPRsForWavesPerEU: 1
; AccumOffset: 4
; Occupancy: 8
; WaveLimiterHint : 0
; COMPUTE_PGM_RSRC2:SCRATCH_EN: 0
; COMPUTE_PGM_RSRC2:USER_SGPR: 6
; COMPUTE_PGM_RSRC2:TRAP_HANDLER: 0
; COMPUTE_PGM_RSRC2:TGID_X_EN: 1
; COMPUTE_PGM_RSRC2:TGID_Y_EN: 0
; COMPUTE_PGM_RSRC2:TGID_Z_EN: 0
; COMPUTE_PGM_RSRC2:TIDIG_COMP_CNT: 0
; COMPUTE_PGM_RSRC3_GFX90A:ACCUM_OFFSET: 0
; COMPUTE_PGM_RSRC3_GFX90A:TG_SPLIT: 0
	.section	.text._ZN7rocprim17ROCPRIM_400000_NS6detail17trampoline_kernelINS0_14default_configENS1_38merge_sort_block_merge_config_selectorIyNS0_10empty_typeEEEZZNS1_27merge_sort_block_merge_implIS3_N6thrust23THRUST_200600_302600_NS6detail15normal_iteratorINS9_10device_ptrIyEEEEPS5_jNS1_19radix_merge_compareILb0ELb1EyNS0_19identity_decomposerEEEEE10hipError_tT0_T1_T2_jT3_P12ihipStream_tbPNSt15iterator_traitsISK_E10value_typeEPNSQ_ISL_E10value_typeEPSM_NS1_7vsmem_tEENKUlT_SK_SL_SM_E_clISE_PySF_SF_EESJ_SZ_SK_SL_SM_EUlSZ_E_NS1_11comp_targetILNS1_3genE5ELNS1_11target_archE942ELNS1_3gpuE9ELNS1_3repE0EEENS1_48merge_mergepath_partition_config_static_selectorELNS0_4arch9wavefront6targetE1EEEvSL_,"axG",@progbits,_ZN7rocprim17ROCPRIM_400000_NS6detail17trampoline_kernelINS0_14default_configENS1_38merge_sort_block_merge_config_selectorIyNS0_10empty_typeEEEZZNS1_27merge_sort_block_merge_implIS3_N6thrust23THRUST_200600_302600_NS6detail15normal_iteratorINS9_10device_ptrIyEEEEPS5_jNS1_19radix_merge_compareILb0ELb1EyNS0_19identity_decomposerEEEEE10hipError_tT0_T1_T2_jT3_P12ihipStream_tbPNSt15iterator_traitsISK_E10value_typeEPNSQ_ISL_E10value_typeEPSM_NS1_7vsmem_tEENKUlT_SK_SL_SM_E_clISE_PySF_SF_EESJ_SZ_SK_SL_SM_EUlSZ_E_NS1_11comp_targetILNS1_3genE5ELNS1_11target_archE942ELNS1_3gpuE9ELNS1_3repE0EEENS1_48merge_mergepath_partition_config_static_selectorELNS0_4arch9wavefront6targetE1EEEvSL_,comdat
	.protected	_ZN7rocprim17ROCPRIM_400000_NS6detail17trampoline_kernelINS0_14default_configENS1_38merge_sort_block_merge_config_selectorIyNS0_10empty_typeEEEZZNS1_27merge_sort_block_merge_implIS3_N6thrust23THRUST_200600_302600_NS6detail15normal_iteratorINS9_10device_ptrIyEEEEPS5_jNS1_19radix_merge_compareILb0ELb1EyNS0_19identity_decomposerEEEEE10hipError_tT0_T1_T2_jT3_P12ihipStream_tbPNSt15iterator_traitsISK_E10value_typeEPNSQ_ISL_E10value_typeEPSM_NS1_7vsmem_tEENKUlT_SK_SL_SM_E_clISE_PySF_SF_EESJ_SZ_SK_SL_SM_EUlSZ_E_NS1_11comp_targetILNS1_3genE5ELNS1_11target_archE942ELNS1_3gpuE9ELNS1_3repE0EEENS1_48merge_mergepath_partition_config_static_selectorELNS0_4arch9wavefront6targetE1EEEvSL_ ; -- Begin function _ZN7rocprim17ROCPRIM_400000_NS6detail17trampoline_kernelINS0_14default_configENS1_38merge_sort_block_merge_config_selectorIyNS0_10empty_typeEEEZZNS1_27merge_sort_block_merge_implIS3_N6thrust23THRUST_200600_302600_NS6detail15normal_iteratorINS9_10device_ptrIyEEEEPS5_jNS1_19radix_merge_compareILb0ELb1EyNS0_19identity_decomposerEEEEE10hipError_tT0_T1_T2_jT3_P12ihipStream_tbPNSt15iterator_traitsISK_E10value_typeEPNSQ_ISL_E10value_typeEPSM_NS1_7vsmem_tEENKUlT_SK_SL_SM_E_clISE_PySF_SF_EESJ_SZ_SK_SL_SM_EUlSZ_E_NS1_11comp_targetILNS1_3genE5ELNS1_11target_archE942ELNS1_3gpuE9ELNS1_3repE0EEENS1_48merge_mergepath_partition_config_static_selectorELNS0_4arch9wavefront6targetE1EEEvSL_
	.globl	_ZN7rocprim17ROCPRIM_400000_NS6detail17trampoline_kernelINS0_14default_configENS1_38merge_sort_block_merge_config_selectorIyNS0_10empty_typeEEEZZNS1_27merge_sort_block_merge_implIS3_N6thrust23THRUST_200600_302600_NS6detail15normal_iteratorINS9_10device_ptrIyEEEEPS5_jNS1_19radix_merge_compareILb0ELb1EyNS0_19identity_decomposerEEEEE10hipError_tT0_T1_T2_jT3_P12ihipStream_tbPNSt15iterator_traitsISK_E10value_typeEPNSQ_ISL_E10value_typeEPSM_NS1_7vsmem_tEENKUlT_SK_SL_SM_E_clISE_PySF_SF_EESJ_SZ_SK_SL_SM_EUlSZ_E_NS1_11comp_targetILNS1_3genE5ELNS1_11target_archE942ELNS1_3gpuE9ELNS1_3repE0EEENS1_48merge_mergepath_partition_config_static_selectorELNS0_4arch9wavefront6targetE1EEEvSL_
	.p2align	8
	.type	_ZN7rocprim17ROCPRIM_400000_NS6detail17trampoline_kernelINS0_14default_configENS1_38merge_sort_block_merge_config_selectorIyNS0_10empty_typeEEEZZNS1_27merge_sort_block_merge_implIS3_N6thrust23THRUST_200600_302600_NS6detail15normal_iteratorINS9_10device_ptrIyEEEEPS5_jNS1_19radix_merge_compareILb0ELb1EyNS0_19identity_decomposerEEEEE10hipError_tT0_T1_T2_jT3_P12ihipStream_tbPNSt15iterator_traitsISK_E10value_typeEPNSQ_ISL_E10value_typeEPSM_NS1_7vsmem_tEENKUlT_SK_SL_SM_E_clISE_PySF_SF_EESJ_SZ_SK_SL_SM_EUlSZ_E_NS1_11comp_targetILNS1_3genE5ELNS1_11target_archE942ELNS1_3gpuE9ELNS1_3repE0EEENS1_48merge_mergepath_partition_config_static_selectorELNS0_4arch9wavefront6targetE1EEEvSL_,@function
_ZN7rocprim17ROCPRIM_400000_NS6detail17trampoline_kernelINS0_14default_configENS1_38merge_sort_block_merge_config_selectorIyNS0_10empty_typeEEEZZNS1_27merge_sort_block_merge_implIS3_N6thrust23THRUST_200600_302600_NS6detail15normal_iteratorINS9_10device_ptrIyEEEEPS5_jNS1_19radix_merge_compareILb0ELb1EyNS0_19identity_decomposerEEEEE10hipError_tT0_T1_T2_jT3_P12ihipStream_tbPNSt15iterator_traitsISK_E10value_typeEPNSQ_ISL_E10value_typeEPSM_NS1_7vsmem_tEENKUlT_SK_SL_SM_E_clISE_PySF_SF_EESJ_SZ_SK_SL_SM_EUlSZ_E_NS1_11comp_targetILNS1_3genE5ELNS1_11target_archE942ELNS1_3gpuE9ELNS1_3repE0EEENS1_48merge_mergepath_partition_config_static_selectorELNS0_4arch9wavefront6targetE1EEEvSL_: ; @_ZN7rocprim17ROCPRIM_400000_NS6detail17trampoline_kernelINS0_14default_configENS1_38merge_sort_block_merge_config_selectorIyNS0_10empty_typeEEEZZNS1_27merge_sort_block_merge_implIS3_N6thrust23THRUST_200600_302600_NS6detail15normal_iteratorINS9_10device_ptrIyEEEEPS5_jNS1_19radix_merge_compareILb0ELb1EyNS0_19identity_decomposerEEEEE10hipError_tT0_T1_T2_jT3_P12ihipStream_tbPNSt15iterator_traitsISK_E10value_typeEPNSQ_ISL_E10value_typeEPSM_NS1_7vsmem_tEENKUlT_SK_SL_SM_E_clISE_PySF_SF_EESJ_SZ_SK_SL_SM_EUlSZ_E_NS1_11comp_targetILNS1_3genE5ELNS1_11target_archE942ELNS1_3gpuE9ELNS1_3repE0EEENS1_48merge_mergepath_partition_config_static_selectorELNS0_4arch9wavefront6targetE1EEEvSL_
; %bb.0:
	.section	.rodata,"a",@progbits
	.p2align	6, 0x0
	.amdhsa_kernel _ZN7rocprim17ROCPRIM_400000_NS6detail17trampoline_kernelINS0_14default_configENS1_38merge_sort_block_merge_config_selectorIyNS0_10empty_typeEEEZZNS1_27merge_sort_block_merge_implIS3_N6thrust23THRUST_200600_302600_NS6detail15normal_iteratorINS9_10device_ptrIyEEEEPS5_jNS1_19radix_merge_compareILb0ELb1EyNS0_19identity_decomposerEEEEE10hipError_tT0_T1_T2_jT3_P12ihipStream_tbPNSt15iterator_traitsISK_E10value_typeEPNSQ_ISL_E10value_typeEPSM_NS1_7vsmem_tEENKUlT_SK_SL_SM_E_clISE_PySF_SF_EESJ_SZ_SK_SL_SM_EUlSZ_E_NS1_11comp_targetILNS1_3genE5ELNS1_11target_archE942ELNS1_3gpuE9ELNS1_3repE0EEENS1_48merge_mergepath_partition_config_static_selectorELNS0_4arch9wavefront6targetE1EEEvSL_
		.amdhsa_group_segment_fixed_size 0
		.amdhsa_private_segment_fixed_size 0
		.amdhsa_kernarg_size 40
		.amdhsa_user_sgpr_count 6
		.amdhsa_user_sgpr_private_segment_buffer 1
		.amdhsa_user_sgpr_dispatch_ptr 0
		.amdhsa_user_sgpr_queue_ptr 0
		.amdhsa_user_sgpr_kernarg_segment_ptr 1
		.amdhsa_user_sgpr_dispatch_id 0
		.amdhsa_user_sgpr_flat_scratch_init 0
		.amdhsa_user_sgpr_kernarg_preload_length 0
		.amdhsa_user_sgpr_kernarg_preload_offset 0
		.amdhsa_user_sgpr_private_segment_size 0
		.amdhsa_uses_dynamic_stack 0
		.amdhsa_system_sgpr_private_segment_wavefront_offset 0
		.amdhsa_system_sgpr_workgroup_id_x 1
		.amdhsa_system_sgpr_workgroup_id_y 0
		.amdhsa_system_sgpr_workgroup_id_z 0
		.amdhsa_system_sgpr_workgroup_info 0
		.amdhsa_system_vgpr_workitem_id 0
		.amdhsa_next_free_vgpr 1
		.amdhsa_next_free_sgpr 0
		.amdhsa_accum_offset 4
		.amdhsa_reserve_vcc 0
		.amdhsa_reserve_flat_scratch 0
		.amdhsa_float_round_mode_32 0
		.amdhsa_float_round_mode_16_64 0
		.amdhsa_float_denorm_mode_32 3
		.amdhsa_float_denorm_mode_16_64 3
		.amdhsa_dx10_clamp 1
		.amdhsa_ieee_mode 1
		.amdhsa_fp16_overflow 0
		.amdhsa_tg_split 0
		.amdhsa_exception_fp_ieee_invalid_op 0
		.amdhsa_exception_fp_denorm_src 0
		.amdhsa_exception_fp_ieee_div_zero 0
		.amdhsa_exception_fp_ieee_overflow 0
		.amdhsa_exception_fp_ieee_underflow 0
		.amdhsa_exception_fp_ieee_inexact 0
		.amdhsa_exception_int_div_zero 0
	.end_amdhsa_kernel
	.section	.text._ZN7rocprim17ROCPRIM_400000_NS6detail17trampoline_kernelINS0_14default_configENS1_38merge_sort_block_merge_config_selectorIyNS0_10empty_typeEEEZZNS1_27merge_sort_block_merge_implIS3_N6thrust23THRUST_200600_302600_NS6detail15normal_iteratorINS9_10device_ptrIyEEEEPS5_jNS1_19radix_merge_compareILb0ELb1EyNS0_19identity_decomposerEEEEE10hipError_tT0_T1_T2_jT3_P12ihipStream_tbPNSt15iterator_traitsISK_E10value_typeEPNSQ_ISL_E10value_typeEPSM_NS1_7vsmem_tEENKUlT_SK_SL_SM_E_clISE_PySF_SF_EESJ_SZ_SK_SL_SM_EUlSZ_E_NS1_11comp_targetILNS1_3genE5ELNS1_11target_archE942ELNS1_3gpuE9ELNS1_3repE0EEENS1_48merge_mergepath_partition_config_static_selectorELNS0_4arch9wavefront6targetE1EEEvSL_,"axG",@progbits,_ZN7rocprim17ROCPRIM_400000_NS6detail17trampoline_kernelINS0_14default_configENS1_38merge_sort_block_merge_config_selectorIyNS0_10empty_typeEEEZZNS1_27merge_sort_block_merge_implIS3_N6thrust23THRUST_200600_302600_NS6detail15normal_iteratorINS9_10device_ptrIyEEEEPS5_jNS1_19radix_merge_compareILb0ELb1EyNS0_19identity_decomposerEEEEE10hipError_tT0_T1_T2_jT3_P12ihipStream_tbPNSt15iterator_traitsISK_E10value_typeEPNSQ_ISL_E10value_typeEPSM_NS1_7vsmem_tEENKUlT_SK_SL_SM_E_clISE_PySF_SF_EESJ_SZ_SK_SL_SM_EUlSZ_E_NS1_11comp_targetILNS1_3genE5ELNS1_11target_archE942ELNS1_3gpuE9ELNS1_3repE0EEENS1_48merge_mergepath_partition_config_static_selectorELNS0_4arch9wavefront6targetE1EEEvSL_,comdat
.Lfunc_end815:
	.size	_ZN7rocprim17ROCPRIM_400000_NS6detail17trampoline_kernelINS0_14default_configENS1_38merge_sort_block_merge_config_selectorIyNS0_10empty_typeEEEZZNS1_27merge_sort_block_merge_implIS3_N6thrust23THRUST_200600_302600_NS6detail15normal_iteratorINS9_10device_ptrIyEEEEPS5_jNS1_19radix_merge_compareILb0ELb1EyNS0_19identity_decomposerEEEEE10hipError_tT0_T1_T2_jT3_P12ihipStream_tbPNSt15iterator_traitsISK_E10value_typeEPNSQ_ISL_E10value_typeEPSM_NS1_7vsmem_tEENKUlT_SK_SL_SM_E_clISE_PySF_SF_EESJ_SZ_SK_SL_SM_EUlSZ_E_NS1_11comp_targetILNS1_3genE5ELNS1_11target_archE942ELNS1_3gpuE9ELNS1_3repE0EEENS1_48merge_mergepath_partition_config_static_selectorELNS0_4arch9wavefront6targetE1EEEvSL_, .Lfunc_end815-_ZN7rocprim17ROCPRIM_400000_NS6detail17trampoline_kernelINS0_14default_configENS1_38merge_sort_block_merge_config_selectorIyNS0_10empty_typeEEEZZNS1_27merge_sort_block_merge_implIS3_N6thrust23THRUST_200600_302600_NS6detail15normal_iteratorINS9_10device_ptrIyEEEEPS5_jNS1_19radix_merge_compareILb0ELb1EyNS0_19identity_decomposerEEEEE10hipError_tT0_T1_T2_jT3_P12ihipStream_tbPNSt15iterator_traitsISK_E10value_typeEPNSQ_ISL_E10value_typeEPSM_NS1_7vsmem_tEENKUlT_SK_SL_SM_E_clISE_PySF_SF_EESJ_SZ_SK_SL_SM_EUlSZ_E_NS1_11comp_targetILNS1_3genE5ELNS1_11target_archE942ELNS1_3gpuE9ELNS1_3repE0EEENS1_48merge_mergepath_partition_config_static_selectorELNS0_4arch9wavefront6targetE1EEEvSL_
                                        ; -- End function
	.section	.AMDGPU.csdata,"",@progbits
; Kernel info:
; codeLenInByte = 0
; NumSgprs: 4
; NumVgprs: 0
; NumAgprs: 0
; TotalNumVgprs: 0
; ScratchSize: 0
; MemoryBound: 0
; FloatMode: 240
; IeeeMode: 1
; LDSByteSize: 0 bytes/workgroup (compile time only)
; SGPRBlocks: 0
; VGPRBlocks: 0
; NumSGPRsForWavesPerEU: 4
; NumVGPRsForWavesPerEU: 1
; AccumOffset: 4
; Occupancy: 8
; WaveLimiterHint : 0
; COMPUTE_PGM_RSRC2:SCRATCH_EN: 0
; COMPUTE_PGM_RSRC2:USER_SGPR: 6
; COMPUTE_PGM_RSRC2:TRAP_HANDLER: 0
; COMPUTE_PGM_RSRC2:TGID_X_EN: 1
; COMPUTE_PGM_RSRC2:TGID_Y_EN: 0
; COMPUTE_PGM_RSRC2:TGID_Z_EN: 0
; COMPUTE_PGM_RSRC2:TIDIG_COMP_CNT: 0
; COMPUTE_PGM_RSRC3_GFX90A:ACCUM_OFFSET: 0
; COMPUTE_PGM_RSRC3_GFX90A:TG_SPLIT: 0
	.section	.text._ZN7rocprim17ROCPRIM_400000_NS6detail17trampoline_kernelINS0_14default_configENS1_38merge_sort_block_merge_config_selectorIyNS0_10empty_typeEEEZZNS1_27merge_sort_block_merge_implIS3_N6thrust23THRUST_200600_302600_NS6detail15normal_iteratorINS9_10device_ptrIyEEEEPS5_jNS1_19radix_merge_compareILb0ELb1EyNS0_19identity_decomposerEEEEE10hipError_tT0_T1_T2_jT3_P12ihipStream_tbPNSt15iterator_traitsISK_E10value_typeEPNSQ_ISL_E10value_typeEPSM_NS1_7vsmem_tEENKUlT_SK_SL_SM_E_clISE_PySF_SF_EESJ_SZ_SK_SL_SM_EUlSZ_E_NS1_11comp_targetILNS1_3genE4ELNS1_11target_archE910ELNS1_3gpuE8ELNS1_3repE0EEENS1_48merge_mergepath_partition_config_static_selectorELNS0_4arch9wavefront6targetE1EEEvSL_,"axG",@progbits,_ZN7rocprim17ROCPRIM_400000_NS6detail17trampoline_kernelINS0_14default_configENS1_38merge_sort_block_merge_config_selectorIyNS0_10empty_typeEEEZZNS1_27merge_sort_block_merge_implIS3_N6thrust23THRUST_200600_302600_NS6detail15normal_iteratorINS9_10device_ptrIyEEEEPS5_jNS1_19radix_merge_compareILb0ELb1EyNS0_19identity_decomposerEEEEE10hipError_tT0_T1_T2_jT3_P12ihipStream_tbPNSt15iterator_traitsISK_E10value_typeEPNSQ_ISL_E10value_typeEPSM_NS1_7vsmem_tEENKUlT_SK_SL_SM_E_clISE_PySF_SF_EESJ_SZ_SK_SL_SM_EUlSZ_E_NS1_11comp_targetILNS1_3genE4ELNS1_11target_archE910ELNS1_3gpuE8ELNS1_3repE0EEENS1_48merge_mergepath_partition_config_static_selectorELNS0_4arch9wavefront6targetE1EEEvSL_,comdat
	.protected	_ZN7rocprim17ROCPRIM_400000_NS6detail17trampoline_kernelINS0_14default_configENS1_38merge_sort_block_merge_config_selectorIyNS0_10empty_typeEEEZZNS1_27merge_sort_block_merge_implIS3_N6thrust23THRUST_200600_302600_NS6detail15normal_iteratorINS9_10device_ptrIyEEEEPS5_jNS1_19radix_merge_compareILb0ELb1EyNS0_19identity_decomposerEEEEE10hipError_tT0_T1_T2_jT3_P12ihipStream_tbPNSt15iterator_traitsISK_E10value_typeEPNSQ_ISL_E10value_typeEPSM_NS1_7vsmem_tEENKUlT_SK_SL_SM_E_clISE_PySF_SF_EESJ_SZ_SK_SL_SM_EUlSZ_E_NS1_11comp_targetILNS1_3genE4ELNS1_11target_archE910ELNS1_3gpuE8ELNS1_3repE0EEENS1_48merge_mergepath_partition_config_static_selectorELNS0_4arch9wavefront6targetE1EEEvSL_ ; -- Begin function _ZN7rocprim17ROCPRIM_400000_NS6detail17trampoline_kernelINS0_14default_configENS1_38merge_sort_block_merge_config_selectorIyNS0_10empty_typeEEEZZNS1_27merge_sort_block_merge_implIS3_N6thrust23THRUST_200600_302600_NS6detail15normal_iteratorINS9_10device_ptrIyEEEEPS5_jNS1_19radix_merge_compareILb0ELb1EyNS0_19identity_decomposerEEEEE10hipError_tT0_T1_T2_jT3_P12ihipStream_tbPNSt15iterator_traitsISK_E10value_typeEPNSQ_ISL_E10value_typeEPSM_NS1_7vsmem_tEENKUlT_SK_SL_SM_E_clISE_PySF_SF_EESJ_SZ_SK_SL_SM_EUlSZ_E_NS1_11comp_targetILNS1_3genE4ELNS1_11target_archE910ELNS1_3gpuE8ELNS1_3repE0EEENS1_48merge_mergepath_partition_config_static_selectorELNS0_4arch9wavefront6targetE1EEEvSL_
	.globl	_ZN7rocprim17ROCPRIM_400000_NS6detail17trampoline_kernelINS0_14default_configENS1_38merge_sort_block_merge_config_selectorIyNS0_10empty_typeEEEZZNS1_27merge_sort_block_merge_implIS3_N6thrust23THRUST_200600_302600_NS6detail15normal_iteratorINS9_10device_ptrIyEEEEPS5_jNS1_19radix_merge_compareILb0ELb1EyNS0_19identity_decomposerEEEEE10hipError_tT0_T1_T2_jT3_P12ihipStream_tbPNSt15iterator_traitsISK_E10value_typeEPNSQ_ISL_E10value_typeEPSM_NS1_7vsmem_tEENKUlT_SK_SL_SM_E_clISE_PySF_SF_EESJ_SZ_SK_SL_SM_EUlSZ_E_NS1_11comp_targetILNS1_3genE4ELNS1_11target_archE910ELNS1_3gpuE8ELNS1_3repE0EEENS1_48merge_mergepath_partition_config_static_selectorELNS0_4arch9wavefront6targetE1EEEvSL_
	.p2align	8
	.type	_ZN7rocprim17ROCPRIM_400000_NS6detail17trampoline_kernelINS0_14default_configENS1_38merge_sort_block_merge_config_selectorIyNS0_10empty_typeEEEZZNS1_27merge_sort_block_merge_implIS3_N6thrust23THRUST_200600_302600_NS6detail15normal_iteratorINS9_10device_ptrIyEEEEPS5_jNS1_19radix_merge_compareILb0ELb1EyNS0_19identity_decomposerEEEEE10hipError_tT0_T1_T2_jT3_P12ihipStream_tbPNSt15iterator_traitsISK_E10value_typeEPNSQ_ISL_E10value_typeEPSM_NS1_7vsmem_tEENKUlT_SK_SL_SM_E_clISE_PySF_SF_EESJ_SZ_SK_SL_SM_EUlSZ_E_NS1_11comp_targetILNS1_3genE4ELNS1_11target_archE910ELNS1_3gpuE8ELNS1_3repE0EEENS1_48merge_mergepath_partition_config_static_selectorELNS0_4arch9wavefront6targetE1EEEvSL_,@function
_ZN7rocprim17ROCPRIM_400000_NS6detail17trampoline_kernelINS0_14default_configENS1_38merge_sort_block_merge_config_selectorIyNS0_10empty_typeEEEZZNS1_27merge_sort_block_merge_implIS3_N6thrust23THRUST_200600_302600_NS6detail15normal_iteratorINS9_10device_ptrIyEEEEPS5_jNS1_19radix_merge_compareILb0ELb1EyNS0_19identity_decomposerEEEEE10hipError_tT0_T1_T2_jT3_P12ihipStream_tbPNSt15iterator_traitsISK_E10value_typeEPNSQ_ISL_E10value_typeEPSM_NS1_7vsmem_tEENKUlT_SK_SL_SM_E_clISE_PySF_SF_EESJ_SZ_SK_SL_SM_EUlSZ_E_NS1_11comp_targetILNS1_3genE4ELNS1_11target_archE910ELNS1_3gpuE8ELNS1_3repE0EEENS1_48merge_mergepath_partition_config_static_selectorELNS0_4arch9wavefront6targetE1EEEvSL_: ; @_ZN7rocprim17ROCPRIM_400000_NS6detail17trampoline_kernelINS0_14default_configENS1_38merge_sort_block_merge_config_selectorIyNS0_10empty_typeEEEZZNS1_27merge_sort_block_merge_implIS3_N6thrust23THRUST_200600_302600_NS6detail15normal_iteratorINS9_10device_ptrIyEEEEPS5_jNS1_19radix_merge_compareILb0ELb1EyNS0_19identity_decomposerEEEEE10hipError_tT0_T1_T2_jT3_P12ihipStream_tbPNSt15iterator_traitsISK_E10value_typeEPNSQ_ISL_E10value_typeEPSM_NS1_7vsmem_tEENKUlT_SK_SL_SM_E_clISE_PySF_SF_EESJ_SZ_SK_SL_SM_EUlSZ_E_NS1_11comp_targetILNS1_3genE4ELNS1_11target_archE910ELNS1_3gpuE8ELNS1_3repE0EEENS1_48merge_mergepath_partition_config_static_selectorELNS0_4arch9wavefront6targetE1EEEvSL_
; %bb.0:
	s_load_dword s0, s[4:5], 0x0
	v_lshl_or_b32 v0, s6, 7, v0
	s_waitcnt lgkmcnt(0)
	v_cmp_gt_u32_e32 vcc, s0, v0
	s_and_saveexec_b64 s[0:1], vcc
	s_cbranch_execz .LBB816_6
; %bb.1:
	s_load_dwordx2 s[6:7], s[4:5], 0x4
	s_load_dwordx4 s[0:3], s[4:5], 0x18
	s_waitcnt lgkmcnt(0)
	s_lshr_b32 s8, s6, 9
	s_and_b32 s8, s8, 0x7ffffe
	s_add_i32 s9, s8, -1
	s_sub_i32 s8, 0, s8
	v_and_b32_e32 v1, s8, v0
	v_lshlrev_b32_e32 v1, 10, v1
	v_min_u32_e32 v2, s7, v1
	v_add_u32_e32 v1, s6, v1
	v_min_u32_e32 v4, s7, v1
	v_add_u32_e32 v1, s6, v4
	v_and_b32_e32 v3, s9, v0
	v_min_u32_e32 v1, s7, v1
	v_sub_u32_e32 v5, v1, v2
	v_lshlrev_b32_e32 v3, 10, v3
	v_min_u32_e32 v6, v5, v3
	v_sub_u32_e32 v3, v4, v2
	v_sub_u32_e32 v1, v1, v4
	v_sub_u32_e64 v1, v6, v1 clamp
	v_min_u32_e32 v7, v6, v3
	v_cmp_lt_u32_e32 vcc, v1, v7
	s_and_saveexec_b64 s[6:7], vcc
	s_cbranch_execz .LBB816_5
; %bb.2:
	s_load_dwordx2 s[4:5], s[4:5], 0x10
	v_mov_b32_e32 v5, 0
	v_mov_b32_e32 v3, v5
	v_lshlrev_b64 v[8:9], 3, v[2:3]
	v_lshlrev_b64 v[10:11], 3, v[4:5]
	s_waitcnt lgkmcnt(0)
	v_mov_b32_e32 v12, s5
	v_add_co_u32_e32 v3, vcc, s4, v8
	v_addc_co_u32_e32 v8, vcc, v12, v9, vcc
	v_add_co_u32_e32 v9, vcc, s4, v10
	v_addc_co_u32_e32 v10, vcc, v12, v11, vcc
	s_mov_b64 s[4:5], 0
.LBB816_3:                              ; =>This Inner Loop Header: Depth=1
	v_add_u32_e32 v4, v7, v1
	v_lshrrev_b32_e32 v4, 1, v4
	v_lshlrev_b64 v[14:15], 3, v[4:5]
	v_mov_b32_e32 v13, v5
	v_xad_u32 v12, v4, -1, v6
	v_add_co_u32_e32 v14, vcc, v3, v14
	v_addc_co_u32_e32 v15, vcc, v8, v15, vcc
	v_lshlrev_b64 v[12:13], 3, v[12:13]
	v_add_co_u32_e32 v12, vcc, v9, v12
	v_addc_co_u32_e32 v13, vcc, v10, v13, vcc
	flat_load_dwordx2 v[14:15], v[14:15]
	v_add_u32_e32 v11, 1, v4
	flat_load_dwordx2 v[12:13], v[12:13]
	s_waitcnt vmcnt(0) lgkmcnt(0)
	v_and_b32_e32 v15, s1, v15
	v_and_b32_e32 v14, s0, v14
	;; [unrolled: 1-line block ×4, first 2 shown]
	v_cmp_gt_u64_e32 vcc, v[14:15], v[12:13]
	v_cndmask_b32_e32 v7, v7, v4, vcc
	v_cndmask_b32_e32 v1, v11, v1, vcc
	v_cmp_ge_u32_e32 vcc, v1, v7
	s_or_b64 s[4:5], vcc, s[4:5]
	s_andn2_b64 exec, exec, s[4:5]
	s_cbranch_execnz .LBB816_3
; %bb.4:
	s_or_b64 exec, exec, s[4:5]
.LBB816_5:
	s_or_b64 exec, exec, s[6:7]
	v_add_u32_e32 v2, v1, v2
	v_mov_b32_e32 v1, 0
	v_lshlrev_b64 v[0:1], 2, v[0:1]
	v_mov_b32_e32 v3, s3
	v_add_co_u32_e32 v0, vcc, s2, v0
	v_addc_co_u32_e32 v1, vcc, v3, v1, vcc
	global_store_dword v[0:1], v2, off
.LBB816_6:
	s_endpgm
	.section	.rodata,"a",@progbits
	.p2align	6, 0x0
	.amdhsa_kernel _ZN7rocprim17ROCPRIM_400000_NS6detail17trampoline_kernelINS0_14default_configENS1_38merge_sort_block_merge_config_selectorIyNS0_10empty_typeEEEZZNS1_27merge_sort_block_merge_implIS3_N6thrust23THRUST_200600_302600_NS6detail15normal_iteratorINS9_10device_ptrIyEEEEPS5_jNS1_19radix_merge_compareILb0ELb1EyNS0_19identity_decomposerEEEEE10hipError_tT0_T1_T2_jT3_P12ihipStream_tbPNSt15iterator_traitsISK_E10value_typeEPNSQ_ISL_E10value_typeEPSM_NS1_7vsmem_tEENKUlT_SK_SL_SM_E_clISE_PySF_SF_EESJ_SZ_SK_SL_SM_EUlSZ_E_NS1_11comp_targetILNS1_3genE4ELNS1_11target_archE910ELNS1_3gpuE8ELNS1_3repE0EEENS1_48merge_mergepath_partition_config_static_selectorELNS0_4arch9wavefront6targetE1EEEvSL_
		.amdhsa_group_segment_fixed_size 0
		.amdhsa_private_segment_fixed_size 0
		.amdhsa_kernarg_size 40
		.amdhsa_user_sgpr_count 6
		.amdhsa_user_sgpr_private_segment_buffer 1
		.amdhsa_user_sgpr_dispatch_ptr 0
		.amdhsa_user_sgpr_queue_ptr 0
		.amdhsa_user_sgpr_kernarg_segment_ptr 1
		.amdhsa_user_sgpr_dispatch_id 0
		.amdhsa_user_sgpr_flat_scratch_init 0
		.amdhsa_user_sgpr_kernarg_preload_length 0
		.amdhsa_user_sgpr_kernarg_preload_offset 0
		.amdhsa_user_sgpr_private_segment_size 0
		.amdhsa_uses_dynamic_stack 0
		.amdhsa_system_sgpr_private_segment_wavefront_offset 0
		.amdhsa_system_sgpr_workgroup_id_x 1
		.amdhsa_system_sgpr_workgroup_id_y 0
		.amdhsa_system_sgpr_workgroup_id_z 0
		.amdhsa_system_sgpr_workgroup_info 0
		.amdhsa_system_vgpr_workitem_id 0
		.amdhsa_next_free_vgpr 16
		.amdhsa_next_free_sgpr 10
		.amdhsa_accum_offset 16
		.amdhsa_reserve_vcc 1
		.amdhsa_reserve_flat_scratch 0
		.amdhsa_float_round_mode_32 0
		.amdhsa_float_round_mode_16_64 0
		.amdhsa_float_denorm_mode_32 3
		.amdhsa_float_denorm_mode_16_64 3
		.amdhsa_dx10_clamp 1
		.amdhsa_ieee_mode 1
		.amdhsa_fp16_overflow 0
		.amdhsa_tg_split 0
		.amdhsa_exception_fp_ieee_invalid_op 0
		.amdhsa_exception_fp_denorm_src 0
		.amdhsa_exception_fp_ieee_div_zero 0
		.amdhsa_exception_fp_ieee_overflow 0
		.amdhsa_exception_fp_ieee_underflow 0
		.amdhsa_exception_fp_ieee_inexact 0
		.amdhsa_exception_int_div_zero 0
	.end_amdhsa_kernel
	.section	.text._ZN7rocprim17ROCPRIM_400000_NS6detail17trampoline_kernelINS0_14default_configENS1_38merge_sort_block_merge_config_selectorIyNS0_10empty_typeEEEZZNS1_27merge_sort_block_merge_implIS3_N6thrust23THRUST_200600_302600_NS6detail15normal_iteratorINS9_10device_ptrIyEEEEPS5_jNS1_19radix_merge_compareILb0ELb1EyNS0_19identity_decomposerEEEEE10hipError_tT0_T1_T2_jT3_P12ihipStream_tbPNSt15iterator_traitsISK_E10value_typeEPNSQ_ISL_E10value_typeEPSM_NS1_7vsmem_tEENKUlT_SK_SL_SM_E_clISE_PySF_SF_EESJ_SZ_SK_SL_SM_EUlSZ_E_NS1_11comp_targetILNS1_3genE4ELNS1_11target_archE910ELNS1_3gpuE8ELNS1_3repE0EEENS1_48merge_mergepath_partition_config_static_selectorELNS0_4arch9wavefront6targetE1EEEvSL_,"axG",@progbits,_ZN7rocprim17ROCPRIM_400000_NS6detail17trampoline_kernelINS0_14default_configENS1_38merge_sort_block_merge_config_selectorIyNS0_10empty_typeEEEZZNS1_27merge_sort_block_merge_implIS3_N6thrust23THRUST_200600_302600_NS6detail15normal_iteratorINS9_10device_ptrIyEEEEPS5_jNS1_19radix_merge_compareILb0ELb1EyNS0_19identity_decomposerEEEEE10hipError_tT0_T1_T2_jT3_P12ihipStream_tbPNSt15iterator_traitsISK_E10value_typeEPNSQ_ISL_E10value_typeEPSM_NS1_7vsmem_tEENKUlT_SK_SL_SM_E_clISE_PySF_SF_EESJ_SZ_SK_SL_SM_EUlSZ_E_NS1_11comp_targetILNS1_3genE4ELNS1_11target_archE910ELNS1_3gpuE8ELNS1_3repE0EEENS1_48merge_mergepath_partition_config_static_selectorELNS0_4arch9wavefront6targetE1EEEvSL_,comdat
.Lfunc_end816:
	.size	_ZN7rocprim17ROCPRIM_400000_NS6detail17trampoline_kernelINS0_14default_configENS1_38merge_sort_block_merge_config_selectorIyNS0_10empty_typeEEEZZNS1_27merge_sort_block_merge_implIS3_N6thrust23THRUST_200600_302600_NS6detail15normal_iteratorINS9_10device_ptrIyEEEEPS5_jNS1_19radix_merge_compareILb0ELb1EyNS0_19identity_decomposerEEEEE10hipError_tT0_T1_T2_jT3_P12ihipStream_tbPNSt15iterator_traitsISK_E10value_typeEPNSQ_ISL_E10value_typeEPSM_NS1_7vsmem_tEENKUlT_SK_SL_SM_E_clISE_PySF_SF_EESJ_SZ_SK_SL_SM_EUlSZ_E_NS1_11comp_targetILNS1_3genE4ELNS1_11target_archE910ELNS1_3gpuE8ELNS1_3repE0EEENS1_48merge_mergepath_partition_config_static_selectorELNS0_4arch9wavefront6targetE1EEEvSL_, .Lfunc_end816-_ZN7rocprim17ROCPRIM_400000_NS6detail17trampoline_kernelINS0_14default_configENS1_38merge_sort_block_merge_config_selectorIyNS0_10empty_typeEEEZZNS1_27merge_sort_block_merge_implIS3_N6thrust23THRUST_200600_302600_NS6detail15normal_iteratorINS9_10device_ptrIyEEEEPS5_jNS1_19radix_merge_compareILb0ELb1EyNS0_19identity_decomposerEEEEE10hipError_tT0_T1_T2_jT3_P12ihipStream_tbPNSt15iterator_traitsISK_E10value_typeEPNSQ_ISL_E10value_typeEPSM_NS1_7vsmem_tEENKUlT_SK_SL_SM_E_clISE_PySF_SF_EESJ_SZ_SK_SL_SM_EUlSZ_E_NS1_11comp_targetILNS1_3genE4ELNS1_11target_archE910ELNS1_3gpuE8ELNS1_3repE0EEENS1_48merge_mergepath_partition_config_static_selectorELNS0_4arch9wavefront6targetE1EEEvSL_
                                        ; -- End function
	.section	.AMDGPU.csdata,"",@progbits
; Kernel info:
; codeLenInByte = 376
; NumSgprs: 14
; NumVgprs: 16
; NumAgprs: 0
; TotalNumVgprs: 16
; ScratchSize: 0
; MemoryBound: 0
; FloatMode: 240
; IeeeMode: 1
; LDSByteSize: 0 bytes/workgroup (compile time only)
; SGPRBlocks: 1
; VGPRBlocks: 1
; NumSGPRsForWavesPerEU: 14
; NumVGPRsForWavesPerEU: 16
; AccumOffset: 16
; Occupancy: 8
; WaveLimiterHint : 0
; COMPUTE_PGM_RSRC2:SCRATCH_EN: 0
; COMPUTE_PGM_RSRC2:USER_SGPR: 6
; COMPUTE_PGM_RSRC2:TRAP_HANDLER: 0
; COMPUTE_PGM_RSRC2:TGID_X_EN: 1
; COMPUTE_PGM_RSRC2:TGID_Y_EN: 0
; COMPUTE_PGM_RSRC2:TGID_Z_EN: 0
; COMPUTE_PGM_RSRC2:TIDIG_COMP_CNT: 0
; COMPUTE_PGM_RSRC3_GFX90A:ACCUM_OFFSET: 3
; COMPUTE_PGM_RSRC3_GFX90A:TG_SPLIT: 0
	.section	.text._ZN7rocprim17ROCPRIM_400000_NS6detail17trampoline_kernelINS0_14default_configENS1_38merge_sort_block_merge_config_selectorIyNS0_10empty_typeEEEZZNS1_27merge_sort_block_merge_implIS3_N6thrust23THRUST_200600_302600_NS6detail15normal_iteratorINS9_10device_ptrIyEEEEPS5_jNS1_19radix_merge_compareILb0ELb1EyNS0_19identity_decomposerEEEEE10hipError_tT0_T1_T2_jT3_P12ihipStream_tbPNSt15iterator_traitsISK_E10value_typeEPNSQ_ISL_E10value_typeEPSM_NS1_7vsmem_tEENKUlT_SK_SL_SM_E_clISE_PySF_SF_EESJ_SZ_SK_SL_SM_EUlSZ_E_NS1_11comp_targetILNS1_3genE3ELNS1_11target_archE908ELNS1_3gpuE7ELNS1_3repE0EEENS1_48merge_mergepath_partition_config_static_selectorELNS0_4arch9wavefront6targetE1EEEvSL_,"axG",@progbits,_ZN7rocprim17ROCPRIM_400000_NS6detail17trampoline_kernelINS0_14default_configENS1_38merge_sort_block_merge_config_selectorIyNS0_10empty_typeEEEZZNS1_27merge_sort_block_merge_implIS3_N6thrust23THRUST_200600_302600_NS6detail15normal_iteratorINS9_10device_ptrIyEEEEPS5_jNS1_19radix_merge_compareILb0ELb1EyNS0_19identity_decomposerEEEEE10hipError_tT0_T1_T2_jT3_P12ihipStream_tbPNSt15iterator_traitsISK_E10value_typeEPNSQ_ISL_E10value_typeEPSM_NS1_7vsmem_tEENKUlT_SK_SL_SM_E_clISE_PySF_SF_EESJ_SZ_SK_SL_SM_EUlSZ_E_NS1_11comp_targetILNS1_3genE3ELNS1_11target_archE908ELNS1_3gpuE7ELNS1_3repE0EEENS1_48merge_mergepath_partition_config_static_selectorELNS0_4arch9wavefront6targetE1EEEvSL_,comdat
	.protected	_ZN7rocprim17ROCPRIM_400000_NS6detail17trampoline_kernelINS0_14default_configENS1_38merge_sort_block_merge_config_selectorIyNS0_10empty_typeEEEZZNS1_27merge_sort_block_merge_implIS3_N6thrust23THRUST_200600_302600_NS6detail15normal_iteratorINS9_10device_ptrIyEEEEPS5_jNS1_19radix_merge_compareILb0ELb1EyNS0_19identity_decomposerEEEEE10hipError_tT0_T1_T2_jT3_P12ihipStream_tbPNSt15iterator_traitsISK_E10value_typeEPNSQ_ISL_E10value_typeEPSM_NS1_7vsmem_tEENKUlT_SK_SL_SM_E_clISE_PySF_SF_EESJ_SZ_SK_SL_SM_EUlSZ_E_NS1_11comp_targetILNS1_3genE3ELNS1_11target_archE908ELNS1_3gpuE7ELNS1_3repE0EEENS1_48merge_mergepath_partition_config_static_selectorELNS0_4arch9wavefront6targetE1EEEvSL_ ; -- Begin function _ZN7rocprim17ROCPRIM_400000_NS6detail17trampoline_kernelINS0_14default_configENS1_38merge_sort_block_merge_config_selectorIyNS0_10empty_typeEEEZZNS1_27merge_sort_block_merge_implIS3_N6thrust23THRUST_200600_302600_NS6detail15normal_iteratorINS9_10device_ptrIyEEEEPS5_jNS1_19radix_merge_compareILb0ELb1EyNS0_19identity_decomposerEEEEE10hipError_tT0_T1_T2_jT3_P12ihipStream_tbPNSt15iterator_traitsISK_E10value_typeEPNSQ_ISL_E10value_typeEPSM_NS1_7vsmem_tEENKUlT_SK_SL_SM_E_clISE_PySF_SF_EESJ_SZ_SK_SL_SM_EUlSZ_E_NS1_11comp_targetILNS1_3genE3ELNS1_11target_archE908ELNS1_3gpuE7ELNS1_3repE0EEENS1_48merge_mergepath_partition_config_static_selectorELNS0_4arch9wavefront6targetE1EEEvSL_
	.globl	_ZN7rocprim17ROCPRIM_400000_NS6detail17trampoline_kernelINS0_14default_configENS1_38merge_sort_block_merge_config_selectorIyNS0_10empty_typeEEEZZNS1_27merge_sort_block_merge_implIS3_N6thrust23THRUST_200600_302600_NS6detail15normal_iteratorINS9_10device_ptrIyEEEEPS5_jNS1_19radix_merge_compareILb0ELb1EyNS0_19identity_decomposerEEEEE10hipError_tT0_T1_T2_jT3_P12ihipStream_tbPNSt15iterator_traitsISK_E10value_typeEPNSQ_ISL_E10value_typeEPSM_NS1_7vsmem_tEENKUlT_SK_SL_SM_E_clISE_PySF_SF_EESJ_SZ_SK_SL_SM_EUlSZ_E_NS1_11comp_targetILNS1_3genE3ELNS1_11target_archE908ELNS1_3gpuE7ELNS1_3repE0EEENS1_48merge_mergepath_partition_config_static_selectorELNS0_4arch9wavefront6targetE1EEEvSL_
	.p2align	8
	.type	_ZN7rocprim17ROCPRIM_400000_NS6detail17trampoline_kernelINS0_14default_configENS1_38merge_sort_block_merge_config_selectorIyNS0_10empty_typeEEEZZNS1_27merge_sort_block_merge_implIS3_N6thrust23THRUST_200600_302600_NS6detail15normal_iteratorINS9_10device_ptrIyEEEEPS5_jNS1_19radix_merge_compareILb0ELb1EyNS0_19identity_decomposerEEEEE10hipError_tT0_T1_T2_jT3_P12ihipStream_tbPNSt15iterator_traitsISK_E10value_typeEPNSQ_ISL_E10value_typeEPSM_NS1_7vsmem_tEENKUlT_SK_SL_SM_E_clISE_PySF_SF_EESJ_SZ_SK_SL_SM_EUlSZ_E_NS1_11comp_targetILNS1_3genE3ELNS1_11target_archE908ELNS1_3gpuE7ELNS1_3repE0EEENS1_48merge_mergepath_partition_config_static_selectorELNS0_4arch9wavefront6targetE1EEEvSL_,@function
_ZN7rocprim17ROCPRIM_400000_NS6detail17trampoline_kernelINS0_14default_configENS1_38merge_sort_block_merge_config_selectorIyNS0_10empty_typeEEEZZNS1_27merge_sort_block_merge_implIS3_N6thrust23THRUST_200600_302600_NS6detail15normal_iteratorINS9_10device_ptrIyEEEEPS5_jNS1_19radix_merge_compareILb0ELb1EyNS0_19identity_decomposerEEEEE10hipError_tT0_T1_T2_jT3_P12ihipStream_tbPNSt15iterator_traitsISK_E10value_typeEPNSQ_ISL_E10value_typeEPSM_NS1_7vsmem_tEENKUlT_SK_SL_SM_E_clISE_PySF_SF_EESJ_SZ_SK_SL_SM_EUlSZ_E_NS1_11comp_targetILNS1_3genE3ELNS1_11target_archE908ELNS1_3gpuE7ELNS1_3repE0EEENS1_48merge_mergepath_partition_config_static_selectorELNS0_4arch9wavefront6targetE1EEEvSL_: ; @_ZN7rocprim17ROCPRIM_400000_NS6detail17trampoline_kernelINS0_14default_configENS1_38merge_sort_block_merge_config_selectorIyNS0_10empty_typeEEEZZNS1_27merge_sort_block_merge_implIS3_N6thrust23THRUST_200600_302600_NS6detail15normal_iteratorINS9_10device_ptrIyEEEEPS5_jNS1_19radix_merge_compareILb0ELb1EyNS0_19identity_decomposerEEEEE10hipError_tT0_T1_T2_jT3_P12ihipStream_tbPNSt15iterator_traitsISK_E10value_typeEPNSQ_ISL_E10value_typeEPSM_NS1_7vsmem_tEENKUlT_SK_SL_SM_E_clISE_PySF_SF_EESJ_SZ_SK_SL_SM_EUlSZ_E_NS1_11comp_targetILNS1_3genE3ELNS1_11target_archE908ELNS1_3gpuE7ELNS1_3repE0EEENS1_48merge_mergepath_partition_config_static_selectorELNS0_4arch9wavefront6targetE1EEEvSL_
; %bb.0:
	.section	.rodata,"a",@progbits
	.p2align	6, 0x0
	.amdhsa_kernel _ZN7rocprim17ROCPRIM_400000_NS6detail17trampoline_kernelINS0_14default_configENS1_38merge_sort_block_merge_config_selectorIyNS0_10empty_typeEEEZZNS1_27merge_sort_block_merge_implIS3_N6thrust23THRUST_200600_302600_NS6detail15normal_iteratorINS9_10device_ptrIyEEEEPS5_jNS1_19radix_merge_compareILb0ELb1EyNS0_19identity_decomposerEEEEE10hipError_tT0_T1_T2_jT3_P12ihipStream_tbPNSt15iterator_traitsISK_E10value_typeEPNSQ_ISL_E10value_typeEPSM_NS1_7vsmem_tEENKUlT_SK_SL_SM_E_clISE_PySF_SF_EESJ_SZ_SK_SL_SM_EUlSZ_E_NS1_11comp_targetILNS1_3genE3ELNS1_11target_archE908ELNS1_3gpuE7ELNS1_3repE0EEENS1_48merge_mergepath_partition_config_static_selectorELNS0_4arch9wavefront6targetE1EEEvSL_
		.amdhsa_group_segment_fixed_size 0
		.amdhsa_private_segment_fixed_size 0
		.amdhsa_kernarg_size 40
		.amdhsa_user_sgpr_count 6
		.amdhsa_user_sgpr_private_segment_buffer 1
		.amdhsa_user_sgpr_dispatch_ptr 0
		.amdhsa_user_sgpr_queue_ptr 0
		.amdhsa_user_sgpr_kernarg_segment_ptr 1
		.amdhsa_user_sgpr_dispatch_id 0
		.amdhsa_user_sgpr_flat_scratch_init 0
		.amdhsa_user_sgpr_kernarg_preload_length 0
		.amdhsa_user_sgpr_kernarg_preload_offset 0
		.amdhsa_user_sgpr_private_segment_size 0
		.amdhsa_uses_dynamic_stack 0
		.amdhsa_system_sgpr_private_segment_wavefront_offset 0
		.amdhsa_system_sgpr_workgroup_id_x 1
		.amdhsa_system_sgpr_workgroup_id_y 0
		.amdhsa_system_sgpr_workgroup_id_z 0
		.amdhsa_system_sgpr_workgroup_info 0
		.amdhsa_system_vgpr_workitem_id 0
		.amdhsa_next_free_vgpr 1
		.amdhsa_next_free_sgpr 0
		.amdhsa_accum_offset 4
		.amdhsa_reserve_vcc 0
		.amdhsa_reserve_flat_scratch 0
		.amdhsa_float_round_mode_32 0
		.amdhsa_float_round_mode_16_64 0
		.amdhsa_float_denorm_mode_32 3
		.amdhsa_float_denorm_mode_16_64 3
		.amdhsa_dx10_clamp 1
		.amdhsa_ieee_mode 1
		.amdhsa_fp16_overflow 0
		.amdhsa_tg_split 0
		.amdhsa_exception_fp_ieee_invalid_op 0
		.amdhsa_exception_fp_denorm_src 0
		.amdhsa_exception_fp_ieee_div_zero 0
		.amdhsa_exception_fp_ieee_overflow 0
		.amdhsa_exception_fp_ieee_underflow 0
		.amdhsa_exception_fp_ieee_inexact 0
		.amdhsa_exception_int_div_zero 0
	.end_amdhsa_kernel
	.section	.text._ZN7rocprim17ROCPRIM_400000_NS6detail17trampoline_kernelINS0_14default_configENS1_38merge_sort_block_merge_config_selectorIyNS0_10empty_typeEEEZZNS1_27merge_sort_block_merge_implIS3_N6thrust23THRUST_200600_302600_NS6detail15normal_iteratorINS9_10device_ptrIyEEEEPS5_jNS1_19radix_merge_compareILb0ELb1EyNS0_19identity_decomposerEEEEE10hipError_tT0_T1_T2_jT3_P12ihipStream_tbPNSt15iterator_traitsISK_E10value_typeEPNSQ_ISL_E10value_typeEPSM_NS1_7vsmem_tEENKUlT_SK_SL_SM_E_clISE_PySF_SF_EESJ_SZ_SK_SL_SM_EUlSZ_E_NS1_11comp_targetILNS1_3genE3ELNS1_11target_archE908ELNS1_3gpuE7ELNS1_3repE0EEENS1_48merge_mergepath_partition_config_static_selectorELNS0_4arch9wavefront6targetE1EEEvSL_,"axG",@progbits,_ZN7rocprim17ROCPRIM_400000_NS6detail17trampoline_kernelINS0_14default_configENS1_38merge_sort_block_merge_config_selectorIyNS0_10empty_typeEEEZZNS1_27merge_sort_block_merge_implIS3_N6thrust23THRUST_200600_302600_NS6detail15normal_iteratorINS9_10device_ptrIyEEEEPS5_jNS1_19radix_merge_compareILb0ELb1EyNS0_19identity_decomposerEEEEE10hipError_tT0_T1_T2_jT3_P12ihipStream_tbPNSt15iterator_traitsISK_E10value_typeEPNSQ_ISL_E10value_typeEPSM_NS1_7vsmem_tEENKUlT_SK_SL_SM_E_clISE_PySF_SF_EESJ_SZ_SK_SL_SM_EUlSZ_E_NS1_11comp_targetILNS1_3genE3ELNS1_11target_archE908ELNS1_3gpuE7ELNS1_3repE0EEENS1_48merge_mergepath_partition_config_static_selectorELNS0_4arch9wavefront6targetE1EEEvSL_,comdat
.Lfunc_end817:
	.size	_ZN7rocprim17ROCPRIM_400000_NS6detail17trampoline_kernelINS0_14default_configENS1_38merge_sort_block_merge_config_selectorIyNS0_10empty_typeEEEZZNS1_27merge_sort_block_merge_implIS3_N6thrust23THRUST_200600_302600_NS6detail15normal_iteratorINS9_10device_ptrIyEEEEPS5_jNS1_19radix_merge_compareILb0ELb1EyNS0_19identity_decomposerEEEEE10hipError_tT0_T1_T2_jT3_P12ihipStream_tbPNSt15iterator_traitsISK_E10value_typeEPNSQ_ISL_E10value_typeEPSM_NS1_7vsmem_tEENKUlT_SK_SL_SM_E_clISE_PySF_SF_EESJ_SZ_SK_SL_SM_EUlSZ_E_NS1_11comp_targetILNS1_3genE3ELNS1_11target_archE908ELNS1_3gpuE7ELNS1_3repE0EEENS1_48merge_mergepath_partition_config_static_selectorELNS0_4arch9wavefront6targetE1EEEvSL_, .Lfunc_end817-_ZN7rocprim17ROCPRIM_400000_NS6detail17trampoline_kernelINS0_14default_configENS1_38merge_sort_block_merge_config_selectorIyNS0_10empty_typeEEEZZNS1_27merge_sort_block_merge_implIS3_N6thrust23THRUST_200600_302600_NS6detail15normal_iteratorINS9_10device_ptrIyEEEEPS5_jNS1_19radix_merge_compareILb0ELb1EyNS0_19identity_decomposerEEEEE10hipError_tT0_T1_T2_jT3_P12ihipStream_tbPNSt15iterator_traitsISK_E10value_typeEPNSQ_ISL_E10value_typeEPSM_NS1_7vsmem_tEENKUlT_SK_SL_SM_E_clISE_PySF_SF_EESJ_SZ_SK_SL_SM_EUlSZ_E_NS1_11comp_targetILNS1_3genE3ELNS1_11target_archE908ELNS1_3gpuE7ELNS1_3repE0EEENS1_48merge_mergepath_partition_config_static_selectorELNS0_4arch9wavefront6targetE1EEEvSL_
                                        ; -- End function
	.section	.AMDGPU.csdata,"",@progbits
; Kernel info:
; codeLenInByte = 0
; NumSgprs: 4
; NumVgprs: 0
; NumAgprs: 0
; TotalNumVgprs: 0
; ScratchSize: 0
; MemoryBound: 0
; FloatMode: 240
; IeeeMode: 1
; LDSByteSize: 0 bytes/workgroup (compile time only)
; SGPRBlocks: 0
; VGPRBlocks: 0
; NumSGPRsForWavesPerEU: 4
; NumVGPRsForWavesPerEU: 1
; AccumOffset: 4
; Occupancy: 8
; WaveLimiterHint : 0
; COMPUTE_PGM_RSRC2:SCRATCH_EN: 0
; COMPUTE_PGM_RSRC2:USER_SGPR: 6
; COMPUTE_PGM_RSRC2:TRAP_HANDLER: 0
; COMPUTE_PGM_RSRC2:TGID_X_EN: 1
; COMPUTE_PGM_RSRC2:TGID_Y_EN: 0
; COMPUTE_PGM_RSRC2:TGID_Z_EN: 0
; COMPUTE_PGM_RSRC2:TIDIG_COMP_CNT: 0
; COMPUTE_PGM_RSRC3_GFX90A:ACCUM_OFFSET: 0
; COMPUTE_PGM_RSRC3_GFX90A:TG_SPLIT: 0
	.section	.text._ZN7rocprim17ROCPRIM_400000_NS6detail17trampoline_kernelINS0_14default_configENS1_38merge_sort_block_merge_config_selectorIyNS0_10empty_typeEEEZZNS1_27merge_sort_block_merge_implIS3_N6thrust23THRUST_200600_302600_NS6detail15normal_iteratorINS9_10device_ptrIyEEEEPS5_jNS1_19radix_merge_compareILb0ELb1EyNS0_19identity_decomposerEEEEE10hipError_tT0_T1_T2_jT3_P12ihipStream_tbPNSt15iterator_traitsISK_E10value_typeEPNSQ_ISL_E10value_typeEPSM_NS1_7vsmem_tEENKUlT_SK_SL_SM_E_clISE_PySF_SF_EESJ_SZ_SK_SL_SM_EUlSZ_E_NS1_11comp_targetILNS1_3genE2ELNS1_11target_archE906ELNS1_3gpuE6ELNS1_3repE0EEENS1_48merge_mergepath_partition_config_static_selectorELNS0_4arch9wavefront6targetE1EEEvSL_,"axG",@progbits,_ZN7rocprim17ROCPRIM_400000_NS6detail17trampoline_kernelINS0_14default_configENS1_38merge_sort_block_merge_config_selectorIyNS0_10empty_typeEEEZZNS1_27merge_sort_block_merge_implIS3_N6thrust23THRUST_200600_302600_NS6detail15normal_iteratorINS9_10device_ptrIyEEEEPS5_jNS1_19radix_merge_compareILb0ELb1EyNS0_19identity_decomposerEEEEE10hipError_tT0_T1_T2_jT3_P12ihipStream_tbPNSt15iterator_traitsISK_E10value_typeEPNSQ_ISL_E10value_typeEPSM_NS1_7vsmem_tEENKUlT_SK_SL_SM_E_clISE_PySF_SF_EESJ_SZ_SK_SL_SM_EUlSZ_E_NS1_11comp_targetILNS1_3genE2ELNS1_11target_archE906ELNS1_3gpuE6ELNS1_3repE0EEENS1_48merge_mergepath_partition_config_static_selectorELNS0_4arch9wavefront6targetE1EEEvSL_,comdat
	.protected	_ZN7rocprim17ROCPRIM_400000_NS6detail17trampoline_kernelINS0_14default_configENS1_38merge_sort_block_merge_config_selectorIyNS0_10empty_typeEEEZZNS1_27merge_sort_block_merge_implIS3_N6thrust23THRUST_200600_302600_NS6detail15normal_iteratorINS9_10device_ptrIyEEEEPS5_jNS1_19radix_merge_compareILb0ELb1EyNS0_19identity_decomposerEEEEE10hipError_tT0_T1_T2_jT3_P12ihipStream_tbPNSt15iterator_traitsISK_E10value_typeEPNSQ_ISL_E10value_typeEPSM_NS1_7vsmem_tEENKUlT_SK_SL_SM_E_clISE_PySF_SF_EESJ_SZ_SK_SL_SM_EUlSZ_E_NS1_11comp_targetILNS1_3genE2ELNS1_11target_archE906ELNS1_3gpuE6ELNS1_3repE0EEENS1_48merge_mergepath_partition_config_static_selectorELNS0_4arch9wavefront6targetE1EEEvSL_ ; -- Begin function _ZN7rocprim17ROCPRIM_400000_NS6detail17trampoline_kernelINS0_14default_configENS1_38merge_sort_block_merge_config_selectorIyNS0_10empty_typeEEEZZNS1_27merge_sort_block_merge_implIS3_N6thrust23THRUST_200600_302600_NS6detail15normal_iteratorINS9_10device_ptrIyEEEEPS5_jNS1_19radix_merge_compareILb0ELb1EyNS0_19identity_decomposerEEEEE10hipError_tT0_T1_T2_jT3_P12ihipStream_tbPNSt15iterator_traitsISK_E10value_typeEPNSQ_ISL_E10value_typeEPSM_NS1_7vsmem_tEENKUlT_SK_SL_SM_E_clISE_PySF_SF_EESJ_SZ_SK_SL_SM_EUlSZ_E_NS1_11comp_targetILNS1_3genE2ELNS1_11target_archE906ELNS1_3gpuE6ELNS1_3repE0EEENS1_48merge_mergepath_partition_config_static_selectorELNS0_4arch9wavefront6targetE1EEEvSL_
	.globl	_ZN7rocprim17ROCPRIM_400000_NS6detail17trampoline_kernelINS0_14default_configENS1_38merge_sort_block_merge_config_selectorIyNS0_10empty_typeEEEZZNS1_27merge_sort_block_merge_implIS3_N6thrust23THRUST_200600_302600_NS6detail15normal_iteratorINS9_10device_ptrIyEEEEPS5_jNS1_19radix_merge_compareILb0ELb1EyNS0_19identity_decomposerEEEEE10hipError_tT0_T1_T2_jT3_P12ihipStream_tbPNSt15iterator_traitsISK_E10value_typeEPNSQ_ISL_E10value_typeEPSM_NS1_7vsmem_tEENKUlT_SK_SL_SM_E_clISE_PySF_SF_EESJ_SZ_SK_SL_SM_EUlSZ_E_NS1_11comp_targetILNS1_3genE2ELNS1_11target_archE906ELNS1_3gpuE6ELNS1_3repE0EEENS1_48merge_mergepath_partition_config_static_selectorELNS0_4arch9wavefront6targetE1EEEvSL_
	.p2align	8
	.type	_ZN7rocprim17ROCPRIM_400000_NS6detail17trampoline_kernelINS0_14default_configENS1_38merge_sort_block_merge_config_selectorIyNS0_10empty_typeEEEZZNS1_27merge_sort_block_merge_implIS3_N6thrust23THRUST_200600_302600_NS6detail15normal_iteratorINS9_10device_ptrIyEEEEPS5_jNS1_19radix_merge_compareILb0ELb1EyNS0_19identity_decomposerEEEEE10hipError_tT0_T1_T2_jT3_P12ihipStream_tbPNSt15iterator_traitsISK_E10value_typeEPNSQ_ISL_E10value_typeEPSM_NS1_7vsmem_tEENKUlT_SK_SL_SM_E_clISE_PySF_SF_EESJ_SZ_SK_SL_SM_EUlSZ_E_NS1_11comp_targetILNS1_3genE2ELNS1_11target_archE906ELNS1_3gpuE6ELNS1_3repE0EEENS1_48merge_mergepath_partition_config_static_selectorELNS0_4arch9wavefront6targetE1EEEvSL_,@function
_ZN7rocprim17ROCPRIM_400000_NS6detail17trampoline_kernelINS0_14default_configENS1_38merge_sort_block_merge_config_selectorIyNS0_10empty_typeEEEZZNS1_27merge_sort_block_merge_implIS3_N6thrust23THRUST_200600_302600_NS6detail15normal_iteratorINS9_10device_ptrIyEEEEPS5_jNS1_19radix_merge_compareILb0ELb1EyNS0_19identity_decomposerEEEEE10hipError_tT0_T1_T2_jT3_P12ihipStream_tbPNSt15iterator_traitsISK_E10value_typeEPNSQ_ISL_E10value_typeEPSM_NS1_7vsmem_tEENKUlT_SK_SL_SM_E_clISE_PySF_SF_EESJ_SZ_SK_SL_SM_EUlSZ_E_NS1_11comp_targetILNS1_3genE2ELNS1_11target_archE906ELNS1_3gpuE6ELNS1_3repE0EEENS1_48merge_mergepath_partition_config_static_selectorELNS0_4arch9wavefront6targetE1EEEvSL_: ; @_ZN7rocprim17ROCPRIM_400000_NS6detail17trampoline_kernelINS0_14default_configENS1_38merge_sort_block_merge_config_selectorIyNS0_10empty_typeEEEZZNS1_27merge_sort_block_merge_implIS3_N6thrust23THRUST_200600_302600_NS6detail15normal_iteratorINS9_10device_ptrIyEEEEPS5_jNS1_19radix_merge_compareILb0ELb1EyNS0_19identity_decomposerEEEEE10hipError_tT0_T1_T2_jT3_P12ihipStream_tbPNSt15iterator_traitsISK_E10value_typeEPNSQ_ISL_E10value_typeEPSM_NS1_7vsmem_tEENKUlT_SK_SL_SM_E_clISE_PySF_SF_EESJ_SZ_SK_SL_SM_EUlSZ_E_NS1_11comp_targetILNS1_3genE2ELNS1_11target_archE906ELNS1_3gpuE6ELNS1_3repE0EEENS1_48merge_mergepath_partition_config_static_selectorELNS0_4arch9wavefront6targetE1EEEvSL_
; %bb.0:
	.section	.rodata,"a",@progbits
	.p2align	6, 0x0
	.amdhsa_kernel _ZN7rocprim17ROCPRIM_400000_NS6detail17trampoline_kernelINS0_14default_configENS1_38merge_sort_block_merge_config_selectorIyNS0_10empty_typeEEEZZNS1_27merge_sort_block_merge_implIS3_N6thrust23THRUST_200600_302600_NS6detail15normal_iteratorINS9_10device_ptrIyEEEEPS5_jNS1_19radix_merge_compareILb0ELb1EyNS0_19identity_decomposerEEEEE10hipError_tT0_T1_T2_jT3_P12ihipStream_tbPNSt15iterator_traitsISK_E10value_typeEPNSQ_ISL_E10value_typeEPSM_NS1_7vsmem_tEENKUlT_SK_SL_SM_E_clISE_PySF_SF_EESJ_SZ_SK_SL_SM_EUlSZ_E_NS1_11comp_targetILNS1_3genE2ELNS1_11target_archE906ELNS1_3gpuE6ELNS1_3repE0EEENS1_48merge_mergepath_partition_config_static_selectorELNS0_4arch9wavefront6targetE1EEEvSL_
		.amdhsa_group_segment_fixed_size 0
		.amdhsa_private_segment_fixed_size 0
		.amdhsa_kernarg_size 40
		.amdhsa_user_sgpr_count 6
		.amdhsa_user_sgpr_private_segment_buffer 1
		.amdhsa_user_sgpr_dispatch_ptr 0
		.amdhsa_user_sgpr_queue_ptr 0
		.amdhsa_user_sgpr_kernarg_segment_ptr 1
		.amdhsa_user_sgpr_dispatch_id 0
		.amdhsa_user_sgpr_flat_scratch_init 0
		.amdhsa_user_sgpr_kernarg_preload_length 0
		.amdhsa_user_sgpr_kernarg_preload_offset 0
		.amdhsa_user_sgpr_private_segment_size 0
		.amdhsa_uses_dynamic_stack 0
		.amdhsa_system_sgpr_private_segment_wavefront_offset 0
		.amdhsa_system_sgpr_workgroup_id_x 1
		.amdhsa_system_sgpr_workgroup_id_y 0
		.amdhsa_system_sgpr_workgroup_id_z 0
		.amdhsa_system_sgpr_workgroup_info 0
		.amdhsa_system_vgpr_workitem_id 0
		.amdhsa_next_free_vgpr 1
		.amdhsa_next_free_sgpr 0
		.amdhsa_accum_offset 4
		.amdhsa_reserve_vcc 0
		.amdhsa_reserve_flat_scratch 0
		.amdhsa_float_round_mode_32 0
		.amdhsa_float_round_mode_16_64 0
		.amdhsa_float_denorm_mode_32 3
		.amdhsa_float_denorm_mode_16_64 3
		.amdhsa_dx10_clamp 1
		.amdhsa_ieee_mode 1
		.amdhsa_fp16_overflow 0
		.amdhsa_tg_split 0
		.amdhsa_exception_fp_ieee_invalid_op 0
		.amdhsa_exception_fp_denorm_src 0
		.amdhsa_exception_fp_ieee_div_zero 0
		.amdhsa_exception_fp_ieee_overflow 0
		.amdhsa_exception_fp_ieee_underflow 0
		.amdhsa_exception_fp_ieee_inexact 0
		.amdhsa_exception_int_div_zero 0
	.end_amdhsa_kernel
	.section	.text._ZN7rocprim17ROCPRIM_400000_NS6detail17trampoline_kernelINS0_14default_configENS1_38merge_sort_block_merge_config_selectorIyNS0_10empty_typeEEEZZNS1_27merge_sort_block_merge_implIS3_N6thrust23THRUST_200600_302600_NS6detail15normal_iteratorINS9_10device_ptrIyEEEEPS5_jNS1_19radix_merge_compareILb0ELb1EyNS0_19identity_decomposerEEEEE10hipError_tT0_T1_T2_jT3_P12ihipStream_tbPNSt15iterator_traitsISK_E10value_typeEPNSQ_ISL_E10value_typeEPSM_NS1_7vsmem_tEENKUlT_SK_SL_SM_E_clISE_PySF_SF_EESJ_SZ_SK_SL_SM_EUlSZ_E_NS1_11comp_targetILNS1_3genE2ELNS1_11target_archE906ELNS1_3gpuE6ELNS1_3repE0EEENS1_48merge_mergepath_partition_config_static_selectorELNS0_4arch9wavefront6targetE1EEEvSL_,"axG",@progbits,_ZN7rocprim17ROCPRIM_400000_NS6detail17trampoline_kernelINS0_14default_configENS1_38merge_sort_block_merge_config_selectorIyNS0_10empty_typeEEEZZNS1_27merge_sort_block_merge_implIS3_N6thrust23THRUST_200600_302600_NS6detail15normal_iteratorINS9_10device_ptrIyEEEEPS5_jNS1_19radix_merge_compareILb0ELb1EyNS0_19identity_decomposerEEEEE10hipError_tT0_T1_T2_jT3_P12ihipStream_tbPNSt15iterator_traitsISK_E10value_typeEPNSQ_ISL_E10value_typeEPSM_NS1_7vsmem_tEENKUlT_SK_SL_SM_E_clISE_PySF_SF_EESJ_SZ_SK_SL_SM_EUlSZ_E_NS1_11comp_targetILNS1_3genE2ELNS1_11target_archE906ELNS1_3gpuE6ELNS1_3repE0EEENS1_48merge_mergepath_partition_config_static_selectorELNS0_4arch9wavefront6targetE1EEEvSL_,comdat
.Lfunc_end818:
	.size	_ZN7rocprim17ROCPRIM_400000_NS6detail17trampoline_kernelINS0_14default_configENS1_38merge_sort_block_merge_config_selectorIyNS0_10empty_typeEEEZZNS1_27merge_sort_block_merge_implIS3_N6thrust23THRUST_200600_302600_NS6detail15normal_iteratorINS9_10device_ptrIyEEEEPS5_jNS1_19radix_merge_compareILb0ELb1EyNS0_19identity_decomposerEEEEE10hipError_tT0_T1_T2_jT3_P12ihipStream_tbPNSt15iterator_traitsISK_E10value_typeEPNSQ_ISL_E10value_typeEPSM_NS1_7vsmem_tEENKUlT_SK_SL_SM_E_clISE_PySF_SF_EESJ_SZ_SK_SL_SM_EUlSZ_E_NS1_11comp_targetILNS1_3genE2ELNS1_11target_archE906ELNS1_3gpuE6ELNS1_3repE0EEENS1_48merge_mergepath_partition_config_static_selectorELNS0_4arch9wavefront6targetE1EEEvSL_, .Lfunc_end818-_ZN7rocprim17ROCPRIM_400000_NS6detail17trampoline_kernelINS0_14default_configENS1_38merge_sort_block_merge_config_selectorIyNS0_10empty_typeEEEZZNS1_27merge_sort_block_merge_implIS3_N6thrust23THRUST_200600_302600_NS6detail15normal_iteratorINS9_10device_ptrIyEEEEPS5_jNS1_19radix_merge_compareILb0ELb1EyNS0_19identity_decomposerEEEEE10hipError_tT0_T1_T2_jT3_P12ihipStream_tbPNSt15iterator_traitsISK_E10value_typeEPNSQ_ISL_E10value_typeEPSM_NS1_7vsmem_tEENKUlT_SK_SL_SM_E_clISE_PySF_SF_EESJ_SZ_SK_SL_SM_EUlSZ_E_NS1_11comp_targetILNS1_3genE2ELNS1_11target_archE906ELNS1_3gpuE6ELNS1_3repE0EEENS1_48merge_mergepath_partition_config_static_selectorELNS0_4arch9wavefront6targetE1EEEvSL_
                                        ; -- End function
	.section	.AMDGPU.csdata,"",@progbits
; Kernel info:
; codeLenInByte = 0
; NumSgprs: 4
; NumVgprs: 0
; NumAgprs: 0
; TotalNumVgprs: 0
; ScratchSize: 0
; MemoryBound: 0
; FloatMode: 240
; IeeeMode: 1
; LDSByteSize: 0 bytes/workgroup (compile time only)
; SGPRBlocks: 0
; VGPRBlocks: 0
; NumSGPRsForWavesPerEU: 4
; NumVGPRsForWavesPerEU: 1
; AccumOffset: 4
; Occupancy: 8
; WaveLimiterHint : 0
; COMPUTE_PGM_RSRC2:SCRATCH_EN: 0
; COMPUTE_PGM_RSRC2:USER_SGPR: 6
; COMPUTE_PGM_RSRC2:TRAP_HANDLER: 0
; COMPUTE_PGM_RSRC2:TGID_X_EN: 1
; COMPUTE_PGM_RSRC2:TGID_Y_EN: 0
; COMPUTE_PGM_RSRC2:TGID_Z_EN: 0
; COMPUTE_PGM_RSRC2:TIDIG_COMP_CNT: 0
; COMPUTE_PGM_RSRC3_GFX90A:ACCUM_OFFSET: 0
; COMPUTE_PGM_RSRC3_GFX90A:TG_SPLIT: 0
	.section	.text._ZN7rocprim17ROCPRIM_400000_NS6detail17trampoline_kernelINS0_14default_configENS1_38merge_sort_block_merge_config_selectorIyNS0_10empty_typeEEEZZNS1_27merge_sort_block_merge_implIS3_N6thrust23THRUST_200600_302600_NS6detail15normal_iteratorINS9_10device_ptrIyEEEEPS5_jNS1_19radix_merge_compareILb0ELb1EyNS0_19identity_decomposerEEEEE10hipError_tT0_T1_T2_jT3_P12ihipStream_tbPNSt15iterator_traitsISK_E10value_typeEPNSQ_ISL_E10value_typeEPSM_NS1_7vsmem_tEENKUlT_SK_SL_SM_E_clISE_PySF_SF_EESJ_SZ_SK_SL_SM_EUlSZ_E_NS1_11comp_targetILNS1_3genE9ELNS1_11target_archE1100ELNS1_3gpuE3ELNS1_3repE0EEENS1_48merge_mergepath_partition_config_static_selectorELNS0_4arch9wavefront6targetE1EEEvSL_,"axG",@progbits,_ZN7rocprim17ROCPRIM_400000_NS6detail17trampoline_kernelINS0_14default_configENS1_38merge_sort_block_merge_config_selectorIyNS0_10empty_typeEEEZZNS1_27merge_sort_block_merge_implIS3_N6thrust23THRUST_200600_302600_NS6detail15normal_iteratorINS9_10device_ptrIyEEEEPS5_jNS1_19radix_merge_compareILb0ELb1EyNS0_19identity_decomposerEEEEE10hipError_tT0_T1_T2_jT3_P12ihipStream_tbPNSt15iterator_traitsISK_E10value_typeEPNSQ_ISL_E10value_typeEPSM_NS1_7vsmem_tEENKUlT_SK_SL_SM_E_clISE_PySF_SF_EESJ_SZ_SK_SL_SM_EUlSZ_E_NS1_11comp_targetILNS1_3genE9ELNS1_11target_archE1100ELNS1_3gpuE3ELNS1_3repE0EEENS1_48merge_mergepath_partition_config_static_selectorELNS0_4arch9wavefront6targetE1EEEvSL_,comdat
	.protected	_ZN7rocprim17ROCPRIM_400000_NS6detail17trampoline_kernelINS0_14default_configENS1_38merge_sort_block_merge_config_selectorIyNS0_10empty_typeEEEZZNS1_27merge_sort_block_merge_implIS3_N6thrust23THRUST_200600_302600_NS6detail15normal_iteratorINS9_10device_ptrIyEEEEPS5_jNS1_19radix_merge_compareILb0ELb1EyNS0_19identity_decomposerEEEEE10hipError_tT0_T1_T2_jT3_P12ihipStream_tbPNSt15iterator_traitsISK_E10value_typeEPNSQ_ISL_E10value_typeEPSM_NS1_7vsmem_tEENKUlT_SK_SL_SM_E_clISE_PySF_SF_EESJ_SZ_SK_SL_SM_EUlSZ_E_NS1_11comp_targetILNS1_3genE9ELNS1_11target_archE1100ELNS1_3gpuE3ELNS1_3repE0EEENS1_48merge_mergepath_partition_config_static_selectorELNS0_4arch9wavefront6targetE1EEEvSL_ ; -- Begin function _ZN7rocprim17ROCPRIM_400000_NS6detail17trampoline_kernelINS0_14default_configENS1_38merge_sort_block_merge_config_selectorIyNS0_10empty_typeEEEZZNS1_27merge_sort_block_merge_implIS3_N6thrust23THRUST_200600_302600_NS6detail15normal_iteratorINS9_10device_ptrIyEEEEPS5_jNS1_19radix_merge_compareILb0ELb1EyNS0_19identity_decomposerEEEEE10hipError_tT0_T1_T2_jT3_P12ihipStream_tbPNSt15iterator_traitsISK_E10value_typeEPNSQ_ISL_E10value_typeEPSM_NS1_7vsmem_tEENKUlT_SK_SL_SM_E_clISE_PySF_SF_EESJ_SZ_SK_SL_SM_EUlSZ_E_NS1_11comp_targetILNS1_3genE9ELNS1_11target_archE1100ELNS1_3gpuE3ELNS1_3repE0EEENS1_48merge_mergepath_partition_config_static_selectorELNS0_4arch9wavefront6targetE1EEEvSL_
	.globl	_ZN7rocprim17ROCPRIM_400000_NS6detail17trampoline_kernelINS0_14default_configENS1_38merge_sort_block_merge_config_selectorIyNS0_10empty_typeEEEZZNS1_27merge_sort_block_merge_implIS3_N6thrust23THRUST_200600_302600_NS6detail15normal_iteratorINS9_10device_ptrIyEEEEPS5_jNS1_19radix_merge_compareILb0ELb1EyNS0_19identity_decomposerEEEEE10hipError_tT0_T1_T2_jT3_P12ihipStream_tbPNSt15iterator_traitsISK_E10value_typeEPNSQ_ISL_E10value_typeEPSM_NS1_7vsmem_tEENKUlT_SK_SL_SM_E_clISE_PySF_SF_EESJ_SZ_SK_SL_SM_EUlSZ_E_NS1_11comp_targetILNS1_3genE9ELNS1_11target_archE1100ELNS1_3gpuE3ELNS1_3repE0EEENS1_48merge_mergepath_partition_config_static_selectorELNS0_4arch9wavefront6targetE1EEEvSL_
	.p2align	8
	.type	_ZN7rocprim17ROCPRIM_400000_NS6detail17trampoline_kernelINS0_14default_configENS1_38merge_sort_block_merge_config_selectorIyNS0_10empty_typeEEEZZNS1_27merge_sort_block_merge_implIS3_N6thrust23THRUST_200600_302600_NS6detail15normal_iteratorINS9_10device_ptrIyEEEEPS5_jNS1_19radix_merge_compareILb0ELb1EyNS0_19identity_decomposerEEEEE10hipError_tT0_T1_T2_jT3_P12ihipStream_tbPNSt15iterator_traitsISK_E10value_typeEPNSQ_ISL_E10value_typeEPSM_NS1_7vsmem_tEENKUlT_SK_SL_SM_E_clISE_PySF_SF_EESJ_SZ_SK_SL_SM_EUlSZ_E_NS1_11comp_targetILNS1_3genE9ELNS1_11target_archE1100ELNS1_3gpuE3ELNS1_3repE0EEENS1_48merge_mergepath_partition_config_static_selectorELNS0_4arch9wavefront6targetE1EEEvSL_,@function
_ZN7rocprim17ROCPRIM_400000_NS6detail17trampoline_kernelINS0_14default_configENS1_38merge_sort_block_merge_config_selectorIyNS0_10empty_typeEEEZZNS1_27merge_sort_block_merge_implIS3_N6thrust23THRUST_200600_302600_NS6detail15normal_iteratorINS9_10device_ptrIyEEEEPS5_jNS1_19radix_merge_compareILb0ELb1EyNS0_19identity_decomposerEEEEE10hipError_tT0_T1_T2_jT3_P12ihipStream_tbPNSt15iterator_traitsISK_E10value_typeEPNSQ_ISL_E10value_typeEPSM_NS1_7vsmem_tEENKUlT_SK_SL_SM_E_clISE_PySF_SF_EESJ_SZ_SK_SL_SM_EUlSZ_E_NS1_11comp_targetILNS1_3genE9ELNS1_11target_archE1100ELNS1_3gpuE3ELNS1_3repE0EEENS1_48merge_mergepath_partition_config_static_selectorELNS0_4arch9wavefront6targetE1EEEvSL_: ; @_ZN7rocprim17ROCPRIM_400000_NS6detail17trampoline_kernelINS0_14default_configENS1_38merge_sort_block_merge_config_selectorIyNS0_10empty_typeEEEZZNS1_27merge_sort_block_merge_implIS3_N6thrust23THRUST_200600_302600_NS6detail15normal_iteratorINS9_10device_ptrIyEEEEPS5_jNS1_19radix_merge_compareILb0ELb1EyNS0_19identity_decomposerEEEEE10hipError_tT0_T1_T2_jT3_P12ihipStream_tbPNSt15iterator_traitsISK_E10value_typeEPNSQ_ISL_E10value_typeEPSM_NS1_7vsmem_tEENKUlT_SK_SL_SM_E_clISE_PySF_SF_EESJ_SZ_SK_SL_SM_EUlSZ_E_NS1_11comp_targetILNS1_3genE9ELNS1_11target_archE1100ELNS1_3gpuE3ELNS1_3repE0EEENS1_48merge_mergepath_partition_config_static_selectorELNS0_4arch9wavefront6targetE1EEEvSL_
; %bb.0:
	.section	.rodata,"a",@progbits
	.p2align	6, 0x0
	.amdhsa_kernel _ZN7rocprim17ROCPRIM_400000_NS6detail17trampoline_kernelINS0_14default_configENS1_38merge_sort_block_merge_config_selectorIyNS0_10empty_typeEEEZZNS1_27merge_sort_block_merge_implIS3_N6thrust23THRUST_200600_302600_NS6detail15normal_iteratorINS9_10device_ptrIyEEEEPS5_jNS1_19radix_merge_compareILb0ELb1EyNS0_19identity_decomposerEEEEE10hipError_tT0_T1_T2_jT3_P12ihipStream_tbPNSt15iterator_traitsISK_E10value_typeEPNSQ_ISL_E10value_typeEPSM_NS1_7vsmem_tEENKUlT_SK_SL_SM_E_clISE_PySF_SF_EESJ_SZ_SK_SL_SM_EUlSZ_E_NS1_11comp_targetILNS1_3genE9ELNS1_11target_archE1100ELNS1_3gpuE3ELNS1_3repE0EEENS1_48merge_mergepath_partition_config_static_selectorELNS0_4arch9wavefront6targetE1EEEvSL_
		.amdhsa_group_segment_fixed_size 0
		.amdhsa_private_segment_fixed_size 0
		.amdhsa_kernarg_size 40
		.amdhsa_user_sgpr_count 6
		.amdhsa_user_sgpr_private_segment_buffer 1
		.amdhsa_user_sgpr_dispatch_ptr 0
		.amdhsa_user_sgpr_queue_ptr 0
		.amdhsa_user_sgpr_kernarg_segment_ptr 1
		.amdhsa_user_sgpr_dispatch_id 0
		.amdhsa_user_sgpr_flat_scratch_init 0
		.amdhsa_user_sgpr_kernarg_preload_length 0
		.amdhsa_user_sgpr_kernarg_preload_offset 0
		.amdhsa_user_sgpr_private_segment_size 0
		.amdhsa_uses_dynamic_stack 0
		.amdhsa_system_sgpr_private_segment_wavefront_offset 0
		.amdhsa_system_sgpr_workgroup_id_x 1
		.amdhsa_system_sgpr_workgroup_id_y 0
		.amdhsa_system_sgpr_workgroup_id_z 0
		.amdhsa_system_sgpr_workgroup_info 0
		.amdhsa_system_vgpr_workitem_id 0
		.amdhsa_next_free_vgpr 1
		.amdhsa_next_free_sgpr 0
		.amdhsa_accum_offset 4
		.amdhsa_reserve_vcc 0
		.amdhsa_reserve_flat_scratch 0
		.amdhsa_float_round_mode_32 0
		.amdhsa_float_round_mode_16_64 0
		.amdhsa_float_denorm_mode_32 3
		.amdhsa_float_denorm_mode_16_64 3
		.amdhsa_dx10_clamp 1
		.amdhsa_ieee_mode 1
		.amdhsa_fp16_overflow 0
		.amdhsa_tg_split 0
		.amdhsa_exception_fp_ieee_invalid_op 0
		.amdhsa_exception_fp_denorm_src 0
		.amdhsa_exception_fp_ieee_div_zero 0
		.amdhsa_exception_fp_ieee_overflow 0
		.amdhsa_exception_fp_ieee_underflow 0
		.amdhsa_exception_fp_ieee_inexact 0
		.amdhsa_exception_int_div_zero 0
	.end_amdhsa_kernel
	.section	.text._ZN7rocprim17ROCPRIM_400000_NS6detail17trampoline_kernelINS0_14default_configENS1_38merge_sort_block_merge_config_selectorIyNS0_10empty_typeEEEZZNS1_27merge_sort_block_merge_implIS3_N6thrust23THRUST_200600_302600_NS6detail15normal_iteratorINS9_10device_ptrIyEEEEPS5_jNS1_19radix_merge_compareILb0ELb1EyNS0_19identity_decomposerEEEEE10hipError_tT0_T1_T2_jT3_P12ihipStream_tbPNSt15iterator_traitsISK_E10value_typeEPNSQ_ISL_E10value_typeEPSM_NS1_7vsmem_tEENKUlT_SK_SL_SM_E_clISE_PySF_SF_EESJ_SZ_SK_SL_SM_EUlSZ_E_NS1_11comp_targetILNS1_3genE9ELNS1_11target_archE1100ELNS1_3gpuE3ELNS1_3repE0EEENS1_48merge_mergepath_partition_config_static_selectorELNS0_4arch9wavefront6targetE1EEEvSL_,"axG",@progbits,_ZN7rocprim17ROCPRIM_400000_NS6detail17trampoline_kernelINS0_14default_configENS1_38merge_sort_block_merge_config_selectorIyNS0_10empty_typeEEEZZNS1_27merge_sort_block_merge_implIS3_N6thrust23THRUST_200600_302600_NS6detail15normal_iteratorINS9_10device_ptrIyEEEEPS5_jNS1_19radix_merge_compareILb0ELb1EyNS0_19identity_decomposerEEEEE10hipError_tT0_T1_T2_jT3_P12ihipStream_tbPNSt15iterator_traitsISK_E10value_typeEPNSQ_ISL_E10value_typeEPSM_NS1_7vsmem_tEENKUlT_SK_SL_SM_E_clISE_PySF_SF_EESJ_SZ_SK_SL_SM_EUlSZ_E_NS1_11comp_targetILNS1_3genE9ELNS1_11target_archE1100ELNS1_3gpuE3ELNS1_3repE0EEENS1_48merge_mergepath_partition_config_static_selectorELNS0_4arch9wavefront6targetE1EEEvSL_,comdat
.Lfunc_end819:
	.size	_ZN7rocprim17ROCPRIM_400000_NS6detail17trampoline_kernelINS0_14default_configENS1_38merge_sort_block_merge_config_selectorIyNS0_10empty_typeEEEZZNS1_27merge_sort_block_merge_implIS3_N6thrust23THRUST_200600_302600_NS6detail15normal_iteratorINS9_10device_ptrIyEEEEPS5_jNS1_19radix_merge_compareILb0ELb1EyNS0_19identity_decomposerEEEEE10hipError_tT0_T1_T2_jT3_P12ihipStream_tbPNSt15iterator_traitsISK_E10value_typeEPNSQ_ISL_E10value_typeEPSM_NS1_7vsmem_tEENKUlT_SK_SL_SM_E_clISE_PySF_SF_EESJ_SZ_SK_SL_SM_EUlSZ_E_NS1_11comp_targetILNS1_3genE9ELNS1_11target_archE1100ELNS1_3gpuE3ELNS1_3repE0EEENS1_48merge_mergepath_partition_config_static_selectorELNS0_4arch9wavefront6targetE1EEEvSL_, .Lfunc_end819-_ZN7rocprim17ROCPRIM_400000_NS6detail17trampoline_kernelINS0_14default_configENS1_38merge_sort_block_merge_config_selectorIyNS0_10empty_typeEEEZZNS1_27merge_sort_block_merge_implIS3_N6thrust23THRUST_200600_302600_NS6detail15normal_iteratorINS9_10device_ptrIyEEEEPS5_jNS1_19radix_merge_compareILb0ELb1EyNS0_19identity_decomposerEEEEE10hipError_tT0_T1_T2_jT3_P12ihipStream_tbPNSt15iterator_traitsISK_E10value_typeEPNSQ_ISL_E10value_typeEPSM_NS1_7vsmem_tEENKUlT_SK_SL_SM_E_clISE_PySF_SF_EESJ_SZ_SK_SL_SM_EUlSZ_E_NS1_11comp_targetILNS1_3genE9ELNS1_11target_archE1100ELNS1_3gpuE3ELNS1_3repE0EEENS1_48merge_mergepath_partition_config_static_selectorELNS0_4arch9wavefront6targetE1EEEvSL_
                                        ; -- End function
	.section	.AMDGPU.csdata,"",@progbits
; Kernel info:
; codeLenInByte = 0
; NumSgprs: 4
; NumVgprs: 0
; NumAgprs: 0
; TotalNumVgprs: 0
; ScratchSize: 0
; MemoryBound: 0
; FloatMode: 240
; IeeeMode: 1
; LDSByteSize: 0 bytes/workgroup (compile time only)
; SGPRBlocks: 0
; VGPRBlocks: 0
; NumSGPRsForWavesPerEU: 4
; NumVGPRsForWavesPerEU: 1
; AccumOffset: 4
; Occupancy: 8
; WaveLimiterHint : 0
; COMPUTE_PGM_RSRC2:SCRATCH_EN: 0
; COMPUTE_PGM_RSRC2:USER_SGPR: 6
; COMPUTE_PGM_RSRC2:TRAP_HANDLER: 0
; COMPUTE_PGM_RSRC2:TGID_X_EN: 1
; COMPUTE_PGM_RSRC2:TGID_Y_EN: 0
; COMPUTE_PGM_RSRC2:TGID_Z_EN: 0
; COMPUTE_PGM_RSRC2:TIDIG_COMP_CNT: 0
; COMPUTE_PGM_RSRC3_GFX90A:ACCUM_OFFSET: 0
; COMPUTE_PGM_RSRC3_GFX90A:TG_SPLIT: 0
	.section	.text._ZN7rocprim17ROCPRIM_400000_NS6detail17trampoline_kernelINS0_14default_configENS1_38merge_sort_block_merge_config_selectorIyNS0_10empty_typeEEEZZNS1_27merge_sort_block_merge_implIS3_N6thrust23THRUST_200600_302600_NS6detail15normal_iteratorINS9_10device_ptrIyEEEEPS5_jNS1_19radix_merge_compareILb0ELb1EyNS0_19identity_decomposerEEEEE10hipError_tT0_T1_T2_jT3_P12ihipStream_tbPNSt15iterator_traitsISK_E10value_typeEPNSQ_ISL_E10value_typeEPSM_NS1_7vsmem_tEENKUlT_SK_SL_SM_E_clISE_PySF_SF_EESJ_SZ_SK_SL_SM_EUlSZ_E_NS1_11comp_targetILNS1_3genE8ELNS1_11target_archE1030ELNS1_3gpuE2ELNS1_3repE0EEENS1_48merge_mergepath_partition_config_static_selectorELNS0_4arch9wavefront6targetE1EEEvSL_,"axG",@progbits,_ZN7rocprim17ROCPRIM_400000_NS6detail17trampoline_kernelINS0_14default_configENS1_38merge_sort_block_merge_config_selectorIyNS0_10empty_typeEEEZZNS1_27merge_sort_block_merge_implIS3_N6thrust23THRUST_200600_302600_NS6detail15normal_iteratorINS9_10device_ptrIyEEEEPS5_jNS1_19radix_merge_compareILb0ELb1EyNS0_19identity_decomposerEEEEE10hipError_tT0_T1_T2_jT3_P12ihipStream_tbPNSt15iterator_traitsISK_E10value_typeEPNSQ_ISL_E10value_typeEPSM_NS1_7vsmem_tEENKUlT_SK_SL_SM_E_clISE_PySF_SF_EESJ_SZ_SK_SL_SM_EUlSZ_E_NS1_11comp_targetILNS1_3genE8ELNS1_11target_archE1030ELNS1_3gpuE2ELNS1_3repE0EEENS1_48merge_mergepath_partition_config_static_selectorELNS0_4arch9wavefront6targetE1EEEvSL_,comdat
	.protected	_ZN7rocprim17ROCPRIM_400000_NS6detail17trampoline_kernelINS0_14default_configENS1_38merge_sort_block_merge_config_selectorIyNS0_10empty_typeEEEZZNS1_27merge_sort_block_merge_implIS3_N6thrust23THRUST_200600_302600_NS6detail15normal_iteratorINS9_10device_ptrIyEEEEPS5_jNS1_19radix_merge_compareILb0ELb1EyNS0_19identity_decomposerEEEEE10hipError_tT0_T1_T2_jT3_P12ihipStream_tbPNSt15iterator_traitsISK_E10value_typeEPNSQ_ISL_E10value_typeEPSM_NS1_7vsmem_tEENKUlT_SK_SL_SM_E_clISE_PySF_SF_EESJ_SZ_SK_SL_SM_EUlSZ_E_NS1_11comp_targetILNS1_3genE8ELNS1_11target_archE1030ELNS1_3gpuE2ELNS1_3repE0EEENS1_48merge_mergepath_partition_config_static_selectorELNS0_4arch9wavefront6targetE1EEEvSL_ ; -- Begin function _ZN7rocprim17ROCPRIM_400000_NS6detail17trampoline_kernelINS0_14default_configENS1_38merge_sort_block_merge_config_selectorIyNS0_10empty_typeEEEZZNS1_27merge_sort_block_merge_implIS3_N6thrust23THRUST_200600_302600_NS6detail15normal_iteratorINS9_10device_ptrIyEEEEPS5_jNS1_19radix_merge_compareILb0ELb1EyNS0_19identity_decomposerEEEEE10hipError_tT0_T1_T2_jT3_P12ihipStream_tbPNSt15iterator_traitsISK_E10value_typeEPNSQ_ISL_E10value_typeEPSM_NS1_7vsmem_tEENKUlT_SK_SL_SM_E_clISE_PySF_SF_EESJ_SZ_SK_SL_SM_EUlSZ_E_NS1_11comp_targetILNS1_3genE8ELNS1_11target_archE1030ELNS1_3gpuE2ELNS1_3repE0EEENS1_48merge_mergepath_partition_config_static_selectorELNS0_4arch9wavefront6targetE1EEEvSL_
	.globl	_ZN7rocprim17ROCPRIM_400000_NS6detail17trampoline_kernelINS0_14default_configENS1_38merge_sort_block_merge_config_selectorIyNS0_10empty_typeEEEZZNS1_27merge_sort_block_merge_implIS3_N6thrust23THRUST_200600_302600_NS6detail15normal_iteratorINS9_10device_ptrIyEEEEPS5_jNS1_19radix_merge_compareILb0ELb1EyNS0_19identity_decomposerEEEEE10hipError_tT0_T1_T2_jT3_P12ihipStream_tbPNSt15iterator_traitsISK_E10value_typeEPNSQ_ISL_E10value_typeEPSM_NS1_7vsmem_tEENKUlT_SK_SL_SM_E_clISE_PySF_SF_EESJ_SZ_SK_SL_SM_EUlSZ_E_NS1_11comp_targetILNS1_3genE8ELNS1_11target_archE1030ELNS1_3gpuE2ELNS1_3repE0EEENS1_48merge_mergepath_partition_config_static_selectorELNS0_4arch9wavefront6targetE1EEEvSL_
	.p2align	8
	.type	_ZN7rocprim17ROCPRIM_400000_NS6detail17trampoline_kernelINS0_14default_configENS1_38merge_sort_block_merge_config_selectorIyNS0_10empty_typeEEEZZNS1_27merge_sort_block_merge_implIS3_N6thrust23THRUST_200600_302600_NS6detail15normal_iteratorINS9_10device_ptrIyEEEEPS5_jNS1_19radix_merge_compareILb0ELb1EyNS0_19identity_decomposerEEEEE10hipError_tT0_T1_T2_jT3_P12ihipStream_tbPNSt15iterator_traitsISK_E10value_typeEPNSQ_ISL_E10value_typeEPSM_NS1_7vsmem_tEENKUlT_SK_SL_SM_E_clISE_PySF_SF_EESJ_SZ_SK_SL_SM_EUlSZ_E_NS1_11comp_targetILNS1_3genE8ELNS1_11target_archE1030ELNS1_3gpuE2ELNS1_3repE0EEENS1_48merge_mergepath_partition_config_static_selectorELNS0_4arch9wavefront6targetE1EEEvSL_,@function
_ZN7rocprim17ROCPRIM_400000_NS6detail17trampoline_kernelINS0_14default_configENS1_38merge_sort_block_merge_config_selectorIyNS0_10empty_typeEEEZZNS1_27merge_sort_block_merge_implIS3_N6thrust23THRUST_200600_302600_NS6detail15normal_iteratorINS9_10device_ptrIyEEEEPS5_jNS1_19radix_merge_compareILb0ELb1EyNS0_19identity_decomposerEEEEE10hipError_tT0_T1_T2_jT3_P12ihipStream_tbPNSt15iterator_traitsISK_E10value_typeEPNSQ_ISL_E10value_typeEPSM_NS1_7vsmem_tEENKUlT_SK_SL_SM_E_clISE_PySF_SF_EESJ_SZ_SK_SL_SM_EUlSZ_E_NS1_11comp_targetILNS1_3genE8ELNS1_11target_archE1030ELNS1_3gpuE2ELNS1_3repE0EEENS1_48merge_mergepath_partition_config_static_selectorELNS0_4arch9wavefront6targetE1EEEvSL_: ; @_ZN7rocprim17ROCPRIM_400000_NS6detail17trampoline_kernelINS0_14default_configENS1_38merge_sort_block_merge_config_selectorIyNS0_10empty_typeEEEZZNS1_27merge_sort_block_merge_implIS3_N6thrust23THRUST_200600_302600_NS6detail15normal_iteratorINS9_10device_ptrIyEEEEPS5_jNS1_19radix_merge_compareILb0ELb1EyNS0_19identity_decomposerEEEEE10hipError_tT0_T1_T2_jT3_P12ihipStream_tbPNSt15iterator_traitsISK_E10value_typeEPNSQ_ISL_E10value_typeEPSM_NS1_7vsmem_tEENKUlT_SK_SL_SM_E_clISE_PySF_SF_EESJ_SZ_SK_SL_SM_EUlSZ_E_NS1_11comp_targetILNS1_3genE8ELNS1_11target_archE1030ELNS1_3gpuE2ELNS1_3repE0EEENS1_48merge_mergepath_partition_config_static_selectorELNS0_4arch9wavefront6targetE1EEEvSL_
; %bb.0:
	.section	.rodata,"a",@progbits
	.p2align	6, 0x0
	.amdhsa_kernel _ZN7rocprim17ROCPRIM_400000_NS6detail17trampoline_kernelINS0_14default_configENS1_38merge_sort_block_merge_config_selectorIyNS0_10empty_typeEEEZZNS1_27merge_sort_block_merge_implIS3_N6thrust23THRUST_200600_302600_NS6detail15normal_iteratorINS9_10device_ptrIyEEEEPS5_jNS1_19radix_merge_compareILb0ELb1EyNS0_19identity_decomposerEEEEE10hipError_tT0_T1_T2_jT3_P12ihipStream_tbPNSt15iterator_traitsISK_E10value_typeEPNSQ_ISL_E10value_typeEPSM_NS1_7vsmem_tEENKUlT_SK_SL_SM_E_clISE_PySF_SF_EESJ_SZ_SK_SL_SM_EUlSZ_E_NS1_11comp_targetILNS1_3genE8ELNS1_11target_archE1030ELNS1_3gpuE2ELNS1_3repE0EEENS1_48merge_mergepath_partition_config_static_selectorELNS0_4arch9wavefront6targetE1EEEvSL_
		.amdhsa_group_segment_fixed_size 0
		.amdhsa_private_segment_fixed_size 0
		.amdhsa_kernarg_size 40
		.amdhsa_user_sgpr_count 6
		.amdhsa_user_sgpr_private_segment_buffer 1
		.amdhsa_user_sgpr_dispatch_ptr 0
		.amdhsa_user_sgpr_queue_ptr 0
		.amdhsa_user_sgpr_kernarg_segment_ptr 1
		.amdhsa_user_sgpr_dispatch_id 0
		.amdhsa_user_sgpr_flat_scratch_init 0
		.amdhsa_user_sgpr_kernarg_preload_length 0
		.amdhsa_user_sgpr_kernarg_preload_offset 0
		.amdhsa_user_sgpr_private_segment_size 0
		.amdhsa_uses_dynamic_stack 0
		.amdhsa_system_sgpr_private_segment_wavefront_offset 0
		.amdhsa_system_sgpr_workgroup_id_x 1
		.amdhsa_system_sgpr_workgroup_id_y 0
		.amdhsa_system_sgpr_workgroup_id_z 0
		.amdhsa_system_sgpr_workgroup_info 0
		.amdhsa_system_vgpr_workitem_id 0
		.amdhsa_next_free_vgpr 1
		.amdhsa_next_free_sgpr 0
		.amdhsa_accum_offset 4
		.amdhsa_reserve_vcc 0
		.amdhsa_reserve_flat_scratch 0
		.amdhsa_float_round_mode_32 0
		.amdhsa_float_round_mode_16_64 0
		.amdhsa_float_denorm_mode_32 3
		.amdhsa_float_denorm_mode_16_64 3
		.amdhsa_dx10_clamp 1
		.amdhsa_ieee_mode 1
		.amdhsa_fp16_overflow 0
		.amdhsa_tg_split 0
		.amdhsa_exception_fp_ieee_invalid_op 0
		.amdhsa_exception_fp_denorm_src 0
		.amdhsa_exception_fp_ieee_div_zero 0
		.amdhsa_exception_fp_ieee_overflow 0
		.amdhsa_exception_fp_ieee_underflow 0
		.amdhsa_exception_fp_ieee_inexact 0
		.amdhsa_exception_int_div_zero 0
	.end_amdhsa_kernel
	.section	.text._ZN7rocprim17ROCPRIM_400000_NS6detail17trampoline_kernelINS0_14default_configENS1_38merge_sort_block_merge_config_selectorIyNS0_10empty_typeEEEZZNS1_27merge_sort_block_merge_implIS3_N6thrust23THRUST_200600_302600_NS6detail15normal_iteratorINS9_10device_ptrIyEEEEPS5_jNS1_19radix_merge_compareILb0ELb1EyNS0_19identity_decomposerEEEEE10hipError_tT0_T1_T2_jT3_P12ihipStream_tbPNSt15iterator_traitsISK_E10value_typeEPNSQ_ISL_E10value_typeEPSM_NS1_7vsmem_tEENKUlT_SK_SL_SM_E_clISE_PySF_SF_EESJ_SZ_SK_SL_SM_EUlSZ_E_NS1_11comp_targetILNS1_3genE8ELNS1_11target_archE1030ELNS1_3gpuE2ELNS1_3repE0EEENS1_48merge_mergepath_partition_config_static_selectorELNS0_4arch9wavefront6targetE1EEEvSL_,"axG",@progbits,_ZN7rocprim17ROCPRIM_400000_NS6detail17trampoline_kernelINS0_14default_configENS1_38merge_sort_block_merge_config_selectorIyNS0_10empty_typeEEEZZNS1_27merge_sort_block_merge_implIS3_N6thrust23THRUST_200600_302600_NS6detail15normal_iteratorINS9_10device_ptrIyEEEEPS5_jNS1_19radix_merge_compareILb0ELb1EyNS0_19identity_decomposerEEEEE10hipError_tT0_T1_T2_jT3_P12ihipStream_tbPNSt15iterator_traitsISK_E10value_typeEPNSQ_ISL_E10value_typeEPSM_NS1_7vsmem_tEENKUlT_SK_SL_SM_E_clISE_PySF_SF_EESJ_SZ_SK_SL_SM_EUlSZ_E_NS1_11comp_targetILNS1_3genE8ELNS1_11target_archE1030ELNS1_3gpuE2ELNS1_3repE0EEENS1_48merge_mergepath_partition_config_static_selectorELNS0_4arch9wavefront6targetE1EEEvSL_,comdat
.Lfunc_end820:
	.size	_ZN7rocprim17ROCPRIM_400000_NS6detail17trampoline_kernelINS0_14default_configENS1_38merge_sort_block_merge_config_selectorIyNS0_10empty_typeEEEZZNS1_27merge_sort_block_merge_implIS3_N6thrust23THRUST_200600_302600_NS6detail15normal_iteratorINS9_10device_ptrIyEEEEPS5_jNS1_19radix_merge_compareILb0ELb1EyNS0_19identity_decomposerEEEEE10hipError_tT0_T1_T2_jT3_P12ihipStream_tbPNSt15iterator_traitsISK_E10value_typeEPNSQ_ISL_E10value_typeEPSM_NS1_7vsmem_tEENKUlT_SK_SL_SM_E_clISE_PySF_SF_EESJ_SZ_SK_SL_SM_EUlSZ_E_NS1_11comp_targetILNS1_3genE8ELNS1_11target_archE1030ELNS1_3gpuE2ELNS1_3repE0EEENS1_48merge_mergepath_partition_config_static_selectorELNS0_4arch9wavefront6targetE1EEEvSL_, .Lfunc_end820-_ZN7rocprim17ROCPRIM_400000_NS6detail17trampoline_kernelINS0_14default_configENS1_38merge_sort_block_merge_config_selectorIyNS0_10empty_typeEEEZZNS1_27merge_sort_block_merge_implIS3_N6thrust23THRUST_200600_302600_NS6detail15normal_iteratorINS9_10device_ptrIyEEEEPS5_jNS1_19radix_merge_compareILb0ELb1EyNS0_19identity_decomposerEEEEE10hipError_tT0_T1_T2_jT3_P12ihipStream_tbPNSt15iterator_traitsISK_E10value_typeEPNSQ_ISL_E10value_typeEPSM_NS1_7vsmem_tEENKUlT_SK_SL_SM_E_clISE_PySF_SF_EESJ_SZ_SK_SL_SM_EUlSZ_E_NS1_11comp_targetILNS1_3genE8ELNS1_11target_archE1030ELNS1_3gpuE2ELNS1_3repE0EEENS1_48merge_mergepath_partition_config_static_selectorELNS0_4arch9wavefront6targetE1EEEvSL_
                                        ; -- End function
	.section	.AMDGPU.csdata,"",@progbits
; Kernel info:
; codeLenInByte = 0
; NumSgprs: 4
; NumVgprs: 0
; NumAgprs: 0
; TotalNumVgprs: 0
; ScratchSize: 0
; MemoryBound: 0
; FloatMode: 240
; IeeeMode: 1
; LDSByteSize: 0 bytes/workgroup (compile time only)
; SGPRBlocks: 0
; VGPRBlocks: 0
; NumSGPRsForWavesPerEU: 4
; NumVGPRsForWavesPerEU: 1
; AccumOffset: 4
; Occupancy: 8
; WaveLimiterHint : 0
; COMPUTE_PGM_RSRC2:SCRATCH_EN: 0
; COMPUTE_PGM_RSRC2:USER_SGPR: 6
; COMPUTE_PGM_RSRC2:TRAP_HANDLER: 0
; COMPUTE_PGM_RSRC2:TGID_X_EN: 1
; COMPUTE_PGM_RSRC2:TGID_Y_EN: 0
; COMPUTE_PGM_RSRC2:TGID_Z_EN: 0
; COMPUTE_PGM_RSRC2:TIDIG_COMP_CNT: 0
; COMPUTE_PGM_RSRC3_GFX90A:ACCUM_OFFSET: 0
; COMPUTE_PGM_RSRC3_GFX90A:TG_SPLIT: 0
	.section	.text._ZN7rocprim17ROCPRIM_400000_NS6detail17trampoline_kernelINS0_14default_configENS1_38merge_sort_block_merge_config_selectorIyNS0_10empty_typeEEEZZNS1_27merge_sort_block_merge_implIS3_N6thrust23THRUST_200600_302600_NS6detail15normal_iteratorINS9_10device_ptrIyEEEEPS5_jNS1_19radix_merge_compareILb0ELb1EyNS0_19identity_decomposerEEEEE10hipError_tT0_T1_T2_jT3_P12ihipStream_tbPNSt15iterator_traitsISK_E10value_typeEPNSQ_ISL_E10value_typeEPSM_NS1_7vsmem_tEENKUlT_SK_SL_SM_E_clISE_PySF_SF_EESJ_SZ_SK_SL_SM_EUlSZ_E0_NS1_11comp_targetILNS1_3genE0ELNS1_11target_archE4294967295ELNS1_3gpuE0ELNS1_3repE0EEENS1_38merge_mergepath_config_static_selectorELNS0_4arch9wavefront6targetE1EEEvSL_,"axG",@progbits,_ZN7rocprim17ROCPRIM_400000_NS6detail17trampoline_kernelINS0_14default_configENS1_38merge_sort_block_merge_config_selectorIyNS0_10empty_typeEEEZZNS1_27merge_sort_block_merge_implIS3_N6thrust23THRUST_200600_302600_NS6detail15normal_iteratorINS9_10device_ptrIyEEEEPS5_jNS1_19radix_merge_compareILb0ELb1EyNS0_19identity_decomposerEEEEE10hipError_tT0_T1_T2_jT3_P12ihipStream_tbPNSt15iterator_traitsISK_E10value_typeEPNSQ_ISL_E10value_typeEPSM_NS1_7vsmem_tEENKUlT_SK_SL_SM_E_clISE_PySF_SF_EESJ_SZ_SK_SL_SM_EUlSZ_E0_NS1_11comp_targetILNS1_3genE0ELNS1_11target_archE4294967295ELNS1_3gpuE0ELNS1_3repE0EEENS1_38merge_mergepath_config_static_selectorELNS0_4arch9wavefront6targetE1EEEvSL_,comdat
	.protected	_ZN7rocprim17ROCPRIM_400000_NS6detail17trampoline_kernelINS0_14default_configENS1_38merge_sort_block_merge_config_selectorIyNS0_10empty_typeEEEZZNS1_27merge_sort_block_merge_implIS3_N6thrust23THRUST_200600_302600_NS6detail15normal_iteratorINS9_10device_ptrIyEEEEPS5_jNS1_19radix_merge_compareILb0ELb1EyNS0_19identity_decomposerEEEEE10hipError_tT0_T1_T2_jT3_P12ihipStream_tbPNSt15iterator_traitsISK_E10value_typeEPNSQ_ISL_E10value_typeEPSM_NS1_7vsmem_tEENKUlT_SK_SL_SM_E_clISE_PySF_SF_EESJ_SZ_SK_SL_SM_EUlSZ_E0_NS1_11comp_targetILNS1_3genE0ELNS1_11target_archE4294967295ELNS1_3gpuE0ELNS1_3repE0EEENS1_38merge_mergepath_config_static_selectorELNS0_4arch9wavefront6targetE1EEEvSL_ ; -- Begin function _ZN7rocprim17ROCPRIM_400000_NS6detail17trampoline_kernelINS0_14default_configENS1_38merge_sort_block_merge_config_selectorIyNS0_10empty_typeEEEZZNS1_27merge_sort_block_merge_implIS3_N6thrust23THRUST_200600_302600_NS6detail15normal_iteratorINS9_10device_ptrIyEEEEPS5_jNS1_19radix_merge_compareILb0ELb1EyNS0_19identity_decomposerEEEEE10hipError_tT0_T1_T2_jT3_P12ihipStream_tbPNSt15iterator_traitsISK_E10value_typeEPNSQ_ISL_E10value_typeEPSM_NS1_7vsmem_tEENKUlT_SK_SL_SM_E_clISE_PySF_SF_EESJ_SZ_SK_SL_SM_EUlSZ_E0_NS1_11comp_targetILNS1_3genE0ELNS1_11target_archE4294967295ELNS1_3gpuE0ELNS1_3repE0EEENS1_38merge_mergepath_config_static_selectorELNS0_4arch9wavefront6targetE1EEEvSL_
	.globl	_ZN7rocprim17ROCPRIM_400000_NS6detail17trampoline_kernelINS0_14default_configENS1_38merge_sort_block_merge_config_selectorIyNS0_10empty_typeEEEZZNS1_27merge_sort_block_merge_implIS3_N6thrust23THRUST_200600_302600_NS6detail15normal_iteratorINS9_10device_ptrIyEEEEPS5_jNS1_19radix_merge_compareILb0ELb1EyNS0_19identity_decomposerEEEEE10hipError_tT0_T1_T2_jT3_P12ihipStream_tbPNSt15iterator_traitsISK_E10value_typeEPNSQ_ISL_E10value_typeEPSM_NS1_7vsmem_tEENKUlT_SK_SL_SM_E_clISE_PySF_SF_EESJ_SZ_SK_SL_SM_EUlSZ_E0_NS1_11comp_targetILNS1_3genE0ELNS1_11target_archE4294967295ELNS1_3gpuE0ELNS1_3repE0EEENS1_38merge_mergepath_config_static_selectorELNS0_4arch9wavefront6targetE1EEEvSL_
	.p2align	8
	.type	_ZN7rocprim17ROCPRIM_400000_NS6detail17trampoline_kernelINS0_14default_configENS1_38merge_sort_block_merge_config_selectorIyNS0_10empty_typeEEEZZNS1_27merge_sort_block_merge_implIS3_N6thrust23THRUST_200600_302600_NS6detail15normal_iteratorINS9_10device_ptrIyEEEEPS5_jNS1_19radix_merge_compareILb0ELb1EyNS0_19identity_decomposerEEEEE10hipError_tT0_T1_T2_jT3_P12ihipStream_tbPNSt15iterator_traitsISK_E10value_typeEPNSQ_ISL_E10value_typeEPSM_NS1_7vsmem_tEENKUlT_SK_SL_SM_E_clISE_PySF_SF_EESJ_SZ_SK_SL_SM_EUlSZ_E0_NS1_11comp_targetILNS1_3genE0ELNS1_11target_archE4294967295ELNS1_3gpuE0ELNS1_3repE0EEENS1_38merge_mergepath_config_static_selectorELNS0_4arch9wavefront6targetE1EEEvSL_,@function
_ZN7rocprim17ROCPRIM_400000_NS6detail17trampoline_kernelINS0_14default_configENS1_38merge_sort_block_merge_config_selectorIyNS0_10empty_typeEEEZZNS1_27merge_sort_block_merge_implIS3_N6thrust23THRUST_200600_302600_NS6detail15normal_iteratorINS9_10device_ptrIyEEEEPS5_jNS1_19radix_merge_compareILb0ELb1EyNS0_19identity_decomposerEEEEE10hipError_tT0_T1_T2_jT3_P12ihipStream_tbPNSt15iterator_traitsISK_E10value_typeEPNSQ_ISL_E10value_typeEPSM_NS1_7vsmem_tEENKUlT_SK_SL_SM_E_clISE_PySF_SF_EESJ_SZ_SK_SL_SM_EUlSZ_E0_NS1_11comp_targetILNS1_3genE0ELNS1_11target_archE4294967295ELNS1_3gpuE0ELNS1_3repE0EEENS1_38merge_mergepath_config_static_selectorELNS0_4arch9wavefront6targetE1EEEvSL_: ; @_ZN7rocprim17ROCPRIM_400000_NS6detail17trampoline_kernelINS0_14default_configENS1_38merge_sort_block_merge_config_selectorIyNS0_10empty_typeEEEZZNS1_27merge_sort_block_merge_implIS3_N6thrust23THRUST_200600_302600_NS6detail15normal_iteratorINS9_10device_ptrIyEEEEPS5_jNS1_19radix_merge_compareILb0ELb1EyNS0_19identity_decomposerEEEEE10hipError_tT0_T1_T2_jT3_P12ihipStream_tbPNSt15iterator_traitsISK_E10value_typeEPNSQ_ISL_E10value_typeEPSM_NS1_7vsmem_tEENKUlT_SK_SL_SM_E_clISE_PySF_SF_EESJ_SZ_SK_SL_SM_EUlSZ_E0_NS1_11comp_targetILNS1_3genE0ELNS1_11target_archE4294967295ELNS1_3gpuE0ELNS1_3repE0EEENS1_38merge_mergepath_config_static_selectorELNS0_4arch9wavefront6targetE1EEEvSL_
; %bb.0:
	.section	.rodata,"a",@progbits
	.p2align	6, 0x0
	.amdhsa_kernel _ZN7rocprim17ROCPRIM_400000_NS6detail17trampoline_kernelINS0_14default_configENS1_38merge_sort_block_merge_config_selectorIyNS0_10empty_typeEEEZZNS1_27merge_sort_block_merge_implIS3_N6thrust23THRUST_200600_302600_NS6detail15normal_iteratorINS9_10device_ptrIyEEEEPS5_jNS1_19radix_merge_compareILb0ELb1EyNS0_19identity_decomposerEEEEE10hipError_tT0_T1_T2_jT3_P12ihipStream_tbPNSt15iterator_traitsISK_E10value_typeEPNSQ_ISL_E10value_typeEPSM_NS1_7vsmem_tEENKUlT_SK_SL_SM_E_clISE_PySF_SF_EESJ_SZ_SK_SL_SM_EUlSZ_E0_NS1_11comp_targetILNS1_3genE0ELNS1_11target_archE4294967295ELNS1_3gpuE0ELNS1_3repE0EEENS1_38merge_mergepath_config_static_selectorELNS0_4arch9wavefront6targetE1EEEvSL_
		.amdhsa_group_segment_fixed_size 0
		.amdhsa_private_segment_fixed_size 0
		.amdhsa_kernarg_size 72
		.amdhsa_user_sgpr_count 6
		.amdhsa_user_sgpr_private_segment_buffer 1
		.amdhsa_user_sgpr_dispatch_ptr 0
		.amdhsa_user_sgpr_queue_ptr 0
		.amdhsa_user_sgpr_kernarg_segment_ptr 1
		.amdhsa_user_sgpr_dispatch_id 0
		.amdhsa_user_sgpr_flat_scratch_init 0
		.amdhsa_user_sgpr_kernarg_preload_length 0
		.amdhsa_user_sgpr_kernarg_preload_offset 0
		.amdhsa_user_sgpr_private_segment_size 0
		.amdhsa_uses_dynamic_stack 0
		.amdhsa_system_sgpr_private_segment_wavefront_offset 0
		.amdhsa_system_sgpr_workgroup_id_x 1
		.amdhsa_system_sgpr_workgroup_id_y 0
		.amdhsa_system_sgpr_workgroup_id_z 0
		.amdhsa_system_sgpr_workgroup_info 0
		.amdhsa_system_vgpr_workitem_id 0
		.amdhsa_next_free_vgpr 1
		.amdhsa_next_free_sgpr 0
		.amdhsa_accum_offset 4
		.amdhsa_reserve_vcc 0
		.amdhsa_reserve_flat_scratch 0
		.amdhsa_float_round_mode_32 0
		.amdhsa_float_round_mode_16_64 0
		.amdhsa_float_denorm_mode_32 3
		.amdhsa_float_denorm_mode_16_64 3
		.amdhsa_dx10_clamp 1
		.amdhsa_ieee_mode 1
		.amdhsa_fp16_overflow 0
		.amdhsa_tg_split 0
		.amdhsa_exception_fp_ieee_invalid_op 0
		.amdhsa_exception_fp_denorm_src 0
		.amdhsa_exception_fp_ieee_div_zero 0
		.amdhsa_exception_fp_ieee_overflow 0
		.amdhsa_exception_fp_ieee_underflow 0
		.amdhsa_exception_fp_ieee_inexact 0
		.amdhsa_exception_int_div_zero 0
	.end_amdhsa_kernel
	.section	.text._ZN7rocprim17ROCPRIM_400000_NS6detail17trampoline_kernelINS0_14default_configENS1_38merge_sort_block_merge_config_selectorIyNS0_10empty_typeEEEZZNS1_27merge_sort_block_merge_implIS3_N6thrust23THRUST_200600_302600_NS6detail15normal_iteratorINS9_10device_ptrIyEEEEPS5_jNS1_19radix_merge_compareILb0ELb1EyNS0_19identity_decomposerEEEEE10hipError_tT0_T1_T2_jT3_P12ihipStream_tbPNSt15iterator_traitsISK_E10value_typeEPNSQ_ISL_E10value_typeEPSM_NS1_7vsmem_tEENKUlT_SK_SL_SM_E_clISE_PySF_SF_EESJ_SZ_SK_SL_SM_EUlSZ_E0_NS1_11comp_targetILNS1_3genE0ELNS1_11target_archE4294967295ELNS1_3gpuE0ELNS1_3repE0EEENS1_38merge_mergepath_config_static_selectorELNS0_4arch9wavefront6targetE1EEEvSL_,"axG",@progbits,_ZN7rocprim17ROCPRIM_400000_NS6detail17trampoline_kernelINS0_14default_configENS1_38merge_sort_block_merge_config_selectorIyNS0_10empty_typeEEEZZNS1_27merge_sort_block_merge_implIS3_N6thrust23THRUST_200600_302600_NS6detail15normal_iteratorINS9_10device_ptrIyEEEEPS5_jNS1_19radix_merge_compareILb0ELb1EyNS0_19identity_decomposerEEEEE10hipError_tT0_T1_T2_jT3_P12ihipStream_tbPNSt15iterator_traitsISK_E10value_typeEPNSQ_ISL_E10value_typeEPSM_NS1_7vsmem_tEENKUlT_SK_SL_SM_E_clISE_PySF_SF_EESJ_SZ_SK_SL_SM_EUlSZ_E0_NS1_11comp_targetILNS1_3genE0ELNS1_11target_archE4294967295ELNS1_3gpuE0ELNS1_3repE0EEENS1_38merge_mergepath_config_static_selectorELNS0_4arch9wavefront6targetE1EEEvSL_,comdat
.Lfunc_end821:
	.size	_ZN7rocprim17ROCPRIM_400000_NS6detail17trampoline_kernelINS0_14default_configENS1_38merge_sort_block_merge_config_selectorIyNS0_10empty_typeEEEZZNS1_27merge_sort_block_merge_implIS3_N6thrust23THRUST_200600_302600_NS6detail15normal_iteratorINS9_10device_ptrIyEEEEPS5_jNS1_19radix_merge_compareILb0ELb1EyNS0_19identity_decomposerEEEEE10hipError_tT0_T1_T2_jT3_P12ihipStream_tbPNSt15iterator_traitsISK_E10value_typeEPNSQ_ISL_E10value_typeEPSM_NS1_7vsmem_tEENKUlT_SK_SL_SM_E_clISE_PySF_SF_EESJ_SZ_SK_SL_SM_EUlSZ_E0_NS1_11comp_targetILNS1_3genE0ELNS1_11target_archE4294967295ELNS1_3gpuE0ELNS1_3repE0EEENS1_38merge_mergepath_config_static_selectorELNS0_4arch9wavefront6targetE1EEEvSL_, .Lfunc_end821-_ZN7rocprim17ROCPRIM_400000_NS6detail17trampoline_kernelINS0_14default_configENS1_38merge_sort_block_merge_config_selectorIyNS0_10empty_typeEEEZZNS1_27merge_sort_block_merge_implIS3_N6thrust23THRUST_200600_302600_NS6detail15normal_iteratorINS9_10device_ptrIyEEEEPS5_jNS1_19radix_merge_compareILb0ELb1EyNS0_19identity_decomposerEEEEE10hipError_tT0_T1_T2_jT3_P12ihipStream_tbPNSt15iterator_traitsISK_E10value_typeEPNSQ_ISL_E10value_typeEPSM_NS1_7vsmem_tEENKUlT_SK_SL_SM_E_clISE_PySF_SF_EESJ_SZ_SK_SL_SM_EUlSZ_E0_NS1_11comp_targetILNS1_3genE0ELNS1_11target_archE4294967295ELNS1_3gpuE0ELNS1_3repE0EEENS1_38merge_mergepath_config_static_selectorELNS0_4arch9wavefront6targetE1EEEvSL_
                                        ; -- End function
	.section	.AMDGPU.csdata,"",@progbits
; Kernel info:
; codeLenInByte = 0
; NumSgprs: 4
; NumVgprs: 0
; NumAgprs: 0
; TotalNumVgprs: 0
; ScratchSize: 0
; MemoryBound: 0
; FloatMode: 240
; IeeeMode: 1
; LDSByteSize: 0 bytes/workgroup (compile time only)
; SGPRBlocks: 0
; VGPRBlocks: 0
; NumSGPRsForWavesPerEU: 4
; NumVGPRsForWavesPerEU: 1
; AccumOffset: 4
; Occupancy: 8
; WaveLimiterHint : 0
; COMPUTE_PGM_RSRC2:SCRATCH_EN: 0
; COMPUTE_PGM_RSRC2:USER_SGPR: 6
; COMPUTE_PGM_RSRC2:TRAP_HANDLER: 0
; COMPUTE_PGM_RSRC2:TGID_X_EN: 1
; COMPUTE_PGM_RSRC2:TGID_Y_EN: 0
; COMPUTE_PGM_RSRC2:TGID_Z_EN: 0
; COMPUTE_PGM_RSRC2:TIDIG_COMP_CNT: 0
; COMPUTE_PGM_RSRC3_GFX90A:ACCUM_OFFSET: 0
; COMPUTE_PGM_RSRC3_GFX90A:TG_SPLIT: 0
	.section	.text._ZN7rocprim17ROCPRIM_400000_NS6detail17trampoline_kernelINS0_14default_configENS1_38merge_sort_block_merge_config_selectorIyNS0_10empty_typeEEEZZNS1_27merge_sort_block_merge_implIS3_N6thrust23THRUST_200600_302600_NS6detail15normal_iteratorINS9_10device_ptrIyEEEEPS5_jNS1_19radix_merge_compareILb0ELb1EyNS0_19identity_decomposerEEEEE10hipError_tT0_T1_T2_jT3_P12ihipStream_tbPNSt15iterator_traitsISK_E10value_typeEPNSQ_ISL_E10value_typeEPSM_NS1_7vsmem_tEENKUlT_SK_SL_SM_E_clISE_PySF_SF_EESJ_SZ_SK_SL_SM_EUlSZ_E0_NS1_11comp_targetILNS1_3genE10ELNS1_11target_archE1201ELNS1_3gpuE5ELNS1_3repE0EEENS1_38merge_mergepath_config_static_selectorELNS0_4arch9wavefront6targetE1EEEvSL_,"axG",@progbits,_ZN7rocprim17ROCPRIM_400000_NS6detail17trampoline_kernelINS0_14default_configENS1_38merge_sort_block_merge_config_selectorIyNS0_10empty_typeEEEZZNS1_27merge_sort_block_merge_implIS3_N6thrust23THRUST_200600_302600_NS6detail15normal_iteratorINS9_10device_ptrIyEEEEPS5_jNS1_19radix_merge_compareILb0ELb1EyNS0_19identity_decomposerEEEEE10hipError_tT0_T1_T2_jT3_P12ihipStream_tbPNSt15iterator_traitsISK_E10value_typeEPNSQ_ISL_E10value_typeEPSM_NS1_7vsmem_tEENKUlT_SK_SL_SM_E_clISE_PySF_SF_EESJ_SZ_SK_SL_SM_EUlSZ_E0_NS1_11comp_targetILNS1_3genE10ELNS1_11target_archE1201ELNS1_3gpuE5ELNS1_3repE0EEENS1_38merge_mergepath_config_static_selectorELNS0_4arch9wavefront6targetE1EEEvSL_,comdat
	.protected	_ZN7rocprim17ROCPRIM_400000_NS6detail17trampoline_kernelINS0_14default_configENS1_38merge_sort_block_merge_config_selectorIyNS0_10empty_typeEEEZZNS1_27merge_sort_block_merge_implIS3_N6thrust23THRUST_200600_302600_NS6detail15normal_iteratorINS9_10device_ptrIyEEEEPS5_jNS1_19radix_merge_compareILb0ELb1EyNS0_19identity_decomposerEEEEE10hipError_tT0_T1_T2_jT3_P12ihipStream_tbPNSt15iterator_traitsISK_E10value_typeEPNSQ_ISL_E10value_typeEPSM_NS1_7vsmem_tEENKUlT_SK_SL_SM_E_clISE_PySF_SF_EESJ_SZ_SK_SL_SM_EUlSZ_E0_NS1_11comp_targetILNS1_3genE10ELNS1_11target_archE1201ELNS1_3gpuE5ELNS1_3repE0EEENS1_38merge_mergepath_config_static_selectorELNS0_4arch9wavefront6targetE1EEEvSL_ ; -- Begin function _ZN7rocprim17ROCPRIM_400000_NS6detail17trampoline_kernelINS0_14default_configENS1_38merge_sort_block_merge_config_selectorIyNS0_10empty_typeEEEZZNS1_27merge_sort_block_merge_implIS3_N6thrust23THRUST_200600_302600_NS6detail15normal_iteratorINS9_10device_ptrIyEEEEPS5_jNS1_19radix_merge_compareILb0ELb1EyNS0_19identity_decomposerEEEEE10hipError_tT0_T1_T2_jT3_P12ihipStream_tbPNSt15iterator_traitsISK_E10value_typeEPNSQ_ISL_E10value_typeEPSM_NS1_7vsmem_tEENKUlT_SK_SL_SM_E_clISE_PySF_SF_EESJ_SZ_SK_SL_SM_EUlSZ_E0_NS1_11comp_targetILNS1_3genE10ELNS1_11target_archE1201ELNS1_3gpuE5ELNS1_3repE0EEENS1_38merge_mergepath_config_static_selectorELNS0_4arch9wavefront6targetE1EEEvSL_
	.globl	_ZN7rocprim17ROCPRIM_400000_NS6detail17trampoline_kernelINS0_14default_configENS1_38merge_sort_block_merge_config_selectorIyNS0_10empty_typeEEEZZNS1_27merge_sort_block_merge_implIS3_N6thrust23THRUST_200600_302600_NS6detail15normal_iteratorINS9_10device_ptrIyEEEEPS5_jNS1_19radix_merge_compareILb0ELb1EyNS0_19identity_decomposerEEEEE10hipError_tT0_T1_T2_jT3_P12ihipStream_tbPNSt15iterator_traitsISK_E10value_typeEPNSQ_ISL_E10value_typeEPSM_NS1_7vsmem_tEENKUlT_SK_SL_SM_E_clISE_PySF_SF_EESJ_SZ_SK_SL_SM_EUlSZ_E0_NS1_11comp_targetILNS1_3genE10ELNS1_11target_archE1201ELNS1_3gpuE5ELNS1_3repE0EEENS1_38merge_mergepath_config_static_selectorELNS0_4arch9wavefront6targetE1EEEvSL_
	.p2align	8
	.type	_ZN7rocprim17ROCPRIM_400000_NS6detail17trampoline_kernelINS0_14default_configENS1_38merge_sort_block_merge_config_selectorIyNS0_10empty_typeEEEZZNS1_27merge_sort_block_merge_implIS3_N6thrust23THRUST_200600_302600_NS6detail15normal_iteratorINS9_10device_ptrIyEEEEPS5_jNS1_19radix_merge_compareILb0ELb1EyNS0_19identity_decomposerEEEEE10hipError_tT0_T1_T2_jT3_P12ihipStream_tbPNSt15iterator_traitsISK_E10value_typeEPNSQ_ISL_E10value_typeEPSM_NS1_7vsmem_tEENKUlT_SK_SL_SM_E_clISE_PySF_SF_EESJ_SZ_SK_SL_SM_EUlSZ_E0_NS1_11comp_targetILNS1_3genE10ELNS1_11target_archE1201ELNS1_3gpuE5ELNS1_3repE0EEENS1_38merge_mergepath_config_static_selectorELNS0_4arch9wavefront6targetE1EEEvSL_,@function
_ZN7rocprim17ROCPRIM_400000_NS6detail17trampoline_kernelINS0_14default_configENS1_38merge_sort_block_merge_config_selectorIyNS0_10empty_typeEEEZZNS1_27merge_sort_block_merge_implIS3_N6thrust23THRUST_200600_302600_NS6detail15normal_iteratorINS9_10device_ptrIyEEEEPS5_jNS1_19radix_merge_compareILb0ELb1EyNS0_19identity_decomposerEEEEE10hipError_tT0_T1_T2_jT3_P12ihipStream_tbPNSt15iterator_traitsISK_E10value_typeEPNSQ_ISL_E10value_typeEPSM_NS1_7vsmem_tEENKUlT_SK_SL_SM_E_clISE_PySF_SF_EESJ_SZ_SK_SL_SM_EUlSZ_E0_NS1_11comp_targetILNS1_3genE10ELNS1_11target_archE1201ELNS1_3gpuE5ELNS1_3repE0EEENS1_38merge_mergepath_config_static_selectorELNS0_4arch9wavefront6targetE1EEEvSL_: ; @_ZN7rocprim17ROCPRIM_400000_NS6detail17trampoline_kernelINS0_14default_configENS1_38merge_sort_block_merge_config_selectorIyNS0_10empty_typeEEEZZNS1_27merge_sort_block_merge_implIS3_N6thrust23THRUST_200600_302600_NS6detail15normal_iteratorINS9_10device_ptrIyEEEEPS5_jNS1_19radix_merge_compareILb0ELb1EyNS0_19identity_decomposerEEEEE10hipError_tT0_T1_T2_jT3_P12ihipStream_tbPNSt15iterator_traitsISK_E10value_typeEPNSQ_ISL_E10value_typeEPSM_NS1_7vsmem_tEENKUlT_SK_SL_SM_E_clISE_PySF_SF_EESJ_SZ_SK_SL_SM_EUlSZ_E0_NS1_11comp_targetILNS1_3genE10ELNS1_11target_archE1201ELNS1_3gpuE5ELNS1_3repE0EEENS1_38merge_mergepath_config_static_selectorELNS0_4arch9wavefront6targetE1EEEvSL_
; %bb.0:
	.section	.rodata,"a",@progbits
	.p2align	6, 0x0
	.amdhsa_kernel _ZN7rocprim17ROCPRIM_400000_NS6detail17trampoline_kernelINS0_14default_configENS1_38merge_sort_block_merge_config_selectorIyNS0_10empty_typeEEEZZNS1_27merge_sort_block_merge_implIS3_N6thrust23THRUST_200600_302600_NS6detail15normal_iteratorINS9_10device_ptrIyEEEEPS5_jNS1_19radix_merge_compareILb0ELb1EyNS0_19identity_decomposerEEEEE10hipError_tT0_T1_T2_jT3_P12ihipStream_tbPNSt15iterator_traitsISK_E10value_typeEPNSQ_ISL_E10value_typeEPSM_NS1_7vsmem_tEENKUlT_SK_SL_SM_E_clISE_PySF_SF_EESJ_SZ_SK_SL_SM_EUlSZ_E0_NS1_11comp_targetILNS1_3genE10ELNS1_11target_archE1201ELNS1_3gpuE5ELNS1_3repE0EEENS1_38merge_mergepath_config_static_selectorELNS0_4arch9wavefront6targetE1EEEvSL_
		.amdhsa_group_segment_fixed_size 0
		.amdhsa_private_segment_fixed_size 0
		.amdhsa_kernarg_size 72
		.amdhsa_user_sgpr_count 6
		.amdhsa_user_sgpr_private_segment_buffer 1
		.amdhsa_user_sgpr_dispatch_ptr 0
		.amdhsa_user_sgpr_queue_ptr 0
		.amdhsa_user_sgpr_kernarg_segment_ptr 1
		.amdhsa_user_sgpr_dispatch_id 0
		.amdhsa_user_sgpr_flat_scratch_init 0
		.amdhsa_user_sgpr_kernarg_preload_length 0
		.amdhsa_user_sgpr_kernarg_preload_offset 0
		.amdhsa_user_sgpr_private_segment_size 0
		.amdhsa_uses_dynamic_stack 0
		.amdhsa_system_sgpr_private_segment_wavefront_offset 0
		.amdhsa_system_sgpr_workgroup_id_x 1
		.amdhsa_system_sgpr_workgroup_id_y 0
		.amdhsa_system_sgpr_workgroup_id_z 0
		.amdhsa_system_sgpr_workgroup_info 0
		.amdhsa_system_vgpr_workitem_id 0
		.amdhsa_next_free_vgpr 1
		.amdhsa_next_free_sgpr 0
		.amdhsa_accum_offset 4
		.amdhsa_reserve_vcc 0
		.amdhsa_reserve_flat_scratch 0
		.amdhsa_float_round_mode_32 0
		.amdhsa_float_round_mode_16_64 0
		.amdhsa_float_denorm_mode_32 3
		.amdhsa_float_denorm_mode_16_64 3
		.amdhsa_dx10_clamp 1
		.amdhsa_ieee_mode 1
		.amdhsa_fp16_overflow 0
		.amdhsa_tg_split 0
		.amdhsa_exception_fp_ieee_invalid_op 0
		.amdhsa_exception_fp_denorm_src 0
		.amdhsa_exception_fp_ieee_div_zero 0
		.amdhsa_exception_fp_ieee_overflow 0
		.amdhsa_exception_fp_ieee_underflow 0
		.amdhsa_exception_fp_ieee_inexact 0
		.amdhsa_exception_int_div_zero 0
	.end_amdhsa_kernel
	.section	.text._ZN7rocprim17ROCPRIM_400000_NS6detail17trampoline_kernelINS0_14default_configENS1_38merge_sort_block_merge_config_selectorIyNS0_10empty_typeEEEZZNS1_27merge_sort_block_merge_implIS3_N6thrust23THRUST_200600_302600_NS6detail15normal_iteratorINS9_10device_ptrIyEEEEPS5_jNS1_19radix_merge_compareILb0ELb1EyNS0_19identity_decomposerEEEEE10hipError_tT0_T1_T2_jT3_P12ihipStream_tbPNSt15iterator_traitsISK_E10value_typeEPNSQ_ISL_E10value_typeEPSM_NS1_7vsmem_tEENKUlT_SK_SL_SM_E_clISE_PySF_SF_EESJ_SZ_SK_SL_SM_EUlSZ_E0_NS1_11comp_targetILNS1_3genE10ELNS1_11target_archE1201ELNS1_3gpuE5ELNS1_3repE0EEENS1_38merge_mergepath_config_static_selectorELNS0_4arch9wavefront6targetE1EEEvSL_,"axG",@progbits,_ZN7rocprim17ROCPRIM_400000_NS6detail17trampoline_kernelINS0_14default_configENS1_38merge_sort_block_merge_config_selectorIyNS0_10empty_typeEEEZZNS1_27merge_sort_block_merge_implIS3_N6thrust23THRUST_200600_302600_NS6detail15normal_iteratorINS9_10device_ptrIyEEEEPS5_jNS1_19radix_merge_compareILb0ELb1EyNS0_19identity_decomposerEEEEE10hipError_tT0_T1_T2_jT3_P12ihipStream_tbPNSt15iterator_traitsISK_E10value_typeEPNSQ_ISL_E10value_typeEPSM_NS1_7vsmem_tEENKUlT_SK_SL_SM_E_clISE_PySF_SF_EESJ_SZ_SK_SL_SM_EUlSZ_E0_NS1_11comp_targetILNS1_3genE10ELNS1_11target_archE1201ELNS1_3gpuE5ELNS1_3repE0EEENS1_38merge_mergepath_config_static_selectorELNS0_4arch9wavefront6targetE1EEEvSL_,comdat
.Lfunc_end822:
	.size	_ZN7rocprim17ROCPRIM_400000_NS6detail17trampoline_kernelINS0_14default_configENS1_38merge_sort_block_merge_config_selectorIyNS0_10empty_typeEEEZZNS1_27merge_sort_block_merge_implIS3_N6thrust23THRUST_200600_302600_NS6detail15normal_iteratorINS9_10device_ptrIyEEEEPS5_jNS1_19radix_merge_compareILb0ELb1EyNS0_19identity_decomposerEEEEE10hipError_tT0_T1_T2_jT3_P12ihipStream_tbPNSt15iterator_traitsISK_E10value_typeEPNSQ_ISL_E10value_typeEPSM_NS1_7vsmem_tEENKUlT_SK_SL_SM_E_clISE_PySF_SF_EESJ_SZ_SK_SL_SM_EUlSZ_E0_NS1_11comp_targetILNS1_3genE10ELNS1_11target_archE1201ELNS1_3gpuE5ELNS1_3repE0EEENS1_38merge_mergepath_config_static_selectorELNS0_4arch9wavefront6targetE1EEEvSL_, .Lfunc_end822-_ZN7rocprim17ROCPRIM_400000_NS6detail17trampoline_kernelINS0_14default_configENS1_38merge_sort_block_merge_config_selectorIyNS0_10empty_typeEEEZZNS1_27merge_sort_block_merge_implIS3_N6thrust23THRUST_200600_302600_NS6detail15normal_iteratorINS9_10device_ptrIyEEEEPS5_jNS1_19radix_merge_compareILb0ELb1EyNS0_19identity_decomposerEEEEE10hipError_tT0_T1_T2_jT3_P12ihipStream_tbPNSt15iterator_traitsISK_E10value_typeEPNSQ_ISL_E10value_typeEPSM_NS1_7vsmem_tEENKUlT_SK_SL_SM_E_clISE_PySF_SF_EESJ_SZ_SK_SL_SM_EUlSZ_E0_NS1_11comp_targetILNS1_3genE10ELNS1_11target_archE1201ELNS1_3gpuE5ELNS1_3repE0EEENS1_38merge_mergepath_config_static_selectorELNS0_4arch9wavefront6targetE1EEEvSL_
                                        ; -- End function
	.section	.AMDGPU.csdata,"",@progbits
; Kernel info:
; codeLenInByte = 0
; NumSgprs: 4
; NumVgprs: 0
; NumAgprs: 0
; TotalNumVgprs: 0
; ScratchSize: 0
; MemoryBound: 0
; FloatMode: 240
; IeeeMode: 1
; LDSByteSize: 0 bytes/workgroup (compile time only)
; SGPRBlocks: 0
; VGPRBlocks: 0
; NumSGPRsForWavesPerEU: 4
; NumVGPRsForWavesPerEU: 1
; AccumOffset: 4
; Occupancy: 8
; WaveLimiterHint : 0
; COMPUTE_PGM_RSRC2:SCRATCH_EN: 0
; COMPUTE_PGM_RSRC2:USER_SGPR: 6
; COMPUTE_PGM_RSRC2:TRAP_HANDLER: 0
; COMPUTE_PGM_RSRC2:TGID_X_EN: 1
; COMPUTE_PGM_RSRC2:TGID_Y_EN: 0
; COMPUTE_PGM_RSRC2:TGID_Z_EN: 0
; COMPUTE_PGM_RSRC2:TIDIG_COMP_CNT: 0
; COMPUTE_PGM_RSRC3_GFX90A:ACCUM_OFFSET: 0
; COMPUTE_PGM_RSRC3_GFX90A:TG_SPLIT: 0
	.section	.text._ZN7rocprim17ROCPRIM_400000_NS6detail17trampoline_kernelINS0_14default_configENS1_38merge_sort_block_merge_config_selectorIyNS0_10empty_typeEEEZZNS1_27merge_sort_block_merge_implIS3_N6thrust23THRUST_200600_302600_NS6detail15normal_iteratorINS9_10device_ptrIyEEEEPS5_jNS1_19radix_merge_compareILb0ELb1EyNS0_19identity_decomposerEEEEE10hipError_tT0_T1_T2_jT3_P12ihipStream_tbPNSt15iterator_traitsISK_E10value_typeEPNSQ_ISL_E10value_typeEPSM_NS1_7vsmem_tEENKUlT_SK_SL_SM_E_clISE_PySF_SF_EESJ_SZ_SK_SL_SM_EUlSZ_E0_NS1_11comp_targetILNS1_3genE5ELNS1_11target_archE942ELNS1_3gpuE9ELNS1_3repE0EEENS1_38merge_mergepath_config_static_selectorELNS0_4arch9wavefront6targetE1EEEvSL_,"axG",@progbits,_ZN7rocprim17ROCPRIM_400000_NS6detail17trampoline_kernelINS0_14default_configENS1_38merge_sort_block_merge_config_selectorIyNS0_10empty_typeEEEZZNS1_27merge_sort_block_merge_implIS3_N6thrust23THRUST_200600_302600_NS6detail15normal_iteratorINS9_10device_ptrIyEEEEPS5_jNS1_19radix_merge_compareILb0ELb1EyNS0_19identity_decomposerEEEEE10hipError_tT0_T1_T2_jT3_P12ihipStream_tbPNSt15iterator_traitsISK_E10value_typeEPNSQ_ISL_E10value_typeEPSM_NS1_7vsmem_tEENKUlT_SK_SL_SM_E_clISE_PySF_SF_EESJ_SZ_SK_SL_SM_EUlSZ_E0_NS1_11comp_targetILNS1_3genE5ELNS1_11target_archE942ELNS1_3gpuE9ELNS1_3repE0EEENS1_38merge_mergepath_config_static_selectorELNS0_4arch9wavefront6targetE1EEEvSL_,comdat
	.protected	_ZN7rocprim17ROCPRIM_400000_NS6detail17trampoline_kernelINS0_14default_configENS1_38merge_sort_block_merge_config_selectorIyNS0_10empty_typeEEEZZNS1_27merge_sort_block_merge_implIS3_N6thrust23THRUST_200600_302600_NS6detail15normal_iteratorINS9_10device_ptrIyEEEEPS5_jNS1_19radix_merge_compareILb0ELb1EyNS0_19identity_decomposerEEEEE10hipError_tT0_T1_T2_jT3_P12ihipStream_tbPNSt15iterator_traitsISK_E10value_typeEPNSQ_ISL_E10value_typeEPSM_NS1_7vsmem_tEENKUlT_SK_SL_SM_E_clISE_PySF_SF_EESJ_SZ_SK_SL_SM_EUlSZ_E0_NS1_11comp_targetILNS1_3genE5ELNS1_11target_archE942ELNS1_3gpuE9ELNS1_3repE0EEENS1_38merge_mergepath_config_static_selectorELNS0_4arch9wavefront6targetE1EEEvSL_ ; -- Begin function _ZN7rocprim17ROCPRIM_400000_NS6detail17trampoline_kernelINS0_14default_configENS1_38merge_sort_block_merge_config_selectorIyNS0_10empty_typeEEEZZNS1_27merge_sort_block_merge_implIS3_N6thrust23THRUST_200600_302600_NS6detail15normal_iteratorINS9_10device_ptrIyEEEEPS5_jNS1_19radix_merge_compareILb0ELb1EyNS0_19identity_decomposerEEEEE10hipError_tT0_T1_T2_jT3_P12ihipStream_tbPNSt15iterator_traitsISK_E10value_typeEPNSQ_ISL_E10value_typeEPSM_NS1_7vsmem_tEENKUlT_SK_SL_SM_E_clISE_PySF_SF_EESJ_SZ_SK_SL_SM_EUlSZ_E0_NS1_11comp_targetILNS1_3genE5ELNS1_11target_archE942ELNS1_3gpuE9ELNS1_3repE0EEENS1_38merge_mergepath_config_static_selectorELNS0_4arch9wavefront6targetE1EEEvSL_
	.globl	_ZN7rocprim17ROCPRIM_400000_NS6detail17trampoline_kernelINS0_14default_configENS1_38merge_sort_block_merge_config_selectorIyNS0_10empty_typeEEEZZNS1_27merge_sort_block_merge_implIS3_N6thrust23THRUST_200600_302600_NS6detail15normal_iteratorINS9_10device_ptrIyEEEEPS5_jNS1_19radix_merge_compareILb0ELb1EyNS0_19identity_decomposerEEEEE10hipError_tT0_T1_T2_jT3_P12ihipStream_tbPNSt15iterator_traitsISK_E10value_typeEPNSQ_ISL_E10value_typeEPSM_NS1_7vsmem_tEENKUlT_SK_SL_SM_E_clISE_PySF_SF_EESJ_SZ_SK_SL_SM_EUlSZ_E0_NS1_11comp_targetILNS1_3genE5ELNS1_11target_archE942ELNS1_3gpuE9ELNS1_3repE0EEENS1_38merge_mergepath_config_static_selectorELNS0_4arch9wavefront6targetE1EEEvSL_
	.p2align	8
	.type	_ZN7rocprim17ROCPRIM_400000_NS6detail17trampoline_kernelINS0_14default_configENS1_38merge_sort_block_merge_config_selectorIyNS0_10empty_typeEEEZZNS1_27merge_sort_block_merge_implIS3_N6thrust23THRUST_200600_302600_NS6detail15normal_iteratorINS9_10device_ptrIyEEEEPS5_jNS1_19radix_merge_compareILb0ELb1EyNS0_19identity_decomposerEEEEE10hipError_tT0_T1_T2_jT3_P12ihipStream_tbPNSt15iterator_traitsISK_E10value_typeEPNSQ_ISL_E10value_typeEPSM_NS1_7vsmem_tEENKUlT_SK_SL_SM_E_clISE_PySF_SF_EESJ_SZ_SK_SL_SM_EUlSZ_E0_NS1_11comp_targetILNS1_3genE5ELNS1_11target_archE942ELNS1_3gpuE9ELNS1_3repE0EEENS1_38merge_mergepath_config_static_selectorELNS0_4arch9wavefront6targetE1EEEvSL_,@function
_ZN7rocprim17ROCPRIM_400000_NS6detail17trampoline_kernelINS0_14default_configENS1_38merge_sort_block_merge_config_selectorIyNS0_10empty_typeEEEZZNS1_27merge_sort_block_merge_implIS3_N6thrust23THRUST_200600_302600_NS6detail15normal_iteratorINS9_10device_ptrIyEEEEPS5_jNS1_19radix_merge_compareILb0ELb1EyNS0_19identity_decomposerEEEEE10hipError_tT0_T1_T2_jT3_P12ihipStream_tbPNSt15iterator_traitsISK_E10value_typeEPNSQ_ISL_E10value_typeEPSM_NS1_7vsmem_tEENKUlT_SK_SL_SM_E_clISE_PySF_SF_EESJ_SZ_SK_SL_SM_EUlSZ_E0_NS1_11comp_targetILNS1_3genE5ELNS1_11target_archE942ELNS1_3gpuE9ELNS1_3repE0EEENS1_38merge_mergepath_config_static_selectorELNS0_4arch9wavefront6targetE1EEEvSL_: ; @_ZN7rocprim17ROCPRIM_400000_NS6detail17trampoline_kernelINS0_14default_configENS1_38merge_sort_block_merge_config_selectorIyNS0_10empty_typeEEEZZNS1_27merge_sort_block_merge_implIS3_N6thrust23THRUST_200600_302600_NS6detail15normal_iteratorINS9_10device_ptrIyEEEEPS5_jNS1_19radix_merge_compareILb0ELb1EyNS0_19identity_decomposerEEEEE10hipError_tT0_T1_T2_jT3_P12ihipStream_tbPNSt15iterator_traitsISK_E10value_typeEPNSQ_ISL_E10value_typeEPSM_NS1_7vsmem_tEENKUlT_SK_SL_SM_E_clISE_PySF_SF_EESJ_SZ_SK_SL_SM_EUlSZ_E0_NS1_11comp_targetILNS1_3genE5ELNS1_11target_archE942ELNS1_3gpuE9ELNS1_3repE0EEENS1_38merge_mergepath_config_static_selectorELNS0_4arch9wavefront6targetE1EEEvSL_
; %bb.0:
	.section	.rodata,"a",@progbits
	.p2align	6, 0x0
	.amdhsa_kernel _ZN7rocprim17ROCPRIM_400000_NS6detail17trampoline_kernelINS0_14default_configENS1_38merge_sort_block_merge_config_selectorIyNS0_10empty_typeEEEZZNS1_27merge_sort_block_merge_implIS3_N6thrust23THRUST_200600_302600_NS6detail15normal_iteratorINS9_10device_ptrIyEEEEPS5_jNS1_19radix_merge_compareILb0ELb1EyNS0_19identity_decomposerEEEEE10hipError_tT0_T1_T2_jT3_P12ihipStream_tbPNSt15iterator_traitsISK_E10value_typeEPNSQ_ISL_E10value_typeEPSM_NS1_7vsmem_tEENKUlT_SK_SL_SM_E_clISE_PySF_SF_EESJ_SZ_SK_SL_SM_EUlSZ_E0_NS1_11comp_targetILNS1_3genE5ELNS1_11target_archE942ELNS1_3gpuE9ELNS1_3repE0EEENS1_38merge_mergepath_config_static_selectorELNS0_4arch9wavefront6targetE1EEEvSL_
		.amdhsa_group_segment_fixed_size 0
		.amdhsa_private_segment_fixed_size 0
		.amdhsa_kernarg_size 72
		.amdhsa_user_sgpr_count 6
		.amdhsa_user_sgpr_private_segment_buffer 1
		.amdhsa_user_sgpr_dispatch_ptr 0
		.amdhsa_user_sgpr_queue_ptr 0
		.amdhsa_user_sgpr_kernarg_segment_ptr 1
		.amdhsa_user_sgpr_dispatch_id 0
		.amdhsa_user_sgpr_flat_scratch_init 0
		.amdhsa_user_sgpr_kernarg_preload_length 0
		.amdhsa_user_sgpr_kernarg_preload_offset 0
		.amdhsa_user_sgpr_private_segment_size 0
		.amdhsa_uses_dynamic_stack 0
		.amdhsa_system_sgpr_private_segment_wavefront_offset 0
		.amdhsa_system_sgpr_workgroup_id_x 1
		.amdhsa_system_sgpr_workgroup_id_y 0
		.amdhsa_system_sgpr_workgroup_id_z 0
		.amdhsa_system_sgpr_workgroup_info 0
		.amdhsa_system_vgpr_workitem_id 0
		.amdhsa_next_free_vgpr 1
		.amdhsa_next_free_sgpr 0
		.amdhsa_accum_offset 4
		.amdhsa_reserve_vcc 0
		.amdhsa_reserve_flat_scratch 0
		.amdhsa_float_round_mode_32 0
		.amdhsa_float_round_mode_16_64 0
		.amdhsa_float_denorm_mode_32 3
		.amdhsa_float_denorm_mode_16_64 3
		.amdhsa_dx10_clamp 1
		.amdhsa_ieee_mode 1
		.amdhsa_fp16_overflow 0
		.amdhsa_tg_split 0
		.amdhsa_exception_fp_ieee_invalid_op 0
		.amdhsa_exception_fp_denorm_src 0
		.amdhsa_exception_fp_ieee_div_zero 0
		.amdhsa_exception_fp_ieee_overflow 0
		.amdhsa_exception_fp_ieee_underflow 0
		.amdhsa_exception_fp_ieee_inexact 0
		.amdhsa_exception_int_div_zero 0
	.end_amdhsa_kernel
	.section	.text._ZN7rocprim17ROCPRIM_400000_NS6detail17trampoline_kernelINS0_14default_configENS1_38merge_sort_block_merge_config_selectorIyNS0_10empty_typeEEEZZNS1_27merge_sort_block_merge_implIS3_N6thrust23THRUST_200600_302600_NS6detail15normal_iteratorINS9_10device_ptrIyEEEEPS5_jNS1_19radix_merge_compareILb0ELb1EyNS0_19identity_decomposerEEEEE10hipError_tT0_T1_T2_jT3_P12ihipStream_tbPNSt15iterator_traitsISK_E10value_typeEPNSQ_ISL_E10value_typeEPSM_NS1_7vsmem_tEENKUlT_SK_SL_SM_E_clISE_PySF_SF_EESJ_SZ_SK_SL_SM_EUlSZ_E0_NS1_11comp_targetILNS1_3genE5ELNS1_11target_archE942ELNS1_3gpuE9ELNS1_3repE0EEENS1_38merge_mergepath_config_static_selectorELNS0_4arch9wavefront6targetE1EEEvSL_,"axG",@progbits,_ZN7rocprim17ROCPRIM_400000_NS6detail17trampoline_kernelINS0_14default_configENS1_38merge_sort_block_merge_config_selectorIyNS0_10empty_typeEEEZZNS1_27merge_sort_block_merge_implIS3_N6thrust23THRUST_200600_302600_NS6detail15normal_iteratorINS9_10device_ptrIyEEEEPS5_jNS1_19radix_merge_compareILb0ELb1EyNS0_19identity_decomposerEEEEE10hipError_tT0_T1_T2_jT3_P12ihipStream_tbPNSt15iterator_traitsISK_E10value_typeEPNSQ_ISL_E10value_typeEPSM_NS1_7vsmem_tEENKUlT_SK_SL_SM_E_clISE_PySF_SF_EESJ_SZ_SK_SL_SM_EUlSZ_E0_NS1_11comp_targetILNS1_3genE5ELNS1_11target_archE942ELNS1_3gpuE9ELNS1_3repE0EEENS1_38merge_mergepath_config_static_selectorELNS0_4arch9wavefront6targetE1EEEvSL_,comdat
.Lfunc_end823:
	.size	_ZN7rocprim17ROCPRIM_400000_NS6detail17trampoline_kernelINS0_14default_configENS1_38merge_sort_block_merge_config_selectorIyNS0_10empty_typeEEEZZNS1_27merge_sort_block_merge_implIS3_N6thrust23THRUST_200600_302600_NS6detail15normal_iteratorINS9_10device_ptrIyEEEEPS5_jNS1_19radix_merge_compareILb0ELb1EyNS0_19identity_decomposerEEEEE10hipError_tT0_T1_T2_jT3_P12ihipStream_tbPNSt15iterator_traitsISK_E10value_typeEPNSQ_ISL_E10value_typeEPSM_NS1_7vsmem_tEENKUlT_SK_SL_SM_E_clISE_PySF_SF_EESJ_SZ_SK_SL_SM_EUlSZ_E0_NS1_11comp_targetILNS1_3genE5ELNS1_11target_archE942ELNS1_3gpuE9ELNS1_3repE0EEENS1_38merge_mergepath_config_static_selectorELNS0_4arch9wavefront6targetE1EEEvSL_, .Lfunc_end823-_ZN7rocprim17ROCPRIM_400000_NS6detail17trampoline_kernelINS0_14default_configENS1_38merge_sort_block_merge_config_selectorIyNS0_10empty_typeEEEZZNS1_27merge_sort_block_merge_implIS3_N6thrust23THRUST_200600_302600_NS6detail15normal_iteratorINS9_10device_ptrIyEEEEPS5_jNS1_19radix_merge_compareILb0ELb1EyNS0_19identity_decomposerEEEEE10hipError_tT0_T1_T2_jT3_P12ihipStream_tbPNSt15iterator_traitsISK_E10value_typeEPNSQ_ISL_E10value_typeEPSM_NS1_7vsmem_tEENKUlT_SK_SL_SM_E_clISE_PySF_SF_EESJ_SZ_SK_SL_SM_EUlSZ_E0_NS1_11comp_targetILNS1_3genE5ELNS1_11target_archE942ELNS1_3gpuE9ELNS1_3repE0EEENS1_38merge_mergepath_config_static_selectorELNS0_4arch9wavefront6targetE1EEEvSL_
                                        ; -- End function
	.section	.AMDGPU.csdata,"",@progbits
; Kernel info:
; codeLenInByte = 0
; NumSgprs: 4
; NumVgprs: 0
; NumAgprs: 0
; TotalNumVgprs: 0
; ScratchSize: 0
; MemoryBound: 0
; FloatMode: 240
; IeeeMode: 1
; LDSByteSize: 0 bytes/workgroup (compile time only)
; SGPRBlocks: 0
; VGPRBlocks: 0
; NumSGPRsForWavesPerEU: 4
; NumVGPRsForWavesPerEU: 1
; AccumOffset: 4
; Occupancy: 8
; WaveLimiterHint : 0
; COMPUTE_PGM_RSRC2:SCRATCH_EN: 0
; COMPUTE_PGM_RSRC2:USER_SGPR: 6
; COMPUTE_PGM_RSRC2:TRAP_HANDLER: 0
; COMPUTE_PGM_RSRC2:TGID_X_EN: 1
; COMPUTE_PGM_RSRC2:TGID_Y_EN: 0
; COMPUTE_PGM_RSRC2:TGID_Z_EN: 0
; COMPUTE_PGM_RSRC2:TIDIG_COMP_CNT: 0
; COMPUTE_PGM_RSRC3_GFX90A:ACCUM_OFFSET: 0
; COMPUTE_PGM_RSRC3_GFX90A:TG_SPLIT: 0
	.section	.text._ZN7rocprim17ROCPRIM_400000_NS6detail17trampoline_kernelINS0_14default_configENS1_38merge_sort_block_merge_config_selectorIyNS0_10empty_typeEEEZZNS1_27merge_sort_block_merge_implIS3_N6thrust23THRUST_200600_302600_NS6detail15normal_iteratorINS9_10device_ptrIyEEEEPS5_jNS1_19radix_merge_compareILb0ELb1EyNS0_19identity_decomposerEEEEE10hipError_tT0_T1_T2_jT3_P12ihipStream_tbPNSt15iterator_traitsISK_E10value_typeEPNSQ_ISL_E10value_typeEPSM_NS1_7vsmem_tEENKUlT_SK_SL_SM_E_clISE_PySF_SF_EESJ_SZ_SK_SL_SM_EUlSZ_E0_NS1_11comp_targetILNS1_3genE4ELNS1_11target_archE910ELNS1_3gpuE8ELNS1_3repE0EEENS1_38merge_mergepath_config_static_selectorELNS0_4arch9wavefront6targetE1EEEvSL_,"axG",@progbits,_ZN7rocprim17ROCPRIM_400000_NS6detail17trampoline_kernelINS0_14default_configENS1_38merge_sort_block_merge_config_selectorIyNS0_10empty_typeEEEZZNS1_27merge_sort_block_merge_implIS3_N6thrust23THRUST_200600_302600_NS6detail15normal_iteratorINS9_10device_ptrIyEEEEPS5_jNS1_19radix_merge_compareILb0ELb1EyNS0_19identity_decomposerEEEEE10hipError_tT0_T1_T2_jT3_P12ihipStream_tbPNSt15iterator_traitsISK_E10value_typeEPNSQ_ISL_E10value_typeEPSM_NS1_7vsmem_tEENKUlT_SK_SL_SM_E_clISE_PySF_SF_EESJ_SZ_SK_SL_SM_EUlSZ_E0_NS1_11comp_targetILNS1_3genE4ELNS1_11target_archE910ELNS1_3gpuE8ELNS1_3repE0EEENS1_38merge_mergepath_config_static_selectorELNS0_4arch9wavefront6targetE1EEEvSL_,comdat
	.protected	_ZN7rocprim17ROCPRIM_400000_NS6detail17trampoline_kernelINS0_14default_configENS1_38merge_sort_block_merge_config_selectorIyNS0_10empty_typeEEEZZNS1_27merge_sort_block_merge_implIS3_N6thrust23THRUST_200600_302600_NS6detail15normal_iteratorINS9_10device_ptrIyEEEEPS5_jNS1_19radix_merge_compareILb0ELb1EyNS0_19identity_decomposerEEEEE10hipError_tT0_T1_T2_jT3_P12ihipStream_tbPNSt15iterator_traitsISK_E10value_typeEPNSQ_ISL_E10value_typeEPSM_NS1_7vsmem_tEENKUlT_SK_SL_SM_E_clISE_PySF_SF_EESJ_SZ_SK_SL_SM_EUlSZ_E0_NS1_11comp_targetILNS1_3genE4ELNS1_11target_archE910ELNS1_3gpuE8ELNS1_3repE0EEENS1_38merge_mergepath_config_static_selectorELNS0_4arch9wavefront6targetE1EEEvSL_ ; -- Begin function _ZN7rocprim17ROCPRIM_400000_NS6detail17trampoline_kernelINS0_14default_configENS1_38merge_sort_block_merge_config_selectorIyNS0_10empty_typeEEEZZNS1_27merge_sort_block_merge_implIS3_N6thrust23THRUST_200600_302600_NS6detail15normal_iteratorINS9_10device_ptrIyEEEEPS5_jNS1_19radix_merge_compareILb0ELb1EyNS0_19identity_decomposerEEEEE10hipError_tT0_T1_T2_jT3_P12ihipStream_tbPNSt15iterator_traitsISK_E10value_typeEPNSQ_ISL_E10value_typeEPSM_NS1_7vsmem_tEENKUlT_SK_SL_SM_E_clISE_PySF_SF_EESJ_SZ_SK_SL_SM_EUlSZ_E0_NS1_11comp_targetILNS1_3genE4ELNS1_11target_archE910ELNS1_3gpuE8ELNS1_3repE0EEENS1_38merge_mergepath_config_static_selectorELNS0_4arch9wavefront6targetE1EEEvSL_
	.globl	_ZN7rocprim17ROCPRIM_400000_NS6detail17trampoline_kernelINS0_14default_configENS1_38merge_sort_block_merge_config_selectorIyNS0_10empty_typeEEEZZNS1_27merge_sort_block_merge_implIS3_N6thrust23THRUST_200600_302600_NS6detail15normal_iteratorINS9_10device_ptrIyEEEEPS5_jNS1_19radix_merge_compareILb0ELb1EyNS0_19identity_decomposerEEEEE10hipError_tT0_T1_T2_jT3_P12ihipStream_tbPNSt15iterator_traitsISK_E10value_typeEPNSQ_ISL_E10value_typeEPSM_NS1_7vsmem_tEENKUlT_SK_SL_SM_E_clISE_PySF_SF_EESJ_SZ_SK_SL_SM_EUlSZ_E0_NS1_11comp_targetILNS1_3genE4ELNS1_11target_archE910ELNS1_3gpuE8ELNS1_3repE0EEENS1_38merge_mergepath_config_static_selectorELNS0_4arch9wavefront6targetE1EEEvSL_
	.p2align	8
	.type	_ZN7rocprim17ROCPRIM_400000_NS6detail17trampoline_kernelINS0_14default_configENS1_38merge_sort_block_merge_config_selectorIyNS0_10empty_typeEEEZZNS1_27merge_sort_block_merge_implIS3_N6thrust23THRUST_200600_302600_NS6detail15normal_iteratorINS9_10device_ptrIyEEEEPS5_jNS1_19radix_merge_compareILb0ELb1EyNS0_19identity_decomposerEEEEE10hipError_tT0_T1_T2_jT3_P12ihipStream_tbPNSt15iterator_traitsISK_E10value_typeEPNSQ_ISL_E10value_typeEPSM_NS1_7vsmem_tEENKUlT_SK_SL_SM_E_clISE_PySF_SF_EESJ_SZ_SK_SL_SM_EUlSZ_E0_NS1_11comp_targetILNS1_3genE4ELNS1_11target_archE910ELNS1_3gpuE8ELNS1_3repE0EEENS1_38merge_mergepath_config_static_selectorELNS0_4arch9wavefront6targetE1EEEvSL_,@function
_ZN7rocprim17ROCPRIM_400000_NS6detail17trampoline_kernelINS0_14default_configENS1_38merge_sort_block_merge_config_selectorIyNS0_10empty_typeEEEZZNS1_27merge_sort_block_merge_implIS3_N6thrust23THRUST_200600_302600_NS6detail15normal_iteratorINS9_10device_ptrIyEEEEPS5_jNS1_19radix_merge_compareILb0ELb1EyNS0_19identity_decomposerEEEEE10hipError_tT0_T1_T2_jT3_P12ihipStream_tbPNSt15iterator_traitsISK_E10value_typeEPNSQ_ISL_E10value_typeEPSM_NS1_7vsmem_tEENKUlT_SK_SL_SM_E_clISE_PySF_SF_EESJ_SZ_SK_SL_SM_EUlSZ_E0_NS1_11comp_targetILNS1_3genE4ELNS1_11target_archE910ELNS1_3gpuE8ELNS1_3repE0EEENS1_38merge_mergepath_config_static_selectorELNS0_4arch9wavefront6targetE1EEEvSL_: ; @_ZN7rocprim17ROCPRIM_400000_NS6detail17trampoline_kernelINS0_14default_configENS1_38merge_sort_block_merge_config_selectorIyNS0_10empty_typeEEEZZNS1_27merge_sort_block_merge_implIS3_N6thrust23THRUST_200600_302600_NS6detail15normal_iteratorINS9_10device_ptrIyEEEEPS5_jNS1_19radix_merge_compareILb0ELb1EyNS0_19identity_decomposerEEEEE10hipError_tT0_T1_T2_jT3_P12ihipStream_tbPNSt15iterator_traitsISK_E10value_typeEPNSQ_ISL_E10value_typeEPSM_NS1_7vsmem_tEENKUlT_SK_SL_SM_E_clISE_PySF_SF_EESJ_SZ_SK_SL_SM_EUlSZ_E0_NS1_11comp_targetILNS1_3genE4ELNS1_11target_archE910ELNS1_3gpuE8ELNS1_3repE0EEENS1_38merge_mergepath_config_static_selectorELNS0_4arch9wavefront6targetE1EEEvSL_
; %bb.0:
	s_load_dwordx2 s[14:15], s[4:5], 0x48
	s_load_dword s3, s[4:5], 0x30
	s_add_u32 s0, s4, 0x48
	s_addc_u32 s1, s5, 0
	s_waitcnt lgkmcnt(0)
	s_mul_i32 s2, s15, s8
	s_add_i32 s2, s2, s7
	s_mul_i32 s2, s2, s14
	s_add_i32 s2, s2, s6
	s_cmp_ge_u32 s2, s3
	s_cbranch_scc1 .LBB824_31
; %bb.1:
	s_load_dwordx2 s[8:9], s[4:5], 0x28
	s_load_dwordx2 s[10:11], s[4:5], 0x40
	;; [unrolled: 1-line block ×3, first 2 shown]
	s_mov_b32 s3, 0
	v_mov_b32_e32 v7, 0
	s_waitcnt lgkmcnt(0)
	s_lshr_b32 s7, s8, 10
	s_cmp_lg_u32 s2, s7
	s_cselect_b64 s[12:13], -1, 0
	s_lshl_b64 s[16:17], s[2:3], 2
	s_add_u32 s10, s10, s16
	s_addc_u32 s11, s11, s17
	s_load_dwordx2 s[16:17], s[10:11], 0x0
	s_lshr_b32 s10, s9, 9
	s_and_b32 s10, s10, 0x7ffffe
	s_sub_i32 s11, 0, s10
	s_and_b32 s15, s2, s11
	s_lshl_b32 s21, s15, 10
	s_lshl_b32 s10, s2, 10
	;; [unrolled: 1-line block ×3, first 2 shown]
	s_sub_i32 s20, s10, s21
	s_add_i32 s15, s15, s9
	s_add_i32 s22, s15, s20
	s_waitcnt lgkmcnt(0)
	s_sub_i32 s20, s22, s16
	s_sub_i32 s22, s22, s17
	;; [unrolled: 1-line block ×3, first 2 shown]
	s_min_u32 s20, s8, s20
	s_addk_i32 s22, 0x400
	s_or_b32 s11, s2, s11
	s_min_u32 s21, s8, s15
	s_add_i32 s15, s15, s9
	s_cmp_eq_u32 s11, -1
	s_cselect_b32 s9, s15, s22
	s_cselect_b32 s11, s21, s17
	s_min_u32 s15, s9, s8
	s_mov_b32 s17, s3
	s_sub_i32 s9, s11, s16
	s_sub_i32 s11, s15, s20
	s_lshl_b64 s[16:17], s[16:17], 3
	s_add_u32 s15, s18, s16
	s_mov_b32 s21, s3
	s_addc_u32 s16, s19, s17
	s_lshl_b64 s[20:21], s[20:21], 3
	s_add_u32 s17, s18, s20
	s_addc_u32 s18, s19, s21
	s_cmp_lt_u32 s6, s14
	s_cselect_b32 s3, 12, 18
	global_load_dword v1, v7, s[0:1] offset:14
	s_add_u32 s0, s0, s3
	s_addc_u32 s1, s1, 0
	global_load_ushort v2, v7, s[0:1]
	s_cmp_eq_u32 s2, s7
	s_waitcnt vmcnt(1)
	v_lshrrev_b32_e32 v3, 16, v1
	v_and_b32_e32 v1, 0xffff, v1
	v_mul_lo_u32 v1, v1, v3
	s_waitcnt vmcnt(0)
	v_mul_lo_u32 v15, v1, v2
	v_add_u32_e32 v12, v15, v0
	v_lshlrev_b32_e32 v1, 3, v0
	v_add_u32_e32 v10, v12, v15
	s_cbranch_scc1 .LBB824_3
; %bb.2:
	v_subrev_u32_e32 v6, s9, v0
	v_lshlrev_b64 v[2:3], 3, v[6:7]
	v_mov_b32_e32 v4, s18
	v_add_co_u32_e32 v2, vcc, s17, v2
	v_addc_co_u32_e32 v3, vcc, v4, v3, vcc
	v_mov_b32_e32 v4, s16
	v_add_co_u32_e32 v5, vcc, s15, v1
	v_addc_co_u32_e32 v4, vcc, 0, v4, vcc
	v_cmp_gt_u32_e32 vcc, s9, v0
	v_subrev_u32_e32 v6, s9, v12
	v_cndmask_b32_e32 v3, v3, v4, vcc
	v_cndmask_b32_e32 v2, v2, v5, vcc
	v_lshlrev_b64 v[4:5], 3, v[6:7]
	v_mov_b32_e32 v6, s18
	v_add_co_u32_e32 v8, vcc, s17, v4
	v_mov_b32_e32 v13, v7
	v_addc_co_u32_e32 v6, vcc, v6, v5, vcc
	v_lshlrev_b64 v[4:5], 3, v[12:13]
	v_mov_b32_e32 v9, s16
	v_add_co_u32_e32 v4, vcc, s15, v4
	v_addc_co_u32_e32 v5, vcc, v9, v5, vcc
	v_cmp_gt_u32_e32 vcc, s9, v12
	v_cndmask_b32_e32 v5, v6, v5, vcc
	v_subrev_u32_e32 v6, s9, v10
	v_cndmask_b32_e32 v4, v8, v4, vcc
	v_lshlrev_b64 v[8:9], 3, v[6:7]
	v_mov_b32_e32 v6, s18
	v_add_co_u32_e32 v8, vcc, s17, v8
	v_mov_b32_e32 v11, v7
	v_addc_co_u32_e32 v9, vcc, v6, v9, vcc
	v_lshlrev_b64 v[6:7], 3, v[10:11]
	v_mov_b32_e32 v11, s16
	v_add_co_u32_e32 v6, vcc, s15, v6
	v_addc_co_u32_e32 v7, vcc, v11, v7, vcc
	v_cmp_gt_u32_e32 vcc, s9, v10
	v_cndmask_b32_e32 v7, v9, v7, vcc
	v_cndmask_b32_e32 v6, v8, v6, vcc
	global_load_dwordx2 v[2:3], v[2:3], off
	v_add_u32_e32 v14, v10, v15
	global_load_dwordx2 v[4:5], v[4:5], off
	s_add_i32 s14, s11, s9
	global_load_dwordx2 v[6:7], v[6:7], off
	s_mov_b64 s[0:1], -1
	s_cbranch_execz .LBB824_4
	s_branch .LBB824_9
.LBB824_3:
	s_mov_b64 s[0:1], 0
                                        ; implicit-def: $vgpr14
                                        ; implicit-def: $vgpr2_vgpr3_vgpr4_vgpr5_vgpr6_vgpr7_vgpr8_vgpr9
                                        ; implicit-def: $sgpr14
.LBB824_4:
	s_add_i32 s14, s11, s9
	v_cmp_gt_u32_e32 vcc, s14, v0
                                        ; implicit-def: $vgpr2_vgpr3_vgpr4_vgpr5_vgpr6_vgpr7_vgpr8_vgpr9
	s_and_saveexec_b64 s[0:1], vcc
	s_cbranch_execnz .LBB824_32
; %bb.5:
	s_or_b64 exec, exec, s[0:1]
	v_cmp_gt_u32_e32 vcc, s14, v12
	s_and_saveexec_b64 s[2:3], vcc
	s_cbranch_execnz .LBB824_33
.LBB824_6:
	s_or_b64 exec, exec, s[2:3]
	v_cmp_gt_u32_e32 vcc, s14, v10
	s_and_saveexec_b64 s[0:1], vcc
	s_cbranch_execz .LBB824_8
.LBB824_7:
	v_mov_b32_e32 v11, 0
	s_waitcnt vmcnt(0)
	v_lshlrev_b64 v[6:7], 3, v[10:11]
	v_mov_b32_e32 v12, s16
	v_add_co_u32_e32 v13, vcc, s15, v6
	v_addc_co_u32_e32 v12, vcc, v12, v7, vcc
	v_subrev_u32_e32 v6, s9, v10
	v_mov_b32_e32 v7, v11
	v_lshlrev_b64 v[6:7], 3, v[6:7]
	v_mov_b32_e32 v11, s18
	v_add_co_u32_e32 v6, vcc, s17, v6
	v_addc_co_u32_e32 v7, vcc, v11, v7, vcc
	v_cmp_gt_u32_e32 vcc, s9, v10
	v_cndmask_b32_e32 v7, v7, v12, vcc
	v_cndmask_b32_e32 v6, v6, v13, vcc
	global_load_dwordx2 v[6:7], v[6:7], off
.LBB824_8:
	s_or_b64 exec, exec, s[0:1]
	v_add_u32_e32 v14, v10, v15
	v_cmp_gt_u32_e64 s[0:1], s14, v14
.LBB824_9:
	s_load_dwordx2 s[6:7], s[4:5], 0x38
	v_mov_b32_e32 v11, s14
	s_and_saveexec_b64 s[2:3], s[0:1]
	s_cbranch_execz .LBB824_11
; %bb.10:
	v_subrev_u32_e32 v8, s9, v14
	v_mov_b32_e32 v9, 0
	v_lshlrev_b64 v[10:11], 3, v[8:9]
	v_mov_b32_e32 v8, s18
	v_add_co_u32_e32 v10, vcc, s17, v10
	v_mov_b32_e32 v15, v9
	v_addc_co_u32_e32 v11, vcc, v8, v11, vcc
	v_lshlrev_b64 v[8:9], 3, v[14:15]
	v_mov_b32_e32 v12, s16
	v_add_co_u32_e32 v8, vcc, s15, v8
	v_addc_co_u32_e32 v9, vcc, v12, v9, vcc
	v_cmp_gt_u32_e32 vcc, s9, v14
	v_cndmask_b32_e32 v9, v11, v9, vcc
	v_cndmask_b32_e32 v8, v10, v8, vcc
	global_load_dwordx2 v[8:9], v[8:9], off
	v_mov_b32_e32 v11, s14
.LBB824_11:
	s_or_b64 exec, exec, s[2:3]
	s_load_dwordx2 s[14:15], s[4:5], 0x10
	v_lshlrev_b32_e32 v10, 2, v0
	v_min_u32_e32 v13, v11, v10
	v_sub_u32_e64 v12, v13, s11 clamp
	v_min_u32_e32 v14, s9, v13
	v_cmp_lt_u32_e32 vcc, v12, v14
	s_waitcnt vmcnt(0)
	ds_write2st64_b64 v1, v[2:3], v[4:5] offset1:4
	ds_write2st64_b64 v1, v[6:7], v[8:9] offset0:8 offset1:12
	s_waitcnt lgkmcnt(0)
	s_barrier
	s_and_saveexec_b64 s[0:1], vcc
	s_cbranch_execz .LBB824_15
; %bb.12:
	v_lshlrev_b32_e32 v15, 3, v13
	v_lshl_add_u32 v15, s9, 3, v15
	s_mov_b64 s[2:3], 0
.LBB824_13:                             ; =>This Inner Loop Header: Depth=1
	v_add_u32_e32 v16, v14, v12
	v_lshrrev_b32_e32 v20, 1, v16
	v_not_b32_e32 v18, v20
	v_lshlrev_b32_e32 v16, 3, v20
	v_lshl_add_u32 v18, v18, 3, v15
	ds_read_b64 v[16:17], v16
	ds_read_b64 v[18:19], v18
	v_add_u32_e32 v21, 1, v20
	s_waitcnt lgkmcnt(1)
	v_and_b32_e32 v17, s7, v17
	v_and_b32_e32 v16, s6, v16
	s_waitcnt lgkmcnt(0)
	v_and_b32_e32 v19, s7, v19
	v_and_b32_e32 v18, s6, v18
	v_cmp_gt_u64_e32 vcc, v[16:17], v[18:19]
	v_cndmask_b32_e32 v14, v14, v20, vcc
	v_cndmask_b32_e32 v12, v21, v12, vcc
	v_cmp_ge_u32_e32 vcc, v12, v14
	s_or_b64 s[2:3], vcc, s[2:3]
	s_andn2_b64 exec, exec, s[2:3]
	s_cbranch_execnz .LBB824_13
; %bb.14:
	s_or_b64 exec, exec, s[2:3]
.LBB824_15:
	s_or_b64 exec, exec, s[0:1]
	v_sub_u32_e32 v13, v13, v12
	v_add_u32_e32 v13, s9, v13
	v_cmp_ge_u32_e32 vcc, s9, v12
	v_cmp_le_u32_e64 s[0:1], v13, v11
	s_or_b64 s[0:1], vcc, s[0:1]
	s_and_saveexec_b64 s[16:17], s[0:1]
	s_cbranch_execz .LBB824_21
; %bb.16:
	v_cmp_gt_u32_e32 vcc, s9, v12
                                        ; implicit-def: $vgpr2_vgpr3
	s_and_saveexec_b64 s[0:1], vcc
	s_cbranch_execz .LBB824_18
; %bb.17:
	v_lshlrev_b32_e32 v2, 3, v12
	ds_read_b64 v[2:3], v2
.LBB824_18:
	s_or_b64 exec, exec, s[0:1]
	v_cmp_ge_u32_e64 s[0:1], v13, v11
	v_cmp_lt_u32_e64 s[2:3], v13, v11
                                        ; implicit-def: $vgpr4_vgpr5
	s_and_saveexec_b64 s[4:5], s[2:3]
	s_cbranch_execz .LBB824_20
; %bb.19:
	v_lshlrev_b32_e32 v4, 3, v13
	ds_read_b64 v[4:5], v4
.LBB824_20:
	s_or_b64 exec, exec, s[4:5]
	s_waitcnt lgkmcnt(0)
	v_and_b32_e32 v7, s7, v5
	v_and_b32_e32 v6, s6, v4
	;; [unrolled: 1-line block ×4, first 2 shown]
	v_cmp_le_u64_e64 s[2:3], v[8:9], v[6:7]
	s_and_b64 s[2:3], vcc, s[2:3]
	s_or_b64 vcc, s[0:1], s[2:3]
	v_mov_b32_e32 v14, s9
	v_cndmask_b32_e32 v6, v13, v12, vcc
	v_cndmask_b32_e32 v7, v11, v14, vcc
	v_add_u32_e32 v8, 1, v6
	v_add_u32_e32 v6, -1, v7
	v_min_u32_e32 v6, v8, v6
	v_lshlrev_b32_e32 v6, 3, v6
	ds_read_b64 v[6:7], v6
	v_cndmask_b32_e32 v13, v8, v13, vcc
	v_cndmask_b32_e32 v12, v12, v8, vcc
	v_cmp_gt_u32_e64 s[2:3], s9, v12
	v_cmp_ge_u32_e64 s[0:1], v13, v11
	s_waitcnt lgkmcnt(0)
	v_cndmask_b32_e32 v15, v7, v5, vcc
	v_cndmask_b32_e32 v16, v6, v4, vcc
	;; [unrolled: 1-line block ×4, first 2 shown]
	v_and_b32_e32 v7, s7, v15
	v_and_b32_e32 v6, s6, v16
	;; [unrolled: 1-line block ×4, first 2 shown]
	v_cmp_le_u64_e64 s[4:5], v[8:9], v[6:7]
	s_and_b64 s[2:3], s[2:3], s[4:5]
	s_or_b64 s[0:1], s[0:1], s[2:3]
	v_cndmask_b32_e64 v6, v13, v12, s[0:1]
	v_cndmask_b32_e64 v7, v11, v14, s[0:1]
	v_add_u32_e32 v8, 1, v6
	v_add_u32_e32 v6, -1, v7
	v_min_u32_e32 v6, v8, v6
	v_lshlrev_b32_e32 v6, 3, v6
	ds_read_b64 v[6:7], v6
	v_cndmask_b32_e32 v3, v5, v3, vcc
	v_cndmask_b32_e32 v2, v4, v2, vcc
	v_cndmask_b32_e64 v12, v12, v8, s[0:1]
	v_cndmask_b32_e64 v13, v8, v13, s[0:1]
	s_waitcnt lgkmcnt(0)
	v_cndmask_b32_e64 v19, v7, v15, s[0:1]
	v_cndmask_b32_e64 v20, v6, v16, s[0:1]
	;; [unrolled: 1-line block ×4, first 2 shown]
	v_and_b32_e32 v5, s7, v19
	v_and_b32_e32 v4, s6, v20
	;; [unrolled: 1-line block ×4, first 2 shown]
	v_cmp_gt_u32_e64 s[2:3], s9, v12
	v_cmp_le_u64_e64 s[4:5], v[6:7], v[4:5]
	v_cmp_ge_u32_e32 vcc, v13, v11
	s_and_b64 s[2:3], s[2:3], s[4:5]
	s_or_b64 vcc, vcc, s[2:3]
	v_cndmask_b32_e32 v4, v13, v12, vcc
	v_cndmask_b32_e32 v5, v11, v14, vcc
	v_add_u32_e32 v14, 1, v4
	v_add_u32_e32 v4, -1, v5
	v_min_u32_e32 v4, v14, v4
	v_lshlrev_b32_e32 v4, 3, v4
	ds_read_b64 v[8:9], v4
	v_cndmask_b32_e64 v5, v15, v17, s[0:1]
	v_cndmask_b32_e64 v4, v16, v18, s[0:1]
	v_cndmask_b32_e32 v7, v19, v21, vcc
	v_cndmask_b32_e32 v6, v20, v22, vcc
	s_waitcnt lgkmcnt(0)
	v_cndmask_b32_e32 v15, v9, v19, vcc
	v_cndmask_b32_e32 v16, v8, v20, vcc
	;; [unrolled: 1-line block ×6, first 2 shown]
	v_cmp_ge_u32_e32 vcc, v8, v11
	v_cmp_gt_u32_e64 s[0:1], s9, v9
	v_and_b32_e32 v9, s7, v15
	v_and_b32_e32 v8, s6, v16
	;; [unrolled: 1-line block ×4, first 2 shown]
	v_cmp_le_u64_e64 s[2:3], v[12:13], v[8:9]
	s_and_b64 s[0:1], s[0:1], s[2:3]
	s_or_b64 vcc, vcc, s[0:1]
	v_cndmask_b32_e32 v9, v15, v17, vcc
	v_cndmask_b32_e32 v8, v16, v18, vcc
.LBB824_21:
	s_or_b64 exec, exec, s[16:17]
	v_and_b32_e32 v11, 0xf8, v0
	v_lshl_add_u32 v10, v10, 3, v11
	s_barrier
	s_barrier
	ds_write2_b64 v10, v[2:3], v[4:5] offset1:1
	ds_write2_b64 v10, v[6:7], v[8:9] offset0:2 offset1:3
	v_lshrrev_b32_e32 v2, 2, v0
	v_and_b32_e32 v2, 56, v2
	v_or_b32_e32 v12, 0x100, v0
	v_add_u32_e32 v13, v1, v2
	v_lshrrev_b32_e32 v2, 2, v12
	v_and_b32_e32 v2, 0x78, v2
	v_or_b32_e32 v11, 0x200, v0
	s_mov_b32 s11, 0
	v_add_u32_e32 v6, v1, v2
	v_lshrrev_b32_e32 v2, 2, v11
	s_lshl_b64 s[0:1], s[10:11], 3
	v_and_b32_e32 v2, 0xb8, v2
	v_or_b32_e32 v10, 0x300, v0
	s_add_u32 s0, s14, s0
	v_add_u32_e32 v7, v1, v2
	v_lshrrev_b32_e32 v2, 2, v10
	s_addc_u32 s1, s15, s1
	v_and_b32_e32 v2, 0xf8, v2
	v_add_u32_e32 v14, v1, v2
	v_mov_b32_e32 v3, s1
	v_add_co_u32_e32 v2, vcc, s0, v1
	v_addc_co_u32_e32 v3, vcc, 0, v3, vcc
	s_and_b64 vcc, exec, s[12:13]
	s_waitcnt lgkmcnt(0)
	s_cbranch_vccz .LBB824_23
; %bb.22:
	s_barrier
	ds_read_b64 v[8:9], v13
	ds_read_b64 v[16:17], v6 offset:2048
	ds_read_b64 v[18:19], v7 offset:4096
	;; [unrolled: 1-line block ×3, first 2 shown]
	s_waitcnt lgkmcnt(3)
	global_store_dwordx2 v[2:3], v[8:9], off
	s_waitcnt lgkmcnt(2)
	global_store_dwordx2 v[2:3], v[16:17], off offset:2048
	v_add_co_u32_e32 v8, vcc, 0x1000, v2
	v_addc_co_u32_e32 v9, vcc, 0, v3, vcc
	s_waitcnt lgkmcnt(1)
	global_store_dwordx2 v[8:9], v[18:19], off
	s_mov_b64 s[0:1], -1
	s_cbranch_execz .LBB824_24
	s_branch .LBB824_29
.LBB824_23:
	s_mov_b64 s[0:1], 0
                                        ; implicit-def: $vgpr4_vgpr5
.LBB824_24:
	s_barrier
	s_waitcnt lgkmcnt(0)
	ds_read_b64 v[8:9], v6 offset:2048
	ds_read_b64 v[6:7], v7 offset:4096
	;; [unrolled: 1-line block ×3, first 2 shown]
	s_sub_i32 s2, s8, s10
	v_cmp_gt_u32_e32 vcc, s2, v0
	s_and_saveexec_b64 s[0:1], vcc
	s_cbranch_execnz .LBB824_34
; %bb.25:
	s_or_b64 exec, exec, s[0:1]
	v_cmp_gt_u32_e32 vcc, s2, v12
	s_and_saveexec_b64 s[0:1], vcc
	s_cbranch_execnz .LBB824_35
.LBB824_26:
	s_or_b64 exec, exec, s[0:1]
	v_cmp_gt_u32_e32 vcc, s2, v11
	s_and_saveexec_b64 s[0:1], vcc
	s_cbranch_execz .LBB824_28
.LBB824_27:
	v_add_co_u32_e32 v0, vcc, 0x1000, v2
	v_addc_co_u32_e32 v1, vcc, 0, v3, vcc
	s_waitcnt lgkmcnt(1)
	global_store_dwordx2 v[0:1], v[6:7], off
.LBB824_28:
	s_or_b64 exec, exec, s[0:1]
	v_cmp_gt_u32_e64 s[0:1], s2, v10
.LBB824_29:
	s_and_saveexec_b64 s[2:3], s[0:1]
	s_cbranch_execz .LBB824_31
; %bb.30:
	v_add_co_u32_e32 v0, vcc, 0x1000, v2
	v_addc_co_u32_e32 v1, vcc, 0, v3, vcc
	s_waitcnt lgkmcnt(0)
	global_store_dwordx2 v[0:1], v[4:5], off offset:2048
.LBB824_31:
	s_endpgm
.LBB824_32:
	s_waitcnt vmcnt(2)
	v_mov_b32_e32 v2, s16
	s_waitcnt vmcnt(1)
	v_add_co_u32_e32 v4, vcc, s15, v1
	v_mov_b32_e32 v3, 0
	v_addc_co_u32_e32 v5, vcc, 0, v2, vcc
	v_subrev_u32_e32 v2, s9, v0
	v_lshlrev_b64 v[2:3], 3, v[2:3]
	s_waitcnt vmcnt(0)
	v_mov_b32_e32 v6, s18
	v_add_co_u32_e32 v2, vcc, s17, v2
	v_addc_co_u32_e32 v3, vcc, v6, v3, vcc
	v_cmp_gt_u32_e32 vcc, s9, v0
	v_cndmask_b32_e32 v3, v3, v5, vcc
	v_cndmask_b32_e32 v2, v2, v4, vcc
	global_load_dwordx2 v[2:3], v[2:3], off
	s_or_b64 exec, exec, s[0:1]
	v_cmp_gt_u32_e32 vcc, s14, v12
	s_and_saveexec_b64 s[2:3], vcc
	s_cbranch_execz .LBB824_6
.LBB824_33:
	v_mov_b32_e32 v13, 0
	s_waitcnt vmcnt(1)
	v_lshlrev_b64 v[4:5], 3, v[12:13]
	v_mov_b32_e32 v11, s16
	v_add_co_u32_e32 v14, vcc, s15, v4
	v_addc_co_u32_e32 v11, vcc, v11, v5, vcc
	v_cmp_gt_u32_e32 vcc, s9, v12
	v_subrev_u32_e32 v12, s9, v12
	v_lshlrev_b64 v[4:5], 3, v[12:13]
	v_mov_b32_e32 v12, s18
	v_add_co_u32_e64 v4, s[0:1], s17, v4
	v_addc_co_u32_e64 v5, s[0:1], v12, v5, s[0:1]
	v_cndmask_b32_e32 v5, v5, v11, vcc
	v_cndmask_b32_e32 v4, v4, v14, vcc
	global_load_dwordx2 v[4:5], v[4:5], off
	s_or_b64 exec, exec, s[2:3]
	v_cmp_gt_u32_e32 vcc, s14, v10
	s_and_saveexec_b64 s[0:1], vcc
	s_cbranch_execnz .LBB824_7
	s_branch .LBB824_8
.LBB824_34:
	ds_read_b64 v[0:1], v13
	s_waitcnt lgkmcnt(0)
	global_store_dwordx2 v[2:3], v[0:1], off
	s_or_b64 exec, exec, s[0:1]
	v_cmp_gt_u32_e32 vcc, s2, v12
	s_and_saveexec_b64 s[0:1], vcc
	s_cbranch_execz .LBB824_26
.LBB824_35:
	s_waitcnt lgkmcnt(2)
	global_store_dwordx2 v[2:3], v[8:9], off offset:2048
	s_or_b64 exec, exec, s[0:1]
	v_cmp_gt_u32_e32 vcc, s2, v11
	s_and_saveexec_b64 s[0:1], vcc
	s_cbranch_execnz .LBB824_27
	s_branch .LBB824_28
	.section	.rodata,"a",@progbits
	.p2align	6, 0x0
	.amdhsa_kernel _ZN7rocprim17ROCPRIM_400000_NS6detail17trampoline_kernelINS0_14default_configENS1_38merge_sort_block_merge_config_selectorIyNS0_10empty_typeEEEZZNS1_27merge_sort_block_merge_implIS3_N6thrust23THRUST_200600_302600_NS6detail15normal_iteratorINS9_10device_ptrIyEEEEPS5_jNS1_19radix_merge_compareILb0ELb1EyNS0_19identity_decomposerEEEEE10hipError_tT0_T1_T2_jT3_P12ihipStream_tbPNSt15iterator_traitsISK_E10value_typeEPNSQ_ISL_E10value_typeEPSM_NS1_7vsmem_tEENKUlT_SK_SL_SM_E_clISE_PySF_SF_EESJ_SZ_SK_SL_SM_EUlSZ_E0_NS1_11comp_targetILNS1_3genE4ELNS1_11target_archE910ELNS1_3gpuE8ELNS1_3repE0EEENS1_38merge_mergepath_config_static_selectorELNS0_4arch9wavefront6targetE1EEEvSL_
		.amdhsa_group_segment_fixed_size 8448
		.amdhsa_private_segment_fixed_size 0
		.amdhsa_kernarg_size 328
		.amdhsa_user_sgpr_count 6
		.amdhsa_user_sgpr_private_segment_buffer 1
		.amdhsa_user_sgpr_dispatch_ptr 0
		.amdhsa_user_sgpr_queue_ptr 0
		.amdhsa_user_sgpr_kernarg_segment_ptr 1
		.amdhsa_user_sgpr_dispatch_id 0
		.amdhsa_user_sgpr_flat_scratch_init 0
		.amdhsa_user_sgpr_kernarg_preload_length 0
		.amdhsa_user_sgpr_kernarg_preload_offset 0
		.amdhsa_user_sgpr_private_segment_size 0
		.amdhsa_uses_dynamic_stack 0
		.amdhsa_system_sgpr_private_segment_wavefront_offset 0
		.amdhsa_system_sgpr_workgroup_id_x 1
		.amdhsa_system_sgpr_workgroup_id_y 1
		.amdhsa_system_sgpr_workgroup_id_z 1
		.amdhsa_system_sgpr_workgroup_info 0
		.amdhsa_system_vgpr_workitem_id 0
		.amdhsa_next_free_vgpr 23
		.amdhsa_next_free_sgpr 23
		.amdhsa_accum_offset 24
		.amdhsa_reserve_vcc 1
		.amdhsa_reserve_flat_scratch 0
		.amdhsa_float_round_mode_32 0
		.amdhsa_float_round_mode_16_64 0
		.amdhsa_float_denorm_mode_32 3
		.amdhsa_float_denorm_mode_16_64 3
		.amdhsa_dx10_clamp 1
		.amdhsa_ieee_mode 1
		.amdhsa_fp16_overflow 0
		.amdhsa_tg_split 0
		.amdhsa_exception_fp_ieee_invalid_op 0
		.amdhsa_exception_fp_denorm_src 0
		.amdhsa_exception_fp_ieee_div_zero 0
		.amdhsa_exception_fp_ieee_overflow 0
		.amdhsa_exception_fp_ieee_underflow 0
		.amdhsa_exception_fp_ieee_inexact 0
		.amdhsa_exception_int_div_zero 0
	.end_amdhsa_kernel
	.section	.text._ZN7rocprim17ROCPRIM_400000_NS6detail17trampoline_kernelINS0_14default_configENS1_38merge_sort_block_merge_config_selectorIyNS0_10empty_typeEEEZZNS1_27merge_sort_block_merge_implIS3_N6thrust23THRUST_200600_302600_NS6detail15normal_iteratorINS9_10device_ptrIyEEEEPS5_jNS1_19radix_merge_compareILb0ELb1EyNS0_19identity_decomposerEEEEE10hipError_tT0_T1_T2_jT3_P12ihipStream_tbPNSt15iterator_traitsISK_E10value_typeEPNSQ_ISL_E10value_typeEPSM_NS1_7vsmem_tEENKUlT_SK_SL_SM_E_clISE_PySF_SF_EESJ_SZ_SK_SL_SM_EUlSZ_E0_NS1_11comp_targetILNS1_3genE4ELNS1_11target_archE910ELNS1_3gpuE8ELNS1_3repE0EEENS1_38merge_mergepath_config_static_selectorELNS0_4arch9wavefront6targetE1EEEvSL_,"axG",@progbits,_ZN7rocprim17ROCPRIM_400000_NS6detail17trampoline_kernelINS0_14default_configENS1_38merge_sort_block_merge_config_selectorIyNS0_10empty_typeEEEZZNS1_27merge_sort_block_merge_implIS3_N6thrust23THRUST_200600_302600_NS6detail15normal_iteratorINS9_10device_ptrIyEEEEPS5_jNS1_19radix_merge_compareILb0ELb1EyNS0_19identity_decomposerEEEEE10hipError_tT0_T1_T2_jT3_P12ihipStream_tbPNSt15iterator_traitsISK_E10value_typeEPNSQ_ISL_E10value_typeEPSM_NS1_7vsmem_tEENKUlT_SK_SL_SM_E_clISE_PySF_SF_EESJ_SZ_SK_SL_SM_EUlSZ_E0_NS1_11comp_targetILNS1_3genE4ELNS1_11target_archE910ELNS1_3gpuE8ELNS1_3repE0EEENS1_38merge_mergepath_config_static_selectorELNS0_4arch9wavefront6targetE1EEEvSL_,comdat
.Lfunc_end824:
	.size	_ZN7rocprim17ROCPRIM_400000_NS6detail17trampoline_kernelINS0_14default_configENS1_38merge_sort_block_merge_config_selectorIyNS0_10empty_typeEEEZZNS1_27merge_sort_block_merge_implIS3_N6thrust23THRUST_200600_302600_NS6detail15normal_iteratorINS9_10device_ptrIyEEEEPS5_jNS1_19radix_merge_compareILb0ELb1EyNS0_19identity_decomposerEEEEE10hipError_tT0_T1_T2_jT3_P12ihipStream_tbPNSt15iterator_traitsISK_E10value_typeEPNSQ_ISL_E10value_typeEPSM_NS1_7vsmem_tEENKUlT_SK_SL_SM_E_clISE_PySF_SF_EESJ_SZ_SK_SL_SM_EUlSZ_E0_NS1_11comp_targetILNS1_3genE4ELNS1_11target_archE910ELNS1_3gpuE8ELNS1_3repE0EEENS1_38merge_mergepath_config_static_selectorELNS0_4arch9wavefront6targetE1EEEvSL_, .Lfunc_end824-_ZN7rocprim17ROCPRIM_400000_NS6detail17trampoline_kernelINS0_14default_configENS1_38merge_sort_block_merge_config_selectorIyNS0_10empty_typeEEEZZNS1_27merge_sort_block_merge_implIS3_N6thrust23THRUST_200600_302600_NS6detail15normal_iteratorINS9_10device_ptrIyEEEEPS5_jNS1_19radix_merge_compareILb0ELb1EyNS0_19identity_decomposerEEEEE10hipError_tT0_T1_T2_jT3_P12ihipStream_tbPNSt15iterator_traitsISK_E10value_typeEPNSQ_ISL_E10value_typeEPSM_NS1_7vsmem_tEENKUlT_SK_SL_SM_E_clISE_PySF_SF_EESJ_SZ_SK_SL_SM_EUlSZ_E0_NS1_11comp_targetILNS1_3genE4ELNS1_11target_archE910ELNS1_3gpuE8ELNS1_3repE0EEENS1_38merge_mergepath_config_static_selectorELNS0_4arch9wavefront6targetE1EEEvSL_
                                        ; -- End function
	.section	.AMDGPU.csdata,"",@progbits
; Kernel info:
; codeLenInByte = 2196
; NumSgprs: 27
; NumVgprs: 23
; NumAgprs: 0
; TotalNumVgprs: 23
; ScratchSize: 0
; MemoryBound: 0
; FloatMode: 240
; IeeeMode: 1
; LDSByteSize: 8448 bytes/workgroup (compile time only)
; SGPRBlocks: 3
; VGPRBlocks: 2
; NumSGPRsForWavesPerEU: 27
; NumVGPRsForWavesPerEU: 23
; AccumOffset: 24
; Occupancy: 7
; WaveLimiterHint : 1
; COMPUTE_PGM_RSRC2:SCRATCH_EN: 0
; COMPUTE_PGM_RSRC2:USER_SGPR: 6
; COMPUTE_PGM_RSRC2:TRAP_HANDLER: 0
; COMPUTE_PGM_RSRC2:TGID_X_EN: 1
; COMPUTE_PGM_RSRC2:TGID_Y_EN: 1
; COMPUTE_PGM_RSRC2:TGID_Z_EN: 1
; COMPUTE_PGM_RSRC2:TIDIG_COMP_CNT: 0
; COMPUTE_PGM_RSRC3_GFX90A:ACCUM_OFFSET: 5
; COMPUTE_PGM_RSRC3_GFX90A:TG_SPLIT: 0
	.section	.text._ZN7rocprim17ROCPRIM_400000_NS6detail17trampoline_kernelINS0_14default_configENS1_38merge_sort_block_merge_config_selectorIyNS0_10empty_typeEEEZZNS1_27merge_sort_block_merge_implIS3_N6thrust23THRUST_200600_302600_NS6detail15normal_iteratorINS9_10device_ptrIyEEEEPS5_jNS1_19radix_merge_compareILb0ELb1EyNS0_19identity_decomposerEEEEE10hipError_tT0_T1_T2_jT3_P12ihipStream_tbPNSt15iterator_traitsISK_E10value_typeEPNSQ_ISL_E10value_typeEPSM_NS1_7vsmem_tEENKUlT_SK_SL_SM_E_clISE_PySF_SF_EESJ_SZ_SK_SL_SM_EUlSZ_E0_NS1_11comp_targetILNS1_3genE3ELNS1_11target_archE908ELNS1_3gpuE7ELNS1_3repE0EEENS1_38merge_mergepath_config_static_selectorELNS0_4arch9wavefront6targetE1EEEvSL_,"axG",@progbits,_ZN7rocprim17ROCPRIM_400000_NS6detail17trampoline_kernelINS0_14default_configENS1_38merge_sort_block_merge_config_selectorIyNS0_10empty_typeEEEZZNS1_27merge_sort_block_merge_implIS3_N6thrust23THRUST_200600_302600_NS6detail15normal_iteratorINS9_10device_ptrIyEEEEPS5_jNS1_19radix_merge_compareILb0ELb1EyNS0_19identity_decomposerEEEEE10hipError_tT0_T1_T2_jT3_P12ihipStream_tbPNSt15iterator_traitsISK_E10value_typeEPNSQ_ISL_E10value_typeEPSM_NS1_7vsmem_tEENKUlT_SK_SL_SM_E_clISE_PySF_SF_EESJ_SZ_SK_SL_SM_EUlSZ_E0_NS1_11comp_targetILNS1_3genE3ELNS1_11target_archE908ELNS1_3gpuE7ELNS1_3repE0EEENS1_38merge_mergepath_config_static_selectorELNS0_4arch9wavefront6targetE1EEEvSL_,comdat
	.protected	_ZN7rocprim17ROCPRIM_400000_NS6detail17trampoline_kernelINS0_14default_configENS1_38merge_sort_block_merge_config_selectorIyNS0_10empty_typeEEEZZNS1_27merge_sort_block_merge_implIS3_N6thrust23THRUST_200600_302600_NS6detail15normal_iteratorINS9_10device_ptrIyEEEEPS5_jNS1_19radix_merge_compareILb0ELb1EyNS0_19identity_decomposerEEEEE10hipError_tT0_T1_T2_jT3_P12ihipStream_tbPNSt15iterator_traitsISK_E10value_typeEPNSQ_ISL_E10value_typeEPSM_NS1_7vsmem_tEENKUlT_SK_SL_SM_E_clISE_PySF_SF_EESJ_SZ_SK_SL_SM_EUlSZ_E0_NS1_11comp_targetILNS1_3genE3ELNS1_11target_archE908ELNS1_3gpuE7ELNS1_3repE0EEENS1_38merge_mergepath_config_static_selectorELNS0_4arch9wavefront6targetE1EEEvSL_ ; -- Begin function _ZN7rocprim17ROCPRIM_400000_NS6detail17trampoline_kernelINS0_14default_configENS1_38merge_sort_block_merge_config_selectorIyNS0_10empty_typeEEEZZNS1_27merge_sort_block_merge_implIS3_N6thrust23THRUST_200600_302600_NS6detail15normal_iteratorINS9_10device_ptrIyEEEEPS5_jNS1_19radix_merge_compareILb0ELb1EyNS0_19identity_decomposerEEEEE10hipError_tT0_T1_T2_jT3_P12ihipStream_tbPNSt15iterator_traitsISK_E10value_typeEPNSQ_ISL_E10value_typeEPSM_NS1_7vsmem_tEENKUlT_SK_SL_SM_E_clISE_PySF_SF_EESJ_SZ_SK_SL_SM_EUlSZ_E0_NS1_11comp_targetILNS1_3genE3ELNS1_11target_archE908ELNS1_3gpuE7ELNS1_3repE0EEENS1_38merge_mergepath_config_static_selectorELNS0_4arch9wavefront6targetE1EEEvSL_
	.globl	_ZN7rocprim17ROCPRIM_400000_NS6detail17trampoline_kernelINS0_14default_configENS1_38merge_sort_block_merge_config_selectorIyNS0_10empty_typeEEEZZNS1_27merge_sort_block_merge_implIS3_N6thrust23THRUST_200600_302600_NS6detail15normal_iteratorINS9_10device_ptrIyEEEEPS5_jNS1_19radix_merge_compareILb0ELb1EyNS0_19identity_decomposerEEEEE10hipError_tT0_T1_T2_jT3_P12ihipStream_tbPNSt15iterator_traitsISK_E10value_typeEPNSQ_ISL_E10value_typeEPSM_NS1_7vsmem_tEENKUlT_SK_SL_SM_E_clISE_PySF_SF_EESJ_SZ_SK_SL_SM_EUlSZ_E0_NS1_11comp_targetILNS1_3genE3ELNS1_11target_archE908ELNS1_3gpuE7ELNS1_3repE0EEENS1_38merge_mergepath_config_static_selectorELNS0_4arch9wavefront6targetE1EEEvSL_
	.p2align	8
	.type	_ZN7rocprim17ROCPRIM_400000_NS6detail17trampoline_kernelINS0_14default_configENS1_38merge_sort_block_merge_config_selectorIyNS0_10empty_typeEEEZZNS1_27merge_sort_block_merge_implIS3_N6thrust23THRUST_200600_302600_NS6detail15normal_iteratorINS9_10device_ptrIyEEEEPS5_jNS1_19radix_merge_compareILb0ELb1EyNS0_19identity_decomposerEEEEE10hipError_tT0_T1_T2_jT3_P12ihipStream_tbPNSt15iterator_traitsISK_E10value_typeEPNSQ_ISL_E10value_typeEPSM_NS1_7vsmem_tEENKUlT_SK_SL_SM_E_clISE_PySF_SF_EESJ_SZ_SK_SL_SM_EUlSZ_E0_NS1_11comp_targetILNS1_3genE3ELNS1_11target_archE908ELNS1_3gpuE7ELNS1_3repE0EEENS1_38merge_mergepath_config_static_selectorELNS0_4arch9wavefront6targetE1EEEvSL_,@function
_ZN7rocprim17ROCPRIM_400000_NS6detail17trampoline_kernelINS0_14default_configENS1_38merge_sort_block_merge_config_selectorIyNS0_10empty_typeEEEZZNS1_27merge_sort_block_merge_implIS3_N6thrust23THRUST_200600_302600_NS6detail15normal_iteratorINS9_10device_ptrIyEEEEPS5_jNS1_19radix_merge_compareILb0ELb1EyNS0_19identity_decomposerEEEEE10hipError_tT0_T1_T2_jT3_P12ihipStream_tbPNSt15iterator_traitsISK_E10value_typeEPNSQ_ISL_E10value_typeEPSM_NS1_7vsmem_tEENKUlT_SK_SL_SM_E_clISE_PySF_SF_EESJ_SZ_SK_SL_SM_EUlSZ_E0_NS1_11comp_targetILNS1_3genE3ELNS1_11target_archE908ELNS1_3gpuE7ELNS1_3repE0EEENS1_38merge_mergepath_config_static_selectorELNS0_4arch9wavefront6targetE1EEEvSL_: ; @_ZN7rocprim17ROCPRIM_400000_NS6detail17trampoline_kernelINS0_14default_configENS1_38merge_sort_block_merge_config_selectorIyNS0_10empty_typeEEEZZNS1_27merge_sort_block_merge_implIS3_N6thrust23THRUST_200600_302600_NS6detail15normal_iteratorINS9_10device_ptrIyEEEEPS5_jNS1_19radix_merge_compareILb0ELb1EyNS0_19identity_decomposerEEEEE10hipError_tT0_T1_T2_jT3_P12ihipStream_tbPNSt15iterator_traitsISK_E10value_typeEPNSQ_ISL_E10value_typeEPSM_NS1_7vsmem_tEENKUlT_SK_SL_SM_E_clISE_PySF_SF_EESJ_SZ_SK_SL_SM_EUlSZ_E0_NS1_11comp_targetILNS1_3genE3ELNS1_11target_archE908ELNS1_3gpuE7ELNS1_3repE0EEENS1_38merge_mergepath_config_static_selectorELNS0_4arch9wavefront6targetE1EEEvSL_
; %bb.0:
	.section	.rodata,"a",@progbits
	.p2align	6, 0x0
	.amdhsa_kernel _ZN7rocprim17ROCPRIM_400000_NS6detail17trampoline_kernelINS0_14default_configENS1_38merge_sort_block_merge_config_selectorIyNS0_10empty_typeEEEZZNS1_27merge_sort_block_merge_implIS3_N6thrust23THRUST_200600_302600_NS6detail15normal_iteratorINS9_10device_ptrIyEEEEPS5_jNS1_19radix_merge_compareILb0ELb1EyNS0_19identity_decomposerEEEEE10hipError_tT0_T1_T2_jT3_P12ihipStream_tbPNSt15iterator_traitsISK_E10value_typeEPNSQ_ISL_E10value_typeEPSM_NS1_7vsmem_tEENKUlT_SK_SL_SM_E_clISE_PySF_SF_EESJ_SZ_SK_SL_SM_EUlSZ_E0_NS1_11comp_targetILNS1_3genE3ELNS1_11target_archE908ELNS1_3gpuE7ELNS1_3repE0EEENS1_38merge_mergepath_config_static_selectorELNS0_4arch9wavefront6targetE1EEEvSL_
		.amdhsa_group_segment_fixed_size 0
		.amdhsa_private_segment_fixed_size 0
		.amdhsa_kernarg_size 72
		.amdhsa_user_sgpr_count 6
		.amdhsa_user_sgpr_private_segment_buffer 1
		.amdhsa_user_sgpr_dispatch_ptr 0
		.amdhsa_user_sgpr_queue_ptr 0
		.amdhsa_user_sgpr_kernarg_segment_ptr 1
		.amdhsa_user_sgpr_dispatch_id 0
		.amdhsa_user_sgpr_flat_scratch_init 0
		.amdhsa_user_sgpr_kernarg_preload_length 0
		.amdhsa_user_sgpr_kernarg_preload_offset 0
		.amdhsa_user_sgpr_private_segment_size 0
		.amdhsa_uses_dynamic_stack 0
		.amdhsa_system_sgpr_private_segment_wavefront_offset 0
		.amdhsa_system_sgpr_workgroup_id_x 1
		.amdhsa_system_sgpr_workgroup_id_y 0
		.amdhsa_system_sgpr_workgroup_id_z 0
		.amdhsa_system_sgpr_workgroup_info 0
		.amdhsa_system_vgpr_workitem_id 0
		.amdhsa_next_free_vgpr 1
		.amdhsa_next_free_sgpr 0
		.amdhsa_accum_offset 4
		.amdhsa_reserve_vcc 0
		.amdhsa_reserve_flat_scratch 0
		.amdhsa_float_round_mode_32 0
		.amdhsa_float_round_mode_16_64 0
		.amdhsa_float_denorm_mode_32 3
		.amdhsa_float_denorm_mode_16_64 3
		.amdhsa_dx10_clamp 1
		.amdhsa_ieee_mode 1
		.amdhsa_fp16_overflow 0
		.amdhsa_tg_split 0
		.amdhsa_exception_fp_ieee_invalid_op 0
		.amdhsa_exception_fp_denorm_src 0
		.amdhsa_exception_fp_ieee_div_zero 0
		.amdhsa_exception_fp_ieee_overflow 0
		.amdhsa_exception_fp_ieee_underflow 0
		.amdhsa_exception_fp_ieee_inexact 0
		.amdhsa_exception_int_div_zero 0
	.end_amdhsa_kernel
	.section	.text._ZN7rocprim17ROCPRIM_400000_NS6detail17trampoline_kernelINS0_14default_configENS1_38merge_sort_block_merge_config_selectorIyNS0_10empty_typeEEEZZNS1_27merge_sort_block_merge_implIS3_N6thrust23THRUST_200600_302600_NS6detail15normal_iteratorINS9_10device_ptrIyEEEEPS5_jNS1_19radix_merge_compareILb0ELb1EyNS0_19identity_decomposerEEEEE10hipError_tT0_T1_T2_jT3_P12ihipStream_tbPNSt15iterator_traitsISK_E10value_typeEPNSQ_ISL_E10value_typeEPSM_NS1_7vsmem_tEENKUlT_SK_SL_SM_E_clISE_PySF_SF_EESJ_SZ_SK_SL_SM_EUlSZ_E0_NS1_11comp_targetILNS1_3genE3ELNS1_11target_archE908ELNS1_3gpuE7ELNS1_3repE0EEENS1_38merge_mergepath_config_static_selectorELNS0_4arch9wavefront6targetE1EEEvSL_,"axG",@progbits,_ZN7rocprim17ROCPRIM_400000_NS6detail17trampoline_kernelINS0_14default_configENS1_38merge_sort_block_merge_config_selectorIyNS0_10empty_typeEEEZZNS1_27merge_sort_block_merge_implIS3_N6thrust23THRUST_200600_302600_NS6detail15normal_iteratorINS9_10device_ptrIyEEEEPS5_jNS1_19radix_merge_compareILb0ELb1EyNS0_19identity_decomposerEEEEE10hipError_tT0_T1_T2_jT3_P12ihipStream_tbPNSt15iterator_traitsISK_E10value_typeEPNSQ_ISL_E10value_typeEPSM_NS1_7vsmem_tEENKUlT_SK_SL_SM_E_clISE_PySF_SF_EESJ_SZ_SK_SL_SM_EUlSZ_E0_NS1_11comp_targetILNS1_3genE3ELNS1_11target_archE908ELNS1_3gpuE7ELNS1_3repE0EEENS1_38merge_mergepath_config_static_selectorELNS0_4arch9wavefront6targetE1EEEvSL_,comdat
.Lfunc_end825:
	.size	_ZN7rocprim17ROCPRIM_400000_NS6detail17trampoline_kernelINS0_14default_configENS1_38merge_sort_block_merge_config_selectorIyNS0_10empty_typeEEEZZNS1_27merge_sort_block_merge_implIS3_N6thrust23THRUST_200600_302600_NS6detail15normal_iteratorINS9_10device_ptrIyEEEEPS5_jNS1_19radix_merge_compareILb0ELb1EyNS0_19identity_decomposerEEEEE10hipError_tT0_T1_T2_jT3_P12ihipStream_tbPNSt15iterator_traitsISK_E10value_typeEPNSQ_ISL_E10value_typeEPSM_NS1_7vsmem_tEENKUlT_SK_SL_SM_E_clISE_PySF_SF_EESJ_SZ_SK_SL_SM_EUlSZ_E0_NS1_11comp_targetILNS1_3genE3ELNS1_11target_archE908ELNS1_3gpuE7ELNS1_3repE0EEENS1_38merge_mergepath_config_static_selectorELNS0_4arch9wavefront6targetE1EEEvSL_, .Lfunc_end825-_ZN7rocprim17ROCPRIM_400000_NS6detail17trampoline_kernelINS0_14default_configENS1_38merge_sort_block_merge_config_selectorIyNS0_10empty_typeEEEZZNS1_27merge_sort_block_merge_implIS3_N6thrust23THRUST_200600_302600_NS6detail15normal_iteratorINS9_10device_ptrIyEEEEPS5_jNS1_19radix_merge_compareILb0ELb1EyNS0_19identity_decomposerEEEEE10hipError_tT0_T1_T2_jT3_P12ihipStream_tbPNSt15iterator_traitsISK_E10value_typeEPNSQ_ISL_E10value_typeEPSM_NS1_7vsmem_tEENKUlT_SK_SL_SM_E_clISE_PySF_SF_EESJ_SZ_SK_SL_SM_EUlSZ_E0_NS1_11comp_targetILNS1_3genE3ELNS1_11target_archE908ELNS1_3gpuE7ELNS1_3repE0EEENS1_38merge_mergepath_config_static_selectorELNS0_4arch9wavefront6targetE1EEEvSL_
                                        ; -- End function
	.section	.AMDGPU.csdata,"",@progbits
; Kernel info:
; codeLenInByte = 0
; NumSgprs: 4
; NumVgprs: 0
; NumAgprs: 0
; TotalNumVgprs: 0
; ScratchSize: 0
; MemoryBound: 0
; FloatMode: 240
; IeeeMode: 1
; LDSByteSize: 0 bytes/workgroup (compile time only)
; SGPRBlocks: 0
; VGPRBlocks: 0
; NumSGPRsForWavesPerEU: 4
; NumVGPRsForWavesPerEU: 1
; AccumOffset: 4
; Occupancy: 8
; WaveLimiterHint : 0
; COMPUTE_PGM_RSRC2:SCRATCH_EN: 0
; COMPUTE_PGM_RSRC2:USER_SGPR: 6
; COMPUTE_PGM_RSRC2:TRAP_HANDLER: 0
; COMPUTE_PGM_RSRC2:TGID_X_EN: 1
; COMPUTE_PGM_RSRC2:TGID_Y_EN: 0
; COMPUTE_PGM_RSRC2:TGID_Z_EN: 0
; COMPUTE_PGM_RSRC2:TIDIG_COMP_CNT: 0
; COMPUTE_PGM_RSRC3_GFX90A:ACCUM_OFFSET: 0
; COMPUTE_PGM_RSRC3_GFX90A:TG_SPLIT: 0
	.section	.text._ZN7rocprim17ROCPRIM_400000_NS6detail17trampoline_kernelINS0_14default_configENS1_38merge_sort_block_merge_config_selectorIyNS0_10empty_typeEEEZZNS1_27merge_sort_block_merge_implIS3_N6thrust23THRUST_200600_302600_NS6detail15normal_iteratorINS9_10device_ptrIyEEEEPS5_jNS1_19radix_merge_compareILb0ELb1EyNS0_19identity_decomposerEEEEE10hipError_tT0_T1_T2_jT3_P12ihipStream_tbPNSt15iterator_traitsISK_E10value_typeEPNSQ_ISL_E10value_typeEPSM_NS1_7vsmem_tEENKUlT_SK_SL_SM_E_clISE_PySF_SF_EESJ_SZ_SK_SL_SM_EUlSZ_E0_NS1_11comp_targetILNS1_3genE2ELNS1_11target_archE906ELNS1_3gpuE6ELNS1_3repE0EEENS1_38merge_mergepath_config_static_selectorELNS0_4arch9wavefront6targetE1EEEvSL_,"axG",@progbits,_ZN7rocprim17ROCPRIM_400000_NS6detail17trampoline_kernelINS0_14default_configENS1_38merge_sort_block_merge_config_selectorIyNS0_10empty_typeEEEZZNS1_27merge_sort_block_merge_implIS3_N6thrust23THRUST_200600_302600_NS6detail15normal_iteratorINS9_10device_ptrIyEEEEPS5_jNS1_19radix_merge_compareILb0ELb1EyNS0_19identity_decomposerEEEEE10hipError_tT0_T1_T2_jT3_P12ihipStream_tbPNSt15iterator_traitsISK_E10value_typeEPNSQ_ISL_E10value_typeEPSM_NS1_7vsmem_tEENKUlT_SK_SL_SM_E_clISE_PySF_SF_EESJ_SZ_SK_SL_SM_EUlSZ_E0_NS1_11comp_targetILNS1_3genE2ELNS1_11target_archE906ELNS1_3gpuE6ELNS1_3repE0EEENS1_38merge_mergepath_config_static_selectorELNS0_4arch9wavefront6targetE1EEEvSL_,comdat
	.protected	_ZN7rocprim17ROCPRIM_400000_NS6detail17trampoline_kernelINS0_14default_configENS1_38merge_sort_block_merge_config_selectorIyNS0_10empty_typeEEEZZNS1_27merge_sort_block_merge_implIS3_N6thrust23THRUST_200600_302600_NS6detail15normal_iteratorINS9_10device_ptrIyEEEEPS5_jNS1_19radix_merge_compareILb0ELb1EyNS0_19identity_decomposerEEEEE10hipError_tT0_T1_T2_jT3_P12ihipStream_tbPNSt15iterator_traitsISK_E10value_typeEPNSQ_ISL_E10value_typeEPSM_NS1_7vsmem_tEENKUlT_SK_SL_SM_E_clISE_PySF_SF_EESJ_SZ_SK_SL_SM_EUlSZ_E0_NS1_11comp_targetILNS1_3genE2ELNS1_11target_archE906ELNS1_3gpuE6ELNS1_3repE0EEENS1_38merge_mergepath_config_static_selectorELNS0_4arch9wavefront6targetE1EEEvSL_ ; -- Begin function _ZN7rocprim17ROCPRIM_400000_NS6detail17trampoline_kernelINS0_14default_configENS1_38merge_sort_block_merge_config_selectorIyNS0_10empty_typeEEEZZNS1_27merge_sort_block_merge_implIS3_N6thrust23THRUST_200600_302600_NS6detail15normal_iteratorINS9_10device_ptrIyEEEEPS5_jNS1_19radix_merge_compareILb0ELb1EyNS0_19identity_decomposerEEEEE10hipError_tT0_T1_T2_jT3_P12ihipStream_tbPNSt15iterator_traitsISK_E10value_typeEPNSQ_ISL_E10value_typeEPSM_NS1_7vsmem_tEENKUlT_SK_SL_SM_E_clISE_PySF_SF_EESJ_SZ_SK_SL_SM_EUlSZ_E0_NS1_11comp_targetILNS1_3genE2ELNS1_11target_archE906ELNS1_3gpuE6ELNS1_3repE0EEENS1_38merge_mergepath_config_static_selectorELNS0_4arch9wavefront6targetE1EEEvSL_
	.globl	_ZN7rocprim17ROCPRIM_400000_NS6detail17trampoline_kernelINS0_14default_configENS1_38merge_sort_block_merge_config_selectorIyNS0_10empty_typeEEEZZNS1_27merge_sort_block_merge_implIS3_N6thrust23THRUST_200600_302600_NS6detail15normal_iteratorINS9_10device_ptrIyEEEEPS5_jNS1_19radix_merge_compareILb0ELb1EyNS0_19identity_decomposerEEEEE10hipError_tT0_T1_T2_jT3_P12ihipStream_tbPNSt15iterator_traitsISK_E10value_typeEPNSQ_ISL_E10value_typeEPSM_NS1_7vsmem_tEENKUlT_SK_SL_SM_E_clISE_PySF_SF_EESJ_SZ_SK_SL_SM_EUlSZ_E0_NS1_11comp_targetILNS1_3genE2ELNS1_11target_archE906ELNS1_3gpuE6ELNS1_3repE0EEENS1_38merge_mergepath_config_static_selectorELNS0_4arch9wavefront6targetE1EEEvSL_
	.p2align	8
	.type	_ZN7rocprim17ROCPRIM_400000_NS6detail17trampoline_kernelINS0_14default_configENS1_38merge_sort_block_merge_config_selectorIyNS0_10empty_typeEEEZZNS1_27merge_sort_block_merge_implIS3_N6thrust23THRUST_200600_302600_NS6detail15normal_iteratorINS9_10device_ptrIyEEEEPS5_jNS1_19radix_merge_compareILb0ELb1EyNS0_19identity_decomposerEEEEE10hipError_tT0_T1_T2_jT3_P12ihipStream_tbPNSt15iterator_traitsISK_E10value_typeEPNSQ_ISL_E10value_typeEPSM_NS1_7vsmem_tEENKUlT_SK_SL_SM_E_clISE_PySF_SF_EESJ_SZ_SK_SL_SM_EUlSZ_E0_NS1_11comp_targetILNS1_3genE2ELNS1_11target_archE906ELNS1_3gpuE6ELNS1_3repE0EEENS1_38merge_mergepath_config_static_selectorELNS0_4arch9wavefront6targetE1EEEvSL_,@function
_ZN7rocprim17ROCPRIM_400000_NS6detail17trampoline_kernelINS0_14default_configENS1_38merge_sort_block_merge_config_selectorIyNS0_10empty_typeEEEZZNS1_27merge_sort_block_merge_implIS3_N6thrust23THRUST_200600_302600_NS6detail15normal_iteratorINS9_10device_ptrIyEEEEPS5_jNS1_19radix_merge_compareILb0ELb1EyNS0_19identity_decomposerEEEEE10hipError_tT0_T1_T2_jT3_P12ihipStream_tbPNSt15iterator_traitsISK_E10value_typeEPNSQ_ISL_E10value_typeEPSM_NS1_7vsmem_tEENKUlT_SK_SL_SM_E_clISE_PySF_SF_EESJ_SZ_SK_SL_SM_EUlSZ_E0_NS1_11comp_targetILNS1_3genE2ELNS1_11target_archE906ELNS1_3gpuE6ELNS1_3repE0EEENS1_38merge_mergepath_config_static_selectorELNS0_4arch9wavefront6targetE1EEEvSL_: ; @_ZN7rocprim17ROCPRIM_400000_NS6detail17trampoline_kernelINS0_14default_configENS1_38merge_sort_block_merge_config_selectorIyNS0_10empty_typeEEEZZNS1_27merge_sort_block_merge_implIS3_N6thrust23THRUST_200600_302600_NS6detail15normal_iteratorINS9_10device_ptrIyEEEEPS5_jNS1_19radix_merge_compareILb0ELb1EyNS0_19identity_decomposerEEEEE10hipError_tT0_T1_T2_jT3_P12ihipStream_tbPNSt15iterator_traitsISK_E10value_typeEPNSQ_ISL_E10value_typeEPSM_NS1_7vsmem_tEENKUlT_SK_SL_SM_E_clISE_PySF_SF_EESJ_SZ_SK_SL_SM_EUlSZ_E0_NS1_11comp_targetILNS1_3genE2ELNS1_11target_archE906ELNS1_3gpuE6ELNS1_3repE0EEENS1_38merge_mergepath_config_static_selectorELNS0_4arch9wavefront6targetE1EEEvSL_
; %bb.0:
	.section	.rodata,"a",@progbits
	.p2align	6, 0x0
	.amdhsa_kernel _ZN7rocprim17ROCPRIM_400000_NS6detail17trampoline_kernelINS0_14default_configENS1_38merge_sort_block_merge_config_selectorIyNS0_10empty_typeEEEZZNS1_27merge_sort_block_merge_implIS3_N6thrust23THRUST_200600_302600_NS6detail15normal_iteratorINS9_10device_ptrIyEEEEPS5_jNS1_19radix_merge_compareILb0ELb1EyNS0_19identity_decomposerEEEEE10hipError_tT0_T1_T2_jT3_P12ihipStream_tbPNSt15iterator_traitsISK_E10value_typeEPNSQ_ISL_E10value_typeEPSM_NS1_7vsmem_tEENKUlT_SK_SL_SM_E_clISE_PySF_SF_EESJ_SZ_SK_SL_SM_EUlSZ_E0_NS1_11comp_targetILNS1_3genE2ELNS1_11target_archE906ELNS1_3gpuE6ELNS1_3repE0EEENS1_38merge_mergepath_config_static_selectorELNS0_4arch9wavefront6targetE1EEEvSL_
		.amdhsa_group_segment_fixed_size 0
		.amdhsa_private_segment_fixed_size 0
		.amdhsa_kernarg_size 72
		.amdhsa_user_sgpr_count 6
		.amdhsa_user_sgpr_private_segment_buffer 1
		.amdhsa_user_sgpr_dispatch_ptr 0
		.amdhsa_user_sgpr_queue_ptr 0
		.amdhsa_user_sgpr_kernarg_segment_ptr 1
		.amdhsa_user_sgpr_dispatch_id 0
		.amdhsa_user_sgpr_flat_scratch_init 0
		.amdhsa_user_sgpr_kernarg_preload_length 0
		.amdhsa_user_sgpr_kernarg_preload_offset 0
		.amdhsa_user_sgpr_private_segment_size 0
		.amdhsa_uses_dynamic_stack 0
		.amdhsa_system_sgpr_private_segment_wavefront_offset 0
		.amdhsa_system_sgpr_workgroup_id_x 1
		.amdhsa_system_sgpr_workgroup_id_y 0
		.amdhsa_system_sgpr_workgroup_id_z 0
		.amdhsa_system_sgpr_workgroup_info 0
		.amdhsa_system_vgpr_workitem_id 0
		.amdhsa_next_free_vgpr 1
		.amdhsa_next_free_sgpr 0
		.amdhsa_accum_offset 4
		.amdhsa_reserve_vcc 0
		.amdhsa_reserve_flat_scratch 0
		.amdhsa_float_round_mode_32 0
		.amdhsa_float_round_mode_16_64 0
		.amdhsa_float_denorm_mode_32 3
		.amdhsa_float_denorm_mode_16_64 3
		.amdhsa_dx10_clamp 1
		.amdhsa_ieee_mode 1
		.amdhsa_fp16_overflow 0
		.amdhsa_tg_split 0
		.amdhsa_exception_fp_ieee_invalid_op 0
		.amdhsa_exception_fp_denorm_src 0
		.amdhsa_exception_fp_ieee_div_zero 0
		.amdhsa_exception_fp_ieee_overflow 0
		.amdhsa_exception_fp_ieee_underflow 0
		.amdhsa_exception_fp_ieee_inexact 0
		.amdhsa_exception_int_div_zero 0
	.end_amdhsa_kernel
	.section	.text._ZN7rocprim17ROCPRIM_400000_NS6detail17trampoline_kernelINS0_14default_configENS1_38merge_sort_block_merge_config_selectorIyNS0_10empty_typeEEEZZNS1_27merge_sort_block_merge_implIS3_N6thrust23THRUST_200600_302600_NS6detail15normal_iteratorINS9_10device_ptrIyEEEEPS5_jNS1_19radix_merge_compareILb0ELb1EyNS0_19identity_decomposerEEEEE10hipError_tT0_T1_T2_jT3_P12ihipStream_tbPNSt15iterator_traitsISK_E10value_typeEPNSQ_ISL_E10value_typeEPSM_NS1_7vsmem_tEENKUlT_SK_SL_SM_E_clISE_PySF_SF_EESJ_SZ_SK_SL_SM_EUlSZ_E0_NS1_11comp_targetILNS1_3genE2ELNS1_11target_archE906ELNS1_3gpuE6ELNS1_3repE0EEENS1_38merge_mergepath_config_static_selectorELNS0_4arch9wavefront6targetE1EEEvSL_,"axG",@progbits,_ZN7rocprim17ROCPRIM_400000_NS6detail17trampoline_kernelINS0_14default_configENS1_38merge_sort_block_merge_config_selectorIyNS0_10empty_typeEEEZZNS1_27merge_sort_block_merge_implIS3_N6thrust23THRUST_200600_302600_NS6detail15normal_iteratorINS9_10device_ptrIyEEEEPS5_jNS1_19radix_merge_compareILb0ELb1EyNS0_19identity_decomposerEEEEE10hipError_tT0_T1_T2_jT3_P12ihipStream_tbPNSt15iterator_traitsISK_E10value_typeEPNSQ_ISL_E10value_typeEPSM_NS1_7vsmem_tEENKUlT_SK_SL_SM_E_clISE_PySF_SF_EESJ_SZ_SK_SL_SM_EUlSZ_E0_NS1_11comp_targetILNS1_3genE2ELNS1_11target_archE906ELNS1_3gpuE6ELNS1_3repE0EEENS1_38merge_mergepath_config_static_selectorELNS0_4arch9wavefront6targetE1EEEvSL_,comdat
.Lfunc_end826:
	.size	_ZN7rocprim17ROCPRIM_400000_NS6detail17trampoline_kernelINS0_14default_configENS1_38merge_sort_block_merge_config_selectorIyNS0_10empty_typeEEEZZNS1_27merge_sort_block_merge_implIS3_N6thrust23THRUST_200600_302600_NS6detail15normal_iteratorINS9_10device_ptrIyEEEEPS5_jNS1_19radix_merge_compareILb0ELb1EyNS0_19identity_decomposerEEEEE10hipError_tT0_T1_T2_jT3_P12ihipStream_tbPNSt15iterator_traitsISK_E10value_typeEPNSQ_ISL_E10value_typeEPSM_NS1_7vsmem_tEENKUlT_SK_SL_SM_E_clISE_PySF_SF_EESJ_SZ_SK_SL_SM_EUlSZ_E0_NS1_11comp_targetILNS1_3genE2ELNS1_11target_archE906ELNS1_3gpuE6ELNS1_3repE0EEENS1_38merge_mergepath_config_static_selectorELNS0_4arch9wavefront6targetE1EEEvSL_, .Lfunc_end826-_ZN7rocprim17ROCPRIM_400000_NS6detail17trampoline_kernelINS0_14default_configENS1_38merge_sort_block_merge_config_selectorIyNS0_10empty_typeEEEZZNS1_27merge_sort_block_merge_implIS3_N6thrust23THRUST_200600_302600_NS6detail15normal_iteratorINS9_10device_ptrIyEEEEPS5_jNS1_19radix_merge_compareILb0ELb1EyNS0_19identity_decomposerEEEEE10hipError_tT0_T1_T2_jT3_P12ihipStream_tbPNSt15iterator_traitsISK_E10value_typeEPNSQ_ISL_E10value_typeEPSM_NS1_7vsmem_tEENKUlT_SK_SL_SM_E_clISE_PySF_SF_EESJ_SZ_SK_SL_SM_EUlSZ_E0_NS1_11comp_targetILNS1_3genE2ELNS1_11target_archE906ELNS1_3gpuE6ELNS1_3repE0EEENS1_38merge_mergepath_config_static_selectorELNS0_4arch9wavefront6targetE1EEEvSL_
                                        ; -- End function
	.section	.AMDGPU.csdata,"",@progbits
; Kernel info:
; codeLenInByte = 0
; NumSgprs: 4
; NumVgprs: 0
; NumAgprs: 0
; TotalNumVgprs: 0
; ScratchSize: 0
; MemoryBound: 0
; FloatMode: 240
; IeeeMode: 1
; LDSByteSize: 0 bytes/workgroup (compile time only)
; SGPRBlocks: 0
; VGPRBlocks: 0
; NumSGPRsForWavesPerEU: 4
; NumVGPRsForWavesPerEU: 1
; AccumOffset: 4
; Occupancy: 8
; WaveLimiterHint : 0
; COMPUTE_PGM_RSRC2:SCRATCH_EN: 0
; COMPUTE_PGM_RSRC2:USER_SGPR: 6
; COMPUTE_PGM_RSRC2:TRAP_HANDLER: 0
; COMPUTE_PGM_RSRC2:TGID_X_EN: 1
; COMPUTE_PGM_RSRC2:TGID_Y_EN: 0
; COMPUTE_PGM_RSRC2:TGID_Z_EN: 0
; COMPUTE_PGM_RSRC2:TIDIG_COMP_CNT: 0
; COMPUTE_PGM_RSRC3_GFX90A:ACCUM_OFFSET: 0
; COMPUTE_PGM_RSRC3_GFX90A:TG_SPLIT: 0
	.section	.text._ZN7rocprim17ROCPRIM_400000_NS6detail17trampoline_kernelINS0_14default_configENS1_38merge_sort_block_merge_config_selectorIyNS0_10empty_typeEEEZZNS1_27merge_sort_block_merge_implIS3_N6thrust23THRUST_200600_302600_NS6detail15normal_iteratorINS9_10device_ptrIyEEEEPS5_jNS1_19radix_merge_compareILb0ELb1EyNS0_19identity_decomposerEEEEE10hipError_tT0_T1_T2_jT3_P12ihipStream_tbPNSt15iterator_traitsISK_E10value_typeEPNSQ_ISL_E10value_typeEPSM_NS1_7vsmem_tEENKUlT_SK_SL_SM_E_clISE_PySF_SF_EESJ_SZ_SK_SL_SM_EUlSZ_E0_NS1_11comp_targetILNS1_3genE9ELNS1_11target_archE1100ELNS1_3gpuE3ELNS1_3repE0EEENS1_38merge_mergepath_config_static_selectorELNS0_4arch9wavefront6targetE1EEEvSL_,"axG",@progbits,_ZN7rocprim17ROCPRIM_400000_NS6detail17trampoline_kernelINS0_14default_configENS1_38merge_sort_block_merge_config_selectorIyNS0_10empty_typeEEEZZNS1_27merge_sort_block_merge_implIS3_N6thrust23THRUST_200600_302600_NS6detail15normal_iteratorINS9_10device_ptrIyEEEEPS5_jNS1_19radix_merge_compareILb0ELb1EyNS0_19identity_decomposerEEEEE10hipError_tT0_T1_T2_jT3_P12ihipStream_tbPNSt15iterator_traitsISK_E10value_typeEPNSQ_ISL_E10value_typeEPSM_NS1_7vsmem_tEENKUlT_SK_SL_SM_E_clISE_PySF_SF_EESJ_SZ_SK_SL_SM_EUlSZ_E0_NS1_11comp_targetILNS1_3genE9ELNS1_11target_archE1100ELNS1_3gpuE3ELNS1_3repE0EEENS1_38merge_mergepath_config_static_selectorELNS0_4arch9wavefront6targetE1EEEvSL_,comdat
	.protected	_ZN7rocprim17ROCPRIM_400000_NS6detail17trampoline_kernelINS0_14default_configENS1_38merge_sort_block_merge_config_selectorIyNS0_10empty_typeEEEZZNS1_27merge_sort_block_merge_implIS3_N6thrust23THRUST_200600_302600_NS6detail15normal_iteratorINS9_10device_ptrIyEEEEPS5_jNS1_19radix_merge_compareILb0ELb1EyNS0_19identity_decomposerEEEEE10hipError_tT0_T1_T2_jT3_P12ihipStream_tbPNSt15iterator_traitsISK_E10value_typeEPNSQ_ISL_E10value_typeEPSM_NS1_7vsmem_tEENKUlT_SK_SL_SM_E_clISE_PySF_SF_EESJ_SZ_SK_SL_SM_EUlSZ_E0_NS1_11comp_targetILNS1_3genE9ELNS1_11target_archE1100ELNS1_3gpuE3ELNS1_3repE0EEENS1_38merge_mergepath_config_static_selectorELNS0_4arch9wavefront6targetE1EEEvSL_ ; -- Begin function _ZN7rocprim17ROCPRIM_400000_NS6detail17trampoline_kernelINS0_14default_configENS1_38merge_sort_block_merge_config_selectorIyNS0_10empty_typeEEEZZNS1_27merge_sort_block_merge_implIS3_N6thrust23THRUST_200600_302600_NS6detail15normal_iteratorINS9_10device_ptrIyEEEEPS5_jNS1_19radix_merge_compareILb0ELb1EyNS0_19identity_decomposerEEEEE10hipError_tT0_T1_T2_jT3_P12ihipStream_tbPNSt15iterator_traitsISK_E10value_typeEPNSQ_ISL_E10value_typeEPSM_NS1_7vsmem_tEENKUlT_SK_SL_SM_E_clISE_PySF_SF_EESJ_SZ_SK_SL_SM_EUlSZ_E0_NS1_11comp_targetILNS1_3genE9ELNS1_11target_archE1100ELNS1_3gpuE3ELNS1_3repE0EEENS1_38merge_mergepath_config_static_selectorELNS0_4arch9wavefront6targetE1EEEvSL_
	.globl	_ZN7rocprim17ROCPRIM_400000_NS6detail17trampoline_kernelINS0_14default_configENS1_38merge_sort_block_merge_config_selectorIyNS0_10empty_typeEEEZZNS1_27merge_sort_block_merge_implIS3_N6thrust23THRUST_200600_302600_NS6detail15normal_iteratorINS9_10device_ptrIyEEEEPS5_jNS1_19radix_merge_compareILb0ELb1EyNS0_19identity_decomposerEEEEE10hipError_tT0_T1_T2_jT3_P12ihipStream_tbPNSt15iterator_traitsISK_E10value_typeEPNSQ_ISL_E10value_typeEPSM_NS1_7vsmem_tEENKUlT_SK_SL_SM_E_clISE_PySF_SF_EESJ_SZ_SK_SL_SM_EUlSZ_E0_NS1_11comp_targetILNS1_3genE9ELNS1_11target_archE1100ELNS1_3gpuE3ELNS1_3repE0EEENS1_38merge_mergepath_config_static_selectorELNS0_4arch9wavefront6targetE1EEEvSL_
	.p2align	8
	.type	_ZN7rocprim17ROCPRIM_400000_NS6detail17trampoline_kernelINS0_14default_configENS1_38merge_sort_block_merge_config_selectorIyNS0_10empty_typeEEEZZNS1_27merge_sort_block_merge_implIS3_N6thrust23THRUST_200600_302600_NS6detail15normal_iteratorINS9_10device_ptrIyEEEEPS5_jNS1_19radix_merge_compareILb0ELb1EyNS0_19identity_decomposerEEEEE10hipError_tT0_T1_T2_jT3_P12ihipStream_tbPNSt15iterator_traitsISK_E10value_typeEPNSQ_ISL_E10value_typeEPSM_NS1_7vsmem_tEENKUlT_SK_SL_SM_E_clISE_PySF_SF_EESJ_SZ_SK_SL_SM_EUlSZ_E0_NS1_11comp_targetILNS1_3genE9ELNS1_11target_archE1100ELNS1_3gpuE3ELNS1_3repE0EEENS1_38merge_mergepath_config_static_selectorELNS0_4arch9wavefront6targetE1EEEvSL_,@function
_ZN7rocprim17ROCPRIM_400000_NS6detail17trampoline_kernelINS0_14default_configENS1_38merge_sort_block_merge_config_selectorIyNS0_10empty_typeEEEZZNS1_27merge_sort_block_merge_implIS3_N6thrust23THRUST_200600_302600_NS6detail15normal_iteratorINS9_10device_ptrIyEEEEPS5_jNS1_19radix_merge_compareILb0ELb1EyNS0_19identity_decomposerEEEEE10hipError_tT0_T1_T2_jT3_P12ihipStream_tbPNSt15iterator_traitsISK_E10value_typeEPNSQ_ISL_E10value_typeEPSM_NS1_7vsmem_tEENKUlT_SK_SL_SM_E_clISE_PySF_SF_EESJ_SZ_SK_SL_SM_EUlSZ_E0_NS1_11comp_targetILNS1_3genE9ELNS1_11target_archE1100ELNS1_3gpuE3ELNS1_3repE0EEENS1_38merge_mergepath_config_static_selectorELNS0_4arch9wavefront6targetE1EEEvSL_: ; @_ZN7rocprim17ROCPRIM_400000_NS6detail17trampoline_kernelINS0_14default_configENS1_38merge_sort_block_merge_config_selectorIyNS0_10empty_typeEEEZZNS1_27merge_sort_block_merge_implIS3_N6thrust23THRUST_200600_302600_NS6detail15normal_iteratorINS9_10device_ptrIyEEEEPS5_jNS1_19radix_merge_compareILb0ELb1EyNS0_19identity_decomposerEEEEE10hipError_tT0_T1_T2_jT3_P12ihipStream_tbPNSt15iterator_traitsISK_E10value_typeEPNSQ_ISL_E10value_typeEPSM_NS1_7vsmem_tEENKUlT_SK_SL_SM_E_clISE_PySF_SF_EESJ_SZ_SK_SL_SM_EUlSZ_E0_NS1_11comp_targetILNS1_3genE9ELNS1_11target_archE1100ELNS1_3gpuE3ELNS1_3repE0EEENS1_38merge_mergepath_config_static_selectorELNS0_4arch9wavefront6targetE1EEEvSL_
; %bb.0:
	.section	.rodata,"a",@progbits
	.p2align	6, 0x0
	.amdhsa_kernel _ZN7rocprim17ROCPRIM_400000_NS6detail17trampoline_kernelINS0_14default_configENS1_38merge_sort_block_merge_config_selectorIyNS0_10empty_typeEEEZZNS1_27merge_sort_block_merge_implIS3_N6thrust23THRUST_200600_302600_NS6detail15normal_iteratorINS9_10device_ptrIyEEEEPS5_jNS1_19radix_merge_compareILb0ELb1EyNS0_19identity_decomposerEEEEE10hipError_tT0_T1_T2_jT3_P12ihipStream_tbPNSt15iterator_traitsISK_E10value_typeEPNSQ_ISL_E10value_typeEPSM_NS1_7vsmem_tEENKUlT_SK_SL_SM_E_clISE_PySF_SF_EESJ_SZ_SK_SL_SM_EUlSZ_E0_NS1_11comp_targetILNS1_3genE9ELNS1_11target_archE1100ELNS1_3gpuE3ELNS1_3repE0EEENS1_38merge_mergepath_config_static_selectorELNS0_4arch9wavefront6targetE1EEEvSL_
		.amdhsa_group_segment_fixed_size 0
		.amdhsa_private_segment_fixed_size 0
		.amdhsa_kernarg_size 72
		.amdhsa_user_sgpr_count 6
		.amdhsa_user_sgpr_private_segment_buffer 1
		.amdhsa_user_sgpr_dispatch_ptr 0
		.amdhsa_user_sgpr_queue_ptr 0
		.amdhsa_user_sgpr_kernarg_segment_ptr 1
		.amdhsa_user_sgpr_dispatch_id 0
		.amdhsa_user_sgpr_flat_scratch_init 0
		.amdhsa_user_sgpr_kernarg_preload_length 0
		.amdhsa_user_sgpr_kernarg_preload_offset 0
		.amdhsa_user_sgpr_private_segment_size 0
		.amdhsa_uses_dynamic_stack 0
		.amdhsa_system_sgpr_private_segment_wavefront_offset 0
		.amdhsa_system_sgpr_workgroup_id_x 1
		.amdhsa_system_sgpr_workgroup_id_y 0
		.amdhsa_system_sgpr_workgroup_id_z 0
		.amdhsa_system_sgpr_workgroup_info 0
		.amdhsa_system_vgpr_workitem_id 0
		.amdhsa_next_free_vgpr 1
		.amdhsa_next_free_sgpr 0
		.amdhsa_accum_offset 4
		.amdhsa_reserve_vcc 0
		.amdhsa_reserve_flat_scratch 0
		.amdhsa_float_round_mode_32 0
		.amdhsa_float_round_mode_16_64 0
		.amdhsa_float_denorm_mode_32 3
		.amdhsa_float_denorm_mode_16_64 3
		.amdhsa_dx10_clamp 1
		.amdhsa_ieee_mode 1
		.amdhsa_fp16_overflow 0
		.amdhsa_tg_split 0
		.amdhsa_exception_fp_ieee_invalid_op 0
		.amdhsa_exception_fp_denorm_src 0
		.amdhsa_exception_fp_ieee_div_zero 0
		.amdhsa_exception_fp_ieee_overflow 0
		.amdhsa_exception_fp_ieee_underflow 0
		.amdhsa_exception_fp_ieee_inexact 0
		.amdhsa_exception_int_div_zero 0
	.end_amdhsa_kernel
	.section	.text._ZN7rocprim17ROCPRIM_400000_NS6detail17trampoline_kernelINS0_14default_configENS1_38merge_sort_block_merge_config_selectorIyNS0_10empty_typeEEEZZNS1_27merge_sort_block_merge_implIS3_N6thrust23THRUST_200600_302600_NS6detail15normal_iteratorINS9_10device_ptrIyEEEEPS5_jNS1_19radix_merge_compareILb0ELb1EyNS0_19identity_decomposerEEEEE10hipError_tT0_T1_T2_jT3_P12ihipStream_tbPNSt15iterator_traitsISK_E10value_typeEPNSQ_ISL_E10value_typeEPSM_NS1_7vsmem_tEENKUlT_SK_SL_SM_E_clISE_PySF_SF_EESJ_SZ_SK_SL_SM_EUlSZ_E0_NS1_11comp_targetILNS1_3genE9ELNS1_11target_archE1100ELNS1_3gpuE3ELNS1_3repE0EEENS1_38merge_mergepath_config_static_selectorELNS0_4arch9wavefront6targetE1EEEvSL_,"axG",@progbits,_ZN7rocprim17ROCPRIM_400000_NS6detail17trampoline_kernelINS0_14default_configENS1_38merge_sort_block_merge_config_selectorIyNS0_10empty_typeEEEZZNS1_27merge_sort_block_merge_implIS3_N6thrust23THRUST_200600_302600_NS6detail15normal_iteratorINS9_10device_ptrIyEEEEPS5_jNS1_19radix_merge_compareILb0ELb1EyNS0_19identity_decomposerEEEEE10hipError_tT0_T1_T2_jT3_P12ihipStream_tbPNSt15iterator_traitsISK_E10value_typeEPNSQ_ISL_E10value_typeEPSM_NS1_7vsmem_tEENKUlT_SK_SL_SM_E_clISE_PySF_SF_EESJ_SZ_SK_SL_SM_EUlSZ_E0_NS1_11comp_targetILNS1_3genE9ELNS1_11target_archE1100ELNS1_3gpuE3ELNS1_3repE0EEENS1_38merge_mergepath_config_static_selectorELNS0_4arch9wavefront6targetE1EEEvSL_,comdat
.Lfunc_end827:
	.size	_ZN7rocprim17ROCPRIM_400000_NS6detail17trampoline_kernelINS0_14default_configENS1_38merge_sort_block_merge_config_selectorIyNS0_10empty_typeEEEZZNS1_27merge_sort_block_merge_implIS3_N6thrust23THRUST_200600_302600_NS6detail15normal_iteratorINS9_10device_ptrIyEEEEPS5_jNS1_19radix_merge_compareILb0ELb1EyNS0_19identity_decomposerEEEEE10hipError_tT0_T1_T2_jT3_P12ihipStream_tbPNSt15iterator_traitsISK_E10value_typeEPNSQ_ISL_E10value_typeEPSM_NS1_7vsmem_tEENKUlT_SK_SL_SM_E_clISE_PySF_SF_EESJ_SZ_SK_SL_SM_EUlSZ_E0_NS1_11comp_targetILNS1_3genE9ELNS1_11target_archE1100ELNS1_3gpuE3ELNS1_3repE0EEENS1_38merge_mergepath_config_static_selectorELNS0_4arch9wavefront6targetE1EEEvSL_, .Lfunc_end827-_ZN7rocprim17ROCPRIM_400000_NS6detail17trampoline_kernelINS0_14default_configENS1_38merge_sort_block_merge_config_selectorIyNS0_10empty_typeEEEZZNS1_27merge_sort_block_merge_implIS3_N6thrust23THRUST_200600_302600_NS6detail15normal_iteratorINS9_10device_ptrIyEEEEPS5_jNS1_19radix_merge_compareILb0ELb1EyNS0_19identity_decomposerEEEEE10hipError_tT0_T1_T2_jT3_P12ihipStream_tbPNSt15iterator_traitsISK_E10value_typeEPNSQ_ISL_E10value_typeEPSM_NS1_7vsmem_tEENKUlT_SK_SL_SM_E_clISE_PySF_SF_EESJ_SZ_SK_SL_SM_EUlSZ_E0_NS1_11comp_targetILNS1_3genE9ELNS1_11target_archE1100ELNS1_3gpuE3ELNS1_3repE0EEENS1_38merge_mergepath_config_static_selectorELNS0_4arch9wavefront6targetE1EEEvSL_
                                        ; -- End function
	.section	.AMDGPU.csdata,"",@progbits
; Kernel info:
; codeLenInByte = 0
; NumSgprs: 4
; NumVgprs: 0
; NumAgprs: 0
; TotalNumVgprs: 0
; ScratchSize: 0
; MemoryBound: 0
; FloatMode: 240
; IeeeMode: 1
; LDSByteSize: 0 bytes/workgroup (compile time only)
; SGPRBlocks: 0
; VGPRBlocks: 0
; NumSGPRsForWavesPerEU: 4
; NumVGPRsForWavesPerEU: 1
; AccumOffset: 4
; Occupancy: 8
; WaveLimiterHint : 0
; COMPUTE_PGM_RSRC2:SCRATCH_EN: 0
; COMPUTE_PGM_RSRC2:USER_SGPR: 6
; COMPUTE_PGM_RSRC2:TRAP_HANDLER: 0
; COMPUTE_PGM_RSRC2:TGID_X_EN: 1
; COMPUTE_PGM_RSRC2:TGID_Y_EN: 0
; COMPUTE_PGM_RSRC2:TGID_Z_EN: 0
; COMPUTE_PGM_RSRC2:TIDIG_COMP_CNT: 0
; COMPUTE_PGM_RSRC3_GFX90A:ACCUM_OFFSET: 0
; COMPUTE_PGM_RSRC3_GFX90A:TG_SPLIT: 0
	.section	.text._ZN7rocprim17ROCPRIM_400000_NS6detail17trampoline_kernelINS0_14default_configENS1_38merge_sort_block_merge_config_selectorIyNS0_10empty_typeEEEZZNS1_27merge_sort_block_merge_implIS3_N6thrust23THRUST_200600_302600_NS6detail15normal_iteratorINS9_10device_ptrIyEEEEPS5_jNS1_19radix_merge_compareILb0ELb1EyNS0_19identity_decomposerEEEEE10hipError_tT0_T1_T2_jT3_P12ihipStream_tbPNSt15iterator_traitsISK_E10value_typeEPNSQ_ISL_E10value_typeEPSM_NS1_7vsmem_tEENKUlT_SK_SL_SM_E_clISE_PySF_SF_EESJ_SZ_SK_SL_SM_EUlSZ_E0_NS1_11comp_targetILNS1_3genE8ELNS1_11target_archE1030ELNS1_3gpuE2ELNS1_3repE0EEENS1_38merge_mergepath_config_static_selectorELNS0_4arch9wavefront6targetE1EEEvSL_,"axG",@progbits,_ZN7rocprim17ROCPRIM_400000_NS6detail17trampoline_kernelINS0_14default_configENS1_38merge_sort_block_merge_config_selectorIyNS0_10empty_typeEEEZZNS1_27merge_sort_block_merge_implIS3_N6thrust23THRUST_200600_302600_NS6detail15normal_iteratorINS9_10device_ptrIyEEEEPS5_jNS1_19radix_merge_compareILb0ELb1EyNS0_19identity_decomposerEEEEE10hipError_tT0_T1_T2_jT3_P12ihipStream_tbPNSt15iterator_traitsISK_E10value_typeEPNSQ_ISL_E10value_typeEPSM_NS1_7vsmem_tEENKUlT_SK_SL_SM_E_clISE_PySF_SF_EESJ_SZ_SK_SL_SM_EUlSZ_E0_NS1_11comp_targetILNS1_3genE8ELNS1_11target_archE1030ELNS1_3gpuE2ELNS1_3repE0EEENS1_38merge_mergepath_config_static_selectorELNS0_4arch9wavefront6targetE1EEEvSL_,comdat
	.protected	_ZN7rocprim17ROCPRIM_400000_NS6detail17trampoline_kernelINS0_14default_configENS1_38merge_sort_block_merge_config_selectorIyNS0_10empty_typeEEEZZNS1_27merge_sort_block_merge_implIS3_N6thrust23THRUST_200600_302600_NS6detail15normal_iteratorINS9_10device_ptrIyEEEEPS5_jNS1_19radix_merge_compareILb0ELb1EyNS0_19identity_decomposerEEEEE10hipError_tT0_T1_T2_jT3_P12ihipStream_tbPNSt15iterator_traitsISK_E10value_typeEPNSQ_ISL_E10value_typeEPSM_NS1_7vsmem_tEENKUlT_SK_SL_SM_E_clISE_PySF_SF_EESJ_SZ_SK_SL_SM_EUlSZ_E0_NS1_11comp_targetILNS1_3genE8ELNS1_11target_archE1030ELNS1_3gpuE2ELNS1_3repE0EEENS1_38merge_mergepath_config_static_selectorELNS0_4arch9wavefront6targetE1EEEvSL_ ; -- Begin function _ZN7rocprim17ROCPRIM_400000_NS6detail17trampoline_kernelINS0_14default_configENS1_38merge_sort_block_merge_config_selectorIyNS0_10empty_typeEEEZZNS1_27merge_sort_block_merge_implIS3_N6thrust23THRUST_200600_302600_NS6detail15normal_iteratorINS9_10device_ptrIyEEEEPS5_jNS1_19radix_merge_compareILb0ELb1EyNS0_19identity_decomposerEEEEE10hipError_tT0_T1_T2_jT3_P12ihipStream_tbPNSt15iterator_traitsISK_E10value_typeEPNSQ_ISL_E10value_typeEPSM_NS1_7vsmem_tEENKUlT_SK_SL_SM_E_clISE_PySF_SF_EESJ_SZ_SK_SL_SM_EUlSZ_E0_NS1_11comp_targetILNS1_3genE8ELNS1_11target_archE1030ELNS1_3gpuE2ELNS1_3repE0EEENS1_38merge_mergepath_config_static_selectorELNS0_4arch9wavefront6targetE1EEEvSL_
	.globl	_ZN7rocprim17ROCPRIM_400000_NS6detail17trampoline_kernelINS0_14default_configENS1_38merge_sort_block_merge_config_selectorIyNS0_10empty_typeEEEZZNS1_27merge_sort_block_merge_implIS3_N6thrust23THRUST_200600_302600_NS6detail15normal_iteratorINS9_10device_ptrIyEEEEPS5_jNS1_19radix_merge_compareILb0ELb1EyNS0_19identity_decomposerEEEEE10hipError_tT0_T1_T2_jT3_P12ihipStream_tbPNSt15iterator_traitsISK_E10value_typeEPNSQ_ISL_E10value_typeEPSM_NS1_7vsmem_tEENKUlT_SK_SL_SM_E_clISE_PySF_SF_EESJ_SZ_SK_SL_SM_EUlSZ_E0_NS1_11comp_targetILNS1_3genE8ELNS1_11target_archE1030ELNS1_3gpuE2ELNS1_3repE0EEENS1_38merge_mergepath_config_static_selectorELNS0_4arch9wavefront6targetE1EEEvSL_
	.p2align	8
	.type	_ZN7rocprim17ROCPRIM_400000_NS6detail17trampoline_kernelINS0_14default_configENS1_38merge_sort_block_merge_config_selectorIyNS0_10empty_typeEEEZZNS1_27merge_sort_block_merge_implIS3_N6thrust23THRUST_200600_302600_NS6detail15normal_iteratorINS9_10device_ptrIyEEEEPS5_jNS1_19radix_merge_compareILb0ELb1EyNS0_19identity_decomposerEEEEE10hipError_tT0_T1_T2_jT3_P12ihipStream_tbPNSt15iterator_traitsISK_E10value_typeEPNSQ_ISL_E10value_typeEPSM_NS1_7vsmem_tEENKUlT_SK_SL_SM_E_clISE_PySF_SF_EESJ_SZ_SK_SL_SM_EUlSZ_E0_NS1_11comp_targetILNS1_3genE8ELNS1_11target_archE1030ELNS1_3gpuE2ELNS1_3repE0EEENS1_38merge_mergepath_config_static_selectorELNS0_4arch9wavefront6targetE1EEEvSL_,@function
_ZN7rocprim17ROCPRIM_400000_NS6detail17trampoline_kernelINS0_14default_configENS1_38merge_sort_block_merge_config_selectorIyNS0_10empty_typeEEEZZNS1_27merge_sort_block_merge_implIS3_N6thrust23THRUST_200600_302600_NS6detail15normal_iteratorINS9_10device_ptrIyEEEEPS5_jNS1_19radix_merge_compareILb0ELb1EyNS0_19identity_decomposerEEEEE10hipError_tT0_T1_T2_jT3_P12ihipStream_tbPNSt15iterator_traitsISK_E10value_typeEPNSQ_ISL_E10value_typeEPSM_NS1_7vsmem_tEENKUlT_SK_SL_SM_E_clISE_PySF_SF_EESJ_SZ_SK_SL_SM_EUlSZ_E0_NS1_11comp_targetILNS1_3genE8ELNS1_11target_archE1030ELNS1_3gpuE2ELNS1_3repE0EEENS1_38merge_mergepath_config_static_selectorELNS0_4arch9wavefront6targetE1EEEvSL_: ; @_ZN7rocprim17ROCPRIM_400000_NS6detail17trampoline_kernelINS0_14default_configENS1_38merge_sort_block_merge_config_selectorIyNS0_10empty_typeEEEZZNS1_27merge_sort_block_merge_implIS3_N6thrust23THRUST_200600_302600_NS6detail15normal_iteratorINS9_10device_ptrIyEEEEPS5_jNS1_19radix_merge_compareILb0ELb1EyNS0_19identity_decomposerEEEEE10hipError_tT0_T1_T2_jT3_P12ihipStream_tbPNSt15iterator_traitsISK_E10value_typeEPNSQ_ISL_E10value_typeEPSM_NS1_7vsmem_tEENKUlT_SK_SL_SM_E_clISE_PySF_SF_EESJ_SZ_SK_SL_SM_EUlSZ_E0_NS1_11comp_targetILNS1_3genE8ELNS1_11target_archE1030ELNS1_3gpuE2ELNS1_3repE0EEENS1_38merge_mergepath_config_static_selectorELNS0_4arch9wavefront6targetE1EEEvSL_
; %bb.0:
	.section	.rodata,"a",@progbits
	.p2align	6, 0x0
	.amdhsa_kernel _ZN7rocprim17ROCPRIM_400000_NS6detail17trampoline_kernelINS0_14default_configENS1_38merge_sort_block_merge_config_selectorIyNS0_10empty_typeEEEZZNS1_27merge_sort_block_merge_implIS3_N6thrust23THRUST_200600_302600_NS6detail15normal_iteratorINS9_10device_ptrIyEEEEPS5_jNS1_19radix_merge_compareILb0ELb1EyNS0_19identity_decomposerEEEEE10hipError_tT0_T1_T2_jT3_P12ihipStream_tbPNSt15iterator_traitsISK_E10value_typeEPNSQ_ISL_E10value_typeEPSM_NS1_7vsmem_tEENKUlT_SK_SL_SM_E_clISE_PySF_SF_EESJ_SZ_SK_SL_SM_EUlSZ_E0_NS1_11comp_targetILNS1_3genE8ELNS1_11target_archE1030ELNS1_3gpuE2ELNS1_3repE0EEENS1_38merge_mergepath_config_static_selectorELNS0_4arch9wavefront6targetE1EEEvSL_
		.amdhsa_group_segment_fixed_size 0
		.amdhsa_private_segment_fixed_size 0
		.amdhsa_kernarg_size 72
		.amdhsa_user_sgpr_count 6
		.amdhsa_user_sgpr_private_segment_buffer 1
		.amdhsa_user_sgpr_dispatch_ptr 0
		.amdhsa_user_sgpr_queue_ptr 0
		.amdhsa_user_sgpr_kernarg_segment_ptr 1
		.amdhsa_user_sgpr_dispatch_id 0
		.amdhsa_user_sgpr_flat_scratch_init 0
		.amdhsa_user_sgpr_kernarg_preload_length 0
		.amdhsa_user_sgpr_kernarg_preload_offset 0
		.amdhsa_user_sgpr_private_segment_size 0
		.amdhsa_uses_dynamic_stack 0
		.amdhsa_system_sgpr_private_segment_wavefront_offset 0
		.amdhsa_system_sgpr_workgroup_id_x 1
		.amdhsa_system_sgpr_workgroup_id_y 0
		.amdhsa_system_sgpr_workgroup_id_z 0
		.amdhsa_system_sgpr_workgroup_info 0
		.amdhsa_system_vgpr_workitem_id 0
		.amdhsa_next_free_vgpr 1
		.amdhsa_next_free_sgpr 0
		.amdhsa_accum_offset 4
		.amdhsa_reserve_vcc 0
		.amdhsa_reserve_flat_scratch 0
		.amdhsa_float_round_mode_32 0
		.amdhsa_float_round_mode_16_64 0
		.amdhsa_float_denorm_mode_32 3
		.amdhsa_float_denorm_mode_16_64 3
		.amdhsa_dx10_clamp 1
		.amdhsa_ieee_mode 1
		.amdhsa_fp16_overflow 0
		.amdhsa_tg_split 0
		.amdhsa_exception_fp_ieee_invalid_op 0
		.amdhsa_exception_fp_denorm_src 0
		.amdhsa_exception_fp_ieee_div_zero 0
		.amdhsa_exception_fp_ieee_overflow 0
		.amdhsa_exception_fp_ieee_underflow 0
		.amdhsa_exception_fp_ieee_inexact 0
		.amdhsa_exception_int_div_zero 0
	.end_amdhsa_kernel
	.section	.text._ZN7rocprim17ROCPRIM_400000_NS6detail17trampoline_kernelINS0_14default_configENS1_38merge_sort_block_merge_config_selectorIyNS0_10empty_typeEEEZZNS1_27merge_sort_block_merge_implIS3_N6thrust23THRUST_200600_302600_NS6detail15normal_iteratorINS9_10device_ptrIyEEEEPS5_jNS1_19radix_merge_compareILb0ELb1EyNS0_19identity_decomposerEEEEE10hipError_tT0_T1_T2_jT3_P12ihipStream_tbPNSt15iterator_traitsISK_E10value_typeEPNSQ_ISL_E10value_typeEPSM_NS1_7vsmem_tEENKUlT_SK_SL_SM_E_clISE_PySF_SF_EESJ_SZ_SK_SL_SM_EUlSZ_E0_NS1_11comp_targetILNS1_3genE8ELNS1_11target_archE1030ELNS1_3gpuE2ELNS1_3repE0EEENS1_38merge_mergepath_config_static_selectorELNS0_4arch9wavefront6targetE1EEEvSL_,"axG",@progbits,_ZN7rocprim17ROCPRIM_400000_NS6detail17trampoline_kernelINS0_14default_configENS1_38merge_sort_block_merge_config_selectorIyNS0_10empty_typeEEEZZNS1_27merge_sort_block_merge_implIS3_N6thrust23THRUST_200600_302600_NS6detail15normal_iteratorINS9_10device_ptrIyEEEEPS5_jNS1_19radix_merge_compareILb0ELb1EyNS0_19identity_decomposerEEEEE10hipError_tT0_T1_T2_jT3_P12ihipStream_tbPNSt15iterator_traitsISK_E10value_typeEPNSQ_ISL_E10value_typeEPSM_NS1_7vsmem_tEENKUlT_SK_SL_SM_E_clISE_PySF_SF_EESJ_SZ_SK_SL_SM_EUlSZ_E0_NS1_11comp_targetILNS1_3genE8ELNS1_11target_archE1030ELNS1_3gpuE2ELNS1_3repE0EEENS1_38merge_mergepath_config_static_selectorELNS0_4arch9wavefront6targetE1EEEvSL_,comdat
.Lfunc_end828:
	.size	_ZN7rocprim17ROCPRIM_400000_NS6detail17trampoline_kernelINS0_14default_configENS1_38merge_sort_block_merge_config_selectorIyNS0_10empty_typeEEEZZNS1_27merge_sort_block_merge_implIS3_N6thrust23THRUST_200600_302600_NS6detail15normal_iteratorINS9_10device_ptrIyEEEEPS5_jNS1_19radix_merge_compareILb0ELb1EyNS0_19identity_decomposerEEEEE10hipError_tT0_T1_T2_jT3_P12ihipStream_tbPNSt15iterator_traitsISK_E10value_typeEPNSQ_ISL_E10value_typeEPSM_NS1_7vsmem_tEENKUlT_SK_SL_SM_E_clISE_PySF_SF_EESJ_SZ_SK_SL_SM_EUlSZ_E0_NS1_11comp_targetILNS1_3genE8ELNS1_11target_archE1030ELNS1_3gpuE2ELNS1_3repE0EEENS1_38merge_mergepath_config_static_selectorELNS0_4arch9wavefront6targetE1EEEvSL_, .Lfunc_end828-_ZN7rocprim17ROCPRIM_400000_NS6detail17trampoline_kernelINS0_14default_configENS1_38merge_sort_block_merge_config_selectorIyNS0_10empty_typeEEEZZNS1_27merge_sort_block_merge_implIS3_N6thrust23THRUST_200600_302600_NS6detail15normal_iteratorINS9_10device_ptrIyEEEEPS5_jNS1_19radix_merge_compareILb0ELb1EyNS0_19identity_decomposerEEEEE10hipError_tT0_T1_T2_jT3_P12ihipStream_tbPNSt15iterator_traitsISK_E10value_typeEPNSQ_ISL_E10value_typeEPSM_NS1_7vsmem_tEENKUlT_SK_SL_SM_E_clISE_PySF_SF_EESJ_SZ_SK_SL_SM_EUlSZ_E0_NS1_11comp_targetILNS1_3genE8ELNS1_11target_archE1030ELNS1_3gpuE2ELNS1_3repE0EEENS1_38merge_mergepath_config_static_selectorELNS0_4arch9wavefront6targetE1EEEvSL_
                                        ; -- End function
	.section	.AMDGPU.csdata,"",@progbits
; Kernel info:
; codeLenInByte = 0
; NumSgprs: 4
; NumVgprs: 0
; NumAgprs: 0
; TotalNumVgprs: 0
; ScratchSize: 0
; MemoryBound: 0
; FloatMode: 240
; IeeeMode: 1
; LDSByteSize: 0 bytes/workgroup (compile time only)
; SGPRBlocks: 0
; VGPRBlocks: 0
; NumSGPRsForWavesPerEU: 4
; NumVGPRsForWavesPerEU: 1
; AccumOffset: 4
; Occupancy: 8
; WaveLimiterHint : 0
; COMPUTE_PGM_RSRC2:SCRATCH_EN: 0
; COMPUTE_PGM_RSRC2:USER_SGPR: 6
; COMPUTE_PGM_RSRC2:TRAP_HANDLER: 0
; COMPUTE_PGM_RSRC2:TGID_X_EN: 1
; COMPUTE_PGM_RSRC2:TGID_Y_EN: 0
; COMPUTE_PGM_RSRC2:TGID_Z_EN: 0
; COMPUTE_PGM_RSRC2:TIDIG_COMP_CNT: 0
; COMPUTE_PGM_RSRC3_GFX90A:ACCUM_OFFSET: 0
; COMPUTE_PGM_RSRC3_GFX90A:TG_SPLIT: 0
	.section	.text._ZN7rocprim17ROCPRIM_400000_NS6detail17trampoline_kernelINS0_14default_configENS1_38merge_sort_block_merge_config_selectorIyNS0_10empty_typeEEEZZNS1_27merge_sort_block_merge_implIS3_N6thrust23THRUST_200600_302600_NS6detail15normal_iteratorINS9_10device_ptrIyEEEEPS5_jNS1_19radix_merge_compareILb0ELb1EyNS0_19identity_decomposerEEEEE10hipError_tT0_T1_T2_jT3_P12ihipStream_tbPNSt15iterator_traitsISK_E10value_typeEPNSQ_ISL_E10value_typeEPSM_NS1_7vsmem_tEENKUlT_SK_SL_SM_E_clISE_PySF_SF_EESJ_SZ_SK_SL_SM_EUlSZ_E1_NS1_11comp_targetILNS1_3genE0ELNS1_11target_archE4294967295ELNS1_3gpuE0ELNS1_3repE0EEENS1_36merge_oddeven_config_static_selectorELNS0_4arch9wavefront6targetE1EEEvSL_,"axG",@progbits,_ZN7rocprim17ROCPRIM_400000_NS6detail17trampoline_kernelINS0_14default_configENS1_38merge_sort_block_merge_config_selectorIyNS0_10empty_typeEEEZZNS1_27merge_sort_block_merge_implIS3_N6thrust23THRUST_200600_302600_NS6detail15normal_iteratorINS9_10device_ptrIyEEEEPS5_jNS1_19radix_merge_compareILb0ELb1EyNS0_19identity_decomposerEEEEE10hipError_tT0_T1_T2_jT3_P12ihipStream_tbPNSt15iterator_traitsISK_E10value_typeEPNSQ_ISL_E10value_typeEPSM_NS1_7vsmem_tEENKUlT_SK_SL_SM_E_clISE_PySF_SF_EESJ_SZ_SK_SL_SM_EUlSZ_E1_NS1_11comp_targetILNS1_3genE0ELNS1_11target_archE4294967295ELNS1_3gpuE0ELNS1_3repE0EEENS1_36merge_oddeven_config_static_selectorELNS0_4arch9wavefront6targetE1EEEvSL_,comdat
	.protected	_ZN7rocprim17ROCPRIM_400000_NS6detail17trampoline_kernelINS0_14default_configENS1_38merge_sort_block_merge_config_selectorIyNS0_10empty_typeEEEZZNS1_27merge_sort_block_merge_implIS3_N6thrust23THRUST_200600_302600_NS6detail15normal_iteratorINS9_10device_ptrIyEEEEPS5_jNS1_19radix_merge_compareILb0ELb1EyNS0_19identity_decomposerEEEEE10hipError_tT0_T1_T2_jT3_P12ihipStream_tbPNSt15iterator_traitsISK_E10value_typeEPNSQ_ISL_E10value_typeEPSM_NS1_7vsmem_tEENKUlT_SK_SL_SM_E_clISE_PySF_SF_EESJ_SZ_SK_SL_SM_EUlSZ_E1_NS1_11comp_targetILNS1_3genE0ELNS1_11target_archE4294967295ELNS1_3gpuE0ELNS1_3repE0EEENS1_36merge_oddeven_config_static_selectorELNS0_4arch9wavefront6targetE1EEEvSL_ ; -- Begin function _ZN7rocprim17ROCPRIM_400000_NS6detail17trampoline_kernelINS0_14default_configENS1_38merge_sort_block_merge_config_selectorIyNS0_10empty_typeEEEZZNS1_27merge_sort_block_merge_implIS3_N6thrust23THRUST_200600_302600_NS6detail15normal_iteratorINS9_10device_ptrIyEEEEPS5_jNS1_19radix_merge_compareILb0ELb1EyNS0_19identity_decomposerEEEEE10hipError_tT0_T1_T2_jT3_P12ihipStream_tbPNSt15iterator_traitsISK_E10value_typeEPNSQ_ISL_E10value_typeEPSM_NS1_7vsmem_tEENKUlT_SK_SL_SM_E_clISE_PySF_SF_EESJ_SZ_SK_SL_SM_EUlSZ_E1_NS1_11comp_targetILNS1_3genE0ELNS1_11target_archE4294967295ELNS1_3gpuE0ELNS1_3repE0EEENS1_36merge_oddeven_config_static_selectorELNS0_4arch9wavefront6targetE1EEEvSL_
	.globl	_ZN7rocprim17ROCPRIM_400000_NS6detail17trampoline_kernelINS0_14default_configENS1_38merge_sort_block_merge_config_selectorIyNS0_10empty_typeEEEZZNS1_27merge_sort_block_merge_implIS3_N6thrust23THRUST_200600_302600_NS6detail15normal_iteratorINS9_10device_ptrIyEEEEPS5_jNS1_19radix_merge_compareILb0ELb1EyNS0_19identity_decomposerEEEEE10hipError_tT0_T1_T2_jT3_P12ihipStream_tbPNSt15iterator_traitsISK_E10value_typeEPNSQ_ISL_E10value_typeEPSM_NS1_7vsmem_tEENKUlT_SK_SL_SM_E_clISE_PySF_SF_EESJ_SZ_SK_SL_SM_EUlSZ_E1_NS1_11comp_targetILNS1_3genE0ELNS1_11target_archE4294967295ELNS1_3gpuE0ELNS1_3repE0EEENS1_36merge_oddeven_config_static_selectorELNS0_4arch9wavefront6targetE1EEEvSL_
	.p2align	8
	.type	_ZN7rocprim17ROCPRIM_400000_NS6detail17trampoline_kernelINS0_14default_configENS1_38merge_sort_block_merge_config_selectorIyNS0_10empty_typeEEEZZNS1_27merge_sort_block_merge_implIS3_N6thrust23THRUST_200600_302600_NS6detail15normal_iteratorINS9_10device_ptrIyEEEEPS5_jNS1_19radix_merge_compareILb0ELb1EyNS0_19identity_decomposerEEEEE10hipError_tT0_T1_T2_jT3_P12ihipStream_tbPNSt15iterator_traitsISK_E10value_typeEPNSQ_ISL_E10value_typeEPSM_NS1_7vsmem_tEENKUlT_SK_SL_SM_E_clISE_PySF_SF_EESJ_SZ_SK_SL_SM_EUlSZ_E1_NS1_11comp_targetILNS1_3genE0ELNS1_11target_archE4294967295ELNS1_3gpuE0ELNS1_3repE0EEENS1_36merge_oddeven_config_static_selectorELNS0_4arch9wavefront6targetE1EEEvSL_,@function
_ZN7rocprim17ROCPRIM_400000_NS6detail17trampoline_kernelINS0_14default_configENS1_38merge_sort_block_merge_config_selectorIyNS0_10empty_typeEEEZZNS1_27merge_sort_block_merge_implIS3_N6thrust23THRUST_200600_302600_NS6detail15normal_iteratorINS9_10device_ptrIyEEEEPS5_jNS1_19radix_merge_compareILb0ELb1EyNS0_19identity_decomposerEEEEE10hipError_tT0_T1_T2_jT3_P12ihipStream_tbPNSt15iterator_traitsISK_E10value_typeEPNSQ_ISL_E10value_typeEPSM_NS1_7vsmem_tEENKUlT_SK_SL_SM_E_clISE_PySF_SF_EESJ_SZ_SK_SL_SM_EUlSZ_E1_NS1_11comp_targetILNS1_3genE0ELNS1_11target_archE4294967295ELNS1_3gpuE0ELNS1_3repE0EEENS1_36merge_oddeven_config_static_selectorELNS0_4arch9wavefront6targetE1EEEvSL_: ; @_ZN7rocprim17ROCPRIM_400000_NS6detail17trampoline_kernelINS0_14default_configENS1_38merge_sort_block_merge_config_selectorIyNS0_10empty_typeEEEZZNS1_27merge_sort_block_merge_implIS3_N6thrust23THRUST_200600_302600_NS6detail15normal_iteratorINS9_10device_ptrIyEEEEPS5_jNS1_19radix_merge_compareILb0ELb1EyNS0_19identity_decomposerEEEEE10hipError_tT0_T1_T2_jT3_P12ihipStream_tbPNSt15iterator_traitsISK_E10value_typeEPNSQ_ISL_E10value_typeEPSM_NS1_7vsmem_tEENKUlT_SK_SL_SM_E_clISE_PySF_SF_EESJ_SZ_SK_SL_SM_EUlSZ_E1_NS1_11comp_targetILNS1_3genE0ELNS1_11target_archE4294967295ELNS1_3gpuE0ELNS1_3repE0EEENS1_36merge_oddeven_config_static_selectorELNS0_4arch9wavefront6targetE1EEEvSL_
; %bb.0:
	.section	.rodata,"a",@progbits
	.p2align	6, 0x0
	.amdhsa_kernel _ZN7rocprim17ROCPRIM_400000_NS6detail17trampoline_kernelINS0_14default_configENS1_38merge_sort_block_merge_config_selectorIyNS0_10empty_typeEEEZZNS1_27merge_sort_block_merge_implIS3_N6thrust23THRUST_200600_302600_NS6detail15normal_iteratorINS9_10device_ptrIyEEEEPS5_jNS1_19radix_merge_compareILb0ELb1EyNS0_19identity_decomposerEEEEE10hipError_tT0_T1_T2_jT3_P12ihipStream_tbPNSt15iterator_traitsISK_E10value_typeEPNSQ_ISL_E10value_typeEPSM_NS1_7vsmem_tEENKUlT_SK_SL_SM_E_clISE_PySF_SF_EESJ_SZ_SK_SL_SM_EUlSZ_E1_NS1_11comp_targetILNS1_3genE0ELNS1_11target_archE4294967295ELNS1_3gpuE0ELNS1_3repE0EEENS1_36merge_oddeven_config_static_selectorELNS0_4arch9wavefront6targetE1EEEvSL_
		.amdhsa_group_segment_fixed_size 0
		.amdhsa_private_segment_fixed_size 0
		.amdhsa_kernarg_size 48
		.amdhsa_user_sgpr_count 6
		.amdhsa_user_sgpr_private_segment_buffer 1
		.amdhsa_user_sgpr_dispatch_ptr 0
		.amdhsa_user_sgpr_queue_ptr 0
		.amdhsa_user_sgpr_kernarg_segment_ptr 1
		.amdhsa_user_sgpr_dispatch_id 0
		.amdhsa_user_sgpr_flat_scratch_init 0
		.amdhsa_user_sgpr_kernarg_preload_length 0
		.amdhsa_user_sgpr_kernarg_preload_offset 0
		.amdhsa_user_sgpr_private_segment_size 0
		.amdhsa_uses_dynamic_stack 0
		.amdhsa_system_sgpr_private_segment_wavefront_offset 0
		.amdhsa_system_sgpr_workgroup_id_x 1
		.amdhsa_system_sgpr_workgroup_id_y 0
		.amdhsa_system_sgpr_workgroup_id_z 0
		.amdhsa_system_sgpr_workgroup_info 0
		.amdhsa_system_vgpr_workitem_id 0
		.amdhsa_next_free_vgpr 1
		.amdhsa_next_free_sgpr 0
		.amdhsa_accum_offset 4
		.amdhsa_reserve_vcc 0
		.amdhsa_reserve_flat_scratch 0
		.amdhsa_float_round_mode_32 0
		.amdhsa_float_round_mode_16_64 0
		.amdhsa_float_denorm_mode_32 3
		.amdhsa_float_denorm_mode_16_64 3
		.amdhsa_dx10_clamp 1
		.amdhsa_ieee_mode 1
		.amdhsa_fp16_overflow 0
		.amdhsa_tg_split 0
		.amdhsa_exception_fp_ieee_invalid_op 0
		.amdhsa_exception_fp_denorm_src 0
		.amdhsa_exception_fp_ieee_div_zero 0
		.amdhsa_exception_fp_ieee_overflow 0
		.amdhsa_exception_fp_ieee_underflow 0
		.amdhsa_exception_fp_ieee_inexact 0
		.amdhsa_exception_int_div_zero 0
	.end_amdhsa_kernel
	.section	.text._ZN7rocprim17ROCPRIM_400000_NS6detail17trampoline_kernelINS0_14default_configENS1_38merge_sort_block_merge_config_selectorIyNS0_10empty_typeEEEZZNS1_27merge_sort_block_merge_implIS3_N6thrust23THRUST_200600_302600_NS6detail15normal_iteratorINS9_10device_ptrIyEEEEPS5_jNS1_19radix_merge_compareILb0ELb1EyNS0_19identity_decomposerEEEEE10hipError_tT0_T1_T2_jT3_P12ihipStream_tbPNSt15iterator_traitsISK_E10value_typeEPNSQ_ISL_E10value_typeEPSM_NS1_7vsmem_tEENKUlT_SK_SL_SM_E_clISE_PySF_SF_EESJ_SZ_SK_SL_SM_EUlSZ_E1_NS1_11comp_targetILNS1_3genE0ELNS1_11target_archE4294967295ELNS1_3gpuE0ELNS1_3repE0EEENS1_36merge_oddeven_config_static_selectorELNS0_4arch9wavefront6targetE1EEEvSL_,"axG",@progbits,_ZN7rocprim17ROCPRIM_400000_NS6detail17trampoline_kernelINS0_14default_configENS1_38merge_sort_block_merge_config_selectorIyNS0_10empty_typeEEEZZNS1_27merge_sort_block_merge_implIS3_N6thrust23THRUST_200600_302600_NS6detail15normal_iteratorINS9_10device_ptrIyEEEEPS5_jNS1_19radix_merge_compareILb0ELb1EyNS0_19identity_decomposerEEEEE10hipError_tT0_T1_T2_jT3_P12ihipStream_tbPNSt15iterator_traitsISK_E10value_typeEPNSQ_ISL_E10value_typeEPSM_NS1_7vsmem_tEENKUlT_SK_SL_SM_E_clISE_PySF_SF_EESJ_SZ_SK_SL_SM_EUlSZ_E1_NS1_11comp_targetILNS1_3genE0ELNS1_11target_archE4294967295ELNS1_3gpuE0ELNS1_3repE0EEENS1_36merge_oddeven_config_static_selectorELNS0_4arch9wavefront6targetE1EEEvSL_,comdat
.Lfunc_end829:
	.size	_ZN7rocprim17ROCPRIM_400000_NS6detail17trampoline_kernelINS0_14default_configENS1_38merge_sort_block_merge_config_selectorIyNS0_10empty_typeEEEZZNS1_27merge_sort_block_merge_implIS3_N6thrust23THRUST_200600_302600_NS6detail15normal_iteratorINS9_10device_ptrIyEEEEPS5_jNS1_19radix_merge_compareILb0ELb1EyNS0_19identity_decomposerEEEEE10hipError_tT0_T1_T2_jT3_P12ihipStream_tbPNSt15iterator_traitsISK_E10value_typeEPNSQ_ISL_E10value_typeEPSM_NS1_7vsmem_tEENKUlT_SK_SL_SM_E_clISE_PySF_SF_EESJ_SZ_SK_SL_SM_EUlSZ_E1_NS1_11comp_targetILNS1_3genE0ELNS1_11target_archE4294967295ELNS1_3gpuE0ELNS1_3repE0EEENS1_36merge_oddeven_config_static_selectorELNS0_4arch9wavefront6targetE1EEEvSL_, .Lfunc_end829-_ZN7rocprim17ROCPRIM_400000_NS6detail17trampoline_kernelINS0_14default_configENS1_38merge_sort_block_merge_config_selectorIyNS0_10empty_typeEEEZZNS1_27merge_sort_block_merge_implIS3_N6thrust23THRUST_200600_302600_NS6detail15normal_iteratorINS9_10device_ptrIyEEEEPS5_jNS1_19radix_merge_compareILb0ELb1EyNS0_19identity_decomposerEEEEE10hipError_tT0_T1_T2_jT3_P12ihipStream_tbPNSt15iterator_traitsISK_E10value_typeEPNSQ_ISL_E10value_typeEPSM_NS1_7vsmem_tEENKUlT_SK_SL_SM_E_clISE_PySF_SF_EESJ_SZ_SK_SL_SM_EUlSZ_E1_NS1_11comp_targetILNS1_3genE0ELNS1_11target_archE4294967295ELNS1_3gpuE0ELNS1_3repE0EEENS1_36merge_oddeven_config_static_selectorELNS0_4arch9wavefront6targetE1EEEvSL_
                                        ; -- End function
	.section	.AMDGPU.csdata,"",@progbits
; Kernel info:
; codeLenInByte = 0
; NumSgprs: 4
; NumVgprs: 0
; NumAgprs: 0
; TotalNumVgprs: 0
; ScratchSize: 0
; MemoryBound: 0
; FloatMode: 240
; IeeeMode: 1
; LDSByteSize: 0 bytes/workgroup (compile time only)
; SGPRBlocks: 0
; VGPRBlocks: 0
; NumSGPRsForWavesPerEU: 4
; NumVGPRsForWavesPerEU: 1
; AccumOffset: 4
; Occupancy: 8
; WaveLimiterHint : 0
; COMPUTE_PGM_RSRC2:SCRATCH_EN: 0
; COMPUTE_PGM_RSRC2:USER_SGPR: 6
; COMPUTE_PGM_RSRC2:TRAP_HANDLER: 0
; COMPUTE_PGM_RSRC2:TGID_X_EN: 1
; COMPUTE_PGM_RSRC2:TGID_Y_EN: 0
; COMPUTE_PGM_RSRC2:TGID_Z_EN: 0
; COMPUTE_PGM_RSRC2:TIDIG_COMP_CNT: 0
; COMPUTE_PGM_RSRC3_GFX90A:ACCUM_OFFSET: 0
; COMPUTE_PGM_RSRC3_GFX90A:TG_SPLIT: 0
	.section	.text._ZN7rocprim17ROCPRIM_400000_NS6detail17trampoline_kernelINS0_14default_configENS1_38merge_sort_block_merge_config_selectorIyNS0_10empty_typeEEEZZNS1_27merge_sort_block_merge_implIS3_N6thrust23THRUST_200600_302600_NS6detail15normal_iteratorINS9_10device_ptrIyEEEEPS5_jNS1_19radix_merge_compareILb0ELb1EyNS0_19identity_decomposerEEEEE10hipError_tT0_T1_T2_jT3_P12ihipStream_tbPNSt15iterator_traitsISK_E10value_typeEPNSQ_ISL_E10value_typeEPSM_NS1_7vsmem_tEENKUlT_SK_SL_SM_E_clISE_PySF_SF_EESJ_SZ_SK_SL_SM_EUlSZ_E1_NS1_11comp_targetILNS1_3genE10ELNS1_11target_archE1201ELNS1_3gpuE5ELNS1_3repE0EEENS1_36merge_oddeven_config_static_selectorELNS0_4arch9wavefront6targetE1EEEvSL_,"axG",@progbits,_ZN7rocprim17ROCPRIM_400000_NS6detail17trampoline_kernelINS0_14default_configENS1_38merge_sort_block_merge_config_selectorIyNS0_10empty_typeEEEZZNS1_27merge_sort_block_merge_implIS3_N6thrust23THRUST_200600_302600_NS6detail15normal_iteratorINS9_10device_ptrIyEEEEPS5_jNS1_19radix_merge_compareILb0ELb1EyNS0_19identity_decomposerEEEEE10hipError_tT0_T1_T2_jT3_P12ihipStream_tbPNSt15iterator_traitsISK_E10value_typeEPNSQ_ISL_E10value_typeEPSM_NS1_7vsmem_tEENKUlT_SK_SL_SM_E_clISE_PySF_SF_EESJ_SZ_SK_SL_SM_EUlSZ_E1_NS1_11comp_targetILNS1_3genE10ELNS1_11target_archE1201ELNS1_3gpuE5ELNS1_3repE0EEENS1_36merge_oddeven_config_static_selectorELNS0_4arch9wavefront6targetE1EEEvSL_,comdat
	.protected	_ZN7rocprim17ROCPRIM_400000_NS6detail17trampoline_kernelINS0_14default_configENS1_38merge_sort_block_merge_config_selectorIyNS0_10empty_typeEEEZZNS1_27merge_sort_block_merge_implIS3_N6thrust23THRUST_200600_302600_NS6detail15normal_iteratorINS9_10device_ptrIyEEEEPS5_jNS1_19radix_merge_compareILb0ELb1EyNS0_19identity_decomposerEEEEE10hipError_tT0_T1_T2_jT3_P12ihipStream_tbPNSt15iterator_traitsISK_E10value_typeEPNSQ_ISL_E10value_typeEPSM_NS1_7vsmem_tEENKUlT_SK_SL_SM_E_clISE_PySF_SF_EESJ_SZ_SK_SL_SM_EUlSZ_E1_NS1_11comp_targetILNS1_3genE10ELNS1_11target_archE1201ELNS1_3gpuE5ELNS1_3repE0EEENS1_36merge_oddeven_config_static_selectorELNS0_4arch9wavefront6targetE1EEEvSL_ ; -- Begin function _ZN7rocprim17ROCPRIM_400000_NS6detail17trampoline_kernelINS0_14default_configENS1_38merge_sort_block_merge_config_selectorIyNS0_10empty_typeEEEZZNS1_27merge_sort_block_merge_implIS3_N6thrust23THRUST_200600_302600_NS6detail15normal_iteratorINS9_10device_ptrIyEEEEPS5_jNS1_19radix_merge_compareILb0ELb1EyNS0_19identity_decomposerEEEEE10hipError_tT0_T1_T2_jT3_P12ihipStream_tbPNSt15iterator_traitsISK_E10value_typeEPNSQ_ISL_E10value_typeEPSM_NS1_7vsmem_tEENKUlT_SK_SL_SM_E_clISE_PySF_SF_EESJ_SZ_SK_SL_SM_EUlSZ_E1_NS1_11comp_targetILNS1_3genE10ELNS1_11target_archE1201ELNS1_3gpuE5ELNS1_3repE0EEENS1_36merge_oddeven_config_static_selectorELNS0_4arch9wavefront6targetE1EEEvSL_
	.globl	_ZN7rocprim17ROCPRIM_400000_NS6detail17trampoline_kernelINS0_14default_configENS1_38merge_sort_block_merge_config_selectorIyNS0_10empty_typeEEEZZNS1_27merge_sort_block_merge_implIS3_N6thrust23THRUST_200600_302600_NS6detail15normal_iteratorINS9_10device_ptrIyEEEEPS5_jNS1_19radix_merge_compareILb0ELb1EyNS0_19identity_decomposerEEEEE10hipError_tT0_T1_T2_jT3_P12ihipStream_tbPNSt15iterator_traitsISK_E10value_typeEPNSQ_ISL_E10value_typeEPSM_NS1_7vsmem_tEENKUlT_SK_SL_SM_E_clISE_PySF_SF_EESJ_SZ_SK_SL_SM_EUlSZ_E1_NS1_11comp_targetILNS1_3genE10ELNS1_11target_archE1201ELNS1_3gpuE5ELNS1_3repE0EEENS1_36merge_oddeven_config_static_selectorELNS0_4arch9wavefront6targetE1EEEvSL_
	.p2align	8
	.type	_ZN7rocprim17ROCPRIM_400000_NS6detail17trampoline_kernelINS0_14default_configENS1_38merge_sort_block_merge_config_selectorIyNS0_10empty_typeEEEZZNS1_27merge_sort_block_merge_implIS3_N6thrust23THRUST_200600_302600_NS6detail15normal_iteratorINS9_10device_ptrIyEEEEPS5_jNS1_19radix_merge_compareILb0ELb1EyNS0_19identity_decomposerEEEEE10hipError_tT0_T1_T2_jT3_P12ihipStream_tbPNSt15iterator_traitsISK_E10value_typeEPNSQ_ISL_E10value_typeEPSM_NS1_7vsmem_tEENKUlT_SK_SL_SM_E_clISE_PySF_SF_EESJ_SZ_SK_SL_SM_EUlSZ_E1_NS1_11comp_targetILNS1_3genE10ELNS1_11target_archE1201ELNS1_3gpuE5ELNS1_3repE0EEENS1_36merge_oddeven_config_static_selectorELNS0_4arch9wavefront6targetE1EEEvSL_,@function
_ZN7rocprim17ROCPRIM_400000_NS6detail17trampoline_kernelINS0_14default_configENS1_38merge_sort_block_merge_config_selectorIyNS0_10empty_typeEEEZZNS1_27merge_sort_block_merge_implIS3_N6thrust23THRUST_200600_302600_NS6detail15normal_iteratorINS9_10device_ptrIyEEEEPS5_jNS1_19radix_merge_compareILb0ELb1EyNS0_19identity_decomposerEEEEE10hipError_tT0_T1_T2_jT3_P12ihipStream_tbPNSt15iterator_traitsISK_E10value_typeEPNSQ_ISL_E10value_typeEPSM_NS1_7vsmem_tEENKUlT_SK_SL_SM_E_clISE_PySF_SF_EESJ_SZ_SK_SL_SM_EUlSZ_E1_NS1_11comp_targetILNS1_3genE10ELNS1_11target_archE1201ELNS1_3gpuE5ELNS1_3repE0EEENS1_36merge_oddeven_config_static_selectorELNS0_4arch9wavefront6targetE1EEEvSL_: ; @_ZN7rocprim17ROCPRIM_400000_NS6detail17trampoline_kernelINS0_14default_configENS1_38merge_sort_block_merge_config_selectorIyNS0_10empty_typeEEEZZNS1_27merge_sort_block_merge_implIS3_N6thrust23THRUST_200600_302600_NS6detail15normal_iteratorINS9_10device_ptrIyEEEEPS5_jNS1_19radix_merge_compareILb0ELb1EyNS0_19identity_decomposerEEEEE10hipError_tT0_T1_T2_jT3_P12ihipStream_tbPNSt15iterator_traitsISK_E10value_typeEPNSQ_ISL_E10value_typeEPSM_NS1_7vsmem_tEENKUlT_SK_SL_SM_E_clISE_PySF_SF_EESJ_SZ_SK_SL_SM_EUlSZ_E1_NS1_11comp_targetILNS1_3genE10ELNS1_11target_archE1201ELNS1_3gpuE5ELNS1_3repE0EEENS1_36merge_oddeven_config_static_selectorELNS0_4arch9wavefront6targetE1EEEvSL_
; %bb.0:
	.section	.rodata,"a",@progbits
	.p2align	6, 0x0
	.amdhsa_kernel _ZN7rocprim17ROCPRIM_400000_NS6detail17trampoline_kernelINS0_14default_configENS1_38merge_sort_block_merge_config_selectorIyNS0_10empty_typeEEEZZNS1_27merge_sort_block_merge_implIS3_N6thrust23THRUST_200600_302600_NS6detail15normal_iteratorINS9_10device_ptrIyEEEEPS5_jNS1_19radix_merge_compareILb0ELb1EyNS0_19identity_decomposerEEEEE10hipError_tT0_T1_T2_jT3_P12ihipStream_tbPNSt15iterator_traitsISK_E10value_typeEPNSQ_ISL_E10value_typeEPSM_NS1_7vsmem_tEENKUlT_SK_SL_SM_E_clISE_PySF_SF_EESJ_SZ_SK_SL_SM_EUlSZ_E1_NS1_11comp_targetILNS1_3genE10ELNS1_11target_archE1201ELNS1_3gpuE5ELNS1_3repE0EEENS1_36merge_oddeven_config_static_selectorELNS0_4arch9wavefront6targetE1EEEvSL_
		.amdhsa_group_segment_fixed_size 0
		.amdhsa_private_segment_fixed_size 0
		.amdhsa_kernarg_size 48
		.amdhsa_user_sgpr_count 6
		.amdhsa_user_sgpr_private_segment_buffer 1
		.amdhsa_user_sgpr_dispatch_ptr 0
		.amdhsa_user_sgpr_queue_ptr 0
		.amdhsa_user_sgpr_kernarg_segment_ptr 1
		.amdhsa_user_sgpr_dispatch_id 0
		.amdhsa_user_sgpr_flat_scratch_init 0
		.amdhsa_user_sgpr_kernarg_preload_length 0
		.amdhsa_user_sgpr_kernarg_preload_offset 0
		.amdhsa_user_sgpr_private_segment_size 0
		.amdhsa_uses_dynamic_stack 0
		.amdhsa_system_sgpr_private_segment_wavefront_offset 0
		.amdhsa_system_sgpr_workgroup_id_x 1
		.amdhsa_system_sgpr_workgroup_id_y 0
		.amdhsa_system_sgpr_workgroup_id_z 0
		.amdhsa_system_sgpr_workgroup_info 0
		.amdhsa_system_vgpr_workitem_id 0
		.amdhsa_next_free_vgpr 1
		.amdhsa_next_free_sgpr 0
		.amdhsa_accum_offset 4
		.amdhsa_reserve_vcc 0
		.amdhsa_reserve_flat_scratch 0
		.amdhsa_float_round_mode_32 0
		.amdhsa_float_round_mode_16_64 0
		.amdhsa_float_denorm_mode_32 3
		.amdhsa_float_denorm_mode_16_64 3
		.amdhsa_dx10_clamp 1
		.amdhsa_ieee_mode 1
		.amdhsa_fp16_overflow 0
		.amdhsa_tg_split 0
		.amdhsa_exception_fp_ieee_invalid_op 0
		.amdhsa_exception_fp_denorm_src 0
		.amdhsa_exception_fp_ieee_div_zero 0
		.amdhsa_exception_fp_ieee_overflow 0
		.amdhsa_exception_fp_ieee_underflow 0
		.amdhsa_exception_fp_ieee_inexact 0
		.amdhsa_exception_int_div_zero 0
	.end_amdhsa_kernel
	.section	.text._ZN7rocprim17ROCPRIM_400000_NS6detail17trampoline_kernelINS0_14default_configENS1_38merge_sort_block_merge_config_selectorIyNS0_10empty_typeEEEZZNS1_27merge_sort_block_merge_implIS3_N6thrust23THRUST_200600_302600_NS6detail15normal_iteratorINS9_10device_ptrIyEEEEPS5_jNS1_19radix_merge_compareILb0ELb1EyNS0_19identity_decomposerEEEEE10hipError_tT0_T1_T2_jT3_P12ihipStream_tbPNSt15iterator_traitsISK_E10value_typeEPNSQ_ISL_E10value_typeEPSM_NS1_7vsmem_tEENKUlT_SK_SL_SM_E_clISE_PySF_SF_EESJ_SZ_SK_SL_SM_EUlSZ_E1_NS1_11comp_targetILNS1_3genE10ELNS1_11target_archE1201ELNS1_3gpuE5ELNS1_3repE0EEENS1_36merge_oddeven_config_static_selectorELNS0_4arch9wavefront6targetE1EEEvSL_,"axG",@progbits,_ZN7rocprim17ROCPRIM_400000_NS6detail17trampoline_kernelINS0_14default_configENS1_38merge_sort_block_merge_config_selectorIyNS0_10empty_typeEEEZZNS1_27merge_sort_block_merge_implIS3_N6thrust23THRUST_200600_302600_NS6detail15normal_iteratorINS9_10device_ptrIyEEEEPS5_jNS1_19radix_merge_compareILb0ELb1EyNS0_19identity_decomposerEEEEE10hipError_tT0_T1_T2_jT3_P12ihipStream_tbPNSt15iterator_traitsISK_E10value_typeEPNSQ_ISL_E10value_typeEPSM_NS1_7vsmem_tEENKUlT_SK_SL_SM_E_clISE_PySF_SF_EESJ_SZ_SK_SL_SM_EUlSZ_E1_NS1_11comp_targetILNS1_3genE10ELNS1_11target_archE1201ELNS1_3gpuE5ELNS1_3repE0EEENS1_36merge_oddeven_config_static_selectorELNS0_4arch9wavefront6targetE1EEEvSL_,comdat
.Lfunc_end830:
	.size	_ZN7rocprim17ROCPRIM_400000_NS6detail17trampoline_kernelINS0_14default_configENS1_38merge_sort_block_merge_config_selectorIyNS0_10empty_typeEEEZZNS1_27merge_sort_block_merge_implIS3_N6thrust23THRUST_200600_302600_NS6detail15normal_iteratorINS9_10device_ptrIyEEEEPS5_jNS1_19radix_merge_compareILb0ELb1EyNS0_19identity_decomposerEEEEE10hipError_tT0_T1_T2_jT3_P12ihipStream_tbPNSt15iterator_traitsISK_E10value_typeEPNSQ_ISL_E10value_typeEPSM_NS1_7vsmem_tEENKUlT_SK_SL_SM_E_clISE_PySF_SF_EESJ_SZ_SK_SL_SM_EUlSZ_E1_NS1_11comp_targetILNS1_3genE10ELNS1_11target_archE1201ELNS1_3gpuE5ELNS1_3repE0EEENS1_36merge_oddeven_config_static_selectorELNS0_4arch9wavefront6targetE1EEEvSL_, .Lfunc_end830-_ZN7rocprim17ROCPRIM_400000_NS6detail17trampoline_kernelINS0_14default_configENS1_38merge_sort_block_merge_config_selectorIyNS0_10empty_typeEEEZZNS1_27merge_sort_block_merge_implIS3_N6thrust23THRUST_200600_302600_NS6detail15normal_iteratorINS9_10device_ptrIyEEEEPS5_jNS1_19radix_merge_compareILb0ELb1EyNS0_19identity_decomposerEEEEE10hipError_tT0_T1_T2_jT3_P12ihipStream_tbPNSt15iterator_traitsISK_E10value_typeEPNSQ_ISL_E10value_typeEPSM_NS1_7vsmem_tEENKUlT_SK_SL_SM_E_clISE_PySF_SF_EESJ_SZ_SK_SL_SM_EUlSZ_E1_NS1_11comp_targetILNS1_3genE10ELNS1_11target_archE1201ELNS1_3gpuE5ELNS1_3repE0EEENS1_36merge_oddeven_config_static_selectorELNS0_4arch9wavefront6targetE1EEEvSL_
                                        ; -- End function
	.section	.AMDGPU.csdata,"",@progbits
; Kernel info:
; codeLenInByte = 0
; NumSgprs: 4
; NumVgprs: 0
; NumAgprs: 0
; TotalNumVgprs: 0
; ScratchSize: 0
; MemoryBound: 0
; FloatMode: 240
; IeeeMode: 1
; LDSByteSize: 0 bytes/workgroup (compile time only)
; SGPRBlocks: 0
; VGPRBlocks: 0
; NumSGPRsForWavesPerEU: 4
; NumVGPRsForWavesPerEU: 1
; AccumOffset: 4
; Occupancy: 8
; WaveLimiterHint : 0
; COMPUTE_PGM_RSRC2:SCRATCH_EN: 0
; COMPUTE_PGM_RSRC2:USER_SGPR: 6
; COMPUTE_PGM_RSRC2:TRAP_HANDLER: 0
; COMPUTE_PGM_RSRC2:TGID_X_EN: 1
; COMPUTE_PGM_RSRC2:TGID_Y_EN: 0
; COMPUTE_PGM_RSRC2:TGID_Z_EN: 0
; COMPUTE_PGM_RSRC2:TIDIG_COMP_CNT: 0
; COMPUTE_PGM_RSRC3_GFX90A:ACCUM_OFFSET: 0
; COMPUTE_PGM_RSRC3_GFX90A:TG_SPLIT: 0
	.section	.text._ZN7rocprim17ROCPRIM_400000_NS6detail17trampoline_kernelINS0_14default_configENS1_38merge_sort_block_merge_config_selectorIyNS0_10empty_typeEEEZZNS1_27merge_sort_block_merge_implIS3_N6thrust23THRUST_200600_302600_NS6detail15normal_iteratorINS9_10device_ptrIyEEEEPS5_jNS1_19radix_merge_compareILb0ELb1EyNS0_19identity_decomposerEEEEE10hipError_tT0_T1_T2_jT3_P12ihipStream_tbPNSt15iterator_traitsISK_E10value_typeEPNSQ_ISL_E10value_typeEPSM_NS1_7vsmem_tEENKUlT_SK_SL_SM_E_clISE_PySF_SF_EESJ_SZ_SK_SL_SM_EUlSZ_E1_NS1_11comp_targetILNS1_3genE5ELNS1_11target_archE942ELNS1_3gpuE9ELNS1_3repE0EEENS1_36merge_oddeven_config_static_selectorELNS0_4arch9wavefront6targetE1EEEvSL_,"axG",@progbits,_ZN7rocprim17ROCPRIM_400000_NS6detail17trampoline_kernelINS0_14default_configENS1_38merge_sort_block_merge_config_selectorIyNS0_10empty_typeEEEZZNS1_27merge_sort_block_merge_implIS3_N6thrust23THRUST_200600_302600_NS6detail15normal_iteratorINS9_10device_ptrIyEEEEPS5_jNS1_19radix_merge_compareILb0ELb1EyNS0_19identity_decomposerEEEEE10hipError_tT0_T1_T2_jT3_P12ihipStream_tbPNSt15iterator_traitsISK_E10value_typeEPNSQ_ISL_E10value_typeEPSM_NS1_7vsmem_tEENKUlT_SK_SL_SM_E_clISE_PySF_SF_EESJ_SZ_SK_SL_SM_EUlSZ_E1_NS1_11comp_targetILNS1_3genE5ELNS1_11target_archE942ELNS1_3gpuE9ELNS1_3repE0EEENS1_36merge_oddeven_config_static_selectorELNS0_4arch9wavefront6targetE1EEEvSL_,comdat
	.protected	_ZN7rocprim17ROCPRIM_400000_NS6detail17trampoline_kernelINS0_14default_configENS1_38merge_sort_block_merge_config_selectorIyNS0_10empty_typeEEEZZNS1_27merge_sort_block_merge_implIS3_N6thrust23THRUST_200600_302600_NS6detail15normal_iteratorINS9_10device_ptrIyEEEEPS5_jNS1_19radix_merge_compareILb0ELb1EyNS0_19identity_decomposerEEEEE10hipError_tT0_T1_T2_jT3_P12ihipStream_tbPNSt15iterator_traitsISK_E10value_typeEPNSQ_ISL_E10value_typeEPSM_NS1_7vsmem_tEENKUlT_SK_SL_SM_E_clISE_PySF_SF_EESJ_SZ_SK_SL_SM_EUlSZ_E1_NS1_11comp_targetILNS1_3genE5ELNS1_11target_archE942ELNS1_3gpuE9ELNS1_3repE0EEENS1_36merge_oddeven_config_static_selectorELNS0_4arch9wavefront6targetE1EEEvSL_ ; -- Begin function _ZN7rocprim17ROCPRIM_400000_NS6detail17trampoline_kernelINS0_14default_configENS1_38merge_sort_block_merge_config_selectorIyNS0_10empty_typeEEEZZNS1_27merge_sort_block_merge_implIS3_N6thrust23THRUST_200600_302600_NS6detail15normal_iteratorINS9_10device_ptrIyEEEEPS5_jNS1_19radix_merge_compareILb0ELb1EyNS0_19identity_decomposerEEEEE10hipError_tT0_T1_T2_jT3_P12ihipStream_tbPNSt15iterator_traitsISK_E10value_typeEPNSQ_ISL_E10value_typeEPSM_NS1_7vsmem_tEENKUlT_SK_SL_SM_E_clISE_PySF_SF_EESJ_SZ_SK_SL_SM_EUlSZ_E1_NS1_11comp_targetILNS1_3genE5ELNS1_11target_archE942ELNS1_3gpuE9ELNS1_3repE0EEENS1_36merge_oddeven_config_static_selectorELNS0_4arch9wavefront6targetE1EEEvSL_
	.globl	_ZN7rocprim17ROCPRIM_400000_NS6detail17trampoline_kernelINS0_14default_configENS1_38merge_sort_block_merge_config_selectorIyNS0_10empty_typeEEEZZNS1_27merge_sort_block_merge_implIS3_N6thrust23THRUST_200600_302600_NS6detail15normal_iteratorINS9_10device_ptrIyEEEEPS5_jNS1_19radix_merge_compareILb0ELb1EyNS0_19identity_decomposerEEEEE10hipError_tT0_T1_T2_jT3_P12ihipStream_tbPNSt15iterator_traitsISK_E10value_typeEPNSQ_ISL_E10value_typeEPSM_NS1_7vsmem_tEENKUlT_SK_SL_SM_E_clISE_PySF_SF_EESJ_SZ_SK_SL_SM_EUlSZ_E1_NS1_11comp_targetILNS1_3genE5ELNS1_11target_archE942ELNS1_3gpuE9ELNS1_3repE0EEENS1_36merge_oddeven_config_static_selectorELNS0_4arch9wavefront6targetE1EEEvSL_
	.p2align	8
	.type	_ZN7rocprim17ROCPRIM_400000_NS6detail17trampoline_kernelINS0_14default_configENS1_38merge_sort_block_merge_config_selectorIyNS0_10empty_typeEEEZZNS1_27merge_sort_block_merge_implIS3_N6thrust23THRUST_200600_302600_NS6detail15normal_iteratorINS9_10device_ptrIyEEEEPS5_jNS1_19radix_merge_compareILb0ELb1EyNS0_19identity_decomposerEEEEE10hipError_tT0_T1_T2_jT3_P12ihipStream_tbPNSt15iterator_traitsISK_E10value_typeEPNSQ_ISL_E10value_typeEPSM_NS1_7vsmem_tEENKUlT_SK_SL_SM_E_clISE_PySF_SF_EESJ_SZ_SK_SL_SM_EUlSZ_E1_NS1_11comp_targetILNS1_3genE5ELNS1_11target_archE942ELNS1_3gpuE9ELNS1_3repE0EEENS1_36merge_oddeven_config_static_selectorELNS0_4arch9wavefront6targetE1EEEvSL_,@function
_ZN7rocprim17ROCPRIM_400000_NS6detail17trampoline_kernelINS0_14default_configENS1_38merge_sort_block_merge_config_selectorIyNS0_10empty_typeEEEZZNS1_27merge_sort_block_merge_implIS3_N6thrust23THRUST_200600_302600_NS6detail15normal_iteratorINS9_10device_ptrIyEEEEPS5_jNS1_19radix_merge_compareILb0ELb1EyNS0_19identity_decomposerEEEEE10hipError_tT0_T1_T2_jT3_P12ihipStream_tbPNSt15iterator_traitsISK_E10value_typeEPNSQ_ISL_E10value_typeEPSM_NS1_7vsmem_tEENKUlT_SK_SL_SM_E_clISE_PySF_SF_EESJ_SZ_SK_SL_SM_EUlSZ_E1_NS1_11comp_targetILNS1_3genE5ELNS1_11target_archE942ELNS1_3gpuE9ELNS1_3repE0EEENS1_36merge_oddeven_config_static_selectorELNS0_4arch9wavefront6targetE1EEEvSL_: ; @_ZN7rocprim17ROCPRIM_400000_NS6detail17trampoline_kernelINS0_14default_configENS1_38merge_sort_block_merge_config_selectorIyNS0_10empty_typeEEEZZNS1_27merge_sort_block_merge_implIS3_N6thrust23THRUST_200600_302600_NS6detail15normal_iteratorINS9_10device_ptrIyEEEEPS5_jNS1_19radix_merge_compareILb0ELb1EyNS0_19identity_decomposerEEEEE10hipError_tT0_T1_T2_jT3_P12ihipStream_tbPNSt15iterator_traitsISK_E10value_typeEPNSQ_ISL_E10value_typeEPSM_NS1_7vsmem_tEENKUlT_SK_SL_SM_E_clISE_PySF_SF_EESJ_SZ_SK_SL_SM_EUlSZ_E1_NS1_11comp_targetILNS1_3genE5ELNS1_11target_archE942ELNS1_3gpuE9ELNS1_3repE0EEENS1_36merge_oddeven_config_static_selectorELNS0_4arch9wavefront6targetE1EEEvSL_
; %bb.0:
	.section	.rodata,"a",@progbits
	.p2align	6, 0x0
	.amdhsa_kernel _ZN7rocprim17ROCPRIM_400000_NS6detail17trampoline_kernelINS0_14default_configENS1_38merge_sort_block_merge_config_selectorIyNS0_10empty_typeEEEZZNS1_27merge_sort_block_merge_implIS3_N6thrust23THRUST_200600_302600_NS6detail15normal_iteratorINS9_10device_ptrIyEEEEPS5_jNS1_19radix_merge_compareILb0ELb1EyNS0_19identity_decomposerEEEEE10hipError_tT0_T1_T2_jT3_P12ihipStream_tbPNSt15iterator_traitsISK_E10value_typeEPNSQ_ISL_E10value_typeEPSM_NS1_7vsmem_tEENKUlT_SK_SL_SM_E_clISE_PySF_SF_EESJ_SZ_SK_SL_SM_EUlSZ_E1_NS1_11comp_targetILNS1_3genE5ELNS1_11target_archE942ELNS1_3gpuE9ELNS1_3repE0EEENS1_36merge_oddeven_config_static_selectorELNS0_4arch9wavefront6targetE1EEEvSL_
		.amdhsa_group_segment_fixed_size 0
		.amdhsa_private_segment_fixed_size 0
		.amdhsa_kernarg_size 48
		.amdhsa_user_sgpr_count 6
		.amdhsa_user_sgpr_private_segment_buffer 1
		.amdhsa_user_sgpr_dispatch_ptr 0
		.amdhsa_user_sgpr_queue_ptr 0
		.amdhsa_user_sgpr_kernarg_segment_ptr 1
		.amdhsa_user_sgpr_dispatch_id 0
		.amdhsa_user_sgpr_flat_scratch_init 0
		.amdhsa_user_sgpr_kernarg_preload_length 0
		.amdhsa_user_sgpr_kernarg_preload_offset 0
		.amdhsa_user_sgpr_private_segment_size 0
		.amdhsa_uses_dynamic_stack 0
		.amdhsa_system_sgpr_private_segment_wavefront_offset 0
		.amdhsa_system_sgpr_workgroup_id_x 1
		.amdhsa_system_sgpr_workgroup_id_y 0
		.amdhsa_system_sgpr_workgroup_id_z 0
		.amdhsa_system_sgpr_workgroup_info 0
		.amdhsa_system_vgpr_workitem_id 0
		.amdhsa_next_free_vgpr 1
		.amdhsa_next_free_sgpr 0
		.amdhsa_accum_offset 4
		.amdhsa_reserve_vcc 0
		.amdhsa_reserve_flat_scratch 0
		.amdhsa_float_round_mode_32 0
		.amdhsa_float_round_mode_16_64 0
		.amdhsa_float_denorm_mode_32 3
		.amdhsa_float_denorm_mode_16_64 3
		.amdhsa_dx10_clamp 1
		.amdhsa_ieee_mode 1
		.amdhsa_fp16_overflow 0
		.amdhsa_tg_split 0
		.amdhsa_exception_fp_ieee_invalid_op 0
		.amdhsa_exception_fp_denorm_src 0
		.amdhsa_exception_fp_ieee_div_zero 0
		.amdhsa_exception_fp_ieee_overflow 0
		.amdhsa_exception_fp_ieee_underflow 0
		.amdhsa_exception_fp_ieee_inexact 0
		.amdhsa_exception_int_div_zero 0
	.end_amdhsa_kernel
	.section	.text._ZN7rocprim17ROCPRIM_400000_NS6detail17trampoline_kernelINS0_14default_configENS1_38merge_sort_block_merge_config_selectorIyNS0_10empty_typeEEEZZNS1_27merge_sort_block_merge_implIS3_N6thrust23THRUST_200600_302600_NS6detail15normal_iteratorINS9_10device_ptrIyEEEEPS5_jNS1_19radix_merge_compareILb0ELb1EyNS0_19identity_decomposerEEEEE10hipError_tT0_T1_T2_jT3_P12ihipStream_tbPNSt15iterator_traitsISK_E10value_typeEPNSQ_ISL_E10value_typeEPSM_NS1_7vsmem_tEENKUlT_SK_SL_SM_E_clISE_PySF_SF_EESJ_SZ_SK_SL_SM_EUlSZ_E1_NS1_11comp_targetILNS1_3genE5ELNS1_11target_archE942ELNS1_3gpuE9ELNS1_3repE0EEENS1_36merge_oddeven_config_static_selectorELNS0_4arch9wavefront6targetE1EEEvSL_,"axG",@progbits,_ZN7rocprim17ROCPRIM_400000_NS6detail17trampoline_kernelINS0_14default_configENS1_38merge_sort_block_merge_config_selectorIyNS0_10empty_typeEEEZZNS1_27merge_sort_block_merge_implIS3_N6thrust23THRUST_200600_302600_NS6detail15normal_iteratorINS9_10device_ptrIyEEEEPS5_jNS1_19radix_merge_compareILb0ELb1EyNS0_19identity_decomposerEEEEE10hipError_tT0_T1_T2_jT3_P12ihipStream_tbPNSt15iterator_traitsISK_E10value_typeEPNSQ_ISL_E10value_typeEPSM_NS1_7vsmem_tEENKUlT_SK_SL_SM_E_clISE_PySF_SF_EESJ_SZ_SK_SL_SM_EUlSZ_E1_NS1_11comp_targetILNS1_3genE5ELNS1_11target_archE942ELNS1_3gpuE9ELNS1_3repE0EEENS1_36merge_oddeven_config_static_selectorELNS0_4arch9wavefront6targetE1EEEvSL_,comdat
.Lfunc_end831:
	.size	_ZN7rocprim17ROCPRIM_400000_NS6detail17trampoline_kernelINS0_14default_configENS1_38merge_sort_block_merge_config_selectorIyNS0_10empty_typeEEEZZNS1_27merge_sort_block_merge_implIS3_N6thrust23THRUST_200600_302600_NS6detail15normal_iteratorINS9_10device_ptrIyEEEEPS5_jNS1_19radix_merge_compareILb0ELb1EyNS0_19identity_decomposerEEEEE10hipError_tT0_T1_T2_jT3_P12ihipStream_tbPNSt15iterator_traitsISK_E10value_typeEPNSQ_ISL_E10value_typeEPSM_NS1_7vsmem_tEENKUlT_SK_SL_SM_E_clISE_PySF_SF_EESJ_SZ_SK_SL_SM_EUlSZ_E1_NS1_11comp_targetILNS1_3genE5ELNS1_11target_archE942ELNS1_3gpuE9ELNS1_3repE0EEENS1_36merge_oddeven_config_static_selectorELNS0_4arch9wavefront6targetE1EEEvSL_, .Lfunc_end831-_ZN7rocprim17ROCPRIM_400000_NS6detail17trampoline_kernelINS0_14default_configENS1_38merge_sort_block_merge_config_selectorIyNS0_10empty_typeEEEZZNS1_27merge_sort_block_merge_implIS3_N6thrust23THRUST_200600_302600_NS6detail15normal_iteratorINS9_10device_ptrIyEEEEPS5_jNS1_19radix_merge_compareILb0ELb1EyNS0_19identity_decomposerEEEEE10hipError_tT0_T1_T2_jT3_P12ihipStream_tbPNSt15iterator_traitsISK_E10value_typeEPNSQ_ISL_E10value_typeEPSM_NS1_7vsmem_tEENKUlT_SK_SL_SM_E_clISE_PySF_SF_EESJ_SZ_SK_SL_SM_EUlSZ_E1_NS1_11comp_targetILNS1_3genE5ELNS1_11target_archE942ELNS1_3gpuE9ELNS1_3repE0EEENS1_36merge_oddeven_config_static_selectorELNS0_4arch9wavefront6targetE1EEEvSL_
                                        ; -- End function
	.section	.AMDGPU.csdata,"",@progbits
; Kernel info:
; codeLenInByte = 0
; NumSgprs: 4
; NumVgprs: 0
; NumAgprs: 0
; TotalNumVgprs: 0
; ScratchSize: 0
; MemoryBound: 0
; FloatMode: 240
; IeeeMode: 1
; LDSByteSize: 0 bytes/workgroup (compile time only)
; SGPRBlocks: 0
; VGPRBlocks: 0
; NumSGPRsForWavesPerEU: 4
; NumVGPRsForWavesPerEU: 1
; AccumOffset: 4
; Occupancy: 8
; WaveLimiterHint : 0
; COMPUTE_PGM_RSRC2:SCRATCH_EN: 0
; COMPUTE_PGM_RSRC2:USER_SGPR: 6
; COMPUTE_PGM_RSRC2:TRAP_HANDLER: 0
; COMPUTE_PGM_RSRC2:TGID_X_EN: 1
; COMPUTE_PGM_RSRC2:TGID_Y_EN: 0
; COMPUTE_PGM_RSRC2:TGID_Z_EN: 0
; COMPUTE_PGM_RSRC2:TIDIG_COMP_CNT: 0
; COMPUTE_PGM_RSRC3_GFX90A:ACCUM_OFFSET: 0
; COMPUTE_PGM_RSRC3_GFX90A:TG_SPLIT: 0
	.section	.text._ZN7rocprim17ROCPRIM_400000_NS6detail17trampoline_kernelINS0_14default_configENS1_38merge_sort_block_merge_config_selectorIyNS0_10empty_typeEEEZZNS1_27merge_sort_block_merge_implIS3_N6thrust23THRUST_200600_302600_NS6detail15normal_iteratorINS9_10device_ptrIyEEEEPS5_jNS1_19radix_merge_compareILb0ELb1EyNS0_19identity_decomposerEEEEE10hipError_tT0_T1_T2_jT3_P12ihipStream_tbPNSt15iterator_traitsISK_E10value_typeEPNSQ_ISL_E10value_typeEPSM_NS1_7vsmem_tEENKUlT_SK_SL_SM_E_clISE_PySF_SF_EESJ_SZ_SK_SL_SM_EUlSZ_E1_NS1_11comp_targetILNS1_3genE4ELNS1_11target_archE910ELNS1_3gpuE8ELNS1_3repE0EEENS1_36merge_oddeven_config_static_selectorELNS0_4arch9wavefront6targetE1EEEvSL_,"axG",@progbits,_ZN7rocprim17ROCPRIM_400000_NS6detail17trampoline_kernelINS0_14default_configENS1_38merge_sort_block_merge_config_selectorIyNS0_10empty_typeEEEZZNS1_27merge_sort_block_merge_implIS3_N6thrust23THRUST_200600_302600_NS6detail15normal_iteratorINS9_10device_ptrIyEEEEPS5_jNS1_19radix_merge_compareILb0ELb1EyNS0_19identity_decomposerEEEEE10hipError_tT0_T1_T2_jT3_P12ihipStream_tbPNSt15iterator_traitsISK_E10value_typeEPNSQ_ISL_E10value_typeEPSM_NS1_7vsmem_tEENKUlT_SK_SL_SM_E_clISE_PySF_SF_EESJ_SZ_SK_SL_SM_EUlSZ_E1_NS1_11comp_targetILNS1_3genE4ELNS1_11target_archE910ELNS1_3gpuE8ELNS1_3repE0EEENS1_36merge_oddeven_config_static_selectorELNS0_4arch9wavefront6targetE1EEEvSL_,comdat
	.protected	_ZN7rocprim17ROCPRIM_400000_NS6detail17trampoline_kernelINS0_14default_configENS1_38merge_sort_block_merge_config_selectorIyNS0_10empty_typeEEEZZNS1_27merge_sort_block_merge_implIS3_N6thrust23THRUST_200600_302600_NS6detail15normal_iteratorINS9_10device_ptrIyEEEEPS5_jNS1_19radix_merge_compareILb0ELb1EyNS0_19identity_decomposerEEEEE10hipError_tT0_T1_T2_jT3_P12ihipStream_tbPNSt15iterator_traitsISK_E10value_typeEPNSQ_ISL_E10value_typeEPSM_NS1_7vsmem_tEENKUlT_SK_SL_SM_E_clISE_PySF_SF_EESJ_SZ_SK_SL_SM_EUlSZ_E1_NS1_11comp_targetILNS1_3genE4ELNS1_11target_archE910ELNS1_3gpuE8ELNS1_3repE0EEENS1_36merge_oddeven_config_static_selectorELNS0_4arch9wavefront6targetE1EEEvSL_ ; -- Begin function _ZN7rocprim17ROCPRIM_400000_NS6detail17trampoline_kernelINS0_14default_configENS1_38merge_sort_block_merge_config_selectorIyNS0_10empty_typeEEEZZNS1_27merge_sort_block_merge_implIS3_N6thrust23THRUST_200600_302600_NS6detail15normal_iteratorINS9_10device_ptrIyEEEEPS5_jNS1_19radix_merge_compareILb0ELb1EyNS0_19identity_decomposerEEEEE10hipError_tT0_T1_T2_jT3_P12ihipStream_tbPNSt15iterator_traitsISK_E10value_typeEPNSQ_ISL_E10value_typeEPSM_NS1_7vsmem_tEENKUlT_SK_SL_SM_E_clISE_PySF_SF_EESJ_SZ_SK_SL_SM_EUlSZ_E1_NS1_11comp_targetILNS1_3genE4ELNS1_11target_archE910ELNS1_3gpuE8ELNS1_3repE0EEENS1_36merge_oddeven_config_static_selectorELNS0_4arch9wavefront6targetE1EEEvSL_
	.globl	_ZN7rocprim17ROCPRIM_400000_NS6detail17trampoline_kernelINS0_14default_configENS1_38merge_sort_block_merge_config_selectorIyNS0_10empty_typeEEEZZNS1_27merge_sort_block_merge_implIS3_N6thrust23THRUST_200600_302600_NS6detail15normal_iteratorINS9_10device_ptrIyEEEEPS5_jNS1_19radix_merge_compareILb0ELb1EyNS0_19identity_decomposerEEEEE10hipError_tT0_T1_T2_jT3_P12ihipStream_tbPNSt15iterator_traitsISK_E10value_typeEPNSQ_ISL_E10value_typeEPSM_NS1_7vsmem_tEENKUlT_SK_SL_SM_E_clISE_PySF_SF_EESJ_SZ_SK_SL_SM_EUlSZ_E1_NS1_11comp_targetILNS1_3genE4ELNS1_11target_archE910ELNS1_3gpuE8ELNS1_3repE0EEENS1_36merge_oddeven_config_static_selectorELNS0_4arch9wavefront6targetE1EEEvSL_
	.p2align	8
	.type	_ZN7rocprim17ROCPRIM_400000_NS6detail17trampoline_kernelINS0_14default_configENS1_38merge_sort_block_merge_config_selectorIyNS0_10empty_typeEEEZZNS1_27merge_sort_block_merge_implIS3_N6thrust23THRUST_200600_302600_NS6detail15normal_iteratorINS9_10device_ptrIyEEEEPS5_jNS1_19radix_merge_compareILb0ELb1EyNS0_19identity_decomposerEEEEE10hipError_tT0_T1_T2_jT3_P12ihipStream_tbPNSt15iterator_traitsISK_E10value_typeEPNSQ_ISL_E10value_typeEPSM_NS1_7vsmem_tEENKUlT_SK_SL_SM_E_clISE_PySF_SF_EESJ_SZ_SK_SL_SM_EUlSZ_E1_NS1_11comp_targetILNS1_3genE4ELNS1_11target_archE910ELNS1_3gpuE8ELNS1_3repE0EEENS1_36merge_oddeven_config_static_selectorELNS0_4arch9wavefront6targetE1EEEvSL_,@function
_ZN7rocprim17ROCPRIM_400000_NS6detail17trampoline_kernelINS0_14default_configENS1_38merge_sort_block_merge_config_selectorIyNS0_10empty_typeEEEZZNS1_27merge_sort_block_merge_implIS3_N6thrust23THRUST_200600_302600_NS6detail15normal_iteratorINS9_10device_ptrIyEEEEPS5_jNS1_19radix_merge_compareILb0ELb1EyNS0_19identity_decomposerEEEEE10hipError_tT0_T1_T2_jT3_P12ihipStream_tbPNSt15iterator_traitsISK_E10value_typeEPNSQ_ISL_E10value_typeEPSM_NS1_7vsmem_tEENKUlT_SK_SL_SM_E_clISE_PySF_SF_EESJ_SZ_SK_SL_SM_EUlSZ_E1_NS1_11comp_targetILNS1_3genE4ELNS1_11target_archE910ELNS1_3gpuE8ELNS1_3repE0EEENS1_36merge_oddeven_config_static_selectorELNS0_4arch9wavefront6targetE1EEEvSL_: ; @_ZN7rocprim17ROCPRIM_400000_NS6detail17trampoline_kernelINS0_14default_configENS1_38merge_sort_block_merge_config_selectorIyNS0_10empty_typeEEEZZNS1_27merge_sort_block_merge_implIS3_N6thrust23THRUST_200600_302600_NS6detail15normal_iteratorINS9_10device_ptrIyEEEEPS5_jNS1_19radix_merge_compareILb0ELb1EyNS0_19identity_decomposerEEEEE10hipError_tT0_T1_T2_jT3_P12ihipStream_tbPNSt15iterator_traitsISK_E10value_typeEPNSQ_ISL_E10value_typeEPSM_NS1_7vsmem_tEENKUlT_SK_SL_SM_E_clISE_PySF_SF_EESJ_SZ_SK_SL_SM_EUlSZ_E1_NS1_11comp_targetILNS1_3genE4ELNS1_11target_archE910ELNS1_3gpuE8ELNS1_3repE0EEENS1_36merge_oddeven_config_static_selectorELNS0_4arch9wavefront6targetE1EEEvSL_
; %bb.0:
	s_load_dword s18, s[4:5], 0x20
	s_waitcnt lgkmcnt(0)
	s_lshr_b32 s0, s18, 8
	s_cmp_lg_u32 s6, s0
	s_cselect_b64 s[14:15], -1, 0
	s_cmp_eq_u32 s6, s0
	s_cselect_b64 s[12:13], -1, 0
	s_lshl_b32 s16, s6, 8
	s_sub_i32 s0, s18, s16
	v_cmp_gt_u32_e64 s[2:3], s0, v0
	s_or_b64 s[0:1], s[14:15], s[2:3]
	s_and_saveexec_b64 s[8:9], s[0:1]
	s_cbranch_execz .LBB832_20
; %bb.1:
	s_load_dwordx4 s[8:11], s[4:5], 0x0
	s_load_dword s19, s[4:5], 0x24
	s_mov_b32 s17, 0
	s_lshl_b64 s[0:1], s[16:17], 3
	v_lshlrev_b32_e32 v1, 3, v0
	s_waitcnt lgkmcnt(0)
	s_add_u32 s0, s8, s0
	s_addc_u32 s1, s9, s1
	global_load_dwordx2 v[2:3], v1, s[0:1]
	s_lshr_b32 s0, s19, 8
	s_sub_i32 s1, 0, s0
	s_and_b32 s1, s6, s1
	s_and_b32 s0, s1, s0
	s_lshl_b32 s20, s1, 8
	s_sub_i32 s17, 0, s19
	s_cmp_eq_u32 s0, 0
	s_cselect_b64 s[0:1], -1, 0
	s_and_b64 s[6:7], s[0:1], exec
	s_cselect_b32 s17, s19, s17
	s_add_i32 s17, s17, s20
	s_cmp_lt_u32 s17, s18
	v_add_u32_e32 v0, s16, v0
	s_cbranch_scc1 .LBB832_3
; %bb.2:
	v_cmp_gt_u32_e32 vcc, s18, v0
	s_or_b64 s[6:7], vcc, s[14:15]
	s_and_b64 s[6:7], s[6:7], exec
	s_cbranch_execz .LBB832_4
	s_branch .LBB832_18
.LBB832_3:
	s_mov_b64 s[6:7], 0
.LBB832_4:
	s_load_dwordx2 s[4:5], s[4:5], 0x28
	s_min_u32 s14, s17, s18
	s_min_u32 s16, s20, s14
	s_add_i32 s20, s20, s14
	s_add_i32 s15, s14, s19
	v_subrev_u32_e32 v0, s20, v0
	s_min_u32 s15, s15, s18
	v_add_u32_e32 v6, s16, v0
	s_and_b64 vcc, exec, s[12:13]
	s_cbranch_vccz .LBB832_12
; %bb.5:
                                        ; implicit-def: $vgpr0
	s_and_saveexec_b64 s[12:13], s[2:3]
	s_cbranch_execz .LBB832_11
; %bb.6:
	s_cmp_ge_u32 s17, s15
	v_mov_b32_e32 v7, s14
	s_cbranch_scc1 .LBB832_10
; %bb.7:
	s_waitcnt vmcnt(0) lgkmcnt(0)
	v_and_b32_e32 v1, s5, v3
	v_and_b32_e32 v0, s4, v2
	s_mov_b64 s[2:3], 0
	v_mov_b32_e32 v8, s15
	v_mov_b32_e32 v7, s14
	;; [unrolled: 1-line block ×4, first 2 shown]
.LBB832_8:                              ; =>This Inner Loop Header: Depth=1
	v_add_u32_e32 v4, v7, v8
	v_lshrrev_b32_e32 v4, 1, v4
	v_lshlrev_b64 v[10:11], 3, v[4:5]
	v_add_co_u32_e32 v10, vcc, s8, v10
	v_addc_co_u32_e32 v11, vcc, v9, v11, vcc
	global_load_dwordx2 v[10:11], v[10:11], off
	v_add_u32_e32 v12, 1, v4
	s_waitcnt vmcnt(0)
	v_and_b32_e32 v11, s5, v11
	v_and_b32_e32 v10, s4, v10
	v_cmp_gt_u64_e32 vcc, v[0:1], v[10:11]
	v_cndmask_b32_e64 v13, 0, 1, vcc
	v_cmp_le_u64_e32 vcc, v[10:11], v[0:1]
	v_cndmask_b32_e64 v10, 0, 1, vcc
	v_cndmask_b32_e64 v10, v10, v13, s[0:1]
	v_and_b32_e32 v10, 1, v10
	v_cmp_eq_u32_e32 vcc, 1, v10
	v_cndmask_b32_e32 v8, v4, v8, vcc
	v_cndmask_b32_e32 v7, v7, v12, vcc
	v_cmp_ge_u32_e32 vcc, v7, v8
	s_or_b64 s[2:3], vcc, s[2:3]
	s_andn2_b64 exec, exec, s[2:3]
	s_cbranch_execnz .LBB832_8
; %bb.9:
	s_or_b64 exec, exec, s[2:3]
.LBB832_10:
	v_add_u32_e32 v0, v7, v6
	s_or_b64 s[6:7], s[6:7], exec
.LBB832_11:
	s_or_b64 exec, exec, s[12:13]
	s_branch .LBB832_18
.LBB832_12:
                                        ; implicit-def: $vgpr0
	s_cbranch_execz .LBB832_18
; %bb.13:
	s_cmp_ge_u32 s17, s15
	v_mov_b32_e32 v7, s14
	s_cbranch_scc1 .LBB832_17
; %bb.14:
	s_waitcnt vmcnt(0) lgkmcnt(0)
	v_and_b32_e32 v1, s5, v3
	v_and_b32_e32 v0, s4, v2
	s_mov_b64 s[2:3], 0
	v_mov_b32_e32 v8, s15
	v_mov_b32_e32 v7, s14
	;; [unrolled: 1-line block ×4, first 2 shown]
.LBB832_15:                             ; =>This Inner Loop Header: Depth=1
	v_add_u32_e32 v4, v7, v8
	v_lshrrev_b32_e32 v4, 1, v4
	v_lshlrev_b64 v[10:11], 3, v[4:5]
	v_add_co_u32_e32 v10, vcc, s8, v10
	v_addc_co_u32_e32 v11, vcc, v9, v11, vcc
	global_load_dwordx2 v[10:11], v[10:11], off
	v_add_u32_e32 v12, 1, v4
	s_waitcnt vmcnt(0)
	v_and_b32_e32 v11, s5, v11
	v_and_b32_e32 v10, s4, v10
	v_cmp_gt_u64_e32 vcc, v[0:1], v[10:11]
	v_cndmask_b32_e64 v13, 0, 1, vcc
	v_cmp_le_u64_e32 vcc, v[10:11], v[0:1]
	v_cndmask_b32_e64 v10, 0, 1, vcc
	v_cndmask_b32_e64 v10, v10, v13, s[0:1]
	v_and_b32_e32 v10, 1, v10
	v_cmp_eq_u32_e32 vcc, 1, v10
	v_cndmask_b32_e32 v8, v4, v8, vcc
	v_cndmask_b32_e32 v7, v7, v12, vcc
	v_cmp_ge_u32_e32 vcc, v7, v8
	s_or_b64 s[2:3], vcc, s[2:3]
	s_andn2_b64 exec, exec, s[2:3]
	s_cbranch_execnz .LBB832_15
; %bb.16:
	s_or_b64 exec, exec, s[2:3]
.LBB832_17:
	v_add_u32_e32 v0, v7, v6
	s_mov_b64 s[6:7], -1
.LBB832_18:
	s_and_b64 exec, exec, s[6:7]
	s_cbranch_execz .LBB832_20
; %bb.19:
	v_mov_b32_e32 v1, 0
	v_lshlrev_b64 v[0:1], 3, v[0:1]
	v_mov_b32_e32 v4, s11
	v_add_co_u32_e32 v0, vcc, s10, v0
	v_addc_co_u32_e32 v1, vcc, v4, v1, vcc
	s_waitcnt vmcnt(0)
	global_store_dwordx2 v[0:1], v[2:3], off
.LBB832_20:
	s_endpgm
	.section	.rodata,"a",@progbits
	.p2align	6, 0x0
	.amdhsa_kernel _ZN7rocprim17ROCPRIM_400000_NS6detail17trampoline_kernelINS0_14default_configENS1_38merge_sort_block_merge_config_selectorIyNS0_10empty_typeEEEZZNS1_27merge_sort_block_merge_implIS3_N6thrust23THRUST_200600_302600_NS6detail15normal_iteratorINS9_10device_ptrIyEEEEPS5_jNS1_19radix_merge_compareILb0ELb1EyNS0_19identity_decomposerEEEEE10hipError_tT0_T1_T2_jT3_P12ihipStream_tbPNSt15iterator_traitsISK_E10value_typeEPNSQ_ISL_E10value_typeEPSM_NS1_7vsmem_tEENKUlT_SK_SL_SM_E_clISE_PySF_SF_EESJ_SZ_SK_SL_SM_EUlSZ_E1_NS1_11comp_targetILNS1_3genE4ELNS1_11target_archE910ELNS1_3gpuE8ELNS1_3repE0EEENS1_36merge_oddeven_config_static_selectorELNS0_4arch9wavefront6targetE1EEEvSL_
		.amdhsa_group_segment_fixed_size 0
		.amdhsa_private_segment_fixed_size 0
		.amdhsa_kernarg_size 48
		.amdhsa_user_sgpr_count 6
		.amdhsa_user_sgpr_private_segment_buffer 1
		.amdhsa_user_sgpr_dispatch_ptr 0
		.amdhsa_user_sgpr_queue_ptr 0
		.amdhsa_user_sgpr_kernarg_segment_ptr 1
		.amdhsa_user_sgpr_dispatch_id 0
		.amdhsa_user_sgpr_flat_scratch_init 0
		.amdhsa_user_sgpr_kernarg_preload_length 0
		.amdhsa_user_sgpr_kernarg_preload_offset 0
		.amdhsa_user_sgpr_private_segment_size 0
		.amdhsa_uses_dynamic_stack 0
		.amdhsa_system_sgpr_private_segment_wavefront_offset 0
		.amdhsa_system_sgpr_workgroup_id_x 1
		.amdhsa_system_sgpr_workgroup_id_y 0
		.amdhsa_system_sgpr_workgroup_id_z 0
		.amdhsa_system_sgpr_workgroup_info 0
		.amdhsa_system_vgpr_workitem_id 0
		.amdhsa_next_free_vgpr 14
		.amdhsa_next_free_sgpr 21
		.amdhsa_accum_offset 16
		.amdhsa_reserve_vcc 1
		.amdhsa_reserve_flat_scratch 0
		.amdhsa_float_round_mode_32 0
		.amdhsa_float_round_mode_16_64 0
		.amdhsa_float_denorm_mode_32 3
		.amdhsa_float_denorm_mode_16_64 3
		.amdhsa_dx10_clamp 1
		.amdhsa_ieee_mode 1
		.amdhsa_fp16_overflow 0
		.amdhsa_tg_split 0
		.amdhsa_exception_fp_ieee_invalid_op 0
		.amdhsa_exception_fp_denorm_src 0
		.amdhsa_exception_fp_ieee_div_zero 0
		.amdhsa_exception_fp_ieee_overflow 0
		.amdhsa_exception_fp_ieee_underflow 0
		.amdhsa_exception_fp_ieee_inexact 0
		.amdhsa_exception_int_div_zero 0
	.end_amdhsa_kernel
	.section	.text._ZN7rocprim17ROCPRIM_400000_NS6detail17trampoline_kernelINS0_14default_configENS1_38merge_sort_block_merge_config_selectorIyNS0_10empty_typeEEEZZNS1_27merge_sort_block_merge_implIS3_N6thrust23THRUST_200600_302600_NS6detail15normal_iteratorINS9_10device_ptrIyEEEEPS5_jNS1_19radix_merge_compareILb0ELb1EyNS0_19identity_decomposerEEEEE10hipError_tT0_T1_T2_jT3_P12ihipStream_tbPNSt15iterator_traitsISK_E10value_typeEPNSQ_ISL_E10value_typeEPSM_NS1_7vsmem_tEENKUlT_SK_SL_SM_E_clISE_PySF_SF_EESJ_SZ_SK_SL_SM_EUlSZ_E1_NS1_11comp_targetILNS1_3genE4ELNS1_11target_archE910ELNS1_3gpuE8ELNS1_3repE0EEENS1_36merge_oddeven_config_static_selectorELNS0_4arch9wavefront6targetE1EEEvSL_,"axG",@progbits,_ZN7rocprim17ROCPRIM_400000_NS6detail17trampoline_kernelINS0_14default_configENS1_38merge_sort_block_merge_config_selectorIyNS0_10empty_typeEEEZZNS1_27merge_sort_block_merge_implIS3_N6thrust23THRUST_200600_302600_NS6detail15normal_iteratorINS9_10device_ptrIyEEEEPS5_jNS1_19radix_merge_compareILb0ELb1EyNS0_19identity_decomposerEEEEE10hipError_tT0_T1_T2_jT3_P12ihipStream_tbPNSt15iterator_traitsISK_E10value_typeEPNSQ_ISL_E10value_typeEPSM_NS1_7vsmem_tEENKUlT_SK_SL_SM_E_clISE_PySF_SF_EESJ_SZ_SK_SL_SM_EUlSZ_E1_NS1_11comp_targetILNS1_3genE4ELNS1_11target_archE910ELNS1_3gpuE8ELNS1_3repE0EEENS1_36merge_oddeven_config_static_selectorELNS0_4arch9wavefront6targetE1EEEvSL_,comdat
.Lfunc_end832:
	.size	_ZN7rocprim17ROCPRIM_400000_NS6detail17trampoline_kernelINS0_14default_configENS1_38merge_sort_block_merge_config_selectorIyNS0_10empty_typeEEEZZNS1_27merge_sort_block_merge_implIS3_N6thrust23THRUST_200600_302600_NS6detail15normal_iteratorINS9_10device_ptrIyEEEEPS5_jNS1_19radix_merge_compareILb0ELb1EyNS0_19identity_decomposerEEEEE10hipError_tT0_T1_T2_jT3_P12ihipStream_tbPNSt15iterator_traitsISK_E10value_typeEPNSQ_ISL_E10value_typeEPSM_NS1_7vsmem_tEENKUlT_SK_SL_SM_E_clISE_PySF_SF_EESJ_SZ_SK_SL_SM_EUlSZ_E1_NS1_11comp_targetILNS1_3genE4ELNS1_11target_archE910ELNS1_3gpuE8ELNS1_3repE0EEENS1_36merge_oddeven_config_static_selectorELNS0_4arch9wavefront6targetE1EEEvSL_, .Lfunc_end832-_ZN7rocprim17ROCPRIM_400000_NS6detail17trampoline_kernelINS0_14default_configENS1_38merge_sort_block_merge_config_selectorIyNS0_10empty_typeEEEZZNS1_27merge_sort_block_merge_implIS3_N6thrust23THRUST_200600_302600_NS6detail15normal_iteratorINS9_10device_ptrIyEEEEPS5_jNS1_19radix_merge_compareILb0ELb1EyNS0_19identity_decomposerEEEEE10hipError_tT0_T1_T2_jT3_P12ihipStream_tbPNSt15iterator_traitsISK_E10value_typeEPNSQ_ISL_E10value_typeEPSM_NS1_7vsmem_tEENKUlT_SK_SL_SM_E_clISE_PySF_SF_EESJ_SZ_SK_SL_SM_EUlSZ_E1_NS1_11comp_targetILNS1_3genE4ELNS1_11target_archE910ELNS1_3gpuE8ELNS1_3repE0EEENS1_36merge_oddeven_config_static_selectorELNS0_4arch9wavefront6targetE1EEEvSL_
                                        ; -- End function
	.section	.AMDGPU.csdata,"",@progbits
; Kernel info:
; codeLenInByte = 636
; NumSgprs: 25
; NumVgprs: 14
; NumAgprs: 0
; TotalNumVgprs: 14
; ScratchSize: 0
; MemoryBound: 0
; FloatMode: 240
; IeeeMode: 1
; LDSByteSize: 0 bytes/workgroup (compile time only)
; SGPRBlocks: 3
; VGPRBlocks: 1
; NumSGPRsForWavesPerEU: 25
; NumVGPRsForWavesPerEU: 14
; AccumOffset: 16
; Occupancy: 8
; WaveLimiterHint : 0
; COMPUTE_PGM_RSRC2:SCRATCH_EN: 0
; COMPUTE_PGM_RSRC2:USER_SGPR: 6
; COMPUTE_PGM_RSRC2:TRAP_HANDLER: 0
; COMPUTE_PGM_RSRC2:TGID_X_EN: 1
; COMPUTE_PGM_RSRC2:TGID_Y_EN: 0
; COMPUTE_PGM_RSRC2:TGID_Z_EN: 0
; COMPUTE_PGM_RSRC2:TIDIG_COMP_CNT: 0
; COMPUTE_PGM_RSRC3_GFX90A:ACCUM_OFFSET: 3
; COMPUTE_PGM_RSRC3_GFX90A:TG_SPLIT: 0
	.section	.text._ZN7rocprim17ROCPRIM_400000_NS6detail17trampoline_kernelINS0_14default_configENS1_38merge_sort_block_merge_config_selectorIyNS0_10empty_typeEEEZZNS1_27merge_sort_block_merge_implIS3_N6thrust23THRUST_200600_302600_NS6detail15normal_iteratorINS9_10device_ptrIyEEEEPS5_jNS1_19radix_merge_compareILb0ELb1EyNS0_19identity_decomposerEEEEE10hipError_tT0_T1_T2_jT3_P12ihipStream_tbPNSt15iterator_traitsISK_E10value_typeEPNSQ_ISL_E10value_typeEPSM_NS1_7vsmem_tEENKUlT_SK_SL_SM_E_clISE_PySF_SF_EESJ_SZ_SK_SL_SM_EUlSZ_E1_NS1_11comp_targetILNS1_3genE3ELNS1_11target_archE908ELNS1_3gpuE7ELNS1_3repE0EEENS1_36merge_oddeven_config_static_selectorELNS0_4arch9wavefront6targetE1EEEvSL_,"axG",@progbits,_ZN7rocprim17ROCPRIM_400000_NS6detail17trampoline_kernelINS0_14default_configENS1_38merge_sort_block_merge_config_selectorIyNS0_10empty_typeEEEZZNS1_27merge_sort_block_merge_implIS3_N6thrust23THRUST_200600_302600_NS6detail15normal_iteratorINS9_10device_ptrIyEEEEPS5_jNS1_19radix_merge_compareILb0ELb1EyNS0_19identity_decomposerEEEEE10hipError_tT0_T1_T2_jT3_P12ihipStream_tbPNSt15iterator_traitsISK_E10value_typeEPNSQ_ISL_E10value_typeEPSM_NS1_7vsmem_tEENKUlT_SK_SL_SM_E_clISE_PySF_SF_EESJ_SZ_SK_SL_SM_EUlSZ_E1_NS1_11comp_targetILNS1_3genE3ELNS1_11target_archE908ELNS1_3gpuE7ELNS1_3repE0EEENS1_36merge_oddeven_config_static_selectorELNS0_4arch9wavefront6targetE1EEEvSL_,comdat
	.protected	_ZN7rocprim17ROCPRIM_400000_NS6detail17trampoline_kernelINS0_14default_configENS1_38merge_sort_block_merge_config_selectorIyNS0_10empty_typeEEEZZNS1_27merge_sort_block_merge_implIS3_N6thrust23THRUST_200600_302600_NS6detail15normal_iteratorINS9_10device_ptrIyEEEEPS5_jNS1_19radix_merge_compareILb0ELb1EyNS0_19identity_decomposerEEEEE10hipError_tT0_T1_T2_jT3_P12ihipStream_tbPNSt15iterator_traitsISK_E10value_typeEPNSQ_ISL_E10value_typeEPSM_NS1_7vsmem_tEENKUlT_SK_SL_SM_E_clISE_PySF_SF_EESJ_SZ_SK_SL_SM_EUlSZ_E1_NS1_11comp_targetILNS1_3genE3ELNS1_11target_archE908ELNS1_3gpuE7ELNS1_3repE0EEENS1_36merge_oddeven_config_static_selectorELNS0_4arch9wavefront6targetE1EEEvSL_ ; -- Begin function _ZN7rocprim17ROCPRIM_400000_NS6detail17trampoline_kernelINS0_14default_configENS1_38merge_sort_block_merge_config_selectorIyNS0_10empty_typeEEEZZNS1_27merge_sort_block_merge_implIS3_N6thrust23THRUST_200600_302600_NS6detail15normal_iteratorINS9_10device_ptrIyEEEEPS5_jNS1_19radix_merge_compareILb0ELb1EyNS0_19identity_decomposerEEEEE10hipError_tT0_T1_T2_jT3_P12ihipStream_tbPNSt15iterator_traitsISK_E10value_typeEPNSQ_ISL_E10value_typeEPSM_NS1_7vsmem_tEENKUlT_SK_SL_SM_E_clISE_PySF_SF_EESJ_SZ_SK_SL_SM_EUlSZ_E1_NS1_11comp_targetILNS1_3genE3ELNS1_11target_archE908ELNS1_3gpuE7ELNS1_3repE0EEENS1_36merge_oddeven_config_static_selectorELNS0_4arch9wavefront6targetE1EEEvSL_
	.globl	_ZN7rocprim17ROCPRIM_400000_NS6detail17trampoline_kernelINS0_14default_configENS1_38merge_sort_block_merge_config_selectorIyNS0_10empty_typeEEEZZNS1_27merge_sort_block_merge_implIS3_N6thrust23THRUST_200600_302600_NS6detail15normal_iteratorINS9_10device_ptrIyEEEEPS5_jNS1_19radix_merge_compareILb0ELb1EyNS0_19identity_decomposerEEEEE10hipError_tT0_T1_T2_jT3_P12ihipStream_tbPNSt15iterator_traitsISK_E10value_typeEPNSQ_ISL_E10value_typeEPSM_NS1_7vsmem_tEENKUlT_SK_SL_SM_E_clISE_PySF_SF_EESJ_SZ_SK_SL_SM_EUlSZ_E1_NS1_11comp_targetILNS1_3genE3ELNS1_11target_archE908ELNS1_3gpuE7ELNS1_3repE0EEENS1_36merge_oddeven_config_static_selectorELNS0_4arch9wavefront6targetE1EEEvSL_
	.p2align	8
	.type	_ZN7rocprim17ROCPRIM_400000_NS6detail17trampoline_kernelINS0_14default_configENS1_38merge_sort_block_merge_config_selectorIyNS0_10empty_typeEEEZZNS1_27merge_sort_block_merge_implIS3_N6thrust23THRUST_200600_302600_NS6detail15normal_iteratorINS9_10device_ptrIyEEEEPS5_jNS1_19radix_merge_compareILb0ELb1EyNS0_19identity_decomposerEEEEE10hipError_tT0_T1_T2_jT3_P12ihipStream_tbPNSt15iterator_traitsISK_E10value_typeEPNSQ_ISL_E10value_typeEPSM_NS1_7vsmem_tEENKUlT_SK_SL_SM_E_clISE_PySF_SF_EESJ_SZ_SK_SL_SM_EUlSZ_E1_NS1_11comp_targetILNS1_3genE3ELNS1_11target_archE908ELNS1_3gpuE7ELNS1_3repE0EEENS1_36merge_oddeven_config_static_selectorELNS0_4arch9wavefront6targetE1EEEvSL_,@function
_ZN7rocprim17ROCPRIM_400000_NS6detail17trampoline_kernelINS0_14default_configENS1_38merge_sort_block_merge_config_selectorIyNS0_10empty_typeEEEZZNS1_27merge_sort_block_merge_implIS3_N6thrust23THRUST_200600_302600_NS6detail15normal_iteratorINS9_10device_ptrIyEEEEPS5_jNS1_19radix_merge_compareILb0ELb1EyNS0_19identity_decomposerEEEEE10hipError_tT0_T1_T2_jT3_P12ihipStream_tbPNSt15iterator_traitsISK_E10value_typeEPNSQ_ISL_E10value_typeEPSM_NS1_7vsmem_tEENKUlT_SK_SL_SM_E_clISE_PySF_SF_EESJ_SZ_SK_SL_SM_EUlSZ_E1_NS1_11comp_targetILNS1_3genE3ELNS1_11target_archE908ELNS1_3gpuE7ELNS1_3repE0EEENS1_36merge_oddeven_config_static_selectorELNS0_4arch9wavefront6targetE1EEEvSL_: ; @_ZN7rocprim17ROCPRIM_400000_NS6detail17trampoline_kernelINS0_14default_configENS1_38merge_sort_block_merge_config_selectorIyNS0_10empty_typeEEEZZNS1_27merge_sort_block_merge_implIS3_N6thrust23THRUST_200600_302600_NS6detail15normal_iteratorINS9_10device_ptrIyEEEEPS5_jNS1_19radix_merge_compareILb0ELb1EyNS0_19identity_decomposerEEEEE10hipError_tT0_T1_T2_jT3_P12ihipStream_tbPNSt15iterator_traitsISK_E10value_typeEPNSQ_ISL_E10value_typeEPSM_NS1_7vsmem_tEENKUlT_SK_SL_SM_E_clISE_PySF_SF_EESJ_SZ_SK_SL_SM_EUlSZ_E1_NS1_11comp_targetILNS1_3genE3ELNS1_11target_archE908ELNS1_3gpuE7ELNS1_3repE0EEENS1_36merge_oddeven_config_static_selectorELNS0_4arch9wavefront6targetE1EEEvSL_
; %bb.0:
	.section	.rodata,"a",@progbits
	.p2align	6, 0x0
	.amdhsa_kernel _ZN7rocprim17ROCPRIM_400000_NS6detail17trampoline_kernelINS0_14default_configENS1_38merge_sort_block_merge_config_selectorIyNS0_10empty_typeEEEZZNS1_27merge_sort_block_merge_implIS3_N6thrust23THRUST_200600_302600_NS6detail15normal_iteratorINS9_10device_ptrIyEEEEPS5_jNS1_19radix_merge_compareILb0ELb1EyNS0_19identity_decomposerEEEEE10hipError_tT0_T1_T2_jT3_P12ihipStream_tbPNSt15iterator_traitsISK_E10value_typeEPNSQ_ISL_E10value_typeEPSM_NS1_7vsmem_tEENKUlT_SK_SL_SM_E_clISE_PySF_SF_EESJ_SZ_SK_SL_SM_EUlSZ_E1_NS1_11comp_targetILNS1_3genE3ELNS1_11target_archE908ELNS1_3gpuE7ELNS1_3repE0EEENS1_36merge_oddeven_config_static_selectorELNS0_4arch9wavefront6targetE1EEEvSL_
		.amdhsa_group_segment_fixed_size 0
		.amdhsa_private_segment_fixed_size 0
		.amdhsa_kernarg_size 48
		.amdhsa_user_sgpr_count 6
		.amdhsa_user_sgpr_private_segment_buffer 1
		.amdhsa_user_sgpr_dispatch_ptr 0
		.amdhsa_user_sgpr_queue_ptr 0
		.amdhsa_user_sgpr_kernarg_segment_ptr 1
		.amdhsa_user_sgpr_dispatch_id 0
		.amdhsa_user_sgpr_flat_scratch_init 0
		.amdhsa_user_sgpr_kernarg_preload_length 0
		.amdhsa_user_sgpr_kernarg_preload_offset 0
		.amdhsa_user_sgpr_private_segment_size 0
		.amdhsa_uses_dynamic_stack 0
		.amdhsa_system_sgpr_private_segment_wavefront_offset 0
		.amdhsa_system_sgpr_workgroup_id_x 1
		.amdhsa_system_sgpr_workgroup_id_y 0
		.amdhsa_system_sgpr_workgroup_id_z 0
		.amdhsa_system_sgpr_workgroup_info 0
		.amdhsa_system_vgpr_workitem_id 0
		.amdhsa_next_free_vgpr 1
		.amdhsa_next_free_sgpr 0
		.amdhsa_accum_offset 4
		.amdhsa_reserve_vcc 0
		.amdhsa_reserve_flat_scratch 0
		.amdhsa_float_round_mode_32 0
		.amdhsa_float_round_mode_16_64 0
		.amdhsa_float_denorm_mode_32 3
		.amdhsa_float_denorm_mode_16_64 3
		.amdhsa_dx10_clamp 1
		.amdhsa_ieee_mode 1
		.amdhsa_fp16_overflow 0
		.amdhsa_tg_split 0
		.amdhsa_exception_fp_ieee_invalid_op 0
		.amdhsa_exception_fp_denorm_src 0
		.amdhsa_exception_fp_ieee_div_zero 0
		.amdhsa_exception_fp_ieee_overflow 0
		.amdhsa_exception_fp_ieee_underflow 0
		.amdhsa_exception_fp_ieee_inexact 0
		.amdhsa_exception_int_div_zero 0
	.end_amdhsa_kernel
	.section	.text._ZN7rocprim17ROCPRIM_400000_NS6detail17trampoline_kernelINS0_14default_configENS1_38merge_sort_block_merge_config_selectorIyNS0_10empty_typeEEEZZNS1_27merge_sort_block_merge_implIS3_N6thrust23THRUST_200600_302600_NS6detail15normal_iteratorINS9_10device_ptrIyEEEEPS5_jNS1_19radix_merge_compareILb0ELb1EyNS0_19identity_decomposerEEEEE10hipError_tT0_T1_T2_jT3_P12ihipStream_tbPNSt15iterator_traitsISK_E10value_typeEPNSQ_ISL_E10value_typeEPSM_NS1_7vsmem_tEENKUlT_SK_SL_SM_E_clISE_PySF_SF_EESJ_SZ_SK_SL_SM_EUlSZ_E1_NS1_11comp_targetILNS1_3genE3ELNS1_11target_archE908ELNS1_3gpuE7ELNS1_3repE0EEENS1_36merge_oddeven_config_static_selectorELNS0_4arch9wavefront6targetE1EEEvSL_,"axG",@progbits,_ZN7rocprim17ROCPRIM_400000_NS6detail17trampoline_kernelINS0_14default_configENS1_38merge_sort_block_merge_config_selectorIyNS0_10empty_typeEEEZZNS1_27merge_sort_block_merge_implIS3_N6thrust23THRUST_200600_302600_NS6detail15normal_iteratorINS9_10device_ptrIyEEEEPS5_jNS1_19radix_merge_compareILb0ELb1EyNS0_19identity_decomposerEEEEE10hipError_tT0_T1_T2_jT3_P12ihipStream_tbPNSt15iterator_traitsISK_E10value_typeEPNSQ_ISL_E10value_typeEPSM_NS1_7vsmem_tEENKUlT_SK_SL_SM_E_clISE_PySF_SF_EESJ_SZ_SK_SL_SM_EUlSZ_E1_NS1_11comp_targetILNS1_3genE3ELNS1_11target_archE908ELNS1_3gpuE7ELNS1_3repE0EEENS1_36merge_oddeven_config_static_selectorELNS0_4arch9wavefront6targetE1EEEvSL_,comdat
.Lfunc_end833:
	.size	_ZN7rocprim17ROCPRIM_400000_NS6detail17trampoline_kernelINS0_14default_configENS1_38merge_sort_block_merge_config_selectorIyNS0_10empty_typeEEEZZNS1_27merge_sort_block_merge_implIS3_N6thrust23THRUST_200600_302600_NS6detail15normal_iteratorINS9_10device_ptrIyEEEEPS5_jNS1_19radix_merge_compareILb0ELb1EyNS0_19identity_decomposerEEEEE10hipError_tT0_T1_T2_jT3_P12ihipStream_tbPNSt15iterator_traitsISK_E10value_typeEPNSQ_ISL_E10value_typeEPSM_NS1_7vsmem_tEENKUlT_SK_SL_SM_E_clISE_PySF_SF_EESJ_SZ_SK_SL_SM_EUlSZ_E1_NS1_11comp_targetILNS1_3genE3ELNS1_11target_archE908ELNS1_3gpuE7ELNS1_3repE0EEENS1_36merge_oddeven_config_static_selectorELNS0_4arch9wavefront6targetE1EEEvSL_, .Lfunc_end833-_ZN7rocprim17ROCPRIM_400000_NS6detail17trampoline_kernelINS0_14default_configENS1_38merge_sort_block_merge_config_selectorIyNS0_10empty_typeEEEZZNS1_27merge_sort_block_merge_implIS3_N6thrust23THRUST_200600_302600_NS6detail15normal_iteratorINS9_10device_ptrIyEEEEPS5_jNS1_19radix_merge_compareILb0ELb1EyNS0_19identity_decomposerEEEEE10hipError_tT0_T1_T2_jT3_P12ihipStream_tbPNSt15iterator_traitsISK_E10value_typeEPNSQ_ISL_E10value_typeEPSM_NS1_7vsmem_tEENKUlT_SK_SL_SM_E_clISE_PySF_SF_EESJ_SZ_SK_SL_SM_EUlSZ_E1_NS1_11comp_targetILNS1_3genE3ELNS1_11target_archE908ELNS1_3gpuE7ELNS1_3repE0EEENS1_36merge_oddeven_config_static_selectorELNS0_4arch9wavefront6targetE1EEEvSL_
                                        ; -- End function
	.section	.AMDGPU.csdata,"",@progbits
; Kernel info:
; codeLenInByte = 0
; NumSgprs: 4
; NumVgprs: 0
; NumAgprs: 0
; TotalNumVgprs: 0
; ScratchSize: 0
; MemoryBound: 0
; FloatMode: 240
; IeeeMode: 1
; LDSByteSize: 0 bytes/workgroup (compile time only)
; SGPRBlocks: 0
; VGPRBlocks: 0
; NumSGPRsForWavesPerEU: 4
; NumVGPRsForWavesPerEU: 1
; AccumOffset: 4
; Occupancy: 8
; WaveLimiterHint : 0
; COMPUTE_PGM_RSRC2:SCRATCH_EN: 0
; COMPUTE_PGM_RSRC2:USER_SGPR: 6
; COMPUTE_PGM_RSRC2:TRAP_HANDLER: 0
; COMPUTE_PGM_RSRC2:TGID_X_EN: 1
; COMPUTE_PGM_RSRC2:TGID_Y_EN: 0
; COMPUTE_PGM_RSRC2:TGID_Z_EN: 0
; COMPUTE_PGM_RSRC2:TIDIG_COMP_CNT: 0
; COMPUTE_PGM_RSRC3_GFX90A:ACCUM_OFFSET: 0
; COMPUTE_PGM_RSRC3_GFX90A:TG_SPLIT: 0
	.section	.text._ZN7rocprim17ROCPRIM_400000_NS6detail17trampoline_kernelINS0_14default_configENS1_38merge_sort_block_merge_config_selectorIyNS0_10empty_typeEEEZZNS1_27merge_sort_block_merge_implIS3_N6thrust23THRUST_200600_302600_NS6detail15normal_iteratorINS9_10device_ptrIyEEEEPS5_jNS1_19radix_merge_compareILb0ELb1EyNS0_19identity_decomposerEEEEE10hipError_tT0_T1_T2_jT3_P12ihipStream_tbPNSt15iterator_traitsISK_E10value_typeEPNSQ_ISL_E10value_typeEPSM_NS1_7vsmem_tEENKUlT_SK_SL_SM_E_clISE_PySF_SF_EESJ_SZ_SK_SL_SM_EUlSZ_E1_NS1_11comp_targetILNS1_3genE2ELNS1_11target_archE906ELNS1_3gpuE6ELNS1_3repE0EEENS1_36merge_oddeven_config_static_selectorELNS0_4arch9wavefront6targetE1EEEvSL_,"axG",@progbits,_ZN7rocprim17ROCPRIM_400000_NS6detail17trampoline_kernelINS0_14default_configENS1_38merge_sort_block_merge_config_selectorIyNS0_10empty_typeEEEZZNS1_27merge_sort_block_merge_implIS3_N6thrust23THRUST_200600_302600_NS6detail15normal_iteratorINS9_10device_ptrIyEEEEPS5_jNS1_19radix_merge_compareILb0ELb1EyNS0_19identity_decomposerEEEEE10hipError_tT0_T1_T2_jT3_P12ihipStream_tbPNSt15iterator_traitsISK_E10value_typeEPNSQ_ISL_E10value_typeEPSM_NS1_7vsmem_tEENKUlT_SK_SL_SM_E_clISE_PySF_SF_EESJ_SZ_SK_SL_SM_EUlSZ_E1_NS1_11comp_targetILNS1_3genE2ELNS1_11target_archE906ELNS1_3gpuE6ELNS1_3repE0EEENS1_36merge_oddeven_config_static_selectorELNS0_4arch9wavefront6targetE1EEEvSL_,comdat
	.protected	_ZN7rocprim17ROCPRIM_400000_NS6detail17trampoline_kernelINS0_14default_configENS1_38merge_sort_block_merge_config_selectorIyNS0_10empty_typeEEEZZNS1_27merge_sort_block_merge_implIS3_N6thrust23THRUST_200600_302600_NS6detail15normal_iteratorINS9_10device_ptrIyEEEEPS5_jNS1_19radix_merge_compareILb0ELb1EyNS0_19identity_decomposerEEEEE10hipError_tT0_T1_T2_jT3_P12ihipStream_tbPNSt15iterator_traitsISK_E10value_typeEPNSQ_ISL_E10value_typeEPSM_NS1_7vsmem_tEENKUlT_SK_SL_SM_E_clISE_PySF_SF_EESJ_SZ_SK_SL_SM_EUlSZ_E1_NS1_11comp_targetILNS1_3genE2ELNS1_11target_archE906ELNS1_3gpuE6ELNS1_3repE0EEENS1_36merge_oddeven_config_static_selectorELNS0_4arch9wavefront6targetE1EEEvSL_ ; -- Begin function _ZN7rocprim17ROCPRIM_400000_NS6detail17trampoline_kernelINS0_14default_configENS1_38merge_sort_block_merge_config_selectorIyNS0_10empty_typeEEEZZNS1_27merge_sort_block_merge_implIS3_N6thrust23THRUST_200600_302600_NS6detail15normal_iteratorINS9_10device_ptrIyEEEEPS5_jNS1_19radix_merge_compareILb0ELb1EyNS0_19identity_decomposerEEEEE10hipError_tT0_T1_T2_jT3_P12ihipStream_tbPNSt15iterator_traitsISK_E10value_typeEPNSQ_ISL_E10value_typeEPSM_NS1_7vsmem_tEENKUlT_SK_SL_SM_E_clISE_PySF_SF_EESJ_SZ_SK_SL_SM_EUlSZ_E1_NS1_11comp_targetILNS1_3genE2ELNS1_11target_archE906ELNS1_3gpuE6ELNS1_3repE0EEENS1_36merge_oddeven_config_static_selectorELNS0_4arch9wavefront6targetE1EEEvSL_
	.globl	_ZN7rocprim17ROCPRIM_400000_NS6detail17trampoline_kernelINS0_14default_configENS1_38merge_sort_block_merge_config_selectorIyNS0_10empty_typeEEEZZNS1_27merge_sort_block_merge_implIS3_N6thrust23THRUST_200600_302600_NS6detail15normal_iteratorINS9_10device_ptrIyEEEEPS5_jNS1_19radix_merge_compareILb0ELb1EyNS0_19identity_decomposerEEEEE10hipError_tT0_T1_T2_jT3_P12ihipStream_tbPNSt15iterator_traitsISK_E10value_typeEPNSQ_ISL_E10value_typeEPSM_NS1_7vsmem_tEENKUlT_SK_SL_SM_E_clISE_PySF_SF_EESJ_SZ_SK_SL_SM_EUlSZ_E1_NS1_11comp_targetILNS1_3genE2ELNS1_11target_archE906ELNS1_3gpuE6ELNS1_3repE0EEENS1_36merge_oddeven_config_static_selectorELNS0_4arch9wavefront6targetE1EEEvSL_
	.p2align	8
	.type	_ZN7rocprim17ROCPRIM_400000_NS6detail17trampoline_kernelINS0_14default_configENS1_38merge_sort_block_merge_config_selectorIyNS0_10empty_typeEEEZZNS1_27merge_sort_block_merge_implIS3_N6thrust23THRUST_200600_302600_NS6detail15normal_iteratorINS9_10device_ptrIyEEEEPS5_jNS1_19radix_merge_compareILb0ELb1EyNS0_19identity_decomposerEEEEE10hipError_tT0_T1_T2_jT3_P12ihipStream_tbPNSt15iterator_traitsISK_E10value_typeEPNSQ_ISL_E10value_typeEPSM_NS1_7vsmem_tEENKUlT_SK_SL_SM_E_clISE_PySF_SF_EESJ_SZ_SK_SL_SM_EUlSZ_E1_NS1_11comp_targetILNS1_3genE2ELNS1_11target_archE906ELNS1_3gpuE6ELNS1_3repE0EEENS1_36merge_oddeven_config_static_selectorELNS0_4arch9wavefront6targetE1EEEvSL_,@function
_ZN7rocprim17ROCPRIM_400000_NS6detail17trampoline_kernelINS0_14default_configENS1_38merge_sort_block_merge_config_selectorIyNS0_10empty_typeEEEZZNS1_27merge_sort_block_merge_implIS3_N6thrust23THRUST_200600_302600_NS6detail15normal_iteratorINS9_10device_ptrIyEEEEPS5_jNS1_19radix_merge_compareILb0ELb1EyNS0_19identity_decomposerEEEEE10hipError_tT0_T1_T2_jT3_P12ihipStream_tbPNSt15iterator_traitsISK_E10value_typeEPNSQ_ISL_E10value_typeEPSM_NS1_7vsmem_tEENKUlT_SK_SL_SM_E_clISE_PySF_SF_EESJ_SZ_SK_SL_SM_EUlSZ_E1_NS1_11comp_targetILNS1_3genE2ELNS1_11target_archE906ELNS1_3gpuE6ELNS1_3repE0EEENS1_36merge_oddeven_config_static_selectorELNS0_4arch9wavefront6targetE1EEEvSL_: ; @_ZN7rocprim17ROCPRIM_400000_NS6detail17trampoline_kernelINS0_14default_configENS1_38merge_sort_block_merge_config_selectorIyNS0_10empty_typeEEEZZNS1_27merge_sort_block_merge_implIS3_N6thrust23THRUST_200600_302600_NS6detail15normal_iteratorINS9_10device_ptrIyEEEEPS5_jNS1_19radix_merge_compareILb0ELb1EyNS0_19identity_decomposerEEEEE10hipError_tT0_T1_T2_jT3_P12ihipStream_tbPNSt15iterator_traitsISK_E10value_typeEPNSQ_ISL_E10value_typeEPSM_NS1_7vsmem_tEENKUlT_SK_SL_SM_E_clISE_PySF_SF_EESJ_SZ_SK_SL_SM_EUlSZ_E1_NS1_11comp_targetILNS1_3genE2ELNS1_11target_archE906ELNS1_3gpuE6ELNS1_3repE0EEENS1_36merge_oddeven_config_static_selectorELNS0_4arch9wavefront6targetE1EEEvSL_
; %bb.0:
	.section	.rodata,"a",@progbits
	.p2align	6, 0x0
	.amdhsa_kernel _ZN7rocprim17ROCPRIM_400000_NS6detail17trampoline_kernelINS0_14default_configENS1_38merge_sort_block_merge_config_selectorIyNS0_10empty_typeEEEZZNS1_27merge_sort_block_merge_implIS3_N6thrust23THRUST_200600_302600_NS6detail15normal_iteratorINS9_10device_ptrIyEEEEPS5_jNS1_19radix_merge_compareILb0ELb1EyNS0_19identity_decomposerEEEEE10hipError_tT0_T1_T2_jT3_P12ihipStream_tbPNSt15iterator_traitsISK_E10value_typeEPNSQ_ISL_E10value_typeEPSM_NS1_7vsmem_tEENKUlT_SK_SL_SM_E_clISE_PySF_SF_EESJ_SZ_SK_SL_SM_EUlSZ_E1_NS1_11comp_targetILNS1_3genE2ELNS1_11target_archE906ELNS1_3gpuE6ELNS1_3repE0EEENS1_36merge_oddeven_config_static_selectorELNS0_4arch9wavefront6targetE1EEEvSL_
		.amdhsa_group_segment_fixed_size 0
		.amdhsa_private_segment_fixed_size 0
		.amdhsa_kernarg_size 48
		.amdhsa_user_sgpr_count 6
		.amdhsa_user_sgpr_private_segment_buffer 1
		.amdhsa_user_sgpr_dispatch_ptr 0
		.amdhsa_user_sgpr_queue_ptr 0
		.amdhsa_user_sgpr_kernarg_segment_ptr 1
		.amdhsa_user_sgpr_dispatch_id 0
		.amdhsa_user_sgpr_flat_scratch_init 0
		.amdhsa_user_sgpr_kernarg_preload_length 0
		.amdhsa_user_sgpr_kernarg_preload_offset 0
		.amdhsa_user_sgpr_private_segment_size 0
		.amdhsa_uses_dynamic_stack 0
		.amdhsa_system_sgpr_private_segment_wavefront_offset 0
		.amdhsa_system_sgpr_workgroup_id_x 1
		.amdhsa_system_sgpr_workgroup_id_y 0
		.amdhsa_system_sgpr_workgroup_id_z 0
		.amdhsa_system_sgpr_workgroup_info 0
		.amdhsa_system_vgpr_workitem_id 0
		.amdhsa_next_free_vgpr 1
		.amdhsa_next_free_sgpr 0
		.amdhsa_accum_offset 4
		.amdhsa_reserve_vcc 0
		.amdhsa_reserve_flat_scratch 0
		.amdhsa_float_round_mode_32 0
		.amdhsa_float_round_mode_16_64 0
		.amdhsa_float_denorm_mode_32 3
		.amdhsa_float_denorm_mode_16_64 3
		.amdhsa_dx10_clamp 1
		.amdhsa_ieee_mode 1
		.amdhsa_fp16_overflow 0
		.amdhsa_tg_split 0
		.amdhsa_exception_fp_ieee_invalid_op 0
		.amdhsa_exception_fp_denorm_src 0
		.amdhsa_exception_fp_ieee_div_zero 0
		.amdhsa_exception_fp_ieee_overflow 0
		.amdhsa_exception_fp_ieee_underflow 0
		.amdhsa_exception_fp_ieee_inexact 0
		.amdhsa_exception_int_div_zero 0
	.end_amdhsa_kernel
	.section	.text._ZN7rocprim17ROCPRIM_400000_NS6detail17trampoline_kernelINS0_14default_configENS1_38merge_sort_block_merge_config_selectorIyNS0_10empty_typeEEEZZNS1_27merge_sort_block_merge_implIS3_N6thrust23THRUST_200600_302600_NS6detail15normal_iteratorINS9_10device_ptrIyEEEEPS5_jNS1_19radix_merge_compareILb0ELb1EyNS0_19identity_decomposerEEEEE10hipError_tT0_T1_T2_jT3_P12ihipStream_tbPNSt15iterator_traitsISK_E10value_typeEPNSQ_ISL_E10value_typeEPSM_NS1_7vsmem_tEENKUlT_SK_SL_SM_E_clISE_PySF_SF_EESJ_SZ_SK_SL_SM_EUlSZ_E1_NS1_11comp_targetILNS1_3genE2ELNS1_11target_archE906ELNS1_3gpuE6ELNS1_3repE0EEENS1_36merge_oddeven_config_static_selectorELNS0_4arch9wavefront6targetE1EEEvSL_,"axG",@progbits,_ZN7rocprim17ROCPRIM_400000_NS6detail17trampoline_kernelINS0_14default_configENS1_38merge_sort_block_merge_config_selectorIyNS0_10empty_typeEEEZZNS1_27merge_sort_block_merge_implIS3_N6thrust23THRUST_200600_302600_NS6detail15normal_iteratorINS9_10device_ptrIyEEEEPS5_jNS1_19radix_merge_compareILb0ELb1EyNS0_19identity_decomposerEEEEE10hipError_tT0_T1_T2_jT3_P12ihipStream_tbPNSt15iterator_traitsISK_E10value_typeEPNSQ_ISL_E10value_typeEPSM_NS1_7vsmem_tEENKUlT_SK_SL_SM_E_clISE_PySF_SF_EESJ_SZ_SK_SL_SM_EUlSZ_E1_NS1_11comp_targetILNS1_3genE2ELNS1_11target_archE906ELNS1_3gpuE6ELNS1_3repE0EEENS1_36merge_oddeven_config_static_selectorELNS0_4arch9wavefront6targetE1EEEvSL_,comdat
.Lfunc_end834:
	.size	_ZN7rocprim17ROCPRIM_400000_NS6detail17trampoline_kernelINS0_14default_configENS1_38merge_sort_block_merge_config_selectorIyNS0_10empty_typeEEEZZNS1_27merge_sort_block_merge_implIS3_N6thrust23THRUST_200600_302600_NS6detail15normal_iteratorINS9_10device_ptrIyEEEEPS5_jNS1_19radix_merge_compareILb0ELb1EyNS0_19identity_decomposerEEEEE10hipError_tT0_T1_T2_jT3_P12ihipStream_tbPNSt15iterator_traitsISK_E10value_typeEPNSQ_ISL_E10value_typeEPSM_NS1_7vsmem_tEENKUlT_SK_SL_SM_E_clISE_PySF_SF_EESJ_SZ_SK_SL_SM_EUlSZ_E1_NS1_11comp_targetILNS1_3genE2ELNS1_11target_archE906ELNS1_3gpuE6ELNS1_3repE0EEENS1_36merge_oddeven_config_static_selectorELNS0_4arch9wavefront6targetE1EEEvSL_, .Lfunc_end834-_ZN7rocprim17ROCPRIM_400000_NS6detail17trampoline_kernelINS0_14default_configENS1_38merge_sort_block_merge_config_selectorIyNS0_10empty_typeEEEZZNS1_27merge_sort_block_merge_implIS3_N6thrust23THRUST_200600_302600_NS6detail15normal_iteratorINS9_10device_ptrIyEEEEPS5_jNS1_19radix_merge_compareILb0ELb1EyNS0_19identity_decomposerEEEEE10hipError_tT0_T1_T2_jT3_P12ihipStream_tbPNSt15iterator_traitsISK_E10value_typeEPNSQ_ISL_E10value_typeEPSM_NS1_7vsmem_tEENKUlT_SK_SL_SM_E_clISE_PySF_SF_EESJ_SZ_SK_SL_SM_EUlSZ_E1_NS1_11comp_targetILNS1_3genE2ELNS1_11target_archE906ELNS1_3gpuE6ELNS1_3repE0EEENS1_36merge_oddeven_config_static_selectorELNS0_4arch9wavefront6targetE1EEEvSL_
                                        ; -- End function
	.section	.AMDGPU.csdata,"",@progbits
; Kernel info:
; codeLenInByte = 0
; NumSgprs: 4
; NumVgprs: 0
; NumAgprs: 0
; TotalNumVgprs: 0
; ScratchSize: 0
; MemoryBound: 0
; FloatMode: 240
; IeeeMode: 1
; LDSByteSize: 0 bytes/workgroup (compile time only)
; SGPRBlocks: 0
; VGPRBlocks: 0
; NumSGPRsForWavesPerEU: 4
; NumVGPRsForWavesPerEU: 1
; AccumOffset: 4
; Occupancy: 8
; WaveLimiterHint : 0
; COMPUTE_PGM_RSRC2:SCRATCH_EN: 0
; COMPUTE_PGM_RSRC2:USER_SGPR: 6
; COMPUTE_PGM_RSRC2:TRAP_HANDLER: 0
; COMPUTE_PGM_RSRC2:TGID_X_EN: 1
; COMPUTE_PGM_RSRC2:TGID_Y_EN: 0
; COMPUTE_PGM_RSRC2:TGID_Z_EN: 0
; COMPUTE_PGM_RSRC2:TIDIG_COMP_CNT: 0
; COMPUTE_PGM_RSRC3_GFX90A:ACCUM_OFFSET: 0
; COMPUTE_PGM_RSRC3_GFX90A:TG_SPLIT: 0
	.section	.text._ZN7rocprim17ROCPRIM_400000_NS6detail17trampoline_kernelINS0_14default_configENS1_38merge_sort_block_merge_config_selectorIyNS0_10empty_typeEEEZZNS1_27merge_sort_block_merge_implIS3_N6thrust23THRUST_200600_302600_NS6detail15normal_iteratorINS9_10device_ptrIyEEEEPS5_jNS1_19radix_merge_compareILb0ELb1EyNS0_19identity_decomposerEEEEE10hipError_tT0_T1_T2_jT3_P12ihipStream_tbPNSt15iterator_traitsISK_E10value_typeEPNSQ_ISL_E10value_typeEPSM_NS1_7vsmem_tEENKUlT_SK_SL_SM_E_clISE_PySF_SF_EESJ_SZ_SK_SL_SM_EUlSZ_E1_NS1_11comp_targetILNS1_3genE9ELNS1_11target_archE1100ELNS1_3gpuE3ELNS1_3repE0EEENS1_36merge_oddeven_config_static_selectorELNS0_4arch9wavefront6targetE1EEEvSL_,"axG",@progbits,_ZN7rocprim17ROCPRIM_400000_NS6detail17trampoline_kernelINS0_14default_configENS1_38merge_sort_block_merge_config_selectorIyNS0_10empty_typeEEEZZNS1_27merge_sort_block_merge_implIS3_N6thrust23THRUST_200600_302600_NS6detail15normal_iteratorINS9_10device_ptrIyEEEEPS5_jNS1_19radix_merge_compareILb0ELb1EyNS0_19identity_decomposerEEEEE10hipError_tT0_T1_T2_jT3_P12ihipStream_tbPNSt15iterator_traitsISK_E10value_typeEPNSQ_ISL_E10value_typeEPSM_NS1_7vsmem_tEENKUlT_SK_SL_SM_E_clISE_PySF_SF_EESJ_SZ_SK_SL_SM_EUlSZ_E1_NS1_11comp_targetILNS1_3genE9ELNS1_11target_archE1100ELNS1_3gpuE3ELNS1_3repE0EEENS1_36merge_oddeven_config_static_selectorELNS0_4arch9wavefront6targetE1EEEvSL_,comdat
	.protected	_ZN7rocprim17ROCPRIM_400000_NS6detail17trampoline_kernelINS0_14default_configENS1_38merge_sort_block_merge_config_selectorIyNS0_10empty_typeEEEZZNS1_27merge_sort_block_merge_implIS3_N6thrust23THRUST_200600_302600_NS6detail15normal_iteratorINS9_10device_ptrIyEEEEPS5_jNS1_19radix_merge_compareILb0ELb1EyNS0_19identity_decomposerEEEEE10hipError_tT0_T1_T2_jT3_P12ihipStream_tbPNSt15iterator_traitsISK_E10value_typeEPNSQ_ISL_E10value_typeEPSM_NS1_7vsmem_tEENKUlT_SK_SL_SM_E_clISE_PySF_SF_EESJ_SZ_SK_SL_SM_EUlSZ_E1_NS1_11comp_targetILNS1_3genE9ELNS1_11target_archE1100ELNS1_3gpuE3ELNS1_3repE0EEENS1_36merge_oddeven_config_static_selectorELNS0_4arch9wavefront6targetE1EEEvSL_ ; -- Begin function _ZN7rocprim17ROCPRIM_400000_NS6detail17trampoline_kernelINS0_14default_configENS1_38merge_sort_block_merge_config_selectorIyNS0_10empty_typeEEEZZNS1_27merge_sort_block_merge_implIS3_N6thrust23THRUST_200600_302600_NS6detail15normal_iteratorINS9_10device_ptrIyEEEEPS5_jNS1_19radix_merge_compareILb0ELb1EyNS0_19identity_decomposerEEEEE10hipError_tT0_T1_T2_jT3_P12ihipStream_tbPNSt15iterator_traitsISK_E10value_typeEPNSQ_ISL_E10value_typeEPSM_NS1_7vsmem_tEENKUlT_SK_SL_SM_E_clISE_PySF_SF_EESJ_SZ_SK_SL_SM_EUlSZ_E1_NS1_11comp_targetILNS1_3genE9ELNS1_11target_archE1100ELNS1_3gpuE3ELNS1_3repE0EEENS1_36merge_oddeven_config_static_selectorELNS0_4arch9wavefront6targetE1EEEvSL_
	.globl	_ZN7rocprim17ROCPRIM_400000_NS6detail17trampoline_kernelINS0_14default_configENS1_38merge_sort_block_merge_config_selectorIyNS0_10empty_typeEEEZZNS1_27merge_sort_block_merge_implIS3_N6thrust23THRUST_200600_302600_NS6detail15normal_iteratorINS9_10device_ptrIyEEEEPS5_jNS1_19radix_merge_compareILb0ELb1EyNS0_19identity_decomposerEEEEE10hipError_tT0_T1_T2_jT3_P12ihipStream_tbPNSt15iterator_traitsISK_E10value_typeEPNSQ_ISL_E10value_typeEPSM_NS1_7vsmem_tEENKUlT_SK_SL_SM_E_clISE_PySF_SF_EESJ_SZ_SK_SL_SM_EUlSZ_E1_NS1_11comp_targetILNS1_3genE9ELNS1_11target_archE1100ELNS1_3gpuE3ELNS1_3repE0EEENS1_36merge_oddeven_config_static_selectorELNS0_4arch9wavefront6targetE1EEEvSL_
	.p2align	8
	.type	_ZN7rocprim17ROCPRIM_400000_NS6detail17trampoline_kernelINS0_14default_configENS1_38merge_sort_block_merge_config_selectorIyNS0_10empty_typeEEEZZNS1_27merge_sort_block_merge_implIS3_N6thrust23THRUST_200600_302600_NS6detail15normal_iteratorINS9_10device_ptrIyEEEEPS5_jNS1_19radix_merge_compareILb0ELb1EyNS0_19identity_decomposerEEEEE10hipError_tT0_T1_T2_jT3_P12ihipStream_tbPNSt15iterator_traitsISK_E10value_typeEPNSQ_ISL_E10value_typeEPSM_NS1_7vsmem_tEENKUlT_SK_SL_SM_E_clISE_PySF_SF_EESJ_SZ_SK_SL_SM_EUlSZ_E1_NS1_11comp_targetILNS1_3genE9ELNS1_11target_archE1100ELNS1_3gpuE3ELNS1_3repE0EEENS1_36merge_oddeven_config_static_selectorELNS0_4arch9wavefront6targetE1EEEvSL_,@function
_ZN7rocprim17ROCPRIM_400000_NS6detail17trampoline_kernelINS0_14default_configENS1_38merge_sort_block_merge_config_selectorIyNS0_10empty_typeEEEZZNS1_27merge_sort_block_merge_implIS3_N6thrust23THRUST_200600_302600_NS6detail15normal_iteratorINS9_10device_ptrIyEEEEPS5_jNS1_19radix_merge_compareILb0ELb1EyNS0_19identity_decomposerEEEEE10hipError_tT0_T1_T2_jT3_P12ihipStream_tbPNSt15iterator_traitsISK_E10value_typeEPNSQ_ISL_E10value_typeEPSM_NS1_7vsmem_tEENKUlT_SK_SL_SM_E_clISE_PySF_SF_EESJ_SZ_SK_SL_SM_EUlSZ_E1_NS1_11comp_targetILNS1_3genE9ELNS1_11target_archE1100ELNS1_3gpuE3ELNS1_3repE0EEENS1_36merge_oddeven_config_static_selectorELNS0_4arch9wavefront6targetE1EEEvSL_: ; @_ZN7rocprim17ROCPRIM_400000_NS6detail17trampoline_kernelINS0_14default_configENS1_38merge_sort_block_merge_config_selectorIyNS0_10empty_typeEEEZZNS1_27merge_sort_block_merge_implIS3_N6thrust23THRUST_200600_302600_NS6detail15normal_iteratorINS9_10device_ptrIyEEEEPS5_jNS1_19radix_merge_compareILb0ELb1EyNS0_19identity_decomposerEEEEE10hipError_tT0_T1_T2_jT3_P12ihipStream_tbPNSt15iterator_traitsISK_E10value_typeEPNSQ_ISL_E10value_typeEPSM_NS1_7vsmem_tEENKUlT_SK_SL_SM_E_clISE_PySF_SF_EESJ_SZ_SK_SL_SM_EUlSZ_E1_NS1_11comp_targetILNS1_3genE9ELNS1_11target_archE1100ELNS1_3gpuE3ELNS1_3repE0EEENS1_36merge_oddeven_config_static_selectorELNS0_4arch9wavefront6targetE1EEEvSL_
; %bb.0:
	.section	.rodata,"a",@progbits
	.p2align	6, 0x0
	.amdhsa_kernel _ZN7rocprim17ROCPRIM_400000_NS6detail17trampoline_kernelINS0_14default_configENS1_38merge_sort_block_merge_config_selectorIyNS0_10empty_typeEEEZZNS1_27merge_sort_block_merge_implIS3_N6thrust23THRUST_200600_302600_NS6detail15normal_iteratorINS9_10device_ptrIyEEEEPS5_jNS1_19radix_merge_compareILb0ELb1EyNS0_19identity_decomposerEEEEE10hipError_tT0_T1_T2_jT3_P12ihipStream_tbPNSt15iterator_traitsISK_E10value_typeEPNSQ_ISL_E10value_typeEPSM_NS1_7vsmem_tEENKUlT_SK_SL_SM_E_clISE_PySF_SF_EESJ_SZ_SK_SL_SM_EUlSZ_E1_NS1_11comp_targetILNS1_3genE9ELNS1_11target_archE1100ELNS1_3gpuE3ELNS1_3repE0EEENS1_36merge_oddeven_config_static_selectorELNS0_4arch9wavefront6targetE1EEEvSL_
		.amdhsa_group_segment_fixed_size 0
		.amdhsa_private_segment_fixed_size 0
		.amdhsa_kernarg_size 48
		.amdhsa_user_sgpr_count 6
		.amdhsa_user_sgpr_private_segment_buffer 1
		.amdhsa_user_sgpr_dispatch_ptr 0
		.amdhsa_user_sgpr_queue_ptr 0
		.amdhsa_user_sgpr_kernarg_segment_ptr 1
		.amdhsa_user_sgpr_dispatch_id 0
		.amdhsa_user_sgpr_flat_scratch_init 0
		.amdhsa_user_sgpr_kernarg_preload_length 0
		.amdhsa_user_sgpr_kernarg_preload_offset 0
		.amdhsa_user_sgpr_private_segment_size 0
		.amdhsa_uses_dynamic_stack 0
		.amdhsa_system_sgpr_private_segment_wavefront_offset 0
		.amdhsa_system_sgpr_workgroup_id_x 1
		.amdhsa_system_sgpr_workgroup_id_y 0
		.amdhsa_system_sgpr_workgroup_id_z 0
		.amdhsa_system_sgpr_workgroup_info 0
		.amdhsa_system_vgpr_workitem_id 0
		.amdhsa_next_free_vgpr 1
		.amdhsa_next_free_sgpr 0
		.amdhsa_accum_offset 4
		.amdhsa_reserve_vcc 0
		.amdhsa_reserve_flat_scratch 0
		.amdhsa_float_round_mode_32 0
		.amdhsa_float_round_mode_16_64 0
		.amdhsa_float_denorm_mode_32 3
		.amdhsa_float_denorm_mode_16_64 3
		.amdhsa_dx10_clamp 1
		.amdhsa_ieee_mode 1
		.amdhsa_fp16_overflow 0
		.amdhsa_tg_split 0
		.amdhsa_exception_fp_ieee_invalid_op 0
		.amdhsa_exception_fp_denorm_src 0
		.amdhsa_exception_fp_ieee_div_zero 0
		.amdhsa_exception_fp_ieee_overflow 0
		.amdhsa_exception_fp_ieee_underflow 0
		.amdhsa_exception_fp_ieee_inexact 0
		.amdhsa_exception_int_div_zero 0
	.end_amdhsa_kernel
	.section	.text._ZN7rocprim17ROCPRIM_400000_NS6detail17trampoline_kernelINS0_14default_configENS1_38merge_sort_block_merge_config_selectorIyNS0_10empty_typeEEEZZNS1_27merge_sort_block_merge_implIS3_N6thrust23THRUST_200600_302600_NS6detail15normal_iteratorINS9_10device_ptrIyEEEEPS5_jNS1_19radix_merge_compareILb0ELb1EyNS0_19identity_decomposerEEEEE10hipError_tT0_T1_T2_jT3_P12ihipStream_tbPNSt15iterator_traitsISK_E10value_typeEPNSQ_ISL_E10value_typeEPSM_NS1_7vsmem_tEENKUlT_SK_SL_SM_E_clISE_PySF_SF_EESJ_SZ_SK_SL_SM_EUlSZ_E1_NS1_11comp_targetILNS1_3genE9ELNS1_11target_archE1100ELNS1_3gpuE3ELNS1_3repE0EEENS1_36merge_oddeven_config_static_selectorELNS0_4arch9wavefront6targetE1EEEvSL_,"axG",@progbits,_ZN7rocprim17ROCPRIM_400000_NS6detail17trampoline_kernelINS0_14default_configENS1_38merge_sort_block_merge_config_selectorIyNS0_10empty_typeEEEZZNS1_27merge_sort_block_merge_implIS3_N6thrust23THRUST_200600_302600_NS6detail15normal_iteratorINS9_10device_ptrIyEEEEPS5_jNS1_19radix_merge_compareILb0ELb1EyNS0_19identity_decomposerEEEEE10hipError_tT0_T1_T2_jT3_P12ihipStream_tbPNSt15iterator_traitsISK_E10value_typeEPNSQ_ISL_E10value_typeEPSM_NS1_7vsmem_tEENKUlT_SK_SL_SM_E_clISE_PySF_SF_EESJ_SZ_SK_SL_SM_EUlSZ_E1_NS1_11comp_targetILNS1_3genE9ELNS1_11target_archE1100ELNS1_3gpuE3ELNS1_3repE0EEENS1_36merge_oddeven_config_static_selectorELNS0_4arch9wavefront6targetE1EEEvSL_,comdat
.Lfunc_end835:
	.size	_ZN7rocprim17ROCPRIM_400000_NS6detail17trampoline_kernelINS0_14default_configENS1_38merge_sort_block_merge_config_selectorIyNS0_10empty_typeEEEZZNS1_27merge_sort_block_merge_implIS3_N6thrust23THRUST_200600_302600_NS6detail15normal_iteratorINS9_10device_ptrIyEEEEPS5_jNS1_19radix_merge_compareILb0ELb1EyNS0_19identity_decomposerEEEEE10hipError_tT0_T1_T2_jT3_P12ihipStream_tbPNSt15iterator_traitsISK_E10value_typeEPNSQ_ISL_E10value_typeEPSM_NS1_7vsmem_tEENKUlT_SK_SL_SM_E_clISE_PySF_SF_EESJ_SZ_SK_SL_SM_EUlSZ_E1_NS1_11comp_targetILNS1_3genE9ELNS1_11target_archE1100ELNS1_3gpuE3ELNS1_3repE0EEENS1_36merge_oddeven_config_static_selectorELNS0_4arch9wavefront6targetE1EEEvSL_, .Lfunc_end835-_ZN7rocprim17ROCPRIM_400000_NS6detail17trampoline_kernelINS0_14default_configENS1_38merge_sort_block_merge_config_selectorIyNS0_10empty_typeEEEZZNS1_27merge_sort_block_merge_implIS3_N6thrust23THRUST_200600_302600_NS6detail15normal_iteratorINS9_10device_ptrIyEEEEPS5_jNS1_19radix_merge_compareILb0ELb1EyNS0_19identity_decomposerEEEEE10hipError_tT0_T1_T2_jT3_P12ihipStream_tbPNSt15iterator_traitsISK_E10value_typeEPNSQ_ISL_E10value_typeEPSM_NS1_7vsmem_tEENKUlT_SK_SL_SM_E_clISE_PySF_SF_EESJ_SZ_SK_SL_SM_EUlSZ_E1_NS1_11comp_targetILNS1_3genE9ELNS1_11target_archE1100ELNS1_3gpuE3ELNS1_3repE0EEENS1_36merge_oddeven_config_static_selectorELNS0_4arch9wavefront6targetE1EEEvSL_
                                        ; -- End function
	.section	.AMDGPU.csdata,"",@progbits
; Kernel info:
; codeLenInByte = 0
; NumSgprs: 4
; NumVgprs: 0
; NumAgprs: 0
; TotalNumVgprs: 0
; ScratchSize: 0
; MemoryBound: 0
; FloatMode: 240
; IeeeMode: 1
; LDSByteSize: 0 bytes/workgroup (compile time only)
; SGPRBlocks: 0
; VGPRBlocks: 0
; NumSGPRsForWavesPerEU: 4
; NumVGPRsForWavesPerEU: 1
; AccumOffset: 4
; Occupancy: 8
; WaveLimiterHint : 0
; COMPUTE_PGM_RSRC2:SCRATCH_EN: 0
; COMPUTE_PGM_RSRC2:USER_SGPR: 6
; COMPUTE_PGM_RSRC2:TRAP_HANDLER: 0
; COMPUTE_PGM_RSRC2:TGID_X_EN: 1
; COMPUTE_PGM_RSRC2:TGID_Y_EN: 0
; COMPUTE_PGM_RSRC2:TGID_Z_EN: 0
; COMPUTE_PGM_RSRC2:TIDIG_COMP_CNT: 0
; COMPUTE_PGM_RSRC3_GFX90A:ACCUM_OFFSET: 0
; COMPUTE_PGM_RSRC3_GFX90A:TG_SPLIT: 0
	.section	.text._ZN7rocprim17ROCPRIM_400000_NS6detail17trampoline_kernelINS0_14default_configENS1_38merge_sort_block_merge_config_selectorIyNS0_10empty_typeEEEZZNS1_27merge_sort_block_merge_implIS3_N6thrust23THRUST_200600_302600_NS6detail15normal_iteratorINS9_10device_ptrIyEEEEPS5_jNS1_19radix_merge_compareILb0ELb1EyNS0_19identity_decomposerEEEEE10hipError_tT0_T1_T2_jT3_P12ihipStream_tbPNSt15iterator_traitsISK_E10value_typeEPNSQ_ISL_E10value_typeEPSM_NS1_7vsmem_tEENKUlT_SK_SL_SM_E_clISE_PySF_SF_EESJ_SZ_SK_SL_SM_EUlSZ_E1_NS1_11comp_targetILNS1_3genE8ELNS1_11target_archE1030ELNS1_3gpuE2ELNS1_3repE0EEENS1_36merge_oddeven_config_static_selectorELNS0_4arch9wavefront6targetE1EEEvSL_,"axG",@progbits,_ZN7rocprim17ROCPRIM_400000_NS6detail17trampoline_kernelINS0_14default_configENS1_38merge_sort_block_merge_config_selectorIyNS0_10empty_typeEEEZZNS1_27merge_sort_block_merge_implIS3_N6thrust23THRUST_200600_302600_NS6detail15normal_iteratorINS9_10device_ptrIyEEEEPS5_jNS1_19radix_merge_compareILb0ELb1EyNS0_19identity_decomposerEEEEE10hipError_tT0_T1_T2_jT3_P12ihipStream_tbPNSt15iterator_traitsISK_E10value_typeEPNSQ_ISL_E10value_typeEPSM_NS1_7vsmem_tEENKUlT_SK_SL_SM_E_clISE_PySF_SF_EESJ_SZ_SK_SL_SM_EUlSZ_E1_NS1_11comp_targetILNS1_3genE8ELNS1_11target_archE1030ELNS1_3gpuE2ELNS1_3repE0EEENS1_36merge_oddeven_config_static_selectorELNS0_4arch9wavefront6targetE1EEEvSL_,comdat
	.protected	_ZN7rocprim17ROCPRIM_400000_NS6detail17trampoline_kernelINS0_14default_configENS1_38merge_sort_block_merge_config_selectorIyNS0_10empty_typeEEEZZNS1_27merge_sort_block_merge_implIS3_N6thrust23THRUST_200600_302600_NS6detail15normal_iteratorINS9_10device_ptrIyEEEEPS5_jNS1_19radix_merge_compareILb0ELb1EyNS0_19identity_decomposerEEEEE10hipError_tT0_T1_T2_jT3_P12ihipStream_tbPNSt15iterator_traitsISK_E10value_typeEPNSQ_ISL_E10value_typeEPSM_NS1_7vsmem_tEENKUlT_SK_SL_SM_E_clISE_PySF_SF_EESJ_SZ_SK_SL_SM_EUlSZ_E1_NS1_11comp_targetILNS1_3genE8ELNS1_11target_archE1030ELNS1_3gpuE2ELNS1_3repE0EEENS1_36merge_oddeven_config_static_selectorELNS0_4arch9wavefront6targetE1EEEvSL_ ; -- Begin function _ZN7rocprim17ROCPRIM_400000_NS6detail17trampoline_kernelINS0_14default_configENS1_38merge_sort_block_merge_config_selectorIyNS0_10empty_typeEEEZZNS1_27merge_sort_block_merge_implIS3_N6thrust23THRUST_200600_302600_NS6detail15normal_iteratorINS9_10device_ptrIyEEEEPS5_jNS1_19radix_merge_compareILb0ELb1EyNS0_19identity_decomposerEEEEE10hipError_tT0_T1_T2_jT3_P12ihipStream_tbPNSt15iterator_traitsISK_E10value_typeEPNSQ_ISL_E10value_typeEPSM_NS1_7vsmem_tEENKUlT_SK_SL_SM_E_clISE_PySF_SF_EESJ_SZ_SK_SL_SM_EUlSZ_E1_NS1_11comp_targetILNS1_3genE8ELNS1_11target_archE1030ELNS1_3gpuE2ELNS1_3repE0EEENS1_36merge_oddeven_config_static_selectorELNS0_4arch9wavefront6targetE1EEEvSL_
	.globl	_ZN7rocprim17ROCPRIM_400000_NS6detail17trampoline_kernelINS0_14default_configENS1_38merge_sort_block_merge_config_selectorIyNS0_10empty_typeEEEZZNS1_27merge_sort_block_merge_implIS3_N6thrust23THRUST_200600_302600_NS6detail15normal_iteratorINS9_10device_ptrIyEEEEPS5_jNS1_19radix_merge_compareILb0ELb1EyNS0_19identity_decomposerEEEEE10hipError_tT0_T1_T2_jT3_P12ihipStream_tbPNSt15iterator_traitsISK_E10value_typeEPNSQ_ISL_E10value_typeEPSM_NS1_7vsmem_tEENKUlT_SK_SL_SM_E_clISE_PySF_SF_EESJ_SZ_SK_SL_SM_EUlSZ_E1_NS1_11comp_targetILNS1_3genE8ELNS1_11target_archE1030ELNS1_3gpuE2ELNS1_3repE0EEENS1_36merge_oddeven_config_static_selectorELNS0_4arch9wavefront6targetE1EEEvSL_
	.p2align	8
	.type	_ZN7rocprim17ROCPRIM_400000_NS6detail17trampoline_kernelINS0_14default_configENS1_38merge_sort_block_merge_config_selectorIyNS0_10empty_typeEEEZZNS1_27merge_sort_block_merge_implIS3_N6thrust23THRUST_200600_302600_NS6detail15normal_iteratorINS9_10device_ptrIyEEEEPS5_jNS1_19radix_merge_compareILb0ELb1EyNS0_19identity_decomposerEEEEE10hipError_tT0_T1_T2_jT3_P12ihipStream_tbPNSt15iterator_traitsISK_E10value_typeEPNSQ_ISL_E10value_typeEPSM_NS1_7vsmem_tEENKUlT_SK_SL_SM_E_clISE_PySF_SF_EESJ_SZ_SK_SL_SM_EUlSZ_E1_NS1_11comp_targetILNS1_3genE8ELNS1_11target_archE1030ELNS1_3gpuE2ELNS1_3repE0EEENS1_36merge_oddeven_config_static_selectorELNS0_4arch9wavefront6targetE1EEEvSL_,@function
_ZN7rocprim17ROCPRIM_400000_NS6detail17trampoline_kernelINS0_14default_configENS1_38merge_sort_block_merge_config_selectorIyNS0_10empty_typeEEEZZNS1_27merge_sort_block_merge_implIS3_N6thrust23THRUST_200600_302600_NS6detail15normal_iteratorINS9_10device_ptrIyEEEEPS5_jNS1_19radix_merge_compareILb0ELb1EyNS0_19identity_decomposerEEEEE10hipError_tT0_T1_T2_jT3_P12ihipStream_tbPNSt15iterator_traitsISK_E10value_typeEPNSQ_ISL_E10value_typeEPSM_NS1_7vsmem_tEENKUlT_SK_SL_SM_E_clISE_PySF_SF_EESJ_SZ_SK_SL_SM_EUlSZ_E1_NS1_11comp_targetILNS1_3genE8ELNS1_11target_archE1030ELNS1_3gpuE2ELNS1_3repE0EEENS1_36merge_oddeven_config_static_selectorELNS0_4arch9wavefront6targetE1EEEvSL_: ; @_ZN7rocprim17ROCPRIM_400000_NS6detail17trampoline_kernelINS0_14default_configENS1_38merge_sort_block_merge_config_selectorIyNS0_10empty_typeEEEZZNS1_27merge_sort_block_merge_implIS3_N6thrust23THRUST_200600_302600_NS6detail15normal_iteratorINS9_10device_ptrIyEEEEPS5_jNS1_19radix_merge_compareILb0ELb1EyNS0_19identity_decomposerEEEEE10hipError_tT0_T1_T2_jT3_P12ihipStream_tbPNSt15iterator_traitsISK_E10value_typeEPNSQ_ISL_E10value_typeEPSM_NS1_7vsmem_tEENKUlT_SK_SL_SM_E_clISE_PySF_SF_EESJ_SZ_SK_SL_SM_EUlSZ_E1_NS1_11comp_targetILNS1_3genE8ELNS1_11target_archE1030ELNS1_3gpuE2ELNS1_3repE0EEENS1_36merge_oddeven_config_static_selectorELNS0_4arch9wavefront6targetE1EEEvSL_
; %bb.0:
	.section	.rodata,"a",@progbits
	.p2align	6, 0x0
	.amdhsa_kernel _ZN7rocprim17ROCPRIM_400000_NS6detail17trampoline_kernelINS0_14default_configENS1_38merge_sort_block_merge_config_selectorIyNS0_10empty_typeEEEZZNS1_27merge_sort_block_merge_implIS3_N6thrust23THRUST_200600_302600_NS6detail15normal_iteratorINS9_10device_ptrIyEEEEPS5_jNS1_19radix_merge_compareILb0ELb1EyNS0_19identity_decomposerEEEEE10hipError_tT0_T1_T2_jT3_P12ihipStream_tbPNSt15iterator_traitsISK_E10value_typeEPNSQ_ISL_E10value_typeEPSM_NS1_7vsmem_tEENKUlT_SK_SL_SM_E_clISE_PySF_SF_EESJ_SZ_SK_SL_SM_EUlSZ_E1_NS1_11comp_targetILNS1_3genE8ELNS1_11target_archE1030ELNS1_3gpuE2ELNS1_3repE0EEENS1_36merge_oddeven_config_static_selectorELNS0_4arch9wavefront6targetE1EEEvSL_
		.amdhsa_group_segment_fixed_size 0
		.amdhsa_private_segment_fixed_size 0
		.amdhsa_kernarg_size 48
		.amdhsa_user_sgpr_count 6
		.amdhsa_user_sgpr_private_segment_buffer 1
		.amdhsa_user_sgpr_dispatch_ptr 0
		.amdhsa_user_sgpr_queue_ptr 0
		.amdhsa_user_sgpr_kernarg_segment_ptr 1
		.amdhsa_user_sgpr_dispatch_id 0
		.amdhsa_user_sgpr_flat_scratch_init 0
		.amdhsa_user_sgpr_kernarg_preload_length 0
		.amdhsa_user_sgpr_kernarg_preload_offset 0
		.amdhsa_user_sgpr_private_segment_size 0
		.amdhsa_uses_dynamic_stack 0
		.amdhsa_system_sgpr_private_segment_wavefront_offset 0
		.amdhsa_system_sgpr_workgroup_id_x 1
		.amdhsa_system_sgpr_workgroup_id_y 0
		.amdhsa_system_sgpr_workgroup_id_z 0
		.amdhsa_system_sgpr_workgroup_info 0
		.amdhsa_system_vgpr_workitem_id 0
		.amdhsa_next_free_vgpr 1
		.amdhsa_next_free_sgpr 0
		.amdhsa_accum_offset 4
		.amdhsa_reserve_vcc 0
		.amdhsa_reserve_flat_scratch 0
		.amdhsa_float_round_mode_32 0
		.amdhsa_float_round_mode_16_64 0
		.amdhsa_float_denorm_mode_32 3
		.amdhsa_float_denorm_mode_16_64 3
		.amdhsa_dx10_clamp 1
		.amdhsa_ieee_mode 1
		.amdhsa_fp16_overflow 0
		.amdhsa_tg_split 0
		.amdhsa_exception_fp_ieee_invalid_op 0
		.amdhsa_exception_fp_denorm_src 0
		.amdhsa_exception_fp_ieee_div_zero 0
		.amdhsa_exception_fp_ieee_overflow 0
		.amdhsa_exception_fp_ieee_underflow 0
		.amdhsa_exception_fp_ieee_inexact 0
		.amdhsa_exception_int_div_zero 0
	.end_amdhsa_kernel
	.section	.text._ZN7rocprim17ROCPRIM_400000_NS6detail17trampoline_kernelINS0_14default_configENS1_38merge_sort_block_merge_config_selectorIyNS0_10empty_typeEEEZZNS1_27merge_sort_block_merge_implIS3_N6thrust23THRUST_200600_302600_NS6detail15normal_iteratorINS9_10device_ptrIyEEEEPS5_jNS1_19radix_merge_compareILb0ELb1EyNS0_19identity_decomposerEEEEE10hipError_tT0_T1_T2_jT3_P12ihipStream_tbPNSt15iterator_traitsISK_E10value_typeEPNSQ_ISL_E10value_typeEPSM_NS1_7vsmem_tEENKUlT_SK_SL_SM_E_clISE_PySF_SF_EESJ_SZ_SK_SL_SM_EUlSZ_E1_NS1_11comp_targetILNS1_3genE8ELNS1_11target_archE1030ELNS1_3gpuE2ELNS1_3repE0EEENS1_36merge_oddeven_config_static_selectorELNS0_4arch9wavefront6targetE1EEEvSL_,"axG",@progbits,_ZN7rocprim17ROCPRIM_400000_NS6detail17trampoline_kernelINS0_14default_configENS1_38merge_sort_block_merge_config_selectorIyNS0_10empty_typeEEEZZNS1_27merge_sort_block_merge_implIS3_N6thrust23THRUST_200600_302600_NS6detail15normal_iteratorINS9_10device_ptrIyEEEEPS5_jNS1_19radix_merge_compareILb0ELb1EyNS0_19identity_decomposerEEEEE10hipError_tT0_T1_T2_jT3_P12ihipStream_tbPNSt15iterator_traitsISK_E10value_typeEPNSQ_ISL_E10value_typeEPSM_NS1_7vsmem_tEENKUlT_SK_SL_SM_E_clISE_PySF_SF_EESJ_SZ_SK_SL_SM_EUlSZ_E1_NS1_11comp_targetILNS1_3genE8ELNS1_11target_archE1030ELNS1_3gpuE2ELNS1_3repE0EEENS1_36merge_oddeven_config_static_selectorELNS0_4arch9wavefront6targetE1EEEvSL_,comdat
.Lfunc_end836:
	.size	_ZN7rocprim17ROCPRIM_400000_NS6detail17trampoline_kernelINS0_14default_configENS1_38merge_sort_block_merge_config_selectorIyNS0_10empty_typeEEEZZNS1_27merge_sort_block_merge_implIS3_N6thrust23THRUST_200600_302600_NS6detail15normal_iteratorINS9_10device_ptrIyEEEEPS5_jNS1_19radix_merge_compareILb0ELb1EyNS0_19identity_decomposerEEEEE10hipError_tT0_T1_T2_jT3_P12ihipStream_tbPNSt15iterator_traitsISK_E10value_typeEPNSQ_ISL_E10value_typeEPSM_NS1_7vsmem_tEENKUlT_SK_SL_SM_E_clISE_PySF_SF_EESJ_SZ_SK_SL_SM_EUlSZ_E1_NS1_11comp_targetILNS1_3genE8ELNS1_11target_archE1030ELNS1_3gpuE2ELNS1_3repE0EEENS1_36merge_oddeven_config_static_selectorELNS0_4arch9wavefront6targetE1EEEvSL_, .Lfunc_end836-_ZN7rocprim17ROCPRIM_400000_NS6detail17trampoline_kernelINS0_14default_configENS1_38merge_sort_block_merge_config_selectorIyNS0_10empty_typeEEEZZNS1_27merge_sort_block_merge_implIS3_N6thrust23THRUST_200600_302600_NS6detail15normal_iteratorINS9_10device_ptrIyEEEEPS5_jNS1_19radix_merge_compareILb0ELb1EyNS0_19identity_decomposerEEEEE10hipError_tT0_T1_T2_jT3_P12ihipStream_tbPNSt15iterator_traitsISK_E10value_typeEPNSQ_ISL_E10value_typeEPSM_NS1_7vsmem_tEENKUlT_SK_SL_SM_E_clISE_PySF_SF_EESJ_SZ_SK_SL_SM_EUlSZ_E1_NS1_11comp_targetILNS1_3genE8ELNS1_11target_archE1030ELNS1_3gpuE2ELNS1_3repE0EEENS1_36merge_oddeven_config_static_selectorELNS0_4arch9wavefront6targetE1EEEvSL_
                                        ; -- End function
	.section	.AMDGPU.csdata,"",@progbits
; Kernel info:
; codeLenInByte = 0
; NumSgprs: 4
; NumVgprs: 0
; NumAgprs: 0
; TotalNumVgprs: 0
; ScratchSize: 0
; MemoryBound: 0
; FloatMode: 240
; IeeeMode: 1
; LDSByteSize: 0 bytes/workgroup (compile time only)
; SGPRBlocks: 0
; VGPRBlocks: 0
; NumSGPRsForWavesPerEU: 4
; NumVGPRsForWavesPerEU: 1
; AccumOffset: 4
; Occupancy: 8
; WaveLimiterHint : 0
; COMPUTE_PGM_RSRC2:SCRATCH_EN: 0
; COMPUTE_PGM_RSRC2:USER_SGPR: 6
; COMPUTE_PGM_RSRC2:TRAP_HANDLER: 0
; COMPUTE_PGM_RSRC2:TGID_X_EN: 1
; COMPUTE_PGM_RSRC2:TGID_Y_EN: 0
; COMPUTE_PGM_RSRC2:TGID_Z_EN: 0
; COMPUTE_PGM_RSRC2:TIDIG_COMP_CNT: 0
; COMPUTE_PGM_RSRC3_GFX90A:ACCUM_OFFSET: 0
; COMPUTE_PGM_RSRC3_GFX90A:TG_SPLIT: 0
	.section	.text._ZN7rocprim17ROCPRIM_400000_NS6detail17trampoline_kernelINS0_14default_configENS1_35radix_sort_onesweep_config_selectorIyNS0_10empty_typeEEEZNS1_34radix_sort_onesweep_global_offsetsIS3_Lb0EN6thrust23THRUST_200600_302600_NS6detail15normal_iteratorINS9_10device_ptrIyEEEEPS5_jNS0_19identity_decomposerEEE10hipError_tT1_T2_PT3_SK_jT4_jjP12ihipStream_tbEUlT_E_NS1_11comp_targetILNS1_3genE0ELNS1_11target_archE4294967295ELNS1_3gpuE0ELNS1_3repE0EEENS1_52radix_sort_onesweep_histogram_config_static_selectorELNS0_4arch9wavefront6targetE1EEEvSI_,"axG",@progbits,_ZN7rocprim17ROCPRIM_400000_NS6detail17trampoline_kernelINS0_14default_configENS1_35radix_sort_onesweep_config_selectorIyNS0_10empty_typeEEEZNS1_34radix_sort_onesweep_global_offsetsIS3_Lb0EN6thrust23THRUST_200600_302600_NS6detail15normal_iteratorINS9_10device_ptrIyEEEEPS5_jNS0_19identity_decomposerEEE10hipError_tT1_T2_PT3_SK_jT4_jjP12ihipStream_tbEUlT_E_NS1_11comp_targetILNS1_3genE0ELNS1_11target_archE4294967295ELNS1_3gpuE0ELNS1_3repE0EEENS1_52radix_sort_onesweep_histogram_config_static_selectorELNS0_4arch9wavefront6targetE1EEEvSI_,comdat
	.protected	_ZN7rocprim17ROCPRIM_400000_NS6detail17trampoline_kernelINS0_14default_configENS1_35radix_sort_onesweep_config_selectorIyNS0_10empty_typeEEEZNS1_34radix_sort_onesweep_global_offsetsIS3_Lb0EN6thrust23THRUST_200600_302600_NS6detail15normal_iteratorINS9_10device_ptrIyEEEEPS5_jNS0_19identity_decomposerEEE10hipError_tT1_T2_PT3_SK_jT4_jjP12ihipStream_tbEUlT_E_NS1_11comp_targetILNS1_3genE0ELNS1_11target_archE4294967295ELNS1_3gpuE0ELNS1_3repE0EEENS1_52radix_sort_onesweep_histogram_config_static_selectorELNS0_4arch9wavefront6targetE1EEEvSI_ ; -- Begin function _ZN7rocprim17ROCPRIM_400000_NS6detail17trampoline_kernelINS0_14default_configENS1_35radix_sort_onesweep_config_selectorIyNS0_10empty_typeEEEZNS1_34radix_sort_onesweep_global_offsetsIS3_Lb0EN6thrust23THRUST_200600_302600_NS6detail15normal_iteratorINS9_10device_ptrIyEEEEPS5_jNS0_19identity_decomposerEEE10hipError_tT1_T2_PT3_SK_jT4_jjP12ihipStream_tbEUlT_E_NS1_11comp_targetILNS1_3genE0ELNS1_11target_archE4294967295ELNS1_3gpuE0ELNS1_3repE0EEENS1_52radix_sort_onesweep_histogram_config_static_selectorELNS0_4arch9wavefront6targetE1EEEvSI_
	.globl	_ZN7rocprim17ROCPRIM_400000_NS6detail17trampoline_kernelINS0_14default_configENS1_35radix_sort_onesweep_config_selectorIyNS0_10empty_typeEEEZNS1_34radix_sort_onesweep_global_offsetsIS3_Lb0EN6thrust23THRUST_200600_302600_NS6detail15normal_iteratorINS9_10device_ptrIyEEEEPS5_jNS0_19identity_decomposerEEE10hipError_tT1_T2_PT3_SK_jT4_jjP12ihipStream_tbEUlT_E_NS1_11comp_targetILNS1_3genE0ELNS1_11target_archE4294967295ELNS1_3gpuE0ELNS1_3repE0EEENS1_52radix_sort_onesweep_histogram_config_static_selectorELNS0_4arch9wavefront6targetE1EEEvSI_
	.p2align	8
	.type	_ZN7rocprim17ROCPRIM_400000_NS6detail17trampoline_kernelINS0_14default_configENS1_35radix_sort_onesweep_config_selectorIyNS0_10empty_typeEEEZNS1_34radix_sort_onesweep_global_offsetsIS3_Lb0EN6thrust23THRUST_200600_302600_NS6detail15normal_iteratorINS9_10device_ptrIyEEEEPS5_jNS0_19identity_decomposerEEE10hipError_tT1_T2_PT3_SK_jT4_jjP12ihipStream_tbEUlT_E_NS1_11comp_targetILNS1_3genE0ELNS1_11target_archE4294967295ELNS1_3gpuE0ELNS1_3repE0EEENS1_52radix_sort_onesweep_histogram_config_static_selectorELNS0_4arch9wavefront6targetE1EEEvSI_,@function
_ZN7rocprim17ROCPRIM_400000_NS6detail17trampoline_kernelINS0_14default_configENS1_35radix_sort_onesweep_config_selectorIyNS0_10empty_typeEEEZNS1_34radix_sort_onesweep_global_offsetsIS3_Lb0EN6thrust23THRUST_200600_302600_NS6detail15normal_iteratorINS9_10device_ptrIyEEEEPS5_jNS0_19identity_decomposerEEE10hipError_tT1_T2_PT3_SK_jT4_jjP12ihipStream_tbEUlT_E_NS1_11comp_targetILNS1_3genE0ELNS1_11target_archE4294967295ELNS1_3gpuE0ELNS1_3repE0EEENS1_52radix_sort_onesweep_histogram_config_static_selectorELNS0_4arch9wavefront6targetE1EEEvSI_: ; @_ZN7rocprim17ROCPRIM_400000_NS6detail17trampoline_kernelINS0_14default_configENS1_35radix_sort_onesweep_config_selectorIyNS0_10empty_typeEEEZNS1_34radix_sort_onesweep_global_offsetsIS3_Lb0EN6thrust23THRUST_200600_302600_NS6detail15normal_iteratorINS9_10device_ptrIyEEEEPS5_jNS0_19identity_decomposerEEE10hipError_tT1_T2_PT3_SK_jT4_jjP12ihipStream_tbEUlT_E_NS1_11comp_targetILNS1_3genE0ELNS1_11target_archE4294967295ELNS1_3gpuE0ELNS1_3repE0EEENS1_52radix_sort_onesweep_histogram_config_static_selectorELNS0_4arch9wavefront6targetE1EEEvSI_
; %bb.0:
	.section	.rodata,"a",@progbits
	.p2align	6, 0x0
	.amdhsa_kernel _ZN7rocprim17ROCPRIM_400000_NS6detail17trampoline_kernelINS0_14default_configENS1_35radix_sort_onesweep_config_selectorIyNS0_10empty_typeEEEZNS1_34radix_sort_onesweep_global_offsetsIS3_Lb0EN6thrust23THRUST_200600_302600_NS6detail15normal_iteratorINS9_10device_ptrIyEEEEPS5_jNS0_19identity_decomposerEEE10hipError_tT1_T2_PT3_SK_jT4_jjP12ihipStream_tbEUlT_E_NS1_11comp_targetILNS1_3genE0ELNS1_11target_archE4294967295ELNS1_3gpuE0ELNS1_3repE0EEENS1_52radix_sort_onesweep_histogram_config_static_selectorELNS0_4arch9wavefront6targetE1EEEvSI_
		.amdhsa_group_segment_fixed_size 0
		.amdhsa_private_segment_fixed_size 0
		.amdhsa_kernarg_size 40
		.amdhsa_user_sgpr_count 6
		.amdhsa_user_sgpr_private_segment_buffer 1
		.amdhsa_user_sgpr_dispatch_ptr 0
		.amdhsa_user_sgpr_queue_ptr 0
		.amdhsa_user_sgpr_kernarg_segment_ptr 1
		.amdhsa_user_sgpr_dispatch_id 0
		.amdhsa_user_sgpr_flat_scratch_init 0
		.amdhsa_user_sgpr_kernarg_preload_length 0
		.amdhsa_user_sgpr_kernarg_preload_offset 0
		.amdhsa_user_sgpr_private_segment_size 0
		.amdhsa_uses_dynamic_stack 0
		.amdhsa_system_sgpr_private_segment_wavefront_offset 0
		.amdhsa_system_sgpr_workgroup_id_x 1
		.amdhsa_system_sgpr_workgroup_id_y 0
		.amdhsa_system_sgpr_workgroup_id_z 0
		.amdhsa_system_sgpr_workgroup_info 0
		.amdhsa_system_vgpr_workitem_id 0
		.amdhsa_next_free_vgpr 1
		.amdhsa_next_free_sgpr 0
		.amdhsa_accum_offset 4
		.amdhsa_reserve_vcc 0
		.amdhsa_reserve_flat_scratch 0
		.amdhsa_float_round_mode_32 0
		.amdhsa_float_round_mode_16_64 0
		.amdhsa_float_denorm_mode_32 3
		.amdhsa_float_denorm_mode_16_64 3
		.amdhsa_dx10_clamp 1
		.amdhsa_ieee_mode 1
		.amdhsa_fp16_overflow 0
		.amdhsa_tg_split 0
		.amdhsa_exception_fp_ieee_invalid_op 0
		.amdhsa_exception_fp_denorm_src 0
		.amdhsa_exception_fp_ieee_div_zero 0
		.amdhsa_exception_fp_ieee_overflow 0
		.amdhsa_exception_fp_ieee_underflow 0
		.amdhsa_exception_fp_ieee_inexact 0
		.amdhsa_exception_int_div_zero 0
	.end_amdhsa_kernel
	.section	.text._ZN7rocprim17ROCPRIM_400000_NS6detail17trampoline_kernelINS0_14default_configENS1_35radix_sort_onesweep_config_selectorIyNS0_10empty_typeEEEZNS1_34radix_sort_onesweep_global_offsetsIS3_Lb0EN6thrust23THRUST_200600_302600_NS6detail15normal_iteratorINS9_10device_ptrIyEEEEPS5_jNS0_19identity_decomposerEEE10hipError_tT1_T2_PT3_SK_jT4_jjP12ihipStream_tbEUlT_E_NS1_11comp_targetILNS1_3genE0ELNS1_11target_archE4294967295ELNS1_3gpuE0ELNS1_3repE0EEENS1_52radix_sort_onesweep_histogram_config_static_selectorELNS0_4arch9wavefront6targetE1EEEvSI_,"axG",@progbits,_ZN7rocprim17ROCPRIM_400000_NS6detail17trampoline_kernelINS0_14default_configENS1_35radix_sort_onesweep_config_selectorIyNS0_10empty_typeEEEZNS1_34radix_sort_onesweep_global_offsetsIS3_Lb0EN6thrust23THRUST_200600_302600_NS6detail15normal_iteratorINS9_10device_ptrIyEEEEPS5_jNS0_19identity_decomposerEEE10hipError_tT1_T2_PT3_SK_jT4_jjP12ihipStream_tbEUlT_E_NS1_11comp_targetILNS1_3genE0ELNS1_11target_archE4294967295ELNS1_3gpuE0ELNS1_3repE0EEENS1_52radix_sort_onesweep_histogram_config_static_selectorELNS0_4arch9wavefront6targetE1EEEvSI_,comdat
.Lfunc_end837:
	.size	_ZN7rocprim17ROCPRIM_400000_NS6detail17trampoline_kernelINS0_14default_configENS1_35radix_sort_onesweep_config_selectorIyNS0_10empty_typeEEEZNS1_34radix_sort_onesweep_global_offsetsIS3_Lb0EN6thrust23THRUST_200600_302600_NS6detail15normal_iteratorINS9_10device_ptrIyEEEEPS5_jNS0_19identity_decomposerEEE10hipError_tT1_T2_PT3_SK_jT4_jjP12ihipStream_tbEUlT_E_NS1_11comp_targetILNS1_3genE0ELNS1_11target_archE4294967295ELNS1_3gpuE0ELNS1_3repE0EEENS1_52radix_sort_onesweep_histogram_config_static_selectorELNS0_4arch9wavefront6targetE1EEEvSI_, .Lfunc_end837-_ZN7rocprim17ROCPRIM_400000_NS6detail17trampoline_kernelINS0_14default_configENS1_35radix_sort_onesweep_config_selectorIyNS0_10empty_typeEEEZNS1_34radix_sort_onesweep_global_offsetsIS3_Lb0EN6thrust23THRUST_200600_302600_NS6detail15normal_iteratorINS9_10device_ptrIyEEEEPS5_jNS0_19identity_decomposerEEE10hipError_tT1_T2_PT3_SK_jT4_jjP12ihipStream_tbEUlT_E_NS1_11comp_targetILNS1_3genE0ELNS1_11target_archE4294967295ELNS1_3gpuE0ELNS1_3repE0EEENS1_52radix_sort_onesweep_histogram_config_static_selectorELNS0_4arch9wavefront6targetE1EEEvSI_
                                        ; -- End function
	.section	.AMDGPU.csdata,"",@progbits
; Kernel info:
; codeLenInByte = 0
; NumSgprs: 4
; NumVgprs: 0
; NumAgprs: 0
; TotalNumVgprs: 0
; ScratchSize: 0
; MemoryBound: 0
; FloatMode: 240
; IeeeMode: 1
; LDSByteSize: 0 bytes/workgroup (compile time only)
; SGPRBlocks: 0
; VGPRBlocks: 0
; NumSGPRsForWavesPerEU: 4
; NumVGPRsForWavesPerEU: 1
; AccumOffset: 4
; Occupancy: 8
; WaveLimiterHint : 0
; COMPUTE_PGM_RSRC2:SCRATCH_EN: 0
; COMPUTE_PGM_RSRC2:USER_SGPR: 6
; COMPUTE_PGM_RSRC2:TRAP_HANDLER: 0
; COMPUTE_PGM_RSRC2:TGID_X_EN: 1
; COMPUTE_PGM_RSRC2:TGID_Y_EN: 0
; COMPUTE_PGM_RSRC2:TGID_Z_EN: 0
; COMPUTE_PGM_RSRC2:TIDIG_COMP_CNT: 0
; COMPUTE_PGM_RSRC3_GFX90A:ACCUM_OFFSET: 0
; COMPUTE_PGM_RSRC3_GFX90A:TG_SPLIT: 0
	.section	.text._ZN7rocprim17ROCPRIM_400000_NS6detail17trampoline_kernelINS0_14default_configENS1_35radix_sort_onesweep_config_selectorIyNS0_10empty_typeEEEZNS1_34radix_sort_onesweep_global_offsetsIS3_Lb0EN6thrust23THRUST_200600_302600_NS6detail15normal_iteratorINS9_10device_ptrIyEEEEPS5_jNS0_19identity_decomposerEEE10hipError_tT1_T2_PT3_SK_jT4_jjP12ihipStream_tbEUlT_E_NS1_11comp_targetILNS1_3genE6ELNS1_11target_archE950ELNS1_3gpuE13ELNS1_3repE0EEENS1_52radix_sort_onesweep_histogram_config_static_selectorELNS0_4arch9wavefront6targetE1EEEvSI_,"axG",@progbits,_ZN7rocprim17ROCPRIM_400000_NS6detail17trampoline_kernelINS0_14default_configENS1_35radix_sort_onesweep_config_selectorIyNS0_10empty_typeEEEZNS1_34radix_sort_onesweep_global_offsetsIS3_Lb0EN6thrust23THRUST_200600_302600_NS6detail15normal_iteratorINS9_10device_ptrIyEEEEPS5_jNS0_19identity_decomposerEEE10hipError_tT1_T2_PT3_SK_jT4_jjP12ihipStream_tbEUlT_E_NS1_11comp_targetILNS1_3genE6ELNS1_11target_archE950ELNS1_3gpuE13ELNS1_3repE0EEENS1_52radix_sort_onesweep_histogram_config_static_selectorELNS0_4arch9wavefront6targetE1EEEvSI_,comdat
	.protected	_ZN7rocprim17ROCPRIM_400000_NS6detail17trampoline_kernelINS0_14default_configENS1_35radix_sort_onesweep_config_selectorIyNS0_10empty_typeEEEZNS1_34radix_sort_onesweep_global_offsetsIS3_Lb0EN6thrust23THRUST_200600_302600_NS6detail15normal_iteratorINS9_10device_ptrIyEEEEPS5_jNS0_19identity_decomposerEEE10hipError_tT1_T2_PT3_SK_jT4_jjP12ihipStream_tbEUlT_E_NS1_11comp_targetILNS1_3genE6ELNS1_11target_archE950ELNS1_3gpuE13ELNS1_3repE0EEENS1_52radix_sort_onesweep_histogram_config_static_selectorELNS0_4arch9wavefront6targetE1EEEvSI_ ; -- Begin function _ZN7rocprim17ROCPRIM_400000_NS6detail17trampoline_kernelINS0_14default_configENS1_35radix_sort_onesweep_config_selectorIyNS0_10empty_typeEEEZNS1_34radix_sort_onesweep_global_offsetsIS3_Lb0EN6thrust23THRUST_200600_302600_NS6detail15normal_iteratorINS9_10device_ptrIyEEEEPS5_jNS0_19identity_decomposerEEE10hipError_tT1_T2_PT3_SK_jT4_jjP12ihipStream_tbEUlT_E_NS1_11comp_targetILNS1_3genE6ELNS1_11target_archE950ELNS1_3gpuE13ELNS1_3repE0EEENS1_52radix_sort_onesweep_histogram_config_static_selectorELNS0_4arch9wavefront6targetE1EEEvSI_
	.globl	_ZN7rocprim17ROCPRIM_400000_NS6detail17trampoline_kernelINS0_14default_configENS1_35radix_sort_onesweep_config_selectorIyNS0_10empty_typeEEEZNS1_34radix_sort_onesweep_global_offsetsIS3_Lb0EN6thrust23THRUST_200600_302600_NS6detail15normal_iteratorINS9_10device_ptrIyEEEEPS5_jNS0_19identity_decomposerEEE10hipError_tT1_T2_PT3_SK_jT4_jjP12ihipStream_tbEUlT_E_NS1_11comp_targetILNS1_3genE6ELNS1_11target_archE950ELNS1_3gpuE13ELNS1_3repE0EEENS1_52radix_sort_onesweep_histogram_config_static_selectorELNS0_4arch9wavefront6targetE1EEEvSI_
	.p2align	8
	.type	_ZN7rocprim17ROCPRIM_400000_NS6detail17trampoline_kernelINS0_14default_configENS1_35radix_sort_onesweep_config_selectorIyNS0_10empty_typeEEEZNS1_34radix_sort_onesweep_global_offsetsIS3_Lb0EN6thrust23THRUST_200600_302600_NS6detail15normal_iteratorINS9_10device_ptrIyEEEEPS5_jNS0_19identity_decomposerEEE10hipError_tT1_T2_PT3_SK_jT4_jjP12ihipStream_tbEUlT_E_NS1_11comp_targetILNS1_3genE6ELNS1_11target_archE950ELNS1_3gpuE13ELNS1_3repE0EEENS1_52radix_sort_onesweep_histogram_config_static_selectorELNS0_4arch9wavefront6targetE1EEEvSI_,@function
_ZN7rocprim17ROCPRIM_400000_NS6detail17trampoline_kernelINS0_14default_configENS1_35radix_sort_onesweep_config_selectorIyNS0_10empty_typeEEEZNS1_34radix_sort_onesweep_global_offsetsIS3_Lb0EN6thrust23THRUST_200600_302600_NS6detail15normal_iteratorINS9_10device_ptrIyEEEEPS5_jNS0_19identity_decomposerEEE10hipError_tT1_T2_PT3_SK_jT4_jjP12ihipStream_tbEUlT_E_NS1_11comp_targetILNS1_3genE6ELNS1_11target_archE950ELNS1_3gpuE13ELNS1_3repE0EEENS1_52radix_sort_onesweep_histogram_config_static_selectorELNS0_4arch9wavefront6targetE1EEEvSI_: ; @_ZN7rocprim17ROCPRIM_400000_NS6detail17trampoline_kernelINS0_14default_configENS1_35radix_sort_onesweep_config_selectorIyNS0_10empty_typeEEEZNS1_34radix_sort_onesweep_global_offsetsIS3_Lb0EN6thrust23THRUST_200600_302600_NS6detail15normal_iteratorINS9_10device_ptrIyEEEEPS5_jNS0_19identity_decomposerEEE10hipError_tT1_T2_PT3_SK_jT4_jjP12ihipStream_tbEUlT_E_NS1_11comp_targetILNS1_3genE6ELNS1_11target_archE950ELNS1_3gpuE13ELNS1_3repE0EEENS1_52radix_sort_onesweep_histogram_config_static_selectorELNS0_4arch9wavefront6targetE1EEEvSI_
; %bb.0:
	.section	.rodata,"a",@progbits
	.p2align	6, 0x0
	.amdhsa_kernel _ZN7rocprim17ROCPRIM_400000_NS6detail17trampoline_kernelINS0_14default_configENS1_35radix_sort_onesweep_config_selectorIyNS0_10empty_typeEEEZNS1_34radix_sort_onesweep_global_offsetsIS3_Lb0EN6thrust23THRUST_200600_302600_NS6detail15normal_iteratorINS9_10device_ptrIyEEEEPS5_jNS0_19identity_decomposerEEE10hipError_tT1_T2_PT3_SK_jT4_jjP12ihipStream_tbEUlT_E_NS1_11comp_targetILNS1_3genE6ELNS1_11target_archE950ELNS1_3gpuE13ELNS1_3repE0EEENS1_52radix_sort_onesweep_histogram_config_static_selectorELNS0_4arch9wavefront6targetE1EEEvSI_
		.amdhsa_group_segment_fixed_size 0
		.amdhsa_private_segment_fixed_size 0
		.amdhsa_kernarg_size 40
		.amdhsa_user_sgpr_count 6
		.amdhsa_user_sgpr_private_segment_buffer 1
		.amdhsa_user_sgpr_dispatch_ptr 0
		.amdhsa_user_sgpr_queue_ptr 0
		.amdhsa_user_sgpr_kernarg_segment_ptr 1
		.amdhsa_user_sgpr_dispatch_id 0
		.amdhsa_user_sgpr_flat_scratch_init 0
		.amdhsa_user_sgpr_kernarg_preload_length 0
		.amdhsa_user_sgpr_kernarg_preload_offset 0
		.amdhsa_user_sgpr_private_segment_size 0
		.amdhsa_uses_dynamic_stack 0
		.amdhsa_system_sgpr_private_segment_wavefront_offset 0
		.amdhsa_system_sgpr_workgroup_id_x 1
		.amdhsa_system_sgpr_workgroup_id_y 0
		.amdhsa_system_sgpr_workgroup_id_z 0
		.amdhsa_system_sgpr_workgroup_info 0
		.amdhsa_system_vgpr_workitem_id 0
		.amdhsa_next_free_vgpr 1
		.amdhsa_next_free_sgpr 0
		.amdhsa_accum_offset 4
		.amdhsa_reserve_vcc 0
		.amdhsa_reserve_flat_scratch 0
		.amdhsa_float_round_mode_32 0
		.amdhsa_float_round_mode_16_64 0
		.amdhsa_float_denorm_mode_32 3
		.amdhsa_float_denorm_mode_16_64 3
		.amdhsa_dx10_clamp 1
		.amdhsa_ieee_mode 1
		.amdhsa_fp16_overflow 0
		.amdhsa_tg_split 0
		.amdhsa_exception_fp_ieee_invalid_op 0
		.amdhsa_exception_fp_denorm_src 0
		.amdhsa_exception_fp_ieee_div_zero 0
		.amdhsa_exception_fp_ieee_overflow 0
		.amdhsa_exception_fp_ieee_underflow 0
		.amdhsa_exception_fp_ieee_inexact 0
		.amdhsa_exception_int_div_zero 0
	.end_amdhsa_kernel
	.section	.text._ZN7rocprim17ROCPRIM_400000_NS6detail17trampoline_kernelINS0_14default_configENS1_35radix_sort_onesweep_config_selectorIyNS0_10empty_typeEEEZNS1_34radix_sort_onesweep_global_offsetsIS3_Lb0EN6thrust23THRUST_200600_302600_NS6detail15normal_iteratorINS9_10device_ptrIyEEEEPS5_jNS0_19identity_decomposerEEE10hipError_tT1_T2_PT3_SK_jT4_jjP12ihipStream_tbEUlT_E_NS1_11comp_targetILNS1_3genE6ELNS1_11target_archE950ELNS1_3gpuE13ELNS1_3repE0EEENS1_52radix_sort_onesweep_histogram_config_static_selectorELNS0_4arch9wavefront6targetE1EEEvSI_,"axG",@progbits,_ZN7rocprim17ROCPRIM_400000_NS6detail17trampoline_kernelINS0_14default_configENS1_35radix_sort_onesweep_config_selectorIyNS0_10empty_typeEEEZNS1_34radix_sort_onesweep_global_offsetsIS3_Lb0EN6thrust23THRUST_200600_302600_NS6detail15normal_iteratorINS9_10device_ptrIyEEEEPS5_jNS0_19identity_decomposerEEE10hipError_tT1_T2_PT3_SK_jT4_jjP12ihipStream_tbEUlT_E_NS1_11comp_targetILNS1_3genE6ELNS1_11target_archE950ELNS1_3gpuE13ELNS1_3repE0EEENS1_52radix_sort_onesweep_histogram_config_static_selectorELNS0_4arch9wavefront6targetE1EEEvSI_,comdat
.Lfunc_end838:
	.size	_ZN7rocprim17ROCPRIM_400000_NS6detail17trampoline_kernelINS0_14default_configENS1_35radix_sort_onesweep_config_selectorIyNS0_10empty_typeEEEZNS1_34radix_sort_onesweep_global_offsetsIS3_Lb0EN6thrust23THRUST_200600_302600_NS6detail15normal_iteratorINS9_10device_ptrIyEEEEPS5_jNS0_19identity_decomposerEEE10hipError_tT1_T2_PT3_SK_jT4_jjP12ihipStream_tbEUlT_E_NS1_11comp_targetILNS1_3genE6ELNS1_11target_archE950ELNS1_3gpuE13ELNS1_3repE0EEENS1_52radix_sort_onesweep_histogram_config_static_selectorELNS0_4arch9wavefront6targetE1EEEvSI_, .Lfunc_end838-_ZN7rocprim17ROCPRIM_400000_NS6detail17trampoline_kernelINS0_14default_configENS1_35radix_sort_onesweep_config_selectorIyNS0_10empty_typeEEEZNS1_34radix_sort_onesweep_global_offsetsIS3_Lb0EN6thrust23THRUST_200600_302600_NS6detail15normal_iteratorINS9_10device_ptrIyEEEEPS5_jNS0_19identity_decomposerEEE10hipError_tT1_T2_PT3_SK_jT4_jjP12ihipStream_tbEUlT_E_NS1_11comp_targetILNS1_3genE6ELNS1_11target_archE950ELNS1_3gpuE13ELNS1_3repE0EEENS1_52radix_sort_onesweep_histogram_config_static_selectorELNS0_4arch9wavefront6targetE1EEEvSI_
                                        ; -- End function
	.section	.AMDGPU.csdata,"",@progbits
; Kernel info:
; codeLenInByte = 0
; NumSgprs: 4
; NumVgprs: 0
; NumAgprs: 0
; TotalNumVgprs: 0
; ScratchSize: 0
; MemoryBound: 0
; FloatMode: 240
; IeeeMode: 1
; LDSByteSize: 0 bytes/workgroup (compile time only)
; SGPRBlocks: 0
; VGPRBlocks: 0
; NumSGPRsForWavesPerEU: 4
; NumVGPRsForWavesPerEU: 1
; AccumOffset: 4
; Occupancy: 8
; WaveLimiterHint : 0
; COMPUTE_PGM_RSRC2:SCRATCH_EN: 0
; COMPUTE_PGM_RSRC2:USER_SGPR: 6
; COMPUTE_PGM_RSRC2:TRAP_HANDLER: 0
; COMPUTE_PGM_RSRC2:TGID_X_EN: 1
; COMPUTE_PGM_RSRC2:TGID_Y_EN: 0
; COMPUTE_PGM_RSRC2:TGID_Z_EN: 0
; COMPUTE_PGM_RSRC2:TIDIG_COMP_CNT: 0
; COMPUTE_PGM_RSRC3_GFX90A:ACCUM_OFFSET: 0
; COMPUTE_PGM_RSRC3_GFX90A:TG_SPLIT: 0
	.section	.text._ZN7rocprim17ROCPRIM_400000_NS6detail17trampoline_kernelINS0_14default_configENS1_35radix_sort_onesweep_config_selectorIyNS0_10empty_typeEEEZNS1_34radix_sort_onesweep_global_offsetsIS3_Lb0EN6thrust23THRUST_200600_302600_NS6detail15normal_iteratorINS9_10device_ptrIyEEEEPS5_jNS0_19identity_decomposerEEE10hipError_tT1_T2_PT3_SK_jT4_jjP12ihipStream_tbEUlT_E_NS1_11comp_targetILNS1_3genE5ELNS1_11target_archE942ELNS1_3gpuE9ELNS1_3repE0EEENS1_52radix_sort_onesweep_histogram_config_static_selectorELNS0_4arch9wavefront6targetE1EEEvSI_,"axG",@progbits,_ZN7rocprim17ROCPRIM_400000_NS6detail17trampoline_kernelINS0_14default_configENS1_35radix_sort_onesweep_config_selectorIyNS0_10empty_typeEEEZNS1_34radix_sort_onesweep_global_offsetsIS3_Lb0EN6thrust23THRUST_200600_302600_NS6detail15normal_iteratorINS9_10device_ptrIyEEEEPS5_jNS0_19identity_decomposerEEE10hipError_tT1_T2_PT3_SK_jT4_jjP12ihipStream_tbEUlT_E_NS1_11comp_targetILNS1_3genE5ELNS1_11target_archE942ELNS1_3gpuE9ELNS1_3repE0EEENS1_52radix_sort_onesweep_histogram_config_static_selectorELNS0_4arch9wavefront6targetE1EEEvSI_,comdat
	.protected	_ZN7rocprim17ROCPRIM_400000_NS6detail17trampoline_kernelINS0_14default_configENS1_35radix_sort_onesweep_config_selectorIyNS0_10empty_typeEEEZNS1_34radix_sort_onesweep_global_offsetsIS3_Lb0EN6thrust23THRUST_200600_302600_NS6detail15normal_iteratorINS9_10device_ptrIyEEEEPS5_jNS0_19identity_decomposerEEE10hipError_tT1_T2_PT3_SK_jT4_jjP12ihipStream_tbEUlT_E_NS1_11comp_targetILNS1_3genE5ELNS1_11target_archE942ELNS1_3gpuE9ELNS1_3repE0EEENS1_52radix_sort_onesweep_histogram_config_static_selectorELNS0_4arch9wavefront6targetE1EEEvSI_ ; -- Begin function _ZN7rocprim17ROCPRIM_400000_NS6detail17trampoline_kernelINS0_14default_configENS1_35radix_sort_onesweep_config_selectorIyNS0_10empty_typeEEEZNS1_34radix_sort_onesweep_global_offsetsIS3_Lb0EN6thrust23THRUST_200600_302600_NS6detail15normal_iteratorINS9_10device_ptrIyEEEEPS5_jNS0_19identity_decomposerEEE10hipError_tT1_T2_PT3_SK_jT4_jjP12ihipStream_tbEUlT_E_NS1_11comp_targetILNS1_3genE5ELNS1_11target_archE942ELNS1_3gpuE9ELNS1_3repE0EEENS1_52radix_sort_onesweep_histogram_config_static_selectorELNS0_4arch9wavefront6targetE1EEEvSI_
	.globl	_ZN7rocprim17ROCPRIM_400000_NS6detail17trampoline_kernelINS0_14default_configENS1_35radix_sort_onesweep_config_selectorIyNS0_10empty_typeEEEZNS1_34radix_sort_onesweep_global_offsetsIS3_Lb0EN6thrust23THRUST_200600_302600_NS6detail15normal_iteratorINS9_10device_ptrIyEEEEPS5_jNS0_19identity_decomposerEEE10hipError_tT1_T2_PT3_SK_jT4_jjP12ihipStream_tbEUlT_E_NS1_11comp_targetILNS1_3genE5ELNS1_11target_archE942ELNS1_3gpuE9ELNS1_3repE0EEENS1_52radix_sort_onesweep_histogram_config_static_selectorELNS0_4arch9wavefront6targetE1EEEvSI_
	.p2align	8
	.type	_ZN7rocprim17ROCPRIM_400000_NS6detail17trampoline_kernelINS0_14default_configENS1_35radix_sort_onesweep_config_selectorIyNS0_10empty_typeEEEZNS1_34radix_sort_onesweep_global_offsetsIS3_Lb0EN6thrust23THRUST_200600_302600_NS6detail15normal_iteratorINS9_10device_ptrIyEEEEPS5_jNS0_19identity_decomposerEEE10hipError_tT1_T2_PT3_SK_jT4_jjP12ihipStream_tbEUlT_E_NS1_11comp_targetILNS1_3genE5ELNS1_11target_archE942ELNS1_3gpuE9ELNS1_3repE0EEENS1_52radix_sort_onesweep_histogram_config_static_selectorELNS0_4arch9wavefront6targetE1EEEvSI_,@function
_ZN7rocprim17ROCPRIM_400000_NS6detail17trampoline_kernelINS0_14default_configENS1_35radix_sort_onesweep_config_selectorIyNS0_10empty_typeEEEZNS1_34radix_sort_onesweep_global_offsetsIS3_Lb0EN6thrust23THRUST_200600_302600_NS6detail15normal_iteratorINS9_10device_ptrIyEEEEPS5_jNS0_19identity_decomposerEEE10hipError_tT1_T2_PT3_SK_jT4_jjP12ihipStream_tbEUlT_E_NS1_11comp_targetILNS1_3genE5ELNS1_11target_archE942ELNS1_3gpuE9ELNS1_3repE0EEENS1_52radix_sort_onesweep_histogram_config_static_selectorELNS0_4arch9wavefront6targetE1EEEvSI_: ; @_ZN7rocprim17ROCPRIM_400000_NS6detail17trampoline_kernelINS0_14default_configENS1_35radix_sort_onesweep_config_selectorIyNS0_10empty_typeEEEZNS1_34radix_sort_onesweep_global_offsetsIS3_Lb0EN6thrust23THRUST_200600_302600_NS6detail15normal_iteratorINS9_10device_ptrIyEEEEPS5_jNS0_19identity_decomposerEEE10hipError_tT1_T2_PT3_SK_jT4_jjP12ihipStream_tbEUlT_E_NS1_11comp_targetILNS1_3genE5ELNS1_11target_archE942ELNS1_3gpuE9ELNS1_3repE0EEENS1_52radix_sort_onesweep_histogram_config_static_selectorELNS0_4arch9wavefront6targetE1EEEvSI_
; %bb.0:
	.section	.rodata,"a",@progbits
	.p2align	6, 0x0
	.amdhsa_kernel _ZN7rocprim17ROCPRIM_400000_NS6detail17trampoline_kernelINS0_14default_configENS1_35radix_sort_onesweep_config_selectorIyNS0_10empty_typeEEEZNS1_34radix_sort_onesweep_global_offsetsIS3_Lb0EN6thrust23THRUST_200600_302600_NS6detail15normal_iteratorINS9_10device_ptrIyEEEEPS5_jNS0_19identity_decomposerEEE10hipError_tT1_T2_PT3_SK_jT4_jjP12ihipStream_tbEUlT_E_NS1_11comp_targetILNS1_3genE5ELNS1_11target_archE942ELNS1_3gpuE9ELNS1_3repE0EEENS1_52radix_sort_onesweep_histogram_config_static_selectorELNS0_4arch9wavefront6targetE1EEEvSI_
		.amdhsa_group_segment_fixed_size 0
		.amdhsa_private_segment_fixed_size 0
		.amdhsa_kernarg_size 40
		.amdhsa_user_sgpr_count 6
		.amdhsa_user_sgpr_private_segment_buffer 1
		.amdhsa_user_sgpr_dispatch_ptr 0
		.amdhsa_user_sgpr_queue_ptr 0
		.amdhsa_user_sgpr_kernarg_segment_ptr 1
		.amdhsa_user_sgpr_dispatch_id 0
		.amdhsa_user_sgpr_flat_scratch_init 0
		.amdhsa_user_sgpr_kernarg_preload_length 0
		.amdhsa_user_sgpr_kernarg_preload_offset 0
		.amdhsa_user_sgpr_private_segment_size 0
		.amdhsa_uses_dynamic_stack 0
		.amdhsa_system_sgpr_private_segment_wavefront_offset 0
		.amdhsa_system_sgpr_workgroup_id_x 1
		.amdhsa_system_sgpr_workgroup_id_y 0
		.amdhsa_system_sgpr_workgroup_id_z 0
		.amdhsa_system_sgpr_workgroup_info 0
		.amdhsa_system_vgpr_workitem_id 0
		.amdhsa_next_free_vgpr 1
		.amdhsa_next_free_sgpr 0
		.amdhsa_accum_offset 4
		.amdhsa_reserve_vcc 0
		.amdhsa_reserve_flat_scratch 0
		.amdhsa_float_round_mode_32 0
		.amdhsa_float_round_mode_16_64 0
		.amdhsa_float_denorm_mode_32 3
		.amdhsa_float_denorm_mode_16_64 3
		.amdhsa_dx10_clamp 1
		.amdhsa_ieee_mode 1
		.amdhsa_fp16_overflow 0
		.amdhsa_tg_split 0
		.amdhsa_exception_fp_ieee_invalid_op 0
		.amdhsa_exception_fp_denorm_src 0
		.amdhsa_exception_fp_ieee_div_zero 0
		.amdhsa_exception_fp_ieee_overflow 0
		.amdhsa_exception_fp_ieee_underflow 0
		.amdhsa_exception_fp_ieee_inexact 0
		.amdhsa_exception_int_div_zero 0
	.end_amdhsa_kernel
	.section	.text._ZN7rocprim17ROCPRIM_400000_NS6detail17trampoline_kernelINS0_14default_configENS1_35radix_sort_onesweep_config_selectorIyNS0_10empty_typeEEEZNS1_34radix_sort_onesweep_global_offsetsIS3_Lb0EN6thrust23THRUST_200600_302600_NS6detail15normal_iteratorINS9_10device_ptrIyEEEEPS5_jNS0_19identity_decomposerEEE10hipError_tT1_T2_PT3_SK_jT4_jjP12ihipStream_tbEUlT_E_NS1_11comp_targetILNS1_3genE5ELNS1_11target_archE942ELNS1_3gpuE9ELNS1_3repE0EEENS1_52radix_sort_onesweep_histogram_config_static_selectorELNS0_4arch9wavefront6targetE1EEEvSI_,"axG",@progbits,_ZN7rocprim17ROCPRIM_400000_NS6detail17trampoline_kernelINS0_14default_configENS1_35radix_sort_onesweep_config_selectorIyNS0_10empty_typeEEEZNS1_34radix_sort_onesweep_global_offsetsIS3_Lb0EN6thrust23THRUST_200600_302600_NS6detail15normal_iteratorINS9_10device_ptrIyEEEEPS5_jNS0_19identity_decomposerEEE10hipError_tT1_T2_PT3_SK_jT4_jjP12ihipStream_tbEUlT_E_NS1_11comp_targetILNS1_3genE5ELNS1_11target_archE942ELNS1_3gpuE9ELNS1_3repE0EEENS1_52radix_sort_onesweep_histogram_config_static_selectorELNS0_4arch9wavefront6targetE1EEEvSI_,comdat
.Lfunc_end839:
	.size	_ZN7rocprim17ROCPRIM_400000_NS6detail17trampoline_kernelINS0_14default_configENS1_35radix_sort_onesweep_config_selectorIyNS0_10empty_typeEEEZNS1_34radix_sort_onesweep_global_offsetsIS3_Lb0EN6thrust23THRUST_200600_302600_NS6detail15normal_iteratorINS9_10device_ptrIyEEEEPS5_jNS0_19identity_decomposerEEE10hipError_tT1_T2_PT3_SK_jT4_jjP12ihipStream_tbEUlT_E_NS1_11comp_targetILNS1_3genE5ELNS1_11target_archE942ELNS1_3gpuE9ELNS1_3repE0EEENS1_52radix_sort_onesweep_histogram_config_static_selectorELNS0_4arch9wavefront6targetE1EEEvSI_, .Lfunc_end839-_ZN7rocprim17ROCPRIM_400000_NS6detail17trampoline_kernelINS0_14default_configENS1_35radix_sort_onesweep_config_selectorIyNS0_10empty_typeEEEZNS1_34radix_sort_onesweep_global_offsetsIS3_Lb0EN6thrust23THRUST_200600_302600_NS6detail15normal_iteratorINS9_10device_ptrIyEEEEPS5_jNS0_19identity_decomposerEEE10hipError_tT1_T2_PT3_SK_jT4_jjP12ihipStream_tbEUlT_E_NS1_11comp_targetILNS1_3genE5ELNS1_11target_archE942ELNS1_3gpuE9ELNS1_3repE0EEENS1_52radix_sort_onesweep_histogram_config_static_selectorELNS0_4arch9wavefront6targetE1EEEvSI_
                                        ; -- End function
	.section	.AMDGPU.csdata,"",@progbits
; Kernel info:
; codeLenInByte = 0
; NumSgprs: 4
; NumVgprs: 0
; NumAgprs: 0
; TotalNumVgprs: 0
; ScratchSize: 0
; MemoryBound: 0
; FloatMode: 240
; IeeeMode: 1
; LDSByteSize: 0 bytes/workgroup (compile time only)
; SGPRBlocks: 0
; VGPRBlocks: 0
; NumSGPRsForWavesPerEU: 4
; NumVGPRsForWavesPerEU: 1
; AccumOffset: 4
; Occupancy: 8
; WaveLimiterHint : 0
; COMPUTE_PGM_RSRC2:SCRATCH_EN: 0
; COMPUTE_PGM_RSRC2:USER_SGPR: 6
; COMPUTE_PGM_RSRC2:TRAP_HANDLER: 0
; COMPUTE_PGM_RSRC2:TGID_X_EN: 1
; COMPUTE_PGM_RSRC2:TGID_Y_EN: 0
; COMPUTE_PGM_RSRC2:TGID_Z_EN: 0
; COMPUTE_PGM_RSRC2:TIDIG_COMP_CNT: 0
; COMPUTE_PGM_RSRC3_GFX90A:ACCUM_OFFSET: 0
; COMPUTE_PGM_RSRC3_GFX90A:TG_SPLIT: 0
	.section	.text._ZN7rocprim17ROCPRIM_400000_NS6detail17trampoline_kernelINS0_14default_configENS1_35radix_sort_onesweep_config_selectorIyNS0_10empty_typeEEEZNS1_34radix_sort_onesweep_global_offsetsIS3_Lb0EN6thrust23THRUST_200600_302600_NS6detail15normal_iteratorINS9_10device_ptrIyEEEEPS5_jNS0_19identity_decomposerEEE10hipError_tT1_T2_PT3_SK_jT4_jjP12ihipStream_tbEUlT_E_NS1_11comp_targetILNS1_3genE2ELNS1_11target_archE906ELNS1_3gpuE6ELNS1_3repE0EEENS1_52radix_sort_onesweep_histogram_config_static_selectorELNS0_4arch9wavefront6targetE1EEEvSI_,"axG",@progbits,_ZN7rocprim17ROCPRIM_400000_NS6detail17trampoline_kernelINS0_14default_configENS1_35radix_sort_onesweep_config_selectorIyNS0_10empty_typeEEEZNS1_34radix_sort_onesweep_global_offsetsIS3_Lb0EN6thrust23THRUST_200600_302600_NS6detail15normal_iteratorINS9_10device_ptrIyEEEEPS5_jNS0_19identity_decomposerEEE10hipError_tT1_T2_PT3_SK_jT4_jjP12ihipStream_tbEUlT_E_NS1_11comp_targetILNS1_3genE2ELNS1_11target_archE906ELNS1_3gpuE6ELNS1_3repE0EEENS1_52radix_sort_onesweep_histogram_config_static_selectorELNS0_4arch9wavefront6targetE1EEEvSI_,comdat
	.protected	_ZN7rocprim17ROCPRIM_400000_NS6detail17trampoline_kernelINS0_14default_configENS1_35radix_sort_onesweep_config_selectorIyNS0_10empty_typeEEEZNS1_34radix_sort_onesweep_global_offsetsIS3_Lb0EN6thrust23THRUST_200600_302600_NS6detail15normal_iteratorINS9_10device_ptrIyEEEEPS5_jNS0_19identity_decomposerEEE10hipError_tT1_T2_PT3_SK_jT4_jjP12ihipStream_tbEUlT_E_NS1_11comp_targetILNS1_3genE2ELNS1_11target_archE906ELNS1_3gpuE6ELNS1_3repE0EEENS1_52radix_sort_onesweep_histogram_config_static_selectorELNS0_4arch9wavefront6targetE1EEEvSI_ ; -- Begin function _ZN7rocprim17ROCPRIM_400000_NS6detail17trampoline_kernelINS0_14default_configENS1_35radix_sort_onesweep_config_selectorIyNS0_10empty_typeEEEZNS1_34radix_sort_onesweep_global_offsetsIS3_Lb0EN6thrust23THRUST_200600_302600_NS6detail15normal_iteratorINS9_10device_ptrIyEEEEPS5_jNS0_19identity_decomposerEEE10hipError_tT1_T2_PT3_SK_jT4_jjP12ihipStream_tbEUlT_E_NS1_11comp_targetILNS1_3genE2ELNS1_11target_archE906ELNS1_3gpuE6ELNS1_3repE0EEENS1_52radix_sort_onesweep_histogram_config_static_selectorELNS0_4arch9wavefront6targetE1EEEvSI_
	.globl	_ZN7rocprim17ROCPRIM_400000_NS6detail17trampoline_kernelINS0_14default_configENS1_35radix_sort_onesweep_config_selectorIyNS0_10empty_typeEEEZNS1_34radix_sort_onesweep_global_offsetsIS3_Lb0EN6thrust23THRUST_200600_302600_NS6detail15normal_iteratorINS9_10device_ptrIyEEEEPS5_jNS0_19identity_decomposerEEE10hipError_tT1_T2_PT3_SK_jT4_jjP12ihipStream_tbEUlT_E_NS1_11comp_targetILNS1_3genE2ELNS1_11target_archE906ELNS1_3gpuE6ELNS1_3repE0EEENS1_52radix_sort_onesweep_histogram_config_static_selectorELNS0_4arch9wavefront6targetE1EEEvSI_
	.p2align	8
	.type	_ZN7rocprim17ROCPRIM_400000_NS6detail17trampoline_kernelINS0_14default_configENS1_35radix_sort_onesweep_config_selectorIyNS0_10empty_typeEEEZNS1_34radix_sort_onesweep_global_offsetsIS3_Lb0EN6thrust23THRUST_200600_302600_NS6detail15normal_iteratorINS9_10device_ptrIyEEEEPS5_jNS0_19identity_decomposerEEE10hipError_tT1_T2_PT3_SK_jT4_jjP12ihipStream_tbEUlT_E_NS1_11comp_targetILNS1_3genE2ELNS1_11target_archE906ELNS1_3gpuE6ELNS1_3repE0EEENS1_52radix_sort_onesweep_histogram_config_static_selectorELNS0_4arch9wavefront6targetE1EEEvSI_,@function
_ZN7rocprim17ROCPRIM_400000_NS6detail17trampoline_kernelINS0_14default_configENS1_35radix_sort_onesweep_config_selectorIyNS0_10empty_typeEEEZNS1_34radix_sort_onesweep_global_offsetsIS3_Lb0EN6thrust23THRUST_200600_302600_NS6detail15normal_iteratorINS9_10device_ptrIyEEEEPS5_jNS0_19identity_decomposerEEE10hipError_tT1_T2_PT3_SK_jT4_jjP12ihipStream_tbEUlT_E_NS1_11comp_targetILNS1_3genE2ELNS1_11target_archE906ELNS1_3gpuE6ELNS1_3repE0EEENS1_52radix_sort_onesweep_histogram_config_static_selectorELNS0_4arch9wavefront6targetE1EEEvSI_: ; @_ZN7rocprim17ROCPRIM_400000_NS6detail17trampoline_kernelINS0_14default_configENS1_35radix_sort_onesweep_config_selectorIyNS0_10empty_typeEEEZNS1_34radix_sort_onesweep_global_offsetsIS3_Lb0EN6thrust23THRUST_200600_302600_NS6detail15normal_iteratorINS9_10device_ptrIyEEEEPS5_jNS0_19identity_decomposerEEE10hipError_tT1_T2_PT3_SK_jT4_jjP12ihipStream_tbEUlT_E_NS1_11comp_targetILNS1_3genE2ELNS1_11target_archE906ELNS1_3gpuE6ELNS1_3repE0EEENS1_52radix_sort_onesweep_histogram_config_static_selectorELNS0_4arch9wavefront6targetE1EEEvSI_
; %bb.0:
	.section	.rodata,"a",@progbits
	.p2align	6, 0x0
	.amdhsa_kernel _ZN7rocprim17ROCPRIM_400000_NS6detail17trampoline_kernelINS0_14default_configENS1_35radix_sort_onesweep_config_selectorIyNS0_10empty_typeEEEZNS1_34radix_sort_onesweep_global_offsetsIS3_Lb0EN6thrust23THRUST_200600_302600_NS6detail15normal_iteratorINS9_10device_ptrIyEEEEPS5_jNS0_19identity_decomposerEEE10hipError_tT1_T2_PT3_SK_jT4_jjP12ihipStream_tbEUlT_E_NS1_11comp_targetILNS1_3genE2ELNS1_11target_archE906ELNS1_3gpuE6ELNS1_3repE0EEENS1_52radix_sort_onesweep_histogram_config_static_selectorELNS0_4arch9wavefront6targetE1EEEvSI_
		.amdhsa_group_segment_fixed_size 0
		.amdhsa_private_segment_fixed_size 0
		.amdhsa_kernarg_size 40
		.amdhsa_user_sgpr_count 6
		.amdhsa_user_sgpr_private_segment_buffer 1
		.amdhsa_user_sgpr_dispatch_ptr 0
		.amdhsa_user_sgpr_queue_ptr 0
		.amdhsa_user_sgpr_kernarg_segment_ptr 1
		.amdhsa_user_sgpr_dispatch_id 0
		.amdhsa_user_sgpr_flat_scratch_init 0
		.amdhsa_user_sgpr_kernarg_preload_length 0
		.amdhsa_user_sgpr_kernarg_preload_offset 0
		.amdhsa_user_sgpr_private_segment_size 0
		.amdhsa_uses_dynamic_stack 0
		.amdhsa_system_sgpr_private_segment_wavefront_offset 0
		.amdhsa_system_sgpr_workgroup_id_x 1
		.amdhsa_system_sgpr_workgroup_id_y 0
		.amdhsa_system_sgpr_workgroup_id_z 0
		.amdhsa_system_sgpr_workgroup_info 0
		.amdhsa_system_vgpr_workitem_id 0
		.amdhsa_next_free_vgpr 1
		.amdhsa_next_free_sgpr 0
		.amdhsa_accum_offset 4
		.amdhsa_reserve_vcc 0
		.amdhsa_reserve_flat_scratch 0
		.amdhsa_float_round_mode_32 0
		.amdhsa_float_round_mode_16_64 0
		.amdhsa_float_denorm_mode_32 3
		.amdhsa_float_denorm_mode_16_64 3
		.amdhsa_dx10_clamp 1
		.amdhsa_ieee_mode 1
		.amdhsa_fp16_overflow 0
		.amdhsa_tg_split 0
		.amdhsa_exception_fp_ieee_invalid_op 0
		.amdhsa_exception_fp_denorm_src 0
		.amdhsa_exception_fp_ieee_div_zero 0
		.amdhsa_exception_fp_ieee_overflow 0
		.amdhsa_exception_fp_ieee_underflow 0
		.amdhsa_exception_fp_ieee_inexact 0
		.amdhsa_exception_int_div_zero 0
	.end_amdhsa_kernel
	.section	.text._ZN7rocprim17ROCPRIM_400000_NS6detail17trampoline_kernelINS0_14default_configENS1_35radix_sort_onesweep_config_selectorIyNS0_10empty_typeEEEZNS1_34radix_sort_onesweep_global_offsetsIS3_Lb0EN6thrust23THRUST_200600_302600_NS6detail15normal_iteratorINS9_10device_ptrIyEEEEPS5_jNS0_19identity_decomposerEEE10hipError_tT1_T2_PT3_SK_jT4_jjP12ihipStream_tbEUlT_E_NS1_11comp_targetILNS1_3genE2ELNS1_11target_archE906ELNS1_3gpuE6ELNS1_3repE0EEENS1_52radix_sort_onesweep_histogram_config_static_selectorELNS0_4arch9wavefront6targetE1EEEvSI_,"axG",@progbits,_ZN7rocprim17ROCPRIM_400000_NS6detail17trampoline_kernelINS0_14default_configENS1_35radix_sort_onesweep_config_selectorIyNS0_10empty_typeEEEZNS1_34radix_sort_onesweep_global_offsetsIS3_Lb0EN6thrust23THRUST_200600_302600_NS6detail15normal_iteratorINS9_10device_ptrIyEEEEPS5_jNS0_19identity_decomposerEEE10hipError_tT1_T2_PT3_SK_jT4_jjP12ihipStream_tbEUlT_E_NS1_11comp_targetILNS1_3genE2ELNS1_11target_archE906ELNS1_3gpuE6ELNS1_3repE0EEENS1_52radix_sort_onesweep_histogram_config_static_selectorELNS0_4arch9wavefront6targetE1EEEvSI_,comdat
.Lfunc_end840:
	.size	_ZN7rocprim17ROCPRIM_400000_NS6detail17trampoline_kernelINS0_14default_configENS1_35radix_sort_onesweep_config_selectorIyNS0_10empty_typeEEEZNS1_34radix_sort_onesweep_global_offsetsIS3_Lb0EN6thrust23THRUST_200600_302600_NS6detail15normal_iteratorINS9_10device_ptrIyEEEEPS5_jNS0_19identity_decomposerEEE10hipError_tT1_T2_PT3_SK_jT4_jjP12ihipStream_tbEUlT_E_NS1_11comp_targetILNS1_3genE2ELNS1_11target_archE906ELNS1_3gpuE6ELNS1_3repE0EEENS1_52radix_sort_onesweep_histogram_config_static_selectorELNS0_4arch9wavefront6targetE1EEEvSI_, .Lfunc_end840-_ZN7rocprim17ROCPRIM_400000_NS6detail17trampoline_kernelINS0_14default_configENS1_35radix_sort_onesweep_config_selectorIyNS0_10empty_typeEEEZNS1_34radix_sort_onesweep_global_offsetsIS3_Lb0EN6thrust23THRUST_200600_302600_NS6detail15normal_iteratorINS9_10device_ptrIyEEEEPS5_jNS0_19identity_decomposerEEE10hipError_tT1_T2_PT3_SK_jT4_jjP12ihipStream_tbEUlT_E_NS1_11comp_targetILNS1_3genE2ELNS1_11target_archE906ELNS1_3gpuE6ELNS1_3repE0EEENS1_52radix_sort_onesweep_histogram_config_static_selectorELNS0_4arch9wavefront6targetE1EEEvSI_
                                        ; -- End function
	.section	.AMDGPU.csdata,"",@progbits
; Kernel info:
; codeLenInByte = 0
; NumSgprs: 4
; NumVgprs: 0
; NumAgprs: 0
; TotalNumVgprs: 0
; ScratchSize: 0
; MemoryBound: 0
; FloatMode: 240
; IeeeMode: 1
; LDSByteSize: 0 bytes/workgroup (compile time only)
; SGPRBlocks: 0
; VGPRBlocks: 0
; NumSGPRsForWavesPerEU: 4
; NumVGPRsForWavesPerEU: 1
; AccumOffset: 4
; Occupancy: 8
; WaveLimiterHint : 0
; COMPUTE_PGM_RSRC2:SCRATCH_EN: 0
; COMPUTE_PGM_RSRC2:USER_SGPR: 6
; COMPUTE_PGM_RSRC2:TRAP_HANDLER: 0
; COMPUTE_PGM_RSRC2:TGID_X_EN: 1
; COMPUTE_PGM_RSRC2:TGID_Y_EN: 0
; COMPUTE_PGM_RSRC2:TGID_Z_EN: 0
; COMPUTE_PGM_RSRC2:TIDIG_COMP_CNT: 0
; COMPUTE_PGM_RSRC3_GFX90A:ACCUM_OFFSET: 0
; COMPUTE_PGM_RSRC3_GFX90A:TG_SPLIT: 0
	.section	.text._ZN7rocprim17ROCPRIM_400000_NS6detail17trampoline_kernelINS0_14default_configENS1_35radix_sort_onesweep_config_selectorIyNS0_10empty_typeEEEZNS1_34radix_sort_onesweep_global_offsetsIS3_Lb0EN6thrust23THRUST_200600_302600_NS6detail15normal_iteratorINS9_10device_ptrIyEEEEPS5_jNS0_19identity_decomposerEEE10hipError_tT1_T2_PT3_SK_jT4_jjP12ihipStream_tbEUlT_E_NS1_11comp_targetILNS1_3genE4ELNS1_11target_archE910ELNS1_3gpuE8ELNS1_3repE0EEENS1_52radix_sort_onesweep_histogram_config_static_selectorELNS0_4arch9wavefront6targetE1EEEvSI_,"axG",@progbits,_ZN7rocprim17ROCPRIM_400000_NS6detail17trampoline_kernelINS0_14default_configENS1_35radix_sort_onesweep_config_selectorIyNS0_10empty_typeEEEZNS1_34radix_sort_onesweep_global_offsetsIS3_Lb0EN6thrust23THRUST_200600_302600_NS6detail15normal_iteratorINS9_10device_ptrIyEEEEPS5_jNS0_19identity_decomposerEEE10hipError_tT1_T2_PT3_SK_jT4_jjP12ihipStream_tbEUlT_E_NS1_11comp_targetILNS1_3genE4ELNS1_11target_archE910ELNS1_3gpuE8ELNS1_3repE0EEENS1_52radix_sort_onesweep_histogram_config_static_selectorELNS0_4arch9wavefront6targetE1EEEvSI_,comdat
	.protected	_ZN7rocprim17ROCPRIM_400000_NS6detail17trampoline_kernelINS0_14default_configENS1_35radix_sort_onesweep_config_selectorIyNS0_10empty_typeEEEZNS1_34radix_sort_onesweep_global_offsetsIS3_Lb0EN6thrust23THRUST_200600_302600_NS6detail15normal_iteratorINS9_10device_ptrIyEEEEPS5_jNS0_19identity_decomposerEEE10hipError_tT1_T2_PT3_SK_jT4_jjP12ihipStream_tbEUlT_E_NS1_11comp_targetILNS1_3genE4ELNS1_11target_archE910ELNS1_3gpuE8ELNS1_3repE0EEENS1_52radix_sort_onesweep_histogram_config_static_selectorELNS0_4arch9wavefront6targetE1EEEvSI_ ; -- Begin function _ZN7rocprim17ROCPRIM_400000_NS6detail17trampoline_kernelINS0_14default_configENS1_35radix_sort_onesweep_config_selectorIyNS0_10empty_typeEEEZNS1_34radix_sort_onesweep_global_offsetsIS3_Lb0EN6thrust23THRUST_200600_302600_NS6detail15normal_iteratorINS9_10device_ptrIyEEEEPS5_jNS0_19identity_decomposerEEE10hipError_tT1_T2_PT3_SK_jT4_jjP12ihipStream_tbEUlT_E_NS1_11comp_targetILNS1_3genE4ELNS1_11target_archE910ELNS1_3gpuE8ELNS1_3repE0EEENS1_52radix_sort_onesweep_histogram_config_static_selectorELNS0_4arch9wavefront6targetE1EEEvSI_
	.globl	_ZN7rocprim17ROCPRIM_400000_NS6detail17trampoline_kernelINS0_14default_configENS1_35radix_sort_onesweep_config_selectorIyNS0_10empty_typeEEEZNS1_34radix_sort_onesweep_global_offsetsIS3_Lb0EN6thrust23THRUST_200600_302600_NS6detail15normal_iteratorINS9_10device_ptrIyEEEEPS5_jNS0_19identity_decomposerEEE10hipError_tT1_T2_PT3_SK_jT4_jjP12ihipStream_tbEUlT_E_NS1_11comp_targetILNS1_3genE4ELNS1_11target_archE910ELNS1_3gpuE8ELNS1_3repE0EEENS1_52radix_sort_onesweep_histogram_config_static_selectorELNS0_4arch9wavefront6targetE1EEEvSI_
	.p2align	8
	.type	_ZN7rocprim17ROCPRIM_400000_NS6detail17trampoline_kernelINS0_14default_configENS1_35radix_sort_onesweep_config_selectorIyNS0_10empty_typeEEEZNS1_34radix_sort_onesweep_global_offsetsIS3_Lb0EN6thrust23THRUST_200600_302600_NS6detail15normal_iteratorINS9_10device_ptrIyEEEEPS5_jNS0_19identity_decomposerEEE10hipError_tT1_T2_PT3_SK_jT4_jjP12ihipStream_tbEUlT_E_NS1_11comp_targetILNS1_3genE4ELNS1_11target_archE910ELNS1_3gpuE8ELNS1_3repE0EEENS1_52radix_sort_onesweep_histogram_config_static_selectorELNS0_4arch9wavefront6targetE1EEEvSI_,@function
_ZN7rocprim17ROCPRIM_400000_NS6detail17trampoline_kernelINS0_14default_configENS1_35radix_sort_onesweep_config_selectorIyNS0_10empty_typeEEEZNS1_34radix_sort_onesweep_global_offsetsIS3_Lb0EN6thrust23THRUST_200600_302600_NS6detail15normal_iteratorINS9_10device_ptrIyEEEEPS5_jNS0_19identity_decomposerEEE10hipError_tT1_T2_PT3_SK_jT4_jjP12ihipStream_tbEUlT_E_NS1_11comp_targetILNS1_3genE4ELNS1_11target_archE910ELNS1_3gpuE8ELNS1_3repE0EEENS1_52radix_sort_onesweep_histogram_config_static_selectorELNS0_4arch9wavefront6targetE1EEEvSI_: ; @_ZN7rocprim17ROCPRIM_400000_NS6detail17trampoline_kernelINS0_14default_configENS1_35radix_sort_onesweep_config_selectorIyNS0_10empty_typeEEEZNS1_34radix_sort_onesweep_global_offsetsIS3_Lb0EN6thrust23THRUST_200600_302600_NS6detail15normal_iteratorINS9_10device_ptrIyEEEEPS5_jNS0_19identity_decomposerEEE10hipError_tT1_T2_PT3_SK_jT4_jjP12ihipStream_tbEUlT_E_NS1_11comp_targetILNS1_3genE4ELNS1_11target_archE910ELNS1_3gpuE8ELNS1_3repE0EEENS1_52radix_sort_onesweep_histogram_config_static_selectorELNS0_4arch9wavefront6targetE1EEEvSI_
; %bb.0:
	s_load_dword s7, s[4:5], 0x14
	s_load_dwordx4 s[8:11], s[4:5], 0x0
	s_load_dwordx2 s[2:3], s[4:5], 0x1c
	s_lshl_b32 s12, s6, 13
	s_mov_b64 s[0:1], -1
	s_waitcnt lgkmcnt(0)
	s_cmp_ge_u32 s6, s7
	s_cbranch_scc0 .LBB841_319
; %bb.1:
	s_load_dword s4, s[4:5], 0x10
	s_lshl_b32 s5, s7, 13
	s_mov_b32 s13, 0
	s_lshl_b64 s[0:1], s[12:13], 3
                                        ; implicit-def: $vgpr16_vgpr17
	s_waitcnt lgkmcnt(0)
	s_sub_i32 s13, s4, s5
	s_add_u32 s0, s8, s0
	s_addc_u32 s1, s9, s1
	v_cmp_gt_u32_e32 vcc, s13, v0
	s_and_saveexec_b64 s[4:5], vcc
	s_cbranch_execz .LBB841_3
; %bb.2:
	v_lshlrev_b32_e32 v1, 3, v0
	global_load_dwordx2 v[16:17], v1, s[0:1]
.LBB841_3:
	s_or_b64 exec, exec, s[4:5]
	v_or_b32_e32 v24, 0x400, v0
	v_cmp_gt_u32_e32 vcc, s13, v24
                                        ; implicit-def: $vgpr14_vgpr15
	s_and_saveexec_b64 s[4:5], vcc
	s_cbranch_execz .LBB841_5
; %bb.4:
	v_lshlrev_b32_e32 v1, 3, v24
	global_load_dwordx2 v[14:15], v1, s[0:1]
.LBB841_5:
	s_or_b64 exec, exec, s[4:5]
	v_or_b32_e32 v23, 0x800, v0
	v_cmp_gt_u32_e32 vcc, s13, v23
                                        ; implicit-def: $vgpr12_vgpr13
	s_and_saveexec_b64 s[4:5], vcc
	s_cbranch_execz .LBB841_7
; %bb.6:
	v_lshlrev_b32_e32 v1, 3, v23
	global_load_dwordx2 v[12:13], v1, s[0:1]
.LBB841_7:
	s_or_b64 exec, exec, s[4:5]
	v_or_b32_e32 v22, 0xc00, v0
	v_cmp_gt_u32_e32 vcc, s13, v22
                                        ; implicit-def: $vgpr10_vgpr11
	s_and_saveexec_b64 s[4:5], vcc
	s_cbranch_execz .LBB841_9
; %bb.8:
	v_lshlrev_b32_e32 v1, 3, v22
	global_load_dwordx2 v[10:11], v1, s[0:1]
.LBB841_9:
	s_or_b64 exec, exec, s[4:5]
	v_or_b32_e32 v21, 0x1000, v0
	v_cmp_gt_u32_e32 vcc, s13, v21
                                        ; implicit-def: $vgpr8_vgpr9
	s_and_saveexec_b64 s[4:5], vcc
	s_cbranch_execz .LBB841_11
; %bb.10:
	v_lshlrev_b32_e32 v1, 3, v21
	global_load_dwordx2 v[8:9], v1, s[0:1]
.LBB841_11:
	s_or_b64 exec, exec, s[4:5]
	v_or_b32_e32 v20, 0x1400, v0
	v_cmp_gt_u32_e32 vcc, s13, v20
                                        ; implicit-def: $vgpr6_vgpr7
	s_and_saveexec_b64 s[4:5], vcc
	s_cbranch_execz .LBB841_13
; %bb.12:
	v_lshlrev_b32_e32 v1, 3, v20
	global_load_dwordx2 v[6:7], v1, s[0:1]
.LBB841_13:
	s_or_b64 exec, exec, s[4:5]
	v_or_b32_e32 v19, 0x1800, v0
	v_cmp_gt_u32_e32 vcc, s13, v19
                                        ; implicit-def: $vgpr4_vgpr5
	s_and_saveexec_b64 s[4:5], vcc
	s_cbranch_execz .LBB841_15
; %bb.14:
	v_lshlrev_b32_e32 v1, 3, v19
	global_load_dwordx2 v[4:5], v1, s[0:1]
.LBB841_15:
	s_or_b64 exec, exec, s[4:5]
	v_or_b32_e32 v18, 0x1c00, v0
	v_cmp_gt_u32_e32 vcc, s13, v18
                                        ; implicit-def: $vgpr2_vgpr3
	s_and_saveexec_b64 s[4:5], vcc
	s_cbranch_execz .LBB841_17
; %bb.16:
	v_lshlrev_b32_e32 v1, 3, v18
	global_load_dwordx2 v[2:3], v1, s[0:1]
.LBB841_17:
	s_or_b64 exec, exec, s[4:5]
	s_cmp_le_u32 s3, s2
	s_cselect_b64 s[4:5], -1, 0
	v_cmp_le_u32_e32 vcc, s13, v0
	s_and_b64 s[0:1], s[4:5], exec
	v_lshlrev_b32_e32 v25, 2, v0
	v_mov_b32_e32 v26, 0
	s_cselect_b32 s18, 8, 10
	s_or_b64 s[0:1], s[4:5], vcc
	v_and_b32_e32 v1, 3, v0
	ds_write2st64_b32 v25, v26, v26 offset1:16
	ds_write2st64_b32 v25, v26, v26 offset0:32 offset1:48
	ds_write2st64_b32 v25, v26, v26 offset0:64 offset1:80
	;; [unrolled: 1-line block ×3, first 2 shown]
	s_xor_b64 s[6:7], s[0:1], -1
	v_mov_b32_e32 v25, s18
	s_waitcnt lgkmcnt(0)
	s_barrier
	s_and_saveexec_b64 s[0:1], s[6:7]
	s_cbranch_execz .LBB841_19
; %bb.18:
	s_sub_i32 s6, s3, s2
	s_min_u32 s6, s6, 8
	s_waitcnt vmcnt(0)
	v_lshrrev_b64 v[26:27], s2, v[16:17]
	v_bfe_u32 v25, v26, 0, s6
	v_lshlrev_b32_e32 v26, 2, v1
	v_lshl_or_b32 v25, v25, 4, v26
	v_mov_b32_e32 v26, 1
	ds_add_u32 v25, v26
	v_mov_b32_e32 v25, 0
.LBB841_19:
	s_or_b64 exec, exec, s[0:1]
	v_cmp_gt_i32_e64 s[0:1], 10, v25
	s_mov_b64 s[14:15], -1
	s_and_saveexec_b64 s[6:7], s[0:1]
; %bb.20:
	v_cmp_eq_u32_e64 s[0:1], 0, v25
	s_orn2_b64 s[14:15], s[0:1], exec
; %bb.21:
	s_or_b64 exec, exec, s[6:7]
	s_and_saveexec_b64 s[6:7], s[14:15]
	s_cbranch_execz .LBB841_54
; %bb.22:
	s_add_i32 s14, s2, 8
	s_cmp_le_u32 s3, s14
	s_cselect_b64 s[0:1], -1, 0
	s_and_b64 s[16:17], s[0:1], exec
	s_cselect_b32 s15, 8, 10
	s_or_b64 s[0:1], s[0:1], vcc
	s_xor_b64 s[16:17], s[0:1], -1
	v_mov_b32_e32 v25, s15
	s_and_saveexec_b64 s[0:1], s[16:17]
	s_cbranch_execz .LBB841_24
; %bb.23:
	s_sub_i32 s15, s3, s14
	s_min_u32 s15, s15, 8
	s_waitcnt vmcnt(0)
	v_lshrrev_b64 v[26:27], s14, v[16:17]
	v_bfe_u32 v25, v26, 0, s15
	v_lshlrev_b32_e32 v26, 2, v1
	v_lshl_or_b32 v25, v25, 4, v26
	v_mov_b32_e32 v26, 1
	ds_add_u32 v25, v26 offset:4096
	v_mov_b32_e32 v25, 0
.LBB841_24:
	s_or_b64 exec, exec, s[0:1]
	v_cmp_gt_i32_e64 s[0:1], 10, v25
	s_mov_b64 s[14:15], -1
	s_and_saveexec_b64 s[16:17], s[0:1]
; %bb.25:
	v_cmp_eq_u32_e64 s[0:1], 0, v25
	s_orn2_b64 s[14:15], s[0:1], exec
; %bb.26:
	s_or_b64 exec, exec, s[16:17]
	s_and_b64 exec, exec, s[14:15]
	s_cbranch_execz .LBB841_54
; %bb.27:
	s_add_i32 s14, s2, 16
	s_cmp_le_u32 s3, s14
	s_cselect_b64 s[0:1], -1, 0
	s_and_b64 s[16:17], s[0:1], exec
	s_cselect_b32 s15, 8, 10
	s_or_b64 s[0:1], s[0:1], vcc
	s_xor_b64 s[16:17], s[0:1], -1
	v_mov_b32_e32 v25, s15
	s_and_saveexec_b64 s[0:1], s[16:17]
	s_cbranch_execz .LBB841_29
; %bb.28:
	s_sub_i32 s15, s3, s14
	s_min_u32 s15, s15, 8
	s_waitcnt vmcnt(0)
	v_lshrrev_b64 v[26:27], s14, v[16:17]
	v_bfe_u32 v25, v26, 0, s15
	v_lshlrev_b32_e32 v26, 2, v1
	v_lshl_or_b32 v25, v25, 4, v26
	v_mov_b32_e32 v26, 1
	ds_add_u32 v25, v26 offset:8192
	v_mov_b32_e32 v25, 0
.LBB841_29:
	s_or_b64 exec, exec, s[0:1]
	v_cmp_gt_i32_e64 s[0:1], 10, v25
	s_mov_b64 s[14:15], -1
	s_and_saveexec_b64 s[16:17], s[0:1]
; %bb.30:
	v_cmp_eq_u32_e64 s[0:1], 0, v25
	s_orn2_b64 s[14:15], s[0:1], exec
; %bb.31:
	s_or_b64 exec, exec, s[16:17]
	s_and_b64 exec, exec, s[14:15]
	;; [unrolled: 34-line block ×6, first 2 shown]
	s_cbranch_execz .LBB841_54
; %bb.52:
	s_add_i32 s0, s2, 56
	s_cmp_gt_u32 s3, s0
	s_cselect_b64 s[14:15], -1, 0
	s_xor_b64 s[16:17], vcc, -1
	s_and_b64 s[14:15], s[14:15], s[16:17]
	s_and_b64 exec, exec, s[14:15]
	s_cbranch_execz .LBB841_54
; %bb.53:
	s_sub_i32 s1, s3, s0
	s_min_u32 s1, s1, 8
	s_waitcnt vmcnt(0)
	v_lshrrev_b64 v[16:17], s0, v[16:17]
	v_bfe_u32 v16, v16, 0, s1
	v_lshlrev_b32_e32 v17, 2, v1
	v_lshl_or_b32 v16, v16, 4, v17
	v_mov_b32_e32 v17, 1
	ds_add_u32 v16, v17 offset:28672
.LBB841_54:
	s_or_b64 exec, exec, s[6:7]
	v_cmp_le_u32_e32 vcc, s13, v24
	s_or_b64 s[0:1], s[4:5], vcc
	s_xor_b64 s[6:7], s[0:1], -1
	s_waitcnt vmcnt(0)
	v_mov_b32_e32 v16, s18
	s_and_saveexec_b64 s[0:1], s[6:7]
	s_cbranch_execz .LBB841_56
; %bb.55:
	s_sub_i32 s6, s3, s2
	s_min_u32 s6, s6, 8
	v_lshrrev_b64 v[16:17], s2, v[14:15]
	v_bfe_u32 v16, v16, 0, s6
	v_lshlrev_b32_e32 v17, 2, v1
	v_lshl_or_b32 v16, v16, 4, v17
	v_mov_b32_e32 v17, 1
	ds_add_u32 v16, v17
	v_mov_b32_e32 v16, 0
.LBB841_56:
	s_or_b64 exec, exec, s[0:1]
	v_cmp_gt_i32_e64 s[0:1], 10, v16
	s_mov_b64 s[14:15], -1
	s_and_saveexec_b64 s[6:7], s[0:1]
; %bb.57:
	v_cmp_eq_u32_e64 s[0:1], 0, v16
	s_orn2_b64 s[14:15], s[0:1], exec
; %bb.58:
	s_or_b64 exec, exec, s[6:7]
	s_and_saveexec_b64 s[6:7], s[14:15]
	s_cbranch_execz .LBB841_91
; %bb.59:
	s_add_i32 s14, s2, 8
	s_cmp_le_u32 s3, s14
	s_cselect_b64 s[0:1], -1, 0
	s_and_b64 s[16:17], s[0:1], exec
	s_cselect_b32 s15, 8, 10
	s_or_b64 s[0:1], s[0:1], vcc
	s_xor_b64 s[16:17], s[0:1], -1
	v_mov_b32_e32 v16, s15
	s_and_saveexec_b64 s[0:1], s[16:17]
	s_cbranch_execz .LBB841_61
; %bb.60:
	s_sub_i32 s15, s3, s14
	s_min_u32 s15, s15, 8
	v_lshrrev_b64 v[16:17], s14, v[14:15]
	v_bfe_u32 v16, v16, 0, s15
	v_lshlrev_b32_e32 v17, 2, v1
	v_lshl_or_b32 v16, v16, 4, v17
	v_mov_b32_e32 v17, 1
	ds_add_u32 v16, v17 offset:4096
	v_mov_b32_e32 v16, 0
.LBB841_61:
	s_or_b64 exec, exec, s[0:1]
	v_cmp_gt_i32_e64 s[0:1], 10, v16
	s_mov_b64 s[14:15], -1
	s_and_saveexec_b64 s[16:17], s[0:1]
; %bb.62:
	v_cmp_eq_u32_e64 s[0:1], 0, v16
	s_orn2_b64 s[14:15], s[0:1], exec
; %bb.63:
	s_or_b64 exec, exec, s[16:17]
	s_and_b64 exec, exec, s[14:15]
	s_cbranch_execz .LBB841_91
; %bb.64:
	s_add_i32 s14, s2, 16
	s_cmp_le_u32 s3, s14
	s_cselect_b64 s[0:1], -1, 0
	s_and_b64 s[16:17], s[0:1], exec
	s_cselect_b32 s15, 8, 10
	s_or_b64 s[0:1], s[0:1], vcc
	s_xor_b64 s[16:17], s[0:1], -1
	v_mov_b32_e32 v16, s15
	s_and_saveexec_b64 s[0:1], s[16:17]
	s_cbranch_execz .LBB841_66
; %bb.65:
	s_sub_i32 s15, s3, s14
	s_min_u32 s15, s15, 8
	v_lshrrev_b64 v[16:17], s14, v[14:15]
	v_bfe_u32 v16, v16, 0, s15
	v_lshlrev_b32_e32 v17, 2, v1
	v_lshl_or_b32 v16, v16, 4, v17
	v_mov_b32_e32 v17, 1
	ds_add_u32 v16, v17 offset:8192
	v_mov_b32_e32 v16, 0
.LBB841_66:
	s_or_b64 exec, exec, s[0:1]
	v_cmp_gt_i32_e64 s[0:1], 10, v16
	s_mov_b64 s[14:15], -1
	s_and_saveexec_b64 s[16:17], s[0:1]
; %bb.67:
	v_cmp_eq_u32_e64 s[0:1], 0, v16
	s_orn2_b64 s[14:15], s[0:1], exec
; %bb.68:
	s_or_b64 exec, exec, s[16:17]
	s_and_b64 exec, exec, s[14:15]
	;; [unrolled: 33-line block ×6, first 2 shown]
	s_cbranch_execz .LBB841_91
; %bb.89:
	s_add_i32 s0, s2, 56
	s_cmp_gt_u32 s3, s0
	s_cselect_b64 s[14:15], -1, 0
	s_xor_b64 s[16:17], vcc, -1
	s_and_b64 s[14:15], s[14:15], s[16:17]
	s_and_b64 exec, exec, s[14:15]
	s_cbranch_execz .LBB841_91
; %bb.90:
	s_sub_i32 s1, s3, s0
	s_min_u32 s1, s1, 8
	v_lshrrev_b64 v[14:15], s0, v[14:15]
	v_bfe_u32 v14, v14, 0, s1
	v_lshlrev_b32_e32 v15, 2, v1
	v_lshl_or_b32 v14, v14, 4, v15
	v_mov_b32_e32 v15, 1
	ds_add_u32 v14, v15 offset:28672
.LBB841_91:
	s_or_b64 exec, exec, s[6:7]
	v_cmp_le_u32_e32 vcc, s13, v23
	s_or_b64 s[0:1], s[4:5], vcc
	s_xor_b64 s[6:7], s[0:1], -1
	v_mov_b32_e32 v14, s18
	s_and_saveexec_b64 s[0:1], s[6:7]
	s_cbranch_execz .LBB841_93
; %bb.92:
	s_sub_i32 s6, s3, s2
	s_min_u32 s6, s6, 8
	v_lshrrev_b64 v[14:15], s2, v[12:13]
	v_bfe_u32 v14, v14, 0, s6
	v_lshlrev_b32_e32 v15, 2, v1
	v_lshl_or_b32 v14, v14, 4, v15
	v_mov_b32_e32 v15, 1
	ds_add_u32 v14, v15
	v_mov_b32_e32 v14, 0
.LBB841_93:
	s_or_b64 exec, exec, s[0:1]
	v_cmp_gt_i32_e64 s[0:1], 10, v14
	s_mov_b64 s[14:15], -1
	s_and_saveexec_b64 s[6:7], s[0:1]
; %bb.94:
	v_cmp_eq_u32_e64 s[0:1], 0, v14
	s_orn2_b64 s[14:15], s[0:1], exec
; %bb.95:
	s_or_b64 exec, exec, s[6:7]
	s_and_saveexec_b64 s[6:7], s[14:15]
	s_cbranch_execz .LBB841_128
; %bb.96:
	s_add_i32 s14, s2, 8
	s_cmp_le_u32 s3, s14
	s_cselect_b64 s[0:1], -1, 0
	s_and_b64 s[16:17], s[0:1], exec
	s_cselect_b32 s15, 8, 10
	s_or_b64 s[0:1], s[0:1], vcc
	s_xor_b64 s[16:17], s[0:1], -1
	v_mov_b32_e32 v14, s15
	s_and_saveexec_b64 s[0:1], s[16:17]
	s_cbranch_execz .LBB841_98
; %bb.97:
	s_sub_i32 s15, s3, s14
	s_min_u32 s15, s15, 8
	v_lshrrev_b64 v[14:15], s14, v[12:13]
	v_bfe_u32 v14, v14, 0, s15
	v_lshlrev_b32_e32 v15, 2, v1
	v_lshl_or_b32 v14, v14, 4, v15
	v_mov_b32_e32 v15, 1
	ds_add_u32 v14, v15 offset:4096
	v_mov_b32_e32 v14, 0
.LBB841_98:
	s_or_b64 exec, exec, s[0:1]
	v_cmp_gt_i32_e64 s[0:1], 10, v14
	s_mov_b64 s[14:15], -1
	s_and_saveexec_b64 s[16:17], s[0:1]
; %bb.99:
	v_cmp_eq_u32_e64 s[0:1], 0, v14
	s_orn2_b64 s[14:15], s[0:1], exec
; %bb.100:
	s_or_b64 exec, exec, s[16:17]
	s_and_b64 exec, exec, s[14:15]
	s_cbranch_execz .LBB841_128
; %bb.101:
	s_add_i32 s14, s2, 16
	s_cmp_le_u32 s3, s14
	s_cselect_b64 s[0:1], -1, 0
	s_and_b64 s[16:17], s[0:1], exec
	s_cselect_b32 s15, 8, 10
	s_or_b64 s[0:1], s[0:1], vcc
	s_xor_b64 s[16:17], s[0:1], -1
	v_mov_b32_e32 v14, s15
	s_and_saveexec_b64 s[0:1], s[16:17]
	s_cbranch_execz .LBB841_103
; %bb.102:
	s_sub_i32 s15, s3, s14
	s_min_u32 s15, s15, 8
	v_lshrrev_b64 v[14:15], s14, v[12:13]
	v_bfe_u32 v14, v14, 0, s15
	v_lshlrev_b32_e32 v15, 2, v1
	v_lshl_or_b32 v14, v14, 4, v15
	v_mov_b32_e32 v15, 1
	ds_add_u32 v14, v15 offset:8192
	v_mov_b32_e32 v14, 0
.LBB841_103:
	s_or_b64 exec, exec, s[0:1]
	v_cmp_gt_i32_e64 s[0:1], 10, v14
	s_mov_b64 s[14:15], -1
	s_and_saveexec_b64 s[16:17], s[0:1]
; %bb.104:
	v_cmp_eq_u32_e64 s[0:1], 0, v14
	s_orn2_b64 s[14:15], s[0:1], exec
; %bb.105:
	s_or_b64 exec, exec, s[16:17]
	s_and_b64 exec, exec, s[14:15]
	;; [unrolled: 33-line block ×6, first 2 shown]
	s_cbranch_execz .LBB841_128
; %bb.126:
	s_add_i32 s0, s2, 56
	s_cmp_gt_u32 s3, s0
	s_cselect_b64 s[14:15], -1, 0
	s_xor_b64 s[16:17], vcc, -1
	s_and_b64 s[14:15], s[14:15], s[16:17]
	s_and_b64 exec, exec, s[14:15]
	s_cbranch_execz .LBB841_128
; %bb.127:
	s_sub_i32 s1, s3, s0
	s_min_u32 s1, s1, 8
	v_lshrrev_b64 v[12:13], s0, v[12:13]
	v_bfe_u32 v12, v12, 0, s1
	v_lshlrev_b32_e32 v13, 2, v1
	v_lshl_or_b32 v12, v12, 4, v13
	v_mov_b32_e32 v13, 1
	ds_add_u32 v12, v13 offset:28672
.LBB841_128:
	s_or_b64 exec, exec, s[6:7]
	v_cmp_le_u32_e32 vcc, s13, v22
	s_or_b64 s[0:1], s[4:5], vcc
	s_xor_b64 s[6:7], s[0:1], -1
	v_mov_b32_e32 v12, s18
	s_and_saveexec_b64 s[0:1], s[6:7]
	s_cbranch_execz .LBB841_130
; %bb.129:
	s_sub_i32 s6, s3, s2
	s_min_u32 s6, s6, 8
	v_lshrrev_b64 v[12:13], s2, v[10:11]
	v_bfe_u32 v12, v12, 0, s6
	v_lshlrev_b32_e32 v13, 2, v1
	v_lshl_or_b32 v12, v12, 4, v13
	v_mov_b32_e32 v13, 1
	ds_add_u32 v12, v13
	v_mov_b32_e32 v12, 0
.LBB841_130:
	s_or_b64 exec, exec, s[0:1]
	v_cmp_gt_i32_e64 s[0:1], 10, v12
	s_mov_b64 s[14:15], -1
	s_and_saveexec_b64 s[6:7], s[0:1]
; %bb.131:
	v_cmp_eq_u32_e64 s[0:1], 0, v12
	s_orn2_b64 s[14:15], s[0:1], exec
; %bb.132:
	s_or_b64 exec, exec, s[6:7]
	s_and_saveexec_b64 s[6:7], s[14:15]
	s_cbranch_execz .LBB841_165
; %bb.133:
	s_add_i32 s14, s2, 8
	s_cmp_le_u32 s3, s14
	s_cselect_b64 s[0:1], -1, 0
	s_and_b64 s[16:17], s[0:1], exec
	s_cselect_b32 s15, 8, 10
	s_or_b64 s[0:1], s[0:1], vcc
	s_xor_b64 s[16:17], s[0:1], -1
	v_mov_b32_e32 v12, s15
	s_and_saveexec_b64 s[0:1], s[16:17]
	s_cbranch_execz .LBB841_135
; %bb.134:
	s_sub_i32 s15, s3, s14
	s_min_u32 s15, s15, 8
	v_lshrrev_b64 v[12:13], s14, v[10:11]
	v_bfe_u32 v12, v12, 0, s15
	v_lshlrev_b32_e32 v13, 2, v1
	v_lshl_or_b32 v12, v12, 4, v13
	v_mov_b32_e32 v13, 1
	ds_add_u32 v12, v13 offset:4096
	v_mov_b32_e32 v12, 0
.LBB841_135:
	s_or_b64 exec, exec, s[0:1]
	v_cmp_gt_i32_e64 s[0:1], 10, v12
	s_mov_b64 s[14:15], -1
	s_and_saveexec_b64 s[16:17], s[0:1]
; %bb.136:
	v_cmp_eq_u32_e64 s[0:1], 0, v12
	s_orn2_b64 s[14:15], s[0:1], exec
; %bb.137:
	s_or_b64 exec, exec, s[16:17]
	s_and_b64 exec, exec, s[14:15]
	s_cbranch_execz .LBB841_165
; %bb.138:
	s_add_i32 s14, s2, 16
	s_cmp_le_u32 s3, s14
	s_cselect_b64 s[0:1], -1, 0
	s_and_b64 s[16:17], s[0:1], exec
	s_cselect_b32 s15, 8, 10
	s_or_b64 s[0:1], s[0:1], vcc
	s_xor_b64 s[16:17], s[0:1], -1
	v_mov_b32_e32 v12, s15
	s_and_saveexec_b64 s[0:1], s[16:17]
	s_cbranch_execz .LBB841_140
; %bb.139:
	s_sub_i32 s15, s3, s14
	s_min_u32 s15, s15, 8
	v_lshrrev_b64 v[12:13], s14, v[10:11]
	v_bfe_u32 v12, v12, 0, s15
	v_lshlrev_b32_e32 v13, 2, v1
	v_lshl_or_b32 v12, v12, 4, v13
	v_mov_b32_e32 v13, 1
	ds_add_u32 v12, v13 offset:8192
	v_mov_b32_e32 v12, 0
.LBB841_140:
	s_or_b64 exec, exec, s[0:1]
	v_cmp_gt_i32_e64 s[0:1], 10, v12
	s_mov_b64 s[14:15], -1
	s_and_saveexec_b64 s[16:17], s[0:1]
; %bb.141:
	v_cmp_eq_u32_e64 s[0:1], 0, v12
	s_orn2_b64 s[14:15], s[0:1], exec
; %bb.142:
	s_or_b64 exec, exec, s[16:17]
	s_and_b64 exec, exec, s[14:15]
	;; [unrolled: 33-line block ×6, first 2 shown]
	s_cbranch_execz .LBB841_165
; %bb.163:
	s_add_i32 s0, s2, 56
	s_cmp_gt_u32 s3, s0
	s_cselect_b64 s[14:15], -1, 0
	s_xor_b64 s[16:17], vcc, -1
	s_and_b64 s[14:15], s[14:15], s[16:17]
	s_and_b64 exec, exec, s[14:15]
	s_cbranch_execz .LBB841_165
; %bb.164:
	s_sub_i32 s1, s3, s0
	s_min_u32 s1, s1, 8
	v_lshrrev_b64 v[10:11], s0, v[10:11]
	v_bfe_u32 v10, v10, 0, s1
	v_lshlrev_b32_e32 v11, 2, v1
	v_lshl_or_b32 v10, v10, 4, v11
	v_mov_b32_e32 v11, 1
	ds_add_u32 v10, v11 offset:28672
.LBB841_165:
	s_or_b64 exec, exec, s[6:7]
	v_cmp_le_u32_e32 vcc, s13, v21
	s_or_b64 s[0:1], s[4:5], vcc
	s_xor_b64 s[6:7], s[0:1], -1
	v_mov_b32_e32 v10, s18
	s_and_saveexec_b64 s[0:1], s[6:7]
	s_cbranch_execz .LBB841_167
; %bb.166:
	s_sub_i32 s6, s3, s2
	s_min_u32 s6, s6, 8
	v_lshrrev_b64 v[10:11], s2, v[8:9]
	v_bfe_u32 v10, v10, 0, s6
	v_lshlrev_b32_e32 v11, 2, v1
	v_lshl_or_b32 v10, v10, 4, v11
	v_mov_b32_e32 v11, 1
	ds_add_u32 v10, v11
	v_mov_b32_e32 v10, 0
.LBB841_167:
	s_or_b64 exec, exec, s[0:1]
	v_cmp_gt_i32_e64 s[0:1], 10, v10
	s_mov_b64 s[14:15], -1
	s_and_saveexec_b64 s[6:7], s[0:1]
; %bb.168:
	v_cmp_eq_u32_e64 s[0:1], 0, v10
	s_orn2_b64 s[14:15], s[0:1], exec
; %bb.169:
	s_or_b64 exec, exec, s[6:7]
	s_and_saveexec_b64 s[6:7], s[14:15]
	s_cbranch_execz .LBB841_202
; %bb.170:
	s_add_i32 s14, s2, 8
	s_cmp_le_u32 s3, s14
	s_cselect_b64 s[0:1], -1, 0
	s_and_b64 s[16:17], s[0:1], exec
	s_cselect_b32 s15, 8, 10
	s_or_b64 s[0:1], s[0:1], vcc
	s_xor_b64 s[16:17], s[0:1], -1
	v_mov_b32_e32 v10, s15
	s_and_saveexec_b64 s[0:1], s[16:17]
	s_cbranch_execz .LBB841_172
; %bb.171:
	s_sub_i32 s15, s3, s14
	s_min_u32 s15, s15, 8
	v_lshrrev_b64 v[10:11], s14, v[8:9]
	v_bfe_u32 v10, v10, 0, s15
	v_lshlrev_b32_e32 v11, 2, v1
	v_lshl_or_b32 v10, v10, 4, v11
	v_mov_b32_e32 v11, 1
	ds_add_u32 v10, v11 offset:4096
	v_mov_b32_e32 v10, 0
.LBB841_172:
	s_or_b64 exec, exec, s[0:1]
	v_cmp_gt_i32_e64 s[0:1], 10, v10
	s_mov_b64 s[14:15], -1
	s_and_saveexec_b64 s[16:17], s[0:1]
; %bb.173:
	v_cmp_eq_u32_e64 s[0:1], 0, v10
	s_orn2_b64 s[14:15], s[0:1], exec
; %bb.174:
	s_or_b64 exec, exec, s[16:17]
	s_and_b64 exec, exec, s[14:15]
	s_cbranch_execz .LBB841_202
; %bb.175:
	s_add_i32 s14, s2, 16
	s_cmp_le_u32 s3, s14
	s_cselect_b64 s[0:1], -1, 0
	s_and_b64 s[16:17], s[0:1], exec
	s_cselect_b32 s15, 8, 10
	s_or_b64 s[0:1], s[0:1], vcc
	s_xor_b64 s[16:17], s[0:1], -1
	v_mov_b32_e32 v10, s15
	s_and_saveexec_b64 s[0:1], s[16:17]
	s_cbranch_execz .LBB841_177
; %bb.176:
	s_sub_i32 s15, s3, s14
	s_min_u32 s15, s15, 8
	v_lshrrev_b64 v[10:11], s14, v[8:9]
	v_bfe_u32 v10, v10, 0, s15
	v_lshlrev_b32_e32 v11, 2, v1
	v_lshl_or_b32 v10, v10, 4, v11
	v_mov_b32_e32 v11, 1
	ds_add_u32 v10, v11 offset:8192
	v_mov_b32_e32 v10, 0
.LBB841_177:
	s_or_b64 exec, exec, s[0:1]
	v_cmp_gt_i32_e64 s[0:1], 10, v10
	s_mov_b64 s[14:15], -1
	s_and_saveexec_b64 s[16:17], s[0:1]
; %bb.178:
	v_cmp_eq_u32_e64 s[0:1], 0, v10
	s_orn2_b64 s[14:15], s[0:1], exec
; %bb.179:
	s_or_b64 exec, exec, s[16:17]
	s_and_b64 exec, exec, s[14:15]
	;; [unrolled: 33-line block ×6, first 2 shown]
	s_cbranch_execz .LBB841_202
; %bb.200:
	s_add_i32 s0, s2, 56
	s_cmp_gt_u32 s3, s0
	s_cselect_b64 s[14:15], -1, 0
	s_xor_b64 s[16:17], vcc, -1
	s_and_b64 s[14:15], s[14:15], s[16:17]
	s_and_b64 exec, exec, s[14:15]
	s_cbranch_execz .LBB841_202
; %bb.201:
	s_sub_i32 s1, s3, s0
	s_min_u32 s1, s1, 8
	v_lshrrev_b64 v[8:9], s0, v[8:9]
	v_bfe_u32 v8, v8, 0, s1
	v_lshlrev_b32_e32 v9, 2, v1
	v_lshl_or_b32 v8, v8, 4, v9
	v_mov_b32_e32 v9, 1
	ds_add_u32 v8, v9 offset:28672
.LBB841_202:
	s_or_b64 exec, exec, s[6:7]
	v_cmp_le_u32_e32 vcc, s13, v20
	s_or_b64 s[0:1], s[4:5], vcc
	s_xor_b64 s[6:7], s[0:1], -1
	v_mov_b32_e32 v8, s18
	s_and_saveexec_b64 s[0:1], s[6:7]
	s_cbranch_execz .LBB841_204
; %bb.203:
	s_sub_i32 s6, s3, s2
	s_min_u32 s6, s6, 8
	v_lshrrev_b64 v[8:9], s2, v[6:7]
	v_bfe_u32 v8, v8, 0, s6
	v_lshlrev_b32_e32 v9, 2, v1
	v_lshl_or_b32 v8, v8, 4, v9
	v_mov_b32_e32 v9, 1
	ds_add_u32 v8, v9
	v_mov_b32_e32 v8, 0
.LBB841_204:
	s_or_b64 exec, exec, s[0:1]
	v_cmp_gt_i32_e64 s[0:1], 10, v8
	s_mov_b64 s[14:15], -1
	s_and_saveexec_b64 s[6:7], s[0:1]
; %bb.205:
	v_cmp_eq_u32_e64 s[0:1], 0, v8
	s_orn2_b64 s[14:15], s[0:1], exec
; %bb.206:
	s_or_b64 exec, exec, s[6:7]
	s_and_saveexec_b64 s[6:7], s[14:15]
	s_cbranch_execz .LBB841_239
; %bb.207:
	s_add_i32 s14, s2, 8
	s_cmp_le_u32 s3, s14
	s_cselect_b64 s[0:1], -1, 0
	s_and_b64 s[16:17], s[0:1], exec
	s_cselect_b32 s15, 8, 10
	s_or_b64 s[0:1], s[0:1], vcc
	s_xor_b64 s[16:17], s[0:1], -1
	v_mov_b32_e32 v8, s15
	s_and_saveexec_b64 s[0:1], s[16:17]
	s_cbranch_execz .LBB841_209
; %bb.208:
	s_sub_i32 s15, s3, s14
	s_min_u32 s15, s15, 8
	v_lshrrev_b64 v[8:9], s14, v[6:7]
	v_bfe_u32 v8, v8, 0, s15
	v_lshlrev_b32_e32 v9, 2, v1
	v_lshl_or_b32 v8, v8, 4, v9
	v_mov_b32_e32 v9, 1
	ds_add_u32 v8, v9 offset:4096
	v_mov_b32_e32 v8, 0
.LBB841_209:
	s_or_b64 exec, exec, s[0:1]
	v_cmp_gt_i32_e64 s[0:1], 10, v8
	s_mov_b64 s[14:15], -1
	s_and_saveexec_b64 s[16:17], s[0:1]
; %bb.210:
	v_cmp_eq_u32_e64 s[0:1], 0, v8
	s_orn2_b64 s[14:15], s[0:1], exec
; %bb.211:
	s_or_b64 exec, exec, s[16:17]
	s_and_b64 exec, exec, s[14:15]
	s_cbranch_execz .LBB841_239
; %bb.212:
	s_add_i32 s14, s2, 16
	s_cmp_le_u32 s3, s14
	s_cselect_b64 s[0:1], -1, 0
	s_and_b64 s[16:17], s[0:1], exec
	s_cselect_b32 s15, 8, 10
	s_or_b64 s[0:1], s[0:1], vcc
	s_xor_b64 s[16:17], s[0:1], -1
	v_mov_b32_e32 v8, s15
	s_and_saveexec_b64 s[0:1], s[16:17]
	s_cbranch_execz .LBB841_214
; %bb.213:
	s_sub_i32 s15, s3, s14
	s_min_u32 s15, s15, 8
	v_lshrrev_b64 v[8:9], s14, v[6:7]
	v_bfe_u32 v8, v8, 0, s15
	v_lshlrev_b32_e32 v9, 2, v1
	v_lshl_or_b32 v8, v8, 4, v9
	v_mov_b32_e32 v9, 1
	ds_add_u32 v8, v9 offset:8192
	v_mov_b32_e32 v8, 0
.LBB841_214:
	s_or_b64 exec, exec, s[0:1]
	v_cmp_gt_i32_e64 s[0:1], 10, v8
	s_mov_b64 s[14:15], -1
	s_and_saveexec_b64 s[16:17], s[0:1]
; %bb.215:
	v_cmp_eq_u32_e64 s[0:1], 0, v8
	s_orn2_b64 s[14:15], s[0:1], exec
; %bb.216:
	s_or_b64 exec, exec, s[16:17]
	s_and_b64 exec, exec, s[14:15]
	;; [unrolled: 33-line block ×6, first 2 shown]
	s_cbranch_execz .LBB841_239
; %bb.237:
	s_add_i32 s0, s2, 56
	s_cmp_gt_u32 s3, s0
	s_cselect_b64 s[14:15], -1, 0
	s_xor_b64 s[16:17], vcc, -1
	s_and_b64 s[14:15], s[14:15], s[16:17]
	s_and_b64 exec, exec, s[14:15]
	s_cbranch_execz .LBB841_239
; %bb.238:
	s_sub_i32 s1, s3, s0
	s_min_u32 s1, s1, 8
	v_lshrrev_b64 v[6:7], s0, v[6:7]
	v_bfe_u32 v6, v6, 0, s1
	v_lshlrev_b32_e32 v7, 2, v1
	v_lshl_or_b32 v6, v6, 4, v7
	v_mov_b32_e32 v7, 1
	ds_add_u32 v6, v7 offset:28672
.LBB841_239:
	s_or_b64 exec, exec, s[6:7]
	v_cmp_le_u32_e32 vcc, s13, v19
	s_or_b64 s[0:1], s[4:5], vcc
	s_xor_b64 s[6:7], s[0:1], -1
	v_mov_b32_e32 v6, s18
	s_and_saveexec_b64 s[0:1], s[6:7]
	s_cbranch_execz .LBB841_241
; %bb.240:
	s_sub_i32 s6, s3, s2
	s_min_u32 s6, s6, 8
	v_lshrrev_b64 v[6:7], s2, v[4:5]
	v_bfe_u32 v6, v6, 0, s6
	v_lshlrev_b32_e32 v7, 2, v1
	v_lshl_or_b32 v6, v6, 4, v7
	v_mov_b32_e32 v7, 1
	ds_add_u32 v6, v7
	v_mov_b32_e32 v6, 0
.LBB841_241:
	s_or_b64 exec, exec, s[0:1]
	v_cmp_gt_i32_e64 s[0:1], 10, v6
	s_mov_b64 s[14:15], -1
	s_and_saveexec_b64 s[6:7], s[0:1]
; %bb.242:
	v_cmp_eq_u32_e64 s[0:1], 0, v6
	s_orn2_b64 s[14:15], s[0:1], exec
; %bb.243:
	s_or_b64 exec, exec, s[6:7]
	s_and_saveexec_b64 s[6:7], s[14:15]
	s_cbranch_execz .LBB841_276
; %bb.244:
	s_add_i32 s14, s2, 8
	s_cmp_le_u32 s3, s14
	s_cselect_b64 s[0:1], -1, 0
	s_and_b64 s[16:17], s[0:1], exec
	s_cselect_b32 s15, 8, 10
	s_or_b64 s[0:1], s[0:1], vcc
	s_xor_b64 s[16:17], s[0:1], -1
	v_mov_b32_e32 v6, s15
	s_and_saveexec_b64 s[0:1], s[16:17]
	s_cbranch_execz .LBB841_246
; %bb.245:
	s_sub_i32 s15, s3, s14
	s_min_u32 s15, s15, 8
	v_lshrrev_b64 v[6:7], s14, v[4:5]
	v_bfe_u32 v6, v6, 0, s15
	v_lshlrev_b32_e32 v7, 2, v1
	v_lshl_or_b32 v6, v6, 4, v7
	v_mov_b32_e32 v7, 1
	ds_add_u32 v6, v7 offset:4096
	v_mov_b32_e32 v6, 0
.LBB841_246:
	s_or_b64 exec, exec, s[0:1]
	v_cmp_gt_i32_e64 s[0:1], 10, v6
	s_mov_b64 s[14:15], -1
	s_and_saveexec_b64 s[16:17], s[0:1]
; %bb.247:
	v_cmp_eq_u32_e64 s[0:1], 0, v6
	s_orn2_b64 s[14:15], s[0:1], exec
; %bb.248:
	s_or_b64 exec, exec, s[16:17]
	s_and_b64 exec, exec, s[14:15]
	s_cbranch_execz .LBB841_276
; %bb.249:
	s_add_i32 s14, s2, 16
	s_cmp_le_u32 s3, s14
	s_cselect_b64 s[0:1], -1, 0
	s_and_b64 s[16:17], s[0:1], exec
	s_cselect_b32 s15, 8, 10
	s_or_b64 s[0:1], s[0:1], vcc
	s_xor_b64 s[16:17], s[0:1], -1
	v_mov_b32_e32 v6, s15
	s_and_saveexec_b64 s[0:1], s[16:17]
	s_cbranch_execz .LBB841_251
; %bb.250:
	s_sub_i32 s15, s3, s14
	s_min_u32 s15, s15, 8
	v_lshrrev_b64 v[6:7], s14, v[4:5]
	v_bfe_u32 v6, v6, 0, s15
	v_lshlrev_b32_e32 v7, 2, v1
	v_lshl_or_b32 v6, v6, 4, v7
	v_mov_b32_e32 v7, 1
	ds_add_u32 v6, v7 offset:8192
	v_mov_b32_e32 v6, 0
.LBB841_251:
	s_or_b64 exec, exec, s[0:1]
	v_cmp_gt_i32_e64 s[0:1], 10, v6
	s_mov_b64 s[14:15], -1
	s_and_saveexec_b64 s[16:17], s[0:1]
; %bb.252:
	v_cmp_eq_u32_e64 s[0:1], 0, v6
	s_orn2_b64 s[14:15], s[0:1], exec
; %bb.253:
	s_or_b64 exec, exec, s[16:17]
	s_and_b64 exec, exec, s[14:15]
	;; [unrolled: 33-line block ×6, first 2 shown]
	s_cbranch_execz .LBB841_276
; %bb.274:
	s_add_i32 s0, s2, 56
	s_cmp_gt_u32 s3, s0
	s_cselect_b64 s[14:15], -1, 0
	s_xor_b64 s[16:17], vcc, -1
	s_and_b64 s[14:15], s[14:15], s[16:17]
	s_and_b64 exec, exec, s[14:15]
	s_cbranch_execz .LBB841_276
; %bb.275:
	s_sub_i32 s1, s3, s0
	s_min_u32 s1, s1, 8
	v_lshrrev_b64 v[4:5], s0, v[4:5]
	v_bfe_u32 v4, v4, 0, s1
	v_lshlrev_b32_e32 v5, 2, v1
	v_lshl_or_b32 v4, v4, 4, v5
	v_mov_b32_e32 v5, 1
	ds_add_u32 v4, v5 offset:28672
.LBB841_276:
	s_or_b64 exec, exec, s[6:7]
	v_cmp_le_u32_e32 vcc, s13, v18
	s_or_b64 s[0:1], s[4:5], vcc
	s_xor_b64 s[4:5], s[0:1], -1
	v_mov_b32_e32 v4, s18
	s_and_saveexec_b64 s[0:1], s[4:5]
	s_cbranch_execz .LBB841_278
; %bb.277:
	s_sub_i32 s4, s3, s2
	s_min_u32 s4, s4, 8
	v_lshrrev_b64 v[4:5], s2, v[2:3]
	v_bfe_u32 v4, v4, 0, s4
	v_lshlrev_b32_e32 v5, 2, v1
	v_lshl_or_b32 v4, v4, 4, v5
	v_mov_b32_e32 v5, 1
	ds_add_u32 v4, v5
	v_mov_b32_e32 v4, 0
.LBB841_278:
	s_or_b64 exec, exec, s[0:1]
	v_cmp_gt_i32_e64 s[0:1], 10, v4
	s_mov_b64 s[6:7], -1
	s_and_saveexec_b64 s[4:5], s[0:1]
; %bb.279:
	v_cmp_eq_u32_e64 s[0:1], 0, v4
	s_orn2_b64 s[6:7], s[0:1], exec
; %bb.280:
	s_or_b64 exec, exec, s[4:5]
	s_and_saveexec_b64 s[4:5], s[6:7]
	s_cbranch_execz .LBB841_313
; %bb.281:
	s_add_i32 s6, s2, 8
	s_cmp_le_u32 s3, s6
	s_cselect_b64 s[0:1], -1, 0
	s_and_b64 s[14:15], s[0:1], exec
	s_cselect_b32 s7, 8, 10
	s_or_b64 s[0:1], s[0:1], vcc
	s_xor_b64 s[14:15], s[0:1], -1
	v_mov_b32_e32 v4, s7
	s_and_saveexec_b64 s[0:1], s[14:15]
	s_cbranch_execz .LBB841_283
; %bb.282:
	s_sub_i32 s7, s3, s6
	s_min_u32 s7, s7, 8
	v_lshrrev_b64 v[4:5], s6, v[2:3]
	v_bfe_u32 v4, v4, 0, s7
	v_lshlrev_b32_e32 v5, 2, v1
	v_lshl_or_b32 v4, v4, 4, v5
	v_mov_b32_e32 v5, 1
	ds_add_u32 v4, v5 offset:4096
	v_mov_b32_e32 v4, 0
.LBB841_283:
	s_or_b64 exec, exec, s[0:1]
	v_cmp_gt_i32_e64 s[0:1], 10, v4
	s_mov_b64 s[6:7], -1
	s_and_saveexec_b64 s[14:15], s[0:1]
; %bb.284:
	v_cmp_eq_u32_e64 s[0:1], 0, v4
	s_orn2_b64 s[6:7], s[0:1], exec
; %bb.285:
	s_or_b64 exec, exec, s[14:15]
	s_and_b64 exec, exec, s[6:7]
	s_cbranch_execz .LBB841_313
; %bb.286:
	s_add_i32 s6, s2, 16
	s_cmp_le_u32 s3, s6
	s_cselect_b64 s[0:1], -1, 0
	s_and_b64 s[14:15], s[0:1], exec
	s_cselect_b32 s7, 8, 10
	s_or_b64 s[0:1], s[0:1], vcc
	s_xor_b64 s[14:15], s[0:1], -1
	v_mov_b32_e32 v4, s7
	s_and_saveexec_b64 s[0:1], s[14:15]
	s_cbranch_execz .LBB841_288
; %bb.287:
	s_sub_i32 s7, s3, s6
	s_min_u32 s7, s7, 8
	v_lshrrev_b64 v[4:5], s6, v[2:3]
	v_bfe_u32 v4, v4, 0, s7
	v_lshlrev_b32_e32 v5, 2, v1
	v_lshl_or_b32 v4, v4, 4, v5
	v_mov_b32_e32 v5, 1
	ds_add_u32 v4, v5 offset:8192
	v_mov_b32_e32 v4, 0
.LBB841_288:
	s_or_b64 exec, exec, s[0:1]
	v_cmp_gt_i32_e64 s[0:1], 10, v4
	s_mov_b64 s[6:7], -1
	s_and_saveexec_b64 s[14:15], s[0:1]
; %bb.289:
	v_cmp_eq_u32_e64 s[0:1], 0, v4
	s_orn2_b64 s[6:7], s[0:1], exec
; %bb.290:
	s_or_b64 exec, exec, s[14:15]
	s_and_b64 exec, exec, s[6:7]
	;; [unrolled: 33-line block ×6, first 2 shown]
	s_cbranch_execz .LBB841_313
; %bb.311:
	s_add_i32 s0, s2, 56
	s_cmp_gt_u32 s3, s0
	s_cselect_b64 s[6:7], -1, 0
	s_xor_b64 s[14:15], vcc, -1
	s_and_b64 s[6:7], s[6:7], s[14:15]
	s_and_b64 exec, exec, s[6:7]
	s_cbranch_execz .LBB841_313
; %bb.312:
	s_sub_i32 s1, s3, s0
	s_min_u32 s1, s1, 8
	v_lshrrev_b64 v[2:3], s0, v[2:3]
	v_bfe_u32 v2, v2, 0, s1
	v_lshlrev_b32_e32 v1, 2, v1
	v_lshl_or_b32 v1, v2, 4, v1
	v_mov_b32_e32 v2, 1
	ds_add_u32 v1, v2 offset:28672
.LBB841_313:
	s_or_b64 exec, exec, s[4:5]
	s_cmp_gt_u32 s3, s2
	s_waitcnt lgkmcnt(0)
	s_barrier
	s_cbranch_scc0 .LBB841_318
; %bb.314:
	s_movk_i32 s0, 0x100
	v_cmp_gt_u32_e32 vcc, s0, v0
	v_lshlrev_b32_e32 v1, 4, v0
	v_mov_b32_e32 v3, 0
	v_mov_b32_e32 v2, v0
	s_mov_b32 s6, s2
	s_branch .LBB841_316
.LBB841_315:                            ;   in Loop: Header=BB841_316 Depth=1
	s_or_b64 exec, exec, s[4:5]
	s_add_i32 s6, s6, 8
	v_add_u32_e32 v2, 0x100, v2
	s_cmp_lt_u32 s6, s3
	v_add_u32_e32 v1, 0x1000, v1
	s_cbranch_scc0 .LBB841_318
.LBB841_316:                            ; =>This Inner Loop Header: Depth=1
	s_and_saveexec_b64 s[4:5], vcc
	s_cbranch_execz .LBB841_315
; %bb.317:                              ;   in Loop: Header=BB841_316 Depth=1
	ds_read2_b32 v[4:5], v1 offset1:1
	ds_read2_b32 v[6:7], v1 offset0:2 offset1:3
	v_lshlrev_b64 v[8:9], 2, v[2:3]
	v_mov_b32_e32 v10, s11
	s_waitcnt lgkmcnt(1)
	v_add_u32_e32 v4, v5, v4
	s_waitcnt lgkmcnt(0)
	v_add3_u32 v6, v4, v6, v7
	v_add_co_u32_e64 v4, s[0:1], s10, v8
	v_addc_co_u32_e64 v5, s[0:1], v10, v9, s[0:1]
	global_atomic_add v[4:5], v6, off
	s_branch .LBB841_315
.LBB841_318:
	s_mov_b64 s[0:1], 0
.LBB841_319:
	s_and_b64 vcc, exec, s[0:1]
	s_cbranch_vccz .LBB841_411
; %bb.320:
	s_cmp_eq_u32 s2, 0
	s_cselect_b64 s[0:1], -1, 0
	s_cmp_eq_u32 s3, 64
	s_mov_b32 s13, 0
	s_cselect_b64 s[4:5], -1, 0
	s_and_b64 s[4:5], s[0:1], s[4:5]
	s_lshl_b64 s[0:1], s[12:13], 3
	s_add_u32 s0, s8, s0
	s_addc_u32 s1, s9, s1
	v_lshlrev_b32_e32 v1, 3, v0
	v_mov_b32_e32 v2, s1
	v_add_co_u32_e32 v8, vcc, s0, v1
	v_addc_co_u32_e32 v9, vcc, 0, v2, vcc
	s_movk_i32 s6, 0x2000
	v_add_co_u32_e32 v2, vcc, s6, v8
	v_addc_co_u32_e32 v3, vcc, 0, v9, vcc
	s_movk_i32 s6, 0x4000
	;; [unrolled: 3-line block ×3, first 2 shown]
	v_add_co_u32_e32 v6, vcc, s6, v8
	v_addc_co_u32_e32 v7, vcc, 0, v9, vcc
	global_load_dwordx2 v[16:17], v1, s[0:1]
	global_load_dwordx2 v[14:15], v[2:3], off
	global_load_dwordx2 v[12:13], v[4:5], off
	;; [unrolled: 1-line block ×3, first 2 shown]
	s_mov_b32 s0, 0x8000
	v_add_co_u32_e32 v18, vcc, s0, v8
	v_addc_co_u32_e32 v19, vcc, 0, v9, vcc
	s_mov_b32 s0, 0xa000
	v_add_co_u32_e32 v20, vcc, s0, v8
	v_addc_co_u32_e32 v21, vcc, 0, v9, vcc
	v_add_co_u32_e32 v22, vcc, 0xc000, v8
	v_addc_co_u32_e32 v23, vcc, 0, v9, vcc
	;; [unrolled: 2-line block ×3, first 2 shown]
	global_load_dwordx2 v[8:9], v[18:19], off
	global_load_dwordx2 v[6:7], v[20:21], off
	;; [unrolled: 1-line block ×4, first 2 shown]
	s_mov_b64 s[0:1], -1
	s_and_b64 vcc, exec, s[4:5]
	v_lshlrev_b32_e32 v1, 2, v0
	s_cbranch_vccnz .LBB841_408
; %bb.321:
	s_cmp_gt_u32 s3, s2
	s_cselect_b64 s[0:1], -1, 0
	v_mov_b32_e32 v18, 0
	s_and_b64 vcc, exec, s[0:1]
	ds_write2st64_b32 v1, v18, v18 offset1:16
	ds_write2st64_b32 v1, v18, v18 offset0:32 offset1:48
	ds_write2st64_b32 v1, v18, v18 offset0:64 offset1:80
	;; [unrolled: 1-line block ×3, first 2 shown]
	s_waitcnt lgkmcnt(0)
	s_barrier
	s_cbranch_vccz .LBB841_402
; %bb.322:
	s_sub_i32 s4, s3, s2
	s_min_u32 s4, s4, 8
	s_lshl_b32 s4, -1, s4
	v_and_b32_e32 v20, 3, v0
	s_not_b32 s12, s4
	s_waitcnt vmcnt(7)
	v_lshrrev_b64 v[18:19], s2, v[16:17]
	v_and_b32_e32 v18, s12, v18
	v_lshlrev_b32_e32 v21, 2, v20
	v_lshl_or_b32 v18, v18, 4, v21
	v_mov_b32_e32 v19, 1
	ds_add_u32 v18, v19
	s_add_i32 s13, s2, 8
	s_cmp_le_u32 s3, s13
	s_cselect_b64 s[4:5], -1, 0
	s_and_b64 vcc, exec, s[4:5]
	s_waitcnt vmcnt(6)
	v_lshrrev_b64 v[18:19], s2, v[14:15]
	s_cbranch_vccz .LBB841_324
; %bb.323:
	v_and_b32_e32 v19, s12, v18
	v_lshl_or_b32 v19, v19, 2, v20
	s_mov_b64 s[6:7], -1
	s_cbranch_execz .LBB841_325
	s_branch .LBB841_340
.LBB841_324:
	s_mov_b64 s[6:7], 0
                                        ; implicit-def: $vgpr19
.LBB841_325:
	s_sub_i32 s8, s3, s13
	s_min_u32 s8, s8, 8
	s_lshl_b32 s8, -1, s8
	s_not_b32 s15, s8
	v_lshrrev_b64 v[22:23], s13, v[16:17]
	v_and_b32_e32 v19, s15, v22
	v_lshl_or_b32 v22, v19, 4, v21
	v_mov_b32_e32 v19, 1
	ds_add_u32 v22, v19 offset:4096
	s_add_i32 s14, s2, 16
	s_cmp_gt_u32 s3, s14
	s_cselect_b64 s[8:9], -1, 0
	s_cmp_le_u32 s3, s14
	s_cbranch_scc1 .LBB841_332
; %bb.326:
	s_sub_i32 s16, s3, s14
	s_min_u32 s16, s16, 8
	v_lshrrev_b64 v[22:23], s14, v[16:17]
	v_bfe_u32 v22, v22, 0, s16
	v_lshl_or_b32 v22, v22, 4, v21
	ds_add_u32 v22, v19 offset:8192
	s_add_i32 s16, s2, 24
	s_cmp_le_u32 s3, s16
	s_cbranch_scc1 .LBB841_332
; %bb.327:
	s_sub_i32 s17, s3, s16
	s_min_u32 s17, s17, 8
	v_lshrrev_b64 v[22:23], s16, v[16:17]
	v_bfe_u32 v22, v22, 0, s17
	v_lshl_or_b32 v23, v22, 4, v21
	v_mov_b32_e32 v22, 1
	ds_add_u32 v23, v22 offset:12288
	s_add_i32 s16, s2, 32
	s_cmp_le_u32 s3, s16
	s_cbranch_scc1 .LBB841_332
; %bb.328:
	s_sub_i32 s17, s3, s16
	s_min_u32 s17, s17, 8
	v_lshrrev_b64 v[24:25], s16, v[16:17]
	v_bfe_u32 v23, v24, 0, s17
	v_lshl_or_b32 v23, v23, 4, v21
	ds_add_u32 v23, v22 offset:16384
	s_add_i32 s16, s2, 40
	s_cmp_le_u32 s3, s16
	s_cbranch_scc1 .LBB841_332
; %bb.329:
	s_sub_i32 s17, s3, s16
	s_min_u32 s17, s17, 8
	v_lshrrev_b64 v[22:23], s16, v[16:17]
	v_bfe_u32 v22, v22, 0, s17
	v_lshl_or_b32 v23, v22, 4, v21
	v_mov_b32_e32 v22, 1
	ds_add_u32 v23, v22 offset:20480
	s_add_i32 s16, s2, 48
	s_cmp_le_u32 s3, s16
	s_cbranch_scc1 .LBB841_332
; %bb.330:
	s_sub_i32 s17, s3, s16
	s_min_u32 s17, s17, 8
	v_lshrrev_b64 v[24:25], s16, v[16:17]
	v_bfe_u32 v23, v24, 0, s17
	v_lshl_or_b32 v23, v23, 4, v21
	ds_add_u32 v23, v22 offset:24576
	s_add_i32 s16, s2, 56
	s_cmp_le_u32 s3, s16
	s_cbranch_scc1 .LBB841_332
; %bb.331:
	s_sub_i32 s17, s3, s16
	s_min_u32 s17, s17, 8
	v_lshrrev_b64 v[22:23], s16, v[16:17]
	v_bfe_u32 v22, v22, 0, s17
	v_lshl_or_b32 v22, v22, 4, v21
	v_mov_b32_e32 v23, 1
	ds_add_u32 v22, v23 offset:28672
.LBB841_332:
	v_and_b32_e32 v18, s12, v18
	v_lshl_or_b32 v18, v18, 4, v21
	v_lshrrev_b64 v[22:23], s13, v[14:15]
	ds_add_u32 v18, v19
	v_and_b32_e32 v18, s15, v22
	v_lshl_or_b32 v18, v18, 4, v21
	ds_add_u32 v18, v19 offset:4096
	s_andn2_b64 vcc, exec, s[8:9]
	s_cbranch_vccnz .LBB841_339
; %bb.333:
	s_sub_i32 s8, s3, s14
	s_min_u32 s8, s8, 8
	v_lshrrev_b64 v[18:19], s14, v[14:15]
	v_bfe_u32 v18, v18, 0, s8
	v_lshl_or_b32 v19, v18, 4, v21
	v_mov_b32_e32 v18, 1
	ds_add_u32 v19, v18 offset:8192
	s_add_i32 s8, s2, 24
	s_cmp_gt_u32 s3, s8
	s_cbranch_scc0 .LBB841_339
; %bb.334:
	s_sub_i32 s9, s3, s8
	s_min_u32 s9, s9, 8
	v_lshrrev_b64 v[22:23], s8, v[14:15]
	v_bfe_u32 v19, v22, 0, s9
	v_lshl_or_b32 v19, v19, 4, v21
	ds_add_u32 v19, v18 offset:12288
	s_add_i32 s8, s2, 32
	s_cmp_gt_u32 s3, s8
	s_cbranch_scc0 .LBB841_339
; %bb.335:
	s_sub_i32 s9, s3, s8
	s_min_u32 s9, s9, 8
	v_lshrrev_b64 v[18:19], s8, v[14:15]
	v_bfe_u32 v18, v18, 0, s9
	v_lshl_or_b32 v19, v18, 4, v21
	v_mov_b32_e32 v18, 1
	ds_add_u32 v19, v18 offset:16384
	s_add_i32 s8, s2, 40
	s_cmp_gt_u32 s3, s8
	s_cbranch_scc0 .LBB841_339
; %bb.336:
	s_sub_i32 s9, s3, s8
	s_min_u32 s9, s9, 8
	v_lshrrev_b64 v[22:23], s8, v[14:15]
	v_bfe_u32 v19, v22, 0, s9
	v_lshl_or_b32 v19, v19, 4, v21
	ds_add_u32 v19, v18 offset:20480
	s_add_i32 s8, s2, 48
	s_cmp_gt_u32 s3, s8
	s_cbranch_scc0 .LBB841_339
; %bb.337:
	s_sub_i32 s9, s3, s8
	s_min_u32 s9, s9, 8
	v_lshrrev_b64 v[18:19], s8, v[14:15]
	v_bfe_u32 v18, v18, 0, s9
	v_lshl_or_b32 v18, v18, 4, v21
	v_mov_b32_e32 v19, 1
	ds_add_u32 v18, v19 offset:24576
	s_add_i32 s8, s2, 56
	s_cmp_gt_u32 s3, s8
	s_cbranch_scc0 .LBB841_339
; %bb.338:
	s_sub_i32 s6, s3, s8
	s_min_u32 s6, s6, 8
	v_lshrrev_b64 v[18:19], s8, v[14:15]
	v_bfe_u32 v18, v18, 0, s6
	v_lshl_or_b32 v18, v18, 2, v20
	v_add_u32_e32 v19, 0x1c00, v18
	s_mov_b64 s[6:7], -1
	s_branch .LBB841_340
.LBB841_339:
                                        ; implicit-def: $vgpr19
.LBB841_340:
	s_and_b64 vcc, exec, s[6:7]
	s_cbranch_vccz .LBB841_342
; %bb.341:
	v_lshlrev_b32_e32 v18, 2, v19
	v_mov_b32_e32 v19, 1
	ds_add_u32 v18, v19
.LBB841_342:
	s_waitcnt vmcnt(5)
	v_lshrrev_b64 v[18:19], s2, v[12:13]
	v_and_b32_e32 v18, s12, v18
	v_lshl_or_b32 v18, v18, 4, v21
	v_mov_b32_e32 v19, 1
	ds_add_u32 v18, v19
	s_and_b64 vcc, exec, s[4:5]
	s_waitcnt vmcnt(4)
	v_lshrrev_b64 v[18:19], s2, v[10:11]
	s_cbranch_vccz .LBB841_344
; %bb.343:
	v_and_b32_e32 v19, s12, v18
	v_lshl_or_b32 v19, v19, 2, v20
	s_mov_b64 s[6:7], -1
	s_cbranch_execz .LBB841_345
	s_branch .LBB841_360
.LBB841_344:
	s_mov_b64 s[6:7], 0
                                        ; implicit-def: $vgpr19
.LBB841_345:
	s_sub_i32 s8, s3, s13
	s_min_u32 s8, s8, 8
	s_lshl_b32 s8, -1, s8
	s_not_b32 s15, s8
	v_lshrrev_b64 v[22:23], s13, v[12:13]
	v_and_b32_e32 v19, s15, v22
	v_lshl_or_b32 v22, v19, 4, v21
	v_mov_b32_e32 v19, 1
	ds_add_u32 v22, v19 offset:4096
	s_add_i32 s14, s2, 16
	s_cmp_gt_u32 s3, s14
	s_cselect_b64 s[8:9], -1, 0
	s_cmp_le_u32 s3, s14
	s_cbranch_scc1 .LBB841_352
; %bb.346:
	s_sub_i32 s16, s3, s14
	s_min_u32 s16, s16, 8
	v_lshrrev_b64 v[22:23], s14, v[12:13]
	v_bfe_u32 v22, v22, 0, s16
	v_lshl_or_b32 v22, v22, 4, v21
	ds_add_u32 v22, v19 offset:8192
	s_add_i32 s16, s2, 24
	s_cmp_le_u32 s3, s16
	s_cbranch_scc1 .LBB841_352
; %bb.347:
	s_sub_i32 s17, s3, s16
	s_min_u32 s17, s17, 8
	v_lshrrev_b64 v[22:23], s16, v[12:13]
	v_bfe_u32 v22, v22, 0, s17
	v_lshl_or_b32 v23, v22, 4, v21
	v_mov_b32_e32 v22, 1
	ds_add_u32 v23, v22 offset:12288
	s_add_i32 s16, s2, 32
	s_cmp_le_u32 s3, s16
	s_cbranch_scc1 .LBB841_352
; %bb.348:
	s_sub_i32 s17, s3, s16
	s_min_u32 s17, s17, 8
	v_lshrrev_b64 v[24:25], s16, v[12:13]
	v_bfe_u32 v23, v24, 0, s17
	v_lshl_or_b32 v23, v23, 4, v21
	ds_add_u32 v23, v22 offset:16384
	s_add_i32 s16, s2, 40
	s_cmp_le_u32 s3, s16
	s_cbranch_scc1 .LBB841_352
; %bb.349:
	s_sub_i32 s17, s3, s16
	s_min_u32 s17, s17, 8
	v_lshrrev_b64 v[22:23], s16, v[12:13]
	v_bfe_u32 v22, v22, 0, s17
	v_lshl_or_b32 v23, v22, 4, v21
	v_mov_b32_e32 v22, 1
	ds_add_u32 v23, v22 offset:20480
	s_add_i32 s16, s2, 48
	s_cmp_le_u32 s3, s16
	s_cbranch_scc1 .LBB841_352
; %bb.350:
	s_sub_i32 s17, s3, s16
	s_min_u32 s17, s17, 8
	v_lshrrev_b64 v[24:25], s16, v[12:13]
	v_bfe_u32 v23, v24, 0, s17
	v_lshl_or_b32 v23, v23, 4, v21
	ds_add_u32 v23, v22 offset:24576
	s_add_i32 s16, s2, 56
	s_cmp_le_u32 s3, s16
	s_cbranch_scc1 .LBB841_352
; %bb.351:
	s_sub_i32 s17, s3, s16
	s_min_u32 s17, s17, 8
	v_lshrrev_b64 v[22:23], s16, v[12:13]
	v_bfe_u32 v22, v22, 0, s17
	v_lshl_or_b32 v22, v22, 4, v21
	v_mov_b32_e32 v23, 1
	ds_add_u32 v22, v23 offset:28672
.LBB841_352:
	v_and_b32_e32 v18, s12, v18
	v_lshl_or_b32 v18, v18, 4, v21
	v_lshrrev_b64 v[22:23], s13, v[10:11]
	ds_add_u32 v18, v19
	v_and_b32_e32 v18, s15, v22
	v_lshl_or_b32 v18, v18, 4, v21
	ds_add_u32 v18, v19 offset:4096
	s_andn2_b64 vcc, exec, s[8:9]
	s_cbranch_vccnz .LBB841_359
; %bb.353:
	s_sub_i32 s8, s3, s14
	s_min_u32 s8, s8, 8
	v_lshrrev_b64 v[18:19], s14, v[10:11]
	v_bfe_u32 v18, v18, 0, s8
	v_lshl_or_b32 v19, v18, 4, v21
	v_mov_b32_e32 v18, 1
	ds_add_u32 v19, v18 offset:8192
	s_add_i32 s8, s2, 24
	s_cmp_gt_u32 s3, s8
	s_cbranch_scc0 .LBB841_359
; %bb.354:
	s_sub_i32 s9, s3, s8
	s_min_u32 s9, s9, 8
	v_lshrrev_b64 v[22:23], s8, v[10:11]
	v_bfe_u32 v19, v22, 0, s9
	v_lshl_or_b32 v19, v19, 4, v21
	ds_add_u32 v19, v18 offset:12288
	s_add_i32 s8, s2, 32
	s_cmp_gt_u32 s3, s8
	s_cbranch_scc0 .LBB841_359
; %bb.355:
	s_sub_i32 s9, s3, s8
	s_min_u32 s9, s9, 8
	v_lshrrev_b64 v[18:19], s8, v[10:11]
	v_bfe_u32 v18, v18, 0, s9
	v_lshl_or_b32 v19, v18, 4, v21
	v_mov_b32_e32 v18, 1
	ds_add_u32 v19, v18 offset:16384
	s_add_i32 s8, s2, 40
	s_cmp_gt_u32 s3, s8
	s_cbranch_scc0 .LBB841_359
; %bb.356:
	s_sub_i32 s9, s3, s8
	s_min_u32 s9, s9, 8
	v_lshrrev_b64 v[22:23], s8, v[10:11]
	v_bfe_u32 v19, v22, 0, s9
	v_lshl_or_b32 v19, v19, 4, v21
	ds_add_u32 v19, v18 offset:20480
	s_add_i32 s8, s2, 48
	s_cmp_gt_u32 s3, s8
	s_cbranch_scc0 .LBB841_359
; %bb.357:
	s_sub_i32 s9, s3, s8
	s_min_u32 s9, s9, 8
	v_lshrrev_b64 v[18:19], s8, v[10:11]
	v_bfe_u32 v18, v18, 0, s9
	v_lshl_or_b32 v18, v18, 4, v21
	v_mov_b32_e32 v19, 1
	ds_add_u32 v18, v19 offset:24576
	s_add_i32 s8, s2, 56
	s_cmp_gt_u32 s3, s8
	s_cbranch_scc0 .LBB841_359
; %bb.358:
	s_sub_i32 s6, s3, s8
	s_min_u32 s6, s6, 8
	v_lshrrev_b64 v[18:19], s8, v[10:11]
	v_bfe_u32 v18, v18, 0, s6
	v_lshl_or_b32 v18, v18, 2, v20
	v_add_u32_e32 v19, 0x1c00, v18
	s_mov_b64 s[6:7], -1
	s_branch .LBB841_360
.LBB841_359:
                                        ; implicit-def: $vgpr19
.LBB841_360:
	s_and_b64 vcc, exec, s[6:7]
	s_cbranch_vccz .LBB841_362
; %bb.361:
	v_lshlrev_b32_e32 v18, 2, v19
	v_mov_b32_e32 v19, 1
	ds_add_u32 v18, v19
.LBB841_362:
	s_waitcnt vmcnt(3)
	v_lshrrev_b64 v[18:19], s2, v[8:9]
	v_and_b32_e32 v18, s12, v18
	v_lshl_or_b32 v18, v18, 4, v21
	v_mov_b32_e32 v19, 1
	ds_add_u32 v18, v19
	s_and_b64 vcc, exec, s[4:5]
	s_waitcnt vmcnt(2)
	v_lshrrev_b64 v[18:19], s2, v[6:7]
	s_cbranch_vccz .LBB841_364
; %bb.363:
	v_and_b32_e32 v19, s12, v18
	v_lshl_or_b32 v19, v19, 2, v20
	s_mov_b64 s[6:7], -1
	s_cbranch_execz .LBB841_365
	s_branch .LBB841_380
.LBB841_364:
	s_mov_b64 s[6:7], 0
                                        ; implicit-def: $vgpr19
.LBB841_365:
	s_sub_i32 s8, s3, s13
	s_min_u32 s8, s8, 8
	s_lshl_b32 s8, -1, s8
	s_not_b32 s15, s8
	v_lshrrev_b64 v[22:23], s13, v[8:9]
	v_and_b32_e32 v19, s15, v22
	v_lshl_or_b32 v22, v19, 4, v21
	v_mov_b32_e32 v19, 1
	ds_add_u32 v22, v19 offset:4096
	s_add_i32 s14, s2, 16
	s_cmp_gt_u32 s3, s14
	s_cselect_b64 s[8:9], -1, 0
	s_cmp_le_u32 s3, s14
	s_cbranch_scc1 .LBB841_372
; %bb.366:
	s_sub_i32 s16, s3, s14
	s_min_u32 s16, s16, 8
	v_lshrrev_b64 v[22:23], s14, v[8:9]
	v_bfe_u32 v22, v22, 0, s16
	v_lshl_or_b32 v22, v22, 4, v21
	ds_add_u32 v22, v19 offset:8192
	s_add_i32 s16, s2, 24
	s_cmp_le_u32 s3, s16
	s_cbranch_scc1 .LBB841_372
; %bb.367:
	s_sub_i32 s17, s3, s16
	s_min_u32 s17, s17, 8
	v_lshrrev_b64 v[22:23], s16, v[8:9]
	v_bfe_u32 v22, v22, 0, s17
	v_lshl_or_b32 v23, v22, 4, v21
	v_mov_b32_e32 v22, 1
	ds_add_u32 v23, v22 offset:12288
	s_add_i32 s16, s2, 32
	s_cmp_le_u32 s3, s16
	s_cbranch_scc1 .LBB841_372
; %bb.368:
	s_sub_i32 s17, s3, s16
	s_min_u32 s17, s17, 8
	v_lshrrev_b64 v[24:25], s16, v[8:9]
	v_bfe_u32 v23, v24, 0, s17
	v_lshl_or_b32 v23, v23, 4, v21
	ds_add_u32 v23, v22 offset:16384
	s_add_i32 s16, s2, 40
	s_cmp_le_u32 s3, s16
	s_cbranch_scc1 .LBB841_372
; %bb.369:
	s_sub_i32 s17, s3, s16
	s_min_u32 s17, s17, 8
	v_lshrrev_b64 v[22:23], s16, v[8:9]
	v_bfe_u32 v22, v22, 0, s17
	v_lshl_or_b32 v23, v22, 4, v21
	v_mov_b32_e32 v22, 1
	ds_add_u32 v23, v22 offset:20480
	s_add_i32 s16, s2, 48
	s_cmp_le_u32 s3, s16
	s_cbranch_scc1 .LBB841_372
; %bb.370:
	s_sub_i32 s17, s3, s16
	s_min_u32 s17, s17, 8
	v_lshrrev_b64 v[24:25], s16, v[8:9]
	v_bfe_u32 v23, v24, 0, s17
	v_lshl_or_b32 v23, v23, 4, v21
	ds_add_u32 v23, v22 offset:24576
	s_add_i32 s16, s2, 56
	s_cmp_le_u32 s3, s16
	s_cbranch_scc1 .LBB841_372
; %bb.371:
	s_sub_i32 s17, s3, s16
	s_min_u32 s17, s17, 8
	v_lshrrev_b64 v[22:23], s16, v[8:9]
	v_bfe_u32 v22, v22, 0, s17
	v_lshl_or_b32 v22, v22, 4, v21
	v_mov_b32_e32 v23, 1
	ds_add_u32 v22, v23 offset:28672
.LBB841_372:
	v_and_b32_e32 v18, s12, v18
	v_lshl_or_b32 v18, v18, 4, v21
	v_lshrrev_b64 v[22:23], s13, v[6:7]
	ds_add_u32 v18, v19
	v_and_b32_e32 v18, s15, v22
	v_lshl_or_b32 v18, v18, 4, v21
	ds_add_u32 v18, v19 offset:4096
	s_andn2_b64 vcc, exec, s[8:9]
	s_cbranch_vccnz .LBB841_379
; %bb.373:
	s_sub_i32 s8, s3, s14
	s_min_u32 s8, s8, 8
	v_lshrrev_b64 v[18:19], s14, v[6:7]
	v_bfe_u32 v18, v18, 0, s8
	v_lshl_or_b32 v19, v18, 4, v21
	v_mov_b32_e32 v18, 1
	ds_add_u32 v19, v18 offset:8192
	s_add_i32 s8, s2, 24
	s_cmp_gt_u32 s3, s8
	s_cbranch_scc0 .LBB841_379
; %bb.374:
	s_sub_i32 s9, s3, s8
	s_min_u32 s9, s9, 8
	v_lshrrev_b64 v[22:23], s8, v[6:7]
	v_bfe_u32 v19, v22, 0, s9
	v_lshl_or_b32 v19, v19, 4, v21
	ds_add_u32 v19, v18 offset:12288
	s_add_i32 s8, s2, 32
	s_cmp_gt_u32 s3, s8
	s_cbranch_scc0 .LBB841_379
; %bb.375:
	s_sub_i32 s9, s3, s8
	s_min_u32 s9, s9, 8
	v_lshrrev_b64 v[18:19], s8, v[6:7]
	v_bfe_u32 v18, v18, 0, s9
	v_lshl_or_b32 v19, v18, 4, v21
	v_mov_b32_e32 v18, 1
	ds_add_u32 v19, v18 offset:16384
	s_add_i32 s8, s2, 40
	s_cmp_gt_u32 s3, s8
	s_cbranch_scc0 .LBB841_379
; %bb.376:
	s_sub_i32 s9, s3, s8
	s_min_u32 s9, s9, 8
	v_lshrrev_b64 v[22:23], s8, v[6:7]
	v_bfe_u32 v19, v22, 0, s9
	v_lshl_or_b32 v19, v19, 4, v21
	ds_add_u32 v19, v18 offset:20480
	s_add_i32 s8, s2, 48
	s_cmp_gt_u32 s3, s8
	s_cbranch_scc0 .LBB841_379
; %bb.377:
	s_sub_i32 s9, s3, s8
	s_min_u32 s9, s9, 8
	v_lshrrev_b64 v[18:19], s8, v[6:7]
	v_bfe_u32 v18, v18, 0, s9
	v_lshl_or_b32 v18, v18, 4, v21
	v_mov_b32_e32 v19, 1
	ds_add_u32 v18, v19 offset:24576
	s_add_i32 s8, s2, 56
	s_cmp_gt_u32 s3, s8
	s_cbranch_scc0 .LBB841_379
; %bb.378:
	s_sub_i32 s6, s3, s8
	s_min_u32 s6, s6, 8
	v_lshrrev_b64 v[18:19], s8, v[6:7]
	v_bfe_u32 v18, v18, 0, s6
	v_lshl_or_b32 v18, v18, 2, v20
	v_add_u32_e32 v19, 0x1c00, v18
	s_mov_b64 s[6:7], -1
	s_branch .LBB841_380
.LBB841_379:
                                        ; implicit-def: $vgpr19
.LBB841_380:
	s_and_b64 vcc, exec, s[6:7]
	s_cbranch_vccz .LBB841_382
; %bb.381:
	v_lshlrev_b32_e32 v18, 2, v19
	v_mov_b32_e32 v19, 1
	ds_add_u32 v18, v19
.LBB841_382:
	s_waitcnt vmcnt(1)
	v_lshrrev_b64 v[18:19], s2, v[4:5]
	v_and_b32_e32 v18, s12, v18
	v_lshl_or_b32 v18, v18, 4, v21
	v_mov_b32_e32 v19, 1
	ds_add_u32 v18, v19
	s_and_b64 vcc, exec, s[4:5]
	s_waitcnt vmcnt(0)
	v_lshrrev_b64 v[18:19], s2, v[2:3]
	s_cbranch_vccz .LBB841_384
; %bb.383:
	v_and_b32_e32 v19, s12, v18
	v_lshl_or_b32 v19, v19, 2, v20
	s_mov_b64 s[4:5], -1
	s_cbranch_execz .LBB841_385
	s_branch .LBB841_400
.LBB841_384:
	s_mov_b64 s[4:5], 0
                                        ; implicit-def: $vgpr19
.LBB841_385:
	s_sub_i32 s6, s3, s13
	s_min_u32 s6, s6, 8
	s_lshl_b32 s6, -1, s6
	s_not_b32 s9, s6
	v_lshrrev_b64 v[22:23], s13, v[4:5]
	v_and_b32_e32 v19, s9, v22
	v_lshl_or_b32 v22, v19, 4, v21
	v_mov_b32_e32 v19, 1
	ds_add_u32 v22, v19 offset:4096
	s_add_i32 s8, s2, 16
	s_cmp_gt_u32 s3, s8
	s_cselect_b64 s[6:7], -1, 0
	s_cmp_le_u32 s3, s8
	s_cbranch_scc1 .LBB841_392
; %bb.386:
	s_sub_i32 s14, s3, s8
	s_min_u32 s14, s14, 8
	v_lshrrev_b64 v[22:23], s8, v[4:5]
	v_bfe_u32 v22, v22, 0, s14
	v_lshl_or_b32 v22, v22, 4, v21
	ds_add_u32 v22, v19 offset:8192
	s_add_i32 s14, s2, 24
	s_cmp_le_u32 s3, s14
	s_cbranch_scc1 .LBB841_392
; %bb.387:
	s_sub_i32 s15, s3, s14
	s_min_u32 s15, s15, 8
	v_lshrrev_b64 v[22:23], s14, v[4:5]
	v_bfe_u32 v22, v22, 0, s15
	v_lshl_or_b32 v23, v22, 4, v21
	v_mov_b32_e32 v22, 1
	ds_add_u32 v23, v22 offset:12288
	s_add_i32 s14, s2, 32
	s_cmp_le_u32 s3, s14
	s_cbranch_scc1 .LBB841_392
; %bb.388:
	s_sub_i32 s15, s3, s14
	s_min_u32 s15, s15, 8
	v_lshrrev_b64 v[24:25], s14, v[4:5]
	v_bfe_u32 v23, v24, 0, s15
	v_lshl_or_b32 v23, v23, 4, v21
	ds_add_u32 v23, v22 offset:16384
	s_add_i32 s14, s2, 40
	s_cmp_le_u32 s3, s14
	s_cbranch_scc1 .LBB841_392
; %bb.389:
	s_sub_i32 s15, s3, s14
	s_min_u32 s15, s15, 8
	v_lshrrev_b64 v[22:23], s14, v[4:5]
	v_bfe_u32 v22, v22, 0, s15
	v_lshl_or_b32 v23, v22, 4, v21
	v_mov_b32_e32 v22, 1
	ds_add_u32 v23, v22 offset:20480
	s_add_i32 s14, s2, 48
	s_cmp_le_u32 s3, s14
	s_cbranch_scc1 .LBB841_392
; %bb.390:
	s_sub_i32 s15, s3, s14
	s_min_u32 s15, s15, 8
	v_lshrrev_b64 v[24:25], s14, v[4:5]
	v_bfe_u32 v23, v24, 0, s15
	v_lshl_or_b32 v23, v23, 4, v21
	ds_add_u32 v23, v22 offset:24576
	s_add_i32 s14, s2, 56
	s_cmp_le_u32 s3, s14
	s_cbranch_scc1 .LBB841_392
; %bb.391:
	s_sub_i32 s15, s3, s14
	s_min_u32 s15, s15, 8
	v_lshrrev_b64 v[22:23], s14, v[4:5]
	v_bfe_u32 v22, v22, 0, s15
	v_lshl_or_b32 v22, v22, 4, v21
	v_mov_b32_e32 v23, 1
	ds_add_u32 v22, v23 offset:28672
.LBB841_392:
	v_and_b32_e32 v18, s12, v18
	v_lshl_or_b32 v18, v18, 4, v21
	v_lshrrev_b64 v[22:23], s13, v[2:3]
	ds_add_u32 v18, v19
	v_and_b32_e32 v18, s9, v22
	v_lshl_or_b32 v18, v18, 4, v21
	ds_add_u32 v18, v19 offset:4096
	s_andn2_b64 vcc, exec, s[6:7]
	s_cbranch_vccnz .LBB841_399
; %bb.393:
	s_sub_i32 s6, s3, s8
	s_min_u32 s6, s6, 8
	v_lshrrev_b64 v[18:19], s8, v[2:3]
	v_bfe_u32 v18, v18, 0, s6
	v_lshl_or_b32 v19, v18, 4, v21
	v_mov_b32_e32 v18, 1
	ds_add_u32 v19, v18 offset:8192
	s_add_i32 s6, s2, 24
	s_cmp_gt_u32 s3, s6
	s_cbranch_scc0 .LBB841_399
; %bb.394:
	s_sub_i32 s7, s3, s6
	s_min_u32 s7, s7, 8
	v_lshrrev_b64 v[22:23], s6, v[2:3]
	v_bfe_u32 v19, v22, 0, s7
	v_lshl_or_b32 v19, v19, 4, v21
	ds_add_u32 v19, v18 offset:12288
	s_add_i32 s6, s2, 32
	s_cmp_gt_u32 s3, s6
	s_cbranch_scc0 .LBB841_399
; %bb.395:
	s_sub_i32 s7, s3, s6
	s_min_u32 s7, s7, 8
	v_lshrrev_b64 v[18:19], s6, v[2:3]
	v_bfe_u32 v18, v18, 0, s7
	v_lshl_or_b32 v19, v18, 4, v21
	v_mov_b32_e32 v18, 1
	ds_add_u32 v19, v18 offset:16384
	s_add_i32 s6, s2, 40
	s_cmp_gt_u32 s3, s6
	s_cbranch_scc0 .LBB841_399
; %bb.396:
	s_sub_i32 s7, s3, s6
	s_min_u32 s7, s7, 8
	v_lshrrev_b64 v[22:23], s6, v[2:3]
	v_bfe_u32 v19, v22, 0, s7
	v_lshl_or_b32 v19, v19, 4, v21
	ds_add_u32 v19, v18 offset:20480
	s_add_i32 s6, s2, 48
	s_cmp_gt_u32 s3, s6
	s_cbranch_scc0 .LBB841_399
; %bb.397:
	s_sub_i32 s7, s3, s6
	s_min_u32 s7, s7, 8
	v_lshrrev_b64 v[18:19], s6, v[2:3]
	v_bfe_u32 v18, v18, 0, s7
	v_lshl_or_b32 v18, v18, 4, v21
	v_mov_b32_e32 v19, 1
	ds_add_u32 v18, v19 offset:24576
	s_add_i32 s6, s2, 56
	s_cmp_gt_u32 s3, s6
	s_cbranch_scc0 .LBB841_399
; %bb.398:
	s_sub_i32 s4, s3, s6
	s_min_u32 s4, s4, 8
	v_lshrrev_b64 v[18:19], s6, v[2:3]
	v_bfe_u32 v18, v18, 0, s4
	v_lshl_or_b32 v18, v18, 2, v20
	v_add_u32_e32 v19, 0x1c00, v18
	s_mov_b64 s[4:5], -1
	s_branch .LBB841_400
.LBB841_399:
                                        ; implicit-def: $vgpr19
.LBB841_400:
	s_and_b64 vcc, exec, s[4:5]
	s_cbranch_vccz .LBB841_402
; %bb.401:
	v_lshlrev_b32_e32 v18, 2, v19
	v_mov_b32_e32 v19, 1
	ds_add_u32 v18, v19
.LBB841_402:
	s_and_b64 vcc, exec, s[0:1]
	s_waitcnt lgkmcnt(0)
	s_barrier
	s_cbranch_vccz .LBB841_407
; %bb.403:
	s_movk_i32 s0, 0x100
	v_cmp_gt_u32_e32 vcc, s0, v0
	v_lshlrev_b32_e32 v20, 4, v0
	v_mov_b32_e32 v19, 0
	v_mov_b32_e32 v18, v0
	s_branch .LBB841_405
.LBB841_404:                            ;   in Loop: Header=BB841_405 Depth=1
	s_or_b64 exec, exec, s[4:5]
	s_add_i32 s2, s2, 8
	v_add_u32_e32 v18, 0x100, v18
	s_cmp_ge_u32 s2, s3
	v_add_u32_e32 v20, 0x1000, v20
	s_cbranch_scc1 .LBB841_407
.LBB841_405:                            ; =>This Inner Loop Header: Depth=1
	s_and_saveexec_b64 s[4:5], vcc
	s_cbranch_execz .LBB841_404
; %bb.406:                              ;   in Loop: Header=BB841_405 Depth=1
	ds_read2_b32 v[22:23], v20 offset1:1
	ds_read2_b32 v[24:25], v20 offset0:2 offset1:3
	v_lshlrev_b64 v[26:27], 2, v[18:19]
	v_mov_b32_e32 v21, s11
	s_waitcnt lgkmcnt(1)
	v_add_u32_e32 v22, v23, v22
	s_waitcnt lgkmcnt(0)
	v_add3_u32 v24, v22, v24, v25
	v_add_co_u32_e64 v22, s[0:1], s10, v26
	v_addc_co_u32_e64 v23, s[0:1], v21, v27, s[0:1]
	global_atomic_add v[22:23], v24, off
	s_branch .LBB841_404
.LBB841_407:
	s_mov_b64 s[0:1], 0
.LBB841_408:
	s_and_b64 vcc, exec, s[0:1]
	s_cbranch_vccz .LBB841_411
; %bb.409:
	v_mov_b32_e32 v18, 0
	ds_write2st64_b32 v1, v18, v18 offset1:16
	ds_write2st64_b32 v1, v18, v18 offset0:32 offset1:48
	ds_write2st64_b32 v1, v18, v18 offset0:64 offset1:80
	;; [unrolled: 1-line block ×3, first 2 shown]
	v_and_b32_e32 v18, 3, v0
	s_waitcnt vmcnt(7)
	v_lshlrev_b32_e32 v19, 2, v16
	s_movk_i32 s0, 0x3fc
	v_and_or_b32 v19, v19, s0, v18
	v_lshlrev_b32_e32 v19, 2, v19
	v_mov_b32_e32 v20, 1
	s_waitcnt lgkmcnt(0)
	s_barrier
	ds_add_u32 v19, v20
	v_bfe_u32 v19, v16, 8, 8
	v_lshl_or_b32 v19, v19, 2, v18
	v_lshlrev_b32_e32 v19, 2, v19
	ds_add_u32 v19, v20 offset:4096
	v_bfe_u32 v19, v16, 16, 8
	v_lshl_or_b32 v19, v19, 2, v18
	v_lshlrev_b32_e32 v19, 2, v19
	ds_add_u32 v19, v20 offset:8192
	v_lshrrev_b32_e32 v19, 24, v16
	v_lshl_or_b32 v19, v19, 2, v18
	v_alignbit_b32 v16, v17, v16, 30
	v_lshlrev_b32_e32 v19, 2, v19
	v_and_or_b32 v16, v16, s0, v18
	ds_add_u32 v19, v20 offset:12288
	v_lshlrev_b32_e32 v16, 2, v16
	ds_add_u32 v16, v20 offset:16384
	v_bfe_u32 v16, v17, 8, 8
	v_lshl_or_b32 v16, v16, 2, v18
	v_lshlrev_b32_e32 v16, 2, v16
	ds_add_u32 v16, v20 offset:20480
	v_bfe_u32 v16, v17, 16, 8
	v_lshl_or_b32 v16, v16, 2, v18
	v_lshlrev_b32_e32 v16, 2, v16
	ds_add_u32 v16, v20 offset:24576
	v_lshrrev_b32_e32 v16, 24, v17
	v_lshl_or_b32 v16, v16, 2, v18
	v_lshlrev_b32_e32 v16, 2, v16
	ds_add_u32 v16, v20 offset:28672
	s_waitcnt vmcnt(6)
	v_lshlrev_b32_e32 v16, 2, v14
	v_and_or_b32 v16, v16, s0, v18
	v_lshlrev_b32_e32 v16, 2, v16
	ds_add_u32 v16, v20
	v_bfe_u32 v16, v14, 8, 8
	v_lshl_or_b32 v16, v16, 2, v18
	v_lshlrev_b32_e32 v16, 2, v16
	ds_add_u32 v16, v20 offset:4096
	v_bfe_u32 v16, v14, 16, 8
	v_lshl_or_b32 v16, v16, 2, v18
	v_lshlrev_b32_e32 v16, 2, v16
	ds_add_u32 v16, v20 offset:8192
	v_lshrrev_b32_e32 v16, 24, v14
	v_lshl_or_b32 v16, v16, 2, v18
	v_alignbit_b32 v14, v15, v14, 30
	v_lshlrev_b32_e32 v16, 2, v16
	v_and_or_b32 v14, v14, s0, v18
	ds_add_u32 v16, v20 offset:12288
	v_lshlrev_b32_e32 v14, 2, v14
	ds_add_u32 v14, v20 offset:16384
	v_bfe_u32 v14, v15, 8, 8
	v_lshl_or_b32 v14, v14, 2, v18
	v_lshlrev_b32_e32 v14, 2, v14
	ds_add_u32 v14, v20 offset:20480
	v_bfe_u32 v14, v15, 16, 8
	v_lshl_or_b32 v14, v14, 2, v18
	v_lshlrev_b32_e32 v14, 2, v14
	ds_add_u32 v14, v20 offset:24576
	v_lshrrev_b32_e32 v14, 24, v15
	v_lshl_or_b32 v14, v14, 2, v18
	v_lshlrev_b32_e32 v14, 2, v14
	ds_add_u32 v14, v20 offset:28672
	s_waitcnt vmcnt(5)
	v_lshlrev_b32_e32 v14, 2, v12
	v_and_or_b32 v14, v14, s0, v18
	v_lshlrev_b32_e32 v14, 2, v14
	;; [unrolled: 33-line block ×7, first 2 shown]
	ds_add_u32 v4, v20
	v_bfe_u32 v4, v2, 8, 8
	v_lshl_or_b32 v4, v4, 2, v18
	v_lshlrev_b32_e32 v4, 2, v4
	ds_add_u32 v4, v20 offset:4096
	v_bfe_u32 v4, v2, 16, 8
	v_lshl_or_b32 v4, v4, 2, v18
	v_lshlrev_b32_e32 v4, 2, v4
	ds_add_u32 v4, v20 offset:8192
	v_lshrrev_b32_e32 v4, 24, v2
	v_lshl_or_b32 v4, v4, 2, v18
	v_alignbit_b32 v2, v3, v2, 30
	v_lshlrev_b32_e32 v4, 2, v4
	v_and_or_b32 v2, v2, s0, v18
	ds_add_u32 v4, v20 offset:12288
	v_lshlrev_b32_e32 v2, 2, v2
	ds_add_u32 v2, v20 offset:16384
	v_bfe_u32 v2, v3, 8, 8
	v_lshl_or_b32 v2, v2, 2, v18
	v_lshlrev_b32_e32 v2, 2, v2
	ds_add_u32 v2, v20 offset:20480
	v_bfe_u32 v2, v3, 16, 8
	v_lshl_or_b32 v2, v2, 2, v18
	v_lshlrev_b32_e32 v2, 2, v2
	ds_add_u32 v2, v20 offset:24576
	v_lshrrev_b32_e32 v2, 24, v3
	v_lshl_or_b32 v2, v2, 2, v18
	v_lshlrev_b32_e32 v2, 2, v2
	ds_add_u32 v2, v20 offset:28672
	s_movk_i32 s0, 0x100
	v_cmp_gt_u32_e32 vcc, s0, v0
	s_waitcnt lgkmcnt(0)
	s_barrier
	s_and_saveexec_b64 s[0:1], vcc
	s_cbranch_execz .LBB841_411
; %bb.410:
	v_lshlrev_b32_e32 v0, 4, v0
	ds_read2_b32 v[2:3], v0 offset1:1
	ds_read2_b32 v[4:5], v0 offset0:2 offset1:3
	v_add_u32_e32 v6, 0x1000, v0
	v_add_u32_e32 v7, 0x1008, v0
	;; [unrolled: 1-line block ×3, first 2 shown]
	s_waitcnt lgkmcnt(1)
	v_add_u32_e32 v2, v3, v2
	s_waitcnt lgkmcnt(0)
	v_add3_u32 v2, v2, v4, v5
	global_atomic_add v1, v2, s[10:11]
	ds_read2_b32 v[2:3], v6 offset1:1
	ds_read2_b32 v[4:5], v7 offset1:1
	v_add_u32_e32 v6, 0x2000, v0
	v_add_u32_e32 v7, 0x2008, v0
	s_waitcnt lgkmcnt(1)
	v_add_u32_e32 v2, v3, v2
	s_waitcnt lgkmcnt(0)
	v_add3_u32 v2, v2, v4, v5
	global_atomic_add v1, v2, s[10:11] offset:1024
	ds_read2_b32 v[2:3], v6 offset1:1
	ds_read2_b32 v[4:5], v7 offset1:1
	v_add_u32_e32 v6, 0x3000, v0
	v_add_u32_e32 v7, 0x3008, v0
	s_waitcnt lgkmcnt(1)
	v_add_u32_e32 v2, v3, v2
	s_waitcnt lgkmcnt(0)
	v_add3_u32 v2, v2, v4, v5
	global_atomic_add v1, v2, s[10:11] offset:2048
	ds_read2_b32 v[2:3], v6 offset1:1
	ds_read2_b32 v[4:5], v7 offset1:1
	v_or_b32_e32 v6, 0x4000, v0
	v_or_b32_e32 v7, 0x4008, v0
	s_waitcnt lgkmcnt(1)
	v_add_u32_e32 v2, v3, v2
	s_waitcnt lgkmcnt(0)
	v_add3_u32 v2, v2, v4, v5
	global_atomic_add v1, v2, s[10:11] offset:3072
	ds_read2_b32 v[2:3], v6 offset1:1
	ds_read2_b32 v[4:5], v7 offset1:1
	v_or_b32_e32 v6, 0x1000, v1
	v_add_u32_e32 v7, 0x5000, v0
	s_waitcnt lgkmcnt(1)
	v_add_u32_e32 v2, v3, v2
	s_waitcnt lgkmcnt(0)
	v_add3_u32 v2, v2, v4, v5
	global_atomic_add v6, v2, s[10:11]
	ds_read2_b32 v[2:3], v7 offset1:1
	ds_read2_b32 v[4:5], v8 offset1:1
	v_or_b32_e32 v6, 0x1400, v1
	v_add_u32_e32 v7, 0x6000, v0
	v_add_u32_e32 v8, 0x6008, v0
	s_waitcnt lgkmcnt(1)
	v_add_u32_e32 v2, v3, v2
	s_waitcnt lgkmcnt(0)
	v_add3_u32 v2, v2, v4, v5
	global_atomic_add v6, v2, s[10:11]
	ds_read2_b32 v[2:3], v7 offset1:1
	ds_read2_b32 v[4:5], v8 offset1:1
	v_or_b32_e32 v6, 0x1800, v1
	v_add_u32_e32 v7, 0x7000, v0
	v_add_u32_e32 v0, 0x7008, v0
	s_waitcnt lgkmcnt(1)
	v_add_u32_e32 v2, v3, v2
	s_waitcnt lgkmcnt(0)
	v_add3_u32 v2, v2, v4, v5
	global_atomic_add v6, v2, s[10:11]
	ds_read2_b32 v[2:3], v7 offset1:1
	ds_read2_b32 v[4:5], v0 offset1:1
	v_or_b32_e32 v1, 0x1c00, v1
	s_waitcnt lgkmcnt(1)
	v_add_u32_e32 v0, v3, v2
	s_waitcnt lgkmcnt(0)
	v_add3_u32 v0, v0, v4, v5
	global_atomic_add v1, v0, s[10:11]
.LBB841_411:
	s_endpgm
	.section	.rodata,"a",@progbits
	.p2align	6, 0x0
	.amdhsa_kernel _ZN7rocprim17ROCPRIM_400000_NS6detail17trampoline_kernelINS0_14default_configENS1_35radix_sort_onesweep_config_selectorIyNS0_10empty_typeEEEZNS1_34radix_sort_onesweep_global_offsetsIS3_Lb0EN6thrust23THRUST_200600_302600_NS6detail15normal_iteratorINS9_10device_ptrIyEEEEPS5_jNS0_19identity_decomposerEEE10hipError_tT1_T2_PT3_SK_jT4_jjP12ihipStream_tbEUlT_E_NS1_11comp_targetILNS1_3genE4ELNS1_11target_archE910ELNS1_3gpuE8ELNS1_3repE0EEENS1_52radix_sort_onesweep_histogram_config_static_selectorELNS0_4arch9wavefront6targetE1EEEvSI_
		.amdhsa_group_segment_fixed_size 32768
		.amdhsa_private_segment_fixed_size 0
		.amdhsa_kernarg_size 40
		.amdhsa_user_sgpr_count 6
		.amdhsa_user_sgpr_private_segment_buffer 1
		.amdhsa_user_sgpr_dispatch_ptr 0
		.amdhsa_user_sgpr_queue_ptr 0
		.amdhsa_user_sgpr_kernarg_segment_ptr 1
		.amdhsa_user_sgpr_dispatch_id 0
		.amdhsa_user_sgpr_flat_scratch_init 0
		.amdhsa_user_sgpr_kernarg_preload_length 0
		.amdhsa_user_sgpr_kernarg_preload_offset 0
		.amdhsa_user_sgpr_private_segment_size 0
		.amdhsa_uses_dynamic_stack 0
		.amdhsa_system_sgpr_private_segment_wavefront_offset 0
		.amdhsa_system_sgpr_workgroup_id_x 1
		.amdhsa_system_sgpr_workgroup_id_y 0
		.amdhsa_system_sgpr_workgroup_id_z 0
		.amdhsa_system_sgpr_workgroup_info 0
		.amdhsa_system_vgpr_workitem_id 0
		.amdhsa_next_free_vgpr 28
		.amdhsa_next_free_sgpr 19
		.amdhsa_accum_offset 28
		.amdhsa_reserve_vcc 1
		.amdhsa_reserve_flat_scratch 0
		.amdhsa_float_round_mode_32 0
		.amdhsa_float_round_mode_16_64 0
		.amdhsa_float_denorm_mode_32 3
		.amdhsa_float_denorm_mode_16_64 3
		.amdhsa_dx10_clamp 1
		.amdhsa_ieee_mode 1
		.amdhsa_fp16_overflow 0
		.amdhsa_tg_split 0
		.amdhsa_exception_fp_ieee_invalid_op 0
		.amdhsa_exception_fp_denorm_src 0
		.amdhsa_exception_fp_ieee_div_zero 0
		.amdhsa_exception_fp_ieee_overflow 0
		.amdhsa_exception_fp_ieee_underflow 0
		.amdhsa_exception_fp_ieee_inexact 0
		.amdhsa_exception_int_div_zero 0
	.end_amdhsa_kernel
	.section	.text._ZN7rocprim17ROCPRIM_400000_NS6detail17trampoline_kernelINS0_14default_configENS1_35radix_sort_onesweep_config_selectorIyNS0_10empty_typeEEEZNS1_34radix_sort_onesweep_global_offsetsIS3_Lb0EN6thrust23THRUST_200600_302600_NS6detail15normal_iteratorINS9_10device_ptrIyEEEEPS5_jNS0_19identity_decomposerEEE10hipError_tT1_T2_PT3_SK_jT4_jjP12ihipStream_tbEUlT_E_NS1_11comp_targetILNS1_3genE4ELNS1_11target_archE910ELNS1_3gpuE8ELNS1_3repE0EEENS1_52radix_sort_onesweep_histogram_config_static_selectorELNS0_4arch9wavefront6targetE1EEEvSI_,"axG",@progbits,_ZN7rocprim17ROCPRIM_400000_NS6detail17trampoline_kernelINS0_14default_configENS1_35radix_sort_onesweep_config_selectorIyNS0_10empty_typeEEEZNS1_34radix_sort_onesweep_global_offsetsIS3_Lb0EN6thrust23THRUST_200600_302600_NS6detail15normal_iteratorINS9_10device_ptrIyEEEEPS5_jNS0_19identity_decomposerEEE10hipError_tT1_T2_PT3_SK_jT4_jjP12ihipStream_tbEUlT_E_NS1_11comp_targetILNS1_3genE4ELNS1_11target_archE910ELNS1_3gpuE8ELNS1_3repE0EEENS1_52radix_sort_onesweep_histogram_config_static_selectorELNS0_4arch9wavefront6targetE1EEEvSI_,comdat
.Lfunc_end841:
	.size	_ZN7rocprim17ROCPRIM_400000_NS6detail17trampoline_kernelINS0_14default_configENS1_35radix_sort_onesweep_config_selectorIyNS0_10empty_typeEEEZNS1_34radix_sort_onesweep_global_offsetsIS3_Lb0EN6thrust23THRUST_200600_302600_NS6detail15normal_iteratorINS9_10device_ptrIyEEEEPS5_jNS0_19identity_decomposerEEE10hipError_tT1_T2_PT3_SK_jT4_jjP12ihipStream_tbEUlT_E_NS1_11comp_targetILNS1_3genE4ELNS1_11target_archE910ELNS1_3gpuE8ELNS1_3repE0EEENS1_52radix_sort_onesweep_histogram_config_static_selectorELNS0_4arch9wavefront6targetE1EEEvSI_, .Lfunc_end841-_ZN7rocprim17ROCPRIM_400000_NS6detail17trampoline_kernelINS0_14default_configENS1_35radix_sort_onesweep_config_selectorIyNS0_10empty_typeEEEZNS1_34radix_sort_onesweep_global_offsetsIS3_Lb0EN6thrust23THRUST_200600_302600_NS6detail15normal_iteratorINS9_10device_ptrIyEEEEPS5_jNS0_19identity_decomposerEEE10hipError_tT1_T2_PT3_SK_jT4_jjP12ihipStream_tbEUlT_E_NS1_11comp_targetILNS1_3genE4ELNS1_11target_archE910ELNS1_3gpuE8ELNS1_3repE0EEENS1_52radix_sort_onesweep_histogram_config_static_selectorELNS0_4arch9wavefront6targetE1EEEvSI_
                                        ; -- End function
	.section	.AMDGPU.csdata,"",@progbits
; Kernel info:
; codeLenInByte = 15020
; NumSgprs: 23
; NumVgprs: 28
; NumAgprs: 0
; TotalNumVgprs: 28
; ScratchSize: 0
; MemoryBound: 0
; FloatMode: 240
; IeeeMode: 1
; LDSByteSize: 32768 bytes/workgroup (compile time only)
; SGPRBlocks: 2
; VGPRBlocks: 3
; NumSGPRsForWavesPerEU: 23
; NumVGPRsForWavesPerEU: 28
; AccumOffset: 28
; Occupancy: 8
; WaveLimiterHint : 1
; COMPUTE_PGM_RSRC2:SCRATCH_EN: 0
; COMPUTE_PGM_RSRC2:USER_SGPR: 6
; COMPUTE_PGM_RSRC2:TRAP_HANDLER: 0
; COMPUTE_PGM_RSRC2:TGID_X_EN: 1
; COMPUTE_PGM_RSRC2:TGID_Y_EN: 0
; COMPUTE_PGM_RSRC2:TGID_Z_EN: 0
; COMPUTE_PGM_RSRC2:TIDIG_COMP_CNT: 0
; COMPUTE_PGM_RSRC3_GFX90A:ACCUM_OFFSET: 6
; COMPUTE_PGM_RSRC3_GFX90A:TG_SPLIT: 0
	.section	.text._ZN7rocprim17ROCPRIM_400000_NS6detail17trampoline_kernelINS0_14default_configENS1_35radix_sort_onesweep_config_selectorIyNS0_10empty_typeEEEZNS1_34radix_sort_onesweep_global_offsetsIS3_Lb0EN6thrust23THRUST_200600_302600_NS6detail15normal_iteratorINS9_10device_ptrIyEEEEPS5_jNS0_19identity_decomposerEEE10hipError_tT1_T2_PT3_SK_jT4_jjP12ihipStream_tbEUlT_E_NS1_11comp_targetILNS1_3genE3ELNS1_11target_archE908ELNS1_3gpuE7ELNS1_3repE0EEENS1_52radix_sort_onesweep_histogram_config_static_selectorELNS0_4arch9wavefront6targetE1EEEvSI_,"axG",@progbits,_ZN7rocprim17ROCPRIM_400000_NS6detail17trampoline_kernelINS0_14default_configENS1_35radix_sort_onesweep_config_selectorIyNS0_10empty_typeEEEZNS1_34radix_sort_onesweep_global_offsetsIS3_Lb0EN6thrust23THRUST_200600_302600_NS6detail15normal_iteratorINS9_10device_ptrIyEEEEPS5_jNS0_19identity_decomposerEEE10hipError_tT1_T2_PT3_SK_jT4_jjP12ihipStream_tbEUlT_E_NS1_11comp_targetILNS1_3genE3ELNS1_11target_archE908ELNS1_3gpuE7ELNS1_3repE0EEENS1_52radix_sort_onesweep_histogram_config_static_selectorELNS0_4arch9wavefront6targetE1EEEvSI_,comdat
	.protected	_ZN7rocprim17ROCPRIM_400000_NS6detail17trampoline_kernelINS0_14default_configENS1_35radix_sort_onesweep_config_selectorIyNS0_10empty_typeEEEZNS1_34radix_sort_onesweep_global_offsetsIS3_Lb0EN6thrust23THRUST_200600_302600_NS6detail15normal_iteratorINS9_10device_ptrIyEEEEPS5_jNS0_19identity_decomposerEEE10hipError_tT1_T2_PT3_SK_jT4_jjP12ihipStream_tbEUlT_E_NS1_11comp_targetILNS1_3genE3ELNS1_11target_archE908ELNS1_3gpuE7ELNS1_3repE0EEENS1_52radix_sort_onesweep_histogram_config_static_selectorELNS0_4arch9wavefront6targetE1EEEvSI_ ; -- Begin function _ZN7rocprim17ROCPRIM_400000_NS6detail17trampoline_kernelINS0_14default_configENS1_35radix_sort_onesweep_config_selectorIyNS0_10empty_typeEEEZNS1_34radix_sort_onesweep_global_offsetsIS3_Lb0EN6thrust23THRUST_200600_302600_NS6detail15normal_iteratorINS9_10device_ptrIyEEEEPS5_jNS0_19identity_decomposerEEE10hipError_tT1_T2_PT3_SK_jT4_jjP12ihipStream_tbEUlT_E_NS1_11comp_targetILNS1_3genE3ELNS1_11target_archE908ELNS1_3gpuE7ELNS1_3repE0EEENS1_52radix_sort_onesweep_histogram_config_static_selectorELNS0_4arch9wavefront6targetE1EEEvSI_
	.globl	_ZN7rocprim17ROCPRIM_400000_NS6detail17trampoline_kernelINS0_14default_configENS1_35radix_sort_onesweep_config_selectorIyNS0_10empty_typeEEEZNS1_34radix_sort_onesweep_global_offsetsIS3_Lb0EN6thrust23THRUST_200600_302600_NS6detail15normal_iteratorINS9_10device_ptrIyEEEEPS5_jNS0_19identity_decomposerEEE10hipError_tT1_T2_PT3_SK_jT4_jjP12ihipStream_tbEUlT_E_NS1_11comp_targetILNS1_3genE3ELNS1_11target_archE908ELNS1_3gpuE7ELNS1_3repE0EEENS1_52radix_sort_onesweep_histogram_config_static_selectorELNS0_4arch9wavefront6targetE1EEEvSI_
	.p2align	8
	.type	_ZN7rocprim17ROCPRIM_400000_NS6detail17trampoline_kernelINS0_14default_configENS1_35radix_sort_onesweep_config_selectorIyNS0_10empty_typeEEEZNS1_34radix_sort_onesweep_global_offsetsIS3_Lb0EN6thrust23THRUST_200600_302600_NS6detail15normal_iteratorINS9_10device_ptrIyEEEEPS5_jNS0_19identity_decomposerEEE10hipError_tT1_T2_PT3_SK_jT4_jjP12ihipStream_tbEUlT_E_NS1_11comp_targetILNS1_3genE3ELNS1_11target_archE908ELNS1_3gpuE7ELNS1_3repE0EEENS1_52radix_sort_onesweep_histogram_config_static_selectorELNS0_4arch9wavefront6targetE1EEEvSI_,@function
_ZN7rocprim17ROCPRIM_400000_NS6detail17trampoline_kernelINS0_14default_configENS1_35radix_sort_onesweep_config_selectorIyNS0_10empty_typeEEEZNS1_34radix_sort_onesweep_global_offsetsIS3_Lb0EN6thrust23THRUST_200600_302600_NS6detail15normal_iteratorINS9_10device_ptrIyEEEEPS5_jNS0_19identity_decomposerEEE10hipError_tT1_T2_PT3_SK_jT4_jjP12ihipStream_tbEUlT_E_NS1_11comp_targetILNS1_3genE3ELNS1_11target_archE908ELNS1_3gpuE7ELNS1_3repE0EEENS1_52radix_sort_onesweep_histogram_config_static_selectorELNS0_4arch9wavefront6targetE1EEEvSI_: ; @_ZN7rocprim17ROCPRIM_400000_NS6detail17trampoline_kernelINS0_14default_configENS1_35radix_sort_onesweep_config_selectorIyNS0_10empty_typeEEEZNS1_34radix_sort_onesweep_global_offsetsIS3_Lb0EN6thrust23THRUST_200600_302600_NS6detail15normal_iteratorINS9_10device_ptrIyEEEEPS5_jNS0_19identity_decomposerEEE10hipError_tT1_T2_PT3_SK_jT4_jjP12ihipStream_tbEUlT_E_NS1_11comp_targetILNS1_3genE3ELNS1_11target_archE908ELNS1_3gpuE7ELNS1_3repE0EEENS1_52radix_sort_onesweep_histogram_config_static_selectorELNS0_4arch9wavefront6targetE1EEEvSI_
; %bb.0:
	.section	.rodata,"a",@progbits
	.p2align	6, 0x0
	.amdhsa_kernel _ZN7rocprim17ROCPRIM_400000_NS6detail17trampoline_kernelINS0_14default_configENS1_35radix_sort_onesweep_config_selectorIyNS0_10empty_typeEEEZNS1_34radix_sort_onesweep_global_offsetsIS3_Lb0EN6thrust23THRUST_200600_302600_NS6detail15normal_iteratorINS9_10device_ptrIyEEEEPS5_jNS0_19identity_decomposerEEE10hipError_tT1_T2_PT3_SK_jT4_jjP12ihipStream_tbEUlT_E_NS1_11comp_targetILNS1_3genE3ELNS1_11target_archE908ELNS1_3gpuE7ELNS1_3repE0EEENS1_52radix_sort_onesweep_histogram_config_static_selectorELNS0_4arch9wavefront6targetE1EEEvSI_
		.amdhsa_group_segment_fixed_size 0
		.amdhsa_private_segment_fixed_size 0
		.amdhsa_kernarg_size 40
		.amdhsa_user_sgpr_count 6
		.amdhsa_user_sgpr_private_segment_buffer 1
		.amdhsa_user_sgpr_dispatch_ptr 0
		.amdhsa_user_sgpr_queue_ptr 0
		.amdhsa_user_sgpr_kernarg_segment_ptr 1
		.amdhsa_user_sgpr_dispatch_id 0
		.amdhsa_user_sgpr_flat_scratch_init 0
		.amdhsa_user_sgpr_kernarg_preload_length 0
		.amdhsa_user_sgpr_kernarg_preload_offset 0
		.amdhsa_user_sgpr_private_segment_size 0
		.amdhsa_uses_dynamic_stack 0
		.amdhsa_system_sgpr_private_segment_wavefront_offset 0
		.amdhsa_system_sgpr_workgroup_id_x 1
		.amdhsa_system_sgpr_workgroup_id_y 0
		.amdhsa_system_sgpr_workgroup_id_z 0
		.amdhsa_system_sgpr_workgroup_info 0
		.amdhsa_system_vgpr_workitem_id 0
		.amdhsa_next_free_vgpr 1
		.amdhsa_next_free_sgpr 0
		.amdhsa_accum_offset 4
		.amdhsa_reserve_vcc 0
		.amdhsa_reserve_flat_scratch 0
		.amdhsa_float_round_mode_32 0
		.amdhsa_float_round_mode_16_64 0
		.amdhsa_float_denorm_mode_32 3
		.amdhsa_float_denorm_mode_16_64 3
		.amdhsa_dx10_clamp 1
		.amdhsa_ieee_mode 1
		.amdhsa_fp16_overflow 0
		.amdhsa_tg_split 0
		.amdhsa_exception_fp_ieee_invalid_op 0
		.amdhsa_exception_fp_denorm_src 0
		.amdhsa_exception_fp_ieee_div_zero 0
		.amdhsa_exception_fp_ieee_overflow 0
		.amdhsa_exception_fp_ieee_underflow 0
		.amdhsa_exception_fp_ieee_inexact 0
		.amdhsa_exception_int_div_zero 0
	.end_amdhsa_kernel
	.section	.text._ZN7rocprim17ROCPRIM_400000_NS6detail17trampoline_kernelINS0_14default_configENS1_35radix_sort_onesweep_config_selectorIyNS0_10empty_typeEEEZNS1_34radix_sort_onesweep_global_offsetsIS3_Lb0EN6thrust23THRUST_200600_302600_NS6detail15normal_iteratorINS9_10device_ptrIyEEEEPS5_jNS0_19identity_decomposerEEE10hipError_tT1_T2_PT3_SK_jT4_jjP12ihipStream_tbEUlT_E_NS1_11comp_targetILNS1_3genE3ELNS1_11target_archE908ELNS1_3gpuE7ELNS1_3repE0EEENS1_52radix_sort_onesweep_histogram_config_static_selectorELNS0_4arch9wavefront6targetE1EEEvSI_,"axG",@progbits,_ZN7rocprim17ROCPRIM_400000_NS6detail17trampoline_kernelINS0_14default_configENS1_35radix_sort_onesweep_config_selectorIyNS0_10empty_typeEEEZNS1_34radix_sort_onesweep_global_offsetsIS3_Lb0EN6thrust23THRUST_200600_302600_NS6detail15normal_iteratorINS9_10device_ptrIyEEEEPS5_jNS0_19identity_decomposerEEE10hipError_tT1_T2_PT3_SK_jT4_jjP12ihipStream_tbEUlT_E_NS1_11comp_targetILNS1_3genE3ELNS1_11target_archE908ELNS1_3gpuE7ELNS1_3repE0EEENS1_52radix_sort_onesweep_histogram_config_static_selectorELNS0_4arch9wavefront6targetE1EEEvSI_,comdat
.Lfunc_end842:
	.size	_ZN7rocprim17ROCPRIM_400000_NS6detail17trampoline_kernelINS0_14default_configENS1_35radix_sort_onesweep_config_selectorIyNS0_10empty_typeEEEZNS1_34radix_sort_onesweep_global_offsetsIS3_Lb0EN6thrust23THRUST_200600_302600_NS6detail15normal_iteratorINS9_10device_ptrIyEEEEPS5_jNS0_19identity_decomposerEEE10hipError_tT1_T2_PT3_SK_jT4_jjP12ihipStream_tbEUlT_E_NS1_11comp_targetILNS1_3genE3ELNS1_11target_archE908ELNS1_3gpuE7ELNS1_3repE0EEENS1_52radix_sort_onesweep_histogram_config_static_selectorELNS0_4arch9wavefront6targetE1EEEvSI_, .Lfunc_end842-_ZN7rocprim17ROCPRIM_400000_NS6detail17trampoline_kernelINS0_14default_configENS1_35radix_sort_onesweep_config_selectorIyNS0_10empty_typeEEEZNS1_34radix_sort_onesweep_global_offsetsIS3_Lb0EN6thrust23THRUST_200600_302600_NS6detail15normal_iteratorINS9_10device_ptrIyEEEEPS5_jNS0_19identity_decomposerEEE10hipError_tT1_T2_PT3_SK_jT4_jjP12ihipStream_tbEUlT_E_NS1_11comp_targetILNS1_3genE3ELNS1_11target_archE908ELNS1_3gpuE7ELNS1_3repE0EEENS1_52radix_sort_onesweep_histogram_config_static_selectorELNS0_4arch9wavefront6targetE1EEEvSI_
                                        ; -- End function
	.section	.AMDGPU.csdata,"",@progbits
; Kernel info:
; codeLenInByte = 0
; NumSgprs: 4
; NumVgprs: 0
; NumAgprs: 0
; TotalNumVgprs: 0
; ScratchSize: 0
; MemoryBound: 0
; FloatMode: 240
; IeeeMode: 1
; LDSByteSize: 0 bytes/workgroup (compile time only)
; SGPRBlocks: 0
; VGPRBlocks: 0
; NumSGPRsForWavesPerEU: 4
; NumVGPRsForWavesPerEU: 1
; AccumOffset: 4
; Occupancy: 8
; WaveLimiterHint : 0
; COMPUTE_PGM_RSRC2:SCRATCH_EN: 0
; COMPUTE_PGM_RSRC2:USER_SGPR: 6
; COMPUTE_PGM_RSRC2:TRAP_HANDLER: 0
; COMPUTE_PGM_RSRC2:TGID_X_EN: 1
; COMPUTE_PGM_RSRC2:TGID_Y_EN: 0
; COMPUTE_PGM_RSRC2:TGID_Z_EN: 0
; COMPUTE_PGM_RSRC2:TIDIG_COMP_CNT: 0
; COMPUTE_PGM_RSRC3_GFX90A:ACCUM_OFFSET: 0
; COMPUTE_PGM_RSRC3_GFX90A:TG_SPLIT: 0
	.section	.text._ZN7rocprim17ROCPRIM_400000_NS6detail17trampoline_kernelINS0_14default_configENS1_35radix_sort_onesweep_config_selectorIyNS0_10empty_typeEEEZNS1_34radix_sort_onesweep_global_offsetsIS3_Lb0EN6thrust23THRUST_200600_302600_NS6detail15normal_iteratorINS9_10device_ptrIyEEEEPS5_jNS0_19identity_decomposerEEE10hipError_tT1_T2_PT3_SK_jT4_jjP12ihipStream_tbEUlT_E_NS1_11comp_targetILNS1_3genE10ELNS1_11target_archE1201ELNS1_3gpuE5ELNS1_3repE0EEENS1_52radix_sort_onesweep_histogram_config_static_selectorELNS0_4arch9wavefront6targetE1EEEvSI_,"axG",@progbits,_ZN7rocprim17ROCPRIM_400000_NS6detail17trampoline_kernelINS0_14default_configENS1_35radix_sort_onesweep_config_selectorIyNS0_10empty_typeEEEZNS1_34radix_sort_onesweep_global_offsetsIS3_Lb0EN6thrust23THRUST_200600_302600_NS6detail15normal_iteratorINS9_10device_ptrIyEEEEPS5_jNS0_19identity_decomposerEEE10hipError_tT1_T2_PT3_SK_jT4_jjP12ihipStream_tbEUlT_E_NS1_11comp_targetILNS1_3genE10ELNS1_11target_archE1201ELNS1_3gpuE5ELNS1_3repE0EEENS1_52radix_sort_onesweep_histogram_config_static_selectorELNS0_4arch9wavefront6targetE1EEEvSI_,comdat
	.protected	_ZN7rocprim17ROCPRIM_400000_NS6detail17trampoline_kernelINS0_14default_configENS1_35radix_sort_onesweep_config_selectorIyNS0_10empty_typeEEEZNS1_34radix_sort_onesweep_global_offsetsIS3_Lb0EN6thrust23THRUST_200600_302600_NS6detail15normal_iteratorINS9_10device_ptrIyEEEEPS5_jNS0_19identity_decomposerEEE10hipError_tT1_T2_PT3_SK_jT4_jjP12ihipStream_tbEUlT_E_NS1_11comp_targetILNS1_3genE10ELNS1_11target_archE1201ELNS1_3gpuE5ELNS1_3repE0EEENS1_52radix_sort_onesweep_histogram_config_static_selectorELNS0_4arch9wavefront6targetE1EEEvSI_ ; -- Begin function _ZN7rocprim17ROCPRIM_400000_NS6detail17trampoline_kernelINS0_14default_configENS1_35radix_sort_onesweep_config_selectorIyNS0_10empty_typeEEEZNS1_34radix_sort_onesweep_global_offsetsIS3_Lb0EN6thrust23THRUST_200600_302600_NS6detail15normal_iteratorINS9_10device_ptrIyEEEEPS5_jNS0_19identity_decomposerEEE10hipError_tT1_T2_PT3_SK_jT4_jjP12ihipStream_tbEUlT_E_NS1_11comp_targetILNS1_3genE10ELNS1_11target_archE1201ELNS1_3gpuE5ELNS1_3repE0EEENS1_52radix_sort_onesweep_histogram_config_static_selectorELNS0_4arch9wavefront6targetE1EEEvSI_
	.globl	_ZN7rocprim17ROCPRIM_400000_NS6detail17trampoline_kernelINS0_14default_configENS1_35radix_sort_onesweep_config_selectorIyNS0_10empty_typeEEEZNS1_34radix_sort_onesweep_global_offsetsIS3_Lb0EN6thrust23THRUST_200600_302600_NS6detail15normal_iteratorINS9_10device_ptrIyEEEEPS5_jNS0_19identity_decomposerEEE10hipError_tT1_T2_PT3_SK_jT4_jjP12ihipStream_tbEUlT_E_NS1_11comp_targetILNS1_3genE10ELNS1_11target_archE1201ELNS1_3gpuE5ELNS1_3repE0EEENS1_52radix_sort_onesweep_histogram_config_static_selectorELNS0_4arch9wavefront6targetE1EEEvSI_
	.p2align	8
	.type	_ZN7rocprim17ROCPRIM_400000_NS6detail17trampoline_kernelINS0_14default_configENS1_35radix_sort_onesweep_config_selectorIyNS0_10empty_typeEEEZNS1_34radix_sort_onesweep_global_offsetsIS3_Lb0EN6thrust23THRUST_200600_302600_NS6detail15normal_iteratorINS9_10device_ptrIyEEEEPS5_jNS0_19identity_decomposerEEE10hipError_tT1_T2_PT3_SK_jT4_jjP12ihipStream_tbEUlT_E_NS1_11comp_targetILNS1_3genE10ELNS1_11target_archE1201ELNS1_3gpuE5ELNS1_3repE0EEENS1_52radix_sort_onesweep_histogram_config_static_selectorELNS0_4arch9wavefront6targetE1EEEvSI_,@function
_ZN7rocprim17ROCPRIM_400000_NS6detail17trampoline_kernelINS0_14default_configENS1_35radix_sort_onesweep_config_selectorIyNS0_10empty_typeEEEZNS1_34radix_sort_onesweep_global_offsetsIS3_Lb0EN6thrust23THRUST_200600_302600_NS6detail15normal_iteratorINS9_10device_ptrIyEEEEPS5_jNS0_19identity_decomposerEEE10hipError_tT1_T2_PT3_SK_jT4_jjP12ihipStream_tbEUlT_E_NS1_11comp_targetILNS1_3genE10ELNS1_11target_archE1201ELNS1_3gpuE5ELNS1_3repE0EEENS1_52radix_sort_onesweep_histogram_config_static_selectorELNS0_4arch9wavefront6targetE1EEEvSI_: ; @_ZN7rocprim17ROCPRIM_400000_NS6detail17trampoline_kernelINS0_14default_configENS1_35radix_sort_onesweep_config_selectorIyNS0_10empty_typeEEEZNS1_34radix_sort_onesweep_global_offsetsIS3_Lb0EN6thrust23THRUST_200600_302600_NS6detail15normal_iteratorINS9_10device_ptrIyEEEEPS5_jNS0_19identity_decomposerEEE10hipError_tT1_T2_PT3_SK_jT4_jjP12ihipStream_tbEUlT_E_NS1_11comp_targetILNS1_3genE10ELNS1_11target_archE1201ELNS1_3gpuE5ELNS1_3repE0EEENS1_52radix_sort_onesweep_histogram_config_static_selectorELNS0_4arch9wavefront6targetE1EEEvSI_
; %bb.0:
	.section	.rodata,"a",@progbits
	.p2align	6, 0x0
	.amdhsa_kernel _ZN7rocprim17ROCPRIM_400000_NS6detail17trampoline_kernelINS0_14default_configENS1_35radix_sort_onesweep_config_selectorIyNS0_10empty_typeEEEZNS1_34radix_sort_onesweep_global_offsetsIS3_Lb0EN6thrust23THRUST_200600_302600_NS6detail15normal_iteratorINS9_10device_ptrIyEEEEPS5_jNS0_19identity_decomposerEEE10hipError_tT1_T2_PT3_SK_jT4_jjP12ihipStream_tbEUlT_E_NS1_11comp_targetILNS1_3genE10ELNS1_11target_archE1201ELNS1_3gpuE5ELNS1_3repE0EEENS1_52radix_sort_onesweep_histogram_config_static_selectorELNS0_4arch9wavefront6targetE1EEEvSI_
		.amdhsa_group_segment_fixed_size 0
		.amdhsa_private_segment_fixed_size 0
		.amdhsa_kernarg_size 40
		.amdhsa_user_sgpr_count 6
		.amdhsa_user_sgpr_private_segment_buffer 1
		.amdhsa_user_sgpr_dispatch_ptr 0
		.amdhsa_user_sgpr_queue_ptr 0
		.amdhsa_user_sgpr_kernarg_segment_ptr 1
		.amdhsa_user_sgpr_dispatch_id 0
		.amdhsa_user_sgpr_flat_scratch_init 0
		.amdhsa_user_sgpr_kernarg_preload_length 0
		.amdhsa_user_sgpr_kernarg_preload_offset 0
		.amdhsa_user_sgpr_private_segment_size 0
		.amdhsa_uses_dynamic_stack 0
		.amdhsa_system_sgpr_private_segment_wavefront_offset 0
		.amdhsa_system_sgpr_workgroup_id_x 1
		.amdhsa_system_sgpr_workgroup_id_y 0
		.amdhsa_system_sgpr_workgroup_id_z 0
		.amdhsa_system_sgpr_workgroup_info 0
		.amdhsa_system_vgpr_workitem_id 0
		.amdhsa_next_free_vgpr 1
		.amdhsa_next_free_sgpr 0
		.amdhsa_accum_offset 4
		.amdhsa_reserve_vcc 0
		.amdhsa_reserve_flat_scratch 0
		.amdhsa_float_round_mode_32 0
		.amdhsa_float_round_mode_16_64 0
		.amdhsa_float_denorm_mode_32 3
		.amdhsa_float_denorm_mode_16_64 3
		.amdhsa_dx10_clamp 1
		.amdhsa_ieee_mode 1
		.amdhsa_fp16_overflow 0
		.amdhsa_tg_split 0
		.amdhsa_exception_fp_ieee_invalid_op 0
		.amdhsa_exception_fp_denorm_src 0
		.amdhsa_exception_fp_ieee_div_zero 0
		.amdhsa_exception_fp_ieee_overflow 0
		.amdhsa_exception_fp_ieee_underflow 0
		.amdhsa_exception_fp_ieee_inexact 0
		.amdhsa_exception_int_div_zero 0
	.end_amdhsa_kernel
	.section	.text._ZN7rocprim17ROCPRIM_400000_NS6detail17trampoline_kernelINS0_14default_configENS1_35radix_sort_onesweep_config_selectorIyNS0_10empty_typeEEEZNS1_34radix_sort_onesweep_global_offsetsIS3_Lb0EN6thrust23THRUST_200600_302600_NS6detail15normal_iteratorINS9_10device_ptrIyEEEEPS5_jNS0_19identity_decomposerEEE10hipError_tT1_T2_PT3_SK_jT4_jjP12ihipStream_tbEUlT_E_NS1_11comp_targetILNS1_3genE10ELNS1_11target_archE1201ELNS1_3gpuE5ELNS1_3repE0EEENS1_52radix_sort_onesweep_histogram_config_static_selectorELNS0_4arch9wavefront6targetE1EEEvSI_,"axG",@progbits,_ZN7rocprim17ROCPRIM_400000_NS6detail17trampoline_kernelINS0_14default_configENS1_35radix_sort_onesweep_config_selectorIyNS0_10empty_typeEEEZNS1_34radix_sort_onesweep_global_offsetsIS3_Lb0EN6thrust23THRUST_200600_302600_NS6detail15normal_iteratorINS9_10device_ptrIyEEEEPS5_jNS0_19identity_decomposerEEE10hipError_tT1_T2_PT3_SK_jT4_jjP12ihipStream_tbEUlT_E_NS1_11comp_targetILNS1_3genE10ELNS1_11target_archE1201ELNS1_3gpuE5ELNS1_3repE0EEENS1_52radix_sort_onesweep_histogram_config_static_selectorELNS0_4arch9wavefront6targetE1EEEvSI_,comdat
.Lfunc_end843:
	.size	_ZN7rocprim17ROCPRIM_400000_NS6detail17trampoline_kernelINS0_14default_configENS1_35radix_sort_onesweep_config_selectorIyNS0_10empty_typeEEEZNS1_34radix_sort_onesweep_global_offsetsIS3_Lb0EN6thrust23THRUST_200600_302600_NS6detail15normal_iteratorINS9_10device_ptrIyEEEEPS5_jNS0_19identity_decomposerEEE10hipError_tT1_T2_PT3_SK_jT4_jjP12ihipStream_tbEUlT_E_NS1_11comp_targetILNS1_3genE10ELNS1_11target_archE1201ELNS1_3gpuE5ELNS1_3repE0EEENS1_52radix_sort_onesweep_histogram_config_static_selectorELNS0_4arch9wavefront6targetE1EEEvSI_, .Lfunc_end843-_ZN7rocprim17ROCPRIM_400000_NS6detail17trampoline_kernelINS0_14default_configENS1_35radix_sort_onesweep_config_selectorIyNS0_10empty_typeEEEZNS1_34radix_sort_onesweep_global_offsetsIS3_Lb0EN6thrust23THRUST_200600_302600_NS6detail15normal_iteratorINS9_10device_ptrIyEEEEPS5_jNS0_19identity_decomposerEEE10hipError_tT1_T2_PT3_SK_jT4_jjP12ihipStream_tbEUlT_E_NS1_11comp_targetILNS1_3genE10ELNS1_11target_archE1201ELNS1_3gpuE5ELNS1_3repE0EEENS1_52radix_sort_onesweep_histogram_config_static_selectorELNS0_4arch9wavefront6targetE1EEEvSI_
                                        ; -- End function
	.section	.AMDGPU.csdata,"",@progbits
; Kernel info:
; codeLenInByte = 0
; NumSgprs: 4
; NumVgprs: 0
; NumAgprs: 0
; TotalNumVgprs: 0
; ScratchSize: 0
; MemoryBound: 0
; FloatMode: 240
; IeeeMode: 1
; LDSByteSize: 0 bytes/workgroup (compile time only)
; SGPRBlocks: 0
; VGPRBlocks: 0
; NumSGPRsForWavesPerEU: 4
; NumVGPRsForWavesPerEU: 1
; AccumOffset: 4
; Occupancy: 8
; WaveLimiterHint : 0
; COMPUTE_PGM_RSRC2:SCRATCH_EN: 0
; COMPUTE_PGM_RSRC2:USER_SGPR: 6
; COMPUTE_PGM_RSRC2:TRAP_HANDLER: 0
; COMPUTE_PGM_RSRC2:TGID_X_EN: 1
; COMPUTE_PGM_RSRC2:TGID_Y_EN: 0
; COMPUTE_PGM_RSRC2:TGID_Z_EN: 0
; COMPUTE_PGM_RSRC2:TIDIG_COMP_CNT: 0
; COMPUTE_PGM_RSRC3_GFX90A:ACCUM_OFFSET: 0
; COMPUTE_PGM_RSRC3_GFX90A:TG_SPLIT: 0
	.section	.text._ZN7rocprim17ROCPRIM_400000_NS6detail17trampoline_kernelINS0_14default_configENS1_35radix_sort_onesweep_config_selectorIyNS0_10empty_typeEEEZNS1_34radix_sort_onesweep_global_offsetsIS3_Lb0EN6thrust23THRUST_200600_302600_NS6detail15normal_iteratorINS9_10device_ptrIyEEEEPS5_jNS0_19identity_decomposerEEE10hipError_tT1_T2_PT3_SK_jT4_jjP12ihipStream_tbEUlT_E_NS1_11comp_targetILNS1_3genE9ELNS1_11target_archE1100ELNS1_3gpuE3ELNS1_3repE0EEENS1_52radix_sort_onesweep_histogram_config_static_selectorELNS0_4arch9wavefront6targetE1EEEvSI_,"axG",@progbits,_ZN7rocprim17ROCPRIM_400000_NS6detail17trampoline_kernelINS0_14default_configENS1_35radix_sort_onesweep_config_selectorIyNS0_10empty_typeEEEZNS1_34radix_sort_onesweep_global_offsetsIS3_Lb0EN6thrust23THRUST_200600_302600_NS6detail15normal_iteratorINS9_10device_ptrIyEEEEPS5_jNS0_19identity_decomposerEEE10hipError_tT1_T2_PT3_SK_jT4_jjP12ihipStream_tbEUlT_E_NS1_11comp_targetILNS1_3genE9ELNS1_11target_archE1100ELNS1_3gpuE3ELNS1_3repE0EEENS1_52radix_sort_onesweep_histogram_config_static_selectorELNS0_4arch9wavefront6targetE1EEEvSI_,comdat
	.protected	_ZN7rocprim17ROCPRIM_400000_NS6detail17trampoline_kernelINS0_14default_configENS1_35radix_sort_onesweep_config_selectorIyNS0_10empty_typeEEEZNS1_34radix_sort_onesweep_global_offsetsIS3_Lb0EN6thrust23THRUST_200600_302600_NS6detail15normal_iteratorINS9_10device_ptrIyEEEEPS5_jNS0_19identity_decomposerEEE10hipError_tT1_T2_PT3_SK_jT4_jjP12ihipStream_tbEUlT_E_NS1_11comp_targetILNS1_3genE9ELNS1_11target_archE1100ELNS1_3gpuE3ELNS1_3repE0EEENS1_52radix_sort_onesweep_histogram_config_static_selectorELNS0_4arch9wavefront6targetE1EEEvSI_ ; -- Begin function _ZN7rocprim17ROCPRIM_400000_NS6detail17trampoline_kernelINS0_14default_configENS1_35radix_sort_onesweep_config_selectorIyNS0_10empty_typeEEEZNS1_34radix_sort_onesweep_global_offsetsIS3_Lb0EN6thrust23THRUST_200600_302600_NS6detail15normal_iteratorINS9_10device_ptrIyEEEEPS5_jNS0_19identity_decomposerEEE10hipError_tT1_T2_PT3_SK_jT4_jjP12ihipStream_tbEUlT_E_NS1_11comp_targetILNS1_3genE9ELNS1_11target_archE1100ELNS1_3gpuE3ELNS1_3repE0EEENS1_52radix_sort_onesweep_histogram_config_static_selectorELNS0_4arch9wavefront6targetE1EEEvSI_
	.globl	_ZN7rocprim17ROCPRIM_400000_NS6detail17trampoline_kernelINS0_14default_configENS1_35radix_sort_onesweep_config_selectorIyNS0_10empty_typeEEEZNS1_34radix_sort_onesweep_global_offsetsIS3_Lb0EN6thrust23THRUST_200600_302600_NS6detail15normal_iteratorINS9_10device_ptrIyEEEEPS5_jNS0_19identity_decomposerEEE10hipError_tT1_T2_PT3_SK_jT4_jjP12ihipStream_tbEUlT_E_NS1_11comp_targetILNS1_3genE9ELNS1_11target_archE1100ELNS1_3gpuE3ELNS1_3repE0EEENS1_52radix_sort_onesweep_histogram_config_static_selectorELNS0_4arch9wavefront6targetE1EEEvSI_
	.p2align	8
	.type	_ZN7rocprim17ROCPRIM_400000_NS6detail17trampoline_kernelINS0_14default_configENS1_35radix_sort_onesweep_config_selectorIyNS0_10empty_typeEEEZNS1_34radix_sort_onesweep_global_offsetsIS3_Lb0EN6thrust23THRUST_200600_302600_NS6detail15normal_iteratorINS9_10device_ptrIyEEEEPS5_jNS0_19identity_decomposerEEE10hipError_tT1_T2_PT3_SK_jT4_jjP12ihipStream_tbEUlT_E_NS1_11comp_targetILNS1_3genE9ELNS1_11target_archE1100ELNS1_3gpuE3ELNS1_3repE0EEENS1_52radix_sort_onesweep_histogram_config_static_selectorELNS0_4arch9wavefront6targetE1EEEvSI_,@function
_ZN7rocprim17ROCPRIM_400000_NS6detail17trampoline_kernelINS0_14default_configENS1_35radix_sort_onesweep_config_selectorIyNS0_10empty_typeEEEZNS1_34radix_sort_onesweep_global_offsetsIS3_Lb0EN6thrust23THRUST_200600_302600_NS6detail15normal_iteratorINS9_10device_ptrIyEEEEPS5_jNS0_19identity_decomposerEEE10hipError_tT1_T2_PT3_SK_jT4_jjP12ihipStream_tbEUlT_E_NS1_11comp_targetILNS1_3genE9ELNS1_11target_archE1100ELNS1_3gpuE3ELNS1_3repE0EEENS1_52radix_sort_onesweep_histogram_config_static_selectorELNS0_4arch9wavefront6targetE1EEEvSI_: ; @_ZN7rocprim17ROCPRIM_400000_NS6detail17trampoline_kernelINS0_14default_configENS1_35radix_sort_onesweep_config_selectorIyNS0_10empty_typeEEEZNS1_34radix_sort_onesweep_global_offsetsIS3_Lb0EN6thrust23THRUST_200600_302600_NS6detail15normal_iteratorINS9_10device_ptrIyEEEEPS5_jNS0_19identity_decomposerEEE10hipError_tT1_T2_PT3_SK_jT4_jjP12ihipStream_tbEUlT_E_NS1_11comp_targetILNS1_3genE9ELNS1_11target_archE1100ELNS1_3gpuE3ELNS1_3repE0EEENS1_52radix_sort_onesweep_histogram_config_static_selectorELNS0_4arch9wavefront6targetE1EEEvSI_
; %bb.0:
	.section	.rodata,"a",@progbits
	.p2align	6, 0x0
	.amdhsa_kernel _ZN7rocprim17ROCPRIM_400000_NS6detail17trampoline_kernelINS0_14default_configENS1_35radix_sort_onesweep_config_selectorIyNS0_10empty_typeEEEZNS1_34radix_sort_onesweep_global_offsetsIS3_Lb0EN6thrust23THRUST_200600_302600_NS6detail15normal_iteratorINS9_10device_ptrIyEEEEPS5_jNS0_19identity_decomposerEEE10hipError_tT1_T2_PT3_SK_jT4_jjP12ihipStream_tbEUlT_E_NS1_11comp_targetILNS1_3genE9ELNS1_11target_archE1100ELNS1_3gpuE3ELNS1_3repE0EEENS1_52radix_sort_onesweep_histogram_config_static_selectorELNS0_4arch9wavefront6targetE1EEEvSI_
		.amdhsa_group_segment_fixed_size 0
		.amdhsa_private_segment_fixed_size 0
		.amdhsa_kernarg_size 40
		.amdhsa_user_sgpr_count 6
		.amdhsa_user_sgpr_private_segment_buffer 1
		.amdhsa_user_sgpr_dispatch_ptr 0
		.amdhsa_user_sgpr_queue_ptr 0
		.amdhsa_user_sgpr_kernarg_segment_ptr 1
		.amdhsa_user_sgpr_dispatch_id 0
		.amdhsa_user_sgpr_flat_scratch_init 0
		.amdhsa_user_sgpr_kernarg_preload_length 0
		.amdhsa_user_sgpr_kernarg_preload_offset 0
		.amdhsa_user_sgpr_private_segment_size 0
		.amdhsa_uses_dynamic_stack 0
		.amdhsa_system_sgpr_private_segment_wavefront_offset 0
		.amdhsa_system_sgpr_workgroup_id_x 1
		.amdhsa_system_sgpr_workgroup_id_y 0
		.amdhsa_system_sgpr_workgroup_id_z 0
		.amdhsa_system_sgpr_workgroup_info 0
		.amdhsa_system_vgpr_workitem_id 0
		.amdhsa_next_free_vgpr 1
		.amdhsa_next_free_sgpr 0
		.amdhsa_accum_offset 4
		.amdhsa_reserve_vcc 0
		.amdhsa_reserve_flat_scratch 0
		.amdhsa_float_round_mode_32 0
		.amdhsa_float_round_mode_16_64 0
		.amdhsa_float_denorm_mode_32 3
		.amdhsa_float_denorm_mode_16_64 3
		.amdhsa_dx10_clamp 1
		.amdhsa_ieee_mode 1
		.amdhsa_fp16_overflow 0
		.amdhsa_tg_split 0
		.amdhsa_exception_fp_ieee_invalid_op 0
		.amdhsa_exception_fp_denorm_src 0
		.amdhsa_exception_fp_ieee_div_zero 0
		.amdhsa_exception_fp_ieee_overflow 0
		.amdhsa_exception_fp_ieee_underflow 0
		.amdhsa_exception_fp_ieee_inexact 0
		.amdhsa_exception_int_div_zero 0
	.end_amdhsa_kernel
	.section	.text._ZN7rocprim17ROCPRIM_400000_NS6detail17trampoline_kernelINS0_14default_configENS1_35radix_sort_onesweep_config_selectorIyNS0_10empty_typeEEEZNS1_34radix_sort_onesweep_global_offsetsIS3_Lb0EN6thrust23THRUST_200600_302600_NS6detail15normal_iteratorINS9_10device_ptrIyEEEEPS5_jNS0_19identity_decomposerEEE10hipError_tT1_T2_PT3_SK_jT4_jjP12ihipStream_tbEUlT_E_NS1_11comp_targetILNS1_3genE9ELNS1_11target_archE1100ELNS1_3gpuE3ELNS1_3repE0EEENS1_52radix_sort_onesweep_histogram_config_static_selectorELNS0_4arch9wavefront6targetE1EEEvSI_,"axG",@progbits,_ZN7rocprim17ROCPRIM_400000_NS6detail17trampoline_kernelINS0_14default_configENS1_35radix_sort_onesweep_config_selectorIyNS0_10empty_typeEEEZNS1_34radix_sort_onesweep_global_offsetsIS3_Lb0EN6thrust23THRUST_200600_302600_NS6detail15normal_iteratorINS9_10device_ptrIyEEEEPS5_jNS0_19identity_decomposerEEE10hipError_tT1_T2_PT3_SK_jT4_jjP12ihipStream_tbEUlT_E_NS1_11comp_targetILNS1_3genE9ELNS1_11target_archE1100ELNS1_3gpuE3ELNS1_3repE0EEENS1_52radix_sort_onesweep_histogram_config_static_selectorELNS0_4arch9wavefront6targetE1EEEvSI_,comdat
.Lfunc_end844:
	.size	_ZN7rocprim17ROCPRIM_400000_NS6detail17trampoline_kernelINS0_14default_configENS1_35radix_sort_onesweep_config_selectorIyNS0_10empty_typeEEEZNS1_34radix_sort_onesweep_global_offsetsIS3_Lb0EN6thrust23THRUST_200600_302600_NS6detail15normal_iteratorINS9_10device_ptrIyEEEEPS5_jNS0_19identity_decomposerEEE10hipError_tT1_T2_PT3_SK_jT4_jjP12ihipStream_tbEUlT_E_NS1_11comp_targetILNS1_3genE9ELNS1_11target_archE1100ELNS1_3gpuE3ELNS1_3repE0EEENS1_52radix_sort_onesweep_histogram_config_static_selectorELNS0_4arch9wavefront6targetE1EEEvSI_, .Lfunc_end844-_ZN7rocprim17ROCPRIM_400000_NS6detail17trampoline_kernelINS0_14default_configENS1_35radix_sort_onesweep_config_selectorIyNS0_10empty_typeEEEZNS1_34radix_sort_onesweep_global_offsetsIS3_Lb0EN6thrust23THRUST_200600_302600_NS6detail15normal_iteratorINS9_10device_ptrIyEEEEPS5_jNS0_19identity_decomposerEEE10hipError_tT1_T2_PT3_SK_jT4_jjP12ihipStream_tbEUlT_E_NS1_11comp_targetILNS1_3genE9ELNS1_11target_archE1100ELNS1_3gpuE3ELNS1_3repE0EEENS1_52radix_sort_onesweep_histogram_config_static_selectorELNS0_4arch9wavefront6targetE1EEEvSI_
                                        ; -- End function
	.section	.AMDGPU.csdata,"",@progbits
; Kernel info:
; codeLenInByte = 0
; NumSgprs: 4
; NumVgprs: 0
; NumAgprs: 0
; TotalNumVgprs: 0
; ScratchSize: 0
; MemoryBound: 0
; FloatMode: 240
; IeeeMode: 1
; LDSByteSize: 0 bytes/workgroup (compile time only)
; SGPRBlocks: 0
; VGPRBlocks: 0
; NumSGPRsForWavesPerEU: 4
; NumVGPRsForWavesPerEU: 1
; AccumOffset: 4
; Occupancy: 8
; WaveLimiterHint : 0
; COMPUTE_PGM_RSRC2:SCRATCH_EN: 0
; COMPUTE_PGM_RSRC2:USER_SGPR: 6
; COMPUTE_PGM_RSRC2:TRAP_HANDLER: 0
; COMPUTE_PGM_RSRC2:TGID_X_EN: 1
; COMPUTE_PGM_RSRC2:TGID_Y_EN: 0
; COMPUTE_PGM_RSRC2:TGID_Z_EN: 0
; COMPUTE_PGM_RSRC2:TIDIG_COMP_CNT: 0
; COMPUTE_PGM_RSRC3_GFX90A:ACCUM_OFFSET: 0
; COMPUTE_PGM_RSRC3_GFX90A:TG_SPLIT: 0
	.section	.text._ZN7rocprim17ROCPRIM_400000_NS6detail17trampoline_kernelINS0_14default_configENS1_35radix_sort_onesweep_config_selectorIyNS0_10empty_typeEEEZNS1_34radix_sort_onesweep_global_offsetsIS3_Lb0EN6thrust23THRUST_200600_302600_NS6detail15normal_iteratorINS9_10device_ptrIyEEEEPS5_jNS0_19identity_decomposerEEE10hipError_tT1_T2_PT3_SK_jT4_jjP12ihipStream_tbEUlT_E_NS1_11comp_targetILNS1_3genE8ELNS1_11target_archE1030ELNS1_3gpuE2ELNS1_3repE0EEENS1_52radix_sort_onesweep_histogram_config_static_selectorELNS0_4arch9wavefront6targetE1EEEvSI_,"axG",@progbits,_ZN7rocprim17ROCPRIM_400000_NS6detail17trampoline_kernelINS0_14default_configENS1_35radix_sort_onesweep_config_selectorIyNS0_10empty_typeEEEZNS1_34radix_sort_onesweep_global_offsetsIS3_Lb0EN6thrust23THRUST_200600_302600_NS6detail15normal_iteratorINS9_10device_ptrIyEEEEPS5_jNS0_19identity_decomposerEEE10hipError_tT1_T2_PT3_SK_jT4_jjP12ihipStream_tbEUlT_E_NS1_11comp_targetILNS1_3genE8ELNS1_11target_archE1030ELNS1_3gpuE2ELNS1_3repE0EEENS1_52radix_sort_onesweep_histogram_config_static_selectorELNS0_4arch9wavefront6targetE1EEEvSI_,comdat
	.protected	_ZN7rocprim17ROCPRIM_400000_NS6detail17trampoline_kernelINS0_14default_configENS1_35radix_sort_onesweep_config_selectorIyNS0_10empty_typeEEEZNS1_34radix_sort_onesweep_global_offsetsIS3_Lb0EN6thrust23THRUST_200600_302600_NS6detail15normal_iteratorINS9_10device_ptrIyEEEEPS5_jNS0_19identity_decomposerEEE10hipError_tT1_T2_PT3_SK_jT4_jjP12ihipStream_tbEUlT_E_NS1_11comp_targetILNS1_3genE8ELNS1_11target_archE1030ELNS1_3gpuE2ELNS1_3repE0EEENS1_52radix_sort_onesweep_histogram_config_static_selectorELNS0_4arch9wavefront6targetE1EEEvSI_ ; -- Begin function _ZN7rocprim17ROCPRIM_400000_NS6detail17trampoline_kernelINS0_14default_configENS1_35radix_sort_onesweep_config_selectorIyNS0_10empty_typeEEEZNS1_34radix_sort_onesweep_global_offsetsIS3_Lb0EN6thrust23THRUST_200600_302600_NS6detail15normal_iteratorINS9_10device_ptrIyEEEEPS5_jNS0_19identity_decomposerEEE10hipError_tT1_T2_PT3_SK_jT4_jjP12ihipStream_tbEUlT_E_NS1_11comp_targetILNS1_3genE8ELNS1_11target_archE1030ELNS1_3gpuE2ELNS1_3repE0EEENS1_52radix_sort_onesweep_histogram_config_static_selectorELNS0_4arch9wavefront6targetE1EEEvSI_
	.globl	_ZN7rocprim17ROCPRIM_400000_NS6detail17trampoline_kernelINS0_14default_configENS1_35radix_sort_onesweep_config_selectorIyNS0_10empty_typeEEEZNS1_34radix_sort_onesweep_global_offsetsIS3_Lb0EN6thrust23THRUST_200600_302600_NS6detail15normal_iteratorINS9_10device_ptrIyEEEEPS5_jNS0_19identity_decomposerEEE10hipError_tT1_T2_PT3_SK_jT4_jjP12ihipStream_tbEUlT_E_NS1_11comp_targetILNS1_3genE8ELNS1_11target_archE1030ELNS1_3gpuE2ELNS1_3repE0EEENS1_52radix_sort_onesweep_histogram_config_static_selectorELNS0_4arch9wavefront6targetE1EEEvSI_
	.p2align	8
	.type	_ZN7rocprim17ROCPRIM_400000_NS6detail17trampoline_kernelINS0_14default_configENS1_35radix_sort_onesweep_config_selectorIyNS0_10empty_typeEEEZNS1_34radix_sort_onesweep_global_offsetsIS3_Lb0EN6thrust23THRUST_200600_302600_NS6detail15normal_iteratorINS9_10device_ptrIyEEEEPS5_jNS0_19identity_decomposerEEE10hipError_tT1_T2_PT3_SK_jT4_jjP12ihipStream_tbEUlT_E_NS1_11comp_targetILNS1_3genE8ELNS1_11target_archE1030ELNS1_3gpuE2ELNS1_3repE0EEENS1_52radix_sort_onesweep_histogram_config_static_selectorELNS0_4arch9wavefront6targetE1EEEvSI_,@function
_ZN7rocprim17ROCPRIM_400000_NS6detail17trampoline_kernelINS0_14default_configENS1_35radix_sort_onesweep_config_selectorIyNS0_10empty_typeEEEZNS1_34radix_sort_onesweep_global_offsetsIS3_Lb0EN6thrust23THRUST_200600_302600_NS6detail15normal_iteratorINS9_10device_ptrIyEEEEPS5_jNS0_19identity_decomposerEEE10hipError_tT1_T2_PT3_SK_jT4_jjP12ihipStream_tbEUlT_E_NS1_11comp_targetILNS1_3genE8ELNS1_11target_archE1030ELNS1_3gpuE2ELNS1_3repE0EEENS1_52radix_sort_onesweep_histogram_config_static_selectorELNS0_4arch9wavefront6targetE1EEEvSI_: ; @_ZN7rocprim17ROCPRIM_400000_NS6detail17trampoline_kernelINS0_14default_configENS1_35radix_sort_onesweep_config_selectorIyNS0_10empty_typeEEEZNS1_34radix_sort_onesweep_global_offsetsIS3_Lb0EN6thrust23THRUST_200600_302600_NS6detail15normal_iteratorINS9_10device_ptrIyEEEEPS5_jNS0_19identity_decomposerEEE10hipError_tT1_T2_PT3_SK_jT4_jjP12ihipStream_tbEUlT_E_NS1_11comp_targetILNS1_3genE8ELNS1_11target_archE1030ELNS1_3gpuE2ELNS1_3repE0EEENS1_52radix_sort_onesweep_histogram_config_static_selectorELNS0_4arch9wavefront6targetE1EEEvSI_
; %bb.0:
	.section	.rodata,"a",@progbits
	.p2align	6, 0x0
	.amdhsa_kernel _ZN7rocprim17ROCPRIM_400000_NS6detail17trampoline_kernelINS0_14default_configENS1_35radix_sort_onesweep_config_selectorIyNS0_10empty_typeEEEZNS1_34radix_sort_onesweep_global_offsetsIS3_Lb0EN6thrust23THRUST_200600_302600_NS6detail15normal_iteratorINS9_10device_ptrIyEEEEPS5_jNS0_19identity_decomposerEEE10hipError_tT1_T2_PT3_SK_jT4_jjP12ihipStream_tbEUlT_E_NS1_11comp_targetILNS1_3genE8ELNS1_11target_archE1030ELNS1_3gpuE2ELNS1_3repE0EEENS1_52radix_sort_onesweep_histogram_config_static_selectorELNS0_4arch9wavefront6targetE1EEEvSI_
		.amdhsa_group_segment_fixed_size 0
		.amdhsa_private_segment_fixed_size 0
		.amdhsa_kernarg_size 40
		.amdhsa_user_sgpr_count 6
		.amdhsa_user_sgpr_private_segment_buffer 1
		.amdhsa_user_sgpr_dispatch_ptr 0
		.amdhsa_user_sgpr_queue_ptr 0
		.amdhsa_user_sgpr_kernarg_segment_ptr 1
		.amdhsa_user_sgpr_dispatch_id 0
		.amdhsa_user_sgpr_flat_scratch_init 0
		.amdhsa_user_sgpr_kernarg_preload_length 0
		.amdhsa_user_sgpr_kernarg_preload_offset 0
		.amdhsa_user_sgpr_private_segment_size 0
		.amdhsa_uses_dynamic_stack 0
		.amdhsa_system_sgpr_private_segment_wavefront_offset 0
		.amdhsa_system_sgpr_workgroup_id_x 1
		.amdhsa_system_sgpr_workgroup_id_y 0
		.amdhsa_system_sgpr_workgroup_id_z 0
		.amdhsa_system_sgpr_workgroup_info 0
		.amdhsa_system_vgpr_workitem_id 0
		.amdhsa_next_free_vgpr 1
		.amdhsa_next_free_sgpr 0
		.amdhsa_accum_offset 4
		.amdhsa_reserve_vcc 0
		.amdhsa_reserve_flat_scratch 0
		.amdhsa_float_round_mode_32 0
		.amdhsa_float_round_mode_16_64 0
		.amdhsa_float_denorm_mode_32 3
		.amdhsa_float_denorm_mode_16_64 3
		.amdhsa_dx10_clamp 1
		.amdhsa_ieee_mode 1
		.amdhsa_fp16_overflow 0
		.amdhsa_tg_split 0
		.amdhsa_exception_fp_ieee_invalid_op 0
		.amdhsa_exception_fp_denorm_src 0
		.amdhsa_exception_fp_ieee_div_zero 0
		.amdhsa_exception_fp_ieee_overflow 0
		.amdhsa_exception_fp_ieee_underflow 0
		.amdhsa_exception_fp_ieee_inexact 0
		.amdhsa_exception_int_div_zero 0
	.end_amdhsa_kernel
	.section	.text._ZN7rocprim17ROCPRIM_400000_NS6detail17trampoline_kernelINS0_14default_configENS1_35radix_sort_onesweep_config_selectorIyNS0_10empty_typeEEEZNS1_34radix_sort_onesweep_global_offsetsIS3_Lb0EN6thrust23THRUST_200600_302600_NS6detail15normal_iteratorINS9_10device_ptrIyEEEEPS5_jNS0_19identity_decomposerEEE10hipError_tT1_T2_PT3_SK_jT4_jjP12ihipStream_tbEUlT_E_NS1_11comp_targetILNS1_3genE8ELNS1_11target_archE1030ELNS1_3gpuE2ELNS1_3repE0EEENS1_52radix_sort_onesweep_histogram_config_static_selectorELNS0_4arch9wavefront6targetE1EEEvSI_,"axG",@progbits,_ZN7rocprim17ROCPRIM_400000_NS6detail17trampoline_kernelINS0_14default_configENS1_35radix_sort_onesweep_config_selectorIyNS0_10empty_typeEEEZNS1_34radix_sort_onesweep_global_offsetsIS3_Lb0EN6thrust23THRUST_200600_302600_NS6detail15normal_iteratorINS9_10device_ptrIyEEEEPS5_jNS0_19identity_decomposerEEE10hipError_tT1_T2_PT3_SK_jT4_jjP12ihipStream_tbEUlT_E_NS1_11comp_targetILNS1_3genE8ELNS1_11target_archE1030ELNS1_3gpuE2ELNS1_3repE0EEENS1_52radix_sort_onesweep_histogram_config_static_selectorELNS0_4arch9wavefront6targetE1EEEvSI_,comdat
.Lfunc_end845:
	.size	_ZN7rocprim17ROCPRIM_400000_NS6detail17trampoline_kernelINS0_14default_configENS1_35radix_sort_onesweep_config_selectorIyNS0_10empty_typeEEEZNS1_34radix_sort_onesweep_global_offsetsIS3_Lb0EN6thrust23THRUST_200600_302600_NS6detail15normal_iteratorINS9_10device_ptrIyEEEEPS5_jNS0_19identity_decomposerEEE10hipError_tT1_T2_PT3_SK_jT4_jjP12ihipStream_tbEUlT_E_NS1_11comp_targetILNS1_3genE8ELNS1_11target_archE1030ELNS1_3gpuE2ELNS1_3repE0EEENS1_52radix_sort_onesweep_histogram_config_static_selectorELNS0_4arch9wavefront6targetE1EEEvSI_, .Lfunc_end845-_ZN7rocprim17ROCPRIM_400000_NS6detail17trampoline_kernelINS0_14default_configENS1_35radix_sort_onesweep_config_selectorIyNS0_10empty_typeEEEZNS1_34radix_sort_onesweep_global_offsetsIS3_Lb0EN6thrust23THRUST_200600_302600_NS6detail15normal_iteratorINS9_10device_ptrIyEEEEPS5_jNS0_19identity_decomposerEEE10hipError_tT1_T2_PT3_SK_jT4_jjP12ihipStream_tbEUlT_E_NS1_11comp_targetILNS1_3genE8ELNS1_11target_archE1030ELNS1_3gpuE2ELNS1_3repE0EEENS1_52radix_sort_onesweep_histogram_config_static_selectorELNS0_4arch9wavefront6targetE1EEEvSI_
                                        ; -- End function
	.section	.AMDGPU.csdata,"",@progbits
; Kernel info:
; codeLenInByte = 0
; NumSgprs: 4
; NumVgprs: 0
; NumAgprs: 0
; TotalNumVgprs: 0
; ScratchSize: 0
; MemoryBound: 0
; FloatMode: 240
; IeeeMode: 1
; LDSByteSize: 0 bytes/workgroup (compile time only)
; SGPRBlocks: 0
; VGPRBlocks: 0
; NumSGPRsForWavesPerEU: 4
; NumVGPRsForWavesPerEU: 1
; AccumOffset: 4
; Occupancy: 8
; WaveLimiterHint : 0
; COMPUTE_PGM_RSRC2:SCRATCH_EN: 0
; COMPUTE_PGM_RSRC2:USER_SGPR: 6
; COMPUTE_PGM_RSRC2:TRAP_HANDLER: 0
; COMPUTE_PGM_RSRC2:TGID_X_EN: 1
; COMPUTE_PGM_RSRC2:TGID_Y_EN: 0
; COMPUTE_PGM_RSRC2:TGID_Z_EN: 0
; COMPUTE_PGM_RSRC2:TIDIG_COMP_CNT: 0
; COMPUTE_PGM_RSRC3_GFX90A:ACCUM_OFFSET: 0
; COMPUTE_PGM_RSRC3_GFX90A:TG_SPLIT: 0
	.section	.text._ZN7rocprim17ROCPRIM_400000_NS6detail17trampoline_kernelINS0_14default_configENS1_35radix_sort_onesweep_config_selectorIyNS0_10empty_typeEEEZNS1_34radix_sort_onesweep_global_offsetsIS3_Lb0EN6thrust23THRUST_200600_302600_NS6detail15normal_iteratorINS9_10device_ptrIyEEEEPS5_jNS0_19identity_decomposerEEE10hipError_tT1_T2_PT3_SK_jT4_jjP12ihipStream_tbEUlT_E0_NS1_11comp_targetILNS1_3genE0ELNS1_11target_archE4294967295ELNS1_3gpuE0ELNS1_3repE0EEENS1_52radix_sort_onesweep_histogram_config_static_selectorELNS0_4arch9wavefront6targetE1EEEvSI_,"axG",@progbits,_ZN7rocprim17ROCPRIM_400000_NS6detail17trampoline_kernelINS0_14default_configENS1_35radix_sort_onesweep_config_selectorIyNS0_10empty_typeEEEZNS1_34radix_sort_onesweep_global_offsetsIS3_Lb0EN6thrust23THRUST_200600_302600_NS6detail15normal_iteratorINS9_10device_ptrIyEEEEPS5_jNS0_19identity_decomposerEEE10hipError_tT1_T2_PT3_SK_jT4_jjP12ihipStream_tbEUlT_E0_NS1_11comp_targetILNS1_3genE0ELNS1_11target_archE4294967295ELNS1_3gpuE0ELNS1_3repE0EEENS1_52radix_sort_onesweep_histogram_config_static_selectorELNS0_4arch9wavefront6targetE1EEEvSI_,comdat
	.protected	_ZN7rocprim17ROCPRIM_400000_NS6detail17trampoline_kernelINS0_14default_configENS1_35radix_sort_onesweep_config_selectorIyNS0_10empty_typeEEEZNS1_34radix_sort_onesweep_global_offsetsIS3_Lb0EN6thrust23THRUST_200600_302600_NS6detail15normal_iteratorINS9_10device_ptrIyEEEEPS5_jNS0_19identity_decomposerEEE10hipError_tT1_T2_PT3_SK_jT4_jjP12ihipStream_tbEUlT_E0_NS1_11comp_targetILNS1_3genE0ELNS1_11target_archE4294967295ELNS1_3gpuE0ELNS1_3repE0EEENS1_52radix_sort_onesweep_histogram_config_static_selectorELNS0_4arch9wavefront6targetE1EEEvSI_ ; -- Begin function _ZN7rocprim17ROCPRIM_400000_NS6detail17trampoline_kernelINS0_14default_configENS1_35radix_sort_onesweep_config_selectorIyNS0_10empty_typeEEEZNS1_34radix_sort_onesweep_global_offsetsIS3_Lb0EN6thrust23THRUST_200600_302600_NS6detail15normal_iteratorINS9_10device_ptrIyEEEEPS5_jNS0_19identity_decomposerEEE10hipError_tT1_T2_PT3_SK_jT4_jjP12ihipStream_tbEUlT_E0_NS1_11comp_targetILNS1_3genE0ELNS1_11target_archE4294967295ELNS1_3gpuE0ELNS1_3repE0EEENS1_52radix_sort_onesweep_histogram_config_static_selectorELNS0_4arch9wavefront6targetE1EEEvSI_
	.globl	_ZN7rocprim17ROCPRIM_400000_NS6detail17trampoline_kernelINS0_14default_configENS1_35radix_sort_onesweep_config_selectorIyNS0_10empty_typeEEEZNS1_34radix_sort_onesweep_global_offsetsIS3_Lb0EN6thrust23THRUST_200600_302600_NS6detail15normal_iteratorINS9_10device_ptrIyEEEEPS5_jNS0_19identity_decomposerEEE10hipError_tT1_T2_PT3_SK_jT4_jjP12ihipStream_tbEUlT_E0_NS1_11comp_targetILNS1_3genE0ELNS1_11target_archE4294967295ELNS1_3gpuE0ELNS1_3repE0EEENS1_52radix_sort_onesweep_histogram_config_static_selectorELNS0_4arch9wavefront6targetE1EEEvSI_
	.p2align	8
	.type	_ZN7rocprim17ROCPRIM_400000_NS6detail17trampoline_kernelINS0_14default_configENS1_35radix_sort_onesweep_config_selectorIyNS0_10empty_typeEEEZNS1_34radix_sort_onesweep_global_offsetsIS3_Lb0EN6thrust23THRUST_200600_302600_NS6detail15normal_iteratorINS9_10device_ptrIyEEEEPS5_jNS0_19identity_decomposerEEE10hipError_tT1_T2_PT3_SK_jT4_jjP12ihipStream_tbEUlT_E0_NS1_11comp_targetILNS1_3genE0ELNS1_11target_archE4294967295ELNS1_3gpuE0ELNS1_3repE0EEENS1_52radix_sort_onesweep_histogram_config_static_selectorELNS0_4arch9wavefront6targetE1EEEvSI_,@function
_ZN7rocprim17ROCPRIM_400000_NS6detail17trampoline_kernelINS0_14default_configENS1_35radix_sort_onesweep_config_selectorIyNS0_10empty_typeEEEZNS1_34radix_sort_onesweep_global_offsetsIS3_Lb0EN6thrust23THRUST_200600_302600_NS6detail15normal_iteratorINS9_10device_ptrIyEEEEPS5_jNS0_19identity_decomposerEEE10hipError_tT1_T2_PT3_SK_jT4_jjP12ihipStream_tbEUlT_E0_NS1_11comp_targetILNS1_3genE0ELNS1_11target_archE4294967295ELNS1_3gpuE0ELNS1_3repE0EEENS1_52radix_sort_onesweep_histogram_config_static_selectorELNS0_4arch9wavefront6targetE1EEEvSI_: ; @_ZN7rocprim17ROCPRIM_400000_NS6detail17trampoline_kernelINS0_14default_configENS1_35radix_sort_onesweep_config_selectorIyNS0_10empty_typeEEEZNS1_34radix_sort_onesweep_global_offsetsIS3_Lb0EN6thrust23THRUST_200600_302600_NS6detail15normal_iteratorINS9_10device_ptrIyEEEEPS5_jNS0_19identity_decomposerEEE10hipError_tT1_T2_PT3_SK_jT4_jjP12ihipStream_tbEUlT_E0_NS1_11comp_targetILNS1_3genE0ELNS1_11target_archE4294967295ELNS1_3gpuE0ELNS1_3repE0EEENS1_52radix_sort_onesweep_histogram_config_static_selectorELNS0_4arch9wavefront6targetE1EEEvSI_
; %bb.0:
	.section	.rodata,"a",@progbits
	.p2align	6, 0x0
	.amdhsa_kernel _ZN7rocprim17ROCPRIM_400000_NS6detail17trampoline_kernelINS0_14default_configENS1_35radix_sort_onesweep_config_selectorIyNS0_10empty_typeEEEZNS1_34radix_sort_onesweep_global_offsetsIS3_Lb0EN6thrust23THRUST_200600_302600_NS6detail15normal_iteratorINS9_10device_ptrIyEEEEPS5_jNS0_19identity_decomposerEEE10hipError_tT1_T2_PT3_SK_jT4_jjP12ihipStream_tbEUlT_E0_NS1_11comp_targetILNS1_3genE0ELNS1_11target_archE4294967295ELNS1_3gpuE0ELNS1_3repE0EEENS1_52radix_sort_onesweep_histogram_config_static_selectorELNS0_4arch9wavefront6targetE1EEEvSI_
		.amdhsa_group_segment_fixed_size 0
		.amdhsa_private_segment_fixed_size 0
		.amdhsa_kernarg_size 8
		.amdhsa_user_sgpr_count 6
		.amdhsa_user_sgpr_private_segment_buffer 1
		.amdhsa_user_sgpr_dispatch_ptr 0
		.amdhsa_user_sgpr_queue_ptr 0
		.amdhsa_user_sgpr_kernarg_segment_ptr 1
		.amdhsa_user_sgpr_dispatch_id 0
		.amdhsa_user_sgpr_flat_scratch_init 0
		.amdhsa_user_sgpr_kernarg_preload_length 0
		.amdhsa_user_sgpr_kernarg_preload_offset 0
		.amdhsa_user_sgpr_private_segment_size 0
		.amdhsa_uses_dynamic_stack 0
		.amdhsa_system_sgpr_private_segment_wavefront_offset 0
		.amdhsa_system_sgpr_workgroup_id_x 1
		.amdhsa_system_sgpr_workgroup_id_y 0
		.amdhsa_system_sgpr_workgroup_id_z 0
		.amdhsa_system_sgpr_workgroup_info 0
		.amdhsa_system_vgpr_workitem_id 0
		.amdhsa_next_free_vgpr 1
		.amdhsa_next_free_sgpr 0
		.amdhsa_accum_offset 4
		.amdhsa_reserve_vcc 0
		.amdhsa_reserve_flat_scratch 0
		.amdhsa_float_round_mode_32 0
		.amdhsa_float_round_mode_16_64 0
		.amdhsa_float_denorm_mode_32 3
		.amdhsa_float_denorm_mode_16_64 3
		.amdhsa_dx10_clamp 1
		.amdhsa_ieee_mode 1
		.amdhsa_fp16_overflow 0
		.amdhsa_tg_split 0
		.amdhsa_exception_fp_ieee_invalid_op 0
		.amdhsa_exception_fp_denorm_src 0
		.amdhsa_exception_fp_ieee_div_zero 0
		.amdhsa_exception_fp_ieee_overflow 0
		.amdhsa_exception_fp_ieee_underflow 0
		.amdhsa_exception_fp_ieee_inexact 0
		.amdhsa_exception_int_div_zero 0
	.end_amdhsa_kernel
	.section	.text._ZN7rocprim17ROCPRIM_400000_NS6detail17trampoline_kernelINS0_14default_configENS1_35radix_sort_onesweep_config_selectorIyNS0_10empty_typeEEEZNS1_34radix_sort_onesweep_global_offsetsIS3_Lb0EN6thrust23THRUST_200600_302600_NS6detail15normal_iteratorINS9_10device_ptrIyEEEEPS5_jNS0_19identity_decomposerEEE10hipError_tT1_T2_PT3_SK_jT4_jjP12ihipStream_tbEUlT_E0_NS1_11comp_targetILNS1_3genE0ELNS1_11target_archE4294967295ELNS1_3gpuE0ELNS1_3repE0EEENS1_52radix_sort_onesweep_histogram_config_static_selectorELNS0_4arch9wavefront6targetE1EEEvSI_,"axG",@progbits,_ZN7rocprim17ROCPRIM_400000_NS6detail17trampoline_kernelINS0_14default_configENS1_35radix_sort_onesweep_config_selectorIyNS0_10empty_typeEEEZNS1_34radix_sort_onesweep_global_offsetsIS3_Lb0EN6thrust23THRUST_200600_302600_NS6detail15normal_iteratorINS9_10device_ptrIyEEEEPS5_jNS0_19identity_decomposerEEE10hipError_tT1_T2_PT3_SK_jT4_jjP12ihipStream_tbEUlT_E0_NS1_11comp_targetILNS1_3genE0ELNS1_11target_archE4294967295ELNS1_3gpuE0ELNS1_3repE0EEENS1_52radix_sort_onesweep_histogram_config_static_selectorELNS0_4arch9wavefront6targetE1EEEvSI_,comdat
.Lfunc_end846:
	.size	_ZN7rocprim17ROCPRIM_400000_NS6detail17trampoline_kernelINS0_14default_configENS1_35radix_sort_onesweep_config_selectorIyNS0_10empty_typeEEEZNS1_34radix_sort_onesweep_global_offsetsIS3_Lb0EN6thrust23THRUST_200600_302600_NS6detail15normal_iteratorINS9_10device_ptrIyEEEEPS5_jNS0_19identity_decomposerEEE10hipError_tT1_T2_PT3_SK_jT4_jjP12ihipStream_tbEUlT_E0_NS1_11comp_targetILNS1_3genE0ELNS1_11target_archE4294967295ELNS1_3gpuE0ELNS1_3repE0EEENS1_52radix_sort_onesweep_histogram_config_static_selectorELNS0_4arch9wavefront6targetE1EEEvSI_, .Lfunc_end846-_ZN7rocprim17ROCPRIM_400000_NS6detail17trampoline_kernelINS0_14default_configENS1_35radix_sort_onesweep_config_selectorIyNS0_10empty_typeEEEZNS1_34radix_sort_onesweep_global_offsetsIS3_Lb0EN6thrust23THRUST_200600_302600_NS6detail15normal_iteratorINS9_10device_ptrIyEEEEPS5_jNS0_19identity_decomposerEEE10hipError_tT1_T2_PT3_SK_jT4_jjP12ihipStream_tbEUlT_E0_NS1_11comp_targetILNS1_3genE0ELNS1_11target_archE4294967295ELNS1_3gpuE0ELNS1_3repE0EEENS1_52radix_sort_onesweep_histogram_config_static_selectorELNS0_4arch9wavefront6targetE1EEEvSI_
                                        ; -- End function
	.section	.AMDGPU.csdata,"",@progbits
; Kernel info:
; codeLenInByte = 0
; NumSgprs: 4
; NumVgprs: 0
; NumAgprs: 0
; TotalNumVgprs: 0
; ScratchSize: 0
; MemoryBound: 0
; FloatMode: 240
; IeeeMode: 1
; LDSByteSize: 0 bytes/workgroup (compile time only)
; SGPRBlocks: 0
; VGPRBlocks: 0
; NumSGPRsForWavesPerEU: 4
; NumVGPRsForWavesPerEU: 1
; AccumOffset: 4
; Occupancy: 8
; WaveLimiterHint : 0
; COMPUTE_PGM_RSRC2:SCRATCH_EN: 0
; COMPUTE_PGM_RSRC2:USER_SGPR: 6
; COMPUTE_PGM_RSRC2:TRAP_HANDLER: 0
; COMPUTE_PGM_RSRC2:TGID_X_EN: 1
; COMPUTE_PGM_RSRC2:TGID_Y_EN: 0
; COMPUTE_PGM_RSRC2:TGID_Z_EN: 0
; COMPUTE_PGM_RSRC2:TIDIG_COMP_CNT: 0
; COMPUTE_PGM_RSRC3_GFX90A:ACCUM_OFFSET: 0
; COMPUTE_PGM_RSRC3_GFX90A:TG_SPLIT: 0
	.section	.text._ZN7rocprim17ROCPRIM_400000_NS6detail17trampoline_kernelINS0_14default_configENS1_35radix_sort_onesweep_config_selectorIyNS0_10empty_typeEEEZNS1_34radix_sort_onesweep_global_offsetsIS3_Lb0EN6thrust23THRUST_200600_302600_NS6detail15normal_iteratorINS9_10device_ptrIyEEEEPS5_jNS0_19identity_decomposerEEE10hipError_tT1_T2_PT3_SK_jT4_jjP12ihipStream_tbEUlT_E0_NS1_11comp_targetILNS1_3genE6ELNS1_11target_archE950ELNS1_3gpuE13ELNS1_3repE0EEENS1_52radix_sort_onesweep_histogram_config_static_selectorELNS0_4arch9wavefront6targetE1EEEvSI_,"axG",@progbits,_ZN7rocprim17ROCPRIM_400000_NS6detail17trampoline_kernelINS0_14default_configENS1_35radix_sort_onesweep_config_selectorIyNS0_10empty_typeEEEZNS1_34radix_sort_onesweep_global_offsetsIS3_Lb0EN6thrust23THRUST_200600_302600_NS6detail15normal_iteratorINS9_10device_ptrIyEEEEPS5_jNS0_19identity_decomposerEEE10hipError_tT1_T2_PT3_SK_jT4_jjP12ihipStream_tbEUlT_E0_NS1_11comp_targetILNS1_3genE6ELNS1_11target_archE950ELNS1_3gpuE13ELNS1_3repE0EEENS1_52radix_sort_onesweep_histogram_config_static_selectorELNS0_4arch9wavefront6targetE1EEEvSI_,comdat
	.protected	_ZN7rocprim17ROCPRIM_400000_NS6detail17trampoline_kernelINS0_14default_configENS1_35radix_sort_onesweep_config_selectorIyNS0_10empty_typeEEEZNS1_34radix_sort_onesweep_global_offsetsIS3_Lb0EN6thrust23THRUST_200600_302600_NS6detail15normal_iteratorINS9_10device_ptrIyEEEEPS5_jNS0_19identity_decomposerEEE10hipError_tT1_T2_PT3_SK_jT4_jjP12ihipStream_tbEUlT_E0_NS1_11comp_targetILNS1_3genE6ELNS1_11target_archE950ELNS1_3gpuE13ELNS1_3repE0EEENS1_52radix_sort_onesweep_histogram_config_static_selectorELNS0_4arch9wavefront6targetE1EEEvSI_ ; -- Begin function _ZN7rocprim17ROCPRIM_400000_NS6detail17trampoline_kernelINS0_14default_configENS1_35radix_sort_onesweep_config_selectorIyNS0_10empty_typeEEEZNS1_34radix_sort_onesweep_global_offsetsIS3_Lb0EN6thrust23THRUST_200600_302600_NS6detail15normal_iteratorINS9_10device_ptrIyEEEEPS5_jNS0_19identity_decomposerEEE10hipError_tT1_T2_PT3_SK_jT4_jjP12ihipStream_tbEUlT_E0_NS1_11comp_targetILNS1_3genE6ELNS1_11target_archE950ELNS1_3gpuE13ELNS1_3repE0EEENS1_52radix_sort_onesweep_histogram_config_static_selectorELNS0_4arch9wavefront6targetE1EEEvSI_
	.globl	_ZN7rocprim17ROCPRIM_400000_NS6detail17trampoline_kernelINS0_14default_configENS1_35radix_sort_onesweep_config_selectorIyNS0_10empty_typeEEEZNS1_34radix_sort_onesweep_global_offsetsIS3_Lb0EN6thrust23THRUST_200600_302600_NS6detail15normal_iteratorINS9_10device_ptrIyEEEEPS5_jNS0_19identity_decomposerEEE10hipError_tT1_T2_PT3_SK_jT4_jjP12ihipStream_tbEUlT_E0_NS1_11comp_targetILNS1_3genE6ELNS1_11target_archE950ELNS1_3gpuE13ELNS1_3repE0EEENS1_52radix_sort_onesweep_histogram_config_static_selectorELNS0_4arch9wavefront6targetE1EEEvSI_
	.p2align	8
	.type	_ZN7rocprim17ROCPRIM_400000_NS6detail17trampoline_kernelINS0_14default_configENS1_35radix_sort_onesweep_config_selectorIyNS0_10empty_typeEEEZNS1_34radix_sort_onesweep_global_offsetsIS3_Lb0EN6thrust23THRUST_200600_302600_NS6detail15normal_iteratorINS9_10device_ptrIyEEEEPS5_jNS0_19identity_decomposerEEE10hipError_tT1_T2_PT3_SK_jT4_jjP12ihipStream_tbEUlT_E0_NS1_11comp_targetILNS1_3genE6ELNS1_11target_archE950ELNS1_3gpuE13ELNS1_3repE0EEENS1_52radix_sort_onesweep_histogram_config_static_selectorELNS0_4arch9wavefront6targetE1EEEvSI_,@function
_ZN7rocprim17ROCPRIM_400000_NS6detail17trampoline_kernelINS0_14default_configENS1_35radix_sort_onesweep_config_selectorIyNS0_10empty_typeEEEZNS1_34radix_sort_onesweep_global_offsetsIS3_Lb0EN6thrust23THRUST_200600_302600_NS6detail15normal_iteratorINS9_10device_ptrIyEEEEPS5_jNS0_19identity_decomposerEEE10hipError_tT1_T2_PT3_SK_jT4_jjP12ihipStream_tbEUlT_E0_NS1_11comp_targetILNS1_3genE6ELNS1_11target_archE950ELNS1_3gpuE13ELNS1_3repE0EEENS1_52radix_sort_onesweep_histogram_config_static_selectorELNS0_4arch9wavefront6targetE1EEEvSI_: ; @_ZN7rocprim17ROCPRIM_400000_NS6detail17trampoline_kernelINS0_14default_configENS1_35radix_sort_onesweep_config_selectorIyNS0_10empty_typeEEEZNS1_34radix_sort_onesweep_global_offsetsIS3_Lb0EN6thrust23THRUST_200600_302600_NS6detail15normal_iteratorINS9_10device_ptrIyEEEEPS5_jNS0_19identity_decomposerEEE10hipError_tT1_T2_PT3_SK_jT4_jjP12ihipStream_tbEUlT_E0_NS1_11comp_targetILNS1_3genE6ELNS1_11target_archE950ELNS1_3gpuE13ELNS1_3repE0EEENS1_52radix_sort_onesweep_histogram_config_static_selectorELNS0_4arch9wavefront6targetE1EEEvSI_
; %bb.0:
	.section	.rodata,"a",@progbits
	.p2align	6, 0x0
	.amdhsa_kernel _ZN7rocprim17ROCPRIM_400000_NS6detail17trampoline_kernelINS0_14default_configENS1_35radix_sort_onesweep_config_selectorIyNS0_10empty_typeEEEZNS1_34radix_sort_onesweep_global_offsetsIS3_Lb0EN6thrust23THRUST_200600_302600_NS6detail15normal_iteratorINS9_10device_ptrIyEEEEPS5_jNS0_19identity_decomposerEEE10hipError_tT1_T2_PT3_SK_jT4_jjP12ihipStream_tbEUlT_E0_NS1_11comp_targetILNS1_3genE6ELNS1_11target_archE950ELNS1_3gpuE13ELNS1_3repE0EEENS1_52radix_sort_onesweep_histogram_config_static_selectorELNS0_4arch9wavefront6targetE1EEEvSI_
		.amdhsa_group_segment_fixed_size 0
		.amdhsa_private_segment_fixed_size 0
		.amdhsa_kernarg_size 8
		.amdhsa_user_sgpr_count 6
		.amdhsa_user_sgpr_private_segment_buffer 1
		.amdhsa_user_sgpr_dispatch_ptr 0
		.amdhsa_user_sgpr_queue_ptr 0
		.amdhsa_user_sgpr_kernarg_segment_ptr 1
		.amdhsa_user_sgpr_dispatch_id 0
		.amdhsa_user_sgpr_flat_scratch_init 0
		.amdhsa_user_sgpr_kernarg_preload_length 0
		.amdhsa_user_sgpr_kernarg_preload_offset 0
		.amdhsa_user_sgpr_private_segment_size 0
		.amdhsa_uses_dynamic_stack 0
		.amdhsa_system_sgpr_private_segment_wavefront_offset 0
		.amdhsa_system_sgpr_workgroup_id_x 1
		.amdhsa_system_sgpr_workgroup_id_y 0
		.amdhsa_system_sgpr_workgroup_id_z 0
		.amdhsa_system_sgpr_workgroup_info 0
		.amdhsa_system_vgpr_workitem_id 0
		.amdhsa_next_free_vgpr 1
		.amdhsa_next_free_sgpr 0
		.amdhsa_accum_offset 4
		.amdhsa_reserve_vcc 0
		.amdhsa_reserve_flat_scratch 0
		.amdhsa_float_round_mode_32 0
		.amdhsa_float_round_mode_16_64 0
		.amdhsa_float_denorm_mode_32 3
		.amdhsa_float_denorm_mode_16_64 3
		.amdhsa_dx10_clamp 1
		.amdhsa_ieee_mode 1
		.amdhsa_fp16_overflow 0
		.amdhsa_tg_split 0
		.amdhsa_exception_fp_ieee_invalid_op 0
		.amdhsa_exception_fp_denorm_src 0
		.amdhsa_exception_fp_ieee_div_zero 0
		.amdhsa_exception_fp_ieee_overflow 0
		.amdhsa_exception_fp_ieee_underflow 0
		.amdhsa_exception_fp_ieee_inexact 0
		.amdhsa_exception_int_div_zero 0
	.end_amdhsa_kernel
	.section	.text._ZN7rocprim17ROCPRIM_400000_NS6detail17trampoline_kernelINS0_14default_configENS1_35radix_sort_onesweep_config_selectorIyNS0_10empty_typeEEEZNS1_34radix_sort_onesweep_global_offsetsIS3_Lb0EN6thrust23THRUST_200600_302600_NS6detail15normal_iteratorINS9_10device_ptrIyEEEEPS5_jNS0_19identity_decomposerEEE10hipError_tT1_T2_PT3_SK_jT4_jjP12ihipStream_tbEUlT_E0_NS1_11comp_targetILNS1_3genE6ELNS1_11target_archE950ELNS1_3gpuE13ELNS1_3repE0EEENS1_52radix_sort_onesweep_histogram_config_static_selectorELNS0_4arch9wavefront6targetE1EEEvSI_,"axG",@progbits,_ZN7rocprim17ROCPRIM_400000_NS6detail17trampoline_kernelINS0_14default_configENS1_35radix_sort_onesweep_config_selectorIyNS0_10empty_typeEEEZNS1_34radix_sort_onesweep_global_offsetsIS3_Lb0EN6thrust23THRUST_200600_302600_NS6detail15normal_iteratorINS9_10device_ptrIyEEEEPS5_jNS0_19identity_decomposerEEE10hipError_tT1_T2_PT3_SK_jT4_jjP12ihipStream_tbEUlT_E0_NS1_11comp_targetILNS1_3genE6ELNS1_11target_archE950ELNS1_3gpuE13ELNS1_3repE0EEENS1_52radix_sort_onesweep_histogram_config_static_selectorELNS0_4arch9wavefront6targetE1EEEvSI_,comdat
.Lfunc_end847:
	.size	_ZN7rocprim17ROCPRIM_400000_NS6detail17trampoline_kernelINS0_14default_configENS1_35radix_sort_onesweep_config_selectorIyNS0_10empty_typeEEEZNS1_34radix_sort_onesweep_global_offsetsIS3_Lb0EN6thrust23THRUST_200600_302600_NS6detail15normal_iteratorINS9_10device_ptrIyEEEEPS5_jNS0_19identity_decomposerEEE10hipError_tT1_T2_PT3_SK_jT4_jjP12ihipStream_tbEUlT_E0_NS1_11comp_targetILNS1_3genE6ELNS1_11target_archE950ELNS1_3gpuE13ELNS1_3repE0EEENS1_52radix_sort_onesweep_histogram_config_static_selectorELNS0_4arch9wavefront6targetE1EEEvSI_, .Lfunc_end847-_ZN7rocprim17ROCPRIM_400000_NS6detail17trampoline_kernelINS0_14default_configENS1_35radix_sort_onesweep_config_selectorIyNS0_10empty_typeEEEZNS1_34radix_sort_onesweep_global_offsetsIS3_Lb0EN6thrust23THRUST_200600_302600_NS6detail15normal_iteratorINS9_10device_ptrIyEEEEPS5_jNS0_19identity_decomposerEEE10hipError_tT1_T2_PT3_SK_jT4_jjP12ihipStream_tbEUlT_E0_NS1_11comp_targetILNS1_3genE6ELNS1_11target_archE950ELNS1_3gpuE13ELNS1_3repE0EEENS1_52radix_sort_onesweep_histogram_config_static_selectorELNS0_4arch9wavefront6targetE1EEEvSI_
                                        ; -- End function
	.section	.AMDGPU.csdata,"",@progbits
; Kernel info:
; codeLenInByte = 0
; NumSgprs: 4
; NumVgprs: 0
; NumAgprs: 0
; TotalNumVgprs: 0
; ScratchSize: 0
; MemoryBound: 0
; FloatMode: 240
; IeeeMode: 1
; LDSByteSize: 0 bytes/workgroup (compile time only)
; SGPRBlocks: 0
; VGPRBlocks: 0
; NumSGPRsForWavesPerEU: 4
; NumVGPRsForWavesPerEU: 1
; AccumOffset: 4
; Occupancy: 8
; WaveLimiterHint : 0
; COMPUTE_PGM_RSRC2:SCRATCH_EN: 0
; COMPUTE_PGM_RSRC2:USER_SGPR: 6
; COMPUTE_PGM_RSRC2:TRAP_HANDLER: 0
; COMPUTE_PGM_RSRC2:TGID_X_EN: 1
; COMPUTE_PGM_RSRC2:TGID_Y_EN: 0
; COMPUTE_PGM_RSRC2:TGID_Z_EN: 0
; COMPUTE_PGM_RSRC2:TIDIG_COMP_CNT: 0
; COMPUTE_PGM_RSRC3_GFX90A:ACCUM_OFFSET: 0
; COMPUTE_PGM_RSRC3_GFX90A:TG_SPLIT: 0
	.section	.text._ZN7rocprim17ROCPRIM_400000_NS6detail17trampoline_kernelINS0_14default_configENS1_35radix_sort_onesweep_config_selectorIyNS0_10empty_typeEEEZNS1_34radix_sort_onesweep_global_offsetsIS3_Lb0EN6thrust23THRUST_200600_302600_NS6detail15normal_iteratorINS9_10device_ptrIyEEEEPS5_jNS0_19identity_decomposerEEE10hipError_tT1_T2_PT3_SK_jT4_jjP12ihipStream_tbEUlT_E0_NS1_11comp_targetILNS1_3genE5ELNS1_11target_archE942ELNS1_3gpuE9ELNS1_3repE0EEENS1_52radix_sort_onesweep_histogram_config_static_selectorELNS0_4arch9wavefront6targetE1EEEvSI_,"axG",@progbits,_ZN7rocprim17ROCPRIM_400000_NS6detail17trampoline_kernelINS0_14default_configENS1_35radix_sort_onesweep_config_selectorIyNS0_10empty_typeEEEZNS1_34radix_sort_onesweep_global_offsetsIS3_Lb0EN6thrust23THRUST_200600_302600_NS6detail15normal_iteratorINS9_10device_ptrIyEEEEPS5_jNS0_19identity_decomposerEEE10hipError_tT1_T2_PT3_SK_jT4_jjP12ihipStream_tbEUlT_E0_NS1_11comp_targetILNS1_3genE5ELNS1_11target_archE942ELNS1_3gpuE9ELNS1_3repE0EEENS1_52radix_sort_onesweep_histogram_config_static_selectorELNS0_4arch9wavefront6targetE1EEEvSI_,comdat
	.protected	_ZN7rocprim17ROCPRIM_400000_NS6detail17trampoline_kernelINS0_14default_configENS1_35radix_sort_onesweep_config_selectorIyNS0_10empty_typeEEEZNS1_34radix_sort_onesweep_global_offsetsIS3_Lb0EN6thrust23THRUST_200600_302600_NS6detail15normal_iteratorINS9_10device_ptrIyEEEEPS5_jNS0_19identity_decomposerEEE10hipError_tT1_T2_PT3_SK_jT4_jjP12ihipStream_tbEUlT_E0_NS1_11comp_targetILNS1_3genE5ELNS1_11target_archE942ELNS1_3gpuE9ELNS1_3repE0EEENS1_52radix_sort_onesweep_histogram_config_static_selectorELNS0_4arch9wavefront6targetE1EEEvSI_ ; -- Begin function _ZN7rocprim17ROCPRIM_400000_NS6detail17trampoline_kernelINS0_14default_configENS1_35radix_sort_onesweep_config_selectorIyNS0_10empty_typeEEEZNS1_34radix_sort_onesweep_global_offsetsIS3_Lb0EN6thrust23THRUST_200600_302600_NS6detail15normal_iteratorINS9_10device_ptrIyEEEEPS5_jNS0_19identity_decomposerEEE10hipError_tT1_T2_PT3_SK_jT4_jjP12ihipStream_tbEUlT_E0_NS1_11comp_targetILNS1_3genE5ELNS1_11target_archE942ELNS1_3gpuE9ELNS1_3repE0EEENS1_52radix_sort_onesweep_histogram_config_static_selectorELNS0_4arch9wavefront6targetE1EEEvSI_
	.globl	_ZN7rocprim17ROCPRIM_400000_NS6detail17trampoline_kernelINS0_14default_configENS1_35radix_sort_onesweep_config_selectorIyNS0_10empty_typeEEEZNS1_34radix_sort_onesweep_global_offsetsIS3_Lb0EN6thrust23THRUST_200600_302600_NS6detail15normal_iteratorINS9_10device_ptrIyEEEEPS5_jNS0_19identity_decomposerEEE10hipError_tT1_T2_PT3_SK_jT4_jjP12ihipStream_tbEUlT_E0_NS1_11comp_targetILNS1_3genE5ELNS1_11target_archE942ELNS1_3gpuE9ELNS1_3repE0EEENS1_52radix_sort_onesweep_histogram_config_static_selectorELNS0_4arch9wavefront6targetE1EEEvSI_
	.p2align	8
	.type	_ZN7rocprim17ROCPRIM_400000_NS6detail17trampoline_kernelINS0_14default_configENS1_35radix_sort_onesweep_config_selectorIyNS0_10empty_typeEEEZNS1_34radix_sort_onesweep_global_offsetsIS3_Lb0EN6thrust23THRUST_200600_302600_NS6detail15normal_iteratorINS9_10device_ptrIyEEEEPS5_jNS0_19identity_decomposerEEE10hipError_tT1_T2_PT3_SK_jT4_jjP12ihipStream_tbEUlT_E0_NS1_11comp_targetILNS1_3genE5ELNS1_11target_archE942ELNS1_3gpuE9ELNS1_3repE0EEENS1_52radix_sort_onesweep_histogram_config_static_selectorELNS0_4arch9wavefront6targetE1EEEvSI_,@function
_ZN7rocprim17ROCPRIM_400000_NS6detail17trampoline_kernelINS0_14default_configENS1_35radix_sort_onesweep_config_selectorIyNS0_10empty_typeEEEZNS1_34radix_sort_onesweep_global_offsetsIS3_Lb0EN6thrust23THRUST_200600_302600_NS6detail15normal_iteratorINS9_10device_ptrIyEEEEPS5_jNS0_19identity_decomposerEEE10hipError_tT1_T2_PT3_SK_jT4_jjP12ihipStream_tbEUlT_E0_NS1_11comp_targetILNS1_3genE5ELNS1_11target_archE942ELNS1_3gpuE9ELNS1_3repE0EEENS1_52radix_sort_onesweep_histogram_config_static_selectorELNS0_4arch9wavefront6targetE1EEEvSI_: ; @_ZN7rocprim17ROCPRIM_400000_NS6detail17trampoline_kernelINS0_14default_configENS1_35radix_sort_onesweep_config_selectorIyNS0_10empty_typeEEEZNS1_34radix_sort_onesweep_global_offsetsIS3_Lb0EN6thrust23THRUST_200600_302600_NS6detail15normal_iteratorINS9_10device_ptrIyEEEEPS5_jNS0_19identity_decomposerEEE10hipError_tT1_T2_PT3_SK_jT4_jjP12ihipStream_tbEUlT_E0_NS1_11comp_targetILNS1_3genE5ELNS1_11target_archE942ELNS1_3gpuE9ELNS1_3repE0EEENS1_52radix_sort_onesweep_histogram_config_static_selectorELNS0_4arch9wavefront6targetE1EEEvSI_
; %bb.0:
	.section	.rodata,"a",@progbits
	.p2align	6, 0x0
	.amdhsa_kernel _ZN7rocprim17ROCPRIM_400000_NS6detail17trampoline_kernelINS0_14default_configENS1_35radix_sort_onesweep_config_selectorIyNS0_10empty_typeEEEZNS1_34radix_sort_onesweep_global_offsetsIS3_Lb0EN6thrust23THRUST_200600_302600_NS6detail15normal_iteratorINS9_10device_ptrIyEEEEPS5_jNS0_19identity_decomposerEEE10hipError_tT1_T2_PT3_SK_jT4_jjP12ihipStream_tbEUlT_E0_NS1_11comp_targetILNS1_3genE5ELNS1_11target_archE942ELNS1_3gpuE9ELNS1_3repE0EEENS1_52radix_sort_onesweep_histogram_config_static_selectorELNS0_4arch9wavefront6targetE1EEEvSI_
		.amdhsa_group_segment_fixed_size 0
		.amdhsa_private_segment_fixed_size 0
		.amdhsa_kernarg_size 8
		.amdhsa_user_sgpr_count 6
		.amdhsa_user_sgpr_private_segment_buffer 1
		.amdhsa_user_sgpr_dispatch_ptr 0
		.amdhsa_user_sgpr_queue_ptr 0
		.amdhsa_user_sgpr_kernarg_segment_ptr 1
		.amdhsa_user_sgpr_dispatch_id 0
		.amdhsa_user_sgpr_flat_scratch_init 0
		.amdhsa_user_sgpr_kernarg_preload_length 0
		.amdhsa_user_sgpr_kernarg_preload_offset 0
		.amdhsa_user_sgpr_private_segment_size 0
		.amdhsa_uses_dynamic_stack 0
		.amdhsa_system_sgpr_private_segment_wavefront_offset 0
		.amdhsa_system_sgpr_workgroup_id_x 1
		.amdhsa_system_sgpr_workgroup_id_y 0
		.amdhsa_system_sgpr_workgroup_id_z 0
		.amdhsa_system_sgpr_workgroup_info 0
		.amdhsa_system_vgpr_workitem_id 0
		.amdhsa_next_free_vgpr 1
		.amdhsa_next_free_sgpr 0
		.amdhsa_accum_offset 4
		.amdhsa_reserve_vcc 0
		.amdhsa_reserve_flat_scratch 0
		.amdhsa_float_round_mode_32 0
		.amdhsa_float_round_mode_16_64 0
		.amdhsa_float_denorm_mode_32 3
		.amdhsa_float_denorm_mode_16_64 3
		.amdhsa_dx10_clamp 1
		.amdhsa_ieee_mode 1
		.amdhsa_fp16_overflow 0
		.amdhsa_tg_split 0
		.amdhsa_exception_fp_ieee_invalid_op 0
		.amdhsa_exception_fp_denorm_src 0
		.amdhsa_exception_fp_ieee_div_zero 0
		.amdhsa_exception_fp_ieee_overflow 0
		.amdhsa_exception_fp_ieee_underflow 0
		.amdhsa_exception_fp_ieee_inexact 0
		.amdhsa_exception_int_div_zero 0
	.end_amdhsa_kernel
	.section	.text._ZN7rocprim17ROCPRIM_400000_NS6detail17trampoline_kernelINS0_14default_configENS1_35radix_sort_onesweep_config_selectorIyNS0_10empty_typeEEEZNS1_34radix_sort_onesweep_global_offsetsIS3_Lb0EN6thrust23THRUST_200600_302600_NS6detail15normal_iteratorINS9_10device_ptrIyEEEEPS5_jNS0_19identity_decomposerEEE10hipError_tT1_T2_PT3_SK_jT4_jjP12ihipStream_tbEUlT_E0_NS1_11comp_targetILNS1_3genE5ELNS1_11target_archE942ELNS1_3gpuE9ELNS1_3repE0EEENS1_52radix_sort_onesweep_histogram_config_static_selectorELNS0_4arch9wavefront6targetE1EEEvSI_,"axG",@progbits,_ZN7rocprim17ROCPRIM_400000_NS6detail17trampoline_kernelINS0_14default_configENS1_35radix_sort_onesweep_config_selectorIyNS0_10empty_typeEEEZNS1_34radix_sort_onesweep_global_offsetsIS3_Lb0EN6thrust23THRUST_200600_302600_NS6detail15normal_iteratorINS9_10device_ptrIyEEEEPS5_jNS0_19identity_decomposerEEE10hipError_tT1_T2_PT3_SK_jT4_jjP12ihipStream_tbEUlT_E0_NS1_11comp_targetILNS1_3genE5ELNS1_11target_archE942ELNS1_3gpuE9ELNS1_3repE0EEENS1_52radix_sort_onesweep_histogram_config_static_selectorELNS0_4arch9wavefront6targetE1EEEvSI_,comdat
.Lfunc_end848:
	.size	_ZN7rocprim17ROCPRIM_400000_NS6detail17trampoline_kernelINS0_14default_configENS1_35radix_sort_onesweep_config_selectorIyNS0_10empty_typeEEEZNS1_34radix_sort_onesweep_global_offsetsIS3_Lb0EN6thrust23THRUST_200600_302600_NS6detail15normal_iteratorINS9_10device_ptrIyEEEEPS5_jNS0_19identity_decomposerEEE10hipError_tT1_T2_PT3_SK_jT4_jjP12ihipStream_tbEUlT_E0_NS1_11comp_targetILNS1_3genE5ELNS1_11target_archE942ELNS1_3gpuE9ELNS1_3repE0EEENS1_52radix_sort_onesweep_histogram_config_static_selectorELNS0_4arch9wavefront6targetE1EEEvSI_, .Lfunc_end848-_ZN7rocprim17ROCPRIM_400000_NS6detail17trampoline_kernelINS0_14default_configENS1_35radix_sort_onesweep_config_selectorIyNS0_10empty_typeEEEZNS1_34radix_sort_onesweep_global_offsetsIS3_Lb0EN6thrust23THRUST_200600_302600_NS6detail15normal_iteratorINS9_10device_ptrIyEEEEPS5_jNS0_19identity_decomposerEEE10hipError_tT1_T2_PT3_SK_jT4_jjP12ihipStream_tbEUlT_E0_NS1_11comp_targetILNS1_3genE5ELNS1_11target_archE942ELNS1_3gpuE9ELNS1_3repE0EEENS1_52radix_sort_onesweep_histogram_config_static_selectorELNS0_4arch9wavefront6targetE1EEEvSI_
                                        ; -- End function
	.section	.AMDGPU.csdata,"",@progbits
; Kernel info:
; codeLenInByte = 0
; NumSgprs: 4
; NumVgprs: 0
; NumAgprs: 0
; TotalNumVgprs: 0
; ScratchSize: 0
; MemoryBound: 0
; FloatMode: 240
; IeeeMode: 1
; LDSByteSize: 0 bytes/workgroup (compile time only)
; SGPRBlocks: 0
; VGPRBlocks: 0
; NumSGPRsForWavesPerEU: 4
; NumVGPRsForWavesPerEU: 1
; AccumOffset: 4
; Occupancy: 8
; WaveLimiterHint : 0
; COMPUTE_PGM_RSRC2:SCRATCH_EN: 0
; COMPUTE_PGM_RSRC2:USER_SGPR: 6
; COMPUTE_PGM_RSRC2:TRAP_HANDLER: 0
; COMPUTE_PGM_RSRC2:TGID_X_EN: 1
; COMPUTE_PGM_RSRC2:TGID_Y_EN: 0
; COMPUTE_PGM_RSRC2:TGID_Z_EN: 0
; COMPUTE_PGM_RSRC2:TIDIG_COMP_CNT: 0
; COMPUTE_PGM_RSRC3_GFX90A:ACCUM_OFFSET: 0
; COMPUTE_PGM_RSRC3_GFX90A:TG_SPLIT: 0
	.section	.text._ZN7rocprim17ROCPRIM_400000_NS6detail17trampoline_kernelINS0_14default_configENS1_35radix_sort_onesweep_config_selectorIyNS0_10empty_typeEEEZNS1_34radix_sort_onesweep_global_offsetsIS3_Lb0EN6thrust23THRUST_200600_302600_NS6detail15normal_iteratorINS9_10device_ptrIyEEEEPS5_jNS0_19identity_decomposerEEE10hipError_tT1_T2_PT3_SK_jT4_jjP12ihipStream_tbEUlT_E0_NS1_11comp_targetILNS1_3genE2ELNS1_11target_archE906ELNS1_3gpuE6ELNS1_3repE0EEENS1_52radix_sort_onesweep_histogram_config_static_selectorELNS0_4arch9wavefront6targetE1EEEvSI_,"axG",@progbits,_ZN7rocprim17ROCPRIM_400000_NS6detail17trampoline_kernelINS0_14default_configENS1_35radix_sort_onesweep_config_selectorIyNS0_10empty_typeEEEZNS1_34radix_sort_onesweep_global_offsetsIS3_Lb0EN6thrust23THRUST_200600_302600_NS6detail15normal_iteratorINS9_10device_ptrIyEEEEPS5_jNS0_19identity_decomposerEEE10hipError_tT1_T2_PT3_SK_jT4_jjP12ihipStream_tbEUlT_E0_NS1_11comp_targetILNS1_3genE2ELNS1_11target_archE906ELNS1_3gpuE6ELNS1_3repE0EEENS1_52radix_sort_onesweep_histogram_config_static_selectorELNS0_4arch9wavefront6targetE1EEEvSI_,comdat
	.protected	_ZN7rocprim17ROCPRIM_400000_NS6detail17trampoline_kernelINS0_14default_configENS1_35radix_sort_onesweep_config_selectorIyNS0_10empty_typeEEEZNS1_34radix_sort_onesweep_global_offsetsIS3_Lb0EN6thrust23THRUST_200600_302600_NS6detail15normal_iteratorINS9_10device_ptrIyEEEEPS5_jNS0_19identity_decomposerEEE10hipError_tT1_T2_PT3_SK_jT4_jjP12ihipStream_tbEUlT_E0_NS1_11comp_targetILNS1_3genE2ELNS1_11target_archE906ELNS1_3gpuE6ELNS1_3repE0EEENS1_52radix_sort_onesweep_histogram_config_static_selectorELNS0_4arch9wavefront6targetE1EEEvSI_ ; -- Begin function _ZN7rocprim17ROCPRIM_400000_NS6detail17trampoline_kernelINS0_14default_configENS1_35radix_sort_onesweep_config_selectorIyNS0_10empty_typeEEEZNS1_34radix_sort_onesweep_global_offsetsIS3_Lb0EN6thrust23THRUST_200600_302600_NS6detail15normal_iteratorINS9_10device_ptrIyEEEEPS5_jNS0_19identity_decomposerEEE10hipError_tT1_T2_PT3_SK_jT4_jjP12ihipStream_tbEUlT_E0_NS1_11comp_targetILNS1_3genE2ELNS1_11target_archE906ELNS1_3gpuE6ELNS1_3repE0EEENS1_52radix_sort_onesweep_histogram_config_static_selectorELNS0_4arch9wavefront6targetE1EEEvSI_
	.globl	_ZN7rocprim17ROCPRIM_400000_NS6detail17trampoline_kernelINS0_14default_configENS1_35radix_sort_onesweep_config_selectorIyNS0_10empty_typeEEEZNS1_34radix_sort_onesweep_global_offsetsIS3_Lb0EN6thrust23THRUST_200600_302600_NS6detail15normal_iteratorINS9_10device_ptrIyEEEEPS5_jNS0_19identity_decomposerEEE10hipError_tT1_T2_PT3_SK_jT4_jjP12ihipStream_tbEUlT_E0_NS1_11comp_targetILNS1_3genE2ELNS1_11target_archE906ELNS1_3gpuE6ELNS1_3repE0EEENS1_52radix_sort_onesweep_histogram_config_static_selectorELNS0_4arch9wavefront6targetE1EEEvSI_
	.p2align	8
	.type	_ZN7rocprim17ROCPRIM_400000_NS6detail17trampoline_kernelINS0_14default_configENS1_35radix_sort_onesweep_config_selectorIyNS0_10empty_typeEEEZNS1_34radix_sort_onesweep_global_offsetsIS3_Lb0EN6thrust23THRUST_200600_302600_NS6detail15normal_iteratorINS9_10device_ptrIyEEEEPS5_jNS0_19identity_decomposerEEE10hipError_tT1_T2_PT3_SK_jT4_jjP12ihipStream_tbEUlT_E0_NS1_11comp_targetILNS1_3genE2ELNS1_11target_archE906ELNS1_3gpuE6ELNS1_3repE0EEENS1_52radix_sort_onesweep_histogram_config_static_selectorELNS0_4arch9wavefront6targetE1EEEvSI_,@function
_ZN7rocprim17ROCPRIM_400000_NS6detail17trampoline_kernelINS0_14default_configENS1_35radix_sort_onesweep_config_selectorIyNS0_10empty_typeEEEZNS1_34radix_sort_onesweep_global_offsetsIS3_Lb0EN6thrust23THRUST_200600_302600_NS6detail15normal_iteratorINS9_10device_ptrIyEEEEPS5_jNS0_19identity_decomposerEEE10hipError_tT1_T2_PT3_SK_jT4_jjP12ihipStream_tbEUlT_E0_NS1_11comp_targetILNS1_3genE2ELNS1_11target_archE906ELNS1_3gpuE6ELNS1_3repE0EEENS1_52radix_sort_onesweep_histogram_config_static_selectorELNS0_4arch9wavefront6targetE1EEEvSI_: ; @_ZN7rocprim17ROCPRIM_400000_NS6detail17trampoline_kernelINS0_14default_configENS1_35radix_sort_onesweep_config_selectorIyNS0_10empty_typeEEEZNS1_34radix_sort_onesweep_global_offsetsIS3_Lb0EN6thrust23THRUST_200600_302600_NS6detail15normal_iteratorINS9_10device_ptrIyEEEEPS5_jNS0_19identity_decomposerEEE10hipError_tT1_T2_PT3_SK_jT4_jjP12ihipStream_tbEUlT_E0_NS1_11comp_targetILNS1_3genE2ELNS1_11target_archE906ELNS1_3gpuE6ELNS1_3repE0EEENS1_52radix_sort_onesweep_histogram_config_static_selectorELNS0_4arch9wavefront6targetE1EEEvSI_
; %bb.0:
	.section	.rodata,"a",@progbits
	.p2align	6, 0x0
	.amdhsa_kernel _ZN7rocprim17ROCPRIM_400000_NS6detail17trampoline_kernelINS0_14default_configENS1_35radix_sort_onesweep_config_selectorIyNS0_10empty_typeEEEZNS1_34radix_sort_onesweep_global_offsetsIS3_Lb0EN6thrust23THRUST_200600_302600_NS6detail15normal_iteratorINS9_10device_ptrIyEEEEPS5_jNS0_19identity_decomposerEEE10hipError_tT1_T2_PT3_SK_jT4_jjP12ihipStream_tbEUlT_E0_NS1_11comp_targetILNS1_3genE2ELNS1_11target_archE906ELNS1_3gpuE6ELNS1_3repE0EEENS1_52radix_sort_onesweep_histogram_config_static_selectorELNS0_4arch9wavefront6targetE1EEEvSI_
		.amdhsa_group_segment_fixed_size 0
		.amdhsa_private_segment_fixed_size 0
		.amdhsa_kernarg_size 8
		.amdhsa_user_sgpr_count 6
		.amdhsa_user_sgpr_private_segment_buffer 1
		.amdhsa_user_sgpr_dispatch_ptr 0
		.amdhsa_user_sgpr_queue_ptr 0
		.amdhsa_user_sgpr_kernarg_segment_ptr 1
		.amdhsa_user_sgpr_dispatch_id 0
		.amdhsa_user_sgpr_flat_scratch_init 0
		.amdhsa_user_sgpr_kernarg_preload_length 0
		.amdhsa_user_sgpr_kernarg_preload_offset 0
		.amdhsa_user_sgpr_private_segment_size 0
		.amdhsa_uses_dynamic_stack 0
		.amdhsa_system_sgpr_private_segment_wavefront_offset 0
		.amdhsa_system_sgpr_workgroup_id_x 1
		.amdhsa_system_sgpr_workgroup_id_y 0
		.amdhsa_system_sgpr_workgroup_id_z 0
		.amdhsa_system_sgpr_workgroup_info 0
		.amdhsa_system_vgpr_workitem_id 0
		.amdhsa_next_free_vgpr 1
		.amdhsa_next_free_sgpr 0
		.amdhsa_accum_offset 4
		.amdhsa_reserve_vcc 0
		.amdhsa_reserve_flat_scratch 0
		.amdhsa_float_round_mode_32 0
		.amdhsa_float_round_mode_16_64 0
		.amdhsa_float_denorm_mode_32 3
		.amdhsa_float_denorm_mode_16_64 3
		.amdhsa_dx10_clamp 1
		.amdhsa_ieee_mode 1
		.amdhsa_fp16_overflow 0
		.amdhsa_tg_split 0
		.amdhsa_exception_fp_ieee_invalid_op 0
		.amdhsa_exception_fp_denorm_src 0
		.amdhsa_exception_fp_ieee_div_zero 0
		.amdhsa_exception_fp_ieee_overflow 0
		.amdhsa_exception_fp_ieee_underflow 0
		.amdhsa_exception_fp_ieee_inexact 0
		.amdhsa_exception_int_div_zero 0
	.end_amdhsa_kernel
	.section	.text._ZN7rocprim17ROCPRIM_400000_NS6detail17trampoline_kernelINS0_14default_configENS1_35radix_sort_onesweep_config_selectorIyNS0_10empty_typeEEEZNS1_34radix_sort_onesweep_global_offsetsIS3_Lb0EN6thrust23THRUST_200600_302600_NS6detail15normal_iteratorINS9_10device_ptrIyEEEEPS5_jNS0_19identity_decomposerEEE10hipError_tT1_T2_PT3_SK_jT4_jjP12ihipStream_tbEUlT_E0_NS1_11comp_targetILNS1_3genE2ELNS1_11target_archE906ELNS1_3gpuE6ELNS1_3repE0EEENS1_52radix_sort_onesweep_histogram_config_static_selectorELNS0_4arch9wavefront6targetE1EEEvSI_,"axG",@progbits,_ZN7rocprim17ROCPRIM_400000_NS6detail17trampoline_kernelINS0_14default_configENS1_35radix_sort_onesweep_config_selectorIyNS0_10empty_typeEEEZNS1_34radix_sort_onesweep_global_offsetsIS3_Lb0EN6thrust23THRUST_200600_302600_NS6detail15normal_iteratorINS9_10device_ptrIyEEEEPS5_jNS0_19identity_decomposerEEE10hipError_tT1_T2_PT3_SK_jT4_jjP12ihipStream_tbEUlT_E0_NS1_11comp_targetILNS1_3genE2ELNS1_11target_archE906ELNS1_3gpuE6ELNS1_3repE0EEENS1_52radix_sort_onesweep_histogram_config_static_selectorELNS0_4arch9wavefront6targetE1EEEvSI_,comdat
.Lfunc_end849:
	.size	_ZN7rocprim17ROCPRIM_400000_NS6detail17trampoline_kernelINS0_14default_configENS1_35radix_sort_onesweep_config_selectorIyNS0_10empty_typeEEEZNS1_34radix_sort_onesweep_global_offsetsIS3_Lb0EN6thrust23THRUST_200600_302600_NS6detail15normal_iteratorINS9_10device_ptrIyEEEEPS5_jNS0_19identity_decomposerEEE10hipError_tT1_T2_PT3_SK_jT4_jjP12ihipStream_tbEUlT_E0_NS1_11comp_targetILNS1_3genE2ELNS1_11target_archE906ELNS1_3gpuE6ELNS1_3repE0EEENS1_52radix_sort_onesweep_histogram_config_static_selectorELNS0_4arch9wavefront6targetE1EEEvSI_, .Lfunc_end849-_ZN7rocprim17ROCPRIM_400000_NS6detail17trampoline_kernelINS0_14default_configENS1_35radix_sort_onesweep_config_selectorIyNS0_10empty_typeEEEZNS1_34radix_sort_onesweep_global_offsetsIS3_Lb0EN6thrust23THRUST_200600_302600_NS6detail15normal_iteratorINS9_10device_ptrIyEEEEPS5_jNS0_19identity_decomposerEEE10hipError_tT1_T2_PT3_SK_jT4_jjP12ihipStream_tbEUlT_E0_NS1_11comp_targetILNS1_3genE2ELNS1_11target_archE906ELNS1_3gpuE6ELNS1_3repE0EEENS1_52radix_sort_onesweep_histogram_config_static_selectorELNS0_4arch9wavefront6targetE1EEEvSI_
                                        ; -- End function
	.section	.AMDGPU.csdata,"",@progbits
; Kernel info:
; codeLenInByte = 0
; NumSgprs: 4
; NumVgprs: 0
; NumAgprs: 0
; TotalNumVgprs: 0
; ScratchSize: 0
; MemoryBound: 0
; FloatMode: 240
; IeeeMode: 1
; LDSByteSize: 0 bytes/workgroup (compile time only)
; SGPRBlocks: 0
; VGPRBlocks: 0
; NumSGPRsForWavesPerEU: 4
; NumVGPRsForWavesPerEU: 1
; AccumOffset: 4
; Occupancy: 8
; WaveLimiterHint : 0
; COMPUTE_PGM_RSRC2:SCRATCH_EN: 0
; COMPUTE_PGM_RSRC2:USER_SGPR: 6
; COMPUTE_PGM_RSRC2:TRAP_HANDLER: 0
; COMPUTE_PGM_RSRC2:TGID_X_EN: 1
; COMPUTE_PGM_RSRC2:TGID_Y_EN: 0
; COMPUTE_PGM_RSRC2:TGID_Z_EN: 0
; COMPUTE_PGM_RSRC2:TIDIG_COMP_CNT: 0
; COMPUTE_PGM_RSRC3_GFX90A:ACCUM_OFFSET: 0
; COMPUTE_PGM_RSRC3_GFX90A:TG_SPLIT: 0
	.section	.text._ZN7rocprim17ROCPRIM_400000_NS6detail17trampoline_kernelINS0_14default_configENS1_35radix_sort_onesweep_config_selectorIyNS0_10empty_typeEEEZNS1_34radix_sort_onesweep_global_offsetsIS3_Lb0EN6thrust23THRUST_200600_302600_NS6detail15normal_iteratorINS9_10device_ptrIyEEEEPS5_jNS0_19identity_decomposerEEE10hipError_tT1_T2_PT3_SK_jT4_jjP12ihipStream_tbEUlT_E0_NS1_11comp_targetILNS1_3genE4ELNS1_11target_archE910ELNS1_3gpuE8ELNS1_3repE0EEENS1_52radix_sort_onesweep_histogram_config_static_selectorELNS0_4arch9wavefront6targetE1EEEvSI_,"axG",@progbits,_ZN7rocprim17ROCPRIM_400000_NS6detail17trampoline_kernelINS0_14default_configENS1_35radix_sort_onesweep_config_selectorIyNS0_10empty_typeEEEZNS1_34radix_sort_onesweep_global_offsetsIS3_Lb0EN6thrust23THRUST_200600_302600_NS6detail15normal_iteratorINS9_10device_ptrIyEEEEPS5_jNS0_19identity_decomposerEEE10hipError_tT1_T2_PT3_SK_jT4_jjP12ihipStream_tbEUlT_E0_NS1_11comp_targetILNS1_3genE4ELNS1_11target_archE910ELNS1_3gpuE8ELNS1_3repE0EEENS1_52radix_sort_onesweep_histogram_config_static_selectorELNS0_4arch9wavefront6targetE1EEEvSI_,comdat
	.protected	_ZN7rocprim17ROCPRIM_400000_NS6detail17trampoline_kernelINS0_14default_configENS1_35radix_sort_onesweep_config_selectorIyNS0_10empty_typeEEEZNS1_34radix_sort_onesweep_global_offsetsIS3_Lb0EN6thrust23THRUST_200600_302600_NS6detail15normal_iteratorINS9_10device_ptrIyEEEEPS5_jNS0_19identity_decomposerEEE10hipError_tT1_T2_PT3_SK_jT4_jjP12ihipStream_tbEUlT_E0_NS1_11comp_targetILNS1_3genE4ELNS1_11target_archE910ELNS1_3gpuE8ELNS1_3repE0EEENS1_52radix_sort_onesweep_histogram_config_static_selectorELNS0_4arch9wavefront6targetE1EEEvSI_ ; -- Begin function _ZN7rocprim17ROCPRIM_400000_NS6detail17trampoline_kernelINS0_14default_configENS1_35radix_sort_onesweep_config_selectorIyNS0_10empty_typeEEEZNS1_34radix_sort_onesweep_global_offsetsIS3_Lb0EN6thrust23THRUST_200600_302600_NS6detail15normal_iteratorINS9_10device_ptrIyEEEEPS5_jNS0_19identity_decomposerEEE10hipError_tT1_T2_PT3_SK_jT4_jjP12ihipStream_tbEUlT_E0_NS1_11comp_targetILNS1_3genE4ELNS1_11target_archE910ELNS1_3gpuE8ELNS1_3repE0EEENS1_52radix_sort_onesweep_histogram_config_static_selectorELNS0_4arch9wavefront6targetE1EEEvSI_
	.globl	_ZN7rocprim17ROCPRIM_400000_NS6detail17trampoline_kernelINS0_14default_configENS1_35radix_sort_onesweep_config_selectorIyNS0_10empty_typeEEEZNS1_34radix_sort_onesweep_global_offsetsIS3_Lb0EN6thrust23THRUST_200600_302600_NS6detail15normal_iteratorINS9_10device_ptrIyEEEEPS5_jNS0_19identity_decomposerEEE10hipError_tT1_T2_PT3_SK_jT4_jjP12ihipStream_tbEUlT_E0_NS1_11comp_targetILNS1_3genE4ELNS1_11target_archE910ELNS1_3gpuE8ELNS1_3repE0EEENS1_52radix_sort_onesweep_histogram_config_static_selectorELNS0_4arch9wavefront6targetE1EEEvSI_
	.p2align	8
	.type	_ZN7rocprim17ROCPRIM_400000_NS6detail17trampoline_kernelINS0_14default_configENS1_35radix_sort_onesweep_config_selectorIyNS0_10empty_typeEEEZNS1_34radix_sort_onesweep_global_offsetsIS3_Lb0EN6thrust23THRUST_200600_302600_NS6detail15normal_iteratorINS9_10device_ptrIyEEEEPS5_jNS0_19identity_decomposerEEE10hipError_tT1_T2_PT3_SK_jT4_jjP12ihipStream_tbEUlT_E0_NS1_11comp_targetILNS1_3genE4ELNS1_11target_archE910ELNS1_3gpuE8ELNS1_3repE0EEENS1_52radix_sort_onesweep_histogram_config_static_selectorELNS0_4arch9wavefront6targetE1EEEvSI_,@function
_ZN7rocprim17ROCPRIM_400000_NS6detail17trampoline_kernelINS0_14default_configENS1_35radix_sort_onesweep_config_selectorIyNS0_10empty_typeEEEZNS1_34radix_sort_onesweep_global_offsetsIS3_Lb0EN6thrust23THRUST_200600_302600_NS6detail15normal_iteratorINS9_10device_ptrIyEEEEPS5_jNS0_19identity_decomposerEEE10hipError_tT1_T2_PT3_SK_jT4_jjP12ihipStream_tbEUlT_E0_NS1_11comp_targetILNS1_3genE4ELNS1_11target_archE910ELNS1_3gpuE8ELNS1_3repE0EEENS1_52radix_sort_onesweep_histogram_config_static_selectorELNS0_4arch9wavefront6targetE1EEEvSI_: ; @_ZN7rocprim17ROCPRIM_400000_NS6detail17trampoline_kernelINS0_14default_configENS1_35radix_sort_onesweep_config_selectorIyNS0_10empty_typeEEEZNS1_34radix_sort_onesweep_global_offsetsIS3_Lb0EN6thrust23THRUST_200600_302600_NS6detail15normal_iteratorINS9_10device_ptrIyEEEEPS5_jNS0_19identity_decomposerEEE10hipError_tT1_T2_PT3_SK_jT4_jjP12ihipStream_tbEUlT_E0_NS1_11comp_targetILNS1_3genE4ELNS1_11target_archE910ELNS1_3gpuE8ELNS1_3repE0EEENS1_52radix_sort_onesweep_histogram_config_static_selectorELNS0_4arch9wavefront6targetE1EEEvSI_
; %bb.0:
	s_load_dwordx2 s[0:1], s[4:5], 0x0
	s_lshl_b32 s2, s6, 8
	s_mov_b32 s3, 0
	s_lshl_b64 s[2:3], s[2:3], 2
	v_lshlrev_b32_e32 v1, 2, v0
	s_waitcnt lgkmcnt(0)
	s_add_u32 s10, s0, s2
	s_movk_i32 s0, 0x100
	s_addc_u32 s11, s1, s3
	v_cmp_gt_u32_e32 vcc, s0, v0
                                        ; implicit-def: $vgpr3
	s_and_saveexec_b64 s[0:1], vcc
	s_cbranch_execz .LBB850_2
; %bb.1:
	global_load_dword v3, v1, s[10:11]
.LBB850_2:
	s_or_b64 exec, exec, s[0:1]
	v_mbcnt_lo_u32_b32 v2, -1, 0
	v_mbcnt_hi_u32_b32 v2, -1, v2
	v_and_b32_e32 v4, 15, v2
	s_waitcnt vmcnt(0)
	v_mov_b32_dpp v5, v3 row_shr:1 row_mask:0xf bank_mask:0xf
	v_cmp_eq_u32_e64 s[0:1], 0, v4
	v_cndmask_b32_e64 v5, v5, 0, s[0:1]
	v_add_u32_e32 v3, v5, v3
	v_cmp_lt_u32_e64 s[2:3], 1, v4
	v_cmp_lt_u32_e64 s[4:5], 3, v4
	v_mov_b32_dpp v5, v3 row_shr:2 row_mask:0xf bank_mask:0xf
	v_cndmask_b32_e64 v5, 0, v5, s[2:3]
	v_add_u32_e32 v3, v3, v5
	v_cmp_lt_u32_e64 s[6:7], 7, v4
	v_cmp_lt_u32_e64 s[8:9], 31, v2
	v_mov_b32_dpp v5, v3 row_shr:4 row_mask:0xf bank_mask:0xf
	v_cndmask_b32_e64 v5, 0, v5, s[4:5]
	v_add_u32_e32 v3, v3, v5
	s_nop 1
	v_mov_b32_dpp v5, v3 row_shr:8 row_mask:0xf bank_mask:0xf
	v_cndmask_b32_e64 v4, 0, v5, s[6:7]
	v_add_u32_e32 v3, v3, v4
	v_bfe_i32 v5, v2, 4, 1
	s_nop 0
	v_mov_b32_dpp v4, v3 row_bcast:15 row_mask:0xf bank_mask:0xf
	v_and_b32_e32 v4, v5, v4
	v_add_u32_e32 v3, v3, v4
	v_and_b32_e32 v5, 63, v0
	s_nop 0
	v_mov_b32_dpp v4, v3 row_bcast:31 row_mask:0xf bank_mask:0xf
	v_cndmask_b32_e64 v4, 0, v4, s[8:9]
	v_add_u32_e32 v3, v3, v4
	v_lshrrev_b32_e32 v4, 6, v0
	v_cmp_eq_u32_e64 s[8:9], 63, v5
	s_and_saveexec_b64 s[12:13], s[8:9]
	s_cbranch_execz .LBB850_4
; %bb.3:
	v_lshlrev_b32_e32 v5, 2, v4
	ds_write_b32 v5, v3
.LBB850_4:
	s_or_b64 exec, exec, s[12:13]
	v_cmp_gt_u32_e64 s[8:9], 16, v0
	s_waitcnt lgkmcnt(0)
	s_barrier
	s_and_saveexec_b64 s[12:13], s[8:9]
	s_cbranch_execz .LBB850_6
; %bb.5:
	ds_read_b32 v5, v1
	s_waitcnt lgkmcnt(0)
	s_nop 0
	v_mov_b32_dpp v6, v5 row_shr:1 row_mask:0xf bank_mask:0xf
	v_cndmask_b32_e64 v6, v6, 0, s[0:1]
	v_add_u32_e32 v5, v6, v5
	s_nop 1
	v_mov_b32_dpp v6, v5 row_shr:2 row_mask:0xf bank_mask:0xf
	v_cndmask_b32_e64 v6, 0, v6, s[2:3]
	v_add_u32_e32 v5, v5, v6
	;; [unrolled: 4-line block ×4, first 2 shown]
	ds_write_b32 v1, v5
.LBB850_6:
	s_or_b64 exec, exec, s[12:13]
	v_cmp_lt_u32_e64 s[0:1], 63, v0
	v_mov_b32_e32 v0, 0
	s_waitcnt lgkmcnt(0)
	s_barrier
	s_and_saveexec_b64 s[2:3], s[0:1]
	s_cbranch_execz .LBB850_8
; %bb.7:
	v_lshl_add_u32 v0, v4, 2, -4
	ds_read_b32 v0, v0
.LBB850_8:
	s_or_b64 exec, exec, s[2:3]
	v_add_u32_e32 v4, -1, v2
	v_and_b32_e32 v5, 64, v2
	v_cmp_lt_i32_e64 s[0:1], v4, v5
	v_cndmask_b32_e64 v4, v4, v2, s[0:1]
	s_waitcnt lgkmcnt(0)
	v_add_u32_e32 v3, v0, v3
	v_lshlrev_b32_e32 v4, 2, v4
	ds_bpermute_b32 v3, v4, v3
	s_and_saveexec_b64 s[0:1], vcc
	s_cbranch_execz .LBB850_10
; %bb.9:
	v_cmp_eq_u32_e32 vcc, 0, v2
	s_waitcnt lgkmcnt(0)
	v_cndmask_b32_e32 v0, v3, v0, vcc
	global_store_dword v1, v0, s[10:11]
.LBB850_10:
	s_endpgm
	.section	.rodata,"a",@progbits
	.p2align	6, 0x0
	.amdhsa_kernel _ZN7rocprim17ROCPRIM_400000_NS6detail17trampoline_kernelINS0_14default_configENS1_35radix_sort_onesweep_config_selectorIyNS0_10empty_typeEEEZNS1_34radix_sort_onesweep_global_offsetsIS3_Lb0EN6thrust23THRUST_200600_302600_NS6detail15normal_iteratorINS9_10device_ptrIyEEEEPS5_jNS0_19identity_decomposerEEE10hipError_tT1_T2_PT3_SK_jT4_jjP12ihipStream_tbEUlT_E0_NS1_11comp_targetILNS1_3genE4ELNS1_11target_archE910ELNS1_3gpuE8ELNS1_3repE0EEENS1_52radix_sort_onesweep_histogram_config_static_selectorELNS0_4arch9wavefront6targetE1EEEvSI_
		.amdhsa_group_segment_fixed_size 64
		.amdhsa_private_segment_fixed_size 0
		.amdhsa_kernarg_size 8
		.amdhsa_user_sgpr_count 6
		.amdhsa_user_sgpr_private_segment_buffer 1
		.amdhsa_user_sgpr_dispatch_ptr 0
		.amdhsa_user_sgpr_queue_ptr 0
		.amdhsa_user_sgpr_kernarg_segment_ptr 1
		.amdhsa_user_sgpr_dispatch_id 0
		.amdhsa_user_sgpr_flat_scratch_init 0
		.amdhsa_user_sgpr_kernarg_preload_length 0
		.amdhsa_user_sgpr_kernarg_preload_offset 0
		.amdhsa_user_sgpr_private_segment_size 0
		.amdhsa_uses_dynamic_stack 0
		.amdhsa_system_sgpr_private_segment_wavefront_offset 0
		.amdhsa_system_sgpr_workgroup_id_x 1
		.amdhsa_system_sgpr_workgroup_id_y 0
		.amdhsa_system_sgpr_workgroup_id_z 0
		.amdhsa_system_sgpr_workgroup_info 0
		.amdhsa_system_vgpr_workitem_id 0
		.amdhsa_next_free_vgpr 7
		.amdhsa_next_free_sgpr 14
		.amdhsa_accum_offset 8
		.amdhsa_reserve_vcc 1
		.amdhsa_reserve_flat_scratch 0
		.amdhsa_float_round_mode_32 0
		.amdhsa_float_round_mode_16_64 0
		.amdhsa_float_denorm_mode_32 3
		.amdhsa_float_denorm_mode_16_64 3
		.amdhsa_dx10_clamp 1
		.amdhsa_ieee_mode 1
		.amdhsa_fp16_overflow 0
		.amdhsa_tg_split 0
		.amdhsa_exception_fp_ieee_invalid_op 0
		.amdhsa_exception_fp_denorm_src 0
		.amdhsa_exception_fp_ieee_div_zero 0
		.amdhsa_exception_fp_ieee_overflow 0
		.amdhsa_exception_fp_ieee_underflow 0
		.amdhsa_exception_fp_ieee_inexact 0
		.amdhsa_exception_int_div_zero 0
	.end_amdhsa_kernel
	.section	.text._ZN7rocprim17ROCPRIM_400000_NS6detail17trampoline_kernelINS0_14default_configENS1_35radix_sort_onesweep_config_selectorIyNS0_10empty_typeEEEZNS1_34radix_sort_onesweep_global_offsetsIS3_Lb0EN6thrust23THRUST_200600_302600_NS6detail15normal_iteratorINS9_10device_ptrIyEEEEPS5_jNS0_19identity_decomposerEEE10hipError_tT1_T2_PT3_SK_jT4_jjP12ihipStream_tbEUlT_E0_NS1_11comp_targetILNS1_3genE4ELNS1_11target_archE910ELNS1_3gpuE8ELNS1_3repE0EEENS1_52radix_sort_onesweep_histogram_config_static_selectorELNS0_4arch9wavefront6targetE1EEEvSI_,"axG",@progbits,_ZN7rocprim17ROCPRIM_400000_NS6detail17trampoline_kernelINS0_14default_configENS1_35radix_sort_onesweep_config_selectorIyNS0_10empty_typeEEEZNS1_34radix_sort_onesweep_global_offsetsIS3_Lb0EN6thrust23THRUST_200600_302600_NS6detail15normal_iteratorINS9_10device_ptrIyEEEEPS5_jNS0_19identity_decomposerEEE10hipError_tT1_T2_PT3_SK_jT4_jjP12ihipStream_tbEUlT_E0_NS1_11comp_targetILNS1_3genE4ELNS1_11target_archE910ELNS1_3gpuE8ELNS1_3repE0EEENS1_52radix_sort_onesweep_histogram_config_static_selectorELNS0_4arch9wavefront6targetE1EEEvSI_,comdat
.Lfunc_end850:
	.size	_ZN7rocprim17ROCPRIM_400000_NS6detail17trampoline_kernelINS0_14default_configENS1_35radix_sort_onesweep_config_selectorIyNS0_10empty_typeEEEZNS1_34radix_sort_onesweep_global_offsetsIS3_Lb0EN6thrust23THRUST_200600_302600_NS6detail15normal_iteratorINS9_10device_ptrIyEEEEPS5_jNS0_19identity_decomposerEEE10hipError_tT1_T2_PT3_SK_jT4_jjP12ihipStream_tbEUlT_E0_NS1_11comp_targetILNS1_3genE4ELNS1_11target_archE910ELNS1_3gpuE8ELNS1_3repE0EEENS1_52radix_sort_onesweep_histogram_config_static_selectorELNS0_4arch9wavefront6targetE1EEEvSI_, .Lfunc_end850-_ZN7rocprim17ROCPRIM_400000_NS6detail17trampoline_kernelINS0_14default_configENS1_35radix_sort_onesweep_config_selectorIyNS0_10empty_typeEEEZNS1_34radix_sort_onesweep_global_offsetsIS3_Lb0EN6thrust23THRUST_200600_302600_NS6detail15normal_iteratorINS9_10device_ptrIyEEEEPS5_jNS0_19identity_decomposerEEE10hipError_tT1_T2_PT3_SK_jT4_jjP12ihipStream_tbEUlT_E0_NS1_11comp_targetILNS1_3genE4ELNS1_11target_archE910ELNS1_3gpuE8ELNS1_3repE0EEENS1_52radix_sort_onesweep_histogram_config_static_selectorELNS0_4arch9wavefront6targetE1EEEvSI_
                                        ; -- End function
	.section	.AMDGPU.csdata,"",@progbits
; Kernel info:
; codeLenInByte = 572
; NumSgprs: 18
; NumVgprs: 7
; NumAgprs: 0
; TotalNumVgprs: 7
; ScratchSize: 0
; MemoryBound: 0
; FloatMode: 240
; IeeeMode: 1
; LDSByteSize: 64 bytes/workgroup (compile time only)
; SGPRBlocks: 2
; VGPRBlocks: 0
; NumSGPRsForWavesPerEU: 18
; NumVGPRsForWavesPerEU: 7
; AccumOffset: 8
; Occupancy: 8
; WaveLimiterHint : 0
; COMPUTE_PGM_RSRC2:SCRATCH_EN: 0
; COMPUTE_PGM_RSRC2:USER_SGPR: 6
; COMPUTE_PGM_RSRC2:TRAP_HANDLER: 0
; COMPUTE_PGM_RSRC2:TGID_X_EN: 1
; COMPUTE_PGM_RSRC2:TGID_Y_EN: 0
; COMPUTE_PGM_RSRC2:TGID_Z_EN: 0
; COMPUTE_PGM_RSRC2:TIDIG_COMP_CNT: 0
; COMPUTE_PGM_RSRC3_GFX90A:ACCUM_OFFSET: 1
; COMPUTE_PGM_RSRC3_GFX90A:TG_SPLIT: 0
	.section	.text._ZN7rocprim17ROCPRIM_400000_NS6detail17trampoline_kernelINS0_14default_configENS1_35radix_sort_onesweep_config_selectorIyNS0_10empty_typeEEEZNS1_34radix_sort_onesweep_global_offsetsIS3_Lb0EN6thrust23THRUST_200600_302600_NS6detail15normal_iteratorINS9_10device_ptrIyEEEEPS5_jNS0_19identity_decomposerEEE10hipError_tT1_T2_PT3_SK_jT4_jjP12ihipStream_tbEUlT_E0_NS1_11comp_targetILNS1_3genE3ELNS1_11target_archE908ELNS1_3gpuE7ELNS1_3repE0EEENS1_52radix_sort_onesweep_histogram_config_static_selectorELNS0_4arch9wavefront6targetE1EEEvSI_,"axG",@progbits,_ZN7rocprim17ROCPRIM_400000_NS6detail17trampoline_kernelINS0_14default_configENS1_35radix_sort_onesweep_config_selectorIyNS0_10empty_typeEEEZNS1_34radix_sort_onesweep_global_offsetsIS3_Lb0EN6thrust23THRUST_200600_302600_NS6detail15normal_iteratorINS9_10device_ptrIyEEEEPS5_jNS0_19identity_decomposerEEE10hipError_tT1_T2_PT3_SK_jT4_jjP12ihipStream_tbEUlT_E0_NS1_11comp_targetILNS1_3genE3ELNS1_11target_archE908ELNS1_3gpuE7ELNS1_3repE0EEENS1_52radix_sort_onesweep_histogram_config_static_selectorELNS0_4arch9wavefront6targetE1EEEvSI_,comdat
	.protected	_ZN7rocprim17ROCPRIM_400000_NS6detail17trampoline_kernelINS0_14default_configENS1_35radix_sort_onesweep_config_selectorIyNS0_10empty_typeEEEZNS1_34radix_sort_onesweep_global_offsetsIS3_Lb0EN6thrust23THRUST_200600_302600_NS6detail15normal_iteratorINS9_10device_ptrIyEEEEPS5_jNS0_19identity_decomposerEEE10hipError_tT1_T2_PT3_SK_jT4_jjP12ihipStream_tbEUlT_E0_NS1_11comp_targetILNS1_3genE3ELNS1_11target_archE908ELNS1_3gpuE7ELNS1_3repE0EEENS1_52radix_sort_onesweep_histogram_config_static_selectorELNS0_4arch9wavefront6targetE1EEEvSI_ ; -- Begin function _ZN7rocprim17ROCPRIM_400000_NS6detail17trampoline_kernelINS0_14default_configENS1_35radix_sort_onesweep_config_selectorIyNS0_10empty_typeEEEZNS1_34radix_sort_onesweep_global_offsetsIS3_Lb0EN6thrust23THRUST_200600_302600_NS6detail15normal_iteratorINS9_10device_ptrIyEEEEPS5_jNS0_19identity_decomposerEEE10hipError_tT1_T2_PT3_SK_jT4_jjP12ihipStream_tbEUlT_E0_NS1_11comp_targetILNS1_3genE3ELNS1_11target_archE908ELNS1_3gpuE7ELNS1_3repE0EEENS1_52radix_sort_onesweep_histogram_config_static_selectorELNS0_4arch9wavefront6targetE1EEEvSI_
	.globl	_ZN7rocprim17ROCPRIM_400000_NS6detail17trampoline_kernelINS0_14default_configENS1_35radix_sort_onesweep_config_selectorIyNS0_10empty_typeEEEZNS1_34radix_sort_onesweep_global_offsetsIS3_Lb0EN6thrust23THRUST_200600_302600_NS6detail15normal_iteratorINS9_10device_ptrIyEEEEPS5_jNS0_19identity_decomposerEEE10hipError_tT1_T2_PT3_SK_jT4_jjP12ihipStream_tbEUlT_E0_NS1_11comp_targetILNS1_3genE3ELNS1_11target_archE908ELNS1_3gpuE7ELNS1_3repE0EEENS1_52radix_sort_onesweep_histogram_config_static_selectorELNS0_4arch9wavefront6targetE1EEEvSI_
	.p2align	8
	.type	_ZN7rocprim17ROCPRIM_400000_NS6detail17trampoline_kernelINS0_14default_configENS1_35radix_sort_onesweep_config_selectorIyNS0_10empty_typeEEEZNS1_34radix_sort_onesweep_global_offsetsIS3_Lb0EN6thrust23THRUST_200600_302600_NS6detail15normal_iteratorINS9_10device_ptrIyEEEEPS5_jNS0_19identity_decomposerEEE10hipError_tT1_T2_PT3_SK_jT4_jjP12ihipStream_tbEUlT_E0_NS1_11comp_targetILNS1_3genE3ELNS1_11target_archE908ELNS1_3gpuE7ELNS1_3repE0EEENS1_52radix_sort_onesweep_histogram_config_static_selectorELNS0_4arch9wavefront6targetE1EEEvSI_,@function
_ZN7rocprim17ROCPRIM_400000_NS6detail17trampoline_kernelINS0_14default_configENS1_35radix_sort_onesweep_config_selectorIyNS0_10empty_typeEEEZNS1_34radix_sort_onesweep_global_offsetsIS3_Lb0EN6thrust23THRUST_200600_302600_NS6detail15normal_iteratorINS9_10device_ptrIyEEEEPS5_jNS0_19identity_decomposerEEE10hipError_tT1_T2_PT3_SK_jT4_jjP12ihipStream_tbEUlT_E0_NS1_11comp_targetILNS1_3genE3ELNS1_11target_archE908ELNS1_3gpuE7ELNS1_3repE0EEENS1_52radix_sort_onesweep_histogram_config_static_selectorELNS0_4arch9wavefront6targetE1EEEvSI_: ; @_ZN7rocprim17ROCPRIM_400000_NS6detail17trampoline_kernelINS0_14default_configENS1_35radix_sort_onesweep_config_selectorIyNS0_10empty_typeEEEZNS1_34radix_sort_onesweep_global_offsetsIS3_Lb0EN6thrust23THRUST_200600_302600_NS6detail15normal_iteratorINS9_10device_ptrIyEEEEPS5_jNS0_19identity_decomposerEEE10hipError_tT1_T2_PT3_SK_jT4_jjP12ihipStream_tbEUlT_E0_NS1_11comp_targetILNS1_3genE3ELNS1_11target_archE908ELNS1_3gpuE7ELNS1_3repE0EEENS1_52radix_sort_onesweep_histogram_config_static_selectorELNS0_4arch9wavefront6targetE1EEEvSI_
; %bb.0:
	.section	.rodata,"a",@progbits
	.p2align	6, 0x0
	.amdhsa_kernel _ZN7rocprim17ROCPRIM_400000_NS6detail17trampoline_kernelINS0_14default_configENS1_35radix_sort_onesweep_config_selectorIyNS0_10empty_typeEEEZNS1_34radix_sort_onesweep_global_offsetsIS3_Lb0EN6thrust23THRUST_200600_302600_NS6detail15normal_iteratorINS9_10device_ptrIyEEEEPS5_jNS0_19identity_decomposerEEE10hipError_tT1_T2_PT3_SK_jT4_jjP12ihipStream_tbEUlT_E0_NS1_11comp_targetILNS1_3genE3ELNS1_11target_archE908ELNS1_3gpuE7ELNS1_3repE0EEENS1_52radix_sort_onesweep_histogram_config_static_selectorELNS0_4arch9wavefront6targetE1EEEvSI_
		.amdhsa_group_segment_fixed_size 0
		.amdhsa_private_segment_fixed_size 0
		.amdhsa_kernarg_size 8
		.amdhsa_user_sgpr_count 6
		.amdhsa_user_sgpr_private_segment_buffer 1
		.amdhsa_user_sgpr_dispatch_ptr 0
		.amdhsa_user_sgpr_queue_ptr 0
		.amdhsa_user_sgpr_kernarg_segment_ptr 1
		.amdhsa_user_sgpr_dispatch_id 0
		.amdhsa_user_sgpr_flat_scratch_init 0
		.amdhsa_user_sgpr_kernarg_preload_length 0
		.amdhsa_user_sgpr_kernarg_preload_offset 0
		.amdhsa_user_sgpr_private_segment_size 0
		.amdhsa_uses_dynamic_stack 0
		.amdhsa_system_sgpr_private_segment_wavefront_offset 0
		.amdhsa_system_sgpr_workgroup_id_x 1
		.amdhsa_system_sgpr_workgroup_id_y 0
		.amdhsa_system_sgpr_workgroup_id_z 0
		.amdhsa_system_sgpr_workgroup_info 0
		.amdhsa_system_vgpr_workitem_id 0
		.amdhsa_next_free_vgpr 1
		.amdhsa_next_free_sgpr 0
		.amdhsa_accum_offset 4
		.amdhsa_reserve_vcc 0
		.amdhsa_reserve_flat_scratch 0
		.amdhsa_float_round_mode_32 0
		.amdhsa_float_round_mode_16_64 0
		.amdhsa_float_denorm_mode_32 3
		.amdhsa_float_denorm_mode_16_64 3
		.amdhsa_dx10_clamp 1
		.amdhsa_ieee_mode 1
		.amdhsa_fp16_overflow 0
		.amdhsa_tg_split 0
		.amdhsa_exception_fp_ieee_invalid_op 0
		.amdhsa_exception_fp_denorm_src 0
		.amdhsa_exception_fp_ieee_div_zero 0
		.amdhsa_exception_fp_ieee_overflow 0
		.amdhsa_exception_fp_ieee_underflow 0
		.amdhsa_exception_fp_ieee_inexact 0
		.amdhsa_exception_int_div_zero 0
	.end_amdhsa_kernel
	.section	.text._ZN7rocprim17ROCPRIM_400000_NS6detail17trampoline_kernelINS0_14default_configENS1_35radix_sort_onesweep_config_selectorIyNS0_10empty_typeEEEZNS1_34radix_sort_onesweep_global_offsetsIS3_Lb0EN6thrust23THRUST_200600_302600_NS6detail15normal_iteratorINS9_10device_ptrIyEEEEPS5_jNS0_19identity_decomposerEEE10hipError_tT1_T2_PT3_SK_jT4_jjP12ihipStream_tbEUlT_E0_NS1_11comp_targetILNS1_3genE3ELNS1_11target_archE908ELNS1_3gpuE7ELNS1_3repE0EEENS1_52radix_sort_onesweep_histogram_config_static_selectorELNS0_4arch9wavefront6targetE1EEEvSI_,"axG",@progbits,_ZN7rocprim17ROCPRIM_400000_NS6detail17trampoline_kernelINS0_14default_configENS1_35radix_sort_onesweep_config_selectorIyNS0_10empty_typeEEEZNS1_34radix_sort_onesweep_global_offsetsIS3_Lb0EN6thrust23THRUST_200600_302600_NS6detail15normal_iteratorINS9_10device_ptrIyEEEEPS5_jNS0_19identity_decomposerEEE10hipError_tT1_T2_PT3_SK_jT4_jjP12ihipStream_tbEUlT_E0_NS1_11comp_targetILNS1_3genE3ELNS1_11target_archE908ELNS1_3gpuE7ELNS1_3repE0EEENS1_52radix_sort_onesweep_histogram_config_static_selectorELNS0_4arch9wavefront6targetE1EEEvSI_,comdat
.Lfunc_end851:
	.size	_ZN7rocprim17ROCPRIM_400000_NS6detail17trampoline_kernelINS0_14default_configENS1_35radix_sort_onesweep_config_selectorIyNS0_10empty_typeEEEZNS1_34radix_sort_onesweep_global_offsetsIS3_Lb0EN6thrust23THRUST_200600_302600_NS6detail15normal_iteratorINS9_10device_ptrIyEEEEPS5_jNS0_19identity_decomposerEEE10hipError_tT1_T2_PT3_SK_jT4_jjP12ihipStream_tbEUlT_E0_NS1_11comp_targetILNS1_3genE3ELNS1_11target_archE908ELNS1_3gpuE7ELNS1_3repE0EEENS1_52radix_sort_onesweep_histogram_config_static_selectorELNS0_4arch9wavefront6targetE1EEEvSI_, .Lfunc_end851-_ZN7rocprim17ROCPRIM_400000_NS6detail17trampoline_kernelINS0_14default_configENS1_35radix_sort_onesweep_config_selectorIyNS0_10empty_typeEEEZNS1_34radix_sort_onesweep_global_offsetsIS3_Lb0EN6thrust23THRUST_200600_302600_NS6detail15normal_iteratorINS9_10device_ptrIyEEEEPS5_jNS0_19identity_decomposerEEE10hipError_tT1_T2_PT3_SK_jT4_jjP12ihipStream_tbEUlT_E0_NS1_11comp_targetILNS1_3genE3ELNS1_11target_archE908ELNS1_3gpuE7ELNS1_3repE0EEENS1_52radix_sort_onesweep_histogram_config_static_selectorELNS0_4arch9wavefront6targetE1EEEvSI_
                                        ; -- End function
	.section	.AMDGPU.csdata,"",@progbits
; Kernel info:
; codeLenInByte = 0
; NumSgprs: 4
; NumVgprs: 0
; NumAgprs: 0
; TotalNumVgprs: 0
; ScratchSize: 0
; MemoryBound: 0
; FloatMode: 240
; IeeeMode: 1
; LDSByteSize: 0 bytes/workgroup (compile time only)
; SGPRBlocks: 0
; VGPRBlocks: 0
; NumSGPRsForWavesPerEU: 4
; NumVGPRsForWavesPerEU: 1
; AccumOffset: 4
; Occupancy: 8
; WaveLimiterHint : 0
; COMPUTE_PGM_RSRC2:SCRATCH_EN: 0
; COMPUTE_PGM_RSRC2:USER_SGPR: 6
; COMPUTE_PGM_RSRC2:TRAP_HANDLER: 0
; COMPUTE_PGM_RSRC2:TGID_X_EN: 1
; COMPUTE_PGM_RSRC2:TGID_Y_EN: 0
; COMPUTE_PGM_RSRC2:TGID_Z_EN: 0
; COMPUTE_PGM_RSRC2:TIDIG_COMP_CNT: 0
; COMPUTE_PGM_RSRC3_GFX90A:ACCUM_OFFSET: 0
; COMPUTE_PGM_RSRC3_GFX90A:TG_SPLIT: 0
	.section	.text._ZN7rocprim17ROCPRIM_400000_NS6detail17trampoline_kernelINS0_14default_configENS1_35radix_sort_onesweep_config_selectorIyNS0_10empty_typeEEEZNS1_34radix_sort_onesweep_global_offsetsIS3_Lb0EN6thrust23THRUST_200600_302600_NS6detail15normal_iteratorINS9_10device_ptrIyEEEEPS5_jNS0_19identity_decomposerEEE10hipError_tT1_T2_PT3_SK_jT4_jjP12ihipStream_tbEUlT_E0_NS1_11comp_targetILNS1_3genE10ELNS1_11target_archE1201ELNS1_3gpuE5ELNS1_3repE0EEENS1_52radix_sort_onesweep_histogram_config_static_selectorELNS0_4arch9wavefront6targetE1EEEvSI_,"axG",@progbits,_ZN7rocprim17ROCPRIM_400000_NS6detail17trampoline_kernelINS0_14default_configENS1_35radix_sort_onesweep_config_selectorIyNS0_10empty_typeEEEZNS1_34radix_sort_onesweep_global_offsetsIS3_Lb0EN6thrust23THRUST_200600_302600_NS6detail15normal_iteratorINS9_10device_ptrIyEEEEPS5_jNS0_19identity_decomposerEEE10hipError_tT1_T2_PT3_SK_jT4_jjP12ihipStream_tbEUlT_E0_NS1_11comp_targetILNS1_3genE10ELNS1_11target_archE1201ELNS1_3gpuE5ELNS1_3repE0EEENS1_52radix_sort_onesweep_histogram_config_static_selectorELNS0_4arch9wavefront6targetE1EEEvSI_,comdat
	.protected	_ZN7rocprim17ROCPRIM_400000_NS6detail17trampoline_kernelINS0_14default_configENS1_35radix_sort_onesweep_config_selectorIyNS0_10empty_typeEEEZNS1_34radix_sort_onesweep_global_offsetsIS3_Lb0EN6thrust23THRUST_200600_302600_NS6detail15normal_iteratorINS9_10device_ptrIyEEEEPS5_jNS0_19identity_decomposerEEE10hipError_tT1_T2_PT3_SK_jT4_jjP12ihipStream_tbEUlT_E0_NS1_11comp_targetILNS1_3genE10ELNS1_11target_archE1201ELNS1_3gpuE5ELNS1_3repE0EEENS1_52radix_sort_onesweep_histogram_config_static_selectorELNS0_4arch9wavefront6targetE1EEEvSI_ ; -- Begin function _ZN7rocprim17ROCPRIM_400000_NS6detail17trampoline_kernelINS0_14default_configENS1_35radix_sort_onesweep_config_selectorIyNS0_10empty_typeEEEZNS1_34radix_sort_onesweep_global_offsetsIS3_Lb0EN6thrust23THRUST_200600_302600_NS6detail15normal_iteratorINS9_10device_ptrIyEEEEPS5_jNS0_19identity_decomposerEEE10hipError_tT1_T2_PT3_SK_jT4_jjP12ihipStream_tbEUlT_E0_NS1_11comp_targetILNS1_3genE10ELNS1_11target_archE1201ELNS1_3gpuE5ELNS1_3repE0EEENS1_52radix_sort_onesweep_histogram_config_static_selectorELNS0_4arch9wavefront6targetE1EEEvSI_
	.globl	_ZN7rocprim17ROCPRIM_400000_NS6detail17trampoline_kernelINS0_14default_configENS1_35radix_sort_onesweep_config_selectorIyNS0_10empty_typeEEEZNS1_34radix_sort_onesweep_global_offsetsIS3_Lb0EN6thrust23THRUST_200600_302600_NS6detail15normal_iteratorINS9_10device_ptrIyEEEEPS5_jNS0_19identity_decomposerEEE10hipError_tT1_T2_PT3_SK_jT4_jjP12ihipStream_tbEUlT_E0_NS1_11comp_targetILNS1_3genE10ELNS1_11target_archE1201ELNS1_3gpuE5ELNS1_3repE0EEENS1_52radix_sort_onesweep_histogram_config_static_selectorELNS0_4arch9wavefront6targetE1EEEvSI_
	.p2align	8
	.type	_ZN7rocprim17ROCPRIM_400000_NS6detail17trampoline_kernelINS0_14default_configENS1_35radix_sort_onesweep_config_selectorIyNS0_10empty_typeEEEZNS1_34radix_sort_onesweep_global_offsetsIS3_Lb0EN6thrust23THRUST_200600_302600_NS6detail15normal_iteratorINS9_10device_ptrIyEEEEPS5_jNS0_19identity_decomposerEEE10hipError_tT1_T2_PT3_SK_jT4_jjP12ihipStream_tbEUlT_E0_NS1_11comp_targetILNS1_3genE10ELNS1_11target_archE1201ELNS1_3gpuE5ELNS1_3repE0EEENS1_52radix_sort_onesweep_histogram_config_static_selectorELNS0_4arch9wavefront6targetE1EEEvSI_,@function
_ZN7rocprim17ROCPRIM_400000_NS6detail17trampoline_kernelINS0_14default_configENS1_35radix_sort_onesweep_config_selectorIyNS0_10empty_typeEEEZNS1_34radix_sort_onesweep_global_offsetsIS3_Lb0EN6thrust23THRUST_200600_302600_NS6detail15normal_iteratorINS9_10device_ptrIyEEEEPS5_jNS0_19identity_decomposerEEE10hipError_tT1_T2_PT3_SK_jT4_jjP12ihipStream_tbEUlT_E0_NS1_11comp_targetILNS1_3genE10ELNS1_11target_archE1201ELNS1_3gpuE5ELNS1_3repE0EEENS1_52radix_sort_onesweep_histogram_config_static_selectorELNS0_4arch9wavefront6targetE1EEEvSI_: ; @_ZN7rocprim17ROCPRIM_400000_NS6detail17trampoline_kernelINS0_14default_configENS1_35radix_sort_onesweep_config_selectorIyNS0_10empty_typeEEEZNS1_34radix_sort_onesweep_global_offsetsIS3_Lb0EN6thrust23THRUST_200600_302600_NS6detail15normal_iteratorINS9_10device_ptrIyEEEEPS5_jNS0_19identity_decomposerEEE10hipError_tT1_T2_PT3_SK_jT4_jjP12ihipStream_tbEUlT_E0_NS1_11comp_targetILNS1_3genE10ELNS1_11target_archE1201ELNS1_3gpuE5ELNS1_3repE0EEENS1_52radix_sort_onesweep_histogram_config_static_selectorELNS0_4arch9wavefront6targetE1EEEvSI_
; %bb.0:
	.section	.rodata,"a",@progbits
	.p2align	6, 0x0
	.amdhsa_kernel _ZN7rocprim17ROCPRIM_400000_NS6detail17trampoline_kernelINS0_14default_configENS1_35radix_sort_onesweep_config_selectorIyNS0_10empty_typeEEEZNS1_34radix_sort_onesweep_global_offsetsIS3_Lb0EN6thrust23THRUST_200600_302600_NS6detail15normal_iteratorINS9_10device_ptrIyEEEEPS5_jNS0_19identity_decomposerEEE10hipError_tT1_T2_PT3_SK_jT4_jjP12ihipStream_tbEUlT_E0_NS1_11comp_targetILNS1_3genE10ELNS1_11target_archE1201ELNS1_3gpuE5ELNS1_3repE0EEENS1_52radix_sort_onesweep_histogram_config_static_selectorELNS0_4arch9wavefront6targetE1EEEvSI_
		.amdhsa_group_segment_fixed_size 0
		.amdhsa_private_segment_fixed_size 0
		.amdhsa_kernarg_size 8
		.amdhsa_user_sgpr_count 6
		.amdhsa_user_sgpr_private_segment_buffer 1
		.amdhsa_user_sgpr_dispatch_ptr 0
		.amdhsa_user_sgpr_queue_ptr 0
		.amdhsa_user_sgpr_kernarg_segment_ptr 1
		.amdhsa_user_sgpr_dispatch_id 0
		.amdhsa_user_sgpr_flat_scratch_init 0
		.amdhsa_user_sgpr_kernarg_preload_length 0
		.amdhsa_user_sgpr_kernarg_preload_offset 0
		.amdhsa_user_sgpr_private_segment_size 0
		.amdhsa_uses_dynamic_stack 0
		.amdhsa_system_sgpr_private_segment_wavefront_offset 0
		.amdhsa_system_sgpr_workgroup_id_x 1
		.amdhsa_system_sgpr_workgroup_id_y 0
		.amdhsa_system_sgpr_workgroup_id_z 0
		.amdhsa_system_sgpr_workgroup_info 0
		.amdhsa_system_vgpr_workitem_id 0
		.amdhsa_next_free_vgpr 1
		.amdhsa_next_free_sgpr 0
		.amdhsa_accum_offset 4
		.amdhsa_reserve_vcc 0
		.amdhsa_reserve_flat_scratch 0
		.amdhsa_float_round_mode_32 0
		.amdhsa_float_round_mode_16_64 0
		.amdhsa_float_denorm_mode_32 3
		.amdhsa_float_denorm_mode_16_64 3
		.amdhsa_dx10_clamp 1
		.amdhsa_ieee_mode 1
		.amdhsa_fp16_overflow 0
		.amdhsa_tg_split 0
		.amdhsa_exception_fp_ieee_invalid_op 0
		.amdhsa_exception_fp_denorm_src 0
		.amdhsa_exception_fp_ieee_div_zero 0
		.amdhsa_exception_fp_ieee_overflow 0
		.amdhsa_exception_fp_ieee_underflow 0
		.amdhsa_exception_fp_ieee_inexact 0
		.amdhsa_exception_int_div_zero 0
	.end_amdhsa_kernel
	.section	.text._ZN7rocprim17ROCPRIM_400000_NS6detail17trampoline_kernelINS0_14default_configENS1_35radix_sort_onesweep_config_selectorIyNS0_10empty_typeEEEZNS1_34radix_sort_onesweep_global_offsetsIS3_Lb0EN6thrust23THRUST_200600_302600_NS6detail15normal_iteratorINS9_10device_ptrIyEEEEPS5_jNS0_19identity_decomposerEEE10hipError_tT1_T2_PT3_SK_jT4_jjP12ihipStream_tbEUlT_E0_NS1_11comp_targetILNS1_3genE10ELNS1_11target_archE1201ELNS1_3gpuE5ELNS1_3repE0EEENS1_52radix_sort_onesweep_histogram_config_static_selectorELNS0_4arch9wavefront6targetE1EEEvSI_,"axG",@progbits,_ZN7rocprim17ROCPRIM_400000_NS6detail17trampoline_kernelINS0_14default_configENS1_35radix_sort_onesweep_config_selectorIyNS0_10empty_typeEEEZNS1_34radix_sort_onesweep_global_offsetsIS3_Lb0EN6thrust23THRUST_200600_302600_NS6detail15normal_iteratorINS9_10device_ptrIyEEEEPS5_jNS0_19identity_decomposerEEE10hipError_tT1_T2_PT3_SK_jT4_jjP12ihipStream_tbEUlT_E0_NS1_11comp_targetILNS1_3genE10ELNS1_11target_archE1201ELNS1_3gpuE5ELNS1_3repE0EEENS1_52radix_sort_onesweep_histogram_config_static_selectorELNS0_4arch9wavefront6targetE1EEEvSI_,comdat
.Lfunc_end852:
	.size	_ZN7rocprim17ROCPRIM_400000_NS6detail17trampoline_kernelINS0_14default_configENS1_35radix_sort_onesweep_config_selectorIyNS0_10empty_typeEEEZNS1_34radix_sort_onesweep_global_offsetsIS3_Lb0EN6thrust23THRUST_200600_302600_NS6detail15normal_iteratorINS9_10device_ptrIyEEEEPS5_jNS0_19identity_decomposerEEE10hipError_tT1_T2_PT3_SK_jT4_jjP12ihipStream_tbEUlT_E0_NS1_11comp_targetILNS1_3genE10ELNS1_11target_archE1201ELNS1_3gpuE5ELNS1_3repE0EEENS1_52radix_sort_onesweep_histogram_config_static_selectorELNS0_4arch9wavefront6targetE1EEEvSI_, .Lfunc_end852-_ZN7rocprim17ROCPRIM_400000_NS6detail17trampoline_kernelINS0_14default_configENS1_35radix_sort_onesweep_config_selectorIyNS0_10empty_typeEEEZNS1_34radix_sort_onesweep_global_offsetsIS3_Lb0EN6thrust23THRUST_200600_302600_NS6detail15normal_iteratorINS9_10device_ptrIyEEEEPS5_jNS0_19identity_decomposerEEE10hipError_tT1_T2_PT3_SK_jT4_jjP12ihipStream_tbEUlT_E0_NS1_11comp_targetILNS1_3genE10ELNS1_11target_archE1201ELNS1_3gpuE5ELNS1_3repE0EEENS1_52radix_sort_onesweep_histogram_config_static_selectorELNS0_4arch9wavefront6targetE1EEEvSI_
                                        ; -- End function
	.section	.AMDGPU.csdata,"",@progbits
; Kernel info:
; codeLenInByte = 0
; NumSgprs: 4
; NumVgprs: 0
; NumAgprs: 0
; TotalNumVgprs: 0
; ScratchSize: 0
; MemoryBound: 0
; FloatMode: 240
; IeeeMode: 1
; LDSByteSize: 0 bytes/workgroup (compile time only)
; SGPRBlocks: 0
; VGPRBlocks: 0
; NumSGPRsForWavesPerEU: 4
; NumVGPRsForWavesPerEU: 1
; AccumOffset: 4
; Occupancy: 8
; WaveLimiterHint : 0
; COMPUTE_PGM_RSRC2:SCRATCH_EN: 0
; COMPUTE_PGM_RSRC2:USER_SGPR: 6
; COMPUTE_PGM_RSRC2:TRAP_HANDLER: 0
; COMPUTE_PGM_RSRC2:TGID_X_EN: 1
; COMPUTE_PGM_RSRC2:TGID_Y_EN: 0
; COMPUTE_PGM_RSRC2:TGID_Z_EN: 0
; COMPUTE_PGM_RSRC2:TIDIG_COMP_CNT: 0
; COMPUTE_PGM_RSRC3_GFX90A:ACCUM_OFFSET: 0
; COMPUTE_PGM_RSRC3_GFX90A:TG_SPLIT: 0
	.section	.text._ZN7rocprim17ROCPRIM_400000_NS6detail17trampoline_kernelINS0_14default_configENS1_35radix_sort_onesweep_config_selectorIyNS0_10empty_typeEEEZNS1_34radix_sort_onesweep_global_offsetsIS3_Lb0EN6thrust23THRUST_200600_302600_NS6detail15normal_iteratorINS9_10device_ptrIyEEEEPS5_jNS0_19identity_decomposerEEE10hipError_tT1_T2_PT3_SK_jT4_jjP12ihipStream_tbEUlT_E0_NS1_11comp_targetILNS1_3genE9ELNS1_11target_archE1100ELNS1_3gpuE3ELNS1_3repE0EEENS1_52radix_sort_onesweep_histogram_config_static_selectorELNS0_4arch9wavefront6targetE1EEEvSI_,"axG",@progbits,_ZN7rocprim17ROCPRIM_400000_NS6detail17trampoline_kernelINS0_14default_configENS1_35radix_sort_onesweep_config_selectorIyNS0_10empty_typeEEEZNS1_34radix_sort_onesweep_global_offsetsIS3_Lb0EN6thrust23THRUST_200600_302600_NS6detail15normal_iteratorINS9_10device_ptrIyEEEEPS5_jNS0_19identity_decomposerEEE10hipError_tT1_T2_PT3_SK_jT4_jjP12ihipStream_tbEUlT_E0_NS1_11comp_targetILNS1_3genE9ELNS1_11target_archE1100ELNS1_3gpuE3ELNS1_3repE0EEENS1_52radix_sort_onesweep_histogram_config_static_selectorELNS0_4arch9wavefront6targetE1EEEvSI_,comdat
	.protected	_ZN7rocprim17ROCPRIM_400000_NS6detail17trampoline_kernelINS0_14default_configENS1_35radix_sort_onesweep_config_selectorIyNS0_10empty_typeEEEZNS1_34radix_sort_onesweep_global_offsetsIS3_Lb0EN6thrust23THRUST_200600_302600_NS6detail15normal_iteratorINS9_10device_ptrIyEEEEPS5_jNS0_19identity_decomposerEEE10hipError_tT1_T2_PT3_SK_jT4_jjP12ihipStream_tbEUlT_E0_NS1_11comp_targetILNS1_3genE9ELNS1_11target_archE1100ELNS1_3gpuE3ELNS1_3repE0EEENS1_52radix_sort_onesweep_histogram_config_static_selectorELNS0_4arch9wavefront6targetE1EEEvSI_ ; -- Begin function _ZN7rocprim17ROCPRIM_400000_NS6detail17trampoline_kernelINS0_14default_configENS1_35radix_sort_onesweep_config_selectorIyNS0_10empty_typeEEEZNS1_34radix_sort_onesweep_global_offsetsIS3_Lb0EN6thrust23THRUST_200600_302600_NS6detail15normal_iteratorINS9_10device_ptrIyEEEEPS5_jNS0_19identity_decomposerEEE10hipError_tT1_T2_PT3_SK_jT4_jjP12ihipStream_tbEUlT_E0_NS1_11comp_targetILNS1_3genE9ELNS1_11target_archE1100ELNS1_3gpuE3ELNS1_3repE0EEENS1_52radix_sort_onesweep_histogram_config_static_selectorELNS0_4arch9wavefront6targetE1EEEvSI_
	.globl	_ZN7rocprim17ROCPRIM_400000_NS6detail17trampoline_kernelINS0_14default_configENS1_35radix_sort_onesweep_config_selectorIyNS0_10empty_typeEEEZNS1_34radix_sort_onesweep_global_offsetsIS3_Lb0EN6thrust23THRUST_200600_302600_NS6detail15normal_iteratorINS9_10device_ptrIyEEEEPS5_jNS0_19identity_decomposerEEE10hipError_tT1_T2_PT3_SK_jT4_jjP12ihipStream_tbEUlT_E0_NS1_11comp_targetILNS1_3genE9ELNS1_11target_archE1100ELNS1_3gpuE3ELNS1_3repE0EEENS1_52radix_sort_onesweep_histogram_config_static_selectorELNS0_4arch9wavefront6targetE1EEEvSI_
	.p2align	8
	.type	_ZN7rocprim17ROCPRIM_400000_NS6detail17trampoline_kernelINS0_14default_configENS1_35radix_sort_onesweep_config_selectorIyNS0_10empty_typeEEEZNS1_34radix_sort_onesweep_global_offsetsIS3_Lb0EN6thrust23THRUST_200600_302600_NS6detail15normal_iteratorINS9_10device_ptrIyEEEEPS5_jNS0_19identity_decomposerEEE10hipError_tT1_T2_PT3_SK_jT4_jjP12ihipStream_tbEUlT_E0_NS1_11comp_targetILNS1_3genE9ELNS1_11target_archE1100ELNS1_3gpuE3ELNS1_3repE0EEENS1_52radix_sort_onesweep_histogram_config_static_selectorELNS0_4arch9wavefront6targetE1EEEvSI_,@function
_ZN7rocprim17ROCPRIM_400000_NS6detail17trampoline_kernelINS0_14default_configENS1_35radix_sort_onesweep_config_selectorIyNS0_10empty_typeEEEZNS1_34radix_sort_onesweep_global_offsetsIS3_Lb0EN6thrust23THRUST_200600_302600_NS6detail15normal_iteratorINS9_10device_ptrIyEEEEPS5_jNS0_19identity_decomposerEEE10hipError_tT1_T2_PT3_SK_jT4_jjP12ihipStream_tbEUlT_E0_NS1_11comp_targetILNS1_3genE9ELNS1_11target_archE1100ELNS1_3gpuE3ELNS1_3repE0EEENS1_52radix_sort_onesweep_histogram_config_static_selectorELNS0_4arch9wavefront6targetE1EEEvSI_: ; @_ZN7rocprim17ROCPRIM_400000_NS6detail17trampoline_kernelINS0_14default_configENS1_35radix_sort_onesweep_config_selectorIyNS0_10empty_typeEEEZNS1_34radix_sort_onesweep_global_offsetsIS3_Lb0EN6thrust23THRUST_200600_302600_NS6detail15normal_iteratorINS9_10device_ptrIyEEEEPS5_jNS0_19identity_decomposerEEE10hipError_tT1_T2_PT3_SK_jT4_jjP12ihipStream_tbEUlT_E0_NS1_11comp_targetILNS1_3genE9ELNS1_11target_archE1100ELNS1_3gpuE3ELNS1_3repE0EEENS1_52radix_sort_onesweep_histogram_config_static_selectorELNS0_4arch9wavefront6targetE1EEEvSI_
; %bb.0:
	.section	.rodata,"a",@progbits
	.p2align	6, 0x0
	.amdhsa_kernel _ZN7rocprim17ROCPRIM_400000_NS6detail17trampoline_kernelINS0_14default_configENS1_35radix_sort_onesweep_config_selectorIyNS0_10empty_typeEEEZNS1_34radix_sort_onesweep_global_offsetsIS3_Lb0EN6thrust23THRUST_200600_302600_NS6detail15normal_iteratorINS9_10device_ptrIyEEEEPS5_jNS0_19identity_decomposerEEE10hipError_tT1_T2_PT3_SK_jT4_jjP12ihipStream_tbEUlT_E0_NS1_11comp_targetILNS1_3genE9ELNS1_11target_archE1100ELNS1_3gpuE3ELNS1_3repE0EEENS1_52radix_sort_onesweep_histogram_config_static_selectorELNS0_4arch9wavefront6targetE1EEEvSI_
		.amdhsa_group_segment_fixed_size 0
		.amdhsa_private_segment_fixed_size 0
		.amdhsa_kernarg_size 8
		.amdhsa_user_sgpr_count 6
		.amdhsa_user_sgpr_private_segment_buffer 1
		.amdhsa_user_sgpr_dispatch_ptr 0
		.amdhsa_user_sgpr_queue_ptr 0
		.amdhsa_user_sgpr_kernarg_segment_ptr 1
		.amdhsa_user_sgpr_dispatch_id 0
		.amdhsa_user_sgpr_flat_scratch_init 0
		.amdhsa_user_sgpr_kernarg_preload_length 0
		.amdhsa_user_sgpr_kernarg_preload_offset 0
		.amdhsa_user_sgpr_private_segment_size 0
		.amdhsa_uses_dynamic_stack 0
		.amdhsa_system_sgpr_private_segment_wavefront_offset 0
		.amdhsa_system_sgpr_workgroup_id_x 1
		.amdhsa_system_sgpr_workgroup_id_y 0
		.amdhsa_system_sgpr_workgroup_id_z 0
		.amdhsa_system_sgpr_workgroup_info 0
		.amdhsa_system_vgpr_workitem_id 0
		.amdhsa_next_free_vgpr 1
		.amdhsa_next_free_sgpr 0
		.amdhsa_accum_offset 4
		.amdhsa_reserve_vcc 0
		.amdhsa_reserve_flat_scratch 0
		.amdhsa_float_round_mode_32 0
		.amdhsa_float_round_mode_16_64 0
		.amdhsa_float_denorm_mode_32 3
		.amdhsa_float_denorm_mode_16_64 3
		.amdhsa_dx10_clamp 1
		.amdhsa_ieee_mode 1
		.amdhsa_fp16_overflow 0
		.amdhsa_tg_split 0
		.amdhsa_exception_fp_ieee_invalid_op 0
		.amdhsa_exception_fp_denorm_src 0
		.amdhsa_exception_fp_ieee_div_zero 0
		.amdhsa_exception_fp_ieee_overflow 0
		.amdhsa_exception_fp_ieee_underflow 0
		.amdhsa_exception_fp_ieee_inexact 0
		.amdhsa_exception_int_div_zero 0
	.end_amdhsa_kernel
	.section	.text._ZN7rocprim17ROCPRIM_400000_NS6detail17trampoline_kernelINS0_14default_configENS1_35radix_sort_onesweep_config_selectorIyNS0_10empty_typeEEEZNS1_34radix_sort_onesweep_global_offsetsIS3_Lb0EN6thrust23THRUST_200600_302600_NS6detail15normal_iteratorINS9_10device_ptrIyEEEEPS5_jNS0_19identity_decomposerEEE10hipError_tT1_T2_PT3_SK_jT4_jjP12ihipStream_tbEUlT_E0_NS1_11comp_targetILNS1_3genE9ELNS1_11target_archE1100ELNS1_3gpuE3ELNS1_3repE0EEENS1_52radix_sort_onesweep_histogram_config_static_selectorELNS0_4arch9wavefront6targetE1EEEvSI_,"axG",@progbits,_ZN7rocprim17ROCPRIM_400000_NS6detail17trampoline_kernelINS0_14default_configENS1_35radix_sort_onesweep_config_selectorIyNS0_10empty_typeEEEZNS1_34radix_sort_onesweep_global_offsetsIS3_Lb0EN6thrust23THRUST_200600_302600_NS6detail15normal_iteratorINS9_10device_ptrIyEEEEPS5_jNS0_19identity_decomposerEEE10hipError_tT1_T2_PT3_SK_jT4_jjP12ihipStream_tbEUlT_E0_NS1_11comp_targetILNS1_3genE9ELNS1_11target_archE1100ELNS1_3gpuE3ELNS1_3repE0EEENS1_52radix_sort_onesweep_histogram_config_static_selectorELNS0_4arch9wavefront6targetE1EEEvSI_,comdat
.Lfunc_end853:
	.size	_ZN7rocprim17ROCPRIM_400000_NS6detail17trampoline_kernelINS0_14default_configENS1_35radix_sort_onesweep_config_selectorIyNS0_10empty_typeEEEZNS1_34radix_sort_onesweep_global_offsetsIS3_Lb0EN6thrust23THRUST_200600_302600_NS6detail15normal_iteratorINS9_10device_ptrIyEEEEPS5_jNS0_19identity_decomposerEEE10hipError_tT1_T2_PT3_SK_jT4_jjP12ihipStream_tbEUlT_E0_NS1_11comp_targetILNS1_3genE9ELNS1_11target_archE1100ELNS1_3gpuE3ELNS1_3repE0EEENS1_52radix_sort_onesweep_histogram_config_static_selectorELNS0_4arch9wavefront6targetE1EEEvSI_, .Lfunc_end853-_ZN7rocprim17ROCPRIM_400000_NS6detail17trampoline_kernelINS0_14default_configENS1_35radix_sort_onesweep_config_selectorIyNS0_10empty_typeEEEZNS1_34radix_sort_onesweep_global_offsetsIS3_Lb0EN6thrust23THRUST_200600_302600_NS6detail15normal_iteratorINS9_10device_ptrIyEEEEPS5_jNS0_19identity_decomposerEEE10hipError_tT1_T2_PT3_SK_jT4_jjP12ihipStream_tbEUlT_E0_NS1_11comp_targetILNS1_3genE9ELNS1_11target_archE1100ELNS1_3gpuE3ELNS1_3repE0EEENS1_52radix_sort_onesweep_histogram_config_static_selectorELNS0_4arch9wavefront6targetE1EEEvSI_
                                        ; -- End function
	.section	.AMDGPU.csdata,"",@progbits
; Kernel info:
; codeLenInByte = 0
; NumSgprs: 4
; NumVgprs: 0
; NumAgprs: 0
; TotalNumVgprs: 0
; ScratchSize: 0
; MemoryBound: 0
; FloatMode: 240
; IeeeMode: 1
; LDSByteSize: 0 bytes/workgroup (compile time only)
; SGPRBlocks: 0
; VGPRBlocks: 0
; NumSGPRsForWavesPerEU: 4
; NumVGPRsForWavesPerEU: 1
; AccumOffset: 4
; Occupancy: 8
; WaveLimiterHint : 0
; COMPUTE_PGM_RSRC2:SCRATCH_EN: 0
; COMPUTE_PGM_RSRC2:USER_SGPR: 6
; COMPUTE_PGM_RSRC2:TRAP_HANDLER: 0
; COMPUTE_PGM_RSRC2:TGID_X_EN: 1
; COMPUTE_PGM_RSRC2:TGID_Y_EN: 0
; COMPUTE_PGM_RSRC2:TGID_Z_EN: 0
; COMPUTE_PGM_RSRC2:TIDIG_COMP_CNT: 0
; COMPUTE_PGM_RSRC3_GFX90A:ACCUM_OFFSET: 0
; COMPUTE_PGM_RSRC3_GFX90A:TG_SPLIT: 0
	.section	.text._ZN7rocprim17ROCPRIM_400000_NS6detail17trampoline_kernelINS0_14default_configENS1_35radix_sort_onesweep_config_selectorIyNS0_10empty_typeEEEZNS1_34radix_sort_onesweep_global_offsetsIS3_Lb0EN6thrust23THRUST_200600_302600_NS6detail15normal_iteratorINS9_10device_ptrIyEEEEPS5_jNS0_19identity_decomposerEEE10hipError_tT1_T2_PT3_SK_jT4_jjP12ihipStream_tbEUlT_E0_NS1_11comp_targetILNS1_3genE8ELNS1_11target_archE1030ELNS1_3gpuE2ELNS1_3repE0EEENS1_52radix_sort_onesweep_histogram_config_static_selectorELNS0_4arch9wavefront6targetE1EEEvSI_,"axG",@progbits,_ZN7rocprim17ROCPRIM_400000_NS6detail17trampoline_kernelINS0_14default_configENS1_35radix_sort_onesweep_config_selectorIyNS0_10empty_typeEEEZNS1_34radix_sort_onesweep_global_offsetsIS3_Lb0EN6thrust23THRUST_200600_302600_NS6detail15normal_iteratorINS9_10device_ptrIyEEEEPS5_jNS0_19identity_decomposerEEE10hipError_tT1_T2_PT3_SK_jT4_jjP12ihipStream_tbEUlT_E0_NS1_11comp_targetILNS1_3genE8ELNS1_11target_archE1030ELNS1_3gpuE2ELNS1_3repE0EEENS1_52radix_sort_onesweep_histogram_config_static_selectorELNS0_4arch9wavefront6targetE1EEEvSI_,comdat
	.protected	_ZN7rocprim17ROCPRIM_400000_NS6detail17trampoline_kernelINS0_14default_configENS1_35radix_sort_onesweep_config_selectorIyNS0_10empty_typeEEEZNS1_34radix_sort_onesweep_global_offsetsIS3_Lb0EN6thrust23THRUST_200600_302600_NS6detail15normal_iteratorINS9_10device_ptrIyEEEEPS5_jNS0_19identity_decomposerEEE10hipError_tT1_T2_PT3_SK_jT4_jjP12ihipStream_tbEUlT_E0_NS1_11comp_targetILNS1_3genE8ELNS1_11target_archE1030ELNS1_3gpuE2ELNS1_3repE0EEENS1_52radix_sort_onesweep_histogram_config_static_selectorELNS0_4arch9wavefront6targetE1EEEvSI_ ; -- Begin function _ZN7rocprim17ROCPRIM_400000_NS6detail17trampoline_kernelINS0_14default_configENS1_35radix_sort_onesweep_config_selectorIyNS0_10empty_typeEEEZNS1_34radix_sort_onesweep_global_offsetsIS3_Lb0EN6thrust23THRUST_200600_302600_NS6detail15normal_iteratorINS9_10device_ptrIyEEEEPS5_jNS0_19identity_decomposerEEE10hipError_tT1_T2_PT3_SK_jT4_jjP12ihipStream_tbEUlT_E0_NS1_11comp_targetILNS1_3genE8ELNS1_11target_archE1030ELNS1_3gpuE2ELNS1_3repE0EEENS1_52radix_sort_onesweep_histogram_config_static_selectorELNS0_4arch9wavefront6targetE1EEEvSI_
	.globl	_ZN7rocprim17ROCPRIM_400000_NS6detail17trampoline_kernelINS0_14default_configENS1_35radix_sort_onesweep_config_selectorIyNS0_10empty_typeEEEZNS1_34radix_sort_onesweep_global_offsetsIS3_Lb0EN6thrust23THRUST_200600_302600_NS6detail15normal_iteratorINS9_10device_ptrIyEEEEPS5_jNS0_19identity_decomposerEEE10hipError_tT1_T2_PT3_SK_jT4_jjP12ihipStream_tbEUlT_E0_NS1_11comp_targetILNS1_3genE8ELNS1_11target_archE1030ELNS1_3gpuE2ELNS1_3repE0EEENS1_52radix_sort_onesweep_histogram_config_static_selectorELNS0_4arch9wavefront6targetE1EEEvSI_
	.p2align	8
	.type	_ZN7rocprim17ROCPRIM_400000_NS6detail17trampoline_kernelINS0_14default_configENS1_35radix_sort_onesweep_config_selectorIyNS0_10empty_typeEEEZNS1_34radix_sort_onesweep_global_offsetsIS3_Lb0EN6thrust23THRUST_200600_302600_NS6detail15normal_iteratorINS9_10device_ptrIyEEEEPS5_jNS0_19identity_decomposerEEE10hipError_tT1_T2_PT3_SK_jT4_jjP12ihipStream_tbEUlT_E0_NS1_11comp_targetILNS1_3genE8ELNS1_11target_archE1030ELNS1_3gpuE2ELNS1_3repE0EEENS1_52radix_sort_onesweep_histogram_config_static_selectorELNS0_4arch9wavefront6targetE1EEEvSI_,@function
_ZN7rocprim17ROCPRIM_400000_NS6detail17trampoline_kernelINS0_14default_configENS1_35radix_sort_onesweep_config_selectorIyNS0_10empty_typeEEEZNS1_34radix_sort_onesweep_global_offsetsIS3_Lb0EN6thrust23THRUST_200600_302600_NS6detail15normal_iteratorINS9_10device_ptrIyEEEEPS5_jNS0_19identity_decomposerEEE10hipError_tT1_T2_PT3_SK_jT4_jjP12ihipStream_tbEUlT_E0_NS1_11comp_targetILNS1_3genE8ELNS1_11target_archE1030ELNS1_3gpuE2ELNS1_3repE0EEENS1_52radix_sort_onesweep_histogram_config_static_selectorELNS0_4arch9wavefront6targetE1EEEvSI_: ; @_ZN7rocprim17ROCPRIM_400000_NS6detail17trampoline_kernelINS0_14default_configENS1_35radix_sort_onesweep_config_selectorIyNS0_10empty_typeEEEZNS1_34radix_sort_onesweep_global_offsetsIS3_Lb0EN6thrust23THRUST_200600_302600_NS6detail15normal_iteratorINS9_10device_ptrIyEEEEPS5_jNS0_19identity_decomposerEEE10hipError_tT1_T2_PT3_SK_jT4_jjP12ihipStream_tbEUlT_E0_NS1_11comp_targetILNS1_3genE8ELNS1_11target_archE1030ELNS1_3gpuE2ELNS1_3repE0EEENS1_52radix_sort_onesweep_histogram_config_static_selectorELNS0_4arch9wavefront6targetE1EEEvSI_
; %bb.0:
	.section	.rodata,"a",@progbits
	.p2align	6, 0x0
	.amdhsa_kernel _ZN7rocprim17ROCPRIM_400000_NS6detail17trampoline_kernelINS0_14default_configENS1_35radix_sort_onesweep_config_selectorIyNS0_10empty_typeEEEZNS1_34radix_sort_onesweep_global_offsetsIS3_Lb0EN6thrust23THRUST_200600_302600_NS6detail15normal_iteratorINS9_10device_ptrIyEEEEPS5_jNS0_19identity_decomposerEEE10hipError_tT1_T2_PT3_SK_jT4_jjP12ihipStream_tbEUlT_E0_NS1_11comp_targetILNS1_3genE8ELNS1_11target_archE1030ELNS1_3gpuE2ELNS1_3repE0EEENS1_52radix_sort_onesweep_histogram_config_static_selectorELNS0_4arch9wavefront6targetE1EEEvSI_
		.amdhsa_group_segment_fixed_size 0
		.amdhsa_private_segment_fixed_size 0
		.amdhsa_kernarg_size 8
		.amdhsa_user_sgpr_count 6
		.amdhsa_user_sgpr_private_segment_buffer 1
		.amdhsa_user_sgpr_dispatch_ptr 0
		.amdhsa_user_sgpr_queue_ptr 0
		.amdhsa_user_sgpr_kernarg_segment_ptr 1
		.amdhsa_user_sgpr_dispatch_id 0
		.amdhsa_user_sgpr_flat_scratch_init 0
		.amdhsa_user_sgpr_kernarg_preload_length 0
		.amdhsa_user_sgpr_kernarg_preload_offset 0
		.amdhsa_user_sgpr_private_segment_size 0
		.amdhsa_uses_dynamic_stack 0
		.amdhsa_system_sgpr_private_segment_wavefront_offset 0
		.amdhsa_system_sgpr_workgroup_id_x 1
		.amdhsa_system_sgpr_workgroup_id_y 0
		.amdhsa_system_sgpr_workgroup_id_z 0
		.amdhsa_system_sgpr_workgroup_info 0
		.amdhsa_system_vgpr_workitem_id 0
		.amdhsa_next_free_vgpr 1
		.amdhsa_next_free_sgpr 0
		.amdhsa_accum_offset 4
		.amdhsa_reserve_vcc 0
		.amdhsa_reserve_flat_scratch 0
		.amdhsa_float_round_mode_32 0
		.amdhsa_float_round_mode_16_64 0
		.amdhsa_float_denorm_mode_32 3
		.amdhsa_float_denorm_mode_16_64 3
		.amdhsa_dx10_clamp 1
		.amdhsa_ieee_mode 1
		.amdhsa_fp16_overflow 0
		.amdhsa_tg_split 0
		.amdhsa_exception_fp_ieee_invalid_op 0
		.amdhsa_exception_fp_denorm_src 0
		.amdhsa_exception_fp_ieee_div_zero 0
		.amdhsa_exception_fp_ieee_overflow 0
		.amdhsa_exception_fp_ieee_underflow 0
		.amdhsa_exception_fp_ieee_inexact 0
		.amdhsa_exception_int_div_zero 0
	.end_amdhsa_kernel
	.section	.text._ZN7rocprim17ROCPRIM_400000_NS6detail17trampoline_kernelINS0_14default_configENS1_35radix_sort_onesweep_config_selectorIyNS0_10empty_typeEEEZNS1_34radix_sort_onesweep_global_offsetsIS3_Lb0EN6thrust23THRUST_200600_302600_NS6detail15normal_iteratorINS9_10device_ptrIyEEEEPS5_jNS0_19identity_decomposerEEE10hipError_tT1_T2_PT3_SK_jT4_jjP12ihipStream_tbEUlT_E0_NS1_11comp_targetILNS1_3genE8ELNS1_11target_archE1030ELNS1_3gpuE2ELNS1_3repE0EEENS1_52radix_sort_onesweep_histogram_config_static_selectorELNS0_4arch9wavefront6targetE1EEEvSI_,"axG",@progbits,_ZN7rocprim17ROCPRIM_400000_NS6detail17trampoline_kernelINS0_14default_configENS1_35radix_sort_onesweep_config_selectorIyNS0_10empty_typeEEEZNS1_34radix_sort_onesweep_global_offsetsIS3_Lb0EN6thrust23THRUST_200600_302600_NS6detail15normal_iteratorINS9_10device_ptrIyEEEEPS5_jNS0_19identity_decomposerEEE10hipError_tT1_T2_PT3_SK_jT4_jjP12ihipStream_tbEUlT_E0_NS1_11comp_targetILNS1_3genE8ELNS1_11target_archE1030ELNS1_3gpuE2ELNS1_3repE0EEENS1_52radix_sort_onesweep_histogram_config_static_selectorELNS0_4arch9wavefront6targetE1EEEvSI_,comdat
.Lfunc_end854:
	.size	_ZN7rocprim17ROCPRIM_400000_NS6detail17trampoline_kernelINS0_14default_configENS1_35radix_sort_onesweep_config_selectorIyNS0_10empty_typeEEEZNS1_34radix_sort_onesweep_global_offsetsIS3_Lb0EN6thrust23THRUST_200600_302600_NS6detail15normal_iteratorINS9_10device_ptrIyEEEEPS5_jNS0_19identity_decomposerEEE10hipError_tT1_T2_PT3_SK_jT4_jjP12ihipStream_tbEUlT_E0_NS1_11comp_targetILNS1_3genE8ELNS1_11target_archE1030ELNS1_3gpuE2ELNS1_3repE0EEENS1_52radix_sort_onesweep_histogram_config_static_selectorELNS0_4arch9wavefront6targetE1EEEvSI_, .Lfunc_end854-_ZN7rocprim17ROCPRIM_400000_NS6detail17trampoline_kernelINS0_14default_configENS1_35radix_sort_onesweep_config_selectorIyNS0_10empty_typeEEEZNS1_34radix_sort_onesweep_global_offsetsIS3_Lb0EN6thrust23THRUST_200600_302600_NS6detail15normal_iteratorINS9_10device_ptrIyEEEEPS5_jNS0_19identity_decomposerEEE10hipError_tT1_T2_PT3_SK_jT4_jjP12ihipStream_tbEUlT_E0_NS1_11comp_targetILNS1_3genE8ELNS1_11target_archE1030ELNS1_3gpuE2ELNS1_3repE0EEENS1_52radix_sort_onesweep_histogram_config_static_selectorELNS0_4arch9wavefront6targetE1EEEvSI_
                                        ; -- End function
	.section	.AMDGPU.csdata,"",@progbits
; Kernel info:
; codeLenInByte = 0
; NumSgprs: 4
; NumVgprs: 0
; NumAgprs: 0
; TotalNumVgprs: 0
; ScratchSize: 0
; MemoryBound: 0
; FloatMode: 240
; IeeeMode: 1
; LDSByteSize: 0 bytes/workgroup (compile time only)
; SGPRBlocks: 0
; VGPRBlocks: 0
; NumSGPRsForWavesPerEU: 4
; NumVGPRsForWavesPerEU: 1
; AccumOffset: 4
; Occupancy: 8
; WaveLimiterHint : 0
; COMPUTE_PGM_RSRC2:SCRATCH_EN: 0
; COMPUTE_PGM_RSRC2:USER_SGPR: 6
; COMPUTE_PGM_RSRC2:TRAP_HANDLER: 0
; COMPUTE_PGM_RSRC2:TGID_X_EN: 1
; COMPUTE_PGM_RSRC2:TGID_Y_EN: 0
; COMPUTE_PGM_RSRC2:TGID_Z_EN: 0
; COMPUTE_PGM_RSRC2:TIDIG_COMP_CNT: 0
; COMPUTE_PGM_RSRC3_GFX90A:ACCUM_OFFSET: 0
; COMPUTE_PGM_RSRC3_GFX90A:TG_SPLIT: 0
	.section	.text._ZN7rocprim17ROCPRIM_400000_NS6detail17trampoline_kernelINS0_14default_configENS1_25transform_config_selectorIyLb0EEEZNS1_14transform_implILb0ES3_S5_N6thrust23THRUST_200600_302600_NS6detail15normal_iteratorINS8_10device_ptrIyEEEEPyNS0_8identityIyEEEE10hipError_tT2_T3_mT4_P12ihipStream_tbEUlT_E_NS1_11comp_targetILNS1_3genE0ELNS1_11target_archE4294967295ELNS1_3gpuE0ELNS1_3repE0EEENS1_30default_config_static_selectorELNS0_4arch9wavefront6targetE1EEEvT1_,"axG",@progbits,_ZN7rocprim17ROCPRIM_400000_NS6detail17trampoline_kernelINS0_14default_configENS1_25transform_config_selectorIyLb0EEEZNS1_14transform_implILb0ES3_S5_N6thrust23THRUST_200600_302600_NS6detail15normal_iteratorINS8_10device_ptrIyEEEEPyNS0_8identityIyEEEE10hipError_tT2_T3_mT4_P12ihipStream_tbEUlT_E_NS1_11comp_targetILNS1_3genE0ELNS1_11target_archE4294967295ELNS1_3gpuE0ELNS1_3repE0EEENS1_30default_config_static_selectorELNS0_4arch9wavefront6targetE1EEEvT1_,comdat
	.protected	_ZN7rocprim17ROCPRIM_400000_NS6detail17trampoline_kernelINS0_14default_configENS1_25transform_config_selectorIyLb0EEEZNS1_14transform_implILb0ES3_S5_N6thrust23THRUST_200600_302600_NS6detail15normal_iteratorINS8_10device_ptrIyEEEEPyNS0_8identityIyEEEE10hipError_tT2_T3_mT4_P12ihipStream_tbEUlT_E_NS1_11comp_targetILNS1_3genE0ELNS1_11target_archE4294967295ELNS1_3gpuE0ELNS1_3repE0EEENS1_30default_config_static_selectorELNS0_4arch9wavefront6targetE1EEEvT1_ ; -- Begin function _ZN7rocprim17ROCPRIM_400000_NS6detail17trampoline_kernelINS0_14default_configENS1_25transform_config_selectorIyLb0EEEZNS1_14transform_implILb0ES3_S5_N6thrust23THRUST_200600_302600_NS6detail15normal_iteratorINS8_10device_ptrIyEEEEPyNS0_8identityIyEEEE10hipError_tT2_T3_mT4_P12ihipStream_tbEUlT_E_NS1_11comp_targetILNS1_3genE0ELNS1_11target_archE4294967295ELNS1_3gpuE0ELNS1_3repE0EEENS1_30default_config_static_selectorELNS0_4arch9wavefront6targetE1EEEvT1_
	.globl	_ZN7rocprim17ROCPRIM_400000_NS6detail17trampoline_kernelINS0_14default_configENS1_25transform_config_selectorIyLb0EEEZNS1_14transform_implILb0ES3_S5_N6thrust23THRUST_200600_302600_NS6detail15normal_iteratorINS8_10device_ptrIyEEEEPyNS0_8identityIyEEEE10hipError_tT2_T3_mT4_P12ihipStream_tbEUlT_E_NS1_11comp_targetILNS1_3genE0ELNS1_11target_archE4294967295ELNS1_3gpuE0ELNS1_3repE0EEENS1_30default_config_static_selectorELNS0_4arch9wavefront6targetE1EEEvT1_
	.p2align	8
	.type	_ZN7rocprim17ROCPRIM_400000_NS6detail17trampoline_kernelINS0_14default_configENS1_25transform_config_selectorIyLb0EEEZNS1_14transform_implILb0ES3_S5_N6thrust23THRUST_200600_302600_NS6detail15normal_iteratorINS8_10device_ptrIyEEEEPyNS0_8identityIyEEEE10hipError_tT2_T3_mT4_P12ihipStream_tbEUlT_E_NS1_11comp_targetILNS1_3genE0ELNS1_11target_archE4294967295ELNS1_3gpuE0ELNS1_3repE0EEENS1_30default_config_static_selectorELNS0_4arch9wavefront6targetE1EEEvT1_,@function
_ZN7rocprim17ROCPRIM_400000_NS6detail17trampoline_kernelINS0_14default_configENS1_25transform_config_selectorIyLb0EEEZNS1_14transform_implILb0ES3_S5_N6thrust23THRUST_200600_302600_NS6detail15normal_iteratorINS8_10device_ptrIyEEEEPyNS0_8identityIyEEEE10hipError_tT2_T3_mT4_P12ihipStream_tbEUlT_E_NS1_11comp_targetILNS1_3genE0ELNS1_11target_archE4294967295ELNS1_3gpuE0ELNS1_3repE0EEENS1_30default_config_static_selectorELNS0_4arch9wavefront6targetE1EEEvT1_: ; @_ZN7rocprim17ROCPRIM_400000_NS6detail17trampoline_kernelINS0_14default_configENS1_25transform_config_selectorIyLb0EEEZNS1_14transform_implILb0ES3_S5_N6thrust23THRUST_200600_302600_NS6detail15normal_iteratorINS8_10device_ptrIyEEEEPyNS0_8identityIyEEEE10hipError_tT2_T3_mT4_P12ihipStream_tbEUlT_E_NS1_11comp_targetILNS1_3genE0ELNS1_11target_archE4294967295ELNS1_3gpuE0ELNS1_3repE0EEENS1_30default_config_static_selectorELNS0_4arch9wavefront6targetE1EEEvT1_
; %bb.0:
	.section	.rodata,"a",@progbits
	.p2align	6, 0x0
	.amdhsa_kernel _ZN7rocprim17ROCPRIM_400000_NS6detail17trampoline_kernelINS0_14default_configENS1_25transform_config_selectorIyLb0EEEZNS1_14transform_implILb0ES3_S5_N6thrust23THRUST_200600_302600_NS6detail15normal_iteratorINS8_10device_ptrIyEEEEPyNS0_8identityIyEEEE10hipError_tT2_T3_mT4_P12ihipStream_tbEUlT_E_NS1_11comp_targetILNS1_3genE0ELNS1_11target_archE4294967295ELNS1_3gpuE0ELNS1_3repE0EEENS1_30default_config_static_selectorELNS0_4arch9wavefront6targetE1EEEvT1_
		.amdhsa_group_segment_fixed_size 0
		.amdhsa_private_segment_fixed_size 0
		.amdhsa_kernarg_size 40
		.amdhsa_user_sgpr_count 6
		.amdhsa_user_sgpr_private_segment_buffer 1
		.amdhsa_user_sgpr_dispatch_ptr 0
		.amdhsa_user_sgpr_queue_ptr 0
		.amdhsa_user_sgpr_kernarg_segment_ptr 1
		.amdhsa_user_sgpr_dispatch_id 0
		.amdhsa_user_sgpr_flat_scratch_init 0
		.amdhsa_user_sgpr_kernarg_preload_length 0
		.amdhsa_user_sgpr_kernarg_preload_offset 0
		.amdhsa_user_sgpr_private_segment_size 0
		.amdhsa_uses_dynamic_stack 0
		.amdhsa_system_sgpr_private_segment_wavefront_offset 0
		.amdhsa_system_sgpr_workgroup_id_x 1
		.amdhsa_system_sgpr_workgroup_id_y 0
		.amdhsa_system_sgpr_workgroup_id_z 0
		.amdhsa_system_sgpr_workgroup_info 0
		.amdhsa_system_vgpr_workitem_id 0
		.amdhsa_next_free_vgpr 1
		.amdhsa_next_free_sgpr 0
		.amdhsa_accum_offset 4
		.amdhsa_reserve_vcc 0
		.amdhsa_reserve_flat_scratch 0
		.amdhsa_float_round_mode_32 0
		.amdhsa_float_round_mode_16_64 0
		.amdhsa_float_denorm_mode_32 3
		.amdhsa_float_denorm_mode_16_64 3
		.amdhsa_dx10_clamp 1
		.amdhsa_ieee_mode 1
		.amdhsa_fp16_overflow 0
		.amdhsa_tg_split 0
		.amdhsa_exception_fp_ieee_invalid_op 0
		.amdhsa_exception_fp_denorm_src 0
		.amdhsa_exception_fp_ieee_div_zero 0
		.amdhsa_exception_fp_ieee_overflow 0
		.amdhsa_exception_fp_ieee_underflow 0
		.amdhsa_exception_fp_ieee_inexact 0
		.amdhsa_exception_int_div_zero 0
	.end_amdhsa_kernel
	.section	.text._ZN7rocprim17ROCPRIM_400000_NS6detail17trampoline_kernelINS0_14default_configENS1_25transform_config_selectorIyLb0EEEZNS1_14transform_implILb0ES3_S5_N6thrust23THRUST_200600_302600_NS6detail15normal_iteratorINS8_10device_ptrIyEEEEPyNS0_8identityIyEEEE10hipError_tT2_T3_mT4_P12ihipStream_tbEUlT_E_NS1_11comp_targetILNS1_3genE0ELNS1_11target_archE4294967295ELNS1_3gpuE0ELNS1_3repE0EEENS1_30default_config_static_selectorELNS0_4arch9wavefront6targetE1EEEvT1_,"axG",@progbits,_ZN7rocprim17ROCPRIM_400000_NS6detail17trampoline_kernelINS0_14default_configENS1_25transform_config_selectorIyLb0EEEZNS1_14transform_implILb0ES3_S5_N6thrust23THRUST_200600_302600_NS6detail15normal_iteratorINS8_10device_ptrIyEEEEPyNS0_8identityIyEEEE10hipError_tT2_T3_mT4_P12ihipStream_tbEUlT_E_NS1_11comp_targetILNS1_3genE0ELNS1_11target_archE4294967295ELNS1_3gpuE0ELNS1_3repE0EEENS1_30default_config_static_selectorELNS0_4arch9wavefront6targetE1EEEvT1_,comdat
.Lfunc_end855:
	.size	_ZN7rocprim17ROCPRIM_400000_NS6detail17trampoline_kernelINS0_14default_configENS1_25transform_config_selectorIyLb0EEEZNS1_14transform_implILb0ES3_S5_N6thrust23THRUST_200600_302600_NS6detail15normal_iteratorINS8_10device_ptrIyEEEEPyNS0_8identityIyEEEE10hipError_tT2_T3_mT4_P12ihipStream_tbEUlT_E_NS1_11comp_targetILNS1_3genE0ELNS1_11target_archE4294967295ELNS1_3gpuE0ELNS1_3repE0EEENS1_30default_config_static_selectorELNS0_4arch9wavefront6targetE1EEEvT1_, .Lfunc_end855-_ZN7rocprim17ROCPRIM_400000_NS6detail17trampoline_kernelINS0_14default_configENS1_25transform_config_selectorIyLb0EEEZNS1_14transform_implILb0ES3_S5_N6thrust23THRUST_200600_302600_NS6detail15normal_iteratorINS8_10device_ptrIyEEEEPyNS0_8identityIyEEEE10hipError_tT2_T3_mT4_P12ihipStream_tbEUlT_E_NS1_11comp_targetILNS1_3genE0ELNS1_11target_archE4294967295ELNS1_3gpuE0ELNS1_3repE0EEENS1_30default_config_static_selectorELNS0_4arch9wavefront6targetE1EEEvT1_
                                        ; -- End function
	.section	.AMDGPU.csdata,"",@progbits
; Kernel info:
; codeLenInByte = 0
; NumSgprs: 4
; NumVgprs: 0
; NumAgprs: 0
; TotalNumVgprs: 0
; ScratchSize: 0
; MemoryBound: 0
; FloatMode: 240
; IeeeMode: 1
; LDSByteSize: 0 bytes/workgroup (compile time only)
; SGPRBlocks: 0
; VGPRBlocks: 0
; NumSGPRsForWavesPerEU: 4
; NumVGPRsForWavesPerEU: 1
; AccumOffset: 4
; Occupancy: 8
; WaveLimiterHint : 0
; COMPUTE_PGM_RSRC2:SCRATCH_EN: 0
; COMPUTE_PGM_RSRC2:USER_SGPR: 6
; COMPUTE_PGM_RSRC2:TRAP_HANDLER: 0
; COMPUTE_PGM_RSRC2:TGID_X_EN: 1
; COMPUTE_PGM_RSRC2:TGID_Y_EN: 0
; COMPUTE_PGM_RSRC2:TGID_Z_EN: 0
; COMPUTE_PGM_RSRC2:TIDIG_COMP_CNT: 0
; COMPUTE_PGM_RSRC3_GFX90A:ACCUM_OFFSET: 0
; COMPUTE_PGM_RSRC3_GFX90A:TG_SPLIT: 0
	.section	.text._ZN7rocprim17ROCPRIM_400000_NS6detail17trampoline_kernelINS0_14default_configENS1_25transform_config_selectorIyLb0EEEZNS1_14transform_implILb0ES3_S5_N6thrust23THRUST_200600_302600_NS6detail15normal_iteratorINS8_10device_ptrIyEEEEPyNS0_8identityIyEEEE10hipError_tT2_T3_mT4_P12ihipStream_tbEUlT_E_NS1_11comp_targetILNS1_3genE5ELNS1_11target_archE942ELNS1_3gpuE9ELNS1_3repE0EEENS1_30default_config_static_selectorELNS0_4arch9wavefront6targetE1EEEvT1_,"axG",@progbits,_ZN7rocprim17ROCPRIM_400000_NS6detail17trampoline_kernelINS0_14default_configENS1_25transform_config_selectorIyLb0EEEZNS1_14transform_implILb0ES3_S5_N6thrust23THRUST_200600_302600_NS6detail15normal_iteratorINS8_10device_ptrIyEEEEPyNS0_8identityIyEEEE10hipError_tT2_T3_mT4_P12ihipStream_tbEUlT_E_NS1_11comp_targetILNS1_3genE5ELNS1_11target_archE942ELNS1_3gpuE9ELNS1_3repE0EEENS1_30default_config_static_selectorELNS0_4arch9wavefront6targetE1EEEvT1_,comdat
	.protected	_ZN7rocprim17ROCPRIM_400000_NS6detail17trampoline_kernelINS0_14default_configENS1_25transform_config_selectorIyLb0EEEZNS1_14transform_implILb0ES3_S5_N6thrust23THRUST_200600_302600_NS6detail15normal_iteratorINS8_10device_ptrIyEEEEPyNS0_8identityIyEEEE10hipError_tT2_T3_mT4_P12ihipStream_tbEUlT_E_NS1_11comp_targetILNS1_3genE5ELNS1_11target_archE942ELNS1_3gpuE9ELNS1_3repE0EEENS1_30default_config_static_selectorELNS0_4arch9wavefront6targetE1EEEvT1_ ; -- Begin function _ZN7rocprim17ROCPRIM_400000_NS6detail17trampoline_kernelINS0_14default_configENS1_25transform_config_selectorIyLb0EEEZNS1_14transform_implILb0ES3_S5_N6thrust23THRUST_200600_302600_NS6detail15normal_iteratorINS8_10device_ptrIyEEEEPyNS0_8identityIyEEEE10hipError_tT2_T3_mT4_P12ihipStream_tbEUlT_E_NS1_11comp_targetILNS1_3genE5ELNS1_11target_archE942ELNS1_3gpuE9ELNS1_3repE0EEENS1_30default_config_static_selectorELNS0_4arch9wavefront6targetE1EEEvT1_
	.globl	_ZN7rocprim17ROCPRIM_400000_NS6detail17trampoline_kernelINS0_14default_configENS1_25transform_config_selectorIyLb0EEEZNS1_14transform_implILb0ES3_S5_N6thrust23THRUST_200600_302600_NS6detail15normal_iteratorINS8_10device_ptrIyEEEEPyNS0_8identityIyEEEE10hipError_tT2_T3_mT4_P12ihipStream_tbEUlT_E_NS1_11comp_targetILNS1_3genE5ELNS1_11target_archE942ELNS1_3gpuE9ELNS1_3repE0EEENS1_30default_config_static_selectorELNS0_4arch9wavefront6targetE1EEEvT1_
	.p2align	8
	.type	_ZN7rocprim17ROCPRIM_400000_NS6detail17trampoline_kernelINS0_14default_configENS1_25transform_config_selectorIyLb0EEEZNS1_14transform_implILb0ES3_S5_N6thrust23THRUST_200600_302600_NS6detail15normal_iteratorINS8_10device_ptrIyEEEEPyNS0_8identityIyEEEE10hipError_tT2_T3_mT4_P12ihipStream_tbEUlT_E_NS1_11comp_targetILNS1_3genE5ELNS1_11target_archE942ELNS1_3gpuE9ELNS1_3repE0EEENS1_30default_config_static_selectorELNS0_4arch9wavefront6targetE1EEEvT1_,@function
_ZN7rocprim17ROCPRIM_400000_NS6detail17trampoline_kernelINS0_14default_configENS1_25transform_config_selectorIyLb0EEEZNS1_14transform_implILb0ES3_S5_N6thrust23THRUST_200600_302600_NS6detail15normal_iteratorINS8_10device_ptrIyEEEEPyNS0_8identityIyEEEE10hipError_tT2_T3_mT4_P12ihipStream_tbEUlT_E_NS1_11comp_targetILNS1_3genE5ELNS1_11target_archE942ELNS1_3gpuE9ELNS1_3repE0EEENS1_30default_config_static_selectorELNS0_4arch9wavefront6targetE1EEEvT1_: ; @_ZN7rocprim17ROCPRIM_400000_NS6detail17trampoline_kernelINS0_14default_configENS1_25transform_config_selectorIyLb0EEEZNS1_14transform_implILb0ES3_S5_N6thrust23THRUST_200600_302600_NS6detail15normal_iteratorINS8_10device_ptrIyEEEEPyNS0_8identityIyEEEE10hipError_tT2_T3_mT4_P12ihipStream_tbEUlT_E_NS1_11comp_targetILNS1_3genE5ELNS1_11target_archE942ELNS1_3gpuE9ELNS1_3repE0EEENS1_30default_config_static_selectorELNS0_4arch9wavefront6targetE1EEEvT1_
; %bb.0:
	.section	.rodata,"a",@progbits
	.p2align	6, 0x0
	.amdhsa_kernel _ZN7rocprim17ROCPRIM_400000_NS6detail17trampoline_kernelINS0_14default_configENS1_25transform_config_selectorIyLb0EEEZNS1_14transform_implILb0ES3_S5_N6thrust23THRUST_200600_302600_NS6detail15normal_iteratorINS8_10device_ptrIyEEEEPyNS0_8identityIyEEEE10hipError_tT2_T3_mT4_P12ihipStream_tbEUlT_E_NS1_11comp_targetILNS1_3genE5ELNS1_11target_archE942ELNS1_3gpuE9ELNS1_3repE0EEENS1_30default_config_static_selectorELNS0_4arch9wavefront6targetE1EEEvT1_
		.amdhsa_group_segment_fixed_size 0
		.amdhsa_private_segment_fixed_size 0
		.amdhsa_kernarg_size 40
		.amdhsa_user_sgpr_count 6
		.amdhsa_user_sgpr_private_segment_buffer 1
		.amdhsa_user_sgpr_dispatch_ptr 0
		.amdhsa_user_sgpr_queue_ptr 0
		.amdhsa_user_sgpr_kernarg_segment_ptr 1
		.amdhsa_user_sgpr_dispatch_id 0
		.amdhsa_user_sgpr_flat_scratch_init 0
		.amdhsa_user_sgpr_kernarg_preload_length 0
		.amdhsa_user_sgpr_kernarg_preload_offset 0
		.amdhsa_user_sgpr_private_segment_size 0
		.amdhsa_uses_dynamic_stack 0
		.amdhsa_system_sgpr_private_segment_wavefront_offset 0
		.amdhsa_system_sgpr_workgroup_id_x 1
		.amdhsa_system_sgpr_workgroup_id_y 0
		.amdhsa_system_sgpr_workgroup_id_z 0
		.amdhsa_system_sgpr_workgroup_info 0
		.amdhsa_system_vgpr_workitem_id 0
		.amdhsa_next_free_vgpr 1
		.amdhsa_next_free_sgpr 0
		.amdhsa_accum_offset 4
		.amdhsa_reserve_vcc 0
		.amdhsa_reserve_flat_scratch 0
		.amdhsa_float_round_mode_32 0
		.amdhsa_float_round_mode_16_64 0
		.amdhsa_float_denorm_mode_32 3
		.amdhsa_float_denorm_mode_16_64 3
		.amdhsa_dx10_clamp 1
		.amdhsa_ieee_mode 1
		.amdhsa_fp16_overflow 0
		.amdhsa_tg_split 0
		.amdhsa_exception_fp_ieee_invalid_op 0
		.amdhsa_exception_fp_denorm_src 0
		.amdhsa_exception_fp_ieee_div_zero 0
		.amdhsa_exception_fp_ieee_overflow 0
		.amdhsa_exception_fp_ieee_underflow 0
		.amdhsa_exception_fp_ieee_inexact 0
		.amdhsa_exception_int_div_zero 0
	.end_amdhsa_kernel
	.section	.text._ZN7rocprim17ROCPRIM_400000_NS6detail17trampoline_kernelINS0_14default_configENS1_25transform_config_selectorIyLb0EEEZNS1_14transform_implILb0ES3_S5_N6thrust23THRUST_200600_302600_NS6detail15normal_iteratorINS8_10device_ptrIyEEEEPyNS0_8identityIyEEEE10hipError_tT2_T3_mT4_P12ihipStream_tbEUlT_E_NS1_11comp_targetILNS1_3genE5ELNS1_11target_archE942ELNS1_3gpuE9ELNS1_3repE0EEENS1_30default_config_static_selectorELNS0_4arch9wavefront6targetE1EEEvT1_,"axG",@progbits,_ZN7rocprim17ROCPRIM_400000_NS6detail17trampoline_kernelINS0_14default_configENS1_25transform_config_selectorIyLb0EEEZNS1_14transform_implILb0ES3_S5_N6thrust23THRUST_200600_302600_NS6detail15normal_iteratorINS8_10device_ptrIyEEEEPyNS0_8identityIyEEEE10hipError_tT2_T3_mT4_P12ihipStream_tbEUlT_E_NS1_11comp_targetILNS1_3genE5ELNS1_11target_archE942ELNS1_3gpuE9ELNS1_3repE0EEENS1_30default_config_static_selectorELNS0_4arch9wavefront6targetE1EEEvT1_,comdat
.Lfunc_end856:
	.size	_ZN7rocprim17ROCPRIM_400000_NS6detail17trampoline_kernelINS0_14default_configENS1_25transform_config_selectorIyLb0EEEZNS1_14transform_implILb0ES3_S5_N6thrust23THRUST_200600_302600_NS6detail15normal_iteratorINS8_10device_ptrIyEEEEPyNS0_8identityIyEEEE10hipError_tT2_T3_mT4_P12ihipStream_tbEUlT_E_NS1_11comp_targetILNS1_3genE5ELNS1_11target_archE942ELNS1_3gpuE9ELNS1_3repE0EEENS1_30default_config_static_selectorELNS0_4arch9wavefront6targetE1EEEvT1_, .Lfunc_end856-_ZN7rocprim17ROCPRIM_400000_NS6detail17trampoline_kernelINS0_14default_configENS1_25transform_config_selectorIyLb0EEEZNS1_14transform_implILb0ES3_S5_N6thrust23THRUST_200600_302600_NS6detail15normal_iteratorINS8_10device_ptrIyEEEEPyNS0_8identityIyEEEE10hipError_tT2_T3_mT4_P12ihipStream_tbEUlT_E_NS1_11comp_targetILNS1_3genE5ELNS1_11target_archE942ELNS1_3gpuE9ELNS1_3repE0EEENS1_30default_config_static_selectorELNS0_4arch9wavefront6targetE1EEEvT1_
                                        ; -- End function
	.section	.AMDGPU.csdata,"",@progbits
; Kernel info:
; codeLenInByte = 0
; NumSgprs: 4
; NumVgprs: 0
; NumAgprs: 0
; TotalNumVgprs: 0
; ScratchSize: 0
; MemoryBound: 0
; FloatMode: 240
; IeeeMode: 1
; LDSByteSize: 0 bytes/workgroup (compile time only)
; SGPRBlocks: 0
; VGPRBlocks: 0
; NumSGPRsForWavesPerEU: 4
; NumVGPRsForWavesPerEU: 1
; AccumOffset: 4
; Occupancy: 8
; WaveLimiterHint : 0
; COMPUTE_PGM_RSRC2:SCRATCH_EN: 0
; COMPUTE_PGM_RSRC2:USER_SGPR: 6
; COMPUTE_PGM_RSRC2:TRAP_HANDLER: 0
; COMPUTE_PGM_RSRC2:TGID_X_EN: 1
; COMPUTE_PGM_RSRC2:TGID_Y_EN: 0
; COMPUTE_PGM_RSRC2:TGID_Z_EN: 0
; COMPUTE_PGM_RSRC2:TIDIG_COMP_CNT: 0
; COMPUTE_PGM_RSRC3_GFX90A:ACCUM_OFFSET: 0
; COMPUTE_PGM_RSRC3_GFX90A:TG_SPLIT: 0
	.section	.text._ZN7rocprim17ROCPRIM_400000_NS6detail17trampoline_kernelINS0_14default_configENS1_25transform_config_selectorIyLb0EEEZNS1_14transform_implILb0ES3_S5_N6thrust23THRUST_200600_302600_NS6detail15normal_iteratorINS8_10device_ptrIyEEEEPyNS0_8identityIyEEEE10hipError_tT2_T3_mT4_P12ihipStream_tbEUlT_E_NS1_11comp_targetILNS1_3genE4ELNS1_11target_archE910ELNS1_3gpuE8ELNS1_3repE0EEENS1_30default_config_static_selectorELNS0_4arch9wavefront6targetE1EEEvT1_,"axG",@progbits,_ZN7rocprim17ROCPRIM_400000_NS6detail17trampoline_kernelINS0_14default_configENS1_25transform_config_selectorIyLb0EEEZNS1_14transform_implILb0ES3_S5_N6thrust23THRUST_200600_302600_NS6detail15normal_iteratorINS8_10device_ptrIyEEEEPyNS0_8identityIyEEEE10hipError_tT2_T3_mT4_P12ihipStream_tbEUlT_E_NS1_11comp_targetILNS1_3genE4ELNS1_11target_archE910ELNS1_3gpuE8ELNS1_3repE0EEENS1_30default_config_static_selectorELNS0_4arch9wavefront6targetE1EEEvT1_,comdat
	.protected	_ZN7rocprim17ROCPRIM_400000_NS6detail17trampoline_kernelINS0_14default_configENS1_25transform_config_selectorIyLb0EEEZNS1_14transform_implILb0ES3_S5_N6thrust23THRUST_200600_302600_NS6detail15normal_iteratorINS8_10device_ptrIyEEEEPyNS0_8identityIyEEEE10hipError_tT2_T3_mT4_P12ihipStream_tbEUlT_E_NS1_11comp_targetILNS1_3genE4ELNS1_11target_archE910ELNS1_3gpuE8ELNS1_3repE0EEENS1_30default_config_static_selectorELNS0_4arch9wavefront6targetE1EEEvT1_ ; -- Begin function _ZN7rocprim17ROCPRIM_400000_NS6detail17trampoline_kernelINS0_14default_configENS1_25transform_config_selectorIyLb0EEEZNS1_14transform_implILb0ES3_S5_N6thrust23THRUST_200600_302600_NS6detail15normal_iteratorINS8_10device_ptrIyEEEEPyNS0_8identityIyEEEE10hipError_tT2_T3_mT4_P12ihipStream_tbEUlT_E_NS1_11comp_targetILNS1_3genE4ELNS1_11target_archE910ELNS1_3gpuE8ELNS1_3repE0EEENS1_30default_config_static_selectorELNS0_4arch9wavefront6targetE1EEEvT1_
	.globl	_ZN7rocprim17ROCPRIM_400000_NS6detail17trampoline_kernelINS0_14default_configENS1_25transform_config_selectorIyLb0EEEZNS1_14transform_implILb0ES3_S5_N6thrust23THRUST_200600_302600_NS6detail15normal_iteratorINS8_10device_ptrIyEEEEPyNS0_8identityIyEEEE10hipError_tT2_T3_mT4_P12ihipStream_tbEUlT_E_NS1_11comp_targetILNS1_3genE4ELNS1_11target_archE910ELNS1_3gpuE8ELNS1_3repE0EEENS1_30default_config_static_selectorELNS0_4arch9wavefront6targetE1EEEvT1_
	.p2align	8
	.type	_ZN7rocprim17ROCPRIM_400000_NS6detail17trampoline_kernelINS0_14default_configENS1_25transform_config_selectorIyLb0EEEZNS1_14transform_implILb0ES3_S5_N6thrust23THRUST_200600_302600_NS6detail15normal_iteratorINS8_10device_ptrIyEEEEPyNS0_8identityIyEEEE10hipError_tT2_T3_mT4_P12ihipStream_tbEUlT_E_NS1_11comp_targetILNS1_3genE4ELNS1_11target_archE910ELNS1_3gpuE8ELNS1_3repE0EEENS1_30default_config_static_selectorELNS0_4arch9wavefront6targetE1EEEvT1_,@function
_ZN7rocprim17ROCPRIM_400000_NS6detail17trampoline_kernelINS0_14default_configENS1_25transform_config_selectorIyLb0EEEZNS1_14transform_implILb0ES3_S5_N6thrust23THRUST_200600_302600_NS6detail15normal_iteratorINS8_10device_ptrIyEEEEPyNS0_8identityIyEEEE10hipError_tT2_T3_mT4_P12ihipStream_tbEUlT_E_NS1_11comp_targetILNS1_3genE4ELNS1_11target_archE910ELNS1_3gpuE8ELNS1_3repE0EEENS1_30default_config_static_selectorELNS0_4arch9wavefront6targetE1EEEvT1_: ; @_ZN7rocprim17ROCPRIM_400000_NS6detail17trampoline_kernelINS0_14default_configENS1_25transform_config_selectorIyLb0EEEZNS1_14transform_implILb0ES3_S5_N6thrust23THRUST_200600_302600_NS6detail15normal_iteratorINS8_10device_ptrIyEEEEPyNS0_8identityIyEEEE10hipError_tT2_T3_mT4_P12ihipStream_tbEUlT_E_NS1_11comp_targetILNS1_3genE4ELNS1_11target_archE910ELNS1_3gpuE8ELNS1_3repE0EEENS1_30default_config_static_selectorELNS0_4arch9wavefront6targetE1EEEvT1_
; %bb.0:
	s_load_dwordx8 s[8:15], s[4:5], 0x0
	s_load_dword s2, s[4:5], 0x28
	v_lshlrev_b32_e32 v8, 3, v0
	s_waitcnt lgkmcnt(0)
	s_lshl_b64 s[0:1], s[10:11], 3
	s_add_u32 s3, s8, s0
	s_addc_u32 s4, s9, s1
	s_add_u32 s10, s14, s0
	s_addc_u32 s11, s15, s1
	s_lshl_b32 s0, s6, 9
	s_mov_b32 s1, 0
	s_add_i32 s2, s2, -1
	s_lshl_b64 s[8:9], s[0:1], 3
	s_add_u32 s13, s3, s8
	s_addc_u32 s14, s4, s9
	s_cmp_lg_u32 s6, s2
	s_cbranch_scc0 .LBB857_2
; %bb.1:
	v_mov_b32_e32 v1, s14
	v_add_co_u32_e32 v2, vcc, s13, v8
	v_addc_co_u32_e32 v3, vcc, 0, v1, vcc
	flat_load_dwordx2 v[10:11], v[2:3]
	flat_load_dwordx2 v[4:5], v[2:3] offset:2048
	s_add_u32 s4, s10, s8
	s_addc_u32 s5, s11, s9
	v_mov_b32_e32 v1, s5
	v_add_co_u32_e32 v6, vcc, s4, v8
	v_addc_co_u32_e32 v7, vcc, 0, v1, vcc
	s_waitcnt vmcnt(0) lgkmcnt(0)
	global_store_dwordx2 v8, v[10:11], s[4:5]
	s_mov_b64 s[4:5], -1
	s_cbranch_execz .LBB857_3
	s_branch .LBB857_14
.LBB857_2:
	s_mov_b64 s[4:5], 0
                                        ; implicit-def: $vgpr4_vgpr5
                                        ; implicit-def: $vgpr6_vgpr7
.LBB857_3:
	s_sub_i32 s6, s12, s0
	v_cmp_gt_u32_e32 vcc, s6, v0
                                        ; implicit-def: $vgpr2_vgpr3_vgpr4_vgpr5
	s_and_saveexec_b64 s[2:3], vcc
	s_cbranch_execz .LBB857_5
; %bb.4:
	v_mov_b32_e32 v1, s14
	v_add_co_u32_e64 v2, s[0:1], s13, v8
	v_addc_co_u32_e64 v3, s[0:1], 0, v1, s[0:1]
	flat_load_dwordx2 v[2:3], v[2:3]
.LBB857_5:
	s_or_b64 exec, exec, s[2:3]
	v_or_b32_e32 v1, 0x100, v0
	v_cmp_gt_u32_e64 s[0:1], s6, v1
	v_cmp_le_u32_e64 s[2:3], s6, v1
	s_and_saveexec_b64 s[6:7], s[2:3]
	s_xor_b64 s[2:3], exec, s[6:7]
; %bb.6:
	v_mov_b32_e32 v1, 0
                                        ; implicit-def: $vgpr8
; %bb.7:
	s_andn2_saveexec_b64 s[6:7], s[2:3]
	s_cbranch_execz .LBB857_9
; %bb.8:
	v_mov_b32_e32 v1, s14
	v_add_co_u32_e64 v4, s[2:3], s13, v8
	v_addc_co_u32_e64 v5, s[2:3], 0, v1, s[2:3]
	flat_load_dwordx2 v[4:5], v[4:5] offset:2048
	v_mov_b32_e32 v1, 0
.LBB857_9:
	s_or_b64 exec, exec, s[6:7]
	s_add_u32 s2, s10, s8
	s_addc_u32 s3, s11, s9
	v_lshlrev_b64 v[0:1], 3, v[0:1]
	v_mov_b32_e32 v7, s3
	v_add_co_u32_e64 v6, s[2:3], s2, v0
	v_addc_co_u32_e64 v7, s[2:3], v7, v1, s[2:3]
	s_and_saveexec_b64 s[2:3], vcc
	s_cbranch_execz .LBB857_11
; %bb.10:
	s_waitcnt vmcnt(0) lgkmcnt(0)
	global_store_dwordx2 v[6:7], v[2:3], off
.LBB857_11:
	s_or_b64 exec, exec, s[2:3]
	s_and_saveexec_b64 s[2:3], s[0:1]
; %bb.12:
	s_or_b64 s[4:5], s[4:5], exec
; %bb.13:
	s_or_b64 exec, exec, s[2:3]
.LBB857_14:
	s_and_saveexec_b64 s[0:1], s[4:5]
	s_cbranch_execnz .LBB857_16
; %bb.15:
	s_endpgm
.LBB857_16:
	s_waitcnt vmcnt(0) lgkmcnt(0)
	global_store_dwordx2 v[6:7], v[4:5], off offset:2048
	s_endpgm
	.section	.rodata,"a",@progbits
	.p2align	6, 0x0
	.amdhsa_kernel _ZN7rocprim17ROCPRIM_400000_NS6detail17trampoline_kernelINS0_14default_configENS1_25transform_config_selectorIyLb0EEEZNS1_14transform_implILb0ES3_S5_N6thrust23THRUST_200600_302600_NS6detail15normal_iteratorINS8_10device_ptrIyEEEEPyNS0_8identityIyEEEE10hipError_tT2_T3_mT4_P12ihipStream_tbEUlT_E_NS1_11comp_targetILNS1_3genE4ELNS1_11target_archE910ELNS1_3gpuE8ELNS1_3repE0EEENS1_30default_config_static_selectorELNS0_4arch9wavefront6targetE1EEEvT1_
		.amdhsa_group_segment_fixed_size 0
		.amdhsa_private_segment_fixed_size 0
		.amdhsa_kernarg_size 296
		.amdhsa_user_sgpr_count 6
		.amdhsa_user_sgpr_private_segment_buffer 1
		.amdhsa_user_sgpr_dispatch_ptr 0
		.amdhsa_user_sgpr_queue_ptr 0
		.amdhsa_user_sgpr_kernarg_segment_ptr 1
		.amdhsa_user_sgpr_dispatch_id 0
		.amdhsa_user_sgpr_flat_scratch_init 0
		.amdhsa_user_sgpr_kernarg_preload_length 0
		.amdhsa_user_sgpr_kernarg_preload_offset 0
		.amdhsa_user_sgpr_private_segment_size 0
		.amdhsa_uses_dynamic_stack 0
		.amdhsa_system_sgpr_private_segment_wavefront_offset 0
		.amdhsa_system_sgpr_workgroup_id_x 1
		.amdhsa_system_sgpr_workgroup_id_y 0
		.amdhsa_system_sgpr_workgroup_id_z 0
		.amdhsa_system_sgpr_workgroup_info 0
		.amdhsa_system_vgpr_workitem_id 0
		.amdhsa_next_free_vgpr 12
		.amdhsa_next_free_sgpr 16
		.amdhsa_accum_offset 12
		.amdhsa_reserve_vcc 1
		.amdhsa_reserve_flat_scratch 0
		.amdhsa_float_round_mode_32 0
		.amdhsa_float_round_mode_16_64 0
		.amdhsa_float_denorm_mode_32 3
		.amdhsa_float_denorm_mode_16_64 3
		.amdhsa_dx10_clamp 1
		.amdhsa_ieee_mode 1
		.amdhsa_fp16_overflow 0
		.amdhsa_tg_split 0
		.amdhsa_exception_fp_ieee_invalid_op 0
		.amdhsa_exception_fp_denorm_src 0
		.amdhsa_exception_fp_ieee_div_zero 0
		.amdhsa_exception_fp_ieee_overflow 0
		.amdhsa_exception_fp_ieee_underflow 0
		.amdhsa_exception_fp_ieee_inexact 0
		.amdhsa_exception_int_div_zero 0
	.end_amdhsa_kernel
	.section	.text._ZN7rocprim17ROCPRIM_400000_NS6detail17trampoline_kernelINS0_14default_configENS1_25transform_config_selectorIyLb0EEEZNS1_14transform_implILb0ES3_S5_N6thrust23THRUST_200600_302600_NS6detail15normal_iteratorINS8_10device_ptrIyEEEEPyNS0_8identityIyEEEE10hipError_tT2_T3_mT4_P12ihipStream_tbEUlT_E_NS1_11comp_targetILNS1_3genE4ELNS1_11target_archE910ELNS1_3gpuE8ELNS1_3repE0EEENS1_30default_config_static_selectorELNS0_4arch9wavefront6targetE1EEEvT1_,"axG",@progbits,_ZN7rocprim17ROCPRIM_400000_NS6detail17trampoline_kernelINS0_14default_configENS1_25transform_config_selectorIyLb0EEEZNS1_14transform_implILb0ES3_S5_N6thrust23THRUST_200600_302600_NS6detail15normal_iteratorINS8_10device_ptrIyEEEEPyNS0_8identityIyEEEE10hipError_tT2_T3_mT4_P12ihipStream_tbEUlT_E_NS1_11comp_targetILNS1_3genE4ELNS1_11target_archE910ELNS1_3gpuE8ELNS1_3repE0EEENS1_30default_config_static_selectorELNS0_4arch9wavefront6targetE1EEEvT1_,comdat
.Lfunc_end857:
	.size	_ZN7rocprim17ROCPRIM_400000_NS6detail17trampoline_kernelINS0_14default_configENS1_25transform_config_selectorIyLb0EEEZNS1_14transform_implILb0ES3_S5_N6thrust23THRUST_200600_302600_NS6detail15normal_iteratorINS8_10device_ptrIyEEEEPyNS0_8identityIyEEEE10hipError_tT2_T3_mT4_P12ihipStream_tbEUlT_E_NS1_11comp_targetILNS1_3genE4ELNS1_11target_archE910ELNS1_3gpuE8ELNS1_3repE0EEENS1_30default_config_static_selectorELNS0_4arch9wavefront6targetE1EEEvT1_, .Lfunc_end857-_ZN7rocprim17ROCPRIM_400000_NS6detail17trampoline_kernelINS0_14default_configENS1_25transform_config_selectorIyLb0EEEZNS1_14transform_implILb0ES3_S5_N6thrust23THRUST_200600_302600_NS6detail15normal_iteratorINS8_10device_ptrIyEEEEPyNS0_8identityIyEEEE10hipError_tT2_T3_mT4_P12ihipStream_tbEUlT_E_NS1_11comp_targetILNS1_3genE4ELNS1_11target_archE910ELNS1_3gpuE8ELNS1_3repE0EEENS1_30default_config_static_selectorELNS0_4arch9wavefront6targetE1EEEvT1_
                                        ; -- End function
	.section	.AMDGPU.csdata,"",@progbits
; Kernel info:
; codeLenInByte = 380
; NumSgprs: 20
; NumVgprs: 12
; NumAgprs: 0
; TotalNumVgprs: 12
; ScratchSize: 0
; MemoryBound: 0
; FloatMode: 240
; IeeeMode: 1
; LDSByteSize: 0 bytes/workgroup (compile time only)
; SGPRBlocks: 2
; VGPRBlocks: 1
; NumSGPRsForWavesPerEU: 20
; NumVGPRsForWavesPerEU: 12
; AccumOffset: 12
; Occupancy: 8
; WaveLimiterHint : 1
; COMPUTE_PGM_RSRC2:SCRATCH_EN: 0
; COMPUTE_PGM_RSRC2:USER_SGPR: 6
; COMPUTE_PGM_RSRC2:TRAP_HANDLER: 0
; COMPUTE_PGM_RSRC2:TGID_X_EN: 1
; COMPUTE_PGM_RSRC2:TGID_Y_EN: 0
; COMPUTE_PGM_RSRC2:TGID_Z_EN: 0
; COMPUTE_PGM_RSRC2:TIDIG_COMP_CNT: 0
; COMPUTE_PGM_RSRC3_GFX90A:ACCUM_OFFSET: 2
; COMPUTE_PGM_RSRC3_GFX90A:TG_SPLIT: 0
	.section	.text._ZN7rocprim17ROCPRIM_400000_NS6detail17trampoline_kernelINS0_14default_configENS1_25transform_config_selectorIyLb0EEEZNS1_14transform_implILb0ES3_S5_N6thrust23THRUST_200600_302600_NS6detail15normal_iteratorINS8_10device_ptrIyEEEEPyNS0_8identityIyEEEE10hipError_tT2_T3_mT4_P12ihipStream_tbEUlT_E_NS1_11comp_targetILNS1_3genE3ELNS1_11target_archE908ELNS1_3gpuE7ELNS1_3repE0EEENS1_30default_config_static_selectorELNS0_4arch9wavefront6targetE1EEEvT1_,"axG",@progbits,_ZN7rocprim17ROCPRIM_400000_NS6detail17trampoline_kernelINS0_14default_configENS1_25transform_config_selectorIyLb0EEEZNS1_14transform_implILb0ES3_S5_N6thrust23THRUST_200600_302600_NS6detail15normal_iteratorINS8_10device_ptrIyEEEEPyNS0_8identityIyEEEE10hipError_tT2_T3_mT4_P12ihipStream_tbEUlT_E_NS1_11comp_targetILNS1_3genE3ELNS1_11target_archE908ELNS1_3gpuE7ELNS1_3repE0EEENS1_30default_config_static_selectorELNS0_4arch9wavefront6targetE1EEEvT1_,comdat
	.protected	_ZN7rocprim17ROCPRIM_400000_NS6detail17trampoline_kernelINS0_14default_configENS1_25transform_config_selectorIyLb0EEEZNS1_14transform_implILb0ES3_S5_N6thrust23THRUST_200600_302600_NS6detail15normal_iteratorINS8_10device_ptrIyEEEEPyNS0_8identityIyEEEE10hipError_tT2_T3_mT4_P12ihipStream_tbEUlT_E_NS1_11comp_targetILNS1_3genE3ELNS1_11target_archE908ELNS1_3gpuE7ELNS1_3repE0EEENS1_30default_config_static_selectorELNS0_4arch9wavefront6targetE1EEEvT1_ ; -- Begin function _ZN7rocprim17ROCPRIM_400000_NS6detail17trampoline_kernelINS0_14default_configENS1_25transform_config_selectorIyLb0EEEZNS1_14transform_implILb0ES3_S5_N6thrust23THRUST_200600_302600_NS6detail15normal_iteratorINS8_10device_ptrIyEEEEPyNS0_8identityIyEEEE10hipError_tT2_T3_mT4_P12ihipStream_tbEUlT_E_NS1_11comp_targetILNS1_3genE3ELNS1_11target_archE908ELNS1_3gpuE7ELNS1_3repE0EEENS1_30default_config_static_selectorELNS0_4arch9wavefront6targetE1EEEvT1_
	.globl	_ZN7rocprim17ROCPRIM_400000_NS6detail17trampoline_kernelINS0_14default_configENS1_25transform_config_selectorIyLb0EEEZNS1_14transform_implILb0ES3_S5_N6thrust23THRUST_200600_302600_NS6detail15normal_iteratorINS8_10device_ptrIyEEEEPyNS0_8identityIyEEEE10hipError_tT2_T3_mT4_P12ihipStream_tbEUlT_E_NS1_11comp_targetILNS1_3genE3ELNS1_11target_archE908ELNS1_3gpuE7ELNS1_3repE0EEENS1_30default_config_static_selectorELNS0_4arch9wavefront6targetE1EEEvT1_
	.p2align	8
	.type	_ZN7rocprim17ROCPRIM_400000_NS6detail17trampoline_kernelINS0_14default_configENS1_25transform_config_selectorIyLb0EEEZNS1_14transform_implILb0ES3_S5_N6thrust23THRUST_200600_302600_NS6detail15normal_iteratorINS8_10device_ptrIyEEEEPyNS0_8identityIyEEEE10hipError_tT2_T3_mT4_P12ihipStream_tbEUlT_E_NS1_11comp_targetILNS1_3genE3ELNS1_11target_archE908ELNS1_3gpuE7ELNS1_3repE0EEENS1_30default_config_static_selectorELNS0_4arch9wavefront6targetE1EEEvT1_,@function
_ZN7rocprim17ROCPRIM_400000_NS6detail17trampoline_kernelINS0_14default_configENS1_25transform_config_selectorIyLb0EEEZNS1_14transform_implILb0ES3_S5_N6thrust23THRUST_200600_302600_NS6detail15normal_iteratorINS8_10device_ptrIyEEEEPyNS0_8identityIyEEEE10hipError_tT2_T3_mT4_P12ihipStream_tbEUlT_E_NS1_11comp_targetILNS1_3genE3ELNS1_11target_archE908ELNS1_3gpuE7ELNS1_3repE0EEENS1_30default_config_static_selectorELNS0_4arch9wavefront6targetE1EEEvT1_: ; @_ZN7rocprim17ROCPRIM_400000_NS6detail17trampoline_kernelINS0_14default_configENS1_25transform_config_selectorIyLb0EEEZNS1_14transform_implILb0ES3_S5_N6thrust23THRUST_200600_302600_NS6detail15normal_iteratorINS8_10device_ptrIyEEEEPyNS0_8identityIyEEEE10hipError_tT2_T3_mT4_P12ihipStream_tbEUlT_E_NS1_11comp_targetILNS1_3genE3ELNS1_11target_archE908ELNS1_3gpuE7ELNS1_3repE0EEENS1_30default_config_static_selectorELNS0_4arch9wavefront6targetE1EEEvT1_
; %bb.0:
	.section	.rodata,"a",@progbits
	.p2align	6, 0x0
	.amdhsa_kernel _ZN7rocprim17ROCPRIM_400000_NS6detail17trampoline_kernelINS0_14default_configENS1_25transform_config_selectorIyLb0EEEZNS1_14transform_implILb0ES3_S5_N6thrust23THRUST_200600_302600_NS6detail15normal_iteratorINS8_10device_ptrIyEEEEPyNS0_8identityIyEEEE10hipError_tT2_T3_mT4_P12ihipStream_tbEUlT_E_NS1_11comp_targetILNS1_3genE3ELNS1_11target_archE908ELNS1_3gpuE7ELNS1_3repE0EEENS1_30default_config_static_selectorELNS0_4arch9wavefront6targetE1EEEvT1_
		.amdhsa_group_segment_fixed_size 0
		.amdhsa_private_segment_fixed_size 0
		.amdhsa_kernarg_size 40
		.amdhsa_user_sgpr_count 6
		.amdhsa_user_sgpr_private_segment_buffer 1
		.amdhsa_user_sgpr_dispatch_ptr 0
		.amdhsa_user_sgpr_queue_ptr 0
		.amdhsa_user_sgpr_kernarg_segment_ptr 1
		.amdhsa_user_sgpr_dispatch_id 0
		.amdhsa_user_sgpr_flat_scratch_init 0
		.amdhsa_user_sgpr_kernarg_preload_length 0
		.amdhsa_user_sgpr_kernarg_preload_offset 0
		.amdhsa_user_sgpr_private_segment_size 0
		.amdhsa_uses_dynamic_stack 0
		.amdhsa_system_sgpr_private_segment_wavefront_offset 0
		.amdhsa_system_sgpr_workgroup_id_x 1
		.amdhsa_system_sgpr_workgroup_id_y 0
		.amdhsa_system_sgpr_workgroup_id_z 0
		.amdhsa_system_sgpr_workgroup_info 0
		.amdhsa_system_vgpr_workitem_id 0
		.amdhsa_next_free_vgpr 1
		.amdhsa_next_free_sgpr 0
		.amdhsa_accum_offset 4
		.amdhsa_reserve_vcc 0
		.amdhsa_reserve_flat_scratch 0
		.amdhsa_float_round_mode_32 0
		.amdhsa_float_round_mode_16_64 0
		.amdhsa_float_denorm_mode_32 3
		.amdhsa_float_denorm_mode_16_64 3
		.amdhsa_dx10_clamp 1
		.amdhsa_ieee_mode 1
		.amdhsa_fp16_overflow 0
		.amdhsa_tg_split 0
		.amdhsa_exception_fp_ieee_invalid_op 0
		.amdhsa_exception_fp_denorm_src 0
		.amdhsa_exception_fp_ieee_div_zero 0
		.amdhsa_exception_fp_ieee_overflow 0
		.amdhsa_exception_fp_ieee_underflow 0
		.amdhsa_exception_fp_ieee_inexact 0
		.amdhsa_exception_int_div_zero 0
	.end_amdhsa_kernel
	.section	.text._ZN7rocprim17ROCPRIM_400000_NS6detail17trampoline_kernelINS0_14default_configENS1_25transform_config_selectorIyLb0EEEZNS1_14transform_implILb0ES3_S5_N6thrust23THRUST_200600_302600_NS6detail15normal_iteratorINS8_10device_ptrIyEEEEPyNS0_8identityIyEEEE10hipError_tT2_T3_mT4_P12ihipStream_tbEUlT_E_NS1_11comp_targetILNS1_3genE3ELNS1_11target_archE908ELNS1_3gpuE7ELNS1_3repE0EEENS1_30default_config_static_selectorELNS0_4arch9wavefront6targetE1EEEvT1_,"axG",@progbits,_ZN7rocprim17ROCPRIM_400000_NS6detail17trampoline_kernelINS0_14default_configENS1_25transform_config_selectorIyLb0EEEZNS1_14transform_implILb0ES3_S5_N6thrust23THRUST_200600_302600_NS6detail15normal_iteratorINS8_10device_ptrIyEEEEPyNS0_8identityIyEEEE10hipError_tT2_T3_mT4_P12ihipStream_tbEUlT_E_NS1_11comp_targetILNS1_3genE3ELNS1_11target_archE908ELNS1_3gpuE7ELNS1_3repE0EEENS1_30default_config_static_selectorELNS0_4arch9wavefront6targetE1EEEvT1_,comdat
.Lfunc_end858:
	.size	_ZN7rocprim17ROCPRIM_400000_NS6detail17trampoline_kernelINS0_14default_configENS1_25transform_config_selectorIyLb0EEEZNS1_14transform_implILb0ES3_S5_N6thrust23THRUST_200600_302600_NS6detail15normal_iteratorINS8_10device_ptrIyEEEEPyNS0_8identityIyEEEE10hipError_tT2_T3_mT4_P12ihipStream_tbEUlT_E_NS1_11comp_targetILNS1_3genE3ELNS1_11target_archE908ELNS1_3gpuE7ELNS1_3repE0EEENS1_30default_config_static_selectorELNS0_4arch9wavefront6targetE1EEEvT1_, .Lfunc_end858-_ZN7rocprim17ROCPRIM_400000_NS6detail17trampoline_kernelINS0_14default_configENS1_25transform_config_selectorIyLb0EEEZNS1_14transform_implILb0ES3_S5_N6thrust23THRUST_200600_302600_NS6detail15normal_iteratorINS8_10device_ptrIyEEEEPyNS0_8identityIyEEEE10hipError_tT2_T3_mT4_P12ihipStream_tbEUlT_E_NS1_11comp_targetILNS1_3genE3ELNS1_11target_archE908ELNS1_3gpuE7ELNS1_3repE0EEENS1_30default_config_static_selectorELNS0_4arch9wavefront6targetE1EEEvT1_
                                        ; -- End function
	.section	.AMDGPU.csdata,"",@progbits
; Kernel info:
; codeLenInByte = 0
; NumSgprs: 4
; NumVgprs: 0
; NumAgprs: 0
; TotalNumVgprs: 0
; ScratchSize: 0
; MemoryBound: 0
; FloatMode: 240
; IeeeMode: 1
; LDSByteSize: 0 bytes/workgroup (compile time only)
; SGPRBlocks: 0
; VGPRBlocks: 0
; NumSGPRsForWavesPerEU: 4
; NumVGPRsForWavesPerEU: 1
; AccumOffset: 4
; Occupancy: 8
; WaveLimiterHint : 0
; COMPUTE_PGM_RSRC2:SCRATCH_EN: 0
; COMPUTE_PGM_RSRC2:USER_SGPR: 6
; COMPUTE_PGM_RSRC2:TRAP_HANDLER: 0
; COMPUTE_PGM_RSRC2:TGID_X_EN: 1
; COMPUTE_PGM_RSRC2:TGID_Y_EN: 0
; COMPUTE_PGM_RSRC2:TGID_Z_EN: 0
; COMPUTE_PGM_RSRC2:TIDIG_COMP_CNT: 0
; COMPUTE_PGM_RSRC3_GFX90A:ACCUM_OFFSET: 0
; COMPUTE_PGM_RSRC3_GFX90A:TG_SPLIT: 0
	.section	.text._ZN7rocprim17ROCPRIM_400000_NS6detail17trampoline_kernelINS0_14default_configENS1_25transform_config_selectorIyLb0EEEZNS1_14transform_implILb0ES3_S5_N6thrust23THRUST_200600_302600_NS6detail15normal_iteratorINS8_10device_ptrIyEEEEPyNS0_8identityIyEEEE10hipError_tT2_T3_mT4_P12ihipStream_tbEUlT_E_NS1_11comp_targetILNS1_3genE2ELNS1_11target_archE906ELNS1_3gpuE6ELNS1_3repE0EEENS1_30default_config_static_selectorELNS0_4arch9wavefront6targetE1EEEvT1_,"axG",@progbits,_ZN7rocprim17ROCPRIM_400000_NS6detail17trampoline_kernelINS0_14default_configENS1_25transform_config_selectorIyLb0EEEZNS1_14transform_implILb0ES3_S5_N6thrust23THRUST_200600_302600_NS6detail15normal_iteratorINS8_10device_ptrIyEEEEPyNS0_8identityIyEEEE10hipError_tT2_T3_mT4_P12ihipStream_tbEUlT_E_NS1_11comp_targetILNS1_3genE2ELNS1_11target_archE906ELNS1_3gpuE6ELNS1_3repE0EEENS1_30default_config_static_selectorELNS0_4arch9wavefront6targetE1EEEvT1_,comdat
	.protected	_ZN7rocprim17ROCPRIM_400000_NS6detail17trampoline_kernelINS0_14default_configENS1_25transform_config_selectorIyLb0EEEZNS1_14transform_implILb0ES3_S5_N6thrust23THRUST_200600_302600_NS6detail15normal_iteratorINS8_10device_ptrIyEEEEPyNS0_8identityIyEEEE10hipError_tT2_T3_mT4_P12ihipStream_tbEUlT_E_NS1_11comp_targetILNS1_3genE2ELNS1_11target_archE906ELNS1_3gpuE6ELNS1_3repE0EEENS1_30default_config_static_selectorELNS0_4arch9wavefront6targetE1EEEvT1_ ; -- Begin function _ZN7rocprim17ROCPRIM_400000_NS6detail17trampoline_kernelINS0_14default_configENS1_25transform_config_selectorIyLb0EEEZNS1_14transform_implILb0ES3_S5_N6thrust23THRUST_200600_302600_NS6detail15normal_iteratorINS8_10device_ptrIyEEEEPyNS0_8identityIyEEEE10hipError_tT2_T3_mT4_P12ihipStream_tbEUlT_E_NS1_11comp_targetILNS1_3genE2ELNS1_11target_archE906ELNS1_3gpuE6ELNS1_3repE0EEENS1_30default_config_static_selectorELNS0_4arch9wavefront6targetE1EEEvT1_
	.globl	_ZN7rocprim17ROCPRIM_400000_NS6detail17trampoline_kernelINS0_14default_configENS1_25transform_config_selectorIyLb0EEEZNS1_14transform_implILb0ES3_S5_N6thrust23THRUST_200600_302600_NS6detail15normal_iteratorINS8_10device_ptrIyEEEEPyNS0_8identityIyEEEE10hipError_tT2_T3_mT4_P12ihipStream_tbEUlT_E_NS1_11comp_targetILNS1_3genE2ELNS1_11target_archE906ELNS1_3gpuE6ELNS1_3repE0EEENS1_30default_config_static_selectorELNS0_4arch9wavefront6targetE1EEEvT1_
	.p2align	8
	.type	_ZN7rocprim17ROCPRIM_400000_NS6detail17trampoline_kernelINS0_14default_configENS1_25transform_config_selectorIyLb0EEEZNS1_14transform_implILb0ES3_S5_N6thrust23THRUST_200600_302600_NS6detail15normal_iteratorINS8_10device_ptrIyEEEEPyNS0_8identityIyEEEE10hipError_tT2_T3_mT4_P12ihipStream_tbEUlT_E_NS1_11comp_targetILNS1_3genE2ELNS1_11target_archE906ELNS1_3gpuE6ELNS1_3repE0EEENS1_30default_config_static_selectorELNS0_4arch9wavefront6targetE1EEEvT1_,@function
_ZN7rocprim17ROCPRIM_400000_NS6detail17trampoline_kernelINS0_14default_configENS1_25transform_config_selectorIyLb0EEEZNS1_14transform_implILb0ES3_S5_N6thrust23THRUST_200600_302600_NS6detail15normal_iteratorINS8_10device_ptrIyEEEEPyNS0_8identityIyEEEE10hipError_tT2_T3_mT4_P12ihipStream_tbEUlT_E_NS1_11comp_targetILNS1_3genE2ELNS1_11target_archE906ELNS1_3gpuE6ELNS1_3repE0EEENS1_30default_config_static_selectorELNS0_4arch9wavefront6targetE1EEEvT1_: ; @_ZN7rocprim17ROCPRIM_400000_NS6detail17trampoline_kernelINS0_14default_configENS1_25transform_config_selectorIyLb0EEEZNS1_14transform_implILb0ES3_S5_N6thrust23THRUST_200600_302600_NS6detail15normal_iteratorINS8_10device_ptrIyEEEEPyNS0_8identityIyEEEE10hipError_tT2_T3_mT4_P12ihipStream_tbEUlT_E_NS1_11comp_targetILNS1_3genE2ELNS1_11target_archE906ELNS1_3gpuE6ELNS1_3repE0EEENS1_30default_config_static_selectorELNS0_4arch9wavefront6targetE1EEEvT1_
; %bb.0:
	.section	.rodata,"a",@progbits
	.p2align	6, 0x0
	.amdhsa_kernel _ZN7rocprim17ROCPRIM_400000_NS6detail17trampoline_kernelINS0_14default_configENS1_25transform_config_selectorIyLb0EEEZNS1_14transform_implILb0ES3_S5_N6thrust23THRUST_200600_302600_NS6detail15normal_iteratorINS8_10device_ptrIyEEEEPyNS0_8identityIyEEEE10hipError_tT2_T3_mT4_P12ihipStream_tbEUlT_E_NS1_11comp_targetILNS1_3genE2ELNS1_11target_archE906ELNS1_3gpuE6ELNS1_3repE0EEENS1_30default_config_static_selectorELNS0_4arch9wavefront6targetE1EEEvT1_
		.amdhsa_group_segment_fixed_size 0
		.amdhsa_private_segment_fixed_size 0
		.amdhsa_kernarg_size 40
		.amdhsa_user_sgpr_count 6
		.amdhsa_user_sgpr_private_segment_buffer 1
		.amdhsa_user_sgpr_dispatch_ptr 0
		.amdhsa_user_sgpr_queue_ptr 0
		.amdhsa_user_sgpr_kernarg_segment_ptr 1
		.amdhsa_user_sgpr_dispatch_id 0
		.amdhsa_user_sgpr_flat_scratch_init 0
		.amdhsa_user_sgpr_kernarg_preload_length 0
		.amdhsa_user_sgpr_kernarg_preload_offset 0
		.amdhsa_user_sgpr_private_segment_size 0
		.amdhsa_uses_dynamic_stack 0
		.amdhsa_system_sgpr_private_segment_wavefront_offset 0
		.amdhsa_system_sgpr_workgroup_id_x 1
		.amdhsa_system_sgpr_workgroup_id_y 0
		.amdhsa_system_sgpr_workgroup_id_z 0
		.amdhsa_system_sgpr_workgroup_info 0
		.amdhsa_system_vgpr_workitem_id 0
		.amdhsa_next_free_vgpr 1
		.amdhsa_next_free_sgpr 0
		.amdhsa_accum_offset 4
		.amdhsa_reserve_vcc 0
		.amdhsa_reserve_flat_scratch 0
		.amdhsa_float_round_mode_32 0
		.amdhsa_float_round_mode_16_64 0
		.amdhsa_float_denorm_mode_32 3
		.amdhsa_float_denorm_mode_16_64 3
		.amdhsa_dx10_clamp 1
		.amdhsa_ieee_mode 1
		.amdhsa_fp16_overflow 0
		.amdhsa_tg_split 0
		.amdhsa_exception_fp_ieee_invalid_op 0
		.amdhsa_exception_fp_denorm_src 0
		.amdhsa_exception_fp_ieee_div_zero 0
		.amdhsa_exception_fp_ieee_overflow 0
		.amdhsa_exception_fp_ieee_underflow 0
		.amdhsa_exception_fp_ieee_inexact 0
		.amdhsa_exception_int_div_zero 0
	.end_amdhsa_kernel
	.section	.text._ZN7rocprim17ROCPRIM_400000_NS6detail17trampoline_kernelINS0_14default_configENS1_25transform_config_selectorIyLb0EEEZNS1_14transform_implILb0ES3_S5_N6thrust23THRUST_200600_302600_NS6detail15normal_iteratorINS8_10device_ptrIyEEEEPyNS0_8identityIyEEEE10hipError_tT2_T3_mT4_P12ihipStream_tbEUlT_E_NS1_11comp_targetILNS1_3genE2ELNS1_11target_archE906ELNS1_3gpuE6ELNS1_3repE0EEENS1_30default_config_static_selectorELNS0_4arch9wavefront6targetE1EEEvT1_,"axG",@progbits,_ZN7rocprim17ROCPRIM_400000_NS6detail17trampoline_kernelINS0_14default_configENS1_25transform_config_selectorIyLb0EEEZNS1_14transform_implILb0ES3_S5_N6thrust23THRUST_200600_302600_NS6detail15normal_iteratorINS8_10device_ptrIyEEEEPyNS0_8identityIyEEEE10hipError_tT2_T3_mT4_P12ihipStream_tbEUlT_E_NS1_11comp_targetILNS1_3genE2ELNS1_11target_archE906ELNS1_3gpuE6ELNS1_3repE0EEENS1_30default_config_static_selectorELNS0_4arch9wavefront6targetE1EEEvT1_,comdat
.Lfunc_end859:
	.size	_ZN7rocprim17ROCPRIM_400000_NS6detail17trampoline_kernelINS0_14default_configENS1_25transform_config_selectorIyLb0EEEZNS1_14transform_implILb0ES3_S5_N6thrust23THRUST_200600_302600_NS6detail15normal_iteratorINS8_10device_ptrIyEEEEPyNS0_8identityIyEEEE10hipError_tT2_T3_mT4_P12ihipStream_tbEUlT_E_NS1_11comp_targetILNS1_3genE2ELNS1_11target_archE906ELNS1_3gpuE6ELNS1_3repE0EEENS1_30default_config_static_selectorELNS0_4arch9wavefront6targetE1EEEvT1_, .Lfunc_end859-_ZN7rocprim17ROCPRIM_400000_NS6detail17trampoline_kernelINS0_14default_configENS1_25transform_config_selectorIyLb0EEEZNS1_14transform_implILb0ES3_S5_N6thrust23THRUST_200600_302600_NS6detail15normal_iteratorINS8_10device_ptrIyEEEEPyNS0_8identityIyEEEE10hipError_tT2_T3_mT4_P12ihipStream_tbEUlT_E_NS1_11comp_targetILNS1_3genE2ELNS1_11target_archE906ELNS1_3gpuE6ELNS1_3repE0EEENS1_30default_config_static_selectorELNS0_4arch9wavefront6targetE1EEEvT1_
                                        ; -- End function
	.section	.AMDGPU.csdata,"",@progbits
; Kernel info:
; codeLenInByte = 0
; NumSgprs: 4
; NumVgprs: 0
; NumAgprs: 0
; TotalNumVgprs: 0
; ScratchSize: 0
; MemoryBound: 0
; FloatMode: 240
; IeeeMode: 1
; LDSByteSize: 0 bytes/workgroup (compile time only)
; SGPRBlocks: 0
; VGPRBlocks: 0
; NumSGPRsForWavesPerEU: 4
; NumVGPRsForWavesPerEU: 1
; AccumOffset: 4
; Occupancy: 8
; WaveLimiterHint : 0
; COMPUTE_PGM_RSRC2:SCRATCH_EN: 0
; COMPUTE_PGM_RSRC2:USER_SGPR: 6
; COMPUTE_PGM_RSRC2:TRAP_HANDLER: 0
; COMPUTE_PGM_RSRC2:TGID_X_EN: 1
; COMPUTE_PGM_RSRC2:TGID_Y_EN: 0
; COMPUTE_PGM_RSRC2:TGID_Z_EN: 0
; COMPUTE_PGM_RSRC2:TIDIG_COMP_CNT: 0
; COMPUTE_PGM_RSRC3_GFX90A:ACCUM_OFFSET: 0
; COMPUTE_PGM_RSRC3_GFX90A:TG_SPLIT: 0
	.section	.text._ZN7rocprim17ROCPRIM_400000_NS6detail17trampoline_kernelINS0_14default_configENS1_25transform_config_selectorIyLb0EEEZNS1_14transform_implILb0ES3_S5_N6thrust23THRUST_200600_302600_NS6detail15normal_iteratorINS8_10device_ptrIyEEEEPyNS0_8identityIyEEEE10hipError_tT2_T3_mT4_P12ihipStream_tbEUlT_E_NS1_11comp_targetILNS1_3genE10ELNS1_11target_archE1201ELNS1_3gpuE5ELNS1_3repE0EEENS1_30default_config_static_selectorELNS0_4arch9wavefront6targetE1EEEvT1_,"axG",@progbits,_ZN7rocprim17ROCPRIM_400000_NS6detail17trampoline_kernelINS0_14default_configENS1_25transform_config_selectorIyLb0EEEZNS1_14transform_implILb0ES3_S5_N6thrust23THRUST_200600_302600_NS6detail15normal_iteratorINS8_10device_ptrIyEEEEPyNS0_8identityIyEEEE10hipError_tT2_T3_mT4_P12ihipStream_tbEUlT_E_NS1_11comp_targetILNS1_3genE10ELNS1_11target_archE1201ELNS1_3gpuE5ELNS1_3repE0EEENS1_30default_config_static_selectorELNS0_4arch9wavefront6targetE1EEEvT1_,comdat
	.protected	_ZN7rocprim17ROCPRIM_400000_NS6detail17trampoline_kernelINS0_14default_configENS1_25transform_config_selectorIyLb0EEEZNS1_14transform_implILb0ES3_S5_N6thrust23THRUST_200600_302600_NS6detail15normal_iteratorINS8_10device_ptrIyEEEEPyNS0_8identityIyEEEE10hipError_tT2_T3_mT4_P12ihipStream_tbEUlT_E_NS1_11comp_targetILNS1_3genE10ELNS1_11target_archE1201ELNS1_3gpuE5ELNS1_3repE0EEENS1_30default_config_static_selectorELNS0_4arch9wavefront6targetE1EEEvT1_ ; -- Begin function _ZN7rocprim17ROCPRIM_400000_NS6detail17trampoline_kernelINS0_14default_configENS1_25transform_config_selectorIyLb0EEEZNS1_14transform_implILb0ES3_S5_N6thrust23THRUST_200600_302600_NS6detail15normal_iteratorINS8_10device_ptrIyEEEEPyNS0_8identityIyEEEE10hipError_tT2_T3_mT4_P12ihipStream_tbEUlT_E_NS1_11comp_targetILNS1_3genE10ELNS1_11target_archE1201ELNS1_3gpuE5ELNS1_3repE0EEENS1_30default_config_static_selectorELNS0_4arch9wavefront6targetE1EEEvT1_
	.globl	_ZN7rocprim17ROCPRIM_400000_NS6detail17trampoline_kernelINS0_14default_configENS1_25transform_config_selectorIyLb0EEEZNS1_14transform_implILb0ES3_S5_N6thrust23THRUST_200600_302600_NS6detail15normal_iteratorINS8_10device_ptrIyEEEEPyNS0_8identityIyEEEE10hipError_tT2_T3_mT4_P12ihipStream_tbEUlT_E_NS1_11comp_targetILNS1_3genE10ELNS1_11target_archE1201ELNS1_3gpuE5ELNS1_3repE0EEENS1_30default_config_static_selectorELNS0_4arch9wavefront6targetE1EEEvT1_
	.p2align	8
	.type	_ZN7rocprim17ROCPRIM_400000_NS6detail17trampoline_kernelINS0_14default_configENS1_25transform_config_selectorIyLb0EEEZNS1_14transform_implILb0ES3_S5_N6thrust23THRUST_200600_302600_NS6detail15normal_iteratorINS8_10device_ptrIyEEEEPyNS0_8identityIyEEEE10hipError_tT2_T3_mT4_P12ihipStream_tbEUlT_E_NS1_11comp_targetILNS1_3genE10ELNS1_11target_archE1201ELNS1_3gpuE5ELNS1_3repE0EEENS1_30default_config_static_selectorELNS0_4arch9wavefront6targetE1EEEvT1_,@function
_ZN7rocprim17ROCPRIM_400000_NS6detail17trampoline_kernelINS0_14default_configENS1_25transform_config_selectorIyLb0EEEZNS1_14transform_implILb0ES3_S5_N6thrust23THRUST_200600_302600_NS6detail15normal_iteratorINS8_10device_ptrIyEEEEPyNS0_8identityIyEEEE10hipError_tT2_T3_mT4_P12ihipStream_tbEUlT_E_NS1_11comp_targetILNS1_3genE10ELNS1_11target_archE1201ELNS1_3gpuE5ELNS1_3repE0EEENS1_30default_config_static_selectorELNS0_4arch9wavefront6targetE1EEEvT1_: ; @_ZN7rocprim17ROCPRIM_400000_NS6detail17trampoline_kernelINS0_14default_configENS1_25transform_config_selectorIyLb0EEEZNS1_14transform_implILb0ES3_S5_N6thrust23THRUST_200600_302600_NS6detail15normal_iteratorINS8_10device_ptrIyEEEEPyNS0_8identityIyEEEE10hipError_tT2_T3_mT4_P12ihipStream_tbEUlT_E_NS1_11comp_targetILNS1_3genE10ELNS1_11target_archE1201ELNS1_3gpuE5ELNS1_3repE0EEENS1_30default_config_static_selectorELNS0_4arch9wavefront6targetE1EEEvT1_
; %bb.0:
	.section	.rodata,"a",@progbits
	.p2align	6, 0x0
	.amdhsa_kernel _ZN7rocprim17ROCPRIM_400000_NS6detail17trampoline_kernelINS0_14default_configENS1_25transform_config_selectorIyLb0EEEZNS1_14transform_implILb0ES3_S5_N6thrust23THRUST_200600_302600_NS6detail15normal_iteratorINS8_10device_ptrIyEEEEPyNS0_8identityIyEEEE10hipError_tT2_T3_mT4_P12ihipStream_tbEUlT_E_NS1_11comp_targetILNS1_3genE10ELNS1_11target_archE1201ELNS1_3gpuE5ELNS1_3repE0EEENS1_30default_config_static_selectorELNS0_4arch9wavefront6targetE1EEEvT1_
		.amdhsa_group_segment_fixed_size 0
		.amdhsa_private_segment_fixed_size 0
		.amdhsa_kernarg_size 40
		.amdhsa_user_sgpr_count 6
		.amdhsa_user_sgpr_private_segment_buffer 1
		.amdhsa_user_sgpr_dispatch_ptr 0
		.amdhsa_user_sgpr_queue_ptr 0
		.amdhsa_user_sgpr_kernarg_segment_ptr 1
		.amdhsa_user_sgpr_dispatch_id 0
		.amdhsa_user_sgpr_flat_scratch_init 0
		.amdhsa_user_sgpr_kernarg_preload_length 0
		.amdhsa_user_sgpr_kernarg_preload_offset 0
		.amdhsa_user_sgpr_private_segment_size 0
		.amdhsa_uses_dynamic_stack 0
		.amdhsa_system_sgpr_private_segment_wavefront_offset 0
		.amdhsa_system_sgpr_workgroup_id_x 1
		.amdhsa_system_sgpr_workgroup_id_y 0
		.amdhsa_system_sgpr_workgroup_id_z 0
		.amdhsa_system_sgpr_workgroup_info 0
		.amdhsa_system_vgpr_workitem_id 0
		.amdhsa_next_free_vgpr 1
		.amdhsa_next_free_sgpr 0
		.amdhsa_accum_offset 4
		.amdhsa_reserve_vcc 0
		.amdhsa_reserve_flat_scratch 0
		.amdhsa_float_round_mode_32 0
		.amdhsa_float_round_mode_16_64 0
		.amdhsa_float_denorm_mode_32 3
		.amdhsa_float_denorm_mode_16_64 3
		.amdhsa_dx10_clamp 1
		.amdhsa_ieee_mode 1
		.amdhsa_fp16_overflow 0
		.amdhsa_tg_split 0
		.amdhsa_exception_fp_ieee_invalid_op 0
		.amdhsa_exception_fp_denorm_src 0
		.amdhsa_exception_fp_ieee_div_zero 0
		.amdhsa_exception_fp_ieee_overflow 0
		.amdhsa_exception_fp_ieee_underflow 0
		.amdhsa_exception_fp_ieee_inexact 0
		.amdhsa_exception_int_div_zero 0
	.end_amdhsa_kernel
	.section	.text._ZN7rocprim17ROCPRIM_400000_NS6detail17trampoline_kernelINS0_14default_configENS1_25transform_config_selectorIyLb0EEEZNS1_14transform_implILb0ES3_S5_N6thrust23THRUST_200600_302600_NS6detail15normal_iteratorINS8_10device_ptrIyEEEEPyNS0_8identityIyEEEE10hipError_tT2_T3_mT4_P12ihipStream_tbEUlT_E_NS1_11comp_targetILNS1_3genE10ELNS1_11target_archE1201ELNS1_3gpuE5ELNS1_3repE0EEENS1_30default_config_static_selectorELNS0_4arch9wavefront6targetE1EEEvT1_,"axG",@progbits,_ZN7rocprim17ROCPRIM_400000_NS6detail17trampoline_kernelINS0_14default_configENS1_25transform_config_selectorIyLb0EEEZNS1_14transform_implILb0ES3_S5_N6thrust23THRUST_200600_302600_NS6detail15normal_iteratorINS8_10device_ptrIyEEEEPyNS0_8identityIyEEEE10hipError_tT2_T3_mT4_P12ihipStream_tbEUlT_E_NS1_11comp_targetILNS1_3genE10ELNS1_11target_archE1201ELNS1_3gpuE5ELNS1_3repE0EEENS1_30default_config_static_selectorELNS0_4arch9wavefront6targetE1EEEvT1_,comdat
.Lfunc_end860:
	.size	_ZN7rocprim17ROCPRIM_400000_NS6detail17trampoline_kernelINS0_14default_configENS1_25transform_config_selectorIyLb0EEEZNS1_14transform_implILb0ES3_S5_N6thrust23THRUST_200600_302600_NS6detail15normal_iteratorINS8_10device_ptrIyEEEEPyNS0_8identityIyEEEE10hipError_tT2_T3_mT4_P12ihipStream_tbEUlT_E_NS1_11comp_targetILNS1_3genE10ELNS1_11target_archE1201ELNS1_3gpuE5ELNS1_3repE0EEENS1_30default_config_static_selectorELNS0_4arch9wavefront6targetE1EEEvT1_, .Lfunc_end860-_ZN7rocprim17ROCPRIM_400000_NS6detail17trampoline_kernelINS0_14default_configENS1_25transform_config_selectorIyLb0EEEZNS1_14transform_implILb0ES3_S5_N6thrust23THRUST_200600_302600_NS6detail15normal_iteratorINS8_10device_ptrIyEEEEPyNS0_8identityIyEEEE10hipError_tT2_T3_mT4_P12ihipStream_tbEUlT_E_NS1_11comp_targetILNS1_3genE10ELNS1_11target_archE1201ELNS1_3gpuE5ELNS1_3repE0EEENS1_30default_config_static_selectorELNS0_4arch9wavefront6targetE1EEEvT1_
                                        ; -- End function
	.section	.AMDGPU.csdata,"",@progbits
; Kernel info:
; codeLenInByte = 0
; NumSgprs: 4
; NumVgprs: 0
; NumAgprs: 0
; TotalNumVgprs: 0
; ScratchSize: 0
; MemoryBound: 0
; FloatMode: 240
; IeeeMode: 1
; LDSByteSize: 0 bytes/workgroup (compile time only)
; SGPRBlocks: 0
; VGPRBlocks: 0
; NumSGPRsForWavesPerEU: 4
; NumVGPRsForWavesPerEU: 1
; AccumOffset: 4
; Occupancy: 8
; WaveLimiterHint : 0
; COMPUTE_PGM_RSRC2:SCRATCH_EN: 0
; COMPUTE_PGM_RSRC2:USER_SGPR: 6
; COMPUTE_PGM_RSRC2:TRAP_HANDLER: 0
; COMPUTE_PGM_RSRC2:TGID_X_EN: 1
; COMPUTE_PGM_RSRC2:TGID_Y_EN: 0
; COMPUTE_PGM_RSRC2:TGID_Z_EN: 0
; COMPUTE_PGM_RSRC2:TIDIG_COMP_CNT: 0
; COMPUTE_PGM_RSRC3_GFX90A:ACCUM_OFFSET: 0
; COMPUTE_PGM_RSRC3_GFX90A:TG_SPLIT: 0
	.section	.text._ZN7rocprim17ROCPRIM_400000_NS6detail17trampoline_kernelINS0_14default_configENS1_25transform_config_selectorIyLb0EEEZNS1_14transform_implILb0ES3_S5_N6thrust23THRUST_200600_302600_NS6detail15normal_iteratorINS8_10device_ptrIyEEEEPyNS0_8identityIyEEEE10hipError_tT2_T3_mT4_P12ihipStream_tbEUlT_E_NS1_11comp_targetILNS1_3genE10ELNS1_11target_archE1200ELNS1_3gpuE4ELNS1_3repE0EEENS1_30default_config_static_selectorELNS0_4arch9wavefront6targetE1EEEvT1_,"axG",@progbits,_ZN7rocprim17ROCPRIM_400000_NS6detail17trampoline_kernelINS0_14default_configENS1_25transform_config_selectorIyLb0EEEZNS1_14transform_implILb0ES3_S5_N6thrust23THRUST_200600_302600_NS6detail15normal_iteratorINS8_10device_ptrIyEEEEPyNS0_8identityIyEEEE10hipError_tT2_T3_mT4_P12ihipStream_tbEUlT_E_NS1_11comp_targetILNS1_3genE10ELNS1_11target_archE1200ELNS1_3gpuE4ELNS1_3repE0EEENS1_30default_config_static_selectorELNS0_4arch9wavefront6targetE1EEEvT1_,comdat
	.protected	_ZN7rocprim17ROCPRIM_400000_NS6detail17trampoline_kernelINS0_14default_configENS1_25transform_config_selectorIyLb0EEEZNS1_14transform_implILb0ES3_S5_N6thrust23THRUST_200600_302600_NS6detail15normal_iteratorINS8_10device_ptrIyEEEEPyNS0_8identityIyEEEE10hipError_tT2_T3_mT4_P12ihipStream_tbEUlT_E_NS1_11comp_targetILNS1_3genE10ELNS1_11target_archE1200ELNS1_3gpuE4ELNS1_3repE0EEENS1_30default_config_static_selectorELNS0_4arch9wavefront6targetE1EEEvT1_ ; -- Begin function _ZN7rocprim17ROCPRIM_400000_NS6detail17trampoline_kernelINS0_14default_configENS1_25transform_config_selectorIyLb0EEEZNS1_14transform_implILb0ES3_S5_N6thrust23THRUST_200600_302600_NS6detail15normal_iteratorINS8_10device_ptrIyEEEEPyNS0_8identityIyEEEE10hipError_tT2_T3_mT4_P12ihipStream_tbEUlT_E_NS1_11comp_targetILNS1_3genE10ELNS1_11target_archE1200ELNS1_3gpuE4ELNS1_3repE0EEENS1_30default_config_static_selectorELNS0_4arch9wavefront6targetE1EEEvT1_
	.globl	_ZN7rocprim17ROCPRIM_400000_NS6detail17trampoline_kernelINS0_14default_configENS1_25transform_config_selectorIyLb0EEEZNS1_14transform_implILb0ES3_S5_N6thrust23THRUST_200600_302600_NS6detail15normal_iteratorINS8_10device_ptrIyEEEEPyNS0_8identityIyEEEE10hipError_tT2_T3_mT4_P12ihipStream_tbEUlT_E_NS1_11comp_targetILNS1_3genE10ELNS1_11target_archE1200ELNS1_3gpuE4ELNS1_3repE0EEENS1_30default_config_static_selectorELNS0_4arch9wavefront6targetE1EEEvT1_
	.p2align	8
	.type	_ZN7rocprim17ROCPRIM_400000_NS6detail17trampoline_kernelINS0_14default_configENS1_25transform_config_selectorIyLb0EEEZNS1_14transform_implILb0ES3_S5_N6thrust23THRUST_200600_302600_NS6detail15normal_iteratorINS8_10device_ptrIyEEEEPyNS0_8identityIyEEEE10hipError_tT2_T3_mT4_P12ihipStream_tbEUlT_E_NS1_11comp_targetILNS1_3genE10ELNS1_11target_archE1200ELNS1_3gpuE4ELNS1_3repE0EEENS1_30default_config_static_selectorELNS0_4arch9wavefront6targetE1EEEvT1_,@function
_ZN7rocprim17ROCPRIM_400000_NS6detail17trampoline_kernelINS0_14default_configENS1_25transform_config_selectorIyLb0EEEZNS1_14transform_implILb0ES3_S5_N6thrust23THRUST_200600_302600_NS6detail15normal_iteratorINS8_10device_ptrIyEEEEPyNS0_8identityIyEEEE10hipError_tT2_T3_mT4_P12ihipStream_tbEUlT_E_NS1_11comp_targetILNS1_3genE10ELNS1_11target_archE1200ELNS1_3gpuE4ELNS1_3repE0EEENS1_30default_config_static_selectorELNS0_4arch9wavefront6targetE1EEEvT1_: ; @_ZN7rocprim17ROCPRIM_400000_NS6detail17trampoline_kernelINS0_14default_configENS1_25transform_config_selectorIyLb0EEEZNS1_14transform_implILb0ES3_S5_N6thrust23THRUST_200600_302600_NS6detail15normal_iteratorINS8_10device_ptrIyEEEEPyNS0_8identityIyEEEE10hipError_tT2_T3_mT4_P12ihipStream_tbEUlT_E_NS1_11comp_targetILNS1_3genE10ELNS1_11target_archE1200ELNS1_3gpuE4ELNS1_3repE0EEENS1_30default_config_static_selectorELNS0_4arch9wavefront6targetE1EEEvT1_
; %bb.0:
	.section	.rodata,"a",@progbits
	.p2align	6, 0x0
	.amdhsa_kernel _ZN7rocprim17ROCPRIM_400000_NS6detail17trampoline_kernelINS0_14default_configENS1_25transform_config_selectorIyLb0EEEZNS1_14transform_implILb0ES3_S5_N6thrust23THRUST_200600_302600_NS6detail15normal_iteratorINS8_10device_ptrIyEEEEPyNS0_8identityIyEEEE10hipError_tT2_T3_mT4_P12ihipStream_tbEUlT_E_NS1_11comp_targetILNS1_3genE10ELNS1_11target_archE1200ELNS1_3gpuE4ELNS1_3repE0EEENS1_30default_config_static_selectorELNS0_4arch9wavefront6targetE1EEEvT1_
		.amdhsa_group_segment_fixed_size 0
		.amdhsa_private_segment_fixed_size 0
		.amdhsa_kernarg_size 40
		.amdhsa_user_sgpr_count 6
		.amdhsa_user_sgpr_private_segment_buffer 1
		.amdhsa_user_sgpr_dispatch_ptr 0
		.amdhsa_user_sgpr_queue_ptr 0
		.amdhsa_user_sgpr_kernarg_segment_ptr 1
		.amdhsa_user_sgpr_dispatch_id 0
		.amdhsa_user_sgpr_flat_scratch_init 0
		.amdhsa_user_sgpr_kernarg_preload_length 0
		.amdhsa_user_sgpr_kernarg_preload_offset 0
		.amdhsa_user_sgpr_private_segment_size 0
		.amdhsa_uses_dynamic_stack 0
		.amdhsa_system_sgpr_private_segment_wavefront_offset 0
		.amdhsa_system_sgpr_workgroup_id_x 1
		.amdhsa_system_sgpr_workgroup_id_y 0
		.amdhsa_system_sgpr_workgroup_id_z 0
		.amdhsa_system_sgpr_workgroup_info 0
		.amdhsa_system_vgpr_workitem_id 0
		.amdhsa_next_free_vgpr 1
		.amdhsa_next_free_sgpr 0
		.amdhsa_accum_offset 4
		.amdhsa_reserve_vcc 0
		.amdhsa_reserve_flat_scratch 0
		.amdhsa_float_round_mode_32 0
		.amdhsa_float_round_mode_16_64 0
		.amdhsa_float_denorm_mode_32 3
		.amdhsa_float_denorm_mode_16_64 3
		.amdhsa_dx10_clamp 1
		.amdhsa_ieee_mode 1
		.amdhsa_fp16_overflow 0
		.amdhsa_tg_split 0
		.amdhsa_exception_fp_ieee_invalid_op 0
		.amdhsa_exception_fp_denorm_src 0
		.amdhsa_exception_fp_ieee_div_zero 0
		.amdhsa_exception_fp_ieee_overflow 0
		.amdhsa_exception_fp_ieee_underflow 0
		.amdhsa_exception_fp_ieee_inexact 0
		.amdhsa_exception_int_div_zero 0
	.end_amdhsa_kernel
	.section	.text._ZN7rocprim17ROCPRIM_400000_NS6detail17trampoline_kernelINS0_14default_configENS1_25transform_config_selectorIyLb0EEEZNS1_14transform_implILb0ES3_S5_N6thrust23THRUST_200600_302600_NS6detail15normal_iteratorINS8_10device_ptrIyEEEEPyNS0_8identityIyEEEE10hipError_tT2_T3_mT4_P12ihipStream_tbEUlT_E_NS1_11comp_targetILNS1_3genE10ELNS1_11target_archE1200ELNS1_3gpuE4ELNS1_3repE0EEENS1_30default_config_static_selectorELNS0_4arch9wavefront6targetE1EEEvT1_,"axG",@progbits,_ZN7rocprim17ROCPRIM_400000_NS6detail17trampoline_kernelINS0_14default_configENS1_25transform_config_selectorIyLb0EEEZNS1_14transform_implILb0ES3_S5_N6thrust23THRUST_200600_302600_NS6detail15normal_iteratorINS8_10device_ptrIyEEEEPyNS0_8identityIyEEEE10hipError_tT2_T3_mT4_P12ihipStream_tbEUlT_E_NS1_11comp_targetILNS1_3genE10ELNS1_11target_archE1200ELNS1_3gpuE4ELNS1_3repE0EEENS1_30default_config_static_selectorELNS0_4arch9wavefront6targetE1EEEvT1_,comdat
.Lfunc_end861:
	.size	_ZN7rocprim17ROCPRIM_400000_NS6detail17trampoline_kernelINS0_14default_configENS1_25transform_config_selectorIyLb0EEEZNS1_14transform_implILb0ES3_S5_N6thrust23THRUST_200600_302600_NS6detail15normal_iteratorINS8_10device_ptrIyEEEEPyNS0_8identityIyEEEE10hipError_tT2_T3_mT4_P12ihipStream_tbEUlT_E_NS1_11comp_targetILNS1_3genE10ELNS1_11target_archE1200ELNS1_3gpuE4ELNS1_3repE0EEENS1_30default_config_static_selectorELNS0_4arch9wavefront6targetE1EEEvT1_, .Lfunc_end861-_ZN7rocprim17ROCPRIM_400000_NS6detail17trampoline_kernelINS0_14default_configENS1_25transform_config_selectorIyLb0EEEZNS1_14transform_implILb0ES3_S5_N6thrust23THRUST_200600_302600_NS6detail15normal_iteratorINS8_10device_ptrIyEEEEPyNS0_8identityIyEEEE10hipError_tT2_T3_mT4_P12ihipStream_tbEUlT_E_NS1_11comp_targetILNS1_3genE10ELNS1_11target_archE1200ELNS1_3gpuE4ELNS1_3repE0EEENS1_30default_config_static_selectorELNS0_4arch9wavefront6targetE1EEEvT1_
                                        ; -- End function
	.section	.AMDGPU.csdata,"",@progbits
; Kernel info:
; codeLenInByte = 0
; NumSgprs: 4
; NumVgprs: 0
; NumAgprs: 0
; TotalNumVgprs: 0
; ScratchSize: 0
; MemoryBound: 0
; FloatMode: 240
; IeeeMode: 1
; LDSByteSize: 0 bytes/workgroup (compile time only)
; SGPRBlocks: 0
; VGPRBlocks: 0
; NumSGPRsForWavesPerEU: 4
; NumVGPRsForWavesPerEU: 1
; AccumOffset: 4
; Occupancy: 8
; WaveLimiterHint : 0
; COMPUTE_PGM_RSRC2:SCRATCH_EN: 0
; COMPUTE_PGM_RSRC2:USER_SGPR: 6
; COMPUTE_PGM_RSRC2:TRAP_HANDLER: 0
; COMPUTE_PGM_RSRC2:TGID_X_EN: 1
; COMPUTE_PGM_RSRC2:TGID_Y_EN: 0
; COMPUTE_PGM_RSRC2:TGID_Z_EN: 0
; COMPUTE_PGM_RSRC2:TIDIG_COMP_CNT: 0
; COMPUTE_PGM_RSRC3_GFX90A:ACCUM_OFFSET: 0
; COMPUTE_PGM_RSRC3_GFX90A:TG_SPLIT: 0
	.section	.text._ZN7rocprim17ROCPRIM_400000_NS6detail17trampoline_kernelINS0_14default_configENS1_25transform_config_selectorIyLb0EEEZNS1_14transform_implILb0ES3_S5_N6thrust23THRUST_200600_302600_NS6detail15normal_iteratorINS8_10device_ptrIyEEEEPyNS0_8identityIyEEEE10hipError_tT2_T3_mT4_P12ihipStream_tbEUlT_E_NS1_11comp_targetILNS1_3genE9ELNS1_11target_archE1100ELNS1_3gpuE3ELNS1_3repE0EEENS1_30default_config_static_selectorELNS0_4arch9wavefront6targetE1EEEvT1_,"axG",@progbits,_ZN7rocprim17ROCPRIM_400000_NS6detail17trampoline_kernelINS0_14default_configENS1_25transform_config_selectorIyLb0EEEZNS1_14transform_implILb0ES3_S5_N6thrust23THRUST_200600_302600_NS6detail15normal_iteratorINS8_10device_ptrIyEEEEPyNS0_8identityIyEEEE10hipError_tT2_T3_mT4_P12ihipStream_tbEUlT_E_NS1_11comp_targetILNS1_3genE9ELNS1_11target_archE1100ELNS1_3gpuE3ELNS1_3repE0EEENS1_30default_config_static_selectorELNS0_4arch9wavefront6targetE1EEEvT1_,comdat
	.protected	_ZN7rocprim17ROCPRIM_400000_NS6detail17trampoline_kernelINS0_14default_configENS1_25transform_config_selectorIyLb0EEEZNS1_14transform_implILb0ES3_S5_N6thrust23THRUST_200600_302600_NS6detail15normal_iteratorINS8_10device_ptrIyEEEEPyNS0_8identityIyEEEE10hipError_tT2_T3_mT4_P12ihipStream_tbEUlT_E_NS1_11comp_targetILNS1_3genE9ELNS1_11target_archE1100ELNS1_3gpuE3ELNS1_3repE0EEENS1_30default_config_static_selectorELNS0_4arch9wavefront6targetE1EEEvT1_ ; -- Begin function _ZN7rocprim17ROCPRIM_400000_NS6detail17trampoline_kernelINS0_14default_configENS1_25transform_config_selectorIyLb0EEEZNS1_14transform_implILb0ES3_S5_N6thrust23THRUST_200600_302600_NS6detail15normal_iteratorINS8_10device_ptrIyEEEEPyNS0_8identityIyEEEE10hipError_tT2_T3_mT4_P12ihipStream_tbEUlT_E_NS1_11comp_targetILNS1_3genE9ELNS1_11target_archE1100ELNS1_3gpuE3ELNS1_3repE0EEENS1_30default_config_static_selectorELNS0_4arch9wavefront6targetE1EEEvT1_
	.globl	_ZN7rocprim17ROCPRIM_400000_NS6detail17trampoline_kernelINS0_14default_configENS1_25transform_config_selectorIyLb0EEEZNS1_14transform_implILb0ES3_S5_N6thrust23THRUST_200600_302600_NS6detail15normal_iteratorINS8_10device_ptrIyEEEEPyNS0_8identityIyEEEE10hipError_tT2_T3_mT4_P12ihipStream_tbEUlT_E_NS1_11comp_targetILNS1_3genE9ELNS1_11target_archE1100ELNS1_3gpuE3ELNS1_3repE0EEENS1_30default_config_static_selectorELNS0_4arch9wavefront6targetE1EEEvT1_
	.p2align	8
	.type	_ZN7rocprim17ROCPRIM_400000_NS6detail17trampoline_kernelINS0_14default_configENS1_25transform_config_selectorIyLb0EEEZNS1_14transform_implILb0ES3_S5_N6thrust23THRUST_200600_302600_NS6detail15normal_iteratorINS8_10device_ptrIyEEEEPyNS0_8identityIyEEEE10hipError_tT2_T3_mT4_P12ihipStream_tbEUlT_E_NS1_11comp_targetILNS1_3genE9ELNS1_11target_archE1100ELNS1_3gpuE3ELNS1_3repE0EEENS1_30default_config_static_selectorELNS0_4arch9wavefront6targetE1EEEvT1_,@function
_ZN7rocprim17ROCPRIM_400000_NS6detail17trampoline_kernelINS0_14default_configENS1_25transform_config_selectorIyLb0EEEZNS1_14transform_implILb0ES3_S5_N6thrust23THRUST_200600_302600_NS6detail15normal_iteratorINS8_10device_ptrIyEEEEPyNS0_8identityIyEEEE10hipError_tT2_T3_mT4_P12ihipStream_tbEUlT_E_NS1_11comp_targetILNS1_3genE9ELNS1_11target_archE1100ELNS1_3gpuE3ELNS1_3repE0EEENS1_30default_config_static_selectorELNS0_4arch9wavefront6targetE1EEEvT1_: ; @_ZN7rocprim17ROCPRIM_400000_NS6detail17trampoline_kernelINS0_14default_configENS1_25transform_config_selectorIyLb0EEEZNS1_14transform_implILb0ES3_S5_N6thrust23THRUST_200600_302600_NS6detail15normal_iteratorINS8_10device_ptrIyEEEEPyNS0_8identityIyEEEE10hipError_tT2_T3_mT4_P12ihipStream_tbEUlT_E_NS1_11comp_targetILNS1_3genE9ELNS1_11target_archE1100ELNS1_3gpuE3ELNS1_3repE0EEENS1_30default_config_static_selectorELNS0_4arch9wavefront6targetE1EEEvT1_
; %bb.0:
	.section	.rodata,"a",@progbits
	.p2align	6, 0x0
	.amdhsa_kernel _ZN7rocprim17ROCPRIM_400000_NS6detail17trampoline_kernelINS0_14default_configENS1_25transform_config_selectorIyLb0EEEZNS1_14transform_implILb0ES3_S5_N6thrust23THRUST_200600_302600_NS6detail15normal_iteratorINS8_10device_ptrIyEEEEPyNS0_8identityIyEEEE10hipError_tT2_T3_mT4_P12ihipStream_tbEUlT_E_NS1_11comp_targetILNS1_3genE9ELNS1_11target_archE1100ELNS1_3gpuE3ELNS1_3repE0EEENS1_30default_config_static_selectorELNS0_4arch9wavefront6targetE1EEEvT1_
		.amdhsa_group_segment_fixed_size 0
		.amdhsa_private_segment_fixed_size 0
		.amdhsa_kernarg_size 40
		.amdhsa_user_sgpr_count 6
		.amdhsa_user_sgpr_private_segment_buffer 1
		.amdhsa_user_sgpr_dispatch_ptr 0
		.amdhsa_user_sgpr_queue_ptr 0
		.amdhsa_user_sgpr_kernarg_segment_ptr 1
		.amdhsa_user_sgpr_dispatch_id 0
		.amdhsa_user_sgpr_flat_scratch_init 0
		.amdhsa_user_sgpr_kernarg_preload_length 0
		.amdhsa_user_sgpr_kernarg_preload_offset 0
		.amdhsa_user_sgpr_private_segment_size 0
		.amdhsa_uses_dynamic_stack 0
		.amdhsa_system_sgpr_private_segment_wavefront_offset 0
		.amdhsa_system_sgpr_workgroup_id_x 1
		.amdhsa_system_sgpr_workgroup_id_y 0
		.amdhsa_system_sgpr_workgroup_id_z 0
		.amdhsa_system_sgpr_workgroup_info 0
		.amdhsa_system_vgpr_workitem_id 0
		.amdhsa_next_free_vgpr 1
		.amdhsa_next_free_sgpr 0
		.amdhsa_accum_offset 4
		.amdhsa_reserve_vcc 0
		.amdhsa_reserve_flat_scratch 0
		.amdhsa_float_round_mode_32 0
		.amdhsa_float_round_mode_16_64 0
		.amdhsa_float_denorm_mode_32 3
		.amdhsa_float_denorm_mode_16_64 3
		.amdhsa_dx10_clamp 1
		.amdhsa_ieee_mode 1
		.amdhsa_fp16_overflow 0
		.amdhsa_tg_split 0
		.amdhsa_exception_fp_ieee_invalid_op 0
		.amdhsa_exception_fp_denorm_src 0
		.amdhsa_exception_fp_ieee_div_zero 0
		.amdhsa_exception_fp_ieee_overflow 0
		.amdhsa_exception_fp_ieee_underflow 0
		.amdhsa_exception_fp_ieee_inexact 0
		.amdhsa_exception_int_div_zero 0
	.end_amdhsa_kernel
	.section	.text._ZN7rocprim17ROCPRIM_400000_NS6detail17trampoline_kernelINS0_14default_configENS1_25transform_config_selectorIyLb0EEEZNS1_14transform_implILb0ES3_S5_N6thrust23THRUST_200600_302600_NS6detail15normal_iteratorINS8_10device_ptrIyEEEEPyNS0_8identityIyEEEE10hipError_tT2_T3_mT4_P12ihipStream_tbEUlT_E_NS1_11comp_targetILNS1_3genE9ELNS1_11target_archE1100ELNS1_3gpuE3ELNS1_3repE0EEENS1_30default_config_static_selectorELNS0_4arch9wavefront6targetE1EEEvT1_,"axG",@progbits,_ZN7rocprim17ROCPRIM_400000_NS6detail17trampoline_kernelINS0_14default_configENS1_25transform_config_selectorIyLb0EEEZNS1_14transform_implILb0ES3_S5_N6thrust23THRUST_200600_302600_NS6detail15normal_iteratorINS8_10device_ptrIyEEEEPyNS0_8identityIyEEEE10hipError_tT2_T3_mT4_P12ihipStream_tbEUlT_E_NS1_11comp_targetILNS1_3genE9ELNS1_11target_archE1100ELNS1_3gpuE3ELNS1_3repE0EEENS1_30default_config_static_selectorELNS0_4arch9wavefront6targetE1EEEvT1_,comdat
.Lfunc_end862:
	.size	_ZN7rocprim17ROCPRIM_400000_NS6detail17trampoline_kernelINS0_14default_configENS1_25transform_config_selectorIyLb0EEEZNS1_14transform_implILb0ES3_S5_N6thrust23THRUST_200600_302600_NS6detail15normal_iteratorINS8_10device_ptrIyEEEEPyNS0_8identityIyEEEE10hipError_tT2_T3_mT4_P12ihipStream_tbEUlT_E_NS1_11comp_targetILNS1_3genE9ELNS1_11target_archE1100ELNS1_3gpuE3ELNS1_3repE0EEENS1_30default_config_static_selectorELNS0_4arch9wavefront6targetE1EEEvT1_, .Lfunc_end862-_ZN7rocprim17ROCPRIM_400000_NS6detail17trampoline_kernelINS0_14default_configENS1_25transform_config_selectorIyLb0EEEZNS1_14transform_implILb0ES3_S5_N6thrust23THRUST_200600_302600_NS6detail15normal_iteratorINS8_10device_ptrIyEEEEPyNS0_8identityIyEEEE10hipError_tT2_T3_mT4_P12ihipStream_tbEUlT_E_NS1_11comp_targetILNS1_3genE9ELNS1_11target_archE1100ELNS1_3gpuE3ELNS1_3repE0EEENS1_30default_config_static_selectorELNS0_4arch9wavefront6targetE1EEEvT1_
                                        ; -- End function
	.section	.AMDGPU.csdata,"",@progbits
; Kernel info:
; codeLenInByte = 0
; NumSgprs: 4
; NumVgprs: 0
; NumAgprs: 0
; TotalNumVgprs: 0
; ScratchSize: 0
; MemoryBound: 0
; FloatMode: 240
; IeeeMode: 1
; LDSByteSize: 0 bytes/workgroup (compile time only)
; SGPRBlocks: 0
; VGPRBlocks: 0
; NumSGPRsForWavesPerEU: 4
; NumVGPRsForWavesPerEU: 1
; AccumOffset: 4
; Occupancy: 8
; WaveLimiterHint : 0
; COMPUTE_PGM_RSRC2:SCRATCH_EN: 0
; COMPUTE_PGM_RSRC2:USER_SGPR: 6
; COMPUTE_PGM_RSRC2:TRAP_HANDLER: 0
; COMPUTE_PGM_RSRC2:TGID_X_EN: 1
; COMPUTE_PGM_RSRC2:TGID_Y_EN: 0
; COMPUTE_PGM_RSRC2:TGID_Z_EN: 0
; COMPUTE_PGM_RSRC2:TIDIG_COMP_CNT: 0
; COMPUTE_PGM_RSRC3_GFX90A:ACCUM_OFFSET: 0
; COMPUTE_PGM_RSRC3_GFX90A:TG_SPLIT: 0
	.section	.text._ZN7rocprim17ROCPRIM_400000_NS6detail17trampoline_kernelINS0_14default_configENS1_25transform_config_selectorIyLb0EEEZNS1_14transform_implILb0ES3_S5_N6thrust23THRUST_200600_302600_NS6detail15normal_iteratorINS8_10device_ptrIyEEEEPyNS0_8identityIyEEEE10hipError_tT2_T3_mT4_P12ihipStream_tbEUlT_E_NS1_11comp_targetILNS1_3genE8ELNS1_11target_archE1030ELNS1_3gpuE2ELNS1_3repE0EEENS1_30default_config_static_selectorELNS0_4arch9wavefront6targetE1EEEvT1_,"axG",@progbits,_ZN7rocprim17ROCPRIM_400000_NS6detail17trampoline_kernelINS0_14default_configENS1_25transform_config_selectorIyLb0EEEZNS1_14transform_implILb0ES3_S5_N6thrust23THRUST_200600_302600_NS6detail15normal_iteratorINS8_10device_ptrIyEEEEPyNS0_8identityIyEEEE10hipError_tT2_T3_mT4_P12ihipStream_tbEUlT_E_NS1_11comp_targetILNS1_3genE8ELNS1_11target_archE1030ELNS1_3gpuE2ELNS1_3repE0EEENS1_30default_config_static_selectorELNS0_4arch9wavefront6targetE1EEEvT1_,comdat
	.protected	_ZN7rocprim17ROCPRIM_400000_NS6detail17trampoline_kernelINS0_14default_configENS1_25transform_config_selectorIyLb0EEEZNS1_14transform_implILb0ES3_S5_N6thrust23THRUST_200600_302600_NS6detail15normal_iteratorINS8_10device_ptrIyEEEEPyNS0_8identityIyEEEE10hipError_tT2_T3_mT4_P12ihipStream_tbEUlT_E_NS1_11comp_targetILNS1_3genE8ELNS1_11target_archE1030ELNS1_3gpuE2ELNS1_3repE0EEENS1_30default_config_static_selectorELNS0_4arch9wavefront6targetE1EEEvT1_ ; -- Begin function _ZN7rocprim17ROCPRIM_400000_NS6detail17trampoline_kernelINS0_14default_configENS1_25transform_config_selectorIyLb0EEEZNS1_14transform_implILb0ES3_S5_N6thrust23THRUST_200600_302600_NS6detail15normal_iteratorINS8_10device_ptrIyEEEEPyNS0_8identityIyEEEE10hipError_tT2_T3_mT4_P12ihipStream_tbEUlT_E_NS1_11comp_targetILNS1_3genE8ELNS1_11target_archE1030ELNS1_3gpuE2ELNS1_3repE0EEENS1_30default_config_static_selectorELNS0_4arch9wavefront6targetE1EEEvT1_
	.globl	_ZN7rocprim17ROCPRIM_400000_NS6detail17trampoline_kernelINS0_14default_configENS1_25transform_config_selectorIyLb0EEEZNS1_14transform_implILb0ES3_S5_N6thrust23THRUST_200600_302600_NS6detail15normal_iteratorINS8_10device_ptrIyEEEEPyNS0_8identityIyEEEE10hipError_tT2_T3_mT4_P12ihipStream_tbEUlT_E_NS1_11comp_targetILNS1_3genE8ELNS1_11target_archE1030ELNS1_3gpuE2ELNS1_3repE0EEENS1_30default_config_static_selectorELNS0_4arch9wavefront6targetE1EEEvT1_
	.p2align	8
	.type	_ZN7rocprim17ROCPRIM_400000_NS6detail17trampoline_kernelINS0_14default_configENS1_25transform_config_selectorIyLb0EEEZNS1_14transform_implILb0ES3_S5_N6thrust23THRUST_200600_302600_NS6detail15normal_iteratorINS8_10device_ptrIyEEEEPyNS0_8identityIyEEEE10hipError_tT2_T3_mT4_P12ihipStream_tbEUlT_E_NS1_11comp_targetILNS1_3genE8ELNS1_11target_archE1030ELNS1_3gpuE2ELNS1_3repE0EEENS1_30default_config_static_selectorELNS0_4arch9wavefront6targetE1EEEvT1_,@function
_ZN7rocprim17ROCPRIM_400000_NS6detail17trampoline_kernelINS0_14default_configENS1_25transform_config_selectorIyLb0EEEZNS1_14transform_implILb0ES3_S5_N6thrust23THRUST_200600_302600_NS6detail15normal_iteratorINS8_10device_ptrIyEEEEPyNS0_8identityIyEEEE10hipError_tT2_T3_mT4_P12ihipStream_tbEUlT_E_NS1_11comp_targetILNS1_3genE8ELNS1_11target_archE1030ELNS1_3gpuE2ELNS1_3repE0EEENS1_30default_config_static_selectorELNS0_4arch9wavefront6targetE1EEEvT1_: ; @_ZN7rocprim17ROCPRIM_400000_NS6detail17trampoline_kernelINS0_14default_configENS1_25transform_config_selectorIyLb0EEEZNS1_14transform_implILb0ES3_S5_N6thrust23THRUST_200600_302600_NS6detail15normal_iteratorINS8_10device_ptrIyEEEEPyNS0_8identityIyEEEE10hipError_tT2_T3_mT4_P12ihipStream_tbEUlT_E_NS1_11comp_targetILNS1_3genE8ELNS1_11target_archE1030ELNS1_3gpuE2ELNS1_3repE0EEENS1_30default_config_static_selectorELNS0_4arch9wavefront6targetE1EEEvT1_
; %bb.0:
	.section	.rodata,"a",@progbits
	.p2align	6, 0x0
	.amdhsa_kernel _ZN7rocprim17ROCPRIM_400000_NS6detail17trampoline_kernelINS0_14default_configENS1_25transform_config_selectorIyLb0EEEZNS1_14transform_implILb0ES3_S5_N6thrust23THRUST_200600_302600_NS6detail15normal_iteratorINS8_10device_ptrIyEEEEPyNS0_8identityIyEEEE10hipError_tT2_T3_mT4_P12ihipStream_tbEUlT_E_NS1_11comp_targetILNS1_3genE8ELNS1_11target_archE1030ELNS1_3gpuE2ELNS1_3repE0EEENS1_30default_config_static_selectorELNS0_4arch9wavefront6targetE1EEEvT1_
		.amdhsa_group_segment_fixed_size 0
		.amdhsa_private_segment_fixed_size 0
		.amdhsa_kernarg_size 40
		.amdhsa_user_sgpr_count 6
		.amdhsa_user_sgpr_private_segment_buffer 1
		.amdhsa_user_sgpr_dispatch_ptr 0
		.amdhsa_user_sgpr_queue_ptr 0
		.amdhsa_user_sgpr_kernarg_segment_ptr 1
		.amdhsa_user_sgpr_dispatch_id 0
		.amdhsa_user_sgpr_flat_scratch_init 0
		.amdhsa_user_sgpr_kernarg_preload_length 0
		.amdhsa_user_sgpr_kernarg_preload_offset 0
		.amdhsa_user_sgpr_private_segment_size 0
		.amdhsa_uses_dynamic_stack 0
		.amdhsa_system_sgpr_private_segment_wavefront_offset 0
		.amdhsa_system_sgpr_workgroup_id_x 1
		.amdhsa_system_sgpr_workgroup_id_y 0
		.amdhsa_system_sgpr_workgroup_id_z 0
		.amdhsa_system_sgpr_workgroup_info 0
		.amdhsa_system_vgpr_workitem_id 0
		.amdhsa_next_free_vgpr 1
		.amdhsa_next_free_sgpr 0
		.amdhsa_accum_offset 4
		.amdhsa_reserve_vcc 0
		.amdhsa_reserve_flat_scratch 0
		.amdhsa_float_round_mode_32 0
		.amdhsa_float_round_mode_16_64 0
		.amdhsa_float_denorm_mode_32 3
		.amdhsa_float_denorm_mode_16_64 3
		.amdhsa_dx10_clamp 1
		.amdhsa_ieee_mode 1
		.amdhsa_fp16_overflow 0
		.amdhsa_tg_split 0
		.amdhsa_exception_fp_ieee_invalid_op 0
		.amdhsa_exception_fp_denorm_src 0
		.amdhsa_exception_fp_ieee_div_zero 0
		.amdhsa_exception_fp_ieee_overflow 0
		.amdhsa_exception_fp_ieee_underflow 0
		.amdhsa_exception_fp_ieee_inexact 0
		.amdhsa_exception_int_div_zero 0
	.end_amdhsa_kernel
	.section	.text._ZN7rocprim17ROCPRIM_400000_NS6detail17trampoline_kernelINS0_14default_configENS1_25transform_config_selectorIyLb0EEEZNS1_14transform_implILb0ES3_S5_N6thrust23THRUST_200600_302600_NS6detail15normal_iteratorINS8_10device_ptrIyEEEEPyNS0_8identityIyEEEE10hipError_tT2_T3_mT4_P12ihipStream_tbEUlT_E_NS1_11comp_targetILNS1_3genE8ELNS1_11target_archE1030ELNS1_3gpuE2ELNS1_3repE0EEENS1_30default_config_static_selectorELNS0_4arch9wavefront6targetE1EEEvT1_,"axG",@progbits,_ZN7rocprim17ROCPRIM_400000_NS6detail17trampoline_kernelINS0_14default_configENS1_25transform_config_selectorIyLb0EEEZNS1_14transform_implILb0ES3_S5_N6thrust23THRUST_200600_302600_NS6detail15normal_iteratorINS8_10device_ptrIyEEEEPyNS0_8identityIyEEEE10hipError_tT2_T3_mT4_P12ihipStream_tbEUlT_E_NS1_11comp_targetILNS1_3genE8ELNS1_11target_archE1030ELNS1_3gpuE2ELNS1_3repE0EEENS1_30default_config_static_selectorELNS0_4arch9wavefront6targetE1EEEvT1_,comdat
.Lfunc_end863:
	.size	_ZN7rocprim17ROCPRIM_400000_NS6detail17trampoline_kernelINS0_14default_configENS1_25transform_config_selectorIyLb0EEEZNS1_14transform_implILb0ES3_S5_N6thrust23THRUST_200600_302600_NS6detail15normal_iteratorINS8_10device_ptrIyEEEEPyNS0_8identityIyEEEE10hipError_tT2_T3_mT4_P12ihipStream_tbEUlT_E_NS1_11comp_targetILNS1_3genE8ELNS1_11target_archE1030ELNS1_3gpuE2ELNS1_3repE0EEENS1_30default_config_static_selectorELNS0_4arch9wavefront6targetE1EEEvT1_, .Lfunc_end863-_ZN7rocprim17ROCPRIM_400000_NS6detail17trampoline_kernelINS0_14default_configENS1_25transform_config_selectorIyLb0EEEZNS1_14transform_implILb0ES3_S5_N6thrust23THRUST_200600_302600_NS6detail15normal_iteratorINS8_10device_ptrIyEEEEPyNS0_8identityIyEEEE10hipError_tT2_T3_mT4_P12ihipStream_tbEUlT_E_NS1_11comp_targetILNS1_3genE8ELNS1_11target_archE1030ELNS1_3gpuE2ELNS1_3repE0EEENS1_30default_config_static_selectorELNS0_4arch9wavefront6targetE1EEEvT1_
                                        ; -- End function
	.section	.AMDGPU.csdata,"",@progbits
; Kernel info:
; codeLenInByte = 0
; NumSgprs: 4
; NumVgprs: 0
; NumAgprs: 0
; TotalNumVgprs: 0
; ScratchSize: 0
; MemoryBound: 0
; FloatMode: 240
; IeeeMode: 1
; LDSByteSize: 0 bytes/workgroup (compile time only)
; SGPRBlocks: 0
; VGPRBlocks: 0
; NumSGPRsForWavesPerEU: 4
; NumVGPRsForWavesPerEU: 1
; AccumOffset: 4
; Occupancy: 8
; WaveLimiterHint : 0
; COMPUTE_PGM_RSRC2:SCRATCH_EN: 0
; COMPUTE_PGM_RSRC2:USER_SGPR: 6
; COMPUTE_PGM_RSRC2:TRAP_HANDLER: 0
; COMPUTE_PGM_RSRC2:TGID_X_EN: 1
; COMPUTE_PGM_RSRC2:TGID_Y_EN: 0
; COMPUTE_PGM_RSRC2:TGID_Z_EN: 0
; COMPUTE_PGM_RSRC2:TIDIG_COMP_CNT: 0
; COMPUTE_PGM_RSRC3_GFX90A:ACCUM_OFFSET: 0
; COMPUTE_PGM_RSRC3_GFX90A:TG_SPLIT: 0
	.section	.text._ZN7rocprim17ROCPRIM_400000_NS6detail17trampoline_kernelINS0_14default_configENS1_35radix_sort_onesweep_config_selectorIyNS0_10empty_typeEEEZZNS1_29radix_sort_onesweep_iterationIS3_Lb0EN6thrust23THRUST_200600_302600_NS6detail15normal_iteratorINS9_10device_ptrIyEEEESE_PS5_SF_jNS0_19identity_decomposerENS1_16block_id_wrapperIjLb1EEEEE10hipError_tT1_PNSt15iterator_traitsISK_E10value_typeET2_T3_PNSL_ISQ_E10value_typeET4_T5_PSV_SW_PNS1_23onesweep_lookback_stateEbbT6_jjT7_P12ihipStream_tbENKUlT_T0_SK_SP_E_clISE_SE_SF_SF_EEDaS13_S14_SK_SP_EUlS13_E_NS1_11comp_targetILNS1_3genE0ELNS1_11target_archE4294967295ELNS1_3gpuE0ELNS1_3repE0EEENS1_47radix_sort_onesweep_sort_config_static_selectorELNS0_4arch9wavefront6targetE1EEEvSK_,"axG",@progbits,_ZN7rocprim17ROCPRIM_400000_NS6detail17trampoline_kernelINS0_14default_configENS1_35radix_sort_onesweep_config_selectorIyNS0_10empty_typeEEEZZNS1_29radix_sort_onesweep_iterationIS3_Lb0EN6thrust23THRUST_200600_302600_NS6detail15normal_iteratorINS9_10device_ptrIyEEEESE_PS5_SF_jNS0_19identity_decomposerENS1_16block_id_wrapperIjLb1EEEEE10hipError_tT1_PNSt15iterator_traitsISK_E10value_typeET2_T3_PNSL_ISQ_E10value_typeET4_T5_PSV_SW_PNS1_23onesweep_lookback_stateEbbT6_jjT7_P12ihipStream_tbENKUlT_T0_SK_SP_E_clISE_SE_SF_SF_EEDaS13_S14_SK_SP_EUlS13_E_NS1_11comp_targetILNS1_3genE0ELNS1_11target_archE4294967295ELNS1_3gpuE0ELNS1_3repE0EEENS1_47radix_sort_onesweep_sort_config_static_selectorELNS0_4arch9wavefront6targetE1EEEvSK_,comdat
	.protected	_ZN7rocprim17ROCPRIM_400000_NS6detail17trampoline_kernelINS0_14default_configENS1_35radix_sort_onesweep_config_selectorIyNS0_10empty_typeEEEZZNS1_29radix_sort_onesweep_iterationIS3_Lb0EN6thrust23THRUST_200600_302600_NS6detail15normal_iteratorINS9_10device_ptrIyEEEESE_PS5_SF_jNS0_19identity_decomposerENS1_16block_id_wrapperIjLb1EEEEE10hipError_tT1_PNSt15iterator_traitsISK_E10value_typeET2_T3_PNSL_ISQ_E10value_typeET4_T5_PSV_SW_PNS1_23onesweep_lookback_stateEbbT6_jjT7_P12ihipStream_tbENKUlT_T0_SK_SP_E_clISE_SE_SF_SF_EEDaS13_S14_SK_SP_EUlS13_E_NS1_11comp_targetILNS1_3genE0ELNS1_11target_archE4294967295ELNS1_3gpuE0ELNS1_3repE0EEENS1_47radix_sort_onesweep_sort_config_static_selectorELNS0_4arch9wavefront6targetE1EEEvSK_ ; -- Begin function _ZN7rocprim17ROCPRIM_400000_NS6detail17trampoline_kernelINS0_14default_configENS1_35radix_sort_onesweep_config_selectorIyNS0_10empty_typeEEEZZNS1_29radix_sort_onesweep_iterationIS3_Lb0EN6thrust23THRUST_200600_302600_NS6detail15normal_iteratorINS9_10device_ptrIyEEEESE_PS5_SF_jNS0_19identity_decomposerENS1_16block_id_wrapperIjLb1EEEEE10hipError_tT1_PNSt15iterator_traitsISK_E10value_typeET2_T3_PNSL_ISQ_E10value_typeET4_T5_PSV_SW_PNS1_23onesweep_lookback_stateEbbT6_jjT7_P12ihipStream_tbENKUlT_T0_SK_SP_E_clISE_SE_SF_SF_EEDaS13_S14_SK_SP_EUlS13_E_NS1_11comp_targetILNS1_3genE0ELNS1_11target_archE4294967295ELNS1_3gpuE0ELNS1_3repE0EEENS1_47radix_sort_onesweep_sort_config_static_selectorELNS0_4arch9wavefront6targetE1EEEvSK_
	.globl	_ZN7rocprim17ROCPRIM_400000_NS6detail17trampoline_kernelINS0_14default_configENS1_35radix_sort_onesweep_config_selectorIyNS0_10empty_typeEEEZZNS1_29radix_sort_onesweep_iterationIS3_Lb0EN6thrust23THRUST_200600_302600_NS6detail15normal_iteratorINS9_10device_ptrIyEEEESE_PS5_SF_jNS0_19identity_decomposerENS1_16block_id_wrapperIjLb1EEEEE10hipError_tT1_PNSt15iterator_traitsISK_E10value_typeET2_T3_PNSL_ISQ_E10value_typeET4_T5_PSV_SW_PNS1_23onesweep_lookback_stateEbbT6_jjT7_P12ihipStream_tbENKUlT_T0_SK_SP_E_clISE_SE_SF_SF_EEDaS13_S14_SK_SP_EUlS13_E_NS1_11comp_targetILNS1_3genE0ELNS1_11target_archE4294967295ELNS1_3gpuE0ELNS1_3repE0EEENS1_47radix_sort_onesweep_sort_config_static_selectorELNS0_4arch9wavefront6targetE1EEEvSK_
	.p2align	8
	.type	_ZN7rocprim17ROCPRIM_400000_NS6detail17trampoline_kernelINS0_14default_configENS1_35radix_sort_onesweep_config_selectorIyNS0_10empty_typeEEEZZNS1_29radix_sort_onesweep_iterationIS3_Lb0EN6thrust23THRUST_200600_302600_NS6detail15normal_iteratorINS9_10device_ptrIyEEEESE_PS5_SF_jNS0_19identity_decomposerENS1_16block_id_wrapperIjLb1EEEEE10hipError_tT1_PNSt15iterator_traitsISK_E10value_typeET2_T3_PNSL_ISQ_E10value_typeET4_T5_PSV_SW_PNS1_23onesweep_lookback_stateEbbT6_jjT7_P12ihipStream_tbENKUlT_T0_SK_SP_E_clISE_SE_SF_SF_EEDaS13_S14_SK_SP_EUlS13_E_NS1_11comp_targetILNS1_3genE0ELNS1_11target_archE4294967295ELNS1_3gpuE0ELNS1_3repE0EEENS1_47radix_sort_onesweep_sort_config_static_selectorELNS0_4arch9wavefront6targetE1EEEvSK_,@function
_ZN7rocprim17ROCPRIM_400000_NS6detail17trampoline_kernelINS0_14default_configENS1_35radix_sort_onesweep_config_selectorIyNS0_10empty_typeEEEZZNS1_29radix_sort_onesweep_iterationIS3_Lb0EN6thrust23THRUST_200600_302600_NS6detail15normal_iteratorINS9_10device_ptrIyEEEESE_PS5_SF_jNS0_19identity_decomposerENS1_16block_id_wrapperIjLb1EEEEE10hipError_tT1_PNSt15iterator_traitsISK_E10value_typeET2_T3_PNSL_ISQ_E10value_typeET4_T5_PSV_SW_PNS1_23onesweep_lookback_stateEbbT6_jjT7_P12ihipStream_tbENKUlT_T0_SK_SP_E_clISE_SE_SF_SF_EEDaS13_S14_SK_SP_EUlS13_E_NS1_11comp_targetILNS1_3genE0ELNS1_11target_archE4294967295ELNS1_3gpuE0ELNS1_3repE0EEENS1_47radix_sort_onesweep_sort_config_static_selectorELNS0_4arch9wavefront6targetE1EEEvSK_: ; @_ZN7rocprim17ROCPRIM_400000_NS6detail17trampoline_kernelINS0_14default_configENS1_35radix_sort_onesweep_config_selectorIyNS0_10empty_typeEEEZZNS1_29radix_sort_onesweep_iterationIS3_Lb0EN6thrust23THRUST_200600_302600_NS6detail15normal_iteratorINS9_10device_ptrIyEEEESE_PS5_SF_jNS0_19identity_decomposerENS1_16block_id_wrapperIjLb1EEEEE10hipError_tT1_PNSt15iterator_traitsISK_E10value_typeET2_T3_PNSL_ISQ_E10value_typeET4_T5_PSV_SW_PNS1_23onesweep_lookback_stateEbbT6_jjT7_P12ihipStream_tbENKUlT_T0_SK_SP_E_clISE_SE_SF_SF_EEDaS13_S14_SK_SP_EUlS13_E_NS1_11comp_targetILNS1_3genE0ELNS1_11target_archE4294967295ELNS1_3gpuE0ELNS1_3repE0EEENS1_47radix_sort_onesweep_sort_config_static_selectorELNS0_4arch9wavefront6targetE1EEEvSK_
; %bb.0:
	.section	.rodata,"a",@progbits
	.p2align	6, 0x0
	.amdhsa_kernel _ZN7rocprim17ROCPRIM_400000_NS6detail17trampoline_kernelINS0_14default_configENS1_35radix_sort_onesweep_config_selectorIyNS0_10empty_typeEEEZZNS1_29radix_sort_onesweep_iterationIS3_Lb0EN6thrust23THRUST_200600_302600_NS6detail15normal_iteratorINS9_10device_ptrIyEEEESE_PS5_SF_jNS0_19identity_decomposerENS1_16block_id_wrapperIjLb1EEEEE10hipError_tT1_PNSt15iterator_traitsISK_E10value_typeET2_T3_PNSL_ISQ_E10value_typeET4_T5_PSV_SW_PNS1_23onesweep_lookback_stateEbbT6_jjT7_P12ihipStream_tbENKUlT_T0_SK_SP_E_clISE_SE_SF_SF_EEDaS13_S14_SK_SP_EUlS13_E_NS1_11comp_targetILNS1_3genE0ELNS1_11target_archE4294967295ELNS1_3gpuE0ELNS1_3repE0EEENS1_47radix_sort_onesweep_sort_config_static_selectorELNS0_4arch9wavefront6targetE1EEEvSK_
		.amdhsa_group_segment_fixed_size 0
		.amdhsa_private_segment_fixed_size 0
		.amdhsa_kernarg_size 88
		.amdhsa_user_sgpr_count 6
		.amdhsa_user_sgpr_private_segment_buffer 1
		.amdhsa_user_sgpr_dispatch_ptr 0
		.amdhsa_user_sgpr_queue_ptr 0
		.amdhsa_user_sgpr_kernarg_segment_ptr 1
		.amdhsa_user_sgpr_dispatch_id 0
		.amdhsa_user_sgpr_flat_scratch_init 0
		.amdhsa_user_sgpr_kernarg_preload_length 0
		.amdhsa_user_sgpr_kernarg_preload_offset 0
		.amdhsa_user_sgpr_private_segment_size 0
		.amdhsa_uses_dynamic_stack 0
		.amdhsa_system_sgpr_private_segment_wavefront_offset 0
		.amdhsa_system_sgpr_workgroup_id_x 1
		.amdhsa_system_sgpr_workgroup_id_y 0
		.amdhsa_system_sgpr_workgroup_id_z 0
		.amdhsa_system_sgpr_workgroup_info 0
		.amdhsa_system_vgpr_workitem_id 0
		.amdhsa_next_free_vgpr 1
		.amdhsa_next_free_sgpr 0
		.amdhsa_accum_offset 4
		.amdhsa_reserve_vcc 0
		.amdhsa_reserve_flat_scratch 0
		.amdhsa_float_round_mode_32 0
		.amdhsa_float_round_mode_16_64 0
		.amdhsa_float_denorm_mode_32 3
		.amdhsa_float_denorm_mode_16_64 3
		.amdhsa_dx10_clamp 1
		.amdhsa_ieee_mode 1
		.amdhsa_fp16_overflow 0
		.amdhsa_tg_split 0
		.amdhsa_exception_fp_ieee_invalid_op 0
		.amdhsa_exception_fp_denorm_src 0
		.amdhsa_exception_fp_ieee_div_zero 0
		.amdhsa_exception_fp_ieee_overflow 0
		.amdhsa_exception_fp_ieee_underflow 0
		.amdhsa_exception_fp_ieee_inexact 0
		.amdhsa_exception_int_div_zero 0
	.end_amdhsa_kernel
	.section	.text._ZN7rocprim17ROCPRIM_400000_NS6detail17trampoline_kernelINS0_14default_configENS1_35radix_sort_onesweep_config_selectorIyNS0_10empty_typeEEEZZNS1_29radix_sort_onesweep_iterationIS3_Lb0EN6thrust23THRUST_200600_302600_NS6detail15normal_iteratorINS9_10device_ptrIyEEEESE_PS5_SF_jNS0_19identity_decomposerENS1_16block_id_wrapperIjLb1EEEEE10hipError_tT1_PNSt15iterator_traitsISK_E10value_typeET2_T3_PNSL_ISQ_E10value_typeET4_T5_PSV_SW_PNS1_23onesweep_lookback_stateEbbT6_jjT7_P12ihipStream_tbENKUlT_T0_SK_SP_E_clISE_SE_SF_SF_EEDaS13_S14_SK_SP_EUlS13_E_NS1_11comp_targetILNS1_3genE0ELNS1_11target_archE4294967295ELNS1_3gpuE0ELNS1_3repE0EEENS1_47radix_sort_onesweep_sort_config_static_selectorELNS0_4arch9wavefront6targetE1EEEvSK_,"axG",@progbits,_ZN7rocprim17ROCPRIM_400000_NS6detail17trampoline_kernelINS0_14default_configENS1_35radix_sort_onesweep_config_selectorIyNS0_10empty_typeEEEZZNS1_29radix_sort_onesweep_iterationIS3_Lb0EN6thrust23THRUST_200600_302600_NS6detail15normal_iteratorINS9_10device_ptrIyEEEESE_PS5_SF_jNS0_19identity_decomposerENS1_16block_id_wrapperIjLb1EEEEE10hipError_tT1_PNSt15iterator_traitsISK_E10value_typeET2_T3_PNSL_ISQ_E10value_typeET4_T5_PSV_SW_PNS1_23onesweep_lookback_stateEbbT6_jjT7_P12ihipStream_tbENKUlT_T0_SK_SP_E_clISE_SE_SF_SF_EEDaS13_S14_SK_SP_EUlS13_E_NS1_11comp_targetILNS1_3genE0ELNS1_11target_archE4294967295ELNS1_3gpuE0ELNS1_3repE0EEENS1_47radix_sort_onesweep_sort_config_static_selectorELNS0_4arch9wavefront6targetE1EEEvSK_,comdat
.Lfunc_end864:
	.size	_ZN7rocprim17ROCPRIM_400000_NS6detail17trampoline_kernelINS0_14default_configENS1_35radix_sort_onesweep_config_selectorIyNS0_10empty_typeEEEZZNS1_29radix_sort_onesweep_iterationIS3_Lb0EN6thrust23THRUST_200600_302600_NS6detail15normal_iteratorINS9_10device_ptrIyEEEESE_PS5_SF_jNS0_19identity_decomposerENS1_16block_id_wrapperIjLb1EEEEE10hipError_tT1_PNSt15iterator_traitsISK_E10value_typeET2_T3_PNSL_ISQ_E10value_typeET4_T5_PSV_SW_PNS1_23onesweep_lookback_stateEbbT6_jjT7_P12ihipStream_tbENKUlT_T0_SK_SP_E_clISE_SE_SF_SF_EEDaS13_S14_SK_SP_EUlS13_E_NS1_11comp_targetILNS1_3genE0ELNS1_11target_archE4294967295ELNS1_3gpuE0ELNS1_3repE0EEENS1_47radix_sort_onesweep_sort_config_static_selectorELNS0_4arch9wavefront6targetE1EEEvSK_, .Lfunc_end864-_ZN7rocprim17ROCPRIM_400000_NS6detail17trampoline_kernelINS0_14default_configENS1_35radix_sort_onesweep_config_selectorIyNS0_10empty_typeEEEZZNS1_29radix_sort_onesweep_iterationIS3_Lb0EN6thrust23THRUST_200600_302600_NS6detail15normal_iteratorINS9_10device_ptrIyEEEESE_PS5_SF_jNS0_19identity_decomposerENS1_16block_id_wrapperIjLb1EEEEE10hipError_tT1_PNSt15iterator_traitsISK_E10value_typeET2_T3_PNSL_ISQ_E10value_typeET4_T5_PSV_SW_PNS1_23onesweep_lookback_stateEbbT6_jjT7_P12ihipStream_tbENKUlT_T0_SK_SP_E_clISE_SE_SF_SF_EEDaS13_S14_SK_SP_EUlS13_E_NS1_11comp_targetILNS1_3genE0ELNS1_11target_archE4294967295ELNS1_3gpuE0ELNS1_3repE0EEENS1_47radix_sort_onesweep_sort_config_static_selectorELNS0_4arch9wavefront6targetE1EEEvSK_
                                        ; -- End function
	.section	.AMDGPU.csdata,"",@progbits
; Kernel info:
; codeLenInByte = 0
; NumSgprs: 4
; NumVgprs: 0
; NumAgprs: 0
; TotalNumVgprs: 0
; ScratchSize: 0
; MemoryBound: 0
; FloatMode: 240
; IeeeMode: 1
; LDSByteSize: 0 bytes/workgroup (compile time only)
; SGPRBlocks: 0
; VGPRBlocks: 0
; NumSGPRsForWavesPerEU: 4
; NumVGPRsForWavesPerEU: 1
; AccumOffset: 4
; Occupancy: 8
; WaveLimiterHint : 0
; COMPUTE_PGM_RSRC2:SCRATCH_EN: 0
; COMPUTE_PGM_RSRC2:USER_SGPR: 6
; COMPUTE_PGM_RSRC2:TRAP_HANDLER: 0
; COMPUTE_PGM_RSRC2:TGID_X_EN: 1
; COMPUTE_PGM_RSRC2:TGID_Y_EN: 0
; COMPUTE_PGM_RSRC2:TGID_Z_EN: 0
; COMPUTE_PGM_RSRC2:TIDIG_COMP_CNT: 0
; COMPUTE_PGM_RSRC3_GFX90A:ACCUM_OFFSET: 0
; COMPUTE_PGM_RSRC3_GFX90A:TG_SPLIT: 0
	.section	.text._ZN7rocprim17ROCPRIM_400000_NS6detail17trampoline_kernelINS0_14default_configENS1_35radix_sort_onesweep_config_selectorIyNS0_10empty_typeEEEZZNS1_29radix_sort_onesweep_iterationIS3_Lb0EN6thrust23THRUST_200600_302600_NS6detail15normal_iteratorINS9_10device_ptrIyEEEESE_PS5_SF_jNS0_19identity_decomposerENS1_16block_id_wrapperIjLb1EEEEE10hipError_tT1_PNSt15iterator_traitsISK_E10value_typeET2_T3_PNSL_ISQ_E10value_typeET4_T5_PSV_SW_PNS1_23onesweep_lookback_stateEbbT6_jjT7_P12ihipStream_tbENKUlT_T0_SK_SP_E_clISE_SE_SF_SF_EEDaS13_S14_SK_SP_EUlS13_E_NS1_11comp_targetILNS1_3genE6ELNS1_11target_archE950ELNS1_3gpuE13ELNS1_3repE0EEENS1_47radix_sort_onesweep_sort_config_static_selectorELNS0_4arch9wavefront6targetE1EEEvSK_,"axG",@progbits,_ZN7rocprim17ROCPRIM_400000_NS6detail17trampoline_kernelINS0_14default_configENS1_35radix_sort_onesweep_config_selectorIyNS0_10empty_typeEEEZZNS1_29radix_sort_onesweep_iterationIS3_Lb0EN6thrust23THRUST_200600_302600_NS6detail15normal_iteratorINS9_10device_ptrIyEEEESE_PS5_SF_jNS0_19identity_decomposerENS1_16block_id_wrapperIjLb1EEEEE10hipError_tT1_PNSt15iterator_traitsISK_E10value_typeET2_T3_PNSL_ISQ_E10value_typeET4_T5_PSV_SW_PNS1_23onesweep_lookback_stateEbbT6_jjT7_P12ihipStream_tbENKUlT_T0_SK_SP_E_clISE_SE_SF_SF_EEDaS13_S14_SK_SP_EUlS13_E_NS1_11comp_targetILNS1_3genE6ELNS1_11target_archE950ELNS1_3gpuE13ELNS1_3repE0EEENS1_47radix_sort_onesweep_sort_config_static_selectorELNS0_4arch9wavefront6targetE1EEEvSK_,comdat
	.protected	_ZN7rocprim17ROCPRIM_400000_NS6detail17trampoline_kernelINS0_14default_configENS1_35radix_sort_onesweep_config_selectorIyNS0_10empty_typeEEEZZNS1_29radix_sort_onesweep_iterationIS3_Lb0EN6thrust23THRUST_200600_302600_NS6detail15normal_iteratorINS9_10device_ptrIyEEEESE_PS5_SF_jNS0_19identity_decomposerENS1_16block_id_wrapperIjLb1EEEEE10hipError_tT1_PNSt15iterator_traitsISK_E10value_typeET2_T3_PNSL_ISQ_E10value_typeET4_T5_PSV_SW_PNS1_23onesweep_lookback_stateEbbT6_jjT7_P12ihipStream_tbENKUlT_T0_SK_SP_E_clISE_SE_SF_SF_EEDaS13_S14_SK_SP_EUlS13_E_NS1_11comp_targetILNS1_3genE6ELNS1_11target_archE950ELNS1_3gpuE13ELNS1_3repE0EEENS1_47radix_sort_onesweep_sort_config_static_selectorELNS0_4arch9wavefront6targetE1EEEvSK_ ; -- Begin function _ZN7rocprim17ROCPRIM_400000_NS6detail17trampoline_kernelINS0_14default_configENS1_35radix_sort_onesweep_config_selectorIyNS0_10empty_typeEEEZZNS1_29radix_sort_onesweep_iterationIS3_Lb0EN6thrust23THRUST_200600_302600_NS6detail15normal_iteratorINS9_10device_ptrIyEEEESE_PS5_SF_jNS0_19identity_decomposerENS1_16block_id_wrapperIjLb1EEEEE10hipError_tT1_PNSt15iterator_traitsISK_E10value_typeET2_T3_PNSL_ISQ_E10value_typeET4_T5_PSV_SW_PNS1_23onesweep_lookback_stateEbbT6_jjT7_P12ihipStream_tbENKUlT_T0_SK_SP_E_clISE_SE_SF_SF_EEDaS13_S14_SK_SP_EUlS13_E_NS1_11comp_targetILNS1_3genE6ELNS1_11target_archE950ELNS1_3gpuE13ELNS1_3repE0EEENS1_47radix_sort_onesweep_sort_config_static_selectorELNS0_4arch9wavefront6targetE1EEEvSK_
	.globl	_ZN7rocprim17ROCPRIM_400000_NS6detail17trampoline_kernelINS0_14default_configENS1_35radix_sort_onesweep_config_selectorIyNS0_10empty_typeEEEZZNS1_29radix_sort_onesweep_iterationIS3_Lb0EN6thrust23THRUST_200600_302600_NS6detail15normal_iteratorINS9_10device_ptrIyEEEESE_PS5_SF_jNS0_19identity_decomposerENS1_16block_id_wrapperIjLb1EEEEE10hipError_tT1_PNSt15iterator_traitsISK_E10value_typeET2_T3_PNSL_ISQ_E10value_typeET4_T5_PSV_SW_PNS1_23onesweep_lookback_stateEbbT6_jjT7_P12ihipStream_tbENKUlT_T0_SK_SP_E_clISE_SE_SF_SF_EEDaS13_S14_SK_SP_EUlS13_E_NS1_11comp_targetILNS1_3genE6ELNS1_11target_archE950ELNS1_3gpuE13ELNS1_3repE0EEENS1_47radix_sort_onesweep_sort_config_static_selectorELNS0_4arch9wavefront6targetE1EEEvSK_
	.p2align	8
	.type	_ZN7rocprim17ROCPRIM_400000_NS6detail17trampoline_kernelINS0_14default_configENS1_35radix_sort_onesweep_config_selectorIyNS0_10empty_typeEEEZZNS1_29radix_sort_onesweep_iterationIS3_Lb0EN6thrust23THRUST_200600_302600_NS6detail15normal_iteratorINS9_10device_ptrIyEEEESE_PS5_SF_jNS0_19identity_decomposerENS1_16block_id_wrapperIjLb1EEEEE10hipError_tT1_PNSt15iterator_traitsISK_E10value_typeET2_T3_PNSL_ISQ_E10value_typeET4_T5_PSV_SW_PNS1_23onesweep_lookback_stateEbbT6_jjT7_P12ihipStream_tbENKUlT_T0_SK_SP_E_clISE_SE_SF_SF_EEDaS13_S14_SK_SP_EUlS13_E_NS1_11comp_targetILNS1_3genE6ELNS1_11target_archE950ELNS1_3gpuE13ELNS1_3repE0EEENS1_47radix_sort_onesweep_sort_config_static_selectorELNS0_4arch9wavefront6targetE1EEEvSK_,@function
_ZN7rocprim17ROCPRIM_400000_NS6detail17trampoline_kernelINS0_14default_configENS1_35radix_sort_onesweep_config_selectorIyNS0_10empty_typeEEEZZNS1_29radix_sort_onesweep_iterationIS3_Lb0EN6thrust23THRUST_200600_302600_NS6detail15normal_iteratorINS9_10device_ptrIyEEEESE_PS5_SF_jNS0_19identity_decomposerENS1_16block_id_wrapperIjLb1EEEEE10hipError_tT1_PNSt15iterator_traitsISK_E10value_typeET2_T3_PNSL_ISQ_E10value_typeET4_T5_PSV_SW_PNS1_23onesweep_lookback_stateEbbT6_jjT7_P12ihipStream_tbENKUlT_T0_SK_SP_E_clISE_SE_SF_SF_EEDaS13_S14_SK_SP_EUlS13_E_NS1_11comp_targetILNS1_3genE6ELNS1_11target_archE950ELNS1_3gpuE13ELNS1_3repE0EEENS1_47radix_sort_onesweep_sort_config_static_selectorELNS0_4arch9wavefront6targetE1EEEvSK_: ; @_ZN7rocprim17ROCPRIM_400000_NS6detail17trampoline_kernelINS0_14default_configENS1_35radix_sort_onesweep_config_selectorIyNS0_10empty_typeEEEZZNS1_29radix_sort_onesweep_iterationIS3_Lb0EN6thrust23THRUST_200600_302600_NS6detail15normal_iteratorINS9_10device_ptrIyEEEESE_PS5_SF_jNS0_19identity_decomposerENS1_16block_id_wrapperIjLb1EEEEE10hipError_tT1_PNSt15iterator_traitsISK_E10value_typeET2_T3_PNSL_ISQ_E10value_typeET4_T5_PSV_SW_PNS1_23onesweep_lookback_stateEbbT6_jjT7_P12ihipStream_tbENKUlT_T0_SK_SP_E_clISE_SE_SF_SF_EEDaS13_S14_SK_SP_EUlS13_E_NS1_11comp_targetILNS1_3genE6ELNS1_11target_archE950ELNS1_3gpuE13ELNS1_3repE0EEENS1_47radix_sort_onesweep_sort_config_static_selectorELNS0_4arch9wavefront6targetE1EEEvSK_
; %bb.0:
	.section	.rodata,"a",@progbits
	.p2align	6, 0x0
	.amdhsa_kernel _ZN7rocprim17ROCPRIM_400000_NS6detail17trampoline_kernelINS0_14default_configENS1_35radix_sort_onesweep_config_selectorIyNS0_10empty_typeEEEZZNS1_29radix_sort_onesweep_iterationIS3_Lb0EN6thrust23THRUST_200600_302600_NS6detail15normal_iteratorINS9_10device_ptrIyEEEESE_PS5_SF_jNS0_19identity_decomposerENS1_16block_id_wrapperIjLb1EEEEE10hipError_tT1_PNSt15iterator_traitsISK_E10value_typeET2_T3_PNSL_ISQ_E10value_typeET4_T5_PSV_SW_PNS1_23onesweep_lookback_stateEbbT6_jjT7_P12ihipStream_tbENKUlT_T0_SK_SP_E_clISE_SE_SF_SF_EEDaS13_S14_SK_SP_EUlS13_E_NS1_11comp_targetILNS1_3genE6ELNS1_11target_archE950ELNS1_3gpuE13ELNS1_3repE0EEENS1_47radix_sort_onesweep_sort_config_static_selectorELNS0_4arch9wavefront6targetE1EEEvSK_
		.amdhsa_group_segment_fixed_size 0
		.amdhsa_private_segment_fixed_size 0
		.amdhsa_kernarg_size 88
		.amdhsa_user_sgpr_count 6
		.amdhsa_user_sgpr_private_segment_buffer 1
		.amdhsa_user_sgpr_dispatch_ptr 0
		.amdhsa_user_sgpr_queue_ptr 0
		.amdhsa_user_sgpr_kernarg_segment_ptr 1
		.amdhsa_user_sgpr_dispatch_id 0
		.amdhsa_user_sgpr_flat_scratch_init 0
		.amdhsa_user_sgpr_kernarg_preload_length 0
		.amdhsa_user_sgpr_kernarg_preload_offset 0
		.amdhsa_user_sgpr_private_segment_size 0
		.amdhsa_uses_dynamic_stack 0
		.amdhsa_system_sgpr_private_segment_wavefront_offset 0
		.amdhsa_system_sgpr_workgroup_id_x 1
		.amdhsa_system_sgpr_workgroup_id_y 0
		.amdhsa_system_sgpr_workgroup_id_z 0
		.amdhsa_system_sgpr_workgroup_info 0
		.amdhsa_system_vgpr_workitem_id 0
		.amdhsa_next_free_vgpr 1
		.amdhsa_next_free_sgpr 0
		.amdhsa_accum_offset 4
		.amdhsa_reserve_vcc 0
		.amdhsa_reserve_flat_scratch 0
		.amdhsa_float_round_mode_32 0
		.amdhsa_float_round_mode_16_64 0
		.amdhsa_float_denorm_mode_32 3
		.amdhsa_float_denorm_mode_16_64 3
		.amdhsa_dx10_clamp 1
		.amdhsa_ieee_mode 1
		.amdhsa_fp16_overflow 0
		.amdhsa_tg_split 0
		.amdhsa_exception_fp_ieee_invalid_op 0
		.amdhsa_exception_fp_denorm_src 0
		.amdhsa_exception_fp_ieee_div_zero 0
		.amdhsa_exception_fp_ieee_overflow 0
		.amdhsa_exception_fp_ieee_underflow 0
		.amdhsa_exception_fp_ieee_inexact 0
		.amdhsa_exception_int_div_zero 0
	.end_amdhsa_kernel
	.section	.text._ZN7rocprim17ROCPRIM_400000_NS6detail17trampoline_kernelINS0_14default_configENS1_35radix_sort_onesweep_config_selectorIyNS0_10empty_typeEEEZZNS1_29radix_sort_onesweep_iterationIS3_Lb0EN6thrust23THRUST_200600_302600_NS6detail15normal_iteratorINS9_10device_ptrIyEEEESE_PS5_SF_jNS0_19identity_decomposerENS1_16block_id_wrapperIjLb1EEEEE10hipError_tT1_PNSt15iterator_traitsISK_E10value_typeET2_T3_PNSL_ISQ_E10value_typeET4_T5_PSV_SW_PNS1_23onesweep_lookback_stateEbbT6_jjT7_P12ihipStream_tbENKUlT_T0_SK_SP_E_clISE_SE_SF_SF_EEDaS13_S14_SK_SP_EUlS13_E_NS1_11comp_targetILNS1_3genE6ELNS1_11target_archE950ELNS1_3gpuE13ELNS1_3repE0EEENS1_47radix_sort_onesweep_sort_config_static_selectorELNS0_4arch9wavefront6targetE1EEEvSK_,"axG",@progbits,_ZN7rocprim17ROCPRIM_400000_NS6detail17trampoline_kernelINS0_14default_configENS1_35radix_sort_onesweep_config_selectorIyNS0_10empty_typeEEEZZNS1_29radix_sort_onesweep_iterationIS3_Lb0EN6thrust23THRUST_200600_302600_NS6detail15normal_iteratorINS9_10device_ptrIyEEEESE_PS5_SF_jNS0_19identity_decomposerENS1_16block_id_wrapperIjLb1EEEEE10hipError_tT1_PNSt15iterator_traitsISK_E10value_typeET2_T3_PNSL_ISQ_E10value_typeET4_T5_PSV_SW_PNS1_23onesweep_lookback_stateEbbT6_jjT7_P12ihipStream_tbENKUlT_T0_SK_SP_E_clISE_SE_SF_SF_EEDaS13_S14_SK_SP_EUlS13_E_NS1_11comp_targetILNS1_3genE6ELNS1_11target_archE950ELNS1_3gpuE13ELNS1_3repE0EEENS1_47radix_sort_onesweep_sort_config_static_selectorELNS0_4arch9wavefront6targetE1EEEvSK_,comdat
.Lfunc_end865:
	.size	_ZN7rocprim17ROCPRIM_400000_NS6detail17trampoline_kernelINS0_14default_configENS1_35radix_sort_onesweep_config_selectorIyNS0_10empty_typeEEEZZNS1_29radix_sort_onesweep_iterationIS3_Lb0EN6thrust23THRUST_200600_302600_NS6detail15normal_iteratorINS9_10device_ptrIyEEEESE_PS5_SF_jNS0_19identity_decomposerENS1_16block_id_wrapperIjLb1EEEEE10hipError_tT1_PNSt15iterator_traitsISK_E10value_typeET2_T3_PNSL_ISQ_E10value_typeET4_T5_PSV_SW_PNS1_23onesweep_lookback_stateEbbT6_jjT7_P12ihipStream_tbENKUlT_T0_SK_SP_E_clISE_SE_SF_SF_EEDaS13_S14_SK_SP_EUlS13_E_NS1_11comp_targetILNS1_3genE6ELNS1_11target_archE950ELNS1_3gpuE13ELNS1_3repE0EEENS1_47radix_sort_onesweep_sort_config_static_selectorELNS0_4arch9wavefront6targetE1EEEvSK_, .Lfunc_end865-_ZN7rocprim17ROCPRIM_400000_NS6detail17trampoline_kernelINS0_14default_configENS1_35radix_sort_onesweep_config_selectorIyNS0_10empty_typeEEEZZNS1_29radix_sort_onesweep_iterationIS3_Lb0EN6thrust23THRUST_200600_302600_NS6detail15normal_iteratorINS9_10device_ptrIyEEEESE_PS5_SF_jNS0_19identity_decomposerENS1_16block_id_wrapperIjLb1EEEEE10hipError_tT1_PNSt15iterator_traitsISK_E10value_typeET2_T3_PNSL_ISQ_E10value_typeET4_T5_PSV_SW_PNS1_23onesweep_lookback_stateEbbT6_jjT7_P12ihipStream_tbENKUlT_T0_SK_SP_E_clISE_SE_SF_SF_EEDaS13_S14_SK_SP_EUlS13_E_NS1_11comp_targetILNS1_3genE6ELNS1_11target_archE950ELNS1_3gpuE13ELNS1_3repE0EEENS1_47radix_sort_onesweep_sort_config_static_selectorELNS0_4arch9wavefront6targetE1EEEvSK_
                                        ; -- End function
	.section	.AMDGPU.csdata,"",@progbits
; Kernel info:
; codeLenInByte = 0
; NumSgprs: 4
; NumVgprs: 0
; NumAgprs: 0
; TotalNumVgprs: 0
; ScratchSize: 0
; MemoryBound: 0
; FloatMode: 240
; IeeeMode: 1
; LDSByteSize: 0 bytes/workgroup (compile time only)
; SGPRBlocks: 0
; VGPRBlocks: 0
; NumSGPRsForWavesPerEU: 4
; NumVGPRsForWavesPerEU: 1
; AccumOffset: 4
; Occupancy: 8
; WaveLimiterHint : 0
; COMPUTE_PGM_RSRC2:SCRATCH_EN: 0
; COMPUTE_PGM_RSRC2:USER_SGPR: 6
; COMPUTE_PGM_RSRC2:TRAP_HANDLER: 0
; COMPUTE_PGM_RSRC2:TGID_X_EN: 1
; COMPUTE_PGM_RSRC2:TGID_Y_EN: 0
; COMPUTE_PGM_RSRC2:TGID_Z_EN: 0
; COMPUTE_PGM_RSRC2:TIDIG_COMP_CNT: 0
; COMPUTE_PGM_RSRC3_GFX90A:ACCUM_OFFSET: 0
; COMPUTE_PGM_RSRC3_GFX90A:TG_SPLIT: 0
	.section	.text._ZN7rocprim17ROCPRIM_400000_NS6detail17trampoline_kernelINS0_14default_configENS1_35radix_sort_onesweep_config_selectorIyNS0_10empty_typeEEEZZNS1_29radix_sort_onesweep_iterationIS3_Lb0EN6thrust23THRUST_200600_302600_NS6detail15normal_iteratorINS9_10device_ptrIyEEEESE_PS5_SF_jNS0_19identity_decomposerENS1_16block_id_wrapperIjLb1EEEEE10hipError_tT1_PNSt15iterator_traitsISK_E10value_typeET2_T3_PNSL_ISQ_E10value_typeET4_T5_PSV_SW_PNS1_23onesweep_lookback_stateEbbT6_jjT7_P12ihipStream_tbENKUlT_T0_SK_SP_E_clISE_SE_SF_SF_EEDaS13_S14_SK_SP_EUlS13_E_NS1_11comp_targetILNS1_3genE5ELNS1_11target_archE942ELNS1_3gpuE9ELNS1_3repE0EEENS1_47radix_sort_onesweep_sort_config_static_selectorELNS0_4arch9wavefront6targetE1EEEvSK_,"axG",@progbits,_ZN7rocprim17ROCPRIM_400000_NS6detail17trampoline_kernelINS0_14default_configENS1_35radix_sort_onesweep_config_selectorIyNS0_10empty_typeEEEZZNS1_29radix_sort_onesweep_iterationIS3_Lb0EN6thrust23THRUST_200600_302600_NS6detail15normal_iteratorINS9_10device_ptrIyEEEESE_PS5_SF_jNS0_19identity_decomposerENS1_16block_id_wrapperIjLb1EEEEE10hipError_tT1_PNSt15iterator_traitsISK_E10value_typeET2_T3_PNSL_ISQ_E10value_typeET4_T5_PSV_SW_PNS1_23onesweep_lookback_stateEbbT6_jjT7_P12ihipStream_tbENKUlT_T0_SK_SP_E_clISE_SE_SF_SF_EEDaS13_S14_SK_SP_EUlS13_E_NS1_11comp_targetILNS1_3genE5ELNS1_11target_archE942ELNS1_3gpuE9ELNS1_3repE0EEENS1_47radix_sort_onesweep_sort_config_static_selectorELNS0_4arch9wavefront6targetE1EEEvSK_,comdat
	.protected	_ZN7rocprim17ROCPRIM_400000_NS6detail17trampoline_kernelINS0_14default_configENS1_35radix_sort_onesweep_config_selectorIyNS0_10empty_typeEEEZZNS1_29radix_sort_onesweep_iterationIS3_Lb0EN6thrust23THRUST_200600_302600_NS6detail15normal_iteratorINS9_10device_ptrIyEEEESE_PS5_SF_jNS0_19identity_decomposerENS1_16block_id_wrapperIjLb1EEEEE10hipError_tT1_PNSt15iterator_traitsISK_E10value_typeET2_T3_PNSL_ISQ_E10value_typeET4_T5_PSV_SW_PNS1_23onesweep_lookback_stateEbbT6_jjT7_P12ihipStream_tbENKUlT_T0_SK_SP_E_clISE_SE_SF_SF_EEDaS13_S14_SK_SP_EUlS13_E_NS1_11comp_targetILNS1_3genE5ELNS1_11target_archE942ELNS1_3gpuE9ELNS1_3repE0EEENS1_47radix_sort_onesweep_sort_config_static_selectorELNS0_4arch9wavefront6targetE1EEEvSK_ ; -- Begin function _ZN7rocprim17ROCPRIM_400000_NS6detail17trampoline_kernelINS0_14default_configENS1_35radix_sort_onesweep_config_selectorIyNS0_10empty_typeEEEZZNS1_29radix_sort_onesweep_iterationIS3_Lb0EN6thrust23THRUST_200600_302600_NS6detail15normal_iteratorINS9_10device_ptrIyEEEESE_PS5_SF_jNS0_19identity_decomposerENS1_16block_id_wrapperIjLb1EEEEE10hipError_tT1_PNSt15iterator_traitsISK_E10value_typeET2_T3_PNSL_ISQ_E10value_typeET4_T5_PSV_SW_PNS1_23onesweep_lookback_stateEbbT6_jjT7_P12ihipStream_tbENKUlT_T0_SK_SP_E_clISE_SE_SF_SF_EEDaS13_S14_SK_SP_EUlS13_E_NS1_11comp_targetILNS1_3genE5ELNS1_11target_archE942ELNS1_3gpuE9ELNS1_3repE0EEENS1_47radix_sort_onesweep_sort_config_static_selectorELNS0_4arch9wavefront6targetE1EEEvSK_
	.globl	_ZN7rocprim17ROCPRIM_400000_NS6detail17trampoline_kernelINS0_14default_configENS1_35radix_sort_onesweep_config_selectorIyNS0_10empty_typeEEEZZNS1_29radix_sort_onesweep_iterationIS3_Lb0EN6thrust23THRUST_200600_302600_NS6detail15normal_iteratorINS9_10device_ptrIyEEEESE_PS5_SF_jNS0_19identity_decomposerENS1_16block_id_wrapperIjLb1EEEEE10hipError_tT1_PNSt15iterator_traitsISK_E10value_typeET2_T3_PNSL_ISQ_E10value_typeET4_T5_PSV_SW_PNS1_23onesweep_lookback_stateEbbT6_jjT7_P12ihipStream_tbENKUlT_T0_SK_SP_E_clISE_SE_SF_SF_EEDaS13_S14_SK_SP_EUlS13_E_NS1_11comp_targetILNS1_3genE5ELNS1_11target_archE942ELNS1_3gpuE9ELNS1_3repE0EEENS1_47radix_sort_onesweep_sort_config_static_selectorELNS0_4arch9wavefront6targetE1EEEvSK_
	.p2align	8
	.type	_ZN7rocprim17ROCPRIM_400000_NS6detail17trampoline_kernelINS0_14default_configENS1_35radix_sort_onesweep_config_selectorIyNS0_10empty_typeEEEZZNS1_29radix_sort_onesweep_iterationIS3_Lb0EN6thrust23THRUST_200600_302600_NS6detail15normal_iteratorINS9_10device_ptrIyEEEESE_PS5_SF_jNS0_19identity_decomposerENS1_16block_id_wrapperIjLb1EEEEE10hipError_tT1_PNSt15iterator_traitsISK_E10value_typeET2_T3_PNSL_ISQ_E10value_typeET4_T5_PSV_SW_PNS1_23onesweep_lookback_stateEbbT6_jjT7_P12ihipStream_tbENKUlT_T0_SK_SP_E_clISE_SE_SF_SF_EEDaS13_S14_SK_SP_EUlS13_E_NS1_11comp_targetILNS1_3genE5ELNS1_11target_archE942ELNS1_3gpuE9ELNS1_3repE0EEENS1_47radix_sort_onesweep_sort_config_static_selectorELNS0_4arch9wavefront6targetE1EEEvSK_,@function
_ZN7rocprim17ROCPRIM_400000_NS6detail17trampoline_kernelINS0_14default_configENS1_35radix_sort_onesweep_config_selectorIyNS0_10empty_typeEEEZZNS1_29radix_sort_onesweep_iterationIS3_Lb0EN6thrust23THRUST_200600_302600_NS6detail15normal_iteratorINS9_10device_ptrIyEEEESE_PS5_SF_jNS0_19identity_decomposerENS1_16block_id_wrapperIjLb1EEEEE10hipError_tT1_PNSt15iterator_traitsISK_E10value_typeET2_T3_PNSL_ISQ_E10value_typeET4_T5_PSV_SW_PNS1_23onesweep_lookback_stateEbbT6_jjT7_P12ihipStream_tbENKUlT_T0_SK_SP_E_clISE_SE_SF_SF_EEDaS13_S14_SK_SP_EUlS13_E_NS1_11comp_targetILNS1_3genE5ELNS1_11target_archE942ELNS1_3gpuE9ELNS1_3repE0EEENS1_47radix_sort_onesweep_sort_config_static_selectorELNS0_4arch9wavefront6targetE1EEEvSK_: ; @_ZN7rocprim17ROCPRIM_400000_NS6detail17trampoline_kernelINS0_14default_configENS1_35radix_sort_onesweep_config_selectorIyNS0_10empty_typeEEEZZNS1_29radix_sort_onesweep_iterationIS3_Lb0EN6thrust23THRUST_200600_302600_NS6detail15normal_iteratorINS9_10device_ptrIyEEEESE_PS5_SF_jNS0_19identity_decomposerENS1_16block_id_wrapperIjLb1EEEEE10hipError_tT1_PNSt15iterator_traitsISK_E10value_typeET2_T3_PNSL_ISQ_E10value_typeET4_T5_PSV_SW_PNS1_23onesweep_lookback_stateEbbT6_jjT7_P12ihipStream_tbENKUlT_T0_SK_SP_E_clISE_SE_SF_SF_EEDaS13_S14_SK_SP_EUlS13_E_NS1_11comp_targetILNS1_3genE5ELNS1_11target_archE942ELNS1_3gpuE9ELNS1_3repE0EEENS1_47radix_sort_onesweep_sort_config_static_selectorELNS0_4arch9wavefront6targetE1EEEvSK_
; %bb.0:
	.section	.rodata,"a",@progbits
	.p2align	6, 0x0
	.amdhsa_kernel _ZN7rocprim17ROCPRIM_400000_NS6detail17trampoline_kernelINS0_14default_configENS1_35radix_sort_onesweep_config_selectorIyNS0_10empty_typeEEEZZNS1_29radix_sort_onesweep_iterationIS3_Lb0EN6thrust23THRUST_200600_302600_NS6detail15normal_iteratorINS9_10device_ptrIyEEEESE_PS5_SF_jNS0_19identity_decomposerENS1_16block_id_wrapperIjLb1EEEEE10hipError_tT1_PNSt15iterator_traitsISK_E10value_typeET2_T3_PNSL_ISQ_E10value_typeET4_T5_PSV_SW_PNS1_23onesweep_lookback_stateEbbT6_jjT7_P12ihipStream_tbENKUlT_T0_SK_SP_E_clISE_SE_SF_SF_EEDaS13_S14_SK_SP_EUlS13_E_NS1_11comp_targetILNS1_3genE5ELNS1_11target_archE942ELNS1_3gpuE9ELNS1_3repE0EEENS1_47radix_sort_onesweep_sort_config_static_selectorELNS0_4arch9wavefront6targetE1EEEvSK_
		.amdhsa_group_segment_fixed_size 0
		.amdhsa_private_segment_fixed_size 0
		.amdhsa_kernarg_size 88
		.amdhsa_user_sgpr_count 6
		.amdhsa_user_sgpr_private_segment_buffer 1
		.amdhsa_user_sgpr_dispatch_ptr 0
		.amdhsa_user_sgpr_queue_ptr 0
		.amdhsa_user_sgpr_kernarg_segment_ptr 1
		.amdhsa_user_sgpr_dispatch_id 0
		.amdhsa_user_sgpr_flat_scratch_init 0
		.amdhsa_user_sgpr_kernarg_preload_length 0
		.amdhsa_user_sgpr_kernarg_preload_offset 0
		.amdhsa_user_sgpr_private_segment_size 0
		.amdhsa_uses_dynamic_stack 0
		.amdhsa_system_sgpr_private_segment_wavefront_offset 0
		.amdhsa_system_sgpr_workgroup_id_x 1
		.amdhsa_system_sgpr_workgroup_id_y 0
		.amdhsa_system_sgpr_workgroup_id_z 0
		.amdhsa_system_sgpr_workgroup_info 0
		.amdhsa_system_vgpr_workitem_id 0
		.amdhsa_next_free_vgpr 1
		.amdhsa_next_free_sgpr 0
		.amdhsa_accum_offset 4
		.amdhsa_reserve_vcc 0
		.amdhsa_reserve_flat_scratch 0
		.amdhsa_float_round_mode_32 0
		.amdhsa_float_round_mode_16_64 0
		.amdhsa_float_denorm_mode_32 3
		.amdhsa_float_denorm_mode_16_64 3
		.amdhsa_dx10_clamp 1
		.amdhsa_ieee_mode 1
		.amdhsa_fp16_overflow 0
		.amdhsa_tg_split 0
		.amdhsa_exception_fp_ieee_invalid_op 0
		.amdhsa_exception_fp_denorm_src 0
		.amdhsa_exception_fp_ieee_div_zero 0
		.amdhsa_exception_fp_ieee_overflow 0
		.amdhsa_exception_fp_ieee_underflow 0
		.amdhsa_exception_fp_ieee_inexact 0
		.amdhsa_exception_int_div_zero 0
	.end_amdhsa_kernel
	.section	.text._ZN7rocprim17ROCPRIM_400000_NS6detail17trampoline_kernelINS0_14default_configENS1_35radix_sort_onesweep_config_selectorIyNS0_10empty_typeEEEZZNS1_29radix_sort_onesweep_iterationIS3_Lb0EN6thrust23THRUST_200600_302600_NS6detail15normal_iteratorINS9_10device_ptrIyEEEESE_PS5_SF_jNS0_19identity_decomposerENS1_16block_id_wrapperIjLb1EEEEE10hipError_tT1_PNSt15iterator_traitsISK_E10value_typeET2_T3_PNSL_ISQ_E10value_typeET4_T5_PSV_SW_PNS1_23onesweep_lookback_stateEbbT6_jjT7_P12ihipStream_tbENKUlT_T0_SK_SP_E_clISE_SE_SF_SF_EEDaS13_S14_SK_SP_EUlS13_E_NS1_11comp_targetILNS1_3genE5ELNS1_11target_archE942ELNS1_3gpuE9ELNS1_3repE0EEENS1_47radix_sort_onesweep_sort_config_static_selectorELNS0_4arch9wavefront6targetE1EEEvSK_,"axG",@progbits,_ZN7rocprim17ROCPRIM_400000_NS6detail17trampoline_kernelINS0_14default_configENS1_35radix_sort_onesweep_config_selectorIyNS0_10empty_typeEEEZZNS1_29radix_sort_onesweep_iterationIS3_Lb0EN6thrust23THRUST_200600_302600_NS6detail15normal_iteratorINS9_10device_ptrIyEEEESE_PS5_SF_jNS0_19identity_decomposerENS1_16block_id_wrapperIjLb1EEEEE10hipError_tT1_PNSt15iterator_traitsISK_E10value_typeET2_T3_PNSL_ISQ_E10value_typeET4_T5_PSV_SW_PNS1_23onesweep_lookback_stateEbbT6_jjT7_P12ihipStream_tbENKUlT_T0_SK_SP_E_clISE_SE_SF_SF_EEDaS13_S14_SK_SP_EUlS13_E_NS1_11comp_targetILNS1_3genE5ELNS1_11target_archE942ELNS1_3gpuE9ELNS1_3repE0EEENS1_47radix_sort_onesweep_sort_config_static_selectorELNS0_4arch9wavefront6targetE1EEEvSK_,comdat
.Lfunc_end866:
	.size	_ZN7rocprim17ROCPRIM_400000_NS6detail17trampoline_kernelINS0_14default_configENS1_35radix_sort_onesweep_config_selectorIyNS0_10empty_typeEEEZZNS1_29radix_sort_onesweep_iterationIS3_Lb0EN6thrust23THRUST_200600_302600_NS6detail15normal_iteratorINS9_10device_ptrIyEEEESE_PS5_SF_jNS0_19identity_decomposerENS1_16block_id_wrapperIjLb1EEEEE10hipError_tT1_PNSt15iterator_traitsISK_E10value_typeET2_T3_PNSL_ISQ_E10value_typeET4_T5_PSV_SW_PNS1_23onesweep_lookback_stateEbbT6_jjT7_P12ihipStream_tbENKUlT_T0_SK_SP_E_clISE_SE_SF_SF_EEDaS13_S14_SK_SP_EUlS13_E_NS1_11comp_targetILNS1_3genE5ELNS1_11target_archE942ELNS1_3gpuE9ELNS1_3repE0EEENS1_47radix_sort_onesweep_sort_config_static_selectorELNS0_4arch9wavefront6targetE1EEEvSK_, .Lfunc_end866-_ZN7rocprim17ROCPRIM_400000_NS6detail17trampoline_kernelINS0_14default_configENS1_35radix_sort_onesweep_config_selectorIyNS0_10empty_typeEEEZZNS1_29radix_sort_onesweep_iterationIS3_Lb0EN6thrust23THRUST_200600_302600_NS6detail15normal_iteratorINS9_10device_ptrIyEEEESE_PS5_SF_jNS0_19identity_decomposerENS1_16block_id_wrapperIjLb1EEEEE10hipError_tT1_PNSt15iterator_traitsISK_E10value_typeET2_T3_PNSL_ISQ_E10value_typeET4_T5_PSV_SW_PNS1_23onesweep_lookback_stateEbbT6_jjT7_P12ihipStream_tbENKUlT_T0_SK_SP_E_clISE_SE_SF_SF_EEDaS13_S14_SK_SP_EUlS13_E_NS1_11comp_targetILNS1_3genE5ELNS1_11target_archE942ELNS1_3gpuE9ELNS1_3repE0EEENS1_47radix_sort_onesweep_sort_config_static_selectorELNS0_4arch9wavefront6targetE1EEEvSK_
                                        ; -- End function
	.section	.AMDGPU.csdata,"",@progbits
; Kernel info:
; codeLenInByte = 0
; NumSgprs: 4
; NumVgprs: 0
; NumAgprs: 0
; TotalNumVgprs: 0
; ScratchSize: 0
; MemoryBound: 0
; FloatMode: 240
; IeeeMode: 1
; LDSByteSize: 0 bytes/workgroup (compile time only)
; SGPRBlocks: 0
; VGPRBlocks: 0
; NumSGPRsForWavesPerEU: 4
; NumVGPRsForWavesPerEU: 1
; AccumOffset: 4
; Occupancy: 8
; WaveLimiterHint : 0
; COMPUTE_PGM_RSRC2:SCRATCH_EN: 0
; COMPUTE_PGM_RSRC2:USER_SGPR: 6
; COMPUTE_PGM_RSRC2:TRAP_HANDLER: 0
; COMPUTE_PGM_RSRC2:TGID_X_EN: 1
; COMPUTE_PGM_RSRC2:TGID_Y_EN: 0
; COMPUTE_PGM_RSRC2:TGID_Z_EN: 0
; COMPUTE_PGM_RSRC2:TIDIG_COMP_CNT: 0
; COMPUTE_PGM_RSRC3_GFX90A:ACCUM_OFFSET: 0
; COMPUTE_PGM_RSRC3_GFX90A:TG_SPLIT: 0
	.section	.text._ZN7rocprim17ROCPRIM_400000_NS6detail17trampoline_kernelINS0_14default_configENS1_35radix_sort_onesweep_config_selectorIyNS0_10empty_typeEEEZZNS1_29radix_sort_onesweep_iterationIS3_Lb0EN6thrust23THRUST_200600_302600_NS6detail15normal_iteratorINS9_10device_ptrIyEEEESE_PS5_SF_jNS0_19identity_decomposerENS1_16block_id_wrapperIjLb1EEEEE10hipError_tT1_PNSt15iterator_traitsISK_E10value_typeET2_T3_PNSL_ISQ_E10value_typeET4_T5_PSV_SW_PNS1_23onesweep_lookback_stateEbbT6_jjT7_P12ihipStream_tbENKUlT_T0_SK_SP_E_clISE_SE_SF_SF_EEDaS13_S14_SK_SP_EUlS13_E_NS1_11comp_targetILNS1_3genE2ELNS1_11target_archE906ELNS1_3gpuE6ELNS1_3repE0EEENS1_47radix_sort_onesweep_sort_config_static_selectorELNS0_4arch9wavefront6targetE1EEEvSK_,"axG",@progbits,_ZN7rocprim17ROCPRIM_400000_NS6detail17trampoline_kernelINS0_14default_configENS1_35radix_sort_onesweep_config_selectorIyNS0_10empty_typeEEEZZNS1_29radix_sort_onesweep_iterationIS3_Lb0EN6thrust23THRUST_200600_302600_NS6detail15normal_iteratorINS9_10device_ptrIyEEEESE_PS5_SF_jNS0_19identity_decomposerENS1_16block_id_wrapperIjLb1EEEEE10hipError_tT1_PNSt15iterator_traitsISK_E10value_typeET2_T3_PNSL_ISQ_E10value_typeET4_T5_PSV_SW_PNS1_23onesweep_lookback_stateEbbT6_jjT7_P12ihipStream_tbENKUlT_T0_SK_SP_E_clISE_SE_SF_SF_EEDaS13_S14_SK_SP_EUlS13_E_NS1_11comp_targetILNS1_3genE2ELNS1_11target_archE906ELNS1_3gpuE6ELNS1_3repE0EEENS1_47radix_sort_onesweep_sort_config_static_selectorELNS0_4arch9wavefront6targetE1EEEvSK_,comdat
	.protected	_ZN7rocprim17ROCPRIM_400000_NS6detail17trampoline_kernelINS0_14default_configENS1_35radix_sort_onesweep_config_selectorIyNS0_10empty_typeEEEZZNS1_29radix_sort_onesweep_iterationIS3_Lb0EN6thrust23THRUST_200600_302600_NS6detail15normal_iteratorINS9_10device_ptrIyEEEESE_PS5_SF_jNS0_19identity_decomposerENS1_16block_id_wrapperIjLb1EEEEE10hipError_tT1_PNSt15iterator_traitsISK_E10value_typeET2_T3_PNSL_ISQ_E10value_typeET4_T5_PSV_SW_PNS1_23onesweep_lookback_stateEbbT6_jjT7_P12ihipStream_tbENKUlT_T0_SK_SP_E_clISE_SE_SF_SF_EEDaS13_S14_SK_SP_EUlS13_E_NS1_11comp_targetILNS1_3genE2ELNS1_11target_archE906ELNS1_3gpuE6ELNS1_3repE0EEENS1_47radix_sort_onesweep_sort_config_static_selectorELNS0_4arch9wavefront6targetE1EEEvSK_ ; -- Begin function _ZN7rocprim17ROCPRIM_400000_NS6detail17trampoline_kernelINS0_14default_configENS1_35radix_sort_onesweep_config_selectorIyNS0_10empty_typeEEEZZNS1_29radix_sort_onesweep_iterationIS3_Lb0EN6thrust23THRUST_200600_302600_NS6detail15normal_iteratorINS9_10device_ptrIyEEEESE_PS5_SF_jNS0_19identity_decomposerENS1_16block_id_wrapperIjLb1EEEEE10hipError_tT1_PNSt15iterator_traitsISK_E10value_typeET2_T3_PNSL_ISQ_E10value_typeET4_T5_PSV_SW_PNS1_23onesweep_lookback_stateEbbT6_jjT7_P12ihipStream_tbENKUlT_T0_SK_SP_E_clISE_SE_SF_SF_EEDaS13_S14_SK_SP_EUlS13_E_NS1_11comp_targetILNS1_3genE2ELNS1_11target_archE906ELNS1_3gpuE6ELNS1_3repE0EEENS1_47radix_sort_onesweep_sort_config_static_selectorELNS0_4arch9wavefront6targetE1EEEvSK_
	.globl	_ZN7rocprim17ROCPRIM_400000_NS6detail17trampoline_kernelINS0_14default_configENS1_35radix_sort_onesweep_config_selectorIyNS0_10empty_typeEEEZZNS1_29radix_sort_onesweep_iterationIS3_Lb0EN6thrust23THRUST_200600_302600_NS6detail15normal_iteratorINS9_10device_ptrIyEEEESE_PS5_SF_jNS0_19identity_decomposerENS1_16block_id_wrapperIjLb1EEEEE10hipError_tT1_PNSt15iterator_traitsISK_E10value_typeET2_T3_PNSL_ISQ_E10value_typeET4_T5_PSV_SW_PNS1_23onesweep_lookback_stateEbbT6_jjT7_P12ihipStream_tbENKUlT_T0_SK_SP_E_clISE_SE_SF_SF_EEDaS13_S14_SK_SP_EUlS13_E_NS1_11comp_targetILNS1_3genE2ELNS1_11target_archE906ELNS1_3gpuE6ELNS1_3repE0EEENS1_47radix_sort_onesweep_sort_config_static_selectorELNS0_4arch9wavefront6targetE1EEEvSK_
	.p2align	8
	.type	_ZN7rocprim17ROCPRIM_400000_NS6detail17trampoline_kernelINS0_14default_configENS1_35radix_sort_onesweep_config_selectorIyNS0_10empty_typeEEEZZNS1_29radix_sort_onesweep_iterationIS3_Lb0EN6thrust23THRUST_200600_302600_NS6detail15normal_iteratorINS9_10device_ptrIyEEEESE_PS5_SF_jNS0_19identity_decomposerENS1_16block_id_wrapperIjLb1EEEEE10hipError_tT1_PNSt15iterator_traitsISK_E10value_typeET2_T3_PNSL_ISQ_E10value_typeET4_T5_PSV_SW_PNS1_23onesweep_lookback_stateEbbT6_jjT7_P12ihipStream_tbENKUlT_T0_SK_SP_E_clISE_SE_SF_SF_EEDaS13_S14_SK_SP_EUlS13_E_NS1_11comp_targetILNS1_3genE2ELNS1_11target_archE906ELNS1_3gpuE6ELNS1_3repE0EEENS1_47radix_sort_onesweep_sort_config_static_selectorELNS0_4arch9wavefront6targetE1EEEvSK_,@function
_ZN7rocprim17ROCPRIM_400000_NS6detail17trampoline_kernelINS0_14default_configENS1_35radix_sort_onesweep_config_selectorIyNS0_10empty_typeEEEZZNS1_29radix_sort_onesweep_iterationIS3_Lb0EN6thrust23THRUST_200600_302600_NS6detail15normal_iteratorINS9_10device_ptrIyEEEESE_PS5_SF_jNS0_19identity_decomposerENS1_16block_id_wrapperIjLb1EEEEE10hipError_tT1_PNSt15iterator_traitsISK_E10value_typeET2_T3_PNSL_ISQ_E10value_typeET4_T5_PSV_SW_PNS1_23onesweep_lookback_stateEbbT6_jjT7_P12ihipStream_tbENKUlT_T0_SK_SP_E_clISE_SE_SF_SF_EEDaS13_S14_SK_SP_EUlS13_E_NS1_11comp_targetILNS1_3genE2ELNS1_11target_archE906ELNS1_3gpuE6ELNS1_3repE0EEENS1_47radix_sort_onesweep_sort_config_static_selectorELNS0_4arch9wavefront6targetE1EEEvSK_: ; @_ZN7rocprim17ROCPRIM_400000_NS6detail17trampoline_kernelINS0_14default_configENS1_35radix_sort_onesweep_config_selectorIyNS0_10empty_typeEEEZZNS1_29radix_sort_onesweep_iterationIS3_Lb0EN6thrust23THRUST_200600_302600_NS6detail15normal_iteratorINS9_10device_ptrIyEEEESE_PS5_SF_jNS0_19identity_decomposerENS1_16block_id_wrapperIjLb1EEEEE10hipError_tT1_PNSt15iterator_traitsISK_E10value_typeET2_T3_PNSL_ISQ_E10value_typeET4_T5_PSV_SW_PNS1_23onesweep_lookback_stateEbbT6_jjT7_P12ihipStream_tbENKUlT_T0_SK_SP_E_clISE_SE_SF_SF_EEDaS13_S14_SK_SP_EUlS13_E_NS1_11comp_targetILNS1_3genE2ELNS1_11target_archE906ELNS1_3gpuE6ELNS1_3repE0EEENS1_47radix_sort_onesweep_sort_config_static_selectorELNS0_4arch9wavefront6targetE1EEEvSK_
; %bb.0:
	.section	.rodata,"a",@progbits
	.p2align	6, 0x0
	.amdhsa_kernel _ZN7rocprim17ROCPRIM_400000_NS6detail17trampoline_kernelINS0_14default_configENS1_35radix_sort_onesweep_config_selectorIyNS0_10empty_typeEEEZZNS1_29radix_sort_onesweep_iterationIS3_Lb0EN6thrust23THRUST_200600_302600_NS6detail15normal_iteratorINS9_10device_ptrIyEEEESE_PS5_SF_jNS0_19identity_decomposerENS1_16block_id_wrapperIjLb1EEEEE10hipError_tT1_PNSt15iterator_traitsISK_E10value_typeET2_T3_PNSL_ISQ_E10value_typeET4_T5_PSV_SW_PNS1_23onesweep_lookback_stateEbbT6_jjT7_P12ihipStream_tbENKUlT_T0_SK_SP_E_clISE_SE_SF_SF_EEDaS13_S14_SK_SP_EUlS13_E_NS1_11comp_targetILNS1_3genE2ELNS1_11target_archE906ELNS1_3gpuE6ELNS1_3repE0EEENS1_47radix_sort_onesweep_sort_config_static_selectorELNS0_4arch9wavefront6targetE1EEEvSK_
		.amdhsa_group_segment_fixed_size 0
		.amdhsa_private_segment_fixed_size 0
		.amdhsa_kernarg_size 88
		.amdhsa_user_sgpr_count 6
		.amdhsa_user_sgpr_private_segment_buffer 1
		.amdhsa_user_sgpr_dispatch_ptr 0
		.amdhsa_user_sgpr_queue_ptr 0
		.amdhsa_user_sgpr_kernarg_segment_ptr 1
		.amdhsa_user_sgpr_dispatch_id 0
		.amdhsa_user_sgpr_flat_scratch_init 0
		.amdhsa_user_sgpr_kernarg_preload_length 0
		.amdhsa_user_sgpr_kernarg_preload_offset 0
		.amdhsa_user_sgpr_private_segment_size 0
		.amdhsa_uses_dynamic_stack 0
		.amdhsa_system_sgpr_private_segment_wavefront_offset 0
		.amdhsa_system_sgpr_workgroup_id_x 1
		.amdhsa_system_sgpr_workgroup_id_y 0
		.amdhsa_system_sgpr_workgroup_id_z 0
		.amdhsa_system_sgpr_workgroup_info 0
		.amdhsa_system_vgpr_workitem_id 0
		.amdhsa_next_free_vgpr 1
		.amdhsa_next_free_sgpr 0
		.amdhsa_accum_offset 4
		.amdhsa_reserve_vcc 0
		.amdhsa_reserve_flat_scratch 0
		.amdhsa_float_round_mode_32 0
		.amdhsa_float_round_mode_16_64 0
		.amdhsa_float_denorm_mode_32 3
		.amdhsa_float_denorm_mode_16_64 3
		.amdhsa_dx10_clamp 1
		.amdhsa_ieee_mode 1
		.amdhsa_fp16_overflow 0
		.amdhsa_tg_split 0
		.amdhsa_exception_fp_ieee_invalid_op 0
		.amdhsa_exception_fp_denorm_src 0
		.amdhsa_exception_fp_ieee_div_zero 0
		.amdhsa_exception_fp_ieee_overflow 0
		.amdhsa_exception_fp_ieee_underflow 0
		.amdhsa_exception_fp_ieee_inexact 0
		.amdhsa_exception_int_div_zero 0
	.end_amdhsa_kernel
	.section	.text._ZN7rocprim17ROCPRIM_400000_NS6detail17trampoline_kernelINS0_14default_configENS1_35radix_sort_onesweep_config_selectorIyNS0_10empty_typeEEEZZNS1_29radix_sort_onesweep_iterationIS3_Lb0EN6thrust23THRUST_200600_302600_NS6detail15normal_iteratorINS9_10device_ptrIyEEEESE_PS5_SF_jNS0_19identity_decomposerENS1_16block_id_wrapperIjLb1EEEEE10hipError_tT1_PNSt15iterator_traitsISK_E10value_typeET2_T3_PNSL_ISQ_E10value_typeET4_T5_PSV_SW_PNS1_23onesweep_lookback_stateEbbT6_jjT7_P12ihipStream_tbENKUlT_T0_SK_SP_E_clISE_SE_SF_SF_EEDaS13_S14_SK_SP_EUlS13_E_NS1_11comp_targetILNS1_3genE2ELNS1_11target_archE906ELNS1_3gpuE6ELNS1_3repE0EEENS1_47radix_sort_onesweep_sort_config_static_selectorELNS0_4arch9wavefront6targetE1EEEvSK_,"axG",@progbits,_ZN7rocprim17ROCPRIM_400000_NS6detail17trampoline_kernelINS0_14default_configENS1_35radix_sort_onesweep_config_selectorIyNS0_10empty_typeEEEZZNS1_29radix_sort_onesweep_iterationIS3_Lb0EN6thrust23THRUST_200600_302600_NS6detail15normal_iteratorINS9_10device_ptrIyEEEESE_PS5_SF_jNS0_19identity_decomposerENS1_16block_id_wrapperIjLb1EEEEE10hipError_tT1_PNSt15iterator_traitsISK_E10value_typeET2_T3_PNSL_ISQ_E10value_typeET4_T5_PSV_SW_PNS1_23onesweep_lookback_stateEbbT6_jjT7_P12ihipStream_tbENKUlT_T0_SK_SP_E_clISE_SE_SF_SF_EEDaS13_S14_SK_SP_EUlS13_E_NS1_11comp_targetILNS1_3genE2ELNS1_11target_archE906ELNS1_3gpuE6ELNS1_3repE0EEENS1_47radix_sort_onesweep_sort_config_static_selectorELNS0_4arch9wavefront6targetE1EEEvSK_,comdat
.Lfunc_end867:
	.size	_ZN7rocprim17ROCPRIM_400000_NS6detail17trampoline_kernelINS0_14default_configENS1_35radix_sort_onesweep_config_selectorIyNS0_10empty_typeEEEZZNS1_29radix_sort_onesweep_iterationIS3_Lb0EN6thrust23THRUST_200600_302600_NS6detail15normal_iteratorINS9_10device_ptrIyEEEESE_PS5_SF_jNS0_19identity_decomposerENS1_16block_id_wrapperIjLb1EEEEE10hipError_tT1_PNSt15iterator_traitsISK_E10value_typeET2_T3_PNSL_ISQ_E10value_typeET4_T5_PSV_SW_PNS1_23onesweep_lookback_stateEbbT6_jjT7_P12ihipStream_tbENKUlT_T0_SK_SP_E_clISE_SE_SF_SF_EEDaS13_S14_SK_SP_EUlS13_E_NS1_11comp_targetILNS1_3genE2ELNS1_11target_archE906ELNS1_3gpuE6ELNS1_3repE0EEENS1_47radix_sort_onesweep_sort_config_static_selectorELNS0_4arch9wavefront6targetE1EEEvSK_, .Lfunc_end867-_ZN7rocprim17ROCPRIM_400000_NS6detail17trampoline_kernelINS0_14default_configENS1_35radix_sort_onesweep_config_selectorIyNS0_10empty_typeEEEZZNS1_29radix_sort_onesweep_iterationIS3_Lb0EN6thrust23THRUST_200600_302600_NS6detail15normal_iteratorINS9_10device_ptrIyEEEESE_PS5_SF_jNS0_19identity_decomposerENS1_16block_id_wrapperIjLb1EEEEE10hipError_tT1_PNSt15iterator_traitsISK_E10value_typeET2_T3_PNSL_ISQ_E10value_typeET4_T5_PSV_SW_PNS1_23onesweep_lookback_stateEbbT6_jjT7_P12ihipStream_tbENKUlT_T0_SK_SP_E_clISE_SE_SF_SF_EEDaS13_S14_SK_SP_EUlS13_E_NS1_11comp_targetILNS1_3genE2ELNS1_11target_archE906ELNS1_3gpuE6ELNS1_3repE0EEENS1_47radix_sort_onesweep_sort_config_static_selectorELNS0_4arch9wavefront6targetE1EEEvSK_
                                        ; -- End function
	.section	.AMDGPU.csdata,"",@progbits
; Kernel info:
; codeLenInByte = 0
; NumSgprs: 4
; NumVgprs: 0
; NumAgprs: 0
; TotalNumVgprs: 0
; ScratchSize: 0
; MemoryBound: 0
; FloatMode: 240
; IeeeMode: 1
; LDSByteSize: 0 bytes/workgroup (compile time only)
; SGPRBlocks: 0
; VGPRBlocks: 0
; NumSGPRsForWavesPerEU: 4
; NumVGPRsForWavesPerEU: 1
; AccumOffset: 4
; Occupancy: 8
; WaveLimiterHint : 0
; COMPUTE_PGM_RSRC2:SCRATCH_EN: 0
; COMPUTE_PGM_RSRC2:USER_SGPR: 6
; COMPUTE_PGM_RSRC2:TRAP_HANDLER: 0
; COMPUTE_PGM_RSRC2:TGID_X_EN: 1
; COMPUTE_PGM_RSRC2:TGID_Y_EN: 0
; COMPUTE_PGM_RSRC2:TGID_Z_EN: 0
; COMPUTE_PGM_RSRC2:TIDIG_COMP_CNT: 0
; COMPUTE_PGM_RSRC3_GFX90A:ACCUM_OFFSET: 0
; COMPUTE_PGM_RSRC3_GFX90A:TG_SPLIT: 0
	.section	.text._ZN7rocprim17ROCPRIM_400000_NS6detail17trampoline_kernelINS0_14default_configENS1_35radix_sort_onesweep_config_selectorIyNS0_10empty_typeEEEZZNS1_29radix_sort_onesweep_iterationIS3_Lb0EN6thrust23THRUST_200600_302600_NS6detail15normal_iteratorINS9_10device_ptrIyEEEESE_PS5_SF_jNS0_19identity_decomposerENS1_16block_id_wrapperIjLb1EEEEE10hipError_tT1_PNSt15iterator_traitsISK_E10value_typeET2_T3_PNSL_ISQ_E10value_typeET4_T5_PSV_SW_PNS1_23onesweep_lookback_stateEbbT6_jjT7_P12ihipStream_tbENKUlT_T0_SK_SP_E_clISE_SE_SF_SF_EEDaS13_S14_SK_SP_EUlS13_E_NS1_11comp_targetILNS1_3genE4ELNS1_11target_archE910ELNS1_3gpuE8ELNS1_3repE0EEENS1_47radix_sort_onesweep_sort_config_static_selectorELNS0_4arch9wavefront6targetE1EEEvSK_,"axG",@progbits,_ZN7rocprim17ROCPRIM_400000_NS6detail17trampoline_kernelINS0_14default_configENS1_35radix_sort_onesweep_config_selectorIyNS0_10empty_typeEEEZZNS1_29radix_sort_onesweep_iterationIS3_Lb0EN6thrust23THRUST_200600_302600_NS6detail15normal_iteratorINS9_10device_ptrIyEEEESE_PS5_SF_jNS0_19identity_decomposerENS1_16block_id_wrapperIjLb1EEEEE10hipError_tT1_PNSt15iterator_traitsISK_E10value_typeET2_T3_PNSL_ISQ_E10value_typeET4_T5_PSV_SW_PNS1_23onesweep_lookback_stateEbbT6_jjT7_P12ihipStream_tbENKUlT_T0_SK_SP_E_clISE_SE_SF_SF_EEDaS13_S14_SK_SP_EUlS13_E_NS1_11comp_targetILNS1_3genE4ELNS1_11target_archE910ELNS1_3gpuE8ELNS1_3repE0EEENS1_47radix_sort_onesweep_sort_config_static_selectorELNS0_4arch9wavefront6targetE1EEEvSK_,comdat
	.protected	_ZN7rocprim17ROCPRIM_400000_NS6detail17trampoline_kernelINS0_14default_configENS1_35radix_sort_onesweep_config_selectorIyNS0_10empty_typeEEEZZNS1_29radix_sort_onesweep_iterationIS3_Lb0EN6thrust23THRUST_200600_302600_NS6detail15normal_iteratorINS9_10device_ptrIyEEEESE_PS5_SF_jNS0_19identity_decomposerENS1_16block_id_wrapperIjLb1EEEEE10hipError_tT1_PNSt15iterator_traitsISK_E10value_typeET2_T3_PNSL_ISQ_E10value_typeET4_T5_PSV_SW_PNS1_23onesweep_lookback_stateEbbT6_jjT7_P12ihipStream_tbENKUlT_T0_SK_SP_E_clISE_SE_SF_SF_EEDaS13_S14_SK_SP_EUlS13_E_NS1_11comp_targetILNS1_3genE4ELNS1_11target_archE910ELNS1_3gpuE8ELNS1_3repE0EEENS1_47radix_sort_onesweep_sort_config_static_selectorELNS0_4arch9wavefront6targetE1EEEvSK_ ; -- Begin function _ZN7rocprim17ROCPRIM_400000_NS6detail17trampoline_kernelINS0_14default_configENS1_35radix_sort_onesweep_config_selectorIyNS0_10empty_typeEEEZZNS1_29radix_sort_onesweep_iterationIS3_Lb0EN6thrust23THRUST_200600_302600_NS6detail15normal_iteratorINS9_10device_ptrIyEEEESE_PS5_SF_jNS0_19identity_decomposerENS1_16block_id_wrapperIjLb1EEEEE10hipError_tT1_PNSt15iterator_traitsISK_E10value_typeET2_T3_PNSL_ISQ_E10value_typeET4_T5_PSV_SW_PNS1_23onesweep_lookback_stateEbbT6_jjT7_P12ihipStream_tbENKUlT_T0_SK_SP_E_clISE_SE_SF_SF_EEDaS13_S14_SK_SP_EUlS13_E_NS1_11comp_targetILNS1_3genE4ELNS1_11target_archE910ELNS1_3gpuE8ELNS1_3repE0EEENS1_47radix_sort_onesweep_sort_config_static_selectorELNS0_4arch9wavefront6targetE1EEEvSK_
	.globl	_ZN7rocprim17ROCPRIM_400000_NS6detail17trampoline_kernelINS0_14default_configENS1_35radix_sort_onesweep_config_selectorIyNS0_10empty_typeEEEZZNS1_29radix_sort_onesweep_iterationIS3_Lb0EN6thrust23THRUST_200600_302600_NS6detail15normal_iteratorINS9_10device_ptrIyEEEESE_PS5_SF_jNS0_19identity_decomposerENS1_16block_id_wrapperIjLb1EEEEE10hipError_tT1_PNSt15iterator_traitsISK_E10value_typeET2_T3_PNSL_ISQ_E10value_typeET4_T5_PSV_SW_PNS1_23onesweep_lookback_stateEbbT6_jjT7_P12ihipStream_tbENKUlT_T0_SK_SP_E_clISE_SE_SF_SF_EEDaS13_S14_SK_SP_EUlS13_E_NS1_11comp_targetILNS1_3genE4ELNS1_11target_archE910ELNS1_3gpuE8ELNS1_3repE0EEENS1_47radix_sort_onesweep_sort_config_static_selectorELNS0_4arch9wavefront6targetE1EEEvSK_
	.p2align	8
	.type	_ZN7rocprim17ROCPRIM_400000_NS6detail17trampoline_kernelINS0_14default_configENS1_35radix_sort_onesweep_config_selectorIyNS0_10empty_typeEEEZZNS1_29radix_sort_onesweep_iterationIS3_Lb0EN6thrust23THRUST_200600_302600_NS6detail15normal_iteratorINS9_10device_ptrIyEEEESE_PS5_SF_jNS0_19identity_decomposerENS1_16block_id_wrapperIjLb1EEEEE10hipError_tT1_PNSt15iterator_traitsISK_E10value_typeET2_T3_PNSL_ISQ_E10value_typeET4_T5_PSV_SW_PNS1_23onesweep_lookback_stateEbbT6_jjT7_P12ihipStream_tbENKUlT_T0_SK_SP_E_clISE_SE_SF_SF_EEDaS13_S14_SK_SP_EUlS13_E_NS1_11comp_targetILNS1_3genE4ELNS1_11target_archE910ELNS1_3gpuE8ELNS1_3repE0EEENS1_47radix_sort_onesweep_sort_config_static_selectorELNS0_4arch9wavefront6targetE1EEEvSK_,@function
_ZN7rocprim17ROCPRIM_400000_NS6detail17trampoline_kernelINS0_14default_configENS1_35radix_sort_onesweep_config_selectorIyNS0_10empty_typeEEEZZNS1_29radix_sort_onesweep_iterationIS3_Lb0EN6thrust23THRUST_200600_302600_NS6detail15normal_iteratorINS9_10device_ptrIyEEEESE_PS5_SF_jNS0_19identity_decomposerENS1_16block_id_wrapperIjLb1EEEEE10hipError_tT1_PNSt15iterator_traitsISK_E10value_typeET2_T3_PNSL_ISQ_E10value_typeET4_T5_PSV_SW_PNS1_23onesweep_lookback_stateEbbT6_jjT7_P12ihipStream_tbENKUlT_T0_SK_SP_E_clISE_SE_SF_SF_EEDaS13_S14_SK_SP_EUlS13_E_NS1_11comp_targetILNS1_3genE4ELNS1_11target_archE910ELNS1_3gpuE8ELNS1_3repE0EEENS1_47radix_sort_onesweep_sort_config_static_selectorELNS0_4arch9wavefront6targetE1EEEvSK_: ; @_ZN7rocprim17ROCPRIM_400000_NS6detail17trampoline_kernelINS0_14default_configENS1_35radix_sort_onesweep_config_selectorIyNS0_10empty_typeEEEZZNS1_29radix_sort_onesweep_iterationIS3_Lb0EN6thrust23THRUST_200600_302600_NS6detail15normal_iteratorINS9_10device_ptrIyEEEESE_PS5_SF_jNS0_19identity_decomposerENS1_16block_id_wrapperIjLb1EEEEE10hipError_tT1_PNSt15iterator_traitsISK_E10value_typeET2_T3_PNSL_ISQ_E10value_typeET4_T5_PSV_SW_PNS1_23onesweep_lookback_stateEbbT6_jjT7_P12ihipStream_tbENKUlT_T0_SK_SP_E_clISE_SE_SF_SF_EEDaS13_S14_SK_SP_EUlS13_E_NS1_11comp_targetILNS1_3genE4ELNS1_11target_archE910ELNS1_3gpuE8ELNS1_3repE0EEENS1_47radix_sort_onesweep_sort_config_static_selectorELNS0_4arch9wavefront6targetE1EEEvSK_
; %bb.0:
	s_load_dwordx4 s[16:19], s[4:5], 0x28
	s_load_dwordx2 s[14:15], s[4:5], 0x38
	s_load_dwordx4 s[20:23], s[4:5], 0x44
	v_and_b32_e32 v2, 0x3ff, v0
	v_cmp_eq_u32_e64 s[0:1], 0, v2
	s_and_saveexec_b64 s[2:3], s[0:1]
	s_cbranch_execz .LBB868_4
; %bb.1:
	s_mov_b64 s[10:11], exec
	v_mbcnt_lo_u32_b32 v1, s10, 0
	v_mbcnt_hi_u32_b32 v1, s11, v1
	v_cmp_eq_u32_e32 vcc, 0, v1
                                        ; implicit-def: $vgpr3
	s_and_saveexec_b64 s[8:9], vcc
	s_cbranch_execz .LBB868_3
; %bb.2:
	s_load_dwordx2 s[12:13], s[4:5], 0x50
	s_bcnt1_i32_b64 s7, s[10:11]
	v_mov_b32_e32 v3, 0
	v_mov_b32_e32 v4, s7
	s_waitcnt lgkmcnt(0)
	global_atomic_add v3, v3, v4, s[12:13] glc
.LBB868_3:
	s_or_b64 exec, exec, s[8:9]
	s_waitcnt vmcnt(0)
	v_readfirstlane_b32 s7, v3
	v_add_u32_e32 v1, s7, v1
	v_mov_b32_e32 v3, 0
	ds_write_b32 v3, v1 offset:20544
.LBB868_4:
	s_or_b64 exec, exec, s[2:3]
	v_mov_b32_e32 v1, 0
	s_load_dwordx4 s[24:27], s[4:5], 0x0
	s_load_dword s2, s[4:5], 0x20
	s_waitcnt lgkmcnt(0)
	s_barrier
	ds_read_b32 v1, v1 offset:20544
	v_lshlrev_b32_e32 v3, 3, v2
	s_waitcnt lgkmcnt(0)
	s_barrier
	v_cmp_le_u32_e32 vcc, s22, v1
	v_readfirstlane_b32 s28, v1
	v_mbcnt_lo_u32_b32 v1, -1, 0
	s_cbranch_vccz .LBB868_63
; %bb.5:
	s_lshl_b32 s3, s22, 13
	s_sub_i32 s7, s2, s3
	s_lshl_b32 s2, s28, 13
	s_mov_b32 s3, 0
	s_lshl_b64 s[2:3], s[2:3], 3
	v_mbcnt_hi_u32_b32 v24, -1, v1
	s_add_u32 s2, s24, s2
	v_and_b32_e32 v4, 63, v24
	s_addc_u32 s3, s25, s3
	v_lshlrev_b32_e32 v6, 3, v4
	v_and_b32_e32 v5, 0x1e00, v3
	v_mov_b32_e32 v7, s3
	v_add_co_u32_e32 v6, vcc, s2, v6
	v_addc_co_u32_e32 v7, vcc, 0, v7, vcc
	v_lshlrev_b32_e32 v8, 3, v5
	v_add_co_u32_e32 v20, vcc, v6, v8
	v_addc_co_u32_e32 v21, vcc, 0, v7, vcc
	v_or_b32_e32 v22, v4, v5
	v_pk_mov_b32 v[4:5], -1, -1
	v_cmp_gt_u32_e32 vcc, s7, v22
	v_pk_mov_b32 v[6:7], v[4:5], v[4:5] op_sel:[0,1]
	s_and_saveexec_b64 s[2:3], vcc
	s_cbranch_execz .LBB868_7
; %bb.6:
	global_load_dwordx2 v[6:7], v[20:21], off
.LBB868_7:
	s_or_b64 exec, exec, s[2:3]
	v_or_b32_e32 v8, 64, v22
	v_cmp_gt_u32_e32 vcc, s7, v8
	s_and_saveexec_b64 s[2:3], vcc
	s_cbranch_execz .LBB868_9
; %bb.8:
	global_load_dwordx2 v[4:5], v[20:21], off offset:512
.LBB868_9:
	s_or_b64 exec, exec, s[2:3]
	v_or_b32_e32 v8, 0x80, v22
	v_cmp_gt_u32_e32 vcc, s7, v8
	v_pk_mov_b32 v[8:9], -1, -1
	v_pk_mov_b32 v[10:11], v[8:9], v[8:9] op_sel:[0,1]
	s_and_saveexec_b64 s[2:3], vcc
	s_cbranch_execz .LBB868_11
; %bb.10:
	global_load_dwordx2 v[10:11], v[20:21], off offset:1024
.LBB868_11:
	s_or_b64 exec, exec, s[2:3]
	v_or_b32_e32 v12, 0xc0, v22
	v_cmp_gt_u32_e32 vcc, s7, v12
	s_and_saveexec_b64 s[2:3], vcc
	s_cbranch_execz .LBB868_13
; %bb.12:
	global_load_dwordx2 v[8:9], v[20:21], off offset:1536
.LBB868_13:
	s_or_b64 exec, exec, s[2:3]
	v_or_b32_e32 v12, 0x100, v22
	v_cmp_gt_u32_e32 vcc, s7, v12
	v_pk_mov_b32 v[12:13], -1, -1
	v_pk_mov_b32 v[14:15], v[12:13], v[12:13] op_sel:[0,1]
	s_and_saveexec_b64 s[2:3], vcc
	s_cbranch_execz .LBB868_15
; %bb.14:
	global_load_dwordx2 v[14:15], v[20:21], off offset:2048
.LBB868_15:
	;; [unrolled: 18-line block ×3, first 2 shown]
	s_or_b64 exec, exec, s[2:3]
	v_or_b32_e32 v22, 0x1c0, v22
	v_cmp_gt_u32_e32 vcc, s7, v22
	s_and_saveexec_b64 s[2:3], vcc
	s_cbranch_execz .LBB868_21
; %bb.20:
	global_load_dwordx2 v[16:17], v[20:21], off offset:3584
.LBB868_21:
	s_or_b64 exec, exec, s[2:3]
	s_load_dword s2, s[4:5], 0x64
	s_load_dword s29, s[4:5], 0x58
	s_add_u32 s3, s4, 0x58
	s_addc_u32 s8, s5, 0
	v_mov_b32_e32 v20, 0
	s_waitcnt lgkmcnt(0)
	s_lshr_b32 s9, s2, 16
	s_cmp_lt_u32 s6, s29
	s_cselect_b32 s2, 12, 18
	s_add_u32 s2, s3, s2
	s_addc_u32 s3, s8, 0
	global_load_ushort v26, v20, s[2:3]
	s_lshl_b32 s2, -1, s21
	s_waitcnt vmcnt(1)
	v_lshrrev_b64 v[22:23], s20, v[6:7]
	s_not_b32 s30, s2
	v_and_b32_e32 v22, s30, v22
	v_and_b32_e32 v28, 1, v22
	v_bfe_u32 v21, v0, 10, 10
	v_bfe_u32 v27, v0, 20, 10
	v_add_co_u32_e32 v29, vcc, -1, v28
	v_mad_u32_u24 v23, v27, s9, v21
	v_lshlrev_b32_e32 v21, 30, v22
	v_addc_co_u32_e64 v30, s[2:3], 0, -1, vcc
	v_cmp_ne_u32_e32 vcc, 0, v28
	v_cmp_gt_i64_e64 s[2:3], 0, v[20:21]
	v_not_b32_e32 v28, v21
	v_lshlrev_b32_e32 v21, 29, v22
	v_xor_b32_e32 v30, vcc_hi, v30
	v_xor_b32_e32 v29, vcc_lo, v29
	v_ashrrev_i32_e32 v28, 31, v28
	v_cmp_gt_i64_e32 vcc, 0, v[20:21]
	v_not_b32_e32 v31, v21
	v_lshlrev_b32_e32 v21, 28, v22
	v_and_b32_e32 v30, exec_hi, v30
	v_and_b32_e32 v29, exec_lo, v29
	v_xor_b32_e32 v32, s3, v28
	v_xor_b32_e32 v28, s2, v28
	v_ashrrev_i32_e32 v31, 31, v31
	v_cmp_gt_i64_e64 s[2:3], 0, v[20:21]
	v_not_b32_e32 v33, v21
	v_lshlrev_b32_e32 v21, 27, v22
	v_and_b32_e32 v30, v30, v32
	v_and_b32_e32 v28, v29, v28
	v_xor_b32_e32 v29, vcc_hi, v31
	v_xor_b32_e32 v31, vcc_lo, v31
	v_ashrrev_i32_e32 v32, 31, v33
	v_cmp_gt_i64_e32 vcc, 0, v[20:21]
	v_not_b32_e32 v33, v21
	v_lshlrev_b32_e32 v21, 26, v22
	v_and_b32_e32 v29, v30, v29
	v_and_b32_e32 v28, v28, v31
	v_xor_b32_e32 v30, s3, v32
	v_xor_b32_e32 v31, s2, v32
	v_ashrrev_i32_e32 v32, 31, v33
	v_cmp_gt_i64_e64 s[2:3], 0, v[20:21]
	v_not_b32_e32 v33, v21
	v_lshlrev_b32_e32 v21, 25, v22
	v_and_b32_e32 v29, v29, v30
	v_and_b32_e32 v28, v28, v31
	v_xor_b32_e32 v30, vcc_hi, v32
	v_xor_b32_e32 v31, vcc_lo, v32
	v_ashrrev_i32_e32 v32, 31, v33
	v_not_b32_e32 v33, v21
	v_lshl_add_u32 v27, v22, 4, v22
	v_cmp_gt_i64_e32 vcc, 0, v[20:21]
	v_lshlrev_b32_e32 v21, 24, v22
	v_and_b32_e32 v22, v29, v30
	v_and_b32_e32 v28, v28, v31
	v_xor_b32_e32 v29, s3, v32
	v_ashrrev_i32_e32 v31, 31, v33
	v_xor_b32_e32 v30, s2, v32
	v_cmp_gt_i64_e64 s[2:3], 0, v[20:21]
	v_not_b32_e32 v21, v21
	v_and_b32_e32 v22, v22, v29
	v_xor_b32_e32 v29, vcc_hi, v31
	v_and_b32_e32 v28, v28, v30
	v_xor_b32_e32 v30, vcc_lo, v31
	v_ashrrev_i32_e32 v21, 31, v21
	v_and_b32_e32 v29, v22, v29
	v_and_b32_e32 v28, v28, v30
	v_mul_u32_u24_e32 v25, 5, v2
	v_lshlrev_b32_e32 v25, 2, v25
	ds_write2_b32 v25, v20, v20 offset0:16 offset1:17
	ds_write2_b32 v25, v20, v20 offset0:18 offset1:19
	ds_write_b32 v25, v20 offset:80
	s_waitcnt lgkmcnt(0)
	s_barrier
	s_waitcnt lgkmcnt(0)
	; wave barrier
	s_waitcnt vmcnt(0)
	v_mad_u64_u32 v[22:23], s[8:9], v23, v26, v[2:3]
	v_lshrrev_b32_e32 v37, 6, v22
	v_xor_b32_e32 v22, s3, v21
	v_xor_b32_e32 v21, s2, v21
	v_and_b32_e32 v23, v29, v22
	v_and_b32_e32 v22, v28, v21
	v_mbcnt_lo_u32_b32 v21, v22, 0
	v_mbcnt_hi_u32_b32 v26, v23, v21
	v_cmp_eq_u32_e32 vcc, 0, v26
	v_cmp_ne_u64_e64 s[2:3], 0, v[22:23]
	v_add_lshl_u32 v30, v37, v27, 2
	s_and_b64 s[8:9], s[2:3], vcc
	s_and_saveexec_b64 s[2:3], s[8:9]
	s_cbranch_execz .LBB868_23
; %bb.22:
	v_bcnt_u32_b32 v21, v22, 0
	v_bcnt_u32_b32 v21, v23, v21
	ds_write_b32 v30, v21 offset:64
.LBB868_23:
	s_or_b64 exec, exec, s[2:3]
	v_lshrrev_b64 v[22:23], s20, v[4:5]
	v_and_b32_e32 v22, s30, v22
	v_lshl_add_u32 v21, v22, 4, v22
	v_add_lshl_u32 v31, v37, v21, 2
	v_and_b32_e32 v21, 1, v22
	v_add_co_u32_e32 v23, vcc, -1, v21
	v_addc_co_u32_e64 v28, s[2:3], 0, -1, vcc
	v_cmp_ne_u32_e32 vcc, 0, v21
	v_xor_b32_e32 v21, vcc_hi, v28
	v_and_b32_e32 v28, exec_hi, v21
	v_lshlrev_b32_e32 v21, 30, v22
	v_xor_b32_e32 v23, vcc_lo, v23
	v_cmp_gt_i64_e32 vcc, 0, v[20:21]
	v_not_b32_e32 v21, v21
	v_ashrrev_i32_e32 v21, 31, v21
	v_and_b32_e32 v23, exec_lo, v23
	v_xor_b32_e32 v29, vcc_hi, v21
	v_xor_b32_e32 v21, vcc_lo, v21
	v_and_b32_e32 v23, v23, v21
	v_lshlrev_b32_e32 v21, 29, v22
	v_cmp_gt_i64_e32 vcc, 0, v[20:21]
	v_not_b32_e32 v21, v21
	v_ashrrev_i32_e32 v21, 31, v21
	v_and_b32_e32 v28, v28, v29
	v_xor_b32_e32 v29, vcc_hi, v21
	v_xor_b32_e32 v21, vcc_lo, v21
	v_and_b32_e32 v23, v23, v21
	v_lshlrev_b32_e32 v21, 28, v22
	v_cmp_gt_i64_e32 vcc, 0, v[20:21]
	v_not_b32_e32 v21, v21
	v_ashrrev_i32_e32 v21, 31, v21
	v_and_b32_e32 v28, v28, v29
	;; [unrolled: 8-line block ×5, first 2 shown]
	v_xor_b32_e32 v29, vcc_hi, v21
	v_xor_b32_e32 v21, vcc_lo, v21
	v_and_b32_e32 v23, v23, v21
	v_lshlrev_b32_e32 v21, 24, v22
	v_cmp_gt_i64_e32 vcc, 0, v[20:21]
	v_not_b32_e32 v20, v21
	v_ashrrev_i32_e32 v20, 31, v20
	v_xor_b32_e32 v21, vcc_hi, v20
	v_xor_b32_e32 v20, vcc_lo, v20
	; wave barrier
	ds_read_b32 v27, v31 offset:64
	v_and_b32_e32 v28, v28, v29
	v_and_b32_e32 v20, v23, v20
	;; [unrolled: 1-line block ×3, first 2 shown]
	v_mbcnt_lo_u32_b32 v22, v20, 0
	v_mbcnt_hi_u32_b32 v28, v21, v22
	v_cmp_eq_u32_e32 vcc, 0, v28
	v_cmp_ne_u64_e64 s[2:3], 0, v[20:21]
	s_and_b64 s[8:9], s[2:3], vcc
	; wave barrier
	s_and_saveexec_b64 s[2:3], s[8:9]
	s_cbranch_execz .LBB868_25
; %bb.24:
	v_bcnt_u32_b32 v20, v20, 0
	v_bcnt_u32_b32 v20, v21, v20
	s_waitcnt lgkmcnt(0)
	v_add_u32_e32 v20, v27, v20
	ds_write_b32 v31, v20 offset:64
.LBB868_25:
	s_or_b64 exec, exec, s[2:3]
	v_lshrrev_b64 v[20:21], s20, v[10:11]
	v_and_b32_e32 v22, s30, v20
	v_and_b32_e32 v21, 1, v22
	v_add_co_u32_e32 v23, vcc, -1, v21
	v_addc_co_u32_e64 v32, s[2:3], 0, -1, vcc
	v_cmp_ne_u32_e32 vcc, 0, v21
	v_lshl_add_u32 v20, v22, 4, v22
	v_xor_b32_e32 v21, vcc_hi, v32
	v_add_lshl_u32 v34, v37, v20, 2
	v_mov_b32_e32 v20, 0
	v_and_b32_e32 v32, exec_hi, v21
	v_lshlrev_b32_e32 v21, 30, v22
	v_xor_b32_e32 v23, vcc_lo, v23
	v_cmp_gt_i64_e32 vcc, 0, v[20:21]
	v_not_b32_e32 v21, v21
	v_ashrrev_i32_e32 v21, 31, v21
	v_and_b32_e32 v23, exec_lo, v23
	v_xor_b32_e32 v33, vcc_hi, v21
	v_xor_b32_e32 v21, vcc_lo, v21
	v_and_b32_e32 v23, v23, v21
	v_lshlrev_b32_e32 v21, 29, v22
	v_cmp_gt_i64_e32 vcc, 0, v[20:21]
	v_not_b32_e32 v21, v21
	v_ashrrev_i32_e32 v21, 31, v21
	v_and_b32_e32 v32, v32, v33
	v_xor_b32_e32 v33, vcc_hi, v21
	v_xor_b32_e32 v21, vcc_lo, v21
	v_and_b32_e32 v23, v23, v21
	v_lshlrev_b32_e32 v21, 28, v22
	v_cmp_gt_i64_e32 vcc, 0, v[20:21]
	v_not_b32_e32 v21, v21
	v_ashrrev_i32_e32 v21, 31, v21
	v_and_b32_e32 v32, v32, v33
	;; [unrolled: 8-line block ×5, first 2 shown]
	v_xor_b32_e32 v33, vcc_hi, v21
	v_xor_b32_e32 v21, vcc_lo, v21
	v_and_b32_e32 v32, v32, v33
	v_and_b32_e32 v33, v23, v21
	v_lshlrev_b32_e32 v21, 24, v22
	v_cmp_gt_i64_e32 vcc, 0, v[20:21]
	v_not_b32_e32 v21, v21
	v_ashrrev_i32_e32 v21, 31, v21
	v_xor_b32_e32 v22, vcc_hi, v21
	v_xor_b32_e32 v21, vcc_lo, v21
	; wave barrier
	ds_read_b32 v29, v34 offset:64
	v_and_b32_e32 v23, v32, v22
	v_and_b32_e32 v22, v33, v21
	v_mbcnt_lo_u32_b32 v21, v22, 0
	v_mbcnt_hi_u32_b32 v32, v23, v21
	v_cmp_eq_u32_e32 vcc, 0, v32
	v_cmp_ne_u64_e64 s[2:3], 0, v[22:23]
	s_and_b64 s[8:9], s[2:3], vcc
	; wave barrier
	s_and_saveexec_b64 s[2:3], s[8:9]
	s_cbranch_execz .LBB868_27
; %bb.26:
	v_bcnt_u32_b32 v21, v22, 0
	v_bcnt_u32_b32 v21, v23, v21
	s_waitcnt lgkmcnt(0)
	v_add_u32_e32 v21, v29, v21
	ds_write_b32 v34, v21 offset:64
.LBB868_27:
	s_or_b64 exec, exec, s[2:3]
	v_lshrrev_b64 v[22:23], s20, v[8:9]
	v_and_b32_e32 v22, s30, v22
	v_lshl_add_u32 v21, v22, 4, v22
	v_add_lshl_u32 v38, v37, v21, 2
	v_and_b32_e32 v21, 1, v22
	v_add_co_u32_e32 v23, vcc, -1, v21
	v_addc_co_u32_e64 v35, s[2:3], 0, -1, vcc
	v_cmp_ne_u32_e32 vcc, 0, v21
	v_xor_b32_e32 v21, vcc_hi, v35
	v_and_b32_e32 v35, exec_hi, v21
	v_lshlrev_b32_e32 v21, 30, v22
	v_xor_b32_e32 v23, vcc_lo, v23
	v_cmp_gt_i64_e32 vcc, 0, v[20:21]
	v_not_b32_e32 v21, v21
	v_ashrrev_i32_e32 v21, 31, v21
	v_and_b32_e32 v23, exec_lo, v23
	v_xor_b32_e32 v36, vcc_hi, v21
	v_xor_b32_e32 v21, vcc_lo, v21
	v_and_b32_e32 v23, v23, v21
	v_lshlrev_b32_e32 v21, 29, v22
	v_cmp_gt_i64_e32 vcc, 0, v[20:21]
	v_not_b32_e32 v21, v21
	v_ashrrev_i32_e32 v21, 31, v21
	v_and_b32_e32 v35, v35, v36
	v_xor_b32_e32 v36, vcc_hi, v21
	v_xor_b32_e32 v21, vcc_lo, v21
	v_and_b32_e32 v23, v23, v21
	v_lshlrev_b32_e32 v21, 28, v22
	v_cmp_gt_i64_e32 vcc, 0, v[20:21]
	v_not_b32_e32 v21, v21
	v_ashrrev_i32_e32 v21, 31, v21
	v_and_b32_e32 v35, v35, v36
	;; [unrolled: 8-line block ×5, first 2 shown]
	v_xor_b32_e32 v36, vcc_hi, v21
	v_xor_b32_e32 v21, vcc_lo, v21
	v_and_b32_e32 v23, v23, v21
	v_lshlrev_b32_e32 v21, 24, v22
	v_cmp_gt_i64_e32 vcc, 0, v[20:21]
	v_not_b32_e32 v20, v21
	v_ashrrev_i32_e32 v20, 31, v20
	v_xor_b32_e32 v21, vcc_hi, v20
	v_xor_b32_e32 v20, vcc_lo, v20
	; wave barrier
	ds_read_b32 v33, v38 offset:64
	v_and_b32_e32 v35, v35, v36
	v_and_b32_e32 v20, v23, v20
	;; [unrolled: 1-line block ×3, first 2 shown]
	v_mbcnt_lo_u32_b32 v22, v20, 0
	v_mbcnt_hi_u32_b32 v35, v21, v22
	v_cmp_eq_u32_e32 vcc, 0, v35
	v_cmp_ne_u64_e64 s[2:3], 0, v[20:21]
	s_and_b64 s[8:9], s[2:3], vcc
	; wave barrier
	s_and_saveexec_b64 s[2:3], s[8:9]
	s_cbranch_execz .LBB868_29
; %bb.28:
	v_bcnt_u32_b32 v20, v20, 0
	v_bcnt_u32_b32 v20, v21, v20
	s_waitcnt lgkmcnt(0)
	v_add_u32_e32 v20, v33, v20
	ds_write_b32 v38, v20 offset:64
.LBB868_29:
	s_or_b64 exec, exec, s[2:3]
	v_lshrrev_b64 v[20:21], s20, v[14:15]
	v_and_b32_e32 v22, s30, v20
	v_and_b32_e32 v21, 1, v22
	v_add_co_u32_e32 v23, vcc, -1, v21
	v_addc_co_u32_e64 v39, s[2:3], 0, -1, vcc
	v_cmp_ne_u32_e32 vcc, 0, v21
	v_lshl_add_u32 v20, v22, 4, v22
	v_xor_b32_e32 v21, vcc_hi, v39
	v_add_lshl_u32 v41, v37, v20, 2
	v_mov_b32_e32 v20, 0
	v_and_b32_e32 v39, exec_hi, v21
	v_lshlrev_b32_e32 v21, 30, v22
	v_xor_b32_e32 v23, vcc_lo, v23
	v_cmp_gt_i64_e32 vcc, 0, v[20:21]
	v_not_b32_e32 v21, v21
	v_ashrrev_i32_e32 v21, 31, v21
	v_and_b32_e32 v23, exec_lo, v23
	v_xor_b32_e32 v40, vcc_hi, v21
	v_xor_b32_e32 v21, vcc_lo, v21
	v_and_b32_e32 v23, v23, v21
	v_lshlrev_b32_e32 v21, 29, v22
	v_cmp_gt_i64_e32 vcc, 0, v[20:21]
	v_not_b32_e32 v21, v21
	v_ashrrev_i32_e32 v21, 31, v21
	v_and_b32_e32 v39, v39, v40
	v_xor_b32_e32 v40, vcc_hi, v21
	v_xor_b32_e32 v21, vcc_lo, v21
	v_and_b32_e32 v23, v23, v21
	v_lshlrev_b32_e32 v21, 28, v22
	v_cmp_gt_i64_e32 vcc, 0, v[20:21]
	v_not_b32_e32 v21, v21
	v_ashrrev_i32_e32 v21, 31, v21
	v_and_b32_e32 v39, v39, v40
	v_xor_b32_e32 v40, vcc_hi, v21
	v_xor_b32_e32 v21, vcc_lo, v21
	v_and_b32_e32 v23, v23, v21
	v_lshlrev_b32_e32 v21, 27, v22
	v_cmp_gt_i64_e32 vcc, 0, v[20:21]
	v_not_b32_e32 v21, v21
	v_ashrrev_i32_e32 v21, 31, v21
	v_and_b32_e32 v39, v39, v40
	v_xor_b32_e32 v40, vcc_hi, v21
	v_xor_b32_e32 v21, vcc_lo, v21
	v_and_b32_e32 v23, v23, v21
	v_lshlrev_b32_e32 v21, 26, v22
	v_cmp_gt_i64_e32 vcc, 0, v[20:21]
	v_not_b32_e32 v21, v21
	v_ashrrev_i32_e32 v21, 31, v21
	v_and_b32_e32 v39, v39, v40
	v_xor_b32_e32 v40, vcc_hi, v21
	v_xor_b32_e32 v21, vcc_lo, v21
	v_and_b32_e32 v23, v23, v21
	v_lshlrev_b32_e32 v21, 25, v22
	v_cmp_gt_i64_e32 vcc, 0, v[20:21]
	v_not_b32_e32 v21, v21
	v_ashrrev_i32_e32 v21, 31, v21
	v_and_b32_e32 v39, v39, v40
	v_xor_b32_e32 v40, vcc_hi, v21
	v_xor_b32_e32 v21, vcc_lo, v21
	v_and_b32_e32 v39, v39, v40
	v_and_b32_e32 v40, v23, v21
	v_lshlrev_b32_e32 v21, 24, v22
	v_cmp_gt_i64_e32 vcc, 0, v[20:21]
	v_not_b32_e32 v21, v21
	v_ashrrev_i32_e32 v21, 31, v21
	v_xor_b32_e32 v22, vcc_hi, v21
	v_xor_b32_e32 v21, vcc_lo, v21
	; wave barrier
	ds_read_b32 v36, v41 offset:64
	v_and_b32_e32 v23, v39, v22
	v_and_b32_e32 v22, v40, v21
	v_mbcnt_lo_u32_b32 v21, v22, 0
	v_mbcnt_hi_u32_b32 v39, v23, v21
	v_cmp_eq_u32_e32 vcc, 0, v39
	v_cmp_ne_u64_e64 s[2:3], 0, v[22:23]
	s_and_b64 s[8:9], s[2:3], vcc
	; wave barrier
	s_and_saveexec_b64 s[2:3], s[8:9]
	s_cbranch_execz .LBB868_31
; %bb.30:
	v_bcnt_u32_b32 v21, v22, 0
	v_bcnt_u32_b32 v21, v23, v21
	s_waitcnt lgkmcnt(0)
	v_add_u32_e32 v21, v36, v21
	ds_write_b32 v41, v21 offset:64
.LBB868_31:
	s_or_b64 exec, exec, s[2:3]
	v_lshrrev_b64 v[22:23], s20, v[12:13]
	v_and_b32_e32 v22, s30, v22
	v_lshl_add_u32 v21, v22, 4, v22
	v_add_lshl_u32 v44, v37, v21, 2
	v_and_b32_e32 v21, 1, v22
	v_add_co_u32_e32 v23, vcc, -1, v21
	v_addc_co_u32_e64 v42, s[2:3], 0, -1, vcc
	v_cmp_ne_u32_e32 vcc, 0, v21
	v_xor_b32_e32 v21, vcc_hi, v42
	v_and_b32_e32 v42, exec_hi, v21
	v_lshlrev_b32_e32 v21, 30, v22
	v_xor_b32_e32 v23, vcc_lo, v23
	v_cmp_gt_i64_e32 vcc, 0, v[20:21]
	v_not_b32_e32 v21, v21
	v_ashrrev_i32_e32 v21, 31, v21
	v_and_b32_e32 v23, exec_lo, v23
	v_xor_b32_e32 v43, vcc_hi, v21
	v_xor_b32_e32 v21, vcc_lo, v21
	v_and_b32_e32 v23, v23, v21
	v_lshlrev_b32_e32 v21, 29, v22
	v_cmp_gt_i64_e32 vcc, 0, v[20:21]
	v_not_b32_e32 v21, v21
	v_ashrrev_i32_e32 v21, 31, v21
	v_and_b32_e32 v42, v42, v43
	v_xor_b32_e32 v43, vcc_hi, v21
	v_xor_b32_e32 v21, vcc_lo, v21
	v_and_b32_e32 v23, v23, v21
	v_lshlrev_b32_e32 v21, 28, v22
	v_cmp_gt_i64_e32 vcc, 0, v[20:21]
	v_not_b32_e32 v21, v21
	v_ashrrev_i32_e32 v21, 31, v21
	v_and_b32_e32 v42, v42, v43
	;; [unrolled: 8-line block ×5, first 2 shown]
	v_xor_b32_e32 v43, vcc_hi, v21
	v_xor_b32_e32 v21, vcc_lo, v21
	v_and_b32_e32 v23, v23, v21
	v_lshlrev_b32_e32 v21, 24, v22
	v_cmp_gt_i64_e32 vcc, 0, v[20:21]
	v_not_b32_e32 v20, v21
	v_ashrrev_i32_e32 v20, 31, v20
	v_xor_b32_e32 v21, vcc_hi, v20
	v_xor_b32_e32 v20, vcc_lo, v20
	; wave barrier
	ds_read_b32 v40, v44 offset:64
	v_and_b32_e32 v42, v42, v43
	v_and_b32_e32 v20, v23, v20
	;; [unrolled: 1-line block ×3, first 2 shown]
	v_mbcnt_lo_u32_b32 v22, v20, 0
	v_mbcnt_hi_u32_b32 v42, v21, v22
	v_cmp_eq_u32_e32 vcc, 0, v42
	v_cmp_ne_u64_e64 s[2:3], 0, v[20:21]
	s_and_b64 s[8:9], s[2:3], vcc
	; wave barrier
	s_and_saveexec_b64 s[2:3], s[8:9]
	s_cbranch_execz .LBB868_33
; %bb.32:
	v_bcnt_u32_b32 v20, v20, 0
	v_bcnt_u32_b32 v20, v21, v20
	s_waitcnt lgkmcnt(0)
	v_add_u32_e32 v20, v40, v20
	ds_write_b32 v44, v20 offset:64
.LBB868_33:
	s_or_b64 exec, exec, s[2:3]
	v_lshrrev_b64 v[20:21], s20, v[18:19]
	v_and_b32_e32 v22, s30, v20
	v_and_b32_e32 v21, 1, v22
	v_add_co_u32_e32 v23, vcc, -1, v21
	v_addc_co_u32_e64 v45, s[2:3], 0, -1, vcc
	v_cmp_ne_u32_e32 vcc, 0, v21
	v_lshl_add_u32 v20, v22, 4, v22
	v_xor_b32_e32 v21, vcc_hi, v45
	v_add_lshl_u32 v46, v37, v20, 2
	v_mov_b32_e32 v20, 0
	v_and_b32_e32 v45, exec_hi, v21
	v_lshlrev_b32_e32 v21, 30, v22
	v_xor_b32_e32 v23, vcc_lo, v23
	v_cmp_gt_i64_e32 vcc, 0, v[20:21]
	v_not_b32_e32 v21, v21
	v_ashrrev_i32_e32 v21, 31, v21
	v_and_b32_e32 v23, exec_lo, v23
	v_xor_b32_e32 v47, vcc_hi, v21
	v_xor_b32_e32 v21, vcc_lo, v21
	v_and_b32_e32 v23, v23, v21
	v_lshlrev_b32_e32 v21, 29, v22
	v_cmp_gt_i64_e32 vcc, 0, v[20:21]
	v_not_b32_e32 v21, v21
	v_ashrrev_i32_e32 v21, 31, v21
	v_and_b32_e32 v45, v45, v47
	v_xor_b32_e32 v47, vcc_hi, v21
	v_xor_b32_e32 v21, vcc_lo, v21
	v_and_b32_e32 v23, v23, v21
	v_lshlrev_b32_e32 v21, 28, v22
	v_cmp_gt_i64_e32 vcc, 0, v[20:21]
	v_not_b32_e32 v21, v21
	v_ashrrev_i32_e32 v21, 31, v21
	v_and_b32_e32 v45, v45, v47
	;; [unrolled: 8-line block ×5, first 2 shown]
	v_xor_b32_e32 v47, vcc_hi, v21
	v_xor_b32_e32 v21, vcc_lo, v21
	v_and_b32_e32 v45, v45, v47
	v_and_b32_e32 v47, v23, v21
	v_lshlrev_b32_e32 v21, 24, v22
	v_cmp_gt_i64_e32 vcc, 0, v[20:21]
	v_not_b32_e32 v21, v21
	v_ashrrev_i32_e32 v21, 31, v21
	v_xor_b32_e32 v22, vcc_hi, v21
	v_xor_b32_e32 v21, vcc_lo, v21
	; wave barrier
	ds_read_b32 v43, v46 offset:64
	v_and_b32_e32 v23, v45, v22
	v_and_b32_e32 v22, v47, v21
	v_mbcnt_lo_u32_b32 v21, v22, 0
	v_mbcnt_hi_u32_b32 v45, v23, v21
	v_cmp_eq_u32_e32 vcc, 0, v45
	v_cmp_ne_u64_e64 s[2:3], 0, v[22:23]
	s_and_b64 s[8:9], s[2:3], vcc
	; wave barrier
	s_and_saveexec_b64 s[2:3], s[8:9]
	s_cbranch_execz .LBB868_35
; %bb.34:
	v_bcnt_u32_b32 v21, v22, 0
	v_bcnt_u32_b32 v21, v23, v21
	s_waitcnt lgkmcnt(0)
	v_add_u32_e32 v21, v43, v21
	ds_write_b32 v46, v21 offset:64
.LBB868_35:
	s_or_b64 exec, exec, s[2:3]
	v_lshrrev_b64 v[22:23], s20, v[16:17]
	v_and_b32_e32 v22, s30, v22
	v_lshl_add_u32 v21, v22, 4, v22
	v_add_lshl_u32 v48, v37, v21, 2
	v_and_b32_e32 v21, 1, v22
	v_add_co_u32_e32 v23, vcc, -1, v21
	v_addc_co_u32_e64 v47, s[2:3], 0, -1, vcc
	v_cmp_ne_u32_e32 vcc, 0, v21
	v_xor_b32_e32 v21, vcc_hi, v47
	v_and_b32_e32 v47, exec_hi, v21
	v_lshlrev_b32_e32 v21, 30, v22
	v_xor_b32_e32 v23, vcc_lo, v23
	v_cmp_gt_i64_e32 vcc, 0, v[20:21]
	v_not_b32_e32 v21, v21
	v_ashrrev_i32_e32 v21, 31, v21
	v_and_b32_e32 v23, exec_lo, v23
	v_xor_b32_e32 v50, vcc_hi, v21
	v_xor_b32_e32 v21, vcc_lo, v21
	v_and_b32_e32 v23, v23, v21
	v_lshlrev_b32_e32 v21, 29, v22
	v_cmp_gt_i64_e32 vcc, 0, v[20:21]
	v_not_b32_e32 v21, v21
	v_ashrrev_i32_e32 v21, 31, v21
	v_and_b32_e32 v47, v47, v50
	v_xor_b32_e32 v50, vcc_hi, v21
	v_xor_b32_e32 v21, vcc_lo, v21
	v_and_b32_e32 v23, v23, v21
	v_lshlrev_b32_e32 v21, 28, v22
	v_cmp_gt_i64_e32 vcc, 0, v[20:21]
	v_not_b32_e32 v21, v21
	v_ashrrev_i32_e32 v21, 31, v21
	v_and_b32_e32 v47, v47, v50
	;; [unrolled: 8-line block ×5, first 2 shown]
	v_xor_b32_e32 v50, vcc_hi, v21
	v_xor_b32_e32 v21, vcc_lo, v21
	v_and_b32_e32 v23, v23, v21
	v_lshlrev_b32_e32 v21, 24, v22
	v_cmp_gt_i64_e32 vcc, 0, v[20:21]
	v_not_b32_e32 v20, v21
	v_ashrrev_i32_e32 v20, 31, v20
	v_xor_b32_e32 v21, vcc_hi, v20
	v_xor_b32_e32 v20, vcc_lo, v20
	; wave barrier
	ds_read_b32 v37, v48 offset:64
	v_and_b32_e32 v47, v47, v50
	v_and_b32_e32 v20, v23, v20
	;; [unrolled: 1-line block ×3, first 2 shown]
	v_mbcnt_lo_u32_b32 v22, v20, 0
	v_mbcnt_hi_u32_b32 v47, v21, v22
	v_cmp_eq_u32_e32 vcc, 0, v47
	v_cmp_ne_u64_e64 s[2:3], 0, v[20:21]
	v_add_u32_e32 v49, 64, v25
	s_and_b64 s[8:9], s[2:3], vcc
	; wave barrier
	s_and_saveexec_b64 s[2:3], s[8:9]
	s_cbranch_execz .LBB868_37
; %bb.36:
	v_bcnt_u32_b32 v20, v20, 0
	v_bcnt_u32_b32 v20, v21, v20
	s_waitcnt lgkmcnt(0)
	v_add_u32_e32 v20, v37, v20
	ds_write_b32 v48, v20 offset:64
.LBB868_37:
	s_or_b64 exec, exec, s[2:3]
	; wave barrier
	s_waitcnt lgkmcnt(0)
	s_barrier
	ds_read2_b32 v[22:23], v25 offset0:16 offset1:17
	ds_read2_b32 v[20:21], v49 offset0:2 offset1:3
	ds_read_b32 v50, v49 offset:16
	v_cmp_lt_u32_e64 s[12:13], 31, v24
	s_waitcnt lgkmcnt(1)
	v_add3_u32 v51, v23, v22, v20
	s_waitcnt lgkmcnt(0)
	v_add3_u32 v50, v51, v21, v50
	v_and_b32_e32 v51, 15, v24
	v_cmp_eq_u32_e32 vcc, 0, v51
	v_mov_b32_dpp v52, v50 row_shr:1 row_mask:0xf bank_mask:0xf
	v_cndmask_b32_e64 v52, v52, 0, vcc
	v_add_u32_e32 v50, v52, v50
	v_cmp_lt_u32_e64 s[2:3], 1, v51
	v_cmp_lt_u32_e64 s[10:11], 3, v51
	v_mov_b32_dpp v52, v50 row_shr:2 row_mask:0xf bank_mask:0xf
	v_cndmask_b32_e64 v52, 0, v52, s[2:3]
	v_add_u32_e32 v50, v50, v52
	v_cmp_lt_u32_e64 s[8:9], 7, v51
	s_nop 0
	v_mov_b32_dpp v52, v50 row_shr:4 row_mask:0xf bank_mask:0xf
	v_cndmask_b32_e64 v52, 0, v52, s[10:11]
	v_add_u32_e32 v50, v50, v52
	s_nop 1
	v_mov_b32_dpp v52, v50 row_shr:8 row_mask:0xf bank_mask:0xf
	v_cndmask_b32_e64 v51, 0, v52, s[8:9]
	v_add_u32_e32 v50, v50, v51
	v_bfe_i32 v52, v24, 4, 1
	s_nop 0
	v_mov_b32_dpp v51, v50 row_bcast:15 row_mask:0xf bank_mask:0xf
	v_and_b32_e32 v51, v52, v51
	v_add_u32_e32 v50, v50, v51
	v_and_b32_e32 v52, 63, v2
	s_nop 0
	v_mov_b32_dpp v51, v50 row_bcast:31 row_mask:0xf bank_mask:0xf
	v_cndmask_b32_e64 v51, 0, v51, s[12:13]
	v_add_u32_e32 v50, v50, v51
	v_lshrrev_b32_e32 v51, 6, v2
	v_cmp_eq_u32_e64 s[12:13], 63, v52
	s_and_saveexec_b64 s[22:23], s[12:13]
	s_cbranch_execz .LBB868_39
; %bb.38:
	v_lshlrev_b32_e32 v52, 2, v51
	ds_write_b32 v52, v50
.LBB868_39:
	s_or_b64 exec, exec, s[22:23]
	v_cmp_gt_u32_e64 s[12:13], 16, v2
	s_waitcnt lgkmcnt(0)
	s_barrier
	s_and_saveexec_b64 s[22:23], s[12:13]
	s_cbranch_execz .LBB868_41
; %bb.40:
	v_lshlrev_b32_e32 v52, 2, v2
	ds_read_b32 v53, v52
	s_waitcnt lgkmcnt(0)
	s_nop 0
	v_mov_b32_dpp v54, v53 row_shr:1 row_mask:0xf bank_mask:0xf
	v_cndmask_b32_e64 v54, v54, 0, vcc
	v_add_u32_e32 v53, v54, v53
	s_nop 1
	v_mov_b32_dpp v54, v53 row_shr:2 row_mask:0xf bank_mask:0xf
	v_cndmask_b32_e64 v54, 0, v54, s[2:3]
	v_add_u32_e32 v53, v53, v54
	s_nop 1
	v_mov_b32_dpp v54, v53 row_shr:4 row_mask:0xf bank_mask:0xf
	v_cndmask_b32_e64 v54, 0, v54, s[10:11]
	;; [unrolled: 4-line block ×3, first 2 shown]
	v_add_u32_e32 v53, v53, v54
	ds_write_b32 v52, v53
.LBB868_41:
	s_or_b64 exec, exec, s[22:23]
	v_cmp_lt_u32_e32 vcc, 63, v2
	v_mov_b32_e32 v52, 0
	s_waitcnt lgkmcnt(0)
	s_barrier
	s_and_saveexec_b64 s[2:3], vcc
	s_cbranch_execz .LBB868_43
; %bb.42:
	v_lshl_add_u32 v51, v51, 2, -4
	ds_read_b32 v52, v51
.LBB868_43:
	s_or_b64 exec, exec, s[2:3]
	v_add_u32_e32 v51, -1, v24
	v_and_b32_e32 v53, 64, v24
	v_cmp_lt_i32_e32 vcc, v51, v53
	v_cndmask_b32_e32 v51, v51, v24, vcc
	s_waitcnt lgkmcnt(0)
	v_add_u32_e32 v50, v52, v50
	v_lshlrev_b32_e32 v51, 2, v51
	ds_bpermute_b32 v50, v51, v50
	v_cmp_eq_u32_e32 vcc, 0, v24
	s_movk_i32 s2, 0x100
	s_waitcnt lgkmcnt(0)
	v_cndmask_b32_e32 v24, v50, v52, vcc
	v_cndmask_b32_e64 v24, v24, 0, s[0:1]
	v_add_u32_e32 v22, v24, v22
	v_add_u32_e32 v23, v22, v23
	;; [unrolled: 1-line block ×4, first 2 shown]
	ds_write2_b32 v25, v24, v22 offset0:16 offset1:17
	ds_write2_b32 v49, v23, v20 offset0:2 offset1:3
	ds_write_b32 v49, v21 offset:16
	s_waitcnt lgkmcnt(0)
	s_barrier
	ds_read_b32 v50, v30 offset:64
	ds_read_b32 v49, v31 offset:64
	;; [unrolled: 1-line block ×8, first 2 shown]
	v_cmp_gt_u32_e32 vcc, s2, v2
                                        ; implicit-def: $vgpr30
                                        ; implicit-def: $vgpr31
	s_and_saveexec_b64 s[8:9], vcc
	s_cbranch_execz .LBB868_47
; %bb.44:
	v_mul_u32_u24_e32 v20, 17, v2
	v_lshlrev_b32_e32 v21, 2, v20
	ds_read_b32 v30, v21 offset:64
	s_movk_i32 s2, 0xff
	v_cmp_ne_u32_e64 s[2:3], s2, v2
	v_mov_b32_e32 v20, 0x2000
	s_and_saveexec_b64 s[10:11], s[2:3]
	s_cbranch_execz .LBB868_46
; %bb.45:
	ds_read_b32 v20, v21 offset:132
.LBB868_46:
	s_or_b64 exec, exec, s[10:11]
	s_waitcnt lgkmcnt(0)
	v_sub_u32_e32 v31, v20, v30
.LBB868_47:
	s_or_b64 exec, exec, s[8:9]
	s_waitcnt lgkmcnt(0)
	s_barrier
	s_and_saveexec_b64 s[8:9], vcc
	s_cbranch_execz .LBB868_57
; %bb.48:
	v_lshl_or_b32 v20, s28, 8, v2
	v_mov_b32_e32 v21, 0
	v_lshlrev_b64 v[22:23], 2, v[20:21]
	v_mov_b32_e32 v51, s15
	v_add_co_u32_e64 v22, s[2:3], s14, v22
	v_addc_co_u32_e64 v23, s[2:3], v51, v23, s[2:3]
	v_or_b32_e32 v20, 2.0, v31
	s_mov_b64 s[10:11], 0
	s_brev_b32 s31, 1
	s_mov_b32 s33, s28
	v_mov_b32_e32 v52, 0
	global_store_dword v[22:23], v20, off
                                        ; implicit-def: $sgpr2_sgpr3
	s_branch .LBB868_50
.LBB868_49:                             ;   in Loop: Header=BB868_50 Depth=1
	s_or_b64 exec, exec, s[12:13]
	v_and_b32_e32 v24, 0x3fffffff, v53
	v_add_u32_e32 v52, v24, v52
	v_cmp_eq_u32_e64 s[2:3], s31, v20
	s_and_b64 s[12:13], exec, s[2:3]
	s_or_b64 s[10:11], s[12:13], s[10:11]
	s_andn2_b64 exec, exec, s[10:11]
	s_cbranch_execz .LBB868_56
.LBB868_50:                             ; =>This Loop Header: Depth=1
                                        ;     Child Loop BB868_53 Depth 2
	s_or_b64 s[2:3], s[2:3], exec
	s_cmp_eq_u32 s33, 0
	s_cbranch_scc1 .LBB868_55
; %bb.51:                               ;   in Loop: Header=BB868_50 Depth=1
	s_add_i32 s33, s33, -1
	v_lshl_or_b32 v20, s33, 8, v2
	v_lshlrev_b64 v[24:25], 2, v[20:21]
	v_add_co_u32_e64 v24, s[2:3], s14, v24
	v_addc_co_u32_e64 v25, s[2:3], v51, v25, s[2:3]
	global_load_dword v53, v[24:25], off glc
	s_waitcnt vmcnt(0)
	v_and_b32_e32 v20, -2.0, v53
	v_cmp_eq_u32_e64 s[2:3], 0, v20
	s_and_saveexec_b64 s[12:13], s[2:3]
	s_cbranch_execz .LBB868_49
; %bb.52:                               ;   in Loop: Header=BB868_50 Depth=1
	s_mov_b64 s[22:23], 0
.LBB868_53:                             ;   Parent Loop BB868_50 Depth=1
                                        ; =>  This Inner Loop Header: Depth=2
	global_load_dword v53, v[24:25], off glc
	s_waitcnt vmcnt(0)
	v_and_b32_e32 v20, -2.0, v53
	v_cmp_ne_u32_e64 s[2:3], 0, v20
	s_or_b64 s[22:23], s[2:3], s[22:23]
	s_andn2_b64 exec, exec, s[22:23]
	s_cbranch_execnz .LBB868_53
; %bb.54:                               ;   in Loop: Header=BB868_50 Depth=1
	s_or_b64 exec, exec, s[22:23]
	s_branch .LBB868_49
.LBB868_55:                             ;   in Loop: Header=BB868_50 Depth=1
                                        ; implicit-def: $sgpr33
	s_and_b64 s[12:13], exec, s[2:3]
	s_or_b64 s[10:11], s[12:13], s[10:11]
	s_andn2_b64 exec, exec, s[10:11]
	s_cbranch_execnz .LBB868_50
.LBB868_56:
	s_or_b64 exec, exec, s[10:11]
	v_add_u32_e32 v20, v52, v31
	v_or_b32_e32 v20, 0x80000000, v20
	global_store_dword v[22:23], v20, off
	v_lshlrev_b32_e32 v20, 2, v2
	global_load_dword v21, v20, s[16:17]
	v_sub_u32_e32 v22, v52, v30
	s_waitcnt vmcnt(0)
	v_add_u32_e32 v21, v22, v21
	ds_write_b32 v20, v21
.LBB868_57:
	s_or_b64 exec, exec, s[8:9]
	v_add_u32_e32 v22, v50, v26
	s_movk_i32 s10, 0x400
	v_add_u32_e32 v23, 0x400, v3
	v_add3_u32 v24, v47, v48, v37
	v_add3_u32 v25, v45, v46, v43
	;; [unrolled: 1-line block ×7, first 2 shown]
	s_mov_b32 s11, 0
	v_mov_b32_e32 v21, 0
	v_mov_b32_e32 v28, v2
	s_branch .LBB868_59
.LBB868_58:                             ;   in Loop: Header=BB868_59 Depth=1
	s_or_b64 exec, exec, s[8:9]
	s_addk_i32 s11, 0xf800
	s_cmpk_eq_i32 s11, 0xe000
	v_add_u32_e32 v28, 0x800, v28
	s_barrier
	s_cbranch_scc1 .LBB868_64
.LBB868_59:                             ; =>This Inner Loop Header: Depth=1
	v_add_u32_e32 v20, s11, v22
	v_min_u32_e32 v20, 0x800, v20
	v_lshlrev_b32_e32 v20, 3, v20
	ds_write_b64 v20, v[6:7] offset:1024
	v_add_u32_e32 v20, s11, v27
	v_min_u32_e32 v20, 0x800, v20
	v_lshlrev_b32_e32 v20, 3, v20
	ds_write_b64 v20, v[4:5] offset:1024
	;; [unrolled: 4-line block ×7, first 2 shown]
	v_add_u32_e32 v20, s11, v24
	v_min_u32_e32 v20, 0x800, v20
	v_lshlrev_b32_e32 v20, 3, v20
	v_cmp_gt_u32_e64 s[2:3], s7, v28
	ds_write_b64 v20, v[16:17] offset:1024
	s_waitcnt lgkmcnt(0)
	s_barrier
	s_and_saveexec_b64 s[8:9], s[2:3]
	s_cbranch_execz .LBB868_61
; %bb.60:                               ;   in Loop: Header=BB868_59 Depth=1
	ds_read_b64 v[34:35], v3 offset:1024
	v_mov_b32_e32 v32, s27
	s_waitcnt lgkmcnt(0)
	v_lshrrev_b64 v[38:39], s20, v[34:35]
	v_and_b32_e32 v20, s30, v38
	v_lshlrev_b32_e32 v20, 2, v20
	ds_read_b32 v20, v20
	s_waitcnt lgkmcnt(0)
	v_add_u32_e32 v20, v28, v20
	v_lshlrev_b64 v[38:39], 3, v[20:21]
	v_add_co_u32_e64 v38, s[2:3], s26, v38
	v_addc_co_u32_e64 v39, s[2:3], v32, v39, s[2:3]
	global_store_dwordx2 v[38:39], v[34:35], off
.LBB868_61:                             ;   in Loop: Header=BB868_59 Depth=1
	s_or_b64 exec, exec, s[8:9]
	v_add_u32_e32 v20, 0x400, v28
	v_cmp_gt_u32_e64 s[2:3], s7, v20
	s_and_saveexec_b64 s[8:9], s[2:3]
	s_cbranch_execz .LBB868_58
; %bb.62:                               ;   in Loop: Header=BB868_59 Depth=1
	ds_read_b64 v[34:35], v23 offset:8192
	v_mov_b32_e32 v32, s27
	s_waitcnt lgkmcnt(0)
	v_lshrrev_b64 v[38:39], s20, v[34:35]
	v_and_b32_e32 v20, s30, v38
	v_lshlrev_b32_e32 v20, 2, v20
	ds_read_b32 v20, v20
	s_waitcnt lgkmcnt(0)
	v_add3_u32 v20, v28, v20, s10
	v_lshlrev_b64 v[38:39], 3, v[20:21]
	v_add_co_u32_e64 v38, s[2:3], s26, v38
	v_addc_co_u32_e64 v39, s[2:3], v32, v39, s[2:3]
	global_store_dwordx2 v[38:39], v[34:35], off
	s_branch .LBB868_58
.LBB868_63:
	s_mov_b64 s[10:11], 0
                                        ; implicit-def: $vgpr4
	s_cbranch_execnz .LBB868_67
	s_branch .LBB868_108
.LBB868_64:
	s_add_i32 s29, s29, -1
	s_cmp_eq_u32 s29, s28
	s_cselect_b64 s[2:3], -1, 0
	s_and_b64 s[8:9], vcc, s[2:3]
	s_mov_b64 s[2:3], 0
	s_mov_b64 s[10:11], 0
                                        ; implicit-def: $vgpr4
	s_and_saveexec_b64 s[12:13], s[8:9]
	s_xor_b64 s[8:9], exec, s[12:13]
; %bb.65:
	s_mov_b64 s[10:11], exec
	v_add_u32_e32 v4, v30, v31
; %bb.66:
	s_or_b64 exec, exec, s[8:9]
	s_and_b64 vcc, exec, s[2:3]
	s_cbranch_vccz .LBB868_108
.LBB868_67:
	s_lshl_b32 s2, s28, 13
	s_mov_b32 s3, 0
	v_mbcnt_hi_u32_b32 v22, -1, v1
	s_lshl_b64 s[2:3], s[2:3], 3
	v_and_b32_e32 v1, 63, v22
	s_add_u32 s2, s24, s2
	v_lshlrev_b32_e32 v1, 3, v1
	v_add_co_u32_e32 v1, vcc, s2, v1
	s_load_dword s22, s[4:5], 0x58
	s_load_dword s2, s[4:5], 0x64
	s_addc_u32 s3, s25, s3
	v_mov_b32_e32 v4, s3
	v_lshlrev_b32_e32 v5, 6, v2
	s_add_u32 s3, s4, 0x58
	v_addc_co_u32_e32 v4, vcc, 0, v4, vcc
	v_and_b32_e32 v5, 0xf000, v5
	s_addc_u32 s4, s5, 0
	s_waitcnt lgkmcnt(0)
	s_lshr_b32 s5, s2, 16
	v_add_co_u32_e32 v20, vcc, v1, v5
	s_cmp_lt_u32 s6, s22
	v_addc_co_u32_e32 v21, vcc, 0, v4, vcc
	s_cselect_b32 s2, 12, 18
	global_load_dwordx2 v[4:5], v[20:21], off
	s_add_u32 s2, s3, s2
	v_mov_b32_e32 v18, 0
	s_addc_u32 s3, s4, 0
	global_load_ushort v24, v18, s[2:3]
	v_mul_u32_u24_e32 v6, 5, v2
	v_lshlrev_b32_e32 v23, 2, v6
	v_bfe_u32 v1, v0, 10, 10
	v_bfe_u32 v0, v0, 20, 10
	ds_write2_b32 v23, v18, v18 offset0:16 offset1:17
	ds_write2_b32 v23, v18, v18 offset0:18 offset1:19
	ds_write_b32 v23, v18 offset:80
	v_mad_u32_u24 v25, v0, s5, v1
	global_load_dwordx2 v[0:1], v[20:21], off offset:512
	global_load_dwordx2 v[6:7], v[20:21], off offset:1024
	;; [unrolled: 1-line block ×7, first 2 shown]
	s_lshl_b32 s2, -1, s21
	s_not_b32 s21, s2
	s_waitcnt lgkmcnt(0)
	s_barrier
	s_waitcnt lgkmcnt(0)
	; wave barrier
	s_waitcnt vmcnt(8)
	v_lshrrev_b64 v[20:21], s20, v[4:5]
	v_and_b32_e32 v27, s21, v20
	v_and_b32_e32 v28, 1, v27
	v_lshlrev_b32_e32 v19, 30, v27
	s_waitcnt vmcnt(7)
	v_mad_u64_u32 v[20:21], s[2:3], v25, v24, v[2:3]
	v_add_co_u32_e32 v21, vcc, -1, v28
	v_addc_co_u32_e64 v24, s[2:3], 0, -1, vcc
	v_cmp_ne_u32_e32 vcc, 0, v28
	v_cmp_gt_i64_e64 s[2:3], 0, v[18:19]
	v_not_b32_e32 v25, v19
	v_lshlrev_b32_e32 v19, 29, v27
	v_lshrrev_b32_e32 v33, 6, v20
	v_xor_b32_e32 v20, vcc_hi, v24
	v_xor_b32_e32 v21, vcc_lo, v21
	v_ashrrev_i32_e32 v24, 31, v25
	v_cmp_gt_i64_e32 vcc, 0, v[18:19]
	v_not_b32_e32 v25, v19
	v_lshlrev_b32_e32 v19, 28, v27
	v_and_b32_e32 v20, exec_hi, v20
	v_and_b32_e32 v21, exec_lo, v21
	v_xor_b32_e32 v28, s3, v24
	v_xor_b32_e32 v24, s2, v24
	v_ashrrev_i32_e32 v25, 31, v25
	v_cmp_gt_i64_e64 s[2:3], 0, v[18:19]
	v_not_b32_e32 v29, v19
	v_lshlrev_b32_e32 v19, 27, v27
	v_and_b32_e32 v20, v20, v28
	v_and_b32_e32 v21, v21, v24
	v_xor_b32_e32 v24, vcc_hi, v25
	v_xor_b32_e32 v25, vcc_lo, v25
	v_ashrrev_i32_e32 v28, 31, v29
	v_cmp_gt_i64_e32 vcc, 0, v[18:19]
	v_not_b32_e32 v19, v19
	v_and_b32_e32 v20, v20, v24
	v_and_b32_e32 v21, v21, v25
	v_xor_b32_e32 v24, s3, v28
	v_xor_b32_e32 v25, s2, v28
	v_ashrrev_i32_e32 v19, 31, v19
	v_and_b32_e32 v20, v20, v24
	v_and_b32_e32 v21, v21, v25
	v_xor_b32_e32 v24, vcc_hi, v19
	v_xor_b32_e32 v19, vcc_lo, v19
	v_and_b32_e32 v21, v21, v19
	v_lshlrev_b32_e32 v19, 26, v27
	v_cmp_gt_i64_e32 vcc, 0, v[18:19]
	v_not_b32_e32 v19, v19
	v_ashrrev_i32_e32 v19, 31, v19
	v_and_b32_e32 v20, v20, v24
	v_xor_b32_e32 v24, vcc_hi, v19
	v_xor_b32_e32 v19, vcc_lo, v19
	v_and_b32_e32 v21, v21, v19
	v_lshlrev_b32_e32 v19, 25, v27
	v_cmp_gt_i64_e32 vcc, 0, v[18:19]
	v_not_b32_e32 v19, v19
	v_ashrrev_i32_e32 v19, 31, v19
	v_and_b32_e32 v20, v20, v24
	v_xor_b32_e32 v24, vcc_hi, v19
	v_xor_b32_e32 v19, vcc_lo, v19
	v_and_b32_e32 v20, v20, v24
	v_and_b32_e32 v24, v21, v19
	v_lshlrev_b32_e32 v19, 24, v27
	v_cmp_gt_i64_e32 vcc, 0, v[18:19]
	v_not_b32_e32 v19, v19
	v_ashrrev_i32_e32 v19, 31, v19
	v_xor_b32_e32 v21, vcc_hi, v19
	v_xor_b32_e32 v19, vcc_lo, v19
	v_and_b32_e32 v21, v20, v21
	v_and_b32_e32 v20, v24, v19
	v_mbcnt_lo_u32_b32 v19, v20, 0
	v_mbcnt_hi_u32_b32 v24, v21, v19
	v_lshl_add_u32 v26, v27, 4, v27
	v_cmp_eq_u32_e32 vcc, 0, v24
	v_cmp_ne_u64_e64 s[2:3], 0, v[20:21]
	v_add_lshl_u32 v26, v33, v26, 2
	s_and_b64 s[4:5], s[2:3], vcc
	s_and_saveexec_b64 s[2:3], s[4:5]
	s_cbranch_execz .LBB868_69
; %bb.68:
	v_bcnt_u32_b32 v19, v20, 0
	v_bcnt_u32_b32 v19, v21, v19
	ds_write_b32 v26, v19 offset:64
.LBB868_69:
	s_or_b64 exec, exec, s[2:3]
	s_waitcnt vmcnt(6)
	v_lshrrev_b64 v[20:21], s20, v[0:1]
	v_and_b32_e32 v20, s21, v20
	v_lshl_add_u32 v19, v20, 4, v20
	v_add_lshl_u32 v29, v33, v19, 2
	v_and_b32_e32 v19, 1, v20
	v_add_co_u32_e32 v21, vcc, -1, v19
	v_addc_co_u32_e64 v27, s[2:3], 0, -1, vcc
	v_cmp_ne_u32_e32 vcc, 0, v19
	v_xor_b32_e32 v19, vcc_hi, v27
	v_and_b32_e32 v27, exec_hi, v19
	v_lshlrev_b32_e32 v19, 30, v20
	v_xor_b32_e32 v21, vcc_lo, v21
	v_cmp_gt_i64_e32 vcc, 0, v[18:19]
	v_not_b32_e32 v19, v19
	v_ashrrev_i32_e32 v19, 31, v19
	v_and_b32_e32 v21, exec_lo, v21
	v_xor_b32_e32 v28, vcc_hi, v19
	v_xor_b32_e32 v19, vcc_lo, v19
	v_and_b32_e32 v21, v21, v19
	v_lshlrev_b32_e32 v19, 29, v20
	v_cmp_gt_i64_e32 vcc, 0, v[18:19]
	v_not_b32_e32 v19, v19
	v_ashrrev_i32_e32 v19, 31, v19
	v_and_b32_e32 v27, v27, v28
	v_xor_b32_e32 v28, vcc_hi, v19
	v_xor_b32_e32 v19, vcc_lo, v19
	v_and_b32_e32 v21, v21, v19
	v_lshlrev_b32_e32 v19, 28, v20
	v_cmp_gt_i64_e32 vcc, 0, v[18:19]
	v_not_b32_e32 v19, v19
	v_ashrrev_i32_e32 v19, 31, v19
	v_and_b32_e32 v27, v27, v28
	v_xor_b32_e32 v28, vcc_hi, v19
	v_xor_b32_e32 v19, vcc_lo, v19
	v_and_b32_e32 v21, v21, v19
	v_lshlrev_b32_e32 v19, 27, v20
	v_cmp_gt_i64_e32 vcc, 0, v[18:19]
	v_not_b32_e32 v19, v19
	v_ashrrev_i32_e32 v19, 31, v19
	v_and_b32_e32 v27, v27, v28
	v_xor_b32_e32 v28, vcc_hi, v19
	v_xor_b32_e32 v19, vcc_lo, v19
	v_and_b32_e32 v21, v21, v19
	v_lshlrev_b32_e32 v19, 26, v20
	v_cmp_gt_i64_e32 vcc, 0, v[18:19]
	v_not_b32_e32 v19, v19
	v_ashrrev_i32_e32 v19, 31, v19
	v_and_b32_e32 v27, v27, v28
	v_xor_b32_e32 v28, vcc_hi, v19
	v_xor_b32_e32 v19, vcc_lo, v19
	v_and_b32_e32 v21, v21, v19
	v_lshlrev_b32_e32 v19, 25, v20
	v_cmp_gt_i64_e32 vcc, 0, v[18:19]
	v_not_b32_e32 v19, v19
	v_ashrrev_i32_e32 v19, 31, v19
	v_and_b32_e32 v27, v27, v28
	v_xor_b32_e32 v28, vcc_hi, v19
	v_xor_b32_e32 v19, vcc_lo, v19
	v_and_b32_e32 v21, v21, v19
	v_lshlrev_b32_e32 v19, 24, v20
	v_cmp_gt_i64_e32 vcc, 0, v[18:19]
	v_not_b32_e32 v18, v19
	v_ashrrev_i32_e32 v18, 31, v18
	v_xor_b32_e32 v19, vcc_hi, v18
	v_xor_b32_e32 v18, vcc_lo, v18
	; wave barrier
	ds_read_b32 v25, v29 offset:64
	v_and_b32_e32 v27, v27, v28
	v_and_b32_e32 v18, v21, v18
	;; [unrolled: 1-line block ×3, first 2 shown]
	v_mbcnt_lo_u32_b32 v20, v18, 0
	v_mbcnt_hi_u32_b32 v27, v19, v20
	v_cmp_eq_u32_e32 vcc, 0, v27
	v_cmp_ne_u64_e64 s[2:3], 0, v[18:19]
	s_and_b64 s[4:5], s[2:3], vcc
	; wave barrier
	s_and_saveexec_b64 s[2:3], s[4:5]
	s_cbranch_execz .LBB868_71
; %bb.70:
	v_bcnt_u32_b32 v18, v18, 0
	v_bcnt_u32_b32 v18, v19, v18
	s_waitcnt lgkmcnt(0)
	v_add_u32_e32 v18, v25, v18
	ds_write_b32 v29, v18 offset:64
.LBB868_71:
	s_or_b64 exec, exec, s[2:3]
	s_waitcnt vmcnt(5)
	v_lshrrev_b64 v[18:19], s20, v[6:7]
	v_and_b32_e32 v20, s21, v18
	v_and_b32_e32 v19, 1, v20
	v_add_co_u32_e32 v21, vcc, -1, v19
	v_addc_co_u32_e64 v30, s[2:3], 0, -1, vcc
	v_cmp_ne_u32_e32 vcc, 0, v19
	v_lshl_add_u32 v18, v20, 4, v20
	v_xor_b32_e32 v19, vcc_hi, v30
	v_add_lshl_u32 v32, v33, v18, 2
	v_mov_b32_e32 v18, 0
	v_and_b32_e32 v30, exec_hi, v19
	v_lshlrev_b32_e32 v19, 30, v20
	v_xor_b32_e32 v21, vcc_lo, v21
	v_cmp_gt_i64_e32 vcc, 0, v[18:19]
	v_not_b32_e32 v19, v19
	v_ashrrev_i32_e32 v19, 31, v19
	v_and_b32_e32 v21, exec_lo, v21
	v_xor_b32_e32 v31, vcc_hi, v19
	v_xor_b32_e32 v19, vcc_lo, v19
	v_and_b32_e32 v21, v21, v19
	v_lshlrev_b32_e32 v19, 29, v20
	v_cmp_gt_i64_e32 vcc, 0, v[18:19]
	v_not_b32_e32 v19, v19
	v_ashrrev_i32_e32 v19, 31, v19
	v_and_b32_e32 v30, v30, v31
	v_xor_b32_e32 v31, vcc_hi, v19
	v_xor_b32_e32 v19, vcc_lo, v19
	v_and_b32_e32 v21, v21, v19
	v_lshlrev_b32_e32 v19, 28, v20
	v_cmp_gt_i64_e32 vcc, 0, v[18:19]
	v_not_b32_e32 v19, v19
	v_ashrrev_i32_e32 v19, 31, v19
	v_and_b32_e32 v30, v30, v31
	;; [unrolled: 8-line block ×5, first 2 shown]
	v_xor_b32_e32 v31, vcc_hi, v19
	v_xor_b32_e32 v19, vcc_lo, v19
	v_and_b32_e32 v30, v30, v31
	v_and_b32_e32 v31, v21, v19
	v_lshlrev_b32_e32 v19, 24, v20
	v_cmp_gt_i64_e32 vcc, 0, v[18:19]
	v_not_b32_e32 v19, v19
	v_ashrrev_i32_e32 v19, 31, v19
	v_xor_b32_e32 v20, vcc_hi, v19
	v_xor_b32_e32 v19, vcc_lo, v19
	; wave barrier
	ds_read_b32 v28, v32 offset:64
	v_and_b32_e32 v21, v30, v20
	v_and_b32_e32 v20, v31, v19
	v_mbcnt_lo_u32_b32 v19, v20, 0
	v_mbcnt_hi_u32_b32 v30, v21, v19
	v_cmp_eq_u32_e32 vcc, 0, v30
	v_cmp_ne_u64_e64 s[2:3], 0, v[20:21]
	s_and_b64 s[4:5], s[2:3], vcc
	; wave barrier
	s_and_saveexec_b64 s[2:3], s[4:5]
	s_cbranch_execz .LBB868_73
; %bb.72:
	v_bcnt_u32_b32 v19, v20, 0
	v_bcnt_u32_b32 v19, v21, v19
	s_waitcnt lgkmcnt(0)
	v_add_u32_e32 v19, v28, v19
	ds_write_b32 v32, v19 offset:64
.LBB868_73:
	s_or_b64 exec, exec, s[2:3]
	s_waitcnt vmcnt(4)
	v_lshrrev_b64 v[20:21], s20, v[8:9]
	v_and_b32_e32 v20, s21, v20
	v_lshl_add_u32 v19, v20, 4, v20
	v_add_lshl_u32 v36, v33, v19, 2
	v_and_b32_e32 v19, 1, v20
	v_add_co_u32_e32 v21, vcc, -1, v19
	v_addc_co_u32_e64 v34, s[2:3], 0, -1, vcc
	v_cmp_ne_u32_e32 vcc, 0, v19
	v_xor_b32_e32 v19, vcc_hi, v34
	v_and_b32_e32 v34, exec_hi, v19
	v_lshlrev_b32_e32 v19, 30, v20
	v_xor_b32_e32 v21, vcc_lo, v21
	v_cmp_gt_i64_e32 vcc, 0, v[18:19]
	v_not_b32_e32 v19, v19
	v_ashrrev_i32_e32 v19, 31, v19
	v_and_b32_e32 v21, exec_lo, v21
	v_xor_b32_e32 v35, vcc_hi, v19
	v_xor_b32_e32 v19, vcc_lo, v19
	v_and_b32_e32 v21, v21, v19
	v_lshlrev_b32_e32 v19, 29, v20
	v_cmp_gt_i64_e32 vcc, 0, v[18:19]
	v_not_b32_e32 v19, v19
	v_ashrrev_i32_e32 v19, 31, v19
	v_and_b32_e32 v34, v34, v35
	v_xor_b32_e32 v35, vcc_hi, v19
	v_xor_b32_e32 v19, vcc_lo, v19
	v_and_b32_e32 v21, v21, v19
	v_lshlrev_b32_e32 v19, 28, v20
	v_cmp_gt_i64_e32 vcc, 0, v[18:19]
	v_not_b32_e32 v19, v19
	v_ashrrev_i32_e32 v19, 31, v19
	v_and_b32_e32 v34, v34, v35
	v_xor_b32_e32 v35, vcc_hi, v19
	v_xor_b32_e32 v19, vcc_lo, v19
	v_and_b32_e32 v21, v21, v19
	v_lshlrev_b32_e32 v19, 27, v20
	v_cmp_gt_i64_e32 vcc, 0, v[18:19]
	v_not_b32_e32 v19, v19
	v_ashrrev_i32_e32 v19, 31, v19
	v_and_b32_e32 v34, v34, v35
	v_xor_b32_e32 v35, vcc_hi, v19
	v_xor_b32_e32 v19, vcc_lo, v19
	v_and_b32_e32 v21, v21, v19
	v_lshlrev_b32_e32 v19, 26, v20
	v_cmp_gt_i64_e32 vcc, 0, v[18:19]
	v_not_b32_e32 v19, v19
	v_ashrrev_i32_e32 v19, 31, v19
	v_and_b32_e32 v34, v34, v35
	v_xor_b32_e32 v35, vcc_hi, v19
	v_xor_b32_e32 v19, vcc_lo, v19
	v_and_b32_e32 v21, v21, v19
	v_lshlrev_b32_e32 v19, 25, v20
	v_cmp_gt_i64_e32 vcc, 0, v[18:19]
	v_not_b32_e32 v19, v19
	v_ashrrev_i32_e32 v19, 31, v19
	v_and_b32_e32 v34, v34, v35
	v_xor_b32_e32 v35, vcc_hi, v19
	v_xor_b32_e32 v19, vcc_lo, v19
	v_and_b32_e32 v21, v21, v19
	v_lshlrev_b32_e32 v19, 24, v20
	v_cmp_gt_i64_e32 vcc, 0, v[18:19]
	v_not_b32_e32 v18, v19
	v_ashrrev_i32_e32 v18, 31, v18
	v_xor_b32_e32 v19, vcc_hi, v18
	v_xor_b32_e32 v18, vcc_lo, v18
	; wave barrier
	ds_read_b32 v31, v36 offset:64
	v_and_b32_e32 v34, v34, v35
	v_and_b32_e32 v18, v21, v18
	;; [unrolled: 1-line block ×3, first 2 shown]
	v_mbcnt_lo_u32_b32 v20, v18, 0
	v_mbcnt_hi_u32_b32 v34, v19, v20
	v_cmp_eq_u32_e32 vcc, 0, v34
	v_cmp_ne_u64_e64 s[2:3], 0, v[18:19]
	s_and_b64 s[4:5], s[2:3], vcc
	; wave barrier
	s_and_saveexec_b64 s[2:3], s[4:5]
	s_cbranch_execz .LBB868_75
; %bb.74:
	v_bcnt_u32_b32 v18, v18, 0
	v_bcnt_u32_b32 v18, v19, v18
	s_waitcnt lgkmcnt(0)
	v_add_u32_e32 v18, v31, v18
	ds_write_b32 v36, v18 offset:64
.LBB868_75:
	s_or_b64 exec, exec, s[2:3]
	s_waitcnt vmcnt(3)
	v_lshrrev_b64 v[18:19], s20, v[10:11]
	v_and_b32_e32 v20, s21, v18
	v_and_b32_e32 v19, 1, v20
	v_add_co_u32_e32 v21, vcc, -1, v19
	v_addc_co_u32_e64 v37, s[2:3], 0, -1, vcc
	v_cmp_ne_u32_e32 vcc, 0, v19
	v_lshl_add_u32 v18, v20, 4, v20
	v_xor_b32_e32 v19, vcc_hi, v37
	v_add_lshl_u32 v39, v33, v18, 2
	v_mov_b32_e32 v18, 0
	v_and_b32_e32 v37, exec_hi, v19
	v_lshlrev_b32_e32 v19, 30, v20
	v_xor_b32_e32 v21, vcc_lo, v21
	v_cmp_gt_i64_e32 vcc, 0, v[18:19]
	v_not_b32_e32 v19, v19
	v_ashrrev_i32_e32 v19, 31, v19
	v_and_b32_e32 v21, exec_lo, v21
	v_xor_b32_e32 v38, vcc_hi, v19
	v_xor_b32_e32 v19, vcc_lo, v19
	v_and_b32_e32 v21, v21, v19
	v_lshlrev_b32_e32 v19, 29, v20
	v_cmp_gt_i64_e32 vcc, 0, v[18:19]
	v_not_b32_e32 v19, v19
	v_ashrrev_i32_e32 v19, 31, v19
	v_and_b32_e32 v37, v37, v38
	v_xor_b32_e32 v38, vcc_hi, v19
	v_xor_b32_e32 v19, vcc_lo, v19
	v_and_b32_e32 v21, v21, v19
	v_lshlrev_b32_e32 v19, 28, v20
	v_cmp_gt_i64_e32 vcc, 0, v[18:19]
	v_not_b32_e32 v19, v19
	v_ashrrev_i32_e32 v19, 31, v19
	v_and_b32_e32 v37, v37, v38
	;; [unrolled: 8-line block ×5, first 2 shown]
	v_xor_b32_e32 v38, vcc_hi, v19
	v_xor_b32_e32 v19, vcc_lo, v19
	v_and_b32_e32 v37, v37, v38
	v_and_b32_e32 v38, v21, v19
	v_lshlrev_b32_e32 v19, 24, v20
	v_cmp_gt_i64_e32 vcc, 0, v[18:19]
	v_not_b32_e32 v19, v19
	v_ashrrev_i32_e32 v19, 31, v19
	v_xor_b32_e32 v20, vcc_hi, v19
	v_xor_b32_e32 v19, vcc_lo, v19
	; wave barrier
	ds_read_b32 v35, v39 offset:64
	v_and_b32_e32 v21, v37, v20
	v_and_b32_e32 v20, v38, v19
	v_mbcnt_lo_u32_b32 v19, v20, 0
	v_mbcnt_hi_u32_b32 v37, v21, v19
	v_cmp_eq_u32_e32 vcc, 0, v37
	v_cmp_ne_u64_e64 s[2:3], 0, v[20:21]
	s_and_b64 s[4:5], s[2:3], vcc
	; wave barrier
	s_and_saveexec_b64 s[2:3], s[4:5]
	s_cbranch_execz .LBB868_77
; %bb.76:
	v_bcnt_u32_b32 v19, v20, 0
	v_bcnt_u32_b32 v19, v21, v19
	s_waitcnt lgkmcnt(0)
	v_add_u32_e32 v19, v35, v19
	ds_write_b32 v39, v19 offset:64
.LBB868_77:
	s_or_b64 exec, exec, s[2:3]
	s_waitcnt vmcnt(2)
	v_lshrrev_b64 v[20:21], s20, v[12:13]
	v_and_b32_e32 v20, s21, v20
	v_lshl_add_u32 v19, v20, 4, v20
	v_add_lshl_u32 v42, v33, v19, 2
	v_and_b32_e32 v19, 1, v20
	v_add_co_u32_e32 v21, vcc, -1, v19
	v_addc_co_u32_e64 v40, s[2:3], 0, -1, vcc
	v_cmp_ne_u32_e32 vcc, 0, v19
	v_xor_b32_e32 v19, vcc_hi, v40
	v_and_b32_e32 v40, exec_hi, v19
	v_lshlrev_b32_e32 v19, 30, v20
	v_xor_b32_e32 v21, vcc_lo, v21
	v_cmp_gt_i64_e32 vcc, 0, v[18:19]
	v_not_b32_e32 v19, v19
	v_ashrrev_i32_e32 v19, 31, v19
	v_and_b32_e32 v21, exec_lo, v21
	v_xor_b32_e32 v41, vcc_hi, v19
	v_xor_b32_e32 v19, vcc_lo, v19
	v_and_b32_e32 v21, v21, v19
	v_lshlrev_b32_e32 v19, 29, v20
	v_cmp_gt_i64_e32 vcc, 0, v[18:19]
	v_not_b32_e32 v19, v19
	v_ashrrev_i32_e32 v19, 31, v19
	v_and_b32_e32 v40, v40, v41
	v_xor_b32_e32 v41, vcc_hi, v19
	v_xor_b32_e32 v19, vcc_lo, v19
	v_and_b32_e32 v21, v21, v19
	v_lshlrev_b32_e32 v19, 28, v20
	v_cmp_gt_i64_e32 vcc, 0, v[18:19]
	v_not_b32_e32 v19, v19
	v_ashrrev_i32_e32 v19, 31, v19
	v_and_b32_e32 v40, v40, v41
	;; [unrolled: 8-line block ×5, first 2 shown]
	v_xor_b32_e32 v41, vcc_hi, v19
	v_xor_b32_e32 v19, vcc_lo, v19
	v_and_b32_e32 v21, v21, v19
	v_lshlrev_b32_e32 v19, 24, v20
	v_cmp_gt_i64_e32 vcc, 0, v[18:19]
	v_not_b32_e32 v18, v19
	v_ashrrev_i32_e32 v18, 31, v18
	v_xor_b32_e32 v19, vcc_hi, v18
	v_xor_b32_e32 v18, vcc_lo, v18
	; wave barrier
	ds_read_b32 v38, v42 offset:64
	v_and_b32_e32 v40, v40, v41
	v_and_b32_e32 v18, v21, v18
	;; [unrolled: 1-line block ×3, first 2 shown]
	v_mbcnt_lo_u32_b32 v20, v18, 0
	v_mbcnt_hi_u32_b32 v40, v19, v20
	v_cmp_eq_u32_e32 vcc, 0, v40
	v_cmp_ne_u64_e64 s[2:3], 0, v[18:19]
	s_and_b64 s[4:5], s[2:3], vcc
	; wave barrier
	s_and_saveexec_b64 s[2:3], s[4:5]
	s_cbranch_execz .LBB868_79
; %bb.78:
	v_bcnt_u32_b32 v18, v18, 0
	v_bcnt_u32_b32 v18, v19, v18
	s_waitcnt lgkmcnt(0)
	v_add_u32_e32 v18, v38, v18
	ds_write_b32 v42, v18 offset:64
.LBB868_79:
	s_or_b64 exec, exec, s[2:3]
	s_waitcnt vmcnt(1)
	v_lshrrev_b64 v[18:19], s20, v[14:15]
	v_and_b32_e32 v20, s21, v18
	v_and_b32_e32 v19, 1, v20
	v_add_co_u32_e32 v21, vcc, -1, v19
	v_addc_co_u32_e64 v43, s[2:3], 0, -1, vcc
	v_cmp_ne_u32_e32 vcc, 0, v19
	v_lshl_add_u32 v18, v20, 4, v20
	v_xor_b32_e32 v19, vcc_hi, v43
	v_add_lshl_u32 v44, v33, v18, 2
	v_mov_b32_e32 v18, 0
	v_and_b32_e32 v43, exec_hi, v19
	v_lshlrev_b32_e32 v19, 30, v20
	v_xor_b32_e32 v21, vcc_lo, v21
	v_cmp_gt_i64_e32 vcc, 0, v[18:19]
	v_not_b32_e32 v19, v19
	v_ashrrev_i32_e32 v19, 31, v19
	v_and_b32_e32 v21, exec_lo, v21
	v_xor_b32_e32 v45, vcc_hi, v19
	v_xor_b32_e32 v19, vcc_lo, v19
	v_and_b32_e32 v21, v21, v19
	v_lshlrev_b32_e32 v19, 29, v20
	v_cmp_gt_i64_e32 vcc, 0, v[18:19]
	v_not_b32_e32 v19, v19
	v_ashrrev_i32_e32 v19, 31, v19
	v_and_b32_e32 v43, v43, v45
	v_xor_b32_e32 v45, vcc_hi, v19
	v_xor_b32_e32 v19, vcc_lo, v19
	v_and_b32_e32 v21, v21, v19
	v_lshlrev_b32_e32 v19, 28, v20
	v_cmp_gt_i64_e32 vcc, 0, v[18:19]
	v_not_b32_e32 v19, v19
	v_ashrrev_i32_e32 v19, 31, v19
	v_and_b32_e32 v43, v43, v45
	;; [unrolled: 8-line block ×5, first 2 shown]
	v_xor_b32_e32 v45, vcc_hi, v19
	v_xor_b32_e32 v19, vcc_lo, v19
	v_and_b32_e32 v43, v43, v45
	v_and_b32_e32 v45, v21, v19
	v_lshlrev_b32_e32 v19, 24, v20
	v_cmp_gt_i64_e32 vcc, 0, v[18:19]
	v_not_b32_e32 v19, v19
	v_ashrrev_i32_e32 v19, 31, v19
	v_xor_b32_e32 v20, vcc_hi, v19
	v_xor_b32_e32 v19, vcc_lo, v19
	; wave barrier
	ds_read_b32 v41, v44 offset:64
	v_and_b32_e32 v21, v43, v20
	v_and_b32_e32 v20, v45, v19
	v_mbcnt_lo_u32_b32 v19, v20, 0
	v_mbcnt_hi_u32_b32 v43, v21, v19
	v_cmp_eq_u32_e32 vcc, 0, v43
	v_cmp_ne_u64_e64 s[2:3], 0, v[20:21]
	s_and_b64 s[4:5], s[2:3], vcc
	; wave barrier
	s_and_saveexec_b64 s[2:3], s[4:5]
	s_cbranch_execz .LBB868_81
; %bb.80:
	v_bcnt_u32_b32 v19, v20, 0
	v_bcnt_u32_b32 v19, v21, v19
	s_waitcnt lgkmcnt(0)
	v_add_u32_e32 v19, v41, v19
	ds_write_b32 v44, v19 offset:64
.LBB868_81:
	s_or_b64 exec, exec, s[2:3]
	s_waitcnt vmcnt(0)
	v_lshrrev_b64 v[20:21], s20, v[16:17]
	v_and_b32_e32 v20, s21, v20
	v_lshl_add_u32 v19, v20, 4, v20
	v_add_lshl_u32 v46, v33, v19, 2
	v_and_b32_e32 v19, 1, v20
	v_add_co_u32_e32 v21, vcc, -1, v19
	v_addc_co_u32_e64 v45, s[2:3], 0, -1, vcc
	v_cmp_ne_u32_e32 vcc, 0, v19
	v_xor_b32_e32 v19, vcc_hi, v45
	v_and_b32_e32 v45, exec_hi, v19
	v_lshlrev_b32_e32 v19, 30, v20
	v_xor_b32_e32 v21, vcc_lo, v21
	v_cmp_gt_i64_e32 vcc, 0, v[18:19]
	v_not_b32_e32 v19, v19
	v_ashrrev_i32_e32 v19, 31, v19
	v_and_b32_e32 v21, exec_lo, v21
	v_xor_b32_e32 v48, vcc_hi, v19
	v_xor_b32_e32 v19, vcc_lo, v19
	v_and_b32_e32 v21, v21, v19
	v_lshlrev_b32_e32 v19, 29, v20
	v_cmp_gt_i64_e32 vcc, 0, v[18:19]
	v_not_b32_e32 v19, v19
	v_ashrrev_i32_e32 v19, 31, v19
	v_and_b32_e32 v45, v45, v48
	v_xor_b32_e32 v48, vcc_hi, v19
	v_xor_b32_e32 v19, vcc_lo, v19
	v_and_b32_e32 v21, v21, v19
	v_lshlrev_b32_e32 v19, 28, v20
	v_cmp_gt_i64_e32 vcc, 0, v[18:19]
	v_not_b32_e32 v19, v19
	v_ashrrev_i32_e32 v19, 31, v19
	v_and_b32_e32 v45, v45, v48
	v_xor_b32_e32 v48, vcc_hi, v19
	v_xor_b32_e32 v19, vcc_lo, v19
	v_and_b32_e32 v21, v21, v19
	v_lshlrev_b32_e32 v19, 27, v20
	v_cmp_gt_i64_e32 vcc, 0, v[18:19]
	v_not_b32_e32 v19, v19
	v_ashrrev_i32_e32 v19, 31, v19
	v_and_b32_e32 v45, v45, v48
	v_xor_b32_e32 v48, vcc_hi, v19
	v_xor_b32_e32 v19, vcc_lo, v19
	v_and_b32_e32 v21, v21, v19
	v_lshlrev_b32_e32 v19, 26, v20
	v_cmp_gt_i64_e32 vcc, 0, v[18:19]
	v_not_b32_e32 v19, v19
	v_ashrrev_i32_e32 v19, 31, v19
	v_and_b32_e32 v45, v45, v48
	v_xor_b32_e32 v48, vcc_hi, v19
	v_xor_b32_e32 v19, vcc_lo, v19
	v_and_b32_e32 v21, v21, v19
	v_lshlrev_b32_e32 v19, 25, v20
	v_cmp_gt_i64_e32 vcc, 0, v[18:19]
	v_not_b32_e32 v19, v19
	v_ashrrev_i32_e32 v19, 31, v19
	v_and_b32_e32 v45, v45, v48
	v_xor_b32_e32 v48, vcc_hi, v19
	v_xor_b32_e32 v19, vcc_lo, v19
	v_and_b32_e32 v21, v21, v19
	v_lshlrev_b32_e32 v19, 24, v20
	v_cmp_gt_i64_e32 vcc, 0, v[18:19]
	v_not_b32_e32 v18, v19
	v_ashrrev_i32_e32 v18, 31, v18
	v_xor_b32_e32 v19, vcc_hi, v18
	v_xor_b32_e32 v18, vcc_lo, v18
	; wave barrier
	ds_read_b32 v33, v46 offset:64
	v_and_b32_e32 v45, v45, v48
	v_and_b32_e32 v18, v21, v18
	;; [unrolled: 1-line block ×3, first 2 shown]
	v_mbcnt_lo_u32_b32 v20, v18, 0
	v_mbcnt_hi_u32_b32 v45, v19, v20
	v_cmp_eq_u32_e32 vcc, 0, v45
	v_cmp_ne_u64_e64 s[2:3], 0, v[18:19]
	v_add_u32_e32 v47, 64, v23
	s_and_b64 s[4:5], s[2:3], vcc
	; wave barrier
	s_and_saveexec_b64 s[2:3], s[4:5]
	s_cbranch_execz .LBB868_83
; %bb.82:
	v_bcnt_u32_b32 v18, v18, 0
	v_bcnt_u32_b32 v18, v19, v18
	s_waitcnt lgkmcnt(0)
	v_add_u32_e32 v18, v33, v18
	ds_write_b32 v46, v18 offset:64
.LBB868_83:
	s_or_b64 exec, exec, s[2:3]
	; wave barrier
	s_waitcnt lgkmcnt(0)
	s_barrier
	ds_read2_b32 v[20:21], v23 offset0:16 offset1:17
	ds_read2_b32 v[18:19], v47 offset0:2 offset1:3
	ds_read_b32 v48, v47 offset:16
	v_cmp_lt_u32_e64 s[8:9], 31, v22
	s_waitcnt lgkmcnt(1)
	v_add3_u32 v49, v21, v20, v18
	s_waitcnt lgkmcnt(0)
	v_add3_u32 v48, v49, v19, v48
	v_and_b32_e32 v49, 15, v22
	v_cmp_eq_u32_e32 vcc, 0, v49
	v_mov_b32_dpp v50, v48 row_shr:1 row_mask:0xf bank_mask:0xf
	v_cndmask_b32_e64 v50, v50, 0, vcc
	v_add_u32_e32 v48, v50, v48
	v_cmp_lt_u32_e64 s[2:3], 1, v49
	v_cmp_lt_u32_e64 s[4:5], 3, v49
	v_mov_b32_dpp v50, v48 row_shr:2 row_mask:0xf bank_mask:0xf
	v_cndmask_b32_e64 v50, 0, v50, s[2:3]
	v_add_u32_e32 v48, v48, v50
	v_cmp_lt_u32_e64 s[6:7], 7, v49
	s_nop 0
	v_mov_b32_dpp v50, v48 row_shr:4 row_mask:0xf bank_mask:0xf
	v_cndmask_b32_e64 v50, 0, v50, s[4:5]
	v_add_u32_e32 v48, v48, v50
	s_nop 1
	v_mov_b32_dpp v50, v48 row_shr:8 row_mask:0xf bank_mask:0xf
	v_cndmask_b32_e64 v49, 0, v50, s[6:7]
	v_add_u32_e32 v48, v48, v49
	v_bfe_i32 v50, v22, 4, 1
	s_nop 0
	v_mov_b32_dpp v49, v48 row_bcast:15 row_mask:0xf bank_mask:0xf
	v_and_b32_e32 v49, v50, v49
	v_add_u32_e32 v48, v48, v49
	v_and_b32_e32 v50, 63, v2
	s_nop 0
	v_mov_b32_dpp v49, v48 row_bcast:31 row_mask:0xf bank_mask:0xf
	v_cndmask_b32_e64 v49, 0, v49, s[8:9]
	v_add_u32_e32 v48, v48, v49
	v_lshrrev_b32_e32 v49, 6, v2
	v_cmp_eq_u32_e64 s[8:9], 63, v50
	s_and_saveexec_b64 s[12:13], s[8:9]
	s_cbranch_execz .LBB868_85
; %bb.84:
	v_lshlrev_b32_e32 v50, 2, v49
	ds_write_b32 v50, v48
.LBB868_85:
	s_or_b64 exec, exec, s[12:13]
	v_cmp_gt_u32_e64 s[8:9], 16, v2
	s_waitcnt lgkmcnt(0)
	s_barrier
	s_and_saveexec_b64 s[12:13], s[8:9]
	s_cbranch_execz .LBB868_87
; %bb.86:
	v_lshlrev_b32_e32 v50, 2, v2
	ds_read_b32 v51, v50
	s_waitcnt lgkmcnt(0)
	s_nop 0
	v_mov_b32_dpp v52, v51 row_shr:1 row_mask:0xf bank_mask:0xf
	v_cndmask_b32_e64 v52, v52, 0, vcc
	v_add_u32_e32 v51, v52, v51
	s_nop 1
	v_mov_b32_dpp v52, v51 row_shr:2 row_mask:0xf bank_mask:0xf
	v_cndmask_b32_e64 v52, 0, v52, s[2:3]
	v_add_u32_e32 v51, v51, v52
	s_nop 1
	v_mov_b32_dpp v52, v51 row_shr:4 row_mask:0xf bank_mask:0xf
	v_cndmask_b32_e64 v52, 0, v52, s[4:5]
	;; [unrolled: 4-line block ×3, first 2 shown]
	v_add_u32_e32 v51, v51, v52
	ds_write_b32 v50, v51
.LBB868_87:
	s_or_b64 exec, exec, s[12:13]
	v_cmp_lt_u32_e32 vcc, 63, v2
	v_mov_b32_e32 v50, 0
	s_waitcnt lgkmcnt(0)
	s_barrier
	s_and_saveexec_b64 s[2:3], vcc
	s_cbranch_execz .LBB868_89
; %bb.88:
	v_lshl_add_u32 v49, v49, 2, -4
	ds_read_b32 v50, v49
.LBB868_89:
	s_or_b64 exec, exec, s[2:3]
	v_add_u32_e32 v49, -1, v22
	v_and_b32_e32 v51, 64, v22
	v_cmp_lt_i32_e32 vcc, v49, v51
	v_cndmask_b32_e32 v49, v49, v22, vcc
	s_waitcnt lgkmcnt(0)
	v_add_u32_e32 v48, v50, v48
	v_lshlrev_b32_e32 v49, 2, v49
	ds_bpermute_b32 v48, v49, v48
	v_cmp_eq_u32_e32 vcc, 0, v22
	s_waitcnt lgkmcnt(0)
	v_cndmask_b32_e32 v22, v48, v50, vcc
	v_cndmask_b32_e64 v22, v22, 0, s[0:1]
	v_add_u32_e32 v20, v22, v20
	v_add_u32_e32 v21, v20, v21
	;; [unrolled: 1-line block ×4, first 2 shown]
	ds_write2_b32 v23, v22, v20 offset0:16 offset1:17
	ds_write2_b32 v47, v21, v18 offset0:2 offset1:3
	ds_write_b32 v47, v19 offset:16
	s_waitcnt lgkmcnt(0)
	s_barrier
	ds_read_b32 v48, v26 offset:64
	ds_read_b32 v47, v29 offset:64
	;; [unrolled: 1-line block ×8, first 2 shown]
	s_movk_i32 s0, 0x100
	v_cmp_gt_u32_e32 vcc, s0, v2
                                        ; implicit-def: $vgpr26
                                        ; implicit-def: $vgpr29
	s_and_saveexec_b64 s[2:3], vcc
	s_cbranch_execz .LBB868_93
; %bb.90:
	v_mul_u32_u24_e32 v18, 17, v2
	v_lshlrev_b32_e32 v19, 2, v18
	ds_read_b32 v26, v19 offset:64
	s_movk_i32 s0, 0xff
	v_cmp_ne_u32_e64 s[0:1], s0, v2
	v_mov_b32_e32 v18, 0x2000
	s_and_saveexec_b64 s[4:5], s[0:1]
	s_cbranch_execz .LBB868_92
; %bb.91:
	ds_read_b32 v18, v19 offset:132
.LBB868_92:
	s_or_b64 exec, exec, s[4:5]
	s_waitcnt lgkmcnt(0)
	v_sub_u32_e32 v29, v18, v26
.LBB868_93:
	s_or_b64 exec, exec, s[2:3]
	s_waitcnt lgkmcnt(0)
	s_barrier
	s_and_saveexec_b64 s[2:3], vcc
	s_cbranch_execz .LBB868_103
; %bb.94:
	v_lshl_or_b32 v18, s28, 8, v2
	v_mov_b32_e32 v19, 0
	v_lshlrev_b64 v[20:21], 2, v[18:19]
	v_mov_b32_e32 v49, s15
	v_add_co_u32_e64 v20, s[0:1], s14, v20
	v_addc_co_u32_e64 v21, s[0:1], v49, v21, s[0:1]
	v_or_b32_e32 v18, 2.0, v29
	s_mov_b64 s[4:5], 0
	s_brev_b32 s12, 1
	s_mov_b32 s13, s28
	v_mov_b32_e32 v50, 0
	global_store_dword v[20:21], v18, off
                                        ; implicit-def: $sgpr0_sgpr1
	s_branch .LBB868_97
.LBB868_95:                             ;   in Loop: Header=BB868_97 Depth=1
	s_or_b64 exec, exec, s[8:9]
.LBB868_96:                             ;   in Loop: Header=BB868_97 Depth=1
	s_or_b64 exec, exec, s[6:7]
	v_and_b32_e32 v22, 0x3fffffff, v51
	v_add_u32_e32 v50, v22, v50
	v_cmp_eq_u32_e64 s[0:1], s12, v18
	s_and_b64 s[6:7], exec, s[0:1]
	s_or_b64 s[4:5], s[6:7], s[4:5]
	s_andn2_b64 exec, exec, s[4:5]
	s_cbranch_execz .LBB868_102
.LBB868_97:                             ; =>This Loop Header: Depth=1
                                        ;     Child Loop BB868_100 Depth 2
	s_or_b64 s[0:1], s[0:1], exec
	s_cmp_eq_u32 s13, 0
	s_cbranch_scc1 .LBB868_101
; %bb.98:                               ;   in Loop: Header=BB868_97 Depth=1
	s_add_i32 s13, s13, -1
	v_lshl_or_b32 v18, s13, 8, v2
	v_lshlrev_b64 v[22:23], 2, v[18:19]
	v_add_co_u32_e64 v22, s[0:1], s14, v22
	v_addc_co_u32_e64 v23, s[0:1], v49, v23, s[0:1]
	global_load_dword v51, v[22:23], off glc
	s_waitcnt vmcnt(0)
	v_and_b32_e32 v18, -2.0, v51
	v_cmp_eq_u32_e64 s[0:1], 0, v18
	s_and_saveexec_b64 s[6:7], s[0:1]
	s_cbranch_execz .LBB868_96
; %bb.99:                               ;   in Loop: Header=BB868_97 Depth=1
	s_mov_b64 s[8:9], 0
.LBB868_100:                            ;   Parent Loop BB868_97 Depth=1
                                        ; =>  This Inner Loop Header: Depth=2
	global_load_dword v51, v[22:23], off glc
	s_waitcnt vmcnt(0)
	v_and_b32_e32 v18, -2.0, v51
	v_cmp_ne_u32_e64 s[0:1], 0, v18
	s_or_b64 s[8:9], s[0:1], s[8:9]
	s_andn2_b64 exec, exec, s[8:9]
	s_cbranch_execnz .LBB868_100
	s_branch .LBB868_95
.LBB868_101:                            ;   in Loop: Header=BB868_97 Depth=1
                                        ; implicit-def: $sgpr13
	s_and_b64 s[6:7], exec, s[0:1]
	s_or_b64 s[4:5], s[6:7], s[4:5]
	s_andn2_b64 exec, exec, s[4:5]
	s_cbranch_execnz .LBB868_97
.LBB868_102:
	s_or_b64 exec, exec, s[4:5]
	v_add_u32_e32 v18, v50, v29
	v_or_b32_e32 v18, 0x80000000, v18
	global_store_dword v[20:21], v18, off
	v_lshlrev_b32_e32 v18, 2, v2
	global_load_dword v19, v18, s[16:17]
	v_sub_u32_e32 v20, v50, v26
	s_waitcnt vmcnt(0)
	v_add_u32_e32 v19, v20, v19
	ds_write_b32 v18, v19
.LBB868_103:
	s_or_b64 exec, exec, s[2:3]
	v_add_u32_e32 v20, v48, v24
	s_movk_i32 s2, 0x400
	v_add_u32_e32 v21, 0x400, v3
	v_add3_u32 v22, v45, v46, v33
	v_add3_u32 v23, v43, v44, v41
	;; [unrolled: 1-line block ×7, first 2 shown]
	s_mov_b32 s3, 0
	v_mov_b32_e32 v27, s27
	v_mov_b32_e32 v19, 0
	;; [unrolled: 1-line block ×3, first 2 shown]
.LBB868_104:                            ; =>This Inner Loop Header: Depth=1
	v_add_u32_e32 v18, s3, v20
	v_add_u32_e32 v34, s3, v28
	;; [unrolled: 1-line block ×8, first 2 shown]
	v_min_u32_e32 v18, 0x800, v18
	v_min_u32_e32 v34, 0x800, v34
	v_min_u32_e32 v35, 0x800, v35
	v_min_u32_e32 v32, 0x800, v32
	v_min_u32_e32 v36, 0x800, v36
	v_min_u32_e32 v37, 0x800, v37
	v_min_u32_e32 v38, 0x800, v38
	v_min_u32_e32 v39, 0x800, v39
	v_lshlrev_b32_e32 v18, 3, v18
	v_lshlrev_b32_e32 v34, 3, v34
	;; [unrolled: 1-line block ×8, first 2 shown]
	ds_write_b64 v18, v[4:5] offset:1024
	ds_write_b64 v32, v[0:1] offset:1024
	;; [unrolled: 1-line block ×8, first 2 shown]
	s_waitcnt lgkmcnt(0)
	s_barrier
	ds_read_b64 v[34:35], v3 offset:1024
	s_addk_i32 s3, 0xf800
	s_cmpk_lg_i32 s3, 0xe000
	s_waitcnt lgkmcnt(0)
	v_lshrrev_b64 v[36:37], s20, v[34:35]
	v_and_b32_e32 v18, s21, v36
	v_lshlrev_b32_e32 v18, 2, v18
	ds_read_b32 v18, v18
	ds_read_b64 v[36:37], v21 offset:8192
	s_waitcnt lgkmcnt(1)
	v_add_u32_e32 v18, v30, v18
	s_waitcnt lgkmcnt(0)
	v_lshrrev_b64 v[38:39], s20, v[36:37]
	v_lshlrev_b64 v[40:41], 3, v[18:19]
	v_and_b32_e32 v18, s21, v38
	v_lshlrev_b32_e32 v18, 2, v18
	ds_read_b32 v18, v18
	v_add_co_u32_e64 v38, s[0:1], s26, v40
	v_addc_co_u32_e64 v39, s[0:1], v27, v41, s[0:1]
	s_waitcnt lgkmcnt(0)
	v_add3_u32 v18, v30, v18, s2
	global_store_dwordx2 v[38:39], v[34:35], off
	v_lshlrev_b64 v[34:35], 3, v[18:19]
	v_add_co_u32_e64 v34, s[0:1], s26, v34
	v_add_u32_e32 v30, 0x800, v30
	v_addc_co_u32_e64 v35, s[0:1], v27, v35, s[0:1]
	global_store_dwordx2 v[34:35], v[36:37], off
	s_barrier
	s_cbranch_scc1 .LBB868_104
; %bb.105:
	s_add_i32 s22, s22, -1
	s_cmp_eq_u32 s22, s28
	s_cselect_b64 s[0:1], -1, 0
	s_and_b64 s[2:3], vcc, s[0:1]
                                        ; implicit-def: $vgpr4
	s_and_saveexec_b64 s[0:1], s[2:3]
; %bb.106:
	v_add_u32_e32 v4, v26, v29
	s_or_b64 s[10:11], s[10:11], exec
; %bb.107:
	s_or_b64 exec, exec, s[0:1]
.LBB868_108:
	s_and_saveexec_b64 s[0:1], s[10:11]
	s_cbranch_execnz .LBB868_110
; %bb.109:
	s_endpgm
.LBB868_110:
	v_lshlrev_b32_e32 v0, 2, v2
	ds_read_b32 v1, v0
	s_waitcnt lgkmcnt(0)
	v_add_u32_e32 v1, v1, v4
	global_store_dword v0, v1, s[18:19]
	s_endpgm
	.section	.rodata,"a",@progbits
	.p2align	6, 0x0
	.amdhsa_kernel _ZN7rocprim17ROCPRIM_400000_NS6detail17trampoline_kernelINS0_14default_configENS1_35radix_sort_onesweep_config_selectorIyNS0_10empty_typeEEEZZNS1_29radix_sort_onesweep_iterationIS3_Lb0EN6thrust23THRUST_200600_302600_NS6detail15normal_iteratorINS9_10device_ptrIyEEEESE_PS5_SF_jNS0_19identity_decomposerENS1_16block_id_wrapperIjLb1EEEEE10hipError_tT1_PNSt15iterator_traitsISK_E10value_typeET2_T3_PNSL_ISQ_E10value_typeET4_T5_PSV_SW_PNS1_23onesweep_lookback_stateEbbT6_jjT7_P12ihipStream_tbENKUlT_T0_SK_SP_E_clISE_SE_SF_SF_EEDaS13_S14_SK_SP_EUlS13_E_NS1_11comp_targetILNS1_3genE4ELNS1_11target_archE910ELNS1_3gpuE8ELNS1_3repE0EEENS1_47radix_sort_onesweep_sort_config_static_selectorELNS0_4arch9wavefront6targetE1EEEvSK_
		.amdhsa_group_segment_fixed_size 20552
		.amdhsa_private_segment_fixed_size 0
		.amdhsa_kernarg_size 344
		.amdhsa_user_sgpr_count 6
		.amdhsa_user_sgpr_private_segment_buffer 1
		.amdhsa_user_sgpr_dispatch_ptr 0
		.amdhsa_user_sgpr_queue_ptr 0
		.amdhsa_user_sgpr_kernarg_segment_ptr 1
		.amdhsa_user_sgpr_dispatch_id 0
		.amdhsa_user_sgpr_flat_scratch_init 0
		.amdhsa_user_sgpr_kernarg_preload_length 0
		.amdhsa_user_sgpr_kernarg_preload_offset 0
		.amdhsa_user_sgpr_private_segment_size 0
		.amdhsa_uses_dynamic_stack 0
		.amdhsa_system_sgpr_private_segment_wavefront_offset 0
		.amdhsa_system_sgpr_workgroup_id_x 1
		.amdhsa_system_sgpr_workgroup_id_y 0
		.amdhsa_system_sgpr_workgroup_id_z 0
		.amdhsa_system_sgpr_workgroup_info 0
		.amdhsa_system_vgpr_workitem_id 2
		.amdhsa_next_free_vgpr 55
		.amdhsa_next_free_sgpr 34
		.amdhsa_accum_offset 56
		.amdhsa_reserve_vcc 1
		.amdhsa_reserve_flat_scratch 0
		.amdhsa_float_round_mode_32 0
		.amdhsa_float_round_mode_16_64 0
		.amdhsa_float_denorm_mode_32 3
		.amdhsa_float_denorm_mode_16_64 3
		.amdhsa_dx10_clamp 1
		.amdhsa_ieee_mode 1
		.amdhsa_fp16_overflow 0
		.amdhsa_tg_split 0
		.amdhsa_exception_fp_ieee_invalid_op 0
		.amdhsa_exception_fp_denorm_src 0
		.amdhsa_exception_fp_ieee_div_zero 0
		.amdhsa_exception_fp_ieee_overflow 0
		.amdhsa_exception_fp_ieee_underflow 0
		.amdhsa_exception_fp_ieee_inexact 0
		.amdhsa_exception_int_div_zero 0
	.end_amdhsa_kernel
	.section	.text._ZN7rocprim17ROCPRIM_400000_NS6detail17trampoline_kernelINS0_14default_configENS1_35radix_sort_onesweep_config_selectorIyNS0_10empty_typeEEEZZNS1_29radix_sort_onesweep_iterationIS3_Lb0EN6thrust23THRUST_200600_302600_NS6detail15normal_iteratorINS9_10device_ptrIyEEEESE_PS5_SF_jNS0_19identity_decomposerENS1_16block_id_wrapperIjLb1EEEEE10hipError_tT1_PNSt15iterator_traitsISK_E10value_typeET2_T3_PNSL_ISQ_E10value_typeET4_T5_PSV_SW_PNS1_23onesweep_lookback_stateEbbT6_jjT7_P12ihipStream_tbENKUlT_T0_SK_SP_E_clISE_SE_SF_SF_EEDaS13_S14_SK_SP_EUlS13_E_NS1_11comp_targetILNS1_3genE4ELNS1_11target_archE910ELNS1_3gpuE8ELNS1_3repE0EEENS1_47radix_sort_onesweep_sort_config_static_selectorELNS0_4arch9wavefront6targetE1EEEvSK_,"axG",@progbits,_ZN7rocprim17ROCPRIM_400000_NS6detail17trampoline_kernelINS0_14default_configENS1_35radix_sort_onesweep_config_selectorIyNS0_10empty_typeEEEZZNS1_29radix_sort_onesweep_iterationIS3_Lb0EN6thrust23THRUST_200600_302600_NS6detail15normal_iteratorINS9_10device_ptrIyEEEESE_PS5_SF_jNS0_19identity_decomposerENS1_16block_id_wrapperIjLb1EEEEE10hipError_tT1_PNSt15iterator_traitsISK_E10value_typeET2_T3_PNSL_ISQ_E10value_typeET4_T5_PSV_SW_PNS1_23onesweep_lookback_stateEbbT6_jjT7_P12ihipStream_tbENKUlT_T0_SK_SP_E_clISE_SE_SF_SF_EEDaS13_S14_SK_SP_EUlS13_E_NS1_11comp_targetILNS1_3genE4ELNS1_11target_archE910ELNS1_3gpuE8ELNS1_3repE0EEENS1_47radix_sort_onesweep_sort_config_static_selectorELNS0_4arch9wavefront6targetE1EEEvSK_,comdat
.Lfunc_end868:
	.size	_ZN7rocprim17ROCPRIM_400000_NS6detail17trampoline_kernelINS0_14default_configENS1_35radix_sort_onesweep_config_selectorIyNS0_10empty_typeEEEZZNS1_29radix_sort_onesweep_iterationIS3_Lb0EN6thrust23THRUST_200600_302600_NS6detail15normal_iteratorINS9_10device_ptrIyEEEESE_PS5_SF_jNS0_19identity_decomposerENS1_16block_id_wrapperIjLb1EEEEE10hipError_tT1_PNSt15iterator_traitsISK_E10value_typeET2_T3_PNSL_ISQ_E10value_typeET4_T5_PSV_SW_PNS1_23onesweep_lookback_stateEbbT6_jjT7_P12ihipStream_tbENKUlT_T0_SK_SP_E_clISE_SE_SF_SF_EEDaS13_S14_SK_SP_EUlS13_E_NS1_11comp_targetILNS1_3genE4ELNS1_11target_archE910ELNS1_3gpuE8ELNS1_3repE0EEENS1_47radix_sort_onesweep_sort_config_static_selectorELNS0_4arch9wavefront6targetE1EEEvSK_, .Lfunc_end868-_ZN7rocprim17ROCPRIM_400000_NS6detail17trampoline_kernelINS0_14default_configENS1_35radix_sort_onesweep_config_selectorIyNS0_10empty_typeEEEZZNS1_29radix_sort_onesweep_iterationIS3_Lb0EN6thrust23THRUST_200600_302600_NS6detail15normal_iteratorINS9_10device_ptrIyEEEESE_PS5_SF_jNS0_19identity_decomposerENS1_16block_id_wrapperIjLb1EEEEE10hipError_tT1_PNSt15iterator_traitsISK_E10value_typeET2_T3_PNSL_ISQ_E10value_typeET4_T5_PSV_SW_PNS1_23onesweep_lookback_stateEbbT6_jjT7_P12ihipStream_tbENKUlT_T0_SK_SP_E_clISE_SE_SF_SF_EEDaS13_S14_SK_SP_EUlS13_E_NS1_11comp_targetILNS1_3genE4ELNS1_11target_archE910ELNS1_3gpuE8ELNS1_3repE0EEENS1_47radix_sort_onesweep_sort_config_static_selectorELNS0_4arch9wavefront6targetE1EEEvSK_
                                        ; -- End function
	.section	.AMDGPU.csdata,"",@progbits
; Kernel info:
; codeLenInByte = 10296
; NumSgprs: 38
; NumVgprs: 55
; NumAgprs: 0
; TotalNumVgprs: 55
; ScratchSize: 0
; MemoryBound: 0
; FloatMode: 240
; IeeeMode: 1
; LDSByteSize: 20552 bytes/workgroup (compile time only)
; SGPRBlocks: 4
; VGPRBlocks: 6
; NumSGPRsForWavesPerEU: 38
; NumVGPRsForWavesPerEU: 55
; AccumOffset: 56
; Occupancy: 8
; WaveLimiterHint : 1
; COMPUTE_PGM_RSRC2:SCRATCH_EN: 0
; COMPUTE_PGM_RSRC2:USER_SGPR: 6
; COMPUTE_PGM_RSRC2:TRAP_HANDLER: 0
; COMPUTE_PGM_RSRC2:TGID_X_EN: 1
; COMPUTE_PGM_RSRC2:TGID_Y_EN: 0
; COMPUTE_PGM_RSRC2:TGID_Z_EN: 0
; COMPUTE_PGM_RSRC2:TIDIG_COMP_CNT: 2
; COMPUTE_PGM_RSRC3_GFX90A:ACCUM_OFFSET: 13
; COMPUTE_PGM_RSRC3_GFX90A:TG_SPLIT: 0
	.section	.text._ZN7rocprim17ROCPRIM_400000_NS6detail17trampoline_kernelINS0_14default_configENS1_35radix_sort_onesweep_config_selectorIyNS0_10empty_typeEEEZZNS1_29radix_sort_onesweep_iterationIS3_Lb0EN6thrust23THRUST_200600_302600_NS6detail15normal_iteratorINS9_10device_ptrIyEEEESE_PS5_SF_jNS0_19identity_decomposerENS1_16block_id_wrapperIjLb1EEEEE10hipError_tT1_PNSt15iterator_traitsISK_E10value_typeET2_T3_PNSL_ISQ_E10value_typeET4_T5_PSV_SW_PNS1_23onesweep_lookback_stateEbbT6_jjT7_P12ihipStream_tbENKUlT_T0_SK_SP_E_clISE_SE_SF_SF_EEDaS13_S14_SK_SP_EUlS13_E_NS1_11comp_targetILNS1_3genE3ELNS1_11target_archE908ELNS1_3gpuE7ELNS1_3repE0EEENS1_47radix_sort_onesweep_sort_config_static_selectorELNS0_4arch9wavefront6targetE1EEEvSK_,"axG",@progbits,_ZN7rocprim17ROCPRIM_400000_NS6detail17trampoline_kernelINS0_14default_configENS1_35radix_sort_onesweep_config_selectorIyNS0_10empty_typeEEEZZNS1_29radix_sort_onesweep_iterationIS3_Lb0EN6thrust23THRUST_200600_302600_NS6detail15normal_iteratorINS9_10device_ptrIyEEEESE_PS5_SF_jNS0_19identity_decomposerENS1_16block_id_wrapperIjLb1EEEEE10hipError_tT1_PNSt15iterator_traitsISK_E10value_typeET2_T3_PNSL_ISQ_E10value_typeET4_T5_PSV_SW_PNS1_23onesweep_lookback_stateEbbT6_jjT7_P12ihipStream_tbENKUlT_T0_SK_SP_E_clISE_SE_SF_SF_EEDaS13_S14_SK_SP_EUlS13_E_NS1_11comp_targetILNS1_3genE3ELNS1_11target_archE908ELNS1_3gpuE7ELNS1_3repE0EEENS1_47radix_sort_onesweep_sort_config_static_selectorELNS0_4arch9wavefront6targetE1EEEvSK_,comdat
	.protected	_ZN7rocprim17ROCPRIM_400000_NS6detail17trampoline_kernelINS0_14default_configENS1_35radix_sort_onesweep_config_selectorIyNS0_10empty_typeEEEZZNS1_29radix_sort_onesweep_iterationIS3_Lb0EN6thrust23THRUST_200600_302600_NS6detail15normal_iteratorINS9_10device_ptrIyEEEESE_PS5_SF_jNS0_19identity_decomposerENS1_16block_id_wrapperIjLb1EEEEE10hipError_tT1_PNSt15iterator_traitsISK_E10value_typeET2_T3_PNSL_ISQ_E10value_typeET4_T5_PSV_SW_PNS1_23onesweep_lookback_stateEbbT6_jjT7_P12ihipStream_tbENKUlT_T0_SK_SP_E_clISE_SE_SF_SF_EEDaS13_S14_SK_SP_EUlS13_E_NS1_11comp_targetILNS1_3genE3ELNS1_11target_archE908ELNS1_3gpuE7ELNS1_3repE0EEENS1_47radix_sort_onesweep_sort_config_static_selectorELNS0_4arch9wavefront6targetE1EEEvSK_ ; -- Begin function _ZN7rocprim17ROCPRIM_400000_NS6detail17trampoline_kernelINS0_14default_configENS1_35radix_sort_onesweep_config_selectorIyNS0_10empty_typeEEEZZNS1_29radix_sort_onesweep_iterationIS3_Lb0EN6thrust23THRUST_200600_302600_NS6detail15normal_iteratorINS9_10device_ptrIyEEEESE_PS5_SF_jNS0_19identity_decomposerENS1_16block_id_wrapperIjLb1EEEEE10hipError_tT1_PNSt15iterator_traitsISK_E10value_typeET2_T3_PNSL_ISQ_E10value_typeET4_T5_PSV_SW_PNS1_23onesweep_lookback_stateEbbT6_jjT7_P12ihipStream_tbENKUlT_T0_SK_SP_E_clISE_SE_SF_SF_EEDaS13_S14_SK_SP_EUlS13_E_NS1_11comp_targetILNS1_3genE3ELNS1_11target_archE908ELNS1_3gpuE7ELNS1_3repE0EEENS1_47radix_sort_onesweep_sort_config_static_selectorELNS0_4arch9wavefront6targetE1EEEvSK_
	.globl	_ZN7rocprim17ROCPRIM_400000_NS6detail17trampoline_kernelINS0_14default_configENS1_35radix_sort_onesweep_config_selectorIyNS0_10empty_typeEEEZZNS1_29radix_sort_onesweep_iterationIS3_Lb0EN6thrust23THRUST_200600_302600_NS6detail15normal_iteratorINS9_10device_ptrIyEEEESE_PS5_SF_jNS0_19identity_decomposerENS1_16block_id_wrapperIjLb1EEEEE10hipError_tT1_PNSt15iterator_traitsISK_E10value_typeET2_T3_PNSL_ISQ_E10value_typeET4_T5_PSV_SW_PNS1_23onesweep_lookback_stateEbbT6_jjT7_P12ihipStream_tbENKUlT_T0_SK_SP_E_clISE_SE_SF_SF_EEDaS13_S14_SK_SP_EUlS13_E_NS1_11comp_targetILNS1_3genE3ELNS1_11target_archE908ELNS1_3gpuE7ELNS1_3repE0EEENS1_47radix_sort_onesweep_sort_config_static_selectorELNS0_4arch9wavefront6targetE1EEEvSK_
	.p2align	8
	.type	_ZN7rocprim17ROCPRIM_400000_NS6detail17trampoline_kernelINS0_14default_configENS1_35radix_sort_onesweep_config_selectorIyNS0_10empty_typeEEEZZNS1_29radix_sort_onesweep_iterationIS3_Lb0EN6thrust23THRUST_200600_302600_NS6detail15normal_iteratorINS9_10device_ptrIyEEEESE_PS5_SF_jNS0_19identity_decomposerENS1_16block_id_wrapperIjLb1EEEEE10hipError_tT1_PNSt15iterator_traitsISK_E10value_typeET2_T3_PNSL_ISQ_E10value_typeET4_T5_PSV_SW_PNS1_23onesweep_lookback_stateEbbT6_jjT7_P12ihipStream_tbENKUlT_T0_SK_SP_E_clISE_SE_SF_SF_EEDaS13_S14_SK_SP_EUlS13_E_NS1_11comp_targetILNS1_3genE3ELNS1_11target_archE908ELNS1_3gpuE7ELNS1_3repE0EEENS1_47radix_sort_onesweep_sort_config_static_selectorELNS0_4arch9wavefront6targetE1EEEvSK_,@function
_ZN7rocprim17ROCPRIM_400000_NS6detail17trampoline_kernelINS0_14default_configENS1_35radix_sort_onesweep_config_selectorIyNS0_10empty_typeEEEZZNS1_29radix_sort_onesweep_iterationIS3_Lb0EN6thrust23THRUST_200600_302600_NS6detail15normal_iteratorINS9_10device_ptrIyEEEESE_PS5_SF_jNS0_19identity_decomposerENS1_16block_id_wrapperIjLb1EEEEE10hipError_tT1_PNSt15iterator_traitsISK_E10value_typeET2_T3_PNSL_ISQ_E10value_typeET4_T5_PSV_SW_PNS1_23onesweep_lookback_stateEbbT6_jjT7_P12ihipStream_tbENKUlT_T0_SK_SP_E_clISE_SE_SF_SF_EEDaS13_S14_SK_SP_EUlS13_E_NS1_11comp_targetILNS1_3genE3ELNS1_11target_archE908ELNS1_3gpuE7ELNS1_3repE0EEENS1_47radix_sort_onesweep_sort_config_static_selectorELNS0_4arch9wavefront6targetE1EEEvSK_: ; @_ZN7rocprim17ROCPRIM_400000_NS6detail17trampoline_kernelINS0_14default_configENS1_35radix_sort_onesweep_config_selectorIyNS0_10empty_typeEEEZZNS1_29radix_sort_onesweep_iterationIS3_Lb0EN6thrust23THRUST_200600_302600_NS6detail15normal_iteratorINS9_10device_ptrIyEEEESE_PS5_SF_jNS0_19identity_decomposerENS1_16block_id_wrapperIjLb1EEEEE10hipError_tT1_PNSt15iterator_traitsISK_E10value_typeET2_T3_PNSL_ISQ_E10value_typeET4_T5_PSV_SW_PNS1_23onesweep_lookback_stateEbbT6_jjT7_P12ihipStream_tbENKUlT_T0_SK_SP_E_clISE_SE_SF_SF_EEDaS13_S14_SK_SP_EUlS13_E_NS1_11comp_targetILNS1_3genE3ELNS1_11target_archE908ELNS1_3gpuE7ELNS1_3repE0EEENS1_47radix_sort_onesweep_sort_config_static_selectorELNS0_4arch9wavefront6targetE1EEEvSK_
; %bb.0:
	.section	.rodata,"a",@progbits
	.p2align	6, 0x0
	.amdhsa_kernel _ZN7rocprim17ROCPRIM_400000_NS6detail17trampoline_kernelINS0_14default_configENS1_35radix_sort_onesweep_config_selectorIyNS0_10empty_typeEEEZZNS1_29radix_sort_onesweep_iterationIS3_Lb0EN6thrust23THRUST_200600_302600_NS6detail15normal_iteratorINS9_10device_ptrIyEEEESE_PS5_SF_jNS0_19identity_decomposerENS1_16block_id_wrapperIjLb1EEEEE10hipError_tT1_PNSt15iterator_traitsISK_E10value_typeET2_T3_PNSL_ISQ_E10value_typeET4_T5_PSV_SW_PNS1_23onesweep_lookback_stateEbbT6_jjT7_P12ihipStream_tbENKUlT_T0_SK_SP_E_clISE_SE_SF_SF_EEDaS13_S14_SK_SP_EUlS13_E_NS1_11comp_targetILNS1_3genE3ELNS1_11target_archE908ELNS1_3gpuE7ELNS1_3repE0EEENS1_47radix_sort_onesweep_sort_config_static_selectorELNS0_4arch9wavefront6targetE1EEEvSK_
		.amdhsa_group_segment_fixed_size 0
		.amdhsa_private_segment_fixed_size 0
		.amdhsa_kernarg_size 88
		.amdhsa_user_sgpr_count 6
		.amdhsa_user_sgpr_private_segment_buffer 1
		.amdhsa_user_sgpr_dispatch_ptr 0
		.amdhsa_user_sgpr_queue_ptr 0
		.amdhsa_user_sgpr_kernarg_segment_ptr 1
		.amdhsa_user_sgpr_dispatch_id 0
		.amdhsa_user_sgpr_flat_scratch_init 0
		.amdhsa_user_sgpr_kernarg_preload_length 0
		.amdhsa_user_sgpr_kernarg_preload_offset 0
		.amdhsa_user_sgpr_private_segment_size 0
		.amdhsa_uses_dynamic_stack 0
		.amdhsa_system_sgpr_private_segment_wavefront_offset 0
		.amdhsa_system_sgpr_workgroup_id_x 1
		.amdhsa_system_sgpr_workgroup_id_y 0
		.amdhsa_system_sgpr_workgroup_id_z 0
		.amdhsa_system_sgpr_workgroup_info 0
		.amdhsa_system_vgpr_workitem_id 0
		.amdhsa_next_free_vgpr 1
		.amdhsa_next_free_sgpr 0
		.amdhsa_accum_offset 4
		.amdhsa_reserve_vcc 0
		.amdhsa_reserve_flat_scratch 0
		.amdhsa_float_round_mode_32 0
		.amdhsa_float_round_mode_16_64 0
		.amdhsa_float_denorm_mode_32 3
		.amdhsa_float_denorm_mode_16_64 3
		.amdhsa_dx10_clamp 1
		.amdhsa_ieee_mode 1
		.amdhsa_fp16_overflow 0
		.amdhsa_tg_split 0
		.amdhsa_exception_fp_ieee_invalid_op 0
		.amdhsa_exception_fp_denorm_src 0
		.amdhsa_exception_fp_ieee_div_zero 0
		.amdhsa_exception_fp_ieee_overflow 0
		.amdhsa_exception_fp_ieee_underflow 0
		.amdhsa_exception_fp_ieee_inexact 0
		.amdhsa_exception_int_div_zero 0
	.end_amdhsa_kernel
	.section	.text._ZN7rocprim17ROCPRIM_400000_NS6detail17trampoline_kernelINS0_14default_configENS1_35radix_sort_onesweep_config_selectorIyNS0_10empty_typeEEEZZNS1_29radix_sort_onesweep_iterationIS3_Lb0EN6thrust23THRUST_200600_302600_NS6detail15normal_iteratorINS9_10device_ptrIyEEEESE_PS5_SF_jNS0_19identity_decomposerENS1_16block_id_wrapperIjLb1EEEEE10hipError_tT1_PNSt15iterator_traitsISK_E10value_typeET2_T3_PNSL_ISQ_E10value_typeET4_T5_PSV_SW_PNS1_23onesweep_lookback_stateEbbT6_jjT7_P12ihipStream_tbENKUlT_T0_SK_SP_E_clISE_SE_SF_SF_EEDaS13_S14_SK_SP_EUlS13_E_NS1_11comp_targetILNS1_3genE3ELNS1_11target_archE908ELNS1_3gpuE7ELNS1_3repE0EEENS1_47radix_sort_onesweep_sort_config_static_selectorELNS0_4arch9wavefront6targetE1EEEvSK_,"axG",@progbits,_ZN7rocprim17ROCPRIM_400000_NS6detail17trampoline_kernelINS0_14default_configENS1_35radix_sort_onesweep_config_selectorIyNS0_10empty_typeEEEZZNS1_29radix_sort_onesweep_iterationIS3_Lb0EN6thrust23THRUST_200600_302600_NS6detail15normal_iteratorINS9_10device_ptrIyEEEESE_PS5_SF_jNS0_19identity_decomposerENS1_16block_id_wrapperIjLb1EEEEE10hipError_tT1_PNSt15iterator_traitsISK_E10value_typeET2_T3_PNSL_ISQ_E10value_typeET4_T5_PSV_SW_PNS1_23onesweep_lookback_stateEbbT6_jjT7_P12ihipStream_tbENKUlT_T0_SK_SP_E_clISE_SE_SF_SF_EEDaS13_S14_SK_SP_EUlS13_E_NS1_11comp_targetILNS1_3genE3ELNS1_11target_archE908ELNS1_3gpuE7ELNS1_3repE0EEENS1_47radix_sort_onesweep_sort_config_static_selectorELNS0_4arch9wavefront6targetE1EEEvSK_,comdat
.Lfunc_end869:
	.size	_ZN7rocprim17ROCPRIM_400000_NS6detail17trampoline_kernelINS0_14default_configENS1_35radix_sort_onesweep_config_selectorIyNS0_10empty_typeEEEZZNS1_29radix_sort_onesweep_iterationIS3_Lb0EN6thrust23THRUST_200600_302600_NS6detail15normal_iteratorINS9_10device_ptrIyEEEESE_PS5_SF_jNS0_19identity_decomposerENS1_16block_id_wrapperIjLb1EEEEE10hipError_tT1_PNSt15iterator_traitsISK_E10value_typeET2_T3_PNSL_ISQ_E10value_typeET4_T5_PSV_SW_PNS1_23onesweep_lookback_stateEbbT6_jjT7_P12ihipStream_tbENKUlT_T0_SK_SP_E_clISE_SE_SF_SF_EEDaS13_S14_SK_SP_EUlS13_E_NS1_11comp_targetILNS1_3genE3ELNS1_11target_archE908ELNS1_3gpuE7ELNS1_3repE0EEENS1_47radix_sort_onesweep_sort_config_static_selectorELNS0_4arch9wavefront6targetE1EEEvSK_, .Lfunc_end869-_ZN7rocprim17ROCPRIM_400000_NS6detail17trampoline_kernelINS0_14default_configENS1_35radix_sort_onesweep_config_selectorIyNS0_10empty_typeEEEZZNS1_29radix_sort_onesweep_iterationIS3_Lb0EN6thrust23THRUST_200600_302600_NS6detail15normal_iteratorINS9_10device_ptrIyEEEESE_PS5_SF_jNS0_19identity_decomposerENS1_16block_id_wrapperIjLb1EEEEE10hipError_tT1_PNSt15iterator_traitsISK_E10value_typeET2_T3_PNSL_ISQ_E10value_typeET4_T5_PSV_SW_PNS1_23onesweep_lookback_stateEbbT6_jjT7_P12ihipStream_tbENKUlT_T0_SK_SP_E_clISE_SE_SF_SF_EEDaS13_S14_SK_SP_EUlS13_E_NS1_11comp_targetILNS1_3genE3ELNS1_11target_archE908ELNS1_3gpuE7ELNS1_3repE0EEENS1_47radix_sort_onesweep_sort_config_static_selectorELNS0_4arch9wavefront6targetE1EEEvSK_
                                        ; -- End function
	.section	.AMDGPU.csdata,"",@progbits
; Kernel info:
; codeLenInByte = 0
; NumSgprs: 4
; NumVgprs: 0
; NumAgprs: 0
; TotalNumVgprs: 0
; ScratchSize: 0
; MemoryBound: 0
; FloatMode: 240
; IeeeMode: 1
; LDSByteSize: 0 bytes/workgroup (compile time only)
; SGPRBlocks: 0
; VGPRBlocks: 0
; NumSGPRsForWavesPerEU: 4
; NumVGPRsForWavesPerEU: 1
; AccumOffset: 4
; Occupancy: 8
; WaveLimiterHint : 0
; COMPUTE_PGM_RSRC2:SCRATCH_EN: 0
; COMPUTE_PGM_RSRC2:USER_SGPR: 6
; COMPUTE_PGM_RSRC2:TRAP_HANDLER: 0
; COMPUTE_PGM_RSRC2:TGID_X_EN: 1
; COMPUTE_PGM_RSRC2:TGID_Y_EN: 0
; COMPUTE_PGM_RSRC2:TGID_Z_EN: 0
; COMPUTE_PGM_RSRC2:TIDIG_COMP_CNT: 0
; COMPUTE_PGM_RSRC3_GFX90A:ACCUM_OFFSET: 0
; COMPUTE_PGM_RSRC3_GFX90A:TG_SPLIT: 0
	.section	.text._ZN7rocprim17ROCPRIM_400000_NS6detail17trampoline_kernelINS0_14default_configENS1_35radix_sort_onesweep_config_selectorIyNS0_10empty_typeEEEZZNS1_29radix_sort_onesweep_iterationIS3_Lb0EN6thrust23THRUST_200600_302600_NS6detail15normal_iteratorINS9_10device_ptrIyEEEESE_PS5_SF_jNS0_19identity_decomposerENS1_16block_id_wrapperIjLb1EEEEE10hipError_tT1_PNSt15iterator_traitsISK_E10value_typeET2_T3_PNSL_ISQ_E10value_typeET4_T5_PSV_SW_PNS1_23onesweep_lookback_stateEbbT6_jjT7_P12ihipStream_tbENKUlT_T0_SK_SP_E_clISE_SE_SF_SF_EEDaS13_S14_SK_SP_EUlS13_E_NS1_11comp_targetILNS1_3genE10ELNS1_11target_archE1201ELNS1_3gpuE5ELNS1_3repE0EEENS1_47radix_sort_onesweep_sort_config_static_selectorELNS0_4arch9wavefront6targetE1EEEvSK_,"axG",@progbits,_ZN7rocprim17ROCPRIM_400000_NS6detail17trampoline_kernelINS0_14default_configENS1_35radix_sort_onesweep_config_selectorIyNS0_10empty_typeEEEZZNS1_29radix_sort_onesweep_iterationIS3_Lb0EN6thrust23THRUST_200600_302600_NS6detail15normal_iteratorINS9_10device_ptrIyEEEESE_PS5_SF_jNS0_19identity_decomposerENS1_16block_id_wrapperIjLb1EEEEE10hipError_tT1_PNSt15iterator_traitsISK_E10value_typeET2_T3_PNSL_ISQ_E10value_typeET4_T5_PSV_SW_PNS1_23onesweep_lookback_stateEbbT6_jjT7_P12ihipStream_tbENKUlT_T0_SK_SP_E_clISE_SE_SF_SF_EEDaS13_S14_SK_SP_EUlS13_E_NS1_11comp_targetILNS1_3genE10ELNS1_11target_archE1201ELNS1_3gpuE5ELNS1_3repE0EEENS1_47radix_sort_onesweep_sort_config_static_selectorELNS0_4arch9wavefront6targetE1EEEvSK_,comdat
	.protected	_ZN7rocprim17ROCPRIM_400000_NS6detail17trampoline_kernelINS0_14default_configENS1_35radix_sort_onesweep_config_selectorIyNS0_10empty_typeEEEZZNS1_29radix_sort_onesweep_iterationIS3_Lb0EN6thrust23THRUST_200600_302600_NS6detail15normal_iteratorINS9_10device_ptrIyEEEESE_PS5_SF_jNS0_19identity_decomposerENS1_16block_id_wrapperIjLb1EEEEE10hipError_tT1_PNSt15iterator_traitsISK_E10value_typeET2_T3_PNSL_ISQ_E10value_typeET4_T5_PSV_SW_PNS1_23onesweep_lookback_stateEbbT6_jjT7_P12ihipStream_tbENKUlT_T0_SK_SP_E_clISE_SE_SF_SF_EEDaS13_S14_SK_SP_EUlS13_E_NS1_11comp_targetILNS1_3genE10ELNS1_11target_archE1201ELNS1_3gpuE5ELNS1_3repE0EEENS1_47radix_sort_onesweep_sort_config_static_selectorELNS0_4arch9wavefront6targetE1EEEvSK_ ; -- Begin function _ZN7rocprim17ROCPRIM_400000_NS6detail17trampoline_kernelINS0_14default_configENS1_35radix_sort_onesweep_config_selectorIyNS0_10empty_typeEEEZZNS1_29radix_sort_onesweep_iterationIS3_Lb0EN6thrust23THRUST_200600_302600_NS6detail15normal_iteratorINS9_10device_ptrIyEEEESE_PS5_SF_jNS0_19identity_decomposerENS1_16block_id_wrapperIjLb1EEEEE10hipError_tT1_PNSt15iterator_traitsISK_E10value_typeET2_T3_PNSL_ISQ_E10value_typeET4_T5_PSV_SW_PNS1_23onesweep_lookback_stateEbbT6_jjT7_P12ihipStream_tbENKUlT_T0_SK_SP_E_clISE_SE_SF_SF_EEDaS13_S14_SK_SP_EUlS13_E_NS1_11comp_targetILNS1_3genE10ELNS1_11target_archE1201ELNS1_3gpuE5ELNS1_3repE0EEENS1_47radix_sort_onesweep_sort_config_static_selectorELNS0_4arch9wavefront6targetE1EEEvSK_
	.globl	_ZN7rocprim17ROCPRIM_400000_NS6detail17trampoline_kernelINS0_14default_configENS1_35radix_sort_onesweep_config_selectorIyNS0_10empty_typeEEEZZNS1_29radix_sort_onesweep_iterationIS3_Lb0EN6thrust23THRUST_200600_302600_NS6detail15normal_iteratorINS9_10device_ptrIyEEEESE_PS5_SF_jNS0_19identity_decomposerENS1_16block_id_wrapperIjLb1EEEEE10hipError_tT1_PNSt15iterator_traitsISK_E10value_typeET2_T3_PNSL_ISQ_E10value_typeET4_T5_PSV_SW_PNS1_23onesweep_lookback_stateEbbT6_jjT7_P12ihipStream_tbENKUlT_T0_SK_SP_E_clISE_SE_SF_SF_EEDaS13_S14_SK_SP_EUlS13_E_NS1_11comp_targetILNS1_3genE10ELNS1_11target_archE1201ELNS1_3gpuE5ELNS1_3repE0EEENS1_47radix_sort_onesweep_sort_config_static_selectorELNS0_4arch9wavefront6targetE1EEEvSK_
	.p2align	8
	.type	_ZN7rocprim17ROCPRIM_400000_NS6detail17trampoline_kernelINS0_14default_configENS1_35radix_sort_onesweep_config_selectorIyNS0_10empty_typeEEEZZNS1_29radix_sort_onesweep_iterationIS3_Lb0EN6thrust23THRUST_200600_302600_NS6detail15normal_iteratorINS9_10device_ptrIyEEEESE_PS5_SF_jNS0_19identity_decomposerENS1_16block_id_wrapperIjLb1EEEEE10hipError_tT1_PNSt15iterator_traitsISK_E10value_typeET2_T3_PNSL_ISQ_E10value_typeET4_T5_PSV_SW_PNS1_23onesweep_lookback_stateEbbT6_jjT7_P12ihipStream_tbENKUlT_T0_SK_SP_E_clISE_SE_SF_SF_EEDaS13_S14_SK_SP_EUlS13_E_NS1_11comp_targetILNS1_3genE10ELNS1_11target_archE1201ELNS1_3gpuE5ELNS1_3repE0EEENS1_47radix_sort_onesweep_sort_config_static_selectorELNS0_4arch9wavefront6targetE1EEEvSK_,@function
_ZN7rocprim17ROCPRIM_400000_NS6detail17trampoline_kernelINS0_14default_configENS1_35radix_sort_onesweep_config_selectorIyNS0_10empty_typeEEEZZNS1_29radix_sort_onesweep_iterationIS3_Lb0EN6thrust23THRUST_200600_302600_NS6detail15normal_iteratorINS9_10device_ptrIyEEEESE_PS5_SF_jNS0_19identity_decomposerENS1_16block_id_wrapperIjLb1EEEEE10hipError_tT1_PNSt15iterator_traitsISK_E10value_typeET2_T3_PNSL_ISQ_E10value_typeET4_T5_PSV_SW_PNS1_23onesweep_lookback_stateEbbT6_jjT7_P12ihipStream_tbENKUlT_T0_SK_SP_E_clISE_SE_SF_SF_EEDaS13_S14_SK_SP_EUlS13_E_NS1_11comp_targetILNS1_3genE10ELNS1_11target_archE1201ELNS1_3gpuE5ELNS1_3repE0EEENS1_47radix_sort_onesweep_sort_config_static_selectorELNS0_4arch9wavefront6targetE1EEEvSK_: ; @_ZN7rocprim17ROCPRIM_400000_NS6detail17trampoline_kernelINS0_14default_configENS1_35radix_sort_onesweep_config_selectorIyNS0_10empty_typeEEEZZNS1_29radix_sort_onesweep_iterationIS3_Lb0EN6thrust23THRUST_200600_302600_NS6detail15normal_iteratorINS9_10device_ptrIyEEEESE_PS5_SF_jNS0_19identity_decomposerENS1_16block_id_wrapperIjLb1EEEEE10hipError_tT1_PNSt15iterator_traitsISK_E10value_typeET2_T3_PNSL_ISQ_E10value_typeET4_T5_PSV_SW_PNS1_23onesweep_lookback_stateEbbT6_jjT7_P12ihipStream_tbENKUlT_T0_SK_SP_E_clISE_SE_SF_SF_EEDaS13_S14_SK_SP_EUlS13_E_NS1_11comp_targetILNS1_3genE10ELNS1_11target_archE1201ELNS1_3gpuE5ELNS1_3repE0EEENS1_47radix_sort_onesweep_sort_config_static_selectorELNS0_4arch9wavefront6targetE1EEEvSK_
; %bb.0:
	.section	.rodata,"a",@progbits
	.p2align	6, 0x0
	.amdhsa_kernel _ZN7rocprim17ROCPRIM_400000_NS6detail17trampoline_kernelINS0_14default_configENS1_35radix_sort_onesweep_config_selectorIyNS0_10empty_typeEEEZZNS1_29radix_sort_onesweep_iterationIS3_Lb0EN6thrust23THRUST_200600_302600_NS6detail15normal_iteratorINS9_10device_ptrIyEEEESE_PS5_SF_jNS0_19identity_decomposerENS1_16block_id_wrapperIjLb1EEEEE10hipError_tT1_PNSt15iterator_traitsISK_E10value_typeET2_T3_PNSL_ISQ_E10value_typeET4_T5_PSV_SW_PNS1_23onesweep_lookback_stateEbbT6_jjT7_P12ihipStream_tbENKUlT_T0_SK_SP_E_clISE_SE_SF_SF_EEDaS13_S14_SK_SP_EUlS13_E_NS1_11comp_targetILNS1_3genE10ELNS1_11target_archE1201ELNS1_3gpuE5ELNS1_3repE0EEENS1_47radix_sort_onesweep_sort_config_static_selectorELNS0_4arch9wavefront6targetE1EEEvSK_
		.amdhsa_group_segment_fixed_size 0
		.amdhsa_private_segment_fixed_size 0
		.amdhsa_kernarg_size 88
		.amdhsa_user_sgpr_count 6
		.amdhsa_user_sgpr_private_segment_buffer 1
		.amdhsa_user_sgpr_dispatch_ptr 0
		.amdhsa_user_sgpr_queue_ptr 0
		.amdhsa_user_sgpr_kernarg_segment_ptr 1
		.amdhsa_user_sgpr_dispatch_id 0
		.amdhsa_user_sgpr_flat_scratch_init 0
		.amdhsa_user_sgpr_kernarg_preload_length 0
		.amdhsa_user_sgpr_kernarg_preload_offset 0
		.amdhsa_user_sgpr_private_segment_size 0
		.amdhsa_uses_dynamic_stack 0
		.amdhsa_system_sgpr_private_segment_wavefront_offset 0
		.amdhsa_system_sgpr_workgroup_id_x 1
		.amdhsa_system_sgpr_workgroup_id_y 0
		.amdhsa_system_sgpr_workgroup_id_z 0
		.amdhsa_system_sgpr_workgroup_info 0
		.amdhsa_system_vgpr_workitem_id 0
		.amdhsa_next_free_vgpr 1
		.amdhsa_next_free_sgpr 0
		.amdhsa_accum_offset 4
		.amdhsa_reserve_vcc 0
		.amdhsa_reserve_flat_scratch 0
		.amdhsa_float_round_mode_32 0
		.amdhsa_float_round_mode_16_64 0
		.amdhsa_float_denorm_mode_32 3
		.amdhsa_float_denorm_mode_16_64 3
		.amdhsa_dx10_clamp 1
		.amdhsa_ieee_mode 1
		.amdhsa_fp16_overflow 0
		.amdhsa_tg_split 0
		.amdhsa_exception_fp_ieee_invalid_op 0
		.amdhsa_exception_fp_denorm_src 0
		.amdhsa_exception_fp_ieee_div_zero 0
		.amdhsa_exception_fp_ieee_overflow 0
		.amdhsa_exception_fp_ieee_underflow 0
		.amdhsa_exception_fp_ieee_inexact 0
		.amdhsa_exception_int_div_zero 0
	.end_amdhsa_kernel
	.section	.text._ZN7rocprim17ROCPRIM_400000_NS6detail17trampoline_kernelINS0_14default_configENS1_35radix_sort_onesweep_config_selectorIyNS0_10empty_typeEEEZZNS1_29radix_sort_onesweep_iterationIS3_Lb0EN6thrust23THRUST_200600_302600_NS6detail15normal_iteratorINS9_10device_ptrIyEEEESE_PS5_SF_jNS0_19identity_decomposerENS1_16block_id_wrapperIjLb1EEEEE10hipError_tT1_PNSt15iterator_traitsISK_E10value_typeET2_T3_PNSL_ISQ_E10value_typeET4_T5_PSV_SW_PNS1_23onesweep_lookback_stateEbbT6_jjT7_P12ihipStream_tbENKUlT_T0_SK_SP_E_clISE_SE_SF_SF_EEDaS13_S14_SK_SP_EUlS13_E_NS1_11comp_targetILNS1_3genE10ELNS1_11target_archE1201ELNS1_3gpuE5ELNS1_3repE0EEENS1_47radix_sort_onesweep_sort_config_static_selectorELNS0_4arch9wavefront6targetE1EEEvSK_,"axG",@progbits,_ZN7rocprim17ROCPRIM_400000_NS6detail17trampoline_kernelINS0_14default_configENS1_35radix_sort_onesweep_config_selectorIyNS0_10empty_typeEEEZZNS1_29radix_sort_onesweep_iterationIS3_Lb0EN6thrust23THRUST_200600_302600_NS6detail15normal_iteratorINS9_10device_ptrIyEEEESE_PS5_SF_jNS0_19identity_decomposerENS1_16block_id_wrapperIjLb1EEEEE10hipError_tT1_PNSt15iterator_traitsISK_E10value_typeET2_T3_PNSL_ISQ_E10value_typeET4_T5_PSV_SW_PNS1_23onesweep_lookback_stateEbbT6_jjT7_P12ihipStream_tbENKUlT_T0_SK_SP_E_clISE_SE_SF_SF_EEDaS13_S14_SK_SP_EUlS13_E_NS1_11comp_targetILNS1_3genE10ELNS1_11target_archE1201ELNS1_3gpuE5ELNS1_3repE0EEENS1_47radix_sort_onesweep_sort_config_static_selectorELNS0_4arch9wavefront6targetE1EEEvSK_,comdat
.Lfunc_end870:
	.size	_ZN7rocprim17ROCPRIM_400000_NS6detail17trampoline_kernelINS0_14default_configENS1_35radix_sort_onesweep_config_selectorIyNS0_10empty_typeEEEZZNS1_29radix_sort_onesweep_iterationIS3_Lb0EN6thrust23THRUST_200600_302600_NS6detail15normal_iteratorINS9_10device_ptrIyEEEESE_PS5_SF_jNS0_19identity_decomposerENS1_16block_id_wrapperIjLb1EEEEE10hipError_tT1_PNSt15iterator_traitsISK_E10value_typeET2_T3_PNSL_ISQ_E10value_typeET4_T5_PSV_SW_PNS1_23onesweep_lookback_stateEbbT6_jjT7_P12ihipStream_tbENKUlT_T0_SK_SP_E_clISE_SE_SF_SF_EEDaS13_S14_SK_SP_EUlS13_E_NS1_11comp_targetILNS1_3genE10ELNS1_11target_archE1201ELNS1_3gpuE5ELNS1_3repE0EEENS1_47radix_sort_onesweep_sort_config_static_selectorELNS0_4arch9wavefront6targetE1EEEvSK_, .Lfunc_end870-_ZN7rocprim17ROCPRIM_400000_NS6detail17trampoline_kernelINS0_14default_configENS1_35radix_sort_onesweep_config_selectorIyNS0_10empty_typeEEEZZNS1_29radix_sort_onesweep_iterationIS3_Lb0EN6thrust23THRUST_200600_302600_NS6detail15normal_iteratorINS9_10device_ptrIyEEEESE_PS5_SF_jNS0_19identity_decomposerENS1_16block_id_wrapperIjLb1EEEEE10hipError_tT1_PNSt15iterator_traitsISK_E10value_typeET2_T3_PNSL_ISQ_E10value_typeET4_T5_PSV_SW_PNS1_23onesweep_lookback_stateEbbT6_jjT7_P12ihipStream_tbENKUlT_T0_SK_SP_E_clISE_SE_SF_SF_EEDaS13_S14_SK_SP_EUlS13_E_NS1_11comp_targetILNS1_3genE10ELNS1_11target_archE1201ELNS1_3gpuE5ELNS1_3repE0EEENS1_47radix_sort_onesweep_sort_config_static_selectorELNS0_4arch9wavefront6targetE1EEEvSK_
                                        ; -- End function
	.section	.AMDGPU.csdata,"",@progbits
; Kernel info:
; codeLenInByte = 0
; NumSgprs: 4
; NumVgprs: 0
; NumAgprs: 0
; TotalNumVgprs: 0
; ScratchSize: 0
; MemoryBound: 0
; FloatMode: 240
; IeeeMode: 1
; LDSByteSize: 0 bytes/workgroup (compile time only)
; SGPRBlocks: 0
; VGPRBlocks: 0
; NumSGPRsForWavesPerEU: 4
; NumVGPRsForWavesPerEU: 1
; AccumOffset: 4
; Occupancy: 8
; WaveLimiterHint : 0
; COMPUTE_PGM_RSRC2:SCRATCH_EN: 0
; COMPUTE_PGM_RSRC2:USER_SGPR: 6
; COMPUTE_PGM_RSRC2:TRAP_HANDLER: 0
; COMPUTE_PGM_RSRC2:TGID_X_EN: 1
; COMPUTE_PGM_RSRC2:TGID_Y_EN: 0
; COMPUTE_PGM_RSRC2:TGID_Z_EN: 0
; COMPUTE_PGM_RSRC2:TIDIG_COMP_CNT: 0
; COMPUTE_PGM_RSRC3_GFX90A:ACCUM_OFFSET: 0
; COMPUTE_PGM_RSRC3_GFX90A:TG_SPLIT: 0
	.section	.text._ZN7rocprim17ROCPRIM_400000_NS6detail17trampoline_kernelINS0_14default_configENS1_35radix_sort_onesweep_config_selectorIyNS0_10empty_typeEEEZZNS1_29radix_sort_onesweep_iterationIS3_Lb0EN6thrust23THRUST_200600_302600_NS6detail15normal_iteratorINS9_10device_ptrIyEEEESE_PS5_SF_jNS0_19identity_decomposerENS1_16block_id_wrapperIjLb1EEEEE10hipError_tT1_PNSt15iterator_traitsISK_E10value_typeET2_T3_PNSL_ISQ_E10value_typeET4_T5_PSV_SW_PNS1_23onesweep_lookback_stateEbbT6_jjT7_P12ihipStream_tbENKUlT_T0_SK_SP_E_clISE_SE_SF_SF_EEDaS13_S14_SK_SP_EUlS13_E_NS1_11comp_targetILNS1_3genE9ELNS1_11target_archE1100ELNS1_3gpuE3ELNS1_3repE0EEENS1_47radix_sort_onesweep_sort_config_static_selectorELNS0_4arch9wavefront6targetE1EEEvSK_,"axG",@progbits,_ZN7rocprim17ROCPRIM_400000_NS6detail17trampoline_kernelINS0_14default_configENS1_35radix_sort_onesweep_config_selectorIyNS0_10empty_typeEEEZZNS1_29radix_sort_onesweep_iterationIS3_Lb0EN6thrust23THRUST_200600_302600_NS6detail15normal_iteratorINS9_10device_ptrIyEEEESE_PS5_SF_jNS0_19identity_decomposerENS1_16block_id_wrapperIjLb1EEEEE10hipError_tT1_PNSt15iterator_traitsISK_E10value_typeET2_T3_PNSL_ISQ_E10value_typeET4_T5_PSV_SW_PNS1_23onesweep_lookback_stateEbbT6_jjT7_P12ihipStream_tbENKUlT_T0_SK_SP_E_clISE_SE_SF_SF_EEDaS13_S14_SK_SP_EUlS13_E_NS1_11comp_targetILNS1_3genE9ELNS1_11target_archE1100ELNS1_3gpuE3ELNS1_3repE0EEENS1_47radix_sort_onesweep_sort_config_static_selectorELNS0_4arch9wavefront6targetE1EEEvSK_,comdat
	.protected	_ZN7rocprim17ROCPRIM_400000_NS6detail17trampoline_kernelINS0_14default_configENS1_35radix_sort_onesweep_config_selectorIyNS0_10empty_typeEEEZZNS1_29radix_sort_onesweep_iterationIS3_Lb0EN6thrust23THRUST_200600_302600_NS6detail15normal_iteratorINS9_10device_ptrIyEEEESE_PS5_SF_jNS0_19identity_decomposerENS1_16block_id_wrapperIjLb1EEEEE10hipError_tT1_PNSt15iterator_traitsISK_E10value_typeET2_T3_PNSL_ISQ_E10value_typeET4_T5_PSV_SW_PNS1_23onesweep_lookback_stateEbbT6_jjT7_P12ihipStream_tbENKUlT_T0_SK_SP_E_clISE_SE_SF_SF_EEDaS13_S14_SK_SP_EUlS13_E_NS1_11comp_targetILNS1_3genE9ELNS1_11target_archE1100ELNS1_3gpuE3ELNS1_3repE0EEENS1_47radix_sort_onesweep_sort_config_static_selectorELNS0_4arch9wavefront6targetE1EEEvSK_ ; -- Begin function _ZN7rocprim17ROCPRIM_400000_NS6detail17trampoline_kernelINS0_14default_configENS1_35radix_sort_onesweep_config_selectorIyNS0_10empty_typeEEEZZNS1_29radix_sort_onesweep_iterationIS3_Lb0EN6thrust23THRUST_200600_302600_NS6detail15normal_iteratorINS9_10device_ptrIyEEEESE_PS5_SF_jNS0_19identity_decomposerENS1_16block_id_wrapperIjLb1EEEEE10hipError_tT1_PNSt15iterator_traitsISK_E10value_typeET2_T3_PNSL_ISQ_E10value_typeET4_T5_PSV_SW_PNS1_23onesweep_lookback_stateEbbT6_jjT7_P12ihipStream_tbENKUlT_T0_SK_SP_E_clISE_SE_SF_SF_EEDaS13_S14_SK_SP_EUlS13_E_NS1_11comp_targetILNS1_3genE9ELNS1_11target_archE1100ELNS1_3gpuE3ELNS1_3repE0EEENS1_47radix_sort_onesweep_sort_config_static_selectorELNS0_4arch9wavefront6targetE1EEEvSK_
	.globl	_ZN7rocprim17ROCPRIM_400000_NS6detail17trampoline_kernelINS0_14default_configENS1_35radix_sort_onesweep_config_selectorIyNS0_10empty_typeEEEZZNS1_29radix_sort_onesweep_iterationIS3_Lb0EN6thrust23THRUST_200600_302600_NS6detail15normal_iteratorINS9_10device_ptrIyEEEESE_PS5_SF_jNS0_19identity_decomposerENS1_16block_id_wrapperIjLb1EEEEE10hipError_tT1_PNSt15iterator_traitsISK_E10value_typeET2_T3_PNSL_ISQ_E10value_typeET4_T5_PSV_SW_PNS1_23onesweep_lookback_stateEbbT6_jjT7_P12ihipStream_tbENKUlT_T0_SK_SP_E_clISE_SE_SF_SF_EEDaS13_S14_SK_SP_EUlS13_E_NS1_11comp_targetILNS1_3genE9ELNS1_11target_archE1100ELNS1_3gpuE3ELNS1_3repE0EEENS1_47radix_sort_onesweep_sort_config_static_selectorELNS0_4arch9wavefront6targetE1EEEvSK_
	.p2align	8
	.type	_ZN7rocprim17ROCPRIM_400000_NS6detail17trampoline_kernelINS0_14default_configENS1_35radix_sort_onesweep_config_selectorIyNS0_10empty_typeEEEZZNS1_29radix_sort_onesweep_iterationIS3_Lb0EN6thrust23THRUST_200600_302600_NS6detail15normal_iteratorINS9_10device_ptrIyEEEESE_PS5_SF_jNS0_19identity_decomposerENS1_16block_id_wrapperIjLb1EEEEE10hipError_tT1_PNSt15iterator_traitsISK_E10value_typeET2_T3_PNSL_ISQ_E10value_typeET4_T5_PSV_SW_PNS1_23onesweep_lookback_stateEbbT6_jjT7_P12ihipStream_tbENKUlT_T0_SK_SP_E_clISE_SE_SF_SF_EEDaS13_S14_SK_SP_EUlS13_E_NS1_11comp_targetILNS1_3genE9ELNS1_11target_archE1100ELNS1_3gpuE3ELNS1_3repE0EEENS1_47radix_sort_onesweep_sort_config_static_selectorELNS0_4arch9wavefront6targetE1EEEvSK_,@function
_ZN7rocprim17ROCPRIM_400000_NS6detail17trampoline_kernelINS0_14default_configENS1_35radix_sort_onesweep_config_selectorIyNS0_10empty_typeEEEZZNS1_29radix_sort_onesweep_iterationIS3_Lb0EN6thrust23THRUST_200600_302600_NS6detail15normal_iteratorINS9_10device_ptrIyEEEESE_PS5_SF_jNS0_19identity_decomposerENS1_16block_id_wrapperIjLb1EEEEE10hipError_tT1_PNSt15iterator_traitsISK_E10value_typeET2_T3_PNSL_ISQ_E10value_typeET4_T5_PSV_SW_PNS1_23onesweep_lookback_stateEbbT6_jjT7_P12ihipStream_tbENKUlT_T0_SK_SP_E_clISE_SE_SF_SF_EEDaS13_S14_SK_SP_EUlS13_E_NS1_11comp_targetILNS1_3genE9ELNS1_11target_archE1100ELNS1_3gpuE3ELNS1_3repE0EEENS1_47radix_sort_onesweep_sort_config_static_selectorELNS0_4arch9wavefront6targetE1EEEvSK_: ; @_ZN7rocprim17ROCPRIM_400000_NS6detail17trampoline_kernelINS0_14default_configENS1_35radix_sort_onesweep_config_selectorIyNS0_10empty_typeEEEZZNS1_29radix_sort_onesweep_iterationIS3_Lb0EN6thrust23THRUST_200600_302600_NS6detail15normal_iteratorINS9_10device_ptrIyEEEESE_PS5_SF_jNS0_19identity_decomposerENS1_16block_id_wrapperIjLb1EEEEE10hipError_tT1_PNSt15iterator_traitsISK_E10value_typeET2_T3_PNSL_ISQ_E10value_typeET4_T5_PSV_SW_PNS1_23onesweep_lookback_stateEbbT6_jjT7_P12ihipStream_tbENKUlT_T0_SK_SP_E_clISE_SE_SF_SF_EEDaS13_S14_SK_SP_EUlS13_E_NS1_11comp_targetILNS1_3genE9ELNS1_11target_archE1100ELNS1_3gpuE3ELNS1_3repE0EEENS1_47radix_sort_onesweep_sort_config_static_selectorELNS0_4arch9wavefront6targetE1EEEvSK_
; %bb.0:
	.section	.rodata,"a",@progbits
	.p2align	6, 0x0
	.amdhsa_kernel _ZN7rocprim17ROCPRIM_400000_NS6detail17trampoline_kernelINS0_14default_configENS1_35radix_sort_onesweep_config_selectorIyNS0_10empty_typeEEEZZNS1_29radix_sort_onesweep_iterationIS3_Lb0EN6thrust23THRUST_200600_302600_NS6detail15normal_iteratorINS9_10device_ptrIyEEEESE_PS5_SF_jNS0_19identity_decomposerENS1_16block_id_wrapperIjLb1EEEEE10hipError_tT1_PNSt15iterator_traitsISK_E10value_typeET2_T3_PNSL_ISQ_E10value_typeET4_T5_PSV_SW_PNS1_23onesweep_lookback_stateEbbT6_jjT7_P12ihipStream_tbENKUlT_T0_SK_SP_E_clISE_SE_SF_SF_EEDaS13_S14_SK_SP_EUlS13_E_NS1_11comp_targetILNS1_3genE9ELNS1_11target_archE1100ELNS1_3gpuE3ELNS1_3repE0EEENS1_47radix_sort_onesweep_sort_config_static_selectorELNS0_4arch9wavefront6targetE1EEEvSK_
		.amdhsa_group_segment_fixed_size 0
		.amdhsa_private_segment_fixed_size 0
		.amdhsa_kernarg_size 88
		.amdhsa_user_sgpr_count 6
		.amdhsa_user_sgpr_private_segment_buffer 1
		.amdhsa_user_sgpr_dispatch_ptr 0
		.amdhsa_user_sgpr_queue_ptr 0
		.amdhsa_user_sgpr_kernarg_segment_ptr 1
		.amdhsa_user_sgpr_dispatch_id 0
		.amdhsa_user_sgpr_flat_scratch_init 0
		.amdhsa_user_sgpr_kernarg_preload_length 0
		.amdhsa_user_sgpr_kernarg_preload_offset 0
		.amdhsa_user_sgpr_private_segment_size 0
		.amdhsa_uses_dynamic_stack 0
		.amdhsa_system_sgpr_private_segment_wavefront_offset 0
		.amdhsa_system_sgpr_workgroup_id_x 1
		.amdhsa_system_sgpr_workgroup_id_y 0
		.amdhsa_system_sgpr_workgroup_id_z 0
		.amdhsa_system_sgpr_workgroup_info 0
		.amdhsa_system_vgpr_workitem_id 0
		.amdhsa_next_free_vgpr 1
		.amdhsa_next_free_sgpr 0
		.amdhsa_accum_offset 4
		.amdhsa_reserve_vcc 0
		.amdhsa_reserve_flat_scratch 0
		.amdhsa_float_round_mode_32 0
		.amdhsa_float_round_mode_16_64 0
		.amdhsa_float_denorm_mode_32 3
		.amdhsa_float_denorm_mode_16_64 3
		.amdhsa_dx10_clamp 1
		.amdhsa_ieee_mode 1
		.amdhsa_fp16_overflow 0
		.amdhsa_tg_split 0
		.amdhsa_exception_fp_ieee_invalid_op 0
		.amdhsa_exception_fp_denorm_src 0
		.amdhsa_exception_fp_ieee_div_zero 0
		.amdhsa_exception_fp_ieee_overflow 0
		.amdhsa_exception_fp_ieee_underflow 0
		.amdhsa_exception_fp_ieee_inexact 0
		.amdhsa_exception_int_div_zero 0
	.end_amdhsa_kernel
	.section	.text._ZN7rocprim17ROCPRIM_400000_NS6detail17trampoline_kernelINS0_14default_configENS1_35radix_sort_onesweep_config_selectorIyNS0_10empty_typeEEEZZNS1_29radix_sort_onesweep_iterationIS3_Lb0EN6thrust23THRUST_200600_302600_NS6detail15normal_iteratorINS9_10device_ptrIyEEEESE_PS5_SF_jNS0_19identity_decomposerENS1_16block_id_wrapperIjLb1EEEEE10hipError_tT1_PNSt15iterator_traitsISK_E10value_typeET2_T3_PNSL_ISQ_E10value_typeET4_T5_PSV_SW_PNS1_23onesweep_lookback_stateEbbT6_jjT7_P12ihipStream_tbENKUlT_T0_SK_SP_E_clISE_SE_SF_SF_EEDaS13_S14_SK_SP_EUlS13_E_NS1_11comp_targetILNS1_3genE9ELNS1_11target_archE1100ELNS1_3gpuE3ELNS1_3repE0EEENS1_47radix_sort_onesweep_sort_config_static_selectorELNS0_4arch9wavefront6targetE1EEEvSK_,"axG",@progbits,_ZN7rocprim17ROCPRIM_400000_NS6detail17trampoline_kernelINS0_14default_configENS1_35radix_sort_onesweep_config_selectorIyNS0_10empty_typeEEEZZNS1_29radix_sort_onesweep_iterationIS3_Lb0EN6thrust23THRUST_200600_302600_NS6detail15normal_iteratorINS9_10device_ptrIyEEEESE_PS5_SF_jNS0_19identity_decomposerENS1_16block_id_wrapperIjLb1EEEEE10hipError_tT1_PNSt15iterator_traitsISK_E10value_typeET2_T3_PNSL_ISQ_E10value_typeET4_T5_PSV_SW_PNS1_23onesweep_lookback_stateEbbT6_jjT7_P12ihipStream_tbENKUlT_T0_SK_SP_E_clISE_SE_SF_SF_EEDaS13_S14_SK_SP_EUlS13_E_NS1_11comp_targetILNS1_3genE9ELNS1_11target_archE1100ELNS1_3gpuE3ELNS1_3repE0EEENS1_47radix_sort_onesweep_sort_config_static_selectorELNS0_4arch9wavefront6targetE1EEEvSK_,comdat
.Lfunc_end871:
	.size	_ZN7rocprim17ROCPRIM_400000_NS6detail17trampoline_kernelINS0_14default_configENS1_35radix_sort_onesweep_config_selectorIyNS0_10empty_typeEEEZZNS1_29radix_sort_onesweep_iterationIS3_Lb0EN6thrust23THRUST_200600_302600_NS6detail15normal_iteratorINS9_10device_ptrIyEEEESE_PS5_SF_jNS0_19identity_decomposerENS1_16block_id_wrapperIjLb1EEEEE10hipError_tT1_PNSt15iterator_traitsISK_E10value_typeET2_T3_PNSL_ISQ_E10value_typeET4_T5_PSV_SW_PNS1_23onesweep_lookback_stateEbbT6_jjT7_P12ihipStream_tbENKUlT_T0_SK_SP_E_clISE_SE_SF_SF_EEDaS13_S14_SK_SP_EUlS13_E_NS1_11comp_targetILNS1_3genE9ELNS1_11target_archE1100ELNS1_3gpuE3ELNS1_3repE0EEENS1_47radix_sort_onesweep_sort_config_static_selectorELNS0_4arch9wavefront6targetE1EEEvSK_, .Lfunc_end871-_ZN7rocprim17ROCPRIM_400000_NS6detail17trampoline_kernelINS0_14default_configENS1_35radix_sort_onesweep_config_selectorIyNS0_10empty_typeEEEZZNS1_29radix_sort_onesweep_iterationIS3_Lb0EN6thrust23THRUST_200600_302600_NS6detail15normal_iteratorINS9_10device_ptrIyEEEESE_PS5_SF_jNS0_19identity_decomposerENS1_16block_id_wrapperIjLb1EEEEE10hipError_tT1_PNSt15iterator_traitsISK_E10value_typeET2_T3_PNSL_ISQ_E10value_typeET4_T5_PSV_SW_PNS1_23onesweep_lookback_stateEbbT6_jjT7_P12ihipStream_tbENKUlT_T0_SK_SP_E_clISE_SE_SF_SF_EEDaS13_S14_SK_SP_EUlS13_E_NS1_11comp_targetILNS1_3genE9ELNS1_11target_archE1100ELNS1_3gpuE3ELNS1_3repE0EEENS1_47radix_sort_onesweep_sort_config_static_selectorELNS0_4arch9wavefront6targetE1EEEvSK_
                                        ; -- End function
	.section	.AMDGPU.csdata,"",@progbits
; Kernel info:
; codeLenInByte = 0
; NumSgprs: 4
; NumVgprs: 0
; NumAgprs: 0
; TotalNumVgprs: 0
; ScratchSize: 0
; MemoryBound: 0
; FloatMode: 240
; IeeeMode: 1
; LDSByteSize: 0 bytes/workgroup (compile time only)
; SGPRBlocks: 0
; VGPRBlocks: 0
; NumSGPRsForWavesPerEU: 4
; NumVGPRsForWavesPerEU: 1
; AccumOffset: 4
; Occupancy: 8
; WaveLimiterHint : 0
; COMPUTE_PGM_RSRC2:SCRATCH_EN: 0
; COMPUTE_PGM_RSRC2:USER_SGPR: 6
; COMPUTE_PGM_RSRC2:TRAP_HANDLER: 0
; COMPUTE_PGM_RSRC2:TGID_X_EN: 1
; COMPUTE_PGM_RSRC2:TGID_Y_EN: 0
; COMPUTE_PGM_RSRC2:TGID_Z_EN: 0
; COMPUTE_PGM_RSRC2:TIDIG_COMP_CNT: 0
; COMPUTE_PGM_RSRC3_GFX90A:ACCUM_OFFSET: 0
; COMPUTE_PGM_RSRC3_GFX90A:TG_SPLIT: 0
	.section	.text._ZN7rocprim17ROCPRIM_400000_NS6detail17trampoline_kernelINS0_14default_configENS1_35radix_sort_onesweep_config_selectorIyNS0_10empty_typeEEEZZNS1_29radix_sort_onesweep_iterationIS3_Lb0EN6thrust23THRUST_200600_302600_NS6detail15normal_iteratorINS9_10device_ptrIyEEEESE_PS5_SF_jNS0_19identity_decomposerENS1_16block_id_wrapperIjLb1EEEEE10hipError_tT1_PNSt15iterator_traitsISK_E10value_typeET2_T3_PNSL_ISQ_E10value_typeET4_T5_PSV_SW_PNS1_23onesweep_lookback_stateEbbT6_jjT7_P12ihipStream_tbENKUlT_T0_SK_SP_E_clISE_SE_SF_SF_EEDaS13_S14_SK_SP_EUlS13_E_NS1_11comp_targetILNS1_3genE8ELNS1_11target_archE1030ELNS1_3gpuE2ELNS1_3repE0EEENS1_47radix_sort_onesweep_sort_config_static_selectorELNS0_4arch9wavefront6targetE1EEEvSK_,"axG",@progbits,_ZN7rocprim17ROCPRIM_400000_NS6detail17trampoline_kernelINS0_14default_configENS1_35radix_sort_onesweep_config_selectorIyNS0_10empty_typeEEEZZNS1_29radix_sort_onesweep_iterationIS3_Lb0EN6thrust23THRUST_200600_302600_NS6detail15normal_iteratorINS9_10device_ptrIyEEEESE_PS5_SF_jNS0_19identity_decomposerENS1_16block_id_wrapperIjLb1EEEEE10hipError_tT1_PNSt15iterator_traitsISK_E10value_typeET2_T3_PNSL_ISQ_E10value_typeET4_T5_PSV_SW_PNS1_23onesweep_lookback_stateEbbT6_jjT7_P12ihipStream_tbENKUlT_T0_SK_SP_E_clISE_SE_SF_SF_EEDaS13_S14_SK_SP_EUlS13_E_NS1_11comp_targetILNS1_3genE8ELNS1_11target_archE1030ELNS1_3gpuE2ELNS1_3repE0EEENS1_47radix_sort_onesweep_sort_config_static_selectorELNS0_4arch9wavefront6targetE1EEEvSK_,comdat
	.protected	_ZN7rocprim17ROCPRIM_400000_NS6detail17trampoline_kernelINS0_14default_configENS1_35radix_sort_onesweep_config_selectorIyNS0_10empty_typeEEEZZNS1_29radix_sort_onesweep_iterationIS3_Lb0EN6thrust23THRUST_200600_302600_NS6detail15normal_iteratorINS9_10device_ptrIyEEEESE_PS5_SF_jNS0_19identity_decomposerENS1_16block_id_wrapperIjLb1EEEEE10hipError_tT1_PNSt15iterator_traitsISK_E10value_typeET2_T3_PNSL_ISQ_E10value_typeET4_T5_PSV_SW_PNS1_23onesweep_lookback_stateEbbT6_jjT7_P12ihipStream_tbENKUlT_T0_SK_SP_E_clISE_SE_SF_SF_EEDaS13_S14_SK_SP_EUlS13_E_NS1_11comp_targetILNS1_3genE8ELNS1_11target_archE1030ELNS1_3gpuE2ELNS1_3repE0EEENS1_47radix_sort_onesweep_sort_config_static_selectorELNS0_4arch9wavefront6targetE1EEEvSK_ ; -- Begin function _ZN7rocprim17ROCPRIM_400000_NS6detail17trampoline_kernelINS0_14default_configENS1_35radix_sort_onesweep_config_selectorIyNS0_10empty_typeEEEZZNS1_29radix_sort_onesweep_iterationIS3_Lb0EN6thrust23THRUST_200600_302600_NS6detail15normal_iteratorINS9_10device_ptrIyEEEESE_PS5_SF_jNS0_19identity_decomposerENS1_16block_id_wrapperIjLb1EEEEE10hipError_tT1_PNSt15iterator_traitsISK_E10value_typeET2_T3_PNSL_ISQ_E10value_typeET4_T5_PSV_SW_PNS1_23onesweep_lookback_stateEbbT6_jjT7_P12ihipStream_tbENKUlT_T0_SK_SP_E_clISE_SE_SF_SF_EEDaS13_S14_SK_SP_EUlS13_E_NS1_11comp_targetILNS1_3genE8ELNS1_11target_archE1030ELNS1_3gpuE2ELNS1_3repE0EEENS1_47radix_sort_onesweep_sort_config_static_selectorELNS0_4arch9wavefront6targetE1EEEvSK_
	.globl	_ZN7rocprim17ROCPRIM_400000_NS6detail17trampoline_kernelINS0_14default_configENS1_35radix_sort_onesweep_config_selectorIyNS0_10empty_typeEEEZZNS1_29radix_sort_onesweep_iterationIS3_Lb0EN6thrust23THRUST_200600_302600_NS6detail15normal_iteratorINS9_10device_ptrIyEEEESE_PS5_SF_jNS0_19identity_decomposerENS1_16block_id_wrapperIjLb1EEEEE10hipError_tT1_PNSt15iterator_traitsISK_E10value_typeET2_T3_PNSL_ISQ_E10value_typeET4_T5_PSV_SW_PNS1_23onesweep_lookback_stateEbbT6_jjT7_P12ihipStream_tbENKUlT_T0_SK_SP_E_clISE_SE_SF_SF_EEDaS13_S14_SK_SP_EUlS13_E_NS1_11comp_targetILNS1_3genE8ELNS1_11target_archE1030ELNS1_3gpuE2ELNS1_3repE0EEENS1_47radix_sort_onesweep_sort_config_static_selectorELNS0_4arch9wavefront6targetE1EEEvSK_
	.p2align	8
	.type	_ZN7rocprim17ROCPRIM_400000_NS6detail17trampoline_kernelINS0_14default_configENS1_35radix_sort_onesweep_config_selectorIyNS0_10empty_typeEEEZZNS1_29radix_sort_onesweep_iterationIS3_Lb0EN6thrust23THRUST_200600_302600_NS6detail15normal_iteratorINS9_10device_ptrIyEEEESE_PS5_SF_jNS0_19identity_decomposerENS1_16block_id_wrapperIjLb1EEEEE10hipError_tT1_PNSt15iterator_traitsISK_E10value_typeET2_T3_PNSL_ISQ_E10value_typeET4_T5_PSV_SW_PNS1_23onesweep_lookback_stateEbbT6_jjT7_P12ihipStream_tbENKUlT_T0_SK_SP_E_clISE_SE_SF_SF_EEDaS13_S14_SK_SP_EUlS13_E_NS1_11comp_targetILNS1_3genE8ELNS1_11target_archE1030ELNS1_3gpuE2ELNS1_3repE0EEENS1_47radix_sort_onesweep_sort_config_static_selectorELNS0_4arch9wavefront6targetE1EEEvSK_,@function
_ZN7rocprim17ROCPRIM_400000_NS6detail17trampoline_kernelINS0_14default_configENS1_35radix_sort_onesweep_config_selectorIyNS0_10empty_typeEEEZZNS1_29radix_sort_onesweep_iterationIS3_Lb0EN6thrust23THRUST_200600_302600_NS6detail15normal_iteratorINS9_10device_ptrIyEEEESE_PS5_SF_jNS0_19identity_decomposerENS1_16block_id_wrapperIjLb1EEEEE10hipError_tT1_PNSt15iterator_traitsISK_E10value_typeET2_T3_PNSL_ISQ_E10value_typeET4_T5_PSV_SW_PNS1_23onesweep_lookback_stateEbbT6_jjT7_P12ihipStream_tbENKUlT_T0_SK_SP_E_clISE_SE_SF_SF_EEDaS13_S14_SK_SP_EUlS13_E_NS1_11comp_targetILNS1_3genE8ELNS1_11target_archE1030ELNS1_3gpuE2ELNS1_3repE0EEENS1_47radix_sort_onesweep_sort_config_static_selectorELNS0_4arch9wavefront6targetE1EEEvSK_: ; @_ZN7rocprim17ROCPRIM_400000_NS6detail17trampoline_kernelINS0_14default_configENS1_35radix_sort_onesweep_config_selectorIyNS0_10empty_typeEEEZZNS1_29radix_sort_onesweep_iterationIS3_Lb0EN6thrust23THRUST_200600_302600_NS6detail15normal_iteratorINS9_10device_ptrIyEEEESE_PS5_SF_jNS0_19identity_decomposerENS1_16block_id_wrapperIjLb1EEEEE10hipError_tT1_PNSt15iterator_traitsISK_E10value_typeET2_T3_PNSL_ISQ_E10value_typeET4_T5_PSV_SW_PNS1_23onesweep_lookback_stateEbbT6_jjT7_P12ihipStream_tbENKUlT_T0_SK_SP_E_clISE_SE_SF_SF_EEDaS13_S14_SK_SP_EUlS13_E_NS1_11comp_targetILNS1_3genE8ELNS1_11target_archE1030ELNS1_3gpuE2ELNS1_3repE0EEENS1_47radix_sort_onesweep_sort_config_static_selectorELNS0_4arch9wavefront6targetE1EEEvSK_
; %bb.0:
	.section	.rodata,"a",@progbits
	.p2align	6, 0x0
	.amdhsa_kernel _ZN7rocprim17ROCPRIM_400000_NS6detail17trampoline_kernelINS0_14default_configENS1_35radix_sort_onesweep_config_selectorIyNS0_10empty_typeEEEZZNS1_29radix_sort_onesweep_iterationIS3_Lb0EN6thrust23THRUST_200600_302600_NS6detail15normal_iteratorINS9_10device_ptrIyEEEESE_PS5_SF_jNS0_19identity_decomposerENS1_16block_id_wrapperIjLb1EEEEE10hipError_tT1_PNSt15iterator_traitsISK_E10value_typeET2_T3_PNSL_ISQ_E10value_typeET4_T5_PSV_SW_PNS1_23onesweep_lookback_stateEbbT6_jjT7_P12ihipStream_tbENKUlT_T0_SK_SP_E_clISE_SE_SF_SF_EEDaS13_S14_SK_SP_EUlS13_E_NS1_11comp_targetILNS1_3genE8ELNS1_11target_archE1030ELNS1_3gpuE2ELNS1_3repE0EEENS1_47radix_sort_onesweep_sort_config_static_selectorELNS0_4arch9wavefront6targetE1EEEvSK_
		.amdhsa_group_segment_fixed_size 0
		.amdhsa_private_segment_fixed_size 0
		.amdhsa_kernarg_size 88
		.amdhsa_user_sgpr_count 6
		.amdhsa_user_sgpr_private_segment_buffer 1
		.amdhsa_user_sgpr_dispatch_ptr 0
		.amdhsa_user_sgpr_queue_ptr 0
		.amdhsa_user_sgpr_kernarg_segment_ptr 1
		.amdhsa_user_sgpr_dispatch_id 0
		.amdhsa_user_sgpr_flat_scratch_init 0
		.amdhsa_user_sgpr_kernarg_preload_length 0
		.amdhsa_user_sgpr_kernarg_preload_offset 0
		.amdhsa_user_sgpr_private_segment_size 0
		.amdhsa_uses_dynamic_stack 0
		.amdhsa_system_sgpr_private_segment_wavefront_offset 0
		.amdhsa_system_sgpr_workgroup_id_x 1
		.amdhsa_system_sgpr_workgroup_id_y 0
		.amdhsa_system_sgpr_workgroup_id_z 0
		.amdhsa_system_sgpr_workgroup_info 0
		.amdhsa_system_vgpr_workitem_id 0
		.amdhsa_next_free_vgpr 1
		.amdhsa_next_free_sgpr 0
		.amdhsa_accum_offset 4
		.amdhsa_reserve_vcc 0
		.amdhsa_reserve_flat_scratch 0
		.amdhsa_float_round_mode_32 0
		.amdhsa_float_round_mode_16_64 0
		.amdhsa_float_denorm_mode_32 3
		.amdhsa_float_denorm_mode_16_64 3
		.amdhsa_dx10_clamp 1
		.amdhsa_ieee_mode 1
		.amdhsa_fp16_overflow 0
		.amdhsa_tg_split 0
		.amdhsa_exception_fp_ieee_invalid_op 0
		.amdhsa_exception_fp_denorm_src 0
		.amdhsa_exception_fp_ieee_div_zero 0
		.amdhsa_exception_fp_ieee_overflow 0
		.amdhsa_exception_fp_ieee_underflow 0
		.amdhsa_exception_fp_ieee_inexact 0
		.amdhsa_exception_int_div_zero 0
	.end_amdhsa_kernel
	.section	.text._ZN7rocprim17ROCPRIM_400000_NS6detail17trampoline_kernelINS0_14default_configENS1_35radix_sort_onesweep_config_selectorIyNS0_10empty_typeEEEZZNS1_29radix_sort_onesweep_iterationIS3_Lb0EN6thrust23THRUST_200600_302600_NS6detail15normal_iteratorINS9_10device_ptrIyEEEESE_PS5_SF_jNS0_19identity_decomposerENS1_16block_id_wrapperIjLb1EEEEE10hipError_tT1_PNSt15iterator_traitsISK_E10value_typeET2_T3_PNSL_ISQ_E10value_typeET4_T5_PSV_SW_PNS1_23onesweep_lookback_stateEbbT6_jjT7_P12ihipStream_tbENKUlT_T0_SK_SP_E_clISE_SE_SF_SF_EEDaS13_S14_SK_SP_EUlS13_E_NS1_11comp_targetILNS1_3genE8ELNS1_11target_archE1030ELNS1_3gpuE2ELNS1_3repE0EEENS1_47radix_sort_onesweep_sort_config_static_selectorELNS0_4arch9wavefront6targetE1EEEvSK_,"axG",@progbits,_ZN7rocprim17ROCPRIM_400000_NS6detail17trampoline_kernelINS0_14default_configENS1_35radix_sort_onesweep_config_selectorIyNS0_10empty_typeEEEZZNS1_29radix_sort_onesweep_iterationIS3_Lb0EN6thrust23THRUST_200600_302600_NS6detail15normal_iteratorINS9_10device_ptrIyEEEESE_PS5_SF_jNS0_19identity_decomposerENS1_16block_id_wrapperIjLb1EEEEE10hipError_tT1_PNSt15iterator_traitsISK_E10value_typeET2_T3_PNSL_ISQ_E10value_typeET4_T5_PSV_SW_PNS1_23onesweep_lookback_stateEbbT6_jjT7_P12ihipStream_tbENKUlT_T0_SK_SP_E_clISE_SE_SF_SF_EEDaS13_S14_SK_SP_EUlS13_E_NS1_11comp_targetILNS1_3genE8ELNS1_11target_archE1030ELNS1_3gpuE2ELNS1_3repE0EEENS1_47radix_sort_onesweep_sort_config_static_selectorELNS0_4arch9wavefront6targetE1EEEvSK_,comdat
.Lfunc_end872:
	.size	_ZN7rocprim17ROCPRIM_400000_NS6detail17trampoline_kernelINS0_14default_configENS1_35radix_sort_onesweep_config_selectorIyNS0_10empty_typeEEEZZNS1_29radix_sort_onesweep_iterationIS3_Lb0EN6thrust23THRUST_200600_302600_NS6detail15normal_iteratorINS9_10device_ptrIyEEEESE_PS5_SF_jNS0_19identity_decomposerENS1_16block_id_wrapperIjLb1EEEEE10hipError_tT1_PNSt15iterator_traitsISK_E10value_typeET2_T3_PNSL_ISQ_E10value_typeET4_T5_PSV_SW_PNS1_23onesweep_lookback_stateEbbT6_jjT7_P12ihipStream_tbENKUlT_T0_SK_SP_E_clISE_SE_SF_SF_EEDaS13_S14_SK_SP_EUlS13_E_NS1_11comp_targetILNS1_3genE8ELNS1_11target_archE1030ELNS1_3gpuE2ELNS1_3repE0EEENS1_47radix_sort_onesweep_sort_config_static_selectorELNS0_4arch9wavefront6targetE1EEEvSK_, .Lfunc_end872-_ZN7rocprim17ROCPRIM_400000_NS6detail17trampoline_kernelINS0_14default_configENS1_35radix_sort_onesweep_config_selectorIyNS0_10empty_typeEEEZZNS1_29radix_sort_onesweep_iterationIS3_Lb0EN6thrust23THRUST_200600_302600_NS6detail15normal_iteratorINS9_10device_ptrIyEEEESE_PS5_SF_jNS0_19identity_decomposerENS1_16block_id_wrapperIjLb1EEEEE10hipError_tT1_PNSt15iterator_traitsISK_E10value_typeET2_T3_PNSL_ISQ_E10value_typeET4_T5_PSV_SW_PNS1_23onesweep_lookback_stateEbbT6_jjT7_P12ihipStream_tbENKUlT_T0_SK_SP_E_clISE_SE_SF_SF_EEDaS13_S14_SK_SP_EUlS13_E_NS1_11comp_targetILNS1_3genE8ELNS1_11target_archE1030ELNS1_3gpuE2ELNS1_3repE0EEENS1_47radix_sort_onesweep_sort_config_static_selectorELNS0_4arch9wavefront6targetE1EEEvSK_
                                        ; -- End function
	.section	.AMDGPU.csdata,"",@progbits
; Kernel info:
; codeLenInByte = 0
; NumSgprs: 4
; NumVgprs: 0
; NumAgprs: 0
; TotalNumVgprs: 0
; ScratchSize: 0
; MemoryBound: 0
; FloatMode: 240
; IeeeMode: 1
; LDSByteSize: 0 bytes/workgroup (compile time only)
; SGPRBlocks: 0
; VGPRBlocks: 0
; NumSGPRsForWavesPerEU: 4
; NumVGPRsForWavesPerEU: 1
; AccumOffset: 4
; Occupancy: 8
; WaveLimiterHint : 0
; COMPUTE_PGM_RSRC2:SCRATCH_EN: 0
; COMPUTE_PGM_RSRC2:USER_SGPR: 6
; COMPUTE_PGM_RSRC2:TRAP_HANDLER: 0
; COMPUTE_PGM_RSRC2:TGID_X_EN: 1
; COMPUTE_PGM_RSRC2:TGID_Y_EN: 0
; COMPUTE_PGM_RSRC2:TGID_Z_EN: 0
; COMPUTE_PGM_RSRC2:TIDIG_COMP_CNT: 0
; COMPUTE_PGM_RSRC3_GFX90A:ACCUM_OFFSET: 0
; COMPUTE_PGM_RSRC3_GFX90A:TG_SPLIT: 0
	.section	.text._ZN7rocprim17ROCPRIM_400000_NS6detail17trampoline_kernelINS0_14default_configENS1_35radix_sort_onesweep_config_selectorIyNS0_10empty_typeEEEZZNS1_29radix_sort_onesweep_iterationIS3_Lb0EN6thrust23THRUST_200600_302600_NS6detail15normal_iteratorINS9_10device_ptrIyEEEESE_PS5_SF_jNS0_19identity_decomposerENS1_16block_id_wrapperIjLb1EEEEE10hipError_tT1_PNSt15iterator_traitsISK_E10value_typeET2_T3_PNSL_ISQ_E10value_typeET4_T5_PSV_SW_PNS1_23onesweep_lookback_stateEbbT6_jjT7_P12ihipStream_tbENKUlT_T0_SK_SP_E_clISE_PySF_SF_EEDaS13_S14_SK_SP_EUlS13_E_NS1_11comp_targetILNS1_3genE0ELNS1_11target_archE4294967295ELNS1_3gpuE0ELNS1_3repE0EEENS1_47radix_sort_onesweep_sort_config_static_selectorELNS0_4arch9wavefront6targetE1EEEvSK_,"axG",@progbits,_ZN7rocprim17ROCPRIM_400000_NS6detail17trampoline_kernelINS0_14default_configENS1_35radix_sort_onesweep_config_selectorIyNS0_10empty_typeEEEZZNS1_29radix_sort_onesweep_iterationIS3_Lb0EN6thrust23THRUST_200600_302600_NS6detail15normal_iteratorINS9_10device_ptrIyEEEESE_PS5_SF_jNS0_19identity_decomposerENS1_16block_id_wrapperIjLb1EEEEE10hipError_tT1_PNSt15iterator_traitsISK_E10value_typeET2_T3_PNSL_ISQ_E10value_typeET4_T5_PSV_SW_PNS1_23onesweep_lookback_stateEbbT6_jjT7_P12ihipStream_tbENKUlT_T0_SK_SP_E_clISE_PySF_SF_EEDaS13_S14_SK_SP_EUlS13_E_NS1_11comp_targetILNS1_3genE0ELNS1_11target_archE4294967295ELNS1_3gpuE0ELNS1_3repE0EEENS1_47radix_sort_onesweep_sort_config_static_selectorELNS0_4arch9wavefront6targetE1EEEvSK_,comdat
	.protected	_ZN7rocprim17ROCPRIM_400000_NS6detail17trampoline_kernelINS0_14default_configENS1_35radix_sort_onesweep_config_selectorIyNS0_10empty_typeEEEZZNS1_29radix_sort_onesweep_iterationIS3_Lb0EN6thrust23THRUST_200600_302600_NS6detail15normal_iteratorINS9_10device_ptrIyEEEESE_PS5_SF_jNS0_19identity_decomposerENS1_16block_id_wrapperIjLb1EEEEE10hipError_tT1_PNSt15iterator_traitsISK_E10value_typeET2_T3_PNSL_ISQ_E10value_typeET4_T5_PSV_SW_PNS1_23onesweep_lookback_stateEbbT6_jjT7_P12ihipStream_tbENKUlT_T0_SK_SP_E_clISE_PySF_SF_EEDaS13_S14_SK_SP_EUlS13_E_NS1_11comp_targetILNS1_3genE0ELNS1_11target_archE4294967295ELNS1_3gpuE0ELNS1_3repE0EEENS1_47radix_sort_onesweep_sort_config_static_selectorELNS0_4arch9wavefront6targetE1EEEvSK_ ; -- Begin function _ZN7rocprim17ROCPRIM_400000_NS6detail17trampoline_kernelINS0_14default_configENS1_35radix_sort_onesweep_config_selectorIyNS0_10empty_typeEEEZZNS1_29radix_sort_onesweep_iterationIS3_Lb0EN6thrust23THRUST_200600_302600_NS6detail15normal_iteratorINS9_10device_ptrIyEEEESE_PS5_SF_jNS0_19identity_decomposerENS1_16block_id_wrapperIjLb1EEEEE10hipError_tT1_PNSt15iterator_traitsISK_E10value_typeET2_T3_PNSL_ISQ_E10value_typeET4_T5_PSV_SW_PNS1_23onesweep_lookback_stateEbbT6_jjT7_P12ihipStream_tbENKUlT_T0_SK_SP_E_clISE_PySF_SF_EEDaS13_S14_SK_SP_EUlS13_E_NS1_11comp_targetILNS1_3genE0ELNS1_11target_archE4294967295ELNS1_3gpuE0ELNS1_3repE0EEENS1_47radix_sort_onesweep_sort_config_static_selectorELNS0_4arch9wavefront6targetE1EEEvSK_
	.globl	_ZN7rocprim17ROCPRIM_400000_NS6detail17trampoline_kernelINS0_14default_configENS1_35radix_sort_onesweep_config_selectorIyNS0_10empty_typeEEEZZNS1_29radix_sort_onesweep_iterationIS3_Lb0EN6thrust23THRUST_200600_302600_NS6detail15normal_iteratorINS9_10device_ptrIyEEEESE_PS5_SF_jNS0_19identity_decomposerENS1_16block_id_wrapperIjLb1EEEEE10hipError_tT1_PNSt15iterator_traitsISK_E10value_typeET2_T3_PNSL_ISQ_E10value_typeET4_T5_PSV_SW_PNS1_23onesweep_lookback_stateEbbT6_jjT7_P12ihipStream_tbENKUlT_T0_SK_SP_E_clISE_PySF_SF_EEDaS13_S14_SK_SP_EUlS13_E_NS1_11comp_targetILNS1_3genE0ELNS1_11target_archE4294967295ELNS1_3gpuE0ELNS1_3repE0EEENS1_47radix_sort_onesweep_sort_config_static_selectorELNS0_4arch9wavefront6targetE1EEEvSK_
	.p2align	8
	.type	_ZN7rocprim17ROCPRIM_400000_NS6detail17trampoline_kernelINS0_14default_configENS1_35radix_sort_onesweep_config_selectorIyNS0_10empty_typeEEEZZNS1_29radix_sort_onesweep_iterationIS3_Lb0EN6thrust23THRUST_200600_302600_NS6detail15normal_iteratorINS9_10device_ptrIyEEEESE_PS5_SF_jNS0_19identity_decomposerENS1_16block_id_wrapperIjLb1EEEEE10hipError_tT1_PNSt15iterator_traitsISK_E10value_typeET2_T3_PNSL_ISQ_E10value_typeET4_T5_PSV_SW_PNS1_23onesweep_lookback_stateEbbT6_jjT7_P12ihipStream_tbENKUlT_T0_SK_SP_E_clISE_PySF_SF_EEDaS13_S14_SK_SP_EUlS13_E_NS1_11comp_targetILNS1_3genE0ELNS1_11target_archE4294967295ELNS1_3gpuE0ELNS1_3repE0EEENS1_47radix_sort_onesweep_sort_config_static_selectorELNS0_4arch9wavefront6targetE1EEEvSK_,@function
_ZN7rocprim17ROCPRIM_400000_NS6detail17trampoline_kernelINS0_14default_configENS1_35radix_sort_onesweep_config_selectorIyNS0_10empty_typeEEEZZNS1_29radix_sort_onesweep_iterationIS3_Lb0EN6thrust23THRUST_200600_302600_NS6detail15normal_iteratorINS9_10device_ptrIyEEEESE_PS5_SF_jNS0_19identity_decomposerENS1_16block_id_wrapperIjLb1EEEEE10hipError_tT1_PNSt15iterator_traitsISK_E10value_typeET2_T3_PNSL_ISQ_E10value_typeET4_T5_PSV_SW_PNS1_23onesweep_lookback_stateEbbT6_jjT7_P12ihipStream_tbENKUlT_T0_SK_SP_E_clISE_PySF_SF_EEDaS13_S14_SK_SP_EUlS13_E_NS1_11comp_targetILNS1_3genE0ELNS1_11target_archE4294967295ELNS1_3gpuE0ELNS1_3repE0EEENS1_47radix_sort_onesweep_sort_config_static_selectorELNS0_4arch9wavefront6targetE1EEEvSK_: ; @_ZN7rocprim17ROCPRIM_400000_NS6detail17trampoline_kernelINS0_14default_configENS1_35radix_sort_onesweep_config_selectorIyNS0_10empty_typeEEEZZNS1_29radix_sort_onesweep_iterationIS3_Lb0EN6thrust23THRUST_200600_302600_NS6detail15normal_iteratorINS9_10device_ptrIyEEEESE_PS5_SF_jNS0_19identity_decomposerENS1_16block_id_wrapperIjLb1EEEEE10hipError_tT1_PNSt15iterator_traitsISK_E10value_typeET2_T3_PNSL_ISQ_E10value_typeET4_T5_PSV_SW_PNS1_23onesweep_lookback_stateEbbT6_jjT7_P12ihipStream_tbENKUlT_T0_SK_SP_E_clISE_PySF_SF_EEDaS13_S14_SK_SP_EUlS13_E_NS1_11comp_targetILNS1_3genE0ELNS1_11target_archE4294967295ELNS1_3gpuE0ELNS1_3repE0EEENS1_47radix_sort_onesweep_sort_config_static_selectorELNS0_4arch9wavefront6targetE1EEEvSK_
; %bb.0:
	.section	.rodata,"a",@progbits
	.p2align	6, 0x0
	.amdhsa_kernel _ZN7rocprim17ROCPRIM_400000_NS6detail17trampoline_kernelINS0_14default_configENS1_35radix_sort_onesweep_config_selectorIyNS0_10empty_typeEEEZZNS1_29radix_sort_onesweep_iterationIS3_Lb0EN6thrust23THRUST_200600_302600_NS6detail15normal_iteratorINS9_10device_ptrIyEEEESE_PS5_SF_jNS0_19identity_decomposerENS1_16block_id_wrapperIjLb1EEEEE10hipError_tT1_PNSt15iterator_traitsISK_E10value_typeET2_T3_PNSL_ISQ_E10value_typeET4_T5_PSV_SW_PNS1_23onesweep_lookback_stateEbbT6_jjT7_P12ihipStream_tbENKUlT_T0_SK_SP_E_clISE_PySF_SF_EEDaS13_S14_SK_SP_EUlS13_E_NS1_11comp_targetILNS1_3genE0ELNS1_11target_archE4294967295ELNS1_3gpuE0ELNS1_3repE0EEENS1_47radix_sort_onesweep_sort_config_static_selectorELNS0_4arch9wavefront6targetE1EEEvSK_
		.amdhsa_group_segment_fixed_size 0
		.amdhsa_private_segment_fixed_size 0
		.amdhsa_kernarg_size 88
		.amdhsa_user_sgpr_count 6
		.amdhsa_user_sgpr_private_segment_buffer 1
		.amdhsa_user_sgpr_dispatch_ptr 0
		.amdhsa_user_sgpr_queue_ptr 0
		.amdhsa_user_sgpr_kernarg_segment_ptr 1
		.amdhsa_user_sgpr_dispatch_id 0
		.amdhsa_user_sgpr_flat_scratch_init 0
		.amdhsa_user_sgpr_kernarg_preload_length 0
		.amdhsa_user_sgpr_kernarg_preload_offset 0
		.amdhsa_user_sgpr_private_segment_size 0
		.amdhsa_uses_dynamic_stack 0
		.amdhsa_system_sgpr_private_segment_wavefront_offset 0
		.amdhsa_system_sgpr_workgroup_id_x 1
		.amdhsa_system_sgpr_workgroup_id_y 0
		.amdhsa_system_sgpr_workgroup_id_z 0
		.amdhsa_system_sgpr_workgroup_info 0
		.amdhsa_system_vgpr_workitem_id 0
		.amdhsa_next_free_vgpr 1
		.amdhsa_next_free_sgpr 0
		.amdhsa_accum_offset 4
		.amdhsa_reserve_vcc 0
		.amdhsa_reserve_flat_scratch 0
		.amdhsa_float_round_mode_32 0
		.amdhsa_float_round_mode_16_64 0
		.amdhsa_float_denorm_mode_32 3
		.amdhsa_float_denorm_mode_16_64 3
		.amdhsa_dx10_clamp 1
		.amdhsa_ieee_mode 1
		.amdhsa_fp16_overflow 0
		.amdhsa_tg_split 0
		.amdhsa_exception_fp_ieee_invalid_op 0
		.amdhsa_exception_fp_denorm_src 0
		.amdhsa_exception_fp_ieee_div_zero 0
		.amdhsa_exception_fp_ieee_overflow 0
		.amdhsa_exception_fp_ieee_underflow 0
		.amdhsa_exception_fp_ieee_inexact 0
		.amdhsa_exception_int_div_zero 0
	.end_amdhsa_kernel
	.section	.text._ZN7rocprim17ROCPRIM_400000_NS6detail17trampoline_kernelINS0_14default_configENS1_35radix_sort_onesweep_config_selectorIyNS0_10empty_typeEEEZZNS1_29radix_sort_onesweep_iterationIS3_Lb0EN6thrust23THRUST_200600_302600_NS6detail15normal_iteratorINS9_10device_ptrIyEEEESE_PS5_SF_jNS0_19identity_decomposerENS1_16block_id_wrapperIjLb1EEEEE10hipError_tT1_PNSt15iterator_traitsISK_E10value_typeET2_T3_PNSL_ISQ_E10value_typeET4_T5_PSV_SW_PNS1_23onesweep_lookback_stateEbbT6_jjT7_P12ihipStream_tbENKUlT_T0_SK_SP_E_clISE_PySF_SF_EEDaS13_S14_SK_SP_EUlS13_E_NS1_11comp_targetILNS1_3genE0ELNS1_11target_archE4294967295ELNS1_3gpuE0ELNS1_3repE0EEENS1_47radix_sort_onesweep_sort_config_static_selectorELNS0_4arch9wavefront6targetE1EEEvSK_,"axG",@progbits,_ZN7rocprim17ROCPRIM_400000_NS6detail17trampoline_kernelINS0_14default_configENS1_35radix_sort_onesweep_config_selectorIyNS0_10empty_typeEEEZZNS1_29radix_sort_onesweep_iterationIS3_Lb0EN6thrust23THRUST_200600_302600_NS6detail15normal_iteratorINS9_10device_ptrIyEEEESE_PS5_SF_jNS0_19identity_decomposerENS1_16block_id_wrapperIjLb1EEEEE10hipError_tT1_PNSt15iterator_traitsISK_E10value_typeET2_T3_PNSL_ISQ_E10value_typeET4_T5_PSV_SW_PNS1_23onesweep_lookback_stateEbbT6_jjT7_P12ihipStream_tbENKUlT_T0_SK_SP_E_clISE_PySF_SF_EEDaS13_S14_SK_SP_EUlS13_E_NS1_11comp_targetILNS1_3genE0ELNS1_11target_archE4294967295ELNS1_3gpuE0ELNS1_3repE0EEENS1_47radix_sort_onesweep_sort_config_static_selectorELNS0_4arch9wavefront6targetE1EEEvSK_,comdat
.Lfunc_end873:
	.size	_ZN7rocprim17ROCPRIM_400000_NS6detail17trampoline_kernelINS0_14default_configENS1_35radix_sort_onesweep_config_selectorIyNS0_10empty_typeEEEZZNS1_29radix_sort_onesweep_iterationIS3_Lb0EN6thrust23THRUST_200600_302600_NS6detail15normal_iteratorINS9_10device_ptrIyEEEESE_PS5_SF_jNS0_19identity_decomposerENS1_16block_id_wrapperIjLb1EEEEE10hipError_tT1_PNSt15iterator_traitsISK_E10value_typeET2_T3_PNSL_ISQ_E10value_typeET4_T5_PSV_SW_PNS1_23onesweep_lookback_stateEbbT6_jjT7_P12ihipStream_tbENKUlT_T0_SK_SP_E_clISE_PySF_SF_EEDaS13_S14_SK_SP_EUlS13_E_NS1_11comp_targetILNS1_3genE0ELNS1_11target_archE4294967295ELNS1_3gpuE0ELNS1_3repE0EEENS1_47radix_sort_onesweep_sort_config_static_selectorELNS0_4arch9wavefront6targetE1EEEvSK_, .Lfunc_end873-_ZN7rocprim17ROCPRIM_400000_NS6detail17trampoline_kernelINS0_14default_configENS1_35radix_sort_onesweep_config_selectorIyNS0_10empty_typeEEEZZNS1_29radix_sort_onesweep_iterationIS3_Lb0EN6thrust23THRUST_200600_302600_NS6detail15normal_iteratorINS9_10device_ptrIyEEEESE_PS5_SF_jNS0_19identity_decomposerENS1_16block_id_wrapperIjLb1EEEEE10hipError_tT1_PNSt15iterator_traitsISK_E10value_typeET2_T3_PNSL_ISQ_E10value_typeET4_T5_PSV_SW_PNS1_23onesweep_lookback_stateEbbT6_jjT7_P12ihipStream_tbENKUlT_T0_SK_SP_E_clISE_PySF_SF_EEDaS13_S14_SK_SP_EUlS13_E_NS1_11comp_targetILNS1_3genE0ELNS1_11target_archE4294967295ELNS1_3gpuE0ELNS1_3repE0EEENS1_47radix_sort_onesweep_sort_config_static_selectorELNS0_4arch9wavefront6targetE1EEEvSK_
                                        ; -- End function
	.section	.AMDGPU.csdata,"",@progbits
; Kernel info:
; codeLenInByte = 0
; NumSgprs: 4
; NumVgprs: 0
; NumAgprs: 0
; TotalNumVgprs: 0
; ScratchSize: 0
; MemoryBound: 0
; FloatMode: 240
; IeeeMode: 1
; LDSByteSize: 0 bytes/workgroup (compile time only)
; SGPRBlocks: 0
; VGPRBlocks: 0
; NumSGPRsForWavesPerEU: 4
; NumVGPRsForWavesPerEU: 1
; AccumOffset: 4
; Occupancy: 8
; WaveLimiterHint : 0
; COMPUTE_PGM_RSRC2:SCRATCH_EN: 0
; COMPUTE_PGM_RSRC2:USER_SGPR: 6
; COMPUTE_PGM_RSRC2:TRAP_HANDLER: 0
; COMPUTE_PGM_RSRC2:TGID_X_EN: 1
; COMPUTE_PGM_RSRC2:TGID_Y_EN: 0
; COMPUTE_PGM_RSRC2:TGID_Z_EN: 0
; COMPUTE_PGM_RSRC2:TIDIG_COMP_CNT: 0
; COMPUTE_PGM_RSRC3_GFX90A:ACCUM_OFFSET: 0
; COMPUTE_PGM_RSRC3_GFX90A:TG_SPLIT: 0
	.section	.text._ZN7rocprim17ROCPRIM_400000_NS6detail17trampoline_kernelINS0_14default_configENS1_35radix_sort_onesweep_config_selectorIyNS0_10empty_typeEEEZZNS1_29radix_sort_onesweep_iterationIS3_Lb0EN6thrust23THRUST_200600_302600_NS6detail15normal_iteratorINS9_10device_ptrIyEEEESE_PS5_SF_jNS0_19identity_decomposerENS1_16block_id_wrapperIjLb1EEEEE10hipError_tT1_PNSt15iterator_traitsISK_E10value_typeET2_T3_PNSL_ISQ_E10value_typeET4_T5_PSV_SW_PNS1_23onesweep_lookback_stateEbbT6_jjT7_P12ihipStream_tbENKUlT_T0_SK_SP_E_clISE_PySF_SF_EEDaS13_S14_SK_SP_EUlS13_E_NS1_11comp_targetILNS1_3genE6ELNS1_11target_archE950ELNS1_3gpuE13ELNS1_3repE0EEENS1_47radix_sort_onesweep_sort_config_static_selectorELNS0_4arch9wavefront6targetE1EEEvSK_,"axG",@progbits,_ZN7rocprim17ROCPRIM_400000_NS6detail17trampoline_kernelINS0_14default_configENS1_35radix_sort_onesweep_config_selectorIyNS0_10empty_typeEEEZZNS1_29radix_sort_onesweep_iterationIS3_Lb0EN6thrust23THRUST_200600_302600_NS6detail15normal_iteratorINS9_10device_ptrIyEEEESE_PS5_SF_jNS0_19identity_decomposerENS1_16block_id_wrapperIjLb1EEEEE10hipError_tT1_PNSt15iterator_traitsISK_E10value_typeET2_T3_PNSL_ISQ_E10value_typeET4_T5_PSV_SW_PNS1_23onesweep_lookback_stateEbbT6_jjT7_P12ihipStream_tbENKUlT_T0_SK_SP_E_clISE_PySF_SF_EEDaS13_S14_SK_SP_EUlS13_E_NS1_11comp_targetILNS1_3genE6ELNS1_11target_archE950ELNS1_3gpuE13ELNS1_3repE0EEENS1_47radix_sort_onesweep_sort_config_static_selectorELNS0_4arch9wavefront6targetE1EEEvSK_,comdat
	.protected	_ZN7rocprim17ROCPRIM_400000_NS6detail17trampoline_kernelINS0_14default_configENS1_35radix_sort_onesweep_config_selectorIyNS0_10empty_typeEEEZZNS1_29radix_sort_onesweep_iterationIS3_Lb0EN6thrust23THRUST_200600_302600_NS6detail15normal_iteratorINS9_10device_ptrIyEEEESE_PS5_SF_jNS0_19identity_decomposerENS1_16block_id_wrapperIjLb1EEEEE10hipError_tT1_PNSt15iterator_traitsISK_E10value_typeET2_T3_PNSL_ISQ_E10value_typeET4_T5_PSV_SW_PNS1_23onesweep_lookback_stateEbbT6_jjT7_P12ihipStream_tbENKUlT_T0_SK_SP_E_clISE_PySF_SF_EEDaS13_S14_SK_SP_EUlS13_E_NS1_11comp_targetILNS1_3genE6ELNS1_11target_archE950ELNS1_3gpuE13ELNS1_3repE0EEENS1_47radix_sort_onesweep_sort_config_static_selectorELNS0_4arch9wavefront6targetE1EEEvSK_ ; -- Begin function _ZN7rocprim17ROCPRIM_400000_NS6detail17trampoline_kernelINS0_14default_configENS1_35radix_sort_onesweep_config_selectorIyNS0_10empty_typeEEEZZNS1_29radix_sort_onesweep_iterationIS3_Lb0EN6thrust23THRUST_200600_302600_NS6detail15normal_iteratorINS9_10device_ptrIyEEEESE_PS5_SF_jNS0_19identity_decomposerENS1_16block_id_wrapperIjLb1EEEEE10hipError_tT1_PNSt15iterator_traitsISK_E10value_typeET2_T3_PNSL_ISQ_E10value_typeET4_T5_PSV_SW_PNS1_23onesweep_lookback_stateEbbT6_jjT7_P12ihipStream_tbENKUlT_T0_SK_SP_E_clISE_PySF_SF_EEDaS13_S14_SK_SP_EUlS13_E_NS1_11comp_targetILNS1_3genE6ELNS1_11target_archE950ELNS1_3gpuE13ELNS1_3repE0EEENS1_47radix_sort_onesweep_sort_config_static_selectorELNS0_4arch9wavefront6targetE1EEEvSK_
	.globl	_ZN7rocprim17ROCPRIM_400000_NS6detail17trampoline_kernelINS0_14default_configENS1_35radix_sort_onesweep_config_selectorIyNS0_10empty_typeEEEZZNS1_29radix_sort_onesweep_iterationIS3_Lb0EN6thrust23THRUST_200600_302600_NS6detail15normal_iteratorINS9_10device_ptrIyEEEESE_PS5_SF_jNS0_19identity_decomposerENS1_16block_id_wrapperIjLb1EEEEE10hipError_tT1_PNSt15iterator_traitsISK_E10value_typeET2_T3_PNSL_ISQ_E10value_typeET4_T5_PSV_SW_PNS1_23onesweep_lookback_stateEbbT6_jjT7_P12ihipStream_tbENKUlT_T0_SK_SP_E_clISE_PySF_SF_EEDaS13_S14_SK_SP_EUlS13_E_NS1_11comp_targetILNS1_3genE6ELNS1_11target_archE950ELNS1_3gpuE13ELNS1_3repE0EEENS1_47radix_sort_onesweep_sort_config_static_selectorELNS0_4arch9wavefront6targetE1EEEvSK_
	.p2align	8
	.type	_ZN7rocprim17ROCPRIM_400000_NS6detail17trampoline_kernelINS0_14default_configENS1_35radix_sort_onesweep_config_selectorIyNS0_10empty_typeEEEZZNS1_29radix_sort_onesweep_iterationIS3_Lb0EN6thrust23THRUST_200600_302600_NS6detail15normal_iteratorINS9_10device_ptrIyEEEESE_PS5_SF_jNS0_19identity_decomposerENS1_16block_id_wrapperIjLb1EEEEE10hipError_tT1_PNSt15iterator_traitsISK_E10value_typeET2_T3_PNSL_ISQ_E10value_typeET4_T5_PSV_SW_PNS1_23onesweep_lookback_stateEbbT6_jjT7_P12ihipStream_tbENKUlT_T0_SK_SP_E_clISE_PySF_SF_EEDaS13_S14_SK_SP_EUlS13_E_NS1_11comp_targetILNS1_3genE6ELNS1_11target_archE950ELNS1_3gpuE13ELNS1_3repE0EEENS1_47radix_sort_onesweep_sort_config_static_selectorELNS0_4arch9wavefront6targetE1EEEvSK_,@function
_ZN7rocprim17ROCPRIM_400000_NS6detail17trampoline_kernelINS0_14default_configENS1_35radix_sort_onesweep_config_selectorIyNS0_10empty_typeEEEZZNS1_29radix_sort_onesweep_iterationIS3_Lb0EN6thrust23THRUST_200600_302600_NS6detail15normal_iteratorINS9_10device_ptrIyEEEESE_PS5_SF_jNS0_19identity_decomposerENS1_16block_id_wrapperIjLb1EEEEE10hipError_tT1_PNSt15iterator_traitsISK_E10value_typeET2_T3_PNSL_ISQ_E10value_typeET4_T5_PSV_SW_PNS1_23onesweep_lookback_stateEbbT6_jjT7_P12ihipStream_tbENKUlT_T0_SK_SP_E_clISE_PySF_SF_EEDaS13_S14_SK_SP_EUlS13_E_NS1_11comp_targetILNS1_3genE6ELNS1_11target_archE950ELNS1_3gpuE13ELNS1_3repE0EEENS1_47radix_sort_onesweep_sort_config_static_selectorELNS0_4arch9wavefront6targetE1EEEvSK_: ; @_ZN7rocprim17ROCPRIM_400000_NS6detail17trampoline_kernelINS0_14default_configENS1_35radix_sort_onesweep_config_selectorIyNS0_10empty_typeEEEZZNS1_29radix_sort_onesweep_iterationIS3_Lb0EN6thrust23THRUST_200600_302600_NS6detail15normal_iteratorINS9_10device_ptrIyEEEESE_PS5_SF_jNS0_19identity_decomposerENS1_16block_id_wrapperIjLb1EEEEE10hipError_tT1_PNSt15iterator_traitsISK_E10value_typeET2_T3_PNSL_ISQ_E10value_typeET4_T5_PSV_SW_PNS1_23onesweep_lookback_stateEbbT6_jjT7_P12ihipStream_tbENKUlT_T0_SK_SP_E_clISE_PySF_SF_EEDaS13_S14_SK_SP_EUlS13_E_NS1_11comp_targetILNS1_3genE6ELNS1_11target_archE950ELNS1_3gpuE13ELNS1_3repE0EEENS1_47radix_sort_onesweep_sort_config_static_selectorELNS0_4arch9wavefront6targetE1EEEvSK_
; %bb.0:
	.section	.rodata,"a",@progbits
	.p2align	6, 0x0
	.amdhsa_kernel _ZN7rocprim17ROCPRIM_400000_NS6detail17trampoline_kernelINS0_14default_configENS1_35radix_sort_onesweep_config_selectorIyNS0_10empty_typeEEEZZNS1_29radix_sort_onesweep_iterationIS3_Lb0EN6thrust23THRUST_200600_302600_NS6detail15normal_iteratorINS9_10device_ptrIyEEEESE_PS5_SF_jNS0_19identity_decomposerENS1_16block_id_wrapperIjLb1EEEEE10hipError_tT1_PNSt15iterator_traitsISK_E10value_typeET2_T3_PNSL_ISQ_E10value_typeET4_T5_PSV_SW_PNS1_23onesweep_lookback_stateEbbT6_jjT7_P12ihipStream_tbENKUlT_T0_SK_SP_E_clISE_PySF_SF_EEDaS13_S14_SK_SP_EUlS13_E_NS1_11comp_targetILNS1_3genE6ELNS1_11target_archE950ELNS1_3gpuE13ELNS1_3repE0EEENS1_47radix_sort_onesweep_sort_config_static_selectorELNS0_4arch9wavefront6targetE1EEEvSK_
		.amdhsa_group_segment_fixed_size 0
		.amdhsa_private_segment_fixed_size 0
		.amdhsa_kernarg_size 88
		.amdhsa_user_sgpr_count 6
		.amdhsa_user_sgpr_private_segment_buffer 1
		.amdhsa_user_sgpr_dispatch_ptr 0
		.amdhsa_user_sgpr_queue_ptr 0
		.amdhsa_user_sgpr_kernarg_segment_ptr 1
		.amdhsa_user_sgpr_dispatch_id 0
		.amdhsa_user_sgpr_flat_scratch_init 0
		.amdhsa_user_sgpr_kernarg_preload_length 0
		.amdhsa_user_sgpr_kernarg_preload_offset 0
		.amdhsa_user_sgpr_private_segment_size 0
		.amdhsa_uses_dynamic_stack 0
		.amdhsa_system_sgpr_private_segment_wavefront_offset 0
		.amdhsa_system_sgpr_workgroup_id_x 1
		.amdhsa_system_sgpr_workgroup_id_y 0
		.amdhsa_system_sgpr_workgroup_id_z 0
		.amdhsa_system_sgpr_workgroup_info 0
		.amdhsa_system_vgpr_workitem_id 0
		.amdhsa_next_free_vgpr 1
		.amdhsa_next_free_sgpr 0
		.amdhsa_accum_offset 4
		.amdhsa_reserve_vcc 0
		.amdhsa_reserve_flat_scratch 0
		.amdhsa_float_round_mode_32 0
		.amdhsa_float_round_mode_16_64 0
		.amdhsa_float_denorm_mode_32 3
		.amdhsa_float_denorm_mode_16_64 3
		.amdhsa_dx10_clamp 1
		.amdhsa_ieee_mode 1
		.amdhsa_fp16_overflow 0
		.amdhsa_tg_split 0
		.amdhsa_exception_fp_ieee_invalid_op 0
		.amdhsa_exception_fp_denorm_src 0
		.amdhsa_exception_fp_ieee_div_zero 0
		.amdhsa_exception_fp_ieee_overflow 0
		.amdhsa_exception_fp_ieee_underflow 0
		.amdhsa_exception_fp_ieee_inexact 0
		.amdhsa_exception_int_div_zero 0
	.end_amdhsa_kernel
	.section	.text._ZN7rocprim17ROCPRIM_400000_NS6detail17trampoline_kernelINS0_14default_configENS1_35radix_sort_onesweep_config_selectorIyNS0_10empty_typeEEEZZNS1_29radix_sort_onesweep_iterationIS3_Lb0EN6thrust23THRUST_200600_302600_NS6detail15normal_iteratorINS9_10device_ptrIyEEEESE_PS5_SF_jNS0_19identity_decomposerENS1_16block_id_wrapperIjLb1EEEEE10hipError_tT1_PNSt15iterator_traitsISK_E10value_typeET2_T3_PNSL_ISQ_E10value_typeET4_T5_PSV_SW_PNS1_23onesweep_lookback_stateEbbT6_jjT7_P12ihipStream_tbENKUlT_T0_SK_SP_E_clISE_PySF_SF_EEDaS13_S14_SK_SP_EUlS13_E_NS1_11comp_targetILNS1_3genE6ELNS1_11target_archE950ELNS1_3gpuE13ELNS1_3repE0EEENS1_47radix_sort_onesweep_sort_config_static_selectorELNS0_4arch9wavefront6targetE1EEEvSK_,"axG",@progbits,_ZN7rocprim17ROCPRIM_400000_NS6detail17trampoline_kernelINS0_14default_configENS1_35radix_sort_onesweep_config_selectorIyNS0_10empty_typeEEEZZNS1_29radix_sort_onesweep_iterationIS3_Lb0EN6thrust23THRUST_200600_302600_NS6detail15normal_iteratorINS9_10device_ptrIyEEEESE_PS5_SF_jNS0_19identity_decomposerENS1_16block_id_wrapperIjLb1EEEEE10hipError_tT1_PNSt15iterator_traitsISK_E10value_typeET2_T3_PNSL_ISQ_E10value_typeET4_T5_PSV_SW_PNS1_23onesweep_lookback_stateEbbT6_jjT7_P12ihipStream_tbENKUlT_T0_SK_SP_E_clISE_PySF_SF_EEDaS13_S14_SK_SP_EUlS13_E_NS1_11comp_targetILNS1_3genE6ELNS1_11target_archE950ELNS1_3gpuE13ELNS1_3repE0EEENS1_47radix_sort_onesweep_sort_config_static_selectorELNS0_4arch9wavefront6targetE1EEEvSK_,comdat
.Lfunc_end874:
	.size	_ZN7rocprim17ROCPRIM_400000_NS6detail17trampoline_kernelINS0_14default_configENS1_35radix_sort_onesweep_config_selectorIyNS0_10empty_typeEEEZZNS1_29radix_sort_onesweep_iterationIS3_Lb0EN6thrust23THRUST_200600_302600_NS6detail15normal_iteratorINS9_10device_ptrIyEEEESE_PS5_SF_jNS0_19identity_decomposerENS1_16block_id_wrapperIjLb1EEEEE10hipError_tT1_PNSt15iterator_traitsISK_E10value_typeET2_T3_PNSL_ISQ_E10value_typeET4_T5_PSV_SW_PNS1_23onesweep_lookback_stateEbbT6_jjT7_P12ihipStream_tbENKUlT_T0_SK_SP_E_clISE_PySF_SF_EEDaS13_S14_SK_SP_EUlS13_E_NS1_11comp_targetILNS1_3genE6ELNS1_11target_archE950ELNS1_3gpuE13ELNS1_3repE0EEENS1_47radix_sort_onesweep_sort_config_static_selectorELNS0_4arch9wavefront6targetE1EEEvSK_, .Lfunc_end874-_ZN7rocprim17ROCPRIM_400000_NS6detail17trampoline_kernelINS0_14default_configENS1_35radix_sort_onesweep_config_selectorIyNS0_10empty_typeEEEZZNS1_29radix_sort_onesweep_iterationIS3_Lb0EN6thrust23THRUST_200600_302600_NS6detail15normal_iteratorINS9_10device_ptrIyEEEESE_PS5_SF_jNS0_19identity_decomposerENS1_16block_id_wrapperIjLb1EEEEE10hipError_tT1_PNSt15iterator_traitsISK_E10value_typeET2_T3_PNSL_ISQ_E10value_typeET4_T5_PSV_SW_PNS1_23onesweep_lookback_stateEbbT6_jjT7_P12ihipStream_tbENKUlT_T0_SK_SP_E_clISE_PySF_SF_EEDaS13_S14_SK_SP_EUlS13_E_NS1_11comp_targetILNS1_3genE6ELNS1_11target_archE950ELNS1_3gpuE13ELNS1_3repE0EEENS1_47radix_sort_onesweep_sort_config_static_selectorELNS0_4arch9wavefront6targetE1EEEvSK_
                                        ; -- End function
	.section	.AMDGPU.csdata,"",@progbits
; Kernel info:
; codeLenInByte = 0
; NumSgprs: 4
; NumVgprs: 0
; NumAgprs: 0
; TotalNumVgprs: 0
; ScratchSize: 0
; MemoryBound: 0
; FloatMode: 240
; IeeeMode: 1
; LDSByteSize: 0 bytes/workgroup (compile time only)
; SGPRBlocks: 0
; VGPRBlocks: 0
; NumSGPRsForWavesPerEU: 4
; NumVGPRsForWavesPerEU: 1
; AccumOffset: 4
; Occupancy: 8
; WaveLimiterHint : 0
; COMPUTE_PGM_RSRC2:SCRATCH_EN: 0
; COMPUTE_PGM_RSRC2:USER_SGPR: 6
; COMPUTE_PGM_RSRC2:TRAP_HANDLER: 0
; COMPUTE_PGM_RSRC2:TGID_X_EN: 1
; COMPUTE_PGM_RSRC2:TGID_Y_EN: 0
; COMPUTE_PGM_RSRC2:TGID_Z_EN: 0
; COMPUTE_PGM_RSRC2:TIDIG_COMP_CNT: 0
; COMPUTE_PGM_RSRC3_GFX90A:ACCUM_OFFSET: 0
; COMPUTE_PGM_RSRC3_GFX90A:TG_SPLIT: 0
	.section	.text._ZN7rocprim17ROCPRIM_400000_NS6detail17trampoline_kernelINS0_14default_configENS1_35radix_sort_onesweep_config_selectorIyNS0_10empty_typeEEEZZNS1_29radix_sort_onesweep_iterationIS3_Lb0EN6thrust23THRUST_200600_302600_NS6detail15normal_iteratorINS9_10device_ptrIyEEEESE_PS5_SF_jNS0_19identity_decomposerENS1_16block_id_wrapperIjLb1EEEEE10hipError_tT1_PNSt15iterator_traitsISK_E10value_typeET2_T3_PNSL_ISQ_E10value_typeET4_T5_PSV_SW_PNS1_23onesweep_lookback_stateEbbT6_jjT7_P12ihipStream_tbENKUlT_T0_SK_SP_E_clISE_PySF_SF_EEDaS13_S14_SK_SP_EUlS13_E_NS1_11comp_targetILNS1_3genE5ELNS1_11target_archE942ELNS1_3gpuE9ELNS1_3repE0EEENS1_47radix_sort_onesweep_sort_config_static_selectorELNS0_4arch9wavefront6targetE1EEEvSK_,"axG",@progbits,_ZN7rocprim17ROCPRIM_400000_NS6detail17trampoline_kernelINS0_14default_configENS1_35radix_sort_onesweep_config_selectorIyNS0_10empty_typeEEEZZNS1_29radix_sort_onesweep_iterationIS3_Lb0EN6thrust23THRUST_200600_302600_NS6detail15normal_iteratorINS9_10device_ptrIyEEEESE_PS5_SF_jNS0_19identity_decomposerENS1_16block_id_wrapperIjLb1EEEEE10hipError_tT1_PNSt15iterator_traitsISK_E10value_typeET2_T3_PNSL_ISQ_E10value_typeET4_T5_PSV_SW_PNS1_23onesweep_lookback_stateEbbT6_jjT7_P12ihipStream_tbENKUlT_T0_SK_SP_E_clISE_PySF_SF_EEDaS13_S14_SK_SP_EUlS13_E_NS1_11comp_targetILNS1_3genE5ELNS1_11target_archE942ELNS1_3gpuE9ELNS1_3repE0EEENS1_47radix_sort_onesweep_sort_config_static_selectorELNS0_4arch9wavefront6targetE1EEEvSK_,comdat
	.protected	_ZN7rocprim17ROCPRIM_400000_NS6detail17trampoline_kernelINS0_14default_configENS1_35radix_sort_onesweep_config_selectorIyNS0_10empty_typeEEEZZNS1_29radix_sort_onesweep_iterationIS3_Lb0EN6thrust23THRUST_200600_302600_NS6detail15normal_iteratorINS9_10device_ptrIyEEEESE_PS5_SF_jNS0_19identity_decomposerENS1_16block_id_wrapperIjLb1EEEEE10hipError_tT1_PNSt15iterator_traitsISK_E10value_typeET2_T3_PNSL_ISQ_E10value_typeET4_T5_PSV_SW_PNS1_23onesweep_lookback_stateEbbT6_jjT7_P12ihipStream_tbENKUlT_T0_SK_SP_E_clISE_PySF_SF_EEDaS13_S14_SK_SP_EUlS13_E_NS1_11comp_targetILNS1_3genE5ELNS1_11target_archE942ELNS1_3gpuE9ELNS1_3repE0EEENS1_47radix_sort_onesweep_sort_config_static_selectorELNS0_4arch9wavefront6targetE1EEEvSK_ ; -- Begin function _ZN7rocprim17ROCPRIM_400000_NS6detail17trampoline_kernelINS0_14default_configENS1_35radix_sort_onesweep_config_selectorIyNS0_10empty_typeEEEZZNS1_29radix_sort_onesweep_iterationIS3_Lb0EN6thrust23THRUST_200600_302600_NS6detail15normal_iteratorINS9_10device_ptrIyEEEESE_PS5_SF_jNS0_19identity_decomposerENS1_16block_id_wrapperIjLb1EEEEE10hipError_tT1_PNSt15iterator_traitsISK_E10value_typeET2_T3_PNSL_ISQ_E10value_typeET4_T5_PSV_SW_PNS1_23onesweep_lookback_stateEbbT6_jjT7_P12ihipStream_tbENKUlT_T0_SK_SP_E_clISE_PySF_SF_EEDaS13_S14_SK_SP_EUlS13_E_NS1_11comp_targetILNS1_3genE5ELNS1_11target_archE942ELNS1_3gpuE9ELNS1_3repE0EEENS1_47radix_sort_onesweep_sort_config_static_selectorELNS0_4arch9wavefront6targetE1EEEvSK_
	.globl	_ZN7rocprim17ROCPRIM_400000_NS6detail17trampoline_kernelINS0_14default_configENS1_35radix_sort_onesweep_config_selectorIyNS0_10empty_typeEEEZZNS1_29radix_sort_onesweep_iterationIS3_Lb0EN6thrust23THRUST_200600_302600_NS6detail15normal_iteratorINS9_10device_ptrIyEEEESE_PS5_SF_jNS0_19identity_decomposerENS1_16block_id_wrapperIjLb1EEEEE10hipError_tT1_PNSt15iterator_traitsISK_E10value_typeET2_T3_PNSL_ISQ_E10value_typeET4_T5_PSV_SW_PNS1_23onesweep_lookback_stateEbbT6_jjT7_P12ihipStream_tbENKUlT_T0_SK_SP_E_clISE_PySF_SF_EEDaS13_S14_SK_SP_EUlS13_E_NS1_11comp_targetILNS1_3genE5ELNS1_11target_archE942ELNS1_3gpuE9ELNS1_3repE0EEENS1_47radix_sort_onesweep_sort_config_static_selectorELNS0_4arch9wavefront6targetE1EEEvSK_
	.p2align	8
	.type	_ZN7rocprim17ROCPRIM_400000_NS6detail17trampoline_kernelINS0_14default_configENS1_35radix_sort_onesweep_config_selectorIyNS0_10empty_typeEEEZZNS1_29radix_sort_onesweep_iterationIS3_Lb0EN6thrust23THRUST_200600_302600_NS6detail15normal_iteratorINS9_10device_ptrIyEEEESE_PS5_SF_jNS0_19identity_decomposerENS1_16block_id_wrapperIjLb1EEEEE10hipError_tT1_PNSt15iterator_traitsISK_E10value_typeET2_T3_PNSL_ISQ_E10value_typeET4_T5_PSV_SW_PNS1_23onesweep_lookback_stateEbbT6_jjT7_P12ihipStream_tbENKUlT_T0_SK_SP_E_clISE_PySF_SF_EEDaS13_S14_SK_SP_EUlS13_E_NS1_11comp_targetILNS1_3genE5ELNS1_11target_archE942ELNS1_3gpuE9ELNS1_3repE0EEENS1_47radix_sort_onesweep_sort_config_static_selectorELNS0_4arch9wavefront6targetE1EEEvSK_,@function
_ZN7rocprim17ROCPRIM_400000_NS6detail17trampoline_kernelINS0_14default_configENS1_35radix_sort_onesweep_config_selectorIyNS0_10empty_typeEEEZZNS1_29radix_sort_onesweep_iterationIS3_Lb0EN6thrust23THRUST_200600_302600_NS6detail15normal_iteratorINS9_10device_ptrIyEEEESE_PS5_SF_jNS0_19identity_decomposerENS1_16block_id_wrapperIjLb1EEEEE10hipError_tT1_PNSt15iterator_traitsISK_E10value_typeET2_T3_PNSL_ISQ_E10value_typeET4_T5_PSV_SW_PNS1_23onesweep_lookback_stateEbbT6_jjT7_P12ihipStream_tbENKUlT_T0_SK_SP_E_clISE_PySF_SF_EEDaS13_S14_SK_SP_EUlS13_E_NS1_11comp_targetILNS1_3genE5ELNS1_11target_archE942ELNS1_3gpuE9ELNS1_3repE0EEENS1_47radix_sort_onesweep_sort_config_static_selectorELNS0_4arch9wavefront6targetE1EEEvSK_: ; @_ZN7rocprim17ROCPRIM_400000_NS6detail17trampoline_kernelINS0_14default_configENS1_35radix_sort_onesweep_config_selectorIyNS0_10empty_typeEEEZZNS1_29radix_sort_onesweep_iterationIS3_Lb0EN6thrust23THRUST_200600_302600_NS6detail15normal_iteratorINS9_10device_ptrIyEEEESE_PS5_SF_jNS0_19identity_decomposerENS1_16block_id_wrapperIjLb1EEEEE10hipError_tT1_PNSt15iterator_traitsISK_E10value_typeET2_T3_PNSL_ISQ_E10value_typeET4_T5_PSV_SW_PNS1_23onesweep_lookback_stateEbbT6_jjT7_P12ihipStream_tbENKUlT_T0_SK_SP_E_clISE_PySF_SF_EEDaS13_S14_SK_SP_EUlS13_E_NS1_11comp_targetILNS1_3genE5ELNS1_11target_archE942ELNS1_3gpuE9ELNS1_3repE0EEENS1_47radix_sort_onesweep_sort_config_static_selectorELNS0_4arch9wavefront6targetE1EEEvSK_
; %bb.0:
	.section	.rodata,"a",@progbits
	.p2align	6, 0x0
	.amdhsa_kernel _ZN7rocprim17ROCPRIM_400000_NS6detail17trampoline_kernelINS0_14default_configENS1_35radix_sort_onesweep_config_selectorIyNS0_10empty_typeEEEZZNS1_29radix_sort_onesweep_iterationIS3_Lb0EN6thrust23THRUST_200600_302600_NS6detail15normal_iteratorINS9_10device_ptrIyEEEESE_PS5_SF_jNS0_19identity_decomposerENS1_16block_id_wrapperIjLb1EEEEE10hipError_tT1_PNSt15iterator_traitsISK_E10value_typeET2_T3_PNSL_ISQ_E10value_typeET4_T5_PSV_SW_PNS1_23onesweep_lookback_stateEbbT6_jjT7_P12ihipStream_tbENKUlT_T0_SK_SP_E_clISE_PySF_SF_EEDaS13_S14_SK_SP_EUlS13_E_NS1_11comp_targetILNS1_3genE5ELNS1_11target_archE942ELNS1_3gpuE9ELNS1_3repE0EEENS1_47radix_sort_onesweep_sort_config_static_selectorELNS0_4arch9wavefront6targetE1EEEvSK_
		.amdhsa_group_segment_fixed_size 0
		.amdhsa_private_segment_fixed_size 0
		.amdhsa_kernarg_size 88
		.amdhsa_user_sgpr_count 6
		.amdhsa_user_sgpr_private_segment_buffer 1
		.amdhsa_user_sgpr_dispatch_ptr 0
		.amdhsa_user_sgpr_queue_ptr 0
		.amdhsa_user_sgpr_kernarg_segment_ptr 1
		.amdhsa_user_sgpr_dispatch_id 0
		.amdhsa_user_sgpr_flat_scratch_init 0
		.amdhsa_user_sgpr_kernarg_preload_length 0
		.amdhsa_user_sgpr_kernarg_preload_offset 0
		.amdhsa_user_sgpr_private_segment_size 0
		.amdhsa_uses_dynamic_stack 0
		.amdhsa_system_sgpr_private_segment_wavefront_offset 0
		.amdhsa_system_sgpr_workgroup_id_x 1
		.amdhsa_system_sgpr_workgroup_id_y 0
		.amdhsa_system_sgpr_workgroup_id_z 0
		.amdhsa_system_sgpr_workgroup_info 0
		.amdhsa_system_vgpr_workitem_id 0
		.amdhsa_next_free_vgpr 1
		.amdhsa_next_free_sgpr 0
		.amdhsa_accum_offset 4
		.amdhsa_reserve_vcc 0
		.amdhsa_reserve_flat_scratch 0
		.amdhsa_float_round_mode_32 0
		.amdhsa_float_round_mode_16_64 0
		.amdhsa_float_denorm_mode_32 3
		.amdhsa_float_denorm_mode_16_64 3
		.amdhsa_dx10_clamp 1
		.amdhsa_ieee_mode 1
		.amdhsa_fp16_overflow 0
		.amdhsa_tg_split 0
		.amdhsa_exception_fp_ieee_invalid_op 0
		.amdhsa_exception_fp_denorm_src 0
		.amdhsa_exception_fp_ieee_div_zero 0
		.amdhsa_exception_fp_ieee_overflow 0
		.amdhsa_exception_fp_ieee_underflow 0
		.amdhsa_exception_fp_ieee_inexact 0
		.amdhsa_exception_int_div_zero 0
	.end_amdhsa_kernel
	.section	.text._ZN7rocprim17ROCPRIM_400000_NS6detail17trampoline_kernelINS0_14default_configENS1_35radix_sort_onesweep_config_selectorIyNS0_10empty_typeEEEZZNS1_29radix_sort_onesweep_iterationIS3_Lb0EN6thrust23THRUST_200600_302600_NS6detail15normal_iteratorINS9_10device_ptrIyEEEESE_PS5_SF_jNS0_19identity_decomposerENS1_16block_id_wrapperIjLb1EEEEE10hipError_tT1_PNSt15iterator_traitsISK_E10value_typeET2_T3_PNSL_ISQ_E10value_typeET4_T5_PSV_SW_PNS1_23onesweep_lookback_stateEbbT6_jjT7_P12ihipStream_tbENKUlT_T0_SK_SP_E_clISE_PySF_SF_EEDaS13_S14_SK_SP_EUlS13_E_NS1_11comp_targetILNS1_3genE5ELNS1_11target_archE942ELNS1_3gpuE9ELNS1_3repE0EEENS1_47radix_sort_onesweep_sort_config_static_selectorELNS0_4arch9wavefront6targetE1EEEvSK_,"axG",@progbits,_ZN7rocprim17ROCPRIM_400000_NS6detail17trampoline_kernelINS0_14default_configENS1_35radix_sort_onesweep_config_selectorIyNS0_10empty_typeEEEZZNS1_29radix_sort_onesweep_iterationIS3_Lb0EN6thrust23THRUST_200600_302600_NS6detail15normal_iteratorINS9_10device_ptrIyEEEESE_PS5_SF_jNS0_19identity_decomposerENS1_16block_id_wrapperIjLb1EEEEE10hipError_tT1_PNSt15iterator_traitsISK_E10value_typeET2_T3_PNSL_ISQ_E10value_typeET4_T5_PSV_SW_PNS1_23onesweep_lookback_stateEbbT6_jjT7_P12ihipStream_tbENKUlT_T0_SK_SP_E_clISE_PySF_SF_EEDaS13_S14_SK_SP_EUlS13_E_NS1_11comp_targetILNS1_3genE5ELNS1_11target_archE942ELNS1_3gpuE9ELNS1_3repE0EEENS1_47radix_sort_onesweep_sort_config_static_selectorELNS0_4arch9wavefront6targetE1EEEvSK_,comdat
.Lfunc_end875:
	.size	_ZN7rocprim17ROCPRIM_400000_NS6detail17trampoline_kernelINS0_14default_configENS1_35radix_sort_onesweep_config_selectorIyNS0_10empty_typeEEEZZNS1_29radix_sort_onesweep_iterationIS3_Lb0EN6thrust23THRUST_200600_302600_NS6detail15normal_iteratorINS9_10device_ptrIyEEEESE_PS5_SF_jNS0_19identity_decomposerENS1_16block_id_wrapperIjLb1EEEEE10hipError_tT1_PNSt15iterator_traitsISK_E10value_typeET2_T3_PNSL_ISQ_E10value_typeET4_T5_PSV_SW_PNS1_23onesweep_lookback_stateEbbT6_jjT7_P12ihipStream_tbENKUlT_T0_SK_SP_E_clISE_PySF_SF_EEDaS13_S14_SK_SP_EUlS13_E_NS1_11comp_targetILNS1_3genE5ELNS1_11target_archE942ELNS1_3gpuE9ELNS1_3repE0EEENS1_47radix_sort_onesweep_sort_config_static_selectorELNS0_4arch9wavefront6targetE1EEEvSK_, .Lfunc_end875-_ZN7rocprim17ROCPRIM_400000_NS6detail17trampoline_kernelINS0_14default_configENS1_35radix_sort_onesweep_config_selectorIyNS0_10empty_typeEEEZZNS1_29radix_sort_onesweep_iterationIS3_Lb0EN6thrust23THRUST_200600_302600_NS6detail15normal_iteratorINS9_10device_ptrIyEEEESE_PS5_SF_jNS0_19identity_decomposerENS1_16block_id_wrapperIjLb1EEEEE10hipError_tT1_PNSt15iterator_traitsISK_E10value_typeET2_T3_PNSL_ISQ_E10value_typeET4_T5_PSV_SW_PNS1_23onesweep_lookback_stateEbbT6_jjT7_P12ihipStream_tbENKUlT_T0_SK_SP_E_clISE_PySF_SF_EEDaS13_S14_SK_SP_EUlS13_E_NS1_11comp_targetILNS1_3genE5ELNS1_11target_archE942ELNS1_3gpuE9ELNS1_3repE0EEENS1_47radix_sort_onesweep_sort_config_static_selectorELNS0_4arch9wavefront6targetE1EEEvSK_
                                        ; -- End function
	.section	.AMDGPU.csdata,"",@progbits
; Kernel info:
; codeLenInByte = 0
; NumSgprs: 4
; NumVgprs: 0
; NumAgprs: 0
; TotalNumVgprs: 0
; ScratchSize: 0
; MemoryBound: 0
; FloatMode: 240
; IeeeMode: 1
; LDSByteSize: 0 bytes/workgroup (compile time only)
; SGPRBlocks: 0
; VGPRBlocks: 0
; NumSGPRsForWavesPerEU: 4
; NumVGPRsForWavesPerEU: 1
; AccumOffset: 4
; Occupancy: 8
; WaveLimiterHint : 0
; COMPUTE_PGM_RSRC2:SCRATCH_EN: 0
; COMPUTE_PGM_RSRC2:USER_SGPR: 6
; COMPUTE_PGM_RSRC2:TRAP_HANDLER: 0
; COMPUTE_PGM_RSRC2:TGID_X_EN: 1
; COMPUTE_PGM_RSRC2:TGID_Y_EN: 0
; COMPUTE_PGM_RSRC2:TGID_Z_EN: 0
; COMPUTE_PGM_RSRC2:TIDIG_COMP_CNT: 0
; COMPUTE_PGM_RSRC3_GFX90A:ACCUM_OFFSET: 0
; COMPUTE_PGM_RSRC3_GFX90A:TG_SPLIT: 0
	.section	.text._ZN7rocprim17ROCPRIM_400000_NS6detail17trampoline_kernelINS0_14default_configENS1_35radix_sort_onesweep_config_selectorIyNS0_10empty_typeEEEZZNS1_29radix_sort_onesweep_iterationIS3_Lb0EN6thrust23THRUST_200600_302600_NS6detail15normal_iteratorINS9_10device_ptrIyEEEESE_PS5_SF_jNS0_19identity_decomposerENS1_16block_id_wrapperIjLb1EEEEE10hipError_tT1_PNSt15iterator_traitsISK_E10value_typeET2_T3_PNSL_ISQ_E10value_typeET4_T5_PSV_SW_PNS1_23onesweep_lookback_stateEbbT6_jjT7_P12ihipStream_tbENKUlT_T0_SK_SP_E_clISE_PySF_SF_EEDaS13_S14_SK_SP_EUlS13_E_NS1_11comp_targetILNS1_3genE2ELNS1_11target_archE906ELNS1_3gpuE6ELNS1_3repE0EEENS1_47radix_sort_onesweep_sort_config_static_selectorELNS0_4arch9wavefront6targetE1EEEvSK_,"axG",@progbits,_ZN7rocprim17ROCPRIM_400000_NS6detail17trampoline_kernelINS0_14default_configENS1_35radix_sort_onesweep_config_selectorIyNS0_10empty_typeEEEZZNS1_29radix_sort_onesweep_iterationIS3_Lb0EN6thrust23THRUST_200600_302600_NS6detail15normal_iteratorINS9_10device_ptrIyEEEESE_PS5_SF_jNS0_19identity_decomposerENS1_16block_id_wrapperIjLb1EEEEE10hipError_tT1_PNSt15iterator_traitsISK_E10value_typeET2_T3_PNSL_ISQ_E10value_typeET4_T5_PSV_SW_PNS1_23onesweep_lookback_stateEbbT6_jjT7_P12ihipStream_tbENKUlT_T0_SK_SP_E_clISE_PySF_SF_EEDaS13_S14_SK_SP_EUlS13_E_NS1_11comp_targetILNS1_3genE2ELNS1_11target_archE906ELNS1_3gpuE6ELNS1_3repE0EEENS1_47radix_sort_onesweep_sort_config_static_selectorELNS0_4arch9wavefront6targetE1EEEvSK_,comdat
	.protected	_ZN7rocprim17ROCPRIM_400000_NS6detail17trampoline_kernelINS0_14default_configENS1_35radix_sort_onesweep_config_selectorIyNS0_10empty_typeEEEZZNS1_29radix_sort_onesweep_iterationIS3_Lb0EN6thrust23THRUST_200600_302600_NS6detail15normal_iteratorINS9_10device_ptrIyEEEESE_PS5_SF_jNS0_19identity_decomposerENS1_16block_id_wrapperIjLb1EEEEE10hipError_tT1_PNSt15iterator_traitsISK_E10value_typeET2_T3_PNSL_ISQ_E10value_typeET4_T5_PSV_SW_PNS1_23onesweep_lookback_stateEbbT6_jjT7_P12ihipStream_tbENKUlT_T0_SK_SP_E_clISE_PySF_SF_EEDaS13_S14_SK_SP_EUlS13_E_NS1_11comp_targetILNS1_3genE2ELNS1_11target_archE906ELNS1_3gpuE6ELNS1_3repE0EEENS1_47radix_sort_onesweep_sort_config_static_selectorELNS0_4arch9wavefront6targetE1EEEvSK_ ; -- Begin function _ZN7rocprim17ROCPRIM_400000_NS6detail17trampoline_kernelINS0_14default_configENS1_35radix_sort_onesweep_config_selectorIyNS0_10empty_typeEEEZZNS1_29radix_sort_onesweep_iterationIS3_Lb0EN6thrust23THRUST_200600_302600_NS6detail15normal_iteratorINS9_10device_ptrIyEEEESE_PS5_SF_jNS0_19identity_decomposerENS1_16block_id_wrapperIjLb1EEEEE10hipError_tT1_PNSt15iterator_traitsISK_E10value_typeET2_T3_PNSL_ISQ_E10value_typeET4_T5_PSV_SW_PNS1_23onesweep_lookback_stateEbbT6_jjT7_P12ihipStream_tbENKUlT_T0_SK_SP_E_clISE_PySF_SF_EEDaS13_S14_SK_SP_EUlS13_E_NS1_11comp_targetILNS1_3genE2ELNS1_11target_archE906ELNS1_3gpuE6ELNS1_3repE0EEENS1_47radix_sort_onesweep_sort_config_static_selectorELNS0_4arch9wavefront6targetE1EEEvSK_
	.globl	_ZN7rocprim17ROCPRIM_400000_NS6detail17trampoline_kernelINS0_14default_configENS1_35radix_sort_onesweep_config_selectorIyNS0_10empty_typeEEEZZNS1_29radix_sort_onesweep_iterationIS3_Lb0EN6thrust23THRUST_200600_302600_NS6detail15normal_iteratorINS9_10device_ptrIyEEEESE_PS5_SF_jNS0_19identity_decomposerENS1_16block_id_wrapperIjLb1EEEEE10hipError_tT1_PNSt15iterator_traitsISK_E10value_typeET2_T3_PNSL_ISQ_E10value_typeET4_T5_PSV_SW_PNS1_23onesweep_lookback_stateEbbT6_jjT7_P12ihipStream_tbENKUlT_T0_SK_SP_E_clISE_PySF_SF_EEDaS13_S14_SK_SP_EUlS13_E_NS1_11comp_targetILNS1_3genE2ELNS1_11target_archE906ELNS1_3gpuE6ELNS1_3repE0EEENS1_47radix_sort_onesweep_sort_config_static_selectorELNS0_4arch9wavefront6targetE1EEEvSK_
	.p2align	8
	.type	_ZN7rocprim17ROCPRIM_400000_NS6detail17trampoline_kernelINS0_14default_configENS1_35radix_sort_onesweep_config_selectorIyNS0_10empty_typeEEEZZNS1_29radix_sort_onesweep_iterationIS3_Lb0EN6thrust23THRUST_200600_302600_NS6detail15normal_iteratorINS9_10device_ptrIyEEEESE_PS5_SF_jNS0_19identity_decomposerENS1_16block_id_wrapperIjLb1EEEEE10hipError_tT1_PNSt15iterator_traitsISK_E10value_typeET2_T3_PNSL_ISQ_E10value_typeET4_T5_PSV_SW_PNS1_23onesweep_lookback_stateEbbT6_jjT7_P12ihipStream_tbENKUlT_T0_SK_SP_E_clISE_PySF_SF_EEDaS13_S14_SK_SP_EUlS13_E_NS1_11comp_targetILNS1_3genE2ELNS1_11target_archE906ELNS1_3gpuE6ELNS1_3repE0EEENS1_47radix_sort_onesweep_sort_config_static_selectorELNS0_4arch9wavefront6targetE1EEEvSK_,@function
_ZN7rocprim17ROCPRIM_400000_NS6detail17trampoline_kernelINS0_14default_configENS1_35radix_sort_onesweep_config_selectorIyNS0_10empty_typeEEEZZNS1_29radix_sort_onesweep_iterationIS3_Lb0EN6thrust23THRUST_200600_302600_NS6detail15normal_iteratorINS9_10device_ptrIyEEEESE_PS5_SF_jNS0_19identity_decomposerENS1_16block_id_wrapperIjLb1EEEEE10hipError_tT1_PNSt15iterator_traitsISK_E10value_typeET2_T3_PNSL_ISQ_E10value_typeET4_T5_PSV_SW_PNS1_23onesweep_lookback_stateEbbT6_jjT7_P12ihipStream_tbENKUlT_T0_SK_SP_E_clISE_PySF_SF_EEDaS13_S14_SK_SP_EUlS13_E_NS1_11comp_targetILNS1_3genE2ELNS1_11target_archE906ELNS1_3gpuE6ELNS1_3repE0EEENS1_47radix_sort_onesweep_sort_config_static_selectorELNS0_4arch9wavefront6targetE1EEEvSK_: ; @_ZN7rocprim17ROCPRIM_400000_NS6detail17trampoline_kernelINS0_14default_configENS1_35radix_sort_onesweep_config_selectorIyNS0_10empty_typeEEEZZNS1_29radix_sort_onesweep_iterationIS3_Lb0EN6thrust23THRUST_200600_302600_NS6detail15normal_iteratorINS9_10device_ptrIyEEEESE_PS5_SF_jNS0_19identity_decomposerENS1_16block_id_wrapperIjLb1EEEEE10hipError_tT1_PNSt15iterator_traitsISK_E10value_typeET2_T3_PNSL_ISQ_E10value_typeET4_T5_PSV_SW_PNS1_23onesweep_lookback_stateEbbT6_jjT7_P12ihipStream_tbENKUlT_T0_SK_SP_E_clISE_PySF_SF_EEDaS13_S14_SK_SP_EUlS13_E_NS1_11comp_targetILNS1_3genE2ELNS1_11target_archE906ELNS1_3gpuE6ELNS1_3repE0EEENS1_47radix_sort_onesweep_sort_config_static_selectorELNS0_4arch9wavefront6targetE1EEEvSK_
; %bb.0:
	.section	.rodata,"a",@progbits
	.p2align	6, 0x0
	.amdhsa_kernel _ZN7rocprim17ROCPRIM_400000_NS6detail17trampoline_kernelINS0_14default_configENS1_35radix_sort_onesweep_config_selectorIyNS0_10empty_typeEEEZZNS1_29radix_sort_onesweep_iterationIS3_Lb0EN6thrust23THRUST_200600_302600_NS6detail15normal_iteratorINS9_10device_ptrIyEEEESE_PS5_SF_jNS0_19identity_decomposerENS1_16block_id_wrapperIjLb1EEEEE10hipError_tT1_PNSt15iterator_traitsISK_E10value_typeET2_T3_PNSL_ISQ_E10value_typeET4_T5_PSV_SW_PNS1_23onesweep_lookback_stateEbbT6_jjT7_P12ihipStream_tbENKUlT_T0_SK_SP_E_clISE_PySF_SF_EEDaS13_S14_SK_SP_EUlS13_E_NS1_11comp_targetILNS1_3genE2ELNS1_11target_archE906ELNS1_3gpuE6ELNS1_3repE0EEENS1_47radix_sort_onesweep_sort_config_static_selectorELNS0_4arch9wavefront6targetE1EEEvSK_
		.amdhsa_group_segment_fixed_size 0
		.amdhsa_private_segment_fixed_size 0
		.amdhsa_kernarg_size 88
		.amdhsa_user_sgpr_count 6
		.amdhsa_user_sgpr_private_segment_buffer 1
		.amdhsa_user_sgpr_dispatch_ptr 0
		.amdhsa_user_sgpr_queue_ptr 0
		.amdhsa_user_sgpr_kernarg_segment_ptr 1
		.amdhsa_user_sgpr_dispatch_id 0
		.amdhsa_user_sgpr_flat_scratch_init 0
		.amdhsa_user_sgpr_kernarg_preload_length 0
		.amdhsa_user_sgpr_kernarg_preload_offset 0
		.amdhsa_user_sgpr_private_segment_size 0
		.amdhsa_uses_dynamic_stack 0
		.amdhsa_system_sgpr_private_segment_wavefront_offset 0
		.amdhsa_system_sgpr_workgroup_id_x 1
		.amdhsa_system_sgpr_workgroup_id_y 0
		.amdhsa_system_sgpr_workgroup_id_z 0
		.amdhsa_system_sgpr_workgroup_info 0
		.amdhsa_system_vgpr_workitem_id 0
		.amdhsa_next_free_vgpr 1
		.amdhsa_next_free_sgpr 0
		.amdhsa_accum_offset 4
		.amdhsa_reserve_vcc 0
		.amdhsa_reserve_flat_scratch 0
		.amdhsa_float_round_mode_32 0
		.amdhsa_float_round_mode_16_64 0
		.amdhsa_float_denorm_mode_32 3
		.amdhsa_float_denorm_mode_16_64 3
		.amdhsa_dx10_clamp 1
		.amdhsa_ieee_mode 1
		.amdhsa_fp16_overflow 0
		.amdhsa_tg_split 0
		.amdhsa_exception_fp_ieee_invalid_op 0
		.amdhsa_exception_fp_denorm_src 0
		.amdhsa_exception_fp_ieee_div_zero 0
		.amdhsa_exception_fp_ieee_overflow 0
		.amdhsa_exception_fp_ieee_underflow 0
		.amdhsa_exception_fp_ieee_inexact 0
		.amdhsa_exception_int_div_zero 0
	.end_amdhsa_kernel
	.section	.text._ZN7rocprim17ROCPRIM_400000_NS6detail17trampoline_kernelINS0_14default_configENS1_35radix_sort_onesweep_config_selectorIyNS0_10empty_typeEEEZZNS1_29radix_sort_onesweep_iterationIS3_Lb0EN6thrust23THRUST_200600_302600_NS6detail15normal_iteratorINS9_10device_ptrIyEEEESE_PS5_SF_jNS0_19identity_decomposerENS1_16block_id_wrapperIjLb1EEEEE10hipError_tT1_PNSt15iterator_traitsISK_E10value_typeET2_T3_PNSL_ISQ_E10value_typeET4_T5_PSV_SW_PNS1_23onesweep_lookback_stateEbbT6_jjT7_P12ihipStream_tbENKUlT_T0_SK_SP_E_clISE_PySF_SF_EEDaS13_S14_SK_SP_EUlS13_E_NS1_11comp_targetILNS1_3genE2ELNS1_11target_archE906ELNS1_3gpuE6ELNS1_3repE0EEENS1_47radix_sort_onesweep_sort_config_static_selectorELNS0_4arch9wavefront6targetE1EEEvSK_,"axG",@progbits,_ZN7rocprim17ROCPRIM_400000_NS6detail17trampoline_kernelINS0_14default_configENS1_35radix_sort_onesweep_config_selectorIyNS0_10empty_typeEEEZZNS1_29radix_sort_onesweep_iterationIS3_Lb0EN6thrust23THRUST_200600_302600_NS6detail15normal_iteratorINS9_10device_ptrIyEEEESE_PS5_SF_jNS0_19identity_decomposerENS1_16block_id_wrapperIjLb1EEEEE10hipError_tT1_PNSt15iterator_traitsISK_E10value_typeET2_T3_PNSL_ISQ_E10value_typeET4_T5_PSV_SW_PNS1_23onesweep_lookback_stateEbbT6_jjT7_P12ihipStream_tbENKUlT_T0_SK_SP_E_clISE_PySF_SF_EEDaS13_S14_SK_SP_EUlS13_E_NS1_11comp_targetILNS1_3genE2ELNS1_11target_archE906ELNS1_3gpuE6ELNS1_3repE0EEENS1_47radix_sort_onesweep_sort_config_static_selectorELNS0_4arch9wavefront6targetE1EEEvSK_,comdat
.Lfunc_end876:
	.size	_ZN7rocprim17ROCPRIM_400000_NS6detail17trampoline_kernelINS0_14default_configENS1_35radix_sort_onesweep_config_selectorIyNS0_10empty_typeEEEZZNS1_29radix_sort_onesweep_iterationIS3_Lb0EN6thrust23THRUST_200600_302600_NS6detail15normal_iteratorINS9_10device_ptrIyEEEESE_PS5_SF_jNS0_19identity_decomposerENS1_16block_id_wrapperIjLb1EEEEE10hipError_tT1_PNSt15iterator_traitsISK_E10value_typeET2_T3_PNSL_ISQ_E10value_typeET4_T5_PSV_SW_PNS1_23onesweep_lookback_stateEbbT6_jjT7_P12ihipStream_tbENKUlT_T0_SK_SP_E_clISE_PySF_SF_EEDaS13_S14_SK_SP_EUlS13_E_NS1_11comp_targetILNS1_3genE2ELNS1_11target_archE906ELNS1_3gpuE6ELNS1_3repE0EEENS1_47radix_sort_onesweep_sort_config_static_selectorELNS0_4arch9wavefront6targetE1EEEvSK_, .Lfunc_end876-_ZN7rocprim17ROCPRIM_400000_NS6detail17trampoline_kernelINS0_14default_configENS1_35radix_sort_onesweep_config_selectorIyNS0_10empty_typeEEEZZNS1_29radix_sort_onesweep_iterationIS3_Lb0EN6thrust23THRUST_200600_302600_NS6detail15normal_iteratorINS9_10device_ptrIyEEEESE_PS5_SF_jNS0_19identity_decomposerENS1_16block_id_wrapperIjLb1EEEEE10hipError_tT1_PNSt15iterator_traitsISK_E10value_typeET2_T3_PNSL_ISQ_E10value_typeET4_T5_PSV_SW_PNS1_23onesweep_lookback_stateEbbT6_jjT7_P12ihipStream_tbENKUlT_T0_SK_SP_E_clISE_PySF_SF_EEDaS13_S14_SK_SP_EUlS13_E_NS1_11comp_targetILNS1_3genE2ELNS1_11target_archE906ELNS1_3gpuE6ELNS1_3repE0EEENS1_47radix_sort_onesweep_sort_config_static_selectorELNS0_4arch9wavefront6targetE1EEEvSK_
                                        ; -- End function
	.section	.AMDGPU.csdata,"",@progbits
; Kernel info:
; codeLenInByte = 0
; NumSgprs: 4
; NumVgprs: 0
; NumAgprs: 0
; TotalNumVgprs: 0
; ScratchSize: 0
; MemoryBound: 0
; FloatMode: 240
; IeeeMode: 1
; LDSByteSize: 0 bytes/workgroup (compile time only)
; SGPRBlocks: 0
; VGPRBlocks: 0
; NumSGPRsForWavesPerEU: 4
; NumVGPRsForWavesPerEU: 1
; AccumOffset: 4
; Occupancy: 8
; WaveLimiterHint : 0
; COMPUTE_PGM_RSRC2:SCRATCH_EN: 0
; COMPUTE_PGM_RSRC2:USER_SGPR: 6
; COMPUTE_PGM_RSRC2:TRAP_HANDLER: 0
; COMPUTE_PGM_RSRC2:TGID_X_EN: 1
; COMPUTE_PGM_RSRC2:TGID_Y_EN: 0
; COMPUTE_PGM_RSRC2:TGID_Z_EN: 0
; COMPUTE_PGM_RSRC2:TIDIG_COMP_CNT: 0
; COMPUTE_PGM_RSRC3_GFX90A:ACCUM_OFFSET: 0
; COMPUTE_PGM_RSRC3_GFX90A:TG_SPLIT: 0
	.section	.text._ZN7rocprim17ROCPRIM_400000_NS6detail17trampoline_kernelINS0_14default_configENS1_35radix_sort_onesweep_config_selectorIyNS0_10empty_typeEEEZZNS1_29radix_sort_onesweep_iterationIS3_Lb0EN6thrust23THRUST_200600_302600_NS6detail15normal_iteratorINS9_10device_ptrIyEEEESE_PS5_SF_jNS0_19identity_decomposerENS1_16block_id_wrapperIjLb1EEEEE10hipError_tT1_PNSt15iterator_traitsISK_E10value_typeET2_T3_PNSL_ISQ_E10value_typeET4_T5_PSV_SW_PNS1_23onesweep_lookback_stateEbbT6_jjT7_P12ihipStream_tbENKUlT_T0_SK_SP_E_clISE_PySF_SF_EEDaS13_S14_SK_SP_EUlS13_E_NS1_11comp_targetILNS1_3genE4ELNS1_11target_archE910ELNS1_3gpuE8ELNS1_3repE0EEENS1_47radix_sort_onesweep_sort_config_static_selectorELNS0_4arch9wavefront6targetE1EEEvSK_,"axG",@progbits,_ZN7rocprim17ROCPRIM_400000_NS6detail17trampoline_kernelINS0_14default_configENS1_35radix_sort_onesweep_config_selectorIyNS0_10empty_typeEEEZZNS1_29radix_sort_onesweep_iterationIS3_Lb0EN6thrust23THRUST_200600_302600_NS6detail15normal_iteratorINS9_10device_ptrIyEEEESE_PS5_SF_jNS0_19identity_decomposerENS1_16block_id_wrapperIjLb1EEEEE10hipError_tT1_PNSt15iterator_traitsISK_E10value_typeET2_T3_PNSL_ISQ_E10value_typeET4_T5_PSV_SW_PNS1_23onesweep_lookback_stateEbbT6_jjT7_P12ihipStream_tbENKUlT_T0_SK_SP_E_clISE_PySF_SF_EEDaS13_S14_SK_SP_EUlS13_E_NS1_11comp_targetILNS1_3genE4ELNS1_11target_archE910ELNS1_3gpuE8ELNS1_3repE0EEENS1_47radix_sort_onesweep_sort_config_static_selectorELNS0_4arch9wavefront6targetE1EEEvSK_,comdat
	.protected	_ZN7rocprim17ROCPRIM_400000_NS6detail17trampoline_kernelINS0_14default_configENS1_35radix_sort_onesweep_config_selectorIyNS0_10empty_typeEEEZZNS1_29radix_sort_onesweep_iterationIS3_Lb0EN6thrust23THRUST_200600_302600_NS6detail15normal_iteratorINS9_10device_ptrIyEEEESE_PS5_SF_jNS0_19identity_decomposerENS1_16block_id_wrapperIjLb1EEEEE10hipError_tT1_PNSt15iterator_traitsISK_E10value_typeET2_T3_PNSL_ISQ_E10value_typeET4_T5_PSV_SW_PNS1_23onesweep_lookback_stateEbbT6_jjT7_P12ihipStream_tbENKUlT_T0_SK_SP_E_clISE_PySF_SF_EEDaS13_S14_SK_SP_EUlS13_E_NS1_11comp_targetILNS1_3genE4ELNS1_11target_archE910ELNS1_3gpuE8ELNS1_3repE0EEENS1_47radix_sort_onesweep_sort_config_static_selectorELNS0_4arch9wavefront6targetE1EEEvSK_ ; -- Begin function _ZN7rocprim17ROCPRIM_400000_NS6detail17trampoline_kernelINS0_14default_configENS1_35radix_sort_onesweep_config_selectorIyNS0_10empty_typeEEEZZNS1_29radix_sort_onesweep_iterationIS3_Lb0EN6thrust23THRUST_200600_302600_NS6detail15normal_iteratorINS9_10device_ptrIyEEEESE_PS5_SF_jNS0_19identity_decomposerENS1_16block_id_wrapperIjLb1EEEEE10hipError_tT1_PNSt15iterator_traitsISK_E10value_typeET2_T3_PNSL_ISQ_E10value_typeET4_T5_PSV_SW_PNS1_23onesweep_lookback_stateEbbT6_jjT7_P12ihipStream_tbENKUlT_T0_SK_SP_E_clISE_PySF_SF_EEDaS13_S14_SK_SP_EUlS13_E_NS1_11comp_targetILNS1_3genE4ELNS1_11target_archE910ELNS1_3gpuE8ELNS1_3repE0EEENS1_47radix_sort_onesweep_sort_config_static_selectorELNS0_4arch9wavefront6targetE1EEEvSK_
	.globl	_ZN7rocprim17ROCPRIM_400000_NS6detail17trampoline_kernelINS0_14default_configENS1_35radix_sort_onesweep_config_selectorIyNS0_10empty_typeEEEZZNS1_29radix_sort_onesweep_iterationIS3_Lb0EN6thrust23THRUST_200600_302600_NS6detail15normal_iteratorINS9_10device_ptrIyEEEESE_PS5_SF_jNS0_19identity_decomposerENS1_16block_id_wrapperIjLb1EEEEE10hipError_tT1_PNSt15iterator_traitsISK_E10value_typeET2_T3_PNSL_ISQ_E10value_typeET4_T5_PSV_SW_PNS1_23onesweep_lookback_stateEbbT6_jjT7_P12ihipStream_tbENKUlT_T0_SK_SP_E_clISE_PySF_SF_EEDaS13_S14_SK_SP_EUlS13_E_NS1_11comp_targetILNS1_3genE4ELNS1_11target_archE910ELNS1_3gpuE8ELNS1_3repE0EEENS1_47radix_sort_onesweep_sort_config_static_selectorELNS0_4arch9wavefront6targetE1EEEvSK_
	.p2align	8
	.type	_ZN7rocprim17ROCPRIM_400000_NS6detail17trampoline_kernelINS0_14default_configENS1_35radix_sort_onesweep_config_selectorIyNS0_10empty_typeEEEZZNS1_29radix_sort_onesweep_iterationIS3_Lb0EN6thrust23THRUST_200600_302600_NS6detail15normal_iteratorINS9_10device_ptrIyEEEESE_PS5_SF_jNS0_19identity_decomposerENS1_16block_id_wrapperIjLb1EEEEE10hipError_tT1_PNSt15iterator_traitsISK_E10value_typeET2_T3_PNSL_ISQ_E10value_typeET4_T5_PSV_SW_PNS1_23onesweep_lookback_stateEbbT6_jjT7_P12ihipStream_tbENKUlT_T0_SK_SP_E_clISE_PySF_SF_EEDaS13_S14_SK_SP_EUlS13_E_NS1_11comp_targetILNS1_3genE4ELNS1_11target_archE910ELNS1_3gpuE8ELNS1_3repE0EEENS1_47radix_sort_onesweep_sort_config_static_selectorELNS0_4arch9wavefront6targetE1EEEvSK_,@function
_ZN7rocprim17ROCPRIM_400000_NS6detail17trampoline_kernelINS0_14default_configENS1_35radix_sort_onesweep_config_selectorIyNS0_10empty_typeEEEZZNS1_29radix_sort_onesweep_iterationIS3_Lb0EN6thrust23THRUST_200600_302600_NS6detail15normal_iteratorINS9_10device_ptrIyEEEESE_PS5_SF_jNS0_19identity_decomposerENS1_16block_id_wrapperIjLb1EEEEE10hipError_tT1_PNSt15iterator_traitsISK_E10value_typeET2_T3_PNSL_ISQ_E10value_typeET4_T5_PSV_SW_PNS1_23onesweep_lookback_stateEbbT6_jjT7_P12ihipStream_tbENKUlT_T0_SK_SP_E_clISE_PySF_SF_EEDaS13_S14_SK_SP_EUlS13_E_NS1_11comp_targetILNS1_3genE4ELNS1_11target_archE910ELNS1_3gpuE8ELNS1_3repE0EEENS1_47radix_sort_onesweep_sort_config_static_selectorELNS0_4arch9wavefront6targetE1EEEvSK_: ; @_ZN7rocprim17ROCPRIM_400000_NS6detail17trampoline_kernelINS0_14default_configENS1_35radix_sort_onesweep_config_selectorIyNS0_10empty_typeEEEZZNS1_29radix_sort_onesweep_iterationIS3_Lb0EN6thrust23THRUST_200600_302600_NS6detail15normal_iteratorINS9_10device_ptrIyEEEESE_PS5_SF_jNS0_19identity_decomposerENS1_16block_id_wrapperIjLb1EEEEE10hipError_tT1_PNSt15iterator_traitsISK_E10value_typeET2_T3_PNSL_ISQ_E10value_typeET4_T5_PSV_SW_PNS1_23onesweep_lookback_stateEbbT6_jjT7_P12ihipStream_tbENKUlT_T0_SK_SP_E_clISE_PySF_SF_EEDaS13_S14_SK_SP_EUlS13_E_NS1_11comp_targetILNS1_3genE4ELNS1_11target_archE910ELNS1_3gpuE8ELNS1_3repE0EEENS1_47radix_sort_onesweep_sort_config_static_selectorELNS0_4arch9wavefront6targetE1EEEvSK_
; %bb.0:
	s_load_dwordx4 s[16:19], s[4:5], 0x28
	s_load_dwordx2 s[14:15], s[4:5], 0x38
	s_load_dwordx4 s[20:23], s[4:5], 0x44
	v_and_b32_e32 v2, 0x3ff, v0
	v_cmp_eq_u32_e64 s[0:1], 0, v2
	s_and_saveexec_b64 s[2:3], s[0:1]
	s_cbranch_execz .LBB877_4
; %bb.1:
	s_mov_b64 s[10:11], exec
	v_mbcnt_lo_u32_b32 v1, s10, 0
	v_mbcnt_hi_u32_b32 v1, s11, v1
	v_cmp_eq_u32_e32 vcc, 0, v1
                                        ; implicit-def: $vgpr3
	s_and_saveexec_b64 s[8:9], vcc
	s_cbranch_execz .LBB877_3
; %bb.2:
	s_load_dwordx2 s[12:13], s[4:5], 0x50
	s_bcnt1_i32_b64 s7, s[10:11]
	v_mov_b32_e32 v3, 0
	v_mov_b32_e32 v4, s7
	s_waitcnt lgkmcnt(0)
	global_atomic_add v3, v3, v4, s[12:13] glc
.LBB877_3:
	s_or_b64 exec, exec, s[8:9]
	s_waitcnt vmcnt(0)
	v_readfirstlane_b32 s7, v3
	v_add_u32_e32 v1, s7, v1
	v_mov_b32_e32 v3, 0
	ds_write_b32 v3, v1 offset:20544
.LBB877_4:
	s_or_b64 exec, exec, s[2:3]
	v_mov_b32_e32 v1, 0
	s_load_dwordx4 s[24:27], s[4:5], 0x0
	s_load_dword s2, s[4:5], 0x20
	s_waitcnt lgkmcnt(0)
	s_barrier
	ds_read_b32 v1, v1 offset:20544
	v_lshlrev_b32_e32 v3, 3, v2
	s_waitcnt lgkmcnt(0)
	s_barrier
	v_cmp_le_u32_e32 vcc, s22, v1
	v_readfirstlane_b32 s28, v1
	v_mbcnt_lo_u32_b32 v1, -1, 0
	s_cbranch_vccz .LBB877_63
; %bb.5:
	s_lshl_b32 s3, s22, 13
	s_sub_i32 s7, s2, s3
	s_lshl_b32 s2, s28, 13
	s_mov_b32 s3, 0
	s_lshl_b64 s[2:3], s[2:3], 3
	v_mbcnt_hi_u32_b32 v24, -1, v1
	s_add_u32 s2, s24, s2
	v_and_b32_e32 v4, 63, v24
	s_addc_u32 s3, s25, s3
	v_lshlrev_b32_e32 v6, 3, v4
	v_and_b32_e32 v5, 0x1e00, v3
	v_mov_b32_e32 v7, s3
	v_add_co_u32_e32 v6, vcc, s2, v6
	v_addc_co_u32_e32 v7, vcc, 0, v7, vcc
	v_lshlrev_b32_e32 v8, 3, v5
	v_add_co_u32_e32 v20, vcc, v6, v8
	v_addc_co_u32_e32 v21, vcc, 0, v7, vcc
	v_or_b32_e32 v22, v4, v5
	v_pk_mov_b32 v[4:5], -1, -1
	v_cmp_gt_u32_e32 vcc, s7, v22
	v_pk_mov_b32 v[6:7], v[4:5], v[4:5] op_sel:[0,1]
	s_and_saveexec_b64 s[2:3], vcc
	s_cbranch_execz .LBB877_7
; %bb.6:
	global_load_dwordx2 v[6:7], v[20:21], off
.LBB877_7:
	s_or_b64 exec, exec, s[2:3]
	v_or_b32_e32 v8, 64, v22
	v_cmp_gt_u32_e32 vcc, s7, v8
	s_and_saveexec_b64 s[2:3], vcc
	s_cbranch_execz .LBB877_9
; %bb.8:
	global_load_dwordx2 v[4:5], v[20:21], off offset:512
.LBB877_9:
	s_or_b64 exec, exec, s[2:3]
	v_or_b32_e32 v8, 0x80, v22
	v_cmp_gt_u32_e32 vcc, s7, v8
	v_pk_mov_b32 v[8:9], -1, -1
	v_pk_mov_b32 v[10:11], v[8:9], v[8:9] op_sel:[0,1]
	s_and_saveexec_b64 s[2:3], vcc
	s_cbranch_execz .LBB877_11
; %bb.10:
	global_load_dwordx2 v[10:11], v[20:21], off offset:1024
.LBB877_11:
	s_or_b64 exec, exec, s[2:3]
	v_or_b32_e32 v12, 0xc0, v22
	v_cmp_gt_u32_e32 vcc, s7, v12
	s_and_saveexec_b64 s[2:3], vcc
	s_cbranch_execz .LBB877_13
; %bb.12:
	global_load_dwordx2 v[8:9], v[20:21], off offset:1536
.LBB877_13:
	s_or_b64 exec, exec, s[2:3]
	v_or_b32_e32 v12, 0x100, v22
	v_cmp_gt_u32_e32 vcc, s7, v12
	v_pk_mov_b32 v[12:13], -1, -1
	v_pk_mov_b32 v[14:15], v[12:13], v[12:13] op_sel:[0,1]
	s_and_saveexec_b64 s[2:3], vcc
	s_cbranch_execz .LBB877_15
; %bb.14:
	global_load_dwordx2 v[14:15], v[20:21], off offset:2048
.LBB877_15:
	;; [unrolled: 18-line block ×3, first 2 shown]
	s_or_b64 exec, exec, s[2:3]
	v_or_b32_e32 v22, 0x1c0, v22
	v_cmp_gt_u32_e32 vcc, s7, v22
	s_and_saveexec_b64 s[2:3], vcc
	s_cbranch_execz .LBB877_21
; %bb.20:
	global_load_dwordx2 v[16:17], v[20:21], off offset:3584
.LBB877_21:
	s_or_b64 exec, exec, s[2:3]
	s_load_dword s2, s[4:5], 0x64
	s_load_dword s29, s[4:5], 0x58
	s_add_u32 s3, s4, 0x58
	s_addc_u32 s8, s5, 0
	v_mov_b32_e32 v20, 0
	s_waitcnt lgkmcnt(0)
	s_lshr_b32 s9, s2, 16
	s_cmp_lt_u32 s6, s29
	s_cselect_b32 s2, 12, 18
	s_add_u32 s2, s3, s2
	s_addc_u32 s3, s8, 0
	global_load_ushort v26, v20, s[2:3]
	s_lshl_b32 s2, -1, s21
	s_waitcnt vmcnt(1)
	v_lshrrev_b64 v[22:23], s20, v[6:7]
	s_not_b32 s30, s2
	v_and_b32_e32 v22, s30, v22
	v_and_b32_e32 v28, 1, v22
	v_bfe_u32 v21, v0, 10, 10
	v_bfe_u32 v27, v0, 20, 10
	v_add_co_u32_e32 v29, vcc, -1, v28
	v_mad_u32_u24 v23, v27, s9, v21
	v_lshlrev_b32_e32 v21, 30, v22
	v_addc_co_u32_e64 v30, s[2:3], 0, -1, vcc
	v_cmp_ne_u32_e32 vcc, 0, v28
	v_cmp_gt_i64_e64 s[2:3], 0, v[20:21]
	v_not_b32_e32 v28, v21
	v_lshlrev_b32_e32 v21, 29, v22
	v_xor_b32_e32 v30, vcc_hi, v30
	v_xor_b32_e32 v29, vcc_lo, v29
	v_ashrrev_i32_e32 v28, 31, v28
	v_cmp_gt_i64_e32 vcc, 0, v[20:21]
	v_not_b32_e32 v31, v21
	v_lshlrev_b32_e32 v21, 28, v22
	v_and_b32_e32 v30, exec_hi, v30
	v_and_b32_e32 v29, exec_lo, v29
	v_xor_b32_e32 v32, s3, v28
	v_xor_b32_e32 v28, s2, v28
	v_ashrrev_i32_e32 v31, 31, v31
	v_cmp_gt_i64_e64 s[2:3], 0, v[20:21]
	v_not_b32_e32 v33, v21
	v_lshlrev_b32_e32 v21, 27, v22
	v_and_b32_e32 v30, v30, v32
	v_and_b32_e32 v28, v29, v28
	v_xor_b32_e32 v29, vcc_hi, v31
	v_xor_b32_e32 v31, vcc_lo, v31
	v_ashrrev_i32_e32 v32, 31, v33
	v_cmp_gt_i64_e32 vcc, 0, v[20:21]
	v_not_b32_e32 v33, v21
	v_lshlrev_b32_e32 v21, 26, v22
	v_and_b32_e32 v29, v30, v29
	v_and_b32_e32 v28, v28, v31
	v_xor_b32_e32 v30, s3, v32
	v_xor_b32_e32 v31, s2, v32
	v_ashrrev_i32_e32 v32, 31, v33
	v_cmp_gt_i64_e64 s[2:3], 0, v[20:21]
	v_not_b32_e32 v33, v21
	v_lshlrev_b32_e32 v21, 25, v22
	v_and_b32_e32 v29, v29, v30
	v_and_b32_e32 v28, v28, v31
	v_xor_b32_e32 v30, vcc_hi, v32
	v_xor_b32_e32 v31, vcc_lo, v32
	v_ashrrev_i32_e32 v32, 31, v33
	v_not_b32_e32 v33, v21
	v_lshl_add_u32 v27, v22, 4, v22
	v_cmp_gt_i64_e32 vcc, 0, v[20:21]
	v_lshlrev_b32_e32 v21, 24, v22
	v_and_b32_e32 v22, v29, v30
	v_and_b32_e32 v28, v28, v31
	v_xor_b32_e32 v29, s3, v32
	v_ashrrev_i32_e32 v31, 31, v33
	v_xor_b32_e32 v30, s2, v32
	v_cmp_gt_i64_e64 s[2:3], 0, v[20:21]
	v_not_b32_e32 v21, v21
	v_and_b32_e32 v22, v22, v29
	v_xor_b32_e32 v29, vcc_hi, v31
	v_and_b32_e32 v28, v28, v30
	v_xor_b32_e32 v30, vcc_lo, v31
	v_ashrrev_i32_e32 v21, 31, v21
	v_and_b32_e32 v29, v22, v29
	v_and_b32_e32 v28, v28, v30
	v_mul_u32_u24_e32 v25, 5, v2
	v_lshlrev_b32_e32 v25, 2, v25
	ds_write2_b32 v25, v20, v20 offset0:16 offset1:17
	ds_write2_b32 v25, v20, v20 offset0:18 offset1:19
	ds_write_b32 v25, v20 offset:80
	s_waitcnt lgkmcnt(0)
	s_barrier
	s_waitcnt lgkmcnt(0)
	; wave barrier
	s_waitcnt vmcnt(0)
	v_mad_u64_u32 v[22:23], s[8:9], v23, v26, v[2:3]
	v_lshrrev_b32_e32 v37, 6, v22
	v_xor_b32_e32 v22, s3, v21
	v_xor_b32_e32 v21, s2, v21
	v_and_b32_e32 v23, v29, v22
	v_and_b32_e32 v22, v28, v21
	v_mbcnt_lo_u32_b32 v21, v22, 0
	v_mbcnt_hi_u32_b32 v26, v23, v21
	v_cmp_eq_u32_e32 vcc, 0, v26
	v_cmp_ne_u64_e64 s[2:3], 0, v[22:23]
	v_add_lshl_u32 v30, v37, v27, 2
	s_and_b64 s[8:9], s[2:3], vcc
	s_and_saveexec_b64 s[2:3], s[8:9]
	s_cbranch_execz .LBB877_23
; %bb.22:
	v_bcnt_u32_b32 v21, v22, 0
	v_bcnt_u32_b32 v21, v23, v21
	ds_write_b32 v30, v21 offset:64
.LBB877_23:
	s_or_b64 exec, exec, s[2:3]
	v_lshrrev_b64 v[22:23], s20, v[4:5]
	v_and_b32_e32 v22, s30, v22
	v_lshl_add_u32 v21, v22, 4, v22
	v_add_lshl_u32 v31, v37, v21, 2
	v_and_b32_e32 v21, 1, v22
	v_add_co_u32_e32 v23, vcc, -1, v21
	v_addc_co_u32_e64 v28, s[2:3], 0, -1, vcc
	v_cmp_ne_u32_e32 vcc, 0, v21
	v_xor_b32_e32 v21, vcc_hi, v28
	v_and_b32_e32 v28, exec_hi, v21
	v_lshlrev_b32_e32 v21, 30, v22
	v_xor_b32_e32 v23, vcc_lo, v23
	v_cmp_gt_i64_e32 vcc, 0, v[20:21]
	v_not_b32_e32 v21, v21
	v_ashrrev_i32_e32 v21, 31, v21
	v_and_b32_e32 v23, exec_lo, v23
	v_xor_b32_e32 v29, vcc_hi, v21
	v_xor_b32_e32 v21, vcc_lo, v21
	v_and_b32_e32 v23, v23, v21
	v_lshlrev_b32_e32 v21, 29, v22
	v_cmp_gt_i64_e32 vcc, 0, v[20:21]
	v_not_b32_e32 v21, v21
	v_ashrrev_i32_e32 v21, 31, v21
	v_and_b32_e32 v28, v28, v29
	v_xor_b32_e32 v29, vcc_hi, v21
	v_xor_b32_e32 v21, vcc_lo, v21
	v_and_b32_e32 v23, v23, v21
	v_lshlrev_b32_e32 v21, 28, v22
	v_cmp_gt_i64_e32 vcc, 0, v[20:21]
	v_not_b32_e32 v21, v21
	v_ashrrev_i32_e32 v21, 31, v21
	v_and_b32_e32 v28, v28, v29
	;; [unrolled: 8-line block ×5, first 2 shown]
	v_xor_b32_e32 v29, vcc_hi, v21
	v_xor_b32_e32 v21, vcc_lo, v21
	v_and_b32_e32 v23, v23, v21
	v_lshlrev_b32_e32 v21, 24, v22
	v_cmp_gt_i64_e32 vcc, 0, v[20:21]
	v_not_b32_e32 v20, v21
	v_ashrrev_i32_e32 v20, 31, v20
	v_xor_b32_e32 v21, vcc_hi, v20
	v_xor_b32_e32 v20, vcc_lo, v20
	; wave barrier
	ds_read_b32 v27, v31 offset:64
	v_and_b32_e32 v28, v28, v29
	v_and_b32_e32 v20, v23, v20
	;; [unrolled: 1-line block ×3, first 2 shown]
	v_mbcnt_lo_u32_b32 v22, v20, 0
	v_mbcnt_hi_u32_b32 v28, v21, v22
	v_cmp_eq_u32_e32 vcc, 0, v28
	v_cmp_ne_u64_e64 s[2:3], 0, v[20:21]
	s_and_b64 s[8:9], s[2:3], vcc
	; wave barrier
	s_and_saveexec_b64 s[2:3], s[8:9]
	s_cbranch_execz .LBB877_25
; %bb.24:
	v_bcnt_u32_b32 v20, v20, 0
	v_bcnt_u32_b32 v20, v21, v20
	s_waitcnt lgkmcnt(0)
	v_add_u32_e32 v20, v27, v20
	ds_write_b32 v31, v20 offset:64
.LBB877_25:
	s_or_b64 exec, exec, s[2:3]
	v_lshrrev_b64 v[20:21], s20, v[10:11]
	v_and_b32_e32 v22, s30, v20
	v_and_b32_e32 v21, 1, v22
	v_add_co_u32_e32 v23, vcc, -1, v21
	v_addc_co_u32_e64 v32, s[2:3], 0, -1, vcc
	v_cmp_ne_u32_e32 vcc, 0, v21
	v_lshl_add_u32 v20, v22, 4, v22
	v_xor_b32_e32 v21, vcc_hi, v32
	v_add_lshl_u32 v34, v37, v20, 2
	v_mov_b32_e32 v20, 0
	v_and_b32_e32 v32, exec_hi, v21
	v_lshlrev_b32_e32 v21, 30, v22
	v_xor_b32_e32 v23, vcc_lo, v23
	v_cmp_gt_i64_e32 vcc, 0, v[20:21]
	v_not_b32_e32 v21, v21
	v_ashrrev_i32_e32 v21, 31, v21
	v_and_b32_e32 v23, exec_lo, v23
	v_xor_b32_e32 v33, vcc_hi, v21
	v_xor_b32_e32 v21, vcc_lo, v21
	v_and_b32_e32 v23, v23, v21
	v_lshlrev_b32_e32 v21, 29, v22
	v_cmp_gt_i64_e32 vcc, 0, v[20:21]
	v_not_b32_e32 v21, v21
	v_ashrrev_i32_e32 v21, 31, v21
	v_and_b32_e32 v32, v32, v33
	v_xor_b32_e32 v33, vcc_hi, v21
	v_xor_b32_e32 v21, vcc_lo, v21
	v_and_b32_e32 v23, v23, v21
	v_lshlrev_b32_e32 v21, 28, v22
	v_cmp_gt_i64_e32 vcc, 0, v[20:21]
	v_not_b32_e32 v21, v21
	v_ashrrev_i32_e32 v21, 31, v21
	v_and_b32_e32 v32, v32, v33
	;; [unrolled: 8-line block ×5, first 2 shown]
	v_xor_b32_e32 v33, vcc_hi, v21
	v_xor_b32_e32 v21, vcc_lo, v21
	v_and_b32_e32 v32, v32, v33
	v_and_b32_e32 v33, v23, v21
	v_lshlrev_b32_e32 v21, 24, v22
	v_cmp_gt_i64_e32 vcc, 0, v[20:21]
	v_not_b32_e32 v21, v21
	v_ashrrev_i32_e32 v21, 31, v21
	v_xor_b32_e32 v22, vcc_hi, v21
	v_xor_b32_e32 v21, vcc_lo, v21
	; wave barrier
	ds_read_b32 v29, v34 offset:64
	v_and_b32_e32 v23, v32, v22
	v_and_b32_e32 v22, v33, v21
	v_mbcnt_lo_u32_b32 v21, v22, 0
	v_mbcnt_hi_u32_b32 v32, v23, v21
	v_cmp_eq_u32_e32 vcc, 0, v32
	v_cmp_ne_u64_e64 s[2:3], 0, v[22:23]
	s_and_b64 s[8:9], s[2:3], vcc
	; wave barrier
	s_and_saveexec_b64 s[2:3], s[8:9]
	s_cbranch_execz .LBB877_27
; %bb.26:
	v_bcnt_u32_b32 v21, v22, 0
	v_bcnt_u32_b32 v21, v23, v21
	s_waitcnt lgkmcnt(0)
	v_add_u32_e32 v21, v29, v21
	ds_write_b32 v34, v21 offset:64
.LBB877_27:
	s_or_b64 exec, exec, s[2:3]
	v_lshrrev_b64 v[22:23], s20, v[8:9]
	v_and_b32_e32 v22, s30, v22
	v_lshl_add_u32 v21, v22, 4, v22
	v_add_lshl_u32 v38, v37, v21, 2
	v_and_b32_e32 v21, 1, v22
	v_add_co_u32_e32 v23, vcc, -1, v21
	v_addc_co_u32_e64 v35, s[2:3], 0, -1, vcc
	v_cmp_ne_u32_e32 vcc, 0, v21
	v_xor_b32_e32 v21, vcc_hi, v35
	v_and_b32_e32 v35, exec_hi, v21
	v_lshlrev_b32_e32 v21, 30, v22
	v_xor_b32_e32 v23, vcc_lo, v23
	v_cmp_gt_i64_e32 vcc, 0, v[20:21]
	v_not_b32_e32 v21, v21
	v_ashrrev_i32_e32 v21, 31, v21
	v_and_b32_e32 v23, exec_lo, v23
	v_xor_b32_e32 v36, vcc_hi, v21
	v_xor_b32_e32 v21, vcc_lo, v21
	v_and_b32_e32 v23, v23, v21
	v_lshlrev_b32_e32 v21, 29, v22
	v_cmp_gt_i64_e32 vcc, 0, v[20:21]
	v_not_b32_e32 v21, v21
	v_ashrrev_i32_e32 v21, 31, v21
	v_and_b32_e32 v35, v35, v36
	v_xor_b32_e32 v36, vcc_hi, v21
	v_xor_b32_e32 v21, vcc_lo, v21
	v_and_b32_e32 v23, v23, v21
	v_lshlrev_b32_e32 v21, 28, v22
	v_cmp_gt_i64_e32 vcc, 0, v[20:21]
	v_not_b32_e32 v21, v21
	v_ashrrev_i32_e32 v21, 31, v21
	v_and_b32_e32 v35, v35, v36
	;; [unrolled: 8-line block ×5, first 2 shown]
	v_xor_b32_e32 v36, vcc_hi, v21
	v_xor_b32_e32 v21, vcc_lo, v21
	v_and_b32_e32 v23, v23, v21
	v_lshlrev_b32_e32 v21, 24, v22
	v_cmp_gt_i64_e32 vcc, 0, v[20:21]
	v_not_b32_e32 v20, v21
	v_ashrrev_i32_e32 v20, 31, v20
	v_xor_b32_e32 v21, vcc_hi, v20
	v_xor_b32_e32 v20, vcc_lo, v20
	; wave barrier
	ds_read_b32 v33, v38 offset:64
	v_and_b32_e32 v35, v35, v36
	v_and_b32_e32 v20, v23, v20
	;; [unrolled: 1-line block ×3, first 2 shown]
	v_mbcnt_lo_u32_b32 v22, v20, 0
	v_mbcnt_hi_u32_b32 v35, v21, v22
	v_cmp_eq_u32_e32 vcc, 0, v35
	v_cmp_ne_u64_e64 s[2:3], 0, v[20:21]
	s_and_b64 s[8:9], s[2:3], vcc
	; wave barrier
	s_and_saveexec_b64 s[2:3], s[8:9]
	s_cbranch_execz .LBB877_29
; %bb.28:
	v_bcnt_u32_b32 v20, v20, 0
	v_bcnt_u32_b32 v20, v21, v20
	s_waitcnt lgkmcnt(0)
	v_add_u32_e32 v20, v33, v20
	ds_write_b32 v38, v20 offset:64
.LBB877_29:
	s_or_b64 exec, exec, s[2:3]
	v_lshrrev_b64 v[20:21], s20, v[14:15]
	v_and_b32_e32 v22, s30, v20
	v_and_b32_e32 v21, 1, v22
	v_add_co_u32_e32 v23, vcc, -1, v21
	v_addc_co_u32_e64 v39, s[2:3], 0, -1, vcc
	v_cmp_ne_u32_e32 vcc, 0, v21
	v_lshl_add_u32 v20, v22, 4, v22
	v_xor_b32_e32 v21, vcc_hi, v39
	v_add_lshl_u32 v41, v37, v20, 2
	v_mov_b32_e32 v20, 0
	v_and_b32_e32 v39, exec_hi, v21
	v_lshlrev_b32_e32 v21, 30, v22
	v_xor_b32_e32 v23, vcc_lo, v23
	v_cmp_gt_i64_e32 vcc, 0, v[20:21]
	v_not_b32_e32 v21, v21
	v_ashrrev_i32_e32 v21, 31, v21
	v_and_b32_e32 v23, exec_lo, v23
	v_xor_b32_e32 v40, vcc_hi, v21
	v_xor_b32_e32 v21, vcc_lo, v21
	v_and_b32_e32 v23, v23, v21
	v_lshlrev_b32_e32 v21, 29, v22
	v_cmp_gt_i64_e32 vcc, 0, v[20:21]
	v_not_b32_e32 v21, v21
	v_ashrrev_i32_e32 v21, 31, v21
	v_and_b32_e32 v39, v39, v40
	v_xor_b32_e32 v40, vcc_hi, v21
	v_xor_b32_e32 v21, vcc_lo, v21
	v_and_b32_e32 v23, v23, v21
	v_lshlrev_b32_e32 v21, 28, v22
	v_cmp_gt_i64_e32 vcc, 0, v[20:21]
	v_not_b32_e32 v21, v21
	v_ashrrev_i32_e32 v21, 31, v21
	v_and_b32_e32 v39, v39, v40
	;; [unrolled: 8-line block ×5, first 2 shown]
	v_xor_b32_e32 v40, vcc_hi, v21
	v_xor_b32_e32 v21, vcc_lo, v21
	v_and_b32_e32 v39, v39, v40
	v_and_b32_e32 v40, v23, v21
	v_lshlrev_b32_e32 v21, 24, v22
	v_cmp_gt_i64_e32 vcc, 0, v[20:21]
	v_not_b32_e32 v21, v21
	v_ashrrev_i32_e32 v21, 31, v21
	v_xor_b32_e32 v22, vcc_hi, v21
	v_xor_b32_e32 v21, vcc_lo, v21
	; wave barrier
	ds_read_b32 v36, v41 offset:64
	v_and_b32_e32 v23, v39, v22
	v_and_b32_e32 v22, v40, v21
	v_mbcnt_lo_u32_b32 v21, v22, 0
	v_mbcnt_hi_u32_b32 v39, v23, v21
	v_cmp_eq_u32_e32 vcc, 0, v39
	v_cmp_ne_u64_e64 s[2:3], 0, v[22:23]
	s_and_b64 s[8:9], s[2:3], vcc
	; wave barrier
	s_and_saveexec_b64 s[2:3], s[8:9]
	s_cbranch_execz .LBB877_31
; %bb.30:
	v_bcnt_u32_b32 v21, v22, 0
	v_bcnt_u32_b32 v21, v23, v21
	s_waitcnt lgkmcnt(0)
	v_add_u32_e32 v21, v36, v21
	ds_write_b32 v41, v21 offset:64
.LBB877_31:
	s_or_b64 exec, exec, s[2:3]
	v_lshrrev_b64 v[22:23], s20, v[12:13]
	v_and_b32_e32 v22, s30, v22
	v_lshl_add_u32 v21, v22, 4, v22
	v_add_lshl_u32 v44, v37, v21, 2
	v_and_b32_e32 v21, 1, v22
	v_add_co_u32_e32 v23, vcc, -1, v21
	v_addc_co_u32_e64 v42, s[2:3], 0, -1, vcc
	v_cmp_ne_u32_e32 vcc, 0, v21
	v_xor_b32_e32 v21, vcc_hi, v42
	v_and_b32_e32 v42, exec_hi, v21
	v_lshlrev_b32_e32 v21, 30, v22
	v_xor_b32_e32 v23, vcc_lo, v23
	v_cmp_gt_i64_e32 vcc, 0, v[20:21]
	v_not_b32_e32 v21, v21
	v_ashrrev_i32_e32 v21, 31, v21
	v_and_b32_e32 v23, exec_lo, v23
	v_xor_b32_e32 v43, vcc_hi, v21
	v_xor_b32_e32 v21, vcc_lo, v21
	v_and_b32_e32 v23, v23, v21
	v_lshlrev_b32_e32 v21, 29, v22
	v_cmp_gt_i64_e32 vcc, 0, v[20:21]
	v_not_b32_e32 v21, v21
	v_ashrrev_i32_e32 v21, 31, v21
	v_and_b32_e32 v42, v42, v43
	v_xor_b32_e32 v43, vcc_hi, v21
	v_xor_b32_e32 v21, vcc_lo, v21
	v_and_b32_e32 v23, v23, v21
	v_lshlrev_b32_e32 v21, 28, v22
	v_cmp_gt_i64_e32 vcc, 0, v[20:21]
	v_not_b32_e32 v21, v21
	v_ashrrev_i32_e32 v21, 31, v21
	v_and_b32_e32 v42, v42, v43
	v_xor_b32_e32 v43, vcc_hi, v21
	v_xor_b32_e32 v21, vcc_lo, v21
	v_and_b32_e32 v23, v23, v21
	v_lshlrev_b32_e32 v21, 27, v22
	v_cmp_gt_i64_e32 vcc, 0, v[20:21]
	v_not_b32_e32 v21, v21
	v_ashrrev_i32_e32 v21, 31, v21
	v_and_b32_e32 v42, v42, v43
	v_xor_b32_e32 v43, vcc_hi, v21
	v_xor_b32_e32 v21, vcc_lo, v21
	v_and_b32_e32 v23, v23, v21
	v_lshlrev_b32_e32 v21, 26, v22
	v_cmp_gt_i64_e32 vcc, 0, v[20:21]
	v_not_b32_e32 v21, v21
	v_ashrrev_i32_e32 v21, 31, v21
	v_and_b32_e32 v42, v42, v43
	v_xor_b32_e32 v43, vcc_hi, v21
	v_xor_b32_e32 v21, vcc_lo, v21
	v_and_b32_e32 v23, v23, v21
	v_lshlrev_b32_e32 v21, 25, v22
	v_cmp_gt_i64_e32 vcc, 0, v[20:21]
	v_not_b32_e32 v21, v21
	v_ashrrev_i32_e32 v21, 31, v21
	v_and_b32_e32 v42, v42, v43
	v_xor_b32_e32 v43, vcc_hi, v21
	v_xor_b32_e32 v21, vcc_lo, v21
	v_and_b32_e32 v23, v23, v21
	v_lshlrev_b32_e32 v21, 24, v22
	v_cmp_gt_i64_e32 vcc, 0, v[20:21]
	v_not_b32_e32 v20, v21
	v_ashrrev_i32_e32 v20, 31, v20
	v_xor_b32_e32 v21, vcc_hi, v20
	v_xor_b32_e32 v20, vcc_lo, v20
	; wave barrier
	ds_read_b32 v40, v44 offset:64
	v_and_b32_e32 v42, v42, v43
	v_and_b32_e32 v20, v23, v20
	;; [unrolled: 1-line block ×3, first 2 shown]
	v_mbcnt_lo_u32_b32 v22, v20, 0
	v_mbcnt_hi_u32_b32 v42, v21, v22
	v_cmp_eq_u32_e32 vcc, 0, v42
	v_cmp_ne_u64_e64 s[2:3], 0, v[20:21]
	s_and_b64 s[8:9], s[2:3], vcc
	; wave barrier
	s_and_saveexec_b64 s[2:3], s[8:9]
	s_cbranch_execz .LBB877_33
; %bb.32:
	v_bcnt_u32_b32 v20, v20, 0
	v_bcnt_u32_b32 v20, v21, v20
	s_waitcnt lgkmcnt(0)
	v_add_u32_e32 v20, v40, v20
	ds_write_b32 v44, v20 offset:64
.LBB877_33:
	s_or_b64 exec, exec, s[2:3]
	v_lshrrev_b64 v[20:21], s20, v[18:19]
	v_and_b32_e32 v22, s30, v20
	v_and_b32_e32 v21, 1, v22
	v_add_co_u32_e32 v23, vcc, -1, v21
	v_addc_co_u32_e64 v45, s[2:3], 0, -1, vcc
	v_cmp_ne_u32_e32 vcc, 0, v21
	v_lshl_add_u32 v20, v22, 4, v22
	v_xor_b32_e32 v21, vcc_hi, v45
	v_add_lshl_u32 v46, v37, v20, 2
	v_mov_b32_e32 v20, 0
	v_and_b32_e32 v45, exec_hi, v21
	v_lshlrev_b32_e32 v21, 30, v22
	v_xor_b32_e32 v23, vcc_lo, v23
	v_cmp_gt_i64_e32 vcc, 0, v[20:21]
	v_not_b32_e32 v21, v21
	v_ashrrev_i32_e32 v21, 31, v21
	v_and_b32_e32 v23, exec_lo, v23
	v_xor_b32_e32 v47, vcc_hi, v21
	v_xor_b32_e32 v21, vcc_lo, v21
	v_and_b32_e32 v23, v23, v21
	v_lshlrev_b32_e32 v21, 29, v22
	v_cmp_gt_i64_e32 vcc, 0, v[20:21]
	v_not_b32_e32 v21, v21
	v_ashrrev_i32_e32 v21, 31, v21
	v_and_b32_e32 v45, v45, v47
	v_xor_b32_e32 v47, vcc_hi, v21
	v_xor_b32_e32 v21, vcc_lo, v21
	v_and_b32_e32 v23, v23, v21
	v_lshlrev_b32_e32 v21, 28, v22
	v_cmp_gt_i64_e32 vcc, 0, v[20:21]
	v_not_b32_e32 v21, v21
	v_ashrrev_i32_e32 v21, 31, v21
	v_and_b32_e32 v45, v45, v47
	v_xor_b32_e32 v47, vcc_hi, v21
	v_xor_b32_e32 v21, vcc_lo, v21
	v_and_b32_e32 v23, v23, v21
	v_lshlrev_b32_e32 v21, 27, v22
	v_cmp_gt_i64_e32 vcc, 0, v[20:21]
	v_not_b32_e32 v21, v21
	v_ashrrev_i32_e32 v21, 31, v21
	v_and_b32_e32 v45, v45, v47
	v_xor_b32_e32 v47, vcc_hi, v21
	v_xor_b32_e32 v21, vcc_lo, v21
	v_and_b32_e32 v23, v23, v21
	v_lshlrev_b32_e32 v21, 26, v22
	v_cmp_gt_i64_e32 vcc, 0, v[20:21]
	v_not_b32_e32 v21, v21
	v_ashrrev_i32_e32 v21, 31, v21
	v_and_b32_e32 v45, v45, v47
	v_xor_b32_e32 v47, vcc_hi, v21
	v_xor_b32_e32 v21, vcc_lo, v21
	v_and_b32_e32 v23, v23, v21
	v_lshlrev_b32_e32 v21, 25, v22
	v_cmp_gt_i64_e32 vcc, 0, v[20:21]
	v_not_b32_e32 v21, v21
	v_ashrrev_i32_e32 v21, 31, v21
	v_and_b32_e32 v45, v45, v47
	v_xor_b32_e32 v47, vcc_hi, v21
	v_xor_b32_e32 v21, vcc_lo, v21
	v_and_b32_e32 v45, v45, v47
	v_and_b32_e32 v47, v23, v21
	v_lshlrev_b32_e32 v21, 24, v22
	v_cmp_gt_i64_e32 vcc, 0, v[20:21]
	v_not_b32_e32 v21, v21
	v_ashrrev_i32_e32 v21, 31, v21
	v_xor_b32_e32 v22, vcc_hi, v21
	v_xor_b32_e32 v21, vcc_lo, v21
	; wave barrier
	ds_read_b32 v43, v46 offset:64
	v_and_b32_e32 v23, v45, v22
	v_and_b32_e32 v22, v47, v21
	v_mbcnt_lo_u32_b32 v21, v22, 0
	v_mbcnt_hi_u32_b32 v45, v23, v21
	v_cmp_eq_u32_e32 vcc, 0, v45
	v_cmp_ne_u64_e64 s[2:3], 0, v[22:23]
	s_and_b64 s[8:9], s[2:3], vcc
	; wave barrier
	s_and_saveexec_b64 s[2:3], s[8:9]
	s_cbranch_execz .LBB877_35
; %bb.34:
	v_bcnt_u32_b32 v21, v22, 0
	v_bcnt_u32_b32 v21, v23, v21
	s_waitcnt lgkmcnt(0)
	v_add_u32_e32 v21, v43, v21
	ds_write_b32 v46, v21 offset:64
.LBB877_35:
	s_or_b64 exec, exec, s[2:3]
	v_lshrrev_b64 v[22:23], s20, v[16:17]
	v_and_b32_e32 v22, s30, v22
	v_lshl_add_u32 v21, v22, 4, v22
	v_add_lshl_u32 v48, v37, v21, 2
	v_and_b32_e32 v21, 1, v22
	v_add_co_u32_e32 v23, vcc, -1, v21
	v_addc_co_u32_e64 v47, s[2:3], 0, -1, vcc
	v_cmp_ne_u32_e32 vcc, 0, v21
	v_xor_b32_e32 v21, vcc_hi, v47
	v_and_b32_e32 v47, exec_hi, v21
	v_lshlrev_b32_e32 v21, 30, v22
	v_xor_b32_e32 v23, vcc_lo, v23
	v_cmp_gt_i64_e32 vcc, 0, v[20:21]
	v_not_b32_e32 v21, v21
	v_ashrrev_i32_e32 v21, 31, v21
	v_and_b32_e32 v23, exec_lo, v23
	v_xor_b32_e32 v50, vcc_hi, v21
	v_xor_b32_e32 v21, vcc_lo, v21
	v_and_b32_e32 v23, v23, v21
	v_lshlrev_b32_e32 v21, 29, v22
	v_cmp_gt_i64_e32 vcc, 0, v[20:21]
	v_not_b32_e32 v21, v21
	v_ashrrev_i32_e32 v21, 31, v21
	v_and_b32_e32 v47, v47, v50
	v_xor_b32_e32 v50, vcc_hi, v21
	v_xor_b32_e32 v21, vcc_lo, v21
	v_and_b32_e32 v23, v23, v21
	v_lshlrev_b32_e32 v21, 28, v22
	v_cmp_gt_i64_e32 vcc, 0, v[20:21]
	v_not_b32_e32 v21, v21
	v_ashrrev_i32_e32 v21, 31, v21
	v_and_b32_e32 v47, v47, v50
	;; [unrolled: 8-line block ×5, first 2 shown]
	v_xor_b32_e32 v50, vcc_hi, v21
	v_xor_b32_e32 v21, vcc_lo, v21
	v_and_b32_e32 v23, v23, v21
	v_lshlrev_b32_e32 v21, 24, v22
	v_cmp_gt_i64_e32 vcc, 0, v[20:21]
	v_not_b32_e32 v20, v21
	v_ashrrev_i32_e32 v20, 31, v20
	v_xor_b32_e32 v21, vcc_hi, v20
	v_xor_b32_e32 v20, vcc_lo, v20
	; wave barrier
	ds_read_b32 v37, v48 offset:64
	v_and_b32_e32 v47, v47, v50
	v_and_b32_e32 v20, v23, v20
	;; [unrolled: 1-line block ×3, first 2 shown]
	v_mbcnt_lo_u32_b32 v22, v20, 0
	v_mbcnt_hi_u32_b32 v47, v21, v22
	v_cmp_eq_u32_e32 vcc, 0, v47
	v_cmp_ne_u64_e64 s[2:3], 0, v[20:21]
	v_add_u32_e32 v49, 64, v25
	s_and_b64 s[8:9], s[2:3], vcc
	; wave barrier
	s_and_saveexec_b64 s[2:3], s[8:9]
	s_cbranch_execz .LBB877_37
; %bb.36:
	v_bcnt_u32_b32 v20, v20, 0
	v_bcnt_u32_b32 v20, v21, v20
	s_waitcnt lgkmcnt(0)
	v_add_u32_e32 v20, v37, v20
	ds_write_b32 v48, v20 offset:64
.LBB877_37:
	s_or_b64 exec, exec, s[2:3]
	; wave barrier
	s_waitcnt lgkmcnt(0)
	s_barrier
	ds_read2_b32 v[22:23], v25 offset0:16 offset1:17
	ds_read2_b32 v[20:21], v49 offset0:2 offset1:3
	ds_read_b32 v50, v49 offset:16
	v_cmp_lt_u32_e64 s[12:13], 31, v24
	s_waitcnt lgkmcnt(1)
	v_add3_u32 v51, v23, v22, v20
	s_waitcnt lgkmcnt(0)
	v_add3_u32 v50, v51, v21, v50
	v_and_b32_e32 v51, 15, v24
	v_cmp_eq_u32_e32 vcc, 0, v51
	v_mov_b32_dpp v52, v50 row_shr:1 row_mask:0xf bank_mask:0xf
	v_cndmask_b32_e64 v52, v52, 0, vcc
	v_add_u32_e32 v50, v52, v50
	v_cmp_lt_u32_e64 s[2:3], 1, v51
	v_cmp_lt_u32_e64 s[10:11], 3, v51
	v_mov_b32_dpp v52, v50 row_shr:2 row_mask:0xf bank_mask:0xf
	v_cndmask_b32_e64 v52, 0, v52, s[2:3]
	v_add_u32_e32 v50, v50, v52
	v_cmp_lt_u32_e64 s[8:9], 7, v51
	s_nop 0
	v_mov_b32_dpp v52, v50 row_shr:4 row_mask:0xf bank_mask:0xf
	v_cndmask_b32_e64 v52, 0, v52, s[10:11]
	v_add_u32_e32 v50, v50, v52
	s_nop 1
	v_mov_b32_dpp v52, v50 row_shr:8 row_mask:0xf bank_mask:0xf
	v_cndmask_b32_e64 v51, 0, v52, s[8:9]
	v_add_u32_e32 v50, v50, v51
	v_bfe_i32 v52, v24, 4, 1
	s_nop 0
	v_mov_b32_dpp v51, v50 row_bcast:15 row_mask:0xf bank_mask:0xf
	v_and_b32_e32 v51, v52, v51
	v_add_u32_e32 v50, v50, v51
	v_and_b32_e32 v52, 63, v2
	s_nop 0
	v_mov_b32_dpp v51, v50 row_bcast:31 row_mask:0xf bank_mask:0xf
	v_cndmask_b32_e64 v51, 0, v51, s[12:13]
	v_add_u32_e32 v50, v50, v51
	v_lshrrev_b32_e32 v51, 6, v2
	v_cmp_eq_u32_e64 s[12:13], 63, v52
	s_and_saveexec_b64 s[22:23], s[12:13]
	s_cbranch_execz .LBB877_39
; %bb.38:
	v_lshlrev_b32_e32 v52, 2, v51
	ds_write_b32 v52, v50
.LBB877_39:
	s_or_b64 exec, exec, s[22:23]
	v_cmp_gt_u32_e64 s[12:13], 16, v2
	s_waitcnt lgkmcnt(0)
	s_barrier
	s_and_saveexec_b64 s[22:23], s[12:13]
	s_cbranch_execz .LBB877_41
; %bb.40:
	v_lshlrev_b32_e32 v52, 2, v2
	ds_read_b32 v53, v52
	s_waitcnt lgkmcnt(0)
	s_nop 0
	v_mov_b32_dpp v54, v53 row_shr:1 row_mask:0xf bank_mask:0xf
	v_cndmask_b32_e64 v54, v54, 0, vcc
	v_add_u32_e32 v53, v54, v53
	s_nop 1
	v_mov_b32_dpp v54, v53 row_shr:2 row_mask:0xf bank_mask:0xf
	v_cndmask_b32_e64 v54, 0, v54, s[2:3]
	v_add_u32_e32 v53, v53, v54
	s_nop 1
	v_mov_b32_dpp v54, v53 row_shr:4 row_mask:0xf bank_mask:0xf
	v_cndmask_b32_e64 v54, 0, v54, s[10:11]
	;; [unrolled: 4-line block ×3, first 2 shown]
	v_add_u32_e32 v53, v53, v54
	ds_write_b32 v52, v53
.LBB877_41:
	s_or_b64 exec, exec, s[22:23]
	v_cmp_lt_u32_e32 vcc, 63, v2
	v_mov_b32_e32 v52, 0
	s_waitcnt lgkmcnt(0)
	s_barrier
	s_and_saveexec_b64 s[2:3], vcc
	s_cbranch_execz .LBB877_43
; %bb.42:
	v_lshl_add_u32 v51, v51, 2, -4
	ds_read_b32 v52, v51
.LBB877_43:
	s_or_b64 exec, exec, s[2:3]
	v_add_u32_e32 v51, -1, v24
	v_and_b32_e32 v53, 64, v24
	v_cmp_lt_i32_e32 vcc, v51, v53
	v_cndmask_b32_e32 v51, v51, v24, vcc
	s_waitcnt lgkmcnt(0)
	v_add_u32_e32 v50, v52, v50
	v_lshlrev_b32_e32 v51, 2, v51
	ds_bpermute_b32 v50, v51, v50
	v_cmp_eq_u32_e32 vcc, 0, v24
	s_movk_i32 s2, 0x100
	s_waitcnt lgkmcnt(0)
	v_cndmask_b32_e32 v24, v50, v52, vcc
	v_cndmask_b32_e64 v24, v24, 0, s[0:1]
	v_add_u32_e32 v22, v24, v22
	v_add_u32_e32 v23, v22, v23
	;; [unrolled: 1-line block ×4, first 2 shown]
	ds_write2_b32 v25, v24, v22 offset0:16 offset1:17
	ds_write2_b32 v49, v23, v20 offset0:2 offset1:3
	ds_write_b32 v49, v21 offset:16
	s_waitcnt lgkmcnt(0)
	s_barrier
	ds_read_b32 v50, v30 offset:64
	ds_read_b32 v49, v31 offset:64
	;; [unrolled: 1-line block ×8, first 2 shown]
	v_cmp_gt_u32_e32 vcc, s2, v2
                                        ; implicit-def: $vgpr30
                                        ; implicit-def: $vgpr31
	s_and_saveexec_b64 s[8:9], vcc
	s_cbranch_execz .LBB877_47
; %bb.44:
	v_mul_u32_u24_e32 v20, 17, v2
	v_lshlrev_b32_e32 v21, 2, v20
	ds_read_b32 v30, v21 offset:64
	s_movk_i32 s2, 0xff
	v_cmp_ne_u32_e64 s[2:3], s2, v2
	v_mov_b32_e32 v20, 0x2000
	s_and_saveexec_b64 s[10:11], s[2:3]
	s_cbranch_execz .LBB877_46
; %bb.45:
	ds_read_b32 v20, v21 offset:132
.LBB877_46:
	s_or_b64 exec, exec, s[10:11]
	s_waitcnt lgkmcnt(0)
	v_sub_u32_e32 v31, v20, v30
.LBB877_47:
	s_or_b64 exec, exec, s[8:9]
	s_waitcnt lgkmcnt(0)
	s_barrier
	s_and_saveexec_b64 s[8:9], vcc
	s_cbranch_execz .LBB877_57
; %bb.48:
	v_lshl_or_b32 v20, s28, 8, v2
	v_mov_b32_e32 v21, 0
	v_lshlrev_b64 v[22:23], 2, v[20:21]
	v_mov_b32_e32 v51, s15
	v_add_co_u32_e64 v22, s[2:3], s14, v22
	v_addc_co_u32_e64 v23, s[2:3], v51, v23, s[2:3]
	v_or_b32_e32 v20, 2.0, v31
	s_mov_b64 s[10:11], 0
	s_brev_b32 s31, 1
	s_mov_b32 s33, s28
	v_mov_b32_e32 v52, 0
	global_store_dword v[22:23], v20, off
                                        ; implicit-def: $sgpr2_sgpr3
	s_branch .LBB877_50
.LBB877_49:                             ;   in Loop: Header=BB877_50 Depth=1
	s_or_b64 exec, exec, s[12:13]
	v_and_b32_e32 v24, 0x3fffffff, v53
	v_add_u32_e32 v52, v24, v52
	v_cmp_eq_u32_e64 s[2:3], s31, v20
	s_and_b64 s[12:13], exec, s[2:3]
	s_or_b64 s[10:11], s[12:13], s[10:11]
	s_andn2_b64 exec, exec, s[10:11]
	s_cbranch_execz .LBB877_56
.LBB877_50:                             ; =>This Loop Header: Depth=1
                                        ;     Child Loop BB877_53 Depth 2
	s_or_b64 s[2:3], s[2:3], exec
	s_cmp_eq_u32 s33, 0
	s_cbranch_scc1 .LBB877_55
; %bb.51:                               ;   in Loop: Header=BB877_50 Depth=1
	s_add_i32 s33, s33, -1
	v_lshl_or_b32 v20, s33, 8, v2
	v_lshlrev_b64 v[24:25], 2, v[20:21]
	v_add_co_u32_e64 v24, s[2:3], s14, v24
	v_addc_co_u32_e64 v25, s[2:3], v51, v25, s[2:3]
	global_load_dword v53, v[24:25], off glc
	s_waitcnt vmcnt(0)
	v_and_b32_e32 v20, -2.0, v53
	v_cmp_eq_u32_e64 s[2:3], 0, v20
	s_and_saveexec_b64 s[12:13], s[2:3]
	s_cbranch_execz .LBB877_49
; %bb.52:                               ;   in Loop: Header=BB877_50 Depth=1
	s_mov_b64 s[22:23], 0
.LBB877_53:                             ;   Parent Loop BB877_50 Depth=1
                                        ; =>  This Inner Loop Header: Depth=2
	global_load_dword v53, v[24:25], off glc
	s_waitcnt vmcnt(0)
	v_and_b32_e32 v20, -2.0, v53
	v_cmp_ne_u32_e64 s[2:3], 0, v20
	s_or_b64 s[22:23], s[2:3], s[22:23]
	s_andn2_b64 exec, exec, s[22:23]
	s_cbranch_execnz .LBB877_53
; %bb.54:                               ;   in Loop: Header=BB877_50 Depth=1
	s_or_b64 exec, exec, s[22:23]
	s_branch .LBB877_49
.LBB877_55:                             ;   in Loop: Header=BB877_50 Depth=1
                                        ; implicit-def: $sgpr33
	s_and_b64 s[12:13], exec, s[2:3]
	s_or_b64 s[10:11], s[12:13], s[10:11]
	s_andn2_b64 exec, exec, s[10:11]
	s_cbranch_execnz .LBB877_50
.LBB877_56:
	s_or_b64 exec, exec, s[10:11]
	v_add_u32_e32 v20, v52, v31
	v_or_b32_e32 v20, 0x80000000, v20
	global_store_dword v[22:23], v20, off
	v_lshlrev_b32_e32 v20, 2, v2
	global_load_dword v21, v20, s[16:17]
	v_sub_u32_e32 v22, v52, v30
	s_waitcnt vmcnt(0)
	v_add_u32_e32 v21, v22, v21
	ds_write_b32 v20, v21
.LBB877_57:
	s_or_b64 exec, exec, s[8:9]
	v_add_u32_e32 v22, v50, v26
	s_movk_i32 s10, 0x400
	v_add_u32_e32 v23, 0x400, v3
	v_add3_u32 v24, v47, v48, v37
	v_add3_u32 v25, v45, v46, v43
	;; [unrolled: 1-line block ×7, first 2 shown]
	s_mov_b32 s11, 0
	v_mov_b32_e32 v21, 0
	v_mov_b32_e32 v28, v2
	s_branch .LBB877_59
.LBB877_58:                             ;   in Loop: Header=BB877_59 Depth=1
	s_or_b64 exec, exec, s[8:9]
	s_addk_i32 s11, 0xf800
	s_cmpk_eq_i32 s11, 0xe000
	v_add_u32_e32 v28, 0x800, v28
	s_barrier
	s_cbranch_scc1 .LBB877_64
.LBB877_59:                             ; =>This Inner Loop Header: Depth=1
	v_add_u32_e32 v20, s11, v22
	v_min_u32_e32 v20, 0x800, v20
	v_lshlrev_b32_e32 v20, 3, v20
	ds_write_b64 v20, v[6:7] offset:1024
	v_add_u32_e32 v20, s11, v27
	v_min_u32_e32 v20, 0x800, v20
	v_lshlrev_b32_e32 v20, 3, v20
	ds_write_b64 v20, v[4:5] offset:1024
	;; [unrolled: 4-line block ×7, first 2 shown]
	v_add_u32_e32 v20, s11, v24
	v_min_u32_e32 v20, 0x800, v20
	v_lshlrev_b32_e32 v20, 3, v20
	v_cmp_gt_u32_e64 s[2:3], s7, v28
	ds_write_b64 v20, v[16:17] offset:1024
	s_waitcnt lgkmcnt(0)
	s_barrier
	s_and_saveexec_b64 s[8:9], s[2:3]
	s_cbranch_execz .LBB877_61
; %bb.60:                               ;   in Loop: Header=BB877_59 Depth=1
	ds_read_b64 v[34:35], v3 offset:1024
	v_mov_b32_e32 v32, s27
	s_waitcnt lgkmcnt(0)
	v_lshrrev_b64 v[38:39], s20, v[34:35]
	v_and_b32_e32 v20, s30, v38
	v_lshlrev_b32_e32 v20, 2, v20
	ds_read_b32 v20, v20
	s_waitcnt lgkmcnt(0)
	v_add_u32_e32 v20, v28, v20
	v_lshlrev_b64 v[38:39], 3, v[20:21]
	v_add_co_u32_e64 v38, s[2:3], s26, v38
	v_addc_co_u32_e64 v39, s[2:3], v32, v39, s[2:3]
	global_store_dwordx2 v[38:39], v[34:35], off
.LBB877_61:                             ;   in Loop: Header=BB877_59 Depth=1
	s_or_b64 exec, exec, s[8:9]
	v_add_u32_e32 v20, 0x400, v28
	v_cmp_gt_u32_e64 s[2:3], s7, v20
	s_and_saveexec_b64 s[8:9], s[2:3]
	s_cbranch_execz .LBB877_58
; %bb.62:                               ;   in Loop: Header=BB877_59 Depth=1
	ds_read_b64 v[34:35], v23 offset:8192
	v_mov_b32_e32 v32, s27
	s_waitcnt lgkmcnt(0)
	v_lshrrev_b64 v[38:39], s20, v[34:35]
	v_and_b32_e32 v20, s30, v38
	v_lshlrev_b32_e32 v20, 2, v20
	ds_read_b32 v20, v20
	s_waitcnt lgkmcnt(0)
	v_add3_u32 v20, v28, v20, s10
	v_lshlrev_b64 v[38:39], 3, v[20:21]
	v_add_co_u32_e64 v38, s[2:3], s26, v38
	v_addc_co_u32_e64 v39, s[2:3], v32, v39, s[2:3]
	global_store_dwordx2 v[38:39], v[34:35], off
	s_branch .LBB877_58
.LBB877_63:
	s_mov_b64 s[10:11], 0
                                        ; implicit-def: $vgpr4
	s_cbranch_execnz .LBB877_67
	s_branch .LBB877_108
.LBB877_64:
	s_add_i32 s29, s29, -1
	s_cmp_eq_u32 s29, s28
	s_cselect_b64 s[2:3], -1, 0
	s_and_b64 s[8:9], vcc, s[2:3]
	s_mov_b64 s[2:3], 0
	s_mov_b64 s[10:11], 0
                                        ; implicit-def: $vgpr4
	s_and_saveexec_b64 s[12:13], s[8:9]
	s_xor_b64 s[8:9], exec, s[12:13]
; %bb.65:
	s_mov_b64 s[10:11], exec
	v_add_u32_e32 v4, v30, v31
; %bb.66:
	s_or_b64 exec, exec, s[8:9]
	s_and_b64 vcc, exec, s[2:3]
	s_cbranch_vccz .LBB877_108
.LBB877_67:
	s_lshl_b32 s2, s28, 13
	s_mov_b32 s3, 0
	v_mbcnt_hi_u32_b32 v22, -1, v1
	s_lshl_b64 s[2:3], s[2:3], 3
	v_and_b32_e32 v1, 63, v22
	s_add_u32 s2, s24, s2
	v_lshlrev_b32_e32 v1, 3, v1
	v_add_co_u32_e32 v1, vcc, s2, v1
	s_load_dword s22, s[4:5], 0x58
	s_load_dword s2, s[4:5], 0x64
	s_addc_u32 s3, s25, s3
	v_mov_b32_e32 v4, s3
	v_lshlrev_b32_e32 v5, 6, v2
	s_add_u32 s3, s4, 0x58
	v_addc_co_u32_e32 v4, vcc, 0, v4, vcc
	v_and_b32_e32 v5, 0xf000, v5
	s_addc_u32 s4, s5, 0
	s_waitcnt lgkmcnt(0)
	s_lshr_b32 s5, s2, 16
	v_add_co_u32_e32 v20, vcc, v1, v5
	s_cmp_lt_u32 s6, s22
	v_addc_co_u32_e32 v21, vcc, 0, v4, vcc
	s_cselect_b32 s2, 12, 18
	global_load_dwordx2 v[4:5], v[20:21], off
	s_add_u32 s2, s3, s2
	v_mov_b32_e32 v18, 0
	s_addc_u32 s3, s4, 0
	global_load_ushort v24, v18, s[2:3]
	v_mul_u32_u24_e32 v6, 5, v2
	v_lshlrev_b32_e32 v23, 2, v6
	v_bfe_u32 v1, v0, 10, 10
	v_bfe_u32 v0, v0, 20, 10
	ds_write2_b32 v23, v18, v18 offset0:16 offset1:17
	ds_write2_b32 v23, v18, v18 offset0:18 offset1:19
	ds_write_b32 v23, v18 offset:80
	v_mad_u32_u24 v25, v0, s5, v1
	global_load_dwordx2 v[0:1], v[20:21], off offset:512
	global_load_dwordx2 v[6:7], v[20:21], off offset:1024
	;; [unrolled: 1-line block ×7, first 2 shown]
	s_lshl_b32 s2, -1, s21
	s_not_b32 s21, s2
	s_waitcnt lgkmcnt(0)
	s_barrier
	s_waitcnt lgkmcnt(0)
	; wave barrier
	s_waitcnt vmcnt(8)
	v_lshrrev_b64 v[20:21], s20, v[4:5]
	v_and_b32_e32 v27, s21, v20
	v_and_b32_e32 v28, 1, v27
	v_lshlrev_b32_e32 v19, 30, v27
	s_waitcnt vmcnt(7)
	v_mad_u64_u32 v[20:21], s[2:3], v25, v24, v[2:3]
	v_add_co_u32_e32 v21, vcc, -1, v28
	v_addc_co_u32_e64 v24, s[2:3], 0, -1, vcc
	v_cmp_ne_u32_e32 vcc, 0, v28
	v_cmp_gt_i64_e64 s[2:3], 0, v[18:19]
	v_not_b32_e32 v25, v19
	v_lshlrev_b32_e32 v19, 29, v27
	v_lshrrev_b32_e32 v33, 6, v20
	v_xor_b32_e32 v20, vcc_hi, v24
	v_xor_b32_e32 v21, vcc_lo, v21
	v_ashrrev_i32_e32 v24, 31, v25
	v_cmp_gt_i64_e32 vcc, 0, v[18:19]
	v_not_b32_e32 v25, v19
	v_lshlrev_b32_e32 v19, 28, v27
	v_and_b32_e32 v20, exec_hi, v20
	v_and_b32_e32 v21, exec_lo, v21
	v_xor_b32_e32 v28, s3, v24
	v_xor_b32_e32 v24, s2, v24
	v_ashrrev_i32_e32 v25, 31, v25
	v_cmp_gt_i64_e64 s[2:3], 0, v[18:19]
	v_not_b32_e32 v29, v19
	v_lshlrev_b32_e32 v19, 27, v27
	v_and_b32_e32 v20, v20, v28
	v_and_b32_e32 v21, v21, v24
	v_xor_b32_e32 v24, vcc_hi, v25
	v_xor_b32_e32 v25, vcc_lo, v25
	v_ashrrev_i32_e32 v28, 31, v29
	v_cmp_gt_i64_e32 vcc, 0, v[18:19]
	v_not_b32_e32 v19, v19
	v_and_b32_e32 v20, v20, v24
	v_and_b32_e32 v21, v21, v25
	v_xor_b32_e32 v24, s3, v28
	v_xor_b32_e32 v25, s2, v28
	v_ashrrev_i32_e32 v19, 31, v19
	v_and_b32_e32 v20, v20, v24
	v_and_b32_e32 v21, v21, v25
	v_xor_b32_e32 v24, vcc_hi, v19
	v_xor_b32_e32 v19, vcc_lo, v19
	v_and_b32_e32 v21, v21, v19
	v_lshlrev_b32_e32 v19, 26, v27
	v_cmp_gt_i64_e32 vcc, 0, v[18:19]
	v_not_b32_e32 v19, v19
	v_ashrrev_i32_e32 v19, 31, v19
	v_and_b32_e32 v20, v20, v24
	v_xor_b32_e32 v24, vcc_hi, v19
	v_xor_b32_e32 v19, vcc_lo, v19
	v_and_b32_e32 v21, v21, v19
	v_lshlrev_b32_e32 v19, 25, v27
	v_cmp_gt_i64_e32 vcc, 0, v[18:19]
	v_not_b32_e32 v19, v19
	v_ashrrev_i32_e32 v19, 31, v19
	v_and_b32_e32 v20, v20, v24
	v_xor_b32_e32 v24, vcc_hi, v19
	v_xor_b32_e32 v19, vcc_lo, v19
	v_and_b32_e32 v20, v20, v24
	v_and_b32_e32 v24, v21, v19
	v_lshlrev_b32_e32 v19, 24, v27
	v_cmp_gt_i64_e32 vcc, 0, v[18:19]
	v_not_b32_e32 v19, v19
	v_ashrrev_i32_e32 v19, 31, v19
	v_xor_b32_e32 v21, vcc_hi, v19
	v_xor_b32_e32 v19, vcc_lo, v19
	v_and_b32_e32 v21, v20, v21
	v_and_b32_e32 v20, v24, v19
	v_mbcnt_lo_u32_b32 v19, v20, 0
	v_mbcnt_hi_u32_b32 v24, v21, v19
	v_lshl_add_u32 v26, v27, 4, v27
	v_cmp_eq_u32_e32 vcc, 0, v24
	v_cmp_ne_u64_e64 s[2:3], 0, v[20:21]
	v_add_lshl_u32 v26, v33, v26, 2
	s_and_b64 s[4:5], s[2:3], vcc
	s_and_saveexec_b64 s[2:3], s[4:5]
	s_cbranch_execz .LBB877_69
; %bb.68:
	v_bcnt_u32_b32 v19, v20, 0
	v_bcnt_u32_b32 v19, v21, v19
	ds_write_b32 v26, v19 offset:64
.LBB877_69:
	s_or_b64 exec, exec, s[2:3]
	s_waitcnt vmcnt(6)
	v_lshrrev_b64 v[20:21], s20, v[0:1]
	v_and_b32_e32 v20, s21, v20
	v_lshl_add_u32 v19, v20, 4, v20
	v_add_lshl_u32 v29, v33, v19, 2
	v_and_b32_e32 v19, 1, v20
	v_add_co_u32_e32 v21, vcc, -1, v19
	v_addc_co_u32_e64 v27, s[2:3], 0, -1, vcc
	v_cmp_ne_u32_e32 vcc, 0, v19
	v_xor_b32_e32 v19, vcc_hi, v27
	v_and_b32_e32 v27, exec_hi, v19
	v_lshlrev_b32_e32 v19, 30, v20
	v_xor_b32_e32 v21, vcc_lo, v21
	v_cmp_gt_i64_e32 vcc, 0, v[18:19]
	v_not_b32_e32 v19, v19
	v_ashrrev_i32_e32 v19, 31, v19
	v_and_b32_e32 v21, exec_lo, v21
	v_xor_b32_e32 v28, vcc_hi, v19
	v_xor_b32_e32 v19, vcc_lo, v19
	v_and_b32_e32 v21, v21, v19
	v_lshlrev_b32_e32 v19, 29, v20
	v_cmp_gt_i64_e32 vcc, 0, v[18:19]
	v_not_b32_e32 v19, v19
	v_ashrrev_i32_e32 v19, 31, v19
	v_and_b32_e32 v27, v27, v28
	v_xor_b32_e32 v28, vcc_hi, v19
	v_xor_b32_e32 v19, vcc_lo, v19
	v_and_b32_e32 v21, v21, v19
	v_lshlrev_b32_e32 v19, 28, v20
	v_cmp_gt_i64_e32 vcc, 0, v[18:19]
	v_not_b32_e32 v19, v19
	v_ashrrev_i32_e32 v19, 31, v19
	v_and_b32_e32 v27, v27, v28
	v_xor_b32_e32 v28, vcc_hi, v19
	v_xor_b32_e32 v19, vcc_lo, v19
	v_and_b32_e32 v21, v21, v19
	v_lshlrev_b32_e32 v19, 27, v20
	v_cmp_gt_i64_e32 vcc, 0, v[18:19]
	v_not_b32_e32 v19, v19
	v_ashrrev_i32_e32 v19, 31, v19
	v_and_b32_e32 v27, v27, v28
	v_xor_b32_e32 v28, vcc_hi, v19
	v_xor_b32_e32 v19, vcc_lo, v19
	v_and_b32_e32 v21, v21, v19
	v_lshlrev_b32_e32 v19, 26, v20
	v_cmp_gt_i64_e32 vcc, 0, v[18:19]
	v_not_b32_e32 v19, v19
	v_ashrrev_i32_e32 v19, 31, v19
	v_and_b32_e32 v27, v27, v28
	v_xor_b32_e32 v28, vcc_hi, v19
	v_xor_b32_e32 v19, vcc_lo, v19
	v_and_b32_e32 v21, v21, v19
	v_lshlrev_b32_e32 v19, 25, v20
	v_cmp_gt_i64_e32 vcc, 0, v[18:19]
	v_not_b32_e32 v19, v19
	v_ashrrev_i32_e32 v19, 31, v19
	v_and_b32_e32 v27, v27, v28
	v_xor_b32_e32 v28, vcc_hi, v19
	v_xor_b32_e32 v19, vcc_lo, v19
	v_and_b32_e32 v21, v21, v19
	v_lshlrev_b32_e32 v19, 24, v20
	v_cmp_gt_i64_e32 vcc, 0, v[18:19]
	v_not_b32_e32 v18, v19
	v_ashrrev_i32_e32 v18, 31, v18
	v_xor_b32_e32 v19, vcc_hi, v18
	v_xor_b32_e32 v18, vcc_lo, v18
	; wave barrier
	ds_read_b32 v25, v29 offset:64
	v_and_b32_e32 v27, v27, v28
	v_and_b32_e32 v18, v21, v18
	;; [unrolled: 1-line block ×3, first 2 shown]
	v_mbcnt_lo_u32_b32 v20, v18, 0
	v_mbcnt_hi_u32_b32 v27, v19, v20
	v_cmp_eq_u32_e32 vcc, 0, v27
	v_cmp_ne_u64_e64 s[2:3], 0, v[18:19]
	s_and_b64 s[4:5], s[2:3], vcc
	; wave barrier
	s_and_saveexec_b64 s[2:3], s[4:5]
	s_cbranch_execz .LBB877_71
; %bb.70:
	v_bcnt_u32_b32 v18, v18, 0
	v_bcnt_u32_b32 v18, v19, v18
	s_waitcnt lgkmcnt(0)
	v_add_u32_e32 v18, v25, v18
	ds_write_b32 v29, v18 offset:64
.LBB877_71:
	s_or_b64 exec, exec, s[2:3]
	s_waitcnt vmcnt(5)
	v_lshrrev_b64 v[18:19], s20, v[6:7]
	v_and_b32_e32 v20, s21, v18
	v_and_b32_e32 v19, 1, v20
	v_add_co_u32_e32 v21, vcc, -1, v19
	v_addc_co_u32_e64 v30, s[2:3], 0, -1, vcc
	v_cmp_ne_u32_e32 vcc, 0, v19
	v_lshl_add_u32 v18, v20, 4, v20
	v_xor_b32_e32 v19, vcc_hi, v30
	v_add_lshl_u32 v32, v33, v18, 2
	v_mov_b32_e32 v18, 0
	v_and_b32_e32 v30, exec_hi, v19
	v_lshlrev_b32_e32 v19, 30, v20
	v_xor_b32_e32 v21, vcc_lo, v21
	v_cmp_gt_i64_e32 vcc, 0, v[18:19]
	v_not_b32_e32 v19, v19
	v_ashrrev_i32_e32 v19, 31, v19
	v_and_b32_e32 v21, exec_lo, v21
	v_xor_b32_e32 v31, vcc_hi, v19
	v_xor_b32_e32 v19, vcc_lo, v19
	v_and_b32_e32 v21, v21, v19
	v_lshlrev_b32_e32 v19, 29, v20
	v_cmp_gt_i64_e32 vcc, 0, v[18:19]
	v_not_b32_e32 v19, v19
	v_ashrrev_i32_e32 v19, 31, v19
	v_and_b32_e32 v30, v30, v31
	v_xor_b32_e32 v31, vcc_hi, v19
	v_xor_b32_e32 v19, vcc_lo, v19
	v_and_b32_e32 v21, v21, v19
	v_lshlrev_b32_e32 v19, 28, v20
	v_cmp_gt_i64_e32 vcc, 0, v[18:19]
	v_not_b32_e32 v19, v19
	v_ashrrev_i32_e32 v19, 31, v19
	v_and_b32_e32 v30, v30, v31
	;; [unrolled: 8-line block ×5, first 2 shown]
	v_xor_b32_e32 v31, vcc_hi, v19
	v_xor_b32_e32 v19, vcc_lo, v19
	v_and_b32_e32 v30, v30, v31
	v_and_b32_e32 v31, v21, v19
	v_lshlrev_b32_e32 v19, 24, v20
	v_cmp_gt_i64_e32 vcc, 0, v[18:19]
	v_not_b32_e32 v19, v19
	v_ashrrev_i32_e32 v19, 31, v19
	v_xor_b32_e32 v20, vcc_hi, v19
	v_xor_b32_e32 v19, vcc_lo, v19
	; wave barrier
	ds_read_b32 v28, v32 offset:64
	v_and_b32_e32 v21, v30, v20
	v_and_b32_e32 v20, v31, v19
	v_mbcnt_lo_u32_b32 v19, v20, 0
	v_mbcnt_hi_u32_b32 v30, v21, v19
	v_cmp_eq_u32_e32 vcc, 0, v30
	v_cmp_ne_u64_e64 s[2:3], 0, v[20:21]
	s_and_b64 s[4:5], s[2:3], vcc
	; wave barrier
	s_and_saveexec_b64 s[2:3], s[4:5]
	s_cbranch_execz .LBB877_73
; %bb.72:
	v_bcnt_u32_b32 v19, v20, 0
	v_bcnt_u32_b32 v19, v21, v19
	s_waitcnt lgkmcnt(0)
	v_add_u32_e32 v19, v28, v19
	ds_write_b32 v32, v19 offset:64
.LBB877_73:
	s_or_b64 exec, exec, s[2:3]
	s_waitcnt vmcnt(4)
	v_lshrrev_b64 v[20:21], s20, v[8:9]
	v_and_b32_e32 v20, s21, v20
	v_lshl_add_u32 v19, v20, 4, v20
	v_add_lshl_u32 v36, v33, v19, 2
	v_and_b32_e32 v19, 1, v20
	v_add_co_u32_e32 v21, vcc, -1, v19
	v_addc_co_u32_e64 v34, s[2:3], 0, -1, vcc
	v_cmp_ne_u32_e32 vcc, 0, v19
	v_xor_b32_e32 v19, vcc_hi, v34
	v_and_b32_e32 v34, exec_hi, v19
	v_lshlrev_b32_e32 v19, 30, v20
	v_xor_b32_e32 v21, vcc_lo, v21
	v_cmp_gt_i64_e32 vcc, 0, v[18:19]
	v_not_b32_e32 v19, v19
	v_ashrrev_i32_e32 v19, 31, v19
	v_and_b32_e32 v21, exec_lo, v21
	v_xor_b32_e32 v35, vcc_hi, v19
	v_xor_b32_e32 v19, vcc_lo, v19
	v_and_b32_e32 v21, v21, v19
	v_lshlrev_b32_e32 v19, 29, v20
	v_cmp_gt_i64_e32 vcc, 0, v[18:19]
	v_not_b32_e32 v19, v19
	v_ashrrev_i32_e32 v19, 31, v19
	v_and_b32_e32 v34, v34, v35
	v_xor_b32_e32 v35, vcc_hi, v19
	v_xor_b32_e32 v19, vcc_lo, v19
	v_and_b32_e32 v21, v21, v19
	v_lshlrev_b32_e32 v19, 28, v20
	v_cmp_gt_i64_e32 vcc, 0, v[18:19]
	v_not_b32_e32 v19, v19
	v_ashrrev_i32_e32 v19, 31, v19
	v_and_b32_e32 v34, v34, v35
	v_xor_b32_e32 v35, vcc_hi, v19
	v_xor_b32_e32 v19, vcc_lo, v19
	v_and_b32_e32 v21, v21, v19
	v_lshlrev_b32_e32 v19, 27, v20
	v_cmp_gt_i64_e32 vcc, 0, v[18:19]
	v_not_b32_e32 v19, v19
	v_ashrrev_i32_e32 v19, 31, v19
	v_and_b32_e32 v34, v34, v35
	v_xor_b32_e32 v35, vcc_hi, v19
	v_xor_b32_e32 v19, vcc_lo, v19
	v_and_b32_e32 v21, v21, v19
	v_lshlrev_b32_e32 v19, 26, v20
	v_cmp_gt_i64_e32 vcc, 0, v[18:19]
	v_not_b32_e32 v19, v19
	v_ashrrev_i32_e32 v19, 31, v19
	v_and_b32_e32 v34, v34, v35
	v_xor_b32_e32 v35, vcc_hi, v19
	v_xor_b32_e32 v19, vcc_lo, v19
	v_and_b32_e32 v21, v21, v19
	v_lshlrev_b32_e32 v19, 25, v20
	v_cmp_gt_i64_e32 vcc, 0, v[18:19]
	v_not_b32_e32 v19, v19
	v_ashrrev_i32_e32 v19, 31, v19
	v_and_b32_e32 v34, v34, v35
	v_xor_b32_e32 v35, vcc_hi, v19
	v_xor_b32_e32 v19, vcc_lo, v19
	v_and_b32_e32 v21, v21, v19
	v_lshlrev_b32_e32 v19, 24, v20
	v_cmp_gt_i64_e32 vcc, 0, v[18:19]
	v_not_b32_e32 v18, v19
	v_ashrrev_i32_e32 v18, 31, v18
	v_xor_b32_e32 v19, vcc_hi, v18
	v_xor_b32_e32 v18, vcc_lo, v18
	; wave barrier
	ds_read_b32 v31, v36 offset:64
	v_and_b32_e32 v34, v34, v35
	v_and_b32_e32 v18, v21, v18
	;; [unrolled: 1-line block ×3, first 2 shown]
	v_mbcnt_lo_u32_b32 v20, v18, 0
	v_mbcnt_hi_u32_b32 v34, v19, v20
	v_cmp_eq_u32_e32 vcc, 0, v34
	v_cmp_ne_u64_e64 s[2:3], 0, v[18:19]
	s_and_b64 s[4:5], s[2:3], vcc
	; wave barrier
	s_and_saveexec_b64 s[2:3], s[4:5]
	s_cbranch_execz .LBB877_75
; %bb.74:
	v_bcnt_u32_b32 v18, v18, 0
	v_bcnt_u32_b32 v18, v19, v18
	s_waitcnt lgkmcnt(0)
	v_add_u32_e32 v18, v31, v18
	ds_write_b32 v36, v18 offset:64
.LBB877_75:
	s_or_b64 exec, exec, s[2:3]
	s_waitcnt vmcnt(3)
	v_lshrrev_b64 v[18:19], s20, v[10:11]
	v_and_b32_e32 v20, s21, v18
	v_and_b32_e32 v19, 1, v20
	v_add_co_u32_e32 v21, vcc, -1, v19
	v_addc_co_u32_e64 v37, s[2:3], 0, -1, vcc
	v_cmp_ne_u32_e32 vcc, 0, v19
	v_lshl_add_u32 v18, v20, 4, v20
	v_xor_b32_e32 v19, vcc_hi, v37
	v_add_lshl_u32 v39, v33, v18, 2
	v_mov_b32_e32 v18, 0
	v_and_b32_e32 v37, exec_hi, v19
	v_lshlrev_b32_e32 v19, 30, v20
	v_xor_b32_e32 v21, vcc_lo, v21
	v_cmp_gt_i64_e32 vcc, 0, v[18:19]
	v_not_b32_e32 v19, v19
	v_ashrrev_i32_e32 v19, 31, v19
	v_and_b32_e32 v21, exec_lo, v21
	v_xor_b32_e32 v38, vcc_hi, v19
	v_xor_b32_e32 v19, vcc_lo, v19
	v_and_b32_e32 v21, v21, v19
	v_lshlrev_b32_e32 v19, 29, v20
	v_cmp_gt_i64_e32 vcc, 0, v[18:19]
	v_not_b32_e32 v19, v19
	v_ashrrev_i32_e32 v19, 31, v19
	v_and_b32_e32 v37, v37, v38
	v_xor_b32_e32 v38, vcc_hi, v19
	v_xor_b32_e32 v19, vcc_lo, v19
	v_and_b32_e32 v21, v21, v19
	v_lshlrev_b32_e32 v19, 28, v20
	v_cmp_gt_i64_e32 vcc, 0, v[18:19]
	v_not_b32_e32 v19, v19
	v_ashrrev_i32_e32 v19, 31, v19
	v_and_b32_e32 v37, v37, v38
	;; [unrolled: 8-line block ×5, first 2 shown]
	v_xor_b32_e32 v38, vcc_hi, v19
	v_xor_b32_e32 v19, vcc_lo, v19
	v_and_b32_e32 v37, v37, v38
	v_and_b32_e32 v38, v21, v19
	v_lshlrev_b32_e32 v19, 24, v20
	v_cmp_gt_i64_e32 vcc, 0, v[18:19]
	v_not_b32_e32 v19, v19
	v_ashrrev_i32_e32 v19, 31, v19
	v_xor_b32_e32 v20, vcc_hi, v19
	v_xor_b32_e32 v19, vcc_lo, v19
	; wave barrier
	ds_read_b32 v35, v39 offset:64
	v_and_b32_e32 v21, v37, v20
	v_and_b32_e32 v20, v38, v19
	v_mbcnt_lo_u32_b32 v19, v20, 0
	v_mbcnt_hi_u32_b32 v37, v21, v19
	v_cmp_eq_u32_e32 vcc, 0, v37
	v_cmp_ne_u64_e64 s[2:3], 0, v[20:21]
	s_and_b64 s[4:5], s[2:3], vcc
	; wave barrier
	s_and_saveexec_b64 s[2:3], s[4:5]
	s_cbranch_execz .LBB877_77
; %bb.76:
	v_bcnt_u32_b32 v19, v20, 0
	v_bcnt_u32_b32 v19, v21, v19
	s_waitcnt lgkmcnt(0)
	v_add_u32_e32 v19, v35, v19
	ds_write_b32 v39, v19 offset:64
.LBB877_77:
	s_or_b64 exec, exec, s[2:3]
	s_waitcnt vmcnt(2)
	v_lshrrev_b64 v[20:21], s20, v[12:13]
	v_and_b32_e32 v20, s21, v20
	v_lshl_add_u32 v19, v20, 4, v20
	v_add_lshl_u32 v42, v33, v19, 2
	v_and_b32_e32 v19, 1, v20
	v_add_co_u32_e32 v21, vcc, -1, v19
	v_addc_co_u32_e64 v40, s[2:3], 0, -1, vcc
	v_cmp_ne_u32_e32 vcc, 0, v19
	v_xor_b32_e32 v19, vcc_hi, v40
	v_and_b32_e32 v40, exec_hi, v19
	v_lshlrev_b32_e32 v19, 30, v20
	v_xor_b32_e32 v21, vcc_lo, v21
	v_cmp_gt_i64_e32 vcc, 0, v[18:19]
	v_not_b32_e32 v19, v19
	v_ashrrev_i32_e32 v19, 31, v19
	v_and_b32_e32 v21, exec_lo, v21
	v_xor_b32_e32 v41, vcc_hi, v19
	v_xor_b32_e32 v19, vcc_lo, v19
	v_and_b32_e32 v21, v21, v19
	v_lshlrev_b32_e32 v19, 29, v20
	v_cmp_gt_i64_e32 vcc, 0, v[18:19]
	v_not_b32_e32 v19, v19
	v_ashrrev_i32_e32 v19, 31, v19
	v_and_b32_e32 v40, v40, v41
	v_xor_b32_e32 v41, vcc_hi, v19
	v_xor_b32_e32 v19, vcc_lo, v19
	v_and_b32_e32 v21, v21, v19
	v_lshlrev_b32_e32 v19, 28, v20
	v_cmp_gt_i64_e32 vcc, 0, v[18:19]
	v_not_b32_e32 v19, v19
	v_ashrrev_i32_e32 v19, 31, v19
	v_and_b32_e32 v40, v40, v41
	;; [unrolled: 8-line block ×5, first 2 shown]
	v_xor_b32_e32 v41, vcc_hi, v19
	v_xor_b32_e32 v19, vcc_lo, v19
	v_and_b32_e32 v21, v21, v19
	v_lshlrev_b32_e32 v19, 24, v20
	v_cmp_gt_i64_e32 vcc, 0, v[18:19]
	v_not_b32_e32 v18, v19
	v_ashrrev_i32_e32 v18, 31, v18
	v_xor_b32_e32 v19, vcc_hi, v18
	v_xor_b32_e32 v18, vcc_lo, v18
	; wave barrier
	ds_read_b32 v38, v42 offset:64
	v_and_b32_e32 v40, v40, v41
	v_and_b32_e32 v18, v21, v18
	;; [unrolled: 1-line block ×3, first 2 shown]
	v_mbcnt_lo_u32_b32 v20, v18, 0
	v_mbcnt_hi_u32_b32 v40, v19, v20
	v_cmp_eq_u32_e32 vcc, 0, v40
	v_cmp_ne_u64_e64 s[2:3], 0, v[18:19]
	s_and_b64 s[4:5], s[2:3], vcc
	; wave barrier
	s_and_saveexec_b64 s[2:3], s[4:5]
	s_cbranch_execz .LBB877_79
; %bb.78:
	v_bcnt_u32_b32 v18, v18, 0
	v_bcnt_u32_b32 v18, v19, v18
	s_waitcnt lgkmcnt(0)
	v_add_u32_e32 v18, v38, v18
	ds_write_b32 v42, v18 offset:64
.LBB877_79:
	s_or_b64 exec, exec, s[2:3]
	s_waitcnt vmcnt(1)
	v_lshrrev_b64 v[18:19], s20, v[14:15]
	v_and_b32_e32 v20, s21, v18
	v_and_b32_e32 v19, 1, v20
	v_add_co_u32_e32 v21, vcc, -1, v19
	v_addc_co_u32_e64 v43, s[2:3], 0, -1, vcc
	v_cmp_ne_u32_e32 vcc, 0, v19
	v_lshl_add_u32 v18, v20, 4, v20
	v_xor_b32_e32 v19, vcc_hi, v43
	v_add_lshl_u32 v44, v33, v18, 2
	v_mov_b32_e32 v18, 0
	v_and_b32_e32 v43, exec_hi, v19
	v_lshlrev_b32_e32 v19, 30, v20
	v_xor_b32_e32 v21, vcc_lo, v21
	v_cmp_gt_i64_e32 vcc, 0, v[18:19]
	v_not_b32_e32 v19, v19
	v_ashrrev_i32_e32 v19, 31, v19
	v_and_b32_e32 v21, exec_lo, v21
	v_xor_b32_e32 v45, vcc_hi, v19
	v_xor_b32_e32 v19, vcc_lo, v19
	v_and_b32_e32 v21, v21, v19
	v_lshlrev_b32_e32 v19, 29, v20
	v_cmp_gt_i64_e32 vcc, 0, v[18:19]
	v_not_b32_e32 v19, v19
	v_ashrrev_i32_e32 v19, 31, v19
	v_and_b32_e32 v43, v43, v45
	v_xor_b32_e32 v45, vcc_hi, v19
	v_xor_b32_e32 v19, vcc_lo, v19
	v_and_b32_e32 v21, v21, v19
	v_lshlrev_b32_e32 v19, 28, v20
	v_cmp_gt_i64_e32 vcc, 0, v[18:19]
	v_not_b32_e32 v19, v19
	v_ashrrev_i32_e32 v19, 31, v19
	v_and_b32_e32 v43, v43, v45
	;; [unrolled: 8-line block ×5, first 2 shown]
	v_xor_b32_e32 v45, vcc_hi, v19
	v_xor_b32_e32 v19, vcc_lo, v19
	v_and_b32_e32 v43, v43, v45
	v_and_b32_e32 v45, v21, v19
	v_lshlrev_b32_e32 v19, 24, v20
	v_cmp_gt_i64_e32 vcc, 0, v[18:19]
	v_not_b32_e32 v19, v19
	v_ashrrev_i32_e32 v19, 31, v19
	v_xor_b32_e32 v20, vcc_hi, v19
	v_xor_b32_e32 v19, vcc_lo, v19
	; wave barrier
	ds_read_b32 v41, v44 offset:64
	v_and_b32_e32 v21, v43, v20
	v_and_b32_e32 v20, v45, v19
	v_mbcnt_lo_u32_b32 v19, v20, 0
	v_mbcnt_hi_u32_b32 v43, v21, v19
	v_cmp_eq_u32_e32 vcc, 0, v43
	v_cmp_ne_u64_e64 s[2:3], 0, v[20:21]
	s_and_b64 s[4:5], s[2:3], vcc
	; wave barrier
	s_and_saveexec_b64 s[2:3], s[4:5]
	s_cbranch_execz .LBB877_81
; %bb.80:
	v_bcnt_u32_b32 v19, v20, 0
	v_bcnt_u32_b32 v19, v21, v19
	s_waitcnt lgkmcnt(0)
	v_add_u32_e32 v19, v41, v19
	ds_write_b32 v44, v19 offset:64
.LBB877_81:
	s_or_b64 exec, exec, s[2:3]
	s_waitcnt vmcnt(0)
	v_lshrrev_b64 v[20:21], s20, v[16:17]
	v_and_b32_e32 v20, s21, v20
	v_lshl_add_u32 v19, v20, 4, v20
	v_add_lshl_u32 v46, v33, v19, 2
	v_and_b32_e32 v19, 1, v20
	v_add_co_u32_e32 v21, vcc, -1, v19
	v_addc_co_u32_e64 v45, s[2:3], 0, -1, vcc
	v_cmp_ne_u32_e32 vcc, 0, v19
	v_xor_b32_e32 v19, vcc_hi, v45
	v_and_b32_e32 v45, exec_hi, v19
	v_lshlrev_b32_e32 v19, 30, v20
	v_xor_b32_e32 v21, vcc_lo, v21
	v_cmp_gt_i64_e32 vcc, 0, v[18:19]
	v_not_b32_e32 v19, v19
	v_ashrrev_i32_e32 v19, 31, v19
	v_and_b32_e32 v21, exec_lo, v21
	v_xor_b32_e32 v48, vcc_hi, v19
	v_xor_b32_e32 v19, vcc_lo, v19
	v_and_b32_e32 v21, v21, v19
	v_lshlrev_b32_e32 v19, 29, v20
	v_cmp_gt_i64_e32 vcc, 0, v[18:19]
	v_not_b32_e32 v19, v19
	v_ashrrev_i32_e32 v19, 31, v19
	v_and_b32_e32 v45, v45, v48
	v_xor_b32_e32 v48, vcc_hi, v19
	v_xor_b32_e32 v19, vcc_lo, v19
	v_and_b32_e32 v21, v21, v19
	v_lshlrev_b32_e32 v19, 28, v20
	v_cmp_gt_i64_e32 vcc, 0, v[18:19]
	v_not_b32_e32 v19, v19
	v_ashrrev_i32_e32 v19, 31, v19
	v_and_b32_e32 v45, v45, v48
	;; [unrolled: 8-line block ×5, first 2 shown]
	v_xor_b32_e32 v48, vcc_hi, v19
	v_xor_b32_e32 v19, vcc_lo, v19
	v_and_b32_e32 v21, v21, v19
	v_lshlrev_b32_e32 v19, 24, v20
	v_cmp_gt_i64_e32 vcc, 0, v[18:19]
	v_not_b32_e32 v18, v19
	v_ashrrev_i32_e32 v18, 31, v18
	v_xor_b32_e32 v19, vcc_hi, v18
	v_xor_b32_e32 v18, vcc_lo, v18
	; wave barrier
	ds_read_b32 v33, v46 offset:64
	v_and_b32_e32 v45, v45, v48
	v_and_b32_e32 v18, v21, v18
	;; [unrolled: 1-line block ×3, first 2 shown]
	v_mbcnt_lo_u32_b32 v20, v18, 0
	v_mbcnt_hi_u32_b32 v45, v19, v20
	v_cmp_eq_u32_e32 vcc, 0, v45
	v_cmp_ne_u64_e64 s[2:3], 0, v[18:19]
	v_add_u32_e32 v47, 64, v23
	s_and_b64 s[4:5], s[2:3], vcc
	; wave barrier
	s_and_saveexec_b64 s[2:3], s[4:5]
	s_cbranch_execz .LBB877_83
; %bb.82:
	v_bcnt_u32_b32 v18, v18, 0
	v_bcnt_u32_b32 v18, v19, v18
	s_waitcnt lgkmcnt(0)
	v_add_u32_e32 v18, v33, v18
	ds_write_b32 v46, v18 offset:64
.LBB877_83:
	s_or_b64 exec, exec, s[2:3]
	; wave barrier
	s_waitcnt lgkmcnt(0)
	s_barrier
	ds_read2_b32 v[20:21], v23 offset0:16 offset1:17
	ds_read2_b32 v[18:19], v47 offset0:2 offset1:3
	ds_read_b32 v48, v47 offset:16
	v_cmp_lt_u32_e64 s[8:9], 31, v22
	s_waitcnt lgkmcnt(1)
	v_add3_u32 v49, v21, v20, v18
	s_waitcnt lgkmcnt(0)
	v_add3_u32 v48, v49, v19, v48
	v_and_b32_e32 v49, 15, v22
	v_cmp_eq_u32_e32 vcc, 0, v49
	v_mov_b32_dpp v50, v48 row_shr:1 row_mask:0xf bank_mask:0xf
	v_cndmask_b32_e64 v50, v50, 0, vcc
	v_add_u32_e32 v48, v50, v48
	v_cmp_lt_u32_e64 s[2:3], 1, v49
	v_cmp_lt_u32_e64 s[4:5], 3, v49
	v_mov_b32_dpp v50, v48 row_shr:2 row_mask:0xf bank_mask:0xf
	v_cndmask_b32_e64 v50, 0, v50, s[2:3]
	v_add_u32_e32 v48, v48, v50
	v_cmp_lt_u32_e64 s[6:7], 7, v49
	s_nop 0
	v_mov_b32_dpp v50, v48 row_shr:4 row_mask:0xf bank_mask:0xf
	v_cndmask_b32_e64 v50, 0, v50, s[4:5]
	v_add_u32_e32 v48, v48, v50
	s_nop 1
	v_mov_b32_dpp v50, v48 row_shr:8 row_mask:0xf bank_mask:0xf
	v_cndmask_b32_e64 v49, 0, v50, s[6:7]
	v_add_u32_e32 v48, v48, v49
	v_bfe_i32 v50, v22, 4, 1
	s_nop 0
	v_mov_b32_dpp v49, v48 row_bcast:15 row_mask:0xf bank_mask:0xf
	v_and_b32_e32 v49, v50, v49
	v_add_u32_e32 v48, v48, v49
	v_and_b32_e32 v50, 63, v2
	s_nop 0
	v_mov_b32_dpp v49, v48 row_bcast:31 row_mask:0xf bank_mask:0xf
	v_cndmask_b32_e64 v49, 0, v49, s[8:9]
	v_add_u32_e32 v48, v48, v49
	v_lshrrev_b32_e32 v49, 6, v2
	v_cmp_eq_u32_e64 s[8:9], 63, v50
	s_and_saveexec_b64 s[12:13], s[8:9]
	s_cbranch_execz .LBB877_85
; %bb.84:
	v_lshlrev_b32_e32 v50, 2, v49
	ds_write_b32 v50, v48
.LBB877_85:
	s_or_b64 exec, exec, s[12:13]
	v_cmp_gt_u32_e64 s[8:9], 16, v2
	s_waitcnt lgkmcnt(0)
	s_barrier
	s_and_saveexec_b64 s[12:13], s[8:9]
	s_cbranch_execz .LBB877_87
; %bb.86:
	v_lshlrev_b32_e32 v50, 2, v2
	ds_read_b32 v51, v50
	s_waitcnt lgkmcnt(0)
	s_nop 0
	v_mov_b32_dpp v52, v51 row_shr:1 row_mask:0xf bank_mask:0xf
	v_cndmask_b32_e64 v52, v52, 0, vcc
	v_add_u32_e32 v51, v52, v51
	s_nop 1
	v_mov_b32_dpp v52, v51 row_shr:2 row_mask:0xf bank_mask:0xf
	v_cndmask_b32_e64 v52, 0, v52, s[2:3]
	v_add_u32_e32 v51, v51, v52
	s_nop 1
	v_mov_b32_dpp v52, v51 row_shr:4 row_mask:0xf bank_mask:0xf
	v_cndmask_b32_e64 v52, 0, v52, s[4:5]
	;; [unrolled: 4-line block ×3, first 2 shown]
	v_add_u32_e32 v51, v51, v52
	ds_write_b32 v50, v51
.LBB877_87:
	s_or_b64 exec, exec, s[12:13]
	v_cmp_lt_u32_e32 vcc, 63, v2
	v_mov_b32_e32 v50, 0
	s_waitcnt lgkmcnt(0)
	s_barrier
	s_and_saveexec_b64 s[2:3], vcc
	s_cbranch_execz .LBB877_89
; %bb.88:
	v_lshl_add_u32 v49, v49, 2, -4
	ds_read_b32 v50, v49
.LBB877_89:
	s_or_b64 exec, exec, s[2:3]
	v_add_u32_e32 v49, -1, v22
	v_and_b32_e32 v51, 64, v22
	v_cmp_lt_i32_e32 vcc, v49, v51
	v_cndmask_b32_e32 v49, v49, v22, vcc
	s_waitcnt lgkmcnt(0)
	v_add_u32_e32 v48, v50, v48
	v_lshlrev_b32_e32 v49, 2, v49
	ds_bpermute_b32 v48, v49, v48
	v_cmp_eq_u32_e32 vcc, 0, v22
	s_waitcnt lgkmcnt(0)
	v_cndmask_b32_e32 v22, v48, v50, vcc
	v_cndmask_b32_e64 v22, v22, 0, s[0:1]
	v_add_u32_e32 v20, v22, v20
	v_add_u32_e32 v21, v20, v21
	;; [unrolled: 1-line block ×4, first 2 shown]
	ds_write2_b32 v23, v22, v20 offset0:16 offset1:17
	ds_write2_b32 v47, v21, v18 offset0:2 offset1:3
	ds_write_b32 v47, v19 offset:16
	s_waitcnt lgkmcnt(0)
	s_barrier
	ds_read_b32 v48, v26 offset:64
	ds_read_b32 v47, v29 offset:64
	;; [unrolled: 1-line block ×8, first 2 shown]
	s_movk_i32 s0, 0x100
	v_cmp_gt_u32_e32 vcc, s0, v2
                                        ; implicit-def: $vgpr26
                                        ; implicit-def: $vgpr29
	s_and_saveexec_b64 s[2:3], vcc
	s_cbranch_execz .LBB877_93
; %bb.90:
	v_mul_u32_u24_e32 v18, 17, v2
	v_lshlrev_b32_e32 v19, 2, v18
	ds_read_b32 v26, v19 offset:64
	s_movk_i32 s0, 0xff
	v_cmp_ne_u32_e64 s[0:1], s0, v2
	v_mov_b32_e32 v18, 0x2000
	s_and_saveexec_b64 s[4:5], s[0:1]
	s_cbranch_execz .LBB877_92
; %bb.91:
	ds_read_b32 v18, v19 offset:132
.LBB877_92:
	s_or_b64 exec, exec, s[4:5]
	s_waitcnt lgkmcnt(0)
	v_sub_u32_e32 v29, v18, v26
.LBB877_93:
	s_or_b64 exec, exec, s[2:3]
	s_waitcnt lgkmcnt(0)
	s_barrier
	s_and_saveexec_b64 s[2:3], vcc
	s_cbranch_execz .LBB877_103
; %bb.94:
	v_lshl_or_b32 v18, s28, 8, v2
	v_mov_b32_e32 v19, 0
	v_lshlrev_b64 v[20:21], 2, v[18:19]
	v_mov_b32_e32 v49, s15
	v_add_co_u32_e64 v20, s[0:1], s14, v20
	v_addc_co_u32_e64 v21, s[0:1], v49, v21, s[0:1]
	v_or_b32_e32 v18, 2.0, v29
	s_mov_b64 s[4:5], 0
	s_brev_b32 s12, 1
	s_mov_b32 s13, s28
	v_mov_b32_e32 v50, 0
	global_store_dword v[20:21], v18, off
                                        ; implicit-def: $sgpr0_sgpr1
	s_branch .LBB877_97
.LBB877_95:                             ;   in Loop: Header=BB877_97 Depth=1
	s_or_b64 exec, exec, s[8:9]
.LBB877_96:                             ;   in Loop: Header=BB877_97 Depth=1
	s_or_b64 exec, exec, s[6:7]
	v_and_b32_e32 v22, 0x3fffffff, v51
	v_add_u32_e32 v50, v22, v50
	v_cmp_eq_u32_e64 s[0:1], s12, v18
	s_and_b64 s[6:7], exec, s[0:1]
	s_or_b64 s[4:5], s[6:7], s[4:5]
	s_andn2_b64 exec, exec, s[4:5]
	s_cbranch_execz .LBB877_102
.LBB877_97:                             ; =>This Loop Header: Depth=1
                                        ;     Child Loop BB877_100 Depth 2
	s_or_b64 s[0:1], s[0:1], exec
	s_cmp_eq_u32 s13, 0
	s_cbranch_scc1 .LBB877_101
; %bb.98:                               ;   in Loop: Header=BB877_97 Depth=1
	s_add_i32 s13, s13, -1
	v_lshl_or_b32 v18, s13, 8, v2
	v_lshlrev_b64 v[22:23], 2, v[18:19]
	v_add_co_u32_e64 v22, s[0:1], s14, v22
	v_addc_co_u32_e64 v23, s[0:1], v49, v23, s[0:1]
	global_load_dword v51, v[22:23], off glc
	s_waitcnt vmcnt(0)
	v_and_b32_e32 v18, -2.0, v51
	v_cmp_eq_u32_e64 s[0:1], 0, v18
	s_and_saveexec_b64 s[6:7], s[0:1]
	s_cbranch_execz .LBB877_96
; %bb.99:                               ;   in Loop: Header=BB877_97 Depth=1
	s_mov_b64 s[8:9], 0
.LBB877_100:                            ;   Parent Loop BB877_97 Depth=1
                                        ; =>  This Inner Loop Header: Depth=2
	global_load_dword v51, v[22:23], off glc
	s_waitcnt vmcnt(0)
	v_and_b32_e32 v18, -2.0, v51
	v_cmp_ne_u32_e64 s[0:1], 0, v18
	s_or_b64 s[8:9], s[0:1], s[8:9]
	s_andn2_b64 exec, exec, s[8:9]
	s_cbranch_execnz .LBB877_100
	s_branch .LBB877_95
.LBB877_101:                            ;   in Loop: Header=BB877_97 Depth=1
                                        ; implicit-def: $sgpr13
	s_and_b64 s[6:7], exec, s[0:1]
	s_or_b64 s[4:5], s[6:7], s[4:5]
	s_andn2_b64 exec, exec, s[4:5]
	s_cbranch_execnz .LBB877_97
.LBB877_102:
	s_or_b64 exec, exec, s[4:5]
	v_add_u32_e32 v18, v50, v29
	v_or_b32_e32 v18, 0x80000000, v18
	global_store_dword v[20:21], v18, off
	v_lshlrev_b32_e32 v18, 2, v2
	global_load_dword v19, v18, s[16:17]
	v_sub_u32_e32 v20, v50, v26
	s_waitcnt vmcnt(0)
	v_add_u32_e32 v19, v20, v19
	ds_write_b32 v18, v19
.LBB877_103:
	s_or_b64 exec, exec, s[2:3]
	v_add_u32_e32 v20, v48, v24
	s_movk_i32 s2, 0x400
	v_add_u32_e32 v21, 0x400, v3
	v_add3_u32 v22, v45, v46, v33
	v_add3_u32 v23, v43, v44, v41
	;; [unrolled: 1-line block ×7, first 2 shown]
	s_mov_b32 s3, 0
	v_mov_b32_e32 v27, s27
	v_mov_b32_e32 v19, 0
	;; [unrolled: 1-line block ×3, first 2 shown]
.LBB877_104:                            ; =>This Inner Loop Header: Depth=1
	v_add_u32_e32 v18, s3, v20
	v_add_u32_e32 v34, s3, v28
	;; [unrolled: 1-line block ×8, first 2 shown]
	v_min_u32_e32 v18, 0x800, v18
	v_min_u32_e32 v34, 0x800, v34
	;; [unrolled: 1-line block ×8, first 2 shown]
	v_lshlrev_b32_e32 v18, 3, v18
	v_lshlrev_b32_e32 v34, 3, v34
	;; [unrolled: 1-line block ×8, first 2 shown]
	ds_write_b64 v18, v[4:5] offset:1024
	ds_write_b64 v32, v[0:1] offset:1024
	;; [unrolled: 1-line block ×8, first 2 shown]
	s_waitcnt lgkmcnt(0)
	s_barrier
	ds_read_b64 v[34:35], v3 offset:1024
	s_addk_i32 s3, 0xf800
	s_cmpk_lg_i32 s3, 0xe000
	s_waitcnt lgkmcnt(0)
	v_lshrrev_b64 v[36:37], s20, v[34:35]
	v_and_b32_e32 v18, s21, v36
	v_lshlrev_b32_e32 v18, 2, v18
	ds_read_b32 v18, v18
	ds_read_b64 v[36:37], v21 offset:8192
	s_waitcnt lgkmcnt(1)
	v_add_u32_e32 v18, v30, v18
	s_waitcnt lgkmcnt(0)
	v_lshrrev_b64 v[38:39], s20, v[36:37]
	v_lshlrev_b64 v[40:41], 3, v[18:19]
	v_and_b32_e32 v18, s21, v38
	v_lshlrev_b32_e32 v18, 2, v18
	ds_read_b32 v18, v18
	v_add_co_u32_e64 v38, s[0:1], s26, v40
	v_addc_co_u32_e64 v39, s[0:1], v27, v41, s[0:1]
	s_waitcnt lgkmcnt(0)
	v_add3_u32 v18, v30, v18, s2
	global_store_dwordx2 v[38:39], v[34:35], off
	v_lshlrev_b64 v[34:35], 3, v[18:19]
	v_add_co_u32_e64 v34, s[0:1], s26, v34
	v_add_u32_e32 v30, 0x800, v30
	v_addc_co_u32_e64 v35, s[0:1], v27, v35, s[0:1]
	global_store_dwordx2 v[34:35], v[36:37], off
	s_barrier
	s_cbranch_scc1 .LBB877_104
; %bb.105:
	s_add_i32 s22, s22, -1
	s_cmp_eq_u32 s22, s28
	s_cselect_b64 s[0:1], -1, 0
	s_and_b64 s[2:3], vcc, s[0:1]
                                        ; implicit-def: $vgpr4
	s_and_saveexec_b64 s[0:1], s[2:3]
; %bb.106:
	v_add_u32_e32 v4, v26, v29
	s_or_b64 s[10:11], s[10:11], exec
; %bb.107:
	s_or_b64 exec, exec, s[0:1]
.LBB877_108:
	s_and_saveexec_b64 s[0:1], s[10:11]
	s_cbranch_execnz .LBB877_110
; %bb.109:
	s_endpgm
.LBB877_110:
	v_lshlrev_b32_e32 v0, 2, v2
	ds_read_b32 v1, v0
	s_waitcnt lgkmcnt(0)
	v_add_u32_e32 v1, v1, v4
	global_store_dword v0, v1, s[18:19]
	s_endpgm
	.section	.rodata,"a",@progbits
	.p2align	6, 0x0
	.amdhsa_kernel _ZN7rocprim17ROCPRIM_400000_NS6detail17trampoline_kernelINS0_14default_configENS1_35radix_sort_onesweep_config_selectorIyNS0_10empty_typeEEEZZNS1_29radix_sort_onesweep_iterationIS3_Lb0EN6thrust23THRUST_200600_302600_NS6detail15normal_iteratorINS9_10device_ptrIyEEEESE_PS5_SF_jNS0_19identity_decomposerENS1_16block_id_wrapperIjLb1EEEEE10hipError_tT1_PNSt15iterator_traitsISK_E10value_typeET2_T3_PNSL_ISQ_E10value_typeET4_T5_PSV_SW_PNS1_23onesweep_lookback_stateEbbT6_jjT7_P12ihipStream_tbENKUlT_T0_SK_SP_E_clISE_PySF_SF_EEDaS13_S14_SK_SP_EUlS13_E_NS1_11comp_targetILNS1_3genE4ELNS1_11target_archE910ELNS1_3gpuE8ELNS1_3repE0EEENS1_47radix_sort_onesweep_sort_config_static_selectorELNS0_4arch9wavefront6targetE1EEEvSK_
		.amdhsa_group_segment_fixed_size 20552
		.amdhsa_private_segment_fixed_size 0
		.amdhsa_kernarg_size 344
		.amdhsa_user_sgpr_count 6
		.amdhsa_user_sgpr_private_segment_buffer 1
		.amdhsa_user_sgpr_dispatch_ptr 0
		.amdhsa_user_sgpr_queue_ptr 0
		.amdhsa_user_sgpr_kernarg_segment_ptr 1
		.amdhsa_user_sgpr_dispatch_id 0
		.amdhsa_user_sgpr_flat_scratch_init 0
		.amdhsa_user_sgpr_kernarg_preload_length 0
		.amdhsa_user_sgpr_kernarg_preload_offset 0
		.amdhsa_user_sgpr_private_segment_size 0
		.amdhsa_uses_dynamic_stack 0
		.amdhsa_system_sgpr_private_segment_wavefront_offset 0
		.amdhsa_system_sgpr_workgroup_id_x 1
		.amdhsa_system_sgpr_workgroup_id_y 0
		.amdhsa_system_sgpr_workgroup_id_z 0
		.amdhsa_system_sgpr_workgroup_info 0
		.amdhsa_system_vgpr_workitem_id 2
		.amdhsa_next_free_vgpr 55
		.amdhsa_next_free_sgpr 34
		.amdhsa_accum_offset 56
		.amdhsa_reserve_vcc 1
		.amdhsa_reserve_flat_scratch 0
		.amdhsa_float_round_mode_32 0
		.amdhsa_float_round_mode_16_64 0
		.amdhsa_float_denorm_mode_32 3
		.amdhsa_float_denorm_mode_16_64 3
		.amdhsa_dx10_clamp 1
		.amdhsa_ieee_mode 1
		.amdhsa_fp16_overflow 0
		.amdhsa_tg_split 0
		.amdhsa_exception_fp_ieee_invalid_op 0
		.amdhsa_exception_fp_denorm_src 0
		.amdhsa_exception_fp_ieee_div_zero 0
		.amdhsa_exception_fp_ieee_overflow 0
		.amdhsa_exception_fp_ieee_underflow 0
		.amdhsa_exception_fp_ieee_inexact 0
		.amdhsa_exception_int_div_zero 0
	.end_amdhsa_kernel
	.section	.text._ZN7rocprim17ROCPRIM_400000_NS6detail17trampoline_kernelINS0_14default_configENS1_35radix_sort_onesweep_config_selectorIyNS0_10empty_typeEEEZZNS1_29radix_sort_onesweep_iterationIS3_Lb0EN6thrust23THRUST_200600_302600_NS6detail15normal_iteratorINS9_10device_ptrIyEEEESE_PS5_SF_jNS0_19identity_decomposerENS1_16block_id_wrapperIjLb1EEEEE10hipError_tT1_PNSt15iterator_traitsISK_E10value_typeET2_T3_PNSL_ISQ_E10value_typeET4_T5_PSV_SW_PNS1_23onesweep_lookback_stateEbbT6_jjT7_P12ihipStream_tbENKUlT_T0_SK_SP_E_clISE_PySF_SF_EEDaS13_S14_SK_SP_EUlS13_E_NS1_11comp_targetILNS1_3genE4ELNS1_11target_archE910ELNS1_3gpuE8ELNS1_3repE0EEENS1_47radix_sort_onesweep_sort_config_static_selectorELNS0_4arch9wavefront6targetE1EEEvSK_,"axG",@progbits,_ZN7rocprim17ROCPRIM_400000_NS6detail17trampoline_kernelINS0_14default_configENS1_35radix_sort_onesweep_config_selectorIyNS0_10empty_typeEEEZZNS1_29radix_sort_onesweep_iterationIS3_Lb0EN6thrust23THRUST_200600_302600_NS6detail15normal_iteratorINS9_10device_ptrIyEEEESE_PS5_SF_jNS0_19identity_decomposerENS1_16block_id_wrapperIjLb1EEEEE10hipError_tT1_PNSt15iterator_traitsISK_E10value_typeET2_T3_PNSL_ISQ_E10value_typeET4_T5_PSV_SW_PNS1_23onesweep_lookback_stateEbbT6_jjT7_P12ihipStream_tbENKUlT_T0_SK_SP_E_clISE_PySF_SF_EEDaS13_S14_SK_SP_EUlS13_E_NS1_11comp_targetILNS1_3genE4ELNS1_11target_archE910ELNS1_3gpuE8ELNS1_3repE0EEENS1_47radix_sort_onesweep_sort_config_static_selectorELNS0_4arch9wavefront6targetE1EEEvSK_,comdat
.Lfunc_end877:
	.size	_ZN7rocprim17ROCPRIM_400000_NS6detail17trampoline_kernelINS0_14default_configENS1_35radix_sort_onesweep_config_selectorIyNS0_10empty_typeEEEZZNS1_29radix_sort_onesweep_iterationIS3_Lb0EN6thrust23THRUST_200600_302600_NS6detail15normal_iteratorINS9_10device_ptrIyEEEESE_PS5_SF_jNS0_19identity_decomposerENS1_16block_id_wrapperIjLb1EEEEE10hipError_tT1_PNSt15iterator_traitsISK_E10value_typeET2_T3_PNSL_ISQ_E10value_typeET4_T5_PSV_SW_PNS1_23onesweep_lookback_stateEbbT6_jjT7_P12ihipStream_tbENKUlT_T0_SK_SP_E_clISE_PySF_SF_EEDaS13_S14_SK_SP_EUlS13_E_NS1_11comp_targetILNS1_3genE4ELNS1_11target_archE910ELNS1_3gpuE8ELNS1_3repE0EEENS1_47radix_sort_onesweep_sort_config_static_selectorELNS0_4arch9wavefront6targetE1EEEvSK_, .Lfunc_end877-_ZN7rocprim17ROCPRIM_400000_NS6detail17trampoline_kernelINS0_14default_configENS1_35radix_sort_onesweep_config_selectorIyNS0_10empty_typeEEEZZNS1_29radix_sort_onesweep_iterationIS3_Lb0EN6thrust23THRUST_200600_302600_NS6detail15normal_iteratorINS9_10device_ptrIyEEEESE_PS5_SF_jNS0_19identity_decomposerENS1_16block_id_wrapperIjLb1EEEEE10hipError_tT1_PNSt15iterator_traitsISK_E10value_typeET2_T3_PNSL_ISQ_E10value_typeET4_T5_PSV_SW_PNS1_23onesweep_lookback_stateEbbT6_jjT7_P12ihipStream_tbENKUlT_T0_SK_SP_E_clISE_PySF_SF_EEDaS13_S14_SK_SP_EUlS13_E_NS1_11comp_targetILNS1_3genE4ELNS1_11target_archE910ELNS1_3gpuE8ELNS1_3repE0EEENS1_47radix_sort_onesweep_sort_config_static_selectorELNS0_4arch9wavefront6targetE1EEEvSK_
                                        ; -- End function
	.section	.AMDGPU.csdata,"",@progbits
; Kernel info:
; codeLenInByte = 10296
; NumSgprs: 38
; NumVgprs: 55
; NumAgprs: 0
; TotalNumVgprs: 55
; ScratchSize: 0
; MemoryBound: 0
; FloatMode: 240
; IeeeMode: 1
; LDSByteSize: 20552 bytes/workgroup (compile time only)
; SGPRBlocks: 4
; VGPRBlocks: 6
; NumSGPRsForWavesPerEU: 38
; NumVGPRsForWavesPerEU: 55
; AccumOffset: 56
; Occupancy: 8
; WaveLimiterHint : 1
; COMPUTE_PGM_RSRC2:SCRATCH_EN: 0
; COMPUTE_PGM_RSRC2:USER_SGPR: 6
; COMPUTE_PGM_RSRC2:TRAP_HANDLER: 0
; COMPUTE_PGM_RSRC2:TGID_X_EN: 1
; COMPUTE_PGM_RSRC2:TGID_Y_EN: 0
; COMPUTE_PGM_RSRC2:TGID_Z_EN: 0
; COMPUTE_PGM_RSRC2:TIDIG_COMP_CNT: 2
; COMPUTE_PGM_RSRC3_GFX90A:ACCUM_OFFSET: 13
; COMPUTE_PGM_RSRC3_GFX90A:TG_SPLIT: 0
	.section	.text._ZN7rocprim17ROCPRIM_400000_NS6detail17trampoline_kernelINS0_14default_configENS1_35radix_sort_onesweep_config_selectorIyNS0_10empty_typeEEEZZNS1_29radix_sort_onesweep_iterationIS3_Lb0EN6thrust23THRUST_200600_302600_NS6detail15normal_iteratorINS9_10device_ptrIyEEEESE_PS5_SF_jNS0_19identity_decomposerENS1_16block_id_wrapperIjLb1EEEEE10hipError_tT1_PNSt15iterator_traitsISK_E10value_typeET2_T3_PNSL_ISQ_E10value_typeET4_T5_PSV_SW_PNS1_23onesweep_lookback_stateEbbT6_jjT7_P12ihipStream_tbENKUlT_T0_SK_SP_E_clISE_PySF_SF_EEDaS13_S14_SK_SP_EUlS13_E_NS1_11comp_targetILNS1_3genE3ELNS1_11target_archE908ELNS1_3gpuE7ELNS1_3repE0EEENS1_47radix_sort_onesweep_sort_config_static_selectorELNS0_4arch9wavefront6targetE1EEEvSK_,"axG",@progbits,_ZN7rocprim17ROCPRIM_400000_NS6detail17trampoline_kernelINS0_14default_configENS1_35radix_sort_onesweep_config_selectorIyNS0_10empty_typeEEEZZNS1_29radix_sort_onesweep_iterationIS3_Lb0EN6thrust23THRUST_200600_302600_NS6detail15normal_iteratorINS9_10device_ptrIyEEEESE_PS5_SF_jNS0_19identity_decomposerENS1_16block_id_wrapperIjLb1EEEEE10hipError_tT1_PNSt15iterator_traitsISK_E10value_typeET2_T3_PNSL_ISQ_E10value_typeET4_T5_PSV_SW_PNS1_23onesweep_lookback_stateEbbT6_jjT7_P12ihipStream_tbENKUlT_T0_SK_SP_E_clISE_PySF_SF_EEDaS13_S14_SK_SP_EUlS13_E_NS1_11comp_targetILNS1_3genE3ELNS1_11target_archE908ELNS1_3gpuE7ELNS1_3repE0EEENS1_47radix_sort_onesweep_sort_config_static_selectorELNS0_4arch9wavefront6targetE1EEEvSK_,comdat
	.protected	_ZN7rocprim17ROCPRIM_400000_NS6detail17trampoline_kernelINS0_14default_configENS1_35radix_sort_onesweep_config_selectorIyNS0_10empty_typeEEEZZNS1_29radix_sort_onesweep_iterationIS3_Lb0EN6thrust23THRUST_200600_302600_NS6detail15normal_iteratorINS9_10device_ptrIyEEEESE_PS5_SF_jNS0_19identity_decomposerENS1_16block_id_wrapperIjLb1EEEEE10hipError_tT1_PNSt15iterator_traitsISK_E10value_typeET2_T3_PNSL_ISQ_E10value_typeET4_T5_PSV_SW_PNS1_23onesweep_lookback_stateEbbT6_jjT7_P12ihipStream_tbENKUlT_T0_SK_SP_E_clISE_PySF_SF_EEDaS13_S14_SK_SP_EUlS13_E_NS1_11comp_targetILNS1_3genE3ELNS1_11target_archE908ELNS1_3gpuE7ELNS1_3repE0EEENS1_47radix_sort_onesweep_sort_config_static_selectorELNS0_4arch9wavefront6targetE1EEEvSK_ ; -- Begin function _ZN7rocprim17ROCPRIM_400000_NS6detail17trampoline_kernelINS0_14default_configENS1_35radix_sort_onesweep_config_selectorIyNS0_10empty_typeEEEZZNS1_29radix_sort_onesweep_iterationIS3_Lb0EN6thrust23THRUST_200600_302600_NS6detail15normal_iteratorINS9_10device_ptrIyEEEESE_PS5_SF_jNS0_19identity_decomposerENS1_16block_id_wrapperIjLb1EEEEE10hipError_tT1_PNSt15iterator_traitsISK_E10value_typeET2_T3_PNSL_ISQ_E10value_typeET4_T5_PSV_SW_PNS1_23onesweep_lookback_stateEbbT6_jjT7_P12ihipStream_tbENKUlT_T0_SK_SP_E_clISE_PySF_SF_EEDaS13_S14_SK_SP_EUlS13_E_NS1_11comp_targetILNS1_3genE3ELNS1_11target_archE908ELNS1_3gpuE7ELNS1_3repE0EEENS1_47radix_sort_onesweep_sort_config_static_selectorELNS0_4arch9wavefront6targetE1EEEvSK_
	.globl	_ZN7rocprim17ROCPRIM_400000_NS6detail17trampoline_kernelINS0_14default_configENS1_35radix_sort_onesweep_config_selectorIyNS0_10empty_typeEEEZZNS1_29radix_sort_onesweep_iterationIS3_Lb0EN6thrust23THRUST_200600_302600_NS6detail15normal_iteratorINS9_10device_ptrIyEEEESE_PS5_SF_jNS0_19identity_decomposerENS1_16block_id_wrapperIjLb1EEEEE10hipError_tT1_PNSt15iterator_traitsISK_E10value_typeET2_T3_PNSL_ISQ_E10value_typeET4_T5_PSV_SW_PNS1_23onesweep_lookback_stateEbbT6_jjT7_P12ihipStream_tbENKUlT_T0_SK_SP_E_clISE_PySF_SF_EEDaS13_S14_SK_SP_EUlS13_E_NS1_11comp_targetILNS1_3genE3ELNS1_11target_archE908ELNS1_3gpuE7ELNS1_3repE0EEENS1_47radix_sort_onesweep_sort_config_static_selectorELNS0_4arch9wavefront6targetE1EEEvSK_
	.p2align	8
	.type	_ZN7rocprim17ROCPRIM_400000_NS6detail17trampoline_kernelINS0_14default_configENS1_35radix_sort_onesweep_config_selectorIyNS0_10empty_typeEEEZZNS1_29radix_sort_onesweep_iterationIS3_Lb0EN6thrust23THRUST_200600_302600_NS6detail15normal_iteratorINS9_10device_ptrIyEEEESE_PS5_SF_jNS0_19identity_decomposerENS1_16block_id_wrapperIjLb1EEEEE10hipError_tT1_PNSt15iterator_traitsISK_E10value_typeET2_T3_PNSL_ISQ_E10value_typeET4_T5_PSV_SW_PNS1_23onesweep_lookback_stateEbbT6_jjT7_P12ihipStream_tbENKUlT_T0_SK_SP_E_clISE_PySF_SF_EEDaS13_S14_SK_SP_EUlS13_E_NS1_11comp_targetILNS1_3genE3ELNS1_11target_archE908ELNS1_3gpuE7ELNS1_3repE0EEENS1_47radix_sort_onesweep_sort_config_static_selectorELNS0_4arch9wavefront6targetE1EEEvSK_,@function
_ZN7rocprim17ROCPRIM_400000_NS6detail17trampoline_kernelINS0_14default_configENS1_35radix_sort_onesweep_config_selectorIyNS0_10empty_typeEEEZZNS1_29radix_sort_onesweep_iterationIS3_Lb0EN6thrust23THRUST_200600_302600_NS6detail15normal_iteratorINS9_10device_ptrIyEEEESE_PS5_SF_jNS0_19identity_decomposerENS1_16block_id_wrapperIjLb1EEEEE10hipError_tT1_PNSt15iterator_traitsISK_E10value_typeET2_T3_PNSL_ISQ_E10value_typeET4_T5_PSV_SW_PNS1_23onesweep_lookback_stateEbbT6_jjT7_P12ihipStream_tbENKUlT_T0_SK_SP_E_clISE_PySF_SF_EEDaS13_S14_SK_SP_EUlS13_E_NS1_11comp_targetILNS1_3genE3ELNS1_11target_archE908ELNS1_3gpuE7ELNS1_3repE0EEENS1_47radix_sort_onesweep_sort_config_static_selectorELNS0_4arch9wavefront6targetE1EEEvSK_: ; @_ZN7rocprim17ROCPRIM_400000_NS6detail17trampoline_kernelINS0_14default_configENS1_35radix_sort_onesweep_config_selectorIyNS0_10empty_typeEEEZZNS1_29radix_sort_onesweep_iterationIS3_Lb0EN6thrust23THRUST_200600_302600_NS6detail15normal_iteratorINS9_10device_ptrIyEEEESE_PS5_SF_jNS0_19identity_decomposerENS1_16block_id_wrapperIjLb1EEEEE10hipError_tT1_PNSt15iterator_traitsISK_E10value_typeET2_T3_PNSL_ISQ_E10value_typeET4_T5_PSV_SW_PNS1_23onesweep_lookback_stateEbbT6_jjT7_P12ihipStream_tbENKUlT_T0_SK_SP_E_clISE_PySF_SF_EEDaS13_S14_SK_SP_EUlS13_E_NS1_11comp_targetILNS1_3genE3ELNS1_11target_archE908ELNS1_3gpuE7ELNS1_3repE0EEENS1_47radix_sort_onesweep_sort_config_static_selectorELNS0_4arch9wavefront6targetE1EEEvSK_
; %bb.0:
	.section	.rodata,"a",@progbits
	.p2align	6, 0x0
	.amdhsa_kernel _ZN7rocprim17ROCPRIM_400000_NS6detail17trampoline_kernelINS0_14default_configENS1_35radix_sort_onesweep_config_selectorIyNS0_10empty_typeEEEZZNS1_29radix_sort_onesweep_iterationIS3_Lb0EN6thrust23THRUST_200600_302600_NS6detail15normal_iteratorINS9_10device_ptrIyEEEESE_PS5_SF_jNS0_19identity_decomposerENS1_16block_id_wrapperIjLb1EEEEE10hipError_tT1_PNSt15iterator_traitsISK_E10value_typeET2_T3_PNSL_ISQ_E10value_typeET4_T5_PSV_SW_PNS1_23onesweep_lookback_stateEbbT6_jjT7_P12ihipStream_tbENKUlT_T0_SK_SP_E_clISE_PySF_SF_EEDaS13_S14_SK_SP_EUlS13_E_NS1_11comp_targetILNS1_3genE3ELNS1_11target_archE908ELNS1_3gpuE7ELNS1_3repE0EEENS1_47radix_sort_onesweep_sort_config_static_selectorELNS0_4arch9wavefront6targetE1EEEvSK_
		.amdhsa_group_segment_fixed_size 0
		.amdhsa_private_segment_fixed_size 0
		.amdhsa_kernarg_size 88
		.amdhsa_user_sgpr_count 6
		.amdhsa_user_sgpr_private_segment_buffer 1
		.amdhsa_user_sgpr_dispatch_ptr 0
		.amdhsa_user_sgpr_queue_ptr 0
		.amdhsa_user_sgpr_kernarg_segment_ptr 1
		.amdhsa_user_sgpr_dispatch_id 0
		.amdhsa_user_sgpr_flat_scratch_init 0
		.amdhsa_user_sgpr_kernarg_preload_length 0
		.amdhsa_user_sgpr_kernarg_preload_offset 0
		.amdhsa_user_sgpr_private_segment_size 0
		.amdhsa_uses_dynamic_stack 0
		.amdhsa_system_sgpr_private_segment_wavefront_offset 0
		.amdhsa_system_sgpr_workgroup_id_x 1
		.amdhsa_system_sgpr_workgroup_id_y 0
		.amdhsa_system_sgpr_workgroup_id_z 0
		.amdhsa_system_sgpr_workgroup_info 0
		.amdhsa_system_vgpr_workitem_id 0
		.amdhsa_next_free_vgpr 1
		.amdhsa_next_free_sgpr 0
		.amdhsa_accum_offset 4
		.amdhsa_reserve_vcc 0
		.amdhsa_reserve_flat_scratch 0
		.amdhsa_float_round_mode_32 0
		.amdhsa_float_round_mode_16_64 0
		.amdhsa_float_denorm_mode_32 3
		.amdhsa_float_denorm_mode_16_64 3
		.amdhsa_dx10_clamp 1
		.amdhsa_ieee_mode 1
		.amdhsa_fp16_overflow 0
		.amdhsa_tg_split 0
		.amdhsa_exception_fp_ieee_invalid_op 0
		.amdhsa_exception_fp_denorm_src 0
		.amdhsa_exception_fp_ieee_div_zero 0
		.amdhsa_exception_fp_ieee_overflow 0
		.amdhsa_exception_fp_ieee_underflow 0
		.amdhsa_exception_fp_ieee_inexact 0
		.amdhsa_exception_int_div_zero 0
	.end_amdhsa_kernel
	.section	.text._ZN7rocprim17ROCPRIM_400000_NS6detail17trampoline_kernelINS0_14default_configENS1_35radix_sort_onesweep_config_selectorIyNS0_10empty_typeEEEZZNS1_29radix_sort_onesweep_iterationIS3_Lb0EN6thrust23THRUST_200600_302600_NS6detail15normal_iteratorINS9_10device_ptrIyEEEESE_PS5_SF_jNS0_19identity_decomposerENS1_16block_id_wrapperIjLb1EEEEE10hipError_tT1_PNSt15iterator_traitsISK_E10value_typeET2_T3_PNSL_ISQ_E10value_typeET4_T5_PSV_SW_PNS1_23onesweep_lookback_stateEbbT6_jjT7_P12ihipStream_tbENKUlT_T0_SK_SP_E_clISE_PySF_SF_EEDaS13_S14_SK_SP_EUlS13_E_NS1_11comp_targetILNS1_3genE3ELNS1_11target_archE908ELNS1_3gpuE7ELNS1_3repE0EEENS1_47radix_sort_onesweep_sort_config_static_selectorELNS0_4arch9wavefront6targetE1EEEvSK_,"axG",@progbits,_ZN7rocprim17ROCPRIM_400000_NS6detail17trampoline_kernelINS0_14default_configENS1_35radix_sort_onesweep_config_selectorIyNS0_10empty_typeEEEZZNS1_29radix_sort_onesweep_iterationIS3_Lb0EN6thrust23THRUST_200600_302600_NS6detail15normal_iteratorINS9_10device_ptrIyEEEESE_PS5_SF_jNS0_19identity_decomposerENS1_16block_id_wrapperIjLb1EEEEE10hipError_tT1_PNSt15iterator_traitsISK_E10value_typeET2_T3_PNSL_ISQ_E10value_typeET4_T5_PSV_SW_PNS1_23onesweep_lookback_stateEbbT6_jjT7_P12ihipStream_tbENKUlT_T0_SK_SP_E_clISE_PySF_SF_EEDaS13_S14_SK_SP_EUlS13_E_NS1_11comp_targetILNS1_3genE3ELNS1_11target_archE908ELNS1_3gpuE7ELNS1_3repE0EEENS1_47radix_sort_onesweep_sort_config_static_selectorELNS0_4arch9wavefront6targetE1EEEvSK_,comdat
.Lfunc_end878:
	.size	_ZN7rocprim17ROCPRIM_400000_NS6detail17trampoline_kernelINS0_14default_configENS1_35radix_sort_onesweep_config_selectorIyNS0_10empty_typeEEEZZNS1_29radix_sort_onesweep_iterationIS3_Lb0EN6thrust23THRUST_200600_302600_NS6detail15normal_iteratorINS9_10device_ptrIyEEEESE_PS5_SF_jNS0_19identity_decomposerENS1_16block_id_wrapperIjLb1EEEEE10hipError_tT1_PNSt15iterator_traitsISK_E10value_typeET2_T3_PNSL_ISQ_E10value_typeET4_T5_PSV_SW_PNS1_23onesweep_lookback_stateEbbT6_jjT7_P12ihipStream_tbENKUlT_T0_SK_SP_E_clISE_PySF_SF_EEDaS13_S14_SK_SP_EUlS13_E_NS1_11comp_targetILNS1_3genE3ELNS1_11target_archE908ELNS1_3gpuE7ELNS1_3repE0EEENS1_47radix_sort_onesweep_sort_config_static_selectorELNS0_4arch9wavefront6targetE1EEEvSK_, .Lfunc_end878-_ZN7rocprim17ROCPRIM_400000_NS6detail17trampoline_kernelINS0_14default_configENS1_35radix_sort_onesweep_config_selectorIyNS0_10empty_typeEEEZZNS1_29radix_sort_onesweep_iterationIS3_Lb0EN6thrust23THRUST_200600_302600_NS6detail15normal_iteratorINS9_10device_ptrIyEEEESE_PS5_SF_jNS0_19identity_decomposerENS1_16block_id_wrapperIjLb1EEEEE10hipError_tT1_PNSt15iterator_traitsISK_E10value_typeET2_T3_PNSL_ISQ_E10value_typeET4_T5_PSV_SW_PNS1_23onesweep_lookback_stateEbbT6_jjT7_P12ihipStream_tbENKUlT_T0_SK_SP_E_clISE_PySF_SF_EEDaS13_S14_SK_SP_EUlS13_E_NS1_11comp_targetILNS1_3genE3ELNS1_11target_archE908ELNS1_3gpuE7ELNS1_3repE0EEENS1_47radix_sort_onesweep_sort_config_static_selectorELNS0_4arch9wavefront6targetE1EEEvSK_
                                        ; -- End function
	.section	.AMDGPU.csdata,"",@progbits
; Kernel info:
; codeLenInByte = 0
; NumSgprs: 4
; NumVgprs: 0
; NumAgprs: 0
; TotalNumVgprs: 0
; ScratchSize: 0
; MemoryBound: 0
; FloatMode: 240
; IeeeMode: 1
; LDSByteSize: 0 bytes/workgroup (compile time only)
; SGPRBlocks: 0
; VGPRBlocks: 0
; NumSGPRsForWavesPerEU: 4
; NumVGPRsForWavesPerEU: 1
; AccumOffset: 4
; Occupancy: 8
; WaveLimiterHint : 0
; COMPUTE_PGM_RSRC2:SCRATCH_EN: 0
; COMPUTE_PGM_RSRC2:USER_SGPR: 6
; COMPUTE_PGM_RSRC2:TRAP_HANDLER: 0
; COMPUTE_PGM_RSRC2:TGID_X_EN: 1
; COMPUTE_PGM_RSRC2:TGID_Y_EN: 0
; COMPUTE_PGM_RSRC2:TGID_Z_EN: 0
; COMPUTE_PGM_RSRC2:TIDIG_COMP_CNT: 0
; COMPUTE_PGM_RSRC3_GFX90A:ACCUM_OFFSET: 0
; COMPUTE_PGM_RSRC3_GFX90A:TG_SPLIT: 0
	.section	.text._ZN7rocprim17ROCPRIM_400000_NS6detail17trampoline_kernelINS0_14default_configENS1_35radix_sort_onesweep_config_selectorIyNS0_10empty_typeEEEZZNS1_29radix_sort_onesweep_iterationIS3_Lb0EN6thrust23THRUST_200600_302600_NS6detail15normal_iteratorINS9_10device_ptrIyEEEESE_PS5_SF_jNS0_19identity_decomposerENS1_16block_id_wrapperIjLb1EEEEE10hipError_tT1_PNSt15iterator_traitsISK_E10value_typeET2_T3_PNSL_ISQ_E10value_typeET4_T5_PSV_SW_PNS1_23onesweep_lookback_stateEbbT6_jjT7_P12ihipStream_tbENKUlT_T0_SK_SP_E_clISE_PySF_SF_EEDaS13_S14_SK_SP_EUlS13_E_NS1_11comp_targetILNS1_3genE10ELNS1_11target_archE1201ELNS1_3gpuE5ELNS1_3repE0EEENS1_47radix_sort_onesweep_sort_config_static_selectorELNS0_4arch9wavefront6targetE1EEEvSK_,"axG",@progbits,_ZN7rocprim17ROCPRIM_400000_NS6detail17trampoline_kernelINS0_14default_configENS1_35radix_sort_onesweep_config_selectorIyNS0_10empty_typeEEEZZNS1_29radix_sort_onesweep_iterationIS3_Lb0EN6thrust23THRUST_200600_302600_NS6detail15normal_iteratorINS9_10device_ptrIyEEEESE_PS5_SF_jNS0_19identity_decomposerENS1_16block_id_wrapperIjLb1EEEEE10hipError_tT1_PNSt15iterator_traitsISK_E10value_typeET2_T3_PNSL_ISQ_E10value_typeET4_T5_PSV_SW_PNS1_23onesweep_lookback_stateEbbT6_jjT7_P12ihipStream_tbENKUlT_T0_SK_SP_E_clISE_PySF_SF_EEDaS13_S14_SK_SP_EUlS13_E_NS1_11comp_targetILNS1_3genE10ELNS1_11target_archE1201ELNS1_3gpuE5ELNS1_3repE0EEENS1_47radix_sort_onesweep_sort_config_static_selectorELNS0_4arch9wavefront6targetE1EEEvSK_,comdat
	.protected	_ZN7rocprim17ROCPRIM_400000_NS6detail17trampoline_kernelINS0_14default_configENS1_35radix_sort_onesweep_config_selectorIyNS0_10empty_typeEEEZZNS1_29radix_sort_onesweep_iterationIS3_Lb0EN6thrust23THRUST_200600_302600_NS6detail15normal_iteratorINS9_10device_ptrIyEEEESE_PS5_SF_jNS0_19identity_decomposerENS1_16block_id_wrapperIjLb1EEEEE10hipError_tT1_PNSt15iterator_traitsISK_E10value_typeET2_T3_PNSL_ISQ_E10value_typeET4_T5_PSV_SW_PNS1_23onesweep_lookback_stateEbbT6_jjT7_P12ihipStream_tbENKUlT_T0_SK_SP_E_clISE_PySF_SF_EEDaS13_S14_SK_SP_EUlS13_E_NS1_11comp_targetILNS1_3genE10ELNS1_11target_archE1201ELNS1_3gpuE5ELNS1_3repE0EEENS1_47radix_sort_onesweep_sort_config_static_selectorELNS0_4arch9wavefront6targetE1EEEvSK_ ; -- Begin function _ZN7rocprim17ROCPRIM_400000_NS6detail17trampoline_kernelINS0_14default_configENS1_35radix_sort_onesweep_config_selectorIyNS0_10empty_typeEEEZZNS1_29radix_sort_onesweep_iterationIS3_Lb0EN6thrust23THRUST_200600_302600_NS6detail15normal_iteratorINS9_10device_ptrIyEEEESE_PS5_SF_jNS0_19identity_decomposerENS1_16block_id_wrapperIjLb1EEEEE10hipError_tT1_PNSt15iterator_traitsISK_E10value_typeET2_T3_PNSL_ISQ_E10value_typeET4_T5_PSV_SW_PNS1_23onesweep_lookback_stateEbbT6_jjT7_P12ihipStream_tbENKUlT_T0_SK_SP_E_clISE_PySF_SF_EEDaS13_S14_SK_SP_EUlS13_E_NS1_11comp_targetILNS1_3genE10ELNS1_11target_archE1201ELNS1_3gpuE5ELNS1_3repE0EEENS1_47radix_sort_onesweep_sort_config_static_selectorELNS0_4arch9wavefront6targetE1EEEvSK_
	.globl	_ZN7rocprim17ROCPRIM_400000_NS6detail17trampoline_kernelINS0_14default_configENS1_35radix_sort_onesweep_config_selectorIyNS0_10empty_typeEEEZZNS1_29radix_sort_onesweep_iterationIS3_Lb0EN6thrust23THRUST_200600_302600_NS6detail15normal_iteratorINS9_10device_ptrIyEEEESE_PS5_SF_jNS0_19identity_decomposerENS1_16block_id_wrapperIjLb1EEEEE10hipError_tT1_PNSt15iterator_traitsISK_E10value_typeET2_T3_PNSL_ISQ_E10value_typeET4_T5_PSV_SW_PNS1_23onesweep_lookback_stateEbbT6_jjT7_P12ihipStream_tbENKUlT_T0_SK_SP_E_clISE_PySF_SF_EEDaS13_S14_SK_SP_EUlS13_E_NS1_11comp_targetILNS1_3genE10ELNS1_11target_archE1201ELNS1_3gpuE5ELNS1_3repE0EEENS1_47radix_sort_onesweep_sort_config_static_selectorELNS0_4arch9wavefront6targetE1EEEvSK_
	.p2align	8
	.type	_ZN7rocprim17ROCPRIM_400000_NS6detail17trampoline_kernelINS0_14default_configENS1_35radix_sort_onesweep_config_selectorIyNS0_10empty_typeEEEZZNS1_29radix_sort_onesweep_iterationIS3_Lb0EN6thrust23THRUST_200600_302600_NS6detail15normal_iteratorINS9_10device_ptrIyEEEESE_PS5_SF_jNS0_19identity_decomposerENS1_16block_id_wrapperIjLb1EEEEE10hipError_tT1_PNSt15iterator_traitsISK_E10value_typeET2_T3_PNSL_ISQ_E10value_typeET4_T5_PSV_SW_PNS1_23onesweep_lookback_stateEbbT6_jjT7_P12ihipStream_tbENKUlT_T0_SK_SP_E_clISE_PySF_SF_EEDaS13_S14_SK_SP_EUlS13_E_NS1_11comp_targetILNS1_3genE10ELNS1_11target_archE1201ELNS1_3gpuE5ELNS1_3repE0EEENS1_47radix_sort_onesweep_sort_config_static_selectorELNS0_4arch9wavefront6targetE1EEEvSK_,@function
_ZN7rocprim17ROCPRIM_400000_NS6detail17trampoline_kernelINS0_14default_configENS1_35radix_sort_onesweep_config_selectorIyNS0_10empty_typeEEEZZNS1_29radix_sort_onesweep_iterationIS3_Lb0EN6thrust23THRUST_200600_302600_NS6detail15normal_iteratorINS9_10device_ptrIyEEEESE_PS5_SF_jNS0_19identity_decomposerENS1_16block_id_wrapperIjLb1EEEEE10hipError_tT1_PNSt15iterator_traitsISK_E10value_typeET2_T3_PNSL_ISQ_E10value_typeET4_T5_PSV_SW_PNS1_23onesweep_lookback_stateEbbT6_jjT7_P12ihipStream_tbENKUlT_T0_SK_SP_E_clISE_PySF_SF_EEDaS13_S14_SK_SP_EUlS13_E_NS1_11comp_targetILNS1_3genE10ELNS1_11target_archE1201ELNS1_3gpuE5ELNS1_3repE0EEENS1_47radix_sort_onesweep_sort_config_static_selectorELNS0_4arch9wavefront6targetE1EEEvSK_: ; @_ZN7rocprim17ROCPRIM_400000_NS6detail17trampoline_kernelINS0_14default_configENS1_35radix_sort_onesweep_config_selectorIyNS0_10empty_typeEEEZZNS1_29radix_sort_onesweep_iterationIS3_Lb0EN6thrust23THRUST_200600_302600_NS6detail15normal_iteratorINS9_10device_ptrIyEEEESE_PS5_SF_jNS0_19identity_decomposerENS1_16block_id_wrapperIjLb1EEEEE10hipError_tT1_PNSt15iterator_traitsISK_E10value_typeET2_T3_PNSL_ISQ_E10value_typeET4_T5_PSV_SW_PNS1_23onesweep_lookback_stateEbbT6_jjT7_P12ihipStream_tbENKUlT_T0_SK_SP_E_clISE_PySF_SF_EEDaS13_S14_SK_SP_EUlS13_E_NS1_11comp_targetILNS1_3genE10ELNS1_11target_archE1201ELNS1_3gpuE5ELNS1_3repE0EEENS1_47radix_sort_onesweep_sort_config_static_selectorELNS0_4arch9wavefront6targetE1EEEvSK_
; %bb.0:
	.section	.rodata,"a",@progbits
	.p2align	6, 0x0
	.amdhsa_kernel _ZN7rocprim17ROCPRIM_400000_NS6detail17trampoline_kernelINS0_14default_configENS1_35radix_sort_onesweep_config_selectorIyNS0_10empty_typeEEEZZNS1_29radix_sort_onesweep_iterationIS3_Lb0EN6thrust23THRUST_200600_302600_NS6detail15normal_iteratorINS9_10device_ptrIyEEEESE_PS5_SF_jNS0_19identity_decomposerENS1_16block_id_wrapperIjLb1EEEEE10hipError_tT1_PNSt15iterator_traitsISK_E10value_typeET2_T3_PNSL_ISQ_E10value_typeET4_T5_PSV_SW_PNS1_23onesweep_lookback_stateEbbT6_jjT7_P12ihipStream_tbENKUlT_T0_SK_SP_E_clISE_PySF_SF_EEDaS13_S14_SK_SP_EUlS13_E_NS1_11comp_targetILNS1_3genE10ELNS1_11target_archE1201ELNS1_3gpuE5ELNS1_3repE0EEENS1_47radix_sort_onesweep_sort_config_static_selectorELNS0_4arch9wavefront6targetE1EEEvSK_
		.amdhsa_group_segment_fixed_size 0
		.amdhsa_private_segment_fixed_size 0
		.amdhsa_kernarg_size 88
		.amdhsa_user_sgpr_count 6
		.amdhsa_user_sgpr_private_segment_buffer 1
		.amdhsa_user_sgpr_dispatch_ptr 0
		.amdhsa_user_sgpr_queue_ptr 0
		.amdhsa_user_sgpr_kernarg_segment_ptr 1
		.amdhsa_user_sgpr_dispatch_id 0
		.amdhsa_user_sgpr_flat_scratch_init 0
		.amdhsa_user_sgpr_kernarg_preload_length 0
		.amdhsa_user_sgpr_kernarg_preload_offset 0
		.amdhsa_user_sgpr_private_segment_size 0
		.amdhsa_uses_dynamic_stack 0
		.amdhsa_system_sgpr_private_segment_wavefront_offset 0
		.amdhsa_system_sgpr_workgroup_id_x 1
		.amdhsa_system_sgpr_workgroup_id_y 0
		.amdhsa_system_sgpr_workgroup_id_z 0
		.amdhsa_system_sgpr_workgroup_info 0
		.amdhsa_system_vgpr_workitem_id 0
		.amdhsa_next_free_vgpr 1
		.amdhsa_next_free_sgpr 0
		.amdhsa_accum_offset 4
		.amdhsa_reserve_vcc 0
		.amdhsa_reserve_flat_scratch 0
		.amdhsa_float_round_mode_32 0
		.amdhsa_float_round_mode_16_64 0
		.amdhsa_float_denorm_mode_32 3
		.amdhsa_float_denorm_mode_16_64 3
		.amdhsa_dx10_clamp 1
		.amdhsa_ieee_mode 1
		.amdhsa_fp16_overflow 0
		.amdhsa_tg_split 0
		.amdhsa_exception_fp_ieee_invalid_op 0
		.amdhsa_exception_fp_denorm_src 0
		.amdhsa_exception_fp_ieee_div_zero 0
		.amdhsa_exception_fp_ieee_overflow 0
		.amdhsa_exception_fp_ieee_underflow 0
		.amdhsa_exception_fp_ieee_inexact 0
		.amdhsa_exception_int_div_zero 0
	.end_amdhsa_kernel
	.section	.text._ZN7rocprim17ROCPRIM_400000_NS6detail17trampoline_kernelINS0_14default_configENS1_35radix_sort_onesweep_config_selectorIyNS0_10empty_typeEEEZZNS1_29radix_sort_onesweep_iterationIS3_Lb0EN6thrust23THRUST_200600_302600_NS6detail15normal_iteratorINS9_10device_ptrIyEEEESE_PS5_SF_jNS0_19identity_decomposerENS1_16block_id_wrapperIjLb1EEEEE10hipError_tT1_PNSt15iterator_traitsISK_E10value_typeET2_T3_PNSL_ISQ_E10value_typeET4_T5_PSV_SW_PNS1_23onesweep_lookback_stateEbbT6_jjT7_P12ihipStream_tbENKUlT_T0_SK_SP_E_clISE_PySF_SF_EEDaS13_S14_SK_SP_EUlS13_E_NS1_11comp_targetILNS1_3genE10ELNS1_11target_archE1201ELNS1_3gpuE5ELNS1_3repE0EEENS1_47radix_sort_onesweep_sort_config_static_selectorELNS0_4arch9wavefront6targetE1EEEvSK_,"axG",@progbits,_ZN7rocprim17ROCPRIM_400000_NS6detail17trampoline_kernelINS0_14default_configENS1_35radix_sort_onesweep_config_selectorIyNS0_10empty_typeEEEZZNS1_29radix_sort_onesweep_iterationIS3_Lb0EN6thrust23THRUST_200600_302600_NS6detail15normal_iteratorINS9_10device_ptrIyEEEESE_PS5_SF_jNS0_19identity_decomposerENS1_16block_id_wrapperIjLb1EEEEE10hipError_tT1_PNSt15iterator_traitsISK_E10value_typeET2_T3_PNSL_ISQ_E10value_typeET4_T5_PSV_SW_PNS1_23onesweep_lookback_stateEbbT6_jjT7_P12ihipStream_tbENKUlT_T0_SK_SP_E_clISE_PySF_SF_EEDaS13_S14_SK_SP_EUlS13_E_NS1_11comp_targetILNS1_3genE10ELNS1_11target_archE1201ELNS1_3gpuE5ELNS1_3repE0EEENS1_47radix_sort_onesweep_sort_config_static_selectorELNS0_4arch9wavefront6targetE1EEEvSK_,comdat
.Lfunc_end879:
	.size	_ZN7rocprim17ROCPRIM_400000_NS6detail17trampoline_kernelINS0_14default_configENS1_35radix_sort_onesweep_config_selectorIyNS0_10empty_typeEEEZZNS1_29radix_sort_onesweep_iterationIS3_Lb0EN6thrust23THRUST_200600_302600_NS6detail15normal_iteratorINS9_10device_ptrIyEEEESE_PS5_SF_jNS0_19identity_decomposerENS1_16block_id_wrapperIjLb1EEEEE10hipError_tT1_PNSt15iterator_traitsISK_E10value_typeET2_T3_PNSL_ISQ_E10value_typeET4_T5_PSV_SW_PNS1_23onesweep_lookback_stateEbbT6_jjT7_P12ihipStream_tbENKUlT_T0_SK_SP_E_clISE_PySF_SF_EEDaS13_S14_SK_SP_EUlS13_E_NS1_11comp_targetILNS1_3genE10ELNS1_11target_archE1201ELNS1_3gpuE5ELNS1_3repE0EEENS1_47radix_sort_onesweep_sort_config_static_selectorELNS0_4arch9wavefront6targetE1EEEvSK_, .Lfunc_end879-_ZN7rocprim17ROCPRIM_400000_NS6detail17trampoline_kernelINS0_14default_configENS1_35radix_sort_onesweep_config_selectorIyNS0_10empty_typeEEEZZNS1_29radix_sort_onesweep_iterationIS3_Lb0EN6thrust23THRUST_200600_302600_NS6detail15normal_iteratorINS9_10device_ptrIyEEEESE_PS5_SF_jNS0_19identity_decomposerENS1_16block_id_wrapperIjLb1EEEEE10hipError_tT1_PNSt15iterator_traitsISK_E10value_typeET2_T3_PNSL_ISQ_E10value_typeET4_T5_PSV_SW_PNS1_23onesweep_lookback_stateEbbT6_jjT7_P12ihipStream_tbENKUlT_T0_SK_SP_E_clISE_PySF_SF_EEDaS13_S14_SK_SP_EUlS13_E_NS1_11comp_targetILNS1_3genE10ELNS1_11target_archE1201ELNS1_3gpuE5ELNS1_3repE0EEENS1_47radix_sort_onesweep_sort_config_static_selectorELNS0_4arch9wavefront6targetE1EEEvSK_
                                        ; -- End function
	.section	.AMDGPU.csdata,"",@progbits
; Kernel info:
; codeLenInByte = 0
; NumSgprs: 4
; NumVgprs: 0
; NumAgprs: 0
; TotalNumVgprs: 0
; ScratchSize: 0
; MemoryBound: 0
; FloatMode: 240
; IeeeMode: 1
; LDSByteSize: 0 bytes/workgroup (compile time only)
; SGPRBlocks: 0
; VGPRBlocks: 0
; NumSGPRsForWavesPerEU: 4
; NumVGPRsForWavesPerEU: 1
; AccumOffset: 4
; Occupancy: 8
; WaveLimiterHint : 0
; COMPUTE_PGM_RSRC2:SCRATCH_EN: 0
; COMPUTE_PGM_RSRC2:USER_SGPR: 6
; COMPUTE_PGM_RSRC2:TRAP_HANDLER: 0
; COMPUTE_PGM_RSRC2:TGID_X_EN: 1
; COMPUTE_PGM_RSRC2:TGID_Y_EN: 0
; COMPUTE_PGM_RSRC2:TGID_Z_EN: 0
; COMPUTE_PGM_RSRC2:TIDIG_COMP_CNT: 0
; COMPUTE_PGM_RSRC3_GFX90A:ACCUM_OFFSET: 0
; COMPUTE_PGM_RSRC3_GFX90A:TG_SPLIT: 0
	.section	.text._ZN7rocprim17ROCPRIM_400000_NS6detail17trampoline_kernelINS0_14default_configENS1_35radix_sort_onesweep_config_selectorIyNS0_10empty_typeEEEZZNS1_29radix_sort_onesweep_iterationIS3_Lb0EN6thrust23THRUST_200600_302600_NS6detail15normal_iteratorINS9_10device_ptrIyEEEESE_PS5_SF_jNS0_19identity_decomposerENS1_16block_id_wrapperIjLb1EEEEE10hipError_tT1_PNSt15iterator_traitsISK_E10value_typeET2_T3_PNSL_ISQ_E10value_typeET4_T5_PSV_SW_PNS1_23onesweep_lookback_stateEbbT6_jjT7_P12ihipStream_tbENKUlT_T0_SK_SP_E_clISE_PySF_SF_EEDaS13_S14_SK_SP_EUlS13_E_NS1_11comp_targetILNS1_3genE9ELNS1_11target_archE1100ELNS1_3gpuE3ELNS1_3repE0EEENS1_47radix_sort_onesweep_sort_config_static_selectorELNS0_4arch9wavefront6targetE1EEEvSK_,"axG",@progbits,_ZN7rocprim17ROCPRIM_400000_NS6detail17trampoline_kernelINS0_14default_configENS1_35radix_sort_onesweep_config_selectorIyNS0_10empty_typeEEEZZNS1_29radix_sort_onesweep_iterationIS3_Lb0EN6thrust23THRUST_200600_302600_NS6detail15normal_iteratorINS9_10device_ptrIyEEEESE_PS5_SF_jNS0_19identity_decomposerENS1_16block_id_wrapperIjLb1EEEEE10hipError_tT1_PNSt15iterator_traitsISK_E10value_typeET2_T3_PNSL_ISQ_E10value_typeET4_T5_PSV_SW_PNS1_23onesweep_lookback_stateEbbT6_jjT7_P12ihipStream_tbENKUlT_T0_SK_SP_E_clISE_PySF_SF_EEDaS13_S14_SK_SP_EUlS13_E_NS1_11comp_targetILNS1_3genE9ELNS1_11target_archE1100ELNS1_3gpuE3ELNS1_3repE0EEENS1_47radix_sort_onesweep_sort_config_static_selectorELNS0_4arch9wavefront6targetE1EEEvSK_,comdat
	.protected	_ZN7rocprim17ROCPRIM_400000_NS6detail17trampoline_kernelINS0_14default_configENS1_35radix_sort_onesweep_config_selectorIyNS0_10empty_typeEEEZZNS1_29radix_sort_onesweep_iterationIS3_Lb0EN6thrust23THRUST_200600_302600_NS6detail15normal_iteratorINS9_10device_ptrIyEEEESE_PS5_SF_jNS0_19identity_decomposerENS1_16block_id_wrapperIjLb1EEEEE10hipError_tT1_PNSt15iterator_traitsISK_E10value_typeET2_T3_PNSL_ISQ_E10value_typeET4_T5_PSV_SW_PNS1_23onesweep_lookback_stateEbbT6_jjT7_P12ihipStream_tbENKUlT_T0_SK_SP_E_clISE_PySF_SF_EEDaS13_S14_SK_SP_EUlS13_E_NS1_11comp_targetILNS1_3genE9ELNS1_11target_archE1100ELNS1_3gpuE3ELNS1_3repE0EEENS1_47radix_sort_onesweep_sort_config_static_selectorELNS0_4arch9wavefront6targetE1EEEvSK_ ; -- Begin function _ZN7rocprim17ROCPRIM_400000_NS6detail17trampoline_kernelINS0_14default_configENS1_35radix_sort_onesweep_config_selectorIyNS0_10empty_typeEEEZZNS1_29radix_sort_onesweep_iterationIS3_Lb0EN6thrust23THRUST_200600_302600_NS6detail15normal_iteratorINS9_10device_ptrIyEEEESE_PS5_SF_jNS0_19identity_decomposerENS1_16block_id_wrapperIjLb1EEEEE10hipError_tT1_PNSt15iterator_traitsISK_E10value_typeET2_T3_PNSL_ISQ_E10value_typeET4_T5_PSV_SW_PNS1_23onesweep_lookback_stateEbbT6_jjT7_P12ihipStream_tbENKUlT_T0_SK_SP_E_clISE_PySF_SF_EEDaS13_S14_SK_SP_EUlS13_E_NS1_11comp_targetILNS1_3genE9ELNS1_11target_archE1100ELNS1_3gpuE3ELNS1_3repE0EEENS1_47radix_sort_onesweep_sort_config_static_selectorELNS0_4arch9wavefront6targetE1EEEvSK_
	.globl	_ZN7rocprim17ROCPRIM_400000_NS6detail17trampoline_kernelINS0_14default_configENS1_35radix_sort_onesweep_config_selectorIyNS0_10empty_typeEEEZZNS1_29radix_sort_onesweep_iterationIS3_Lb0EN6thrust23THRUST_200600_302600_NS6detail15normal_iteratorINS9_10device_ptrIyEEEESE_PS5_SF_jNS0_19identity_decomposerENS1_16block_id_wrapperIjLb1EEEEE10hipError_tT1_PNSt15iterator_traitsISK_E10value_typeET2_T3_PNSL_ISQ_E10value_typeET4_T5_PSV_SW_PNS1_23onesweep_lookback_stateEbbT6_jjT7_P12ihipStream_tbENKUlT_T0_SK_SP_E_clISE_PySF_SF_EEDaS13_S14_SK_SP_EUlS13_E_NS1_11comp_targetILNS1_3genE9ELNS1_11target_archE1100ELNS1_3gpuE3ELNS1_3repE0EEENS1_47radix_sort_onesweep_sort_config_static_selectorELNS0_4arch9wavefront6targetE1EEEvSK_
	.p2align	8
	.type	_ZN7rocprim17ROCPRIM_400000_NS6detail17trampoline_kernelINS0_14default_configENS1_35radix_sort_onesweep_config_selectorIyNS0_10empty_typeEEEZZNS1_29radix_sort_onesweep_iterationIS3_Lb0EN6thrust23THRUST_200600_302600_NS6detail15normal_iteratorINS9_10device_ptrIyEEEESE_PS5_SF_jNS0_19identity_decomposerENS1_16block_id_wrapperIjLb1EEEEE10hipError_tT1_PNSt15iterator_traitsISK_E10value_typeET2_T3_PNSL_ISQ_E10value_typeET4_T5_PSV_SW_PNS1_23onesweep_lookback_stateEbbT6_jjT7_P12ihipStream_tbENKUlT_T0_SK_SP_E_clISE_PySF_SF_EEDaS13_S14_SK_SP_EUlS13_E_NS1_11comp_targetILNS1_3genE9ELNS1_11target_archE1100ELNS1_3gpuE3ELNS1_3repE0EEENS1_47radix_sort_onesweep_sort_config_static_selectorELNS0_4arch9wavefront6targetE1EEEvSK_,@function
_ZN7rocprim17ROCPRIM_400000_NS6detail17trampoline_kernelINS0_14default_configENS1_35radix_sort_onesweep_config_selectorIyNS0_10empty_typeEEEZZNS1_29radix_sort_onesweep_iterationIS3_Lb0EN6thrust23THRUST_200600_302600_NS6detail15normal_iteratorINS9_10device_ptrIyEEEESE_PS5_SF_jNS0_19identity_decomposerENS1_16block_id_wrapperIjLb1EEEEE10hipError_tT1_PNSt15iterator_traitsISK_E10value_typeET2_T3_PNSL_ISQ_E10value_typeET4_T5_PSV_SW_PNS1_23onesweep_lookback_stateEbbT6_jjT7_P12ihipStream_tbENKUlT_T0_SK_SP_E_clISE_PySF_SF_EEDaS13_S14_SK_SP_EUlS13_E_NS1_11comp_targetILNS1_3genE9ELNS1_11target_archE1100ELNS1_3gpuE3ELNS1_3repE0EEENS1_47radix_sort_onesweep_sort_config_static_selectorELNS0_4arch9wavefront6targetE1EEEvSK_: ; @_ZN7rocprim17ROCPRIM_400000_NS6detail17trampoline_kernelINS0_14default_configENS1_35radix_sort_onesweep_config_selectorIyNS0_10empty_typeEEEZZNS1_29radix_sort_onesweep_iterationIS3_Lb0EN6thrust23THRUST_200600_302600_NS6detail15normal_iteratorINS9_10device_ptrIyEEEESE_PS5_SF_jNS0_19identity_decomposerENS1_16block_id_wrapperIjLb1EEEEE10hipError_tT1_PNSt15iterator_traitsISK_E10value_typeET2_T3_PNSL_ISQ_E10value_typeET4_T5_PSV_SW_PNS1_23onesweep_lookback_stateEbbT6_jjT7_P12ihipStream_tbENKUlT_T0_SK_SP_E_clISE_PySF_SF_EEDaS13_S14_SK_SP_EUlS13_E_NS1_11comp_targetILNS1_3genE9ELNS1_11target_archE1100ELNS1_3gpuE3ELNS1_3repE0EEENS1_47radix_sort_onesweep_sort_config_static_selectorELNS0_4arch9wavefront6targetE1EEEvSK_
; %bb.0:
	.section	.rodata,"a",@progbits
	.p2align	6, 0x0
	.amdhsa_kernel _ZN7rocprim17ROCPRIM_400000_NS6detail17trampoline_kernelINS0_14default_configENS1_35radix_sort_onesweep_config_selectorIyNS0_10empty_typeEEEZZNS1_29radix_sort_onesweep_iterationIS3_Lb0EN6thrust23THRUST_200600_302600_NS6detail15normal_iteratorINS9_10device_ptrIyEEEESE_PS5_SF_jNS0_19identity_decomposerENS1_16block_id_wrapperIjLb1EEEEE10hipError_tT1_PNSt15iterator_traitsISK_E10value_typeET2_T3_PNSL_ISQ_E10value_typeET4_T5_PSV_SW_PNS1_23onesweep_lookback_stateEbbT6_jjT7_P12ihipStream_tbENKUlT_T0_SK_SP_E_clISE_PySF_SF_EEDaS13_S14_SK_SP_EUlS13_E_NS1_11comp_targetILNS1_3genE9ELNS1_11target_archE1100ELNS1_3gpuE3ELNS1_3repE0EEENS1_47radix_sort_onesweep_sort_config_static_selectorELNS0_4arch9wavefront6targetE1EEEvSK_
		.amdhsa_group_segment_fixed_size 0
		.amdhsa_private_segment_fixed_size 0
		.amdhsa_kernarg_size 88
		.amdhsa_user_sgpr_count 6
		.amdhsa_user_sgpr_private_segment_buffer 1
		.amdhsa_user_sgpr_dispatch_ptr 0
		.amdhsa_user_sgpr_queue_ptr 0
		.amdhsa_user_sgpr_kernarg_segment_ptr 1
		.amdhsa_user_sgpr_dispatch_id 0
		.amdhsa_user_sgpr_flat_scratch_init 0
		.amdhsa_user_sgpr_kernarg_preload_length 0
		.amdhsa_user_sgpr_kernarg_preload_offset 0
		.amdhsa_user_sgpr_private_segment_size 0
		.amdhsa_uses_dynamic_stack 0
		.amdhsa_system_sgpr_private_segment_wavefront_offset 0
		.amdhsa_system_sgpr_workgroup_id_x 1
		.amdhsa_system_sgpr_workgroup_id_y 0
		.amdhsa_system_sgpr_workgroup_id_z 0
		.amdhsa_system_sgpr_workgroup_info 0
		.amdhsa_system_vgpr_workitem_id 0
		.amdhsa_next_free_vgpr 1
		.amdhsa_next_free_sgpr 0
		.amdhsa_accum_offset 4
		.amdhsa_reserve_vcc 0
		.amdhsa_reserve_flat_scratch 0
		.amdhsa_float_round_mode_32 0
		.amdhsa_float_round_mode_16_64 0
		.amdhsa_float_denorm_mode_32 3
		.amdhsa_float_denorm_mode_16_64 3
		.amdhsa_dx10_clamp 1
		.amdhsa_ieee_mode 1
		.amdhsa_fp16_overflow 0
		.amdhsa_tg_split 0
		.amdhsa_exception_fp_ieee_invalid_op 0
		.amdhsa_exception_fp_denorm_src 0
		.amdhsa_exception_fp_ieee_div_zero 0
		.amdhsa_exception_fp_ieee_overflow 0
		.amdhsa_exception_fp_ieee_underflow 0
		.amdhsa_exception_fp_ieee_inexact 0
		.amdhsa_exception_int_div_zero 0
	.end_amdhsa_kernel
	.section	.text._ZN7rocprim17ROCPRIM_400000_NS6detail17trampoline_kernelINS0_14default_configENS1_35radix_sort_onesweep_config_selectorIyNS0_10empty_typeEEEZZNS1_29radix_sort_onesweep_iterationIS3_Lb0EN6thrust23THRUST_200600_302600_NS6detail15normal_iteratorINS9_10device_ptrIyEEEESE_PS5_SF_jNS0_19identity_decomposerENS1_16block_id_wrapperIjLb1EEEEE10hipError_tT1_PNSt15iterator_traitsISK_E10value_typeET2_T3_PNSL_ISQ_E10value_typeET4_T5_PSV_SW_PNS1_23onesweep_lookback_stateEbbT6_jjT7_P12ihipStream_tbENKUlT_T0_SK_SP_E_clISE_PySF_SF_EEDaS13_S14_SK_SP_EUlS13_E_NS1_11comp_targetILNS1_3genE9ELNS1_11target_archE1100ELNS1_3gpuE3ELNS1_3repE0EEENS1_47radix_sort_onesweep_sort_config_static_selectorELNS0_4arch9wavefront6targetE1EEEvSK_,"axG",@progbits,_ZN7rocprim17ROCPRIM_400000_NS6detail17trampoline_kernelINS0_14default_configENS1_35radix_sort_onesweep_config_selectorIyNS0_10empty_typeEEEZZNS1_29radix_sort_onesweep_iterationIS3_Lb0EN6thrust23THRUST_200600_302600_NS6detail15normal_iteratorINS9_10device_ptrIyEEEESE_PS5_SF_jNS0_19identity_decomposerENS1_16block_id_wrapperIjLb1EEEEE10hipError_tT1_PNSt15iterator_traitsISK_E10value_typeET2_T3_PNSL_ISQ_E10value_typeET4_T5_PSV_SW_PNS1_23onesweep_lookback_stateEbbT6_jjT7_P12ihipStream_tbENKUlT_T0_SK_SP_E_clISE_PySF_SF_EEDaS13_S14_SK_SP_EUlS13_E_NS1_11comp_targetILNS1_3genE9ELNS1_11target_archE1100ELNS1_3gpuE3ELNS1_3repE0EEENS1_47radix_sort_onesweep_sort_config_static_selectorELNS0_4arch9wavefront6targetE1EEEvSK_,comdat
.Lfunc_end880:
	.size	_ZN7rocprim17ROCPRIM_400000_NS6detail17trampoline_kernelINS0_14default_configENS1_35radix_sort_onesweep_config_selectorIyNS0_10empty_typeEEEZZNS1_29radix_sort_onesweep_iterationIS3_Lb0EN6thrust23THRUST_200600_302600_NS6detail15normal_iteratorINS9_10device_ptrIyEEEESE_PS5_SF_jNS0_19identity_decomposerENS1_16block_id_wrapperIjLb1EEEEE10hipError_tT1_PNSt15iterator_traitsISK_E10value_typeET2_T3_PNSL_ISQ_E10value_typeET4_T5_PSV_SW_PNS1_23onesweep_lookback_stateEbbT6_jjT7_P12ihipStream_tbENKUlT_T0_SK_SP_E_clISE_PySF_SF_EEDaS13_S14_SK_SP_EUlS13_E_NS1_11comp_targetILNS1_3genE9ELNS1_11target_archE1100ELNS1_3gpuE3ELNS1_3repE0EEENS1_47radix_sort_onesweep_sort_config_static_selectorELNS0_4arch9wavefront6targetE1EEEvSK_, .Lfunc_end880-_ZN7rocprim17ROCPRIM_400000_NS6detail17trampoline_kernelINS0_14default_configENS1_35radix_sort_onesweep_config_selectorIyNS0_10empty_typeEEEZZNS1_29radix_sort_onesweep_iterationIS3_Lb0EN6thrust23THRUST_200600_302600_NS6detail15normal_iteratorINS9_10device_ptrIyEEEESE_PS5_SF_jNS0_19identity_decomposerENS1_16block_id_wrapperIjLb1EEEEE10hipError_tT1_PNSt15iterator_traitsISK_E10value_typeET2_T3_PNSL_ISQ_E10value_typeET4_T5_PSV_SW_PNS1_23onesweep_lookback_stateEbbT6_jjT7_P12ihipStream_tbENKUlT_T0_SK_SP_E_clISE_PySF_SF_EEDaS13_S14_SK_SP_EUlS13_E_NS1_11comp_targetILNS1_3genE9ELNS1_11target_archE1100ELNS1_3gpuE3ELNS1_3repE0EEENS1_47radix_sort_onesweep_sort_config_static_selectorELNS0_4arch9wavefront6targetE1EEEvSK_
                                        ; -- End function
	.section	.AMDGPU.csdata,"",@progbits
; Kernel info:
; codeLenInByte = 0
; NumSgprs: 4
; NumVgprs: 0
; NumAgprs: 0
; TotalNumVgprs: 0
; ScratchSize: 0
; MemoryBound: 0
; FloatMode: 240
; IeeeMode: 1
; LDSByteSize: 0 bytes/workgroup (compile time only)
; SGPRBlocks: 0
; VGPRBlocks: 0
; NumSGPRsForWavesPerEU: 4
; NumVGPRsForWavesPerEU: 1
; AccumOffset: 4
; Occupancy: 8
; WaveLimiterHint : 0
; COMPUTE_PGM_RSRC2:SCRATCH_EN: 0
; COMPUTE_PGM_RSRC2:USER_SGPR: 6
; COMPUTE_PGM_RSRC2:TRAP_HANDLER: 0
; COMPUTE_PGM_RSRC2:TGID_X_EN: 1
; COMPUTE_PGM_RSRC2:TGID_Y_EN: 0
; COMPUTE_PGM_RSRC2:TGID_Z_EN: 0
; COMPUTE_PGM_RSRC2:TIDIG_COMP_CNT: 0
; COMPUTE_PGM_RSRC3_GFX90A:ACCUM_OFFSET: 0
; COMPUTE_PGM_RSRC3_GFX90A:TG_SPLIT: 0
	.section	.text._ZN7rocprim17ROCPRIM_400000_NS6detail17trampoline_kernelINS0_14default_configENS1_35radix_sort_onesweep_config_selectorIyNS0_10empty_typeEEEZZNS1_29radix_sort_onesweep_iterationIS3_Lb0EN6thrust23THRUST_200600_302600_NS6detail15normal_iteratorINS9_10device_ptrIyEEEESE_PS5_SF_jNS0_19identity_decomposerENS1_16block_id_wrapperIjLb1EEEEE10hipError_tT1_PNSt15iterator_traitsISK_E10value_typeET2_T3_PNSL_ISQ_E10value_typeET4_T5_PSV_SW_PNS1_23onesweep_lookback_stateEbbT6_jjT7_P12ihipStream_tbENKUlT_T0_SK_SP_E_clISE_PySF_SF_EEDaS13_S14_SK_SP_EUlS13_E_NS1_11comp_targetILNS1_3genE8ELNS1_11target_archE1030ELNS1_3gpuE2ELNS1_3repE0EEENS1_47radix_sort_onesweep_sort_config_static_selectorELNS0_4arch9wavefront6targetE1EEEvSK_,"axG",@progbits,_ZN7rocprim17ROCPRIM_400000_NS6detail17trampoline_kernelINS0_14default_configENS1_35radix_sort_onesweep_config_selectorIyNS0_10empty_typeEEEZZNS1_29radix_sort_onesweep_iterationIS3_Lb0EN6thrust23THRUST_200600_302600_NS6detail15normal_iteratorINS9_10device_ptrIyEEEESE_PS5_SF_jNS0_19identity_decomposerENS1_16block_id_wrapperIjLb1EEEEE10hipError_tT1_PNSt15iterator_traitsISK_E10value_typeET2_T3_PNSL_ISQ_E10value_typeET4_T5_PSV_SW_PNS1_23onesweep_lookback_stateEbbT6_jjT7_P12ihipStream_tbENKUlT_T0_SK_SP_E_clISE_PySF_SF_EEDaS13_S14_SK_SP_EUlS13_E_NS1_11comp_targetILNS1_3genE8ELNS1_11target_archE1030ELNS1_3gpuE2ELNS1_3repE0EEENS1_47radix_sort_onesweep_sort_config_static_selectorELNS0_4arch9wavefront6targetE1EEEvSK_,comdat
	.protected	_ZN7rocprim17ROCPRIM_400000_NS6detail17trampoline_kernelINS0_14default_configENS1_35radix_sort_onesweep_config_selectorIyNS0_10empty_typeEEEZZNS1_29radix_sort_onesweep_iterationIS3_Lb0EN6thrust23THRUST_200600_302600_NS6detail15normal_iteratorINS9_10device_ptrIyEEEESE_PS5_SF_jNS0_19identity_decomposerENS1_16block_id_wrapperIjLb1EEEEE10hipError_tT1_PNSt15iterator_traitsISK_E10value_typeET2_T3_PNSL_ISQ_E10value_typeET4_T5_PSV_SW_PNS1_23onesweep_lookback_stateEbbT6_jjT7_P12ihipStream_tbENKUlT_T0_SK_SP_E_clISE_PySF_SF_EEDaS13_S14_SK_SP_EUlS13_E_NS1_11comp_targetILNS1_3genE8ELNS1_11target_archE1030ELNS1_3gpuE2ELNS1_3repE0EEENS1_47radix_sort_onesweep_sort_config_static_selectorELNS0_4arch9wavefront6targetE1EEEvSK_ ; -- Begin function _ZN7rocprim17ROCPRIM_400000_NS6detail17trampoline_kernelINS0_14default_configENS1_35radix_sort_onesweep_config_selectorIyNS0_10empty_typeEEEZZNS1_29radix_sort_onesweep_iterationIS3_Lb0EN6thrust23THRUST_200600_302600_NS6detail15normal_iteratorINS9_10device_ptrIyEEEESE_PS5_SF_jNS0_19identity_decomposerENS1_16block_id_wrapperIjLb1EEEEE10hipError_tT1_PNSt15iterator_traitsISK_E10value_typeET2_T3_PNSL_ISQ_E10value_typeET4_T5_PSV_SW_PNS1_23onesweep_lookback_stateEbbT6_jjT7_P12ihipStream_tbENKUlT_T0_SK_SP_E_clISE_PySF_SF_EEDaS13_S14_SK_SP_EUlS13_E_NS1_11comp_targetILNS1_3genE8ELNS1_11target_archE1030ELNS1_3gpuE2ELNS1_3repE0EEENS1_47radix_sort_onesweep_sort_config_static_selectorELNS0_4arch9wavefront6targetE1EEEvSK_
	.globl	_ZN7rocprim17ROCPRIM_400000_NS6detail17trampoline_kernelINS0_14default_configENS1_35radix_sort_onesweep_config_selectorIyNS0_10empty_typeEEEZZNS1_29radix_sort_onesweep_iterationIS3_Lb0EN6thrust23THRUST_200600_302600_NS6detail15normal_iteratorINS9_10device_ptrIyEEEESE_PS5_SF_jNS0_19identity_decomposerENS1_16block_id_wrapperIjLb1EEEEE10hipError_tT1_PNSt15iterator_traitsISK_E10value_typeET2_T3_PNSL_ISQ_E10value_typeET4_T5_PSV_SW_PNS1_23onesweep_lookback_stateEbbT6_jjT7_P12ihipStream_tbENKUlT_T0_SK_SP_E_clISE_PySF_SF_EEDaS13_S14_SK_SP_EUlS13_E_NS1_11comp_targetILNS1_3genE8ELNS1_11target_archE1030ELNS1_3gpuE2ELNS1_3repE0EEENS1_47radix_sort_onesweep_sort_config_static_selectorELNS0_4arch9wavefront6targetE1EEEvSK_
	.p2align	8
	.type	_ZN7rocprim17ROCPRIM_400000_NS6detail17trampoline_kernelINS0_14default_configENS1_35radix_sort_onesweep_config_selectorIyNS0_10empty_typeEEEZZNS1_29radix_sort_onesweep_iterationIS3_Lb0EN6thrust23THRUST_200600_302600_NS6detail15normal_iteratorINS9_10device_ptrIyEEEESE_PS5_SF_jNS0_19identity_decomposerENS1_16block_id_wrapperIjLb1EEEEE10hipError_tT1_PNSt15iterator_traitsISK_E10value_typeET2_T3_PNSL_ISQ_E10value_typeET4_T5_PSV_SW_PNS1_23onesweep_lookback_stateEbbT6_jjT7_P12ihipStream_tbENKUlT_T0_SK_SP_E_clISE_PySF_SF_EEDaS13_S14_SK_SP_EUlS13_E_NS1_11comp_targetILNS1_3genE8ELNS1_11target_archE1030ELNS1_3gpuE2ELNS1_3repE0EEENS1_47radix_sort_onesweep_sort_config_static_selectorELNS0_4arch9wavefront6targetE1EEEvSK_,@function
_ZN7rocprim17ROCPRIM_400000_NS6detail17trampoline_kernelINS0_14default_configENS1_35radix_sort_onesweep_config_selectorIyNS0_10empty_typeEEEZZNS1_29radix_sort_onesweep_iterationIS3_Lb0EN6thrust23THRUST_200600_302600_NS6detail15normal_iteratorINS9_10device_ptrIyEEEESE_PS5_SF_jNS0_19identity_decomposerENS1_16block_id_wrapperIjLb1EEEEE10hipError_tT1_PNSt15iterator_traitsISK_E10value_typeET2_T3_PNSL_ISQ_E10value_typeET4_T5_PSV_SW_PNS1_23onesweep_lookback_stateEbbT6_jjT7_P12ihipStream_tbENKUlT_T0_SK_SP_E_clISE_PySF_SF_EEDaS13_S14_SK_SP_EUlS13_E_NS1_11comp_targetILNS1_3genE8ELNS1_11target_archE1030ELNS1_3gpuE2ELNS1_3repE0EEENS1_47radix_sort_onesweep_sort_config_static_selectorELNS0_4arch9wavefront6targetE1EEEvSK_: ; @_ZN7rocprim17ROCPRIM_400000_NS6detail17trampoline_kernelINS0_14default_configENS1_35radix_sort_onesweep_config_selectorIyNS0_10empty_typeEEEZZNS1_29radix_sort_onesweep_iterationIS3_Lb0EN6thrust23THRUST_200600_302600_NS6detail15normal_iteratorINS9_10device_ptrIyEEEESE_PS5_SF_jNS0_19identity_decomposerENS1_16block_id_wrapperIjLb1EEEEE10hipError_tT1_PNSt15iterator_traitsISK_E10value_typeET2_T3_PNSL_ISQ_E10value_typeET4_T5_PSV_SW_PNS1_23onesweep_lookback_stateEbbT6_jjT7_P12ihipStream_tbENKUlT_T0_SK_SP_E_clISE_PySF_SF_EEDaS13_S14_SK_SP_EUlS13_E_NS1_11comp_targetILNS1_3genE8ELNS1_11target_archE1030ELNS1_3gpuE2ELNS1_3repE0EEENS1_47radix_sort_onesweep_sort_config_static_selectorELNS0_4arch9wavefront6targetE1EEEvSK_
; %bb.0:
	.section	.rodata,"a",@progbits
	.p2align	6, 0x0
	.amdhsa_kernel _ZN7rocprim17ROCPRIM_400000_NS6detail17trampoline_kernelINS0_14default_configENS1_35radix_sort_onesweep_config_selectorIyNS0_10empty_typeEEEZZNS1_29radix_sort_onesweep_iterationIS3_Lb0EN6thrust23THRUST_200600_302600_NS6detail15normal_iteratorINS9_10device_ptrIyEEEESE_PS5_SF_jNS0_19identity_decomposerENS1_16block_id_wrapperIjLb1EEEEE10hipError_tT1_PNSt15iterator_traitsISK_E10value_typeET2_T3_PNSL_ISQ_E10value_typeET4_T5_PSV_SW_PNS1_23onesweep_lookback_stateEbbT6_jjT7_P12ihipStream_tbENKUlT_T0_SK_SP_E_clISE_PySF_SF_EEDaS13_S14_SK_SP_EUlS13_E_NS1_11comp_targetILNS1_3genE8ELNS1_11target_archE1030ELNS1_3gpuE2ELNS1_3repE0EEENS1_47radix_sort_onesweep_sort_config_static_selectorELNS0_4arch9wavefront6targetE1EEEvSK_
		.amdhsa_group_segment_fixed_size 0
		.amdhsa_private_segment_fixed_size 0
		.amdhsa_kernarg_size 88
		.amdhsa_user_sgpr_count 6
		.amdhsa_user_sgpr_private_segment_buffer 1
		.amdhsa_user_sgpr_dispatch_ptr 0
		.amdhsa_user_sgpr_queue_ptr 0
		.amdhsa_user_sgpr_kernarg_segment_ptr 1
		.amdhsa_user_sgpr_dispatch_id 0
		.amdhsa_user_sgpr_flat_scratch_init 0
		.amdhsa_user_sgpr_kernarg_preload_length 0
		.amdhsa_user_sgpr_kernarg_preload_offset 0
		.amdhsa_user_sgpr_private_segment_size 0
		.amdhsa_uses_dynamic_stack 0
		.amdhsa_system_sgpr_private_segment_wavefront_offset 0
		.amdhsa_system_sgpr_workgroup_id_x 1
		.amdhsa_system_sgpr_workgroup_id_y 0
		.amdhsa_system_sgpr_workgroup_id_z 0
		.amdhsa_system_sgpr_workgroup_info 0
		.amdhsa_system_vgpr_workitem_id 0
		.amdhsa_next_free_vgpr 1
		.amdhsa_next_free_sgpr 0
		.amdhsa_accum_offset 4
		.amdhsa_reserve_vcc 0
		.amdhsa_reserve_flat_scratch 0
		.amdhsa_float_round_mode_32 0
		.amdhsa_float_round_mode_16_64 0
		.amdhsa_float_denorm_mode_32 3
		.amdhsa_float_denorm_mode_16_64 3
		.amdhsa_dx10_clamp 1
		.amdhsa_ieee_mode 1
		.amdhsa_fp16_overflow 0
		.amdhsa_tg_split 0
		.amdhsa_exception_fp_ieee_invalid_op 0
		.amdhsa_exception_fp_denorm_src 0
		.amdhsa_exception_fp_ieee_div_zero 0
		.amdhsa_exception_fp_ieee_overflow 0
		.amdhsa_exception_fp_ieee_underflow 0
		.amdhsa_exception_fp_ieee_inexact 0
		.amdhsa_exception_int_div_zero 0
	.end_amdhsa_kernel
	.section	.text._ZN7rocprim17ROCPRIM_400000_NS6detail17trampoline_kernelINS0_14default_configENS1_35radix_sort_onesweep_config_selectorIyNS0_10empty_typeEEEZZNS1_29radix_sort_onesweep_iterationIS3_Lb0EN6thrust23THRUST_200600_302600_NS6detail15normal_iteratorINS9_10device_ptrIyEEEESE_PS5_SF_jNS0_19identity_decomposerENS1_16block_id_wrapperIjLb1EEEEE10hipError_tT1_PNSt15iterator_traitsISK_E10value_typeET2_T3_PNSL_ISQ_E10value_typeET4_T5_PSV_SW_PNS1_23onesweep_lookback_stateEbbT6_jjT7_P12ihipStream_tbENKUlT_T0_SK_SP_E_clISE_PySF_SF_EEDaS13_S14_SK_SP_EUlS13_E_NS1_11comp_targetILNS1_3genE8ELNS1_11target_archE1030ELNS1_3gpuE2ELNS1_3repE0EEENS1_47radix_sort_onesweep_sort_config_static_selectorELNS0_4arch9wavefront6targetE1EEEvSK_,"axG",@progbits,_ZN7rocprim17ROCPRIM_400000_NS6detail17trampoline_kernelINS0_14default_configENS1_35radix_sort_onesweep_config_selectorIyNS0_10empty_typeEEEZZNS1_29radix_sort_onesweep_iterationIS3_Lb0EN6thrust23THRUST_200600_302600_NS6detail15normal_iteratorINS9_10device_ptrIyEEEESE_PS5_SF_jNS0_19identity_decomposerENS1_16block_id_wrapperIjLb1EEEEE10hipError_tT1_PNSt15iterator_traitsISK_E10value_typeET2_T3_PNSL_ISQ_E10value_typeET4_T5_PSV_SW_PNS1_23onesweep_lookback_stateEbbT6_jjT7_P12ihipStream_tbENKUlT_T0_SK_SP_E_clISE_PySF_SF_EEDaS13_S14_SK_SP_EUlS13_E_NS1_11comp_targetILNS1_3genE8ELNS1_11target_archE1030ELNS1_3gpuE2ELNS1_3repE0EEENS1_47radix_sort_onesweep_sort_config_static_selectorELNS0_4arch9wavefront6targetE1EEEvSK_,comdat
.Lfunc_end881:
	.size	_ZN7rocprim17ROCPRIM_400000_NS6detail17trampoline_kernelINS0_14default_configENS1_35radix_sort_onesweep_config_selectorIyNS0_10empty_typeEEEZZNS1_29radix_sort_onesweep_iterationIS3_Lb0EN6thrust23THRUST_200600_302600_NS6detail15normal_iteratorINS9_10device_ptrIyEEEESE_PS5_SF_jNS0_19identity_decomposerENS1_16block_id_wrapperIjLb1EEEEE10hipError_tT1_PNSt15iterator_traitsISK_E10value_typeET2_T3_PNSL_ISQ_E10value_typeET4_T5_PSV_SW_PNS1_23onesweep_lookback_stateEbbT6_jjT7_P12ihipStream_tbENKUlT_T0_SK_SP_E_clISE_PySF_SF_EEDaS13_S14_SK_SP_EUlS13_E_NS1_11comp_targetILNS1_3genE8ELNS1_11target_archE1030ELNS1_3gpuE2ELNS1_3repE0EEENS1_47radix_sort_onesweep_sort_config_static_selectorELNS0_4arch9wavefront6targetE1EEEvSK_, .Lfunc_end881-_ZN7rocprim17ROCPRIM_400000_NS6detail17trampoline_kernelINS0_14default_configENS1_35radix_sort_onesweep_config_selectorIyNS0_10empty_typeEEEZZNS1_29radix_sort_onesweep_iterationIS3_Lb0EN6thrust23THRUST_200600_302600_NS6detail15normal_iteratorINS9_10device_ptrIyEEEESE_PS5_SF_jNS0_19identity_decomposerENS1_16block_id_wrapperIjLb1EEEEE10hipError_tT1_PNSt15iterator_traitsISK_E10value_typeET2_T3_PNSL_ISQ_E10value_typeET4_T5_PSV_SW_PNS1_23onesweep_lookback_stateEbbT6_jjT7_P12ihipStream_tbENKUlT_T0_SK_SP_E_clISE_PySF_SF_EEDaS13_S14_SK_SP_EUlS13_E_NS1_11comp_targetILNS1_3genE8ELNS1_11target_archE1030ELNS1_3gpuE2ELNS1_3repE0EEENS1_47radix_sort_onesweep_sort_config_static_selectorELNS0_4arch9wavefront6targetE1EEEvSK_
                                        ; -- End function
	.section	.AMDGPU.csdata,"",@progbits
; Kernel info:
; codeLenInByte = 0
; NumSgprs: 4
; NumVgprs: 0
; NumAgprs: 0
; TotalNumVgprs: 0
; ScratchSize: 0
; MemoryBound: 0
; FloatMode: 240
; IeeeMode: 1
; LDSByteSize: 0 bytes/workgroup (compile time only)
; SGPRBlocks: 0
; VGPRBlocks: 0
; NumSGPRsForWavesPerEU: 4
; NumVGPRsForWavesPerEU: 1
; AccumOffset: 4
; Occupancy: 8
; WaveLimiterHint : 0
; COMPUTE_PGM_RSRC2:SCRATCH_EN: 0
; COMPUTE_PGM_RSRC2:USER_SGPR: 6
; COMPUTE_PGM_RSRC2:TRAP_HANDLER: 0
; COMPUTE_PGM_RSRC2:TGID_X_EN: 1
; COMPUTE_PGM_RSRC2:TGID_Y_EN: 0
; COMPUTE_PGM_RSRC2:TGID_Z_EN: 0
; COMPUTE_PGM_RSRC2:TIDIG_COMP_CNT: 0
; COMPUTE_PGM_RSRC3_GFX90A:ACCUM_OFFSET: 0
; COMPUTE_PGM_RSRC3_GFX90A:TG_SPLIT: 0
	.section	.text._ZN7rocprim17ROCPRIM_400000_NS6detail17trampoline_kernelINS0_14default_configENS1_35radix_sort_onesweep_config_selectorIyNS0_10empty_typeEEEZZNS1_29radix_sort_onesweep_iterationIS3_Lb0EN6thrust23THRUST_200600_302600_NS6detail15normal_iteratorINS9_10device_ptrIyEEEESE_PS5_SF_jNS0_19identity_decomposerENS1_16block_id_wrapperIjLb1EEEEE10hipError_tT1_PNSt15iterator_traitsISK_E10value_typeET2_T3_PNSL_ISQ_E10value_typeET4_T5_PSV_SW_PNS1_23onesweep_lookback_stateEbbT6_jjT7_P12ihipStream_tbENKUlT_T0_SK_SP_E_clIPySE_SF_SF_EEDaS13_S14_SK_SP_EUlS13_E_NS1_11comp_targetILNS1_3genE0ELNS1_11target_archE4294967295ELNS1_3gpuE0ELNS1_3repE0EEENS1_47radix_sort_onesweep_sort_config_static_selectorELNS0_4arch9wavefront6targetE1EEEvSK_,"axG",@progbits,_ZN7rocprim17ROCPRIM_400000_NS6detail17trampoline_kernelINS0_14default_configENS1_35radix_sort_onesweep_config_selectorIyNS0_10empty_typeEEEZZNS1_29radix_sort_onesweep_iterationIS3_Lb0EN6thrust23THRUST_200600_302600_NS6detail15normal_iteratorINS9_10device_ptrIyEEEESE_PS5_SF_jNS0_19identity_decomposerENS1_16block_id_wrapperIjLb1EEEEE10hipError_tT1_PNSt15iterator_traitsISK_E10value_typeET2_T3_PNSL_ISQ_E10value_typeET4_T5_PSV_SW_PNS1_23onesweep_lookback_stateEbbT6_jjT7_P12ihipStream_tbENKUlT_T0_SK_SP_E_clIPySE_SF_SF_EEDaS13_S14_SK_SP_EUlS13_E_NS1_11comp_targetILNS1_3genE0ELNS1_11target_archE4294967295ELNS1_3gpuE0ELNS1_3repE0EEENS1_47radix_sort_onesweep_sort_config_static_selectorELNS0_4arch9wavefront6targetE1EEEvSK_,comdat
	.protected	_ZN7rocprim17ROCPRIM_400000_NS6detail17trampoline_kernelINS0_14default_configENS1_35radix_sort_onesweep_config_selectorIyNS0_10empty_typeEEEZZNS1_29radix_sort_onesweep_iterationIS3_Lb0EN6thrust23THRUST_200600_302600_NS6detail15normal_iteratorINS9_10device_ptrIyEEEESE_PS5_SF_jNS0_19identity_decomposerENS1_16block_id_wrapperIjLb1EEEEE10hipError_tT1_PNSt15iterator_traitsISK_E10value_typeET2_T3_PNSL_ISQ_E10value_typeET4_T5_PSV_SW_PNS1_23onesweep_lookback_stateEbbT6_jjT7_P12ihipStream_tbENKUlT_T0_SK_SP_E_clIPySE_SF_SF_EEDaS13_S14_SK_SP_EUlS13_E_NS1_11comp_targetILNS1_3genE0ELNS1_11target_archE4294967295ELNS1_3gpuE0ELNS1_3repE0EEENS1_47radix_sort_onesweep_sort_config_static_selectorELNS0_4arch9wavefront6targetE1EEEvSK_ ; -- Begin function _ZN7rocprim17ROCPRIM_400000_NS6detail17trampoline_kernelINS0_14default_configENS1_35radix_sort_onesweep_config_selectorIyNS0_10empty_typeEEEZZNS1_29radix_sort_onesweep_iterationIS3_Lb0EN6thrust23THRUST_200600_302600_NS6detail15normal_iteratorINS9_10device_ptrIyEEEESE_PS5_SF_jNS0_19identity_decomposerENS1_16block_id_wrapperIjLb1EEEEE10hipError_tT1_PNSt15iterator_traitsISK_E10value_typeET2_T3_PNSL_ISQ_E10value_typeET4_T5_PSV_SW_PNS1_23onesweep_lookback_stateEbbT6_jjT7_P12ihipStream_tbENKUlT_T0_SK_SP_E_clIPySE_SF_SF_EEDaS13_S14_SK_SP_EUlS13_E_NS1_11comp_targetILNS1_3genE0ELNS1_11target_archE4294967295ELNS1_3gpuE0ELNS1_3repE0EEENS1_47radix_sort_onesweep_sort_config_static_selectorELNS0_4arch9wavefront6targetE1EEEvSK_
	.globl	_ZN7rocprim17ROCPRIM_400000_NS6detail17trampoline_kernelINS0_14default_configENS1_35radix_sort_onesweep_config_selectorIyNS0_10empty_typeEEEZZNS1_29radix_sort_onesweep_iterationIS3_Lb0EN6thrust23THRUST_200600_302600_NS6detail15normal_iteratorINS9_10device_ptrIyEEEESE_PS5_SF_jNS0_19identity_decomposerENS1_16block_id_wrapperIjLb1EEEEE10hipError_tT1_PNSt15iterator_traitsISK_E10value_typeET2_T3_PNSL_ISQ_E10value_typeET4_T5_PSV_SW_PNS1_23onesweep_lookback_stateEbbT6_jjT7_P12ihipStream_tbENKUlT_T0_SK_SP_E_clIPySE_SF_SF_EEDaS13_S14_SK_SP_EUlS13_E_NS1_11comp_targetILNS1_3genE0ELNS1_11target_archE4294967295ELNS1_3gpuE0ELNS1_3repE0EEENS1_47radix_sort_onesweep_sort_config_static_selectorELNS0_4arch9wavefront6targetE1EEEvSK_
	.p2align	8
	.type	_ZN7rocprim17ROCPRIM_400000_NS6detail17trampoline_kernelINS0_14default_configENS1_35radix_sort_onesweep_config_selectorIyNS0_10empty_typeEEEZZNS1_29radix_sort_onesweep_iterationIS3_Lb0EN6thrust23THRUST_200600_302600_NS6detail15normal_iteratorINS9_10device_ptrIyEEEESE_PS5_SF_jNS0_19identity_decomposerENS1_16block_id_wrapperIjLb1EEEEE10hipError_tT1_PNSt15iterator_traitsISK_E10value_typeET2_T3_PNSL_ISQ_E10value_typeET4_T5_PSV_SW_PNS1_23onesweep_lookback_stateEbbT6_jjT7_P12ihipStream_tbENKUlT_T0_SK_SP_E_clIPySE_SF_SF_EEDaS13_S14_SK_SP_EUlS13_E_NS1_11comp_targetILNS1_3genE0ELNS1_11target_archE4294967295ELNS1_3gpuE0ELNS1_3repE0EEENS1_47radix_sort_onesweep_sort_config_static_selectorELNS0_4arch9wavefront6targetE1EEEvSK_,@function
_ZN7rocprim17ROCPRIM_400000_NS6detail17trampoline_kernelINS0_14default_configENS1_35radix_sort_onesweep_config_selectorIyNS0_10empty_typeEEEZZNS1_29radix_sort_onesweep_iterationIS3_Lb0EN6thrust23THRUST_200600_302600_NS6detail15normal_iteratorINS9_10device_ptrIyEEEESE_PS5_SF_jNS0_19identity_decomposerENS1_16block_id_wrapperIjLb1EEEEE10hipError_tT1_PNSt15iterator_traitsISK_E10value_typeET2_T3_PNSL_ISQ_E10value_typeET4_T5_PSV_SW_PNS1_23onesweep_lookback_stateEbbT6_jjT7_P12ihipStream_tbENKUlT_T0_SK_SP_E_clIPySE_SF_SF_EEDaS13_S14_SK_SP_EUlS13_E_NS1_11comp_targetILNS1_3genE0ELNS1_11target_archE4294967295ELNS1_3gpuE0ELNS1_3repE0EEENS1_47radix_sort_onesweep_sort_config_static_selectorELNS0_4arch9wavefront6targetE1EEEvSK_: ; @_ZN7rocprim17ROCPRIM_400000_NS6detail17trampoline_kernelINS0_14default_configENS1_35radix_sort_onesweep_config_selectorIyNS0_10empty_typeEEEZZNS1_29radix_sort_onesweep_iterationIS3_Lb0EN6thrust23THRUST_200600_302600_NS6detail15normal_iteratorINS9_10device_ptrIyEEEESE_PS5_SF_jNS0_19identity_decomposerENS1_16block_id_wrapperIjLb1EEEEE10hipError_tT1_PNSt15iterator_traitsISK_E10value_typeET2_T3_PNSL_ISQ_E10value_typeET4_T5_PSV_SW_PNS1_23onesweep_lookback_stateEbbT6_jjT7_P12ihipStream_tbENKUlT_T0_SK_SP_E_clIPySE_SF_SF_EEDaS13_S14_SK_SP_EUlS13_E_NS1_11comp_targetILNS1_3genE0ELNS1_11target_archE4294967295ELNS1_3gpuE0ELNS1_3repE0EEENS1_47radix_sort_onesweep_sort_config_static_selectorELNS0_4arch9wavefront6targetE1EEEvSK_
; %bb.0:
	.section	.rodata,"a",@progbits
	.p2align	6, 0x0
	.amdhsa_kernel _ZN7rocprim17ROCPRIM_400000_NS6detail17trampoline_kernelINS0_14default_configENS1_35radix_sort_onesweep_config_selectorIyNS0_10empty_typeEEEZZNS1_29radix_sort_onesweep_iterationIS3_Lb0EN6thrust23THRUST_200600_302600_NS6detail15normal_iteratorINS9_10device_ptrIyEEEESE_PS5_SF_jNS0_19identity_decomposerENS1_16block_id_wrapperIjLb1EEEEE10hipError_tT1_PNSt15iterator_traitsISK_E10value_typeET2_T3_PNSL_ISQ_E10value_typeET4_T5_PSV_SW_PNS1_23onesweep_lookback_stateEbbT6_jjT7_P12ihipStream_tbENKUlT_T0_SK_SP_E_clIPySE_SF_SF_EEDaS13_S14_SK_SP_EUlS13_E_NS1_11comp_targetILNS1_3genE0ELNS1_11target_archE4294967295ELNS1_3gpuE0ELNS1_3repE0EEENS1_47radix_sort_onesweep_sort_config_static_selectorELNS0_4arch9wavefront6targetE1EEEvSK_
		.amdhsa_group_segment_fixed_size 0
		.amdhsa_private_segment_fixed_size 0
		.amdhsa_kernarg_size 88
		.amdhsa_user_sgpr_count 6
		.amdhsa_user_sgpr_private_segment_buffer 1
		.amdhsa_user_sgpr_dispatch_ptr 0
		.amdhsa_user_sgpr_queue_ptr 0
		.amdhsa_user_sgpr_kernarg_segment_ptr 1
		.amdhsa_user_sgpr_dispatch_id 0
		.amdhsa_user_sgpr_flat_scratch_init 0
		.amdhsa_user_sgpr_kernarg_preload_length 0
		.amdhsa_user_sgpr_kernarg_preload_offset 0
		.amdhsa_user_sgpr_private_segment_size 0
		.amdhsa_uses_dynamic_stack 0
		.amdhsa_system_sgpr_private_segment_wavefront_offset 0
		.amdhsa_system_sgpr_workgroup_id_x 1
		.amdhsa_system_sgpr_workgroup_id_y 0
		.amdhsa_system_sgpr_workgroup_id_z 0
		.amdhsa_system_sgpr_workgroup_info 0
		.amdhsa_system_vgpr_workitem_id 0
		.amdhsa_next_free_vgpr 1
		.amdhsa_next_free_sgpr 0
		.amdhsa_accum_offset 4
		.amdhsa_reserve_vcc 0
		.amdhsa_reserve_flat_scratch 0
		.amdhsa_float_round_mode_32 0
		.amdhsa_float_round_mode_16_64 0
		.amdhsa_float_denorm_mode_32 3
		.amdhsa_float_denorm_mode_16_64 3
		.amdhsa_dx10_clamp 1
		.amdhsa_ieee_mode 1
		.amdhsa_fp16_overflow 0
		.amdhsa_tg_split 0
		.amdhsa_exception_fp_ieee_invalid_op 0
		.amdhsa_exception_fp_denorm_src 0
		.amdhsa_exception_fp_ieee_div_zero 0
		.amdhsa_exception_fp_ieee_overflow 0
		.amdhsa_exception_fp_ieee_underflow 0
		.amdhsa_exception_fp_ieee_inexact 0
		.amdhsa_exception_int_div_zero 0
	.end_amdhsa_kernel
	.section	.text._ZN7rocprim17ROCPRIM_400000_NS6detail17trampoline_kernelINS0_14default_configENS1_35radix_sort_onesweep_config_selectorIyNS0_10empty_typeEEEZZNS1_29radix_sort_onesweep_iterationIS3_Lb0EN6thrust23THRUST_200600_302600_NS6detail15normal_iteratorINS9_10device_ptrIyEEEESE_PS5_SF_jNS0_19identity_decomposerENS1_16block_id_wrapperIjLb1EEEEE10hipError_tT1_PNSt15iterator_traitsISK_E10value_typeET2_T3_PNSL_ISQ_E10value_typeET4_T5_PSV_SW_PNS1_23onesweep_lookback_stateEbbT6_jjT7_P12ihipStream_tbENKUlT_T0_SK_SP_E_clIPySE_SF_SF_EEDaS13_S14_SK_SP_EUlS13_E_NS1_11comp_targetILNS1_3genE0ELNS1_11target_archE4294967295ELNS1_3gpuE0ELNS1_3repE0EEENS1_47radix_sort_onesweep_sort_config_static_selectorELNS0_4arch9wavefront6targetE1EEEvSK_,"axG",@progbits,_ZN7rocprim17ROCPRIM_400000_NS6detail17trampoline_kernelINS0_14default_configENS1_35radix_sort_onesweep_config_selectorIyNS0_10empty_typeEEEZZNS1_29radix_sort_onesweep_iterationIS3_Lb0EN6thrust23THRUST_200600_302600_NS6detail15normal_iteratorINS9_10device_ptrIyEEEESE_PS5_SF_jNS0_19identity_decomposerENS1_16block_id_wrapperIjLb1EEEEE10hipError_tT1_PNSt15iterator_traitsISK_E10value_typeET2_T3_PNSL_ISQ_E10value_typeET4_T5_PSV_SW_PNS1_23onesweep_lookback_stateEbbT6_jjT7_P12ihipStream_tbENKUlT_T0_SK_SP_E_clIPySE_SF_SF_EEDaS13_S14_SK_SP_EUlS13_E_NS1_11comp_targetILNS1_3genE0ELNS1_11target_archE4294967295ELNS1_3gpuE0ELNS1_3repE0EEENS1_47radix_sort_onesweep_sort_config_static_selectorELNS0_4arch9wavefront6targetE1EEEvSK_,comdat
.Lfunc_end882:
	.size	_ZN7rocprim17ROCPRIM_400000_NS6detail17trampoline_kernelINS0_14default_configENS1_35radix_sort_onesweep_config_selectorIyNS0_10empty_typeEEEZZNS1_29radix_sort_onesweep_iterationIS3_Lb0EN6thrust23THRUST_200600_302600_NS6detail15normal_iteratorINS9_10device_ptrIyEEEESE_PS5_SF_jNS0_19identity_decomposerENS1_16block_id_wrapperIjLb1EEEEE10hipError_tT1_PNSt15iterator_traitsISK_E10value_typeET2_T3_PNSL_ISQ_E10value_typeET4_T5_PSV_SW_PNS1_23onesweep_lookback_stateEbbT6_jjT7_P12ihipStream_tbENKUlT_T0_SK_SP_E_clIPySE_SF_SF_EEDaS13_S14_SK_SP_EUlS13_E_NS1_11comp_targetILNS1_3genE0ELNS1_11target_archE4294967295ELNS1_3gpuE0ELNS1_3repE0EEENS1_47radix_sort_onesweep_sort_config_static_selectorELNS0_4arch9wavefront6targetE1EEEvSK_, .Lfunc_end882-_ZN7rocprim17ROCPRIM_400000_NS6detail17trampoline_kernelINS0_14default_configENS1_35radix_sort_onesweep_config_selectorIyNS0_10empty_typeEEEZZNS1_29radix_sort_onesweep_iterationIS3_Lb0EN6thrust23THRUST_200600_302600_NS6detail15normal_iteratorINS9_10device_ptrIyEEEESE_PS5_SF_jNS0_19identity_decomposerENS1_16block_id_wrapperIjLb1EEEEE10hipError_tT1_PNSt15iterator_traitsISK_E10value_typeET2_T3_PNSL_ISQ_E10value_typeET4_T5_PSV_SW_PNS1_23onesweep_lookback_stateEbbT6_jjT7_P12ihipStream_tbENKUlT_T0_SK_SP_E_clIPySE_SF_SF_EEDaS13_S14_SK_SP_EUlS13_E_NS1_11comp_targetILNS1_3genE0ELNS1_11target_archE4294967295ELNS1_3gpuE0ELNS1_3repE0EEENS1_47radix_sort_onesweep_sort_config_static_selectorELNS0_4arch9wavefront6targetE1EEEvSK_
                                        ; -- End function
	.section	.AMDGPU.csdata,"",@progbits
; Kernel info:
; codeLenInByte = 0
; NumSgprs: 4
; NumVgprs: 0
; NumAgprs: 0
; TotalNumVgprs: 0
; ScratchSize: 0
; MemoryBound: 0
; FloatMode: 240
; IeeeMode: 1
; LDSByteSize: 0 bytes/workgroup (compile time only)
; SGPRBlocks: 0
; VGPRBlocks: 0
; NumSGPRsForWavesPerEU: 4
; NumVGPRsForWavesPerEU: 1
; AccumOffset: 4
; Occupancy: 8
; WaveLimiterHint : 0
; COMPUTE_PGM_RSRC2:SCRATCH_EN: 0
; COMPUTE_PGM_RSRC2:USER_SGPR: 6
; COMPUTE_PGM_RSRC2:TRAP_HANDLER: 0
; COMPUTE_PGM_RSRC2:TGID_X_EN: 1
; COMPUTE_PGM_RSRC2:TGID_Y_EN: 0
; COMPUTE_PGM_RSRC2:TGID_Z_EN: 0
; COMPUTE_PGM_RSRC2:TIDIG_COMP_CNT: 0
; COMPUTE_PGM_RSRC3_GFX90A:ACCUM_OFFSET: 0
; COMPUTE_PGM_RSRC3_GFX90A:TG_SPLIT: 0
	.section	.text._ZN7rocprim17ROCPRIM_400000_NS6detail17trampoline_kernelINS0_14default_configENS1_35radix_sort_onesweep_config_selectorIyNS0_10empty_typeEEEZZNS1_29radix_sort_onesweep_iterationIS3_Lb0EN6thrust23THRUST_200600_302600_NS6detail15normal_iteratorINS9_10device_ptrIyEEEESE_PS5_SF_jNS0_19identity_decomposerENS1_16block_id_wrapperIjLb1EEEEE10hipError_tT1_PNSt15iterator_traitsISK_E10value_typeET2_T3_PNSL_ISQ_E10value_typeET4_T5_PSV_SW_PNS1_23onesweep_lookback_stateEbbT6_jjT7_P12ihipStream_tbENKUlT_T0_SK_SP_E_clIPySE_SF_SF_EEDaS13_S14_SK_SP_EUlS13_E_NS1_11comp_targetILNS1_3genE6ELNS1_11target_archE950ELNS1_3gpuE13ELNS1_3repE0EEENS1_47radix_sort_onesweep_sort_config_static_selectorELNS0_4arch9wavefront6targetE1EEEvSK_,"axG",@progbits,_ZN7rocprim17ROCPRIM_400000_NS6detail17trampoline_kernelINS0_14default_configENS1_35radix_sort_onesweep_config_selectorIyNS0_10empty_typeEEEZZNS1_29radix_sort_onesweep_iterationIS3_Lb0EN6thrust23THRUST_200600_302600_NS6detail15normal_iteratorINS9_10device_ptrIyEEEESE_PS5_SF_jNS0_19identity_decomposerENS1_16block_id_wrapperIjLb1EEEEE10hipError_tT1_PNSt15iterator_traitsISK_E10value_typeET2_T3_PNSL_ISQ_E10value_typeET4_T5_PSV_SW_PNS1_23onesweep_lookback_stateEbbT6_jjT7_P12ihipStream_tbENKUlT_T0_SK_SP_E_clIPySE_SF_SF_EEDaS13_S14_SK_SP_EUlS13_E_NS1_11comp_targetILNS1_3genE6ELNS1_11target_archE950ELNS1_3gpuE13ELNS1_3repE0EEENS1_47radix_sort_onesweep_sort_config_static_selectorELNS0_4arch9wavefront6targetE1EEEvSK_,comdat
	.protected	_ZN7rocprim17ROCPRIM_400000_NS6detail17trampoline_kernelINS0_14default_configENS1_35radix_sort_onesweep_config_selectorIyNS0_10empty_typeEEEZZNS1_29radix_sort_onesweep_iterationIS3_Lb0EN6thrust23THRUST_200600_302600_NS6detail15normal_iteratorINS9_10device_ptrIyEEEESE_PS5_SF_jNS0_19identity_decomposerENS1_16block_id_wrapperIjLb1EEEEE10hipError_tT1_PNSt15iterator_traitsISK_E10value_typeET2_T3_PNSL_ISQ_E10value_typeET4_T5_PSV_SW_PNS1_23onesweep_lookback_stateEbbT6_jjT7_P12ihipStream_tbENKUlT_T0_SK_SP_E_clIPySE_SF_SF_EEDaS13_S14_SK_SP_EUlS13_E_NS1_11comp_targetILNS1_3genE6ELNS1_11target_archE950ELNS1_3gpuE13ELNS1_3repE0EEENS1_47radix_sort_onesweep_sort_config_static_selectorELNS0_4arch9wavefront6targetE1EEEvSK_ ; -- Begin function _ZN7rocprim17ROCPRIM_400000_NS6detail17trampoline_kernelINS0_14default_configENS1_35radix_sort_onesweep_config_selectorIyNS0_10empty_typeEEEZZNS1_29radix_sort_onesweep_iterationIS3_Lb0EN6thrust23THRUST_200600_302600_NS6detail15normal_iteratorINS9_10device_ptrIyEEEESE_PS5_SF_jNS0_19identity_decomposerENS1_16block_id_wrapperIjLb1EEEEE10hipError_tT1_PNSt15iterator_traitsISK_E10value_typeET2_T3_PNSL_ISQ_E10value_typeET4_T5_PSV_SW_PNS1_23onesweep_lookback_stateEbbT6_jjT7_P12ihipStream_tbENKUlT_T0_SK_SP_E_clIPySE_SF_SF_EEDaS13_S14_SK_SP_EUlS13_E_NS1_11comp_targetILNS1_3genE6ELNS1_11target_archE950ELNS1_3gpuE13ELNS1_3repE0EEENS1_47radix_sort_onesweep_sort_config_static_selectorELNS0_4arch9wavefront6targetE1EEEvSK_
	.globl	_ZN7rocprim17ROCPRIM_400000_NS6detail17trampoline_kernelINS0_14default_configENS1_35radix_sort_onesweep_config_selectorIyNS0_10empty_typeEEEZZNS1_29radix_sort_onesweep_iterationIS3_Lb0EN6thrust23THRUST_200600_302600_NS6detail15normal_iteratorINS9_10device_ptrIyEEEESE_PS5_SF_jNS0_19identity_decomposerENS1_16block_id_wrapperIjLb1EEEEE10hipError_tT1_PNSt15iterator_traitsISK_E10value_typeET2_T3_PNSL_ISQ_E10value_typeET4_T5_PSV_SW_PNS1_23onesweep_lookback_stateEbbT6_jjT7_P12ihipStream_tbENKUlT_T0_SK_SP_E_clIPySE_SF_SF_EEDaS13_S14_SK_SP_EUlS13_E_NS1_11comp_targetILNS1_3genE6ELNS1_11target_archE950ELNS1_3gpuE13ELNS1_3repE0EEENS1_47radix_sort_onesweep_sort_config_static_selectorELNS0_4arch9wavefront6targetE1EEEvSK_
	.p2align	8
	.type	_ZN7rocprim17ROCPRIM_400000_NS6detail17trampoline_kernelINS0_14default_configENS1_35radix_sort_onesweep_config_selectorIyNS0_10empty_typeEEEZZNS1_29radix_sort_onesweep_iterationIS3_Lb0EN6thrust23THRUST_200600_302600_NS6detail15normal_iteratorINS9_10device_ptrIyEEEESE_PS5_SF_jNS0_19identity_decomposerENS1_16block_id_wrapperIjLb1EEEEE10hipError_tT1_PNSt15iterator_traitsISK_E10value_typeET2_T3_PNSL_ISQ_E10value_typeET4_T5_PSV_SW_PNS1_23onesweep_lookback_stateEbbT6_jjT7_P12ihipStream_tbENKUlT_T0_SK_SP_E_clIPySE_SF_SF_EEDaS13_S14_SK_SP_EUlS13_E_NS1_11comp_targetILNS1_3genE6ELNS1_11target_archE950ELNS1_3gpuE13ELNS1_3repE0EEENS1_47radix_sort_onesweep_sort_config_static_selectorELNS0_4arch9wavefront6targetE1EEEvSK_,@function
_ZN7rocprim17ROCPRIM_400000_NS6detail17trampoline_kernelINS0_14default_configENS1_35radix_sort_onesweep_config_selectorIyNS0_10empty_typeEEEZZNS1_29radix_sort_onesweep_iterationIS3_Lb0EN6thrust23THRUST_200600_302600_NS6detail15normal_iteratorINS9_10device_ptrIyEEEESE_PS5_SF_jNS0_19identity_decomposerENS1_16block_id_wrapperIjLb1EEEEE10hipError_tT1_PNSt15iterator_traitsISK_E10value_typeET2_T3_PNSL_ISQ_E10value_typeET4_T5_PSV_SW_PNS1_23onesweep_lookback_stateEbbT6_jjT7_P12ihipStream_tbENKUlT_T0_SK_SP_E_clIPySE_SF_SF_EEDaS13_S14_SK_SP_EUlS13_E_NS1_11comp_targetILNS1_3genE6ELNS1_11target_archE950ELNS1_3gpuE13ELNS1_3repE0EEENS1_47radix_sort_onesweep_sort_config_static_selectorELNS0_4arch9wavefront6targetE1EEEvSK_: ; @_ZN7rocprim17ROCPRIM_400000_NS6detail17trampoline_kernelINS0_14default_configENS1_35radix_sort_onesweep_config_selectorIyNS0_10empty_typeEEEZZNS1_29radix_sort_onesweep_iterationIS3_Lb0EN6thrust23THRUST_200600_302600_NS6detail15normal_iteratorINS9_10device_ptrIyEEEESE_PS5_SF_jNS0_19identity_decomposerENS1_16block_id_wrapperIjLb1EEEEE10hipError_tT1_PNSt15iterator_traitsISK_E10value_typeET2_T3_PNSL_ISQ_E10value_typeET4_T5_PSV_SW_PNS1_23onesweep_lookback_stateEbbT6_jjT7_P12ihipStream_tbENKUlT_T0_SK_SP_E_clIPySE_SF_SF_EEDaS13_S14_SK_SP_EUlS13_E_NS1_11comp_targetILNS1_3genE6ELNS1_11target_archE950ELNS1_3gpuE13ELNS1_3repE0EEENS1_47radix_sort_onesweep_sort_config_static_selectorELNS0_4arch9wavefront6targetE1EEEvSK_
; %bb.0:
	.section	.rodata,"a",@progbits
	.p2align	6, 0x0
	.amdhsa_kernel _ZN7rocprim17ROCPRIM_400000_NS6detail17trampoline_kernelINS0_14default_configENS1_35radix_sort_onesweep_config_selectorIyNS0_10empty_typeEEEZZNS1_29radix_sort_onesweep_iterationIS3_Lb0EN6thrust23THRUST_200600_302600_NS6detail15normal_iteratorINS9_10device_ptrIyEEEESE_PS5_SF_jNS0_19identity_decomposerENS1_16block_id_wrapperIjLb1EEEEE10hipError_tT1_PNSt15iterator_traitsISK_E10value_typeET2_T3_PNSL_ISQ_E10value_typeET4_T5_PSV_SW_PNS1_23onesweep_lookback_stateEbbT6_jjT7_P12ihipStream_tbENKUlT_T0_SK_SP_E_clIPySE_SF_SF_EEDaS13_S14_SK_SP_EUlS13_E_NS1_11comp_targetILNS1_3genE6ELNS1_11target_archE950ELNS1_3gpuE13ELNS1_3repE0EEENS1_47radix_sort_onesweep_sort_config_static_selectorELNS0_4arch9wavefront6targetE1EEEvSK_
		.amdhsa_group_segment_fixed_size 0
		.amdhsa_private_segment_fixed_size 0
		.amdhsa_kernarg_size 88
		.amdhsa_user_sgpr_count 6
		.amdhsa_user_sgpr_private_segment_buffer 1
		.amdhsa_user_sgpr_dispatch_ptr 0
		.amdhsa_user_sgpr_queue_ptr 0
		.amdhsa_user_sgpr_kernarg_segment_ptr 1
		.amdhsa_user_sgpr_dispatch_id 0
		.amdhsa_user_sgpr_flat_scratch_init 0
		.amdhsa_user_sgpr_kernarg_preload_length 0
		.amdhsa_user_sgpr_kernarg_preload_offset 0
		.amdhsa_user_sgpr_private_segment_size 0
		.amdhsa_uses_dynamic_stack 0
		.amdhsa_system_sgpr_private_segment_wavefront_offset 0
		.amdhsa_system_sgpr_workgroup_id_x 1
		.amdhsa_system_sgpr_workgroup_id_y 0
		.amdhsa_system_sgpr_workgroup_id_z 0
		.amdhsa_system_sgpr_workgroup_info 0
		.amdhsa_system_vgpr_workitem_id 0
		.amdhsa_next_free_vgpr 1
		.amdhsa_next_free_sgpr 0
		.amdhsa_accum_offset 4
		.amdhsa_reserve_vcc 0
		.amdhsa_reserve_flat_scratch 0
		.amdhsa_float_round_mode_32 0
		.amdhsa_float_round_mode_16_64 0
		.amdhsa_float_denorm_mode_32 3
		.amdhsa_float_denorm_mode_16_64 3
		.amdhsa_dx10_clamp 1
		.amdhsa_ieee_mode 1
		.amdhsa_fp16_overflow 0
		.amdhsa_tg_split 0
		.amdhsa_exception_fp_ieee_invalid_op 0
		.amdhsa_exception_fp_denorm_src 0
		.amdhsa_exception_fp_ieee_div_zero 0
		.amdhsa_exception_fp_ieee_overflow 0
		.amdhsa_exception_fp_ieee_underflow 0
		.amdhsa_exception_fp_ieee_inexact 0
		.amdhsa_exception_int_div_zero 0
	.end_amdhsa_kernel
	.section	.text._ZN7rocprim17ROCPRIM_400000_NS6detail17trampoline_kernelINS0_14default_configENS1_35radix_sort_onesweep_config_selectorIyNS0_10empty_typeEEEZZNS1_29radix_sort_onesweep_iterationIS3_Lb0EN6thrust23THRUST_200600_302600_NS6detail15normal_iteratorINS9_10device_ptrIyEEEESE_PS5_SF_jNS0_19identity_decomposerENS1_16block_id_wrapperIjLb1EEEEE10hipError_tT1_PNSt15iterator_traitsISK_E10value_typeET2_T3_PNSL_ISQ_E10value_typeET4_T5_PSV_SW_PNS1_23onesweep_lookback_stateEbbT6_jjT7_P12ihipStream_tbENKUlT_T0_SK_SP_E_clIPySE_SF_SF_EEDaS13_S14_SK_SP_EUlS13_E_NS1_11comp_targetILNS1_3genE6ELNS1_11target_archE950ELNS1_3gpuE13ELNS1_3repE0EEENS1_47radix_sort_onesweep_sort_config_static_selectorELNS0_4arch9wavefront6targetE1EEEvSK_,"axG",@progbits,_ZN7rocprim17ROCPRIM_400000_NS6detail17trampoline_kernelINS0_14default_configENS1_35radix_sort_onesweep_config_selectorIyNS0_10empty_typeEEEZZNS1_29radix_sort_onesweep_iterationIS3_Lb0EN6thrust23THRUST_200600_302600_NS6detail15normal_iteratorINS9_10device_ptrIyEEEESE_PS5_SF_jNS0_19identity_decomposerENS1_16block_id_wrapperIjLb1EEEEE10hipError_tT1_PNSt15iterator_traitsISK_E10value_typeET2_T3_PNSL_ISQ_E10value_typeET4_T5_PSV_SW_PNS1_23onesweep_lookback_stateEbbT6_jjT7_P12ihipStream_tbENKUlT_T0_SK_SP_E_clIPySE_SF_SF_EEDaS13_S14_SK_SP_EUlS13_E_NS1_11comp_targetILNS1_3genE6ELNS1_11target_archE950ELNS1_3gpuE13ELNS1_3repE0EEENS1_47radix_sort_onesweep_sort_config_static_selectorELNS0_4arch9wavefront6targetE1EEEvSK_,comdat
.Lfunc_end883:
	.size	_ZN7rocprim17ROCPRIM_400000_NS6detail17trampoline_kernelINS0_14default_configENS1_35radix_sort_onesweep_config_selectorIyNS0_10empty_typeEEEZZNS1_29radix_sort_onesweep_iterationIS3_Lb0EN6thrust23THRUST_200600_302600_NS6detail15normal_iteratorINS9_10device_ptrIyEEEESE_PS5_SF_jNS0_19identity_decomposerENS1_16block_id_wrapperIjLb1EEEEE10hipError_tT1_PNSt15iterator_traitsISK_E10value_typeET2_T3_PNSL_ISQ_E10value_typeET4_T5_PSV_SW_PNS1_23onesweep_lookback_stateEbbT6_jjT7_P12ihipStream_tbENKUlT_T0_SK_SP_E_clIPySE_SF_SF_EEDaS13_S14_SK_SP_EUlS13_E_NS1_11comp_targetILNS1_3genE6ELNS1_11target_archE950ELNS1_3gpuE13ELNS1_3repE0EEENS1_47radix_sort_onesweep_sort_config_static_selectorELNS0_4arch9wavefront6targetE1EEEvSK_, .Lfunc_end883-_ZN7rocprim17ROCPRIM_400000_NS6detail17trampoline_kernelINS0_14default_configENS1_35radix_sort_onesweep_config_selectorIyNS0_10empty_typeEEEZZNS1_29radix_sort_onesweep_iterationIS3_Lb0EN6thrust23THRUST_200600_302600_NS6detail15normal_iteratorINS9_10device_ptrIyEEEESE_PS5_SF_jNS0_19identity_decomposerENS1_16block_id_wrapperIjLb1EEEEE10hipError_tT1_PNSt15iterator_traitsISK_E10value_typeET2_T3_PNSL_ISQ_E10value_typeET4_T5_PSV_SW_PNS1_23onesweep_lookback_stateEbbT6_jjT7_P12ihipStream_tbENKUlT_T0_SK_SP_E_clIPySE_SF_SF_EEDaS13_S14_SK_SP_EUlS13_E_NS1_11comp_targetILNS1_3genE6ELNS1_11target_archE950ELNS1_3gpuE13ELNS1_3repE0EEENS1_47radix_sort_onesweep_sort_config_static_selectorELNS0_4arch9wavefront6targetE1EEEvSK_
                                        ; -- End function
	.section	.AMDGPU.csdata,"",@progbits
; Kernel info:
; codeLenInByte = 0
; NumSgprs: 4
; NumVgprs: 0
; NumAgprs: 0
; TotalNumVgprs: 0
; ScratchSize: 0
; MemoryBound: 0
; FloatMode: 240
; IeeeMode: 1
; LDSByteSize: 0 bytes/workgroup (compile time only)
; SGPRBlocks: 0
; VGPRBlocks: 0
; NumSGPRsForWavesPerEU: 4
; NumVGPRsForWavesPerEU: 1
; AccumOffset: 4
; Occupancy: 8
; WaveLimiterHint : 0
; COMPUTE_PGM_RSRC2:SCRATCH_EN: 0
; COMPUTE_PGM_RSRC2:USER_SGPR: 6
; COMPUTE_PGM_RSRC2:TRAP_HANDLER: 0
; COMPUTE_PGM_RSRC2:TGID_X_EN: 1
; COMPUTE_PGM_RSRC2:TGID_Y_EN: 0
; COMPUTE_PGM_RSRC2:TGID_Z_EN: 0
; COMPUTE_PGM_RSRC2:TIDIG_COMP_CNT: 0
; COMPUTE_PGM_RSRC3_GFX90A:ACCUM_OFFSET: 0
; COMPUTE_PGM_RSRC3_GFX90A:TG_SPLIT: 0
	.section	.text._ZN7rocprim17ROCPRIM_400000_NS6detail17trampoline_kernelINS0_14default_configENS1_35radix_sort_onesweep_config_selectorIyNS0_10empty_typeEEEZZNS1_29radix_sort_onesweep_iterationIS3_Lb0EN6thrust23THRUST_200600_302600_NS6detail15normal_iteratorINS9_10device_ptrIyEEEESE_PS5_SF_jNS0_19identity_decomposerENS1_16block_id_wrapperIjLb1EEEEE10hipError_tT1_PNSt15iterator_traitsISK_E10value_typeET2_T3_PNSL_ISQ_E10value_typeET4_T5_PSV_SW_PNS1_23onesweep_lookback_stateEbbT6_jjT7_P12ihipStream_tbENKUlT_T0_SK_SP_E_clIPySE_SF_SF_EEDaS13_S14_SK_SP_EUlS13_E_NS1_11comp_targetILNS1_3genE5ELNS1_11target_archE942ELNS1_3gpuE9ELNS1_3repE0EEENS1_47radix_sort_onesweep_sort_config_static_selectorELNS0_4arch9wavefront6targetE1EEEvSK_,"axG",@progbits,_ZN7rocprim17ROCPRIM_400000_NS6detail17trampoline_kernelINS0_14default_configENS1_35radix_sort_onesweep_config_selectorIyNS0_10empty_typeEEEZZNS1_29radix_sort_onesweep_iterationIS3_Lb0EN6thrust23THRUST_200600_302600_NS6detail15normal_iteratorINS9_10device_ptrIyEEEESE_PS5_SF_jNS0_19identity_decomposerENS1_16block_id_wrapperIjLb1EEEEE10hipError_tT1_PNSt15iterator_traitsISK_E10value_typeET2_T3_PNSL_ISQ_E10value_typeET4_T5_PSV_SW_PNS1_23onesweep_lookback_stateEbbT6_jjT7_P12ihipStream_tbENKUlT_T0_SK_SP_E_clIPySE_SF_SF_EEDaS13_S14_SK_SP_EUlS13_E_NS1_11comp_targetILNS1_3genE5ELNS1_11target_archE942ELNS1_3gpuE9ELNS1_3repE0EEENS1_47radix_sort_onesweep_sort_config_static_selectorELNS0_4arch9wavefront6targetE1EEEvSK_,comdat
	.protected	_ZN7rocprim17ROCPRIM_400000_NS6detail17trampoline_kernelINS0_14default_configENS1_35radix_sort_onesweep_config_selectorIyNS0_10empty_typeEEEZZNS1_29radix_sort_onesweep_iterationIS3_Lb0EN6thrust23THRUST_200600_302600_NS6detail15normal_iteratorINS9_10device_ptrIyEEEESE_PS5_SF_jNS0_19identity_decomposerENS1_16block_id_wrapperIjLb1EEEEE10hipError_tT1_PNSt15iterator_traitsISK_E10value_typeET2_T3_PNSL_ISQ_E10value_typeET4_T5_PSV_SW_PNS1_23onesweep_lookback_stateEbbT6_jjT7_P12ihipStream_tbENKUlT_T0_SK_SP_E_clIPySE_SF_SF_EEDaS13_S14_SK_SP_EUlS13_E_NS1_11comp_targetILNS1_3genE5ELNS1_11target_archE942ELNS1_3gpuE9ELNS1_3repE0EEENS1_47radix_sort_onesweep_sort_config_static_selectorELNS0_4arch9wavefront6targetE1EEEvSK_ ; -- Begin function _ZN7rocprim17ROCPRIM_400000_NS6detail17trampoline_kernelINS0_14default_configENS1_35radix_sort_onesweep_config_selectorIyNS0_10empty_typeEEEZZNS1_29radix_sort_onesweep_iterationIS3_Lb0EN6thrust23THRUST_200600_302600_NS6detail15normal_iteratorINS9_10device_ptrIyEEEESE_PS5_SF_jNS0_19identity_decomposerENS1_16block_id_wrapperIjLb1EEEEE10hipError_tT1_PNSt15iterator_traitsISK_E10value_typeET2_T3_PNSL_ISQ_E10value_typeET4_T5_PSV_SW_PNS1_23onesweep_lookback_stateEbbT6_jjT7_P12ihipStream_tbENKUlT_T0_SK_SP_E_clIPySE_SF_SF_EEDaS13_S14_SK_SP_EUlS13_E_NS1_11comp_targetILNS1_3genE5ELNS1_11target_archE942ELNS1_3gpuE9ELNS1_3repE0EEENS1_47radix_sort_onesweep_sort_config_static_selectorELNS0_4arch9wavefront6targetE1EEEvSK_
	.globl	_ZN7rocprim17ROCPRIM_400000_NS6detail17trampoline_kernelINS0_14default_configENS1_35radix_sort_onesweep_config_selectorIyNS0_10empty_typeEEEZZNS1_29radix_sort_onesweep_iterationIS3_Lb0EN6thrust23THRUST_200600_302600_NS6detail15normal_iteratorINS9_10device_ptrIyEEEESE_PS5_SF_jNS0_19identity_decomposerENS1_16block_id_wrapperIjLb1EEEEE10hipError_tT1_PNSt15iterator_traitsISK_E10value_typeET2_T3_PNSL_ISQ_E10value_typeET4_T5_PSV_SW_PNS1_23onesweep_lookback_stateEbbT6_jjT7_P12ihipStream_tbENKUlT_T0_SK_SP_E_clIPySE_SF_SF_EEDaS13_S14_SK_SP_EUlS13_E_NS1_11comp_targetILNS1_3genE5ELNS1_11target_archE942ELNS1_3gpuE9ELNS1_3repE0EEENS1_47radix_sort_onesweep_sort_config_static_selectorELNS0_4arch9wavefront6targetE1EEEvSK_
	.p2align	8
	.type	_ZN7rocprim17ROCPRIM_400000_NS6detail17trampoline_kernelINS0_14default_configENS1_35radix_sort_onesweep_config_selectorIyNS0_10empty_typeEEEZZNS1_29radix_sort_onesweep_iterationIS3_Lb0EN6thrust23THRUST_200600_302600_NS6detail15normal_iteratorINS9_10device_ptrIyEEEESE_PS5_SF_jNS0_19identity_decomposerENS1_16block_id_wrapperIjLb1EEEEE10hipError_tT1_PNSt15iterator_traitsISK_E10value_typeET2_T3_PNSL_ISQ_E10value_typeET4_T5_PSV_SW_PNS1_23onesweep_lookback_stateEbbT6_jjT7_P12ihipStream_tbENKUlT_T0_SK_SP_E_clIPySE_SF_SF_EEDaS13_S14_SK_SP_EUlS13_E_NS1_11comp_targetILNS1_3genE5ELNS1_11target_archE942ELNS1_3gpuE9ELNS1_3repE0EEENS1_47radix_sort_onesweep_sort_config_static_selectorELNS0_4arch9wavefront6targetE1EEEvSK_,@function
_ZN7rocprim17ROCPRIM_400000_NS6detail17trampoline_kernelINS0_14default_configENS1_35radix_sort_onesweep_config_selectorIyNS0_10empty_typeEEEZZNS1_29radix_sort_onesweep_iterationIS3_Lb0EN6thrust23THRUST_200600_302600_NS6detail15normal_iteratorINS9_10device_ptrIyEEEESE_PS5_SF_jNS0_19identity_decomposerENS1_16block_id_wrapperIjLb1EEEEE10hipError_tT1_PNSt15iterator_traitsISK_E10value_typeET2_T3_PNSL_ISQ_E10value_typeET4_T5_PSV_SW_PNS1_23onesweep_lookback_stateEbbT6_jjT7_P12ihipStream_tbENKUlT_T0_SK_SP_E_clIPySE_SF_SF_EEDaS13_S14_SK_SP_EUlS13_E_NS1_11comp_targetILNS1_3genE5ELNS1_11target_archE942ELNS1_3gpuE9ELNS1_3repE0EEENS1_47radix_sort_onesweep_sort_config_static_selectorELNS0_4arch9wavefront6targetE1EEEvSK_: ; @_ZN7rocprim17ROCPRIM_400000_NS6detail17trampoline_kernelINS0_14default_configENS1_35radix_sort_onesweep_config_selectorIyNS0_10empty_typeEEEZZNS1_29radix_sort_onesweep_iterationIS3_Lb0EN6thrust23THRUST_200600_302600_NS6detail15normal_iteratorINS9_10device_ptrIyEEEESE_PS5_SF_jNS0_19identity_decomposerENS1_16block_id_wrapperIjLb1EEEEE10hipError_tT1_PNSt15iterator_traitsISK_E10value_typeET2_T3_PNSL_ISQ_E10value_typeET4_T5_PSV_SW_PNS1_23onesweep_lookback_stateEbbT6_jjT7_P12ihipStream_tbENKUlT_T0_SK_SP_E_clIPySE_SF_SF_EEDaS13_S14_SK_SP_EUlS13_E_NS1_11comp_targetILNS1_3genE5ELNS1_11target_archE942ELNS1_3gpuE9ELNS1_3repE0EEENS1_47radix_sort_onesweep_sort_config_static_selectorELNS0_4arch9wavefront6targetE1EEEvSK_
; %bb.0:
	.section	.rodata,"a",@progbits
	.p2align	6, 0x0
	.amdhsa_kernel _ZN7rocprim17ROCPRIM_400000_NS6detail17trampoline_kernelINS0_14default_configENS1_35radix_sort_onesweep_config_selectorIyNS0_10empty_typeEEEZZNS1_29radix_sort_onesweep_iterationIS3_Lb0EN6thrust23THRUST_200600_302600_NS6detail15normal_iteratorINS9_10device_ptrIyEEEESE_PS5_SF_jNS0_19identity_decomposerENS1_16block_id_wrapperIjLb1EEEEE10hipError_tT1_PNSt15iterator_traitsISK_E10value_typeET2_T3_PNSL_ISQ_E10value_typeET4_T5_PSV_SW_PNS1_23onesweep_lookback_stateEbbT6_jjT7_P12ihipStream_tbENKUlT_T0_SK_SP_E_clIPySE_SF_SF_EEDaS13_S14_SK_SP_EUlS13_E_NS1_11comp_targetILNS1_3genE5ELNS1_11target_archE942ELNS1_3gpuE9ELNS1_3repE0EEENS1_47radix_sort_onesweep_sort_config_static_selectorELNS0_4arch9wavefront6targetE1EEEvSK_
		.amdhsa_group_segment_fixed_size 0
		.amdhsa_private_segment_fixed_size 0
		.amdhsa_kernarg_size 88
		.amdhsa_user_sgpr_count 6
		.amdhsa_user_sgpr_private_segment_buffer 1
		.amdhsa_user_sgpr_dispatch_ptr 0
		.amdhsa_user_sgpr_queue_ptr 0
		.amdhsa_user_sgpr_kernarg_segment_ptr 1
		.amdhsa_user_sgpr_dispatch_id 0
		.amdhsa_user_sgpr_flat_scratch_init 0
		.amdhsa_user_sgpr_kernarg_preload_length 0
		.amdhsa_user_sgpr_kernarg_preload_offset 0
		.amdhsa_user_sgpr_private_segment_size 0
		.amdhsa_uses_dynamic_stack 0
		.amdhsa_system_sgpr_private_segment_wavefront_offset 0
		.amdhsa_system_sgpr_workgroup_id_x 1
		.amdhsa_system_sgpr_workgroup_id_y 0
		.amdhsa_system_sgpr_workgroup_id_z 0
		.amdhsa_system_sgpr_workgroup_info 0
		.amdhsa_system_vgpr_workitem_id 0
		.amdhsa_next_free_vgpr 1
		.amdhsa_next_free_sgpr 0
		.amdhsa_accum_offset 4
		.amdhsa_reserve_vcc 0
		.amdhsa_reserve_flat_scratch 0
		.amdhsa_float_round_mode_32 0
		.amdhsa_float_round_mode_16_64 0
		.amdhsa_float_denorm_mode_32 3
		.amdhsa_float_denorm_mode_16_64 3
		.amdhsa_dx10_clamp 1
		.amdhsa_ieee_mode 1
		.amdhsa_fp16_overflow 0
		.amdhsa_tg_split 0
		.amdhsa_exception_fp_ieee_invalid_op 0
		.amdhsa_exception_fp_denorm_src 0
		.amdhsa_exception_fp_ieee_div_zero 0
		.amdhsa_exception_fp_ieee_overflow 0
		.amdhsa_exception_fp_ieee_underflow 0
		.amdhsa_exception_fp_ieee_inexact 0
		.amdhsa_exception_int_div_zero 0
	.end_amdhsa_kernel
	.section	.text._ZN7rocprim17ROCPRIM_400000_NS6detail17trampoline_kernelINS0_14default_configENS1_35radix_sort_onesweep_config_selectorIyNS0_10empty_typeEEEZZNS1_29radix_sort_onesweep_iterationIS3_Lb0EN6thrust23THRUST_200600_302600_NS6detail15normal_iteratorINS9_10device_ptrIyEEEESE_PS5_SF_jNS0_19identity_decomposerENS1_16block_id_wrapperIjLb1EEEEE10hipError_tT1_PNSt15iterator_traitsISK_E10value_typeET2_T3_PNSL_ISQ_E10value_typeET4_T5_PSV_SW_PNS1_23onesweep_lookback_stateEbbT6_jjT7_P12ihipStream_tbENKUlT_T0_SK_SP_E_clIPySE_SF_SF_EEDaS13_S14_SK_SP_EUlS13_E_NS1_11comp_targetILNS1_3genE5ELNS1_11target_archE942ELNS1_3gpuE9ELNS1_3repE0EEENS1_47radix_sort_onesweep_sort_config_static_selectorELNS0_4arch9wavefront6targetE1EEEvSK_,"axG",@progbits,_ZN7rocprim17ROCPRIM_400000_NS6detail17trampoline_kernelINS0_14default_configENS1_35radix_sort_onesweep_config_selectorIyNS0_10empty_typeEEEZZNS1_29radix_sort_onesweep_iterationIS3_Lb0EN6thrust23THRUST_200600_302600_NS6detail15normal_iteratorINS9_10device_ptrIyEEEESE_PS5_SF_jNS0_19identity_decomposerENS1_16block_id_wrapperIjLb1EEEEE10hipError_tT1_PNSt15iterator_traitsISK_E10value_typeET2_T3_PNSL_ISQ_E10value_typeET4_T5_PSV_SW_PNS1_23onesweep_lookback_stateEbbT6_jjT7_P12ihipStream_tbENKUlT_T0_SK_SP_E_clIPySE_SF_SF_EEDaS13_S14_SK_SP_EUlS13_E_NS1_11comp_targetILNS1_3genE5ELNS1_11target_archE942ELNS1_3gpuE9ELNS1_3repE0EEENS1_47radix_sort_onesweep_sort_config_static_selectorELNS0_4arch9wavefront6targetE1EEEvSK_,comdat
.Lfunc_end884:
	.size	_ZN7rocprim17ROCPRIM_400000_NS6detail17trampoline_kernelINS0_14default_configENS1_35radix_sort_onesweep_config_selectorIyNS0_10empty_typeEEEZZNS1_29radix_sort_onesweep_iterationIS3_Lb0EN6thrust23THRUST_200600_302600_NS6detail15normal_iteratorINS9_10device_ptrIyEEEESE_PS5_SF_jNS0_19identity_decomposerENS1_16block_id_wrapperIjLb1EEEEE10hipError_tT1_PNSt15iterator_traitsISK_E10value_typeET2_T3_PNSL_ISQ_E10value_typeET4_T5_PSV_SW_PNS1_23onesweep_lookback_stateEbbT6_jjT7_P12ihipStream_tbENKUlT_T0_SK_SP_E_clIPySE_SF_SF_EEDaS13_S14_SK_SP_EUlS13_E_NS1_11comp_targetILNS1_3genE5ELNS1_11target_archE942ELNS1_3gpuE9ELNS1_3repE0EEENS1_47radix_sort_onesweep_sort_config_static_selectorELNS0_4arch9wavefront6targetE1EEEvSK_, .Lfunc_end884-_ZN7rocprim17ROCPRIM_400000_NS6detail17trampoline_kernelINS0_14default_configENS1_35radix_sort_onesweep_config_selectorIyNS0_10empty_typeEEEZZNS1_29radix_sort_onesweep_iterationIS3_Lb0EN6thrust23THRUST_200600_302600_NS6detail15normal_iteratorINS9_10device_ptrIyEEEESE_PS5_SF_jNS0_19identity_decomposerENS1_16block_id_wrapperIjLb1EEEEE10hipError_tT1_PNSt15iterator_traitsISK_E10value_typeET2_T3_PNSL_ISQ_E10value_typeET4_T5_PSV_SW_PNS1_23onesweep_lookback_stateEbbT6_jjT7_P12ihipStream_tbENKUlT_T0_SK_SP_E_clIPySE_SF_SF_EEDaS13_S14_SK_SP_EUlS13_E_NS1_11comp_targetILNS1_3genE5ELNS1_11target_archE942ELNS1_3gpuE9ELNS1_3repE0EEENS1_47radix_sort_onesweep_sort_config_static_selectorELNS0_4arch9wavefront6targetE1EEEvSK_
                                        ; -- End function
	.section	.AMDGPU.csdata,"",@progbits
; Kernel info:
; codeLenInByte = 0
; NumSgprs: 4
; NumVgprs: 0
; NumAgprs: 0
; TotalNumVgprs: 0
; ScratchSize: 0
; MemoryBound: 0
; FloatMode: 240
; IeeeMode: 1
; LDSByteSize: 0 bytes/workgroup (compile time only)
; SGPRBlocks: 0
; VGPRBlocks: 0
; NumSGPRsForWavesPerEU: 4
; NumVGPRsForWavesPerEU: 1
; AccumOffset: 4
; Occupancy: 8
; WaveLimiterHint : 0
; COMPUTE_PGM_RSRC2:SCRATCH_EN: 0
; COMPUTE_PGM_RSRC2:USER_SGPR: 6
; COMPUTE_PGM_RSRC2:TRAP_HANDLER: 0
; COMPUTE_PGM_RSRC2:TGID_X_EN: 1
; COMPUTE_PGM_RSRC2:TGID_Y_EN: 0
; COMPUTE_PGM_RSRC2:TGID_Z_EN: 0
; COMPUTE_PGM_RSRC2:TIDIG_COMP_CNT: 0
; COMPUTE_PGM_RSRC3_GFX90A:ACCUM_OFFSET: 0
; COMPUTE_PGM_RSRC3_GFX90A:TG_SPLIT: 0
	.section	.text._ZN7rocprim17ROCPRIM_400000_NS6detail17trampoline_kernelINS0_14default_configENS1_35radix_sort_onesweep_config_selectorIyNS0_10empty_typeEEEZZNS1_29radix_sort_onesweep_iterationIS3_Lb0EN6thrust23THRUST_200600_302600_NS6detail15normal_iteratorINS9_10device_ptrIyEEEESE_PS5_SF_jNS0_19identity_decomposerENS1_16block_id_wrapperIjLb1EEEEE10hipError_tT1_PNSt15iterator_traitsISK_E10value_typeET2_T3_PNSL_ISQ_E10value_typeET4_T5_PSV_SW_PNS1_23onesweep_lookback_stateEbbT6_jjT7_P12ihipStream_tbENKUlT_T0_SK_SP_E_clIPySE_SF_SF_EEDaS13_S14_SK_SP_EUlS13_E_NS1_11comp_targetILNS1_3genE2ELNS1_11target_archE906ELNS1_3gpuE6ELNS1_3repE0EEENS1_47radix_sort_onesweep_sort_config_static_selectorELNS0_4arch9wavefront6targetE1EEEvSK_,"axG",@progbits,_ZN7rocprim17ROCPRIM_400000_NS6detail17trampoline_kernelINS0_14default_configENS1_35radix_sort_onesweep_config_selectorIyNS0_10empty_typeEEEZZNS1_29radix_sort_onesweep_iterationIS3_Lb0EN6thrust23THRUST_200600_302600_NS6detail15normal_iteratorINS9_10device_ptrIyEEEESE_PS5_SF_jNS0_19identity_decomposerENS1_16block_id_wrapperIjLb1EEEEE10hipError_tT1_PNSt15iterator_traitsISK_E10value_typeET2_T3_PNSL_ISQ_E10value_typeET4_T5_PSV_SW_PNS1_23onesweep_lookback_stateEbbT6_jjT7_P12ihipStream_tbENKUlT_T0_SK_SP_E_clIPySE_SF_SF_EEDaS13_S14_SK_SP_EUlS13_E_NS1_11comp_targetILNS1_3genE2ELNS1_11target_archE906ELNS1_3gpuE6ELNS1_3repE0EEENS1_47radix_sort_onesweep_sort_config_static_selectorELNS0_4arch9wavefront6targetE1EEEvSK_,comdat
	.protected	_ZN7rocprim17ROCPRIM_400000_NS6detail17trampoline_kernelINS0_14default_configENS1_35radix_sort_onesweep_config_selectorIyNS0_10empty_typeEEEZZNS1_29radix_sort_onesweep_iterationIS3_Lb0EN6thrust23THRUST_200600_302600_NS6detail15normal_iteratorINS9_10device_ptrIyEEEESE_PS5_SF_jNS0_19identity_decomposerENS1_16block_id_wrapperIjLb1EEEEE10hipError_tT1_PNSt15iterator_traitsISK_E10value_typeET2_T3_PNSL_ISQ_E10value_typeET4_T5_PSV_SW_PNS1_23onesweep_lookback_stateEbbT6_jjT7_P12ihipStream_tbENKUlT_T0_SK_SP_E_clIPySE_SF_SF_EEDaS13_S14_SK_SP_EUlS13_E_NS1_11comp_targetILNS1_3genE2ELNS1_11target_archE906ELNS1_3gpuE6ELNS1_3repE0EEENS1_47radix_sort_onesweep_sort_config_static_selectorELNS0_4arch9wavefront6targetE1EEEvSK_ ; -- Begin function _ZN7rocprim17ROCPRIM_400000_NS6detail17trampoline_kernelINS0_14default_configENS1_35radix_sort_onesweep_config_selectorIyNS0_10empty_typeEEEZZNS1_29radix_sort_onesweep_iterationIS3_Lb0EN6thrust23THRUST_200600_302600_NS6detail15normal_iteratorINS9_10device_ptrIyEEEESE_PS5_SF_jNS0_19identity_decomposerENS1_16block_id_wrapperIjLb1EEEEE10hipError_tT1_PNSt15iterator_traitsISK_E10value_typeET2_T3_PNSL_ISQ_E10value_typeET4_T5_PSV_SW_PNS1_23onesweep_lookback_stateEbbT6_jjT7_P12ihipStream_tbENKUlT_T0_SK_SP_E_clIPySE_SF_SF_EEDaS13_S14_SK_SP_EUlS13_E_NS1_11comp_targetILNS1_3genE2ELNS1_11target_archE906ELNS1_3gpuE6ELNS1_3repE0EEENS1_47radix_sort_onesweep_sort_config_static_selectorELNS0_4arch9wavefront6targetE1EEEvSK_
	.globl	_ZN7rocprim17ROCPRIM_400000_NS6detail17trampoline_kernelINS0_14default_configENS1_35radix_sort_onesweep_config_selectorIyNS0_10empty_typeEEEZZNS1_29radix_sort_onesweep_iterationIS3_Lb0EN6thrust23THRUST_200600_302600_NS6detail15normal_iteratorINS9_10device_ptrIyEEEESE_PS5_SF_jNS0_19identity_decomposerENS1_16block_id_wrapperIjLb1EEEEE10hipError_tT1_PNSt15iterator_traitsISK_E10value_typeET2_T3_PNSL_ISQ_E10value_typeET4_T5_PSV_SW_PNS1_23onesweep_lookback_stateEbbT6_jjT7_P12ihipStream_tbENKUlT_T0_SK_SP_E_clIPySE_SF_SF_EEDaS13_S14_SK_SP_EUlS13_E_NS1_11comp_targetILNS1_3genE2ELNS1_11target_archE906ELNS1_3gpuE6ELNS1_3repE0EEENS1_47radix_sort_onesweep_sort_config_static_selectorELNS0_4arch9wavefront6targetE1EEEvSK_
	.p2align	8
	.type	_ZN7rocprim17ROCPRIM_400000_NS6detail17trampoline_kernelINS0_14default_configENS1_35radix_sort_onesweep_config_selectorIyNS0_10empty_typeEEEZZNS1_29radix_sort_onesweep_iterationIS3_Lb0EN6thrust23THRUST_200600_302600_NS6detail15normal_iteratorINS9_10device_ptrIyEEEESE_PS5_SF_jNS0_19identity_decomposerENS1_16block_id_wrapperIjLb1EEEEE10hipError_tT1_PNSt15iterator_traitsISK_E10value_typeET2_T3_PNSL_ISQ_E10value_typeET4_T5_PSV_SW_PNS1_23onesweep_lookback_stateEbbT6_jjT7_P12ihipStream_tbENKUlT_T0_SK_SP_E_clIPySE_SF_SF_EEDaS13_S14_SK_SP_EUlS13_E_NS1_11comp_targetILNS1_3genE2ELNS1_11target_archE906ELNS1_3gpuE6ELNS1_3repE0EEENS1_47radix_sort_onesweep_sort_config_static_selectorELNS0_4arch9wavefront6targetE1EEEvSK_,@function
_ZN7rocprim17ROCPRIM_400000_NS6detail17trampoline_kernelINS0_14default_configENS1_35radix_sort_onesweep_config_selectorIyNS0_10empty_typeEEEZZNS1_29radix_sort_onesweep_iterationIS3_Lb0EN6thrust23THRUST_200600_302600_NS6detail15normal_iteratorINS9_10device_ptrIyEEEESE_PS5_SF_jNS0_19identity_decomposerENS1_16block_id_wrapperIjLb1EEEEE10hipError_tT1_PNSt15iterator_traitsISK_E10value_typeET2_T3_PNSL_ISQ_E10value_typeET4_T5_PSV_SW_PNS1_23onesweep_lookback_stateEbbT6_jjT7_P12ihipStream_tbENKUlT_T0_SK_SP_E_clIPySE_SF_SF_EEDaS13_S14_SK_SP_EUlS13_E_NS1_11comp_targetILNS1_3genE2ELNS1_11target_archE906ELNS1_3gpuE6ELNS1_3repE0EEENS1_47radix_sort_onesweep_sort_config_static_selectorELNS0_4arch9wavefront6targetE1EEEvSK_: ; @_ZN7rocprim17ROCPRIM_400000_NS6detail17trampoline_kernelINS0_14default_configENS1_35radix_sort_onesweep_config_selectorIyNS0_10empty_typeEEEZZNS1_29radix_sort_onesweep_iterationIS3_Lb0EN6thrust23THRUST_200600_302600_NS6detail15normal_iteratorINS9_10device_ptrIyEEEESE_PS5_SF_jNS0_19identity_decomposerENS1_16block_id_wrapperIjLb1EEEEE10hipError_tT1_PNSt15iterator_traitsISK_E10value_typeET2_T3_PNSL_ISQ_E10value_typeET4_T5_PSV_SW_PNS1_23onesweep_lookback_stateEbbT6_jjT7_P12ihipStream_tbENKUlT_T0_SK_SP_E_clIPySE_SF_SF_EEDaS13_S14_SK_SP_EUlS13_E_NS1_11comp_targetILNS1_3genE2ELNS1_11target_archE906ELNS1_3gpuE6ELNS1_3repE0EEENS1_47radix_sort_onesweep_sort_config_static_selectorELNS0_4arch9wavefront6targetE1EEEvSK_
; %bb.0:
	.section	.rodata,"a",@progbits
	.p2align	6, 0x0
	.amdhsa_kernel _ZN7rocprim17ROCPRIM_400000_NS6detail17trampoline_kernelINS0_14default_configENS1_35radix_sort_onesweep_config_selectorIyNS0_10empty_typeEEEZZNS1_29radix_sort_onesweep_iterationIS3_Lb0EN6thrust23THRUST_200600_302600_NS6detail15normal_iteratorINS9_10device_ptrIyEEEESE_PS5_SF_jNS0_19identity_decomposerENS1_16block_id_wrapperIjLb1EEEEE10hipError_tT1_PNSt15iterator_traitsISK_E10value_typeET2_T3_PNSL_ISQ_E10value_typeET4_T5_PSV_SW_PNS1_23onesweep_lookback_stateEbbT6_jjT7_P12ihipStream_tbENKUlT_T0_SK_SP_E_clIPySE_SF_SF_EEDaS13_S14_SK_SP_EUlS13_E_NS1_11comp_targetILNS1_3genE2ELNS1_11target_archE906ELNS1_3gpuE6ELNS1_3repE0EEENS1_47radix_sort_onesweep_sort_config_static_selectorELNS0_4arch9wavefront6targetE1EEEvSK_
		.amdhsa_group_segment_fixed_size 0
		.amdhsa_private_segment_fixed_size 0
		.amdhsa_kernarg_size 88
		.amdhsa_user_sgpr_count 6
		.amdhsa_user_sgpr_private_segment_buffer 1
		.amdhsa_user_sgpr_dispatch_ptr 0
		.amdhsa_user_sgpr_queue_ptr 0
		.amdhsa_user_sgpr_kernarg_segment_ptr 1
		.amdhsa_user_sgpr_dispatch_id 0
		.amdhsa_user_sgpr_flat_scratch_init 0
		.amdhsa_user_sgpr_kernarg_preload_length 0
		.amdhsa_user_sgpr_kernarg_preload_offset 0
		.amdhsa_user_sgpr_private_segment_size 0
		.amdhsa_uses_dynamic_stack 0
		.amdhsa_system_sgpr_private_segment_wavefront_offset 0
		.amdhsa_system_sgpr_workgroup_id_x 1
		.amdhsa_system_sgpr_workgroup_id_y 0
		.amdhsa_system_sgpr_workgroup_id_z 0
		.amdhsa_system_sgpr_workgroup_info 0
		.amdhsa_system_vgpr_workitem_id 0
		.amdhsa_next_free_vgpr 1
		.amdhsa_next_free_sgpr 0
		.amdhsa_accum_offset 4
		.amdhsa_reserve_vcc 0
		.amdhsa_reserve_flat_scratch 0
		.amdhsa_float_round_mode_32 0
		.amdhsa_float_round_mode_16_64 0
		.amdhsa_float_denorm_mode_32 3
		.amdhsa_float_denorm_mode_16_64 3
		.amdhsa_dx10_clamp 1
		.amdhsa_ieee_mode 1
		.amdhsa_fp16_overflow 0
		.amdhsa_tg_split 0
		.amdhsa_exception_fp_ieee_invalid_op 0
		.amdhsa_exception_fp_denorm_src 0
		.amdhsa_exception_fp_ieee_div_zero 0
		.amdhsa_exception_fp_ieee_overflow 0
		.amdhsa_exception_fp_ieee_underflow 0
		.amdhsa_exception_fp_ieee_inexact 0
		.amdhsa_exception_int_div_zero 0
	.end_amdhsa_kernel
	.section	.text._ZN7rocprim17ROCPRIM_400000_NS6detail17trampoline_kernelINS0_14default_configENS1_35radix_sort_onesweep_config_selectorIyNS0_10empty_typeEEEZZNS1_29radix_sort_onesweep_iterationIS3_Lb0EN6thrust23THRUST_200600_302600_NS6detail15normal_iteratorINS9_10device_ptrIyEEEESE_PS5_SF_jNS0_19identity_decomposerENS1_16block_id_wrapperIjLb1EEEEE10hipError_tT1_PNSt15iterator_traitsISK_E10value_typeET2_T3_PNSL_ISQ_E10value_typeET4_T5_PSV_SW_PNS1_23onesweep_lookback_stateEbbT6_jjT7_P12ihipStream_tbENKUlT_T0_SK_SP_E_clIPySE_SF_SF_EEDaS13_S14_SK_SP_EUlS13_E_NS1_11comp_targetILNS1_3genE2ELNS1_11target_archE906ELNS1_3gpuE6ELNS1_3repE0EEENS1_47radix_sort_onesweep_sort_config_static_selectorELNS0_4arch9wavefront6targetE1EEEvSK_,"axG",@progbits,_ZN7rocprim17ROCPRIM_400000_NS6detail17trampoline_kernelINS0_14default_configENS1_35radix_sort_onesweep_config_selectorIyNS0_10empty_typeEEEZZNS1_29radix_sort_onesweep_iterationIS3_Lb0EN6thrust23THRUST_200600_302600_NS6detail15normal_iteratorINS9_10device_ptrIyEEEESE_PS5_SF_jNS0_19identity_decomposerENS1_16block_id_wrapperIjLb1EEEEE10hipError_tT1_PNSt15iterator_traitsISK_E10value_typeET2_T3_PNSL_ISQ_E10value_typeET4_T5_PSV_SW_PNS1_23onesweep_lookback_stateEbbT6_jjT7_P12ihipStream_tbENKUlT_T0_SK_SP_E_clIPySE_SF_SF_EEDaS13_S14_SK_SP_EUlS13_E_NS1_11comp_targetILNS1_3genE2ELNS1_11target_archE906ELNS1_3gpuE6ELNS1_3repE0EEENS1_47radix_sort_onesweep_sort_config_static_selectorELNS0_4arch9wavefront6targetE1EEEvSK_,comdat
.Lfunc_end885:
	.size	_ZN7rocprim17ROCPRIM_400000_NS6detail17trampoline_kernelINS0_14default_configENS1_35radix_sort_onesweep_config_selectorIyNS0_10empty_typeEEEZZNS1_29radix_sort_onesweep_iterationIS3_Lb0EN6thrust23THRUST_200600_302600_NS6detail15normal_iteratorINS9_10device_ptrIyEEEESE_PS5_SF_jNS0_19identity_decomposerENS1_16block_id_wrapperIjLb1EEEEE10hipError_tT1_PNSt15iterator_traitsISK_E10value_typeET2_T3_PNSL_ISQ_E10value_typeET4_T5_PSV_SW_PNS1_23onesweep_lookback_stateEbbT6_jjT7_P12ihipStream_tbENKUlT_T0_SK_SP_E_clIPySE_SF_SF_EEDaS13_S14_SK_SP_EUlS13_E_NS1_11comp_targetILNS1_3genE2ELNS1_11target_archE906ELNS1_3gpuE6ELNS1_3repE0EEENS1_47radix_sort_onesweep_sort_config_static_selectorELNS0_4arch9wavefront6targetE1EEEvSK_, .Lfunc_end885-_ZN7rocprim17ROCPRIM_400000_NS6detail17trampoline_kernelINS0_14default_configENS1_35radix_sort_onesweep_config_selectorIyNS0_10empty_typeEEEZZNS1_29radix_sort_onesweep_iterationIS3_Lb0EN6thrust23THRUST_200600_302600_NS6detail15normal_iteratorINS9_10device_ptrIyEEEESE_PS5_SF_jNS0_19identity_decomposerENS1_16block_id_wrapperIjLb1EEEEE10hipError_tT1_PNSt15iterator_traitsISK_E10value_typeET2_T3_PNSL_ISQ_E10value_typeET4_T5_PSV_SW_PNS1_23onesweep_lookback_stateEbbT6_jjT7_P12ihipStream_tbENKUlT_T0_SK_SP_E_clIPySE_SF_SF_EEDaS13_S14_SK_SP_EUlS13_E_NS1_11comp_targetILNS1_3genE2ELNS1_11target_archE906ELNS1_3gpuE6ELNS1_3repE0EEENS1_47radix_sort_onesweep_sort_config_static_selectorELNS0_4arch9wavefront6targetE1EEEvSK_
                                        ; -- End function
	.section	.AMDGPU.csdata,"",@progbits
; Kernel info:
; codeLenInByte = 0
; NumSgprs: 4
; NumVgprs: 0
; NumAgprs: 0
; TotalNumVgprs: 0
; ScratchSize: 0
; MemoryBound: 0
; FloatMode: 240
; IeeeMode: 1
; LDSByteSize: 0 bytes/workgroup (compile time only)
; SGPRBlocks: 0
; VGPRBlocks: 0
; NumSGPRsForWavesPerEU: 4
; NumVGPRsForWavesPerEU: 1
; AccumOffset: 4
; Occupancy: 8
; WaveLimiterHint : 0
; COMPUTE_PGM_RSRC2:SCRATCH_EN: 0
; COMPUTE_PGM_RSRC2:USER_SGPR: 6
; COMPUTE_PGM_RSRC2:TRAP_HANDLER: 0
; COMPUTE_PGM_RSRC2:TGID_X_EN: 1
; COMPUTE_PGM_RSRC2:TGID_Y_EN: 0
; COMPUTE_PGM_RSRC2:TGID_Z_EN: 0
; COMPUTE_PGM_RSRC2:TIDIG_COMP_CNT: 0
; COMPUTE_PGM_RSRC3_GFX90A:ACCUM_OFFSET: 0
; COMPUTE_PGM_RSRC3_GFX90A:TG_SPLIT: 0
	.section	.text._ZN7rocprim17ROCPRIM_400000_NS6detail17trampoline_kernelINS0_14default_configENS1_35radix_sort_onesweep_config_selectorIyNS0_10empty_typeEEEZZNS1_29radix_sort_onesweep_iterationIS3_Lb0EN6thrust23THRUST_200600_302600_NS6detail15normal_iteratorINS9_10device_ptrIyEEEESE_PS5_SF_jNS0_19identity_decomposerENS1_16block_id_wrapperIjLb1EEEEE10hipError_tT1_PNSt15iterator_traitsISK_E10value_typeET2_T3_PNSL_ISQ_E10value_typeET4_T5_PSV_SW_PNS1_23onesweep_lookback_stateEbbT6_jjT7_P12ihipStream_tbENKUlT_T0_SK_SP_E_clIPySE_SF_SF_EEDaS13_S14_SK_SP_EUlS13_E_NS1_11comp_targetILNS1_3genE4ELNS1_11target_archE910ELNS1_3gpuE8ELNS1_3repE0EEENS1_47radix_sort_onesweep_sort_config_static_selectorELNS0_4arch9wavefront6targetE1EEEvSK_,"axG",@progbits,_ZN7rocprim17ROCPRIM_400000_NS6detail17trampoline_kernelINS0_14default_configENS1_35radix_sort_onesweep_config_selectorIyNS0_10empty_typeEEEZZNS1_29radix_sort_onesweep_iterationIS3_Lb0EN6thrust23THRUST_200600_302600_NS6detail15normal_iteratorINS9_10device_ptrIyEEEESE_PS5_SF_jNS0_19identity_decomposerENS1_16block_id_wrapperIjLb1EEEEE10hipError_tT1_PNSt15iterator_traitsISK_E10value_typeET2_T3_PNSL_ISQ_E10value_typeET4_T5_PSV_SW_PNS1_23onesweep_lookback_stateEbbT6_jjT7_P12ihipStream_tbENKUlT_T0_SK_SP_E_clIPySE_SF_SF_EEDaS13_S14_SK_SP_EUlS13_E_NS1_11comp_targetILNS1_3genE4ELNS1_11target_archE910ELNS1_3gpuE8ELNS1_3repE0EEENS1_47radix_sort_onesweep_sort_config_static_selectorELNS0_4arch9wavefront6targetE1EEEvSK_,comdat
	.protected	_ZN7rocprim17ROCPRIM_400000_NS6detail17trampoline_kernelINS0_14default_configENS1_35radix_sort_onesweep_config_selectorIyNS0_10empty_typeEEEZZNS1_29radix_sort_onesweep_iterationIS3_Lb0EN6thrust23THRUST_200600_302600_NS6detail15normal_iteratorINS9_10device_ptrIyEEEESE_PS5_SF_jNS0_19identity_decomposerENS1_16block_id_wrapperIjLb1EEEEE10hipError_tT1_PNSt15iterator_traitsISK_E10value_typeET2_T3_PNSL_ISQ_E10value_typeET4_T5_PSV_SW_PNS1_23onesweep_lookback_stateEbbT6_jjT7_P12ihipStream_tbENKUlT_T0_SK_SP_E_clIPySE_SF_SF_EEDaS13_S14_SK_SP_EUlS13_E_NS1_11comp_targetILNS1_3genE4ELNS1_11target_archE910ELNS1_3gpuE8ELNS1_3repE0EEENS1_47radix_sort_onesweep_sort_config_static_selectorELNS0_4arch9wavefront6targetE1EEEvSK_ ; -- Begin function _ZN7rocprim17ROCPRIM_400000_NS6detail17trampoline_kernelINS0_14default_configENS1_35radix_sort_onesweep_config_selectorIyNS0_10empty_typeEEEZZNS1_29radix_sort_onesweep_iterationIS3_Lb0EN6thrust23THRUST_200600_302600_NS6detail15normal_iteratorINS9_10device_ptrIyEEEESE_PS5_SF_jNS0_19identity_decomposerENS1_16block_id_wrapperIjLb1EEEEE10hipError_tT1_PNSt15iterator_traitsISK_E10value_typeET2_T3_PNSL_ISQ_E10value_typeET4_T5_PSV_SW_PNS1_23onesweep_lookback_stateEbbT6_jjT7_P12ihipStream_tbENKUlT_T0_SK_SP_E_clIPySE_SF_SF_EEDaS13_S14_SK_SP_EUlS13_E_NS1_11comp_targetILNS1_3genE4ELNS1_11target_archE910ELNS1_3gpuE8ELNS1_3repE0EEENS1_47radix_sort_onesweep_sort_config_static_selectorELNS0_4arch9wavefront6targetE1EEEvSK_
	.globl	_ZN7rocprim17ROCPRIM_400000_NS6detail17trampoline_kernelINS0_14default_configENS1_35radix_sort_onesweep_config_selectorIyNS0_10empty_typeEEEZZNS1_29radix_sort_onesweep_iterationIS3_Lb0EN6thrust23THRUST_200600_302600_NS6detail15normal_iteratorINS9_10device_ptrIyEEEESE_PS5_SF_jNS0_19identity_decomposerENS1_16block_id_wrapperIjLb1EEEEE10hipError_tT1_PNSt15iterator_traitsISK_E10value_typeET2_T3_PNSL_ISQ_E10value_typeET4_T5_PSV_SW_PNS1_23onesweep_lookback_stateEbbT6_jjT7_P12ihipStream_tbENKUlT_T0_SK_SP_E_clIPySE_SF_SF_EEDaS13_S14_SK_SP_EUlS13_E_NS1_11comp_targetILNS1_3genE4ELNS1_11target_archE910ELNS1_3gpuE8ELNS1_3repE0EEENS1_47radix_sort_onesweep_sort_config_static_selectorELNS0_4arch9wavefront6targetE1EEEvSK_
	.p2align	8
	.type	_ZN7rocprim17ROCPRIM_400000_NS6detail17trampoline_kernelINS0_14default_configENS1_35radix_sort_onesweep_config_selectorIyNS0_10empty_typeEEEZZNS1_29radix_sort_onesweep_iterationIS3_Lb0EN6thrust23THRUST_200600_302600_NS6detail15normal_iteratorINS9_10device_ptrIyEEEESE_PS5_SF_jNS0_19identity_decomposerENS1_16block_id_wrapperIjLb1EEEEE10hipError_tT1_PNSt15iterator_traitsISK_E10value_typeET2_T3_PNSL_ISQ_E10value_typeET4_T5_PSV_SW_PNS1_23onesweep_lookback_stateEbbT6_jjT7_P12ihipStream_tbENKUlT_T0_SK_SP_E_clIPySE_SF_SF_EEDaS13_S14_SK_SP_EUlS13_E_NS1_11comp_targetILNS1_3genE4ELNS1_11target_archE910ELNS1_3gpuE8ELNS1_3repE0EEENS1_47radix_sort_onesweep_sort_config_static_selectorELNS0_4arch9wavefront6targetE1EEEvSK_,@function
_ZN7rocprim17ROCPRIM_400000_NS6detail17trampoline_kernelINS0_14default_configENS1_35radix_sort_onesweep_config_selectorIyNS0_10empty_typeEEEZZNS1_29radix_sort_onesweep_iterationIS3_Lb0EN6thrust23THRUST_200600_302600_NS6detail15normal_iteratorINS9_10device_ptrIyEEEESE_PS5_SF_jNS0_19identity_decomposerENS1_16block_id_wrapperIjLb1EEEEE10hipError_tT1_PNSt15iterator_traitsISK_E10value_typeET2_T3_PNSL_ISQ_E10value_typeET4_T5_PSV_SW_PNS1_23onesweep_lookback_stateEbbT6_jjT7_P12ihipStream_tbENKUlT_T0_SK_SP_E_clIPySE_SF_SF_EEDaS13_S14_SK_SP_EUlS13_E_NS1_11comp_targetILNS1_3genE4ELNS1_11target_archE910ELNS1_3gpuE8ELNS1_3repE0EEENS1_47radix_sort_onesweep_sort_config_static_selectorELNS0_4arch9wavefront6targetE1EEEvSK_: ; @_ZN7rocprim17ROCPRIM_400000_NS6detail17trampoline_kernelINS0_14default_configENS1_35radix_sort_onesweep_config_selectorIyNS0_10empty_typeEEEZZNS1_29radix_sort_onesweep_iterationIS3_Lb0EN6thrust23THRUST_200600_302600_NS6detail15normal_iteratorINS9_10device_ptrIyEEEESE_PS5_SF_jNS0_19identity_decomposerENS1_16block_id_wrapperIjLb1EEEEE10hipError_tT1_PNSt15iterator_traitsISK_E10value_typeET2_T3_PNSL_ISQ_E10value_typeET4_T5_PSV_SW_PNS1_23onesweep_lookback_stateEbbT6_jjT7_P12ihipStream_tbENKUlT_T0_SK_SP_E_clIPySE_SF_SF_EEDaS13_S14_SK_SP_EUlS13_E_NS1_11comp_targetILNS1_3genE4ELNS1_11target_archE910ELNS1_3gpuE8ELNS1_3repE0EEENS1_47radix_sort_onesweep_sort_config_static_selectorELNS0_4arch9wavefront6targetE1EEEvSK_
; %bb.0:
	s_load_dwordx4 s[16:19], s[4:5], 0x28
	s_load_dwordx2 s[14:15], s[4:5], 0x38
	s_load_dwordx4 s[20:23], s[4:5], 0x44
	v_and_b32_e32 v2, 0x3ff, v0
	v_cmp_eq_u32_e64 s[0:1], 0, v2
	s_and_saveexec_b64 s[2:3], s[0:1]
	s_cbranch_execz .LBB886_4
; %bb.1:
	s_mov_b64 s[10:11], exec
	v_mbcnt_lo_u32_b32 v1, s10, 0
	v_mbcnt_hi_u32_b32 v1, s11, v1
	v_cmp_eq_u32_e32 vcc, 0, v1
                                        ; implicit-def: $vgpr3
	s_and_saveexec_b64 s[8:9], vcc
	s_cbranch_execz .LBB886_3
; %bb.2:
	s_load_dwordx2 s[12:13], s[4:5], 0x50
	s_bcnt1_i32_b64 s7, s[10:11]
	v_mov_b32_e32 v3, 0
	v_mov_b32_e32 v4, s7
	s_waitcnt lgkmcnt(0)
	global_atomic_add v3, v3, v4, s[12:13] glc
.LBB886_3:
	s_or_b64 exec, exec, s[8:9]
	s_waitcnt vmcnt(0)
	v_readfirstlane_b32 s7, v3
	v_add_u32_e32 v1, s7, v1
	v_mov_b32_e32 v3, 0
	ds_write_b32 v3, v1 offset:20544
.LBB886_4:
	s_or_b64 exec, exec, s[2:3]
	v_mov_b32_e32 v1, 0
	s_load_dwordx4 s[24:27], s[4:5], 0x0
	s_load_dword s2, s[4:5], 0x20
	s_waitcnt lgkmcnt(0)
	s_barrier
	ds_read_b32 v1, v1 offset:20544
	v_lshlrev_b32_e32 v3, 3, v2
	s_waitcnt lgkmcnt(0)
	s_barrier
	v_cmp_le_u32_e32 vcc, s22, v1
	v_readfirstlane_b32 s28, v1
	v_mbcnt_lo_u32_b32 v1, -1, 0
	s_cbranch_vccz .LBB886_63
; %bb.5:
	s_lshl_b32 s3, s22, 13
	s_sub_i32 s7, s2, s3
	s_lshl_b32 s2, s28, 13
	s_mov_b32 s3, 0
	s_lshl_b64 s[2:3], s[2:3], 3
	v_mbcnt_hi_u32_b32 v24, -1, v1
	s_add_u32 s2, s24, s2
	v_and_b32_e32 v4, 63, v24
	s_addc_u32 s3, s25, s3
	v_lshlrev_b32_e32 v6, 3, v4
	v_and_b32_e32 v5, 0x1e00, v3
	v_mov_b32_e32 v7, s3
	v_add_co_u32_e32 v6, vcc, s2, v6
	v_addc_co_u32_e32 v7, vcc, 0, v7, vcc
	v_lshlrev_b32_e32 v8, 3, v5
	v_add_co_u32_e32 v20, vcc, v6, v8
	v_addc_co_u32_e32 v21, vcc, 0, v7, vcc
	v_or_b32_e32 v22, v4, v5
	v_pk_mov_b32 v[4:5], -1, -1
	v_cmp_gt_u32_e32 vcc, s7, v22
	v_pk_mov_b32 v[6:7], v[4:5], v[4:5] op_sel:[0,1]
	s_and_saveexec_b64 s[2:3], vcc
	s_cbranch_execz .LBB886_7
; %bb.6:
	global_load_dwordx2 v[6:7], v[20:21], off
.LBB886_7:
	s_or_b64 exec, exec, s[2:3]
	v_or_b32_e32 v8, 64, v22
	v_cmp_gt_u32_e32 vcc, s7, v8
	s_and_saveexec_b64 s[2:3], vcc
	s_cbranch_execz .LBB886_9
; %bb.8:
	global_load_dwordx2 v[4:5], v[20:21], off offset:512
.LBB886_9:
	s_or_b64 exec, exec, s[2:3]
	v_or_b32_e32 v8, 0x80, v22
	v_cmp_gt_u32_e32 vcc, s7, v8
	v_pk_mov_b32 v[8:9], -1, -1
	v_pk_mov_b32 v[10:11], v[8:9], v[8:9] op_sel:[0,1]
	s_and_saveexec_b64 s[2:3], vcc
	s_cbranch_execz .LBB886_11
; %bb.10:
	global_load_dwordx2 v[10:11], v[20:21], off offset:1024
.LBB886_11:
	s_or_b64 exec, exec, s[2:3]
	v_or_b32_e32 v12, 0xc0, v22
	v_cmp_gt_u32_e32 vcc, s7, v12
	s_and_saveexec_b64 s[2:3], vcc
	s_cbranch_execz .LBB886_13
; %bb.12:
	global_load_dwordx2 v[8:9], v[20:21], off offset:1536
.LBB886_13:
	s_or_b64 exec, exec, s[2:3]
	v_or_b32_e32 v12, 0x100, v22
	v_cmp_gt_u32_e32 vcc, s7, v12
	v_pk_mov_b32 v[12:13], -1, -1
	v_pk_mov_b32 v[14:15], v[12:13], v[12:13] op_sel:[0,1]
	s_and_saveexec_b64 s[2:3], vcc
	s_cbranch_execz .LBB886_15
; %bb.14:
	global_load_dwordx2 v[14:15], v[20:21], off offset:2048
.LBB886_15:
	;; [unrolled: 18-line block ×3, first 2 shown]
	s_or_b64 exec, exec, s[2:3]
	v_or_b32_e32 v22, 0x1c0, v22
	v_cmp_gt_u32_e32 vcc, s7, v22
	s_and_saveexec_b64 s[2:3], vcc
	s_cbranch_execz .LBB886_21
; %bb.20:
	global_load_dwordx2 v[16:17], v[20:21], off offset:3584
.LBB886_21:
	s_or_b64 exec, exec, s[2:3]
	s_load_dword s2, s[4:5], 0x64
	s_load_dword s29, s[4:5], 0x58
	s_add_u32 s3, s4, 0x58
	s_addc_u32 s8, s5, 0
	v_mov_b32_e32 v20, 0
	s_waitcnt lgkmcnt(0)
	s_lshr_b32 s9, s2, 16
	s_cmp_lt_u32 s6, s29
	s_cselect_b32 s2, 12, 18
	s_add_u32 s2, s3, s2
	s_addc_u32 s3, s8, 0
	global_load_ushort v26, v20, s[2:3]
	s_lshl_b32 s2, -1, s21
	s_waitcnt vmcnt(1)
	v_lshrrev_b64 v[22:23], s20, v[6:7]
	s_not_b32 s30, s2
	v_and_b32_e32 v22, s30, v22
	v_and_b32_e32 v28, 1, v22
	v_bfe_u32 v21, v0, 10, 10
	v_bfe_u32 v27, v0, 20, 10
	v_add_co_u32_e32 v29, vcc, -1, v28
	v_mad_u32_u24 v23, v27, s9, v21
	v_lshlrev_b32_e32 v21, 30, v22
	v_addc_co_u32_e64 v30, s[2:3], 0, -1, vcc
	v_cmp_ne_u32_e32 vcc, 0, v28
	v_cmp_gt_i64_e64 s[2:3], 0, v[20:21]
	v_not_b32_e32 v28, v21
	v_lshlrev_b32_e32 v21, 29, v22
	v_xor_b32_e32 v30, vcc_hi, v30
	v_xor_b32_e32 v29, vcc_lo, v29
	v_ashrrev_i32_e32 v28, 31, v28
	v_cmp_gt_i64_e32 vcc, 0, v[20:21]
	v_not_b32_e32 v31, v21
	v_lshlrev_b32_e32 v21, 28, v22
	v_and_b32_e32 v30, exec_hi, v30
	v_and_b32_e32 v29, exec_lo, v29
	v_xor_b32_e32 v32, s3, v28
	v_xor_b32_e32 v28, s2, v28
	v_ashrrev_i32_e32 v31, 31, v31
	v_cmp_gt_i64_e64 s[2:3], 0, v[20:21]
	v_not_b32_e32 v33, v21
	v_lshlrev_b32_e32 v21, 27, v22
	v_and_b32_e32 v30, v30, v32
	v_and_b32_e32 v28, v29, v28
	v_xor_b32_e32 v29, vcc_hi, v31
	v_xor_b32_e32 v31, vcc_lo, v31
	v_ashrrev_i32_e32 v32, 31, v33
	v_cmp_gt_i64_e32 vcc, 0, v[20:21]
	v_not_b32_e32 v33, v21
	v_lshlrev_b32_e32 v21, 26, v22
	v_and_b32_e32 v29, v30, v29
	v_and_b32_e32 v28, v28, v31
	v_xor_b32_e32 v30, s3, v32
	v_xor_b32_e32 v31, s2, v32
	v_ashrrev_i32_e32 v32, 31, v33
	v_cmp_gt_i64_e64 s[2:3], 0, v[20:21]
	v_not_b32_e32 v33, v21
	v_lshlrev_b32_e32 v21, 25, v22
	v_and_b32_e32 v29, v29, v30
	v_and_b32_e32 v28, v28, v31
	v_xor_b32_e32 v30, vcc_hi, v32
	v_xor_b32_e32 v31, vcc_lo, v32
	v_ashrrev_i32_e32 v32, 31, v33
	v_not_b32_e32 v33, v21
	v_lshl_add_u32 v27, v22, 4, v22
	v_cmp_gt_i64_e32 vcc, 0, v[20:21]
	v_lshlrev_b32_e32 v21, 24, v22
	v_and_b32_e32 v22, v29, v30
	v_and_b32_e32 v28, v28, v31
	v_xor_b32_e32 v29, s3, v32
	v_ashrrev_i32_e32 v31, 31, v33
	v_xor_b32_e32 v30, s2, v32
	v_cmp_gt_i64_e64 s[2:3], 0, v[20:21]
	v_not_b32_e32 v21, v21
	v_and_b32_e32 v22, v22, v29
	v_xor_b32_e32 v29, vcc_hi, v31
	v_and_b32_e32 v28, v28, v30
	v_xor_b32_e32 v30, vcc_lo, v31
	v_ashrrev_i32_e32 v21, 31, v21
	v_and_b32_e32 v29, v22, v29
	v_and_b32_e32 v28, v28, v30
	v_mul_u32_u24_e32 v25, 5, v2
	v_lshlrev_b32_e32 v25, 2, v25
	ds_write2_b32 v25, v20, v20 offset0:16 offset1:17
	ds_write2_b32 v25, v20, v20 offset0:18 offset1:19
	ds_write_b32 v25, v20 offset:80
	s_waitcnt lgkmcnt(0)
	s_barrier
	s_waitcnt lgkmcnt(0)
	; wave barrier
	s_waitcnt vmcnt(0)
	v_mad_u64_u32 v[22:23], s[8:9], v23, v26, v[2:3]
	v_lshrrev_b32_e32 v37, 6, v22
	v_xor_b32_e32 v22, s3, v21
	v_xor_b32_e32 v21, s2, v21
	v_and_b32_e32 v23, v29, v22
	v_and_b32_e32 v22, v28, v21
	v_mbcnt_lo_u32_b32 v21, v22, 0
	v_mbcnt_hi_u32_b32 v26, v23, v21
	v_cmp_eq_u32_e32 vcc, 0, v26
	v_cmp_ne_u64_e64 s[2:3], 0, v[22:23]
	v_add_lshl_u32 v30, v37, v27, 2
	s_and_b64 s[8:9], s[2:3], vcc
	s_and_saveexec_b64 s[2:3], s[8:9]
	s_cbranch_execz .LBB886_23
; %bb.22:
	v_bcnt_u32_b32 v21, v22, 0
	v_bcnt_u32_b32 v21, v23, v21
	ds_write_b32 v30, v21 offset:64
.LBB886_23:
	s_or_b64 exec, exec, s[2:3]
	v_lshrrev_b64 v[22:23], s20, v[4:5]
	v_and_b32_e32 v22, s30, v22
	v_lshl_add_u32 v21, v22, 4, v22
	v_add_lshl_u32 v31, v37, v21, 2
	v_and_b32_e32 v21, 1, v22
	v_add_co_u32_e32 v23, vcc, -1, v21
	v_addc_co_u32_e64 v28, s[2:3], 0, -1, vcc
	v_cmp_ne_u32_e32 vcc, 0, v21
	v_xor_b32_e32 v21, vcc_hi, v28
	v_and_b32_e32 v28, exec_hi, v21
	v_lshlrev_b32_e32 v21, 30, v22
	v_xor_b32_e32 v23, vcc_lo, v23
	v_cmp_gt_i64_e32 vcc, 0, v[20:21]
	v_not_b32_e32 v21, v21
	v_ashrrev_i32_e32 v21, 31, v21
	v_and_b32_e32 v23, exec_lo, v23
	v_xor_b32_e32 v29, vcc_hi, v21
	v_xor_b32_e32 v21, vcc_lo, v21
	v_and_b32_e32 v23, v23, v21
	v_lshlrev_b32_e32 v21, 29, v22
	v_cmp_gt_i64_e32 vcc, 0, v[20:21]
	v_not_b32_e32 v21, v21
	v_ashrrev_i32_e32 v21, 31, v21
	v_and_b32_e32 v28, v28, v29
	v_xor_b32_e32 v29, vcc_hi, v21
	v_xor_b32_e32 v21, vcc_lo, v21
	v_and_b32_e32 v23, v23, v21
	v_lshlrev_b32_e32 v21, 28, v22
	v_cmp_gt_i64_e32 vcc, 0, v[20:21]
	v_not_b32_e32 v21, v21
	v_ashrrev_i32_e32 v21, 31, v21
	v_and_b32_e32 v28, v28, v29
	;; [unrolled: 8-line block ×5, first 2 shown]
	v_xor_b32_e32 v29, vcc_hi, v21
	v_xor_b32_e32 v21, vcc_lo, v21
	v_and_b32_e32 v23, v23, v21
	v_lshlrev_b32_e32 v21, 24, v22
	v_cmp_gt_i64_e32 vcc, 0, v[20:21]
	v_not_b32_e32 v20, v21
	v_ashrrev_i32_e32 v20, 31, v20
	v_xor_b32_e32 v21, vcc_hi, v20
	v_xor_b32_e32 v20, vcc_lo, v20
	; wave barrier
	ds_read_b32 v27, v31 offset:64
	v_and_b32_e32 v28, v28, v29
	v_and_b32_e32 v20, v23, v20
	;; [unrolled: 1-line block ×3, first 2 shown]
	v_mbcnt_lo_u32_b32 v22, v20, 0
	v_mbcnt_hi_u32_b32 v28, v21, v22
	v_cmp_eq_u32_e32 vcc, 0, v28
	v_cmp_ne_u64_e64 s[2:3], 0, v[20:21]
	s_and_b64 s[8:9], s[2:3], vcc
	; wave barrier
	s_and_saveexec_b64 s[2:3], s[8:9]
	s_cbranch_execz .LBB886_25
; %bb.24:
	v_bcnt_u32_b32 v20, v20, 0
	v_bcnt_u32_b32 v20, v21, v20
	s_waitcnt lgkmcnt(0)
	v_add_u32_e32 v20, v27, v20
	ds_write_b32 v31, v20 offset:64
.LBB886_25:
	s_or_b64 exec, exec, s[2:3]
	v_lshrrev_b64 v[20:21], s20, v[10:11]
	v_and_b32_e32 v22, s30, v20
	v_and_b32_e32 v21, 1, v22
	v_add_co_u32_e32 v23, vcc, -1, v21
	v_addc_co_u32_e64 v32, s[2:3], 0, -1, vcc
	v_cmp_ne_u32_e32 vcc, 0, v21
	v_lshl_add_u32 v20, v22, 4, v22
	v_xor_b32_e32 v21, vcc_hi, v32
	v_add_lshl_u32 v34, v37, v20, 2
	v_mov_b32_e32 v20, 0
	v_and_b32_e32 v32, exec_hi, v21
	v_lshlrev_b32_e32 v21, 30, v22
	v_xor_b32_e32 v23, vcc_lo, v23
	v_cmp_gt_i64_e32 vcc, 0, v[20:21]
	v_not_b32_e32 v21, v21
	v_ashrrev_i32_e32 v21, 31, v21
	v_and_b32_e32 v23, exec_lo, v23
	v_xor_b32_e32 v33, vcc_hi, v21
	v_xor_b32_e32 v21, vcc_lo, v21
	v_and_b32_e32 v23, v23, v21
	v_lshlrev_b32_e32 v21, 29, v22
	v_cmp_gt_i64_e32 vcc, 0, v[20:21]
	v_not_b32_e32 v21, v21
	v_ashrrev_i32_e32 v21, 31, v21
	v_and_b32_e32 v32, v32, v33
	v_xor_b32_e32 v33, vcc_hi, v21
	v_xor_b32_e32 v21, vcc_lo, v21
	v_and_b32_e32 v23, v23, v21
	v_lshlrev_b32_e32 v21, 28, v22
	v_cmp_gt_i64_e32 vcc, 0, v[20:21]
	v_not_b32_e32 v21, v21
	v_ashrrev_i32_e32 v21, 31, v21
	v_and_b32_e32 v32, v32, v33
	;; [unrolled: 8-line block ×5, first 2 shown]
	v_xor_b32_e32 v33, vcc_hi, v21
	v_xor_b32_e32 v21, vcc_lo, v21
	v_and_b32_e32 v32, v32, v33
	v_and_b32_e32 v33, v23, v21
	v_lshlrev_b32_e32 v21, 24, v22
	v_cmp_gt_i64_e32 vcc, 0, v[20:21]
	v_not_b32_e32 v21, v21
	v_ashrrev_i32_e32 v21, 31, v21
	v_xor_b32_e32 v22, vcc_hi, v21
	v_xor_b32_e32 v21, vcc_lo, v21
	; wave barrier
	ds_read_b32 v29, v34 offset:64
	v_and_b32_e32 v23, v32, v22
	v_and_b32_e32 v22, v33, v21
	v_mbcnt_lo_u32_b32 v21, v22, 0
	v_mbcnt_hi_u32_b32 v32, v23, v21
	v_cmp_eq_u32_e32 vcc, 0, v32
	v_cmp_ne_u64_e64 s[2:3], 0, v[22:23]
	s_and_b64 s[8:9], s[2:3], vcc
	; wave barrier
	s_and_saveexec_b64 s[2:3], s[8:9]
	s_cbranch_execz .LBB886_27
; %bb.26:
	v_bcnt_u32_b32 v21, v22, 0
	v_bcnt_u32_b32 v21, v23, v21
	s_waitcnt lgkmcnt(0)
	v_add_u32_e32 v21, v29, v21
	ds_write_b32 v34, v21 offset:64
.LBB886_27:
	s_or_b64 exec, exec, s[2:3]
	v_lshrrev_b64 v[22:23], s20, v[8:9]
	v_and_b32_e32 v22, s30, v22
	v_lshl_add_u32 v21, v22, 4, v22
	v_add_lshl_u32 v38, v37, v21, 2
	v_and_b32_e32 v21, 1, v22
	v_add_co_u32_e32 v23, vcc, -1, v21
	v_addc_co_u32_e64 v35, s[2:3], 0, -1, vcc
	v_cmp_ne_u32_e32 vcc, 0, v21
	v_xor_b32_e32 v21, vcc_hi, v35
	v_and_b32_e32 v35, exec_hi, v21
	v_lshlrev_b32_e32 v21, 30, v22
	v_xor_b32_e32 v23, vcc_lo, v23
	v_cmp_gt_i64_e32 vcc, 0, v[20:21]
	v_not_b32_e32 v21, v21
	v_ashrrev_i32_e32 v21, 31, v21
	v_and_b32_e32 v23, exec_lo, v23
	v_xor_b32_e32 v36, vcc_hi, v21
	v_xor_b32_e32 v21, vcc_lo, v21
	v_and_b32_e32 v23, v23, v21
	v_lshlrev_b32_e32 v21, 29, v22
	v_cmp_gt_i64_e32 vcc, 0, v[20:21]
	v_not_b32_e32 v21, v21
	v_ashrrev_i32_e32 v21, 31, v21
	v_and_b32_e32 v35, v35, v36
	v_xor_b32_e32 v36, vcc_hi, v21
	v_xor_b32_e32 v21, vcc_lo, v21
	v_and_b32_e32 v23, v23, v21
	v_lshlrev_b32_e32 v21, 28, v22
	v_cmp_gt_i64_e32 vcc, 0, v[20:21]
	v_not_b32_e32 v21, v21
	v_ashrrev_i32_e32 v21, 31, v21
	v_and_b32_e32 v35, v35, v36
	;; [unrolled: 8-line block ×5, first 2 shown]
	v_xor_b32_e32 v36, vcc_hi, v21
	v_xor_b32_e32 v21, vcc_lo, v21
	v_and_b32_e32 v23, v23, v21
	v_lshlrev_b32_e32 v21, 24, v22
	v_cmp_gt_i64_e32 vcc, 0, v[20:21]
	v_not_b32_e32 v20, v21
	v_ashrrev_i32_e32 v20, 31, v20
	v_xor_b32_e32 v21, vcc_hi, v20
	v_xor_b32_e32 v20, vcc_lo, v20
	; wave barrier
	ds_read_b32 v33, v38 offset:64
	v_and_b32_e32 v35, v35, v36
	v_and_b32_e32 v20, v23, v20
	;; [unrolled: 1-line block ×3, first 2 shown]
	v_mbcnt_lo_u32_b32 v22, v20, 0
	v_mbcnt_hi_u32_b32 v35, v21, v22
	v_cmp_eq_u32_e32 vcc, 0, v35
	v_cmp_ne_u64_e64 s[2:3], 0, v[20:21]
	s_and_b64 s[8:9], s[2:3], vcc
	; wave barrier
	s_and_saveexec_b64 s[2:3], s[8:9]
	s_cbranch_execz .LBB886_29
; %bb.28:
	v_bcnt_u32_b32 v20, v20, 0
	v_bcnt_u32_b32 v20, v21, v20
	s_waitcnt lgkmcnt(0)
	v_add_u32_e32 v20, v33, v20
	ds_write_b32 v38, v20 offset:64
.LBB886_29:
	s_or_b64 exec, exec, s[2:3]
	v_lshrrev_b64 v[20:21], s20, v[14:15]
	v_and_b32_e32 v22, s30, v20
	v_and_b32_e32 v21, 1, v22
	v_add_co_u32_e32 v23, vcc, -1, v21
	v_addc_co_u32_e64 v39, s[2:3], 0, -1, vcc
	v_cmp_ne_u32_e32 vcc, 0, v21
	v_lshl_add_u32 v20, v22, 4, v22
	v_xor_b32_e32 v21, vcc_hi, v39
	v_add_lshl_u32 v41, v37, v20, 2
	v_mov_b32_e32 v20, 0
	v_and_b32_e32 v39, exec_hi, v21
	v_lshlrev_b32_e32 v21, 30, v22
	v_xor_b32_e32 v23, vcc_lo, v23
	v_cmp_gt_i64_e32 vcc, 0, v[20:21]
	v_not_b32_e32 v21, v21
	v_ashrrev_i32_e32 v21, 31, v21
	v_and_b32_e32 v23, exec_lo, v23
	v_xor_b32_e32 v40, vcc_hi, v21
	v_xor_b32_e32 v21, vcc_lo, v21
	v_and_b32_e32 v23, v23, v21
	v_lshlrev_b32_e32 v21, 29, v22
	v_cmp_gt_i64_e32 vcc, 0, v[20:21]
	v_not_b32_e32 v21, v21
	v_ashrrev_i32_e32 v21, 31, v21
	v_and_b32_e32 v39, v39, v40
	v_xor_b32_e32 v40, vcc_hi, v21
	v_xor_b32_e32 v21, vcc_lo, v21
	v_and_b32_e32 v23, v23, v21
	v_lshlrev_b32_e32 v21, 28, v22
	v_cmp_gt_i64_e32 vcc, 0, v[20:21]
	v_not_b32_e32 v21, v21
	v_ashrrev_i32_e32 v21, 31, v21
	v_and_b32_e32 v39, v39, v40
	;; [unrolled: 8-line block ×5, first 2 shown]
	v_xor_b32_e32 v40, vcc_hi, v21
	v_xor_b32_e32 v21, vcc_lo, v21
	v_and_b32_e32 v39, v39, v40
	v_and_b32_e32 v40, v23, v21
	v_lshlrev_b32_e32 v21, 24, v22
	v_cmp_gt_i64_e32 vcc, 0, v[20:21]
	v_not_b32_e32 v21, v21
	v_ashrrev_i32_e32 v21, 31, v21
	v_xor_b32_e32 v22, vcc_hi, v21
	v_xor_b32_e32 v21, vcc_lo, v21
	; wave barrier
	ds_read_b32 v36, v41 offset:64
	v_and_b32_e32 v23, v39, v22
	v_and_b32_e32 v22, v40, v21
	v_mbcnt_lo_u32_b32 v21, v22, 0
	v_mbcnt_hi_u32_b32 v39, v23, v21
	v_cmp_eq_u32_e32 vcc, 0, v39
	v_cmp_ne_u64_e64 s[2:3], 0, v[22:23]
	s_and_b64 s[8:9], s[2:3], vcc
	; wave barrier
	s_and_saveexec_b64 s[2:3], s[8:9]
	s_cbranch_execz .LBB886_31
; %bb.30:
	v_bcnt_u32_b32 v21, v22, 0
	v_bcnt_u32_b32 v21, v23, v21
	s_waitcnt lgkmcnt(0)
	v_add_u32_e32 v21, v36, v21
	ds_write_b32 v41, v21 offset:64
.LBB886_31:
	s_or_b64 exec, exec, s[2:3]
	v_lshrrev_b64 v[22:23], s20, v[12:13]
	v_and_b32_e32 v22, s30, v22
	v_lshl_add_u32 v21, v22, 4, v22
	v_add_lshl_u32 v44, v37, v21, 2
	v_and_b32_e32 v21, 1, v22
	v_add_co_u32_e32 v23, vcc, -1, v21
	v_addc_co_u32_e64 v42, s[2:3], 0, -1, vcc
	v_cmp_ne_u32_e32 vcc, 0, v21
	v_xor_b32_e32 v21, vcc_hi, v42
	v_and_b32_e32 v42, exec_hi, v21
	v_lshlrev_b32_e32 v21, 30, v22
	v_xor_b32_e32 v23, vcc_lo, v23
	v_cmp_gt_i64_e32 vcc, 0, v[20:21]
	v_not_b32_e32 v21, v21
	v_ashrrev_i32_e32 v21, 31, v21
	v_and_b32_e32 v23, exec_lo, v23
	v_xor_b32_e32 v43, vcc_hi, v21
	v_xor_b32_e32 v21, vcc_lo, v21
	v_and_b32_e32 v23, v23, v21
	v_lshlrev_b32_e32 v21, 29, v22
	v_cmp_gt_i64_e32 vcc, 0, v[20:21]
	v_not_b32_e32 v21, v21
	v_ashrrev_i32_e32 v21, 31, v21
	v_and_b32_e32 v42, v42, v43
	v_xor_b32_e32 v43, vcc_hi, v21
	v_xor_b32_e32 v21, vcc_lo, v21
	v_and_b32_e32 v23, v23, v21
	v_lshlrev_b32_e32 v21, 28, v22
	v_cmp_gt_i64_e32 vcc, 0, v[20:21]
	v_not_b32_e32 v21, v21
	v_ashrrev_i32_e32 v21, 31, v21
	v_and_b32_e32 v42, v42, v43
	;; [unrolled: 8-line block ×5, first 2 shown]
	v_xor_b32_e32 v43, vcc_hi, v21
	v_xor_b32_e32 v21, vcc_lo, v21
	v_and_b32_e32 v23, v23, v21
	v_lshlrev_b32_e32 v21, 24, v22
	v_cmp_gt_i64_e32 vcc, 0, v[20:21]
	v_not_b32_e32 v20, v21
	v_ashrrev_i32_e32 v20, 31, v20
	v_xor_b32_e32 v21, vcc_hi, v20
	v_xor_b32_e32 v20, vcc_lo, v20
	; wave barrier
	ds_read_b32 v40, v44 offset:64
	v_and_b32_e32 v42, v42, v43
	v_and_b32_e32 v20, v23, v20
	;; [unrolled: 1-line block ×3, first 2 shown]
	v_mbcnt_lo_u32_b32 v22, v20, 0
	v_mbcnt_hi_u32_b32 v42, v21, v22
	v_cmp_eq_u32_e32 vcc, 0, v42
	v_cmp_ne_u64_e64 s[2:3], 0, v[20:21]
	s_and_b64 s[8:9], s[2:3], vcc
	; wave barrier
	s_and_saveexec_b64 s[2:3], s[8:9]
	s_cbranch_execz .LBB886_33
; %bb.32:
	v_bcnt_u32_b32 v20, v20, 0
	v_bcnt_u32_b32 v20, v21, v20
	s_waitcnt lgkmcnt(0)
	v_add_u32_e32 v20, v40, v20
	ds_write_b32 v44, v20 offset:64
.LBB886_33:
	s_or_b64 exec, exec, s[2:3]
	v_lshrrev_b64 v[20:21], s20, v[18:19]
	v_and_b32_e32 v22, s30, v20
	v_and_b32_e32 v21, 1, v22
	v_add_co_u32_e32 v23, vcc, -1, v21
	v_addc_co_u32_e64 v45, s[2:3], 0, -1, vcc
	v_cmp_ne_u32_e32 vcc, 0, v21
	v_lshl_add_u32 v20, v22, 4, v22
	v_xor_b32_e32 v21, vcc_hi, v45
	v_add_lshl_u32 v46, v37, v20, 2
	v_mov_b32_e32 v20, 0
	v_and_b32_e32 v45, exec_hi, v21
	v_lshlrev_b32_e32 v21, 30, v22
	v_xor_b32_e32 v23, vcc_lo, v23
	v_cmp_gt_i64_e32 vcc, 0, v[20:21]
	v_not_b32_e32 v21, v21
	v_ashrrev_i32_e32 v21, 31, v21
	v_and_b32_e32 v23, exec_lo, v23
	v_xor_b32_e32 v47, vcc_hi, v21
	v_xor_b32_e32 v21, vcc_lo, v21
	v_and_b32_e32 v23, v23, v21
	v_lshlrev_b32_e32 v21, 29, v22
	v_cmp_gt_i64_e32 vcc, 0, v[20:21]
	v_not_b32_e32 v21, v21
	v_ashrrev_i32_e32 v21, 31, v21
	v_and_b32_e32 v45, v45, v47
	v_xor_b32_e32 v47, vcc_hi, v21
	v_xor_b32_e32 v21, vcc_lo, v21
	v_and_b32_e32 v23, v23, v21
	v_lshlrev_b32_e32 v21, 28, v22
	v_cmp_gt_i64_e32 vcc, 0, v[20:21]
	v_not_b32_e32 v21, v21
	v_ashrrev_i32_e32 v21, 31, v21
	v_and_b32_e32 v45, v45, v47
	;; [unrolled: 8-line block ×5, first 2 shown]
	v_xor_b32_e32 v47, vcc_hi, v21
	v_xor_b32_e32 v21, vcc_lo, v21
	v_and_b32_e32 v45, v45, v47
	v_and_b32_e32 v47, v23, v21
	v_lshlrev_b32_e32 v21, 24, v22
	v_cmp_gt_i64_e32 vcc, 0, v[20:21]
	v_not_b32_e32 v21, v21
	v_ashrrev_i32_e32 v21, 31, v21
	v_xor_b32_e32 v22, vcc_hi, v21
	v_xor_b32_e32 v21, vcc_lo, v21
	; wave barrier
	ds_read_b32 v43, v46 offset:64
	v_and_b32_e32 v23, v45, v22
	v_and_b32_e32 v22, v47, v21
	v_mbcnt_lo_u32_b32 v21, v22, 0
	v_mbcnt_hi_u32_b32 v45, v23, v21
	v_cmp_eq_u32_e32 vcc, 0, v45
	v_cmp_ne_u64_e64 s[2:3], 0, v[22:23]
	s_and_b64 s[8:9], s[2:3], vcc
	; wave barrier
	s_and_saveexec_b64 s[2:3], s[8:9]
	s_cbranch_execz .LBB886_35
; %bb.34:
	v_bcnt_u32_b32 v21, v22, 0
	v_bcnt_u32_b32 v21, v23, v21
	s_waitcnt lgkmcnt(0)
	v_add_u32_e32 v21, v43, v21
	ds_write_b32 v46, v21 offset:64
.LBB886_35:
	s_or_b64 exec, exec, s[2:3]
	v_lshrrev_b64 v[22:23], s20, v[16:17]
	v_and_b32_e32 v22, s30, v22
	v_lshl_add_u32 v21, v22, 4, v22
	v_add_lshl_u32 v48, v37, v21, 2
	v_and_b32_e32 v21, 1, v22
	v_add_co_u32_e32 v23, vcc, -1, v21
	v_addc_co_u32_e64 v47, s[2:3], 0, -1, vcc
	v_cmp_ne_u32_e32 vcc, 0, v21
	v_xor_b32_e32 v21, vcc_hi, v47
	v_and_b32_e32 v47, exec_hi, v21
	v_lshlrev_b32_e32 v21, 30, v22
	v_xor_b32_e32 v23, vcc_lo, v23
	v_cmp_gt_i64_e32 vcc, 0, v[20:21]
	v_not_b32_e32 v21, v21
	v_ashrrev_i32_e32 v21, 31, v21
	v_and_b32_e32 v23, exec_lo, v23
	v_xor_b32_e32 v50, vcc_hi, v21
	v_xor_b32_e32 v21, vcc_lo, v21
	v_and_b32_e32 v23, v23, v21
	v_lshlrev_b32_e32 v21, 29, v22
	v_cmp_gt_i64_e32 vcc, 0, v[20:21]
	v_not_b32_e32 v21, v21
	v_ashrrev_i32_e32 v21, 31, v21
	v_and_b32_e32 v47, v47, v50
	v_xor_b32_e32 v50, vcc_hi, v21
	v_xor_b32_e32 v21, vcc_lo, v21
	v_and_b32_e32 v23, v23, v21
	v_lshlrev_b32_e32 v21, 28, v22
	v_cmp_gt_i64_e32 vcc, 0, v[20:21]
	v_not_b32_e32 v21, v21
	v_ashrrev_i32_e32 v21, 31, v21
	v_and_b32_e32 v47, v47, v50
	;; [unrolled: 8-line block ×5, first 2 shown]
	v_xor_b32_e32 v50, vcc_hi, v21
	v_xor_b32_e32 v21, vcc_lo, v21
	v_and_b32_e32 v23, v23, v21
	v_lshlrev_b32_e32 v21, 24, v22
	v_cmp_gt_i64_e32 vcc, 0, v[20:21]
	v_not_b32_e32 v20, v21
	v_ashrrev_i32_e32 v20, 31, v20
	v_xor_b32_e32 v21, vcc_hi, v20
	v_xor_b32_e32 v20, vcc_lo, v20
	; wave barrier
	ds_read_b32 v37, v48 offset:64
	v_and_b32_e32 v47, v47, v50
	v_and_b32_e32 v20, v23, v20
	;; [unrolled: 1-line block ×3, first 2 shown]
	v_mbcnt_lo_u32_b32 v22, v20, 0
	v_mbcnt_hi_u32_b32 v47, v21, v22
	v_cmp_eq_u32_e32 vcc, 0, v47
	v_cmp_ne_u64_e64 s[2:3], 0, v[20:21]
	v_add_u32_e32 v49, 64, v25
	s_and_b64 s[8:9], s[2:3], vcc
	; wave barrier
	s_and_saveexec_b64 s[2:3], s[8:9]
	s_cbranch_execz .LBB886_37
; %bb.36:
	v_bcnt_u32_b32 v20, v20, 0
	v_bcnt_u32_b32 v20, v21, v20
	s_waitcnt lgkmcnt(0)
	v_add_u32_e32 v20, v37, v20
	ds_write_b32 v48, v20 offset:64
.LBB886_37:
	s_or_b64 exec, exec, s[2:3]
	; wave barrier
	s_waitcnt lgkmcnt(0)
	s_barrier
	ds_read2_b32 v[22:23], v25 offset0:16 offset1:17
	ds_read2_b32 v[20:21], v49 offset0:2 offset1:3
	ds_read_b32 v50, v49 offset:16
	v_cmp_lt_u32_e64 s[12:13], 31, v24
	s_waitcnt lgkmcnt(1)
	v_add3_u32 v51, v23, v22, v20
	s_waitcnt lgkmcnt(0)
	v_add3_u32 v50, v51, v21, v50
	v_and_b32_e32 v51, 15, v24
	v_cmp_eq_u32_e32 vcc, 0, v51
	v_mov_b32_dpp v52, v50 row_shr:1 row_mask:0xf bank_mask:0xf
	v_cndmask_b32_e64 v52, v52, 0, vcc
	v_add_u32_e32 v50, v52, v50
	v_cmp_lt_u32_e64 s[2:3], 1, v51
	v_cmp_lt_u32_e64 s[10:11], 3, v51
	v_mov_b32_dpp v52, v50 row_shr:2 row_mask:0xf bank_mask:0xf
	v_cndmask_b32_e64 v52, 0, v52, s[2:3]
	v_add_u32_e32 v50, v50, v52
	v_cmp_lt_u32_e64 s[8:9], 7, v51
	s_nop 0
	v_mov_b32_dpp v52, v50 row_shr:4 row_mask:0xf bank_mask:0xf
	v_cndmask_b32_e64 v52, 0, v52, s[10:11]
	v_add_u32_e32 v50, v50, v52
	s_nop 1
	v_mov_b32_dpp v52, v50 row_shr:8 row_mask:0xf bank_mask:0xf
	v_cndmask_b32_e64 v51, 0, v52, s[8:9]
	v_add_u32_e32 v50, v50, v51
	v_bfe_i32 v52, v24, 4, 1
	s_nop 0
	v_mov_b32_dpp v51, v50 row_bcast:15 row_mask:0xf bank_mask:0xf
	v_and_b32_e32 v51, v52, v51
	v_add_u32_e32 v50, v50, v51
	v_and_b32_e32 v52, 63, v2
	s_nop 0
	v_mov_b32_dpp v51, v50 row_bcast:31 row_mask:0xf bank_mask:0xf
	v_cndmask_b32_e64 v51, 0, v51, s[12:13]
	v_add_u32_e32 v50, v50, v51
	v_lshrrev_b32_e32 v51, 6, v2
	v_cmp_eq_u32_e64 s[12:13], 63, v52
	s_and_saveexec_b64 s[22:23], s[12:13]
	s_cbranch_execz .LBB886_39
; %bb.38:
	v_lshlrev_b32_e32 v52, 2, v51
	ds_write_b32 v52, v50
.LBB886_39:
	s_or_b64 exec, exec, s[22:23]
	v_cmp_gt_u32_e64 s[12:13], 16, v2
	s_waitcnt lgkmcnt(0)
	s_barrier
	s_and_saveexec_b64 s[22:23], s[12:13]
	s_cbranch_execz .LBB886_41
; %bb.40:
	v_lshlrev_b32_e32 v52, 2, v2
	ds_read_b32 v53, v52
	s_waitcnt lgkmcnt(0)
	s_nop 0
	v_mov_b32_dpp v54, v53 row_shr:1 row_mask:0xf bank_mask:0xf
	v_cndmask_b32_e64 v54, v54, 0, vcc
	v_add_u32_e32 v53, v54, v53
	s_nop 1
	v_mov_b32_dpp v54, v53 row_shr:2 row_mask:0xf bank_mask:0xf
	v_cndmask_b32_e64 v54, 0, v54, s[2:3]
	v_add_u32_e32 v53, v53, v54
	s_nop 1
	v_mov_b32_dpp v54, v53 row_shr:4 row_mask:0xf bank_mask:0xf
	v_cndmask_b32_e64 v54, 0, v54, s[10:11]
	v_add_u32_e32 v53, v53, v54
	s_nop 1
	v_mov_b32_dpp v54, v53 row_shr:8 row_mask:0xf bank_mask:0xf
	v_cndmask_b32_e64 v54, 0, v54, s[8:9]
	v_add_u32_e32 v53, v53, v54
	ds_write_b32 v52, v53
.LBB886_41:
	s_or_b64 exec, exec, s[22:23]
	v_cmp_lt_u32_e32 vcc, 63, v2
	v_mov_b32_e32 v52, 0
	s_waitcnt lgkmcnt(0)
	s_barrier
	s_and_saveexec_b64 s[2:3], vcc
	s_cbranch_execz .LBB886_43
; %bb.42:
	v_lshl_add_u32 v51, v51, 2, -4
	ds_read_b32 v52, v51
.LBB886_43:
	s_or_b64 exec, exec, s[2:3]
	v_add_u32_e32 v51, -1, v24
	v_and_b32_e32 v53, 64, v24
	v_cmp_lt_i32_e32 vcc, v51, v53
	v_cndmask_b32_e32 v51, v51, v24, vcc
	s_waitcnt lgkmcnt(0)
	v_add_u32_e32 v50, v52, v50
	v_lshlrev_b32_e32 v51, 2, v51
	ds_bpermute_b32 v50, v51, v50
	v_cmp_eq_u32_e32 vcc, 0, v24
	s_movk_i32 s2, 0x100
	s_waitcnt lgkmcnt(0)
	v_cndmask_b32_e32 v24, v50, v52, vcc
	v_cndmask_b32_e64 v24, v24, 0, s[0:1]
	v_add_u32_e32 v22, v24, v22
	v_add_u32_e32 v23, v22, v23
	;; [unrolled: 1-line block ×4, first 2 shown]
	ds_write2_b32 v25, v24, v22 offset0:16 offset1:17
	ds_write2_b32 v49, v23, v20 offset0:2 offset1:3
	ds_write_b32 v49, v21 offset:16
	s_waitcnt lgkmcnt(0)
	s_barrier
	ds_read_b32 v50, v30 offset:64
	ds_read_b32 v49, v31 offset:64
	;; [unrolled: 1-line block ×8, first 2 shown]
	v_cmp_gt_u32_e32 vcc, s2, v2
                                        ; implicit-def: $vgpr30
                                        ; implicit-def: $vgpr31
	s_and_saveexec_b64 s[8:9], vcc
	s_cbranch_execz .LBB886_47
; %bb.44:
	v_mul_u32_u24_e32 v20, 17, v2
	v_lshlrev_b32_e32 v21, 2, v20
	ds_read_b32 v30, v21 offset:64
	s_movk_i32 s2, 0xff
	v_cmp_ne_u32_e64 s[2:3], s2, v2
	v_mov_b32_e32 v20, 0x2000
	s_and_saveexec_b64 s[10:11], s[2:3]
	s_cbranch_execz .LBB886_46
; %bb.45:
	ds_read_b32 v20, v21 offset:132
.LBB886_46:
	s_or_b64 exec, exec, s[10:11]
	s_waitcnt lgkmcnt(0)
	v_sub_u32_e32 v31, v20, v30
.LBB886_47:
	s_or_b64 exec, exec, s[8:9]
	s_waitcnt lgkmcnt(0)
	s_barrier
	s_and_saveexec_b64 s[8:9], vcc
	s_cbranch_execz .LBB886_57
; %bb.48:
	v_lshl_or_b32 v20, s28, 8, v2
	v_mov_b32_e32 v21, 0
	v_lshlrev_b64 v[22:23], 2, v[20:21]
	v_mov_b32_e32 v51, s15
	v_add_co_u32_e64 v22, s[2:3], s14, v22
	v_addc_co_u32_e64 v23, s[2:3], v51, v23, s[2:3]
	v_or_b32_e32 v20, 2.0, v31
	s_mov_b64 s[10:11], 0
	s_brev_b32 s31, 1
	s_mov_b32 s33, s28
	v_mov_b32_e32 v52, 0
	global_store_dword v[22:23], v20, off
                                        ; implicit-def: $sgpr2_sgpr3
	s_branch .LBB886_50
.LBB886_49:                             ;   in Loop: Header=BB886_50 Depth=1
	s_or_b64 exec, exec, s[12:13]
	v_and_b32_e32 v24, 0x3fffffff, v53
	v_add_u32_e32 v52, v24, v52
	v_cmp_eq_u32_e64 s[2:3], s31, v20
	s_and_b64 s[12:13], exec, s[2:3]
	s_or_b64 s[10:11], s[12:13], s[10:11]
	s_andn2_b64 exec, exec, s[10:11]
	s_cbranch_execz .LBB886_56
.LBB886_50:                             ; =>This Loop Header: Depth=1
                                        ;     Child Loop BB886_53 Depth 2
	s_or_b64 s[2:3], s[2:3], exec
	s_cmp_eq_u32 s33, 0
	s_cbranch_scc1 .LBB886_55
; %bb.51:                               ;   in Loop: Header=BB886_50 Depth=1
	s_add_i32 s33, s33, -1
	v_lshl_or_b32 v20, s33, 8, v2
	v_lshlrev_b64 v[24:25], 2, v[20:21]
	v_add_co_u32_e64 v24, s[2:3], s14, v24
	v_addc_co_u32_e64 v25, s[2:3], v51, v25, s[2:3]
	global_load_dword v53, v[24:25], off glc
	s_waitcnt vmcnt(0)
	v_and_b32_e32 v20, -2.0, v53
	v_cmp_eq_u32_e64 s[2:3], 0, v20
	s_and_saveexec_b64 s[12:13], s[2:3]
	s_cbranch_execz .LBB886_49
; %bb.52:                               ;   in Loop: Header=BB886_50 Depth=1
	s_mov_b64 s[22:23], 0
.LBB886_53:                             ;   Parent Loop BB886_50 Depth=1
                                        ; =>  This Inner Loop Header: Depth=2
	global_load_dword v53, v[24:25], off glc
	s_waitcnt vmcnt(0)
	v_and_b32_e32 v20, -2.0, v53
	v_cmp_ne_u32_e64 s[2:3], 0, v20
	s_or_b64 s[22:23], s[2:3], s[22:23]
	s_andn2_b64 exec, exec, s[22:23]
	s_cbranch_execnz .LBB886_53
; %bb.54:                               ;   in Loop: Header=BB886_50 Depth=1
	s_or_b64 exec, exec, s[22:23]
	s_branch .LBB886_49
.LBB886_55:                             ;   in Loop: Header=BB886_50 Depth=1
                                        ; implicit-def: $sgpr33
	s_and_b64 s[12:13], exec, s[2:3]
	s_or_b64 s[10:11], s[12:13], s[10:11]
	s_andn2_b64 exec, exec, s[10:11]
	s_cbranch_execnz .LBB886_50
.LBB886_56:
	s_or_b64 exec, exec, s[10:11]
	v_add_u32_e32 v20, v52, v31
	v_or_b32_e32 v20, 0x80000000, v20
	global_store_dword v[22:23], v20, off
	v_lshlrev_b32_e32 v20, 2, v2
	global_load_dword v21, v20, s[16:17]
	v_sub_u32_e32 v22, v52, v30
	s_waitcnt vmcnt(0)
	v_add_u32_e32 v21, v22, v21
	ds_write_b32 v20, v21
.LBB886_57:
	s_or_b64 exec, exec, s[8:9]
	v_add_u32_e32 v22, v50, v26
	s_movk_i32 s10, 0x400
	v_add_u32_e32 v23, 0x400, v3
	v_add3_u32 v24, v47, v48, v37
	v_add3_u32 v25, v45, v46, v43
	;; [unrolled: 1-line block ×7, first 2 shown]
	s_mov_b32 s11, 0
	v_mov_b32_e32 v21, 0
	v_mov_b32_e32 v28, v2
	s_branch .LBB886_59
.LBB886_58:                             ;   in Loop: Header=BB886_59 Depth=1
	s_or_b64 exec, exec, s[8:9]
	s_addk_i32 s11, 0xf800
	s_cmpk_eq_i32 s11, 0xe000
	v_add_u32_e32 v28, 0x800, v28
	s_barrier
	s_cbranch_scc1 .LBB886_64
.LBB886_59:                             ; =>This Inner Loop Header: Depth=1
	v_add_u32_e32 v20, s11, v22
	v_min_u32_e32 v20, 0x800, v20
	v_lshlrev_b32_e32 v20, 3, v20
	ds_write_b64 v20, v[6:7] offset:1024
	v_add_u32_e32 v20, s11, v27
	v_min_u32_e32 v20, 0x800, v20
	v_lshlrev_b32_e32 v20, 3, v20
	ds_write_b64 v20, v[4:5] offset:1024
	;; [unrolled: 4-line block ×7, first 2 shown]
	v_add_u32_e32 v20, s11, v24
	v_min_u32_e32 v20, 0x800, v20
	v_lshlrev_b32_e32 v20, 3, v20
	v_cmp_gt_u32_e64 s[2:3], s7, v28
	ds_write_b64 v20, v[16:17] offset:1024
	s_waitcnt lgkmcnt(0)
	s_barrier
	s_and_saveexec_b64 s[8:9], s[2:3]
	s_cbranch_execz .LBB886_61
; %bb.60:                               ;   in Loop: Header=BB886_59 Depth=1
	ds_read_b64 v[34:35], v3 offset:1024
	v_mov_b32_e32 v32, s27
	s_waitcnt lgkmcnt(0)
	v_lshrrev_b64 v[38:39], s20, v[34:35]
	v_and_b32_e32 v20, s30, v38
	v_lshlrev_b32_e32 v20, 2, v20
	ds_read_b32 v20, v20
	s_waitcnt lgkmcnt(0)
	v_add_u32_e32 v20, v28, v20
	v_lshlrev_b64 v[38:39], 3, v[20:21]
	v_add_co_u32_e64 v38, s[2:3], s26, v38
	v_addc_co_u32_e64 v39, s[2:3], v32, v39, s[2:3]
	global_store_dwordx2 v[38:39], v[34:35], off
.LBB886_61:                             ;   in Loop: Header=BB886_59 Depth=1
	s_or_b64 exec, exec, s[8:9]
	v_add_u32_e32 v20, 0x400, v28
	v_cmp_gt_u32_e64 s[2:3], s7, v20
	s_and_saveexec_b64 s[8:9], s[2:3]
	s_cbranch_execz .LBB886_58
; %bb.62:                               ;   in Loop: Header=BB886_59 Depth=1
	ds_read_b64 v[34:35], v23 offset:8192
	v_mov_b32_e32 v32, s27
	s_waitcnt lgkmcnt(0)
	v_lshrrev_b64 v[38:39], s20, v[34:35]
	v_and_b32_e32 v20, s30, v38
	v_lshlrev_b32_e32 v20, 2, v20
	ds_read_b32 v20, v20
	s_waitcnt lgkmcnt(0)
	v_add3_u32 v20, v28, v20, s10
	v_lshlrev_b64 v[38:39], 3, v[20:21]
	v_add_co_u32_e64 v38, s[2:3], s26, v38
	v_addc_co_u32_e64 v39, s[2:3], v32, v39, s[2:3]
	global_store_dwordx2 v[38:39], v[34:35], off
	s_branch .LBB886_58
.LBB886_63:
	s_mov_b64 s[10:11], 0
                                        ; implicit-def: $vgpr4
	s_cbranch_execnz .LBB886_67
	s_branch .LBB886_108
.LBB886_64:
	s_add_i32 s29, s29, -1
	s_cmp_eq_u32 s29, s28
	s_cselect_b64 s[2:3], -1, 0
	s_and_b64 s[8:9], vcc, s[2:3]
	s_mov_b64 s[2:3], 0
	s_mov_b64 s[10:11], 0
                                        ; implicit-def: $vgpr4
	s_and_saveexec_b64 s[12:13], s[8:9]
	s_xor_b64 s[8:9], exec, s[12:13]
; %bb.65:
	s_mov_b64 s[10:11], exec
	v_add_u32_e32 v4, v30, v31
; %bb.66:
	s_or_b64 exec, exec, s[8:9]
	s_and_b64 vcc, exec, s[2:3]
	s_cbranch_vccz .LBB886_108
.LBB886_67:
	s_lshl_b32 s2, s28, 13
	s_mov_b32 s3, 0
	v_mbcnt_hi_u32_b32 v22, -1, v1
	s_lshl_b64 s[2:3], s[2:3], 3
	v_and_b32_e32 v1, 63, v22
	s_add_u32 s2, s24, s2
	v_lshlrev_b32_e32 v1, 3, v1
	v_add_co_u32_e32 v1, vcc, s2, v1
	s_load_dword s22, s[4:5], 0x58
	s_load_dword s2, s[4:5], 0x64
	s_addc_u32 s3, s25, s3
	v_mov_b32_e32 v4, s3
	v_lshlrev_b32_e32 v5, 6, v2
	s_add_u32 s3, s4, 0x58
	v_addc_co_u32_e32 v4, vcc, 0, v4, vcc
	v_and_b32_e32 v5, 0xf000, v5
	s_addc_u32 s4, s5, 0
	s_waitcnt lgkmcnt(0)
	s_lshr_b32 s5, s2, 16
	v_add_co_u32_e32 v20, vcc, v1, v5
	s_cmp_lt_u32 s6, s22
	v_addc_co_u32_e32 v21, vcc, 0, v4, vcc
	s_cselect_b32 s2, 12, 18
	global_load_dwordx2 v[4:5], v[20:21], off
	s_add_u32 s2, s3, s2
	v_mov_b32_e32 v18, 0
	s_addc_u32 s3, s4, 0
	global_load_ushort v24, v18, s[2:3]
	v_mul_u32_u24_e32 v6, 5, v2
	v_lshlrev_b32_e32 v23, 2, v6
	v_bfe_u32 v1, v0, 10, 10
	v_bfe_u32 v0, v0, 20, 10
	ds_write2_b32 v23, v18, v18 offset0:16 offset1:17
	ds_write2_b32 v23, v18, v18 offset0:18 offset1:19
	ds_write_b32 v23, v18 offset:80
	v_mad_u32_u24 v25, v0, s5, v1
	global_load_dwordx2 v[0:1], v[20:21], off offset:512
	global_load_dwordx2 v[6:7], v[20:21], off offset:1024
	;; [unrolled: 1-line block ×7, first 2 shown]
	s_lshl_b32 s2, -1, s21
	s_not_b32 s21, s2
	s_waitcnt lgkmcnt(0)
	s_barrier
	s_waitcnt lgkmcnt(0)
	; wave barrier
	s_waitcnt vmcnt(8)
	v_lshrrev_b64 v[20:21], s20, v[4:5]
	v_and_b32_e32 v27, s21, v20
	v_and_b32_e32 v28, 1, v27
	v_lshlrev_b32_e32 v19, 30, v27
	s_waitcnt vmcnt(7)
	v_mad_u64_u32 v[20:21], s[2:3], v25, v24, v[2:3]
	v_add_co_u32_e32 v21, vcc, -1, v28
	v_addc_co_u32_e64 v24, s[2:3], 0, -1, vcc
	v_cmp_ne_u32_e32 vcc, 0, v28
	v_cmp_gt_i64_e64 s[2:3], 0, v[18:19]
	v_not_b32_e32 v25, v19
	v_lshlrev_b32_e32 v19, 29, v27
	v_lshrrev_b32_e32 v33, 6, v20
	v_xor_b32_e32 v20, vcc_hi, v24
	v_xor_b32_e32 v21, vcc_lo, v21
	v_ashrrev_i32_e32 v24, 31, v25
	v_cmp_gt_i64_e32 vcc, 0, v[18:19]
	v_not_b32_e32 v25, v19
	v_lshlrev_b32_e32 v19, 28, v27
	v_and_b32_e32 v20, exec_hi, v20
	v_and_b32_e32 v21, exec_lo, v21
	v_xor_b32_e32 v28, s3, v24
	v_xor_b32_e32 v24, s2, v24
	v_ashrrev_i32_e32 v25, 31, v25
	v_cmp_gt_i64_e64 s[2:3], 0, v[18:19]
	v_not_b32_e32 v29, v19
	v_lshlrev_b32_e32 v19, 27, v27
	v_and_b32_e32 v20, v20, v28
	v_and_b32_e32 v21, v21, v24
	v_xor_b32_e32 v24, vcc_hi, v25
	v_xor_b32_e32 v25, vcc_lo, v25
	v_ashrrev_i32_e32 v28, 31, v29
	v_cmp_gt_i64_e32 vcc, 0, v[18:19]
	v_not_b32_e32 v19, v19
	v_and_b32_e32 v20, v20, v24
	v_and_b32_e32 v21, v21, v25
	v_xor_b32_e32 v24, s3, v28
	v_xor_b32_e32 v25, s2, v28
	v_ashrrev_i32_e32 v19, 31, v19
	v_and_b32_e32 v20, v20, v24
	v_and_b32_e32 v21, v21, v25
	v_xor_b32_e32 v24, vcc_hi, v19
	v_xor_b32_e32 v19, vcc_lo, v19
	v_and_b32_e32 v21, v21, v19
	v_lshlrev_b32_e32 v19, 26, v27
	v_cmp_gt_i64_e32 vcc, 0, v[18:19]
	v_not_b32_e32 v19, v19
	v_ashrrev_i32_e32 v19, 31, v19
	v_and_b32_e32 v20, v20, v24
	v_xor_b32_e32 v24, vcc_hi, v19
	v_xor_b32_e32 v19, vcc_lo, v19
	v_and_b32_e32 v21, v21, v19
	v_lshlrev_b32_e32 v19, 25, v27
	v_cmp_gt_i64_e32 vcc, 0, v[18:19]
	v_not_b32_e32 v19, v19
	v_ashrrev_i32_e32 v19, 31, v19
	v_and_b32_e32 v20, v20, v24
	v_xor_b32_e32 v24, vcc_hi, v19
	v_xor_b32_e32 v19, vcc_lo, v19
	v_and_b32_e32 v20, v20, v24
	v_and_b32_e32 v24, v21, v19
	v_lshlrev_b32_e32 v19, 24, v27
	v_cmp_gt_i64_e32 vcc, 0, v[18:19]
	v_not_b32_e32 v19, v19
	v_ashrrev_i32_e32 v19, 31, v19
	v_xor_b32_e32 v21, vcc_hi, v19
	v_xor_b32_e32 v19, vcc_lo, v19
	v_and_b32_e32 v21, v20, v21
	v_and_b32_e32 v20, v24, v19
	v_mbcnt_lo_u32_b32 v19, v20, 0
	v_mbcnt_hi_u32_b32 v24, v21, v19
	v_lshl_add_u32 v26, v27, 4, v27
	v_cmp_eq_u32_e32 vcc, 0, v24
	v_cmp_ne_u64_e64 s[2:3], 0, v[20:21]
	v_add_lshl_u32 v26, v33, v26, 2
	s_and_b64 s[4:5], s[2:3], vcc
	s_and_saveexec_b64 s[2:3], s[4:5]
	s_cbranch_execz .LBB886_69
; %bb.68:
	v_bcnt_u32_b32 v19, v20, 0
	v_bcnt_u32_b32 v19, v21, v19
	ds_write_b32 v26, v19 offset:64
.LBB886_69:
	s_or_b64 exec, exec, s[2:3]
	s_waitcnt vmcnt(6)
	v_lshrrev_b64 v[20:21], s20, v[0:1]
	v_and_b32_e32 v20, s21, v20
	v_lshl_add_u32 v19, v20, 4, v20
	v_add_lshl_u32 v29, v33, v19, 2
	v_and_b32_e32 v19, 1, v20
	v_add_co_u32_e32 v21, vcc, -1, v19
	v_addc_co_u32_e64 v27, s[2:3], 0, -1, vcc
	v_cmp_ne_u32_e32 vcc, 0, v19
	v_xor_b32_e32 v19, vcc_hi, v27
	v_and_b32_e32 v27, exec_hi, v19
	v_lshlrev_b32_e32 v19, 30, v20
	v_xor_b32_e32 v21, vcc_lo, v21
	v_cmp_gt_i64_e32 vcc, 0, v[18:19]
	v_not_b32_e32 v19, v19
	v_ashrrev_i32_e32 v19, 31, v19
	v_and_b32_e32 v21, exec_lo, v21
	v_xor_b32_e32 v28, vcc_hi, v19
	v_xor_b32_e32 v19, vcc_lo, v19
	v_and_b32_e32 v21, v21, v19
	v_lshlrev_b32_e32 v19, 29, v20
	v_cmp_gt_i64_e32 vcc, 0, v[18:19]
	v_not_b32_e32 v19, v19
	v_ashrrev_i32_e32 v19, 31, v19
	v_and_b32_e32 v27, v27, v28
	v_xor_b32_e32 v28, vcc_hi, v19
	v_xor_b32_e32 v19, vcc_lo, v19
	v_and_b32_e32 v21, v21, v19
	v_lshlrev_b32_e32 v19, 28, v20
	v_cmp_gt_i64_e32 vcc, 0, v[18:19]
	v_not_b32_e32 v19, v19
	v_ashrrev_i32_e32 v19, 31, v19
	v_and_b32_e32 v27, v27, v28
	;; [unrolled: 8-line block ×5, first 2 shown]
	v_xor_b32_e32 v28, vcc_hi, v19
	v_xor_b32_e32 v19, vcc_lo, v19
	v_and_b32_e32 v21, v21, v19
	v_lshlrev_b32_e32 v19, 24, v20
	v_cmp_gt_i64_e32 vcc, 0, v[18:19]
	v_not_b32_e32 v18, v19
	v_ashrrev_i32_e32 v18, 31, v18
	v_xor_b32_e32 v19, vcc_hi, v18
	v_xor_b32_e32 v18, vcc_lo, v18
	; wave barrier
	ds_read_b32 v25, v29 offset:64
	v_and_b32_e32 v27, v27, v28
	v_and_b32_e32 v18, v21, v18
	;; [unrolled: 1-line block ×3, first 2 shown]
	v_mbcnt_lo_u32_b32 v20, v18, 0
	v_mbcnt_hi_u32_b32 v27, v19, v20
	v_cmp_eq_u32_e32 vcc, 0, v27
	v_cmp_ne_u64_e64 s[2:3], 0, v[18:19]
	s_and_b64 s[4:5], s[2:3], vcc
	; wave barrier
	s_and_saveexec_b64 s[2:3], s[4:5]
	s_cbranch_execz .LBB886_71
; %bb.70:
	v_bcnt_u32_b32 v18, v18, 0
	v_bcnt_u32_b32 v18, v19, v18
	s_waitcnt lgkmcnt(0)
	v_add_u32_e32 v18, v25, v18
	ds_write_b32 v29, v18 offset:64
.LBB886_71:
	s_or_b64 exec, exec, s[2:3]
	s_waitcnt vmcnt(5)
	v_lshrrev_b64 v[18:19], s20, v[6:7]
	v_and_b32_e32 v20, s21, v18
	v_and_b32_e32 v19, 1, v20
	v_add_co_u32_e32 v21, vcc, -1, v19
	v_addc_co_u32_e64 v30, s[2:3], 0, -1, vcc
	v_cmp_ne_u32_e32 vcc, 0, v19
	v_lshl_add_u32 v18, v20, 4, v20
	v_xor_b32_e32 v19, vcc_hi, v30
	v_add_lshl_u32 v32, v33, v18, 2
	v_mov_b32_e32 v18, 0
	v_and_b32_e32 v30, exec_hi, v19
	v_lshlrev_b32_e32 v19, 30, v20
	v_xor_b32_e32 v21, vcc_lo, v21
	v_cmp_gt_i64_e32 vcc, 0, v[18:19]
	v_not_b32_e32 v19, v19
	v_ashrrev_i32_e32 v19, 31, v19
	v_and_b32_e32 v21, exec_lo, v21
	v_xor_b32_e32 v31, vcc_hi, v19
	v_xor_b32_e32 v19, vcc_lo, v19
	v_and_b32_e32 v21, v21, v19
	v_lshlrev_b32_e32 v19, 29, v20
	v_cmp_gt_i64_e32 vcc, 0, v[18:19]
	v_not_b32_e32 v19, v19
	v_ashrrev_i32_e32 v19, 31, v19
	v_and_b32_e32 v30, v30, v31
	v_xor_b32_e32 v31, vcc_hi, v19
	v_xor_b32_e32 v19, vcc_lo, v19
	v_and_b32_e32 v21, v21, v19
	v_lshlrev_b32_e32 v19, 28, v20
	v_cmp_gt_i64_e32 vcc, 0, v[18:19]
	v_not_b32_e32 v19, v19
	v_ashrrev_i32_e32 v19, 31, v19
	v_and_b32_e32 v30, v30, v31
	;; [unrolled: 8-line block ×5, first 2 shown]
	v_xor_b32_e32 v31, vcc_hi, v19
	v_xor_b32_e32 v19, vcc_lo, v19
	v_and_b32_e32 v30, v30, v31
	v_and_b32_e32 v31, v21, v19
	v_lshlrev_b32_e32 v19, 24, v20
	v_cmp_gt_i64_e32 vcc, 0, v[18:19]
	v_not_b32_e32 v19, v19
	v_ashrrev_i32_e32 v19, 31, v19
	v_xor_b32_e32 v20, vcc_hi, v19
	v_xor_b32_e32 v19, vcc_lo, v19
	; wave barrier
	ds_read_b32 v28, v32 offset:64
	v_and_b32_e32 v21, v30, v20
	v_and_b32_e32 v20, v31, v19
	v_mbcnt_lo_u32_b32 v19, v20, 0
	v_mbcnt_hi_u32_b32 v30, v21, v19
	v_cmp_eq_u32_e32 vcc, 0, v30
	v_cmp_ne_u64_e64 s[2:3], 0, v[20:21]
	s_and_b64 s[4:5], s[2:3], vcc
	; wave barrier
	s_and_saveexec_b64 s[2:3], s[4:5]
	s_cbranch_execz .LBB886_73
; %bb.72:
	v_bcnt_u32_b32 v19, v20, 0
	v_bcnt_u32_b32 v19, v21, v19
	s_waitcnt lgkmcnt(0)
	v_add_u32_e32 v19, v28, v19
	ds_write_b32 v32, v19 offset:64
.LBB886_73:
	s_or_b64 exec, exec, s[2:3]
	s_waitcnt vmcnt(4)
	v_lshrrev_b64 v[20:21], s20, v[8:9]
	v_and_b32_e32 v20, s21, v20
	v_lshl_add_u32 v19, v20, 4, v20
	v_add_lshl_u32 v36, v33, v19, 2
	v_and_b32_e32 v19, 1, v20
	v_add_co_u32_e32 v21, vcc, -1, v19
	v_addc_co_u32_e64 v34, s[2:3], 0, -1, vcc
	v_cmp_ne_u32_e32 vcc, 0, v19
	v_xor_b32_e32 v19, vcc_hi, v34
	v_and_b32_e32 v34, exec_hi, v19
	v_lshlrev_b32_e32 v19, 30, v20
	v_xor_b32_e32 v21, vcc_lo, v21
	v_cmp_gt_i64_e32 vcc, 0, v[18:19]
	v_not_b32_e32 v19, v19
	v_ashrrev_i32_e32 v19, 31, v19
	v_and_b32_e32 v21, exec_lo, v21
	v_xor_b32_e32 v35, vcc_hi, v19
	v_xor_b32_e32 v19, vcc_lo, v19
	v_and_b32_e32 v21, v21, v19
	v_lshlrev_b32_e32 v19, 29, v20
	v_cmp_gt_i64_e32 vcc, 0, v[18:19]
	v_not_b32_e32 v19, v19
	v_ashrrev_i32_e32 v19, 31, v19
	v_and_b32_e32 v34, v34, v35
	v_xor_b32_e32 v35, vcc_hi, v19
	v_xor_b32_e32 v19, vcc_lo, v19
	v_and_b32_e32 v21, v21, v19
	v_lshlrev_b32_e32 v19, 28, v20
	v_cmp_gt_i64_e32 vcc, 0, v[18:19]
	v_not_b32_e32 v19, v19
	v_ashrrev_i32_e32 v19, 31, v19
	v_and_b32_e32 v34, v34, v35
	;; [unrolled: 8-line block ×5, first 2 shown]
	v_xor_b32_e32 v35, vcc_hi, v19
	v_xor_b32_e32 v19, vcc_lo, v19
	v_and_b32_e32 v21, v21, v19
	v_lshlrev_b32_e32 v19, 24, v20
	v_cmp_gt_i64_e32 vcc, 0, v[18:19]
	v_not_b32_e32 v18, v19
	v_ashrrev_i32_e32 v18, 31, v18
	v_xor_b32_e32 v19, vcc_hi, v18
	v_xor_b32_e32 v18, vcc_lo, v18
	; wave barrier
	ds_read_b32 v31, v36 offset:64
	v_and_b32_e32 v34, v34, v35
	v_and_b32_e32 v18, v21, v18
	;; [unrolled: 1-line block ×3, first 2 shown]
	v_mbcnt_lo_u32_b32 v20, v18, 0
	v_mbcnt_hi_u32_b32 v34, v19, v20
	v_cmp_eq_u32_e32 vcc, 0, v34
	v_cmp_ne_u64_e64 s[2:3], 0, v[18:19]
	s_and_b64 s[4:5], s[2:3], vcc
	; wave barrier
	s_and_saveexec_b64 s[2:3], s[4:5]
	s_cbranch_execz .LBB886_75
; %bb.74:
	v_bcnt_u32_b32 v18, v18, 0
	v_bcnt_u32_b32 v18, v19, v18
	s_waitcnt lgkmcnt(0)
	v_add_u32_e32 v18, v31, v18
	ds_write_b32 v36, v18 offset:64
.LBB886_75:
	s_or_b64 exec, exec, s[2:3]
	s_waitcnt vmcnt(3)
	v_lshrrev_b64 v[18:19], s20, v[10:11]
	v_and_b32_e32 v20, s21, v18
	v_and_b32_e32 v19, 1, v20
	v_add_co_u32_e32 v21, vcc, -1, v19
	v_addc_co_u32_e64 v37, s[2:3], 0, -1, vcc
	v_cmp_ne_u32_e32 vcc, 0, v19
	v_lshl_add_u32 v18, v20, 4, v20
	v_xor_b32_e32 v19, vcc_hi, v37
	v_add_lshl_u32 v39, v33, v18, 2
	v_mov_b32_e32 v18, 0
	v_and_b32_e32 v37, exec_hi, v19
	v_lshlrev_b32_e32 v19, 30, v20
	v_xor_b32_e32 v21, vcc_lo, v21
	v_cmp_gt_i64_e32 vcc, 0, v[18:19]
	v_not_b32_e32 v19, v19
	v_ashrrev_i32_e32 v19, 31, v19
	v_and_b32_e32 v21, exec_lo, v21
	v_xor_b32_e32 v38, vcc_hi, v19
	v_xor_b32_e32 v19, vcc_lo, v19
	v_and_b32_e32 v21, v21, v19
	v_lshlrev_b32_e32 v19, 29, v20
	v_cmp_gt_i64_e32 vcc, 0, v[18:19]
	v_not_b32_e32 v19, v19
	v_ashrrev_i32_e32 v19, 31, v19
	v_and_b32_e32 v37, v37, v38
	v_xor_b32_e32 v38, vcc_hi, v19
	v_xor_b32_e32 v19, vcc_lo, v19
	v_and_b32_e32 v21, v21, v19
	v_lshlrev_b32_e32 v19, 28, v20
	v_cmp_gt_i64_e32 vcc, 0, v[18:19]
	v_not_b32_e32 v19, v19
	v_ashrrev_i32_e32 v19, 31, v19
	v_and_b32_e32 v37, v37, v38
	;; [unrolled: 8-line block ×5, first 2 shown]
	v_xor_b32_e32 v38, vcc_hi, v19
	v_xor_b32_e32 v19, vcc_lo, v19
	v_and_b32_e32 v37, v37, v38
	v_and_b32_e32 v38, v21, v19
	v_lshlrev_b32_e32 v19, 24, v20
	v_cmp_gt_i64_e32 vcc, 0, v[18:19]
	v_not_b32_e32 v19, v19
	v_ashrrev_i32_e32 v19, 31, v19
	v_xor_b32_e32 v20, vcc_hi, v19
	v_xor_b32_e32 v19, vcc_lo, v19
	; wave barrier
	ds_read_b32 v35, v39 offset:64
	v_and_b32_e32 v21, v37, v20
	v_and_b32_e32 v20, v38, v19
	v_mbcnt_lo_u32_b32 v19, v20, 0
	v_mbcnt_hi_u32_b32 v37, v21, v19
	v_cmp_eq_u32_e32 vcc, 0, v37
	v_cmp_ne_u64_e64 s[2:3], 0, v[20:21]
	s_and_b64 s[4:5], s[2:3], vcc
	; wave barrier
	s_and_saveexec_b64 s[2:3], s[4:5]
	s_cbranch_execz .LBB886_77
; %bb.76:
	v_bcnt_u32_b32 v19, v20, 0
	v_bcnt_u32_b32 v19, v21, v19
	s_waitcnt lgkmcnt(0)
	v_add_u32_e32 v19, v35, v19
	ds_write_b32 v39, v19 offset:64
.LBB886_77:
	s_or_b64 exec, exec, s[2:3]
	s_waitcnt vmcnt(2)
	v_lshrrev_b64 v[20:21], s20, v[12:13]
	v_and_b32_e32 v20, s21, v20
	v_lshl_add_u32 v19, v20, 4, v20
	v_add_lshl_u32 v42, v33, v19, 2
	v_and_b32_e32 v19, 1, v20
	v_add_co_u32_e32 v21, vcc, -1, v19
	v_addc_co_u32_e64 v40, s[2:3], 0, -1, vcc
	v_cmp_ne_u32_e32 vcc, 0, v19
	v_xor_b32_e32 v19, vcc_hi, v40
	v_and_b32_e32 v40, exec_hi, v19
	v_lshlrev_b32_e32 v19, 30, v20
	v_xor_b32_e32 v21, vcc_lo, v21
	v_cmp_gt_i64_e32 vcc, 0, v[18:19]
	v_not_b32_e32 v19, v19
	v_ashrrev_i32_e32 v19, 31, v19
	v_and_b32_e32 v21, exec_lo, v21
	v_xor_b32_e32 v41, vcc_hi, v19
	v_xor_b32_e32 v19, vcc_lo, v19
	v_and_b32_e32 v21, v21, v19
	v_lshlrev_b32_e32 v19, 29, v20
	v_cmp_gt_i64_e32 vcc, 0, v[18:19]
	v_not_b32_e32 v19, v19
	v_ashrrev_i32_e32 v19, 31, v19
	v_and_b32_e32 v40, v40, v41
	v_xor_b32_e32 v41, vcc_hi, v19
	v_xor_b32_e32 v19, vcc_lo, v19
	v_and_b32_e32 v21, v21, v19
	v_lshlrev_b32_e32 v19, 28, v20
	v_cmp_gt_i64_e32 vcc, 0, v[18:19]
	v_not_b32_e32 v19, v19
	v_ashrrev_i32_e32 v19, 31, v19
	v_and_b32_e32 v40, v40, v41
	;; [unrolled: 8-line block ×5, first 2 shown]
	v_xor_b32_e32 v41, vcc_hi, v19
	v_xor_b32_e32 v19, vcc_lo, v19
	v_and_b32_e32 v21, v21, v19
	v_lshlrev_b32_e32 v19, 24, v20
	v_cmp_gt_i64_e32 vcc, 0, v[18:19]
	v_not_b32_e32 v18, v19
	v_ashrrev_i32_e32 v18, 31, v18
	v_xor_b32_e32 v19, vcc_hi, v18
	v_xor_b32_e32 v18, vcc_lo, v18
	; wave barrier
	ds_read_b32 v38, v42 offset:64
	v_and_b32_e32 v40, v40, v41
	v_and_b32_e32 v18, v21, v18
	v_and_b32_e32 v19, v40, v19
	v_mbcnt_lo_u32_b32 v20, v18, 0
	v_mbcnt_hi_u32_b32 v40, v19, v20
	v_cmp_eq_u32_e32 vcc, 0, v40
	v_cmp_ne_u64_e64 s[2:3], 0, v[18:19]
	s_and_b64 s[4:5], s[2:3], vcc
	; wave barrier
	s_and_saveexec_b64 s[2:3], s[4:5]
	s_cbranch_execz .LBB886_79
; %bb.78:
	v_bcnt_u32_b32 v18, v18, 0
	v_bcnt_u32_b32 v18, v19, v18
	s_waitcnt lgkmcnt(0)
	v_add_u32_e32 v18, v38, v18
	ds_write_b32 v42, v18 offset:64
.LBB886_79:
	s_or_b64 exec, exec, s[2:3]
	s_waitcnt vmcnt(1)
	v_lshrrev_b64 v[18:19], s20, v[14:15]
	v_and_b32_e32 v20, s21, v18
	v_and_b32_e32 v19, 1, v20
	v_add_co_u32_e32 v21, vcc, -1, v19
	v_addc_co_u32_e64 v43, s[2:3], 0, -1, vcc
	v_cmp_ne_u32_e32 vcc, 0, v19
	v_lshl_add_u32 v18, v20, 4, v20
	v_xor_b32_e32 v19, vcc_hi, v43
	v_add_lshl_u32 v44, v33, v18, 2
	v_mov_b32_e32 v18, 0
	v_and_b32_e32 v43, exec_hi, v19
	v_lshlrev_b32_e32 v19, 30, v20
	v_xor_b32_e32 v21, vcc_lo, v21
	v_cmp_gt_i64_e32 vcc, 0, v[18:19]
	v_not_b32_e32 v19, v19
	v_ashrrev_i32_e32 v19, 31, v19
	v_and_b32_e32 v21, exec_lo, v21
	v_xor_b32_e32 v45, vcc_hi, v19
	v_xor_b32_e32 v19, vcc_lo, v19
	v_and_b32_e32 v21, v21, v19
	v_lshlrev_b32_e32 v19, 29, v20
	v_cmp_gt_i64_e32 vcc, 0, v[18:19]
	v_not_b32_e32 v19, v19
	v_ashrrev_i32_e32 v19, 31, v19
	v_and_b32_e32 v43, v43, v45
	v_xor_b32_e32 v45, vcc_hi, v19
	v_xor_b32_e32 v19, vcc_lo, v19
	v_and_b32_e32 v21, v21, v19
	v_lshlrev_b32_e32 v19, 28, v20
	v_cmp_gt_i64_e32 vcc, 0, v[18:19]
	v_not_b32_e32 v19, v19
	v_ashrrev_i32_e32 v19, 31, v19
	v_and_b32_e32 v43, v43, v45
	;; [unrolled: 8-line block ×5, first 2 shown]
	v_xor_b32_e32 v45, vcc_hi, v19
	v_xor_b32_e32 v19, vcc_lo, v19
	v_and_b32_e32 v43, v43, v45
	v_and_b32_e32 v45, v21, v19
	v_lshlrev_b32_e32 v19, 24, v20
	v_cmp_gt_i64_e32 vcc, 0, v[18:19]
	v_not_b32_e32 v19, v19
	v_ashrrev_i32_e32 v19, 31, v19
	v_xor_b32_e32 v20, vcc_hi, v19
	v_xor_b32_e32 v19, vcc_lo, v19
	; wave barrier
	ds_read_b32 v41, v44 offset:64
	v_and_b32_e32 v21, v43, v20
	v_and_b32_e32 v20, v45, v19
	v_mbcnt_lo_u32_b32 v19, v20, 0
	v_mbcnt_hi_u32_b32 v43, v21, v19
	v_cmp_eq_u32_e32 vcc, 0, v43
	v_cmp_ne_u64_e64 s[2:3], 0, v[20:21]
	s_and_b64 s[4:5], s[2:3], vcc
	; wave barrier
	s_and_saveexec_b64 s[2:3], s[4:5]
	s_cbranch_execz .LBB886_81
; %bb.80:
	v_bcnt_u32_b32 v19, v20, 0
	v_bcnt_u32_b32 v19, v21, v19
	s_waitcnt lgkmcnt(0)
	v_add_u32_e32 v19, v41, v19
	ds_write_b32 v44, v19 offset:64
.LBB886_81:
	s_or_b64 exec, exec, s[2:3]
	s_waitcnt vmcnt(0)
	v_lshrrev_b64 v[20:21], s20, v[16:17]
	v_and_b32_e32 v20, s21, v20
	v_lshl_add_u32 v19, v20, 4, v20
	v_add_lshl_u32 v46, v33, v19, 2
	v_and_b32_e32 v19, 1, v20
	v_add_co_u32_e32 v21, vcc, -1, v19
	v_addc_co_u32_e64 v45, s[2:3], 0, -1, vcc
	v_cmp_ne_u32_e32 vcc, 0, v19
	v_xor_b32_e32 v19, vcc_hi, v45
	v_and_b32_e32 v45, exec_hi, v19
	v_lshlrev_b32_e32 v19, 30, v20
	v_xor_b32_e32 v21, vcc_lo, v21
	v_cmp_gt_i64_e32 vcc, 0, v[18:19]
	v_not_b32_e32 v19, v19
	v_ashrrev_i32_e32 v19, 31, v19
	v_and_b32_e32 v21, exec_lo, v21
	v_xor_b32_e32 v48, vcc_hi, v19
	v_xor_b32_e32 v19, vcc_lo, v19
	v_and_b32_e32 v21, v21, v19
	v_lshlrev_b32_e32 v19, 29, v20
	v_cmp_gt_i64_e32 vcc, 0, v[18:19]
	v_not_b32_e32 v19, v19
	v_ashrrev_i32_e32 v19, 31, v19
	v_and_b32_e32 v45, v45, v48
	v_xor_b32_e32 v48, vcc_hi, v19
	v_xor_b32_e32 v19, vcc_lo, v19
	v_and_b32_e32 v21, v21, v19
	v_lshlrev_b32_e32 v19, 28, v20
	v_cmp_gt_i64_e32 vcc, 0, v[18:19]
	v_not_b32_e32 v19, v19
	v_ashrrev_i32_e32 v19, 31, v19
	v_and_b32_e32 v45, v45, v48
	;; [unrolled: 8-line block ×5, first 2 shown]
	v_xor_b32_e32 v48, vcc_hi, v19
	v_xor_b32_e32 v19, vcc_lo, v19
	v_and_b32_e32 v21, v21, v19
	v_lshlrev_b32_e32 v19, 24, v20
	v_cmp_gt_i64_e32 vcc, 0, v[18:19]
	v_not_b32_e32 v18, v19
	v_ashrrev_i32_e32 v18, 31, v18
	v_xor_b32_e32 v19, vcc_hi, v18
	v_xor_b32_e32 v18, vcc_lo, v18
	; wave barrier
	ds_read_b32 v33, v46 offset:64
	v_and_b32_e32 v45, v45, v48
	v_and_b32_e32 v18, v21, v18
	;; [unrolled: 1-line block ×3, first 2 shown]
	v_mbcnt_lo_u32_b32 v20, v18, 0
	v_mbcnt_hi_u32_b32 v45, v19, v20
	v_cmp_eq_u32_e32 vcc, 0, v45
	v_cmp_ne_u64_e64 s[2:3], 0, v[18:19]
	v_add_u32_e32 v47, 64, v23
	s_and_b64 s[4:5], s[2:3], vcc
	; wave barrier
	s_and_saveexec_b64 s[2:3], s[4:5]
	s_cbranch_execz .LBB886_83
; %bb.82:
	v_bcnt_u32_b32 v18, v18, 0
	v_bcnt_u32_b32 v18, v19, v18
	s_waitcnt lgkmcnt(0)
	v_add_u32_e32 v18, v33, v18
	ds_write_b32 v46, v18 offset:64
.LBB886_83:
	s_or_b64 exec, exec, s[2:3]
	; wave barrier
	s_waitcnt lgkmcnt(0)
	s_barrier
	ds_read2_b32 v[20:21], v23 offset0:16 offset1:17
	ds_read2_b32 v[18:19], v47 offset0:2 offset1:3
	ds_read_b32 v48, v47 offset:16
	v_cmp_lt_u32_e64 s[8:9], 31, v22
	s_waitcnt lgkmcnt(1)
	v_add3_u32 v49, v21, v20, v18
	s_waitcnt lgkmcnt(0)
	v_add3_u32 v48, v49, v19, v48
	v_and_b32_e32 v49, 15, v22
	v_cmp_eq_u32_e32 vcc, 0, v49
	v_mov_b32_dpp v50, v48 row_shr:1 row_mask:0xf bank_mask:0xf
	v_cndmask_b32_e64 v50, v50, 0, vcc
	v_add_u32_e32 v48, v50, v48
	v_cmp_lt_u32_e64 s[2:3], 1, v49
	v_cmp_lt_u32_e64 s[4:5], 3, v49
	v_mov_b32_dpp v50, v48 row_shr:2 row_mask:0xf bank_mask:0xf
	v_cndmask_b32_e64 v50, 0, v50, s[2:3]
	v_add_u32_e32 v48, v48, v50
	v_cmp_lt_u32_e64 s[6:7], 7, v49
	s_nop 0
	v_mov_b32_dpp v50, v48 row_shr:4 row_mask:0xf bank_mask:0xf
	v_cndmask_b32_e64 v50, 0, v50, s[4:5]
	v_add_u32_e32 v48, v48, v50
	s_nop 1
	v_mov_b32_dpp v50, v48 row_shr:8 row_mask:0xf bank_mask:0xf
	v_cndmask_b32_e64 v49, 0, v50, s[6:7]
	v_add_u32_e32 v48, v48, v49
	v_bfe_i32 v50, v22, 4, 1
	s_nop 0
	v_mov_b32_dpp v49, v48 row_bcast:15 row_mask:0xf bank_mask:0xf
	v_and_b32_e32 v49, v50, v49
	v_add_u32_e32 v48, v48, v49
	v_and_b32_e32 v50, 63, v2
	s_nop 0
	v_mov_b32_dpp v49, v48 row_bcast:31 row_mask:0xf bank_mask:0xf
	v_cndmask_b32_e64 v49, 0, v49, s[8:9]
	v_add_u32_e32 v48, v48, v49
	v_lshrrev_b32_e32 v49, 6, v2
	v_cmp_eq_u32_e64 s[8:9], 63, v50
	s_and_saveexec_b64 s[12:13], s[8:9]
	s_cbranch_execz .LBB886_85
; %bb.84:
	v_lshlrev_b32_e32 v50, 2, v49
	ds_write_b32 v50, v48
.LBB886_85:
	s_or_b64 exec, exec, s[12:13]
	v_cmp_gt_u32_e64 s[8:9], 16, v2
	s_waitcnt lgkmcnt(0)
	s_barrier
	s_and_saveexec_b64 s[12:13], s[8:9]
	s_cbranch_execz .LBB886_87
; %bb.86:
	v_lshlrev_b32_e32 v50, 2, v2
	ds_read_b32 v51, v50
	s_waitcnt lgkmcnt(0)
	s_nop 0
	v_mov_b32_dpp v52, v51 row_shr:1 row_mask:0xf bank_mask:0xf
	v_cndmask_b32_e64 v52, v52, 0, vcc
	v_add_u32_e32 v51, v52, v51
	s_nop 1
	v_mov_b32_dpp v52, v51 row_shr:2 row_mask:0xf bank_mask:0xf
	v_cndmask_b32_e64 v52, 0, v52, s[2:3]
	v_add_u32_e32 v51, v51, v52
	s_nop 1
	v_mov_b32_dpp v52, v51 row_shr:4 row_mask:0xf bank_mask:0xf
	v_cndmask_b32_e64 v52, 0, v52, s[4:5]
	;; [unrolled: 4-line block ×3, first 2 shown]
	v_add_u32_e32 v51, v51, v52
	ds_write_b32 v50, v51
.LBB886_87:
	s_or_b64 exec, exec, s[12:13]
	v_cmp_lt_u32_e32 vcc, 63, v2
	v_mov_b32_e32 v50, 0
	s_waitcnt lgkmcnt(0)
	s_barrier
	s_and_saveexec_b64 s[2:3], vcc
	s_cbranch_execz .LBB886_89
; %bb.88:
	v_lshl_add_u32 v49, v49, 2, -4
	ds_read_b32 v50, v49
.LBB886_89:
	s_or_b64 exec, exec, s[2:3]
	v_add_u32_e32 v49, -1, v22
	v_and_b32_e32 v51, 64, v22
	v_cmp_lt_i32_e32 vcc, v49, v51
	v_cndmask_b32_e32 v49, v49, v22, vcc
	s_waitcnt lgkmcnt(0)
	v_add_u32_e32 v48, v50, v48
	v_lshlrev_b32_e32 v49, 2, v49
	ds_bpermute_b32 v48, v49, v48
	v_cmp_eq_u32_e32 vcc, 0, v22
	s_waitcnt lgkmcnt(0)
	v_cndmask_b32_e32 v22, v48, v50, vcc
	v_cndmask_b32_e64 v22, v22, 0, s[0:1]
	v_add_u32_e32 v20, v22, v20
	v_add_u32_e32 v21, v20, v21
	;; [unrolled: 1-line block ×4, first 2 shown]
	ds_write2_b32 v23, v22, v20 offset0:16 offset1:17
	ds_write2_b32 v47, v21, v18 offset0:2 offset1:3
	ds_write_b32 v47, v19 offset:16
	s_waitcnt lgkmcnt(0)
	s_barrier
	ds_read_b32 v48, v26 offset:64
	ds_read_b32 v47, v29 offset:64
	;; [unrolled: 1-line block ×8, first 2 shown]
	s_movk_i32 s0, 0x100
	v_cmp_gt_u32_e32 vcc, s0, v2
                                        ; implicit-def: $vgpr26
                                        ; implicit-def: $vgpr29
	s_and_saveexec_b64 s[2:3], vcc
	s_cbranch_execz .LBB886_93
; %bb.90:
	v_mul_u32_u24_e32 v18, 17, v2
	v_lshlrev_b32_e32 v19, 2, v18
	ds_read_b32 v26, v19 offset:64
	s_movk_i32 s0, 0xff
	v_cmp_ne_u32_e64 s[0:1], s0, v2
	v_mov_b32_e32 v18, 0x2000
	s_and_saveexec_b64 s[4:5], s[0:1]
	s_cbranch_execz .LBB886_92
; %bb.91:
	ds_read_b32 v18, v19 offset:132
.LBB886_92:
	s_or_b64 exec, exec, s[4:5]
	s_waitcnt lgkmcnt(0)
	v_sub_u32_e32 v29, v18, v26
.LBB886_93:
	s_or_b64 exec, exec, s[2:3]
	s_waitcnt lgkmcnt(0)
	s_barrier
	s_and_saveexec_b64 s[2:3], vcc
	s_cbranch_execz .LBB886_103
; %bb.94:
	v_lshl_or_b32 v18, s28, 8, v2
	v_mov_b32_e32 v19, 0
	v_lshlrev_b64 v[20:21], 2, v[18:19]
	v_mov_b32_e32 v49, s15
	v_add_co_u32_e64 v20, s[0:1], s14, v20
	v_addc_co_u32_e64 v21, s[0:1], v49, v21, s[0:1]
	v_or_b32_e32 v18, 2.0, v29
	s_mov_b64 s[4:5], 0
	s_brev_b32 s12, 1
	s_mov_b32 s13, s28
	v_mov_b32_e32 v50, 0
	global_store_dword v[20:21], v18, off
                                        ; implicit-def: $sgpr0_sgpr1
	s_branch .LBB886_97
.LBB886_95:                             ;   in Loop: Header=BB886_97 Depth=1
	s_or_b64 exec, exec, s[8:9]
.LBB886_96:                             ;   in Loop: Header=BB886_97 Depth=1
	s_or_b64 exec, exec, s[6:7]
	v_and_b32_e32 v22, 0x3fffffff, v51
	v_add_u32_e32 v50, v22, v50
	v_cmp_eq_u32_e64 s[0:1], s12, v18
	s_and_b64 s[6:7], exec, s[0:1]
	s_or_b64 s[4:5], s[6:7], s[4:5]
	s_andn2_b64 exec, exec, s[4:5]
	s_cbranch_execz .LBB886_102
.LBB886_97:                             ; =>This Loop Header: Depth=1
                                        ;     Child Loop BB886_100 Depth 2
	s_or_b64 s[0:1], s[0:1], exec
	s_cmp_eq_u32 s13, 0
	s_cbranch_scc1 .LBB886_101
; %bb.98:                               ;   in Loop: Header=BB886_97 Depth=1
	s_add_i32 s13, s13, -1
	v_lshl_or_b32 v18, s13, 8, v2
	v_lshlrev_b64 v[22:23], 2, v[18:19]
	v_add_co_u32_e64 v22, s[0:1], s14, v22
	v_addc_co_u32_e64 v23, s[0:1], v49, v23, s[0:1]
	global_load_dword v51, v[22:23], off glc
	s_waitcnt vmcnt(0)
	v_and_b32_e32 v18, -2.0, v51
	v_cmp_eq_u32_e64 s[0:1], 0, v18
	s_and_saveexec_b64 s[6:7], s[0:1]
	s_cbranch_execz .LBB886_96
; %bb.99:                               ;   in Loop: Header=BB886_97 Depth=1
	s_mov_b64 s[8:9], 0
.LBB886_100:                            ;   Parent Loop BB886_97 Depth=1
                                        ; =>  This Inner Loop Header: Depth=2
	global_load_dword v51, v[22:23], off glc
	s_waitcnt vmcnt(0)
	v_and_b32_e32 v18, -2.0, v51
	v_cmp_ne_u32_e64 s[0:1], 0, v18
	s_or_b64 s[8:9], s[0:1], s[8:9]
	s_andn2_b64 exec, exec, s[8:9]
	s_cbranch_execnz .LBB886_100
	s_branch .LBB886_95
.LBB886_101:                            ;   in Loop: Header=BB886_97 Depth=1
                                        ; implicit-def: $sgpr13
	s_and_b64 s[6:7], exec, s[0:1]
	s_or_b64 s[4:5], s[6:7], s[4:5]
	s_andn2_b64 exec, exec, s[4:5]
	s_cbranch_execnz .LBB886_97
.LBB886_102:
	s_or_b64 exec, exec, s[4:5]
	v_add_u32_e32 v18, v50, v29
	v_or_b32_e32 v18, 0x80000000, v18
	global_store_dword v[20:21], v18, off
	v_lshlrev_b32_e32 v18, 2, v2
	global_load_dword v19, v18, s[16:17]
	v_sub_u32_e32 v20, v50, v26
	s_waitcnt vmcnt(0)
	v_add_u32_e32 v19, v20, v19
	ds_write_b32 v18, v19
.LBB886_103:
	s_or_b64 exec, exec, s[2:3]
	v_add_u32_e32 v20, v48, v24
	s_movk_i32 s2, 0x400
	v_add_u32_e32 v21, 0x400, v3
	v_add3_u32 v22, v45, v46, v33
	v_add3_u32 v23, v43, v44, v41
	;; [unrolled: 1-line block ×7, first 2 shown]
	s_mov_b32 s3, 0
	v_mov_b32_e32 v27, s27
	v_mov_b32_e32 v19, 0
	;; [unrolled: 1-line block ×3, first 2 shown]
.LBB886_104:                            ; =>This Inner Loop Header: Depth=1
	v_add_u32_e32 v18, s3, v20
	v_add_u32_e32 v34, s3, v28
	v_add_u32_e32 v35, s3, v31
	v_add_u32_e32 v32, s3, v25
	v_add_u32_e32 v36, s3, v33
	v_add_u32_e32 v37, s3, v24
	v_add_u32_e32 v38, s3, v23
	v_add_u32_e32 v39, s3, v22
	v_min_u32_e32 v18, 0x800, v18
	v_min_u32_e32 v34, 0x800, v34
	;; [unrolled: 1-line block ×8, first 2 shown]
	v_lshlrev_b32_e32 v18, 3, v18
	v_lshlrev_b32_e32 v34, 3, v34
	;; [unrolled: 1-line block ×8, first 2 shown]
	ds_write_b64 v18, v[4:5] offset:1024
	ds_write_b64 v32, v[0:1] offset:1024
	;; [unrolled: 1-line block ×8, first 2 shown]
	s_waitcnt lgkmcnt(0)
	s_barrier
	ds_read_b64 v[34:35], v3 offset:1024
	s_addk_i32 s3, 0xf800
	s_cmpk_lg_i32 s3, 0xe000
	s_waitcnt lgkmcnt(0)
	v_lshrrev_b64 v[36:37], s20, v[34:35]
	v_and_b32_e32 v18, s21, v36
	v_lshlrev_b32_e32 v18, 2, v18
	ds_read_b32 v18, v18
	ds_read_b64 v[36:37], v21 offset:8192
	s_waitcnt lgkmcnt(1)
	v_add_u32_e32 v18, v30, v18
	s_waitcnt lgkmcnt(0)
	v_lshrrev_b64 v[38:39], s20, v[36:37]
	v_lshlrev_b64 v[40:41], 3, v[18:19]
	v_and_b32_e32 v18, s21, v38
	v_lshlrev_b32_e32 v18, 2, v18
	ds_read_b32 v18, v18
	v_add_co_u32_e64 v38, s[0:1], s26, v40
	v_addc_co_u32_e64 v39, s[0:1], v27, v41, s[0:1]
	s_waitcnt lgkmcnt(0)
	v_add3_u32 v18, v30, v18, s2
	global_store_dwordx2 v[38:39], v[34:35], off
	v_lshlrev_b64 v[34:35], 3, v[18:19]
	v_add_co_u32_e64 v34, s[0:1], s26, v34
	v_add_u32_e32 v30, 0x800, v30
	v_addc_co_u32_e64 v35, s[0:1], v27, v35, s[0:1]
	global_store_dwordx2 v[34:35], v[36:37], off
	s_barrier
	s_cbranch_scc1 .LBB886_104
; %bb.105:
	s_add_i32 s22, s22, -1
	s_cmp_eq_u32 s22, s28
	s_cselect_b64 s[0:1], -1, 0
	s_and_b64 s[2:3], vcc, s[0:1]
                                        ; implicit-def: $vgpr4
	s_and_saveexec_b64 s[0:1], s[2:3]
; %bb.106:
	v_add_u32_e32 v4, v26, v29
	s_or_b64 s[10:11], s[10:11], exec
; %bb.107:
	s_or_b64 exec, exec, s[0:1]
.LBB886_108:
	s_and_saveexec_b64 s[0:1], s[10:11]
	s_cbranch_execnz .LBB886_110
; %bb.109:
	s_endpgm
.LBB886_110:
	v_lshlrev_b32_e32 v0, 2, v2
	ds_read_b32 v1, v0
	s_waitcnt lgkmcnt(0)
	v_add_u32_e32 v1, v1, v4
	global_store_dword v0, v1, s[18:19]
	s_endpgm
	.section	.rodata,"a",@progbits
	.p2align	6, 0x0
	.amdhsa_kernel _ZN7rocprim17ROCPRIM_400000_NS6detail17trampoline_kernelINS0_14default_configENS1_35radix_sort_onesweep_config_selectorIyNS0_10empty_typeEEEZZNS1_29radix_sort_onesweep_iterationIS3_Lb0EN6thrust23THRUST_200600_302600_NS6detail15normal_iteratorINS9_10device_ptrIyEEEESE_PS5_SF_jNS0_19identity_decomposerENS1_16block_id_wrapperIjLb1EEEEE10hipError_tT1_PNSt15iterator_traitsISK_E10value_typeET2_T3_PNSL_ISQ_E10value_typeET4_T5_PSV_SW_PNS1_23onesweep_lookback_stateEbbT6_jjT7_P12ihipStream_tbENKUlT_T0_SK_SP_E_clIPySE_SF_SF_EEDaS13_S14_SK_SP_EUlS13_E_NS1_11comp_targetILNS1_3genE4ELNS1_11target_archE910ELNS1_3gpuE8ELNS1_3repE0EEENS1_47radix_sort_onesweep_sort_config_static_selectorELNS0_4arch9wavefront6targetE1EEEvSK_
		.amdhsa_group_segment_fixed_size 20552
		.amdhsa_private_segment_fixed_size 0
		.amdhsa_kernarg_size 344
		.amdhsa_user_sgpr_count 6
		.amdhsa_user_sgpr_private_segment_buffer 1
		.amdhsa_user_sgpr_dispatch_ptr 0
		.amdhsa_user_sgpr_queue_ptr 0
		.amdhsa_user_sgpr_kernarg_segment_ptr 1
		.amdhsa_user_sgpr_dispatch_id 0
		.amdhsa_user_sgpr_flat_scratch_init 0
		.amdhsa_user_sgpr_kernarg_preload_length 0
		.amdhsa_user_sgpr_kernarg_preload_offset 0
		.amdhsa_user_sgpr_private_segment_size 0
		.amdhsa_uses_dynamic_stack 0
		.amdhsa_system_sgpr_private_segment_wavefront_offset 0
		.amdhsa_system_sgpr_workgroup_id_x 1
		.amdhsa_system_sgpr_workgroup_id_y 0
		.amdhsa_system_sgpr_workgroup_id_z 0
		.amdhsa_system_sgpr_workgroup_info 0
		.amdhsa_system_vgpr_workitem_id 2
		.amdhsa_next_free_vgpr 55
		.amdhsa_next_free_sgpr 34
		.amdhsa_accum_offset 56
		.amdhsa_reserve_vcc 1
		.amdhsa_reserve_flat_scratch 0
		.amdhsa_float_round_mode_32 0
		.amdhsa_float_round_mode_16_64 0
		.amdhsa_float_denorm_mode_32 3
		.amdhsa_float_denorm_mode_16_64 3
		.amdhsa_dx10_clamp 1
		.amdhsa_ieee_mode 1
		.amdhsa_fp16_overflow 0
		.amdhsa_tg_split 0
		.amdhsa_exception_fp_ieee_invalid_op 0
		.amdhsa_exception_fp_denorm_src 0
		.amdhsa_exception_fp_ieee_div_zero 0
		.amdhsa_exception_fp_ieee_overflow 0
		.amdhsa_exception_fp_ieee_underflow 0
		.amdhsa_exception_fp_ieee_inexact 0
		.amdhsa_exception_int_div_zero 0
	.end_amdhsa_kernel
	.section	.text._ZN7rocprim17ROCPRIM_400000_NS6detail17trampoline_kernelINS0_14default_configENS1_35radix_sort_onesweep_config_selectorIyNS0_10empty_typeEEEZZNS1_29radix_sort_onesweep_iterationIS3_Lb0EN6thrust23THRUST_200600_302600_NS6detail15normal_iteratorINS9_10device_ptrIyEEEESE_PS5_SF_jNS0_19identity_decomposerENS1_16block_id_wrapperIjLb1EEEEE10hipError_tT1_PNSt15iterator_traitsISK_E10value_typeET2_T3_PNSL_ISQ_E10value_typeET4_T5_PSV_SW_PNS1_23onesweep_lookback_stateEbbT6_jjT7_P12ihipStream_tbENKUlT_T0_SK_SP_E_clIPySE_SF_SF_EEDaS13_S14_SK_SP_EUlS13_E_NS1_11comp_targetILNS1_3genE4ELNS1_11target_archE910ELNS1_3gpuE8ELNS1_3repE0EEENS1_47radix_sort_onesweep_sort_config_static_selectorELNS0_4arch9wavefront6targetE1EEEvSK_,"axG",@progbits,_ZN7rocprim17ROCPRIM_400000_NS6detail17trampoline_kernelINS0_14default_configENS1_35radix_sort_onesweep_config_selectorIyNS0_10empty_typeEEEZZNS1_29radix_sort_onesweep_iterationIS3_Lb0EN6thrust23THRUST_200600_302600_NS6detail15normal_iteratorINS9_10device_ptrIyEEEESE_PS5_SF_jNS0_19identity_decomposerENS1_16block_id_wrapperIjLb1EEEEE10hipError_tT1_PNSt15iterator_traitsISK_E10value_typeET2_T3_PNSL_ISQ_E10value_typeET4_T5_PSV_SW_PNS1_23onesweep_lookback_stateEbbT6_jjT7_P12ihipStream_tbENKUlT_T0_SK_SP_E_clIPySE_SF_SF_EEDaS13_S14_SK_SP_EUlS13_E_NS1_11comp_targetILNS1_3genE4ELNS1_11target_archE910ELNS1_3gpuE8ELNS1_3repE0EEENS1_47radix_sort_onesweep_sort_config_static_selectorELNS0_4arch9wavefront6targetE1EEEvSK_,comdat
.Lfunc_end886:
	.size	_ZN7rocprim17ROCPRIM_400000_NS6detail17trampoline_kernelINS0_14default_configENS1_35radix_sort_onesweep_config_selectorIyNS0_10empty_typeEEEZZNS1_29radix_sort_onesweep_iterationIS3_Lb0EN6thrust23THRUST_200600_302600_NS6detail15normal_iteratorINS9_10device_ptrIyEEEESE_PS5_SF_jNS0_19identity_decomposerENS1_16block_id_wrapperIjLb1EEEEE10hipError_tT1_PNSt15iterator_traitsISK_E10value_typeET2_T3_PNSL_ISQ_E10value_typeET4_T5_PSV_SW_PNS1_23onesweep_lookback_stateEbbT6_jjT7_P12ihipStream_tbENKUlT_T0_SK_SP_E_clIPySE_SF_SF_EEDaS13_S14_SK_SP_EUlS13_E_NS1_11comp_targetILNS1_3genE4ELNS1_11target_archE910ELNS1_3gpuE8ELNS1_3repE0EEENS1_47radix_sort_onesweep_sort_config_static_selectorELNS0_4arch9wavefront6targetE1EEEvSK_, .Lfunc_end886-_ZN7rocprim17ROCPRIM_400000_NS6detail17trampoline_kernelINS0_14default_configENS1_35radix_sort_onesweep_config_selectorIyNS0_10empty_typeEEEZZNS1_29radix_sort_onesweep_iterationIS3_Lb0EN6thrust23THRUST_200600_302600_NS6detail15normal_iteratorINS9_10device_ptrIyEEEESE_PS5_SF_jNS0_19identity_decomposerENS1_16block_id_wrapperIjLb1EEEEE10hipError_tT1_PNSt15iterator_traitsISK_E10value_typeET2_T3_PNSL_ISQ_E10value_typeET4_T5_PSV_SW_PNS1_23onesweep_lookback_stateEbbT6_jjT7_P12ihipStream_tbENKUlT_T0_SK_SP_E_clIPySE_SF_SF_EEDaS13_S14_SK_SP_EUlS13_E_NS1_11comp_targetILNS1_3genE4ELNS1_11target_archE910ELNS1_3gpuE8ELNS1_3repE0EEENS1_47radix_sort_onesweep_sort_config_static_selectorELNS0_4arch9wavefront6targetE1EEEvSK_
                                        ; -- End function
	.section	.AMDGPU.csdata,"",@progbits
; Kernel info:
; codeLenInByte = 10296
; NumSgprs: 38
; NumVgprs: 55
; NumAgprs: 0
; TotalNumVgprs: 55
; ScratchSize: 0
; MemoryBound: 0
; FloatMode: 240
; IeeeMode: 1
; LDSByteSize: 20552 bytes/workgroup (compile time only)
; SGPRBlocks: 4
; VGPRBlocks: 6
; NumSGPRsForWavesPerEU: 38
; NumVGPRsForWavesPerEU: 55
; AccumOffset: 56
; Occupancy: 8
; WaveLimiterHint : 1
; COMPUTE_PGM_RSRC2:SCRATCH_EN: 0
; COMPUTE_PGM_RSRC2:USER_SGPR: 6
; COMPUTE_PGM_RSRC2:TRAP_HANDLER: 0
; COMPUTE_PGM_RSRC2:TGID_X_EN: 1
; COMPUTE_PGM_RSRC2:TGID_Y_EN: 0
; COMPUTE_PGM_RSRC2:TGID_Z_EN: 0
; COMPUTE_PGM_RSRC2:TIDIG_COMP_CNT: 2
; COMPUTE_PGM_RSRC3_GFX90A:ACCUM_OFFSET: 13
; COMPUTE_PGM_RSRC3_GFX90A:TG_SPLIT: 0
	.section	.text._ZN7rocprim17ROCPRIM_400000_NS6detail17trampoline_kernelINS0_14default_configENS1_35radix_sort_onesweep_config_selectorIyNS0_10empty_typeEEEZZNS1_29radix_sort_onesweep_iterationIS3_Lb0EN6thrust23THRUST_200600_302600_NS6detail15normal_iteratorINS9_10device_ptrIyEEEESE_PS5_SF_jNS0_19identity_decomposerENS1_16block_id_wrapperIjLb1EEEEE10hipError_tT1_PNSt15iterator_traitsISK_E10value_typeET2_T3_PNSL_ISQ_E10value_typeET4_T5_PSV_SW_PNS1_23onesweep_lookback_stateEbbT6_jjT7_P12ihipStream_tbENKUlT_T0_SK_SP_E_clIPySE_SF_SF_EEDaS13_S14_SK_SP_EUlS13_E_NS1_11comp_targetILNS1_3genE3ELNS1_11target_archE908ELNS1_3gpuE7ELNS1_3repE0EEENS1_47radix_sort_onesweep_sort_config_static_selectorELNS0_4arch9wavefront6targetE1EEEvSK_,"axG",@progbits,_ZN7rocprim17ROCPRIM_400000_NS6detail17trampoline_kernelINS0_14default_configENS1_35radix_sort_onesweep_config_selectorIyNS0_10empty_typeEEEZZNS1_29radix_sort_onesweep_iterationIS3_Lb0EN6thrust23THRUST_200600_302600_NS6detail15normal_iteratorINS9_10device_ptrIyEEEESE_PS5_SF_jNS0_19identity_decomposerENS1_16block_id_wrapperIjLb1EEEEE10hipError_tT1_PNSt15iterator_traitsISK_E10value_typeET2_T3_PNSL_ISQ_E10value_typeET4_T5_PSV_SW_PNS1_23onesweep_lookback_stateEbbT6_jjT7_P12ihipStream_tbENKUlT_T0_SK_SP_E_clIPySE_SF_SF_EEDaS13_S14_SK_SP_EUlS13_E_NS1_11comp_targetILNS1_3genE3ELNS1_11target_archE908ELNS1_3gpuE7ELNS1_3repE0EEENS1_47radix_sort_onesweep_sort_config_static_selectorELNS0_4arch9wavefront6targetE1EEEvSK_,comdat
	.protected	_ZN7rocprim17ROCPRIM_400000_NS6detail17trampoline_kernelINS0_14default_configENS1_35radix_sort_onesweep_config_selectorIyNS0_10empty_typeEEEZZNS1_29radix_sort_onesweep_iterationIS3_Lb0EN6thrust23THRUST_200600_302600_NS6detail15normal_iteratorINS9_10device_ptrIyEEEESE_PS5_SF_jNS0_19identity_decomposerENS1_16block_id_wrapperIjLb1EEEEE10hipError_tT1_PNSt15iterator_traitsISK_E10value_typeET2_T3_PNSL_ISQ_E10value_typeET4_T5_PSV_SW_PNS1_23onesweep_lookback_stateEbbT6_jjT7_P12ihipStream_tbENKUlT_T0_SK_SP_E_clIPySE_SF_SF_EEDaS13_S14_SK_SP_EUlS13_E_NS1_11comp_targetILNS1_3genE3ELNS1_11target_archE908ELNS1_3gpuE7ELNS1_3repE0EEENS1_47radix_sort_onesweep_sort_config_static_selectorELNS0_4arch9wavefront6targetE1EEEvSK_ ; -- Begin function _ZN7rocprim17ROCPRIM_400000_NS6detail17trampoline_kernelINS0_14default_configENS1_35radix_sort_onesweep_config_selectorIyNS0_10empty_typeEEEZZNS1_29radix_sort_onesweep_iterationIS3_Lb0EN6thrust23THRUST_200600_302600_NS6detail15normal_iteratorINS9_10device_ptrIyEEEESE_PS5_SF_jNS0_19identity_decomposerENS1_16block_id_wrapperIjLb1EEEEE10hipError_tT1_PNSt15iterator_traitsISK_E10value_typeET2_T3_PNSL_ISQ_E10value_typeET4_T5_PSV_SW_PNS1_23onesweep_lookback_stateEbbT6_jjT7_P12ihipStream_tbENKUlT_T0_SK_SP_E_clIPySE_SF_SF_EEDaS13_S14_SK_SP_EUlS13_E_NS1_11comp_targetILNS1_3genE3ELNS1_11target_archE908ELNS1_3gpuE7ELNS1_3repE0EEENS1_47radix_sort_onesweep_sort_config_static_selectorELNS0_4arch9wavefront6targetE1EEEvSK_
	.globl	_ZN7rocprim17ROCPRIM_400000_NS6detail17trampoline_kernelINS0_14default_configENS1_35radix_sort_onesweep_config_selectorIyNS0_10empty_typeEEEZZNS1_29radix_sort_onesweep_iterationIS3_Lb0EN6thrust23THRUST_200600_302600_NS6detail15normal_iteratorINS9_10device_ptrIyEEEESE_PS5_SF_jNS0_19identity_decomposerENS1_16block_id_wrapperIjLb1EEEEE10hipError_tT1_PNSt15iterator_traitsISK_E10value_typeET2_T3_PNSL_ISQ_E10value_typeET4_T5_PSV_SW_PNS1_23onesweep_lookback_stateEbbT6_jjT7_P12ihipStream_tbENKUlT_T0_SK_SP_E_clIPySE_SF_SF_EEDaS13_S14_SK_SP_EUlS13_E_NS1_11comp_targetILNS1_3genE3ELNS1_11target_archE908ELNS1_3gpuE7ELNS1_3repE0EEENS1_47radix_sort_onesweep_sort_config_static_selectorELNS0_4arch9wavefront6targetE1EEEvSK_
	.p2align	8
	.type	_ZN7rocprim17ROCPRIM_400000_NS6detail17trampoline_kernelINS0_14default_configENS1_35radix_sort_onesweep_config_selectorIyNS0_10empty_typeEEEZZNS1_29radix_sort_onesweep_iterationIS3_Lb0EN6thrust23THRUST_200600_302600_NS6detail15normal_iteratorINS9_10device_ptrIyEEEESE_PS5_SF_jNS0_19identity_decomposerENS1_16block_id_wrapperIjLb1EEEEE10hipError_tT1_PNSt15iterator_traitsISK_E10value_typeET2_T3_PNSL_ISQ_E10value_typeET4_T5_PSV_SW_PNS1_23onesweep_lookback_stateEbbT6_jjT7_P12ihipStream_tbENKUlT_T0_SK_SP_E_clIPySE_SF_SF_EEDaS13_S14_SK_SP_EUlS13_E_NS1_11comp_targetILNS1_3genE3ELNS1_11target_archE908ELNS1_3gpuE7ELNS1_3repE0EEENS1_47radix_sort_onesweep_sort_config_static_selectorELNS0_4arch9wavefront6targetE1EEEvSK_,@function
_ZN7rocprim17ROCPRIM_400000_NS6detail17trampoline_kernelINS0_14default_configENS1_35radix_sort_onesweep_config_selectorIyNS0_10empty_typeEEEZZNS1_29radix_sort_onesweep_iterationIS3_Lb0EN6thrust23THRUST_200600_302600_NS6detail15normal_iteratorINS9_10device_ptrIyEEEESE_PS5_SF_jNS0_19identity_decomposerENS1_16block_id_wrapperIjLb1EEEEE10hipError_tT1_PNSt15iterator_traitsISK_E10value_typeET2_T3_PNSL_ISQ_E10value_typeET4_T5_PSV_SW_PNS1_23onesweep_lookback_stateEbbT6_jjT7_P12ihipStream_tbENKUlT_T0_SK_SP_E_clIPySE_SF_SF_EEDaS13_S14_SK_SP_EUlS13_E_NS1_11comp_targetILNS1_3genE3ELNS1_11target_archE908ELNS1_3gpuE7ELNS1_3repE0EEENS1_47radix_sort_onesweep_sort_config_static_selectorELNS0_4arch9wavefront6targetE1EEEvSK_: ; @_ZN7rocprim17ROCPRIM_400000_NS6detail17trampoline_kernelINS0_14default_configENS1_35radix_sort_onesweep_config_selectorIyNS0_10empty_typeEEEZZNS1_29radix_sort_onesweep_iterationIS3_Lb0EN6thrust23THRUST_200600_302600_NS6detail15normal_iteratorINS9_10device_ptrIyEEEESE_PS5_SF_jNS0_19identity_decomposerENS1_16block_id_wrapperIjLb1EEEEE10hipError_tT1_PNSt15iterator_traitsISK_E10value_typeET2_T3_PNSL_ISQ_E10value_typeET4_T5_PSV_SW_PNS1_23onesweep_lookback_stateEbbT6_jjT7_P12ihipStream_tbENKUlT_T0_SK_SP_E_clIPySE_SF_SF_EEDaS13_S14_SK_SP_EUlS13_E_NS1_11comp_targetILNS1_3genE3ELNS1_11target_archE908ELNS1_3gpuE7ELNS1_3repE0EEENS1_47radix_sort_onesweep_sort_config_static_selectorELNS0_4arch9wavefront6targetE1EEEvSK_
; %bb.0:
	.section	.rodata,"a",@progbits
	.p2align	6, 0x0
	.amdhsa_kernel _ZN7rocprim17ROCPRIM_400000_NS6detail17trampoline_kernelINS0_14default_configENS1_35radix_sort_onesweep_config_selectorIyNS0_10empty_typeEEEZZNS1_29radix_sort_onesweep_iterationIS3_Lb0EN6thrust23THRUST_200600_302600_NS6detail15normal_iteratorINS9_10device_ptrIyEEEESE_PS5_SF_jNS0_19identity_decomposerENS1_16block_id_wrapperIjLb1EEEEE10hipError_tT1_PNSt15iterator_traitsISK_E10value_typeET2_T3_PNSL_ISQ_E10value_typeET4_T5_PSV_SW_PNS1_23onesweep_lookback_stateEbbT6_jjT7_P12ihipStream_tbENKUlT_T0_SK_SP_E_clIPySE_SF_SF_EEDaS13_S14_SK_SP_EUlS13_E_NS1_11comp_targetILNS1_3genE3ELNS1_11target_archE908ELNS1_3gpuE7ELNS1_3repE0EEENS1_47radix_sort_onesweep_sort_config_static_selectorELNS0_4arch9wavefront6targetE1EEEvSK_
		.amdhsa_group_segment_fixed_size 0
		.amdhsa_private_segment_fixed_size 0
		.amdhsa_kernarg_size 88
		.amdhsa_user_sgpr_count 6
		.amdhsa_user_sgpr_private_segment_buffer 1
		.amdhsa_user_sgpr_dispatch_ptr 0
		.amdhsa_user_sgpr_queue_ptr 0
		.amdhsa_user_sgpr_kernarg_segment_ptr 1
		.amdhsa_user_sgpr_dispatch_id 0
		.amdhsa_user_sgpr_flat_scratch_init 0
		.amdhsa_user_sgpr_kernarg_preload_length 0
		.amdhsa_user_sgpr_kernarg_preload_offset 0
		.amdhsa_user_sgpr_private_segment_size 0
		.amdhsa_uses_dynamic_stack 0
		.amdhsa_system_sgpr_private_segment_wavefront_offset 0
		.amdhsa_system_sgpr_workgroup_id_x 1
		.amdhsa_system_sgpr_workgroup_id_y 0
		.amdhsa_system_sgpr_workgroup_id_z 0
		.amdhsa_system_sgpr_workgroup_info 0
		.amdhsa_system_vgpr_workitem_id 0
		.amdhsa_next_free_vgpr 1
		.amdhsa_next_free_sgpr 0
		.amdhsa_accum_offset 4
		.amdhsa_reserve_vcc 0
		.amdhsa_reserve_flat_scratch 0
		.amdhsa_float_round_mode_32 0
		.amdhsa_float_round_mode_16_64 0
		.amdhsa_float_denorm_mode_32 3
		.amdhsa_float_denorm_mode_16_64 3
		.amdhsa_dx10_clamp 1
		.amdhsa_ieee_mode 1
		.amdhsa_fp16_overflow 0
		.amdhsa_tg_split 0
		.amdhsa_exception_fp_ieee_invalid_op 0
		.amdhsa_exception_fp_denorm_src 0
		.amdhsa_exception_fp_ieee_div_zero 0
		.amdhsa_exception_fp_ieee_overflow 0
		.amdhsa_exception_fp_ieee_underflow 0
		.amdhsa_exception_fp_ieee_inexact 0
		.amdhsa_exception_int_div_zero 0
	.end_amdhsa_kernel
	.section	.text._ZN7rocprim17ROCPRIM_400000_NS6detail17trampoline_kernelINS0_14default_configENS1_35radix_sort_onesweep_config_selectorIyNS0_10empty_typeEEEZZNS1_29radix_sort_onesweep_iterationIS3_Lb0EN6thrust23THRUST_200600_302600_NS6detail15normal_iteratorINS9_10device_ptrIyEEEESE_PS5_SF_jNS0_19identity_decomposerENS1_16block_id_wrapperIjLb1EEEEE10hipError_tT1_PNSt15iterator_traitsISK_E10value_typeET2_T3_PNSL_ISQ_E10value_typeET4_T5_PSV_SW_PNS1_23onesweep_lookback_stateEbbT6_jjT7_P12ihipStream_tbENKUlT_T0_SK_SP_E_clIPySE_SF_SF_EEDaS13_S14_SK_SP_EUlS13_E_NS1_11comp_targetILNS1_3genE3ELNS1_11target_archE908ELNS1_3gpuE7ELNS1_3repE0EEENS1_47radix_sort_onesweep_sort_config_static_selectorELNS0_4arch9wavefront6targetE1EEEvSK_,"axG",@progbits,_ZN7rocprim17ROCPRIM_400000_NS6detail17trampoline_kernelINS0_14default_configENS1_35radix_sort_onesweep_config_selectorIyNS0_10empty_typeEEEZZNS1_29radix_sort_onesweep_iterationIS3_Lb0EN6thrust23THRUST_200600_302600_NS6detail15normal_iteratorINS9_10device_ptrIyEEEESE_PS5_SF_jNS0_19identity_decomposerENS1_16block_id_wrapperIjLb1EEEEE10hipError_tT1_PNSt15iterator_traitsISK_E10value_typeET2_T3_PNSL_ISQ_E10value_typeET4_T5_PSV_SW_PNS1_23onesweep_lookback_stateEbbT6_jjT7_P12ihipStream_tbENKUlT_T0_SK_SP_E_clIPySE_SF_SF_EEDaS13_S14_SK_SP_EUlS13_E_NS1_11comp_targetILNS1_3genE3ELNS1_11target_archE908ELNS1_3gpuE7ELNS1_3repE0EEENS1_47radix_sort_onesweep_sort_config_static_selectorELNS0_4arch9wavefront6targetE1EEEvSK_,comdat
.Lfunc_end887:
	.size	_ZN7rocprim17ROCPRIM_400000_NS6detail17trampoline_kernelINS0_14default_configENS1_35radix_sort_onesweep_config_selectorIyNS0_10empty_typeEEEZZNS1_29radix_sort_onesweep_iterationIS3_Lb0EN6thrust23THRUST_200600_302600_NS6detail15normal_iteratorINS9_10device_ptrIyEEEESE_PS5_SF_jNS0_19identity_decomposerENS1_16block_id_wrapperIjLb1EEEEE10hipError_tT1_PNSt15iterator_traitsISK_E10value_typeET2_T3_PNSL_ISQ_E10value_typeET4_T5_PSV_SW_PNS1_23onesweep_lookback_stateEbbT6_jjT7_P12ihipStream_tbENKUlT_T0_SK_SP_E_clIPySE_SF_SF_EEDaS13_S14_SK_SP_EUlS13_E_NS1_11comp_targetILNS1_3genE3ELNS1_11target_archE908ELNS1_3gpuE7ELNS1_3repE0EEENS1_47radix_sort_onesweep_sort_config_static_selectorELNS0_4arch9wavefront6targetE1EEEvSK_, .Lfunc_end887-_ZN7rocprim17ROCPRIM_400000_NS6detail17trampoline_kernelINS0_14default_configENS1_35radix_sort_onesweep_config_selectorIyNS0_10empty_typeEEEZZNS1_29radix_sort_onesweep_iterationIS3_Lb0EN6thrust23THRUST_200600_302600_NS6detail15normal_iteratorINS9_10device_ptrIyEEEESE_PS5_SF_jNS0_19identity_decomposerENS1_16block_id_wrapperIjLb1EEEEE10hipError_tT1_PNSt15iterator_traitsISK_E10value_typeET2_T3_PNSL_ISQ_E10value_typeET4_T5_PSV_SW_PNS1_23onesweep_lookback_stateEbbT6_jjT7_P12ihipStream_tbENKUlT_T0_SK_SP_E_clIPySE_SF_SF_EEDaS13_S14_SK_SP_EUlS13_E_NS1_11comp_targetILNS1_3genE3ELNS1_11target_archE908ELNS1_3gpuE7ELNS1_3repE0EEENS1_47radix_sort_onesweep_sort_config_static_selectorELNS0_4arch9wavefront6targetE1EEEvSK_
                                        ; -- End function
	.section	.AMDGPU.csdata,"",@progbits
; Kernel info:
; codeLenInByte = 0
; NumSgprs: 4
; NumVgprs: 0
; NumAgprs: 0
; TotalNumVgprs: 0
; ScratchSize: 0
; MemoryBound: 0
; FloatMode: 240
; IeeeMode: 1
; LDSByteSize: 0 bytes/workgroup (compile time only)
; SGPRBlocks: 0
; VGPRBlocks: 0
; NumSGPRsForWavesPerEU: 4
; NumVGPRsForWavesPerEU: 1
; AccumOffset: 4
; Occupancy: 8
; WaveLimiterHint : 0
; COMPUTE_PGM_RSRC2:SCRATCH_EN: 0
; COMPUTE_PGM_RSRC2:USER_SGPR: 6
; COMPUTE_PGM_RSRC2:TRAP_HANDLER: 0
; COMPUTE_PGM_RSRC2:TGID_X_EN: 1
; COMPUTE_PGM_RSRC2:TGID_Y_EN: 0
; COMPUTE_PGM_RSRC2:TGID_Z_EN: 0
; COMPUTE_PGM_RSRC2:TIDIG_COMP_CNT: 0
; COMPUTE_PGM_RSRC3_GFX90A:ACCUM_OFFSET: 0
; COMPUTE_PGM_RSRC3_GFX90A:TG_SPLIT: 0
	.section	.text._ZN7rocprim17ROCPRIM_400000_NS6detail17trampoline_kernelINS0_14default_configENS1_35radix_sort_onesweep_config_selectorIyNS0_10empty_typeEEEZZNS1_29radix_sort_onesweep_iterationIS3_Lb0EN6thrust23THRUST_200600_302600_NS6detail15normal_iteratorINS9_10device_ptrIyEEEESE_PS5_SF_jNS0_19identity_decomposerENS1_16block_id_wrapperIjLb1EEEEE10hipError_tT1_PNSt15iterator_traitsISK_E10value_typeET2_T3_PNSL_ISQ_E10value_typeET4_T5_PSV_SW_PNS1_23onesweep_lookback_stateEbbT6_jjT7_P12ihipStream_tbENKUlT_T0_SK_SP_E_clIPySE_SF_SF_EEDaS13_S14_SK_SP_EUlS13_E_NS1_11comp_targetILNS1_3genE10ELNS1_11target_archE1201ELNS1_3gpuE5ELNS1_3repE0EEENS1_47radix_sort_onesweep_sort_config_static_selectorELNS0_4arch9wavefront6targetE1EEEvSK_,"axG",@progbits,_ZN7rocprim17ROCPRIM_400000_NS6detail17trampoline_kernelINS0_14default_configENS1_35radix_sort_onesweep_config_selectorIyNS0_10empty_typeEEEZZNS1_29radix_sort_onesweep_iterationIS3_Lb0EN6thrust23THRUST_200600_302600_NS6detail15normal_iteratorINS9_10device_ptrIyEEEESE_PS5_SF_jNS0_19identity_decomposerENS1_16block_id_wrapperIjLb1EEEEE10hipError_tT1_PNSt15iterator_traitsISK_E10value_typeET2_T3_PNSL_ISQ_E10value_typeET4_T5_PSV_SW_PNS1_23onesweep_lookback_stateEbbT6_jjT7_P12ihipStream_tbENKUlT_T0_SK_SP_E_clIPySE_SF_SF_EEDaS13_S14_SK_SP_EUlS13_E_NS1_11comp_targetILNS1_3genE10ELNS1_11target_archE1201ELNS1_3gpuE5ELNS1_3repE0EEENS1_47radix_sort_onesweep_sort_config_static_selectorELNS0_4arch9wavefront6targetE1EEEvSK_,comdat
	.protected	_ZN7rocprim17ROCPRIM_400000_NS6detail17trampoline_kernelINS0_14default_configENS1_35radix_sort_onesweep_config_selectorIyNS0_10empty_typeEEEZZNS1_29radix_sort_onesweep_iterationIS3_Lb0EN6thrust23THRUST_200600_302600_NS6detail15normal_iteratorINS9_10device_ptrIyEEEESE_PS5_SF_jNS0_19identity_decomposerENS1_16block_id_wrapperIjLb1EEEEE10hipError_tT1_PNSt15iterator_traitsISK_E10value_typeET2_T3_PNSL_ISQ_E10value_typeET4_T5_PSV_SW_PNS1_23onesweep_lookback_stateEbbT6_jjT7_P12ihipStream_tbENKUlT_T0_SK_SP_E_clIPySE_SF_SF_EEDaS13_S14_SK_SP_EUlS13_E_NS1_11comp_targetILNS1_3genE10ELNS1_11target_archE1201ELNS1_3gpuE5ELNS1_3repE0EEENS1_47radix_sort_onesweep_sort_config_static_selectorELNS0_4arch9wavefront6targetE1EEEvSK_ ; -- Begin function _ZN7rocprim17ROCPRIM_400000_NS6detail17trampoline_kernelINS0_14default_configENS1_35radix_sort_onesweep_config_selectorIyNS0_10empty_typeEEEZZNS1_29radix_sort_onesweep_iterationIS3_Lb0EN6thrust23THRUST_200600_302600_NS6detail15normal_iteratorINS9_10device_ptrIyEEEESE_PS5_SF_jNS0_19identity_decomposerENS1_16block_id_wrapperIjLb1EEEEE10hipError_tT1_PNSt15iterator_traitsISK_E10value_typeET2_T3_PNSL_ISQ_E10value_typeET4_T5_PSV_SW_PNS1_23onesweep_lookback_stateEbbT6_jjT7_P12ihipStream_tbENKUlT_T0_SK_SP_E_clIPySE_SF_SF_EEDaS13_S14_SK_SP_EUlS13_E_NS1_11comp_targetILNS1_3genE10ELNS1_11target_archE1201ELNS1_3gpuE5ELNS1_3repE0EEENS1_47radix_sort_onesweep_sort_config_static_selectorELNS0_4arch9wavefront6targetE1EEEvSK_
	.globl	_ZN7rocprim17ROCPRIM_400000_NS6detail17trampoline_kernelINS0_14default_configENS1_35radix_sort_onesweep_config_selectorIyNS0_10empty_typeEEEZZNS1_29radix_sort_onesweep_iterationIS3_Lb0EN6thrust23THRUST_200600_302600_NS6detail15normal_iteratorINS9_10device_ptrIyEEEESE_PS5_SF_jNS0_19identity_decomposerENS1_16block_id_wrapperIjLb1EEEEE10hipError_tT1_PNSt15iterator_traitsISK_E10value_typeET2_T3_PNSL_ISQ_E10value_typeET4_T5_PSV_SW_PNS1_23onesweep_lookback_stateEbbT6_jjT7_P12ihipStream_tbENKUlT_T0_SK_SP_E_clIPySE_SF_SF_EEDaS13_S14_SK_SP_EUlS13_E_NS1_11comp_targetILNS1_3genE10ELNS1_11target_archE1201ELNS1_3gpuE5ELNS1_3repE0EEENS1_47radix_sort_onesweep_sort_config_static_selectorELNS0_4arch9wavefront6targetE1EEEvSK_
	.p2align	8
	.type	_ZN7rocprim17ROCPRIM_400000_NS6detail17trampoline_kernelINS0_14default_configENS1_35radix_sort_onesweep_config_selectorIyNS0_10empty_typeEEEZZNS1_29radix_sort_onesweep_iterationIS3_Lb0EN6thrust23THRUST_200600_302600_NS6detail15normal_iteratorINS9_10device_ptrIyEEEESE_PS5_SF_jNS0_19identity_decomposerENS1_16block_id_wrapperIjLb1EEEEE10hipError_tT1_PNSt15iterator_traitsISK_E10value_typeET2_T3_PNSL_ISQ_E10value_typeET4_T5_PSV_SW_PNS1_23onesweep_lookback_stateEbbT6_jjT7_P12ihipStream_tbENKUlT_T0_SK_SP_E_clIPySE_SF_SF_EEDaS13_S14_SK_SP_EUlS13_E_NS1_11comp_targetILNS1_3genE10ELNS1_11target_archE1201ELNS1_3gpuE5ELNS1_3repE0EEENS1_47radix_sort_onesweep_sort_config_static_selectorELNS0_4arch9wavefront6targetE1EEEvSK_,@function
_ZN7rocprim17ROCPRIM_400000_NS6detail17trampoline_kernelINS0_14default_configENS1_35radix_sort_onesweep_config_selectorIyNS0_10empty_typeEEEZZNS1_29radix_sort_onesweep_iterationIS3_Lb0EN6thrust23THRUST_200600_302600_NS6detail15normal_iteratorINS9_10device_ptrIyEEEESE_PS5_SF_jNS0_19identity_decomposerENS1_16block_id_wrapperIjLb1EEEEE10hipError_tT1_PNSt15iterator_traitsISK_E10value_typeET2_T3_PNSL_ISQ_E10value_typeET4_T5_PSV_SW_PNS1_23onesweep_lookback_stateEbbT6_jjT7_P12ihipStream_tbENKUlT_T0_SK_SP_E_clIPySE_SF_SF_EEDaS13_S14_SK_SP_EUlS13_E_NS1_11comp_targetILNS1_3genE10ELNS1_11target_archE1201ELNS1_3gpuE5ELNS1_3repE0EEENS1_47radix_sort_onesweep_sort_config_static_selectorELNS0_4arch9wavefront6targetE1EEEvSK_: ; @_ZN7rocprim17ROCPRIM_400000_NS6detail17trampoline_kernelINS0_14default_configENS1_35radix_sort_onesweep_config_selectorIyNS0_10empty_typeEEEZZNS1_29radix_sort_onesweep_iterationIS3_Lb0EN6thrust23THRUST_200600_302600_NS6detail15normal_iteratorINS9_10device_ptrIyEEEESE_PS5_SF_jNS0_19identity_decomposerENS1_16block_id_wrapperIjLb1EEEEE10hipError_tT1_PNSt15iterator_traitsISK_E10value_typeET2_T3_PNSL_ISQ_E10value_typeET4_T5_PSV_SW_PNS1_23onesweep_lookback_stateEbbT6_jjT7_P12ihipStream_tbENKUlT_T0_SK_SP_E_clIPySE_SF_SF_EEDaS13_S14_SK_SP_EUlS13_E_NS1_11comp_targetILNS1_3genE10ELNS1_11target_archE1201ELNS1_3gpuE5ELNS1_3repE0EEENS1_47radix_sort_onesweep_sort_config_static_selectorELNS0_4arch9wavefront6targetE1EEEvSK_
; %bb.0:
	.section	.rodata,"a",@progbits
	.p2align	6, 0x0
	.amdhsa_kernel _ZN7rocprim17ROCPRIM_400000_NS6detail17trampoline_kernelINS0_14default_configENS1_35radix_sort_onesweep_config_selectorIyNS0_10empty_typeEEEZZNS1_29radix_sort_onesweep_iterationIS3_Lb0EN6thrust23THRUST_200600_302600_NS6detail15normal_iteratorINS9_10device_ptrIyEEEESE_PS5_SF_jNS0_19identity_decomposerENS1_16block_id_wrapperIjLb1EEEEE10hipError_tT1_PNSt15iterator_traitsISK_E10value_typeET2_T3_PNSL_ISQ_E10value_typeET4_T5_PSV_SW_PNS1_23onesweep_lookback_stateEbbT6_jjT7_P12ihipStream_tbENKUlT_T0_SK_SP_E_clIPySE_SF_SF_EEDaS13_S14_SK_SP_EUlS13_E_NS1_11comp_targetILNS1_3genE10ELNS1_11target_archE1201ELNS1_3gpuE5ELNS1_3repE0EEENS1_47radix_sort_onesweep_sort_config_static_selectorELNS0_4arch9wavefront6targetE1EEEvSK_
		.amdhsa_group_segment_fixed_size 0
		.amdhsa_private_segment_fixed_size 0
		.amdhsa_kernarg_size 88
		.amdhsa_user_sgpr_count 6
		.amdhsa_user_sgpr_private_segment_buffer 1
		.amdhsa_user_sgpr_dispatch_ptr 0
		.amdhsa_user_sgpr_queue_ptr 0
		.amdhsa_user_sgpr_kernarg_segment_ptr 1
		.amdhsa_user_sgpr_dispatch_id 0
		.amdhsa_user_sgpr_flat_scratch_init 0
		.amdhsa_user_sgpr_kernarg_preload_length 0
		.amdhsa_user_sgpr_kernarg_preload_offset 0
		.amdhsa_user_sgpr_private_segment_size 0
		.amdhsa_uses_dynamic_stack 0
		.amdhsa_system_sgpr_private_segment_wavefront_offset 0
		.amdhsa_system_sgpr_workgroup_id_x 1
		.amdhsa_system_sgpr_workgroup_id_y 0
		.amdhsa_system_sgpr_workgroup_id_z 0
		.amdhsa_system_sgpr_workgroup_info 0
		.amdhsa_system_vgpr_workitem_id 0
		.amdhsa_next_free_vgpr 1
		.amdhsa_next_free_sgpr 0
		.amdhsa_accum_offset 4
		.amdhsa_reserve_vcc 0
		.amdhsa_reserve_flat_scratch 0
		.amdhsa_float_round_mode_32 0
		.amdhsa_float_round_mode_16_64 0
		.amdhsa_float_denorm_mode_32 3
		.amdhsa_float_denorm_mode_16_64 3
		.amdhsa_dx10_clamp 1
		.amdhsa_ieee_mode 1
		.amdhsa_fp16_overflow 0
		.amdhsa_tg_split 0
		.amdhsa_exception_fp_ieee_invalid_op 0
		.amdhsa_exception_fp_denorm_src 0
		.amdhsa_exception_fp_ieee_div_zero 0
		.amdhsa_exception_fp_ieee_overflow 0
		.amdhsa_exception_fp_ieee_underflow 0
		.amdhsa_exception_fp_ieee_inexact 0
		.amdhsa_exception_int_div_zero 0
	.end_amdhsa_kernel
	.section	.text._ZN7rocprim17ROCPRIM_400000_NS6detail17trampoline_kernelINS0_14default_configENS1_35radix_sort_onesweep_config_selectorIyNS0_10empty_typeEEEZZNS1_29radix_sort_onesweep_iterationIS3_Lb0EN6thrust23THRUST_200600_302600_NS6detail15normal_iteratorINS9_10device_ptrIyEEEESE_PS5_SF_jNS0_19identity_decomposerENS1_16block_id_wrapperIjLb1EEEEE10hipError_tT1_PNSt15iterator_traitsISK_E10value_typeET2_T3_PNSL_ISQ_E10value_typeET4_T5_PSV_SW_PNS1_23onesweep_lookback_stateEbbT6_jjT7_P12ihipStream_tbENKUlT_T0_SK_SP_E_clIPySE_SF_SF_EEDaS13_S14_SK_SP_EUlS13_E_NS1_11comp_targetILNS1_3genE10ELNS1_11target_archE1201ELNS1_3gpuE5ELNS1_3repE0EEENS1_47radix_sort_onesweep_sort_config_static_selectorELNS0_4arch9wavefront6targetE1EEEvSK_,"axG",@progbits,_ZN7rocprim17ROCPRIM_400000_NS6detail17trampoline_kernelINS0_14default_configENS1_35radix_sort_onesweep_config_selectorIyNS0_10empty_typeEEEZZNS1_29radix_sort_onesweep_iterationIS3_Lb0EN6thrust23THRUST_200600_302600_NS6detail15normal_iteratorINS9_10device_ptrIyEEEESE_PS5_SF_jNS0_19identity_decomposerENS1_16block_id_wrapperIjLb1EEEEE10hipError_tT1_PNSt15iterator_traitsISK_E10value_typeET2_T3_PNSL_ISQ_E10value_typeET4_T5_PSV_SW_PNS1_23onesweep_lookback_stateEbbT6_jjT7_P12ihipStream_tbENKUlT_T0_SK_SP_E_clIPySE_SF_SF_EEDaS13_S14_SK_SP_EUlS13_E_NS1_11comp_targetILNS1_3genE10ELNS1_11target_archE1201ELNS1_3gpuE5ELNS1_3repE0EEENS1_47radix_sort_onesweep_sort_config_static_selectorELNS0_4arch9wavefront6targetE1EEEvSK_,comdat
.Lfunc_end888:
	.size	_ZN7rocprim17ROCPRIM_400000_NS6detail17trampoline_kernelINS0_14default_configENS1_35radix_sort_onesweep_config_selectorIyNS0_10empty_typeEEEZZNS1_29radix_sort_onesweep_iterationIS3_Lb0EN6thrust23THRUST_200600_302600_NS6detail15normal_iteratorINS9_10device_ptrIyEEEESE_PS5_SF_jNS0_19identity_decomposerENS1_16block_id_wrapperIjLb1EEEEE10hipError_tT1_PNSt15iterator_traitsISK_E10value_typeET2_T3_PNSL_ISQ_E10value_typeET4_T5_PSV_SW_PNS1_23onesweep_lookback_stateEbbT6_jjT7_P12ihipStream_tbENKUlT_T0_SK_SP_E_clIPySE_SF_SF_EEDaS13_S14_SK_SP_EUlS13_E_NS1_11comp_targetILNS1_3genE10ELNS1_11target_archE1201ELNS1_3gpuE5ELNS1_3repE0EEENS1_47radix_sort_onesweep_sort_config_static_selectorELNS0_4arch9wavefront6targetE1EEEvSK_, .Lfunc_end888-_ZN7rocprim17ROCPRIM_400000_NS6detail17trampoline_kernelINS0_14default_configENS1_35radix_sort_onesweep_config_selectorIyNS0_10empty_typeEEEZZNS1_29radix_sort_onesweep_iterationIS3_Lb0EN6thrust23THRUST_200600_302600_NS6detail15normal_iteratorINS9_10device_ptrIyEEEESE_PS5_SF_jNS0_19identity_decomposerENS1_16block_id_wrapperIjLb1EEEEE10hipError_tT1_PNSt15iterator_traitsISK_E10value_typeET2_T3_PNSL_ISQ_E10value_typeET4_T5_PSV_SW_PNS1_23onesweep_lookback_stateEbbT6_jjT7_P12ihipStream_tbENKUlT_T0_SK_SP_E_clIPySE_SF_SF_EEDaS13_S14_SK_SP_EUlS13_E_NS1_11comp_targetILNS1_3genE10ELNS1_11target_archE1201ELNS1_3gpuE5ELNS1_3repE0EEENS1_47radix_sort_onesweep_sort_config_static_selectorELNS0_4arch9wavefront6targetE1EEEvSK_
                                        ; -- End function
	.section	.AMDGPU.csdata,"",@progbits
; Kernel info:
; codeLenInByte = 0
; NumSgprs: 4
; NumVgprs: 0
; NumAgprs: 0
; TotalNumVgprs: 0
; ScratchSize: 0
; MemoryBound: 0
; FloatMode: 240
; IeeeMode: 1
; LDSByteSize: 0 bytes/workgroup (compile time only)
; SGPRBlocks: 0
; VGPRBlocks: 0
; NumSGPRsForWavesPerEU: 4
; NumVGPRsForWavesPerEU: 1
; AccumOffset: 4
; Occupancy: 8
; WaveLimiterHint : 0
; COMPUTE_PGM_RSRC2:SCRATCH_EN: 0
; COMPUTE_PGM_RSRC2:USER_SGPR: 6
; COMPUTE_PGM_RSRC2:TRAP_HANDLER: 0
; COMPUTE_PGM_RSRC2:TGID_X_EN: 1
; COMPUTE_PGM_RSRC2:TGID_Y_EN: 0
; COMPUTE_PGM_RSRC2:TGID_Z_EN: 0
; COMPUTE_PGM_RSRC2:TIDIG_COMP_CNT: 0
; COMPUTE_PGM_RSRC3_GFX90A:ACCUM_OFFSET: 0
; COMPUTE_PGM_RSRC3_GFX90A:TG_SPLIT: 0
	.section	.text._ZN7rocprim17ROCPRIM_400000_NS6detail17trampoline_kernelINS0_14default_configENS1_35radix_sort_onesweep_config_selectorIyNS0_10empty_typeEEEZZNS1_29radix_sort_onesweep_iterationIS3_Lb0EN6thrust23THRUST_200600_302600_NS6detail15normal_iteratorINS9_10device_ptrIyEEEESE_PS5_SF_jNS0_19identity_decomposerENS1_16block_id_wrapperIjLb1EEEEE10hipError_tT1_PNSt15iterator_traitsISK_E10value_typeET2_T3_PNSL_ISQ_E10value_typeET4_T5_PSV_SW_PNS1_23onesweep_lookback_stateEbbT6_jjT7_P12ihipStream_tbENKUlT_T0_SK_SP_E_clIPySE_SF_SF_EEDaS13_S14_SK_SP_EUlS13_E_NS1_11comp_targetILNS1_3genE9ELNS1_11target_archE1100ELNS1_3gpuE3ELNS1_3repE0EEENS1_47radix_sort_onesweep_sort_config_static_selectorELNS0_4arch9wavefront6targetE1EEEvSK_,"axG",@progbits,_ZN7rocprim17ROCPRIM_400000_NS6detail17trampoline_kernelINS0_14default_configENS1_35radix_sort_onesweep_config_selectorIyNS0_10empty_typeEEEZZNS1_29radix_sort_onesweep_iterationIS3_Lb0EN6thrust23THRUST_200600_302600_NS6detail15normal_iteratorINS9_10device_ptrIyEEEESE_PS5_SF_jNS0_19identity_decomposerENS1_16block_id_wrapperIjLb1EEEEE10hipError_tT1_PNSt15iterator_traitsISK_E10value_typeET2_T3_PNSL_ISQ_E10value_typeET4_T5_PSV_SW_PNS1_23onesweep_lookback_stateEbbT6_jjT7_P12ihipStream_tbENKUlT_T0_SK_SP_E_clIPySE_SF_SF_EEDaS13_S14_SK_SP_EUlS13_E_NS1_11comp_targetILNS1_3genE9ELNS1_11target_archE1100ELNS1_3gpuE3ELNS1_3repE0EEENS1_47radix_sort_onesweep_sort_config_static_selectorELNS0_4arch9wavefront6targetE1EEEvSK_,comdat
	.protected	_ZN7rocprim17ROCPRIM_400000_NS6detail17trampoline_kernelINS0_14default_configENS1_35radix_sort_onesweep_config_selectorIyNS0_10empty_typeEEEZZNS1_29radix_sort_onesweep_iterationIS3_Lb0EN6thrust23THRUST_200600_302600_NS6detail15normal_iteratorINS9_10device_ptrIyEEEESE_PS5_SF_jNS0_19identity_decomposerENS1_16block_id_wrapperIjLb1EEEEE10hipError_tT1_PNSt15iterator_traitsISK_E10value_typeET2_T3_PNSL_ISQ_E10value_typeET4_T5_PSV_SW_PNS1_23onesweep_lookback_stateEbbT6_jjT7_P12ihipStream_tbENKUlT_T0_SK_SP_E_clIPySE_SF_SF_EEDaS13_S14_SK_SP_EUlS13_E_NS1_11comp_targetILNS1_3genE9ELNS1_11target_archE1100ELNS1_3gpuE3ELNS1_3repE0EEENS1_47radix_sort_onesweep_sort_config_static_selectorELNS0_4arch9wavefront6targetE1EEEvSK_ ; -- Begin function _ZN7rocprim17ROCPRIM_400000_NS6detail17trampoline_kernelINS0_14default_configENS1_35radix_sort_onesweep_config_selectorIyNS0_10empty_typeEEEZZNS1_29radix_sort_onesweep_iterationIS3_Lb0EN6thrust23THRUST_200600_302600_NS6detail15normal_iteratorINS9_10device_ptrIyEEEESE_PS5_SF_jNS0_19identity_decomposerENS1_16block_id_wrapperIjLb1EEEEE10hipError_tT1_PNSt15iterator_traitsISK_E10value_typeET2_T3_PNSL_ISQ_E10value_typeET4_T5_PSV_SW_PNS1_23onesweep_lookback_stateEbbT6_jjT7_P12ihipStream_tbENKUlT_T0_SK_SP_E_clIPySE_SF_SF_EEDaS13_S14_SK_SP_EUlS13_E_NS1_11comp_targetILNS1_3genE9ELNS1_11target_archE1100ELNS1_3gpuE3ELNS1_3repE0EEENS1_47radix_sort_onesweep_sort_config_static_selectorELNS0_4arch9wavefront6targetE1EEEvSK_
	.globl	_ZN7rocprim17ROCPRIM_400000_NS6detail17trampoline_kernelINS0_14default_configENS1_35radix_sort_onesweep_config_selectorIyNS0_10empty_typeEEEZZNS1_29radix_sort_onesweep_iterationIS3_Lb0EN6thrust23THRUST_200600_302600_NS6detail15normal_iteratorINS9_10device_ptrIyEEEESE_PS5_SF_jNS0_19identity_decomposerENS1_16block_id_wrapperIjLb1EEEEE10hipError_tT1_PNSt15iterator_traitsISK_E10value_typeET2_T3_PNSL_ISQ_E10value_typeET4_T5_PSV_SW_PNS1_23onesweep_lookback_stateEbbT6_jjT7_P12ihipStream_tbENKUlT_T0_SK_SP_E_clIPySE_SF_SF_EEDaS13_S14_SK_SP_EUlS13_E_NS1_11comp_targetILNS1_3genE9ELNS1_11target_archE1100ELNS1_3gpuE3ELNS1_3repE0EEENS1_47radix_sort_onesweep_sort_config_static_selectorELNS0_4arch9wavefront6targetE1EEEvSK_
	.p2align	8
	.type	_ZN7rocprim17ROCPRIM_400000_NS6detail17trampoline_kernelINS0_14default_configENS1_35radix_sort_onesweep_config_selectorIyNS0_10empty_typeEEEZZNS1_29radix_sort_onesweep_iterationIS3_Lb0EN6thrust23THRUST_200600_302600_NS6detail15normal_iteratorINS9_10device_ptrIyEEEESE_PS5_SF_jNS0_19identity_decomposerENS1_16block_id_wrapperIjLb1EEEEE10hipError_tT1_PNSt15iterator_traitsISK_E10value_typeET2_T3_PNSL_ISQ_E10value_typeET4_T5_PSV_SW_PNS1_23onesweep_lookback_stateEbbT6_jjT7_P12ihipStream_tbENKUlT_T0_SK_SP_E_clIPySE_SF_SF_EEDaS13_S14_SK_SP_EUlS13_E_NS1_11comp_targetILNS1_3genE9ELNS1_11target_archE1100ELNS1_3gpuE3ELNS1_3repE0EEENS1_47radix_sort_onesweep_sort_config_static_selectorELNS0_4arch9wavefront6targetE1EEEvSK_,@function
_ZN7rocprim17ROCPRIM_400000_NS6detail17trampoline_kernelINS0_14default_configENS1_35radix_sort_onesweep_config_selectorIyNS0_10empty_typeEEEZZNS1_29radix_sort_onesweep_iterationIS3_Lb0EN6thrust23THRUST_200600_302600_NS6detail15normal_iteratorINS9_10device_ptrIyEEEESE_PS5_SF_jNS0_19identity_decomposerENS1_16block_id_wrapperIjLb1EEEEE10hipError_tT1_PNSt15iterator_traitsISK_E10value_typeET2_T3_PNSL_ISQ_E10value_typeET4_T5_PSV_SW_PNS1_23onesweep_lookback_stateEbbT6_jjT7_P12ihipStream_tbENKUlT_T0_SK_SP_E_clIPySE_SF_SF_EEDaS13_S14_SK_SP_EUlS13_E_NS1_11comp_targetILNS1_3genE9ELNS1_11target_archE1100ELNS1_3gpuE3ELNS1_3repE0EEENS1_47radix_sort_onesweep_sort_config_static_selectorELNS0_4arch9wavefront6targetE1EEEvSK_: ; @_ZN7rocprim17ROCPRIM_400000_NS6detail17trampoline_kernelINS0_14default_configENS1_35radix_sort_onesweep_config_selectorIyNS0_10empty_typeEEEZZNS1_29radix_sort_onesweep_iterationIS3_Lb0EN6thrust23THRUST_200600_302600_NS6detail15normal_iteratorINS9_10device_ptrIyEEEESE_PS5_SF_jNS0_19identity_decomposerENS1_16block_id_wrapperIjLb1EEEEE10hipError_tT1_PNSt15iterator_traitsISK_E10value_typeET2_T3_PNSL_ISQ_E10value_typeET4_T5_PSV_SW_PNS1_23onesweep_lookback_stateEbbT6_jjT7_P12ihipStream_tbENKUlT_T0_SK_SP_E_clIPySE_SF_SF_EEDaS13_S14_SK_SP_EUlS13_E_NS1_11comp_targetILNS1_3genE9ELNS1_11target_archE1100ELNS1_3gpuE3ELNS1_3repE0EEENS1_47radix_sort_onesweep_sort_config_static_selectorELNS0_4arch9wavefront6targetE1EEEvSK_
; %bb.0:
	.section	.rodata,"a",@progbits
	.p2align	6, 0x0
	.amdhsa_kernel _ZN7rocprim17ROCPRIM_400000_NS6detail17trampoline_kernelINS0_14default_configENS1_35radix_sort_onesweep_config_selectorIyNS0_10empty_typeEEEZZNS1_29radix_sort_onesweep_iterationIS3_Lb0EN6thrust23THRUST_200600_302600_NS6detail15normal_iteratorINS9_10device_ptrIyEEEESE_PS5_SF_jNS0_19identity_decomposerENS1_16block_id_wrapperIjLb1EEEEE10hipError_tT1_PNSt15iterator_traitsISK_E10value_typeET2_T3_PNSL_ISQ_E10value_typeET4_T5_PSV_SW_PNS1_23onesweep_lookback_stateEbbT6_jjT7_P12ihipStream_tbENKUlT_T0_SK_SP_E_clIPySE_SF_SF_EEDaS13_S14_SK_SP_EUlS13_E_NS1_11comp_targetILNS1_3genE9ELNS1_11target_archE1100ELNS1_3gpuE3ELNS1_3repE0EEENS1_47radix_sort_onesweep_sort_config_static_selectorELNS0_4arch9wavefront6targetE1EEEvSK_
		.amdhsa_group_segment_fixed_size 0
		.amdhsa_private_segment_fixed_size 0
		.amdhsa_kernarg_size 88
		.amdhsa_user_sgpr_count 6
		.amdhsa_user_sgpr_private_segment_buffer 1
		.amdhsa_user_sgpr_dispatch_ptr 0
		.amdhsa_user_sgpr_queue_ptr 0
		.amdhsa_user_sgpr_kernarg_segment_ptr 1
		.amdhsa_user_sgpr_dispatch_id 0
		.amdhsa_user_sgpr_flat_scratch_init 0
		.amdhsa_user_sgpr_kernarg_preload_length 0
		.amdhsa_user_sgpr_kernarg_preload_offset 0
		.amdhsa_user_sgpr_private_segment_size 0
		.amdhsa_uses_dynamic_stack 0
		.amdhsa_system_sgpr_private_segment_wavefront_offset 0
		.amdhsa_system_sgpr_workgroup_id_x 1
		.amdhsa_system_sgpr_workgroup_id_y 0
		.amdhsa_system_sgpr_workgroup_id_z 0
		.amdhsa_system_sgpr_workgroup_info 0
		.amdhsa_system_vgpr_workitem_id 0
		.amdhsa_next_free_vgpr 1
		.amdhsa_next_free_sgpr 0
		.amdhsa_accum_offset 4
		.amdhsa_reserve_vcc 0
		.amdhsa_reserve_flat_scratch 0
		.amdhsa_float_round_mode_32 0
		.amdhsa_float_round_mode_16_64 0
		.amdhsa_float_denorm_mode_32 3
		.amdhsa_float_denorm_mode_16_64 3
		.amdhsa_dx10_clamp 1
		.amdhsa_ieee_mode 1
		.amdhsa_fp16_overflow 0
		.amdhsa_tg_split 0
		.amdhsa_exception_fp_ieee_invalid_op 0
		.amdhsa_exception_fp_denorm_src 0
		.amdhsa_exception_fp_ieee_div_zero 0
		.amdhsa_exception_fp_ieee_overflow 0
		.amdhsa_exception_fp_ieee_underflow 0
		.amdhsa_exception_fp_ieee_inexact 0
		.amdhsa_exception_int_div_zero 0
	.end_amdhsa_kernel
	.section	.text._ZN7rocprim17ROCPRIM_400000_NS6detail17trampoline_kernelINS0_14default_configENS1_35radix_sort_onesweep_config_selectorIyNS0_10empty_typeEEEZZNS1_29radix_sort_onesweep_iterationIS3_Lb0EN6thrust23THRUST_200600_302600_NS6detail15normal_iteratorINS9_10device_ptrIyEEEESE_PS5_SF_jNS0_19identity_decomposerENS1_16block_id_wrapperIjLb1EEEEE10hipError_tT1_PNSt15iterator_traitsISK_E10value_typeET2_T3_PNSL_ISQ_E10value_typeET4_T5_PSV_SW_PNS1_23onesweep_lookback_stateEbbT6_jjT7_P12ihipStream_tbENKUlT_T0_SK_SP_E_clIPySE_SF_SF_EEDaS13_S14_SK_SP_EUlS13_E_NS1_11comp_targetILNS1_3genE9ELNS1_11target_archE1100ELNS1_3gpuE3ELNS1_3repE0EEENS1_47radix_sort_onesweep_sort_config_static_selectorELNS0_4arch9wavefront6targetE1EEEvSK_,"axG",@progbits,_ZN7rocprim17ROCPRIM_400000_NS6detail17trampoline_kernelINS0_14default_configENS1_35radix_sort_onesweep_config_selectorIyNS0_10empty_typeEEEZZNS1_29radix_sort_onesweep_iterationIS3_Lb0EN6thrust23THRUST_200600_302600_NS6detail15normal_iteratorINS9_10device_ptrIyEEEESE_PS5_SF_jNS0_19identity_decomposerENS1_16block_id_wrapperIjLb1EEEEE10hipError_tT1_PNSt15iterator_traitsISK_E10value_typeET2_T3_PNSL_ISQ_E10value_typeET4_T5_PSV_SW_PNS1_23onesweep_lookback_stateEbbT6_jjT7_P12ihipStream_tbENKUlT_T0_SK_SP_E_clIPySE_SF_SF_EEDaS13_S14_SK_SP_EUlS13_E_NS1_11comp_targetILNS1_3genE9ELNS1_11target_archE1100ELNS1_3gpuE3ELNS1_3repE0EEENS1_47radix_sort_onesweep_sort_config_static_selectorELNS0_4arch9wavefront6targetE1EEEvSK_,comdat
.Lfunc_end889:
	.size	_ZN7rocprim17ROCPRIM_400000_NS6detail17trampoline_kernelINS0_14default_configENS1_35radix_sort_onesweep_config_selectorIyNS0_10empty_typeEEEZZNS1_29radix_sort_onesweep_iterationIS3_Lb0EN6thrust23THRUST_200600_302600_NS6detail15normal_iteratorINS9_10device_ptrIyEEEESE_PS5_SF_jNS0_19identity_decomposerENS1_16block_id_wrapperIjLb1EEEEE10hipError_tT1_PNSt15iterator_traitsISK_E10value_typeET2_T3_PNSL_ISQ_E10value_typeET4_T5_PSV_SW_PNS1_23onesweep_lookback_stateEbbT6_jjT7_P12ihipStream_tbENKUlT_T0_SK_SP_E_clIPySE_SF_SF_EEDaS13_S14_SK_SP_EUlS13_E_NS1_11comp_targetILNS1_3genE9ELNS1_11target_archE1100ELNS1_3gpuE3ELNS1_3repE0EEENS1_47radix_sort_onesweep_sort_config_static_selectorELNS0_4arch9wavefront6targetE1EEEvSK_, .Lfunc_end889-_ZN7rocprim17ROCPRIM_400000_NS6detail17trampoline_kernelINS0_14default_configENS1_35radix_sort_onesweep_config_selectorIyNS0_10empty_typeEEEZZNS1_29radix_sort_onesweep_iterationIS3_Lb0EN6thrust23THRUST_200600_302600_NS6detail15normal_iteratorINS9_10device_ptrIyEEEESE_PS5_SF_jNS0_19identity_decomposerENS1_16block_id_wrapperIjLb1EEEEE10hipError_tT1_PNSt15iterator_traitsISK_E10value_typeET2_T3_PNSL_ISQ_E10value_typeET4_T5_PSV_SW_PNS1_23onesweep_lookback_stateEbbT6_jjT7_P12ihipStream_tbENKUlT_T0_SK_SP_E_clIPySE_SF_SF_EEDaS13_S14_SK_SP_EUlS13_E_NS1_11comp_targetILNS1_3genE9ELNS1_11target_archE1100ELNS1_3gpuE3ELNS1_3repE0EEENS1_47radix_sort_onesweep_sort_config_static_selectorELNS0_4arch9wavefront6targetE1EEEvSK_
                                        ; -- End function
	.section	.AMDGPU.csdata,"",@progbits
; Kernel info:
; codeLenInByte = 0
; NumSgprs: 4
; NumVgprs: 0
; NumAgprs: 0
; TotalNumVgprs: 0
; ScratchSize: 0
; MemoryBound: 0
; FloatMode: 240
; IeeeMode: 1
; LDSByteSize: 0 bytes/workgroup (compile time only)
; SGPRBlocks: 0
; VGPRBlocks: 0
; NumSGPRsForWavesPerEU: 4
; NumVGPRsForWavesPerEU: 1
; AccumOffset: 4
; Occupancy: 8
; WaveLimiterHint : 0
; COMPUTE_PGM_RSRC2:SCRATCH_EN: 0
; COMPUTE_PGM_RSRC2:USER_SGPR: 6
; COMPUTE_PGM_RSRC2:TRAP_HANDLER: 0
; COMPUTE_PGM_RSRC2:TGID_X_EN: 1
; COMPUTE_PGM_RSRC2:TGID_Y_EN: 0
; COMPUTE_PGM_RSRC2:TGID_Z_EN: 0
; COMPUTE_PGM_RSRC2:TIDIG_COMP_CNT: 0
; COMPUTE_PGM_RSRC3_GFX90A:ACCUM_OFFSET: 0
; COMPUTE_PGM_RSRC3_GFX90A:TG_SPLIT: 0
	.section	.text._ZN7rocprim17ROCPRIM_400000_NS6detail17trampoline_kernelINS0_14default_configENS1_35radix_sort_onesweep_config_selectorIyNS0_10empty_typeEEEZZNS1_29radix_sort_onesweep_iterationIS3_Lb0EN6thrust23THRUST_200600_302600_NS6detail15normal_iteratorINS9_10device_ptrIyEEEESE_PS5_SF_jNS0_19identity_decomposerENS1_16block_id_wrapperIjLb1EEEEE10hipError_tT1_PNSt15iterator_traitsISK_E10value_typeET2_T3_PNSL_ISQ_E10value_typeET4_T5_PSV_SW_PNS1_23onesweep_lookback_stateEbbT6_jjT7_P12ihipStream_tbENKUlT_T0_SK_SP_E_clIPySE_SF_SF_EEDaS13_S14_SK_SP_EUlS13_E_NS1_11comp_targetILNS1_3genE8ELNS1_11target_archE1030ELNS1_3gpuE2ELNS1_3repE0EEENS1_47radix_sort_onesweep_sort_config_static_selectorELNS0_4arch9wavefront6targetE1EEEvSK_,"axG",@progbits,_ZN7rocprim17ROCPRIM_400000_NS6detail17trampoline_kernelINS0_14default_configENS1_35radix_sort_onesweep_config_selectorIyNS0_10empty_typeEEEZZNS1_29radix_sort_onesweep_iterationIS3_Lb0EN6thrust23THRUST_200600_302600_NS6detail15normal_iteratorINS9_10device_ptrIyEEEESE_PS5_SF_jNS0_19identity_decomposerENS1_16block_id_wrapperIjLb1EEEEE10hipError_tT1_PNSt15iterator_traitsISK_E10value_typeET2_T3_PNSL_ISQ_E10value_typeET4_T5_PSV_SW_PNS1_23onesweep_lookback_stateEbbT6_jjT7_P12ihipStream_tbENKUlT_T0_SK_SP_E_clIPySE_SF_SF_EEDaS13_S14_SK_SP_EUlS13_E_NS1_11comp_targetILNS1_3genE8ELNS1_11target_archE1030ELNS1_3gpuE2ELNS1_3repE0EEENS1_47radix_sort_onesweep_sort_config_static_selectorELNS0_4arch9wavefront6targetE1EEEvSK_,comdat
	.protected	_ZN7rocprim17ROCPRIM_400000_NS6detail17trampoline_kernelINS0_14default_configENS1_35radix_sort_onesweep_config_selectorIyNS0_10empty_typeEEEZZNS1_29radix_sort_onesweep_iterationIS3_Lb0EN6thrust23THRUST_200600_302600_NS6detail15normal_iteratorINS9_10device_ptrIyEEEESE_PS5_SF_jNS0_19identity_decomposerENS1_16block_id_wrapperIjLb1EEEEE10hipError_tT1_PNSt15iterator_traitsISK_E10value_typeET2_T3_PNSL_ISQ_E10value_typeET4_T5_PSV_SW_PNS1_23onesweep_lookback_stateEbbT6_jjT7_P12ihipStream_tbENKUlT_T0_SK_SP_E_clIPySE_SF_SF_EEDaS13_S14_SK_SP_EUlS13_E_NS1_11comp_targetILNS1_3genE8ELNS1_11target_archE1030ELNS1_3gpuE2ELNS1_3repE0EEENS1_47radix_sort_onesweep_sort_config_static_selectorELNS0_4arch9wavefront6targetE1EEEvSK_ ; -- Begin function _ZN7rocprim17ROCPRIM_400000_NS6detail17trampoline_kernelINS0_14default_configENS1_35radix_sort_onesweep_config_selectorIyNS0_10empty_typeEEEZZNS1_29radix_sort_onesweep_iterationIS3_Lb0EN6thrust23THRUST_200600_302600_NS6detail15normal_iteratorINS9_10device_ptrIyEEEESE_PS5_SF_jNS0_19identity_decomposerENS1_16block_id_wrapperIjLb1EEEEE10hipError_tT1_PNSt15iterator_traitsISK_E10value_typeET2_T3_PNSL_ISQ_E10value_typeET4_T5_PSV_SW_PNS1_23onesweep_lookback_stateEbbT6_jjT7_P12ihipStream_tbENKUlT_T0_SK_SP_E_clIPySE_SF_SF_EEDaS13_S14_SK_SP_EUlS13_E_NS1_11comp_targetILNS1_3genE8ELNS1_11target_archE1030ELNS1_3gpuE2ELNS1_3repE0EEENS1_47radix_sort_onesweep_sort_config_static_selectorELNS0_4arch9wavefront6targetE1EEEvSK_
	.globl	_ZN7rocprim17ROCPRIM_400000_NS6detail17trampoline_kernelINS0_14default_configENS1_35radix_sort_onesweep_config_selectorIyNS0_10empty_typeEEEZZNS1_29radix_sort_onesweep_iterationIS3_Lb0EN6thrust23THRUST_200600_302600_NS6detail15normal_iteratorINS9_10device_ptrIyEEEESE_PS5_SF_jNS0_19identity_decomposerENS1_16block_id_wrapperIjLb1EEEEE10hipError_tT1_PNSt15iterator_traitsISK_E10value_typeET2_T3_PNSL_ISQ_E10value_typeET4_T5_PSV_SW_PNS1_23onesweep_lookback_stateEbbT6_jjT7_P12ihipStream_tbENKUlT_T0_SK_SP_E_clIPySE_SF_SF_EEDaS13_S14_SK_SP_EUlS13_E_NS1_11comp_targetILNS1_3genE8ELNS1_11target_archE1030ELNS1_3gpuE2ELNS1_3repE0EEENS1_47radix_sort_onesweep_sort_config_static_selectorELNS0_4arch9wavefront6targetE1EEEvSK_
	.p2align	8
	.type	_ZN7rocprim17ROCPRIM_400000_NS6detail17trampoline_kernelINS0_14default_configENS1_35radix_sort_onesweep_config_selectorIyNS0_10empty_typeEEEZZNS1_29radix_sort_onesweep_iterationIS3_Lb0EN6thrust23THRUST_200600_302600_NS6detail15normal_iteratorINS9_10device_ptrIyEEEESE_PS5_SF_jNS0_19identity_decomposerENS1_16block_id_wrapperIjLb1EEEEE10hipError_tT1_PNSt15iterator_traitsISK_E10value_typeET2_T3_PNSL_ISQ_E10value_typeET4_T5_PSV_SW_PNS1_23onesweep_lookback_stateEbbT6_jjT7_P12ihipStream_tbENKUlT_T0_SK_SP_E_clIPySE_SF_SF_EEDaS13_S14_SK_SP_EUlS13_E_NS1_11comp_targetILNS1_3genE8ELNS1_11target_archE1030ELNS1_3gpuE2ELNS1_3repE0EEENS1_47radix_sort_onesweep_sort_config_static_selectorELNS0_4arch9wavefront6targetE1EEEvSK_,@function
_ZN7rocprim17ROCPRIM_400000_NS6detail17trampoline_kernelINS0_14default_configENS1_35radix_sort_onesweep_config_selectorIyNS0_10empty_typeEEEZZNS1_29radix_sort_onesweep_iterationIS3_Lb0EN6thrust23THRUST_200600_302600_NS6detail15normal_iteratorINS9_10device_ptrIyEEEESE_PS5_SF_jNS0_19identity_decomposerENS1_16block_id_wrapperIjLb1EEEEE10hipError_tT1_PNSt15iterator_traitsISK_E10value_typeET2_T3_PNSL_ISQ_E10value_typeET4_T5_PSV_SW_PNS1_23onesweep_lookback_stateEbbT6_jjT7_P12ihipStream_tbENKUlT_T0_SK_SP_E_clIPySE_SF_SF_EEDaS13_S14_SK_SP_EUlS13_E_NS1_11comp_targetILNS1_3genE8ELNS1_11target_archE1030ELNS1_3gpuE2ELNS1_3repE0EEENS1_47radix_sort_onesweep_sort_config_static_selectorELNS0_4arch9wavefront6targetE1EEEvSK_: ; @_ZN7rocprim17ROCPRIM_400000_NS6detail17trampoline_kernelINS0_14default_configENS1_35radix_sort_onesweep_config_selectorIyNS0_10empty_typeEEEZZNS1_29radix_sort_onesweep_iterationIS3_Lb0EN6thrust23THRUST_200600_302600_NS6detail15normal_iteratorINS9_10device_ptrIyEEEESE_PS5_SF_jNS0_19identity_decomposerENS1_16block_id_wrapperIjLb1EEEEE10hipError_tT1_PNSt15iterator_traitsISK_E10value_typeET2_T3_PNSL_ISQ_E10value_typeET4_T5_PSV_SW_PNS1_23onesweep_lookback_stateEbbT6_jjT7_P12ihipStream_tbENKUlT_T0_SK_SP_E_clIPySE_SF_SF_EEDaS13_S14_SK_SP_EUlS13_E_NS1_11comp_targetILNS1_3genE8ELNS1_11target_archE1030ELNS1_3gpuE2ELNS1_3repE0EEENS1_47radix_sort_onesweep_sort_config_static_selectorELNS0_4arch9wavefront6targetE1EEEvSK_
; %bb.0:
	.section	.rodata,"a",@progbits
	.p2align	6, 0x0
	.amdhsa_kernel _ZN7rocprim17ROCPRIM_400000_NS6detail17trampoline_kernelINS0_14default_configENS1_35radix_sort_onesweep_config_selectorIyNS0_10empty_typeEEEZZNS1_29radix_sort_onesweep_iterationIS3_Lb0EN6thrust23THRUST_200600_302600_NS6detail15normal_iteratorINS9_10device_ptrIyEEEESE_PS5_SF_jNS0_19identity_decomposerENS1_16block_id_wrapperIjLb1EEEEE10hipError_tT1_PNSt15iterator_traitsISK_E10value_typeET2_T3_PNSL_ISQ_E10value_typeET4_T5_PSV_SW_PNS1_23onesweep_lookback_stateEbbT6_jjT7_P12ihipStream_tbENKUlT_T0_SK_SP_E_clIPySE_SF_SF_EEDaS13_S14_SK_SP_EUlS13_E_NS1_11comp_targetILNS1_3genE8ELNS1_11target_archE1030ELNS1_3gpuE2ELNS1_3repE0EEENS1_47radix_sort_onesweep_sort_config_static_selectorELNS0_4arch9wavefront6targetE1EEEvSK_
		.amdhsa_group_segment_fixed_size 0
		.amdhsa_private_segment_fixed_size 0
		.amdhsa_kernarg_size 88
		.amdhsa_user_sgpr_count 6
		.amdhsa_user_sgpr_private_segment_buffer 1
		.amdhsa_user_sgpr_dispatch_ptr 0
		.amdhsa_user_sgpr_queue_ptr 0
		.amdhsa_user_sgpr_kernarg_segment_ptr 1
		.amdhsa_user_sgpr_dispatch_id 0
		.amdhsa_user_sgpr_flat_scratch_init 0
		.amdhsa_user_sgpr_kernarg_preload_length 0
		.amdhsa_user_sgpr_kernarg_preload_offset 0
		.amdhsa_user_sgpr_private_segment_size 0
		.amdhsa_uses_dynamic_stack 0
		.amdhsa_system_sgpr_private_segment_wavefront_offset 0
		.amdhsa_system_sgpr_workgroup_id_x 1
		.amdhsa_system_sgpr_workgroup_id_y 0
		.amdhsa_system_sgpr_workgroup_id_z 0
		.amdhsa_system_sgpr_workgroup_info 0
		.amdhsa_system_vgpr_workitem_id 0
		.amdhsa_next_free_vgpr 1
		.amdhsa_next_free_sgpr 0
		.amdhsa_accum_offset 4
		.amdhsa_reserve_vcc 0
		.amdhsa_reserve_flat_scratch 0
		.amdhsa_float_round_mode_32 0
		.amdhsa_float_round_mode_16_64 0
		.amdhsa_float_denorm_mode_32 3
		.amdhsa_float_denorm_mode_16_64 3
		.amdhsa_dx10_clamp 1
		.amdhsa_ieee_mode 1
		.amdhsa_fp16_overflow 0
		.amdhsa_tg_split 0
		.amdhsa_exception_fp_ieee_invalid_op 0
		.amdhsa_exception_fp_denorm_src 0
		.amdhsa_exception_fp_ieee_div_zero 0
		.amdhsa_exception_fp_ieee_overflow 0
		.amdhsa_exception_fp_ieee_underflow 0
		.amdhsa_exception_fp_ieee_inexact 0
		.amdhsa_exception_int_div_zero 0
	.end_amdhsa_kernel
	.section	.text._ZN7rocprim17ROCPRIM_400000_NS6detail17trampoline_kernelINS0_14default_configENS1_35radix_sort_onesweep_config_selectorIyNS0_10empty_typeEEEZZNS1_29radix_sort_onesweep_iterationIS3_Lb0EN6thrust23THRUST_200600_302600_NS6detail15normal_iteratorINS9_10device_ptrIyEEEESE_PS5_SF_jNS0_19identity_decomposerENS1_16block_id_wrapperIjLb1EEEEE10hipError_tT1_PNSt15iterator_traitsISK_E10value_typeET2_T3_PNSL_ISQ_E10value_typeET4_T5_PSV_SW_PNS1_23onesweep_lookback_stateEbbT6_jjT7_P12ihipStream_tbENKUlT_T0_SK_SP_E_clIPySE_SF_SF_EEDaS13_S14_SK_SP_EUlS13_E_NS1_11comp_targetILNS1_3genE8ELNS1_11target_archE1030ELNS1_3gpuE2ELNS1_3repE0EEENS1_47radix_sort_onesweep_sort_config_static_selectorELNS0_4arch9wavefront6targetE1EEEvSK_,"axG",@progbits,_ZN7rocprim17ROCPRIM_400000_NS6detail17trampoline_kernelINS0_14default_configENS1_35radix_sort_onesweep_config_selectorIyNS0_10empty_typeEEEZZNS1_29radix_sort_onesweep_iterationIS3_Lb0EN6thrust23THRUST_200600_302600_NS6detail15normal_iteratorINS9_10device_ptrIyEEEESE_PS5_SF_jNS0_19identity_decomposerENS1_16block_id_wrapperIjLb1EEEEE10hipError_tT1_PNSt15iterator_traitsISK_E10value_typeET2_T3_PNSL_ISQ_E10value_typeET4_T5_PSV_SW_PNS1_23onesweep_lookback_stateEbbT6_jjT7_P12ihipStream_tbENKUlT_T0_SK_SP_E_clIPySE_SF_SF_EEDaS13_S14_SK_SP_EUlS13_E_NS1_11comp_targetILNS1_3genE8ELNS1_11target_archE1030ELNS1_3gpuE2ELNS1_3repE0EEENS1_47radix_sort_onesweep_sort_config_static_selectorELNS0_4arch9wavefront6targetE1EEEvSK_,comdat
.Lfunc_end890:
	.size	_ZN7rocprim17ROCPRIM_400000_NS6detail17trampoline_kernelINS0_14default_configENS1_35radix_sort_onesweep_config_selectorIyNS0_10empty_typeEEEZZNS1_29radix_sort_onesweep_iterationIS3_Lb0EN6thrust23THRUST_200600_302600_NS6detail15normal_iteratorINS9_10device_ptrIyEEEESE_PS5_SF_jNS0_19identity_decomposerENS1_16block_id_wrapperIjLb1EEEEE10hipError_tT1_PNSt15iterator_traitsISK_E10value_typeET2_T3_PNSL_ISQ_E10value_typeET4_T5_PSV_SW_PNS1_23onesweep_lookback_stateEbbT6_jjT7_P12ihipStream_tbENKUlT_T0_SK_SP_E_clIPySE_SF_SF_EEDaS13_S14_SK_SP_EUlS13_E_NS1_11comp_targetILNS1_3genE8ELNS1_11target_archE1030ELNS1_3gpuE2ELNS1_3repE0EEENS1_47radix_sort_onesweep_sort_config_static_selectorELNS0_4arch9wavefront6targetE1EEEvSK_, .Lfunc_end890-_ZN7rocprim17ROCPRIM_400000_NS6detail17trampoline_kernelINS0_14default_configENS1_35radix_sort_onesweep_config_selectorIyNS0_10empty_typeEEEZZNS1_29radix_sort_onesweep_iterationIS3_Lb0EN6thrust23THRUST_200600_302600_NS6detail15normal_iteratorINS9_10device_ptrIyEEEESE_PS5_SF_jNS0_19identity_decomposerENS1_16block_id_wrapperIjLb1EEEEE10hipError_tT1_PNSt15iterator_traitsISK_E10value_typeET2_T3_PNSL_ISQ_E10value_typeET4_T5_PSV_SW_PNS1_23onesweep_lookback_stateEbbT6_jjT7_P12ihipStream_tbENKUlT_T0_SK_SP_E_clIPySE_SF_SF_EEDaS13_S14_SK_SP_EUlS13_E_NS1_11comp_targetILNS1_3genE8ELNS1_11target_archE1030ELNS1_3gpuE2ELNS1_3repE0EEENS1_47radix_sort_onesweep_sort_config_static_selectorELNS0_4arch9wavefront6targetE1EEEvSK_
                                        ; -- End function
	.section	.AMDGPU.csdata,"",@progbits
; Kernel info:
; codeLenInByte = 0
; NumSgprs: 4
; NumVgprs: 0
; NumAgprs: 0
; TotalNumVgprs: 0
; ScratchSize: 0
; MemoryBound: 0
; FloatMode: 240
; IeeeMode: 1
; LDSByteSize: 0 bytes/workgroup (compile time only)
; SGPRBlocks: 0
; VGPRBlocks: 0
; NumSGPRsForWavesPerEU: 4
; NumVGPRsForWavesPerEU: 1
; AccumOffset: 4
; Occupancy: 8
; WaveLimiterHint : 0
; COMPUTE_PGM_RSRC2:SCRATCH_EN: 0
; COMPUTE_PGM_RSRC2:USER_SGPR: 6
; COMPUTE_PGM_RSRC2:TRAP_HANDLER: 0
; COMPUTE_PGM_RSRC2:TGID_X_EN: 1
; COMPUTE_PGM_RSRC2:TGID_Y_EN: 0
; COMPUTE_PGM_RSRC2:TGID_Z_EN: 0
; COMPUTE_PGM_RSRC2:TIDIG_COMP_CNT: 0
; COMPUTE_PGM_RSRC3_GFX90A:ACCUM_OFFSET: 0
; COMPUTE_PGM_RSRC3_GFX90A:TG_SPLIT: 0
	.section	.text._ZN7rocprim17ROCPRIM_400000_NS6detail17trampoline_kernelINS0_14default_configENS1_35radix_sort_onesweep_config_selectorIyNS0_10empty_typeEEEZZNS1_29radix_sort_onesweep_iterationIS3_Lb0EN6thrust23THRUST_200600_302600_NS6detail15normal_iteratorINS9_10device_ptrIyEEEESE_PS5_SF_jNS0_19identity_decomposerENS1_16block_id_wrapperIjLb0EEEEE10hipError_tT1_PNSt15iterator_traitsISK_E10value_typeET2_T3_PNSL_ISQ_E10value_typeET4_T5_PSV_SW_PNS1_23onesweep_lookback_stateEbbT6_jjT7_P12ihipStream_tbENKUlT_T0_SK_SP_E_clISE_SE_SF_SF_EEDaS13_S14_SK_SP_EUlS13_E_NS1_11comp_targetILNS1_3genE0ELNS1_11target_archE4294967295ELNS1_3gpuE0ELNS1_3repE0EEENS1_47radix_sort_onesweep_sort_config_static_selectorELNS0_4arch9wavefront6targetE1EEEvSK_,"axG",@progbits,_ZN7rocprim17ROCPRIM_400000_NS6detail17trampoline_kernelINS0_14default_configENS1_35radix_sort_onesweep_config_selectorIyNS0_10empty_typeEEEZZNS1_29radix_sort_onesweep_iterationIS3_Lb0EN6thrust23THRUST_200600_302600_NS6detail15normal_iteratorINS9_10device_ptrIyEEEESE_PS5_SF_jNS0_19identity_decomposerENS1_16block_id_wrapperIjLb0EEEEE10hipError_tT1_PNSt15iterator_traitsISK_E10value_typeET2_T3_PNSL_ISQ_E10value_typeET4_T5_PSV_SW_PNS1_23onesweep_lookback_stateEbbT6_jjT7_P12ihipStream_tbENKUlT_T0_SK_SP_E_clISE_SE_SF_SF_EEDaS13_S14_SK_SP_EUlS13_E_NS1_11comp_targetILNS1_3genE0ELNS1_11target_archE4294967295ELNS1_3gpuE0ELNS1_3repE0EEENS1_47radix_sort_onesweep_sort_config_static_selectorELNS0_4arch9wavefront6targetE1EEEvSK_,comdat
	.protected	_ZN7rocprim17ROCPRIM_400000_NS6detail17trampoline_kernelINS0_14default_configENS1_35radix_sort_onesweep_config_selectorIyNS0_10empty_typeEEEZZNS1_29radix_sort_onesweep_iterationIS3_Lb0EN6thrust23THRUST_200600_302600_NS6detail15normal_iteratorINS9_10device_ptrIyEEEESE_PS5_SF_jNS0_19identity_decomposerENS1_16block_id_wrapperIjLb0EEEEE10hipError_tT1_PNSt15iterator_traitsISK_E10value_typeET2_T3_PNSL_ISQ_E10value_typeET4_T5_PSV_SW_PNS1_23onesweep_lookback_stateEbbT6_jjT7_P12ihipStream_tbENKUlT_T0_SK_SP_E_clISE_SE_SF_SF_EEDaS13_S14_SK_SP_EUlS13_E_NS1_11comp_targetILNS1_3genE0ELNS1_11target_archE4294967295ELNS1_3gpuE0ELNS1_3repE0EEENS1_47radix_sort_onesweep_sort_config_static_selectorELNS0_4arch9wavefront6targetE1EEEvSK_ ; -- Begin function _ZN7rocprim17ROCPRIM_400000_NS6detail17trampoline_kernelINS0_14default_configENS1_35radix_sort_onesweep_config_selectorIyNS0_10empty_typeEEEZZNS1_29radix_sort_onesweep_iterationIS3_Lb0EN6thrust23THRUST_200600_302600_NS6detail15normal_iteratorINS9_10device_ptrIyEEEESE_PS5_SF_jNS0_19identity_decomposerENS1_16block_id_wrapperIjLb0EEEEE10hipError_tT1_PNSt15iterator_traitsISK_E10value_typeET2_T3_PNSL_ISQ_E10value_typeET4_T5_PSV_SW_PNS1_23onesweep_lookback_stateEbbT6_jjT7_P12ihipStream_tbENKUlT_T0_SK_SP_E_clISE_SE_SF_SF_EEDaS13_S14_SK_SP_EUlS13_E_NS1_11comp_targetILNS1_3genE0ELNS1_11target_archE4294967295ELNS1_3gpuE0ELNS1_3repE0EEENS1_47radix_sort_onesweep_sort_config_static_selectorELNS0_4arch9wavefront6targetE1EEEvSK_
	.globl	_ZN7rocprim17ROCPRIM_400000_NS6detail17trampoline_kernelINS0_14default_configENS1_35radix_sort_onesweep_config_selectorIyNS0_10empty_typeEEEZZNS1_29radix_sort_onesweep_iterationIS3_Lb0EN6thrust23THRUST_200600_302600_NS6detail15normal_iteratorINS9_10device_ptrIyEEEESE_PS5_SF_jNS0_19identity_decomposerENS1_16block_id_wrapperIjLb0EEEEE10hipError_tT1_PNSt15iterator_traitsISK_E10value_typeET2_T3_PNSL_ISQ_E10value_typeET4_T5_PSV_SW_PNS1_23onesweep_lookback_stateEbbT6_jjT7_P12ihipStream_tbENKUlT_T0_SK_SP_E_clISE_SE_SF_SF_EEDaS13_S14_SK_SP_EUlS13_E_NS1_11comp_targetILNS1_3genE0ELNS1_11target_archE4294967295ELNS1_3gpuE0ELNS1_3repE0EEENS1_47radix_sort_onesweep_sort_config_static_selectorELNS0_4arch9wavefront6targetE1EEEvSK_
	.p2align	8
	.type	_ZN7rocprim17ROCPRIM_400000_NS6detail17trampoline_kernelINS0_14default_configENS1_35radix_sort_onesweep_config_selectorIyNS0_10empty_typeEEEZZNS1_29radix_sort_onesweep_iterationIS3_Lb0EN6thrust23THRUST_200600_302600_NS6detail15normal_iteratorINS9_10device_ptrIyEEEESE_PS5_SF_jNS0_19identity_decomposerENS1_16block_id_wrapperIjLb0EEEEE10hipError_tT1_PNSt15iterator_traitsISK_E10value_typeET2_T3_PNSL_ISQ_E10value_typeET4_T5_PSV_SW_PNS1_23onesweep_lookback_stateEbbT6_jjT7_P12ihipStream_tbENKUlT_T0_SK_SP_E_clISE_SE_SF_SF_EEDaS13_S14_SK_SP_EUlS13_E_NS1_11comp_targetILNS1_3genE0ELNS1_11target_archE4294967295ELNS1_3gpuE0ELNS1_3repE0EEENS1_47radix_sort_onesweep_sort_config_static_selectorELNS0_4arch9wavefront6targetE1EEEvSK_,@function
_ZN7rocprim17ROCPRIM_400000_NS6detail17trampoline_kernelINS0_14default_configENS1_35radix_sort_onesweep_config_selectorIyNS0_10empty_typeEEEZZNS1_29radix_sort_onesweep_iterationIS3_Lb0EN6thrust23THRUST_200600_302600_NS6detail15normal_iteratorINS9_10device_ptrIyEEEESE_PS5_SF_jNS0_19identity_decomposerENS1_16block_id_wrapperIjLb0EEEEE10hipError_tT1_PNSt15iterator_traitsISK_E10value_typeET2_T3_PNSL_ISQ_E10value_typeET4_T5_PSV_SW_PNS1_23onesweep_lookback_stateEbbT6_jjT7_P12ihipStream_tbENKUlT_T0_SK_SP_E_clISE_SE_SF_SF_EEDaS13_S14_SK_SP_EUlS13_E_NS1_11comp_targetILNS1_3genE0ELNS1_11target_archE4294967295ELNS1_3gpuE0ELNS1_3repE0EEENS1_47radix_sort_onesweep_sort_config_static_selectorELNS0_4arch9wavefront6targetE1EEEvSK_: ; @_ZN7rocprim17ROCPRIM_400000_NS6detail17trampoline_kernelINS0_14default_configENS1_35radix_sort_onesweep_config_selectorIyNS0_10empty_typeEEEZZNS1_29radix_sort_onesweep_iterationIS3_Lb0EN6thrust23THRUST_200600_302600_NS6detail15normal_iteratorINS9_10device_ptrIyEEEESE_PS5_SF_jNS0_19identity_decomposerENS1_16block_id_wrapperIjLb0EEEEE10hipError_tT1_PNSt15iterator_traitsISK_E10value_typeET2_T3_PNSL_ISQ_E10value_typeET4_T5_PSV_SW_PNS1_23onesweep_lookback_stateEbbT6_jjT7_P12ihipStream_tbENKUlT_T0_SK_SP_E_clISE_SE_SF_SF_EEDaS13_S14_SK_SP_EUlS13_E_NS1_11comp_targetILNS1_3genE0ELNS1_11target_archE4294967295ELNS1_3gpuE0ELNS1_3repE0EEENS1_47radix_sort_onesweep_sort_config_static_selectorELNS0_4arch9wavefront6targetE1EEEvSK_
; %bb.0:
	.section	.rodata,"a",@progbits
	.p2align	6, 0x0
	.amdhsa_kernel _ZN7rocprim17ROCPRIM_400000_NS6detail17trampoline_kernelINS0_14default_configENS1_35radix_sort_onesweep_config_selectorIyNS0_10empty_typeEEEZZNS1_29radix_sort_onesweep_iterationIS3_Lb0EN6thrust23THRUST_200600_302600_NS6detail15normal_iteratorINS9_10device_ptrIyEEEESE_PS5_SF_jNS0_19identity_decomposerENS1_16block_id_wrapperIjLb0EEEEE10hipError_tT1_PNSt15iterator_traitsISK_E10value_typeET2_T3_PNSL_ISQ_E10value_typeET4_T5_PSV_SW_PNS1_23onesweep_lookback_stateEbbT6_jjT7_P12ihipStream_tbENKUlT_T0_SK_SP_E_clISE_SE_SF_SF_EEDaS13_S14_SK_SP_EUlS13_E_NS1_11comp_targetILNS1_3genE0ELNS1_11target_archE4294967295ELNS1_3gpuE0ELNS1_3repE0EEENS1_47radix_sort_onesweep_sort_config_static_selectorELNS0_4arch9wavefront6targetE1EEEvSK_
		.amdhsa_group_segment_fixed_size 0
		.amdhsa_private_segment_fixed_size 0
		.amdhsa_kernarg_size 88
		.amdhsa_user_sgpr_count 6
		.amdhsa_user_sgpr_private_segment_buffer 1
		.amdhsa_user_sgpr_dispatch_ptr 0
		.amdhsa_user_sgpr_queue_ptr 0
		.amdhsa_user_sgpr_kernarg_segment_ptr 1
		.amdhsa_user_sgpr_dispatch_id 0
		.amdhsa_user_sgpr_flat_scratch_init 0
		.amdhsa_user_sgpr_kernarg_preload_length 0
		.amdhsa_user_sgpr_kernarg_preload_offset 0
		.amdhsa_user_sgpr_private_segment_size 0
		.amdhsa_uses_dynamic_stack 0
		.amdhsa_system_sgpr_private_segment_wavefront_offset 0
		.amdhsa_system_sgpr_workgroup_id_x 1
		.amdhsa_system_sgpr_workgroup_id_y 0
		.amdhsa_system_sgpr_workgroup_id_z 0
		.amdhsa_system_sgpr_workgroup_info 0
		.amdhsa_system_vgpr_workitem_id 0
		.amdhsa_next_free_vgpr 1
		.amdhsa_next_free_sgpr 0
		.amdhsa_accum_offset 4
		.amdhsa_reserve_vcc 0
		.amdhsa_reserve_flat_scratch 0
		.amdhsa_float_round_mode_32 0
		.amdhsa_float_round_mode_16_64 0
		.amdhsa_float_denorm_mode_32 3
		.amdhsa_float_denorm_mode_16_64 3
		.amdhsa_dx10_clamp 1
		.amdhsa_ieee_mode 1
		.amdhsa_fp16_overflow 0
		.amdhsa_tg_split 0
		.amdhsa_exception_fp_ieee_invalid_op 0
		.amdhsa_exception_fp_denorm_src 0
		.amdhsa_exception_fp_ieee_div_zero 0
		.amdhsa_exception_fp_ieee_overflow 0
		.amdhsa_exception_fp_ieee_underflow 0
		.amdhsa_exception_fp_ieee_inexact 0
		.amdhsa_exception_int_div_zero 0
	.end_amdhsa_kernel
	.section	.text._ZN7rocprim17ROCPRIM_400000_NS6detail17trampoline_kernelINS0_14default_configENS1_35radix_sort_onesweep_config_selectorIyNS0_10empty_typeEEEZZNS1_29radix_sort_onesweep_iterationIS3_Lb0EN6thrust23THRUST_200600_302600_NS6detail15normal_iteratorINS9_10device_ptrIyEEEESE_PS5_SF_jNS0_19identity_decomposerENS1_16block_id_wrapperIjLb0EEEEE10hipError_tT1_PNSt15iterator_traitsISK_E10value_typeET2_T3_PNSL_ISQ_E10value_typeET4_T5_PSV_SW_PNS1_23onesweep_lookback_stateEbbT6_jjT7_P12ihipStream_tbENKUlT_T0_SK_SP_E_clISE_SE_SF_SF_EEDaS13_S14_SK_SP_EUlS13_E_NS1_11comp_targetILNS1_3genE0ELNS1_11target_archE4294967295ELNS1_3gpuE0ELNS1_3repE0EEENS1_47radix_sort_onesweep_sort_config_static_selectorELNS0_4arch9wavefront6targetE1EEEvSK_,"axG",@progbits,_ZN7rocprim17ROCPRIM_400000_NS6detail17trampoline_kernelINS0_14default_configENS1_35radix_sort_onesweep_config_selectorIyNS0_10empty_typeEEEZZNS1_29radix_sort_onesweep_iterationIS3_Lb0EN6thrust23THRUST_200600_302600_NS6detail15normal_iteratorINS9_10device_ptrIyEEEESE_PS5_SF_jNS0_19identity_decomposerENS1_16block_id_wrapperIjLb0EEEEE10hipError_tT1_PNSt15iterator_traitsISK_E10value_typeET2_T3_PNSL_ISQ_E10value_typeET4_T5_PSV_SW_PNS1_23onesweep_lookback_stateEbbT6_jjT7_P12ihipStream_tbENKUlT_T0_SK_SP_E_clISE_SE_SF_SF_EEDaS13_S14_SK_SP_EUlS13_E_NS1_11comp_targetILNS1_3genE0ELNS1_11target_archE4294967295ELNS1_3gpuE0ELNS1_3repE0EEENS1_47radix_sort_onesweep_sort_config_static_selectorELNS0_4arch9wavefront6targetE1EEEvSK_,comdat
.Lfunc_end891:
	.size	_ZN7rocprim17ROCPRIM_400000_NS6detail17trampoline_kernelINS0_14default_configENS1_35radix_sort_onesweep_config_selectorIyNS0_10empty_typeEEEZZNS1_29radix_sort_onesweep_iterationIS3_Lb0EN6thrust23THRUST_200600_302600_NS6detail15normal_iteratorINS9_10device_ptrIyEEEESE_PS5_SF_jNS0_19identity_decomposerENS1_16block_id_wrapperIjLb0EEEEE10hipError_tT1_PNSt15iterator_traitsISK_E10value_typeET2_T3_PNSL_ISQ_E10value_typeET4_T5_PSV_SW_PNS1_23onesweep_lookback_stateEbbT6_jjT7_P12ihipStream_tbENKUlT_T0_SK_SP_E_clISE_SE_SF_SF_EEDaS13_S14_SK_SP_EUlS13_E_NS1_11comp_targetILNS1_3genE0ELNS1_11target_archE4294967295ELNS1_3gpuE0ELNS1_3repE0EEENS1_47radix_sort_onesweep_sort_config_static_selectorELNS0_4arch9wavefront6targetE1EEEvSK_, .Lfunc_end891-_ZN7rocprim17ROCPRIM_400000_NS6detail17trampoline_kernelINS0_14default_configENS1_35radix_sort_onesweep_config_selectorIyNS0_10empty_typeEEEZZNS1_29radix_sort_onesweep_iterationIS3_Lb0EN6thrust23THRUST_200600_302600_NS6detail15normal_iteratorINS9_10device_ptrIyEEEESE_PS5_SF_jNS0_19identity_decomposerENS1_16block_id_wrapperIjLb0EEEEE10hipError_tT1_PNSt15iterator_traitsISK_E10value_typeET2_T3_PNSL_ISQ_E10value_typeET4_T5_PSV_SW_PNS1_23onesweep_lookback_stateEbbT6_jjT7_P12ihipStream_tbENKUlT_T0_SK_SP_E_clISE_SE_SF_SF_EEDaS13_S14_SK_SP_EUlS13_E_NS1_11comp_targetILNS1_3genE0ELNS1_11target_archE4294967295ELNS1_3gpuE0ELNS1_3repE0EEENS1_47radix_sort_onesweep_sort_config_static_selectorELNS0_4arch9wavefront6targetE1EEEvSK_
                                        ; -- End function
	.section	.AMDGPU.csdata,"",@progbits
; Kernel info:
; codeLenInByte = 0
; NumSgprs: 4
; NumVgprs: 0
; NumAgprs: 0
; TotalNumVgprs: 0
; ScratchSize: 0
; MemoryBound: 0
; FloatMode: 240
; IeeeMode: 1
; LDSByteSize: 0 bytes/workgroup (compile time only)
; SGPRBlocks: 0
; VGPRBlocks: 0
; NumSGPRsForWavesPerEU: 4
; NumVGPRsForWavesPerEU: 1
; AccumOffset: 4
; Occupancy: 8
; WaveLimiterHint : 0
; COMPUTE_PGM_RSRC2:SCRATCH_EN: 0
; COMPUTE_PGM_RSRC2:USER_SGPR: 6
; COMPUTE_PGM_RSRC2:TRAP_HANDLER: 0
; COMPUTE_PGM_RSRC2:TGID_X_EN: 1
; COMPUTE_PGM_RSRC2:TGID_Y_EN: 0
; COMPUTE_PGM_RSRC2:TGID_Z_EN: 0
; COMPUTE_PGM_RSRC2:TIDIG_COMP_CNT: 0
; COMPUTE_PGM_RSRC3_GFX90A:ACCUM_OFFSET: 0
; COMPUTE_PGM_RSRC3_GFX90A:TG_SPLIT: 0
	.section	.text._ZN7rocprim17ROCPRIM_400000_NS6detail17trampoline_kernelINS0_14default_configENS1_35radix_sort_onesweep_config_selectorIyNS0_10empty_typeEEEZZNS1_29radix_sort_onesweep_iterationIS3_Lb0EN6thrust23THRUST_200600_302600_NS6detail15normal_iteratorINS9_10device_ptrIyEEEESE_PS5_SF_jNS0_19identity_decomposerENS1_16block_id_wrapperIjLb0EEEEE10hipError_tT1_PNSt15iterator_traitsISK_E10value_typeET2_T3_PNSL_ISQ_E10value_typeET4_T5_PSV_SW_PNS1_23onesweep_lookback_stateEbbT6_jjT7_P12ihipStream_tbENKUlT_T0_SK_SP_E_clISE_SE_SF_SF_EEDaS13_S14_SK_SP_EUlS13_E_NS1_11comp_targetILNS1_3genE6ELNS1_11target_archE950ELNS1_3gpuE13ELNS1_3repE0EEENS1_47radix_sort_onesweep_sort_config_static_selectorELNS0_4arch9wavefront6targetE1EEEvSK_,"axG",@progbits,_ZN7rocprim17ROCPRIM_400000_NS6detail17trampoline_kernelINS0_14default_configENS1_35radix_sort_onesweep_config_selectorIyNS0_10empty_typeEEEZZNS1_29radix_sort_onesweep_iterationIS3_Lb0EN6thrust23THRUST_200600_302600_NS6detail15normal_iteratorINS9_10device_ptrIyEEEESE_PS5_SF_jNS0_19identity_decomposerENS1_16block_id_wrapperIjLb0EEEEE10hipError_tT1_PNSt15iterator_traitsISK_E10value_typeET2_T3_PNSL_ISQ_E10value_typeET4_T5_PSV_SW_PNS1_23onesweep_lookback_stateEbbT6_jjT7_P12ihipStream_tbENKUlT_T0_SK_SP_E_clISE_SE_SF_SF_EEDaS13_S14_SK_SP_EUlS13_E_NS1_11comp_targetILNS1_3genE6ELNS1_11target_archE950ELNS1_3gpuE13ELNS1_3repE0EEENS1_47radix_sort_onesweep_sort_config_static_selectorELNS0_4arch9wavefront6targetE1EEEvSK_,comdat
	.protected	_ZN7rocprim17ROCPRIM_400000_NS6detail17trampoline_kernelINS0_14default_configENS1_35radix_sort_onesweep_config_selectorIyNS0_10empty_typeEEEZZNS1_29radix_sort_onesweep_iterationIS3_Lb0EN6thrust23THRUST_200600_302600_NS6detail15normal_iteratorINS9_10device_ptrIyEEEESE_PS5_SF_jNS0_19identity_decomposerENS1_16block_id_wrapperIjLb0EEEEE10hipError_tT1_PNSt15iterator_traitsISK_E10value_typeET2_T3_PNSL_ISQ_E10value_typeET4_T5_PSV_SW_PNS1_23onesweep_lookback_stateEbbT6_jjT7_P12ihipStream_tbENKUlT_T0_SK_SP_E_clISE_SE_SF_SF_EEDaS13_S14_SK_SP_EUlS13_E_NS1_11comp_targetILNS1_3genE6ELNS1_11target_archE950ELNS1_3gpuE13ELNS1_3repE0EEENS1_47radix_sort_onesweep_sort_config_static_selectorELNS0_4arch9wavefront6targetE1EEEvSK_ ; -- Begin function _ZN7rocprim17ROCPRIM_400000_NS6detail17trampoline_kernelINS0_14default_configENS1_35radix_sort_onesweep_config_selectorIyNS0_10empty_typeEEEZZNS1_29radix_sort_onesweep_iterationIS3_Lb0EN6thrust23THRUST_200600_302600_NS6detail15normal_iteratorINS9_10device_ptrIyEEEESE_PS5_SF_jNS0_19identity_decomposerENS1_16block_id_wrapperIjLb0EEEEE10hipError_tT1_PNSt15iterator_traitsISK_E10value_typeET2_T3_PNSL_ISQ_E10value_typeET4_T5_PSV_SW_PNS1_23onesweep_lookback_stateEbbT6_jjT7_P12ihipStream_tbENKUlT_T0_SK_SP_E_clISE_SE_SF_SF_EEDaS13_S14_SK_SP_EUlS13_E_NS1_11comp_targetILNS1_3genE6ELNS1_11target_archE950ELNS1_3gpuE13ELNS1_3repE0EEENS1_47radix_sort_onesweep_sort_config_static_selectorELNS0_4arch9wavefront6targetE1EEEvSK_
	.globl	_ZN7rocprim17ROCPRIM_400000_NS6detail17trampoline_kernelINS0_14default_configENS1_35radix_sort_onesweep_config_selectorIyNS0_10empty_typeEEEZZNS1_29radix_sort_onesweep_iterationIS3_Lb0EN6thrust23THRUST_200600_302600_NS6detail15normal_iteratorINS9_10device_ptrIyEEEESE_PS5_SF_jNS0_19identity_decomposerENS1_16block_id_wrapperIjLb0EEEEE10hipError_tT1_PNSt15iterator_traitsISK_E10value_typeET2_T3_PNSL_ISQ_E10value_typeET4_T5_PSV_SW_PNS1_23onesweep_lookback_stateEbbT6_jjT7_P12ihipStream_tbENKUlT_T0_SK_SP_E_clISE_SE_SF_SF_EEDaS13_S14_SK_SP_EUlS13_E_NS1_11comp_targetILNS1_3genE6ELNS1_11target_archE950ELNS1_3gpuE13ELNS1_3repE0EEENS1_47radix_sort_onesweep_sort_config_static_selectorELNS0_4arch9wavefront6targetE1EEEvSK_
	.p2align	8
	.type	_ZN7rocprim17ROCPRIM_400000_NS6detail17trampoline_kernelINS0_14default_configENS1_35radix_sort_onesweep_config_selectorIyNS0_10empty_typeEEEZZNS1_29radix_sort_onesweep_iterationIS3_Lb0EN6thrust23THRUST_200600_302600_NS6detail15normal_iteratorINS9_10device_ptrIyEEEESE_PS5_SF_jNS0_19identity_decomposerENS1_16block_id_wrapperIjLb0EEEEE10hipError_tT1_PNSt15iterator_traitsISK_E10value_typeET2_T3_PNSL_ISQ_E10value_typeET4_T5_PSV_SW_PNS1_23onesweep_lookback_stateEbbT6_jjT7_P12ihipStream_tbENKUlT_T0_SK_SP_E_clISE_SE_SF_SF_EEDaS13_S14_SK_SP_EUlS13_E_NS1_11comp_targetILNS1_3genE6ELNS1_11target_archE950ELNS1_3gpuE13ELNS1_3repE0EEENS1_47radix_sort_onesweep_sort_config_static_selectorELNS0_4arch9wavefront6targetE1EEEvSK_,@function
_ZN7rocprim17ROCPRIM_400000_NS6detail17trampoline_kernelINS0_14default_configENS1_35radix_sort_onesweep_config_selectorIyNS0_10empty_typeEEEZZNS1_29radix_sort_onesweep_iterationIS3_Lb0EN6thrust23THRUST_200600_302600_NS6detail15normal_iteratorINS9_10device_ptrIyEEEESE_PS5_SF_jNS0_19identity_decomposerENS1_16block_id_wrapperIjLb0EEEEE10hipError_tT1_PNSt15iterator_traitsISK_E10value_typeET2_T3_PNSL_ISQ_E10value_typeET4_T5_PSV_SW_PNS1_23onesweep_lookback_stateEbbT6_jjT7_P12ihipStream_tbENKUlT_T0_SK_SP_E_clISE_SE_SF_SF_EEDaS13_S14_SK_SP_EUlS13_E_NS1_11comp_targetILNS1_3genE6ELNS1_11target_archE950ELNS1_3gpuE13ELNS1_3repE0EEENS1_47radix_sort_onesweep_sort_config_static_selectorELNS0_4arch9wavefront6targetE1EEEvSK_: ; @_ZN7rocprim17ROCPRIM_400000_NS6detail17trampoline_kernelINS0_14default_configENS1_35radix_sort_onesweep_config_selectorIyNS0_10empty_typeEEEZZNS1_29radix_sort_onesweep_iterationIS3_Lb0EN6thrust23THRUST_200600_302600_NS6detail15normal_iteratorINS9_10device_ptrIyEEEESE_PS5_SF_jNS0_19identity_decomposerENS1_16block_id_wrapperIjLb0EEEEE10hipError_tT1_PNSt15iterator_traitsISK_E10value_typeET2_T3_PNSL_ISQ_E10value_typeET4_T5_PSV_SW_PNS1_23onesweep_lookback_stateEbbT6_jjT7_P12ihipStream_tbENKUlT_T0_SK_SP_E_clISE_SE_SF_SF_EEDaS13_S14_SK_SP_EUlS13_E_NS1_11comp_targetILNS1_3genE6ELNS1_11target_archE950ELNS1_3gpuE13ELNS1_3repE0EEENS1_47radix_sort_onesweep_sort_config_static_selectorELNS0_4arch9wavefront6targetE1EEEvSK_
; %bb.0:
	.section	.rodata,"a",@progbits
	.p2align	6, 0x0
	.amdhsa_kernel _ZN7rocprim17ROCPRIM_400000_NS6detail17trampoline_kernelINS0_14default_configENS1_35radix_sort_onesweep_config_selectorIyNS0_10empty_typeEEEZZNS1_29radix_sort_onesweep_iterationIS3_Lb0EN6thrust23THRUST_200600_302600_NS6detail15normal_iteratorINS9_10device_ptrIyEEEESE_PS5_SF_jNS0_19identity_decomposerENS1_16block_id_wrapperIjLb0EEEEE10hipError_tT1_PNSt15iterator_traitsISK_E10value_typeET2_T3_PNSL_ISQ_E10value_typeET4_T5_PSV_SW_PNS1_23onesweep_lookback_stateEbbT6_jjT7_P12ihipStream_tbENKUlT_T0_SK_SP_E_clISE_SE_SF_SF_EEDaS13_S14_SK_SP_EUlS13_E_NS1_11comp_targetILNS1_3genE6ELNS1_11target_archE950ELNS1_3gpuE13ELNS1_3repE0EEENS1_47radix_sort_onesweep_sort_config_static_selectorELNS0_4arch9wavefront6targetE1EEEvSK_
		.amdhsa_group_segment_fixed_size 0
		.amdhsa_private_segment_fixed_size 0
		.amdhsa_kernarg_size 88
		.amdhsa_user_sgpr_count 6
		.amdhsa_user_sgpr_private_segment_buffer 1
		.amdhsa_user_sgpr_dispatch_ptr 0
		.amdhsa_user_sgpr_queue_ptr 0
		.amdhsa_user_sgpr_kernarg_segment_ptr 1
		.amdhsa_user_sgpr_dispatch_id 0
		.amdhsa_user_sgpr_flat_scratch_init 0
		.amdhsa_user_sgpr_kernarg_preload_length 0
		.amdhsa_user_sgpr_kernarg_preload_offset 0
		.amdhsa_user_sgpr_private_segment_size 0
		.amdhsa_uses_dynamic_stack 0
		.amdhsa_system_sgpr_private_segment_wavefront_offset 0
		.amdhsa_system_sgpr_workgroup_id_x 1
		.amdhsa_system_sgpr_workgroup_id_y 0
		.amdhsa_system_sgpr_workgroup_id_z 0
		.amdhsa_system_sgpr_workgroup_info 0
		.amdhsa_system_vgpr_workitem_id 0
		.amdhsa_next_free_vgpr 1
		.amdhsa_next_free_sgpr 0
		.amdhsa_accum_offset 4
		.amdhsa_reserve_vcc 0
		.amdhsa_reserve_flat_scratch 0
		.amdhsa_float_round_mode_32 0
		.amdhsa_float_round_mode_16_64 0
		.amdhsa_float_denorm_mode_32 3
		.amdhsa_float_denorm_mode_16_64 3
		.amdhsa_dx10_clamp 1
		.amdhsa_ieee_mode 1
		.amdhsa_fp16_overflow 0
		.amdhsa_tg_split 0
		.amdhsa_exception_fp_ieee_invalid_op 0
		.amdhsa_exception_fp_denorm_src 0
		.amdhsa_exception_fp_ieee_div_zero 0
		.amdhsa_exception_fp_ieee_overflow 0
		.amdhsa_exception_fp_ieee_underflow 0
		.amdhsa_exception_fp_ieee_inexact 0
		.amdhsa_exception_int_div_zero 0
	.end_amdhsa_kernel
	.section	.text._ZN7rocprim17ROCPRIM_400000_NS6detail17trampoline_kernelINS0_14default_configENS1_35radix_sort_onesweep_config_selectorIyNS0_10empty_typeEEEZZNS1_29radix_sort_onesweep_iterationIS3_Lb0EN6thrust23THRUST_200600_302600_NS6detail15normal_iteratorINS9_10device_ptrIyEEEESE_PS5_SF_jNS0_19identity_decomposerENS1_16block_id_wrapperIjLb0EEEEE10hipError_tT1_PNSt15iterator_traitsISK_E10value_typeET2_T3_PNSL_ISQ_E10value_typeET4_T5_PSV_SW_PNS1_23onesweep_lookback_stateEbbT6_jjT7_P12ihipStream_tbENKUlT_T0_SK_SP_E_clISE_SE_SF_SF_EEDaS13_S14_SK_SP_EUlS13_E_NS1_11comp_targetILNS1_3genE6ELNS1_11target_archE950ELNS1_3gpuE13ELNS1_3repE0EEENS1_47radix_sort_onesweep_sort_config_static_selectorELNS0_4arch9wavefront6targetE1EEEvSK_,"axG",@progbits,_ZN7rocprim17ROCPRIM_400000_NS6detail17trampoline_kernelINS0_14default_configENS1_35radix_sort_onesweep_config_selectorIyNS0_10empty_typeEEEZZNS1_29radix_sort_onesweep_iterationIS3_Lb0EN6thrust23THRUST_200600_302600_NS6detail15normal_iteratorINS9_10device_ptrIyEEEESE_PS5_SF_jNS0_19identity_decomposerENS1_16block_id_wrapperIjLb0EEEEE10hipError_tT1_PNSt15iterator_traitsISK_E10value_typeET2_T3_PNSL_ISQ_E10value_typeET4_T5_PSV_SW_PNS1_23onesweep_lookback_stateEbbT6_jjT7_P12ihipStream_tbENKUlT_T0_SK_SP_E_clISE_SE_SF_SF_EEDaS13_S14_SK_SP_EUlS13_E_NS1_11comp_targetILNS1_3genE6ELNS1_11target_archE950ELNS1_3gpuE13ELNS1_3repE0EEENS1_47radix_sort_onesweep_sort_config_static_selectorELNS0_4arch9wavefront6targetE1EEEvSK_,comdat
.Lfunc_end892:
	.size	_ZN7rocprim17ROCPRIM_400000_NS6detail17trampoline_kernelINS0_14default_configENS1_35radix_sort_onesweep_config_selectorIyNS0_10empty_typeEEEZZNS1_29radix_sort_onesweep_iterationIS3_Lb0EN6thrust23THRUST_200600_302600_NS6detail15normal_iteratorINS9_10device_ptrIyEEEESE_PS5_SF_jNS0_19identity_decomposerENS1_16block_id_wrapperIjLb0EEEEE10hipError_tT1_PNSt15iterator_traitsISK_E10value_typeET2_T3_PNSL_ISQ_E10value_typeET4_T5_PSV_SW_PNS1_23onesweep_lookback_stateEbbT6_jjT7_P12ihipStream_tbENKUlT_T0_SK_SP_E_clISE_SE_SF_SF_EEDaS13_S14_SK_SP_EUlS13_E_NS1_11comp_targetILNS1_3genE6ELNS1_11target_archE950ELNS1_3gpuE13ELNS1_3repE0EEENS1_47radix_sort_onesweep_sort_config_static_selectorELNS0_4arch9wavefront6targetE1EEEvSK_, .Lfunc_end892-_ZN7rocprim17ROCPRIM_400000_NS6detail17trampoline_kernelINS0_14default_configENS1_35radix_sort_onesweep_config_selectorIyNS0_10empty_typeEEEZZNS1_29radix_sort_onesweep_iterationIS3_Lb0EN6thrust23THRUST_200600_302600_NS6detail15normal_iteratorINS9_10device_ptrIyEEEESE_PS5_SF_jNS0_19identity_decomposerENS1_16block_id_wrapperIjLb0EEEEE10hipError_tT1_PNSt15iterator_traitsISK_E10value_typeET2_T3_PNSL_ISQ_E10value_typeET4_T5_PSV_SW_PNS1_23onesweep_lookback_stateEbbT6_jjT7_P12ihipStream_tbENKUlT_T0_SK_SP_E_clISE_SE_SF_SF_EEDaS13_S14_SK_SP_EUlS13_E_NS1_11comp_targetILNS1_3genE6ELNS1_11target_archE950ELNS1_3gpuE13ELNS1_3repE0EEENS1_47radix_sort_onesweep_sort_config_static_selectorELNS0_4arch9wavefront6targetE1EEEvSK_
                                        ; -- End function
	.section	.AMDGPU.csdata,"",@progbits
; Kernel info:
; codeLenInByte = 0
; NumSgprs: 4
; NumVgprs: 0
; NumAgprs: 0
; TotalNumVgprs: 0
; ScratchSize: 0
; MemoryBound: 0
; FloatMode: 240
; IeeeMode: 1
; LDSByteSize: 0 bytes/workgroup (compile time only)
; SGPRBlocks: 0
; VGPRBlocks: 0
; NumSGPRsForWavesPerEU: 4
; NumVGPRsForWavesPerEU: 1
; AccumOffset: 4
; Occupancy: 8
; WaveLimiterHint : 0
; COMPUTE_PGM_RSRC2:SCRATCH_EN: 0
; COMPUTE_PGM_RSRC2:USER_SGPR: 6
; COMPUTE_PGM_RSRC2:TRAP_HANDLER: 0
; COMPUTE_PGM_RSRC2:TGID_X_EN: 1
; COMPUTE_PGM_RSRC2:TGID_Y_EN: 0
; COMPUTE_PGM_RSRC2:TGID_Z_EN: 0
; COMPUTE_PGM_RSRC2:TIDIG_COMP_CNT: 0
; COMPUTE_PGM_RSRC3_GFX90A:ACCUM_OFFSET: 0
; COMPUTE_PGM_RSRC3_GFX90A:TG_SPLIT: 0
	.section	.text._ZN7rocprim17ROCPRIM_400000_NS6detail17trampoline_kernelINS0_14default_configENS1_35radix_sort_onesweep_config_selectorIyNS0_10empty_typeEEEZZNS1_29radix_sort_onesweep_iterationIS3_Lb0EN6thrust23THRUST_200600_302600_NS6detail15normal_iteratorINS9_10device_ptrIyEEEESE_PS5_SF_jNS0_19identity_decomposerENS1_16block_id_wrapperIjLb0EEEEE10hipError_tT1_PNSt15iterator_traitsISK_E10value_typeET2_T3_PNSL_ISQ_E10value_typeET4_T5_PSV_SW_PNS1_23onesweep_lookback_stateEbbT6_jjT7_P12ihipStream_tbENKUlT_T0_SK_SP_E_clISE_SE_SF_SF_EEDaS13_S14_SK_SP_EUlS13_E_NS1_11comp_targetILNS1_3genE5ELNS1_11target_archE942ELNS1_3gpuE9ELNS1_3repE0EEENS1_47radix_sort_onesweep_sort_config_static_selectorELNS0_4arch9wavefront6targetE1EEEvSK_,"axG",@progbits,_ZN7rocprim17ROCPRIM_400000_NS6detail17trampoline_kernelINS0_14default_configENS1_35radix_sort_onesweep_config_selectorIyNS0_10empty_typeEEEZZNS1_29radix_sort_onesweep_iterationIS3_Lb0EN6thrust23THRUST_200600_302600_NS6detail15normal_iteratorINS9_10device_ptrIyEEEESE_PS5_SF_jNS0_19identity_decomposerENS1_16block_id_wrapperIjLb0EEEEE10hipError_tT1_PNSt15iterator_traitsISK_E10value_typeET2_T3_PNSL_ISQ_E10value_typeET4_T5_PSV_SW_PNS1_23onesweep_lookback_stateEbbT6_jjT7_P12ihipStream_tbENKUlT_T0_SK_SP_E_clISE_SE_SF_SF_EEDaS13_S14_SK_SP_EUlS13_E_NS1_11comp_targetILNS1_3genE5ELNS1_11target_archE942ELNS1_3gpuE9ELNS1_3repE0EEENS1_47radix_sort_onesweep_sort_config_static_selectorELNS0_4arch9wavefront6targetE1EEEvSK_,comdat
	.protected	_ZN7rocprim17ROCPRIM_400000_NS6detail17trampoline_kernelINS0_14default_configENS1_35radix_sort_onesweep_config_selectorIyNS0_10empty_typeEEEZZNS1_29radix_sort_onesweep_iterationIS3_Lb0EN6thrust23THRUST_200600_302600_NS6detail15normal_iteratorINS9_10device_ptrIyEEEESE_PS5_SF_jNS0_19identity_decomposerENS1_16block_id_wrapperIjLb0EEEEE10hipError_tT1_PNSt15iterator_traitsISK_E10value_typeET2_T3_PNSL_ISQ_E10value_typeET4_T5_PSV_SW_PNS1_23onesweep_lookback_stateEbbT6_jjT7_P12ihipStream_tbENKUlT_T0_SK_SP_E_clISE_SE_SF_SF_EEDaS13_S14_SK_SP_EUlS13_E_NS1_11comp_targetILNS1_3genE5ELNS1_11target_archE942ELNS1_3gpuE9ELNS1_3repE0EEENS1_47radix_sort_onesweep_sort_config_static_selectorELNS0_4arch9wavefront6targetE1EEEvSK_ ; -- Begin function _ZN7rocprim17ROCPRIM_400000_NS6detail17trampoline_kernelINS0_14default_configENS1_35radix_sort_onesweep_config_selectorIyNS0_10empty_typeEEEZZNS1_29radix_sort_onesweep_iterationIS3_Lb0EN6thrust23THRUST_200600_302600_NS6detail15normal_iteratorINS9_10device_ptrIyEEEESE_PS5_SF_jNS0_19identity_decomposerENS1_16block_id_wrapperIjLb0EEEEE10hipError_tT1_PNSt15iterator_traitsISK_E10value_typeET2_T3_PNSL_ISQ_E10value_typeET4_T5_PSV_SW_PNS1_23onesweep_lookback_stateEbbT6_jjT7_P12ihipStream_tbENKUlT_T0_SK_SP_E_clISE_SE_SF_SF_EEDaS13_S14_SK_SP_EUlS13_E_NS1_11comp_targetILNS1_3genE5ELNS1_11target_archE942ELNS1_3gpuE9ELNS1_3repE0EEENS1_47radix_sort_onesweep_sort_config_static_selectorELNS0_4arch9wavefront6targetE1EEEvSK_
	.globl	_ZN7rocprim17ROCPRIM_400000_NS6detail17trampoline_kernelINS0_14default_configENS1_35radix_sort_onesweep_config_selectorIyNS0_10empty_typeEEEZZNS1_29radix_sort_onesweep_iterationIS3_Lb0EN6thrust23THRUST_200600_302600_NS6detail15normal_iteratorINS9_10device_ptrIyEEEESE_PS5_SF_jNS0_19identity_decomposerENS1_16block_id_wrapperIjLb0EEEEE10hipError_tT1_PNSt15iterator_traitsISK_E10value_typeET2_T3_PNSL_ISQ_E10value_typeET4_T5_PSV_SW_PNS1_23onesweep_lookback_stateEbbT6_jjT7_P12ihipStream_tbENKUlT_T0_SK_SP_E_clISE_SE_SF_SF_EEDaS13_S14_SK_SP_EUlS13_E_NS1_11comp_targetILNS1_3genE5ELNS1_11target_archE942ELNS1_3gpuE9ELNS1_3repE0EEENS1_47radix_sort_onesweep_sort_config_static_selectorELNS0_4arch9wavefront6targetE1EEEvSK_
	.p2align	8
	.type	_ZN7rocprim17ROCPRIM_400000_NS6detail17trampoline_kernelINS0_14default_configENS1_35radix_sort_onesweep_config_selectorIyNS0_10empty_typeEEEZZNS1_29radix_sort_onesweep_iterationIS3_Lb0EN6thrust23THRUST_200600_302600_NS6detail15normal_iteratorINS9_10device_ptrIyEEEESE_PS5_SF_jNS0_19identity_decomposerENS1_16block_id_wrapperIjLb0EEEEE10hipError_tT1_PNSt15iterator_traitsISK_E10value_typeET2_T3_PNSL_ISQ_E10value_typeET4_T5_PSV_SW_PNS1_23onesweep_lookback_stateEbbT6_jjT7_P12ihipStream_tbENKUlT_T0_SK_SP_E_clISE_SE_SF_SF_EEDaS13_S14_SK_SP_EUlS13_E_NS1_11comp_targetILNS1_3genE5ELNS1_11target_archE942ELNS1_3gpuE9ELNS1_3repE0EEENS1_47radix_sort_onesweep_sort_config_static_selectorELNS0_4arch9wavefront6targetE1EEEvSK_,@function
_ZN7rocprim17ROCPRIM_400000_NS6detail17trampoline_kernelINS0_14default_configENS1_35radix_sort_onesweep_config_selectorIyNS0_10empty_typeEEEZZNS1_29radix_sort_onesweep_iterationIS3_Lb0EN6thrust23THRUST_200600_302600_NS6detail15normal_iteratorINS9_10device_ptrIyEEEESE_PS5_SF_jNS0_19identity_decomposerENS1_16block_id_wrapperIjLb0EEEEE10hipError_tT1_PNSt15iterator_traitsISK_E10value_typeET2_T3_PNSL_ISQ_E10value_typeET4_T5_PSV_SW_PNS1_23onesweep_lookback_stateEbbT6_jjT7_P12ihipStream_tbENKUlT_T0_SK_SP_E_clISE_SE_SF_SF_EEDaS13_S14_SK_SP_EUlS13_E_NS1_11comp_targetILNS1_3genE5ELNS1_11target_archE942ELNS1_3gpuE9ELNS1_3repE0EEENS1_47radix_sort_onesweep_sort_config_static_selectorELNS0_4arch9wavefront6targetE1EEEvSK_: ; @_ZN7rocprim17ROCPRIM_400000_NS6detail17trampoline_kernelINS0_14default_configENS1_35radix_sort_onesweep_config_selectorIyNS0_10empty_typeEEEZZNS1_29radix_sort_onesweep_iterationIS3_Lb0EN6thrust23THRUST_200600_302600_NS6detail15normal_iteratorINS9_10device_ptrIyEEEESE_PS5_SF_jNS0_19identity_decomposerENS1_16block_id_wrapperIjLb0EEEEE10hipError_tT1_PNSt15iterator_traitsISK_E10value_typeET2_T3_PNSL_ISQ_E10value_typeET4_T5_PSV_SW_PNS1_23onesweep_lookback_stateEbbT6_jjT7_P12ihipStream_tbENKUlT_T0_SK_SP_E_clISE_SE_SF_SF_EEDaS13_S14_SK_SP_EUlS13_E_NS1_11comp_targetILNS1_3genE5ELNS1_11target_archE942ELNS1_3gpuE9ELNS1_3repE0EEENS1_47radix_sort_onesweep_sort_config_static_selectorELNS0_4arch9wavefront6targetE1EEEvSK_
; %bb.0:
	.section	.rodata,"a",@progbits
	.p2align	6, 0x0
	.amdhsa_kernel _ZN7rocprim17ROCPRIM_400000_NS6detail17trampoline_kernelINS0_14default_configENS1_35radix_sort_onesweep_config_selectorIyNS0_10empty_typeEEEZZNS1_29radix_sort_onesweep_iterationIS3_Lb0EN6thrust23THRUST_200600_302600_NS6detail15normal_iteratorINS9_10device_ptrIyEEEESE_PS5_SF_jNS0_19identity_decomposerENS1_16block_id_wrapperIjLb0EEEEE10hipError_tT1_PNSt15iterator_traitsISK_E10value_typeET2_T3_PNSL_ISQ_E10value_typeET4_T5_PSV_SW_PNS1_23onesweep_lookback_stateEbbT6_jjT7_P12ihipStream_tbENKUlT_T0_SK_SP_E_clISE_SE_SF_SF_EEDaS13_S14_SK_SP_EUlS13_E_NS1_11comp_targetILNS1_3genE5ELNS1_11target_archE942ELNS1_3gpuE9ELNS1_3repE0EEENS1_47radix_sort_onesweep_sort_config_static_selectorELNS0_4arch9wavefront6targetE1EEEvSK_
		.amdhsa_group_segment_fixed_size 0
		.amdhsa_private_segment_fixed_size 0
		.amdhsa_kernarg_size 88
		.amdhsa_user_sgpr_count 6
		.amdhsa_user_sgpr_private_segment_buffer 1
		.amdhsa_user_sgpr_dispatch_ptr 0
		.amdhsa_user_sgpr_queue_ptr 0
		.amdhsa_user_sgpr_kernarg_segment_ptr 1
		.amdhsa_user_sgpr_dispatch_id 0
		.amdhsa_user_sgpr_flat_scratch_init 0
		.amdhsa_user_sgpr_kernarg_preload_length 0
		.amdhsa_user_sgpr_kernarg_preload_offset 0
		.amdhsa_user_sgpr_private_segment_size 0
		.amdhsa_uses_dynamic_stack 0
		.amdhsa_system_sgpr_private_segment_wavefront_offset 0
		.amdhsa_system_sgpr_workgroup_id_x 1
		.amdhsa_system_sgpr_workgroup_id_y 0
		.amdhsa_system_sgpr_workgroup_id_z 0
		.amdhsa_system_sgpr_workgroup_info 0
		.amdhsa_system_vgpr_workitem_id 0
		.amdhsa_next_free_vgpr 1
		.amdhsa_next_free_sgpr 0
		.amdhsa_accum_offset 4
		.amdhsa_reserve_vcc 0
		.amdhsa_reserve_flat_scratch 0
		.amdhsa_float_round_mode_32 0
		.amdhsa_float_round_mode_16_64 0
		.amdhsa_float_denorm_mode_32 3
		.amdhsa_float_denorm_mode_16_64 3
		.amdhsa_dx10_clamp 1
		.amdhsa_ieee_mode 1
		.amdhsa_fp16_overflow 0
		.amdhsa_tg_split 0
		.amdhsa_exception_fp_ieee_invalid_op 0
		.amdhsa_exception_fp_denorm_src 0
		.amdhsa_exception_fp_ieee_div_zero 0
		.amdhsa_exception_fp_ieee_overflow 0
		.amdhsa_exception_fp_ieee_underflow 0
		.amdhsa_exception_fp_ieee_inexact 0
		.amdhsa_exception_int_div_zero 0
	.end_amdhsa_kernel
	.section	.text._ZN7rocprim17ROCPRIM_400000_NS6detail17trampoline_kernelINS0_14default_configENS1_35radix_sort_onesweep_config_selectorIyNS0_10empty_typeEEEZZNS1_29radix_sort_onesweep_iterationIS3_Lb0EN6thrust23THRUST_200600_302600_NS6detail15normal_iteratorINS9_10device_ptrIyEEEESE_PS5_SF_jNS0_19identity_decomposerENS1_16block_id_wrapperIjLb0EEEEE10hipError_tT1_PNSt15iterator_traitsISK_E10value_typeET2_T3_PNSL_ISQ_E10value_typeET4_T5_PSV_SW_PNS1_23onesweep_lookback_stateEbbT6_jjT7_P12ihipStream_tbENKUlT_T0_SK_SP_E_clISE_SE_SF_SF_EEDaS13_S14_SK_SP_EUlS13_E_NS1_11comp_targetILNS1_3genE5ELNS1_11target_archE942ELNS1_3gpuE9ELNS1_3repE0EEENS1_47radix_sort_onesweep_sort_config_static_selectorELNS0_4arch9wavefront6targetE1EEEvSK_,"axG",@progbits,_ZN7rocprim17ROCPRIM_400000_NS6detail17trampoline_kernelINS0_14default_configENS1_35radix_sort_onesweep_config_selectorIyNS0_10empty_typeEEEZZNS1_29radix_sort_onesweep_iterationIS3_Lb0EN6thrust23THRUST_200600_302600_NS6detail15normal_iteratorINS9_10device_ptrIyEEEESE_PS5_SF_jNS0_19identity_decomposerENS1_16block_id_wrapperIjLb0EEEEE10hipError_tT1_PNSt15iterator_traitsISK_E10value_typeET2_T3_PNSL_ISQ_E10value_typeET4_T5_PSV_SW_PNS1_23onesweep_lookback_stateEbbT6_jjT7_P12ihipStream_tbENKUlT_T0_SK_SP_E_clISE_SE_SF_SF_EEDaS13_S14_SK_SP_EUlS13_E_NS1_11comp_targetILNS1_3genE5ELNS1_11target_archE942ELNS1_3gpuE9ELNS1_3repE0EEENS1_47radix_sort_onesweep_sort_config_static_selectorELNS0_4arch9wavefront6targetE1EEEvSK_,comdat
.Lfunc_end893:
	.size	_ZN7rocprim17ROCPRIM_400000_NS6detail17trampoline_kernelINS0_14default_configENS1_35radix_sort_onesweep_config_selectorIyNS0_10empty_typeEEEZZNS1_29radix_sort_onesweep_iterationIS3_Lb0EN6thrust23THRUST_200600_302600_NS6detail15normal_iteratorINS9_10device_ptrIyEEEESE_PS5_SF_jNS0_19identity_decomposerENS1_16block_id_wrapperIjLb0EEEEE10hipError_tT1_PNSt15iterator_traitsISK_E10value_typeET2_T3_PNSL_ISQ_E10value_typeET4_T5_PSV_SW_PNS1_23onesweep_lookback_stateEbbT6_jjT7_P12ihipStream_tbENKUlT_T0_SK_SP_E_clISE_SE_SF_SF_EEDaS13_S14_SK_SP_EUlS13_E_NS1_11comp_targetILNS1_3genE5ELNS1_11target_archE942ELNS1_3gpuE9ELNS1_3repE0EEENS1_47radix_sort_onesweep_sort_config_static_selectorELNS0_4arch9wavefront6targetE1EEEvSK_, .Lfunc_end893-_ZN7rocprim17ROCPRIM_400000_NS6detail17trampoline_kernelINS0_14default_configENS1_35radix_sort_onesweep_config_selectorIyNS0_10empty_typeEEEZZNS1_29radix_sort_onesweep_iterationIS3_Lb0EN6thrust23THRUST_200600_302600_NS6detail15normal_iteratorINS9_10device_ptrIyEEEESE_PS5_SF_jNS0_19identity_decomposerENS1_16block_id_wrapperIjLb0EEEEE10hipError_tT1_PNSt15iterator_traitsISK_E10value_typeET2_T3_PNSL_ISQ_E10value_typeET4_T5_PSV_SW_PNS1_23onesweep_lookback_stateEbbT6_jjT7_P12ihipStream_tbENKUlT_T0_SK_SP_E_clISE_SE_SF_SF_EEDaS13_S14_SK_SP_EUlS13_E_NS1_11comp_targetILNS1_3genE5ELNS1_11target_archE942ELNS1_3gpuE9ELNS1_3repE0EEENS1_47radix_sort_onesweep_sort_config_static_selectorELNS0_4arch9wavefront6targetE1EEEvSK_
                                        ; -- End function
	.section	.AMDGPU.csdata,"",@progbits
; Kernel info:
; codeLenInByte = 0
; NumSgprs: 4
; NumVgprs: 0
; NumAgprs: 0
; TotalNumVgprs: 0
; ScratchSize: 0
; MemoryBound: 0
; FloatMode: 240
; IeeeMode: 1
; LDSByteSize: 0 bytes/workgroup (compile time only)
; SGPRBlocks: 0
; VGPRBlocks: 0
; NumSGPRsForWavesPerEU: 4
; NumVGPRsForWavesPerEU: 1
; AccumOffset: 4
; Occupancy: 8
; WaveLimiterHint : 0
; COMPUTE_PGM_RSRC2:SCRATCH_EN: 0
; COMPUTE_PGM_RSRC2:USER_SGPR: 6
; COMPUTE_PGM_RSRC2:TRAP_HANDLER: 0
; COMPUTE_PGM_RSRC2:TGID_X_EN: 1
; COMPUTE_PGM_RSRC2:TGID_Y_EN: 0
; COMPUTE_PGM_RSRC2:TGID_Z_EN: 0
; COMPUTE_PGM_RSRC2:TIDIG_COMP_CNT: 0
; COMPUTE_PGM_RSRC3_GFX90A:ACCUM_OFFSET: 0
; COMPUTE_PGM_RSRC3_GFX90A:TG_SPLIT: 0
	.section	.text._ZN7rocprim17ROCPRIM_400000_NS6detail17trampoline_kernelINS0_14default_configENS1_35radix_sort_onesweep_config_selectorIyNS0_10empty_typeEEEZZNS1_29radix_sort_onesweep_iterationIS3_Lb0EN6thrust23THRUST_200600_302600_NS6detail15normal_iteratorINS9_10device_ptrIyEEEESE_PS5_SF_jNS0_19identity_decomposerENS1_16block_id_wrapperIjLb0EEEEE10hipError_tT1_PNSt15iterator_traitsISK_E10value_typeET2_T3_PNSL_ISQ_E10value_typeET4_T5_PSV_SW_PNS1_23onesweep_lookback_stateEbbT6_jjT7_P12ihipStream_tbENKUlT_T0_SK_SP_E_clISE_SE_SF_SF_EEDaS13_S14_SK_SP_EUlS13_E_NS1_11comp_targetILNS1_3genE2ELNS1_11target_archE906ELNS1_3gpuE6ELNS1_3repE0EEENS1_47radix_sort_onesweep_sort_config_static_selectorELNS0_4arch9wavefront6targetE1EEEvSK_,"axG",@progbits,_ZN7rocprim17ROCPRIM_400000_NS6detail17trampoline_kernelINS0_14default_configENS1_35radix_sort_onesweep_config_selectorIyNS0_10empty_typeEEEZZNS1_29radix_sort_onesweep_iterationIS3_Lb0EN6thrust23THRUST_200600_302600_NS6detail15normal_iteratorINS9_10device_ptrIyEEEESE_PS5_SF_jNS0_19identity_decomposerENS1_16block_id_wrapperIjLb0EEEEE10hipError_tT1_PNSt15iterator_traitsISK_E10value_typeET2_T3_PNSL_ISQ_E10value_typeET4_T5_PSV_SW_PNS1_23onesweep_lookback_stateEbbT6_jjT7_P12ihipStream_tbENKUlT_T0_SK_SP_E_clISE_SE_SF_SF_EEDaS13_S14_SK_SP_EUlS13_E_NS1_11comp_targetILNS1_3genE2ELNS1_11target_archE906ELNS1_3gpuE6ELNS1_3repE0EEENS1_47radix_sort_onesweep_sort_config_static_selectorELNS0_4arch9wavefront6targetE1EEEvSK_,comdat
	.protected	_ZN7rocprim17ROCPRIM_400000_NS6detail17trampoline_kernelINS0_14default_configENS1_35radix_sort_onesweep_config_selectorIyNS0_10empty_typeEEEZZNS1_29radix_sort_onesweep_iterationIS3_Lb0EN6thrust23THRUST_200600_302600_NS6detail15normal_iteratorINS9_10device_ptrIyEEEESE_PS5_SF_jNS0_19identity_decomposerENS1_16block_id_wrapperIjLb0EEEEE10hipError_tT1_PNSt15iterator_traitsISK_E10value_typeET2_T3_PNSL_ISQ_E10value_typeET4_T5_PSV_SW_PNS1_23onesweep_lookback_stateEbbT6_jjT7_P12ihipStream_tbENKUlT_T0_SK_SP_E_clISE_SE_SF_SF_EEDaS13_S14_SK_SP_EUlS13_E_NS1_11comp_targetILNS1_3genE2ELNS1_11target_archE906ELNS1_3gpuE6ELNS1_3repE0EEENS1_47radix_sort_onesweep_sort_config_static_selectorELNS0_4arch9wavefront6targetE1EEEvSK_ ; -- Begin function _ZN7rocprim17ROCPRIM_400000_NS6detail17trampoline_kernelINS0_14default_configENS1_35radix_sort_onesweep_config_selectorIyNS0_10empty_typeEEEZZNS1_29radix_sort_onesweep_iterationIS3_Lb0EN6thrust23THRUST_200600_302600_NS6detail15normal_iteratorINS9_10device_ptrIyEEEESE_PS5_SF_jNS0_19identity_decomposerENS1_16block_id_wrapperIjLb0EEEEE10hipError_tT1_PNSt15iterator_traitsISK_E10value_typeET2_T3_PNSL_ISQ_E10value_typeET4_T5_PSV_SW_PNS1_23onesweep_lookback_stateEbbT6_jjT7_P12ihipStream_tbENKUlT_T0_SK_SP_E_clISE_SE_SF_SF_EEDaS13_S14_SK_SP_EUlS13_E_NS1_11comp_targetILNS1_3genE2ELNS1_11target_archE906ELNS1_3gpuE6ELNS1_3repE0EEENS1_47radix_sort_onesweep_sort_config_static_selectorELNS0_4arch9wavefront6targetE1EEEvSK_
	.globl	_ZN7rocprim17ROCPRIM_400000_NS6detail17trampoline_kernelINS0_14default_configENS1_35radix_sort_onesweep_config_selectorIyNS0_10empty_typeEEEZZNS1_29radix_sort_onesweep_iterationIS3_Lb0EN6thrust23THRUST_200600_302600_NS6detail15normal_iteratorINS9_10device_ptrIyEEEESE_PS5_SF_jNS0_19identity_decomposerENS1_16block_id_wrapperIjLb0EEEEE10hipError_tT1_PNSt15iterator_traitsISK_E10value_typeET2_T3_PNSL_ISQ_E10value_typeET4_T5_PSV_SW_PNS1_23onesweep_lookback_stateEbbT6_jjT7_P12ihipStream_tbENKUlT_T0_SK_SP_E_clISE_SE_SF_SF_EEDaS13_S14_SK_SP_EUlS13_E_NS1_11comp_targetILNS1_3genE2ELNS1_11target_archE906ELNS1_3gpuE6ELNS1_3repE0EEENS1_47radix_sort_onesweep_sort_config_static_selectorELNS0_4arch9wavefront6targetE1EEEvSK_
	.p2align	8
	.type	_ZN7rocprim17ROCPRIM_400000_NS6detail17trampoline_kernelINS0_14default_configENS1_35radix_sort_onesweep_config_selectorIyNS0_10empty_typeEEEZZNS1_29radix_sort_onesweep_iterationIS3_Lb0EN6thrust23THRUST_200600_302600_NS6detail15normal_iteratorINS9_10device_ptrIyEEEESE_PS5_SF_jNS0_19identity_decomposerENS1_16block_id_wrapperIjLb0EEEEE10hipError_tT1_PNSt15iterator_traitsISK_E10value_typeET2_T3_PNSL_ISQ_E10value_typeET4_T5_PSV_SW_PNS1_23onesweep_lookback_stateEbbT6_jjT7_P12ihipStream_tbENKUlT_T0_SK_SP_E_clISE_SE_SF_SF_EEDaS13_S14_SK_SP_EUlS13_E_NS1_11comp_targetILNS1_3genE2ELNS1_11target_archE906ELNS1_3gpuE6ELNS1_3repE0EEENS1_47radix_sort_onesweep_sort_config_static_selectorELNS0_4arch9wavefront6targetE1EEEvSK_,@function
_ZN7rocprim17ROCPRIM_400000_NS6detail17trampoline_kernelINS0_14default_configENS1_35radix_sort_onesweep_config_selectorIyNS0_10empty_typeEEEZZNS1_29radix_sort_onesweep_iterationIS3_Lb0EN6thrust23THRUST_200600_302600_NS6detail15normal_iteratorINS9_10device_ptrIyEEEESE_PS5_SF_jNS0_19identity_decomposerENS1_16block_id_wrapperIjLb0EEEEE10hipError_tT1_PNSt15iterator_traitsISK_E10value_typeET2_T3_PNSL_ISQ_E10value_typeET4_T5_PSV_SW_PNS1_23onesweep_lookback_stateEbbT6_jjT7_P12ihipStream_tbENKUlT_T0_SK_SP_E_clISE_SE_SF_SF_EEDaS13_S14_SK_SP_EUlS13_E_NS1_11comp_targetILNS1_3genE2ELNS1_11target_archE906ELNS1_3gpuE6ELNS1_3repE0EEENS1_47radix_sort_onesweep_sort_config_static_selectorELNS0_4arch9wavefront6targetE1EEEvSK_: ; @_ZN7rocprim17ROCPRIM_400000_NS6detail17trampoline_kernelINS0_14default_configENS1_35radix_sort_onesweep_config_selectorIyNS0_10empty_typeEEEZZNS1_29radix_sort_onesweep_iterationIS3_Lb0EN6thrust23THRUST_200600_302600_NS6detail15normal_iteratorINS9_10device_ptrIyEEEESE_PS5_SF_jNS0_19identity_decomposerENS1_16block_id_wrapperIjLb0EEEEE10hipError_tT1_PNSt15iterator_traitsISK_E10value_typeET2_T3_PNSL_ISQ_E10value_typeET4_T5_PSV_SW_PNS1_23onesweep_lookback_stateEbbT6_jjT7_P12ihipStream_tbENKUlT_T0_SK_SP_E_clISE_SE_SF_SF_EEDaS13_S14_SK_SP_EUlS13_E_NS1_11comp_targetILNS1_3genE2ELNS1_11target_archE906ELNS1_3gpuE6ELNS1_3repE0EEENS1_47radix_sort_onesweep_sort_config_static_selectorELNS0_4arch9wavefront6targetE1EEEvSK_
; %bb.0:
	.section	.rodata,"a",@progbits
	.p2align	6, 0x0
	.amdhsa_kernel _ZN7rocprim17ROCPRIM_400000_NS6detail17trampoline_kernelINS0_14default_configENS1_35radix_sort_onesweep_config_selectorIyNS0_10empty_typeEEEZZNS1_29radix_sort_onesweep_iterationIS3_Lb0EN6thrust23THRUST_200600_302600_NS6detail15normal_iteratorINS9_10device_ptrIyEEEESE_PS5_SF_jNS0_19identity_decomposerENS1_16block_id_wrapperIjLb0EEEEE10hipError_tT1_PNSt15iterator_traitsISK_E10value_typeET2_T3_PNSL_ISQ_E10value_typeET4_T5_PSV_SW_PNS1_23onesweep_lookback_stateEbbT6_jjT7_P12ihipStream_tbENKUlT_T0_SK_SP_E_clISE_SE_SF_SF_EEDaS13_S14_SK_SP_EUlS13_E_NS1_11comp_targetILNS1_3genE2ELNS1_11target_archE906ELNS1_3gpuE6ELNS1_3repE0EEENS1_47radix_sort_onesweep_sort_config_static_selectorELNS0_4arch9wavefront6targetE1EEEvSK_
		.amdhsa_group_segment_fixed_size 0
		.amdhsa_private_segment_fixed_size 0
		.amdhsa_kernarg_size 88
		.amdhsa_user_sgpr_count 6
		.amdhsa_user_sgpr_private_segment_buffer 1
		.amdhsa_user_sgpr_dispatch_ptr 0
		.amdhsa_user_sgpr_queue_ptr 0
		.amdhsa_user_sgpr_kernarg_segment_ptr 1
		.amdhsa_user_sgpr_dispatch_id 0
		.amdhsa_user_sgpr_flat_scratch_init 0
		.amdhsa_user_sgpr_kernarg_preload_length 0
		.amdhsa_user_sgpr_kernarg_preload_offset 0
		.amdhsa_user_sgpr_private_segment_size 0
		.amdhsa_uses_dynamic_stack 0
		.amdhsa_system_sgpr_private_segment_wavefront_offset 0
		.amdhsa_system_sgpr_workgroup_id_x 1
		.amdhsa_system_sgpr_workgroup_id_y 0
		.amdhsa_system_sgpr_workgroup_id_z 0
		.amdhsa_system_sgpr_workgroup_info 0
		.amdhsa_system_vgpr_workitem_id 0
		.amdhsa_next_free_vgpr 1
		.amdhsa_next_free_sgpr 0
		.amdhsa_accum_offset 4
		.amdhsa_reserve_vcc 0
		.amdhsa_reserve_flat_scratch 0
		.amdhsa_float_round_mode_32 0
		.amdhsa_float_round_mode_16_64 0
		.amdhsa_float_denorm_mode_32 3
		.amdhsa_float_denorm_mode_16_64 3
		.amdhsa_dx10_clamp 1
		.amdhsa_ieee_mode 1
		.amdhsa_fp16_overflow 0
		.amdhsa_tg_split 0
		.amdhsa_exception_fp_ieee_invalid_op 0
		.amdhsa_exception_fp_denorm_src 0
		.amdhsa_exception_fp_ieee_div_zero 0
		.amdhsa_exception_fp_ieee_overflow 0
		.amdhsa_exception_fp_ieee_underflow 0
		.amdhsa_exception_fp_ieee_inexact 0
		.amdhsa_exception_int_div_zero 0
	.end_amdhsa_kernel
	.section	.text._ZN7rocprim17ROCPRIM_400000_NS6detail17trampoline_kernelINS0_14default_configENS1_35radix_sort_onesweep_config_selectorIyNS0_10empty_typeEEEZZNS1_29radix_sort_onesweep_iterationIS3_Lb0EN6thrust23THRUST_200600_302600_NS6detail15normal_iteratorINS9_10device_ptrIyEEEESE_PS5_SF_jNS0_19identity_decomposerENS1_16block_id_wrapperIjLb0EEEEE10hipError_tT1_PNSt15iterator_traitsISK_E10value_typeET2_T3_PNSL_ISQ_E10value_typeET4_T5_PSV_SW_PNS1_23onesweep_lookback_stateEbbT6_jjT7_P12ihipStream_tbENKUlT_T0_SK_SP_E_clISE_SE_SF_SF_EEDaS13_S14_SK_SP_EUlS13_E_NS1_11comp_targetILNS1_3genE2ELNS1_11target_archE906ELNS1_3gpuE6ELNS1_3repE0EEENS1_47radix_sort_onesweep_sort_config_static_selectorELNS0_4arch9wavefront6targetE1EEEvSK_,"axG",@progbits,_ZN7rocprim17ROCPRIM_400000_NS6detail17trampoline_kernelINS0_14default_configENS1_35radix_sort_onesweep_config_selectorIyNS0_10empty_typeEEEZZNS1_29radix_sort_onesweep_iterationIS3_Lb0EN6thrust23THRUST_200600_302600_NS6detail15normal_iteratorINS9_10device_ptrIyEEEESE_PS5_SF_jNS0_19identity_decomposerENS1_16block_id_wrapperIjLb0EEEEE10hipError_tT1_PNSt15iterator_traitsISK_E10value_typeET2_T3_PNSL_ISQ_E10value_typeET4_T5_PSV_SW_PNS1_23onesweep_lookback_stateEbbT6_jjT7_P12ihipStream_tbENKUlT_T0_SK_SP_E_clISE_SE_SF_SF_EEDaS13_S14_SK_SP_EUlS13_E_NS1_11comp_targetILNS1_3genE2ELNS1_11target_archE906ELNS1_3gpuE6ELNS1_3repE0EEENS1_47radix_sort_onesweep_sort_config_static_selectorELNS0_4arch9wavefront6targetE1EEEvSK_,comdat
.Lfunc_end894:
	.size	_ZN7rocprim17ROCPRIM_400000_NS6detail17trampoline_kernelINS0_14default_configENS1_35radix_sort_onesweep_config_selectorIyNS0_10empty_typeEEEZZNS1_29radix_sort_onesweep_iterationIS3_Lb0EN6thrust23THRUST_200600_302600_NS6detail15normal_iteratorINS9_10device_ptrIyEEEESE_PS5_SF_jNS0_19identity_decomposerENS1_16block_id_wrapperIjLb0EEEEE10hipError_tT1_PNSt15iterator_traitsISK_E10value_typeET2_T3_PNSL_ISQ_E10value_typeET4_T5_PSV_SW_PNS1_23onesweep_lookback_stateEbbT6_jjT7_P12ihipStream_tbENKUlT_T0_SK_SP_E_clISE_SE_SF_SF_EEDaS13_S14_SK_SP_EUlS13_E_NS1_11comp_targetILNS1_3genE2ELNS1_11target_archE906ELNS1_3gpuE6ELNS1_3repE0EEENS1_47radix_sort_onesweep_sort_config_static_selectorELNS0_4arch9wavefront6targetE1EEEvSK_, .Lfunc_end894-_ZN7rocprim17ROCPRIM_400000_NS6detail17trampoline_kernelINS0_14default_configENS1_35radix_sort_onesweep_config_selectorIyNS0_10empty_typeEEEZZNS1_29radix_sort_onesweep_iterationIS3_Lb0EN6thrust23THRUST_200600_302600_NS6detail15normal_iteratorINS9_10device_ptrIyEEEESE_PS5_SF_jNS0_19identity_decomposerENS1_16block_id_wrapperIjLb0EEEEE10hipError_tT1_PNSt15iterator_traitsISK_E10value_typeET2_T3_PNSL_ISQ_E10value_typeET4_T5_PSV_SW_PNS1_23onesweep_lookback_stateEbbT6_jjT7_P12ihipStream_tbENKUlT_T0_SK_SP_E_clISE_SE_SF_SF_EEDaS13_S14_SK_SP_EUlS13_E_NS1_11comp_targetILNS1_3genE2ELNS1_11target_archE906ELNS1_3gpuE6ELNS1_3repE0EEENS1_47radix_sort_onesweep_sort_config_static_selectorELNS0_4arch9wavefront6targetE1EEEvSK_
                                        ; -- End function
	.section	.AMDGPU.csdata,"",@progbits
; Kernel info:
; codeLenInByte = 0
; NumSgprs: 4
; NumVgprs: 0
; NumAgprs: 0
; TotalNumVgprs: 0
; ScratchSize: 0
; MemoryBound: 0
; FloatMode: 240
; IeeeMode: 1
; LDSByteSize: 0 bytes/workgroup (compile time only)
; SGPRBlocks: 0
; VGPRBlocks: 0
; NumSGPRsForWavesPerEU: 4
; NumVGPRsForWavesPerEU: 1
; AccumOffset: 4
; Occupancy: 8
; WaveLimiterHint : 0
; COMPUTE_PGM_RSRC2:SCRATCH_EN: 0
; COMPUTE_PGM_RSRC2:USER_SGPR: 6
; COMPUTE_PGM_RSRC2:TRAP_HANDLER: 0
; COMPUTE_PGM_RSRC2:TGID_X_EN: 1
; COMPUTE_PGM_RSRC2:TGID_Y_EN: 0
; COMPUTE_PGM_RSRC2:TGID_Z_EN: 0
; COMPUTE_PGM_RSRC2:TIDIG_COMP_CNT: 0
; COMPUTE_PGM_RSRC3_GFX90A:ACCUM_OFFSET: 0
; COMPUTE_PGM_RSRC3_GFX90A:TG_SPLIT: 0
	.section	.text._ZN7rocprim17ROCPRIM_400000_NS6detail17trampoline_kernelINS0_14default_configENS1_35radix_sort_onesweep_config_selectorIyNS0_10empty_typeEEEZZNS1_29radix_sort_onesweep_iterationIS3_Lb0EN6thrust23THRUST_200600_302600_NS6detail15normal_iteratorINS9_10device_ptrIyEEEESE_PS5_SF_jNS0_19identity_decomposerENS1_16block_id_wrapperIjLb0EEEEE10hipError_tT1_PNSt15iterator_traitsISK_E10value_typeET2_T3_PNSL_ISQ_E10value_typeET4_T5_PSV_SW_PNS1_23onesweep_lookback_stateEbbT6_jjT7_P12ihipStream_tbENKUlT_T0_SK_SP_E_clISE_SE_SF_SF_EEDaS13_S14_SK_SP_EUlS13_E_NS1_11comp_targetILNS1_3genE4ELNS1_11target_archE910ELNS1_3gpuE8ELNS1_3repE0EEENS1_47radix_sort_onesweep_sort_config_static_selectorELNS0_4arch9wavefront6targetE1EEEvSK_,"axG",@progbits,_ZN7rocprim17ROCPRIM_400000_NS6detail17trampoline_kernelINS0_14default_configENS1_35radix_sort_onesweep_config_selectorIyNS0_10empty_typeEEEZZNS1_29radix_sort_onesweep_iterationIS3_Lb0EN6thrust23THRUST_200600_302600_NS6detail15normal_iteratorINS9_10device_ptrIyEEEESE_PS5_SF_jNS0_19identity_decomposerENS1_16block_id_wrapperIjLb0EEEEE10hipError_tT1_PNSt15iterator_traitsISK_E10value_typeET2_T3_PNSL_ISQ_E10value_typeET4_T5_PSV_SW_PNS1_23onesweep_lookback_stateEbbT6_jjT7_P12ihipStream_tbENKUlT_T0_SK_SP_E_clISE_SE_SF_SF_EEDaS13_S14_SK_SP_EUlS13_E_NS1_11comp_targetILNS1_3genE4ELNS1_11target_archE910ELNS1_3gpuE8ELNS1_3repE0EEENS1_47radix_sort_onesweep_sort_config_static_selectorELNS0_4arch9wavefront6targetE1EEEvSK_,comdat
	.protected	_ZN7rocprim17ROCPRIM_400000_NS6detail17trampoline_kernelINS0_14default_configENS1_35radix_sort_onesweep_config_selectorIyNS0_10empty_typeEEEZZNS1_29radix_sort_onesweep_iterationIS3_Lb0EN6thrust23THRUST_200600_302600_NS6detail15normal_iteratorINS9_10device_ptrIyEEEESE_PS5_SF_jNS0_19identity_decomposerENS1_16block_id_wrapperIjLb0EEEEE10hipError_tT1_PNSt15iterator_traitsISK_E10value_typeET2_T3_PNSL_ISQ_E10value_typeET4_T5_PSV_SW_PNS1_23onesweep_lookback_stateEbbT6_jjT7_P12ihipStream_tbENKUlT_T0_SK_SP_E_clISE_SE_SF_SF_EEDaS13_S14_SK_SP_EUlS13_E_NS1_11comp_targetILNS1_3genE4ELNS1_11target_archE910ELNS1_3gpuE8ELNS1_3repE0EEENS1_47radix_sort_onesweep_sort_config_static_selectorELNS0_4arch9wavefront6targetE1EEEvSK_ ; -- Begin function _ZN7rocprim17ROCPRIM_400000_NS6detail17trampoline_kernelINS0_14default_configENS1_35radix_sort_onesweep_config_selectorIyNS0_10empty_typeEEEZZNS1_29radix_sort_onesweep_iterationIS3_Lb0EN6thrust23THRUST_200600_302600_NS6detail15normal_iteratorINS9_10device_ptrIyEEEESE_PS5_SF_jNS0_19identity_decomposerENS1_16block_id_wrapperIjLb0EEEEE10hipError_tT1_PNSt15iterator_traitsISK_E10value_typeET2_T3_PNSL_ISQ_E10value_typeET4_T5_PSV_SW_PNS1_23onesweep_lookback_stateEbbT6_jjT7_P12ihipStream_tbENKUlT_T0_SK_SP_E_clISE_SE_SF_SF_EEDaS13_S14_SK_SP_EUlS13_E_NS1_11comp_targetILNS1_3genE4ELNS1_11target_archE910ELNS1_3gpuE8ELNS1_3repE0EEENS1_47radix_sort_onesweep_sort_config_static_selectorELNS0_4arch9wavefront6targetE1EEEvSK_
	.globl	_ZN7rocprim17ROCPRIM_400000_NS6detail17trampoline_kernelINS0_14default_configENS1_35radix_sort_onesweep_config_selectorIyNS0_10empty_typeEEEZZNS1_29radix_sort_onesweep_iterationIS3_Lb0EN6thrust23THRUST_200600_302600_NS6detail15normal_iteratorINS9_10device_ptrIyEEEESE_PS5_SF_jNS0_19identity_decomposerENS1_16block_id_wrapperIjLb0EEEEE10hipError_tT1_PNSt15iterator_traitsISK_E10value_typeET2_T3_PNSL_ISQ_E10value_typeET4_T5_PSV_SW_PNS1_23onesweep_lookback_stateEbbT6_jjT7_P12ihipStream_tbENKUlT_T0_SK_SP_E_clISE_SE_SF_SF_EEDaS13_S14_SK_SP_EUlS13_E_NS1_11comp_targetILNS1_3genE4ELNS1_11target_archE910ELNS1_3gpuE8ELNS1_3repE0EEENS1_47radix_sort_onesweep_sort_config_static_selectorELNS0_4arch9wavefront6targetE1EEEvSK_
	.p2align	8
	.type	_ZN7rocprim17ROCPRIM_400000_NS6detail17trampoline_kernelINS0_14default_configENS1_35radix_sort_onesweep_config_selectorIyNS0_10empty_typeEEEZZNS1_29radix_sort_onesweep_iterationIS3_Lb0EN6thrust23THRUST_200600_302600_NS6detail15normal_iteratorINS9_10device_ptrIyEEEESE_PS5_SF_jNS0_19identity_decomposerENS1_16block_id_wrapperIjLb0EEEEE10hipError_tT1_PNSt15iterator_traitsISK_E10value_typeET2_T3_PNSL_ISQ_E10value_typeET4_T5_PSV_SW_PNS1_23onesweep_lookback_stateEbbT6_jjT7_P12ihipStream_tbENKUlT_T0_SK_SP_E_clISE_SE_SF_SF_EEDaS13_S14_SK_SP_EUlS13_E_NS1_11comp_targetILNS1_3genE4ELNS1_11target_archE910ELNS1_3gpuE8ELNS1_3repE0EEENS1_47radix_sort_onesweep_sort_config_static_selectorELNS0_4arch9wavefront6targetE1EEEvSK_,@function
_ZN7rocprim17ROCPRIM_400000_NS6detail17trampoline_kernelINS0_14default_configENS1_35radix_sort_onesweep_config_selectorIyNS0_10empty_typeEEEZZNS1_29radix_sort_onesweep_iterationIS3_Lb0EN6thrust23THRUST_200600_302600_NS6detail15normal_iteratorINS9_10device_ptrIyEEEESE_PS5_SF_jNS0_19identity_decomposerENS1_16block_id_wrapperIjLb0EEEEE10hipError_tT1_PNSt15iterator_traitsISK_E10value_typeET2_T3_PNSL_ISQ_E10value_typeET4_T5_PSV_SW_PNS1_23onesweep_lookback_stateEbbT6_jjT7_P12ihipStream_tbENKUlT_T0_SK_SP_E_clISE_SE_SF_SF_EEDaS13_S14_SK_SP_EUlS13_E_NS1_11comp_targetILNS1_3genE4ELNS1_11target_archE910ELNS1_3gpuE8ELNS1_3repE0EEENS1_47radix_sort_onesweep_sort_config_static_selectorELNS0_4arch9wavefront6targetE1EEEvSK_: ; @_ZN7rocprim17ROCPRIM_400000_NS6detail17trampoline_kernelINS0_14default_configENS1_35radix_sort_onesweep_config_selectorIyNS0_10empty_typeEEEZZNS1_29radix_sort_onesweep_iterationIS3_Lb0EN6thrust23THRUST_200600_302600_NS6detail15normal_iteratorINS9_10device_ptrIyEEEESE_PS5_SF_jNS0_19identity_decomposerENS1_16block_id_wrapperIjLb0EEEEE10hipError_tT1_PNSt15iterator_traitsISK_E10value_typeET2_T3_PNSL_ISQ_E10value_typeET4_T5_PSV_SW_PNS1_23onesweep_lookback_stateEbbT6_jjT7_P12ihipStream_tbENKUlT_T0_SK_SP_E_clISE_SE_SF_SF_EEDaS13_S14_SK_SP_EUlS13_E_NS1_11comp_targetILNS1_3genE4ELNS1_11target_archE910ELNS1_3gpuE8ELNS1_3repE0EEENS1_47radix_sort_onesweep_sort_config_static_selectorELNS0_4arch9wavefront6targetE1EEEvSK_
; %bb.0:
	s_load_dwordx2 s[24:25], s[4:5], 0x38
	s_load_dwordx4 s[16:19], s[4:5], 0x44
	s_load_dwordx4 s[20:23], s[4:5], 0x0
	;; [unrolled: 1-line block ×3, first 2 shown]
	v_mbcnt_lo_u32_b32 v1, -1, 0
	s_waitcnt lgkmcnt(0)
	s_cmp_ge_u32 s6, s18
	s_cbranch_scc0 .LBB895_59
; %bb.1:
	s_load_dword s2, s[4:5], 0x20
	s_lshl_b32 s3, s18, 13
	s_lshl_b32 s0, s6, 13
	s_mov_b32 s1, 0
	s_lshl_b64 s[0:1], s[0:1], 3
	s_waitcnt lgkmcnt(0)
	s_sub_i32 s7, s2, s3
	v_mbcnt_hi_u32_b32 v24, -1, v1
	v_and_b32_e32 v2, 0x3ff, v0
	s_add_u32 s0, s20, s0
	v_and_b32_e32 v4, 63, v24
	s_addc_u32 s1, s21, s1
	v_lshlrev_b32_e32 v3, 3, v2
	v_lshlrev_b32_e32 v6, 3, v4
	v_and_b32_e32 v5, 0x1e00, v3
	v_mov_b32_e32 v7, s1
	v_add_co_u32_e32 v6, vcc, s0, v6
	v_addc_co_u32_e32 v7, vcc, 0, v7, vcc
	v_lshlrev_b32_e32 v8, 3, v5
	v_add_co_u32_e32 v20, vcc, v6, v8
	v_addc_co_u32_e32 v21, vcc, 0, v7, vcc
	v_or_b32_e32 v22, v4, v5
	v_pk_mov_b32 v[4:5], -1, -1
	v_cmp_gt_u32_e32 vcc, s7, v22
	v_pk_mov_b32 v[6:7], v[4:5], v[4:5] op_sel:[0,1]
	s_and_saveexec_b64 s[0:1], vcc
	s_cbranch_execz .LBB895_3
; %bb.2:
	global_load_dwordx2 v[6:7], v[20:21], off
.LBB895_3:
	s_or_b64 exec, exec, s[0:1]
	v_or_b32_e32 v8, 64, v22
	v_cmp_gt_u32_e32 vcc, s7, v8
	s_and_saveexec_b64 s[0:1], vcc
	s_cbranch_execz .LBB895_5
; %bb.4:
	global_load_dwordx2 v[4:5], v[20:21], off offset:512
.LBB895_5:
	s_or_b64 exec, exec, s[0:1]
	v_or_b32_e32 v8, 0x80, v22
	v_cmp_gt_u32_e32 vcc, s7, v8
	v_pk_mov_b32 v[8:9], -1, -1
	v_pk_mov_b32 v[10:11], v[8:9], v[8:9] op_sel:[0,1]
	s_and_saveexec_b64 s[0:1], vcc
	s_cbranch_execz .LBB895_7
; %bb.6:
	global_load_dwordx2 v[10:11], v[20:21], off offset:1024
.LBB895_7:
	s_or_b64 exec, exec, s[0:1]
	v_or_b32_e32 v12, 0xc0, v22
	v_cmp_gt_u32_e32 vcc, s7, v12
	s_and_saveexec_b64 s[0:1], vcc
	s_cbranch_execz .LBB895_9
; %bb.8:
	global_load_dwordx2 v[8:9], v[20:21], off offset:1536
.LBB895_9:
	s_or_b64 exec, exec, s[0:1]
	v_or_b32_e32 v12, 0x100, v22
	v_cmp_gt_u32_e32 vcc, s7, v12
	v_pk_mov_b32 v[12:13], -1, -1
	v_pk_mov_b32 v[14:15], v[12:13], v[12:13] op_sel:[0,1]
	s_and_saveexec_b64 s[0:1], vcc
	s_cbranch_execz .LBB895_11
; %bb.10:
	global_load_dwordx2 v[14:15], v[20:21], off offset:2048
.LBB895_11:
	;; [unrolled: 18-line block ×3, first 2 shown]
	s_or_b64 exec, exec, s[0:1]
	v_or_b32_e32 v22, 0x1c0, v22
	v_cmp_gt_u32_e32 vcc, s7, v22
	s_and_saveexec_b64 s[0:1], vcc
	s_cbranch_execz .LBB895_17
; %bb.16:
	global_load_dwordx2 v[16:17], v[20:21], off offset:3584
.LBB895_17:
	s_or_b64 exec, exec, s[0:1]
	s_load_dword s0, s[4:5], 0x64
	s_load_dword s26, s[4:5], 0x58
	s_add_u32 s1, s4, 0x58
	s_addc_u32 s2, s5, 0
	v_mov_b32_e32 v20, 0
	s_waitcnt lgkmcnt(0)
	s_lshr_b32 s3, s0, 16
	s_cmp_lt_u32 s6, s26
	s_cselect_b32 s0, 12, 18
	s_add_u32 s0, s1, s0
	s_addc_u32 s1, s2, 0
	global_load_ushort v26, v20, s[0:1]
	s_lshl_b32 s0, -1, s17
	s_waitcnt vmcnt(1)
	v_lshrrev_b64 v[22:23], s16, v[6:7]
	s_not_b32 s27, s0
	v_and_b32_e32 v22, s27, v22
	v_and_b32_e32 v28, 1, v22
	v_bfe_u32 v21, v0, 10, 10
	v_bfe_u32 v27, v0, 20, 10
	v_add_co_u32_e32 v29, vcc, -1, v28
	v_mad_u32_u24 v23, v27, s3, v21
	v_lshlrev_b32_e32 v21, 30, v22
	v_addc_co_u32_e64 v30, s[0:1], 0, -1, vcc
	v_cmp_ne_u32_e32 vcc, 0, v28
	v_cmp_gt_i64_e64 s[0:1], 0, v[20:21]
	v_not_b32_e32 v28, v21
	v_lshlrev_b32_e32 v21, 29, v22
	v_xor_b32_e32 v30, vcc_hi, v30
	v_xor_b32_e32 v29, vcc_lo, v29
	v_ashrrev_i32_e32 v28, 31, v28
	v_cmp_gt_i64_e32 vcc, 0, v[20:21]
	v_not_b32_e32 v31, v21
	v_lshlrev_b32_e32 v21, 28, v22
	v_and_b32_e32 v30, exec_hi, v30
	v_and_b32_e32 v29, exec_lo, v29
	v_xor_b32_e32 v32, s1, v28
	v_xor_b32_e32 v28, s0, v28
	v_ashrrev_i32_e32 v31, 31, v31
	v_cmp_gt_i64_e64 s[0:1], 0, v[20:21]
	v_not_b32_e32 v33, v21
	v_lshlrev_b32_e32 v21, 27, v22
	v_and_b32_e32 v30, v30, v32
	v_and_b32_e32 v28, v29, v28
	v_xor_b32_e32 v29, vcc_hi, v31
	v_xor_b32_e32 v31, vcc_lo, v31
	v_ashrrev_i32_e32 v32, 31, v33
	v_cmp_gt_i64_e32 vcc, 0, v[20:21]
	v_not_b32_e32 v33, v21
	v_lshlrev_b32_e32 v21, 26, v22
	v_and_b32_e32 v29, v30, v29
	v_and_b32_e32 v28, v28, v31
	v_xor_b32_e32 v30, s1, v32
	v_xor_b32_e32 v31, s0, v32
	v_ashrrev_i32_e32 v32, 31, v33
	v_cmp_gt_i64_e64 s[0:1], 0, v[20:21]
	v_not_b32_e32 v33, v21
	v_lshlrev_b32_e32 v21, 25, v22
	v_and_b32_e32 v29, v29, v30
	v_and_b32_e32 v28, v28, v31
	v_xor_b32_e32 v30, vcc_hi, v32
	v_xor_b32_e32 v31, vcc_lo, v32
	v_ashrrev_i32_e32 v32, 31, v33
	v_not_b32_e32 v33, v21
	v_lshl_add_u32 v27, v22, 4, v22
	v_cmp_gt_i64_e32 vcc, 0, v[20:21]
	v_lshlrev_b32_e32 v21, 24, v22
	v_and_b32_e32 v22, v29, v30
	v_and_b32_e32 v28, v28, v31
	v_xor_b32_e32 v29, s1, v32
	v_ashrrev_i32_e32 v31, 31, v33
	v_xor_b32_e32 v30, s0, v32
	v_cmp_gt_i64_e64 s[0:1], 0, v[20:21]
	v_not_b32_e32 v21, v21
	v_and_b32_e32 v22, v22, v29
	v_xor_b32_e32 v29, vcc_hi, v31
	v_and_b32_e32 v28, v28, v30
	v_xor_b32_e32 v30, vcc_lo, v31
	v_ashrrev_i32_e32 v21, 31, v21
	v_and_b32_e32 v29, v22, v29
	v_and_b32_e32 v28, v28, v30
	v_mul_u32_u24_e32 v25, 5, v2
	v_lshlrev_b32_e32 v25, 2, v25
	ds_write2_b32 v25, v20, v20 offset0:16 offset1:17
	ds_write2_b32 v25, v20, v20 offset0:18 offset1:19
	ds_write_b32 v25, v20 offset:80
	s_waitcnt lgkmcnt(0)
	s_barrier
	s_waitcnt lgkmcnt(0)
	; wave barrier
	s_waitcnt vmcnt(0)
	v_mad_u64_u32 v[22:23], s[2:3], v23, v26, v[2:3]
	v_lshrrev_b32_e32 v37, 6, v22
	v_xor_b32_e32 v22, s1, v21
	v_xor_b32_e32 v21, s0, v21
	v_and_b32_e32 v23, v29, v22
	v_and_b32_e32 v22, v28, v21
	v_mbcnt_lo_u32_b32 v21, v22, 0
	v_mbcnt_hi_u32_b32 v26, v23, v21
	v_cmp_eq_u32_e32 vcc, 0, v26
	v_cmp_ne_u64_e64 s[0:1], 0, v[22:23]
	v_add_lshl_u32 v30, v37, v27, 2
	s_and_b64 s[2:3], s[0:1], vcc
	s_and_saveexec_b64 s[0:1], s[2:3]
	s_cbranch_execz .LBB895_19
; %bb.18:
	v_bcnt_u32_b32 v21, v22, 0
	v_bcnt_u32_b32 v21, v23, v21
	ds_write_b32 v30, v21 offset:64
.LBB895_19:
	s_or_b64 exec, exec, s[0:1]
	v_lshrrev_b64 v[22:23], s16, v[4:5]
	v_and_b32_e32 v22, s27, v22
	v_lshl_add_u32 v21, v22, 4, v22
	v_add_lshl_u32 v31, v37, v21, 2
	v_and_b32_e32 v21, 1, v22
	v_add_co_u32_e32 v23, vcc, -1, v21
	v_addc_co_u32_e64 v28, s[0:1], 0, -1, vcc
	v_cmp_ne_u32_e32 vcc, 0, v21
	v_xor_b32_e32 v21, vcc_hi, v28
	v_and_b32_e32 v28, exec_hi, v21
	v_lshlrev_b32_e32 v21, 30, v22
	v_xor_b32_e32 v23, vcc_lo, v23
	v_cmp_gt_i64_e32 vcc, 0, v[20:21]
	v_not_b32_e32 v21, v21
	v_ashrrev_i32_e32 v21, 31, v21
	v_and_b32_e32 v23, exec_lo, v23
	v_xor_b32_e32 v29, vcc_hi, v21
	v_xor_b32_e32 v21, vcc_lo, v21
	v_and_b32_e32 v23, v23, v21
	v_lshlrev_b32_e32 v21, 29, v22
	v_cmp_gt_i64_e32 vcc, 0, v[20:21]
	v_not_b32_e32 v21, v21
	v_ashrrev_i32_e32 v21, 31, v21
	v_and_b32_e32 v28, v28, v29
	v_xor_b32_e32 v29, vcc_hi, v21
	v_xor_b32_e32 v21, vcc_lo, v21
	v_and_b32_e32 v23, v23, v21
	v_lshlrev_b32_e32 v21, 28, v22
	v_cmp_gt_i64_e32 vcc, 0, v[20:21]
	v_not_b32_e32 v21, v21
	v_ashrrev_i32_e32 v21, 31, v21
	v_and_b32_e32 v28, v28, v29
	;; [unrolled: 8-line block ×5, first 2 shown]
	v_xor_b32_e32 v29, vcc_hi, v21
	v_xor_b32_e32 v21, vcc_lo, v21
	v_and_b32_e32 v23, v23, v21
	v_lshlrev_b32_e32 v21, 24, v22
	v_cmp_gt_i64_e32 vcc, 0, v[20:21]
	v_not_b32_e32 v20, v21
	v_ashrrev_i32_e32 v20, 31, v20
	v_xor_b32_e32 v21, vcc_hi, v20
	v_xor_b32_e32 v20, vcc_lo, v20
	; wave barrier
	ds_read_b32 v27, v31 offset:64
	v_and_b32_e32 v28, v28, v29
	v_and_b32_e32 v20, v23, v20
	v_and_b32_e32 v21, v28, v21
	v_mbcnt_lo_u32_b32 v22, v20, 0
	v_mbcnt_hi_u32_b32 v28, v21, v22
	v_cmp_eq_u32_e32 vcc, 0, v28
	v_cmp_ne_u64_e64 s[0:1], 0, v[20:21]
	s_and_b64 s[2:3], s[0:1], vcc
	; wave barrier
	s_and_saveexec_b64 s[0:1], s[2:3]
	s_cbranch_execz .LBB895_21
; %bb.20:
	v_bcnt_u32_b32 v20, v20, 0
	v_bcnt_u32_b32 v20, v21, v20
	s_waitcnt lgkmcnt(0)
	v_add_u32_e32 v20, v27, v20
	ds_write_b32 v31, v20 offset:64
.LBB895_21:
	s_or_b64 exec, exec, s[0:1]
	v_lshrrev_b64 v[20:21], s16, v[10:11]
	v_and_b32_e32 v22, s27, v20
	v_and_b32_e32 v21, 1, v22
	v_add_co_u32_e32 v23, vcc, -1, v21
	v_addc_co_u32_e64 v32, s[0:1], 0, -1, vcc
	v_cmp_ne_u32_e32 vcc, 0, v21
	v_lshl_add_u32 v20, v22, 4, v22
	v_xor_b32_e32 v21, vcc_hi, v32
	v_add_lshl_u32 v34, v37, v20, 2
	v_mov_b32_e32 v20, 0
	v_and_b32_e32 v32, exec_hi, v21
	v_lshlrev_b32_e32 v21, 30, v22
	v_xor_b32_e32 v23, vcc_lo, v23
	v_cmp_gt_i64_e32 vcc, 0, v[20:21]
	v_not_b32_e32 v21, v21
	v_ashrrev_i32_e32 v21, 31, v21
	v_and_b32_e32 v23, exec_lo, v23
	v_xor_b32_e32 v33, vcc_hi, v21
	v_xor_b32_e32 v21, vcc_lo, v21
	v_and_b32_e32 v23, v23, v21
	v_lshlrev_b32_e32 v21, 29, v22
	v_cmp_gt_i64_e32 vcc, 0, v[20:21]
	v_not_b32_e32 v21, v21
	v_ashrrev_i32_e32 v21, 31, v21
	v_and_b32_e32 v32, v32, v33
	v_xor_b32_e32 v33, vcc_hi, v21
	v_xor_b32_e32 v21, vcc_lo, v21
	v_and_b32_e32 v23, v23, v21
	v_lshlrev_b32_e32 v21, 28, v22
	v_cmp_gt_i64_e32 vcc, 0, v[20:21]
	v_not_b32_e32 v21, v21
	v_ashrrev_i32_e32 v21, 31, v21
	v_and_b32_e32 v32, v32, v33
	v_xor_b32_e32 v33, vcc_hi, v21
	v_xor_b32_e32 v21, vcc_lo, v21
	v_and_b32_e32 v23, v23, v21
	v_lshlrev_b32_e32 v21, 27, v22
	v_cmp_gt_i64_e32 vcc, 0, v[20:21]
	v_not_b32_e32 v21, v21
	v_ashrrev_i32_e32 v21, 31, v21
	v_and_b32_e32 v32, v32, v33
	v_xor_b32_e32 v33, vcc_hi, v21
	v_xor_b32_e32 v21, vcc_lo, v21
	v_and_b32_e32 v23, v23, v21
	v_lshlrev_b32_e32 v21, 26, v22
	v_cmp_gt_i64_e32 vcc, 0, v[20:21]
	v_not_b32_e32 v21, v21
	v_ashrrev_i32_e32 v21, 31, v21
	v_and_b32_e32 v32, v32, v33
	v_xor_b32_e32 v33, vcc_hi, v21
	v_xor_b32_e32 v21, vcc_lo, v21
	v_and_b32_e32 v23, v23, v21
	v_lshlrev_b32_e32 v21, 25, v22
	v_cmp_gt_i64_e32 vcc, 0, v[20:21]
	v_not_b32_e32 v21, v21
	v_ashrrev_i32_e32 v21, 31, v21
	v_and_b32_e32 v32, v32, v33
	v_xor_b32_e32 v33, vcc_hi, v21
	v_xor_b32_e32 v21, vcc_lo, v21
	v_and_b32_e32 v32, v32, v33
	v_and_b32_e32 v33, v23, v21
	v_lshlrev_b32_e32 v21, 24, v22
	v_cmp_gt_i64_e32 vcc, 0, v[20:21]
	v_not_b32_e32 v21, v21
	v_ashrrev_i32_e32 v21, 31, v21
	v_xor_b32_e32 v22, vcc_hi, v21
	v_xor_b32_e32 v21, vcc_lo, v21
	; wave barrier
	ds_read_b32 v29, v34 offset:64
	v_and_b32_e32 v23, v32, v22
	v_and_b32_e32 v22, v33, v21
	v_mbcnt_lo_u32_b32 v21, v22, 0
	v_mbcnt_hi_u32_b32 v32, v23, v21
	v_cmp_eq_u32_e32 vcc, 0, v32
	v_cmp_ne_u64_e64 s[0:1], 0, v[22:23]
	s_and_b64 s[2:3], s[0:1], vcc
	; wave barrier
	s_and_saveexec_b64 s[0:1], s[2:3]
	s_cbranch_execz .LBB895_23
; %bb.22:
	v_bcnt_u32_b32 v21, v22, 0
	v_bcnt_u32_b32 v21, v23, v21
	s_waitcnt lgkmcnt(0)
	v_add_u32_e32 v21, v29, v21
	ds_write_b32 v34, v21 offset:64
.LBB895_23:
	s_or_b64 exec, exec, s[0:1]
	v_lshrrev_b64 v[22:23], s16, v[8:9]
	v_and_b32_e32 v22, s27, v22
	v_lshl_add_u32 v21, v22, 4, v22
	v_add_lshl_u32 v38, v37, v21, 2
	v_and_b32_e32 v21, 1, v22
	v_add_co_u32_e32 v23, vcc, -1, v21
	v_addc_co_u32_e64 v35, s[0:1], 0, -1, vcc
	v_cmp_ne_u32_e32 vcc, 0, v21
	v_xor_b32_e32 v21, vcc_hi, v35
	v_and_b32_e32 v35, exec_hi, v21
	v_lshlrev_b32_e32 v21, 30, v22
	v_xor_b32_e32 v23, vcc_lo, v23
	v_cmp_gt_i64_e32 vcc, 0, v[20:21]
	v_not_b32_e32 v21, v21
	v_ashrrev_i32_e32 v21, 31, v21
	v_and_b32_e32 v23, exec_lo, v23
	v_xor_b32_e32 v36, vcc_hi, v21
	v_xor_b32_e32 v21, vcc_lo, v21
	v_and_b32_e32 v23, v23, v21
	v_lshlrev_b32_e32 v21, 29, v22
	v_cmp_gt_i64_e32 vcc, 0, v[20:21]
	v_not_b32_e32 v21, v21
	v_ashrrev_i32_e32 v21, 31, v21
	v_and_b32_e32 v35, v35, v36
	v_xor_b32_e32 v36, vcc_hi, v21
	v_xor_b32_e32 v21, vcc_lo, v21
	v_and_b32_e32 v23, v23, v21
	v_lshlrev_b32_e32 v21, 28, v22
	v_cmp_gt_i64_e32 vcc, 0, v[20:21]
	v_not_b32_e32 v21, v21
	v_ashrrev_i32_e32 v21, 31, v21
	v_and_b32_e32 v35, v35, v36
	;; [unrolled: 8-line block ×5, first 2 shown]
	v_xor_b32_e32 v36, vcc_hi, v21
	v_xor_b32_e32 v21, vcc_lo, v21
	v_and_b32_e32 v23, v23, v21
	v_lshlrev_b32_e32 v21, 24, v22
	v_cmp_gt_i64_e32 vcc, 0, v[20:21]
	v_not_b32_e32 v20, v21
	v_ashrrev_i32_e32 v20, 31, v20
	v_xor_b32_e32 v21, vcc_hi, v20
	v_xor_b32_e32 v20, vcc_lo, v20
	; wave barrier
	ds_read_b32 v33, v38 offset:64
	v_and_b32_e32 v35, v35, v36
	v_and_b32_e32 v20, v23, v20
	;; [unrolled: 1-line block ×3, first 2 shown]
	v_mbcnt_lo_u32_b32 v22, v20, 0
	v_mbcnt_hi_u32_b32 v35, v21, v22
	v_cmp_eq_u32_e32 vcc, 0, v35
	v_cmp_ne_u64_e64 s[0:1], 0, v[20:21]
	s_and_b64 s[2:3], s[0:1], vcc
	; wave barrier
	s_and_saveexec_b64 s[0:1], s[2:3]
	s_cbranch_execz .LBB895_25
; %bb.24:
	v_bcnt_u32_b32 v20, v20, 0
	v_bcnt_u32_b32 v20, v21, v20
	s_waitcnt lgkmcnt(0)
	v_add_u32_e32 v20, v33, v20
	ds_write_b32 v38, v20 offset:64
.LBB895_25:
	s_or_b64 exec, exec, s[0:1]
	v_lshrrev_b64 v[20:21], s16, v[14:15]
	v_and_b32_e32 v22, s27, v20
	v_and_b32_e32 v21, 1, v22
	v_add_co_u32_e32 v23, vcc, -1, v21
	v_addc_co_u32_e64 v39, s[0:1], 0, -1, vcc
	v_cmp_ne_u32_e32 vcc, 0, v21
	v_lshl_add_u32 v20, v22, 4, v22
	v_xor_b32_e32 v21, vcc_hi, v39
	v_add_lshl_u32 v41, v37, v20, 2
	v_mov_b32_e32 v20, 0
	v_and_b32_e32 v39, exec_hi, v21
	v_lshlrev_b32_e32 v21, 30, v22
	v_xor_b32_e32 v23, vcc_lo, v23
	v_cmp_gt_i64_e32 vcc, 0, v[20:21]
	v_not_b32_e32 v21, v21
	v_ashrrev_i32_e32 v21, 31, v21
	v_and_b32_e32 v23, exec_lo, v23
	v_xor_b32_e32 v40, vcc_hi, v21
	v_xor_b32_e32 v21, vcc_lo, v21
	v_and_b32_e32 v23, v23, v21
	v_lshlrev_b32_e32 v21, 29, v22
	v_cmp_gt_i64_e32 vcc, 0, v[20:21]
	v_not_b32_e32 v21, v21
	v_ashrrev_i32_e32 v21, 31, v21
	v_and_b32_e32 v39, v39, v40
	v_xor_b32_e32 v40, vcc_hi, v21
	v_xor_b32_e32 v21, vcc_lo, v21
	v_and_b32_e32 v23, v23, v21
	v_lshlrev_b32_e32 v21, 28, v22
	v_cmp_gt_i64_e32 vcc, 0, v[20:21]
	v_not_b32_e32 v21, v21
	v_ashrrev_i32_e32 v21, 31, v21
	v_and_b32_e32 v39, v39, v40
	;; [unrolled: 8-line block ×5, first 2 shown]
	v_xor_b32_e32 v40, vcc_hi, v21
	v_xor_b32_e32 v21, vcc_lo, v21
	v_and_b32_e32 v39, v39, v40
	v_and_b32_e32 v40, v23, v21
	v_lshlrev_b32_e32 v21, 24, v22
	v_cmp_gt_i64_e32 vcc, 0, v[20:21]
	v_not_b32_e32 v21, v21
	v_ashrrev_i32_e32 v21, 31, v21
	v_xor_b32_e32 v22, vcc_hi, v21
	v_xor_b32_e32 v21, vcc_lo, v21
	; wave barrier
	ds_read_b32 v36, v41 offset:64
	v_and_b32_e32 v23, v39, v22
	v_and_b32_e32 v22, v40, v21
	v_mbcnt_lo_u32_b32 v21, v22, 0
	v_mbcnt_hi_u32_b32 v39, v23, v21
	v_cmp_eq_u32_e32 vcc, 0, v39
	v_cmp_ne_u64_e64 s[0:1], 0, v[22:23]
	s_and_b64 s[2:3], s[0:1], vcc
	; wave barrier
	s_and_saveexec_b64 s[0:1], s[2:3]
	s_cbranch_execz .LBB895_27
; %bb.26:
	v_bcnt_u32_b32 v21, v22, 0
	v_bcnt_u32_b32 v21, v23, v21
	s_waitcnt lgkmcnt(0)
	v_add_u32_e32 v21, v36, v21
	ds_write_b32 v41, v21 offset:64
.LBB895_27:
	s_or_b64 exec, exec, s[0:1]
	v_lshrrev_b64 v[22:23], s16, v[12:13]
	v_and_b32_e32 v22, s27, v22
	v_lshl_add_u32 v21, v22, 4, v22
	v_add_lshl_u32 v44, v37, v21, 2
	v_and_b32_e32 v21, 1, v22
	v_add_co_u32_e32 v23, vcc, -1, v21
	v_addc_co_u32_e64 v42, s[0:1], 0, -1, vcc
	v_cmp_ne_u32_e32 vcc, 0, v21
	v_xor_b32_e32 v21, vcc_hi, v42
	v_and_b32_e32 v42, exec_hi, v21
	v_lshlrev_b32_e32 v21, 30, v22
	v_xor_b32_e32 v23, vcc_lo, v23
	v_cmp_gt_i64_e32 vcc, 0, v[20:21]
	v_not_b32_e32 v21, v21
	v_ashrrev_i32_e32 v21, 31, v21
	v_and_b32_e32 v23, exec_lo, v23
	v_xor_b32_e32 v43, vcc_hi, v21
	v_xor_b32_e32 v21, vcc_lo, v21
	v_and_b32_e32 v23, v23, v21
	v_lshlrev_b32_e32 v21, 29, v22
	v_cmp_gt_i64_e32 vcc, 0, v[20:21]
	v_not_b32_e32 v21, v21
	v_ashrrev_i32_e32 v21, 31, v21
	v_and_b32_e32 v42, v42, v43
	v_xor_b32_e32 v43, vcc_hi, v21
	v_xor_b32_e32 v21, vcc_lo, v21
	v_and_b32_e32 v23, v23, v21
	v_lshlrev_b32_e32 v21, 28, v22
	v_cmp_gt_i64_e32 vcc, 0, v[20:21]
	v_not_b32_e32 v21, v21
	v_ashrrev_i32_e32 v21, 31, v21
	v_and_b32_e32 v42, v42, v43
	;; [unrolled: 8-line block ×5, first 2 shown]
	v_xor_b32_e32 v43, vcc_hi, v21
	v_xor_b32_e32 v21, vcc_lo, v21
	v_and_b32_e32 v23, v23, v21
	v_lshlrev_b32_e32 v21, 24, v22
	v_cmp_gt_i64_e32 vcc, 0, v[20:21]
	v_not_b32_e32 v20, v21
	v_ashrrev_i32_e32 v20, 31, v20
	v_xor_b32_e32 v21, vcc_hi, v20
	v_xor_b32_e32 v20, vcc_lo, v20
	; wave barrier
	ds_read_b32 v40, v44 offset:64
	v_and_b32_e32 v42, v42, v43
	v_and_b32_e32 v20, v23, v20
	v_and_b32_e32 v21, v42, v21
	v_mbcnt_lo_u32_b32 v22, v20, 0
	v_mbcnt_hi_u32_b32 v42, v21, v22
	v_cmp_eq_u32_e32 vcc, 0, v42
	v_cmp_ne_u64_e64 s[0:1], 0, v[20:21]
	s_and_b64 s[2:3], s[0:1], vcc
	; wave barrier
	s_and_saveexec_b64 s[0:1], s[2:3]
	s_cbranch_execz .LBB895_29
; %bb.28:
	v_bcnt_u32_b32 v20, v20, 0
	v_bcnt_u32_b32 v20, v21, v20
	s_waitcnt lgkmcnt(0)
	v_add_u32_e32 v20, v40, v20
	ds_write_b32 v44, v20 offset:64
.LBB895_29:
	s_or_b64 exec, exec, s[0:1]
	v_lshrrev_b64 v[20:21], s16, v[18:19]
	v_and_b32_e32 v22, s27, v20
	v_and_b32_e32 v21, 1, v22
	v_add_co_u32_e32 v23, vcc, -1, v21
	v_addc_co_u32_e64 v45, s[0:1], 0, -1, vcc
	v_cmp_ne_u32_e32 vcc, 0, v21
	v_lshl_add_u32 v20, v22, 4, v22
	v_xor_b32_e32 v21, vcc_hi, v45
	v_add_lshl_u32 v46, v37, v20, 2
	v_mov_b32_e32 v20, 0
	v_and_b32_e32 v45, exec_hi, v21
	v_lshlrev_b32_e32 v21, 30, v22
	v_xor_b32_e32 v23, vcc_lo, v23
	v_cmp_gt_i64_e32 vcc, 0, v[20:21]
	v_not_b32_e32 v21, v21
	v_ashrrev_i32_e32 v21, 31, v21
	v_and_b32_e32 v23, exec_lo, v23
	v_xor_b32_e32 v47, vcc_hi, v21
	v_xor_b32_e32 v21, vcc_lo, v21
	v_and_b32_e32 v23, v23, v21
	v_lshlrev_b32_e32 v21, 29, v22
	v_cmp_gt_i64_e32 vcc, 0, v[20:21]
	v_not_b32_e32 v21, v21
	v_ashrrev_i32_e32 v21, 31, v21
	v_and_b32_e32 v45, v45, v47
	v_xor_b32_e32 v47, vcc_hi, v21
	v_xor_b32_e32 v21, vcc_lo, v21
	v_and_b32_e32 v23, v23, v21
	v_lshlrev_b32_e32 v21, 28, v22
	v_cmp_gt_i64_e32 vcc, 0, v[20:21]
	v_not_b32_e32 v21, v21
	v_ashrrev_i32_e32 v21, 31, v21
	v_and_b32_e32 v45, v45, v47
	;; [unrolled: 8-line block ×5, first 2 shown]
	v_xor_b32_e32 v47, vcc_hi, v21
	v_xor_b32_e32 v21, vcc_lo, v21
	v_and_b32_e32 v45, v45, v47
	v_and_b32_e32 v47, v23, v21
	v_lshlrev_b32_e32 v21, 24, v22
	v_cmp_gt_i64_e32 vcc, 0, v[20:21]
	v_not_b32_e32 v21, v21
	v_ashrrev_i32_e32 v21, 31, v21
	v_xor_b32_e32 v22, vcc_hi, v21
	v_xor_b32_e32 v21, vcc_lo, v21
	; wave barrier
	ds_read_b32 v43, v46 offset:64
	v_and_b32_e32 v23, v45, v22
	v_and_b32_e32 v22, v47, v21
	v_mbcnt_lo_u32_b32 v21, v22, 0
	v_mbcnt_hi_u32_b32 v45, v23, v21
	v_cmp_eq_u32_e32 vcc, 0, v45
	v_cmp_ne_u64_e64 s[0:1], 0, v[22:23]
	s_and_b64 s[2:3], s[0:1], vcc
	; wave barrier
	s_and_saveexec_b64 s[0:1], s[2:3]
	s_cbranch_execz .LBB895_31
; %bb.30:
	v_bcnt_u32_b32 v21, v22, 0
	v_bcnt_u32_b32 v21, v23, v21
	s_waitcnt lgkmcnt(0)
	v_add_u32_e32 v21, v43, v21
	ds_write_b32 v46, v21 offset:64
.LBB895_31:
	s_or_b64 exec, exec, s[0:1]
	v_lshrrev_b64 v[22:23], s16, v[16:17]
	v_and_b32_e32 v22, s27, v22
	v_lshl_add_u32 v21, v22, 4, v22
	v_add_lshl_u32 v49, v37, v21, 2
	v_and_b32_e32 v21, 1, v22
	v_add_co_u32_e32 v23, vcc, -1, v21
	v_addc_co_u32_e64 v47, s[0:1], 0, -1, vcc
	v_cmp_ne_u32_e32 vcc, 0, v21
	v_xor_b32_e32 v21, vcc_hi, v47
	v_and_b32_e32 v47, exec_hi, v21
	v_lshlrev_b32_e32 v21, 30, v22
	v_xor_b32_e32 v23, vcc_lo, v23
	v_cmp_gt_i64_e32 vcc, 0, v[20:21]
	v_not_b32_e32 v21, v21
	v_ashrrev_i32_e32 v21, 31, v21
	v_and_b32_e32 v23, exec_lo, v23
	v_xor_b32_e32 v48, vcc_hi, v21
	v_xor_b32_e32 v21, vcc_lo, v21
	v_and_b32_e32 v23, v23, v21
	v_lshlrev_b32_e32 v21, 29, v22
	v_cmp_gt_i64_e32 vcc, 0, v[20:21]
	v_not_b32_e32 v21, v21
	v_ashrrev_i32_e32 v21, 31, v21
	v_and_b32_e32 v47, v47, v48
	v_xor_b32_e32 v48, vcc_hi, v21
	v_xor_b32_e32 v21, vcc_lo, v21
	v_and_b32_e32 v23, v23, v21
	v_lshlrev_b32_e32 v21, 28, v22
	v_cmp_gt_i64_e32 vcc, 0, v[20:21]
	v_not_b32_e32 v21, v21
	v_ashrrev_i32_e32 v21, 31, v21
	v_and_b32_e32 v47, v47, v48
	;; [unrolled: 8-line block ×5, first 2 shown]
	v_xor_b32_e32 v48, vcc_hi, v21
	v_xor_b32_e32 v21, vcc_lo, v21
	v_and_b32_e32 v23, v23, v21
	v_lshlrev_b32_e32 v21, 24, v22
	v_cmp_gt_i64_e32 vcc, 0, v[20:21]
	v_not_b32_e32 v20, v21
	v_ashrrev_i32_e32 v20, 31, v20
	v_xor_b32_e32 v21, vcc_hi, v20
	v_xor_b32_e32 v20, vcc_lo, v20
	; wave barrier
	ds_read_b32 v37, v49 offset:64
	v_and_b32_e32 v47, v47, v48
	v_and_b32_e32 v20, v23, v20
	;; [unrolled: 1-line block ×3, first 2 shown]
	v_mbcnt_lo_u32_b32 v22, v20, 0
	v_mbcnt_hi_u32_b32 v47, v21, v22
	v_cmp_eq_u32_e32 vcc, 0, v47
	v_cmp_ne_u64_e64 s[0:1], 0, v[20:21]
	v_add_u32_e32 v50, 64, v25
	s_and_b64 s[2:3], s[0:1], vcc
	; wave barrier
	s_and_saveexec_b64 s[0:1], s[2:3]
	s_cbranch_execz .LBB895_33
; %bb.32:
	v_bcnt_u32_b32 v20, v20, 0
	v_bcnt_u32_b32 v20, v21, v20
	s_waitcnt lgkmcnt(0)
	v_add_u32_e32 v20, v37, v20
	ds_write_b32 v49, v20 offset:64
.LBB895_33:
	s_or_b64 exec, exec, s[0:1]
	; wave barrier
	s_waitcnt lgkmcnt(0)
	s_barrier
	ds_read2_b32 v[22:23], v25 offset0:16 offset1:17
	ds_read2_b32 v[20:21], v50 offset0:2 offset1:3
	ds_read_b32 v48, v50 offset:16
	v_cmp_lt_u32_e64 s[10:11], 31, v24
	s_waitcnt lgkmcnt(1)
	v_add3_u32 v51, v23, v22, v20
	s_waitcnt lgkmcnt(0)
	v_add3_u32 v48, v51, v21, v48
	v_and_b32_e32 v51, 15, v24
	v_cmp_eq_u32_e32 vcc, 0, v51
	v_mov_b32_dpp v52, v48 row_shr:1 row_mask:0xf bank_mask:0xf
	v_cndmask_b32_e64 v52, v52, 0, vcc
	v_add_u32_e32 v48, v52, v48
	v_cmp_lt_u32_e64 s[0:1], 1, v51
	v_cmp_lt_u32_e64 s[2:3], 3, v51
	v_mov_b32_dpp v52, v48 row_shr:2 row_mask:0xf bank_mask:0xf
	v_cndmask_b32_e64 v52, 0, v52, s[0:1]
	v_add_u32_e32 v48, v48, v52
	v_cmp_lt_u32_e64 s[8:9], 7, v51
	s_nop 0
	v_mov_b32_dpp v52, v48 row_shr:4 row_mask:0xf bank_mask:0xf
	v_cndmask_b32_e64 v52, 0, v52, s[2:3]
	v_add_u32_e32 v48, v48, v52
	s_nop 1
	v_mov_b32_dpp v52, v48 row_shr:8 row_mask:0xf bank_mask:0xf
	v_cndmask_b32_e64 v51, 0, v52, s[8:9]
	v_add_u32_e32 v48, v48, v51
	v_bfe_i32 v52, v24, 4, 1
	s_nop 0
	v_mov_b32_dpp v51, v48 row_bcast:15 row_mask:0xf bank_mask:0xf
	v_and_b32_e32 v51, v52, v51
	v_add_u32_e32 v48, v48, v51
	v_lshrrev_b32_e32 v52, 6, v2
	s_nop 0
	v_mov_b32_dpp v51, v48 row_bcast:31 row_mask:0xf bank_mask:0xf
	v_cndmask_b32_e64 v51, 0, v51, s[10:11]
	v_add_u32_e32 v51, v48, v51
	v_and_b32_e32 v48, 63, v2
	v_cmp_eq_u32_e64 s[10:11], 63, v48
	s_and_saveexec_b64 s[18:19], s[10:11]
	s_cbranch_execz .LBB895_35
; %bb.34:
	v_lshlrev_b32_e32 v48, 2, v52
	ds_write_b32 v48, v51
.LBB895_35:
	s_or_b64 exec, exec, s[18:19]
	v_cmp_gt_u32_e64 s[10:11], 16, v2
	v_lshlrev_b32_e32 v48, 2, v2
	s_waitcnt lgkmcnt(0)
	s_barrier
	s_and_saveexec_b64 s[18:19], s[10:11]
	s_cbranch_execz .LBB895_37
; %bb.36:
	ds_read_b32 v53, v48
	s_waitcnt lgkmcnt(0)
	s_nop 0
	v_mov_b32_dpp v54, v53 row_shr:1 row_mask:0xf bank_mask:0xf
	v_cndmask_b32_e64 v54, v54, 0, vcc
	v_add_u32_e32 v53, v54, v53
	s_nop 1
	v_mov_b32_dpp v54, v53 row_shr:2 row_mask:0xf bank_mask:0xf
	v_cndmask_b32_e64 v54, 0, v54, s[0:1]
	v_add_u32_e32 v53, v53, v54
	s_nop 1
	v_mov_b32_dpp v54, v53 row_shr:4 row_mask:0xf bank_mask:0xf
	v_cndmask_b32_e64 v54, 0, v54, s[2:3]
	;; [unrolled: 4-line block ×3, first 2 shown]
	v_add_u32_e32 v53, v53, v54
	ds_write_b32 v48, v53
.LBB895_37:
	s_or_b64 exec, exec, s[18:19]
	v_cmp_lt_u32_e32 vcc, 63, v2
	v_mov_b32_e32 v53, 0
	s_waitcnt lgkmcnt(0)
	s_barrier
	s_and_saveexec_b64 s[0:1], vcc
	s_cbranch_execz .LBB895_39
; %bb.38:
	v_lshl_add_u32 v52, v52, 2, -4
	ds_read_b32 v53, v52
.LBB895_39:
	s_or_b64 exec, exec, s[0:1]
	v_add_u32_e32 v52, -1, v24
	v_and_b32_e32 v54, 64, v24
	v_cmp_lt_i32_e32 vcc, v52, v54
	v_cndmask_b32_e32 v52, v52, v24, vcc
	s_waitcnt lgkmcnt(0)
	v_add_u32_e32 v51, v53, v51
	v_lshlrev_b32_e32 v52, 2, v52
	ds_bpermute_b32 v51, v52, v51
	v_cmp_eq_u32_e32 vcc, 0, v24
	s_movk_i32 s0, 0x100
	s_waitcnt lgkmcnt(0)
	v_cndmask_b32_e32 v24, v51, v53, vcc
	v_cmp_ne_u32_e32 vcc, 0, v2
	v_cndmask_b32_e32 v24, 0, v24, vcc
	v_add_u32_e32 v22, v24, v22
	v_add_u32_e32 v23, v22, v23
	;; [unrolled: 1-line block ×4, first 2 shown]
	ds_write2_b32 v25, v24, v22 offset0:16 offset1:17
	ds_write2_b32 v50, v23, v20 offset0:2 offset1:3
	ds_write_b32 v50, v21 offset:16
	s_waitcnt lgkmcnt(0)
	s_barrier
	ds_read_b32 v51, v30 offset:64
	ds_read_b32 v50, v31 offset:64
	;; [unrolled: 1-line block ×8, first 2 shown]
	v_cmp_gt_u32_e32 vcc, s0, v2
                                        ; implicit-def: $vgpr30
                                        ; implicit-def: $vgpr31
	s_and_saveexec_b64 s[2:3], vcc
	s_cbranch_execz .LBB895_43
; %bb.40:
	v_mul_u32_u24_e32 v20, 17, v2
	v_lshlrev_b32_e32 v21, 2, v20
	ds_read_b32 v30, v21 offset:64
	s_movk_i32 s0, 0xff
	v_cmp_ne_u32_e64 s[0:1], s0, v2
	v_mov_b32_e32 v20, 0x2000
	s_and_saveexec_b64 s[8:9], s[0:1]
	s_cbranch_execz .LBB895_42
; %bb.41:
	ds_read_b32 v20, v21 offset:132
.LBB895_42:
	s_or_b64 exec, exec, s[8:9]
	s_waitcnt lgkmcnt(0)
	v_sub_u32_e32 v31, v20, v30
.LBB895_43:
	s_or_b64 exec, exec, s[2:3]
	s_waitcnt lgkmcnt(0)
	s_barrier
	s_and_saveexec_b64 s[2:3], vcc
	s_cbranch_execz .LBB895_53
; %bb.44:
	v_lshl_or_b32 v20, s6, 8, v2
	v_mov_b32_e32 v21, 0
	v_lshlrev_b64 v[22:23], 2, v[20:21]
	v_mov_b32_e32 v52, s25
	v_add_co_u32_e64 v22, s[0:1], s24, v22
	v_addc_co_u32_e64 v23, s[0:1], v52, v23, s[0:1]
	v_or_b32_e32 v20, 2.0, v31
	s_mov_b64 s[8:9], 0
	s_brev_b32 s28, 1
	s_mov_b32 s29, s6
	v_mov_b32_e32 v53, 0
	global_store_dword v[22:23], v20, off
                                        ; implicit-def: $sgpr0_sgpr1
	s_branch .LBB895_46
.LBB895_45:                             ;   in Loop: Header=BB895_46 Depth=1
	s_or_b64 exec, exec, s[10:11]
	v_and_b32_e32 v24, 0x3fffffff, v54
	v_add_u32_e32 v53, v24, v53
	v_cmp_eq_u32_e64 s[0:1], s28, v20
	s_and_b64 s[10:11], exec, s[0:1]
	s_or_b64 s[8:9], s[10:11], s[8:9]
	s_andn2_b64 exec, exec, s[8:9]
	s_cbranch_execz .LBB895_52
.LBB895_46:                             ; =>This Loop Header: Depth=1
                                        ;     Child Loop BB895_49 Depth 2
	s_or_b64 s[0:1], s[0:1], exec
	s_cmp_eq_u32 s29, 0
	s_cbranch_scc1 .LBB895_51
; %bb.47:                               ;   in Loop: Header=BB895_46 Depth=1
	s_add_i32 s29, s29, -1
	v_lshl_or_b32 v20, s29, 8, v2
	v_lshlrev_b64 v[24:25], 2, v[20:21]
	v_add_co_u32_e64 v24, s[0:1], s24, v24
	v_addc_co_u32_e64 v25, s[0:1], v52, v25, s[0:1]
	global_load_dword v54, v[24:25], off glc
	s_waitcnt vmcnt(0)
	v_and_b32_e32 v20, -2.0, v54
	v_cmp_eq_u32_e64 s[0:1], 0, v20
	s_and_saveexec_b64 s[10:11], s[0:1]
	s_cbranch_execz .LBB895_45
; %bb.48:                               ;   in Loop: Header=BB895_46 Depth=1
	s_mov_b64 s[18:19], 0
.LBB895_49:                             ;   Parent Loop BB895_46 Depth=1
                                        ; =>  This Inner Loop Header: Depth=2
	global_load_dword v54, v[24:25], off glc
	s_waitcnt vmcnt(0)
	v_and_b32_e32 v20, -2.0, v54
	v_cmp_ne_u32_e64 s[0:1], 0, v20
	s_or_b64 s[18:19], s[0:1], s[18:19]
	s_andn2_b64 exec, exec, s[18:19]
	s_cbranch_execnz .LBB895_49
; %bb.50:                               ;   in Loop: Header=BB895_46 Depth=1
	s_or_b64 exec, exec, s[18:19]
	s_branch .LBB895_45
.LBB895_51:                             ;   in Loop: Header=BB895_46 Depth=1
                                        ; implicit-def: $sgpr29
	s_and_b64 s[10:11], exec, s[0:1]
	s_or_b64 s[8:9], s[10:11], s[8:9]
	s_andn2_b64 exec, exec, s[8:9]
	s_cbranch_execnz .LBB895_46
.LBB895_52:
	s_or_b64 exec, exec, s[8:9]
	v_add_u32_e32 v20, v53, v31
	v_or_b32_e32 v20, 0x80000000, v20
	global_store_dword v[22:23], v20, off
	global_load_dword v20, v48, s[12:13]
	v_sub_u32_e32 v21, v53, v30
	s_waitcnt vmcnt(0)
	v_add_u32_e32 v20, v21, v20
	ds_write_b32 v48, v20
.LBB895_53:
	s_or_b64 exec, exec, s[2:3]
	v_add_u32_e32 v22, v51, v26
	s_movk_i32 s8, 0x400
	v_add_u32_e32 v23, 0x400, v3
	v_add3_u32 v24, v47, v49, v37
	v_add3_u32 v25, v45, v46, v43
	;; [unrolled: 1-line block ×7, first 2 shown]
	s_mov_b32 s9, 0
	v_mov_b32_e32 v21, 0
	v_mov_b32_e32 v28, v2
	s_branch .LBB895_55
.LBB895_54:                             ;   in Loop: Header=BB895_55 Depth=1
	s_or_b64 exec, exec, s[2:3]
	s_addk_i32 s9, 0xf800
	s_cmpk_eq_i32 s9, 0xe000
	v_add_u32_e32 v28, 0x800, v28
	s_barrier
	s_cbranch_scc1 .LBB895_60
.LBB895_55:                             ; =>This Inner Loop Header: Depth=1
	v_add_u32_e32 v20, s9, v22
	v_min_u32_e32 v20, 0x800, v20
	v_lshlrev_b32_e32 v20, 3, v20
	ds_write_b64 v20, v[6:7] offset:1024
	v_add_u32_e32 v20, s9, v27
	v_min_u32_e32 v20, 0x800, v20
	v_lshlrev_b32_e32 v20, 3, v20
	ds_write_b64 v20, v[4:5] offset:1024
	v_add_u32_e32 v20, s9, v29
	v_min_u32_e32 v20, 0x800, v20
	v_lshlrev_b32_e32 v20, 3, v20
	ds_write_b64 v20, v[10:11] offset:1024
	v_add_u32_e32 v20, s9, v33
	v_min_u32_e32 v20, 0x800, v20
	v_lshlrev_b32_e32 v20, 3, v20
	ds_write_b64 v20, v[8:9] offset:1024
	v_add_u32_e32 v20, s9, v36
	v_min_u32_e32 v20, 0x800, v20
	v_lshlrev_b32_e32 v20, 3, v20
	ds_write_b64 v20, v[14:15] offset:1024
	v_add_u32_e32 v20, s9, v26
	v_min_u32_e32 v20, 0x800, v20
	v_lshlrev_b32_e32 v20, 3, v20
	ds_write_b64 v20, v[12:13] offset:1024
	v_add_u32_e32 v20, s9, v25
	v_min_u32_e32 v20, 0x800, v20
	v_lshlrev_b32_e32 v20, 3, v20
	ds_write_b64 v20, v[18:19] offset:1024
	v_add_u32_e32 v20, s9, v24
	v_min_u32_e32 v20, 0x800, v20
	v_lshlrev_b32_e32 v20, 3, v20
	v_cmp_gt_u32_e64 s[0:1], s7, v28
	ds_write_b64 v20, v[16:17] offset:1024
	s_waitcnt lgkmcnt(0)
	s_barrier
	s_and_saveexec_b64 s[2:3], s[0:1]
	s_cbranch_execz .LBB895_57
; %bb.56:                               ;   in Loop: Header=BB895_55 Depth=1
	ds_read_b64 v[34:35], v3 offset:1024
	v_mov_b32_e32 v32, s23
	s_waitcnt lgkmcnt(0)
	v_lshrrev_b64 v[38:39], s16, v[34:35]
	v_and_b32_e32 v20, s27, v38
	v_lshlrev_b32_e32 v20, 2, v20
	ds_read_b32 v20, v20
	s_waitcnt lgkmcnt(0)
	v_add_u32_e32 v20, v28, v20
	v_lshlrev_b64 v[38:39], 3, v[20:21]
	v_add_co_u32_e64 v38, s[0:1], s22, v38
	v_addc_co_u32_e64 v39, s[0:1], v32, v39, s[0:1]
	global_store_dwordx2 v[38:39], v[34:35], off
.LBB895_57:                             ;   in Loop: Header=BB895_55 Depth=1
	s_or_b64 exec, exec, s[2:3]
	v_add_u32_e32 v20, 0x400, v28
	v_cmp_gt_u32_e64 s[0:1], s7, v20
	s_and_saveexec_b64 s[2:3], s[0:1]
	s_cbranch_execz .LBB895_54
; %bb.58:                               ;   in Loop: Header=BB895_55 Depth=1
	ds_read_b64 v[34:35], v23 offset:8192
	v_mov_b32_e32 v32, s23
	s_waitcnt lgkmcnt(0)
	v_lshrrev_b64 v[38:39], s16, v[34:35]
	v_and_b32_e32 v20, s27, v38
	v_lshlrev_b32_e32 v20, 2, v20
	ds_read_b32 v20, v20
	s_waitcnt lgkmcnt(0)
	v_add3_u32 v20, v28, v20, s8
	v_lshlrev_b64 v[38:39], 3, v[20:21]
	v_add_co_u32_e64 v38, s[0:1], s22, v38
	v_addc_co_u32_e64 v39, s[0:1], v32, v39, s[0:1]
	global_store_dwordx2 v[38:39], v[34:35], off
	s_branch .LBB895_54
.LBB895_59:
	s_mov_b64 s[10:11], 0
                                        ; implicit-def: $vgpr4
                                        ; implicit-def: $vgpr2
	s_cbranch_execnz .LBB895_63
	s_branch .LBB895_104
.LBB895_60:
	s_add_i32 s26, s26, -1
	s_cmp_eq_u32 s26, s6
	s_cselect_b64 s[0:1], -1, 0
	s_and_b64 s[2:3], vcc, s[0:1]
	s_mov_b64 s[0:1], 0
	s_mov_b64 s[10:11], 0
                                        ; implicit-def: $vgpr4
	s_and_saveexec_b64 s[8:9], s[2:3]
	s_xor_b64 s[2:3], exec, s[8:9]
; %bb.61:
	s_mov_b64 s[10:11], exec
	v_add_u32_e32 v4, v30, v31
; %bb.62:
	s_or_b64 exec, exec, s[2:3]
	s_and_b64 vcc, exec, s[0:1]
	s_cbranch_vccz .LBB895_104
.LBB895_63:
	s_lshl_b32 s0, s6, 13
	s_mov_b32 s1, 0
	v_mbcnt_hi_u32_b32 v22, -1, v1
	s_lshl_b64 s[0:1], s[0:1], 3
	v_and_b32_e32 v1, 63, v22
	s_add_u32 s0, s20, s0
	v_lshlrev_b32_e32 v1, 3, v1
	v_add_co_u32_e32 v1, vcc, s0, v1
	s_load_dword s7, s[4:5], 0x58
	s_load_dword s0, s[4:5], 0x64
	v_and_b32_e32 v2, 0x3ff, v0
	s_addc_u32 s1, s21, s1
	v_mov_b32_e32 v3, s1
	v_lshlrev_b32_e32 v4, 6, v2
	v_addc_co_u32_e32 v3, vcc, 0, v3, vcc
	v_and_b32_e32 v4, 0xf000, v4
	s_add_u32 s1, s4, 0x58
	v_add_co_u32_e32 v20, vcc, v1, v4
	s_addc_u32 s2, s5, 0
	s_waitcnt lgkmcnt(0)
	s_lshr_b32 s3, s0, 16
	v_addc_co_u32_e32 v21, vcc, 0, v3, vcc
	s_cmp_lt_u32 s6, s7
	global_load_dwordx2 v[4:5], v[20:21], off
	s_cselect_b32 s0, 12, 18
	s_add_u32 s0, s1, s0
	v_mov_b32_e32 v18, 0
	s_addc_u32 s1, s2, 0
	global_load_ushort v3, v18, s[0:1]
	v_mul_u32_u24_e32 v6, 5, v2
	v_lshlrev_b32_e32 v23, 2, v6
	v_bfe_u32 v1, v0, 10, 10
	v_bfe_u32 v0, v0, 20, 10
	ds_write2_b32 v23, v18, v18 offset0:16 offset1:17
	ds_write2_b32 v23, v18, v18 offset0:18 offset1:19
	ds_write_b32 v23, v18 offset:80
	v_mad_u32_u24 v24, v0, s3, v1
	global_load_dwordx2 v[0:1], v[20:21], off offset:512
	global_load_dwordx2 v[6:7], v[20:21], off offset:1024
	;; [unrolled: 1-line block ×7, first 2 shown]
	s_lshl_b32 s0, -1, s17
	s_not_b32 s17, s0
	s_waitcnt lgkmcnt(0)
	s_barrier
	s_waitcnt lgkmcnt(0)
	; wave barrier
	s_waitcnt vmcnt(8)
	v_lshrrev_b64 v[20:21], s16, v[4:5]
	v_and_b32_e32 v26, s17, v20
	v_and_b32_e32 v27, 1, v26
	v_lshlrev_b32_e32 v19, 30, v26
	v_lshl_add_u32 v25, v26, 4, v26
	s_waitcnt vmcnt(7)
	v_mad_u64_u32 v[20:21], s[0:1], v24, v3, v[2:3]
	v_add_co_u32_e32 v3, vcc, -1, v27
	v_addc_co_u32_e64 v21, s[0:1], 0, -1, vcc
	v_cmp_ne_u32_e32 vcc, 0, v27
	v_cmp_gt_i64_e64 s[0:1], 0, v[18:19]
	v_not_b32_e32 v24, v19
	v_lshlrev_b32_e32 v19, 29, v26
	v_lshrrev_b32_e32 v32, 6, v20
	v_xor_b32_e32 v20, vcc_hi, v21
	v_xor_b32_e32 v3, vcc_lo, v3
	v_ashrrev_i32_e32 v21, 31, v24
	v_cmp_gt_i64_e32 vcc, 0, v[18:19]
	v_not_b32_e32 v24, v19
	v_lshlrev_b32_e32 v19, 28, v26
	v_and_b32_e32 v20, exec_hi, v20
	v_and_b32_e32 v3, exec_lo, v3
	v_xor_b32_e32 v27, s1, v21
	v_xor_b32_e32 v21, s0, v21
	v_ashrrev_i32_e32 v24, 31, v24
	v_cmp_gt_i64_e64 s[0:1], 0, v[18:19]
	v_not_b32_e32 v28, v19
	v_lshlrev_b32_e32 v19, 27, v26
	v_and_b32_e32 v20, v20, v27
	v_and_b32_e32 v3, v3, v21
	v_xor_b32_e32 v21, vcc_hi, v24
	v_xor_b32_e32 v24, vcc_lo, v24
	v_ashrrev_i32_e32 v27, 31, v28
	v_cmp_gt_i64_e32 vcc, 0, v[18:19]
	v_not_b32_e32 v19, v19
	v_and_b32_e32 v20, v20, v21
	v_and_b32_e32 v3, v3, v24
	v_xor_b32_e32 v21, s1, v27
	v_xor_b32_e32 v24, s0, v27
	v_ashrrev_i32_e32 v19, 31, v19
	v_and_b32_e32 v20, v20, v21
	v_and_b32_e32 v3, v3, v24
	v_xor_b32_e32 v21, vcc_hi, v19
	v_xor_b32_e32 v19, vcc_lo, v19
	v_and_b32_e32 v3, v3, v19
	v_lshlrev_b32_e32 v19, 26, v26
	v_cmp_gt_i64_e32 vcc, 0, v[18:19]
	v_not_b32_e32 v19, v19
	v_ashrrev_i32_e32 v19, 31, v19
	v_and_b32_e32 v20, v20, v21
	v_xor_b32_e32 v21, vcc_hi, v19
	v_xor_b32_e32 v19, vcc_lo, v19
	v_and_b32_e32 v3, v3, v19
	v_lshlrev_b32_e32 v19, 25, v26
	v_cmp_gt_i64_e32 vcc, 0, v[18:19]
	v_not_b32_e32 v19, v19
	v_ashrrev_i32_e32 v19, 31, v19
	;; [unrolled: 8-line block ×3, first 2 shown]
	v_and_b32_e32 v20, v20, v21
	v_xor_b32_e32 v21, vcc_hi, v19
	v_xor_b32_e32 v19, vcc_lo, v19
	v_and_b32_e32 v21, v20, v21
	v_and_b32_e32 v20, v3, v19
	v_mbcnt_lo_u32_b32 v3, v20, 0
	v_mbcnt_hi_u32_b32 v3, v21, v3
	v_cmp_eq_u32_e32 vcc, 0, v3
	v_cmp_ne_u64_e64 s[0:1], 0, v[20:21]
	v_add_lshl_u32 v25, v32, v25, 2
	s_and_b64 s[2:3], s[0:1], vcc
	s_and_saveexec_b64 s[0:1], s[2:3]
	s_cbranch_execz .LBB895_65
; %bb.64:
	v_bcnt_u32_b32 v19, v20, 0
	v_bcnt_u32_b32 v19, v21, v19
	ds_write_b32 v25, v19 offset:64
.LBB895_65:
	s_or_b64 exec, exec, s[0:1]
	s_waitcnt vmcnt(6)
	v_lshrrev_b64 v[20:21], s16, v[0:1]
	v_and_b32_e32 v20, s17, v20
	v_lshl_add_u32 v19, v20, 4, v20
	v_add_lshl_u32 v28, v32, v19, 2
	v_and_b32_e32 v19, 1, v20
	v_add_co_u32_e32 v21, vcc, -1, v19
	v_addc_co_u32_e64 v26, s[0:1], 0, -1, vcc
	v_cmp_ne_u32_e32 vcc, 0, v19
	v_xor_b32_e32 v19, vcc_hi, v26
	v_and_b32_e32 v26, exec_hi, v19
	v_lshlrev_b32_e32 v19, 30, v20
	v_xor_b32_e32 v21, vcc_lo, v21
	v_cmp_gt_i64_e32 vcc, 0, v[18:19]
	v_not_b32_e32 v19, v19
	v_ashrrev_i32_e32 v19, 31, v19
	v_and_b32_e32 v21, exec_lo, v21
	v_xor_b32_e32 v27, vcc_hi, v19
	v_xor_b32_e32 v19, vcc_lo, v19
	v_and_b32_e32 v21, v21, v19
	v_lshlrev_b32_e32 v19, 29, v20
	v_cmp_gt_i64_e32 vcc, 0, v[18:19]
	v_not_b32_e32 v19, v19
	v_ashrrev_i32_e32 v19, 31, v19
	v_and_b32_e32 v26, v26, v27
	v_xor_b32_e32 v27, vcc_hi, v19
	v_xor_b32_e32 v19, vcc_lo, v19
	v_and_b32_e32 v21, v21, v19
	v_lshlrev_b32_e32 v19, 28, v20
	v_cmp_gt_i64_e32 vcc, 0, v[18:19]
	v_not_b32_e32 v19, v19
	v_ashrrev_i32_e32 v19, 31, v19
	v_and_b32_e32 v26, v26, v27
	;; [unrolled: 8-line block ×5, first 2 shown]
	v_xor_b32_e32 v27, vcc_hi, v19
	v_xor_b32_e32 v19, vcc_lo, v19
	v_and_b32_e32 v21, v21, v19
	v_lshlrev_b32_e32 v19, 24, v20
	v_cmp_gt_i64_e32 vcc, 0, v[18:19]
	v_not_b32_e32 v18, v19
	v_ashrrev_i32_e32 v18, 31, v18
	v_xor_b32_e32 v19, vcc_hi, v18
	v_xor_b32_e32 v18, vcc_lo, v18
	; wave barrier
	ds_read_b32 v24, v28 offset:64
	v_and_b32_e32 v26, v26, v27
	v_and_b32_e32 v18, v21, v18
	;; [unrolled: 1-line block ×3, first 2 shown]
	v_mbcnt_lo_u32_b32 v20, v18, 0
	v_mbcnt_hi_u32_b32 v26, v19, v20
	v_cmp_eq_u32_e32 vcc, 0, v26
	v_cmp_ne_u64_e64 s[0:1], 0, v[18:19]
	s_and_b64 s[2:3], s[0:1], vcc
	; wave barrier
	s_and_saveexec_b64 s[0:1], s[2:3]
	s_cbranch_execz .LBB895_67
; %bb.66:
	v_bcnt_u32_b32 v18, v18, 0
	v_bcnt_u32_b32 v18, v19, v18
	s_waitcnt lgkmcnt(0)
	v_add_u32_e32 v18, v24, v18
	ds_write_b32 v28, v18 offset:64
.LBB895_67:
	s_or_b64 exec, exec, s[0:1]
	s_waitcnt vmcnt(5)
	v_lshrrev_b64 v[18:19], s16, v[6:7]
	v_and_b32_e32 v20, s17, v18
	v_and_b32_e32 v19, 1, v20
	v_add_co_u32_e32 v21, vcc, -1, v19
	v_addc_co_u32_e64 v29, s[0:1], 0, -1, vcc
	v_cmp_ne_u32_e32 vcc, 0, v19
	v_lshl_add_u32 v18, v20, 4, v20
	v_xor_b32_e32 v19, vcc_hi, v29
	v_add_lshl_u32 v31, v32, v18, 2
	v_mov_b32_e32 v18, 0
	v_and_b32_e32 v29, exec_hi, v19
	v_lshlrev_b32_e32 v19, 30, v20
	v_xor_b32_e32 v21, vcc_lo, v21
	v_cmp_gt_i64_e32 vcc, 0, v[18:19]
	v_not_b32_e32 v19, v19
	v_ashrrev_i32_e32 v19, 31, v19
	v_and_b32_e32 v21, exec_lo, v21
	v_xor_b32_e32 v30, vcc_hi, v19
	v_xor_b32_e32 v19, vcc_lo, v19
	v_and_b32_e32 v21, v21, v19
	v_lshlrev_b32_e32 v19, 29, v20
	v_cmp_gt_i64_e32 vcc, 0, v[18:19]
	v_not_b32_e32 v19, v19
	v_ashrrev_i32_e32 v19, 31, v19
	v_and_b32_e32 v29, v29, v30
	v_xor_b32_e32 v30, vcc_hi, v19
	v_xor_b32_e32 v19, vcc_lo, v19
	v_and_b32_e32 v21, v21, v19
	v_lshlrev_b32_e32 v19, 28, v20
	v_cmp_gt_i64_e32 vcc, 0, v[18:19]
	v_not_b32_e32 v19, v19
	v_ashrrev_i32_e32 v19, 31, v19
	v_and_b32_e32 v29, v29, v30
	;; [unrolled: 8-line block ×5, first 2 shown]
	v_xor_b32_e32 v30, vcc_hi, v19
	v_xor_b32_e32 v19, vcc_lo, v19
	v_and_b32_e32 v29, v29, v30
	v_and_b32_e32 v30, v21, v19
	v_lshlrev_b32_e32 v19, 24, v20
	v_cmp_gt_i64_e32 vcc, 0, v[18:19]
	v_not_b32_e32 v19, v19
	v_ashrrev_i32_e32 v19, 31, v19
	v_xor_b32_e32 v20, vcc_hi, v19
	v_xor_b32_e32 v19, vcc_lo, v19
	; wave barrier
	ds_read_b32 v27, v31 offset:64
	v_and_b32_e32 v21, v29, v20
	v_and_b32_e32 v20, v30, v19
	v_mbcnt_lo_u32_b32 v19, v20, 0
	v_mbcnt_hi_u32_b32 v29, v21, v19
	v_cmp_eq_u32_e32 vcc, 0, v29
	v_cmp_ne_u64_e64 s[0:1], 0, v[20:21]
	s_and_b64 s[2:3], s[0:1], vcc
	; wave barrier
	s_and_saveexec_b64 s[0:1], s[2:3]
	s_cbranch_execz .LBB895_69
; %bb.68:
	v_bcnt_u32_b32 v19, v20, 0
	v_bcnt_u32_b32 v19, v21, v19
	s_waitcnt lgkmcnt(0)
	v_add_u32_e32 v19, v27, v19
	ds_write_b32 v31, v19 offset:64
.LBB895_69:
	s_or_b64 exec, exec, s[0:1]
	s_waitcnt vmcnt(4)
	v_lshrrev_b64 v[20:21], s16, v[8:9]
	v_and_b32_e32 v20, s17, v20
	v_lshl_add_u32 v19, v20, 4, v20
	v_add_lshl_u32 v35, v32, v19, 2
	v_and_b32_e32 v19, 1, v20
	v_add_co_u32_e32 v21, vcc, -1, v19
	v_addc_co_u32_e64 v33, s[0:1], 0, -1, vcc
	v_cmp_ne_u32_e32 vcc, 0, v19
	v_xor_b32_e32 v19, vcc_hi, v33
	v_and_b32_e32 v33, exec_hi, v19
	v_lshlrev_b32_e32 v19, 30, v20
	v_xor_b32_e32 v21, vcc_lo, v21
	v_cmp_gt_i64_e32 vcc, 0, v[18:19]
	v_not_b32_e32 v19, v19
	v_ashrrev_i32_e32 v19, 31, v19
	v_and_b32_e32 v21, exec_lo, v21
	v_xor_b32_e32 v34, vcc_hi, v19
	v_xor_b32_e32 v19, vcc_lo, v19
	v_and_b32_e32 v21, v21, v19
	v_lshlrev_b32_e32 v19, 29, v20
	v_cmp_gt_i64_e32 vcc, 0, v[18:19]
	v_not_b32_e32 v19, v19
	v_ashrrev_i32_e32 v19, 31, v19
	v_and_b32_e32 v33, v33, v34
	v_xor_b32_e32 v34, vcc_hi, v19
	v_xor_b32_e32 v19, vcc_lo, v19
	v_and_b32_e32 v21, v21, v19
	v_lshlrev_b32_e32 v19, 28, v20
	v_cmp_gt_i64_e32 vcc, 0, v[18:19]
	v_not_b32_e32 v19, v19
	v_ashrrev_i32_e32 v19, 31, v19
	v_and_b32_e32 v33, v33, v34
	;; [unrolled: 8-line block ×5, first 2 shown]
	v_xor_b32_e32 v34, vcc_hi, v19
	v_xor_b32_e32 v19, vcc_lo, v19
	v_and_b32_e32 v21, v21, v19
	v_lshlrev_b32_e32 v19, 24, v20
	v_cmp_gt_i64_e32 vcc, 0, v[18:19]
	v_not_b32_e32 v18, v19
	v_ashrrev_i32_e32 v18, 31, v18
	v_xor_b32_e32 v19, vcc_hi, v18
	v_xor_b32_e32 v18, vcc_lo, v18
	; wave barrier
	ds_read_b32 v30, v35 offset:64
	v_and_b32_e32 v33, v33, v34
	v_and_b32_e32 v18, v21, v18
	;; [unrolled: 1-line block ×3, first 2 shown]
	v_mbcnt_lo_u32_b32 v20, v18, 0
	v_mbcnt_hi_u32_b32 v33, v19, v20
	v_cmp_eq_u32_e32 vcc, 0, v33
	v_cmp_ne_u64_e64 s[0:1], 0, v[18:19]
	s_and_b64 s[2:3], s[0:1], vcc
	; wave barrier
	s_and_saveexec_b64 s[0:1], s[2:3]
	s_cbranch_execz .LBB895_71
; %bb.70:
	v_bcnt_u32_b32 v18, v18, 0
	v_bcnt_u32_b32 v18, v19, v18
	s_waitcnt lgkmcnt(0)
	v_add_u32_e32 v18, v30, v18
	ds_write_b32 v35, v18 offset:64
.LBB895_71:
	s_or_b64 exec, exec, s[0:1]
	s_waitcnt vmcnt(3)
	v_lshrrev_b64 v[18:19], s16, v[10:11]
	v_and_b32_e32 v20, s17, v18
	v_and_b32_e32 v19, 1, v20
	v_add_co_u32_e32 v21, vcc, -1, v19
	v_addc_co_u32_e64 v36, s[0:1], 0, -1, vcc
	v_cmp_ne_u32_e32 vcc, 0, v19
	v_lshl_add_u32 v18, v20, 4, v20
	v_xor_b32_e32 v19, vcc_hi, v36
	v_add_lshl_u32 v38, v32, v18, 2
	v_mov_b32_e32 v18, 0
	v_and_b32_e32 v36, exec_hi, v19
	v_lshlrev_b32_e32 v19, 30, v20
	v_xor_b32_e32 v21, vcc_lo, v21
	v_cmp_gt_i64_e32 vcc, 0, v[18:19]
	v_not_b32_e32 v19, v19
	v_ashrrev_i32_e32 v19, 31, v19
	v_and_b32_e32 v21, exec_lo, v21
	v_xor_b32_e32 v37, vcc_hi, v19
	v_xor_b32_e32 v19, vcc_lo, v19
	v_and_b32_e32 v21, v21, v19
	v_lshlrev_b32_e32 v19, 29, v20
	v_cmp_gt_i64_e32 vcc, 0, v[18:19]
	v_not_b32_e32 v19, v19
	v_ashrrev_i32_e32 v19, 31, v19
	v_and_b32_e32 v36, v36, v37
	v_xor_b32_e32 v37, vcc_hi, v19
	v_xor_b32_e32 v19, vcc_lo, v19
	v_and_b32_e32 v21, v21, v19
	v_lshlrev_b32_e32 v19, 28, v20
	v_cmp_gt_i64_e32 vcc, 0, v[18:19]
	v_not_b32_e32 v19, v19
	v_ashrrev_i32_e32 v19, 31, v19
	v_and_b32_e32 v36, v36, v37
	;; [unrolled: 8-line block ×5, first 2 shown]
	v_xor_b32_e32 v37, vcc_hi, v19
	v_xor_b32_e32 v19, vcc_lo, v19
	v_and_b32_e32 v36, v36, v37
	v_and_b32_e32 v37, v21, v19
	v_lshlrev_b32_e32 v19, 24, v20
	v_cmp_gt_i64_e32 vcc, 0, v[18:19]
	v_not_b32_e32 v19, v19
	v_ashrrev_i32_e32 v19, 31, v19
	v_xor_b32_e32 v20, vcc_hi, v19
	v_xor_b32_e32 v19, vcc_lo, v19
	; wave barrier
	ds_read_b32 v34, v38 offset:64
	v_and_b32_e32 v21, v36, v20
	v_and_b32_e32 v20, v37, v19
	v_mbcnt_lo_u32_b32 v19, v20, 0
	v_mbcnt_hi_u32_b32 v36, v21, v19
	v_cmp_eq_u32_e32 vcc, 0, v36
	v_cmp_ne_u64_e64 s[0:1], 0, v[20:21]
	s_and_b64 s[2:3], s[0:1], vcc
	; wave barrier
	s_and_saveexec_b64 s[0:1], s[2:3]
	s_cbranch_execz .LBB895_73
; %bb.72:
	v_bcnt_u32_b32 v19, v20, 0
	v_bcnt_u32_b32 v19, v21, v19
	s_waitcnt lgkmcnt(0)
	v_add_u32_e32 v19, v34, v19
	ds_write_b32 v38, v19 offset:64
.LBB895_73:
	s_or_b64 exec, exec, s[0:1]
	s_waitcnt vmcnt(2)
	v_lshrrev_b64 v[20:21], s16, v[12:13]
	v_and_b32_e32 v20, s17, v20
	v_lshl_add_u32 v19, v20, 4, v20
	v_add_lshl_u32 v41, v32, v19, 2
	v_and_b32_e32 v19, 1, v20
	v_add_co_u32_e32 v21, vcc, -1, v19
	v_addc_co_u32_e64 v39, s[0:1], 0, -1, vcc
	v_cmp_ne_u32_e32 vcc, 0, v19
	v_xor_b32_e32 v19, vcc_hi, v39
	v_and_b32_e32 v39, exec_hi, v19
	v_lshlrev_b32_e32 v19, 30, v20
	v_xor_b32_e32 v21, vcc_lo, v21
	v_cmp_gt_i64_e32 vcc, 0, v[18:19]
	v_not_b32_e32 v19, v19
	v_ashrrev_i32_e32 v19, 31, v19
	v_and_b32_e32 v21, exec_lo, v21
	v_xor_b32_e32 v40, vcc_hi, v19
	v_xor_b32_e32 v19, vcc_lo, v19
	v_and_b32_e32 v21, v21, v19
	v_lshlrev_b32_e32 v19, 29, v20
	v_cmp_gt_i64_e32 vcc, 0, v[18:19]
	v_not_b32_e32 v19, v19
	v_ashrrev_i32_e32 v19, 31, v19
	v_and_b32_e32 v39, v39, v40
	v_xor_b32_e32 v40, vcc_hi, v19
	v_xor_b32_e32 v19, vcc_lo, v19
	v_and_b32_e32 v21, v21, v19
	v_lshlrev_b32_e32 v19, 28, v20
	v_cmp_gt_i64_e32 vcc, 0, v[18:19]
	v_not_b32_e32 v19, v19
	v_ashrrev_i32_e32 v19, 31, v19
	v_and_b32_e32 v39, v39, v40
	;; [unrolled: 8-line block ×5, first 2 shown]
	v_xor_b32_e32 v40, vcc_hi, v19
	v_xor_b32_e32 v19, vcc_lo, v19
	v_and_b32_e32 v21, v21, v19
	v_lshlrev_b32_e32 v19, 24, v20
	v_cmp_gt_i64_e32 vcc, 0, v[18:19]
	v_not_b32_e32 v18, v19
	v_ashrrev_i32_e32 v18, 31, v18
	v_xor_b32_e32 v19, vcc_hi, v18
	v_xor_b32_e32 v18, vcc_lo, v18
	; wave barrier
	ds_read_b32 v37, v41 offset:64
	v_and_b32_e32 v39, v39, v40
	v_and_b32_e32 v18, v21, v18
	;; [unrolled: 1-line block ×3, first 2 shown]
	v_mbcnt_lo_u32_b32 v20, v18, 0
	v_mbcnt_hi_u32_b32 v39, v19, v20
	v_cmp_eq_u32_e32 vcc, 0, v39
	v_cmp_ne_u64_e64 s[0:1], 0, v[18:19]
	s_and_b64 s[2:3], s[0:1], vcc
	; wave barrier
	s_and_saveexec_b64 s[0:1], s[2:3]
	s_cbranch_execz .LBB895_75
; %bb.74:
	v_bcnt_u32_b32 v18, v18, 0
	v_bcnt_u32_b32 v18, v19, v18
	s_waitcnt lgkmcnt(0)
	v_add_u32_e32 v18, v37, v18
	ds_write_b32 v41, v18 offset:64
.LBB895_75:
	s_or_b64 exec, exec, s[0:1]
	s_waitcnt vmcnt(1)
	v_lshrrev_b64 v[18:19], s16, v[14:15]
	v_and_b32_e32 v20, s17, v18
	v_and_b32_e32 v19, 1, v20
	v_add_co_u32_e32 v21, vcc, -1, v19
	v_addc_co_u32_e64 v42, s[0:1], 0, -1, vcc
	v_cmp_ne_u32_e32 vcc, 0, v19
	v_lshl_add_u32 v18, v20, 4, v20
	v_xor_b32_e32 v19, vcc_hi, v42
	v_add_lshl_u32 v43, v32, v18, 2
	v_mov_b32_e32 v18, 0
	v_and_b32_e32 v42, exec_hi, v19
	v_lshlrev_b32_e32 v19, 30, v20
	v_xor_b32_e32 v21, vcc_lo, v21
	v_cmp_gt_i64_e32 vcc, 0, v[18:19]
	v_not_b32_e32 v19, v19
	v_ashrrev_i32_e32 v19, 31, v19
	v_and_b32_e32 v21, exec_lo, v21
	v_xor_b32_e32 v44, vcc_hi, v19
	v_xor_b32_e32 v19, vcc_lo, v19
	v_and_b32_e32 v21, v21, v19
	v_lshlrev_b32_e32 v19, 29, v20
	v_cmp_gt_i64_e32 vcc, 0, v[18:19]
	v_not_b32_e32 v19, v19
	v_ashrrev_i32_e32 v19, 31, v19
	v_and_b32_e32 v42, v42, v44
	v_xor_b32_e32 v44, vcc_hi, v19
	v_xor_b32_e32 v19, vcc_lo, v19
	v_and_b32_e32 v21, v21, v19
	v_lshlrev_b32_e32 v19, 28, v20
	v_cmp_gt_i64_e32 vcc, 0, v[18:19]
	v_not_b32_e32 v19, v19
	v_ashrrev_i32_e32 v19, 31, v19
	v_and_b32_e32 v42, v42, v44
	;; [unrolled: 8-line block ×5, first 2 shown]
	v_xor_b32_e32 v44, vcc_hi, v19
	v_xor_b32_e32 v19, vcc_lo, v19
	v_and_b32_e32 v42, v42, v44
	v_and_b32_e32 v44, v21, v19
	v_lshlrev_b32_e32 v19, 24, v20
	v_cmp_gt_i64_e32 vcc, 0, v[18:19]
	v_not_b32_e32 v19, v19
	v_ashrrev_i32_e32 v19, 31, v19
	v_xor_b32_e32 v20, vcc_hi, v19
	v_xor_b32_e32 v19, vcc_lo, v19
	; wave barrier
	ds_read_b32 v40, v43 offset:64
	v_and_b32_e32 v21, v42, v20
	v_and_b32_e32 v20, v44, v19
	v_mbcnt_lo_u32_b32 v19, v20, 0
	v_mbcnt_hi_u32_b32 v42, v21, v19
	v_cmp_eq_u32_e32 vcc, 0, v42
	v_cmp_ne_u64_e64 s[0:1], 0, v[20:21]
	s_and_b64 s[2:3], s[0:1], vcc
	; wave barrier
	s_and_saveexec_b64 s[0:1], s[2:3]
	s_cbranch_execz .LBB895_77
; %bb.76:
	v_bcnt_u32_b32 v19, v20, 0
	v_bcnt_u32_b32 v19, v21, v19
	s_waitcnt lgkmcnt(0)
	v_add_u32_e32 v19, v40, v19
	ds_write_b32 v43, v19 offset:64
.LBB895_77:
	s_or_b64 exec, exec, s[0:1]
	s_waitcnt vmcnt(0)
	v_lshrrev_b64 v[20:21], s16, v[16:17]
	v_and_b32_e32 v20, s17, v20
	v_lshl_add_u32 v19, v20, 4, v20
	v_add_lshl_u32 v46, v32, v19, 2
	v_and_b32_e32 v19, 1, v20
	v_add_co_u32_e32 v21, vcc, -1, v19
	v_addc_co_u32_e64 v44, s[0:1], 0, -1, vcc
	v_cmp_ne_u32_e32 vcc, 0, v19
	v_xor_b32_e32 v19, vcc_hi, v44
	v_and_b32_e32 v44, exec_hi, v19
	v_lshlrev_b32_e32 v19, 30, v20
	v_xor_b32_e32 v21, vcc_lo, v21
	v_cmp_gt_i64_e32 vcc, 0, v[18:19]
	v_not_b32_e32 v19, v19
	v_ashrrev_i32_e32 v19, 31, v19
	v_and_b32_e32 v21, exec_lo, v21
	v_xor_b32_e32 v45, vcc_hi, v19
	v_xor_b32_e32 v19, vcc_lo, v19
	v_and_b32_e32 v21, v21, v19
	v_lshlrev_b32_e32 v19, 29, v20
	v_cmp_gt_i64_e32 vcc, 0, v[18:19]
	v_not_b32_e32 v19, v19
	v_ashrrev_i32_e32 v19, 31, v19
	v_and_b32_e32 v44, v44, v45
	v_xor_b32_e32 v45, vcc_hi, v19
	v_xor_b32_e32 v19, vcc_lo, v19
	v_and_b32_e32 v21, v21, v19
	v_lshlrev_b32_e32 v19, 28, v20
	v_cmp_gt_i64_e32 vcc, 0, v[18:19]
	v_not_b32_e32 v19, v19
	v_ashrrev_i32_e32 v19, 31, v19
	v_and_b32_e32 v44, v44, v45
	;; [unrolled: 8-line block ×5, first 2 shown]
	v_xor_b32_e32 v45, vcc_hi, v19
	v_xor_b32_e32 v19, vcc_lo, v19
	v_and_b32_e32 v21, v21, v19
	v_lshlrev_b32_e32 v19, 24, v20
	v_cmp_gt_i64_e32 vcc, 0, v[18:19]
	v_not_b32_e32 v18, v19
	v_ashrrev_i32_e32 v18, 31, v18
	v_xor_b32_e32 v19, vcc_hi, v18
	v_xor_b32_e32 v18, vcc_lo, v18
	; wave barrier
	ds_read_b32 v32, v46 offset:64
	v_and_b32_e32 v44, v44, v45
	v_and_b32_e32 v18, v21, v18
	;; [unrolled: 1-line block ×3, first 2 shown]
	v_mbcnt_lo_u32_b32 v20, v18, 0
	v_mbcnt_hi_u32_b32 v44, v19, v20
	v_cmp_eq_u32_e32 vcc, 0, v44
	v_cmp_ne_u64_e64 s[0:1], 0, v[18:19]
	v_add_u32_e32 v47, 64, v23
	s_and_b64 s[2:3], s[0:1], vcc
	; wave barrier
	s_and_saveexec_b64 s[0:1], s[2:3]
	s_cbranch_execz .LBB895_79
; %bb.78:
	v_bcnt_u32_b32 v18, v18, 0
	v_bcnt_u32_b32 v18, v19, v18
	s_waitcnt lgkmcnt(0)
	v_add_u32_e32 v18, v32, v18
	ds_write_b32 v46, v18 offset:64
.LBB895_79:
	s_or_b64 exec, exec, s[0:1]
	; wave barrier
	s_waitcnt lgkmcnt(0)
	s_barrier
	ds_read2_b32 v[20:21], v23 offset0:16 offset1:17
	ds_read2_b32 v[18:19], v47 offset0:2 offset1:3
	ds_read_b32 v45, v47 offset:16
	v_cmp_lt_u32_e64 s[8:9], 31, v22
	s_waitcnt lgkmcnt(1)
	v_add3_u32 v48, v21, v20, v18
	s_waitcnt lgkmcnt(0)
	v_add3_u32 v45, v48, v19, v45
	v_and_b32_e32 v48, 15, v22
	v_cmp_eq_u32_e32 vcc, 0, v48
	v_mov_b32_dpp v49, v45 row_shr:1 row_mask:0xf bank_mask:0xf
	v_cndmask_b32_e64 v49, v49, 0, vcc
	v_add_u32_e32 v45, v49, v45
	v_cmp_lt_u32_e64 s[0:1], 1, v48
	v_cmp_lt_u32_e64 s[2:3], 3, v48
	v_mov_b32_dpp v49, v45 row_shr:2 row_mask:0xf bank_mask:0xf
	v_cndmask_b32_e64 v49, 0, v49, s[0:1]
	v_add_u32_e32 v45, v45, v49
	v_cmp_lt_u32_e64 s[4:5], 7, v48
	s_nop 0
	v_mov_b32_dpp v49, v45 row_shr:4 row_mask:0xf bank_mask:0xf
	v_cndmask_b32_e64 v49, 0, v49, s[2:3]
	v_add_u32_e32 v45, v45, v49
	s_nop 1
	v_mov_b32_dpp v49, v45 row_shr:8 row_mask:0xf bank_mask:0xf
	v_cndmask_b32_e64 v48, 0, v49, s[4:5]
	v_add_u32_e32 v45, v45, v48
	v_bfe_i32 v49, v22, 4, 1
	s_nop 0
	v_mov_b32_dpp v48, v45 row_bcast:15 row_mask:0xf bank_mask:0xf
	v_and_b32_e32 v48, v49, v48
	v_add_u32_e32 v45, v45, v48
	v_lshrrev_b32_e32 v49, 6, v2
	s_nop 0
	v_mov_b32_dpp v48, v45 row_bcast:31 row_mask:0xf bank_mask:0xf
	v_cndmask_b32_e64 v48, 0, v48, s[8:9]
	v_add_u32_e32 v48, v45, v48
	v_and_b32_e32 v45, 63, v2
	v_cmp_eq_u32_e64 s[8:9], 63, v45
	s_and_saveexec_b64 s[18:19], s[8:9]
	s_cbranch_execz .LBB895_81
; %bb.80:
	v_lshlrev_b32_e32 v45, 2, v49
	ds_write_b32 v45, v48
.LBB895_81:
	s_or_b64 exec, exec, s[18:19]
	v_cmp_gt_u32_e64 s[8:9], 16, v2
	v_lshlrev_b32_e32 v45, 2, v2
	s_waitcnt lgkmcnt(0)
	s_barrier
	s_and_saveexec_b64 s[18:19], s[8:9]
	s_cbranch_execz .LBB895_83
; %bb.82:
	ds_read_b32 v50, v45
	s_waitcnt lgkmcnt(0)
	s_nop 0
	v_mov_b32_dpp v51, v50 row_shr:1 row_mask:0xf bank_mask:0xf
	v_cndmask_b32_e64 v51, v51, 0, vcc
	v_add_u32_e32 v50, v51, v50
	s_nop 1
	v_mov_b32_dpp v51, v50 row_shr:2 row_mask:0xf bank_mask:0xf
	v_cndmask_b32_e64 v51, 0, v51, s[0:1]
	v_add_u32_e32 v50, v50, v51
	s_nop 1
	v_mov_b32_dpp v51, v50 row_shr:4 row_mask:0xf bank_mask:0xf
	v_cndmask_b32_e64 v51, 0, v51, s[2:3]
	;; [unrolled: 4-line block ×3, first 2 shown]
	v_add_u32_e32 v50, v50, v51
	ds_write_b32 v45, v50
.LBB895_83:
	s_or_b64 exec, exec, s[18:19]
	v_cmp_lt_u32_e32 vcc, 63, v2
	v_mov_b32_e32 v50, 0
	s_waitcnt lgkmcnt(0)
	s_barrier
	s_and_saveexec_b64 s[0:1], vcc
	s_cbranch_execz .LBB895_85
; %bb.84:
	v_lshl_add_u32 v49, v49, 2, -4
	ds_read_b32 v50, v49
.LBB895_85:
	s_or_b64 exec, exec, s[0:1]
	v_add_u32_e32 v49, -1, v22
	v_and_b32_e32 v51, 64, v22
	v_cmp_lt_i32_e32 vcc, v49, v51
	v_cndmask_b32_e32 v49, v49, v22, vcc
	s_waitcnt lgkmcnt(0)
	v_add_u32_e32 v48, v50, v48
	v_lshlrev_b32_e32 v49, 2, v49
	ds_bpermute_b32 v48, v49, v48
	v_cmp_eq_u32_e32 vcc, 0, v22
	s_movk_i32 s0, 0x100
	s_waitcnt lgkmcnt(0)
	v_cndmask_b32_e32 v22, v48, v50, vcc
	v_cmp_ne_u32_e32 vcc, 0, v2
	v_cndmask_b32_e32 v22, 0, v22, vcc
	v_add_u32_e32 v20, v22, v20
	v_add_u32_e32 v21, v20, v21
	;; [unrolled: 1-line block ×4, first 2 shown]
	ds_write2_b32 v23, v22, v20 offset0:16 offset1:17
	ds_write2_b32 v47, v21, v18 offset0:2 offset1:3
	ds_write_b32 v47, v19 offset:16
	s_waitcnt lgkmcnt(0)
	s_barrier
	ds_read_b32 v48, v25 offset:64
	ds_read_b32 v47, v28 offset:64
	;; [unrolled: 1-line block ×8, first 2 shown]
	v_cmp_gt_u32_e32 vcc, s0, v2
                                        ; implicit-def: $vgpr25
                                        ; implicit-def: $vgpr28
	s_and_saveexec_b64 s[2:3], vcc
	s_cbranch_execz .LBB895_89
; %bb.86:
	v_mul_u32_u24_e32 v18, 17, v2
	v_lshlrev_b32_e32 v19, 2, v18
	ds_read_b32 v25, v19 offset:64
	s_movk_i32 s0, 0xff
	v_cmp_ne_u32_e64 s[0:1], s0, v2
	v_mov_b32_e32 v18, 0x2000
	s_and_saveexec_b64 s[4:5], s[0:1]
	s_cbranch_execz .LBB895_88
; %bb.87:
	ds_read_b32 v18, v19 offset:132
.LBB895_88:
	s_or_b64 exec, exec, s[4:5]
	s_waitcnt lgkmcnt(0)
	v_sub_u32_e32 v28, v18, v25
.LBB895_89:
	s_or_b64 exec, exec, s[2:3]
	s_waitcnt lgkmcnt(0)
	s_barrier
	s_and_saveexec_b64 s[2:3], vcc
	s_cbranch_execz .LBB895_99
; %bb.90:
	v_lshl_or_b32 v18, s6, 8, v2
	v_mov_b32_e32 v19, 0
	v_lshlrev_b64 v[20:21], 2, v[18:19]
	v_mov_b32_e32 v49, s25
	v_add_co_u32_e64 v20, s[0:1], s24, v20
	v_addc_co_u32_e64 v21, s[0:1], v49, v21, s[0:1]
	v_or_b32_e32 v18, 2.0, v28
	s_mov_b64 s[4:5], 0
	s_brev_b32 s20, 1
	s_mov_b32 s21, s6
	v_mov_b32_e32 v50, 0
	global_store_dword v[20:21], v18, off
                                        ; implicit-def: $sgpr0_sgpr1
	s_branch .LBB895_93
.LBB895_91:                             ;   in Loop: Header=BB895_93 Depth=1
	s_or_b64 exec, exec, s[18:19]
.LBB895_92:                             ;   in Loop: Header=BB895_93 Depth=1
	s_or_b64 exec, exec, s[8:9]
	v_and_b32_e32 v22, 0x3fffffff, v51
	v_add_u32_e32 v50, v22, v50
	v_cmp_eq_u32_e64 s[0:1], s20, v18
	s_and_b64 s[8:9], exec, s[0:1]
	s_or_b64 s[4:5], s[8:9], s[4:5]
	s_andn2_b64 exec, exec, s[4:5]
	s_cbranch_execz .LBB895_98
.LBB895_93:                             ; =>This Loop Header: Depth=1
                                        ;     Child Loop BB895_96 Depth 2
	s_or_b64 s[0:1], s[0:1], exec
	s_cmp_eq_u32 s21, 0
	s_cbranch_scc1 .LBB895_97
; %bb.94:                               ;   in Loop: Header=BB895_93 Depth=1
	s_add_i32 s21, s21, -1
	v_lshl_or_b32 v18, s21, 8, v2
	v_lshlrev_b64 v[22:23], 2, v[18:19]
	v_add_co_u32_e64 v22, s[0:1], s24, v22
	v_addc_co_u32_e64 v23, s[0:1], v49, v23, s[0:1]
	global_load_dword v51, v[22:23], off glc
	s_waitcnt vmcnt(0)
	v_and_b32_e32 v18, -2.0, v51
	v_cmp_eq_u32_e64 s[0:1], 0, v18
	s_and_saveexec_b64 s[8:9], s[0:1]
	s_cbranch_execz .LBB895_92
; %bb.95:                               ;   in Loop: Header=BB895_93 Depth=1
	s_mov_b64 s[18:19], 0
.LBB895_96:                             ;   Parent Loop BB895_93 Depth=1
                                        ; =>  This Inner Loop Header: Depth=2
	global_load_dword v51, v[22:23], off glc
	s_waitcnt vmcnt(0)
	v_and_b32_e32 v18, -2.0, v51
	v_cmp_ne_u32_e64 s[0:1], 0, v18
	s_or_b64 s[18:19], s[0:1], s[18:19]
	s_andn2_b64 exec, exec, s[18:19]
	s_cbranch_execnz .LBB895_96
	s_branch .LBB895_91
.LBB895_97:                             ;   in Loop: Header=BB895_93 Depth=1
                                        ; implicit-def: $sgpr21
	s_and_b64 s[8:9], exec, s[0:1]
	s_or_b64 s[4:5], s[8:9], s[4:5]
	s_andn2_b64 exec, exec, s[4:5]
	s_cbranch_execnz .LBB895_93
.LBB895_98:
	s_or_b64 exec, exec, s[4:5]
	v_add_u32_e32 v18, v50, v28
	v_or_b32_e32 v18, 0x80000000, v18
	global_store_dword v[20:21], v18, off
	global_load_dword v18, v45, s[12:13]
	v_sub_u32_e32 v19, v50, v25
	s_waitcnt vmcnt(0)
	v_add_u32_e32 v18, v19, v18
	ds_write_b32 v45, v18
.LBB895_99:
	s_or_b64 exec, exec, s[2:3]
	v_lshlrev_b32_e32 v20, 3, v2
	v_add_u32_e32 v3, v48, v3
	s_movk_i32 s2, 0x400
	v_add_u32_e32 v21, 0x400, v20
	v_add3_u32 v22, v44, v46, v32
	v_add3_u32 v23, v42, v43, v40
	v_add3_u32 v32, v39, v41, v37
	v_add3_u32 v34, v36, v38, v34
	v_add3_u32 v30, v33, v35, v30
	v_add3_u32 v27, v29, v31, v27
	v_add3_u32 v24, v26, v47, v24
	s_mov_b32 s3, 0
	v_mov_b32_e32 v26, s23
	v_mov_b32_e32 v19, 0
	;; [unrolled: 1-line block ×3, first 2 shown]
.LBB895_100:                            ; =>This Inner Loop Header: Depth=1
	v_add_u32_e32 v18, s3, v3
	v_add_u32_e32 v36, s3, v34
	;; [unrolled: 1-line block ×8, first 2 shown]
	v_min_u32_e32 v18, 0x800, v18
	v_min_u32_e32 v36, 0x800, v36
	;; [unrolled: 1-line block ×8, first 2 shown]
	v_lshlrev_b32_e32 v18, 3, v18
	v_lshlrev_b32_e32 v36, 3, v36
	;; [unrolled: 1-line block ×8, first 2 shown]
	ds_write_b64 v18, v[4:5] offset:1024
	ds_write_b64 v31, v[0:1] offset:1024
	;; [unrolled: 1-line block ×8, first 2 shown]
	s_waitcnt lgkmcnt(0)
	s_barrier
	ds_read_b64 v[36:37], v20 offset:1024
	ds_read_b64 v[38:39], v21 offset:8192
	s_addk_i32 s3, 0xf800
	s_cmpk_lg_i32 s3, 0xe000
	s_waitcnt lgkmcnt(1)
	v_lshrrev_b64 v[40:41], s16, v[36:37]
	s_waitcnt lgkmcnt(0)
	v_lshrrev_b64 v[42:43], s16, v[38:39]
	v_and_b32_e32 v18, s17, v40
	v_and_b32_e32 v31, s17, v42
	v_lshlrev_b32_e32 v18, 2, v18
	v_lshlrev_b32_e32 v31, 2, v31
	ds_read_b32 v18, v18
	ds_read_b32 v31, v31
	s_waitcnt lgkmcnt(1)
	v_add_u32_e32 v18, v29, v18
	v_lshlrev_b64 v[40:41], 3, v[18:19]
	s_waitcnt lgkmcnt(0)
	v_add3_u32 v18, v29, v31, s2
	v_add_co_u32_e64 v40, s[0:1], s22, v40
	v_addc_co_u32_e64 v41, s[0:1], v26, v41, s[0:1]
	v_lshlrev_b64 v[42:43], 3, v[18:19]
	global_store_dwordx2 v[40:41], v[36:37], off
	v_add_co_u32_e64 v36, s[0:1], s22, v42
	v_add_u32_e32 v29, 0x800, v29
	v_addc_co_u32_e64 v37, s[0:1], v26, v43, s[0:1]
	global_store_dwordx2 v[36:37], v[38:39], off
	s_barrier
	s_cbranch_scc1 .LBB895_100
; %bb.101:
	s_add_i32 s7, s7, -1
	s_cmp_eq_u32 s7, s6
	s_cselect_b64 s[0:1], -1, 0
	s_and_b64 s[2:3], vcc, s[0:1]
                                        ; implicit-def: $vgpr4
	s_and_saveexec_b64 s[0:1], s[2:3]
; %bb.102:
	v_add_u32_e32 v4, v25, v28
	s_or_b64 s[10:11], s[10:11], exec
; %bb.103:
	s_or_b64 exec, exec, s[0:1]
.LBB895_104:
	s_and_saveexec_b64 s[0:1], s[10:11]
	s_cbranch_execnz .LBB895_106
; %bb.105:
	s_endpgm
.LBB895_106:
	v_mov_b32_e32 v3, 0
	v_lshlrev_b32_e32 v5, 2, v2
	v_lshlrev_b64 v[0:1], 2, v[2:3]
	ds_read_b32 v3, v5
	v_mov_b32_e32 v2, s15
	v_add_co_u32_e32 v0, vcc, s14, v0
	v_addc_co_u32_e32 v1, vcc, v2, v1, vcc
	s_waitcnt lgkmcnt(0)
	v_add_u32_e32 v2, v3, v4
	global_store_dword v[0:1], v2, off
	s_endpgm
	.section	.rodata,"a",@progbits
	.p2align	6, 0x0
	.amdhsa_kernel _ZN7rocprim17ROCPRIM_400000_NS6detail17trampoline_kernelINS0_14default_configENS1_35radix_sort_onesweep_config_selectorIyNS0_10empty_typeEEEZZNS1_29radix_sort_onesweep_iterationIS3_Lb0EN6thrust23THRUST_200600_302600_NS6detail15normal_iteratorINS9_10device_ptrIyEEEESE_PS5_SF_jNS0_19identity_decomposerENS1_16block_id_wrapperIjLb0EEEEE10hipError_tT1_PNSt15iterator_traitsISK_E10value_typeET2_T3_PNSL_ISQ_E10value_typeET4_T5_PSV_SW_PNS1_23onesweep_lookback_stateEbbT6_jjT7_P12ihipStream_tbENKUlT_T0_SK_SP_E_clISE_SE_SF_SF_EEDaS13_S14_SK_SP_EUlS13_E_NS1_11comp_targetILNS1_3genE4ELNS1_11target_archE910ELNS1_3gpuE8ELNS1_3repE0EEENS1_47radix_sort_onesweep_sort_config_static_selectorELNS0_4arch9wavefront6targetE1EEEvSK_
		.amdhsa_group_segment_fixed_size 20552
		.amdhsa_private_segment_fixed_size 0
		.amdhsa_kernarg_size 344
		.amdhsa_user_sgpr_count 6
		.amdhsa_user_sgpr_private_segment_buffer 1
		.amdhsa_user_sgpr_dispatch_ptr 0
		.amdhsa_user_sgpr_queue_ptr 0
		.amdhsa_user_sgpr_kernarg_segment_ptr 1
		.amdhsa_user_sgpr_dispatch_id 0
		.amdhsa_user_sgpr_flat_scratch_init 0
		.amdhsa_user_sgpr_kernarg_preload_length 0
		.amdhsa_user_sgpr_kernarg_preload_offset 0
		.amdhsa_user_sgpr_private_segment_size 0
		.amdhsa_uses_dynamic_stack 0
		.amdhsa_system_sgpr_private_segment_wavefront_offset 0
		.amdhsa_system_sgpr_workgroup_id_x 1
		.amdhsa_system_sgpr_workgroup_id_y 0
		.amdhsa_system_sgpr_workgroup_id_z 0
		.amdhsa_system_sgpr_workgroup_info 0
		.amdhsa_system_vgpr_workitem_id 2
		.amdhsa_next_free_vgpr 55
		.amdhsa_next_free_sgpr 30
		.amdhsa_accum_offset 56
		.amdhsa_reserve_vcc 1
		.amdhsa_reserve_flat_scratch 0
		.amdhsa_float_round_mode_32 0
		.amdhsa_float_round_mode_16_64 0
		.amdhsa_float_denorm_mode_32 3
		.amdhsa_float_denorm_mode_16_64 3
		.amdhsa_dx10_clamp 1
		.amdhsa_ieee_mode 1
		.amdhsa_fp16_overflow 0
		.amdhsa_tg_split 0
		.amdhsa_exception_fp_ieee_invalid_op 0
		.amdhsa_exception_fp_denorm_src 0
		.amdhsa_exception_fp_ieee_div_zero 0
		.amdhsa_exception_fp_ieee_overflow 0
		.amdhsa_exception_fp_ieee_underflow 0
		.amdhsa_exception_fp_ieee_inexact 0
		.amdhsa_exception_int_div_zero 0
	.end_amdhsa_kernel
	.section	.text._ZN7rocprim17ROCPRIM_400000_NS6detail17trampoline_kernelINS0_14default_configENS1_35radix_sort_onesweep_config_selectorIyNS0_10empty_typeEEEZZNS1_29radix_sort_onesweep_iterationIS3_Lb0EN6thrust23THRUST_200600_302600_NS6detail15normal_iteratorINS9_10device_ptrIyEEEESE_PS5_SF_jNS0_19identity_decomposerENS1_16block_id_wrapperIjLb0EEEEE10hipError_tT1_PNSt15iterator_traitsISK_E10value_typeET2_T3_PNSL_ISQ_E10value_typeET4_T5_PSV_SW_PNS1_23onesweep_lookback_stateEbbT6_jjT7_P12ihipStream_tbENKUlT_T0_SK_SP_E_clISE_SE_SF_SF_EEDaS13_S14_SK_SP_EUlS13_E_NS1_11comp_targetILNS1_3genE4ELNS1_11target_archE910ELNS1_3gpuE8ELNS1_3repE0EEENS1_47radix_sort_onesweep_sort_config_static_selectorELNS0_4arch9wavefront6targetE1EEEvSK_,"axG",@progbits,_ZN7rocprim17ROCPRIM_400000_NS6detail17trampoline_kernelINS0_14default_configENS1_35radix_sort_onesweep_config_selectorIyNS0_10empty_typeEEEZZNS1_29radix_sort_onesweep_iterationIS3_Lb0EN6thrust23THRUST_200600_302600_NS6detail15normal_iteratorINS9_10device_ptrIyEEEESE_PS5_SF_jNS0_19identity_decomposerENS1_16block_id_wrapperIjLb0EEEEE10hipError_tT1_PNSt15iterator_traitsISK_E10value_typeET2_T3_PNSL_ISQ_E10value_typeET4_T5_PSV_SW_PNS1_23onesweep_lookback_stateEbbT6_jjT7_P12ihipStream_tbENKUlT_T0_SK_SP_E_clISE_SE_SF_SF_EEDaS13_S14_SK_SP_EUlS13_E_NS1_11comp_targetILNS1_3genE4ELNS1_11target_archE910ELNS1_3gpuE8ELNS1_3repE0EEENS1_47radix_sort_onesweep_sort_config_static_selectorELNS0_4arch9wavefront6targetE1EEEvSK_,comdat
.Lfunc_end895:
	.size	_ZN7rocprim17ROCPRIM_400000_NS6detail17trampoline_kernelINS0_14default_configENS1_35radix_sort_onesweep_config_selectorIyNS0_10empty_typeEEEZZNS1_29radix_sort_onesweep_iterationIS3_Lb0EN6thrust23THRUST_200600_302600_NS6detail15normal_iteratorINS9_10device_ptrIyEEEESE_PS5_SF_jNS0_19identity_decomposerENS1_16block_id_wrapperIjLb0EEEEE10hipError_tT1_PNSt15iterator_traitsISK_E10value_typeET2_T3_PNSL_ISQ_E10value_typeET4_T5_PSV_SW_PNS1_23onesweep_lookback_stateEbbT6_jjT7_P12ihipStream_tbENKUlT_T0_SK_SP_E_clISE_SE_SF_SF_EEDaS13_S14_SK_SP_EUlS13_E_NS1_11comp_targetILNS1_3genE4ELNS1_11target_archE910ELNS1_3gpuE8ELNS1_3repE0EEENS1_47radix_sort_onesweep_sort_config_static_selectorELNS0_4arch9wavefront6targetE1EEEvSK_, .Lfunc_end895-_ZN7rocprim17ROCPRIM_400000_NS6detail17trampoline_kernelINS0_14default_configENS1_35radix_sort_onesweep_config_selectorIyNS0_10empty_typeEEEZZNS1_29radix_sort_onesweep_iterationIS3_Lb0EN6thrust23THRUST_200600_302600_NS6detail15normal_iteratorINS9_10device_ptrIyEEEESE_PS5_SF_jNS0_19identity_decomposerENS1_16block_id_wrapperIjLb0EEEEE10hipError_tT1_PNSt15iterator_traitsISK_E10value_typeET2_T3_PNSL_ISQ_E10value_typeET4_T5_PSV_SW_PNS1_23onesweep_lookback_stateEbbT6_jjT7_P12ihipStream_tbENKUlT_T0_SK_SP_E_clISE_SE_SF_SF_EEDaS13_S14_SK_SP_EUlS13_E_NS1_11comp_targetILNS1_3genE4ELNS1_11target_archE910ELNS1_3gpuE8ELNS1_3repE0EEENS1_47radix_sort_onesweep_sort_config_static_selectorELNS0_4arch9wavefront6targetE1EEEvSK_
                                        ; -- End function
	.section	.AMDGPU.csdata,"",@progbits
; Kernel info:
; codeLenInByte = 10188
; NumSgprs: 34
; NumVgprs: 55
; NumAgprs: 0
; TotalNumVgprs: 55
; ScratchSize: 0
; MemoryBound: 0
; FloatMode: 240
; IeeeMode: 1
; LDSByteSize: 20552 bytes/workgroup (compile time only)
; SGPRBlocks: 4
; VGPRBlocks: 6
; NumSGPRsForWavesPerEU: 34
; NumVGPRsForWavesPerEU: 55
; AccumOffset: 56
; Occupancy: 8
; WaveLimiterHint : 1
; COMPUTE_PGM_RSRC2:SCRATCH_EN: 0
; COMPUTE_PGM_RSRC2:USER_SGPR: 6
; COMPUTE_PGM_RSRC2:TRAP_HANDLER: 0
; COMPUTE_PGM_RSRC2:TGID_X_EN: 1
; COMPUTE_PGM_RSRC2:TGID_Y_EN: 0
; COMPUTE_PGM_RSRC2:TGID_Z_EN: 0
; COMPUTE_PGM_RSRC2:TIDIG_COMP_CNT: 2
; COMPUTE_PGM_RSRC3_GFX90A:ACCUM_OFFSET: 13
; COMPUTE_PGM_RSRC3_GFX90A:TG_SPLIT: 0
	.section	.text._ZN7rocprim17ROCPRIM_400000_NS6detail17trampoline_kernelINS0_14default_configENS1_35radix_sort_onesweep_config_selectorIyNS0_10empty_typeEEEZZNS1_29radix_sort_onesweep_iterationIS3_Lb0EN6thrust23THRUST_200600_302600_NS6detail15normal_iteratorINS9_10device_ptrIyEEEESE_PS5_SF_jNS0_19identity_decomposerENS1_16block_id_wrapperIjLb0EEEEE10hipError_tT1_PNSt15iterator_traitsISK_E10value_typeET2_T3_PNSL_ISQ_E10value_typeET4_T5_PSV_SW_PNS1_23onesweep_lookback_stateEbbT6_jjT7_P12ihipStream_tbENKUlT_T0_SK_SP_E_clISE_SE_SF_SF_EEDaS13_S14_SK_SP_EUlS13_E_NS1_11comp_targetILNS1_3genE3ELNS1_11target_archE908ELNS1_3gpuE7ELNS1_3repE0EEENS1_47radix_sort_onesweep_sort_config_static_selectorELNS0_4arch9wavefront6targetE1EEEvSK_,"axG",@progbits,_ZN7rocprim17ROCPRIM_400000_NS6detail17trampoline_kernelINS0_14default_configENS1_35radix_sort_onesweep_config_selectorIyNS0_10empty_typeEEEZZNS1_29radix_sort_onesweep_iterationIS3_Lb0EN6thrust23THRUST_200600_302600_NS6detail15normal_iteratorINS9_10device_ptrIyEEEESE_PS5_SF_jNS0_19identity_decomposerENS1_16block_id_wrapperIjLb0EEEEE10hipError_tT1_PNSt15iterator_traitsISK_E10value_typeET2_T3_PNSL_ISQ_E10value_typeET4_T5_PSV_SW_PNS1_23onesweep_lookback_stateEbbT6_jjT7_P12ihipStream_tbENKUlT_T0_SK_SP_E_clISE_SE_SF_SF_EEDaS13_S14_SK_SP_EUlS13_E_NS1_11comp_targetILNS1_3genE3ELNS1_11target_archE908ELNS1_3gpuE7ELNS1_3repE0EEENS1_47radix_sort_onesweep_sort_config_static_selectorELNS0_4arch9wavefront6targetE1EEEvSK_,comdat
	.protected	_ZN7rocprim17ROCPRIM_400000_NS6detail17trampoline_kernelINS0_14default_configENS1_35radix_sort_onesweep_config_selectorIyNS0_10empty_typeEEEZZNS1_29radix_sort_onesweep_iterationIS3_Lb0EN6thrust23THRUST_200600_302600_NS6detail15normal_iteratorINS9_10device_ptrIyEEEESE_PS5_SF_jNS0_19identity_decomposerENS1_16block_id_wrapperIjLb0EEEEE10hipError_tT1_PNSt15iterator_traitsISK_E10value_typeET2_T3_PNSL_ISQ_E10value_typeET4_T5_PSV_SW_PNS1_23onesweep_lookback_stateEbbT6_jjT7_P12ihipStream_tbENKUlT_T0_SK_SP_E_clISE_SE_SF_SF_EEDaS13_S14_SK_SP_EUlS13_E_NS1_11comp_targetILNS1_3genE3ELNS1_11target_archE908ELNS1_3gpuE7ELNS1_3repE0EEENS1_47radix_sort_onesweep_sort_config_static_selectorELNS0_4arch9wavefront6targetE1EEEvSK_ ; -- Begin function _ZN7rocprim17ROCPRIM_400000_NS6detail17trampoline_kernelINS0_14default_configENS1_35radix_sort_onesweep_config_selectorIyNS0_10empty_typeEEEZZNS1_29radix_sort_onesweep_iterationIS3_Lb0EN6thrust23THRUST_200600_302600_NS6detail15normal_iteratorINS9_10device_ptrIyEEEESE_PS5_SF_jNS0_19identity_decomposerENS1_16block_id_wrapperIjLb0EEEEE10hipError_tT1_PNSt15iterator_traitsISK_E10value_typeET2_T3_PNSL_ISQ_E10value_typeET4_T5_PSV_SW_PNS1_23onesweep_lookback_stateEbbT6_jjT7_P12ihipStream_tbENKUlT_T0_SK_SP_E_clISE_SE_SF_SF_EEDaS13_S14_SK_SP_EUlS13_E_NS1_11comp_targetILNS1_3genE3ELNS1_11target_archE908ELNS1_3gpuE7ELNS1_3repE0EEENS1_47radix_sort_onesweep_sort_config_static_selectorELNS0_4arch9wavefront6targetE1EEEvSK_
	.globl	_ZN7rocprim17ROCPRIM_400000_NS6detail17trampoline_kernelINS0_14default_configENS1_35radix_sort_onesweep_config_selectorIyNS0_10empty_typeEEEZZNS1_29radix_sort_onesweep_iterationIS3_Lb0EN6thrust23THRUST_200600_302600_NS6detail15normal_iteratorINS9_10device_ptrIyEEEESE_PS5_SF_jNS0_19identity_decomposerENS1_16block_id_wrapperIjLb0EEEEE10hipError_tT1_PNSt15iterator_traitsISK_E10value_typeET2_T3_PNSL_ISQ_E10value_typeET4_T5_PSV_SW_PNS1_23onesweep_lookback_stateEbbT6_jjT7_P12ihipStream_tbENKUlT_T0_SK_SP_E_clISE_SE_SF_SF_EEDaS13_S14_SK_SP_EUlS13_E_NS1_11comp_targetILNS1_3genE3ELNS1_11target_archE908ELNS1_3gpuE7ELNS1_3repE0EEENS1_47radix_sort_onesweep_sort_config_static_selectorELNS0_4arch9wavefront6targetE1EEEvSK_
	.p2align	8
	.type	_ZN7rocprim17ROCPRIM_400000_NS6detail17trampoline_kernelINS0_14default_configENS1_35radix_sort_onesweep_config_selectorIyNS0_10empty_typeEEEZZNS1_29radix_sort_onesweep_iterationIS3_Lb0EN6thrust23THRUST_200600_302600_NS6detail15normal_iteratorINS9_10device_ptrIyEEEESE_PS5_SF_jNS0_19identity_decomposerENS1_16block_id_wrapperIjLb0EEEEE10hipError_tT1_PNSt15iterator_traitsISK_E10value_typeET2_T3_PNSL_ISQ_E10value_typeET4_T5_PSV_SW_PNS1_23onesweep_lookback_stateEbbT6_jjT7_P12ihipStream_tbENKUlT_T0_SK_SP_E_clISE_SE_SF_SF_EEDaS13_S14_SK_SP_EUlS13_E_NS1_11comp_targetILNS1_3genE3ELNS1_11target_archE908ELNS1_3gpuE7ELNS1_3repE0EEENS1_47radix_sort_onesweep_sort_config_static_selectorELNS0_4arch9wavefront6targetE1EEEvSK_,@function
_ZN7rocprim17ROCPRIM_400000_NS6detail17trampoline_kernelINS0_14default_configENS1_35radix_sort_onesweep_config_selectorIyNS0_10empty_typeEEEZZNS1_29radix_sort_onesweep_iterationIS3_Lb0EN6thrust23THRUST_200600_302600_NS6detail15normal_iteratorINS9_10device_ptrIyEEEESE_PS5_SF_jNS0_19identity_decomposerENS1_16block_id_wrapperIjLb0EEEEE10hipError_tT1_PNSt15iterator_traitsISK_E10value_typeET2_T3_PNSL_ISQ_E10value_typeET4_T5_PSV_SW_PNS1_23onesweep_lookback_stateEbbT6_jjT7_P12ihipStream_tbENKUlT_T0_SK_SP_E_clISE_SE_SF_SF_EEDaS13_S14_SK_SP_EUlS13_E_NS1_11comp_targetILNS1_3genE3ELNS1_11target_archE908ELNS1_3gpuE7ELNS1_3repE0EEENS1_47radix_sort_onesweep_sort_config_static_selectorELNS0_4arch9wavefront6targetE1EEEvSK_: ; @_ZN7rocprim17ROCPRIM_400000_NS6detail17trampoline_kernelINS0_14default_configENS1_35radix_sort_onesweep_config_selectorIyNS0_10empty_typeEEEZZNS1_29radix_sort_onesweep_iterationIS3_Lb0EN6thrust23THRUST_200600_302600_NS6detail15normal_iteratorINS9_10device_ptrIyEEEESE_PS5_SF_jNS0_19identity_decomposerENS1_16block_id_wrapperIjLb0EEEEE10hipError_tT1_PNSt15iterator_traitsISK_E10value_typeET2_T3_PNSL_ISQ_E10value_typeET4_T5_PSV_SW_PNS1_23onesweep_lookback_stateEbbT6_jjT7_P12ihipStream_tbENKUlT_T0_SK_SP_E_clISE_SE_SF_SF_EEDaS13_S14_SK_SP_EUlS13_E_NS1_11comp_targetILNS1_3genE3ELNS1_11target_archE908ELNS1_3gpuE7ELNS1_3repE0EEENS1_47radix_sort_onesweep_sort_config_static_selectorELNS0_4arch9wavefront6targetE1EEEvSK_
; %bb.0:
	.section	.rodata,"a",@progbits
	.p2align	6, 0x0
	.amdhsa_kernel _ZN7rocprim17ROCPRIM_400000_NS6detail17trampoline_kernelINS0_14default_configENS1_35radix_sort_onesweep_config_selectorIyNS0_10empty_typeEEEZZNS1_29radix_sort_onesweep_iterationIS3_Lb0EN6thrust23THRUST_200600_302600_NS6detail15normal_iteratorINS9_10device_ptrIyEEEESE_PS5_SF_jNS0_19identity_decomposerENS1_16block_id_wrapperIjLb0EEEEE10hipError_tT1_PNSt15iterator_traitsISK_E10value_typeET2_T3_PNSL_ISQ_E10value_typeET4_T5_PSV_SW_PNS1_23onesweep_lookback_stateEbbT6_jjT7_P12ihipStream_tbENKUlT_T0_SK_SP_E_clISE_SE_SF_SF_EEDaS13_S14_SK_SP_EUlS13_E_NS1_11comp_targetILNS1_3genE3ELNS1_11target_archE908ELNS1_3gpuE7ELNS1_3repE0EEENS1_47radix_sort_onesweep_sort_config_static_selectorELNS0_4arch9wavefront6targetE1EEEvSK_
		.amdhsa_group_segment_fixed_size 0
		.amdhsa_private_segment_fixed_size 0
		.amdhsa_kernarg_size 88
		.amdhsa_user_sgpr_count 6
		.amdhsa_user_sgpr_private_segment_buffer 1
		.amdhsa_user_sgpr_dispatch_ptr 0
		.amdhsa_user_sgpr_queue_ptr 0
		.amdhsa_user_sgpr_kernarg_segment_ptr 1
		.amdhsa_user_sgpr_dispatch_id 0
		.amdhsa_user_sgpr_flat_scratch_init 0
		.amdhsa_user_sgpr_kernarg_preload_length 0
		.amdhsa_user_sgpr_kernarg_preload_offset 0
		.amdhsa_user_sgpr_private_segment_size 0
		.amdhsa_uses_dynamic_stack 0
		.amdhsa_system_sgpr_private_segment_wavefront_offset 0
		.amdhsa_system_sgpr_workgroup_id_x 1
		.amdhsa_system_sgpr_workgroup_id_y 0
		.amdhsa_system_sgpr_workgroup_id_z 0
		.amdhsa_system_sgpr_workgroup_info 0
		.amdhsa_system_vgpr_workitem_id 0
		.amdhsa_next_free_vgpr 1
		.amdhsa_next_free_sgpr 0
		.amdhsa_accum_offset 4
		.amdhsa_reserve_vcc 0
		.amdhsa_reserve_flat_scratch 0
		.amdhsa_float_round_mode_32 0
		.amdhsa_float_round_mode_16_64 0
		.amdhsa_float_denorm_mode_32 3
		.amdhsa_float_denorm_mode_16_64 3
		.amdhsa_dx10_clamp 1
		.amdhsa_ieee_mode 1
		.amdhsa_fp16_overflow 0
		.amdhsa_tg_split 0
		.amdhsa_exception_fp_ieee_invalid_op 0
		.amdhsa_exception_fp_denorm_src 0
		.amdhsa_exception_fp_ieee_div_zero 0
		.amdhsa_exception_fp_ieee_overflow 0
		.amdhsa_exception_fp_ieee_underflow 0
		.amdhsa_exception_fp_ieee_inexact 0
		.amdhsa_exception_int_div_zero 0
	.end_amdhsa_kernel
	.section	.text._ZN7rocprim17ROCPRIM_400000_NS6detail17trampoline_kernelINS0_14default_configENS1_35radix_sort_onesweep_config_selectorIyNS0_10empty_typeEEEZZNS1_29radix_sort_onesweep_iterationIS3_Lb0EN6thrust23THRUST_200600_302600_NS6detail15normal_iteratorINS9_10device_ptrIyEEEESE_PS5_SF_jNS0_19identity_decomposerENS1_16block_id_wrapperIjLb0EEEEE10hipError_tT1_PNSt15iterator_traitsISK_E10value_typeET2_T3_PNSL_ISQ_E10value_typeET4_T5_PSV_SW_PNS1_23onesweep_lookback_stateEbbT6_jjT7_P12ihipStream_tbENKUlT_T0_SK_SP_E_clISE_SE_SF_SF_EEDaS13_S14_SK_SP_EUlS13_E_NS1_11comp_targetILNS1_3genE3ELNS1_11target_archE908ELNS1_3gpuE7ELNS1_3repE0EEENS1_47radix_sort_onesweep_sort_config_static_selectorELNS0_4arch9wavefront6targetE1EEEvSK_,"axG",@progbits,_ZN7rocprim17ROCPRIM_400000_NS6detail17trampoline_kernelINS0_14default_configENS1_35radix_sort_onesweep_config_selectorIyNS0_10empty_typeEEEZZNS1_29radix_sort_onesweep_iterationIS3_Lb0EN6thrust23THRUST_200600_302600_NS6detail15normal_iteratorINS9_10device_ptrIyEEEESE_PS5_SF_jNS0_19identity_decomposerENS1_16block_id_wrapperIjLb0EEEEE10hipError_tT1_PNSt15iterator_traitsISK_E10value_typeET2_T3_PNSL_ISQ_E10value_typeET4_T5_PSV_SW_PNS1_23onesweep_lookback_stateEbbT6_jjT7_P12ihipStream_tbENKUlT_T0_SK_SP_E_clISE_SE_SF_SF_EEDaS13_S14_SK_SP_EUlS13_E_NS1_11comp_targetILNS1_3genE3ELNS1_11target_archE908ELNS1_3gpuE7ELNS1_3repE0EEENS1_47radix_sort_onesweep_sort_config_static_selectorELNS0_4arch9wavefront6targetE1EEEvSK_,comdat
.Lfunc_end896:
	.size	_ZN7rocprim17ROCPRIM_400000_NS6detail17trampoline_kernelINS0_14default_configENS1_35radix_sort_onesweep_config_selectorIyNS0_10empty_typeEEEZZNS1_29radix_sort_onesweep_iterationIS3_Lb0EN6thrust23THRUST_200600_302600_NS6detail15normal_iteratorINS9_10device_ptrIyEEEESE_PS5_SF_jNS0_19identity_decomposerENS1_16block_id_wrapperIjLb0EEEEE10hipError_tT1_PNSt15iterator_traitsISK_E10value_typeET2_T3_PNSL_ISQ_E10value_typeET4_T5_PSV_SW_PNS1_23onesweep_lookback_stateEbbT6_jjT7_P12ihipStream_tbENKUlT_T0_SK_SP_E_clISE_SE_SF_SF_EEDaS13_S14_SK_SP_EUlS13_E_NS1_11comp_targetILNS1_3genE3ELNS1_11target_archE908ELNS1_3gpuE7ELNS1_3repE0EEENS1_47radix_sort_onesweep_sort_config_static_selectorELNS0_4arch9wavefront6targetE1EEEvSK_, .Lfunc_end896-_ZN7rocprim17ROCPRIM_400000_NS6detail17trampoline_kernelINS0_14default_configENS1_35radix_sort_onesweep_config_selectorIyNS0_10empty_typeEEEZZNS1_29radix_sort_onesweep_iterationIS3_Lb0EN6thrust23THRUST_200600_302600_NS6detail15normal_iteratorINS9_10device_ptrIyEEEESE_PS5_SF_jNS0_19identity_decomposerENS1_16block_id_wrapperIjLb0EEEEE10hipError_tT1_PNSt15iterator_traitsISK_E10value_typeET2_T3_PNSL_ISQ_E10value_typeET4_T5_PSV_SW_PNS1_23onesweep_lookback_stateEbbT6_jjT7_P12ihipStream_tbENKUlT_T0_SK_SP_E_clISE_SE_SF_SF_EEDaS13_S14_SK_SP_EUlS13_E_NS1_11comp_targetILNS1_3genE3ELNS1_11target_archE908ELNS1_3gpuE7ELNS1_3repE0EEENS1_47radix_sort_onesweep_sort_config_static_selectorELNS0_4arch9wavefront6targetE1EEEvSK_
                                        ; -- End function
	.section	.AMDGPU.csdata,"",@progbits
; Kernel info:
; codeLenInByte = 0
; NumSgprs: 4
; NumVgprs: 0
; NumAgprs: 0
; TotalNumVgprs: 0
; ScratchSize: 0
; MemoryBound: 0
; FloatMode: 240
; IeeeMode: 1
; LDSByteSize: 0 bytes/workgroup (compile time only)
; SGPRBlocks: 0
; VGPRBlocks: 0
; NumSGPRsForWavesPerEU: 4
; NumVGPRsForWavesPerEU: 1
; AccumOffset: 4
; Occupancy: 8
; WaveLimiterHint : 0
; COMPUTE_PGM_RSRC2:SCRATCH_EN: 0
; COMPUTE_PGM_RSRC2:USER_SGPR: 6
; COMPUTE_PGM_RSRC2:TRAP_HANDLER: 0
; COMPUTE_PGM_RSRC2:TGID_X_EN: 1
; COMPUTE_PGM_RSRC2:TGID_Y_EN: 0
; COMPUTE_PGM_RSRC2:TGID_Z_EN: 0
; COMPUTE_PGM_RSRC2:TIDIG_COMP_CNT: 0
; COMPUTE_PGM_RSRC3_GFX90A:ACCUM_OFFSET: 0
; COMPUTE_PGM_RSRC3_GFX90A:TG_SPLIT: 0
	.section	.text._ZN7rocprim17ROCPRIM_400000_NS6detail17trampoline_kernelINS0_14default_configENS1_35radix_sort_onesweep_config_selectorIyNS0_10empty_typeEEEZZNS1_29radix_sort_onesweep_iterationIS3_Lb0EN6thrust23THRUST_200600_302600_NS6detail15normal_iteratorINS9_10device_ptrIyEEEESE_PS5_SF_jNS0_19identity_decomposerENS1_16block_id_wrapperIjLb0EEEEE10hipError_tT1_PNSt15iterator_traitsISK_E10value_typeET2_T3_PNSL_ISQ_E10value_typeET4_T5_PSV_SW_PNS1_23onesweep_lookback_stateEbbT6_jjT7_P12ihipStream_tbENKUlT_T0_SK_SP_E_clISE_SE_SF_SF_EEDaS13_S14_SK_SP_EUlS13_E_NS1_11comp_targetILNS1_3genE10ELNS1_11target_archE1201ELNS1_3gpuE5ELNS1_3repE0EEENS1_47radix_sort_onesweep_sort_config_static_selectorELNS0_4arch9wavefront6targetE1EEEvSK_,"axG",@progbits,_ZN7rocprim17ROCPRIM_400000_NS6detail17trampoline_kernelINS0_14default_configENS1_35radix_sort_onesweep_config_selectorIyNS0_10empty_typeEEEZZNS1_29radix_sort_onesweep_iterationIS3_Lb0EN6thrust23THRUST_200600_302600_NS6detail15normal_iteratorINS9_10device_ptrIyEEEESE_PS5_SF_jNS0_19identity_decomposerENS1_16block_id_wrapperIjLb0EEEEE10hipError_tT1_PNSt15iterator_traitsISK_E10value_typeET2_T3_PNSL_ISQ_E10value_typeET4_T5_PSV_SW_PNS1_23onesweep_lookback_stateEbbT6_jjT7_P12ihipStream_tbENKUlT_T0_SK_SP_E_clISE_SE_SF_SF_EEDaS13_S14_SK_SP_EUlS13_E_NS1_11comp_targetILNS1_3genE10ELNS1_11target_archE1201ELNS1_3gpuE5ELNS1_3repE0EEENS1_47radix_sort_onesweep_sort_config_static_selectorELNS0_4arch9wavefront6targetE1EEEvSK_,comdat
	.protected	_ZN7rocprim17ROCPRIM_400000_NS6detail17trampoline_kernelINS0_14default_configENS1_35radix_sort_onesweep_config_selectorIyNS0_10empty_typeEEEZZNS1_29radix_sort_onesweep_iterationIS3_Lb0EN6thrust23THRUST_200600_302600_NS6detail15normal_iteratorINS9_10device_ptrIyEEEESE_PS5_SF_jNS0_19identity_decomposerENS1_16block_id_wrapperIjLb0EEEEE10hipError_tT1_PNSt15iterator_traitsISK_E10value_typeET2_T3_PNSL_ISQ_E10value_typeET4_T5_PSV_SW_PNS1_23onesweep_lookback_stateEbbT6_jjT7_P12ihipStream_tbENKUlT_T0_SK_SP_E_clISE_SE_SF_SF_EEDaS13_S14_SK_SP_EUlS13_E_NS1_11comp_targetILNS1_3genE10ELNS1_11target_archE1201ELNS1_3gpuE5ELNS1_3repE0EEENS1_47radix_sort_onesweep_sort_config_static_selectorELNS0_4arch9wavefront6targetE1EEEvSK_ ; -- Begin function _ZN7rocprim17ROCPRIM_400000_NS6detail17trampoline_kernelINS0_14default_configENS1_35radix_sort_onesweep_config_selectorIyNS0_10empty_typeEEEZZNS1_29radix_sort_onesweep_iterationIS3_Lb0EN6thrust23THRUST_200600_302600_NS6detail15normal_iteratorINS9_10device_ptrIyEEEESE_PS5_SF_jNS0_19identity_decomposerENS1_16block_id_wrapperIjLb0EEEEE10hipError_tT1_PNSt15iterator_traitsISK_E10value_typeET2_T3_PNSL_ISQ_E10value_typeET4_T5_PSV_SW_PNS1_23onesweep_lookback_stateEbbT6_jjT7_P12ihipStream_tbENKUlT_T0_SK_SP_E_clISE_SE_SF_SF_EEDaS13_S14_SK_SP_EUlS13_E_NS1_11comp_targetILNS1_3genE10ELNS1_11target_archE1201ELNS1_3gpuE5ELNS1_3repE0EEENS1_47radix_sort_onesweep_sort_config_static_selectorELNS0_4arch9wavefront6targetE1EEEvSK_
	.globl	_ZN7rocprim17ROCPRIM_400000_NS6detail17trampoline_kernelINS0_14default_configENS1_35radix_sort_onesweep_config_selectorIyNS0_10empty_typeEEEZZNS1_29radix_sort_onesweep_iterationIS3_Lb0EN6thrust23THRUST_200600_302600_NS6detail15normal_iteratorINS9_10device_ptrIyEEEESE_PS5_SF_jNS0_19identity_decomposerENS1_16block_id_wrapperIjLb0EEEEE10hipError_tT1_PNSt15iterator_traitsISK_E10value_typeET2_T3_PNSL_ISQ_E10value_typeET4_T5_PSV_SW_PNS1_23onesweep_lookback_stateEbbT6_jjT7_P12ihipStream_tbENKUlT_T0_SK_SP_E_clISE_SE_SF_SF_EEDaS13_S14_SK_SP_EUlS13_E_NS1_11comp_targetILNS1_3genE10ELNS1_11target_archE1201ELNS1_3gpuE5ELNS1_3repE0EEENS1_47radix_sort_onesweep_sort_config_static_selectorELNS0_4arch9wavefront6targetE1EEEvSK_
	.p2align	8
	.type	_ZN7rocprim17ROCPRIM_400000_NS6detail17trampoline_kernelINS0_14default_configENS1_35radix_sort_onesweep_config_selectorIyNS0_10empty_typeEEEZZNS1_29radix_sort_onesweep_iterationIS3_Lb0EN6thrust23THRUST_200600_302600_NS6detail15normal_iteratorINS9_10device_ptrIyEEEESE_PS5_SF_jNS0_19identity_decomposerENS1_16block_id_wrapperIjLb0EEEEE10hipError_tT1_PNSt15iterator_traitsISK_E10value_typeET2_T3_PNSL_ISQ_E10value_typeET4_T5_PSV_SW_PNS1_23onesweep_lookback_stateEbbT6_jjT7_P12ihipStream_tbENKUlT_T0_SK_SP_E_clISE_SE_SF_SF_EEDaS13_S14_SK_SP_EUlS13_E_NS1_11comp_targetILNS1_3genE10ELNS1_11target_archE1201ELNS1_3gpuE5ELNS1_3repE0EEENS1_47radix_sort_onesweep_sort_config_static_selectorELNS0_4arch9wavefront6targetE1EEEvSK_,@function
_ZN7rocprim17ROCPRIM_400000_NS6detail17trampoline_kernelINS0_14default_configENS1_35radix_sort_onesweep_config_selectorIyNS0_10empty_typeEEEZZNS1_29radix_sort_onesweep_iterationIS3_Lb0EN6thrust23THRUST_200600_302600_NS6detail15normal_iteratorINS9_10device_ptrIyEEEESE_PS5_SF_jNS0_19identity_decomposerENS1_16block_id_wrapperIjLb0EEEEE10hipError_tT1_PNSt15iterator_traitsISK_E10value_typeET2_T3_PNSL_ISQ_E10value_typeET4_T5_PSV_SW_PNS1_23onesweep_lookback_stateEbbT6_jjT7_P12ihipStream_tbENKUlT_T0_SK_SP_E_clISE_SE_SF_SF_EEDaS13_S14_SK_SP_EUlS13_E_NS1_11comp_targetILNS1_3genE10ELNS1_11target_archE1201ELNS1_3gpuE5ELNS1_3repE0EEENS1_47radix_sort_onesweep_sort_config_static_selectorELNS0_4arch9wavefront6targetE1EEEvSK_: ; @_ZN7rocprim17ROCPRIM_400000_NS6detail17trampoline_kernelINS0_14default_configENS1_35radix_sort_onesweep_config_selectorIyNS0_10empty_typeEEEZZNS1_29radix_sort_onesweep_iterationIS3_Lb0EN6thrust23THRUST_200600_302600_NS6detail15normal_iteratorINS9_10device_ptrIyEEEESE_PS5_SF_jNS0_19identity_decomposerENS1_16block_id_wrapperIjLb0EEEEE10hipError_tT1_PNSt15iterator_traitsISK_E10value_typeET2_T3_PNSL_ISQ_E10value_typeET4_T5_PSV_SW_PNS1_23onesweep_lookback_stateEbbT6_jjT7_P12ihipStream_tbENKUlT_T0_SK_SP_E_clISE_SE_SF_SF_EEDaS13_S14_SK_SP_EUlS13_E_NS1_11comp_targetILNS1_3genE10ELNS1_11target_archE1201ELNS1_3gpuE5ELNS1_3repE0EEENS1_47radix_sort_onesweep_sort_config_static_selectorELNS0_4arch9wavefront6targetE1EEEvSK_
; %bb.0:
	.section	.rodata,"a",@progbits
	.p2align	6, 0x0
	.amdhsa_kernel _ZN7rocprim17ROCPRIM_400000_NS6detail17trampoline_kernelINS0_14default_configENS1_35radix_sort_onesweep_config_selectorIyNS0_10empty_typeEEEZZNS1_29radix_sort_onesweep_iterationIS3_Lb0EN6thrust23THRUST_200600_302600_NS6detail15normal_iteratorINS9_10device_ptrIyEEEESE_PS5_SF_jNS0_19identity_decomposerENS1_16block_id_wrapperIjLb0EEEEE10hipError_tT1_PNSt15iterator_traitsISK_E10value_typeET2_T3_PNSL_ISQ_E10value_typeET4_T5_PSV_SW_PNS1_23onesweep_lookback_stateEbbT6_jjT7_P12ihipStream_tbENKUlT_T0_SK_SP_E_clISE_SE_SF_SF_EEDaS13_S14_SK_SP_EUlS13_E_NS1_11comp_targetILNS1_3genE10ELNS1_11target_archE1201ELNS1_3gpuE5ELNS1_3repE0EEENS1_47radix_sort_onesweep_sort_config_static_selectorELNS0_4arch9wavefront6targetE1EEEvSK_
		.amdhsa_group_segment_fixed_size 0
		.amdhsa_private_segment_fixed_size 0
		.amdhsa_kernarg_size 88
		.amdhsa_user_sgpr_count 6
		.amdhsa_user_sgpr_private_segment_buffer 1
		.amdhsa_user_sgpr_dispatch_ptr 0
		.amdhsa_user_sgpr_queue_ptr 0
		.amdhsa_user_sgpr_kernarg_segment_ptr 1
		.amdhsa_user_sgpr_dispatch_id 0
		.amdhsa_user_sgpr_flat_scratch_init 0
		.amdhsa_user_sgpr_kernarg_preload_length 0
		.amdhsa_user_sgpr_kernarg_preload_offset 0
		.amdhsa_user_sgpr_private_segment_size 0
		.amdhsa_uses_dynamic_stack 0
		.amdhsa_system_sgpr_private_segment_wavefront_offset 0
		.amdhsa_system_sgpr_workgroup_id_x 1
		.amdhsa_system_sgpr_workgroup_id_y 0
		.amdhsa_system_sgpr_workgroup_id_z 0
		.amdhsa_system_sgpr_workgroup_info 0
		.amdhsa_system_vgpr_workitem_id 0
		.amdhsa_next_free_vgpr 1
		.amdhsa_next_free_sgpr 0
		.amdhsa_accum_offset 4
		.amdhsa_reserve_vcc 0
		.amdhsa_reserve_flat_scratch 0
		.amdhsa_float_round_mode_32 0
		.amdhsa_float_round_mode_16_64 0
		.amdhsa_float_denorm_mode_32 3
		.amdhsa_float_denorm_mode_16_64 3
		.amdhsa_dx10_clamp 1
		.amdhsa_ieee_mode 1
		.amdhsa_fp16_overflow 0
		.amdhsa_tg_split 0
		.amdhsa_exception_fp_ieee_invalid_op 0
		.amdhsa_exception_fp_denorm_src 0
		.amdhsa_exception_fp_ieee_div_zero 0
		.amdhsa_exception_fp_ieee_overflow 0
		.amdhsa_exception_fp_ieee_underflow 0
		.amdhsa_exception_fp_ieee_inexact 0
		.amdhsa_exception_int_div_zero 0
	.end_amdhsa_kernel
	.section	.text._ZN7rocprim17ROCPRIM_400000_NS6detail17trampoline_kernelINS0_14default_configENS1_35radix_sort_onesweep_config_selectorIyNS0_10empty_typeEEEZZNS1_29radix_sort_onesweep_iterationIS3_Lb0EN6thrust23THRUST_200600_302600_NS6detail15normal_iteratorINS9_10device_ptrIyEEEESE_PS5_SF_jNS0_19identity_decomposerENS1_16block_id_wrapperIjLb0EEEEE10hipError_tT1_PNSt15iterator_traitsISK_E10value_typeET2_T3_PNSL_ISQ_E10value_typeET4_T5_PSV_SW_PNS1_23onesweep_lookback_stateEbbT6_jjT7_P12ihipStream_tbENKUlT_T0_SK_SP_E_clISE_SE_SF_SF_EEDaS13_S14_SK_SP_EUlS13_E_NS1_11comp_targetILNS1_3genE10ELNS1_11target_archE1201ELNS1_3gpuE5ELNS1_3repE0EEENS1_47radix_sort_onesweep_sort_config_static_selectorELNS0_4arch9wavefront6targetE1EEEvSK_,"axG",@progbits,_ZN7rocprim17ROCPRIM_400000_NS6detail17trampoline_kernelINS0_14default_configENS1_35radix_sort_onesweep_config_selectorIyNS0_10empty_typeEEEZZNS1_29radix_sort_onesweep_iterationIS3_Lb0EN6thrust23THRUST_200600_302600_NS6detail15normal_iteratorINS9_10device_ptrIyEEEESE_PS5_SF_jNS0_19identity_decomposerENS1_16block_id_wrapperIjLb0EEEEE10hipError_tT1_PNSt15iterator_traitsISK_E10value_typeET2_T3_PNSL_ISQ_E10value_typeET4_T5_PSV_SW_PNS1_23onesweep_lookback_stateEbbT6_jjT7_P12ihipStream_tbENKUlT_T0_SK_SP_E_clISE_SE_SF_SF_EEDaS13_S14_SK_SP_EUlS13_E_NS1_11comp_targetILNS1_3genE10ELNS1_11target_archE1201ELNS1_3gpuE5ELNS1_3repE0EEENS1_47radix_sort_onesweep_sort_config_static_selectorELNS0_4arch9wavefront6targetE1EEEvSK_,comdat
.Lfunc_end897:
	.size	_ZN7rocprim17ROCPRIM_400000_NS6detail17trampoline_kernelINS0_14default_configENS1_35radix_sort_onesweep_config_selectorIyNS0_10empty_typeEEEZZNS1_29radix_sort_onesweep_iterationIS3_Lb0EN6thrust23THRUST_200600_302600_NS6detail15normal_iteratorINS9_10device_ptrIyEEEESE_PS5_SF_jNS0_19identity_decomposerENS1_16block_id_wrapperIjLb0EEEEE10hipError_tT1_PNSt15iterator_traitsISK_E10value_typeET2_T3_PNSL_ISQ_E10value_typeET4_T5_PSV_SW_PNS1_23onesweep_lookback_stateEbbT6_jjT7_P12ihipStream_tbENKUlT_T0_SK_SP_E_clISE_SE_SF_SF_EEDaS13_S14_SK_SP_EUlS13_E_NS1_11comp_targetILNS1_3genE10ELNS1_11target_archE1201ELNS1_3gpuE5ELNS1_3repE0EEENS1_47radix_sort_onesweep_sort_config_static_selectorELNS0_4arch9wavefront6targetE1EEEvSK_, .Lfunc_end897-_ZN7rocprim17ROCPRIM_400000_NS6detail17trampoline_kernelINS0_14default_configENS1_35radix_sort_onesweep_config_selectorIyNS0_10empty_typeEEEZZNS1_29radix_sort_onesweep_iterationIS3_Lb0EN6thrust23THRUST_200600_302600_NS6detail15normal_iteratorINS9_10device_ptrIyEEEESE_PS5_SF_jNS0_19identity_decomposerENS1_16block_id_wrapperIjLb0EEEEE10hipError_tT1_PNSt15iterator_traitsISK_E10value_typeET2_T3_PNSL_ISQ_E10value_typeET4_T5_PSV_SW_PNS1_23onesweep_lookback_stateEbbT6_jjT7_P12ihipStream_tbENKUlT_T0_SK_SP_E_clISE_SE_SF_SF_EEDaS13_S14_SK_SP_EUlS13_E_NS1_11comp_targetILNS1_3genE10ELNS1_11target_archE1201ELNS1_3gpuE5ELNS1_3repE0EEENS1_47radix_sort_onesweep_sort_config_static_selectorELNS0_4arch9wavefront6targetE1EEEvSK_
                                        ; -- End function
	.section	.AMDGPU.csdata,"",@progbits
; Kernel info:
; codeLenInByte = 0
; NumSgprs: 4
; NumVgprs: 0
; NumAgprs: 0
; TotalNumVgprs: 0
; ScratchSize: 0
; MemoryBound: 0
; FloatMode: 240
; IeeeMode: 1
; LDSByteSize: 0 bytes/workgroup (compile time only)
; SGPRBlocks: 0
; VGPRBlocks: 0
; NumSGPRsForWavesPerEU: 4
; NumVGPRsForWavesPerEU: 1
; AccumOffset: 4
; Occupancy: 8
; WaveLimiterHint : 0
; COMPUTE_PGM_RSRC2:SCRATCH_EN: 0
; COMPUTE_PGM_RSRC2:USER_SGPR: 6
; COMPUTE_PGM_RSRC2:TRAP_HANDLER: 0
; COMPUTE_PGM_RSRC2:TGID_X_EN: 1
; COMPUTE_PGM_RSRC2:TGID_Y_EN: 0
; COMPUTE_PGM_RSRC2:TGID_Z_EN: 0
; COMPUTE_PGM_RSRC2:TIDIG_COMP_CNT: 0
; COMPUTE_PGM_RSRC3_GFX90A:ACCUM_OFFSET: 0
; COMPUTE_PGM_RSRC3_GFX90A:TG_SPLIT: 0
	.section	.text._ZN7rocprim17ROCPRIM_400000_NS6detail17trampoline_kernelINS0_14default_configENS1_35radix_sort_onesweep_config_selectorIyNS0_10empty_typeEEEZZNS1_29radix_sort_onesweep_iterationIS3_Lb0EN6thrust23THRUST_200600_302600_NS6detail15normal_iteratorINS9_10device_ptrIyEEEESE_PS5_SF_jNS0_19identity_decomposerENS1_16block_id_wrapperIjLb0EEEEE10hipError_tT1_PNSt15iterator_traitsISK_E10value_typeET2_T3_PNSL_ISQ_E10value_typeET4_T5_PSV_SW_PNS1_23onesweep_lookback_stateEbbT6_jjT7_P12ihipStream_tbENKUlT_T0_SK_SP_E_clISE_SE_SF_SF_EEDaS13_S14_SK_SP_EUlS13_E_NS1_11comp_targetILNS1_3genE9ELNS1_11target_archE1100ELNS1_3gpuE3ELNS1_3repE0EEENS1_47radix_sort_onesweep_sort_config_static_selectorELNS0_4arch9wavefront6targetE1EEEvSK_,"axG",@progbits,_ZN7rocprim17ROCPRIM_400000_NS6detail17trampoline_kernelINS0_14default_configENS1_35radix_sort_onesweep_config_selectorIyNS0_10empty_typeEEEZZNS1_29radix_sort_onesweep_iterationIS3_Lb0EN6thrust23THRUST_200600_302600_NS6detail15normal_iteratorINS9_10device_ptrIyEEEESE_PS5_SF_jNS0_19identity_decomposerENS1_16block_id_wrapperIjLb0EEEEE10hipError_tT1_PNSt15iterator_traitsISK_E10value_typeET2_T3_PNSL_ISQ_E10value_typeET4_T5_PSV_SW_PNS1_23onesweep_lookback_stateEbbT6_jjT7_P12ihipStream_tbENKUlT_T0_SK_SP_E_clISE_SE_SF_SF_EEDaS13_S14_SK_SP_EUlS13_E_NS1_11comp_targetILNS1_3genE9ELNS1_11target_archE1100ELNS1_3gpuE3ELNS1_3repE0EEENS1_47radix_sort_onesweep_sort_config_static_selectorELNS0_4arch9wavefront6targetE1EEEvSK_,comdat
	.protected	_ZN7rocprim17ROCPRIM_400000_NS6detail17trampoline_kernelINS0_14default_configENS1_35radix_sort_onesweep_config_selectorIyNS0_10empty_typeEEEZZNS1_29radix_sort_onesweep_iterationIS3_Lb0EN6thrust23THRUST_200600_302600_NS6detail15normal_iteratorINS9_10device_ptrIyEEEESE_PS5_SF_jNS0_19identity_decomposerENS1_16block_id_wrapperIjLb0EEEEE10hipError_tT1_PNSt15iterator_traitsISK_E10value_typeET2_T3_PNSL_ISQ_E10value_typeET4_T5_PSV_SW_PNS1_23onesweep_lookback_stateEbbT6_jjT7_P12ihipStream_tbENKUlT_T0_SK_SP_E_clISE_SE_SF_SF_EEDaS13_S14_SK_SP_EUlS13_E_NS1_11comp_targetILNS1_3genE9ELNS1_11target_archE1100ELNS1_3gpuE3ELNS1_3repE0EEENS1_47radix_sort_onesweep_sort_config_static_selectorELNS0_4arch9wavefront6targetE1EEEvSK_ ; -- Begin function _ZN7rocprim17ROCPRIM_400000_NS6detail17trampoline_kernelINS0_14default_configENS1_35radix_sort_onesweep_config_selectorIyNS0_10empty_typeEEEZZNS1_29radix_sort_onesweep_iterationIS3_Lb0EN6thrust23THRUST_200600_302600_NS6detail15normal_iteratorINS9_10device_ptrIyEEEESE_PS5_SF_jNS0_19identity_decomposerENS1_16block_id_wrapperIjLb0EEEEE10hipError_tT1_PNSt15iterator_traitsISK_E10value_typeET2_T3_PNSL_ISQ_E10value_typeET4_T5_PSV_SW_PNS1_23onesweep_lookback_stateEbbT6_jjT7_P12ihipStream_tbENKUlT_T0_SK_SP_E_clISE_SE_SF_SF_EEDaS13_S14_SK_SP_EUlS13_E_NS1_11comp_targetILNS1_3genE9ELNS1_11target_archE1100ELNS1_3gpuE3ELNS1_3repE0EEENS1_47radix_sort_onesweep_sort_config_static_selectorELNS0_4arch9wavefront6targetE1EEEvSK_
	.globl	_ZN7rocprim17ROCPRIM_400000_NS6detail17trampoline_kernelINS0_14default_configENS1_35radix_sort_onesweep_config_selectorIyNS0_10empty_typeEEEZZNS1_29radix_sort_onesweep_iterationIS3_Lb0EN6thrust23THRUST_200600_302600_NS6detail15normal_iteratorINS9_10device_ptrIyEEEESE_PS5_SF_jNS0_19identity_decomposerENS1_16block_id_wrapperIjLb0EEEEE10hipError_tT1_PNSt15iterator_traitsISK_E10value_typeET2_T3_PNSL_ISQ_E10value_typeET4_T5_PSV_SW_PNS1_23onesweep_lookback_stateEbbT6_jjT7_P12ihipStream_tbENKUlT_T0_SK_SP_E_clISE_SE_SF_SF_EEDaS13_S14_SK_SP_EUlS13_E_NS1_11comp_targetILNS1_3genE9ELNS1_11target_archE1100ELNS1_3gpuE3ELNS1_3repE0EEENS1_47radix_sort_onesweep_sort_config_static_selectorELNS0_4arch9wavefront6targetE1EEEvSK_
	.p2align	8
	.type	_ZN7rocprim17ROCPRIM_400000_NS6detail17trampoline_kernelINS0_14default_configENS1_35radix_sort_onesweep_config_selectorIyNS0_10empty_typeEEEZZNS1_29radix_sort_onesweep_iterationIS3_Lb0EN6thrust23THRUST_200600_302600_NS6detail15normal_iteratorINS9_10device_ptrIyEEEESE_PS5_SF_jNS0_19identity_decomposerENS1_16block_id_wrapperIjLb0EEEEE10hipError_tT1_PNSt15iterator_traitsISK_E10value_typeET2_T3_PNSL_ISQ_E10value_typeET4_T5_PSV_SW_PNS1_23onesweep_lookback_stateEbbT6_jjT7_P12ihipStream_tbENKUlT_T0_SK_SP_E_clISE_SE_SF_SF_EEDaS13_S14_SK_SP_EUlS13_E_NS1_11comp_targetILNS1_3genE9ELNS1_11target_archE1100ELNS1_3gpuE3ELNS1_3repE0EEENS1_47radix_sort_onesweep_sort_config_static_selectorELNS0_4arch9wavefront6targetE1EEEvSK_,@function
_ZN7rocprim17ROCPRIM_400000_NS6detail17trampoline_kernelINS0_14default_configENS1_35radix_sort_onesweep_config_selectorIyNS0_10empty_typeEEEZZNS1_29radix_sort_onesweep_iterationIS3_Lb0EN6thrust23THRUST_200600_302600_NS6detail15normal_iteratorINS9_10device_ptrIyEEEESE_PS5_SF_jNS0_19identity_decomposerENS1_16block_id_wrapperIjLb0EEEEE10hipError_tT1_PNSt15iterator_traitsISK_E10value_typeET2_T3_PNSL_ISQ_E10value_typeET4_T5_PSV_SW_PNS1_23onesweep_lookback_stateEbbT6_jjT7_P12ihipStream_tbENKUlT_T0_SK_SP_E_clISE_SE_SF_SF_EEDaS13_S14_SK_SP_EUlS13_E_NS1_11comp_targetILNS1_3genE9ELNS1_11target_archE1100ELNS1_3gpuE3ELNS1_3repE0EEENS1_47radix_sort_onesweep_sort_config_static_selectorELNS0_4arch9wavefront6targetE1EEEvSK_: ; @_ZN7rocprim17ROCPRIM_400000_NS6detail17trampoline_kernelINS0_14default_configENS1_35radix_sort_onesweep_config_selectorIyNS0_10empty_typeEEEZZNS1_29radix_sort_onesweep_iterationIS3_Lb0EN6thrust23THRUST_200600_302600_NS6detail15normal_iteratorINS9_10device_ptrIyEEEESE_PS5_SF_jNS0_19identity_decomposerENS1_16block_id_wrapperIjLb0EEEEE10hipError_tT1_PNSt15iterator_traitsISK_E10value_typeET2_T3_PNSL_ISQ_E10value_typeET4_T5_PSV_SW_PNS1_23onesweep_lookback_stateEbbT6_jjT7_P12ihipStream_tbENKUlT_T0_SK_SP_E_clISE_SE_SF_SF_EEDaS13_S14_SK_SP_EUlS13_E_NS1_11comp_targetILNS1_3genE9ELNS1_11target_archE1100ELNS1_3gpuE3ELNS1_3repE0EEENS1_47radix_sort_onesweep_sort_config_static_selectorELNS0_4arch9wavefront6targetE1EEEvSK_
; %bb.0:
	.section	.rodata,"a",@progbits
	.p2align	6, 0x0
	.amdhsa_kernel _ZN7rocprim17ROCPRIM_400000_NS6detail17trampoline_kernelINS0_14default_configENS1_35radix_sort_onesweep_config_selectorIyNS0_10empty_typeEEEZZNS1_29radix_sort_onesweep_iterationIS3_Lb0EN6thrust23THRUST_200600_302600_NS6detail15normal_iteratorINS9_10device_ptrIyEEEESE_PS5_SF_jNS0_19identity_decomposerENS1_16block_id_wrapperIjLb0EEEEE10hipError_tT1_PNSt15iterator_traitsISK_E10value_typeET2_T3_PNSL_ISQ_E10value_typeET4_T5_PSV_SW_PNS1_23onesweep_lookback_stateEbbT6_jjT7_P12ihipStream_tbENKUlT_T0_SK_SP_E_clISE_SE_SF_SF_EEDaS13_S14_SK_SP_EUlS13_E_NS1_11comp_targetILNS1_3genE9ELNS1_11target_archE1100ELNS1_3gpuE3ELNS1_3repE0EEENS1_47radix_sort_onesweep_sort_config_static_selectorELNS0_4arch9wavefront6targetE1EEEvSK_
		.amdhsa_group_segment_fixed_size 0
		.amdhsa_private_segment_fixed_size 0
		.amdhsa_kernarg_size 88
		.amdhsa_user_sgpr_count 6
		.amdhsa_user_sgpr_private_segment_buffer 1
		.amdhsa_user_sgpr_dispatch_ptr 0
		.amdhsa_user_sgpr_queue_ptr 0
		.amdhsa_user_sgpr_kernarg_segment_ptr 1
		.amdhsa_user_sgpr_dispatch_id 0
		.amdhsa_user_sgpr_flat_scratch_init 0
		.amdhsa_user_sgpr_kernarg_preload_length 0
		.amdhsa_user_sgpr_kernarg_preload_offset 0
		.amdhsa_user_sgpr_private_segment_size 0
		.amdhsa_uses_dynamic_stack 0
		.amdhsa_system_sgpr_private_segment_wavefront_offset 0
		.amdhsa_system_sgpr_workgroup_id_x 1
		.amdhsa_system_sgpr_workgroup_id_y 0
		.amdhsa_system_sgpr_workgroup_id_z 0
		.amdhsa_system_sgpr_workgroup_info 0
		.amdhsa_system_vgpr_workitem_id 0
		.amdhsa_next_free_vgpr 1
		.amdhsa_next_free_sgpr 0
		.amdhsa_accum_offset 4
		.amdhsa_reserve_vcc 0
		.amdhsa_reserve_flat_scratch 0
		.amdhsa_float_round_mode_32 0
		.amdhsa_float_round_mode_16_64 0
		.amdhsa_float_denorm_mode_32 3
		.amdhsa_float_denorm_mode_16_64 3
		.amdhsa_dx10_clamp 1
		.amdhsa_ieee_mode 1
		.amdhsa_fp16_overflow 0
		.amdhsa_tg_split 0
		.amdhsa_exception_fp_ieee_invalid_op 0
		.amdhsa_exception_fp_denorm_src 0
		.amdhsa_exception_fp_ieee_div_zero 0
		.amdhsa_exception_fp_ieee_overflow 0
		.amdhsa_exception_fp_ieee_underflow 0
		.amdhsa_exception_fp_ieee_inexact 0
		.amdhsa_exception_int_div_zero 0
	.end_amdhsa_kernel
	.section	.text._ZN7rocprim17ROCPRIM_400000_NS6detail17trampoline_kernelINS0_14default_configENS1_35radix_sort_onesweep_config_selectorIyNS0_10empty_typeEEEZZNS1_29radix_sort_onesweep_iterationIS3_Lb0EN6thrust23THRUST_200600_302600_NS6detail15normal_iteratorINS9_10device_ptrIyEEEESE_PS5_SF_jNS0_19identity_decomposerENS1_16block_id_wrapperIjLb0EEEEE10hipError_tT1_PNSt15iterator_traitsISK_E10value_typeET2_T3_PNSL_ISQ_E10value_typeET4_T5_PSV_SW_PNS1_23onesweep_lookback_stateEbbT6_jjT7_P12ihipStream_tbENKUlT_T0_SK_SP_E_clISE_SE_SF_SF_EEDaS13_S14_SK_SP_EUlS13_E_NS1_11comp_targetILNS1_3genE9ELNS1_11target_archE1100ELNS1_3gpuE3ELNS1_3repE0EEENS1_47radix_sort_onesweep_sort_config_static_selectorELNS0_4arch9wavefront6targetE1EEEvSK_,"axG",@progbits,_ZN7rocprim17ROCPRIM_400000_NS6detail17trampoline_kernelINS0_14default_configENS1_35radix_sort_onesweep_config_selectorIyNS0_10empty_typeEEEZZNS1_29radix_sort_onesweep_iterationIS3_Lb0EN6thrust23THRUST_200600_302600_NS6detail15normal_iteratorINS9_10device_ptrIyEEEESE_PS5_SF_jNS0_19identity_decomposerENS1_16block_id_wrapperIjLb0EEEEE10hipError_tT1_PNSt15iterator_traitsISK_E10value_typeET2_T3_PNSL_ISQ_E10value_typeET4_T5_PSV_SW_PNS1_23onesweep_lookback_stateEbbT6_jjT7_P12ihipStream_tbENKUlT_T0_SK_SP_E_clISE_SE_SF_SF_EEDaS13_S14_SK_SP_EUlS13_E_NS1_11comp_targetILNS1_3genE9ELNS1_11target_archE1100ELNS1_3gpuE3ELNS1_3repE0EEENS1_47radix_sort_onesweep_sort_config_static_selectorELNS0_4arch9wavefront6targetE1EEEvSK_,comdat
.Lfunc_end898:
	.size	_ZN7rocprim17ROCPRIM_400000_NS6detail17trampoline_kernelINS0_14default_configENS1_35radix_sort_onesweep_config_selectorIyNS0_10empty_typeEEEZZNS1_29radix_sort_onesweep_iterationIS3_Lb0EN6thrust23THRUST_200600_302600_NS6detail15normal_iteratorINS9_10device_ptrIyEEEESE_PS5_SF_jNS0_19identity_decomposerENS1_16block_id_wrapperIjLb0EEEEE10hipError_tT1_PNSt15iterator_traitsISK_E10value_typeET2_T3_PNSL_ISQ_E10value_typeET4_T5_PSV_SW_PNS1_23onesweep_lookback_stateEbbT6_jjT7_P12ihipStream_tbENKUlT_T0_SK_SP_E_clISE_SE_SF_SF_EEDaS13_S14_SK_SP_EUlS13_E_NS1_11comp_targetILNS1_3genE9ELNS1_11target_archE1100ELNS1_3gpuE3ELNS1_3repE0EEENS1_47radix_sort_onesweep_sort_config_static_selectorELNS0_4arch9wavefront6targetE1EEEvSK_, .Lfunc_end898-_ZN7rocprim17ROCPRIM_400000_NS6detail17trampoline_kernelINS0_14default_configENS1_35radix_sort_onesweep_config_selectorIyNS0_10empty_typeEEEZZNS1_29radix_sort_onesweep_iterationIS3_Lb0EN6thrust23THRUST_200600_302600_NS6detail15normal_iteratorINS9_10device_ptrIyEEEESE_PS5_SF_jNS0_19identity_decomposerENS1_16block_id_wrapperIjLb0EEEEE10hipError_tT1_PNSt15iterator_traitsISK_E10value_typeET2_T3_PNSL_ISQ_E10value_typeET4_T5_PSV_SW_PNS1_23onesweep_lookback_stateEbbT6_jjT7_P12ihipStream_tbENKUlT_T0_SK_SP_E_clISE_SE_SF_SF_EEDaS13_S14_SK_SP_EUlS13_E_NS1_11comp_targetILNS1_3genE9ELNS1_11target_archE1100ELNS1_3gpuE3ELNS1_3repE0EEENS1_47radix_sort_onesweep_sort_config_static_selectorELNS0_4arch9wavefront6targetE1EEEvSK_
                                        ; -- End function
	.section	.AMDGPU.csdata,"",@progbits
; Kernel info:
; codeLenInByte = 0
; NumSgprs: 4
; NumVgprs: 0
; NumAgprs: 0
; TotalNumVgprs: 0
; ScratchSize: 0
; MemoryBound: 0
; FloatMode: 240
; IeeeMode: 1
; LDSByteSize: 0 bytes/workgroup (compile time only)
; SGPRBlocks: 0
; VGPRBlocks: 0
; NumSGPRsForWavesPerEU: 4
; NumVGPRsForWavesPerEU: 1
; AccumOffset: 4
; Occupancy: 8
; WaveLimiterHint : 0
; COMPUTE_PGM_RSRC2:SCRATCH_EN: 0
; COMPUTE_PGM_RSRC2:USER_SGPR: 6
; COMPUTE_PGM_RSRC2:TRAP_HANDLER: 0
; COMPUTE_PGM_RSRC2:TGID_X_EN: 1
; COMPUTE_PGM_RSRC2:TGID_Y_EN: 0
; COMPUTE_PGM_RSRC2:TGID_Z_EN: 0
; COMPUTE_PGM_RSRC2:TIDIG_COMP_CNT: 0
; COMPUTE_PGM_RSRC3_GFX90A:ACCUM_OFFSET: 0
; COMPUTE_PGM_RSRC3_GFX90A:TG_SPLIT: 0
	.section	.text._ZN7rocprim17ROCPRIM_400000_NS6detail17trampoline_kernelINS0_14default_configENS1_35radix_sort_onesweep_config_selectorIyNS0_10empty_typeEEEZZNS1_29radix_sort_onesweep_iterationIS3_Lb0EN6thrust23THRUST_200600_302600_NS6detail15normal_iteratorINS9_10device_ptrIyEEEESE_PS5_SF_jNS0_19identity_decomposerENS1_16block_id_wrapperIjLb0EEEEE10hipError_tT1_PNSt15iterator_traitsISK_E10value_typeET2_T3_PNSL_ISQ_E10value_typeET4_T5_PSV_SW_PNS1_23onesweep_lookback_stateEbbT6_jjT7_P12ihipStream_tbENKUlT_T0_SK_SP_E_clISE_SE_SF_SF_EEDaS13_S14_SK_SP_EUlS13_E_NS1_11comp_targetILNS1_3genE8ELNS1_11target_archE1030ELNS1_3gpuE2ELNS1_3repE0EEENS1_47radix_sort_onesweep_sort_config_static_selectorELNS0_4arch9wavefront6targetE1EEEvSK_,"axG",@progbits,_ZN7rocprim17ROCPRIM_400000_NS6detail17trampoline_kernelINS0_14default_configENS1_35radix_sort_onesweep_config_selectorIyNS0_10empty_typeEEEZZNS1_29radix_sort_onesweep_iterationIS3_Lb0EN6thrust23THRUST_200600_302600_NS6detail15normal_iteratorINS9_10device_ptrIyEEEESE_PS5_SF_jNS0_19identity_decomposerENS1_16block_id_wrapperIjLb0EEEEE10hipError_tT1_PNSt15iterator_traitsISK_E10value_typeET2_T3_PNSL_ISQ_E10value_typeET4_T5_PSV_SW_PNS1_23onesweep_lookback_stateEbbT6_jjT7_P12ihipStream_tbENKUlT_T0_SK_SP_E_clISE_SE_SF_SF_EEDaS13_S14_SK_SP_EUlS13_E_NS1_11comp_targetILNS1_3genE8ELNS1_11target_archE1030ELNS1_3gpuE2ELNS1_3repE0EEENS1_47radix_sort_onesweep_sort_config_static_selectorELNS0_4arch9wavefront6targetE1EEEvSK_,comdat
	.protected	_ZN7rocprim17ROCPRIM_400000_NS6detail17trampoline_kernelINS0_14default_configENS1_35radix_sort_onesweep_config_selectorIyNS0_10empty_typeEEEZZNS1_29radix_sort_onesweep_iterationIS3_Lb0EN6thrust23THRUST_200600_302600_NS6detail15normal_iteratorINS9_10device_ptrIyEEEESE_PS5_SF_jNS0_19identity_decomposerENS1_16block_id_wrapperIjLb0EEEEE10hipError_tT1_PNSt15iterator_traitsISK_E10value_typeET2_T3_PNSL_ISQ_E10value_typeET4_T5_PSV_SW_PNS1_23onesweep_lookback_stateEbbT6_jjT7_P12ihipStream_tbENKUlT_T0_SK_SP_E_clISE_SE_SF_SF_EEDaS13_S14_SK_SP_EUlS13_E_NS1_11comp_targetILNS1_3genE8ELNS1_11target_archE1030ELNS1_3gpuE2ELNS1_3repE0EEENS1_47radix_sort_onesweep_sort_config_static_selectorELNS0_4arch9wavefront6targetE1EEEvSK_ ; -- Begin function _ZN7rocprim17ROCPRIM_400000_NS6detail17trampoline_kernelINS0_14default_configENS1_35radix_sort_onesweep_config_selectorIyNS0_10empty_typeEEEZZNS1_29radix_sort_onesweep_iterationIS3_Lb0EN6thrust23THRUST_200600_302600_NS6detail15normal_iteratorINS9_10device_ptrIyEEEESE_PS5_SF_jNS0_19identity_decomposerENS1_16block_id_wrapperIjLb0EEEEE10hipError_tT1_PNSt15iterator_traitsISK_E10value_typeET2_T3_PNSL_ISQ_E10value_typeET4_T5_PSV_SW_PNS1_23onesweep_lookback_stateEbbT6_jjT7_P12ihipStream_tbENKUlT_T0_SK_SP_E_clISE_SE_SF_SF_EEDaS13_S14_SK_SP_EUlS13_E_NS1_11comp_targetILNS1_3genE8ELNS1_11target_archE1030ELNS1_3gpuE2ELNS1_3repE0EEENS1_47radix_sort_onesweep_sort_config_static_selectorELNS0_4arch9wavefront6targetE1EEEvSK_
	.globl	_ZN7rocprim17ROCPRIM_400000_NS6detail17trampoline_kernelINS0_14default_configENS1_35radix_sort_onesweep_config_selectorIyNS0_10empty_typeEEEZZNS1_29radix_sort_onesweep_iterationIS3_Lb0EN6thrust23THRUST_200600_302600_NS6detail15normal_iteratorINS9_10device_ptrIyEEEESE_PS5_SF_jNS0_19identity_decomposerENS1_16block_id_wrapperIjLb0EEEEE10hipError_tT1_PNSt15iterator_traitsISK_E10value_typeET2_T3_PNSL_ISQ_E10value_typeET4_T5_PSV_SW_PNS1_23onesweep_lookback_stateEbbT6_jjT7_P12ihipStream_tbENKUlT_T0_SK_SP_E_clISE_SE_SF_SF_EEDaS13_S14_SK_SP_EUlS13_E_NS1_11comp_targetILNS1_3genE8ELNS1_11target_archE1030ELNS1_3gpuE2ELNS1_3repE0EEENS1_47radix_sort_onesweep_sort_config_static_selectorELNS0_4arch9wavefront6targetE1EEEvSK_
	.p2align	8
	.type	_ZN7rocprim17ROCPRIM_400000_NS6detail17trampoline_kernelINS0_14default_configENS1_35radix_sort_onesweep_config_selectorIyNS0_10empty_typeEEEZZNS1_29radix_sort_onesweep_iterationIS3_Lb0EN6thrust23THRUST_200600_302600_NS6detail15normal_iteratorINS9_10device_ptrIyEEEESE_PS5_SF_jNS0_19identity_decomposerENS1_16block_id_wrapperIjLb0EEEEE10hipError_tT1_PNSt15iterator_traitsISK_E10value_typeET2_T3_PNSL_ISQ_E10value_typeET4_T5_PSV_SW_PNS1_23onesweep_lookback_stateEbbT6_jjT7_P12ihipStream_tbENKUlT_T0_SK_SP_E_clISE_SE_SF_SF_EEDaS13_S14_SK_SP_EUlS13_E_NS1_11comp_targetILNS1_3genE8ELNS1_11target_archE1030ELNS1_3gpuE2ELNS1_3repE0EEENS1_47radix_sort_onesweep_sort_config_static_selectorELNS0_4arch9wavefront6targetE1EEEvSK_,@function
_ZN7rocprim17ROCPRIM_400000_NS6detail17trampoline_kernelINS0_14default_configENS1_35radix_sort_onesweep_config_selectorIyNS0_10empty_typeEEEZZNS1_29radix_sort_onesweep_iterationIS3_Lb0EN6thrust23THRUST_200600_302600_NS6detail15normal_iteratorINS9_10device_ptrIyEEEESE_PS5_SF_jNS0_19identity_decomposerENS1_16block_id_wrapperIjLb0EEEEE10hipError_tT1_PNSt15iterator_traitsISK_E10value_typeET2_T3_PNSL_ISQ_E10value_typeET4_T5_PSV_SW_PNS1_23onesweep_lookback_stateEbbT6_jjT7_P12ihipStream_tbENKUlT_T0_SK_SP_E_clISE_SE_SF_SF_EEDaS13_S14_SK_SP_EUlS13_E_NS1_11comp_targetILNS1_3genE8ELNS1_11target_archE1030ELNS1_3gpuE2ELNS1_3repE0EEENS1_47radix_sort_onesweep_sort_config_static_selectorELNS0_4arch9wavefront6targetE1EEEvSK_: ; @_ZN7rocprim17ROCPRIM_400000_NS6detail17trampoline_kernelINS0_14default_configENS1_35radix_sort_onesweep_config_selectorIyNS0_10empty_typeEEEZZNS1_29radix_sort_onesweep_iterationIS3_Lb0EN6thrust23THRUST_200600_302600_NS6detail15normal_iteratorINS9_10device_ptrIyEEEESE_PS5_SF_jNS0_19identity_decomposerENS1_16block_id_wrapperIjLb0EEEEE10hipError_tT1_PNSt15iterator_traitsISK_E10value_typeET2_T3_PNSL_ISQ_E10value_typeET4_T5_PSV_SW_PNS1_23onesweep_lookback_stateEbbT6_jjT7_P12ihipStream_tbENKUlT_T0_SK_SP_E_clISE_SE_SF_SF_EEDaS13_S14_SK_SP_EUlS13_E_NS1_11comp_targetILNS1_3genE8ELNS1_11target_archE1030ELNS1_3gpuE2ELNS1_3repE0EEENS1_47radix_sort_onesweep_sort_config_static_selectorELNS0_4arch9wavefront6targetE1EEEvSK_
; %bb.0:
	.section	.rodata,"a",@progbits
	.p2align	6, 0x0
	.amdhsa_kernel _ZN7rocprim17ROCPRIM_400000_NS6detail17trampoline_kernelINS0_14default_configENS1_35radix_sort_onesweep_config_selectorIyNS0_10empty_typeEEEZZNS1_29radix_sort_onesweep_iterationIS3_Lb0EN6thrust23THRUST_200600_302600_NS6detail15normal_iteratorINS9_10device_ptrIyEEEESE_PS5_SF_jNS0_19identity_decomposerENS1_16block_id_wrapperIjLb0EEEEE10hipError_tT1_PNSt15iterator_traitsISK_E10value_typeET2_T3_PNSL_ISQ_E10value_typeET4_T5_PSV_SW_PNS1_23onesweep_lookback_stateEbbT6_jjT7_P12ihipStream_tbENKUlT_T0_SK_SP_E_clISE_SE_SF_SF_EEDaS13_S14_SK_SP_EUlS13_E_NS1_11comp_targetILNS1_3genE8ELNS1_11target_archE1030ELNS1_3gpuE2ELNS1_3repE0EEENS1_47radix_sort_onesweep_sort_config_static_selectorELNS0_4arch9wavefront6targetE1EEEvSK_
		.amdhsa_group_segment_fixed_size 0
		.amdhsa_private_segment_fixed_size 0
		.amdhsa_kernarg_size 88
		.amdhsa_user_sgpr_count 6
		.amdhsa_user_sgpr_private_segment_buffer 1
		.amdhsa_user_sgpr_dispatch_ptr 0
		.amdhsa_user_sgpr_queue_ptr 0
		.amdhsa_user_sgpr_kernarg_segment_ptr 1
		.amdhsa_user_sgpr_dispatch_id 0
		.amdhsa_user_sgpr_flat_scratch_init 0
		.amdhsa_user_sgpr_kernarg_preload_length 0
		.amdhsa_user_sgpr_kernarg_preload_offset 0
		.amdhsa_user_sgpr_private_segment_size 0
		.amdhsa_uses_dynamic_stack 0
		.amdhsa_system_sgpr_private_segment_wavefront_offset 0
		.amdhsa_system_sgpr_workgroup_id_x 1
		.amdhsa_system_sgpr_workgroup_id_y 0
		.amdhsa_system_sgpr_workgroup_id_z 0
		.amdhsa_system_sgpr_workgroup_info 0
		.amdhsa_system_vgpr_workitem_id 0
		.amdhsa_next_free_vgpr 1
		.amdhsa_next_free_sgpr 0
		.amdhsa_accum_offset 4
		.amdhsa_reserve_vcc 0
		.amdhsa_reserve_flat_scratch 0
		.amdhsa_float_round_mode_32 0
		.amdhsa_float_round_mode_16_64 0
		.amdhsa_float_denorm_mode_32 3
		.amdhsa_float_denorm_mode_16_64 3
		.amdhsa_dx10_clamp 1
		.amdhsa_ieee_mode 1
		.amdhsa_fp16_overflow 0
		.amdhsa_tg_split 0
		.amdhsa_exception_fp_ieee_invalid_op 0
		.amdhsa_exception_fp_denorm_src 0
		.amdhsa_exception_fp_ieee_div_zero 0
		.amdhsa_exception_fp_ieee_overflow 0
		.amdhsa_exception_fp_ieee_underflow 0
		.amdhsa_exception_fp_ieee_inexact 0
		.amdhsa_exception_int_div_zero 0
	.end_amdhsa_kernel
	.section	.text._ZN7rocprim17ROCPRIM_400000_NS6detail17trampoline_kernelINS0_14default_configENS1_35radix_sort_onesweep_config_selectorIyNS0_10empty_typeEEEZZNS1_29radix_sort_onesweep_iterationIS3_Lb0EN6thrust23THRUST_200600_302600_NS6detail15normal_iteratorINS9_10device_ptrIyEEEESE_PS5_SF_jNS0_19identity_decomposerENS1_16block_id_wrapperIjLb0EEEEE10hipError_tT1_PNSt15iterator_traitsISK_E10value_typeET2_T3_PNSL_ISQ_E10value_typeET4_T5_PSV_SW_PNS1_23onesweep_lookback_stateEbbT6_jjT7_P12ihipStream_tbENKUlT_T0_SK_SP_E_clISE_SE_SF_SF_EEDaS13_S14_SK_SP_EUlS13_E_NS1_11comp_targetILNS1_3genE8ELNS1_11target_archE1030ELNS1_3gpuE2ELNS1_3repE0EEENS1_47radix_sort_onesweep_sort_config_static_selectorELNS0_4arch9wavefront6targetE1EEEvSK_,"axG",@progbits,_ZN7rocprim17ROCPRIM_400000_NS6detail17trampoline_kernelINS0_14default_configENS1_35radix_sort_onesweep_config_selectorIyNS0_10empty_typeEEEZZNS1_29radix_sort_onesweep_iterationIS3_Lb0EN6thrust23THRUST_200600_302600_NS6detail15normal_iteratorINS9_10device_ptrIyEEEESE_PS5_SF_jNS0_19identity_decomposerENS1_16block_id_wrapperIjLb0EEEEE10hipError_tT1_PNSt15iterator_traitsISK_E10value_typeET2_T3_PNSL_ISQ_E10value_typeET4_T5_PSV_SW_PNS1_23onesweep_lookback_stateEbbT6_jjT7_P12ihipStream_tbENKUlT_T0_SK_SP_E_clISE_SE_SF_SF_EEDaS13_S14_SK_SP_EUlS13_E_NS1_11comp_targetILNS1_3genE8ELNS1_11target_archE1030ELNS1_3gpuE2ELNS1_3repE0EEENS1_47radix_sort_onesweep_sort_config_static_selectorELNS0_4arch9wavefront6targetE1EEEvSK_,comdat
.Lfunc_end899:
	.size	_ZN7rocprim17ROCPRIM_400000_NS6detail17trampoline_kernelINS0_14default_configENS1_35radix_sort_onesweep_config_selectorIyNS0_10empty_typeEEEZZNS1_29radix_sort_onesweep_iterationIS3_Lb0EN6thrust23THRUST_200600_302600_NS6detail15normal_iteratorINS9_10device_ptrIyEEEESE_PS5_SF_jNS0_19identity_decomposerENS1_16block_id_wrapperIjLb0EEEEE10hipError_tT1_PNSt15iterator_traitsISK_E10value_typeET2_T3_PNSL_ISQ_E10value_typeET4_T5_PSV_SW_PNS1_23onesweep_lookback_stateEbbT6_jjT7_P12ihipStream_tbENKUlT_T0_SK_SP_E_clISE_SE_SF_SF_EEDaS13_S14_SK_SP_EUlS13_E_NS1_11comp_targetILNS1_3genE8ELNS1_11target_archE1030ELNS1_3gpuE2ELNS1_3repE0EEENS1_47radix_sort_onesweep_sort_config_static_selectorELNS0_4arch9wavefront6targetE1EEEvSK_, .Lfunc_end899-_ZN7rocprim17ROCPRIM_400000_NS6detail17trampoline_kernelINS0_14default_configENS1_35radix_sort_onesweep_config_selectorIyNS0_10empty_typeEEEZZNS1_29radix_sort_onesweep_iterationIS3_Lb0EN6thrust23THRUST_200600_302600_NS6detail15normal_iteratorINS9_10device_ptrIyEEEESE_PS5_SF_jNS0_19identity_decomposerENS1_16block_id_wrapperIjLb0EEEEE10hipError_tT1_PNSt15iterator_traitsISK_E10value_typeET2_T3_PNSL_ISQ_E10value_typeET4_T5_PSV_SW_PNS1_23onesweep_lookback_stateEbbT6_jjT7_P12ihipStream_tbENKUlT_T0_SK_SP_E_clISE_SE_SF_SF_EEDaS13_S14_SK_SP_EUlS13_E_NS1_11comp_targetILNS1_3genE8ELNS1_11target_archE1030ELNS1_3gpuE2ELNS1_3repE0EEENS1_47radix_sort_onesweep_sort_config_static_selectorELNS0_4arch9wavefront6targetE1EEEvSK_
                                        ; -- End function
	.section	.AMDGPU.csdata,"",@progbits
; Kernel info:
; codeLenInByte = 0
; NumSgprs: 4
; NumVgprs: 0
; NumAgprs: 0
; TotalNumVgprs: 0
; ScratchSize: 0
; MemoryBound: 0
; FloatMode: 240
; IeeeMode: 1
; LDSByteSize: 0 bytes/workgroup (compile time only)
; SGPRBlocks: 0
; VGPRBlocks: 0
; NumSGPRsForWavesPerEU: 4
; NumVGPRsForWavesPerEU: 1
; AccumOffset: 4
; Occupancy: 8
; WaveLimiterHint : 0
; COMPUTE_PGM_RSRC2:SCRATCH_EN: 0
; COMPUTE_PGM_RSRC2:USER_SGPR: 6
; COMPUTE_PGM_RSRC2:TRAP_HANDLER: 0
; COMPUTE_PGM_RSRC2:TGID_X_EN: 1
; COMPUTE_PGM_RSRC2:TGID_Y_EN: 0
; COMPUTE_PGM_RSRC2:TGID_Z_EN: 0
; COMPUTE_PGM_RSRC2:TIDIG_COMP_CNT: 0
; COMPUTE_PGM_RSRC3_GFX90A:ACCUM_OFFSET: 0
; COMPUTE_PGM_RSRC3_GFX90A:TG_SPLIT: 0
	.section	.text._ZN7rocprim17ROCPRIM_400000_NS6detail17trampoline_kernelINS0_14default_configENS1_35radix_sort_onesweep_config_selectorIyNS0_10empty_typeEEEZZNS1_29radix_sort_onesweep_iterationIS3_Lb0EN6thrust23THRUST_200600_302600_NS6detail15normal_iteratorINS9_10device_ptrIyEEEESE_PS5_SF_jNS0_19identity_decomposerENS1_16block_id_wrapperIjLb0EEEEE10hipError_tT1_PNSt15iterator_traitsISK_E10value_typeET2_T3_PNSL_ISQ_E10value_typeET4_T5_PSV_SW_PNS1_23onesweep_lookback_stateEbbT6_jjT7_P12ihipStream_tbENKUlT_T0_SK_SP_E_clISE_PySF_SF_EEDaS13_S14_SK_SP_EUlS13_E_NS1_11comp_targetILNS1_3genE0ELNS1_11target_archE4294967295ELNS1_3gpuE0ELNS1_3repE0EEENS1_47radix_sort_onesweep_sort_config_static_selectorELNS0_4arch9wavefront6targetE1EEEvSK_,"axG",@progbits,_ZN7rocprim17ROCPRIM_400000_NS6detail17trampoline_kernelINS0_14default_configENS1_35radix_sort_onesweep_config_selectorIyNS0_10empty_typeEEEZZNS1_29radix_sort_onesweep_iterationIS3_Lb0EN6thrust23THRUST_200600_302600_NS6detail15normal_iteratorINS9_10device_ptrIyEEEESE_PS5_SF_jNS0_19identity_decomposerENS1_16block_id_wrapperIjLb0EEEEE10hipError_tT1_PNSt15iterator_traitsISK_E10value_typeET2_T3_PNSL_ISQ_E10value_typeET4_T5_PSV_SW_PNS1_23onesweep_lookback_stateEbbT6_jjT7_P12ihipStream_tbENKUlT_T0_SK_SP_E_clISE_PySF_SF_EEDaS13_S14_SK_SP_EUlS13_E_NS1_11comp_targetILNS1_3genE0ELNS1_11target_archE4294967295ELNS1_3gpuE0ELNS1_3repE0EEENS1_47radix_sort_onesweep_sort_config_static_selectorELNS0_4arch9wavefront6targetE1EEEvSK_,comdat
	.protected	_ZN7rocprim17ROCPRIM_400000_NS6detail17trampoline_kernelINS0_14default_configENS1_35radix_sort_onesweep_config_selectorIyNS0_10empty_typeEEEZZNS1_29radix_sort_onesweep_iterationIS3_Lb0EN6thrust23THRUST_200600_302600_NS6detail15normal_iteratorINS9_10device_ptrIyEEEESE_PS5_SF_jNS0_19identity_decomposerENS1_16block_id_wrapperIjLb0EEEEE10hipError_tT1_PNSt15iterator_traitsISK_E10value_typeET2_T3_PNSL_ISQ_E10value_typeET4_T5_PSV_SW_PNS1_23onesweep_lookback_stateEbbT6_jjT7_P12ihipStream_tbENKUlT_T0_SK_SP_E_clISE_PySF_SF_EEDaS13_S14_SK_SP_EUlS13_E_NS1_11comp_targetILNS1_3genE0ELNS1_11target_archE4294967295ELNS1_3gpuE0ELNS1_3repE0EEENS1_47radix_sort_onesweep_sort_config_static_selectorELNS0_4arch9wavefront6targetE1EEEvSK_ ; -- Begin function _ZN7rocprim17ROCPRIM_400000_NS6detail17trampoline_kernelINS0_14default_configENS1_35radix_sort_onesweep_config_selectorIyNS0_10empty_typeEEEZZNS1_29radix_sort_onesweep_iterationIS3_Lb0EN6thrust23THRUST_200600_302600_NS6detail15normal_iteratorINS9_10device_ptrIyEEEESE_PS5_SF_jNS0_19identity_decomposerENS1_16block_id_wrapperIjLb0EEEEE10hipError_tT1_PNSt15iterator_traitsISK_E10value_typeET2_T3_PNSL_ISQ_E10value_typeET4_T5_PSV_SW_PNS1_23onesweep_lookback_stateEbbT6_jjT7_P12ihipStream_tbENKUlT_T0_SK_SP_E_clISE_PySF_SF_EEDaS13_S14_SK_SP_EUlS13_E_NS1_11comp_targetILNS1_3genE0ELNS1_11target_archE4294967295ELNS1_3gpuE0ELNS1_3repE0EEENS1_47radix_sort_onesweep_sort_config_static_selectorELNS0_4arch9wavefront6targetE1EEEvSK_
	.globl	_ZN7rocprim17ROCPRIM_400000_NS6detail17trampoline_kernelINS0_14default_configENS1_35radix_sort_onesweep_config_selectorIyNS0_10empty_typeEEEZZNS1_29radix_sort_onesweep_iterationIS3_Lb0EN6thrust23THRUST_200600_302600_NS6detail15normal_iteratorINS9_10device_ptrIyEEEESE_PS5_SF_jNS0_19identity_decomposerENS1_16block_id_wrapperIjLb0EEEEE10hipError_tT1_PNSt15iterator_traitsISK_E10value_typeET2_T3_PNSL_ISQ_E10value_typeET4_T5_PSV_SW_PNS1_23onesweep_lookback_stateEbbT6_jjT7_P12ihipStream_tbENKUlT_T0_SK_SP_E_clISE_PySF_SF_EEDaS13_S14_SK_SP_EUlS13_E_NS1_11comp_targetILNS1_3genE0ELNS1_11target_archE4294967295ELNS1_3gpuE0ELNS1_3repE0EEENS1_47radix_sort_onesweep_sort_config_static_selectorELNS0_4arch9wavefront6targetE1EEEvSK_
	.p2align	8
	.type	_ZN7rocprim17ROCPRIM_400000_NS6detail17trampoline_kernelINS0_14default_configENS1_35radix_sort_onesweep_config_selectorIyNS0_10empty_typeEEEZZNS1_29radix_sort_onesweep_iterationIS3_Lb0EN6thrust23THRUST_200600_302600_NS6detail15normal_iteratorINS9_10device_ptrIyEEEESE_PS5_SF_jNS0_19identity_decomposerENS1_16block_id_wrapperIjLb0EEEEE10hipError_tT1_PNSt15iterator_traitsISK_E10value_typeET2_T3_PNSL_ISQ_E10value_typeET4_T5_PSV_SW_PNS1_23onesweep_lookback_stateEbbT6_jjT7_P12ihipStream_tbENKUlT_T0_SK_SP_E_clISE_PySF_SF_EEDaS13_S14_SK_SP_EUlS13_E_NS1_11comp_targetILNS1_3genE0ELNS1_11target_archE4294967295ELNS1_3gpuE0ELNS1_3repE0EEENS1_47radix_sort_onesweep_sort_config_static_selectorELNS0_4arch9wavefront6targetE1EEEvSK_,@function
_ZN7rocprim17ROCPRIM_400000_NS6detail17trampoline_kernelINS0_14default_configENS1_35radix_sort_onesweep_config_selectorIyNS0_10empty_typeEEEZZNS1_29radix_sort_onesweep_iterationIS3_Lb0EN6thrust23THRUST_200600_302600_NS6detail15normal_iteratorINS9_10device_ptrIyEEEESE_PS5_SF_jNS0_19identity_decomposerENS1_16block_id_wrapperIjLb0EEEEE10hipError_tT1_PNSt15iterator_traitsISK_E10value_typeET2_T3_PNSL_ISQ_E10value_typeET4_T5_PSV_SW_PNS1_23onesweep_lookback_stateEbbT6_jjT7_P12ihipStream_tbENKUlT_T0_SK_SP_E_clISE_PySF_SF_EEDaS13_S14_SK_SP_EUlS13_E_NS1_11comp_targetILNS1_3genE0ELNS1_11target_archE4294967295ELNS1_3gpuE0ELNS1_3repE0EEENS1_47radix_sort_onesweep_sort_config_static_selectorELNS0_4arch9wavefront6targetE1EEEvSK_: ; @_ZN7rocprim17ROCPRIM_400000_NS6detail17trampoline_kernelINS0_14default_configENS1_35radix_sort_onesweep_config_selectorIyNS0_10empty_typeEEEZZNS1_29radix_sort_onesweep_iterationIS3_Lb0EN6thrust23THRUST_200600_302600_NS6detail15normal_iteratorINS9_10device_ptrIyEEEESE_PS5_SF_jNS0_19identity_decomposerENS1_16block_id_wrapperIjLb0EEEEE10hipError_tT1_PNSt15iterator_traitsISK_E10value_typeET2_T3_PNSL_ISQ_E10value_typeET4_T5_PSV_SW_PNS1_23onesweep_lookback_stateEbbT6_jjT7_P12ihipStream_tbENKUlT_T0_SK_SP_E_clISE_PySF_SF_EEDaS13_S14_SK_SP_EUlS13_E_NS1_11comp_targetILNS1_3genE0ELNS1_11target_archE4294967295ELNS1_3gpuE0ELNS1_3repE0EEENS1_47radix_sort_onesweep_sort_config_static_selectorELNS0_4arch9wavefront6targetE1EEEvSK_
; %bb.0:
	.section	.rodata,"a",@progbits
	.p2align	6, 0x0
	.amdhsa_kernel _ZN7rocprim17ROCPRIM_400000_NS6detail17trampoline_kernelINS0_14default_configENS1_35radix_sort_onesweep_config_selectorIyNS0_10empty_typeEEEZZNS1_29radix_sort_onesweep_iterationIS3_Lb0EN6thrust23THRUST_200600_302600_NS6detail15normal_iteratorINS9_10device_ptrIyEEEESE_PS5_SF_jNS0_19identity_decomposerENS1_16block_id_wrapperIjLb0EEEEE10hipError_tT1_PNSt15iterator_traitsISK_E10value_typeET2_T3_PNSL_ISQ_E10value_typeET4_T5_PSV_SW_PNS1_23onesweep_lookback_stateEbbT6_jjT7_P12ihipStream_tbENKUlT_T0_SK_SP_E_clISE_PySF_SF_EEDaS13_S14_SK_SP_EUlS13_E_NS1_11comp_targetILNS1_3genE0ELNS1_11target_archE4294967295ELNS1_3gpuE0ELNS1_3repE0EEENS1_47radix_sort_onesweep_sort_config_static_selectorELNS0_4arch9wavefront6targetE1EEEvSK_
		.amdhsa_group_segment_fixed_size 0
		.amdhsa_private_segment_fixed_size 0
		.amdhsa_kernarg_size 88
		.amdhsa_user_sgpr_count 6
		.amdhsa_user_sgpr_private_segment_buffer 1
		.amdhsa_user_sgpr_dispatch_ptr 0
		.amdhsa_user_sgpr_queue_ptr 0
		.amdhsa_user_sgpr_kernarg_segment_ptr 1
		.amdhsa_user_sgpr_dispatch_id 0
		.amdhsa_user_sgpr_flat_scratch_init 0
		.amdhsa_user_sgpr_kernarg_preload_length 0
		.amdhsa_user_sgpr_kernarg_preload_offset 0
		.amdhsa_user_sgpr_private_segment_size 0
		.amdhsa_uses_dynamic_stack 0
		.amdhsa_system_sgpr_private_segment_wavefront_offset 0
		.amdhsa_system_sgpr_workgroup_id_x 1
		.amdhsa_system_sgpr_workgroup_id_y 0
		.amdhsa_system_sgpr_workgroup_id_z 0
		.amdhsa_system_sgpr_workgroup_info 0
		.amdhsa_system_vgpr_workitem_id 0
		.amdhsa_next_free_vgpr 1
		.amdhsa_next_free_sgpr 0
		.amdhsa_accum_offset 4
		.amdhsa_reserve_vcc 0
		.amdhsa_reserve_flat_scratch 0
		.amdhsa_float_round_mode_32 0
		.amdhsa_float_round_mode_16_64 0
		.amdhsa_float_denorm_mode_32 3
		.amdhsa_float_denorm_mode_16_64 3
		.amdhsa_dx10_clamp 1
		.amdhsa_ieee_mode 1
		.amdhsa_fp16_overflow 0
		.amdhsa_tg_split 0
		.amdhsa_exception_fp_ieee_invalid_op 0
		.amdhsa_exception_fp_denorm_src 0
		.amdhsa_exception_fp_ieee_div_zero 0
		.amdhsa_exception_fp_ieee_overflow 0
		.amdhsa_exception_fp_ieee_underflow 0
		.amdhsa_exception_fp_ieee_inexact 0
		.amdhsa_exception_int_div_zero 0
	.end_amdhsa_kernel
	.section	.text._ZN7rocprim17ROCPRIM_400000_NS6detail17trampoline_kernelINS0_14default_configENS1_35radix_sort_onesweep_config_selectorIyNS0_10empty_typeEEEZZNS1_29radix_sort_onesweep_iterationIS3_Lb0EN6thrust23THRUST_200600_302600_NS6detail15normal_iteratorINS9_10device_ptrIyEEEESE_PS5_SF_jNS0_19identity_decomposerENS1_16block_id_wrapperIjLb0EEEEE10hipError_tT1_PNSt15iterator_traitsISK_E10value_typeET2_T3_PNSL_ISQ_E10value_typeET4_T5_PSV_SW_PNS1_23onesweep_lookback_stateEbbT6_jjT7_P12ihipStream_tbENKUlT_T0_SK_SP_E_clISE_PySF_SF_EEDaS13_S14_SK_SP_EUlS13_E_NS1_11comp_targetILNS1_3genE0ELNS1_11target_archE4294967295ELNS1_3gpuE0ELNS1_3repE0EEENS1_47radix_sort_onesweep_sort_config_static_selectorELNS0_4arch9wavefront6targetE1EEEvSK_,"axG",@progbits,_ZN7rocprim17ROCPRIM_400000_NS6detail17trampoline_kernelINS0_14default_configENS1_35radix_sort_onesweep_config_selectorIyNS0_10empty_typeEEEZZNS1_29radix_sort_onesweep_iterationIS3_Lb0EN6thrust23THRUST_200600_302600_NS6detail15normal_iteratorINS9_10device_ptrIyEEEESE_PS5_SF_jNS0_19identity_decomposerENS1_16block_id_wrapperIjLb0EEEEE10hipError_tT1_PNSt15iterator_traitsISK_E10value_typeET2_T3_PNSL_ISQ_E10value_typeET4_T5_PSV_SW_PNS1_23onesweep_lookback_stateEbbT6_jjT7_P12ihipStream_tbENKUlT_T0_SK_SP_E_clISE_PySF_SF_EEDaS13_S14_SK_SP_EUlS13_E_NS1_11comp_targetILNS1_3genE0ELNS1_11target_archE4294967295ELNS1_3gpuE0ELNS1_3repE0EEENS1_47radix_sort_onesweep_sort_config_static_selectorELNS0_4arch9wavefront6targetE1EEEvSK_,comdat
.Lfunc_end900:
	.size	_ZN7rocprim17ROCPRIM_400000_NS6detail17trampoline_kernelINS0_14default_configENS1_35radix_sort_onesweep_config_selectorIyNS0_10empty_typeEEEZZNS1_29radix_sort_onesweep_iterationIS3_Lb0EN6thrust23THRUST_200600_302600_NS6detail15normal_iteratorINS9_10device_ptrIyEEEESE_PS5_SF_jNS0_19identity_decomposerENS1_16block_id_wrapperIjLb0EEEEE10hipError_tT1_PNSt15iterator_traitsISK_E10value_typeET2_T3_PNSL_ISQ_E10value_typeET4_T5_PSV_SW_PNS1_23onesweep_lookback_stateEbbT6_jjT7_P12ihipStream_tbENKUlT_T0_SK_SP_E_clISE_PySF_SF_EEDaS13_S14_SK_SP_EUlS13_E_NS1_11comp_targetILNS1_3genE0ELNS1_11target_archE4294967295ELNS1_3gpuE0ELNS1_3repE0EEENS1_47radix_sort_onesweep_sort_config_static_selectorELNS0_4arch9wavefront6targetE1EEEvSK_, .Lfunc_end900-_ZN7rocprim17ROCPRIM_400000_NS6detail17trampoline_kernelINS0_14default_configENS1_35radix_sort_onesweep_config_selectorIyNS0_10empty_typeEEEZZNS1_29radix_sort_onesweep_iterationIS3_Lb0EN6thrust23THRUST_200600_302600_NS6detail15normal_iteratorINS9_10device_ptrIyEEEESE_PS5_SF_jNS0_19identity_decomposerENS1_16block_id_wrapperIjLb0EEEEE10hipError_tT1_PNSt15iterator_traitsISK_E10value_typeET2_T3_PNSL_ISQ_E10value_typeET4_T5_PSV_SW_PNS1_23onesweep_lookback_stateEbbT6_jjT7_P12ihipStream_tbENKUlT_T0_SK_SP_E_clISE_PySF_SF_EEDaS13_S14_SK_SP_EUlS13_E_NS1_11comp_targetILNS1_3genE0ELNS1_11target_archE4294967295ELNS1_3gpuE0ELNS1_3repE0EEENS1_47radix_sort_onesweep_sort_config_static_selectorELNS0_4arch9wavefront6targetE1EEEvSK_
                                        ; -- End function
	.section	.AMDGPU.csdata,"",@progbits
; Kernel info:
; codeLenInByte = 0
; NumSgprs: 4
; NumVgprs: 0
; NumAgprs: 0
; TotalNumVgprs: 0
; ScratchSize: 0
; MemoryBound: 0
; FloatMode: 240
; IeeeMode: 1
; LDSByteSize: 0 bytes/workgroup (compile time only)
; SGPRBlocks: 0
; VGPRBlocks: 0
; NumSGPRsForWavesPerEU: 4
; NumVGPRsForWavesPerEU: 1
; AccumOffset: 4
; Occupancy: 8
; WaveLimiterHint : 0
; COMPUTE_PGM_RSRC2:SCRATCH_EN: 0
; COMPUTE_PGM_RSRC2:USER_SGPR: 6
; COMPUTE_PGM_RSRC2:TRAP_HANDLER: 0
; COMPUTE_PGM_RSRC2:TGID_X_EN: 1
; COMPUTE_PGM_RSRC2:TGID_Y_EN: 0
; COMPUTE_PGM_RSRC2:TGID_Z_EN: 0
; COMPUTE_PGM_RSRC2:TIDIG_COMP_CNT: 0
; COMPUTE_PGM_RSRC3_GFX90A:ACCUM_OFFSET: 0
; COMPUTE_PGM_RSRC3_GFX90A:TG_SPLIT: 0
	.section	.text._ZN7rocprim17ROCPRIM_400000_NS6detail17trampoline_kernelINS0_14default_configENS1_35radix_sort_onesweep_config_selectorIyNS0_10empty_typeEEEZZNS1_29radix_sort_onesweep_iterationIS3_Lb0EN6thrust23THRUST_200600_302600_NS6detail15normal_iteratorINS9_10device_ptrIyEEEESE_PS5_SF_jNS0_19identity_decomposerENS1_16block_id_wrapperIjLb0EEEEE10hipError_tT1_PNSt15iterator_traitsISK_E10value_typeET2_T3_PNSL_ISQ_E10value_typeET4_T5_PSV_SW_PNS1_23onesweep_lookback_stateEbbT6_jjT7_P12ihipStream_tbENKUlT_T0_SK_SP_E_clISE_PySF_SF_EEDaS13_S14_SK_SP_EUlS13_E_NS1_11comp_targetILNS1_3genE6ELNS1_11target_archE950ELNS1_3gpuE13ELNS1_3repE0EEENS1_47radix_sort_onesweep_sort_config_static_selectorELNS0_4arch9wavefront6targetE1EEEvSK_,"axG",@progbits,_ZN7rocprim17ROCPRIM_400000_NS6detail17trampoline_kernelINS0_14default_configENS1_35radix_sort_onesweep_config_selectorIyNS0_10empty_typeEEEZZNS1_29radix_sort_onesweep_iterationIS3_Lb0EN6thrust23THRUST_200600_302600_NS6detail15normal_iteratorINS9_10device_ptrIyEEEESE_PS5_SF_jNS0_19identity_decomposerENS1_16block_id_wrapperIjLb0EEEEE10hipError_tT1_PNSt15iterator_traitsISK_E10value_typeET2_T3_PNSL_ISQ_E10value_typeET4_T5_PSV_SW_PNS1_23onesweep_lookback_stateEbbT6_jjT7_P12ihipStream_tbENKUlT_T0_SK_SP_E_clISE_PySF_SF_EEDaS13_S14_SK_SP_EUlS13_E_NS1_11comp_targetILNS1_3genE6ELNS1_11target_archE950ELNS1_3gpuE13ELNS1_3repE0EEENS1_47radix_sort_onesweep_sort_config_static_selectorELNS0_4arch9wavefront6targetE1EEEvSK_,comdat
	.protected	_ZN7rocprim17ROCPRIM_400000_NS6detail17trampoline_kernelINS0_14default_configENS1_35radix_sort_onesweep_config_selectorIyNS0_10empty_typeEEEZZNS1_29radix_sort_onesweep_iterationIS3_Lb0EN6thrust23THRUST_200600_302600_NS6detail15normal_iteratorINS9_10device_ptrIyEEEESE_PS5_SF_jNS0_19identity_decomposerENS1_16block_id_wrapperIjLb0EEEEE10hipError_tT1_PNSt15iterator_traitsISK_E10value_typeET2_T3_PNSL_ISQ_E10value_typeET4_T5_PSV_SW_PNS1_23onesweep_lookback_stateEbbT6_jjT7_P12ihipStream_tbENKUlT_T0_SK_SP_E_clISE_PySF_SF_EEDaS13_S14_SK_SP_EUlS13_E_NS1_11comp_targetILNS1_3genE6ELNS1_11target_archE950ELNS1_3gpuE13ELNS1_3repE0EEENS1_47radix_sort_onesweep_sort_config_static_selectorELNS0_4arch9wavefront6targetE1EEEvSK_ ; -- Begin function _ZN7rocprim17ROCPRIM_400000_NS6detail17trampoline_kernelINS0_14default_configENS1_35radix_sort_onesweep_config_selectorIyNS0_10empty_typeEEEZZNS1_29radix_sort_onesweep_iterationIS3_Lb0EN6thrust23THRUST_200600_302600_NS6detail15normal_iteratorINS9_10device_ptrIyEEEESE_PS5_SF_jNS0_19identity_decomposerENS1_16block_id_wrapperIjLb0EEEEE10hipError_tT1_PNSt15iterator_traitsISK_E10value_typeET2_T3_PNSL_ISQ_E10value_typeET4_T5_PSV_SW_PNS1_23onesweep_lookback_stateEbbT6_jjT7_P12ihipStream_tbENKUlT_T0_SK_SP_E_clISE_PySF_SF_EEDaS13_S14_SK_SP_EUlS13_E_NS1_11comp_targetILNS1_3genE6ELNS1_11target_archE950ELNS1_3gpuE13ELNS1_3repE0EEENS1_47radix_sort_onesweep_sort_config_static_selectorELNS0_4arch9wavefront6targetE1EEEvSK_
	.globl	_ZN7rocprim17ROCPRIM_400000_NS6detail17trampoline_kernelINS0_14default_configENS1_35radix_sort_onesweep_config_selectorIyNS0_10empty_typeEEEZZNS1_29radix_sort_onesweep_iterationIS3_Lb0EN6thrust23THRUST_200600_302600_NS6detail15normal_iteratorINS9_10device_ptrIyEEEESE_PS5_SF_jNS0_19identity_decomposerENS1_16block_id_wrapperIjLb0EEEEE10hipError_tT1_PNSt15iterator_traitsISK_E10value_typeET2_T3_PNSL_ISQ_E10value_typeET4_T5_PSV_SW_PNS1_23onesweep_lookback_stateEbbT6_jjT7_P12ihipStream_tbENKUlT_T0_SK_SP_E_clISE_PySF_SF_EEDaS13_S14_SK_SP_EUlS13_E_NS1_11comp_targetILNS1_3genE6ELNS1_11target_archE950ELNS1_3gpuE13ELNS1_3repE0EEENS1_47radix_sort_onesweep_sort_config_static_selectorELNS0_4arch9wavefront6targetE1EEEvSK_
	.p2align	8
	.type	_ZN7rocprim17ROCPRIM_400000_NS6detail17trampoline_kernelINS0_14default_configENS1_35radix_sort_onesweep_config_selectorIyNS0_10empty_typeEEEZZNS1_29radix_sort_onesweep_iterationIS3_Lb0EN6thrust23THRUST_200600_302600_NS6detail15normal_iteratorINS9_10device_ptrIyEEEESE_PS5_SF_jNS0_19identity_decomposerENS1_16block_id_wrapperIjLb0EEEEE10hipError_tT1_PNSt15iterator_traitsISK_E10value_typeET2_T3_PNSL_ISQ_E10value_typeET4_T5_PSV_SW_PNS1_23onesweep_lookback_stateEbbT6_jjT7_P12ihipStream_tbENKUlT_T0_SK_SP_E_clISE_PySF_SF_EEDaS13_S14_SK_SP_EUlS13_E_NS1_11comp_targetILNS1_3genE6ELNS1_11target_archE950ELNS1_3gpuE13ELNS1_3repE0EEENS1_47radix_sort_onesweep_sort_config_static_selectorELNS0_4arch9wavefront6targetE1EEEvSK_,@function
_ZN7rocprim17ROCPRIM_400000_NS6detail17trampoline_kernelINS0_14default_configENS1_35radix_sort_onesweep_config_selectorIyNS0_10empty_typeEEEZZNS1_29radix_sort_onesweep_iterationIS3_Lb0EN6thrust23THRUST_200600_302600_NS6detail15normal_iteratorINS9_10device_ptrIyEEEESE_PS5_SF_jNS0_19identity_decomposerENS1_16block_id_wrapperIjLb0EEEEE10hipError_tT1_PNSt15iterator_traitsISK_E10value_typeET2_T3_PNSL_ISQ_E10value_typeET4_T5_PSV_SW_PNS1_23onesweep_lookback_stateEbbT6_jjT7_P12ihipStream_tbENKUlT_T0_SK_SP_E_clISE_PySF_SF_EEDaS13_S14_SK_SP_EUlS13_E_NS1_11comp_targetILNS1_3genE6ELNS1_11target_archE950ELNS1_3gpuE13ELNS1_3repE0EEENS1_47radix_sort_onesweep_sort_config_static_selectorELNS0_4arch9wavefront6targetE1EEEvSK_: ; @_ZN7rocprim17ROCPRIM_400000_NS6detail17trampoline_kernelINS0_14default_configENS1_35radix_sort_onesweep_config_selectorIyNS0_10empty_typeEEEZZNS1_29radix_sort_onesweep_iterationIS3_Lb0EN6thrust23THRUST_200600_302600_NS6detail15normal_iteratorINS9_10device_ptrIyEEEESE_PS5_SF_jNS0_19identity_decomposerENS1_16block_id_wrapperIjLb0EEEEE10hipError_tT1_PNSt15iterator_traitsISK_E10value_typeET2_T3_PNSL_ISQ_E10value_typeET4_T5_PSV_SW_PNS1_23onesweep_lookback_stateEbbT6_jjT7_P12ihipStream_tbENKUlT_T0_SK_SP_E_clISE_PySF_SF_EEDaS13_S14_SK_SP_EUlS13_E_NS1_11comp_targetILNS1_3genE6ELNS1_11target_archE950ELNS1_3gpuE13ELNS1_3repE0EEENS1_47radix_sort_onesweep_sort_config_static_selectorELNS0_4arch9wavefront6targetE1EEEvSK_
; %bb.0:
	.section	.rodata,"a",@progbits
	.p2align	6, 0x0
	.amdhsa_kernel _ZN7rocprim17ROCPRIM_400000_NS6detail17trampoline_kernelINS0_14default_configENS1_35radix_sort_onesweep_config_selectorIyNS0_10empty_typeEEEZZNS1_29radix_sort_onesweep_iterationIS3_Lb0EN6thrust23THRUST_200600_302600_NS6detail15normal_iteratorINS9_10device_ptrIyEEEESE_PS5_SF_jNS0_19identity_decomposerENS1_16block_id_wrapperIjLb0EEEEE10hipError_tT1_PNSt15iterator_traitsISK_E10value_typeET2_T3_PNSL_ISQ_E10value_typeET4_T5_PSV_SW_PNS1_23onesweep_lookback_stateEbbT6_jjT7_P12ihipStream_tbENKUlT_T0_SK_SP_E_clISE_PySF_SF_EEDaS13_S14_SK_SP_EUlS13_E_NS1_11comp_targetILNS1_3genE6ELNS1_11target_archE950ELNS1_3gpuE13ELNS1_3repE0EEENS1_47radix_sort_onesweep_sort_config_static_selectorELNS0_4arch9wavefront6targetE1EEEvSK_
		.amdhsa_group_segment_fixed_size 0
		.amdhsa_private_segment_fixed_size 0
		.amdhsa_kernarg_size 88
		.amdhsa_user_sgpr_count 6
		.amdhsa_user_sgpr_private_segment_buffer 1
		.amdhsa_user_sgpr_dispatch_ptr 0
		.amdhsa_user_sgpr_queue_ptr 0
		.amdhsa_user_sgpr_kernarg_segment_ptr 1
		.amdhsa_user_sgpr_dispatch_id 0
		.amdhsa_user_sgpr_flat_scratch_init 0
		.amdhsa_user_sgpr_kernarg_preload_length 0
		.amdhsa_user_sgpr_kernarg_preload_offset 0
		.amdhsa_user_sgpr_private_segment_size 0
		.amdhsa_uses_dynamic_stack 0
		.amdhsa_system_sgpr_private_segment_wavefront_offset 0
		.amdhsa_system_sgpr_workgroup_id_x 1
		.amdhsa_system_sgpr_workgroup_id_y 0
		.amdhsa_system_sgpr_workgroup_id_z 0
		.amdhsa_system_sgpr_workgroup_info 0
		.amdhsa_system_vgpr_workitem_id 0
		.amdhsa_next_free_vgpr 1
		.amdhsa_next_free_sgpr 0
		.amdhsa_accum_offset 4
		.amdhsa_reserve_vcc 0
		.amdhsa_reserve_flat_scratch 0
		.amdhsa_float_round_mode_32 0
		.amdhsa_float_round_mode_16_64 0
		.amdhsa_float_denorm_mode_32 3
		.amdhsa_float_denorm_mode_16_64 3
		.amdhsa_dx10_clamp 1
		.amdhsa_ieee_mode 1
		.amdhsa_fp16_overflow 0
		.amdhsa_tg_split 0
		.amdhsa_exception_fp_ieee_invalid_op 0
		.amdhsa_exception_fp_denorm_src 0
		.amdhsa_exception_fp_ieee_div_zero 0
		.amdhsa_exception_fp_ieee_overflow 0
		.amdhsa_exception_fp_ieee_underflow 0
		.amdhsa_exception_fp_ieee_inexact 0
		.amdhsa_exception_int_div_zero 0
	.end_amdhsa_kernel
	.section	.text._ZN7rocprim17ROCPRIM_400000_NS6detail17trampoline_kernelINS0_14default_configENS1_35radix_sort_onesweep_config_selectorIyNS0_10empty_typeEEEZZNS1_29radix_sort_onesweep_iterationIS3_Lb0EN6thrust23THRUST_200600_302600_NS6detail15normal_iteratorINS9_10device_ptrIyEEEESE_PS5_SF_jNS0_19identity_decomposerENS1_16block_id_wrapperIjLb0EEEEE10hipError_tT1_PNSt15iterator_traitsISK_E10value_typeET2_T3_PNSL_ISQ_E10value_typeET4_T5_PSV_SW_PNS1_23onesweep_lookback_stateEbbT6_jjT7_P12ihipStream_tbENKUlT_T0_SK_SP_E_clISE_PySF_SF_EEDaS13_S14_SK_SP_EUlS13_E_NS1_11comp_targetILNS1_3genE6ELNS1_11target_archE950ELNS1_3gpuE13ELNS1_3repE0EEENS1_47radix_sort_onesweep_sort_config_static_selectorELNS0_4arch9wavefront6targetE1EEEvSK_,"axG",@progbits,_ZN7rocprim17ROCPRIM_400000_NS6detail17trampoline_kernelINS0_14default_configENS1_35radix_sort_onesweep_config_selectorIyNS0_10empty_typeEEEZZNS1_29radix_sort_onesweep_iterationIS3_Lb0EN6thrust23THRUST_200600_302600_NS6detail15normal_iteratorINS9_10device_ptrIyEEEESE_PS5_SF_jNS0_19identity_decomposerENS1_16block_id_wrapperIjLb0EEEEE10hipError_tT1_PNSt15iterator_traitsISK_E10value_typeET2_T3_PNSL_ISQ_E10value_typeET4_T5_PSV_SW_PNS1_23onesweep_lookback_stateEbbT6_jjT7_P12ihipStream_tbENKUlT_T0_SK_SP_E_clISE_PySF_SF_EEDaS13_S14_SK_SP_EUlS13_E_NS1_11comp_targetILNS1_3genE6ELNS1_11target_archE950ELNS1_3gpuE13ELNS1_3repE0EEENS1_47radix_sort_onesweep_sort_config_static_selectorELNS0_4arch9wavefront6targetE1EEEvSK_,comdat
.Lfunc_end901:
	.size	_ZN7rocprim17ROCPRIM_400000_NS6detail17trampoline_kernelINS0_14default_configENS1_35radix_sort_onesweep_config_selectorIyNS0_10empty_typeEEEZZNS1_29radix_sort_onesweep_iterationIS3_Lb0EN6thrust23THRUST_200600_302600_NS6detail15normal_iteratorINS9_10device_ptrIyEEEESE_PS5_SF_jNS0_19identity_decomposerENS1_16block_id_wrapperIjLb0EEEEE10hipError_tT1_PNSt15iterator_traitsISK_E10value_typeET2_T3_PNSL_ISQ_E10value_typeET4_T5_PSV_SW_PNS1_23onesweep_lookback_stateEbbT6_jjT7_P12ihipStream_tbENKUlT_T0_SK_SP_E_clISE_PySF_SF_EEDaS13_S14_SK_SP_EUlS13_E_NS1_11comp_targetILNS1_3genE6ELNS1_11target_archE950ELNS1_3gpuE13ELNS1_3repE0EEENS1_47radix_sort_onesweep_sort_config_static_selectorELNS0_4arch9wavefront6targetE1EEEvSK_, .Lfunc_end901-_ZN7rocprim17ROCPRIM_400000_NS6detail17trampoline_kernelINS0_14default_configENS1_35radix_sort_onesweep_config_selectorIyNS0_10empty_typeEEEZZNS1_29radix_sort_onesweep_iterationIS3_Lb0EN6thrust23THRUST_200600_302600_NS6detail15normal_iteratorINS9_10device_ptrIyEEEESE_PS5_SF_jNS0_19identity_decomposerENS1_16block_id_wrapperIjLb0EEEEE10hipError_tT1_PNSt15iterator_traitsISK_E10value_typeET2_T3_PNSL_ISQ_E10value_typeET4_T5_PSV_SW_PNS1_23onesweep_lookback_stateEbbT6_jjT7_P12ihipStream_tbENKUlT_T0_SK_SP_E_clISE_PySF_SF_EEDaS13_S14_SK_SP_EUlS13_E_NS1_11comp_targetILNS1_3genE6ELNS1_11target_archE950ELNS1_3gpuE13ELNS1_3repE0EEENS1_47radix_sort_onesweep_sort_config_static_selectorELNS0_4arch9wavefront6targetE1EEEvSK_
                                        ; -- End function
	.section	.AMDGPU.csdata,"",@progbits
; Kernel info:
; codeLenInByte = 0
; NumSgprs: 4
; NumVgprs: 0
; NumAgprs: 0
; TotalNumVgprs: 0
; ScratchSize: 0
; MemoryBound: 0
; FloatMode: 240
; IeeeMode: 1
; LDSByteSize: 0 bytes/workgroup (compile time only)
; SGPRBlocks: 0
; VGPRBlocks: 0
; NumSGPRsForWavesPerEU: 4
; NumVGPRsForWavesPerEU: 1
; AccumOffset: 4
; Occupancy: 8
; WaveLimiterHint : 0
; COMPUTE_PGM_RSRC2:SCRATCH_EN: 0
; COMPUTE_PGM_RSRC2:USER_SGPR: 6
; COMPUTE_PGM_RSRC2:TRAP_HANDLER: 0
; COMPUTE_PGM_RSRC2:TGID_X_EN: 1
; COMPUTE_PGM_RSRC2:TGID_Y_EN: 0
; COMPUTE_PGM_RSRC2:TGID_Z_EN: 0
; COMPUTE_PGM_RSRC2:TIDIG_COMP_CNT: 0
; COMPUTE_PGM_RSRC3_GFX90A:ACCUM_OFFSET: 0
; COMPUTE_PGM_RSRC3_GFX90A:TG_SPLIT: 0
	.section	.text._ZN7rocprim17ROCPRIM_400000_NS6detail17trampoline_kernelINS0_14default_configENS1_35radix_sort_onesweep_config_selectorIyNS0_10empty_typeEEEZZNS1_29radix_sort_onesweep_iterationIS3_Lb0EN6thrust23THRUST_200600_302600_NS6detail15normal_iteratorINS9_10device_ptrIyEEEESE_PS5_SF_jNS0_19identity_decomposerENS1_16block_id_wrapperIjLb0EEEEE10hipError_tT1_PNSt15iterator_traitsISK_E10value_typeET2_T3_PNSL_ISQ_E10value_typeET4_T5_PSV_SW_PNS1_23onesweep_lookback_stateEbbT6_jjT7_P12ihipStream_tbENKUlT_T0_SK_SP_E_clISE_PySF_SF_EEDaS13_S14_SK_SP_EUlS13_E_NS1_11comp_targetILNS1_3genE5ELNS1_11target_archE942ELNS1_3gpuE9ELNS1_3repE0EEENS1_47radix_sort_onesweep_sort_config_static_selectorELNS0_4arch9wavefront6targetE1EEEvSK_,"axG",@progbits,_ZN7rocprim17ROCPRIM_400000_NS6detail17trampoline_kernelINS0_14default_configENS1_35radix_sort_onesweep_config_selectorIyNS0_10empty_typeEEEZZNS1_29radix_sort_onesweep_iterationIS3_Lb0EN6thrust23THRUST_200600_302600_NS6detail15normal_iteratorINS9_10device_ptrIyEEEESE_PS5_SF_jNS0_19identity_decomposerENS1_16block_id_wrapperIjLb0EEEEE10hipError_tT1_PNSt15iterator_traitsISK_E10value_typeET2_T3_PNSL_ISQ_E10value_typeET4_T5_PSV_SW_PNS1_23onesweep_lookback_stateEbbT6_jjT7_P12ihipStream_tbENKUlT_T0_SK_SP_E_clISE_PySF_SF_EEDaS13_S14_SK_SP_EUlS13_E_NS1_11comp_targetILNS1_3genE5ELNS1_11target_archE942ELNS1_3gpuE9ELNS1_3repE0EEENS1_47radix_sort_onesweep_sort_config_static_selectorELNS0_4arch9wavefront6targetE1EEEvSK_,comdat
	.protected	_ZN7rocprim17ROCPRIM_400000_NS6detail17trampoline_kernelINS0_14default_configENS1_35radix_sort_onesweep_config_selectorIyNS0_10empty_typeEEEZZNS1_29radix_sort_onesweep_iterationIS3_Lb0EN6thrust23THRUST_200600_302600_NS6detail15normal_iteratorINS9_10device_ptrIyEEEESE_PS5_SF_jNS0_19identity_decomposerENS1_16block_id_wrapperIjLb0EEEEE10hipError_tT1_PNSt15iterator_traitsISK_E10value_typeET2_T3_PNSL_ISQ_E10value_typeET4_T5_PSV_SW_PNS1_23onesweep_lookback_stateEbbT6_jjT7_P12ihipStream_tbENKUlT_T0_SK_SP_E_clISE_PySF_SF_EEDaS13_S14_SK_SP_EUlS13_E_NS1_11comp_targetILNS1_3genE5ELNS1_11target_archE942ELNS1_3gpuE9ELNS1_3repE0EEENS1_47radix_sort_onesweep_sort_config_static_selectorELNS0_4arch9wavefront6targetE1EEEvSK_ ; -- Begin function _ZN7rocprim17ROCPRIM_400000_NS6detail17trampoline_kernelINS0_14default_configENS1_35radix_sort_onesweep_config_selectorIyNS0_10empty_typeEEEZZNS1_29radix_sort_onesweep_iterationIS3_Lb0EN6thrust23THRUST_200600_302600_NS6detail15normal_iteratorINS9_10device_ptrIyEEEESE_PS5_SF_jNS0_19identity_decomposerENS1_16block_id_wrapperIjLb0EEEEE10hipError_tT1_PNSt15iterator_traitsISK_E10value_typeET2_T3_PNSL_ISQ_E10value_typeET4_T5_PSV_SW_PNS1_23onesweep_lookback_stateEbbT6_jjT7_P12ihipStream_tbENKUlT_T0_SK_SP_E_clISE_PySF_SF_EEDaS13_S14_SK_SP_EUlS13_E_NS1_11comp_targetILNS1_3genE5ELNS1_11target_archE942ELNS1_3gpuE9ELNS1_3repE0EEENS1_47radix_sort_onesweep_sort_config_static_selectorELNS0_4arch9wavefront6targetE1EEEvSK_
	.globl	_ZN7rocprim17ROCPRIM_400000_NS6detail17trampoline_kernelINS0_14default_configENS1_35radix_sort_onesweep_config_selectorIyNS0_10empty_typeEEEZZNS1_29radix_sort_onesweep_iterationIS3_Lb0EN6thrust23THRUST_200600_302600_NS6detail15normal_iteratorINS9_10device_ptrIyEEEESE_PS5_SF_jNS0_19identity_decomposerENS1_16block_id_wrapperIjLb0EEEEE10hipError_tT1_PNSt15iterator_traitsISK_E10value_typeET2_T3_PNSL_ISQ_E10value_typeET4_T5_PSV_SW_PNS1_23onesweep_lookback_stateEbbT6_jjT7_P12ihipStream_tbENKUlT_T0_SK_SP_E_clISE_PySF_SF_EEDaS13_S14_SK_SP_EUlS13_E_NS1_11comp_targetILNS1_3genE5ELNS1_11target_archE942ELNS1_3gpuE9ELNS1_3repE0EEENS1_47radix_sort_onesweep_sort_config_static_selectorELNS0_4arch9wavefront6targetE1EEEvSK_
	.p2align	8
	.type	_ZN7rocprim17ROCPRIM_400000_NS6detail17trampoline_kernelINS0_14default_configENS1_35radix_sort_onesweep_config_selectorIyNS0_10empty_typeEEEZZNS1_29radix_sort_onesweep_iterationIS3_Lb0EN6thrust23THRUST_200600_302600_NS6detail15normal_iteratorINS9_10device_ptrIyEEEESE_PS5_SF_jNS0_19identity_decomposerENS1_16block_id_wrapperIjLb0EEEEE10hipError_tT1_PNSt15iterator_traitsISK_E10value_typeET2_T3_PNSL_ISQ_E10value_typeET4_T5_PSV_SW_PNS1_23onesweep_lookback_stateEbbT6_jjT7_P12ihipStream_tbENKUlT_T0_SK_SP_E_clISE_PySF_SF_EEDaS13_S14_SK_SP_EUlS13_E_NS1_11comp_targetILNS1_3genE5ELNS1_11target_archE942ELNS1_3gpuE9ELNS1_3repE0EEENS1_47radix_sort_onesweep_sort_config_static_selectorELNS0_4arch9wavefront6targetE1EEEvSK_,@function
_ZN7rocprim17ROCPRIM_400000_NS6detail17trampoline_kernelINS0_14default_configENS1_35radix_sort_onesweep_config_selectorIyNS0_10empty_typeEEEZZNS1_29radix_sort_onesweep_iterationIS3_Lb0EN6thrust23THRUST_200600_302600_NS6detail15normal_iteratorINS9_10device_ptrIyEEEESE_PS5_SF_jNS0_19identity_decomposerENS1_16block_id_wrapperIjLb0EEEEE10hipError_tT1_PNSt15iterator_traitsISK_E10value_typeET2_T3_PNSL_ISQ_E10value_typeET4_T5_PSV_SW_PNS1_23onesweep_lookback_stateEbbT6_jjT7_P12ihipStream_tbENKUlT_T0_SK_SP_E_clISE_PySF_SF_EEDaS13_S14_SK_SP_EUlS13_E_NS1_11comp_targetILNS1_3genE5ELNS1_11target_archE942ELNS1_3gpuE9ELNS1_3repE0EEENS1_47radix_sort_onesweep_sort_config_static_selectorELNS0_4arch9wavefront6targetE1EEEvSK_: ; @_ZN7rocprim17ROCPRIM_400000_NS6detail17trampoline_kernelINS0_14default_configENS1_35radix_sort_onesweep_config_selectorIyNS0_10empty_typeEEEZZNS1_29radix_sort_onesweep_iterationIS3_Lb0EN6thrust23THRUST_200600_302600_NS6detail15normal_iteratorINS9_10device_ptrIyEEEESE_PS5_SF_jNS0_19identity_decomposerENS1_16block_id_wrapperIjLb0EEEEE10hipError_tT1_PNSt15iterator_traitsISK_E10value_typeET2_T3_PNSL_ISQ_E10value_typeET4_T5_PSV_SW_PNS1_23onesweep_lookback_stateEbbT6_jjT7_P12ihipStream_tbENKUlT_T0_SK_SP_E_clISE_PySF_SF_EEDaS13_S14_SK_SP_EUlS13_E_NS1_11comp_targetILNS1_3genE5ELNS1_11target_archE942ELNS1_3gpuE9ELNS1_3repE0EEENS1_47radix_sort_onesweep_sort_config_static_selectorELNS0_4arch9wavefront6targetE1EEEvSK_
; %bb.0:
	.section	.rodata,"a",@progbits
	.p2align	6, 0x0
	.amdhsa_kernel _ZN7rocprim17ROCPRIM_400000_NS6detail17trampoline_kernelINS0_14default_configENS1_35radix_sort_onesweep_config_selectorIyNS0_10empty_typeEEEZZNS1_29radix_sort_onesweep_iterationIS3_Lb0EN6thrust23THRUST_200600_302600_NS6detail15normal_iteratorINS9_10device_ptrIyEEEESE_PS5_SF_jNS0_19identity_decomposerENS1_16block_id_wrapperIjLb0EEEEE10hipError_tT1_PNSt15iterator_traitsISK_E10value_typeET2_T3_PNSL_ISQ_E10value_typeET4_T5_PSV_SW_PNS1_23onesweep_lookback_stateEbbT6_jjT7_P12ihipStream_tbENKUlT_T0_SK_SP_E_clISE_PySF_SF_EEDaS13_S14_SK_SP_EUlS13_E_NS1_11comp_targetILNS1_3genE5ELNS1_11target_archE942ELNS1_3gpuE9ELNS1_3repE0EEENS1_47radix_sort_onesweep_sort_config_static_selectorELNS0_4arch9wavefront6targetE1EEEvSK_
		.amdhsa_group_segment_fixed_size 0
		.amdhsa_private_segment_fixed_size 0
		.amdhsa_kernarg_size 88
		.amdhsa_user_sgpr_count 6
		.amdhsa_user_sgpr_private_segment_buffer 1
		.amdhsa_user_sgpr_dispatch_ptr 0
		.amdhsa_user_sgpr_queue_ptr 0
		.amdhsa_user_sgpr_kernarg_segment_ptr 1
		.amdhsa_user_sgpr_dispatch_id 0
		.amdhsa_user_sgpr_flat_scratch_init 0
		.amdhsa_user_sgpr_kernarg_preload_length 0
		.amdhsa_user_sgpr_kernarg_preload_offset 0
		.amdhsa_user_sgpr_private_segment_size 0
		.amdhsa_uses_dynamic_stack 0
		.amdhsa_system_sgpr_private_segment_wavefront_offset 0
		.amdhsa_system_sgpr_workgroup_id_x 1
		.amdhsa_system_sgpr_workgroup_id_y 0
		.amdhsa_system_sgpr_workgroup_id_z 0
		.amdhsa_system_sgpr_workgroup_info 0
		.amdhsa_system_vgpr_workitem_id 0
		.amdhsa_next_free_vgpr 1
		.amdhsa_next_free_sgpr 0
		.amdhsa_accum_offset 4
		.amdhsa_reserve_vcc 0
		.amdhsa_reserve_flat_scratch 0
		.amdhsa_float_round_mode_32 0
		.amdhsa_float_round_mode_16_64 0
		.amdhsa_float_denorm_mode_32 3
		.amdhsa_float_denorm_mode_16_64 3
		.amdhsa_dx10_clamp 1
		.amdhsa_ieee_mode 1
		.amdhsa_fp16_overflow 0
		.amdhsa_tg_split 0
		.amdhsa_exception_fp_ieee_invalid_op 0
		.amdhsa_exception_fp_denorm_src 0
		.amdhsa_exception_fp_ieee_div_zero 0
		.amdhsa_exception_fp_ieee_overflow 0
		.amdhsa_exception_fp_ieee_underflow 0
		.amdhsa_exception_fp_ieee_inexact 0
		.amdhsa_exception_int_div_zero 0
	.end_amdhsa_kernel
	.section	.text._ZN7rocprim17ROCPRIM_400000_NS6detail17trampoline_kernelINS0_14default_configENS1_35radix_sort_onesweep_config_selectorIyNS0_10empty_typeEEEZZNS1_29radix_sort_onesweep_iterationIS3_Lb0EN6thrust23THRUST_200600_302600_NS6detail15normal_iteratorINS9_10device_ptrIyEEEESE_PS5_SF_jNS0_19identity_decomposerENS1_16block_id_wrapperIjLb0EEEEE10hipError_tT1_PNSt15iterator_traitsISK_E10value_typeET2_T3_PNSL_ISQ_E10value_typeET4_T5_PSV_SW_PNS1_23onesweep_lookback_stateEbbT6_jjT7_P12ihipStream_tbENKUlT_T0_SK_SP_E_clISE_PySF_SF_EEDaS13_S14_SK_SP_EUlS13_E_NS1_11comp_targetILNS1_3genE5ELNS1_11target_archE942ELNS1_3gpuE9ELNS1_3repE0EEENS1_47radix_sort_onesweep_sort_config_static_selectorELNS0_4arch9wavefront6targetE1EEEvSK_,"axG",@progbits,_ZN7rocprim17ROCPRIM_400000_NS6detail17trampoline_kernelINS0_14default_configENS1_35radix_sort_onesweep_config_selectorIyNS0_10empty_typeEEEZZNS1_29radix_sort_onesweep_iterationIS3_Lb0EN6thrust23THRUST_200600_302600_NS6detail15normal_iteratorINS9_10device_ptrIyEEEESE_PS5_SF_jNS0_19identity_decomposerENS1_16block_id_wrapperIjLb0EEEEE10hipError_tT1_PNSt15iterator_traitsISK_E10value_typeET2_T3_PNSL_ISQ_E10value_typeET4_T5_PSV_SW_PNS1_23onesweep_lookback_stateEbbT6_jjT7_P12ihipStream_tbENKUlT_T0_SK_SP_E_clISE_PySF_SF_EEDaS13_S14_SK_SP_EUlS13_E_NS1_11comp_targetILNS1_3genE5ELNS1_11target_archE942ELNS1_3gpuE9ELNS1_3repE0EEENS1_47radix_sort_onesweep_sort_config_static_selectorELNS0_4arch9wavefront6targetE1EEEvSK_,comdat
.Lfunc_end902:
	.size	_ZN7rocprim17ROCPRIM_400000_NS6detail17trampoline_kernelINS0_14default_configENS1_35radix_sort_onesweep_config_selectorIyNS0_10empty_typeEEEZZNS1_29radix_sort_onesweep_iterationIS3_Lb0EN6thrust23THRUST_200600_302600_NS6detail15normal_iteratorINS9_10device_ptrIyEEEESE_PS5_SF_jNS0_19identity_decomposerENS1_16block_id_wrapperIjLb0EEEEE10hipError_tT1_PNSt15iterator_traitsISK_E10value_typeET2_T3_PNSL_ISQ_E10value_typeET4_T5_PSV_SW_PNS1_23onesweep_lookback_stateEbbT6_jjT7_P12ihipStream_tbENKUlT_T0_SK_SP_E_clISE_PySF_SF_EEDaS13_S14_SK_SP_EUlS13_E_NS1_11comp_targetILNS1_3genE5ELNS1_11target_archE942ELNS1_3gpuE9ELNS1_3repE0EEENS1_47radix_sort_onesweep_sort_config_static_selectorELNS0_4arch9wavefront6targetE1EEEvSK_, .Lfunc_end902-_ZN7rocprim17ROCPRIM_400000_NS6detail17trampoline_kernelINS0_14default_configENS1_35radix_sort_onesweep_config_selectorIyNS0_10empty_typeEEEZZNS1_29radix_sort_onesweep_iterationIS3_Lb0EN6thrust23THRUST_200600_302600_NS6detail15normal_iteratorINS9_10device_ptrIyEEEESE_PS5_SF_jNS0_19identity_decomposerENS1_16block_id_wrapperIjLb0EEEEE10hipError_tT1_PNSt15iterator_traitsISK_E10value_typeET2_T3_PNSL_ISQ_E10value_typeET4_T5_PSV_SW_PNS1_23onesweep_lookback_stateEbbT6_jjT7_P12ihipStream_tbENKUlT_T0_SK_SP_E_clISE_PySF_SF_EEDaS13_S14_SK_SP_EUlS13_E_NS1_11comp_targetILNS1_3genE5ELNS1_11target_archE942ELNS1_3gpuE9ELNS1_3repE0EEENS1_47radix_sort_onesweep_sort_config_static_selectorELNS0_4arch9wavefront6targetE1EEEvSK_
                                        ; -- End function
	.section	.AMDGPU.csdata,"",@progbits
; Kernel info:
; codeLenInByte = 0
; NumSgprs: 4
; NumVgprs: 0
; NumAgprs: 0
; TotalNumVgprs: 0
; ScratchSize: 0
; MemoryBound: 0
; FloatMode: 240
; IeeeMode: 1
; LDSByteSize: 0 bytes/workgroup (compile time only)
; SGPRBlocks: 0
; VGPRBlocks: 0
; NumSGPRsForWavesPerEU: 4
; NumVGPRsForWavesPerEU: 1
; AccumOffset: 4
; Occupancy: 8
; WaveLimiterHint : 0
; COMPUTE_PGM_RSRC2:SCRATCH_EN: 0
; COMPUTE_PGM_RSRC2:USER_SGPR: 6
; COMPUTE_PGM_RSRC2:TRAP_HANDLER: 0
; COMPUTE_PGM_RSRC2:TGID_X_EN: 1
; COMPUTE_PGM_RSRC2:TGID_Y_EN: 0
; COMPUTE_PGM_RSRC2:TGID_Z_EN: 0
; COMPUTE_PGM_RSRC2:TIDIG_COMP_CNT: 0
; COMPUTE_PGM_RSRC3_GFX90A:ACCUM_OFFSET: 0
; COMPUTE_PGM_RSRC3_GFX90A:TG_SPLIT: 0
	.section	.text._ZN7rocprim17ROCPRIM_400000_NS6detail17trampoline_kernelINS0_14default_configENS1_35radix_sort_onesweep_config_selectorIyNS0_10empty_typeEEEZZNS1_29radix_sort_onesweep_iterationIS3_Lb0EN6thrust23THRUST_200600_302600_NS6detail15normal_iteratorINS9_10device_ptrIyEEEESE_PS5_SF_jNS0_19identity_decomposerENS1_16block_id_wrapperIjLb0EEEEE10hipError_tT1_PNSt15iterator_traitsISK_E10value_typeET2_T3_PNSL_ISQ_E10value_typeET4_T5_PSV_SW_PNS1_23onesweep_lookback_stateEbbT6_jjT7_P12ihipStream_tbENKUlT_T0_SK_SP_E_clISE_PySF_SF_EEDaS13_S14_SK_SP_EUlS13_E_NS1_11comp_targetILNS1_3genE2ELNS1_11target_archE906ELNS1_3gpuE6ELNS1_3repE0EEENS1_47radix_sort_onesweep_sort_config_static_selectorELNS0_4arch9wavefront6targetE1EEEvSK_,"axG",@progbits,_ZN7rocprim17ROCPRIM_400000_NS6detail17trampoline_kernelINS0_14default_configENS1_35radix_sort_onesweep_config_selectorIyNS0_10empty_typeEEEZZNS1_29radix_sort_onesweep_iterationIS3_Lb0EN6thrust23THRUST_200600_302600_NS6detail15normal_iteratorINS9_10device_ptrIyEEEESE_PS5_SF_jNS0_19identity_decomposerENS1_16block_id_wrapperIjLb0EEEEE10hipError_tT1_PNSt15iterator_traitsISK_E10value_typeET2_T3_PNSL_ISQ_E10value_typeET4_T5_PSV_SW_PNS1_23onesweep_lookback_stateEbbT6_jjT7_P12ihipStream_tbENKUlT_T0_SK_SP_E_clISE_PySF_SF_EEDaS13_S14_SK_SP_EUlS13_E_NS1_11comp_targetILNS1_3genE2ELNS1_11target_archE906ELNS1_3gpuE6ELNS1_3repE0EEENS1_47radix_sort_onesweep_sort_config_static_selectorELNS0_4arch9wavefront6targetE1EEEvSK_,comdat
	.protected	_ZN7rocprim17ROCPRIM_400000_NS6detail17trampoline_kernelINS0_14default_configENS1_35radix_sort_onesweep_config_selectorIyNS0_10empty_typeEEEZZNS1_29radix_sort_onesweep_iterationIS3_Lb0EN6thrust23THRUST_200600_302600_NS6detail15normal_iteratorINS9_10device_ptrIyEEEESE_PS5_SF_jNS0_19identity_decomposerENS1_16block_id_wrapperIjLb0EEEEE10hipError_tT1_PNSt15iterator_traitsISK_E10value_typeET2_T3_PNSL_ISQ_E10value_typeET4_T5_PSV_SW_PNS1_23onesweep_lookback_stateEbbT6_jjT7_P12ihipStream_tbENKUlT_T0_SK_SP_E_clISE_PySF_SF_EEDaS13_S14_SK_SP_EUlS13_E_NS1_11comp_targetILNS1_3genE2ELNS1_11target_archE906ELNS1_3gpuE6ELNS1_3repE0EEENS1_47radix_sort_onesweep_sort_config_static_selectorELNS0_4arch9wavefront6targetE1EEEvSK_ ; -- Begin function _ZN7rocprim17ROCPRIM_400000_NS6detail17trampoline_kernelINS0_14default_configENS1_35radix_sort_onesweep_config_selectorIyNS0_10empty_typeEEEZZNS1_29radix_sort_onesweep_iterationIS3_Lb0EN6thrust23THRUST_200600_302600_NS6detail15normal_iteratorINS9_10device_ptrIyEEEESE_PS5_SF_jNS0_19identity_decomposerENS1_16block_id_wrapperIjLb0EEEEE10hipError_tT1_PNSt15iterator_traitsISK_E10value_typeET2_T3_PNSL_ISQ_E10value_typeET4_T5_PSV_SW_PNS1_23onesweep_lookback_stateEbbT6_jjT7_P12ihipStream_tbENKUlT_T0_SK_SP_E_clISE_PySF_SF_EEDaS13_S14_SK_SP_EUlS13_E_NS1_11comp_targetILNS1_3genE2ELNS1_11target_archE906ELNS1_3gpuE6ELNS1_3repE0EEENS1_47radix_sort_onesweep_sort_config_static_selectorELNS0_4arch9wavefront6targetE1EEEvSK_
	.globl	_ZN7rocprim17ROCPRIM_400000_NS6detail17trampoline_kernelINS0_14default_configENS1_35radix_sort_onesweep_config_selectorIyNS0_10empty_typeEEEZZNS1_29radix_sort_onesweep_iterationIS3_Lb0EN6thrust23THRUST_200600_302600_NS6detail15normal_iteratorINS9_10device_ptrIyEEEESE_PS5_SF_jNS0_19identity_decomposerENS1_16block_id_wrapperIjLb0EEEEE10hipError_tT1_PNSt15iterator_traitsISK_E10value_typeET2_T3_PNSL_ISQ_E10value_typeET4_T5_PSV_SW_PNS1_23onesweep_lookback_stateEbbT6_jjT7_P12ihipStream_tbENKUlT_T0_SK_SP_E_clISE_PySF_SF_EEDaS13_S14_SK_SP_EUlS13_E_NS1_11comp_targetILNS1_3genE2ELNS1_11target_archE906ELNS1_3gpuE6ELNS1_3repE0EEENS1_47radix_sort_onesweep_sort_config_static_selectorELNS0_4arch9wavefront6targetE1EEEvSK_
	.p2align	8
	.type	_ZN7rocprim17ROCPRIM_400000_NS6detail17trampoline_kernelINS0_14default_configENS1_35radix_sort_onesweep_config_selectorIyNS0_10empty_typeEEEZZNS1_29radix_sort_onesweep_iterationIS3_Lb0EN6thrust23THRUST_200600_302600_NS6detail15normal_iteratorINS9_10device_ptrIyEEEESE_PS5_SF_jNS0_19identity_decomposerENS1_16block_id_wrapperIjLb0EEEEE10hipError_tT1_PNSt15iterator_traitsISK_E10value_typeET2_T3_PNSL_ISQ_E10value_typeET4_T5_PSV_SW_PNS1_23onesweep_lookback_stateEbbT6_jjT7_P12ihipStream_tbENKUlT_T0_SK_SP_E_clISE_PySF_SF_EEDaS13_S14_SK_SP_EUlS13_E_NS1_11comp_targetILNS1_3genE2ELNS1_11target_archE906ELNS1_3gpuE6ELNS1_3repE0EEENS1_47radix_sort_onesweep_sort_config_static_selectorELNS0_4arch9wavefront6targetE1EEEvSK_,@function
_ZN7rocprim17ROCPRIM_400000_NS6detail17trampoline_kernelINS0_14default_configENS1_35radix_sort_onesweep_config_selectorIyNS0_10empty_typeEEEZZNS1_29radix_sort_onesweep_iterationIS3_Lb0EN6thrust23THRUST_200600_302600_NS6detail15normal_iteratorINS9_10device_ptrIyEEEESE_PS5_SF_jNS0_19identity_decomposerENS1_16block_id_wrapperIjLb0EEEEE10hipError_tT1_PNSt15iterator_traitsISK_E10value_typeET2_T3_PNSL_ISQ_E10value_typeET4_T5_PSV_SW_PNS1_23onesweep_lookback_stateEbbT6_jjT7_P12ihipStream_tbENKUlT_T0_SK_SP_E_clISE_PySF_SF_EEDaS13_S14_SK_SP_EUlS13_E_NS1_11comp_targetILNS1_3genE2ELNS1_11target_archE906ELNS1_3gpuE6ELNS1_3repE0EEENS1_47radix_sort_onesweep_sort_config_static_selectorELNS0_4arch9wavefront6targetE1EEEvSK_: ; @_ZN7rocprim17ROCPRIM_400000_NS6detail17trampoline_kernelINS0_14default_configENS1_35radix_sort_onesweep_config_selectorIyNS0_10empty_typeEEEZZNS1_29radix_sort_onesweep_iterationIS3_Lb0EN6thrust23THRUST_200600_302600_NS6detail15normal_iteratorINS9_10device_ptrIyEEEESE_PS5_SF_jNS0_19identity_decomposerENS1_16block_id_wrapperIjLb0EEEEE10hipError_tT1_PNSt15iterator_traitsISK_E10value_typeET2_T3_PNSL_ISQ_E10value_typeET4_T5_PSV_SW_PNS1_23onesweep_lookback_stateEbbT6_jjT7_P12ihipStream_tbENKUlT_T0_SK_SP_E_clISE_PySF_SF_EEDaS13_S14_SK_SP_EUlS13_E_NS1_11comp_targetILNS1_3genE2ELNS1_11target_archE906ELNS1_3gpuE6ELNS1_3repE0EEENS1_47radix_sort_onesweep_sort_config_static_selectorELNS0_4arch9wavefront6targetE1EEEvSK_
; %bb.0:
	.section	.rodata,"a",@progbits
	.p2align	6, 0x0
	.amdhsa_kernel _ZN7rocprim17ROCPRIM_400000_NS6detail17trampoline_kernelINS0_14default_configENS1_35radix_sort_onesweep_config_selectorIyNS0_10empty_typeEEEZZNS1_29radix_sort_onesweep_iterationIS3_Lb0EN6thrust23THRUST_200600_302600_NS6detail15normal_iteratorINS9_10device_ptrIyEEEESE_PS5_SF_jNS0_19identity_decomposerENS1_16block_id_wrapperIjLb0EEEEE10hipError_tT1_PNSt15iterator_traitsISK_E10value_typeET2_T3_PNSL_ISQ_E10value_typeET4_T5_PSV_SW_PNS1_23onesweep_lookback_stateEbbT6_jjT7_P12ihipStream_tbENKUlT_T0_SK_SP_E_clISE_PySF_SF_EEDaS13_S14_SK_SP_EUlS13_E_NS1_11comp_targetILNS1_3genE2ELNS1_11target_archE906ELNS1_3gpuE6ELNS1_3repE0EEENS1_47radix_sort_onesweep_sort_config_static_selectorELNS0_4arch9wavefront6targetE1EEEvSK_
		.amdhsa_group_segment_fixed_size 0
		.amdhsa_private_segment_fixed_size 0
		.amdhsa_kernarg_size 88
		.amdhsa_user_sgpr_count 6
		.amdhsa_user_sgpr_private_segment_buffer 1
		.amdhsa_user_sgpr_dispatch_ptr 0
		.amdhsa_user_sgpr_queue_ptr 0
		.amdhsa_user_sgpr_kernarg_segment_ptr 1
		.amdhsa_user_sgpr_dispatch_id 0
		.amdhsa_user_sgpr_flat_scratch_init 0
		.amdhsa_user_sgpr_kernarg_preload_length 0
		.amdhsa_user_sgpr_kernarg_preload_offset 0
		.amdhsa_user_sgpr_private_segment_size 0
		.amdhsa_uses_dynamic_stack 0
		.amdhsa_system_sgpr_private_segment_wavefront_offset 0
		.amdhsa_system_sgpr_workgroup_id_x 1
		.amdhsa_system_sgpr_workgroup_id_y 0
		.amdhsa_system_sgpr_workgroup_id_z 0
		.amdhsa_system_sgpr_workgroup_info 0
		.amdhsa_system_vgpr_workitem_id 0
		.amdhsa_next_free_vgpr 1
		.amdhsa_next_free_sgpr 0
		.amdhsa_accum_offset 4
		.amdhsa_reserve_vcc 0
		.amdhsa_reserve_flat_scratch 0
		.amdhsa_float_round_mode_32 0
		.amdhsa_float_round_mode_16_64 0
		.amdhsa_float_denorm_mode_32 3
		.amdhsa_float_denorm_mode_16_64 3
		.amdhsa_dx10_clamp 1
		.amdhsa_ieee_mode 1
		.amdhsa_fp16_overflow 0
		.amdhsa_tg_split 0
		.amdhsa_exception_fp_ieee_invalid_op 0
		.amdhsa_exception_fp_denorm_src 0
		.amdhsa_exception_fp_ieee_div_zero 0
		.amdhsa_exception_fp_ieee_overflow 0
		.amdhsa_exception_fp_ieee_underflow 0
		.amdhsa_exception_fp_ieee_inexact 0
		.amdhsa_exception_int_div_zero 0
	.end_amdhsa_kernel
	.section	.text._ZN7rocprim17ROCPRIM_400000_NS6detail17trampoline_kernelINS0_14default_configENS1_35radix_sort_onesweep_config_selectorIyNS0_10empty_typeEEEZZNS1_29radix_sort_onesweep_iterationIS3_Lb0EN6thrust23THRUST_200600_302600_NS6detail15normal_iteratorINS9_10device_ptrIyEEEESE_PS5_SF_jNS0_19identity_decomposerENS1_16block_id_wrapperIjLb0EEEEE10hipError_tT1_PNSt15iterator_traitsISK_E10value_typeET2_T3_PNSL_ISQ_E10value_typeET4_T5_PSV_SW_PNS1_23onesweep_lookback_stateEbbT6_jjT7_P12ihipStream_tbENKUlT_T0_SK_SP_E_clISE_PySF_SF_EEDaS13_S14_SK_SP_EUlS13_E_NS1_11comp_targetILNS1_3genE2ELNS1_11target_archE906ELNS1_3gpuE6ELNS1_3repE0EEENS1_47radix_sort_onesweep_sort_config_static_selectorELNS0_4arch9wavefront6targetE1EEEvSK_,"axG",@progbits,_ZN7rocprim17ROCPRIM_400000_NS6detail17trampoline_kernelINS0_14default_configENS1_35radix_sort_onesweep_config_selectorIyNS0_10empty_typeEEEZZNS1_29radix_sort_onesweep_iterationIS3_Lb0EN6thrust23THRUST_200600_302600_NS6detail15normal_iteratorINS9_10device_ptrIyEEEESE_PS5_SF_jNS0_19identity_decomposerENS1_16block_id_wrapperIjLb0EEEEE10hipError_tT1_PNSt15iterator_traitsISK_E10value_typeET2_T3_PNSL_ISQ_E10value_typeET4_T5_PSV_SW_PNS1_23onesweep_lookback_stateEbbT6_jjT7_P12ihipStream_tbENKUlT_T0_SK_SP_E_clISE_PySF_SF_EEDaS13_S14_SK_SP_EUlS13_E_NS1_11comp_targetILNS1_3genE2ELNS1_11target_archE906ELNS1_3gpuE6ELNS1_3repE0EEENS1_47radix_sort_onesweep_sort_config_static_selectorELNS0_4arch9wavefront6targetE1EEEvSK_,comdat
.Lfunc_end903:
	.size	_ZN7rocprim17ROCPRIM_400000_NS6detail17trampoline_kernelINS0_14default_configENS1_35radix_sort_onesweep_config_selectorIyNS0_10empty_typeEEEZZNS1_29radix_sort_onesweep_iterationIS3_Lb0EN6thrust23THRUST_200600_302600_NS6detail15normal_iteratorINS9_10device_ptrIyEEEESE_PS5_SF_jNS0_19identity_decomposerENS1_16block_id_wrapperIjLb0EEEEE10hipError_tT1_PNSt15iterator_traitsISK_E10value_typeET2_T3_PNSL_ISQ_E10value_typeET4_T5_PSV_SW_PNS1_23onesweep_lookback_stateEbbT6_jjT7_P12ihipStream_tbENKUlT_T0_SK_SP_E_clISE_PySF_SF_EEDaS13_S14_SK_SP_EUlS13_E_NS1_11comp_targetILNS1_3genE2ELNS1_11target_archE906ELNS1_3gpuE6ELNS1_3repE0EEENS1_47radix_sort_onesweep_sort_config_static_selectorELNS0_4arch9wavefront6targetE1EEEvSK_, .Lfunc_end903-_ZN7rocprim17ROCPRIM_400000_NS6detail17trampoline_kernelINS0_14default_configENS1_35radix_sort_onesweep_config_selectorIyNS0_10empty_typeEEEZZNS1_29radix_sort_onesweep_iterationIS3_Lb0EN6thrust23THRUST_200600_302600_NS6detail15normal_iteratorINS9_10device_ptrIyEEEESE_PS5_SF_jNS0_19identity_decomposerENS1_16block_id_wrapperIjLb0EEEEE10hipError_tT1_PNSt15iterator_traitsISK_E10value_typeET2_T3_PNSL_ISQ_E10value_typeET4_T5_PSV_SW_PNS1_23onesweep_lookback_stateEbbT6_jjT7_P12ihipStream_tbENKUlT_T0_SK_SP_E_clISE_PySF_SF_EEDaS13_S14_SK_SP_EUlS13_E_NS1_11comp_targetILNS1_3genE2ELNS1_11target_archE906ELNS1_3gpuE6ELNS1_3repE0EEENS1_47radix_sort_onesweep_sort_config_static_selectorELNS0_4arch9wavefront6targetE1EEEvSK_
                                        ; -- End function
	.section	.AMDGPU.csdata,"",@progbits
; Kernel info:
; codeLenInByte = 0
; NumSgprs: 4
; NumVgprs: 0
; NumAgprs: 0
; TotalNumVgprs: 0
; ScratchSize: 0
; MemoryBound: 0
; FloatMode: 240
; IeeeMode: 1
; LDSByteSize: 0 bytes/workgroup (compile time only)
; SGPRBlocks: 0
; VGPRBlocks: 0
; NumSGPRsForWavesPerEU: 4
; NumVGPRsForWavesPerEU: 1
; AccumOffset: 4
; Occupancy: 8
; WaveLimiterHint : 0
; COMPUTE_PGM_RSRC2:SCRATCH_EN: 0
; COMPUTE_PGM_RSRC2:USER_SGPR: 6
; COMPUTE_PGM_RSRC2:TRAP_HANDLER: 0
; COMPUTE_PGM_RSRC2:TGID_X_EN: 1
; COMPUTE_PGM_RSRC2:TGID_Y_EN: 0
; COMPUTE_PGM_RSRC2:TGID_Z_EN: 0
; COMPUTE_PGM_RSRC2:TIDIG_COMP_CNT: 0
; COMPUTE_PGM_RSRC3_GFX90A:ACCUM_OFFSET: 0
; COMPUTE_PGM_RSRC3_GFX90A:TG_SPLIT: 0
	.section	.text._ZN7rocprim17ROCPRIM_400000_NS6detail17trampoline_kernelINS0_14default_configENS1_35radix_sort_onesweep_config_selectorIyNS0_10empty_typeEEEZZNS1_29radix_sort_onesweep_iterationIS3_Lb0EN6thrust23THRUST_200600_302600_NS6detail15normal_iteratorINS9_10device_ptrIyEEEESE_PS5_SF_jNS0_19identity_decomposerENS1_16block_id_wrapperIjLb0EEEEE10hipError_tT1_PNSt15iterator_traitsISK_E10value_typeET2_T3_PNSL_ISQ_E10value_typeET4_T5_PSV_SW_PNS1_23onesweep_lookback_stateEbbT6_jjT7_P12ihipStream_tbENKUlT_T0_SK_SP_E_clISE_PySF_SF_EEDaS13_S14_SK_SP_EUlS13_E_NS1_11comp_targetILNS1_3genE4ELNS1_11target_archE910ELNS1_3gpuE8ELNS1_3repE0EEENS1_47radix_sort_onesweep_sort_config_static_selectorELNS0_4arch9wavefront6targetE1EEEvSK_,"axG",@progbits,_ZN7rocprim17ROCPRIM_400000_NS6detail17trampoline_kernelINS0_14default_configENS1_35radix_sort_onesweep_config_selectorIyNS0_10empty_typeEEEZZNS1_29radix_sort_onesweep_iterationIS3_Lb0EN6thrust23THRUST_200600_302600_NS6detail15normal_iteratorINS9_10device_ptrIyEEEESE_PS5_SF_jNS0_19identity_decomposerENS1_16block_id_wrapperIjLb0EEEEE10hipError_tT1_PNSt15iterator_traitsISK_E10value_typeET2_T3_PNSL_ISQ_E10value_typeET4_T5_PSV_SW_PNS1_23onesweep_lookback_stateEbbT6_jjT7_P12ihipStream_tbENKUlT_T0_SK_SP_E_clISE_PySF_SF_EEDaS13_S14_SK_SP_EUlS13_E_NS1_11comp_targetILNS1_3genE4ELNS1_11target_archE910ELNS1_3gpuE8ELNS1_3repE0EEENS1_47radix_sort_onesweep_sort_config_static_selectorELNS0_4arch9wavefront6targetE1EEEvSK_,comdat
	.protected	_ZN7rocprim17ROCPRIM_400000_NS6detail17trampoline_kernelINS0_14default_configENS1_35radix_sort_onesweep_config_selectorIyNS0_10empty_typeEEEZZNS1_29radix_sort_onesweep_iterationIS3_Lb0EN6thrust23THRUST_200600_302600_NS6detail15normal_iteratorINS9_10device_ptrIyEEEESE_PS5_SF_jNS0_19identity_decomposerENS1_16block_id_wrapperIjLb0EEEEE10hipError_tT1_PNSt15iterator_traitsISK_E10value_typeET2_T3_PNSL_ISQ_E10value_typeET4_T5_PSV_SW_PNS1_23onesweep_lookback_stateEbbT6_jjT7_P12ihipStream_tbENKUlT_T0_SK_SP_E_clISE_PySF_SF_EEDaS13_S14_SK_SP_EUlS13_E_NS1_11comp_targetILNS1_3genE4ELNS1_11target_archE910ELNS1_3gpuE8ELNS1_3repE0EEENS1_47radix_sort_onesweep_sort_config_static_selectorELNS0_4arch9wavefront6targetE1EEEvSK_ ; -- Begin function _ZN7rocprim17ROCPRIM_400000_NS6detail17trampoline_kernelINS0_14default_configENS1_35radix_sort_onesweep_config_selectorIyNS0_10empty_typeEEEZZNS1_29radix_sort_onesweep_iterationIS3_Lb0EN6thrust23THRUST_200600_302600_NS6detail15normal_iteratorINS9_10device_ptrIyEEEESE_PS5_SF_jNS0_19identity_decomposerENS1_16block_id_wrapperIjLb0EEEEE10hipError_tT1_PNSt15iterator_traitsISK_E10value_typeET2_T3_PNSL_ISQ_E10value_typeET4_T5_PSV_SW_PNS1_23onesweep_lookback_stateEbbT6_jjT7_P12ihipStream_tbENKUlT_T0_SK_SP_E_clISE_PySF_SF_EEDaS13_S14_SK_SP_EUlS13_E_NS1_11comp_targetILNS1_3genE4ELNS1_11target_archE910ELNS1_3gpuE8ELNS1_3repE0EEENS1_47radix_sort_onesweep_sort_config_static_selectorELNS0_4arch9wavefront6targetE1EEEvSK_
	.globl	_ZN7rocprim17ROCPRIM_400000_NS6detail17trampoline_kernelINS0_14default_configENS1_35radix_sort_onesweep_config_selectorIyNS0_10empty_typeEEEZZNS1_29radix_sort_onesweep_iterationIS3_Lb0EN6thrust23THRUST_200600_302600_NS6detail15normal_iteratorINS9_10device_ptrIyEEEESE_PS5_SF_jNS0_19identity_decomposerENS1_16block_id_wrapperIjLb0EEEEE10hipError_tT1_PNSt15iterator_traitsISK_E10value_typeET2_T3_PNSL_ISQ_E10value_typeET4_T5_PSV_SW_PNS1_23onesweep_lookback_stateEbbT6_jjT7_P12ihipStream_tbENKUlT_T0_SK_SP_E_clISE_PySF_SF_EEDaS13_S14_SK_SP_EUlS13_E_NS1_11comp_targetILNS1_3genE4ELNS1_11target_archE910ELNS1_3gpuE8ELNS1_3repE0EEENS1_47radix_sort_onesweep_sort_config_static_selectorELNS0_4arch9wavefront6targetE1EEEvSK_
	.p2align	8
	.type	_ZN7rocprim17ROCPRIM_400000_NS6detail17trampoline_kernelINS0_14default_configENS1_35radix_sort_onesweep_config_selectorIyNS0_10empty_typeEEEZZNS1_29radix_sort_onesweep_iterationIS3_Lb0EN6thrust23THRUST_200600_302600_NS6detail15normal_iteratorINS9_10device_ptrIyEEEESE_PS5_SF_jNS0_19identity_decomposerENS1_16block_id_wrapperIjLb0EEEEE10hipError_tT1_PNSt15iterator_traitsISK_E10value_typeET2_T3_PNSL_ISQ_E10value_typeET4_T5_PSV_SW_PNS1_23onesweep_lookback_stateEbbT6_jjT7_P12ihipStream_tbENKUlT_T0_SK_SP_E_clISE_PySF_SF_EEDaS13_S14_SK_SP_EUlS13_E_NS1_11comp_targetILNS1_3genE4ELNS1_11target_archE910ELNS1_3gpuE8ELNS1_3repE0EEENS1_47radix_sort_onesweep_sort_config_static_selectorELNS0_4arch9wavefront6targetE1EEEvSK_,@function
_ZN7rocprim17ROCPRIM_400000_NS6detail17trampoline_kernelINS0_14default_configENS1_35radix_sort_onesweep_config_selectorIyNS0_10empty_typeEEEZZNS1_29radix_sort_onesweep_iterationIS3_Lb0EN6thrust23THRUST_200600_302600_NS6detail15normal_iteratorINS9_10device_ptrIyEEEESE_PS5_SF_jNS0_19identity_decomposerENS1_16block_id_wrapperIjLb0EEEEE10hipError_tT1_PNSt15iterator_traitsISK_E10value_typeET2_T3_PNSL_ISQ_E10value_typeET4_T5_PSV_SW_PNS1_23onesweep_lookback_stateEbbT6_jjT7_P12ihipStream_tbENKUlT_T0_SK_SP_E_clISE_PySF_SF_EEDaS13_S14_SK_SP_EUlS13_E_NS1_11comp_targetILNS1_3genE4ELNS1_11target_archE910ELNS1_3gpuE8ELNS1_3repE0EEENS1_47radix_sort_onesweep_sort_config_static_selectorELNS0_4arch9wavefront6targetE1EEEvSK_: ; @_ZN7rocprim17ROCPRIM_400000_NS6detail17trampoline_kernelINS0_14default_configENS1_35radix_sort_onesweep_config_selectorIyNS0_10empty_typeEEEZZNS1_29radix_sort_onesweep_iterationIS3_Lb0EN6thrust23THRUST_200600_302600_NS6detail15normal_iteratorINS9_10device_ptrIyEEEESE_PS5_SF_jNS0_19identity_decomposerENS1_16block_id_wrapperIjLb0EEEEE10hipError_tT1_PNSt15iterator_traitsISK_E10value_typeET2_T3_PNSL_ISQ_E10value_typeET4_T5_PSV_SW_PNS1_23onesweep_lookback_stateEbbT6_jjT7_P12ihipStream_tbENKUlT_T0_SK_SP_E_clISE_PySF_SF_EEDaS13_S14_SK_SP_EUlS13_E_NS1_11comp_targetILNS1_3genE4ELNS1_11target_archE910ELNS1_3gpuE8ELNS1_3repE0EEENS1_47radix_sort_onesweep_sort_config_static_selectorELNS0_4arch9wavefront6targetE1EEEvSK_
; %bb.0:
	s_load_dwordx2 s[24:25], s[4:5], 0x38
	s_load_dwordx4 s[16:19], s[4:5], 0x44
	s_load_dwordx4 s[20:23], s[4:5], 0x0
	;; [unrolled: 1-line block ×3, first 2 shown]
	v_mbcnt_lo_u32_b32 v1, -1, 0
	s_waitcnt lgkmcnt(0)
	s_cmp_ge_u32 s6, s18
	s_cbranch_scc0 .LBB904_59
; %bb.1:
	s_load_dword s2, s[4:5], 0x20
	s_lshl_b32 s3, s18, 13
	s_lshl_b32 s0, s6, 13
	s_mov_b32 s1, 0
	s_lshl_b64 s[0:1], s[0:1], 3
	s_waitcnt lgkmcnt(0)
	s_sub_i32 s7, s2, s3
	v_mbcnt_hi_u32_b32 v24, -1, v1
	v_and_b32_e32 v2, 0x3ff, v0
	s_add_u32 s0, s20, s0
	v_and_b32_e32 v4, 63, v24
	s_addc_u32 s1, s21, s1
	v_lshlrev_b32_e32 v3, 3, v2
	v_lshlrev_b32_e32 v6, 3, v4
	v_and_b32_e32 v5, 0x1e00, v3
	v_mov_b32_e32 v7, s1
	v_add_co_u32_e32 v6, vcc, s0, v6
	v_addc_co_u32_e32 v7, vcc, 0, v7, vcc
	v_lshlrev_b32_e32 v8, 3, v5
	v_add_co_u32_e32 v20, vcc, v6, v8
	v_addc_co_u32_e32 v21, vcc, 0, v7, vcc
	v_or_b32_e32 v22, v4, v5
	v_pk_mov_b32 v[4:5], -1, -1
	v_cmp_gt_u32_e32 vcc, s7, v22
	v_pk_mov_b32 v[6:7], v[4:5], v[4:5] op_sel:[0,1]
	s_and_saveexec_b64 s[0:1], vcc
	s_cbranch_execz .LBB904_3
; %bb.2:
	global_load_dwordx2 v[6:7], v[20:21], off
.LBB904_3:
	s_or_b64 exec, exec, s[0:1]
	v_or_b32_e32 v8, 64, v22
	v_cmp_gt_u32_e32 vcc, s7, v8
	s_and_saveexec_b64 s[0:1], vcc
	s_cbranch_execz .LBB904_5
; %bb.4:
	global_load_dwordx2 v[4:5], v[20:21], off offset:512
.LBB904_5:
	s_or_b64 exec, exec, s[0:1]
	v_or_b32_e32 v8, 0x80, v22
	v_cmp_gt_u32_e32 vcc, s7, v8
	v_pk_mov_b32 v[8:9], -1, -1
	v_pk_mov_b32 v[10:11], v[8:9], v[8:9] op_sel:[0,1]
	s_and_saveexec_b64 s[0:1], vcc
	s_cbranch_execz .LBB904_7
; %bb.6:
	global_load_dwordx2 v[10:11], v[20:21], off offset:1024
.LBB904_7:
	s_or_b64 exec, exec, s[0:1]
	v_or_b32_e32 v12, 0xc0, v22
	v_cmp_gt_u32_e32 vcc, s7, v12
	s_and_saveexec_b64 s[0:1], vcc
	s_cbranch_execz .LBB904_9
; %bb.8:
	global_load_dwordx2 v[8:9], v[20:21], off offset:1536
.LBB904_9:
	s_or_b64 exec, exec, s[0:1]
	v_or_b32_e32 v12, 0x100, v22
	v_cmp_gt_u32_e32 vcc, s7, v12
	v_pk_mov_b32 v[12:13], -1, -1
	v_pk_mov_b32 v[14:15], v[12:13], v[12:13] op_sel:[0,1]
	s_and_saveexec_b64 s[0:1], vcc
	s_cbranch_execz .LBB904_11
; %bb.10:
	global_load_dwordx2 v[14:15], v[20:21], off offset:2048
.LBB904_11:
	;; [unrolled: 18-line block ×3, first 2 shown]
	s_or_b64 exec, exec, s[0:1]
	v_or_b32_e32 v22, 0x1c0, v22
	v_cmp_gt_u32_e32 vcc, s7, v22
	s_and_saveexec_b64 s[0:1], vcc
	s_cbranch_execz .LBB904_17
; %bb.16:
	global_load_dwordx2 v[16:17], v[20:21], off offset:3584
.LBB904_17:
	s_or_b64 exec, exec, s[0:1]
	s_load_dword s0, s[4:5], 0x64
	s_load_dword s26, s[4:5], 0x58
	s_add_u32 s1, s4, 0x58
	s_addc_u32 s2, s5, 0
	v_mov_b32_e32 v20, 0
	s_waitcnt lgkmcnt(0)
	s_lshr_b32 s3, s0, 16
	s_cmp_lt_u32 s6, s26
	s_cselect_b32 s0, 12, 18
	s_add_u32 s0, s1, s0
	s_addc_u32 s1, s2, 0
	global_load_ushort v26, v20, s[0:1]
	s_lshl_b32 s0, -1, s17
	s_waitcnt vmcnt(1)
	v_lshrrev_b64 v[22:23], s16, v[6:7]
	s_not_b32 s27, s0
	v_and_b32_e32 v22, s27, v22
	v_and_b32_e32 v28, 1, v22
	v_bfe_u32 v21, v0, 10, 10
	v_bfe_u32 v27, v0, 20, 10
	v_add_co_u32_e32 v29, vcc, -1, v28
	v_mad_u32_u24 v23, v27, s3, v21
	v_lshlrev_b32_e32 v21, 30, v22
	v_addc_co_u32_e64 v30, s[0:1], 0, -1, vcc
	v_cmp_ne_u32_e32 vcc, 0, v28
	v_cmp_gt_i64_e64 s[0:1], 0, v[20:21]
	v_not_b32_e32 v28, v21
	v_lshlrev_b32_e32 v21, 29, v22
	v_xor_b32_e32 v30, vcc_hi, v30
	v_xor_b32_e32 v29, vcc_lo, v29
	v_ashrrev_i32_e32 v28, 31, v28
	v_cmp_gt_i64_e32 vcc, 0, v[20:21]
	v_not_b32_e32 v31, v21
	v_lshlrev_b32_e32 v21, 28, v22
	v_and_b32_e32 v30, exec_hi, v30
	v_and_b32_e32 v29, exec_lo, v29
	v_xor_b32_e32 v32, s1, v28
	v_xor_b32_e32 v28, s0, v28
	v_ashrrev_i32_e32 v31, 31, v31
	v_cmp_gt_i64_e64 s[0:1], 0, v[20:21]
	v_not_b32_e32 v33, v21
	v_lshlrev_b32_e32 v21, 27, v22
	v_and_b32_e32 v30, v30, v32
	v_and_b32_e32 v28, v29, v28
	v_xor_b32_e32 v29, vcc_hi, v31
	v_xor_b32_e32 v31, vcc_lo, v31
	v_ashrrev_i32_e32 v32, 31, v33
	v_cmp_gt_i64_e32 vcc, 0, v[20:21]
	v_not_b32_e32 v33, v21
	v_lshlrev_b32_e32 v21, 26, v22
	v_and_b32_e32 v29, v30, v29
	v_and_b32_e32 v28, v28, v31
	v_xor_b32_e32 v30, s1, v32
	v_xor_b32_e32 v31, s0, v32
	v_ashrrev_i32_e32 v32, 31, v33
	v_cmp_gt_i64_e64 s[0:1], 0, v[20:21]
	v_not_b32_e32 v33, v21
	v_lshlrev_b32_e32 v21, 25, v22
	v_and_b32_e32 v29, v29, v30
	v_and_b32_e32 v28, v28, v31
	v_xor_b32_e32 v30, vcc_hi, v32
	v_xor_b32_e32 v31, vcc_lo, v32
	v_ashrrev_i32_e32 v32, 31, v33
	v_not_b32_e32 v33, v21
	v_lshl_add_u32 v27, v22, 4, v22
	v_cmp_gt_i64_e32 vcc, 0, v[20:21]
	v_lshlrev_b32_e32 v21, 24, v22
	v_and_b32_e32 v22, v29, v30
	v_and_b32_e32 v28, v28, v31
	v_xor_b32_e32 v29, s1, v32
	v_ashrrev_i32_e32 v31, 31, v33
	v_xor_b32_e32 v30, s0, v32
	v_cmp_gt_i64_e64 s[0:1], 0, v[20:21]
	v_not_b32_e32 v21, v21
	v_and_b32_e32 v22, v22, v29
	v_xor_b32_e32 v29, vcc_hi, v31
	v_and_b32_e32 v28, v28, v30
	v_xor_b32_e32 v30, vcc_lo, v31
	v_ashrrev_i32_e32 v21, 31, v21
	v_and_b32_e32 v29, v22, v29
	v_and_b32_e32 v28, v28, v30
	v_mul_u32_u24_e32 v25, 5, v2
	v_lshlrev_b32_e32 v25, 2, v25
	ds_write2_b32 v25, v20, v20 offset0:16 offset1:17
	ds_write2_b32 v25, v20, v20 offset0:18 offset1:19
	ds_write_b32 v25, v20 offset:80
	s_waitcnt lgkmcnt(0)
	s_barrier
	s_waitcnt lgkmcnt(0)
	; wave barrier
	s_waitcnt vmcnt(0)
	v_mad_u64_u32 v[22:23], s[2:3], v23, v26, v[2:3]
	v_lshrrev_b32_e32 v37, 6, v22
	v_xor_b32_e32 v22, s1, v21
	v_xor_b32_e32 v21, s0, v21
	v_and_b32_e32 v23, v29, v22
	v_and_b32_e32 v22, v28, v21
	v_mbcnt_lo_u32_b32 v21, v22, 0
	v_mbcnt_hi_u32_b32 v26, v23, v21
	v_cmp_eq_u32_e32 vcc, 0, v26
	v_cmp_ne_u64_e64 s[0:1], 0, v[22:23]
	v_add_lshl_u32 v30, v37, v27, 2
	s_and_b64 s[2:3], s[0:1], vcc
	s_and_saveexec_b64 s[0:1], s[2:3]
	s_cbranch_execz .LBB904_19
; %bb.18:
	v_bcnt_u32_b32 v21, v22, 0
	v_bcnt_u32_b32 v21, v23, v21
	ds_write_b32 v30, v21 offset:64
.LBB904_19:
	s_or_b64 exec, exec, s[0:1]
	v_lshrrev_b64 v[22:23], s16, v[4:5]
	v_and_b32_e32 v22, s27, v22
	v_lshl_add_u32 v21, v22, 4, v22
	v_add_lshl_u32 v31, v37, v21, 2
	v_and_b32_e32 v21, 1, v22
	v_add_co_u32_e32 v23, vcc, -1, v21
	v_addc_co_u32_e64 v28, s[0:1], 0, -1, vcc
	v_cmp_ne_u32_e32 vcc, 0, v21
	v_xor_b32_e32 v21, vcc_hi, v28
	v_and_b32_e32 v28, exec_hi, v21
	v_lshlrev_b32_e32 v21, 30, v22
	v_xor_b32_e32 v23, vcc_lo, v23
	v_cmp_gt_i64_e32 vcc, 0, v[20:21]
	v_not_b32_e32 v21, v21
	v_ashrrev_i32_e32 v21, 31, v21
	v_and_b32_e32 v23, exec_lo, v23
	v_xor_b32_e32 v29, vcc_hi, v21
	v_xor_b32_e32 v21, vcc_lo, v21
	v_and_b32_e32 v23, v23, v21
	v_lshlrev_b32_e32 v21, 29, v22
	v_cmp_gt_i64_e32 vcc, 0, v[20:21]
	v_not_b32_e32 v21, v21
	v_ashrrev_i32_e32 v21, 31, v21
	v_and_b32_e32 v28, v28, v29
	v_xor_b32_e32 v29, vcc_hi, v21
	v_xor_b32_e32 v21, vcc_lo, v21
	v_and_b32_e32 v23, v23, v21
	v_lshlrev_b32_e32 v21, 28, v22
	v_cmp_gt_i64_e32 vcc, 0, v[20:21]
	v_not_b32_e32 v21, v21
	v_ashrrev_i32_e32 v21, 31, v21
	v_and_b32_e32 v28, v28, v29
	;; [unrolled: 8-line block ×5, first 2 shown]
	v_xor_b32_e32 v29, vcc_hi, v21
	v_xor_b32_e32 v21, vcc_lo, v21
	v_and_b32_e32 v23, v23, v21
	v_lshlrev_b32_e32 v21, 24, v22
	v_cmp_gt_i64_e32 vcc, 0, v[20:21]
	v_not_b32_e32 v20, v21
	v_ashrrev_i32_e32 v20, 31, v20
	v_xor_b32_e32 v21, vcc_hi, v20
	v_xor_b32_e32 v20, vcc_lo, v20
	; wave barrier
	ds_read_b32 v27, v31 offset:64
	v_and_b32_e32 v28, v28, v29
	v_and_b32_e32 v20, v23, v20
	;; [unrolled: 1-line block ×3, first 2 shown]
	v_mbcnt_lo_u32_b32 v22, v20, 0
	v_mbcnt_hi_u32_b32 v28, v21, v22
	v_cmp_eq_u32_e32 vcc, 0, v28
	v_cmp_ne_u64_e64 s[0:1], 0, v[20:21]
	s_and_b64 s[2:3], s[0:1], vcc
	; wave barrier
	s_and_saveexec_b64 s[0:1], s[2:3]
	s_cbranch_execz .LBB904_21
; %bb.20:
	v_bcnt_u32_b32 v20, v20, 0
	v_bcnt_u32_b32 v20, v21, v20
	s_waitcnt lgkmcnt(0)
	v_add_u32_e32 v20, v27, v20
	ds_write_b32 v31, v20 offset:64
.LBB904_21:
	s_or_b64 exec, exec, s[0:1]
	v_lshrrev_b64 v[20:21], s16, v[10:11]
	v_and_b32_e32 v22, s27, v20
	v_and_b32_e32 v21, 1, v22
	v_add_co_u32_e32 v23, vcc, -1, v21
	v_addc_co_u32_e64 v32, s[0:1], 0, -1, vcc
	v_cmp_ne_u32_e32 vcc, 0, v21
	v_lshl_add_u32 v20, v22, 4, v22
	v_xor_b32_e32 v21, vcc_hi, v32
	v_add_lshl_u32 v34, v37, v20, 2
	v_mov_b32_e32 v20, 0
	v_and_b32_e32 v32, exec_hi, v21
	v_lshlrev_b32_e32 v21, 30, v22
	v_xor_b32_e32 v23, vcc_lo, v23
	v_cmp_gt_i64_e32 vcc, 0, v[20:21]
	v_not_b32_e32 v21, v21
	v_ashrrev_i32_e32 v21, 31, v21
	v_and_b32_e32 v23, exec_lo, v23
	v_xor_b32_e32 v33, vcc_hi, v21
	v_xor_b32_e32 v21, vcc_lo, v21
	v_and_b32_e32 v23, v23, v21
	v_lshlrev_b32_e32 v21, 29, v22
	v_cmp_gt_i64_e32 vcc, 0, v[20:21]
	v_not_b32_e32 v21, v21
	v_ashrrev_i32_e32 v21, 31, v21
	v_and_b32_e32 v32, v32, v33
	v_xor_b32_e32 v33, vcc_hi, v21
	v_xor_b32_e32 v21, vcc_lo, v21
	v_and_b32_e32 v23, v23, v21
	v_lshlrev_b32_e32 v21, 28, v22
	v_cmp_gt_i64_e32 vcc, 0, v[20:21]
	v_not_b32_e32 v21, v21
	v_ashrrev_i32_e32 v21, 31, v21
	v_and_b32_e32 v32, v32, v33
	;; [unrolled: 8-line block ×5, first 2 shown]
	v_xor_b32_e32 v33, vcc_hi, v21
	v_xor_b32_e32 v21, vcc_lo, v21
	v_and_b32_e32 v32, v32, v33
	v_and_b32_e32 v33, v23, v21
	v_lshlrev_b32_e32 v21, 24, v22
	v_cmp_gt_i64_e32 vcc, 0, v[20:21]
	v_not_b32_e32 v21, v21
	v_ashrrev_i32_e32 v21, 31, v21
	v_xor_b32_e32 v22, vcc_hi, v21
	v_xor_b32_e32 v21, vcc_lo, v21
	; wave barrier
	ds_read_b32 v29, v34 offset:64
	v_and_b32_e32 v23, v32, v22
	v_and_b32_e32 v22, v33, v21
	v_mbcnt_lo_u32_b32 v21, v22, 0
	v_mbcnt_hi_u32_b32 v32, v23, v21
	v_cmp_eq_u32_e32 vcc, 0, v32
	v_cmp_ne_u64_e64 s[0:1], 0, v[22:23]
	s_and_b64 s[2:3], s[0:1], vcc
	; wave barrier
	s_and_saveexec_b64 s[0:1], s[2:3]
	s_cbranch_execz .LBB904_23
; %bb.22:
	v_bcnt_u32_b32 v21, v22, 0
	v_bcnt_u32_b32 v21, v23, v21
	s_waitcnt lgkmcnt(0)
	v_add_u32_e32 v21, v29, v21
	ds_write_b32 v34, v21 offset:64
.LBB904_23:
	s_or_b64 exec, exec, s[0:1]
	v_lshrrev_b64 v[22:23], s16, v[8:9]
	v_and_b32_e32 v22, s27, v22
	v_lshl_add_u32 v21, v22, 4, v22
	v_add_lshl_u32 v38, v37, v21, 2
	v_and_b32_e32 v21, 1, v22
	v_add_co_u32_e32 v23, vcc, -1, v21
	v_addc_co_u32_e64 v35, s[0:1], 0, -1, vcc
	v_cmp_ne_u32_e32 vcc, 0, v21
	v_xor_b32_e32 v21, vcc_hi, v35
	v_and_b32_e32 v35, exec_hi, v21
	v_lshlrev_b32_e32 v21, 30, v22
	v_xor_b32_e32 v23, vcc_lo, v23
	v_cmp_gt_i64_e32 vcc, 0, v[20:21]
	v_not_b32_e32 v21, v21
	v_ashrrev_i32_e32 v21, 31, v21
	v_and_b32_e32 v23, exec_lo, v23
	v_xor_b32_e32 v36, vcc_hi, v21
	v_xor_b32_e32 v21, vcc_lo, v21
	v_and_b32_e32 v23, v23, v21
	v_lshlrev_b32_e32 v21, 29, v22
	v_cmp_gt_i64_e32 vcc, 0, v[20:21]
	v_not_b32_e32 v21, v21
	v_ashrrev_i32_e32 v21, 31, v21
	v_and_b32_e32 v35, v35, v36
	v_xor_b32_e32 v36, vcc_hi, v21
	v_xor_b32_e32 v21, vcc_lo, v21
	v_and_b32_e32 v23, v23, v21
	v_lshlrev_b32_e32 v21, 28, v22
	v_cmp_gt_i64_e32 vcc, 0, v[20:21]
	v_not_b32_e32 v21, v21
	v_ashrrev_i32_e32 v21, 31, v21
	v_and_b32_e32 v35, v35, v36
	;; [unrolled: 8-line block ×5, first 2 shown]
	v_xor_b32_e32 v36, vcc_hi, v21
	v_xor_b32_e32 v21, vcc_lo, v21
	v_and_b32_e32 v23, v23, v21
	v_lshlrev_b32_e32 v21, 24, v22
	v_cmp_gt_i64_e32 vcc, 0, v[20:21]
	v_not_b32_e32 v20, v21
	v_ashrrev_i32_e32 v20, 31, v20
	v_xor_b32_e32 v21, vcc_hi, v20
	v_xor_b32_e32 v20, vcc_lo, v20
	; wave barrier
	ds_read_b32 v33, v38 offset:64
	v_and_b32_e32 v35, v35, v36
	v_and_b32_e32 v20, v23, v20
	;; [unrolled: 1-line block ×3, first 2 shown]
	v_mbcnt_lo_u32_b32 v22, v20, 0
	v_mbcnt_hi_u32_b32 v35, v21, v22
	v_cmp_eq_u32_e32 vcc, 0, v35
	v_cmp_ne_u64_e64 s[0:1], 0, v[20:21]
	s_and_b64 s[2:3], s[0:1], vcc
	; wave barrier
	s_and_saveexec_b64 s[0:1], s[2:3]
	s_cbranch_execz .LBB904_25
; %bb.24:
	v_bcnt_u32_b32 v20, v20, 0
	v_bcnt_u32_b32 v20, v21, v20
	s_waitcnt lgkmcnt(0)
	v_add_u32_e32 v20, v33, v20
	ds_write_b32 v38, v20 offset:64
.LBB904_25:
	s_or_b64 exec, exec, s[0:1]
	v_lshrrev_b64 v[20:21], s16, v[14:15]
	v_and_b32_e32 v22, s27, v20
	v_and_b32_e32 v21, 1, v22
	v_add_co_u32_e32 v23, vcc, -1, v21
	v_addc_co_u32_e64 v39, s[0:1], 0, -1, vcc
	v_cmp_ne_u32_e32 vcc, 0, v21
	v_lshl_add_u32 v20, v22, 4, v22
	v_xor_b32_e32 v21, vcc_hi, v39
	v_add_lshl_u32 v41, v37, v20, 2
	v_mov_b32_e32 v20, 0
	v_and_b32_e32 v39, exec_hi, v21
	v_lshlrev_b32_e32 v21, 30, v22
	v_xor_b32_e32 v23, vcc_lo, v23
	v_cmp_gt_i64_e32 vcc, 0, v[20:21]
	v_not_b32_e32 v21, v21
	v_ashrrev_i32_e32 v21, 31, v21
	v_and_b32_e32 v23, exec_lo, v23
	v_xor_b32_e32 v40, vcc_hi, v21
	v_xor_b32_e32 v21, vcc_lo, v21
	v_and_b32_e32 v23, v23, v21
	v_lshlrev_b32_e32 v21, 29, v22
	v_cmp_gt_i64_e32 vcc, 0, v[20:21]
	v_not_b32_e32 v21, v21
	v_ashrrev_i32_e32 v21, 31, v21
	v_and_b32_e32 v39, v39, v40
	v_xor_b32_e32 v40, vcc_hi, v21
	v_xor_b32_e32 v21, vcc_lo, v21
	v_and_b32_e32 v23, v23, v21
	v_lshlrev_b32_e32 v21, 28, v22
	v_cmp_gt_i64_e32 vcc, 0, v[20:21]
	v_not_b32_e32 v21, v21
	v_ashrrev_i32_e32 v21, 31, v21
	v_and_b32_e32 v39, v39, v40
	;; [unrolled: 8-line block ×5, first 2 shown]
	v_xor_b32_e32 v40, vcc_hi, v21
	v_xor_b32_e32 v21, vcc_lo, v21
	v_and_b32_e32 v39, v39, v40
	v_and_b32_e32 v40, v23, v21
	v_lshlrev_b32_e32 v21, 24, v22
	v_cmp_gt_i64_e32 vcc, 0, v[20:21]
	v_not_b32_e32 v21, v21
	v_ashrrev_i32_e32 v21, 31, v21
	v_xor_b32_e32 v22, vcc_hi, v21
	v_xor_b32_e32 v21, vcc_lo, v21
	; wave barrier
	ds_read_b32 v36, v41 offset:64
	v_and_b32_e32 v23, v39, v22
	v_and_b32_e32 v22, v40, v21
	v_mbcnt_lo_u32_b32 v21, v22, 0
	v_mbcnt_hi_u32_b32 v39, v23, v21
	v_cmp_eq_u32_e32 vcc, 0, v39
	v_cmp_ne_u64_e64 s[0:1], 0, v[22:23]
	s_and_b64 s[2:3], s[0:1], vcc
	; wave barrier
	s_and_saveexec_b64 s[0:1], s[2:3]
	s_cbranch_execz .LBB904_27
; %bb.26:
	v_bcnt_u32_b32 v21, v22, 0
	v_bcnt_u32_b32 v21, v23, v21
	s_waitcnt lgkmcnt(0)
	v_add_u32_e32 v21, v36, v21
	ds_write_b32 v41, v21 offset:64
.LBB904_27:
	s_or_b64 exec, exec, s[0:1]
	v_lshrrev_b64 v[22:23], s16, v[12:13]
	v_and_b32_e32 v22, s27, v22
	v_lshl_add_u32 v21, v22, 4, v22
	v_add_lshl_u32 v44, v37, v21, 2
	v_and_b32_e32 v21, 1, v22
	v_add_co_u32_e32 v23, vcc, -1, v21
	v_addc_co_u32_e64 v42, s[0:1], 0, -1, vcc
	v_cmp_ne_u32_e32 vcc, 0, v21
	v_xor_b32_e32 v21, vcc_hi, v42
	v_and_b32_e32 v42, exec_hi, v21
	v_lshlrev_b32_e32 v21, 30, v22
	v_xor_b32_e32 v23, vcc_lo, v23
	v_cmp_gt_i64_e32 vcc, 0, v[20:21]
	v_not_b32_e32 v21, v21
	v_ashrrev_i32_e32 v21, 31, v21
	v_and_b32_e32 v23, exec_lo, v23
	v_xor_b32_e32 v43, vcc_hi, v21
	v_xor_b32_e32 v21, vcc_lo, v21
	v_and_b32_e32 v23, v23, v21
	v_lshlrev_b32_e32 v21, 29, v22
	v_cmp_gt_i64_e32 vcc, 0, v[20:21]
	v_not_b32_e32 v21, v21
	v_ashrrev_i32_e32 v21, 31, v21
	v_and_b32_e32 v42, v42, v43
	v_xor_b32_e32 v43, vcc_hi, v21
	v_xor_b32_e32 v21, vcc_lo, v21
	v_and_b32_e32 v23, v23, v21
	v_lshlrev_b32_e32 v21, 28, v22
	v_cmp_gt_i64_e32 vcc, 0, v[20:21]
	v_not_b32_e32 v21, v21
	v_ashrrev_i32_e32 v21, 31, v21
	v_and_b32_e32 v42, v42, v43
	;; [unrolled: 8-line block ×5, first 2 shown]
	v_xor_b32_e32 v43, vcc_hi, v21
	v_xor_b32_e32 v21, vcc_lo, v21
	v_and_b32_e32 v23, v23, v21
	v_lshlrev_b32_e32 v21, 24, v22
	v_cmp_gt_i64_e32 vcc, 0, v[20:21]
	v_not_b32_e32 v20, v21
	v_ashrrev_i32_e32 v20, 31, v20
	v_xor_b32_e32 v21, vcc_hi, v20
	v_xor_b32_e32 v20, vcc_lo, v20
	; wave barrier
	ds_read_b32 v40, v44 offset:64
	v_and_b32_e32 v42, v42, v43
	v_and_b32_e32 v20, v23, v20
	;; [unrolled: 1-line block ×3, first 2 shown]
	v_mbcnt_lo_u32_b32 v22, v20, 0
	v_mbcnt_hi_u32_b32 v42, v21, v22
	v_cmp_eq_u32_e32 vcc, 0, v42
	v_cmp_ne_u64_e64 s[0:1], 0, v[20:21]
	s_and_b64 s[2:3], s[0:1], vcc
	; wave barrier
	s_and_saveexec_b64 s[0:1], s[2:3]
	s_cbranch_execz .LBB904_29
; %bb.28:
	v_bcnt_u32_b32 v20, v20, 0
	v_bcnt_u32_b32 v20, v21, v20
	s_waitcnt lgkmcnt(0)
	v_add_u32_e32 v20, v40, v20
	ds_write_b32 v44, v20 offset:64
.LBB904_29:
	s_or_b64 exec, exec, s[0:1]
	v_lshrrev_b64 v[20:21], s16, v[18:19]
	v_and_b32_e32 v22, s27, v20
	v_and_b32_e32 v21, 1, v22
	v_add_co_u32_e32 v23, vcc, -1, v21
	v_addc_co_u32_e64 v45, s[0:1], 0, -1, vcc
	v_cmp_ne_u32_e32 vcc, 0, v21
	v_lshl_add_u32 v20, v22, 4, v22
	v_xor_b32_e32 v21, vcc_hi, v45
	v_add_lshl_u32 v46, v37, v20, 2
	v_mov_b32_e32 v20, 0
	v_and_b32_e32 v45, exec_hi, v21
	v_lshlrev_b32_e32 v21, 30, v22
	v_xor_b32_e32 v23, vcc_lo, v23
	v_cmp_gt_i64_e32 vcc, 0, v[20:21]
	v_not_b32_e32 v21, v21
	v_ashrrev_i32_e32 v21, 31, v21
	v_and_b32_e32 v23, exec_lo, v23
	v_xor_b32_e32 v47, vcc_hi, v21
	v_xor_b32_e32 v21, vcc_lo, v21
	v_and_b32_e32 v23, v23, v21
	v_lshlrev_b32_e32 v21, 29, v22
	v_cmp_gt_i64_e32 vcc, 0, v[20:21]
	v_not_b32_e32 v21, v21
	v_ashrrev_i32_e32 v21, 31, v21
	v_and_b32_e32 v45, v45, v47
	v_xor_b32_e32 v47, vcc_hi, v21
	v_xor_b32_e32 v21, vcc_lo, v21
	v_and_b32_e32 v23, v23, v21
	v_lshlrev_b32_e32 v21, 28, v22
	v_cmp_gt_i64_e32 vcc, 0, v[20:21]
	v_not_b32_e32 v21, v21
	v_ashrrev_i32_e32 v21, 31, v21
	v_and_b32_e32 v45, v45, v47
	;; [unrolled: 8-line block ×5, first 2 shown]
	v_xor_b32_e32 v47, vcc_hi, v21
	v_xor_b32_e32 v21, vcc_lo, v21
	v_and_b32_e32 v45, v45, v47
	v_and_b32_e32 v47, v23, v21
	v_lshlrev_b32_e32 v21, 24, v22
	v_cmp_gt_i64_e32 vcc, 0, v[20:21]
	v_not_b32_e32 v21, v21
	v_ashrrev_i32_e32 v21, 31, v21
	v_xor_b32_e32 v22, vcc_hi, v21
	v_xor_b32_e32 v21, vcc_lo, v21
	; wave barrier
	ds_read_b32 v43, v46 offset:64
	v_and_b32_e32 v23, v45, v22
	v_and_b32_e32 v22, v47, v21
	v_mbcnt_lo_u32_b32 v21, v22, 0
	v_mbcnt_hi_u32_b32 v45, v23, v21
	v_cmp_eq_u32_e32 vcc, 0, v45
	v_cmp_ne_u64_e64 s[0:1], 0, v[22:23]
	s_and_b64 s[2:3], s[0:1], vcc
	; wave barrier
	s_and_saveexec_b64 s[0:1], s[2:3]
	s_cbranch_execz .LBB904_31
; %bb.30:
	v_bcnt_u32_b32 v21, v22, 0
	v_bcnt_u32_b32 v21, v23, v21
	s_waitcnt lgkmcnt(0)
	v_add_u32_e32 v21, v43, v21
	ds_write_b32 v46, v21 offset:64
.LBB904_31:
	s_or_b64 exec, exec, s[0:1]
	v_lshrrev_b64 v[22:23], s16, v[16:17]
	v_and_b32_e32 v22, s27, v22
	v_lshl_add_u32 v21, v22, 4, v22
	v_add_lshl_u32 v49, v37, v21, 2
	v_and_b32_e32 v21, 1, v22
	v_add_co_u32_e32 v23, vcc, -1, v21
	v_addc_co_u32_e64 v47, s[0:1], 0, -1, vcc
	v_cmp_ne_u32_e32 vcc, 0, v21
	v_xor_b32_e32 v21, vcc_hi, v47
	v_and_b32_e32 v47, exec_hi, v21
	v_lshlrev_b32_e32 v21, 30, v22
	v_xor_b32_e32 v23, vcc_lo, v23
	v_cmp_gt_i64_e32 vcc, 0, v[20:21]
	v_not_b32_e32 v21, v21
	v_ashrrev_i32_e32 v21, 31, v21
	v_and_b32_e32 v23, exec_lo, v23
	v_xor_b32_e32 v48, vcc_hi, v21
	v_xor_b32_e32 v21, vcc_lo, v21
	v_and_b32_e32 v23, v23, v21
	v_lshlrev_b32_e32 v21, 29, v22
	v_cmp_gt_i64_e32 vcc, 0, v[20:21]
	v_not_b32_e32 v21, v21
	v_ashrrev_i32_e32 v21, 31, v21
	v_and_b32_e32 v47, v47, v48
	v_xor_b32_e32 v48, vcc_hi, v21
	v_xor_b32_e32 v21, vcc_lo, v21
	v_and_b32_e32 v23, v23, v21
	v_lshlrev_b32_e32 v21, 28, v22
	v_cmp_gt_i64_e32 vcc, 0, v[20:21]
	v_not_b32_e32 v21, v21
	v_ashrrev_i32_e32 v21, 31, v21
	v_and_b32_e32 v47, v47, v48
	;; [unrolled: 8-line block ×5, first 2 shown]
	v_xor_b32_e32 v48, vcc_hi, v21
	v_xor_b32_e32 v21, vcc_lo, v21
	v_and_b32_e32 v23, v23, v21
	v_lshlrev_b32_e32 v21, 24, v22
	v_cmp_gt_i64_e32 vcc, 0, v[20:21]
	v_not_b32_e32 v20, v21
	v_ashrrev_i32_e32 v20, 31, v20
	v_xor_b32_e32 v21, vcc_hi, v20
	v_xor_b32_e32 v20, vcc_lo, v20
	; wave barrier
	ds_read_b32 v37, v49 offset:64
	v_and_b32_e32 v47, v47, v48
	v_and_b32_e32 v20, v23, v20
	;; [unrolled: 1-line block ×3, first 2 shown]
	v_mbcnt_lo_u32_b32 v22, v20, 0
	v_mbcnt_hi_u32_b32 v47, v21, v22
	v_cmp_eq_u32_e32 vcc, 0, v47
	v_cmp_ne_u64_e64 s[0:1], 0, v[20:21]
	v_add_u32_e32 v50, 64, v25
	s_and_b64 s[2:3], s[0:1], vcc
	; wave barrier
	s_and_saveexec_b64 s[0:1], s[2:3]
	s_cbranch_execz .LBB904_33
; %bb.32:
	v_bcnt_u32_b32 v20, v20, 0
	v_bcnt_u32_b32 v20, v21, v20
	s_waitcnt lgkmcnt(0)
	v_add_u32_e32 v20, v37, v20
	ds_write_b32 v49, v20 offset:64
.LBB904_33:
	s_or_b64 exec, exec, s[0:1]
	; wave barrier
	s_waitcnt lgkmcnt(0)
	s_barrier
	ds_read2_b32 v[22:23], v25 offset0:16 offset1:17
	ds_read2_b32 v[20:21], v50 offset0:2 offset1:3
	ds_read_b32 v48, v50 offset:16
	v_cmp_lt_u32_e64 s[10:11], 31, v24
	s_waitcnt lgkmcnt(1)
	v_add3_u32 v51, v23, v22, v20
	s_waitcnt lgkmcnt(0)
	v_add3_u32 v48, v51, v21, v48
	v_and_b32_e32 v51, 15, v24
	v_cmp_eq_u32_e32 vcc, 0, v51
	v_mov_b32_dpp v52, v48 row_shr:1 row_mask:0xf bank_mask:0xf
	v_cndmask_b32_e64 v52, v52, 0, vcc
	v_add_u32_e32 v48, v52, v48
	v_cmp_lt_u32_e64 s[0:1], 1, v51
	v_cmp_lt_u32_e64 s[2:3], 3, v51
	v_mov_b32_dpp v52, v48 row_shr:2 row_mask:0xf bank_mask:0xf
	v_cndmask_b32_e64 v52, 0, v52, s[0:1]
	v_add_u32_e32 v48, v48, v52
	v_cmp_lt_u32_e64 s[8:9], 7, v51
	s_nop 0
	v_mov_b32_dpp v52, v48 row_shr:4 row_mask:0xf bank_mask:0xf
	v_cndmask_b32_e64 v52, 0, v52, s[2:3]
	v_add_u32_e32 v48, v48, v52
	s_nop 1
	v_mov_b32_dpp v52, v48 row_shr:8 row_mask:0xf bank_mask:0xf
	v_cndmask_b32_e64 v51, 0, v52, s[8:9]
	v_add_u32_e32 v48, v48, v51
	v_bfe_i32 v52, v24, 4, 1
	s_nop 0
	v_mov_b32_dpp v51, v48 row_bcast:15 row_mask:0xf bank_mask:0xf
	v_and_b32_e32 v51, v52, v51
	v_add_u32_e32 v48, v48, v51
	v_lshrrev_b32_e32 v52, 6, v2
	s_nop 0
	v_mov_b32_dpp v51, v48 row_bcast:31 row_mask:0xf bank_mask:0xf
	v_cndmask_b32_e64 v51, 0, v51, s[10:11]
	v_add_u32_e32 v51, v48, v51
	v_and_b32_e32 v48, 63, v2
	v_cmp_eq_u32_e64 s[10:11], 63, v48
	s_and_saveexec_b64 s[18:19], s[10:11]
	s_cbranch_execz .LBB904_35
; %bb.34:
	v_lshlrev_b32_e32 v48, 2, v52
	ds_write_b32 v48, v51
.LBB904_35:
	s_or_b64 exec, exec, s[18:19]
	v_cmp_gt_u32_e64 s[10:11], 16, v2
	v_lshlrev_b32_e32 v48, 2, v2
	s_waitcnt lgkmcnt(0)
	s_barrier
	s_and_saveexec_b64 s[18:19], s[10:11]
	s_cbranch_execz .LBB904_37
; %bb.36:
	ds_read_b32 v53, v48
	s_waitcnt lgkmcnt(0)
	s_nop 0
	v_mov_b32_dpp v54, v53 row_shr:1 row_mask:0xf bank_mask:0xf
	v_cndmask_b32_e64 v54, v54, 0, vcc
	v_add_u32_e32 v53, v54, v53
	s_nop 1
	v_mov_b32_dpp v54, v53 row_shr:2 row_mask:0xf bank_mask:0xf
	v_cndmask_b32_e64 v54, 0, v54, s[0:1]
	v_add_u32_e32 v53, v53, v54
	s_nop 1
	v_mov_b32_dpp v54, v53 row_shr:4 row_mask:0xf bank_mask:0xf
	v_cndmask_b32_e64 v54, 0, v54, s[2:3]
	;; [unrolled: 4-line block ×3, first 2 shown]
	v_add_u32_e32 v53, v53, v54
	ds_write_b32 v48, v53
.LBB904_37:
	s_or_b64 exec, exec, s[18:19]
	v_cmp_lt_u32_e32 vcc, 63, v2
	v_mov_b32_e32 v53, 0
	s_waitcnt lgkmcnt(0)
	s_barrier
	s_and_saveexec_b64 s[0:1], vcc
	s_cbranch_execz .LBB904_39
; %bb.38:
	v_lshl_add_u32 v52, v52, 2, -4
	ds_read_b32 v53, v52
.LBB904_39:
	s_or_b64 exec, exec, s[0:1]
	v_add_u32_e32 v52, -1, v24
	v_and_b32_e32 v54, 64, v24
	v_cmp_lt_i32_e32 vcc, v52, v54
	v_cndmask_b32_e32 v52, v52, v24, vcc
	s_waitcnt lgkmcnt(0)
	v_add_u32_e32 v51, v53, v51
	v_lshlrev_b32_e32 v52, 2, v52
	ds_bpermute_b32 v51, v52, v51
	v_cmp_eq_u32_e32 vcc, 0, v24
	s_movk_i32 s0, 0x100
	s_waitcnt lgkmcnt(0)
	v_cndmask_b32_e32 v24, v51, v53, vcc
	v_cmp_ne_u32_e32 vcc, 0, v2
	v_cndmask_b32_e32 v24, 0, v24, vcc
	v_add_u32_e32 v22, v24, v22
	v_add_u32_e32 v23, v22, v23
	;; [unrolled: 1-line block ×4, first 2 shown]
	ds_write2_b32 v25, v24, v22 offset0:16 offset1:17
	ds_write2_b32 v50, v23, v20 offset0:2 offset1:3
	ds_write_b32 v50, v21 offset:16
	s_waitcnt lgkmcnt(0)
	s_barrier
	ds_read_b32 v51, v30 offset:64
	ds_read_b32 v50, v31 offset:64
	;; [unrolled: 1-line block ×8, first 2 shown]
	v_cmp_gt_u32_e32 vcc, s0, v2
                                        ; implicit-def: $vgpr30
                                        ; implicit-def: $vgpr31
	s_and_saveexec_b64 s[2:3], vcc
	s_cbranch_execz .LBB904_43
; %bb.40:
	v_mul_u32_u24_e32 v20, 17, v2
	v_lshlrev_b32_e32 v21, 2, v20
	ds_read_b32 v30, v21 offset:64
	s_movk_i32 s0, 0xff
	v_cmp_ne_u32_e64 s[0:1], s0, v2
	v_mov_b32_e32 v20, 0x2000
	s_and_saveexec_b64 s[8:9], s[0:1]
	s_cbranch_execz .LBB904_42
; %bb.41:
	ds_read_b32 v20, v21 offset:132
.LBB904_42:
	s_or_b64 exec, exec, s[8:9]
	s_waitcnt lgkmcnt(0)
	v_sub_u32_e32 v31, v20, v30
.LBB904_43:
	s_or_b64 exec, exec, s[2:3]
	s_waitcnt lgkmcnt(0)
	s_barrier
	s_and_saveexec_b64 s[2:3], vcc
	s_cbranch_execz .LBB904_53
; %bb.44:
	v_lshl_or_b32 v20, s6, 8, v2
	v_mov_b32_e32 v21, 0
	v_lshlrev_b64 v[22:23], 2, v[20:21]
	v_mov_b32_e32 v52, s25
	v_add_co_u32_e64 v22, s[0:1], s24, v22
	v_addc_co_u32_e64 v23, s[0:1], v52, v23, s[0:1]
	v_or_b32_e32 v20, 2.0, v31
	s_mov_b64 s[8:9], 0
	s_brev_b32 s28, 1
	s_mov_b32 s29, s6
	v_mov_b32_e32 v53, 0
	global_store_dword v[22:23], v20, off
                                        ; implicit-def: $sgpr0_sgpr1
	s_branch .LBB904_46
.LBB904_45:                             ;   in Loop: Header=BB904_46 Depth=1
	s_or_b64 exec, exec, s[10:11]
	v_and_b32_e32 v24, 0x3fffffff, v54
	v_add_u32_e32 v53, v24, v53
	v_cmp_eq_u32_e64 s[0:1], s28, v20
	s_and_b64 s[10:11], exec, s[0:1]
	s_or_b64 s[8:9], s[10:11], s[8:9]
	s_andn2_b64 exec, exec, s[8:9]
	s_cbranch_execz .LBB904_52
.LBB904_46:                             ; =>This Loop Header: Depth=1
                                        ;     Child Loop BB904_49 Depth 2
	s_or_b64 s[0:1], s[0:1], exec
	s_cmp_eq_u32 s29, 0
	s_cbranch_scc1 .LBB904_51
; %bb.47:                               ;   in Loop: Header=BB904_46 Depth=1
	s_add_i32 s29, s29, -1
	v_lshl_or_b32 v20, s29, 8, v2
	v_lshlrev_b64 v[24:25], 2, v[20:21]
	v_add_co_u32_e64 v24, s[0:1], s24, v24
	v_addc_co_u32_e64 v25, s[0:1], v52, v25, s[0:1]
	global_load_dword v54, v[24:25], off glc
	s_waitcnt vmcnt(0)
	v_and_b32_e32 v20, -2.0, v54
	v_cmp_eq_u32_e64 s[0:1], 0, v20
	s_and_saveexec_b64 s[10:11], s[0:1]
	s_cbranch_execz .LBB904_45
; %bb.48:                               ;   in Loop: Header=BB904_46 Depth=1
	s_mov_b64 s[18:19], 0
.LBB904_49:                             ;   Parent Loop BB904_46 Depth=1
                                        ; =>  This Inner Loop Header: Depth=2
	global_load_dword v54, v[24:25], off glc
	s_waitcnt vmcnt(0)
	v_and_b32_e32 v20, -2.0, v54
	v_cmp_ne_u32_e64 s[0:1], 0, v20
	s_or_b64 s[18:19], s[0:1], s[18:19]
	s_andn2_b64 exec, exec, s[18:19]
	s_cbranch_execnz .LBB904_49
; %bb.50:                               ;   in Loop: Header=BB904_46 Depth=1
	s_or_b64 exec, exec, s[18:19]
	s_branch .LBB904_45
.LBB904_51:                             ;   in Loop: Header=BB904_46 Depth=1
                                        ; implicit-def: $sgpr29
	s_and_b64 s[10:11], exec, s[0:1]
	s_or_b64 s[8:9], s[10:11], s[8:9]
	s_andn2_b64 exec, exec, s[8:9]
	s_cbranch_execnz .LBB904_46
.LBB904_52:
	s_or_b64 exec, exec, s[8:9]
	v_add_u32_e32 v20, v53, v31
	v_or_b32_e32 v20, 0x80000000, v20
	global_store_dword v[22:23], v20, off
	global_load_dword v20, v48, s[12:13]
	v_sub_u32_e32 v21, v53, v30
	s_waitcnt vmcnt(0)
	v_add_u32_e32 v20, v21, v20
	ds_write_b32 v48, v20
.LBB904_53:
	s_or_b64 exec, exec, s[2:3]
	v_add_u32_e32 v22, v51, v26
	s_movk_i32 s8, 0x400
	v_add_u32_e32 v23, 0x400, v3
	v_add3_u32 v24, v47, v49, v37
	v_add3_u32 v25, v45, v46, v43
	;; [unrolled: 1-line block ×7, first 2 shown]
	s_mov_b32 s9, 0
	v_mov_b32_e32 v21, 0
	v_mov_b32_e32 v28, v2
	s_branch .LBB904_55
.LBB904_54:                             ;   in Loop: Header=BB904_55 Depth=1
	s_or_b64 exec, exec, s[2:3]
	s_addk_i32 s9, 0xf800
	s_cmpk_eq_i32 s9, 0xe000
	v_add_u32_e32 v28, 0x800, v28
	s_barrier
	s_cbranch_scc1 .LBB904_60
.LBB904_55:                             ; =>This Inner Loop Header: Depth=1
	v_add_u32_e32 v20, s9, v22
	v_min_u32_e32 v20, 0x800, v20
	v_lshlrev_b32_e32 v20, 3, v20
	ds_write_b64 v20, v[6:7] offset:1024
	v_add_u32_e32 v20, s9, v27
	v_min_u32_e32 v20, 0x800, v20
	v_lshlrev_b32_e32 v20, 3, v20
	ds_write_b64 v20, v[4:5] offset:1024
	v_add_u32_e32 v20, s9, v29
	v_min_u32_e32 v20, 0x800, v20
	v_lshlrev_b32_e32 v20, 3, v20
	ds_write_b64 v20, v[10:11] offset:1024
	v_add_u32_e32 v20, s9, v33
	v_min_u32_e32 v20, 0x800, v20
	v_lshlrev_b32_e32 v20, 3, v20
	ds_write_b64 v20, v[8:9] offset:1024
	v_add_u32_e32 v20, s9, v36
	v_min_u32_e32 v20, 0x800, v20
	v_lshlrev_b32_e32 v20, 3, v20
	ds_write_b64 v20, v[14:15] offset:1024
	v_add_u32_e32 v20, s9, v26
	v_min_u32_e32 v20, 0x800, v20
	v_lshlrev_b32_e32 v20, 3, v20
	ds_write_b64 v20, v[12:13] offset:1024
	v_add_u32_e32 v20, s9, v25
	v_min_u32_e32 v20, 0x800, v20
	v_lshlrev_b32_e32 v20, 3, v20
	ds_write_b64 v20, v[18:19] offset:1024
	v_add_u32_e32 v20, s9, v24
	v_min_u32_e32 v20, 0x800, v20
	v_lshlrev_b32_e32 v20, 3, v20
	v_cmp_gt_u32_e64 s[0:1], s7, v28
	ds_write_b64 v20, v[16:17] offset:1024
	s_waitcnt lgkmcnt(0)
	s_barrier
	s_and_saveexec_b64 s[2:3], s[0:1]
	s_cbranch_execz .LBB904_57
; %bb.56:                               ;   in Loop: Header=BB904_55 Depth=1
	ds_read_b64 v[34:35], v3 offset:1024
	v_mov_b32_e32 v32, s23
	s_waitcnt lgkmcnt(0)
	v_lshrrev_b64 v[38:39], s16, v[34:35]
	v_and_b32_e32 v20, s27, v38
	v_lshlrev_b32_e32 v20, 2, v20
	ds_read_b32 v20, v20
	s_waitcnt lgkmcnt(0)
	v_add_u32_e32 v20, v28, v20
	v_lshlrev_b64 v[38:39], 3, v[20:21]
	v_add_co_u32_e64 v38, s[0:1], s22, v38
	v_addc_co_u32_e64 v39, s[0:1], v32, v39, s[0:1]
	global_store_dwordx2 v[38:39], v[34:35], off
.LBB904_57:                             ;   in Loop: Header=BB904_55 Depth=1
	s_or_b64 exec, exec, s[2:3]
	v_add_u32_e32 v20, 0x400, v28
	v_cmp_gt_u32_e64 s[0:1], s7, v20
	s_and_saveexec_b64 s[2:3], s[0:1]
	s_cbranch_execz .LBB904_54
; %bb.58:                               ;   in Loop: Header=BB904_55 Depth=1
	ds_read_b64 v[34:35], v23 offset:8192
	v_mov_b32_e32 v32, s23
	s_waitcnt lgkmcnt(0)
	v_lshrrev_b64 v[38:39], s16, v[34:35]
	v_and_b32_e32 v20, s27, v38
	v_lshlrev_b32_e32 v20, 2, v20
	ds_read_b32 v20, v20
	s_waitcnt lgkmcnt(0)
	v_add3_u32 v20, v28, v20, s8
	v_lshlrev_b64 v[38:39], 3, v[20:21]
	v_add_co_u32_e64 v38, s[0:1], s22, v38
	v_addc_co_u32_e64 v39, s[0:1], v32, v39, s[0:1]
	global_store_dwordx2 v[38:39], v[34:35], off
	s_branch .LBB904_54
.LBB904_59:
	s_mov_b64 s[10:11], 0
                                        ; implicit-def: $vgpr4
                                        ; implicit-def: $vgpr2
	s_cbranch_execnz .LBB904_63
	s_branch .LBB904_104
.LBB904_60:
	s_add_i32 s26, s26, -1
	s_cmp_eq_u32 s26, s6
	s_cselect_b64 s[0:1], -1, 0
	s_and_b64 s[2:3], vcc, s[0:1]
	s_mov_b64 s[0:1], 0
	s_mov_b64 s[10:11], 0
                                        ; implicit-def: $vgpr4
	s_and_saveexec_b64 s[8:9], s[2:3]
	s_xor_b64 s[2:3], exec, s[8:9]
; %bb.61:
	s_mov_b64 s[10:11], exec
	v_add_u32_e32 v4, v30, v31
; %bb.62:
	s_or_b64 exec, exec, s[2:3]
	s_and_b64 vcc, exec, s[0:1]
	s_cbranch_vccz .LBB904_104
.LBB904_63:
	s_lshl_b32 s0, s6, 13
	s_mov_b32 s1, 0
	v_mbcnt_hi_u32_b32 v22, -1, v1
	s_lshl_b64 s[0:1], s[0:1], 3
	v_and_b32_e32 v1, 63, v22
	s_add_u32 s0, s20, s0
	v_lshlrev_b32_e32 v1, 3, v1
	v_add_co_u32_e32 v1, vcc, s0, v1
	s_load_dword s7, s[4:5], 0x58
	s_load_dword s0, s[4:5], 0x64
	v_and_b32_e32 v2, 0x3ff, v0
	s_addc_u32 s1, s21, s1
	v_mov_b32_e32 v3, s1
	v_lshlrev_b32_e32 v4, 6, v2
	v_addc_co_u32_e32 v3, vcc, 0, v3, vcc
	v_and_b32_e32 v4, 0xf000, v4
	s_add_u32 s1, s4, 0x58
	v_add_co_u32_e32 v20, vcc, v1, v4
	s_addc_u32 s2, s5, 0
	s_waitcnt lgkmcnt(0)
	s_lshr_b32 s3, s0, 16
	v_addc_co_u32_e32 v21, vcc, 0, v3, vcc
	s_cmp_lt_u32 s6, s7
	global_load_dwordx2 v[4:5], v[20:21], off
	s_cselect_b32 s0, 12, 18
	s_add_u32 s0, s1, s0
	v_mov_b32_e32 v18, 0
	s_addc_u32 s1, s2, 0
	global_load_ushort v3, v18, s[0:1]
	v_mul_u32_u24_e32 v6, 5, v2
	v_lshlrev_b32_e32 v23, 2, v6
	v_bfe_u32 v1, v0, 10, 10
	v_bfe_u32 v0, v0, 20, 10
	ds_write2_b32 v23, v18, v18 offset0:16 offset1:17
	ds_write2_b32 v23, v18, v18 offset0:18 offset1:19
	ds_write_b32 v23, v18 offset:80
	v_mad_u32_u24 v24, v0, s3, v1
	global_load_dwordx2 v[0:1], v[20:21], off offset:512
	global_load_dwordx2 v[6:7], v[20:21], off offset:1024
	;; [unrolled: 1-line block ×7, first 2 shown]
	s_lshl_b32 s0, -1, s17
	s_not_b32 s17, s0
	s_waitcnt lgkmcnt(0)
	s_barrier
	s_waitcnt lgkmcnt(0)
	; wave barrier
	s_waitcnt vmcnt(8)
	v_lshrrev_b64 v[20:21], s16, v[4:5]
	v_and_b32_e32 v26, s17, v20
	v_and_b32_e32 v27, 1, v26
	v_lshlrev_b32_e32 v19, 30, v26
	v_lshl_add_u32 v25, v26, 4, v26
	s_waitcnt vmcnt(7)
	v_mad_u64_u32 v[20:21], s[0:1], v24, v3, v[2:3]
	v_add_co_u32_e32 v3, vcc, -1, v27
	v_addc_co_u32_e64 v21, s[0:1], 0, -1, vcc
	v_cmp_ne_u32_e32 vcc, 0, v27
	v_cmp_gt_i64_e64 s[0:1], 0, v[18:19]
	v_not_b32_e32 v24, v19
	v_lshlrev_b32_e32 v19, 29, v26
	v_lshrrev_b32_e32 v32, 6, v20
	v_xor_b32_e32 v20, vcc_hi, v21
	v_xor_b32_e32 v3, vcc_lo, v3
	v_ashrrev_i32_e32 v21, 31, v24
	v_cmp_gt_i64_e32 vcc, 0, v[18:19]
	v_not_b32_e32 v24, v19
	v_lshlrev_b32_e32 v19, 28, v26
	v_and_b32_e32 v20, exec_hi, v20
	v_and_b32_e32 v3, exec_lo, v3
	v_xor_b32_e32 v27, s1, v21
	v_xor_b32_e32 v21, s0, v21
	v_ashrrev_i32_e32 v24, 31, v24
	v_cmp_gt_i64_e64 s[0:1], 0, v[18:19]
	v_not_b32_e32 v28, v19
	v_lshlrev_b32_e32 v19, 27, v26
	v_and_b32_e32 v20, v20, v27
	v_and_b32_e32 v3, v3, v21
	v_xor_b32_e32 v21, vcc_hi, v24
	v_xor_b32_e32 v24, vcc_lo, v24
	v_ashrrev_i32_e32 v27, 31, v28
	v_cmp_gt_i64_e32 vcc, 0, v[18:19]
	v_not_b32_e32 v19, v19
	v_and_b32_e32 v20, v20, v21
	v_and_b32_e32 v3, v3, v24
	v_xor_b32_e32 v21, s1, v27
	v_xor_b32_e32 v24, s0, v27
	v_ashrrev_i32_e32 v19, 31, v19
	v_and_b32_e32 v20, v20, v21
	v_and_b32_e32 v3, v3, v24
	v_xor_b32_e32 v21, vcc_hi, v19
	v_xor_b32_e32 v19, vcc_lo, v19
	v_and_b32_e32 v3, v3, v19
	v_lshlrev_b32_e32 v19, 26, v26
	v_cmp_gt_i64_e32 vcc, 0, v[18:19]
	v_not_b32_e32 v19, v19
	v_ashrrev_i32_e32 v19, 31, v19
	v_and_b32_e32 v20, v20, v21
	v_xor_b32_e32 v21, vcc_hi, v19
	v_xor_b32_e32 v19, vcc_lo, v19
	v_and_b32_e32 v3, v3, v19
	v_lshlrev_b32_e32 v19, 25, v26
	v_cmp_gt_i64_e32 vcc, 0, v[18:19]
	v_not_b32_e32 v19, v19
	v_ashrrev_i32_e32 v19, 31, v19
	;; [unrolled: 8-line block ×3, first 2 shown]
	v_and_b32_e32 v20, v20, v21
	v_xor_b32_e32 v21, vcc_hi, v19
	v_xor_b32_e32 v19, vcc_lo, v19
	v_and_b32_e32 v21, v20, v21
	v_and_b32_e32 v20, v3, v19
	v_mbcnt_lo_u32_b32 v3, v20, 0
	v_mbcnt_hi_u32_b32 v3, v21, v3
	v_cmp_eq_u32_e32 vcc, 0, v3
	v_cmp_ne_u64_e64 s[0:1], 0, v[20:21]
	v_add_lshl_u32 v25, v32, v25, 2
	s_and_b64 s[2:3], s[0:1], vcc
	s_and_saveexec_b64 s[0:1], s[2:3]
	s_cbranch_execz .LBB904_65
; %bb.64:
	v_bcnt_u32_b32 v19, v20, 0
	v_bcnt_u32_b32 v19, v21, v19
	ds_write_b32 v25, v19 offset:64
.LBB904_65:
	s_or_b64 exec, exec, s[0:1]
	s_waitcnt vmcnt(6)
	v_lshrrev_b64 v[20:21], s16, v[0:1]
	v_and_b32_e32 v20, s17, v20
	v_lshl_add_u32 v19, v20, 4, v20
	v_add_lshl_u32 v28, v32, v19, 2
	v_and_b32_e32 v19, 1, v20
	v_add_co_u32_e32 v21, vcc, -1, v19
	v_addc_co_u32_e64 v26, s[0:1], 0, -1, vcc
	v_cmp_ne_u32_e32 vcc, 0, v19
	v_xor_b32_e32 v19, vcc_hi, v26
	v_and_b32_e32 v26, exec_hi, v19
	v_lshlrev_b32_e32 v19, 30, v20
	v_xor_b32_e32 v21, vcc_lo, v21
	v_cmp_gt_i64_e32 vcc, 0, v[18:19]
	v_not_b32_e32 v19, v19
	v_ashrrev_i32_e32 v19, 31, v19
	v_and_b32_e32 v21, exec_lo, v21
	v_xor_b32_e32 v27, vcc_hi, v19
	v_xor_b32_e32 v19, vcc_lo, v19
	v_and_b32_e32 v21, v21, v19
	v_lshlrev_b32_e32 v19, 29, v20
	v_cmp_gt_i64_e32 vcc, 0, v[18:19]
	v_not_b32_e32 v19, v19
	v_ashrrev_i32_e32 v19, 31, v19
	v_and_b32_e32 v26, v26, v27
	v_xor_b32_e32 v27, vcc_hi, v19
	v_xor_b32_e32 v19, vcc_lo, v19
	v_and_b32_e32 v21, v21, v19
	v_lshlrev_b32_e32 v19, 28, v20
	v_cmp_gt_i64_e32 vcc, 0, v[18:19]
	v_not_b32_e32 v19, v19
	v_ashrrev_i32_e32 v19, 31, v19
	v_and_b32_e32 v26, v26, v27
	;; [unrolled: 8-line block ×5, first 2 shown]
	v_xor_b32_e32 v27, vcc_hi, v19
	v_xor_b32_e32 v19, vcc_lo, v19
	v_and_b32_e32 v21, v21, v19
	v_lshlrev_b32_e32 v19, 24, v20
	v_cmp_gt_i64_e32 vcc, 0, v[18:19]
	v_not_b32_e32 v18, v19
	v_ashrrev_i32_e32 v18, 31, v18
	v_xor_b32_e32 v19, vcc_hi, v18
	v_xor_b32_e32 v18, vcc_lo, v18
	; wave barrier
	ds_read_b32 v24, v28 offset:64
	v_and_b32_e32 v26, v26, v27
	v_and_b32_e32 v18, v21, v18
	;; [unrolled: 1-line block ×3, first 2 shown]
	v_mbcnt_lo_u32_b32 v20, v18, 0
	v_mbcnt_hi_u32_b32 v26, v19, v20
	v_cmp_eq_u32_e32 vcc, 0, v26
	v_cmp_ne_u64_e64 s[0:1], 0, v[18:19]
	s_and_b64 s[2:3], s[0:1], vcc
	; wave barrier
	s_and_saveexec_b64 s[0:1], s[2:3]
	s_cbranch_execz .LBB904_67
; %bb.66:
	v_bcnt_u32_b32 v18, v18, 0
	v_bcnt_u32_b32 v18, v19, v18
	s_waitcnt lgkmcnt(0)
	v_add_u32_e32 v18, v24, v18
	ds_write_b32 v28, v18 offset:64
.LBB904_67:
	s_or_b64 exec, exec, s[0:1]
	s_waitcnt vmcnt(5)
	v_lshrrev_b64 v[18:19], s16, v[6:7]
	v_and_b32_e32 v20, s17, v18
	v_and_b32_e32 v19, 1, v20
	v_add_co_u32_e32 v21, vcc, -1, v19
	v_addc_co_u32_e64 v29, s[0:1], 0, -1, vcc
	v_cmp_ne_u32_e32 vcc, 0, v19
	v_lshl_add_u32 v18, v20, 4, v20
	v_xor_b32_e32 v19, vcc_hi, v29
	v_add_lshl_u32 v31, v32, v18, 2
	v_mov_b32_e32 v18, 0
	v_and_b32_e32 v29, exec_hi, v19
	v_lshlrev_b32_e32 v19, 30, v20
	v_xor_b32_e32 v21, vcc_lo, v21
	v_cmp_gt_i64_e32 vcc, 0, v[18:19]
	v_not_b32_e32 v19, v19
	v_ashrrev_i32_e32 v19, 31, v19
	v_and_b32_e32 v21, exec_lo, v21
	v_xor_b32_e32 v30, vcc_hi, v19
	v_xor_b32_e32 v19, vcc_lo, v19
	v_and_b32_e32 v21, v21, v19
	v_lshlrev_b32_e32 v19, 29, v20
	v_cmp_gt_i64_e32 vcc, 0, v[18:19]
	v_not_b32_e32 v19, v19
	v_ashrrev_i32_e32 v19, 31, v19
	v_and_b32_e32 v29, v29, v30
	v_xor_b32_e32 v30, vcc_hi, v19
	v_xor_b32_e32 v19, vcc_lo, v19
	v_and_b32_e32 v21, v21, v19
	v_lshlrev_b32_e32 v19, 28, v20
	v_cmp_gt_i64_e32 vcc, 0, v[18:19]
	v_not_b32_e32 v19, v19
	v_ashrrev_i32_e32 v19, 31, v19
	v_and_b32_e32 v29, v29, v30
	;; [unrolled: 8-line block ×5, first 2 shown]
	v_xor_b32_e32 v30, vcc_hi, v19
	v_xor_b32_e32 v19, vcc_lo, v19
	v_and_b32_e32 v29, v29, v30
	v_and_b32_e32 v30, v21, v19
	v_lshlrev_b32_e32 v19, 24, v20
	v_cmp_gt_i64_e32 vcc, 0, v[18:19]
	v_not_b32_e32 v19, v19
	v_ashrrev_i32_e32 v19, 31, v19
	v_xor_b32_e32 v20, vcc_hi, v19
	v_xor_b32_e32 v19, vcc_lo, v19
	; wave barrier
	ds_read_b32 v27, v31 offset:64
	v_and_b32_e32 v21, v29, v20
	v_and_b32_e32 v20, v30, v19
	v_mbcnt_lo_u32_b32 v19, v20, 0
	v_mbcnt_hi_u32_b32 v29, v21, v19
	v_cmp_eq_u32_e32 vcc, 0, v29
	v_cmp_ne_u64_e64 s[0:1], 0, v[20:21]
	s_and_b64 s[2:3], s[0:1], vcc
	; wave barrier
	s_and_saveexec_b64 s[0:1], s[2:3]
	s_cbranch_execz .LBB904_69
; %bb.68:
	v_bcnt_u32_b32 v19, v20, 0
	v_bcnt_u32_b32 v19, v21, v19
	s_waitcnt lgkmcnt(0)
	v_add_u32_e32 v19, v27, v19
	ds_write_b32 v31, v19 offset:64
.LBB904_69:
	s_or_b64 exec, exec, s[0:1]
	s_waitcnt vmcnt(4)
	v_lshrrev_b64 v[20:21], s16, v[8:9]
	v_and_b32_e32 v20, s17, v20
	v_lshl_add_u32 v19, v20, 4, v20
	v_add_lshl_u32 v35, v32, v19, 2
	v_and_b32_e32 v19, 1, v20
	v_add_co_u32_e32 v21, vcc, -1, v19
	v_addc_co_u32_e64 v33, s[0:1], 0, -1, vcc
	v_cmp_ne_u32_e32 vcc, 0, v19
	v_xor_b32_e32 v19, vcc_hi, v33
	v_and_b32_e32 v33, exec_hi, v19
	v_lshlrev_b32_e32 v19, 30, v20
	v_xor_b32_e32 v21, vcc_lo, v21
	v_cmp_gt_i64_e32 vcc, 0, v[18:19]
	v_not_b32_e32 v19, v19
	v_ashrrev_i32_e32 v19, 31, v19
	v_and_b32_e32 v21, exec_lo, v21
	v_xor_b32_e32 v34, vcc_hi, v19
	v_xor_b32_e32 v19, vcc_lo, v19
	v_and_b32_e32 v21, v21, v19
	v_lshlrev_b32_e32 v19, 29, v20
	v_cmp_gt_i64_e32 vcc, 0, v[18:19]
	v_not_b32_e32 v19, v19
	v_ashrrev_i32_e32 v19, 31, v19
	v_and_b32_e32 v33, v33, v34
	v_xor_b32_e32 v34, vcc_hi, v19
	v_xor_b32_e32 v19, vcc_lo, v19
	v_and_b32_e32 v21, v21, v19
	v_lshlrev_b32_e32 v19, 28, v20
	v_cmp_gt_i64_e32 vcc, 0, v[18:19]
	v_not_b32_e32 v19, v19
	v_ashrrev_i32_e32 v19, 31, v19
	v_and_b32_e32 v33, v33, v34
	;; [unrolled: 8-line block ×5, first 2 shown]
	v_xor_b32_e32 v34, vcc_hi, v19
	v_xor_b32_e32 v19, vcc_lo, v19
	v_and_b32_e32 v21, v21, v19
	v_lshlrev_b32_e32 v19, 24, v20
	v_cmp_gt_i64_e32 vcc, 0, v[18:19]
	v_not_b32_e32 v18, v19
	v_ashrrev_i32_e32 v18, 31, v18
	v_xor_b32_e32 v19, vcc_hi, v18
	v_xor_b32_e32 v18, vcc_lo, v18
	; wave barrier
	ds_read_b32 v30, v35 offset:64
	v_and_b32_e32 v33, v33, v34
	v_and_b32_e32 v18, v21, v18
	;; [unrolled: 1-line block ×3, first 2 shown]
	v_mbcnt_lo_u32_b32 v20, v18, 0
	v_mbcnt_hi_u32_b32 v33, v19, v20
	v_cmp_eq_u32_e32 vcc, 0, v33
	v_cmp_ne_u64_e64 s[0:1], 0, v[18:19]
	s_and_b64 s[2:3], s[0:1], vcc
	; wave barrier
	s_and_saveexec_b64 s[0:1], s[2:3]
	s_cbranch_execz .LBB904_71
; %bb.70:
	v_bcnt_u32_b32 v18, v18, 0
	v_bcnt_u32_b32 v18, v19, v18
	s_waitcnt lgkmcnt(0)
	v_add_u32_e32 v18, v30, v18
	ds_write_b32 v35, v18 offset:64
.LBB904_71:
	s_or_b64 exec, exec, s[0:1]
	s_waitcnt vmcnt(3)
	v_lshrrev_b64 v[18:19], s16, v[10:11]
	v_and_b32_e32 v20, s17, v18
	v_and_b32_e32 v19, 1, v20
	v_add_co_u32_e32 v21, vcc, -1, v19
	v_addc_co_u32_e64 v36, s[0:1], 0, -1, vcc
	v_cmp_ne_u32_e32 vcc, 0, v19
	v_lshl_add_u32 v18, v20, 4, v20
	v_xor_b32_e32 v19, vcc_hi, v36
	v_add_lshl_u32 v38, v32, v18, 2
	v_mov_b32_e32 v18, 0
	v_and_b32_e32 v36, exec_hi, v19
	v_lshlrev_b32_e32 v19, 30, v20
	v_xor_b32_e32 v21, vcc_lo, v21
	v_cmp_gt_i64_e32 vcc, 0, v[18:19]
	v_not_b32_e32 v19, v19
	v_ashrrev_i32_e32 v19, 31, v19
	v_and_b32_e32 v21, exec_lo, v21
	v_xor_b32_e32 v37, vcc_hi, v19
	v_xor_b32_e32 v19, vcc_lo, v19
	v_and_b32_e32 v21, v21, v19
	v_lshlrev_b32_e32 v19, 29, v20
	v_cmp_gt_i64_e32 vcc, 0, v[18:19]
	v_not_b32_e32 v19, v19
	v_ashrrev_i32_e32 v19, 31, v19
	v_and_b32_e32 v36, v36, v37
	v_xor_b32_e32 v37, vcc_hi, v19
	v_xor_b32_e32 v19, vcc_lo, v19
	v_and_b32_e32 v21, v21, v19
	v_lshlrev_b32_e32 v19, 28, v20
	v_cmp_gt_i64_e32 vcc, 0, v[18:19]
	v_not_b32_e32 v19, v19
	v_ashrrev_i32_e32 v19, 31, v19
	v_and_b32_e32 v36, v36, v37
	;; [unrolled: 8-line block ×5, first 2 shown]
	v_xor_b32_e32 v37, vcc_hi, v19
	v_xor_b32_e32 v19, vcc_lo, v19
	v_and_b32_e32 v36, v36, v37
	v_and_b32_e32 v37, v21, v19
	v_lshlrev_b32_e32 v19, 24, v20
	v_cmp_gt_i64_e32 vcc, 0, v[18:19]
	v_not_b32_e32 v19, v19
	v_ashrrev_i32_e32 v19, 31, v19
	v_xor_b32_e32 v20, vcc_hi, v19
	v_xor_b32_e32 v19, vcc_lo, v19
	; wave barrier
	ds_read_b32 v34, v38 offset:64
	v_and_b32_e32 v21, v36, v20
	v_and_b32_e32 v20, v37, v19
	v_mbcnt_lo_u32_b32 v19, v20, 0
	v_mbcnt_hi_u32_b32 v36, v21, v19
	v_cmp_eq_u32_e32 vcc, 0, v36
	v_cmp_ne_u64_e64 s[0:1], 0, v[20:21]
	s_and_b64 s[2:3], s[0:1], vcc
	; wave barrier
	s_and_saveexec_b64 s[0:1], s[2:3]
	s_cbranch_execz .LBB904_73
; %bb.72:
	v_bcnt_u32_b32 v19, v20, 0
	v_bcnt_u32_b32 v19, v21, v19
	s_waitcnt lgkmcnt(0)
	v_add_u32_e32 v19, v34, v19
	ds_write_b32 v38, v19 offset:64
.LBB904_73:
	s_or_b64 exec, exec, s[0:1]
	s_waitcnt vmcnt(2)
	v_lshrrev_b64 v[20:21], s16, v[12:13]
	v_and_b32_e32 v20, s17, v20
	v_lshl_add_u32 v19, v20, 4, v20
	v_add_lshl_u32 v41, v32, v19, 2
	v_and_b32_e32 v19, 1, v20
	v_add_co_u32_e32 v21, vcc, -1, v19
	v_addc_co_u32_e64 v39, s[0:1], 0, -1, vcc
	v_cmp_ne_u32_e32 vcc, 0, v19
	v_xor_b32_e32 v19, vcc_hi, v39
	v_and_b32_e32 v39, exec_hi, v19
	v_lshlrev_b32_e32 v19, 30, v20
	v_xor_b32_e32 v21, vcc_lo, v21
	v_cmp_gt_i64_e32 vcc, 0, v[18:19]
	v_not_b32_e32 v19, v19
	v_ashrrev_i32_e32 v19, 31, v19
	v_and_b32_e32 v21, exec_lo, v21
	v_xor_b32_e32 v40, vcc_hi, v19
	v_xor_b32_e32 v19, vcc_lo, v19
	v_and_b32_e32 v21, v21, v19
	v_lshlrev_b32_e32 v19, 29, v20
	v_cmp_gt_i64_e32 vcc, 0, v[18:19]
	v_not_b32_e32 v19, v19
	v_ashrrev_i32_e32 v19, 31, v19
	v_and_b32_e32 v39, v39, v40
	v_xor_b32_e32 v40, vcc_hi, v19
	v_xor_b32_e32 v19, vcc_lo, v19
	v_and_b32_e32 v21, v21, v19
	v_lshlrev_b32_e32 v19, 28, v20
	v_cmp_gt_i64_e32 vcc, 0, v[18:19]
	v_not_b32_e32 v19, v19
	v_ashrrev_i32_e32 v19, 31, v19
	v_and_b32_e32 v39, v39, v40
	;; [unrolled: 8-line block ×5, first 2 shown]
	v_xor_b32_e32 v40, vcc_hi, v19
	v_xor_b32_e32 v19, vcc_lo, v19
	v_and_b32_e32 v21, v21, v19
	v_lshlrev_b32_e32 v19, 24, v20
	v_cmp_gt_i64_e32 vcc, 0, v[18:19]
	v_not_b32_e32 v18, v19
	v_ashrrev_i32_e32 v18, 31, v18
	v_xor_b32_e32 v19, vcc_hi, v18
	v_xor_b32_e32 v18, vcc_lo, v18
	; wave barrier
	ds_read_b32 v37, v41 offset:64
	v_and_b32_e32 v39, v39, v40
	v_and_b32_e32 v18, v21, v18
	;; [unrolled: 1-line block ×3, first 2 shown]
	v_mbcnt_lo_u32_b32 v20, v18, 0
	v_mbcnt_hi_u32_b32 v39, v19, v20
	v_cmp_eq_u32_e32 vcc, 0, v39
	v_cmp_ne_u64_e64 s[0:1], 0, v[18:19]
	s_and_b64 s[2:3], s[0:1], vcc
	; wave barrier
	s_and_saveexec_b64 s[0:1], s[2:3]
	s_cbranch_execz .LBB904_75
; %bb.74:
	v_bcnt_u32_b32 v18, v18, 0
	v_bcnt_u32_b32 v18, v19, v18
	s_waitcnt lgkmcnt(0)
	v_add_u32_e32 v18, v37, v18
	ds_write_b32 v41, v18 offset:64
.LBB904_75:
	s_or_b64 exec, exec, s[0:1]
	s_waitcnt vmcnt(1)
	v_lshrrev_b64 v[18:19], s16, v[14:15]
	v_and_b32_e32 v20, s17, v18
	v_and_b32_e32 v19, 1, v20
	v_add_co_u32_e32 v21, vcc, -1, v19
	v_addc_co_u32_e64 v42, s[0:1], 0, -1, vcc
	v_cmp_ne_u32_e32 vcc, 0, v19
	v_lshl_add_u32 v18, v20, 4, v20
	v_xor_b32_e32 v19, vcc_hi, v42
	v_add_lshl_u32 v43, v32, v18, 2
	v_mov_b32_e32 v18, 0
	v_and_b32_e32 v42, exec_hi, v19
	v_lshlrev_b32_e32 v19, 30, v20
	v_xor_b32_e32 v21, vcc_lo, v21
	v_cmp_gt_i64_e32 vcc, 0, v[18:19]
	v_not_b32_e32 v19, v19
	v_ashrrev_i32_e32 v19, 31, v19
	v_and_b32_e32 v21, exec_lo, v21
	v_xor_b32_e32 v44, vcc_hi, v19
	v_xor_b32_e32 v19, vcc_lo, v19
	v_and_b32_e32 v21, v21, v19
	v_lshlrev_b32_e32 v19, 29, v20
	v_cmp_gt_i64_e32 vcc, 0, v[18:19]
	v_not_b32_e32 v19, v19
	v_ashrrev_i32_e32 v19, 31, v19
	v_and_b32_e32 v42, v42, v44
	v_xor_b32_e32 v44, vcc_hi, v19
	v_xor_b32_e32 v19, vcc_lo, v19
	v_and_b32_e32 v21, v21, v19
	v_lshlrev_b32_e32 v19, 28, v20
	v_cmp_gt_i64_e32 vcc, 0, v[18:19]
	v_not_b32_e32 v19, v19
	v_ashrrev_i32_e32 v19, 31, v19
	v_and_b32_e32 v42, v42, v44
	;; [unrolled: 8-line block ×5, first 2 shown]
	v_xor_b32_e32 v44, vcc_hi, v19
	v_xor_b32_e32 v19, vcc_lo, v19
	v_and_b32_e32 v42, v42, v44
	v_and_b32_e32 v44, v21, v19
	v_lshlrev_b32_e32 v19, 24, v20
	v_cmp_gt_i64_e32 vcc, 0, v[18:19]
	v_not_b32_e32 v19, v19
	v_ashrrev_i32_e32 v19, 31, v19
	v_xor_b32_e32 v20, vcc_hi, v19
	v_xor_b32_e32 v19, vcc_lo, v19
	; wave barrier
	ds_read_b32 v40, v43 offset:64
	v_and_b32_e32 v21, v42, v20
	v_and_b32_e32 v20, v44, v19
	v_mbcnt_lo_u32_b32 v19, v20, 0
	v_mbcnt_hi_u32_b32 v42, v21, v19
	v_cmp_eq_u32_e32 vcc, 0, v42
	v_cmp_ne_u64_e64 s[0:1], 0, v[20:21]
	s_and_b64 s[2:3], s[0:1], vcc
	; wave barrier
	s_and_saveexec_b64 s[0:1], s[2:3]
	s_cbranch_execz .LBB904_77
; %bb.76:
	v_bcnt_u32_b32 v19, v20, 0
	v_bcnt_u32_b32 v19, v21, v19
	s_waitcnt lgkmcnt(0)
	v_add_u32_e32 v19, v40, v19
	ds_write_b32 v43, v19 offset:64
.LBB904_77:
	s_or_b64 exec, exec, s[0:1]
	s_waitcnt vmcnt(0)
	v_lshrrev_b64 v[20:21], s16, v[16:17]
	v_and_b32_e32 v20, s17, v20
	v_lshl_add_u32 v19, v20, 4, v20
	v_add_lshl_u32 v46, v32, v19, 2
	v_and_b32_e32 v19, 1, v20
	v_add_co_u32_e32 v21, vcc, -1, v19
	v_addc_co_u32_e64 v44, s[0:1], 0, -1, vcc
	v_cmp_ne_u32_e32 vcc, 0, v19
	v_xor_b32_e32 v19, vcc_hi, v44
	v_and_b32_e32 v44, exec_hi, v19
	v_lshlrev_b32_e32 v19, 30, v20
	v_xor_b32_e32 v21, vcc_lo, v21
	v_cmp_gt_i64_e32 vcc, 0, v[18:19]
	v_not_b32_e32 v19, v19
	v_ashrrev_i32_e32 v19, 31, v19
	v_and_b32_e32 v21, exec_lo, v21
	v_xor_b32_e32 v45, vcc_hi, v19
	v_xor_b32_e32 v19, vcc_lo, v19
	v_and_b32_e32 v21, v21, v19
	v_lshlrev_b32_e32 v19, 29, v20
	v_cmp_gt_i64_e32 vcc, 0, v[18:19]
	v_not_b32_e32 v19, v19
	v_ashrrev_i32_e32 v19, 31, v19
	v_and_b32_e32 v44, v44, v45
	v_xor_b32_e32 v45, vcc_hi, v19
	v_xor_b32_e32 v19, vcc_lo, v19
	v_and_b32_e32 v21, v21, v19
	v_lshlrev_b32_e32 v19, 28, v20
	v_cmp_gt_i64_e32 vcc, 0, v[18:19]
	v_not_b32_e32 v19, v19
	v_ashrrev_i32_e32 v19, 31, v19
	v_and_b32_e32 v44, v44, v45
	v_xor_b32_e32 v45, vcc_hi, v19
	v_xor_b32_e32 v19, vcc_lo, v19
	v_and_b32_e32 v21, v21, v19
	v_lshlrev_b32_e32 v19, 27, v20
	v_cmp_gt_i64_e32 vcc, 0, v[18:19]
	v_not_b32_e32 v19, v19
	v_ashrrev_i32_e32 v19, 31, v19
	v_and_b32_e32 v44, v44, v45
	v_xor_b32_e32 v45, vcc_hi, v19
	v_xor_b32_e32 v19, vcc_lo, v19
	v_and_b32_e32 v21, v21, v19
	v_lshlrev_b32_e32 v19, 26, v20
	v_cmp_gt_i64_e32 vcc, 0, v[18:19]
	v_not_b32_e32 v19, v19
	v_ashrrev_i32_e32 v19, 31, v19
	v_and_b32_e32 v44, v44, v45
	v_xor_b32_e32 v45, vcc_hi, v19
	v_xor_b32_e32 v19, vcc_lo, v19
	v_and_b32_e32 v21, v21, v19
	v_lshlrev_b32_e32 v19, 25, v20
	v_cmp_gt_i64_e32 vcc, 0, v[18:19]
	v_not_b32_e32 v19, v19
	v_ashrrev_i32_e32 v19, 31, v19
	v_and_b32_e32 v44, v44, v45
	v_xor_b32_e32 v45, vcc_hi, v19
	v_xor_b32_e32 v19, vcc_lo, v19
	v_and_b32_e32 v21, v21, v19
	v_lshlrev_b32_e32 v19, 24, v20
	v_cmp_gt_i64_e32 vcc, 0, v[18:19]
	v_not_b32_e32 v18, v19
	v_ashrrev_i32_e32 v18, 31, v18
	v_xor_b32_e32 v19, vcc_hi, v18
	v_xor_b32_e32 v18, vcc_lo, v18
	; wave barrier
	ds_read_b32 v32, v46 offset:64
	v_and_b32_e32 v44, v44, v45
	v_and_b32_e32 v18, v21, v18
	;; [unrolled: 1-line block ×3, first 2 shown]
	v_mbcnt_lo_u32_b32 v20, v18, 0
	v_mbcnt_hi_u32_b32 v44, v19, v20
	v_cmp_eq_u32_e32 vcc, 0, v44
	v_cmp_ne_u64_e64 s[0:1], 0, v[18:19]
	v_add_u32_e32 v47, 64, v23
	s_and_b64 s[2:3], s[0:1], vcc
	; wave barrier
	s_and_saveexec_b64 s[0:1], s[2:3]
	s_cbranch_execz .LBB904_79
; %bb.78:
	v_bcnt_u32_b32 v18, v18, 0
	v_bcnt_u32_b32 v18, v19, v18
	s_waitcnt lgkmcnt(0)
	v_add_u32_e32 v18, v32, v18
	ds_write_b32 v46, v18 offset:64
.LBB904_79:
	s_or_b64 exec, exec, s[0:1]
	; wave barrier
	s_waitcnt lgkmcnt(0)
	s_barrier
	ds_read2_b32 v[20:21], v23 offset0:16 offset1:17
	ds_read2_b32 v[18:19], v47 offset0:2 offset1:3
	ds_read_b32 v45, v47 offset:16
	v_cmp_lt_u32_e64 s[8:9], 31, v22
	s_waitcnt lgkmcnt(1)
	v_add3_u32 v48, v21, v20, v18
	s_waitcnt lgkmcnt(0)
	v_add3_u32 v45, v48, v19, v45
	v_and_b32_e32 v48, 15, v22
	v_cmp_eq_u32_e32 vcc, 0, v48
	v_mov_b32_dpp v49, v45 row_shr:1 row_mask:0xf bank_mask:0xf
	v_cndmask_b32_e64 v49, v49, 0, vcc
	v_add_u32_e32 v45, v49, v45
	v_cmp_lt_u32_e64 s[0:1], 1, v48
	v_cmp_lt_u32_e64 s[2:3], 3, v48
	v_mov_b32_dpp v49, v45 row_shr:2 row_mask:0xf bank_mask:0xf
	v_cndmask_b32_e64 v49, 0, v49, s[0:1]
	v_add_u32_e32 v45, v45, v49
	v_cmp_lt_u32_e64 s[4:5], 7, v48
	s_nop 0
	v_mov_b32_dpp v49, v45 row_shr:4 row_mask:0xf bank_mask:0xf
	v_cndmask_b32_e64 v49, 0, v49, s[2:3]
	v_add_u32_e32 v45, v45, v49
	s_nop 1
	v_mov_b32_dpp v49, v45 row_shr:8 row_mask:0xf bank_mask:0xf
	v_cndmask_b32_e64 v48, 0, v49, s[4:5]
	v_add_u32_e32 v45, v45, v48
	v_bfe_i32 v49, v22, 4, 1
	s_nop 0
	v_mov_b32_dpp v48, v45 row_bcast:15 row_mask:0xf bank_mask:0xf
	v_and_b32_e32 v48, v49, v48
	v_add_u32_e32 v45, v45, v48
	v_lshrrev_b32_e32 v49, 6, v2
	s_nop 0
	v_mov_b32_dpp v48, v45 row_bcast:31 row_mask:0xf bank_mask:0xf
	v_cndmask_b32_e64 v48, 0, v48, s[8:9]
	v_add_u32_e32 v48, v45, v48
	v_and_b32_e32 v45, 63, v2
	v_cmp_eq_u32_e64 s[8:9], 63, v45
	s_and_saveexec_b64 s[18:19], s[8:9]
	s_cbranch_execz .LBB904_81
; %bb.80:
	v_lshlrev_b32_e32 v45, 2, v49
	ds_write_b32 v45, v48
.LBB904_81:
	s_or_b64 exec, exec, s[18:19]
	v_cmp_gt_u32_e64 s[8:9], 16, v2
	v_lshlrev_b32_e32 v45, 2, v2
	s_waitcnt lgkmcnt(0)
	s_barrier
	s_and_saveexec_b64 s[18:19], s[8:9]
	s_cbranch_execz .LBB904_83
; %bb.82:
	ds_read_b32 v50, v45
	s_waitcnt lgkmcnt(0)
	s_nop 0
	v_mov_b32_dpp v51, v50 row_shr:1 row_mask:0xf bank_mask:0xf
	v_cndmask_b32_e64 v51, v51, 0, vcc
	v_add_u32_e32 v50, v51, v50
	s_nop 1
	v_mov_b32_dpp v51, v50 row_shr:2 row_mask:0xf bank_mask:0xf
	v_cndmask_b32_e64 v51, 0, v51, s[0:1]
	v_add_u32_e32 v50, v50, v51
	s_nop 1
	v_mov_b32_dpp v51, v50 row_shr:4 row_mask:0xf bank_mask:0xf
	v_cndmask_b32_e64 v51, 0, v51, s[2:3]
	;; [unrolled: 4-line block ×3, first 2 shown]
	v_add_u32_e32 v50, v50, v51
	ds_write_b32 v45, v50
.LBB904_83:
	s_or_b64 exec, exec, s[18:19]
	v_cmp_lt_u32_e32 vcc, 63, v2
	v_mov_b32_e32 v50, 0
	s_waitcnt lgkmcnt(0)
	s_barrier
	s_and_saveexec_b64 s[0:1], vcc
	s_cbranch_execz .LBB904_85
; %bb.84:
	v_lshl_add_u32 v49, v49, 2, -4
	ds_read_b32 v50, v49
.LBB904_85:
	s_or_b64 exec, exec, s[0:1]
	v_add_u32_e32 v49, -1, v22
	v_and_b32_e32 v51, 64, v22
	v_cmp_lt_i32_e32 vcc, v49, v51
	v_cndmask_b32_e32 v49, v49, v22, vcc
	s_waitcnt lgkmcnt(0)
	v_add_u32_e32 v48, v50, v48
	v_lshlrev_b32_e32 v49, 2, v49
	ds_bpermute_b32 v48, v49, v48
	v_cmp_eq_u32_e32 vcc, 0, v22
	s_movk_i32 s0, 0x100
	s_waitcnt lgkmcnt(0)
	v_cndmask_b32_e32 v22, v48, v50, vcc
	v_cmp_ne_u32_e32 vcc, 0, v2
	v_cndmask_b32_e32 v22, 0, v22, vcc
	v_add_u32_e32 v20, v22, v20
	v_add_u32_e32 v21, v20, v21
	;; [unrolled: 1-line block ×4, first 2 shown]
	ds_write2_b32 v23, v22, v20 offset0:16 offset1:17
	ds_write2_b32 v47, v21, v18 offset0:2 offset1:3
	ds_write_b32 v47, v19 offset:16
	s_waitcnt lgkmcnt(0)
	s_barrier
	ds_read_b32 v48, v25 offset:64
	ds_read_b32 v47, v28 offset:64
	;; [unrolled: 1-line block ×8, first 2 shown]
	v_cmp_gt_u32_e32 vcc, s0, v2
                                        ; implicit-def: $vgpr25
                                        ; implicit-def: $vgpr28
	s_and_saveexec_b64 s[2:3], vcc
	s_cbranch_execz .LBB904_89
; %bb.86:
	v_mul_u32_u24_e32 v18, 17, v2
	v_lshlrev_b32_e32 v19, 2, v18
	ds_read_b32 v25, v19 offset:64
	s_movk_i32 s0, 0xff
	v_cmp_ne_u32_e64 s[0:1], s0, v2
	v_mov_b32_e32 v18, 0x2000
	s_and_saveexec_b64 s[4:5], s[0:1]
	s_cbranch_execz .LBB904_88
; %bb.87:
	ds_read_b32 v18, v19 offset:132
.LBB904_88:
	s_or_b64 exec, exec, s[4:5]
	s_waitcnt lgkmcnt(0)
	v_sub_u32_e32 v28, v18, v25
.LBB904_89:
	s_or_b64 exec, exec, s[2:3]
	s_waitcnt lgkmcnt(0)
	s_barrier
	s_and_saveexec_b64 s[2:3], vcc
	s_cbranch_execz .LBB904_99
; %bb.90:
	v_lshl_or_b32 v18, s6, 8, v2
	v_mov_b32_e32 v19, 0
	v_lshlrev_b64 v[20:21], 2, v[18:19]
	v_mov_b32_e32 v49, s25
	v_add_co_u32_e64 v20, s[0:1], s24, v20
	v_addc_co_u32_e64 v21, s[0:1], v49, v21, s[0:1]
	v_or_b32_e32 v18, 2.0, v28
	s_mov_b64 s[4:5], 0
	s_brev_b32 s20, 1
	s_mov_b32 s21, s6
	v_mov_b32_e32 v50, 0
	global_store_dword v[20:21], v18, off
                                        ; implicit-def: $sgpr0_sgpr1
	s_branch .LBB904_93
.LBB904_91:                             ;   in Loop: Header=BB904_93 Depth=1
	s_or_b64 exec, exec, s[18:19]
.LBB904_92:                             ;   in Loop: Header=BB904_93 Depth=1
	s_or_b64 exec, exec, s[8:9]
	v_and_b32_e32 v22, 0x3fffffff, v51
	v_add_u32_e32 v50, v22, v50
	v_cmp_eq_u32_e64 s[0:1], s20, v18
	s_and_b64 s[8:9], exec, s[0:1]
	s_or_b64 s[4:5], s[8:9], s[4:5]
	s_andn2_b64 exec, exec, s[4:5]
	s_cbranch_execz .LBB904_98
.LBB904_93:                             ; =>This Loop Header: Depth=1
                                        ;     Child Loop BB904_96 Depth 2
	s_or_b64 s[0:1], s[0:1], exec
	s_cmp_eq_u32 s21, 0
	s_cbranch_scc1 .LBB904_97
; %bb.94:                               ;   in Loop: Header=BB904_93 Depth=1
	s_add_i32 s21, s21, -1
	v_lshl_or_b32 v18, s21, 8, v2
	v_lshlrev_b64 v[22:23], 2, v[18:19]
	v_add_co_u32_e64 v22, s[0:1], s24, v22
	v_addc_co_u32_e64 v23, s[0:1], v49, v23, s[0:1]
	global_load_dword v51, v[22:23], off glc
	s_waitcnt vmcnt(0)
	v_and_b32_e32 v18, -2.0, v51
	v_cmp_eq_u32_e64 s[0:1], 0, v18
	s_and_saveexec_b64 s[8:9], s[0:1]
	s_cbranch_execz .LBB904_92
; %bb.95:                               ;   in Loop: Header=BB904_93 Depth=1
	s_mov_b64 s[18:19], 0
.LBB904_96:                             ;   Parent Loop BB904_93 Depth=1
                                        ; =>  This Inner Loop Header: Depth=2
	global_load_dword v51, v[22:23], off glc
	s_waitcnt vmcnt(0)
	v_and_b32_e32 v18, -2.0, v51
	v_cmp_ne_u32_e64 s[0:1], 0, v18
	s_or_b64 s[18:19], s[0:1], s[18:19]
	s_andn2_b64 exec, exec, s[18:19]
	s_cbranch_execnz .LBB904_96
	s_branch .LBB904_91
.LBB904_97:                             ;   in Loop: Header=BB904_93 Depth=1
                                        ; implicit-def: $sgpr21
	s_and_b64 s[8:9], exec, s[0:1]
	s_or_b64 s[4:5], s[8:9], s[4:5]
	s_andn2_b64 exec, exec, s[4:5]
	s_cbranch_execnz .LBB904_93
.LBB904_98:
	s_or_b64 exec, exec, s[4:5]
	v_add_u32_e32 v18, v50, v28
	v_or_b32_e32 v18, 0x80000000, v18
	global_store_dword v[20:21], v18, off
	global_load_dword v18, v45, s[12:13]
	v_sub_u32_e32 v19, v50, v25
	s_waitcnt vmcnt(0)
	v_add_u32_e32 v18, v19, v18
	ds_write_b32 v45, v18
.LBB904_99:
	s_or_b64 exec, exec, s[2:3]
	v_lshlrev_b32_e32 v20, 3, v2
	v_add_u32_e32 v3, v48, v3
	s_movk_i32 s2, 0x400
	v_add_u32_e32 v21, 0x400, v20
	v_add3_u32 v22, v44, v46, v32
	v_add3_u32 v23, v42, v43, v40
	v_add3_u32 v32, v39, v41, v37
	v_add3_u32 v34, v36, v38, v34
	v_add3_u32 v30, v33, v35, v30
	v_add3_u32 v27, v29, v31, v27
	v_add3_u32 v24, v26, v47, v24
	s_mov_b32 s3, 0
	v_mov_b32_e32 v26, s23
	v_mov_b32_e32 v19, 0
	;; [unrolled: 1-line block ×3, first 2 shown]
.LBB904_100:                            ; =>This Inner Loop Header: Depth=1
	v_add_u32_e32 v18, s3, v3
	v_add_u32_e32 v36, s3, v34
	;; [unrolled: 1-line block ×8, first 2 shown]
	v_min_u32_e32 v18, 0x800, v18
	v_min_u32_e32 v36, 0x800, v36
	;; [unrolled: 1-line block ×8, first 2 shown]
	v_lshlrev_b32_e32 v18, 3, v18
	v_lshlrev_b32_e32 v36, 3, v36
	;; [unrolled: 1-line block ×8, first 2 shown]
	ds_write_b64 v18, v[4:5] offset:1024
	ds_write_b64 v31, v[0:1] offset:1024
	;; [unrolled: 1-line block ×8, first 2 shown]
	s_waitcnt lgkmcnt(0)
	s_barrier
	ds_read_b64 v[36:37], v20 offset:1024
	ds_read_b64 v[38:39], v21 offset:8192
	s_addk_i32 s3, 0xf800
	s_cmpk_lg_i32 s3, 0xe000
	s_waitcnt lgkmcnt(1)
	v_lshrrev_b64 v[40:41], s16, v[36:37]
	s_waitcnt lgkmcnt(0)
	v_lshrrev_b64 v[42:43], s16, v[38:39]
	v_and_b32_e32 v18, s17, v40
	v_and_b32_e32 v31, s17, v42
	v_lshlrev_b32_e32 v18, 2, v18
	v_lshlrev_b32_e32 v31, 2, v31
	ds_read_b32 v18, v18
	ds_read_b32 v31, v31
	s_waitcnt lgkmcnt(1)
	v_add_u32_e32 v18, v29, v18
	v_lshlrev_b64 v[40:41], 3, v[18:19]
	s_waitcnt lgkmcnt(0)
	v_add3_u32 v18, v29, v31, s2
	v_add_co_u32_e64 v40, s[0:1], s22, v40
	v_addc_co_u32_e64 v41, s[0:1], v26, v41, s[0:1]
	v_lshlrev_b64 v[42:43], 3, v[18:19]
	global_store_dwordx2 v[40:41], v[36:37], off
	v_add_co_u32_e64 v36, s[0:1], s22, v42
	v_add_u32_e32 v29, 0x800, v29
	v_addc_co_u32_e64 v37, s[0:1], v26, v43, s[0:1]
	global_store_dwordx2 v[36:37], v[38:39], off
	s_barrier
	s_cbranch_scc1 .LBB904_100
; %bb.101:
	s_add_i32 s7, s7, -1
	s_cmp_eq_u32 s7, s6
	s_cselect_b64 s[0:1], -1, 0
	s_and_b64 s[2:3], vcc, s[0:1]
                                        ; implicit-def: $vgpr4
	s_and_saveexec_b64 s[0:1], s[2:3]
; %bb.102:
	v_add_u32_e32 v4, v25, v28
	s_or_b64 s[10:11], s[10:11], exec
; %bb.103:
	s_or_b64 exec, exec, s[0:1]
.LBB904_104:
	s_and_saveexec_b64 s[0:1], s[10:11]
	s_cbranch_execnz .LBB904_106
; %bb.105:
	s_endpgm
.LBB904_106:
	v_mov_b32_e32 v3, 0
	v_lshlrev_b32_e32 v5, 2, v2
	v_lshlrev_b64 v[0:1], 2, v[2:3]
	ds_read_b32 v3, v5
	v_mov_b32_e32 v2, s15
	v_add_co_u32_e32 v0, vcc, s14, v0
	v_addc_co_u32_e32 v1, vcc, v2, v1, vcc
	s_waitcnt lgkmcnt(0)
	v_add_u32_e32 v2, v3, v4
	global_store_dword v[0:1], v2, off
	s_endpgm
	.section	.rodata,"a",@progbits
	.p2align	6, 0x0
	.amdhsa_kernel _ZN7rocprim17ROCPRIM_400000_NS6detail17trampoline_kernelINS0_14default_configENS1_35radix_sort_onesweep_config_selectorIyNS0_10empty_typeEEEZZNS1_29radix_sort_onesweep_iterationIS3_Lb0EN6thrust23THRUST_200600_302600_NS6detail15normal_iteratorINS9_10device_ptrIyEEEESE_PS5_SF_jNS0_19identity_decomposerENS1_16block_id_wrapperIjLb0EEEEE10hipError_tT1_PNSt15iterator_traitsISK_E10value_typeET2_T3_PNSL_ISQ_E10value_typeET4_T5_PSV_SW_PNS1_23onesweep_lookback_stateEbbT6_jjT7_P12ihipStream_tbENKUlT_T0_SK_SP_E_clISE_PySF_SF_EEDaS13_S14_SK_SP_EUlS13_E_NS1_11comp_targetILNS1_3genE4ELNS1_11target_archE910ELNS1_3gpuE8ELNS1_3repE0EEENS1_47radix_sort_onesweep_sort_config_static_selectorELNS0_4arch9wavefront6targetE1EEEvSK_
		.amdhsa_group_segment_fixed_size 20552
		.amdhsa_private_segment_fixed_size 0
		.amdhsa_kernarg_size 344
		.amdhsa_user_sgpr_count 6
		.amdhsa_user_sgpr_private_segment_buffer 1
		.amdhsa_user_sgpr_dispatch_ptr 0
		.amdhsa_user_sgpr_queue_ptr 0
		.amdhsa_user_sgpr_kernarg_segment_ptr 1
		.amdhsa_user_sgpr_dispatch_id 0
		.amdhsa_user_sgpr_flat_scratch_init 0
		.amdhsa_user_sgpr_kernarg_preload_length 0
		.amdhsa_user_sgpr_kernarg_preload_offset 0
		.amdhsa_user_sgpr_private_segment_size 0
		.amdhsa_uses_dynamic_stack 0
		.amdhsa_system_sgpr_private_segment_wavefront_offset 0
		.amdhsa_system_sgpr_workgroup_id_x 1
		.amdhsa_system_sgpr_workgroup_id_y 0
		.amdhsa_system_sgpr_workgroup_id_z 0
		.amdhsa_system_sgpr_workgroup_info 0
		.amdhsa_system_vgpr_workitem_id 2
		.amdhsa_next_free_vgpr 55
		.amdhsa_next_free_sgpr 30
		.amdhsa_accum_offset 56
		.amdhsa_reserve_vcc 1
		.amdhsa_reserve_flat_scratch 0
		.amdhsa_float_round_mode_32 0
		.amdhsa_float_round_mode_16_64 0
		.amdhsa_float_denorm_mode_32 3
		.amdhsa_float_denorm_mode_16_64 3
		.amdhsa_dx10_clamp 1
		.amdhsa_ieee_mode 1
		.amdhsa_fp16_overflow 0
		.amdhsa_tg_split 0
		.amdhsa_exception_fp_ieee_invalid_op 0
		.amdhsa_exception_fp_denorm_src 0
		.amdhsa_exception_fp_ieee_div_zero 0
		.amdhsa_exception_fp_ieee_overflow 0
		.amdhsa_exception_fp_ieee_underflow 0
		.amdhsa_exception_fp_ieee_inexact 0
		.amdhsa_exception_int_div_zero 0
	.end_amdhsa_kernel
	.section	.text._ZN7rocprim17ROCPRIM_400000_NS6detail17trampoline_kernelINS0_14default_configENS1_35radix_sort_onesweep_config_selectorIyNS0_10empty_typeEEEZZNS1_29radix_sort_onesweep_iterationIS3_Lb0EN6thrust23THRUST_200600_302600_NS6detail15normal_iteratorINS9_10device_ptrIyEEEESE_PS5_SF_jNS0_19identity_decomposerENS1_16block_id_wrapperIjLb0EEEEE10hipError_tT1_PNSt15iterator_traitsISK_E10value_typeET2_T3_PNSL_ISQ_E10value_typeET4_T5_PSV_SW_PNS1_23onesweep_lookback_stateEbbT6_jjT7_P12ihipStream_tbENKUlT_T0_SK_SP_E_clISE_PySF_SF_EEDaS13_S14_SK_SP_EUlS13_E_NS1_11comp_targetILNS1_3genE4ELNS1_11target_archE910ELNS1_3gpuE8ELNS1_3repE0EEENS1_47radix_sort_onesweep_sort_config_static_selectorELNS0_4arch9wavefront6targetE1EEEvSK_,"axG",@progbits,_ZN7rocprim17ROCPRIM_400000_NS6detail17trampoline_kernelINS0_14default_configENS1_35radix_sort_onesweep_config_selectorIyNS0_10empty_typeEEEZZNS1_29radix_sort_onesweep_iterationIS3_Lb0EN6thrust23THRUST_200600_302600_NS6detail15normal_iteratorINS9_10device_ptrIyEEEESE_PS5_SF_jNS0_19identity_decomposerENS1_16block_id_wrapperIjLb0EEEEE10hipError_tT1_PNSt15iterator_traitsISK_E10value_typeET2_T3_PNSL_ISQ_E10value_typeET4_T5_PSV_SW_PNS1_23onesweep_lookback_stateEbbT6_jjT7_P12ihipStream_tbENKUlT_T0_SK_SP_E_clISE_PySF_SF_EEDaS13_S14_SK_SP_EUlS13_E_NS1_11comp_targetILNS1_3genE4ELNS1_11target_archE910ELNS1_3gpuE8ELNS1_3repE0EEENS1_47radix_sort_onesweep_sort_config_static_selectorELNS0_4arch9wavefront6targetE1EEEvSK_,comdat
.Lfunc_end904:
	.size	_ZN7rocprim17ROCPRIM_400000_NS6detail17trampoline_kernelINS0_14default_configENS1_35radix_sort_onesweep_config_selectorIyNS0_10empty_typeEEEZZNS1_29radix_sort_onesweep_iterationIS3_Lb0EN6thrust23THRUST_200600_302600_NS6detail15normal_iteratorINS9_10device_ptrIyEEEESE_PS5_SF_jNS0_19identity_decomposerENS1_16block_id_wrapperIjLb0EEEEE10hipError_tT1_PNSt15iterator_traitsISK_E10value_typeET2_T3_PNSL_ISQ_E10value_typeET4_T5_PSV_SW_PNS1_23onesweep_lookback_stateEbbT6_jjT7_P12ihipStream_tbENKUlT_T0_SK_SP_E_clISE_PySF_SF_EEDaS13_S14_SK_SP_EUlS13_E_NS1_11comp_targetILNS1_3genE4ELNS1_11target_archE910ELNS1_3gpuE8ELNS1_3repE0EEENS1_47radix_sort_onesweep_sort_config_static_selectorELNS0_4arch9wavefront6targetE1EEEvSK_, .Lfunc_end904-_ZN7rocprim17ROCPRIM_400000_NS6detail17trampoline_kernelINS0_14default_configENS1_35radix_sort_onesweep_config_selectorIyNS0_10empty_typeEEEZZNS1_29radix_sort_onesweep_iterationIS3_Lb0EN6thrust23THRUST_200600_302600_NS6detail15normal_iteratorINS9_10device_ptrIyEEEESE_PS5_SF_jNS0_19identity_decomposerENS1_16block_id_wrapperIjLb0EEEEE10hipError_tT1_PNSt15iterator_traitsISK_E10value_typeET2_T3_PNSL_ISQ_E10value_typeET4_T5_PSV_SW_PNS1_23onesweep_lookback_stateEbbT6_jjT7_P12ihipStream_tbENKUlT_T0_SK_SP_E_clISE_PySF_SF_EEDaS13_S14_SK_SP_EUlS13_E_NS1_11comp_targetILNS1_3genE4ELNS1_11target_archE910ELNS1_3gpuE8ELNS1_3repE0EEENS1_47radix_sort_onesweep_sort_config_static_selectorELNS0_4arch9wavefront6targetE1EEEvSK_
                                        ; -- End function
	.section	.AMDGPU.csdata,"",@progbits
; Kernel info:
; codeLenInByte = 10188
; NumSgprs: 34
; NumVgprs: 55
; NumAgprs: 0
; TotalNumVgprs: 55
; ScratchSize: 0
; MemoryBound: 0
; FloatMode: 240
; IeeeMode: 1
; LDSByteSize: 20552 bytes/workgroup (compile time only)
; SGPRBlocks: 4
; VGPRBlocks: 6
; NumSGPRsForWavesPerEU: 34
; NumVGPRsForWavesPerEU: 55
; AccumOffset: 56
; Occupancy: 8
; WaveLimiterHint : 1
; COMPUTE_PGM_RSRC2:SCRATCH_EN: 0
; COMPUTE_PGM_RSRC2:USER_SGPR: 6
; COMPUTE_PGM_RSRC2:TRAP_HANDLER: 0
; COMPUTE_PGM_RSRC2:TGID_X_EN: 1
; COMPUTE_PGM_RSRC2:TGID_Y_EN: 0
; COMPUTE_PGM_RSRC2:TGID_Z_EN: 0
; COMPUTE_PGM_RSRC2:TIDIG_COMP_CNT: 2
; COMPUTE_PGM_RSRC3_GFX90A:ACCUM_OFFSET: 13
; COMPUTE_PGM_RSRC3_GFX90A:TG_SPLIT: 0
	.section	.text._ZN7rocprim17ROCPRIM_400000_NS6detail17trampoline_kernelINS0_14default_configENS1_35radix_sort_onesweep_config_selectorIyNS0_10empty_typeEEEZZNS1_29radix_sort_onesweep_iterationIS3_Lb0EN6thrust23THRUST_200600_302600_NS6detail15normal_iteratorINS9_10device_ptrIyEEEESE_PS5_SF_jNS0_19identity_decomposerENS1_16block_id_wrapperIjLb0EEEEE10hipError_tT1_PNSt15iterator_traitsISK_E10value_typeET2_T3_PNSL_ISQ_E10value_typeET4_T5_PSV_SW_PNS1_23onesweep_lookback_stateEbbT6_jjT7_P12ihipStream_tbENKUlT_T0_SK_SP_E_clISE_PySF_SF_EEDaS13_S14_SK_SP_EUlS13_E_NS1_11comp_targetILNS1_3genE3ELNS1_11target_archE908ELNS1_3gpuE7ELNS1_3repE0EEENS1_47radix_sort_onesweep_sort_config_static_selectorELNS0_4arch9wavefront6targetE1EEEvSK_,"axG",@progbits,_ZN7rocprim17ROCPRIM_400000_NS6detail17trampoline_kernelINS0_14default_configENS1_35radix_sort_onesweep_config_selectorIyNS0_10empty_typeEEEZZNS1_29radix_sort_onesweep_iterationIS3_Lb0EN6thrust23THRUST_200600_302600_NS6detail15normal_iteratorINS9_10device_ptrIyEEEESE_PS5_SF_jNS0_19identity_decomposerENS1_16block_id_wrapperIjLb0EEEEE10hipError_tT1_PNSt15iterator_traitsISK_E10value_typeET2_T3_PNSL_ISQ_E10value_typeET4_T5_PSV_SW_PNS1_23onesweep_lookback_stateEbbT6_jjT7_P12ihipStream_tbENKUlT_T0_SK_SP_E_clISE_PySF_SF_EEDaS13_S14_SK_SP_EUlS13_E_NS1_11comp_targetILNS1_3genE3ELNS1_11target_archE908ELNS1_3gpuE7ELNS1_3repE0EEENS1_47radix_sort_onesweep_sort_config_static_selectorELNS0_4arch9wavefront6targetE1EEEvSK_,comdat
	.protected	_ZN7rocprim17ROCPRIM_400000_NS6detail17trampoline_kernelINS0_14default_configENS1_35radix_sort_onesweep_config_selectorIyNS0_10empty_typeEEEZZNS1_29radix_sort_onesweep_iterationIS3_Lb0EN6thrust23THRUST_200600_302600_NS6detail15normal_iteratorINS9_10device_ptrIyEEEESE_PS5_SF_jNS0_19identity_decomposerENS1_16block_id_wrapperIjLb0EEEEE10hipError_tT1_PNSt15iterator_traitsISK_E10value_typeET2_T3_PNSL_ISQ_E10value_typeET4_T5_PSV_SW_PNS1_23onesweep_lookback_stateEbbT6_jjT7_P12ihipStream_tbENKUlT_T0_SK_SP_E_clISE_PySF_SF_EEDaS13_S14_SK_SP_EUlS13_E_NS1_11comp_targetILNS1_3genE3ELNS1_11target_archE908ELNS1_3gpuE7ELNS1_3repE0EEENS1_47radix_sort_onesweep_sort_config_static_selectorELNS0_4arch9wavefront6targetE1EEEvSK_ ; -- Begin function _ZN7rocprim17ROCPRIM_400000_NS6detail17trampoline_kernelINS0_14default_configENS1_35radix_sort_onesweep_config_selectorIyNS0_10empty_typeEEEZZNS1_29radix_sort_onesweep_iterationIS3_Lb0EN6thrust23THRUST_200600_302600_NS6detail15normal_iteratorINS9_10device_ptrIyEEEESE_PS5_SF_jNS0_19identity_decomposerENS1_16block_id_wrapperIjLb0EEEEE10hipError_tT1_PNSt15iterator_traitsISK_E10value_typeET2_T3_PNSL_ISQ_E10value_typeET4_T5_PSV_SW_PNS1_23onesweep_lookback_stateEbbT6_jjT7_P12ihipStream_tbENKUlT_T0_SK_SP_E_clISE_PySF_SF_EEDaS13_S14_SK_SP_EUlS13_E_NS1_11comp_targetILNS1_3genE3ELNS1_11target_archE908ELNS1_3gpuE7ELNS1_3repE0EEENS1_47radix_sort_onesweep_sort_config_static_selectorELNS0_4arch9wavefront6targetE1EEEvSK_
	.globl	_ZN7rocprim17ROCPRIM_400000_NS6detail17trampoline_kernelINS0_14default_configENS1_35radix_sort_onesweep_config_selectorIyNS0_10empty_typeEEEZZNS1_29radix_sort_onesweep_iterationIS3_Lb0EN6thrust23THRUST_200600_302600_NS6detail15normal_iteratorINS9_10device_ptrIyEEEESE_PS5_SF_jNS0_19identity_decomposerENS1_16block_id_wrapperIjLb0EEEEE10hipError_tT1_PNSt15iterator_traitsISK_E10value_typeET2_T3_PNSL_ISQ_E10value_typeET4_T5_PSV_SW_PNS1_23onesweep_lookback_stateEbbT6_jjT7_P12ihipStream_tbENKUlT_T0_SK_SP_E_clISE_PySF_SF_EEDaS13_S14_SK_SP_EUlS13_E_NS1_11comp_targetILNS1_3genE3ELNS1_11target_archE908ELNS1_3gpuE7ELNS1_3repE0EEENS1_47radix_sort_onesweep_sort_config_static_selectorELNS0_4arch9wavefront6targetE1EEEvSK_
	.p2align	8
	.type	_ZN7rocprim17ROCPRIM_400000_NS6detail17trampoline_kernelINS0_14default_configENS1_35radix_sort_onesweep_config_selectorIyNS0_10empty_typeEEEZZNS1_29radix_sort_onesweep_iterationIS3_Lb0EN6thrust23THRUST_200600_302600_NS6detail15normal_iteratorINS9_10device_ptrIyEEEESE_PS5_SF_jNS0_19identity_decomposerENS1_16block_id_wrapperIjLb0EEEEE10hipError_tT1_PNSt15iterator_traitsISK_E10value_typeET2_T3_PNSL_ISQ_E10value_typeET4_T5_PSV_SW_PNS1_23onesweep_lookback_stateEbbT6_jjT7_P12ihipStream_tbENKUlT_T0_SK_SP_E_clISE_PySF_SF_EEDaS13_S14_SK_SP_EUlS13_E_NS1_11comp_targetILNS1_3genE3ELNS1_11target_archE908ELNS1_3gpuE7ELNS1_3repE0EEENS1_47radix_sort_onesweep_sort_config_static_selectorELNS0_4arch9wavefront6targetE1EEEvSK_,@function
_ZN7rocprim17ROCPRIM_400000_NS6detail17trampoline_kernelINS0_14default_configENS1_35radix_sort_onesweep_config_selectorIyNS0_10empty_typeEEEZZNS1_29radix_sort_onesweep_iterationIS3_Lb0EN6thrust23THRUST_200600_302600_NS6detail15normal_iteratorINS9_10device_ptrIyEEEESE_PS5_SF_jNS0_19identity_decomposerENS1_16block_id_wrapperIjLb0EEEEE10hipError_tT1_PNSt15iterator_traitsISK_E10value_typeET2_T3_PNSL_ISQ_E10value_typeET4_T5_PSV_SW_PNS1_23onesweep_lookback_stateEbbT6_jjT7_P12ihipStream_tbENKUlT_T0_SK_SP_E_clISE_PySF_SF_EEDaS13_S14_SK_SP_EUlS13_E_NS1_11comp_targetILNS1_3genE3ELNS1_11target_archE908ELNS1_3gpuE7ELNS1_3repE0EEENS1_47radix_sort_onesweep_sort_config_static_selectorELNS0_4arch9wavefront6targetE1EEEvSK_: ; @_ZN7rocprim17ROCPRIM_400000_NS6detail17trampoline_kernelINS0_14default_configENS1_35radix_sort_onesweep_config_selectorIyNS0_10empty_typeEEEZZNS1_29radix_sort_onesweep_iterationIS3_Lb0EN6thrust23THRUST_200600_302600_NS6detail15normal_iteratorINS9_10device_ptrIyEEEESE_PS5_SF_jNS0_19identity_decomposerENS1_16block_id_wrapperIjLb0EEEEE10hipError_tT1_PNSt15iterator_traitsISK_E10value_typeET2_T3_PNSL_ISQ_E10value_typeET4_T5_PSV_SW_PNS1_23onesweep_lookback_stateEbbT6_jjT7_P12ihipStream_tbENKUlT_T0_SK_SP_E_clISE_PySF_SF_EEDaS13_S14_SK_SP_EUlS13_E_NS1_11comp_targetILNS1_3genE3ELNS1_11target_archE908ELNS1_3gpuE7ELNS1_3repE0EEENS1_47radix_sort_onesweep_sort_config_static_selectorELNS0_4arch9wavefront6targetE1EEEvSK_
; %bb.0:
	.section	.rodata,"a",@progbits
	.p2align	6, 0x0
	.amdhsa_kernel _ZN7rocprim17ROCPRIM_400000_NS6detail17trampoline_kernelINS0_14default_configENS1_35radix_sort_onesweep_config_selectorIyNS0_10empty_typeEEEZZNS1_29radix_sort_onesweep_iterationIS3_Lb0EN6thrust23THRUST_200600_302600_NS6detail15normal_iteratorINS9_10device_ptrIyEEEESE_PS5_SF_jNS0_19identity_decomposerENS1_16block_id_wrapperIjLb0EEEEE10hipError_tT1_PNSt15iterator_traitsISK_E10value_typeET2_T3_PNSL_ISQ_E10value_typeET4_T5_PSV_SW_PNS1_23onesweep_lookback_stateEbbT6_jjT7_P12ihipStream_tbENKUlT_T0_SK_SP_E_clISE_PySF_SF_EEDaS13_S14_SK_SP_EUlS13_E_NS1_11comp_targetILNS1_3genE3ELNS1_11target_archE908ELNS1_3gpuE7ELNS1_3repE0EEENS1_47radix_sort_onesweep_sort_config_static_selectorELNS0_4arch9wavefront6targetE1EEEvSK_
		.amdhsa_group_segment_fixed_size 0
		.amdhsa_private_segment_fixed_size 0
		.amdhsa_kernarg_size 88
		.amdhsa_user_sgpr_count 6
		.amdhsa_user_sgpr_private_segment_buffer 1
		.amdhsa_user_sgpr_dispatch_ptr 0
		.amdhsa_user_sgpr_queue_ptr 0
		.amdhsa_user_sgpr_kernarg_segment_ptr 1
		.amdhsa_user_sgpr_dispatch_id 0
		.amdhsa_user_sgpr_flat_scratch_init 0
		.amdhsa_user_sgpr_kernarg_preload_length 0
		.amdhsa_user_sgpr_kernarg_preload_offset 0
		.amdhsa_user_sgpr_private_segment_size 0
		.amdhsa_uses_dynamic_stack 0
		.amdhsa_system_sgpr_private_segment_wavefront_offset 0
		.amdhsa_system_sgpr_workgroup_id_x 1
		.amdhsa_system_sgpr_workgroup_id_y 0
		.amdhsa_system_sgpr_workgroup_id_z 0
		.amdhsa_system_sgpr_workgroup_info 0
		.amdhsa_system_vgpr_workitem_id 0
		.amdhsa_next_free_vgpr 1
		.amdhsa_next_free_sgpr 0
		.amdhsa_accum_offset 4
		.amdhsa_reserve_vcc 0
		.amdhsa_reserve_flat_scratch 0
		.amdhsa_float_round_mode_32 0
		.amdhsa_float_round_mode_16_64 0
		.amdhsa_float_denorm_mode_32 3
		.amdhsa_float_denorm_mode_16_64 3
		.amdhsa_dx10_clamp 1
		.amdhsa_ieee_mode 1
		.amdhsa_fp16_overflow 0
		.amdhsa_tg_split 0
		.amdhsa_exception_fp_ieee_invalid_op 0
		.amdhsa_exception_fp_denorm_src 0
		.amdhsa_exception_fp_ieee_div_zero 0
		.amdhsa_exception_fp_ieee_overflow 0
		.amdhsa_exception_fp_ieee_underflow 0
		.amdhsa_exception_fp_ieee_inexact 0
		.amdhsa_exception_int_div_zero 0
	.end_amdhsa_kernel
	.section	.text._ZN7rocprim17ROCPRIM_400000_NS6detail17trampoline_kernelINS0_14default_configENS1_35radix_sort_onesweep_config_selectorIyNS0_10empty_typeEEEZZNS1_29radix_sort_onesweep_iterationIS3_Lb0EN6thrust23THRUST_200600_302600_NS6detail15normal_iteratorINS9_10device_ptrIyEEEESE_PS5_SF_jNS0_19identity_decomposerENS1_16block_id_wrapperIjLb0EEEEE10hipError_tT1_PNSt15iterator_traitsISK_E10value_typeET2_T3_PNSL_ISQ_E10value_typeET4_T5_PSV_SW_PNS1_23onesweep_lookback_stateEbbT6_jjT7_P12ihipStream_tbENKUlT_T0_SK_SP_E_clISE_PySF_SF_EEDaS13_S14_SK_SP_EUlS13_E_NS1_11comp_targetILNS1_3genE3ELNS1_11target_archE908ELNS1_3gpuE7ELNS1_3repE0EEENS1_47radix_sort_onesweep_sort_config_static_selectorELNS0_4arch9wavefront6targetE1EEEvSK_,"axG",@progbits,_ZN7rocprim17ROCPRIM_400000_NS6detail17trampoline_kernelINS0_14default_configENS1_35radix_sort_onesweep_config_selectorIyNS0_10empty_typeEEEZZNS1_29radix_sort_onesweep_iterationIS3_Lb0EN6thrust23THRUST_200600_302600_NS6detail15normal_iteratorINS9_10device_ptrIyEEEESE_PS5_SF_jNS0_19identity_decomposerENS1_16block_id_wrapperIjLb0EEEEE10hipError_tT1_PNSt15iterator_traitsISK_E10value_typeET2_T3_PNSL_ISQ_E10value_typeET4_T5_PSV_SW_PNS1_23onesweep_lookback_stateEbbT6_jjT7_P12ihipStream_tbENKUlT_T0_SK_SP_E_clISE_PySF_SF_EEDaS13_S14_SK_SP_EUlS13_E_NS1_11comp_targetILNS1_3genE3ELNS1_11target_archE908ELNS1_3gpuE7ELNS1_3repE0EEENS1_47radix_sort_onesweep_sort_config_static_selectorELNS0_4arch9wavefront6targetE1EEEvSK_,comdat
.Lfunc_end905:
	.size	_ZN7rocprim17ROCPRIM_400000_NS6detail17trampoline_kernelINS0_14default_configENS1_35radix_sort_onesweep_config_selectorIyNS0_10empty_typeEEEZZNS1_29radix_sort_onesweep_iterationIS3_Lb0EN6thrust23THRUST_200600_302600_NS6detail15normal_iteratorINS9_10device_ptrIyEEEESE_PS5_SF_jNS0_19identity_decomposerENS1_16block_id_wrapperIjLb0EEEEE10hipError_tT1_PNSt15iterator_traitsISK_E10value_typeET2_T3_PNSL_ISQ_E10value_typeET4_T5_PSV_SW_PNS1_23onesweep_lookback_stateEbbT6_jjT7_P12ihipStream_tbENKUlT_T0_SK_SP_E_clISE_PySF_SF_EEDaS13_S14_SK_SP_EUlS13_E_NS1_11comp_targetILNS1_3genE3ELNS1_11target_archE908ELNS1_3gpuE7ELNS1_3repE0EEENS1_47radix_sort_onesweep_sort_config_static_selectorELNS0_4arch9wavefront6targetE1EEEvSK_, .Lfunc_end905-_ZN7rocprim17ROCPRIM_400000_NS6detail17trampoline_kernelINS0_14default_configENS1_35radix_sort_onesweep_config_selectorIyNS0_10empty_typeEEEZZNS1_29radix_sort_onesweep_iterationIS3_Lb0EN6thrust23THRUST_200600_302600_NS6detail15normal_iteratorINS9_10device_ptrIyEEEESE_PS5_SF_jNS0_19identity_decomposerENS1_16block_id_wrapperIjLb0EEEEE10hipError_tT1_PNSt15iterator_traitsISK_E10value_typeET2_T3_PNSL_ISQ_E10value_typeET4_T5_PSV_SW_PNS1_23onesweep_lookback_stateEbbT6_jjT7_P12ihipStream_tbENKUlT_T0_SK_SP_E_clISE_PySF_SF_EEDaS13_S14_SK_SP_EUlS13_E_NS1_11comp_targetILNS1_3genE3ELNS1_11target_archE908ELNS1_3gpuE7ELNS1_3repE0EEENS1_47radix_sort_onesweep_sort_config_static_selectorELNS0_4arch9wavefront6targetE1EEEvSK_
                                        ; -- End function
	.section	.AMDGPU.csdata,"",@progbits
; Kernel info:
; codeLenInByte = 0
; NumSgprs: 4
; NumVgprs: 0
; NumAgprs: 0
; TotalNumVgprs: 0
; ScratchSize: 0
; MemoryBound: 0
; FloatMode: 240
; IeeeMode: 1
; LDSByteSize: 0 bytes/workgroup (compile time only)
; SGPRBlocks: 0
; VGPRBlocks: 0
; NumSGPRsForWavesPerEU: 4
; NumVGPRsForWavesPerEU: 1
; AccumOffset: 4
; Occupancy: 8
; WaveLimiterHint : 0
; COMPUTE_PGM_RSRC2:SCRATCH_EN: 0
; COMPUTE_PGM_RSRC2:USER_SGPR: 6
; COMPUTE_PGM_RSRC2:TRAP_HANDLER: 0
; COMPUTE_PGM_RSRC2:TGID_X_EN: 1
; COMPUTE_PGM_RSRC2:TGID_Y_EN: 0
; COMPUTE_PGM_RSRC2:TGID_Z_EN: 0
; COMPUTE_PGM_RSRC2:TIDIG_COMP_CNT: 0
; COMPUTE_PGM_RSRC3_GFX90A:ACCUM_OFFSET: 0
; COMPUTE_PGM_RSRC3_GFX90A:TG_SPLIT: 0
	.section	.text._ZN7rocprim17ROCPRIM_400000_NS6detail17trampoline_kernelINS0_14default_configENS1_35radix_sort_onesweep_config_selectorIyNS0_10empty_typeEEEZZNS1_29radix_sort_onesweep_iterationIS3_Lb0EN6thrust23THRUST_200600_302600_NS6detail15normal_iteratorINS9_10device_ptrIyEEEESE_PS5_SF_jNS0_19identity_decomposerENS1_16block_id_wrapperIjLb0EEEEE10hipError_tT1_PNSt15iterator_traitsISK_E10value_typeET2_T3_PNSL_ISQ_E10value_typeET4_T5_PSV_SW_PNS1_23onesweep_lookback_stateEbbT6_jjT7_P12ihipStream_tbENKUlT_T0_SK_SP_E_clISE_PySF_SF_EEDaS13_S14_SK_SP_EUlS13_E_NS1_11comp_targetILNS1_3genE10ELNS1_11target_archE1201ELNS1_3gpuE5ELNS1_3repE0EEENS1_47radix_sort_onesweep_sort_config_static_selectorELNS0_4arch9wavefront6targetE1EEEvSK_,"axG",@progbits,_ZN7rocprim17ROCPRIM_400000_NS6detail17trampoline_kernelINS0_14default_configENS1_35radix_sort_onesweep_config_selectorIyNS0_10empty_typeEEEZZNS1_29radix_sort_onesweep_iterationIS3_Lb0EN6thrust23THRUST_200600_302600_NS6detail15normal_iteratorINS9_10device_ptrIyEEEESE_PS5_SF_jNS0_19identity_decomposerENS1_16block_id_wrapperIjLb0EEEEE10hipError_tT1_PNSt15iterator_traitsISK_E10value_typeET2_T3_PNSL_ISQ_E10value_typeET4_T5_PSV_SW_PNS1_23onesweep_lookback_stateEbbT6_jjT7_P12ihipStream_tbENKUlT_T0_SK_SP_E_clISE_PySF_SF_EEDaS13_S14_SK_SP_EUlS13_E_NS1_11comp_targetILNS1_3genE10ELNS1_11target_archE1201ELNS1_3gpuE5ELNS1_3repE0EEENS1_47radix_sort_onesweep_sort_config_static_selectorELNS0_4arch9wavefront6targetE1EEEvSK_,comdat
	.protected	_ZN7rocprim17ROCPRIM_400000_NS6detail17trampoline_kernelINS0_14default_configENS1_35radix_sort_onesweep_config_selectorIyNS0_10empty_typeEEEZZNS1_29radix_sort_onesweep_iterationIS3_Lb0EN6thrust23THRUST_200600_302600_NS6detail15normal_iteratorINS9_10device_ptrIyEEEESE_PS5_SF_jNS0_19identity_decomposerENS1_16block_id_wrapperIjLb0EEEEE10hipError_tT1_PNSt15iterator_traitsISK_E10value_typeET2_T3_PNSL_ISQ_E10value_typeET4_T5_PSV_SW_PNS1_23onesweep_lookback_stateEbbT6_jjT7_P12ihipStream_tbENKUlT_T0_SK_SP_E_clISE_PySF_SF_EEDaS13_S14_SK_SP_EUlS13_E_NS1_11comp_targetILNS1_3genE10ELNS1_11target_archE1201ELNS1_3gpuE5ELNS1_3repE0EEENS1_47radix_sort_onesweep_sort_config_static_selectorELNS0_4arch9wavefront6targetE1EEEvSK_ ; -- Begin function _ZN7rocprim17ROCPRIM_400000_NS6detail17trampoline_kernelINS0_14default_configENS1_35radix_sort_onesweep_config_selectorIyNS0_10empty_typeEEEZZNS1_29radix_sort_onesweep_iterationIS3_Lb0EN6thrust23THRUST_200600_302600_NS6detail15normal_iteratorINS9_10device_ptrIyEEEESE_PS5_SF_jNS0_19identity_decomposerENS1_16block_id_wrapperIjLb0EEEEE10hipError_tT1_PNSt15iterator_traitsISK_E10value_typeET2_T3_PNSL_ISQ_E10value_typeET4_T5_PSV_SW_PNS1_23onesweep_lookback_stateEbbT6_jjT7_P12ihipStream_tbENKUlT_T0_SK_SP_E_clISE_PySF_SF_EEDaS13_S14_SK_SP_EUlS13_E_NS1_11comp_targetILNS1_3genE10ELNS1_11target_archE1201ELNS1_3gpuE5ELNS1_3repE0EEENS1_47radix_sort_onesweep_sort_config_static_selectorELNS0_4arch9wavefront6targetE1EEEvSK_
	.globl	_ZN7rocprim17ROCPRIM_400000_NS6detail17trampoline_kernelINS0_14default_configENS1_35radix_sort_onesweep_config_selectorIyNS0_10empty_typeEEEZZNS1_29radix_sort_onesweep_iterationIS3_Lb0EN6thrust23THRUST_200600_302600_NS6detail15normal_iteratorINS9_10device_ptrIyEEEESE_PS5_SF_jNS0_19identity_decomposerENS1_16block_id_wrapperIjLb0EEEEE10hipError_tT1_PNSt15iterator_traitsISK_E10value_typeET2_T3_PNSL_ISQ_E10value_typeET4_T5_PSV_SW_PNS1_23onesweep_lookback_stateEbbT6_jjT7_P12ihipStream_tbENKUlT_T0_SK_SP_E_clISE_PySF_SF_EEDaS13_S14_SK_SP_EUlS13_E_NS1_11comp_targetILNS1_3genE10ELNS1_11target_archE1201ELNS1_3gpuE5ELNS1_3repE0EEENS1_47radix_sort_onesweep_sort_config_static_selectorELNS0_4arch9wavefront6targetE1EEEvSK_
	.p2align	8
	.type	_ZN7rocprim17ROCPRIM_400000_NS6detail17trampoline_kernelINS0_14default_configENS1_35radix_sort_onesweep_config_selectorIyNS0_10empty_typeEEEZZNS1_29radix_sort_onesweep_iterationIS3_Lb0EN6thrust23THRUST_200600_302600_NS6detail15normal_iteratorINS9_10device_ptrIyEEEESE_PS5_SF_jNS0_19identity_decomposerENS1_16block_id_wrapperIjLb0EEEEE10hipError_tT1_PNSt15iterator_traitsISK_E10value_typeET2_T3_PNSL_ISQ_E10value_typeET4_T5_PSV_SW_PNS1_23onesweep_lookback_stateEbbT6_jjT7_P12ihipStream_tbENKUlT_T0_SK_SP_E_clISE_PySF_SF_EEDaS13_S14_SK_SP_EUlS13_E_NS1_11comp_targetILNS1_3genE10ELNS1_11target_archE1201ELNS1_3gpuE5ELNS1_3repE0EEENS1_47radix_sort_onesweep_sort_config_static_selectorELNS0_4arch9wavefront6targetE1EEEvSK_,@function
_ZN7rocprim17ROCPRIM_400000_NS6detail17trampoline_kernelINS0_14default_configENS1_35radix_sort_onesweep_config_selectorIyNS0_10empty_typeEEEZZNS1_29radix_sort_onesweep_iterationIS3_Lb0EN6thrust23THRUST_200600_302600_NS6detail15normal_iteratorINS9_10device_ptrIyEEEESE_PS5_SF_jNS0_19identity_decomposerENS1_16block_id_wrapperIjLb0EEEEE10hipError_tT1_PNSt15iterator_traitsISK_E10value_typeET2_T3_PNSL_ISQ_E10value_typeET4_T5_PSV_SW_PNS1_23onesweep_lookback_stateEbbT6_jjT7_P12ihipStream_tbENKUlT_T0_SK_SP_E_clISE_PySF_SF_EEDaS13_S14_SK_SP_EUlS13_E_NS1_11comp_targetILNS1_3genE10ELNS1_11target_archE1201ELNS1_3gpuE5ELNS1_3repE0EEENS1_47radix_sort_onesweep_sort_config_static_selectorELNS0_4arch9wavefront6targetE1EEEvSK_: ; @_ZN7rocprim17ROCPRIM_400000_NS6detail17trampoline_kernelINS0_14default_configENS1_35radix_sort_onesweep_config_selectorIyNS0_10empty_typeEEEZZNS1_29radix_sort_onesweep_iterationIS3_Lb0EN6thrust23THRUST_200600_302600_NS6detail15normal_iteratorINS9_10device_ptrIyEEEESE_PS5_SF_jNS0_19identity_decomposerENS1_16block_id_wrapperIjLb0EEEEE10hipError_tT1_PNSt15iterator_traitsISK_E10value_typeET2_T3_PNSL_ISQ_E10value_typeET4_T5_PSV_SW_PNS1_23onesweep_lookback_stateEbbT6_jjT7_P12ihipStream_tbENKUlT_T0_SK_SP_E_clISE_PySF_SF_EEDaS13_S14_SK_SP_EUlS13_E_NS1_11comp_targetILNS1_3genE10ELNS1_11target_archE1201ELNS1_3gpuE5ELNS1_3repE0EEENS1_47radix_sort_onesweep_sort_config_static_selectorELNS0_4arch9wavefront6targetE1EEEvSK_
; %bb.0:
	.section	.rodata,"a",@progbits
	.p2align	6, 0x0
	.amdhsa_kernel _ZN7rocprim17ROCPRIM_400000_NS6detail17trampoline_kernelINS0_14default_configENS1_35radix_sort_onesweep_config_selectorIyNS0_10empty_typeEEEZZNS1_29radix_sort_onesweep_iterationIS3_Lb0EN6thrust23THRUST_200600_302600_NS6detail15normal_iteratorINS9_10device_ptrIyEEEESE_PS5_SF_jNS0_19identity_decomposerENS1_16block_id_wrapperIjLb0EEEEE10hipError_tT1_PNSt15iterator_traitsISK_E10value_typeET2_T3_PNSL_ISQ_E10value_typeET4_T5_PSV_SW_PNS1_23onesweep_lookback_stateEbbT6_jjT7_P12ihipStream_tbENKUlT_T0_SK_SP_E_clISE_PySF_SF_EEDaS13_S14_SK_SP_EUlS13_E_NS1_11comp_targetILNS1_3genE10ELNS1_11target_archE1201ELNS1_3gpuE5ELNS1_3repE0EEENS1_47radix_sort_onesweep_sort_config_static_selectorELNS0_4arch9wavefront6targetE1EEEvSK_
		.amdhsa_group_segment_fixed_size 0
		.amdhsa_private_segment_fixed_size 0
		.amdhsa_kernarg_size 88
		.amdhsa_user_sgpr_count 6
		.amdhsa_user_sgpr_private_segment_buffer 1
		.amdhsa_user_sgpr_dispatch_ptr 0
		.amdhsa_user_sgpr_queue_ptr 0
		.amdhsa_user_sgpr_kernarg_segment_ptr 1
		.amdhsa_user_sgpr_dispatch_id 0
		.amdhsa_user_sgpr_flat_scratch_init 0
		.amdhsa_user_sgpr_kernarg_preload_length 0
		.amdhsa_user_sgpr_kernarg_preload_offset 0
		.amdhsa_user_sgpr_private_segment_size 0
		.amdhsa_uses_dynamic_stack 0
		.amdhsa_system_sgpr_private_segment_wavefront_offset 0
		.amdhsa_system_sgpr_workgroup_id_x 1
		.amdhsa_system_sgpr_workgroup_id_y 0
		.amdhsa_system_sgpr_workgroup_id_z 0
		.amdhsa_system_sgpr_workgroup_info 0
		.amdhsa_system_vgpr_workitem_id 0
		.amdhsa_next_free_vgpr 1
		.amdhsa_next_free_sgpr 0
		.amdhsa_accum_offset 4
		.amdhsa_reserve_vcc 0
		.amdhsa_reserve_flat_scratch 0
		.amdhsa_float_round_mode_32 0
		.amdhsa_float_round_mode_16_64 0
		.amdhsa_float_denorm_mode_32 3
		.amdhsa_float_denorm_mode_16_64 3
		.amdhsa_dx10_clamp 1
		.amdhsa_ieee_mode 1
		.amdhsa_fp16_overflow 0
		.amdhsa_tg_split 0
		.amdhsa_exception_fp_ieee_invalid_op 0
		.amdhsa_exception_fp_denorm_src 0
		.amdhsa_exception_fp_ieee_div_zero 0
		.amdhsa_exception_fp_ieee_overflow 0
		.amdhsa_exception_fp_ieee_underflow 0
		.amdhsa_exception_fp_ieee_inexact 0
		.amdhsa_exception_int_div_zero 0
	.end_amdhsa_kernel
	.section	.text._ZN7rocprim17ROCPRIM_400000_NS6detail17trampoline_kernelINS0_14default_configENS1_35radix_sort_onesweep_config_selectorIyNS0_10empty_typeEEEZZNS1_29radix_sort_onesweep_iterationIS3_Lb0EN6thrust23THRUST_200600_302600_NS6detail15normal_iteratorINS9_10device_ptrIyEEEESE_PS5_SF_jNS0_19identity_decomposerENS1_16block_id_wrapperIjLb0EEEEE10hipError_tT1_PNSt15iterator_traitsISK_E10value_typeET2_T3_PNSL_ISQ_E10value_typeET4_T5_PSV_SW_PNS1_23onesweep_lookback_stateEbbT6_jjT7_P12ihipStream_tbENKUlT_T0_SK_SP_E_clISE_PySF_SF_EEDaS13_S14_SK_SP_EUlS13_E_NS1_11comp_targetILNS1_3genE10ELNS1_11target_archE1201ELNS1_3gpuE5ELNS1_3repE0EEENS1_47radix_sort_onesweep_sort_config_static_selectorELNS0_4arch9wavefront6targetE1EEEvSK_,"axG",@progbits,_ZN7rocprim17ROCPRIM_400000_NS6detail17trampoline_kernelINS0_14default_configENS1_35radix_sort_onesweep_config_selectorIyNS0_10empty_typeEEEZZNS1_29radix_sort_onesweep_iterationIS3_Lb0EN6thrust23THRUST_200600_302600_NS6detail15normal_iteratorINS9_10device_ptrIyEEEESE_PS5_SF_jNS0_19identity_decomposerENS1_16block_id_wrapperIjLb0EEEEE10hipError_tT1_PNSt15iterator_traitsISK_E10value_typeET2_T3_PNSL_ISQ_E10value_typeET4_T5_PSV_SW_PNS1_23onesweep_lookback_stateEbbT6_jjT7_P12ihipStream_tbENKUlT_T0_SK_SP_E_clISE_PySF_SF_EEDaS13_S14_SK_SP_EUlS13_E_NS1_11comp_targetILNS1_3genE10ELNS1_11target_archE1201ELNS1_3gpuE5ELNS1_3repE0EEENS1_47radix_sort_onesweep_sort_config_static_selectorELNS0_4arch9wavefront6targetE1EEEvSK_,comdat
.Lfunc_end906:
	.size	_ZN7rocprim17ROCPRIM_400000_NS6detail17trampoline_kernelINS0_14default_configENS1_35radix_sort_onesweep_config_selectorIyNS0_10empty_typeEEEZZNS1_29radix_sort_onesweep_iterationIS3_Lb0EN6thrust23THRUST_200600_302600_NS6detail15normal_iteratorINS9_10device_ptrIyEEEESE_PS5_SF_jNS0_19identity_decomposerENS1_16block_id_wrapperIjLb0EEEEE10hipError_tT1_PNSt15iterator_traitsISK_E10value_typeET2_T3_PNSL_ISQ_E10value_typeET4_T5_PSV_SW_PNS1_23onesweep_lookback_stateEbbT6_jjT7_P12ihipStream_tbENKUlT_T0_SK_SP_E_clISE_PySF_SF_EEDaS13_S14_SK_SP_EUlS13_E_NS1_11comp_targetILNS1_3genE10ELNS1_11target_archE1201ELNS1_3gpuE5ELNS1_3repE0EEENS1_47radix_sort_onesweep_sort_config_static_selectorELNS0_4arch9wavefront6targetE1EEEvSK_, .Lfunc_end906-_ZN7rocprim17ROCPRIM_400000_NS6detail17trampoline_kernelINS0_14default_configENS1_35radix_sort_onesweep_config_selectorIyNS0_10empty_typeEEEZZNS1_29radix_sort_onesweep_iterationIS3_Lb0EN6thrust23THRUST_200600_302600_NS6detail15normal_iteratorINS9_10device_ptrIyEEEESE_PS5_SF_jNS0_19identity_decomposerENS1_16block_id_wrapperIjLb0EEEEE10hipError_tT1_PNSt15iterator_traitsISK_E10value_typeET2_T3_PNSL_ISQ_E10value_typeET4_T5_PSV_SW_PNS1_23onesweep_lookback_stateEbbT6_jjT7_P12ihipStream_tbENKUlT_T0_SK_SP_E_clISE_PySF_SF_EEDaS13_S14_SK_SP_EUlS13_E_NS1_11comp_targetILNS1_3genE10ELNS1_11target_archE1201ELNS1_3gpuE5ELNS1_3repE0EEENS1_47radix_sort_onesweep_sort_config_static_selectorELNS0_4arch9wavefront6targetE1EEEvSK_
                                        ; -- End function
	.section	.AMDGPU.csdata,"",@progbits
; Kernel info:
; codeLenInByte = 0
; NumSgprs: 4
; NumVgprs: 0
; NumAgprs: 0
; TotalNumVgprs: 0
; ScratchSize: 0
; MemoryBound: 0
; FloatMode: 240
; IeeeMode: 1
; LDSByteSize: 0 bytes/workgroup (compile time only)
; SGPRBlocks: 0
; VGPRBlocks: 0
; NumSGPRsForWavesPerEU: 4
; NumVGPRsForWavesPerEU: 1
; AccumOffset: 4
; Occupancy: 8
; WaveLimiterHint : 0
; COMPUTE_PGM_RSRC2:SCRATCH_EN: 0
; COMPUTE_PGM_RSRC2:USER_SGPR: 6
; COMPUTE_PGM_RSRC2:TRAP_HANDLER: 0
; COMPUTE_PGM_RSRC2:TGID_X_EN: 1
; COMPUTE_PGM_RSRC2:TGID_Y_EN: 0
; COMPUTE_PGM_RSRC2:TGID_Z_EN: 0
; COMPUTE_PGM_RSRC2:TIDIG_COMP_CNT: 0
; COMPUTE_PGM_RSRC3_GFX90A:ACCUM_OFFSET: 0
; COMPUTE_PGM_RSRC3_GFX90A:TG_SPLIT: 0
	.section	.text._ZN7rocprim17ROCPRIM_400000_NS6detail17trampoline_kernelINS0_14default_configENS1_35radix_sort_onesweep_config_selectorIyNS0_10empty_typeEEEZZNS1_29radix_sort_onesweep_iterationIS3_Lb0EN6thrust23THRUST_200600_302600_NS6detail15normal_iteratorINS9_10device_ptrIyEEEESE_PS5_SF_jNS0_19identity_decomposerENS1_16block_id_wrapperIjLb0EEEEE10hipError_tT1_PNSt15iterator_traitsISK_E10value_typeET2_T3_PNSL_ISQ_E10value_typeET4_T5_PSV_SW_PNS1_23onesweep_lookback_stateEbbT6_jjT7_P12ihipStream_tbENKUlT_T0_SK_SP_E_clISE_PySF_SF_EEDaS13_S14_SK_SP_EUlS13_E_NS1_11comp_targetILNS1_3genE9ELNS1_11target_archE1100ELNS1_3gpuE3ELNS1_3repE0EEENS1_47radix_sort_onesweep_sort_config_static_selectorELNS0_4arch9wavefront6targetE1EEEvSK_,"axG",@progbits,_ZN7rocprim17ROCPRIM_400000_NS6detail17trampoline_kernelINS0_14default_configENS1_35radix_sort_onesweep_config_selectorIyNS0_10empty_typeEEEZZNS1_29radix_sort_onesweep_iterationIS3_Lb0EN6thrust23THRUST_200600_302600_NS6detail15normal_iteratorINS9_10device_ptrIyEEEESE_PS5_SF_jNS0_19identity_decomposerENS1_16block_id_wrapperIjLb0EEEEE10hipError_tT1_PNSt15iterator_traitsISK_E10value_typeET2_T3_PNSL_ISQ_E10value_typeET4_T5_PSV_SW_PNS1_23onesweep_lookback_stateEbbT6_jjT7_P12ihipStream_tbENKUlT_T0_SK_SP_E_clISE_PySF_SF_EEDaS13_S14_SK_SP_EUlS13_E_NS1_11comp_targetILNS1_3genE9ELNS1_11target_archE1100ELNS1_3gpuE3ELNS1_3repE0EEENS1_47radix_sort_onesweep_sort_config_static_selectorELNS0_4arch9wavefront6targetE1EEEvSK_,comdat
	.protected	_ZN7rocprim17ROCPRIM_400000_NS6detail17trampoline_kernelINS0_14default_configENS1_35radix_sort_onesweep_config_selectorIyNS0_10empty_typeEEEZZNS1_29radix_sort_onesweep_iterationIS3_Lb0EN6thrust23THRUST_200600_302600_NS6detail15normal_iteratorINS9_10device_ptrIyEEEESE_PS5_SF_jNS0_19identity_decomposerENS1_16block_id_wrapperIjLb0EEEEE10hipError_tT1_PNSt15iterator_traitsISK_E10value_typeET2_T3_PNSL_ISQ_E10value_typeET4_T5_PSV_SW_PNS1_23onesweep_lookback_stateEbbT6_jjT7_P12ihipStream_tbENKUlT_T0_SK_SP_E_clISE_PySF_SF_EEDaS13_S14_SK_SP_EUlS13_E_NS1_11comp_targetILNS1_3genE9ELNS1_11target_archE1100ELNS1_3gpuE3ELNS1_3repE0EEENS1_47radix_sort_onesweep_sort_config_static_selectorELNS0_4arch9wavefront6targetE1EEEvSK_ ; -- Begin function _ZN7rocprim17ROCPRIM_400000_NS6detail17trampoline_kernelINS0_14default_configENS1_35radix_sort_onesweep_config_selectorIyNS0_10empty_typeEEEZZNS1_29radix_sort_onesweep_iterationIS3_Lb0EN6thrust23THRUST_200600_302600_NS6detail15normal_iteratorINS9_10device_ptrIyEEEESE_PS5_SF_jNS0_19identity_decomposerENS1_16block_id_wrapperIjLb0EEEEE10hipError_tT1_PNSt15iterator_traitsISK_E10value_typeET2_T3_PNSL_ISQ_E10value_typeET4_T5_PSV_SW_PNS1_23onesweep_lookback_stateEbbT6_jjT7_P12ihipStream_tbENKUlT_T0_SK_SP_E_clISE_PySF_SF_EEDaS13_S14_SK_SP_EUlS13_E_NS1_11comp_targetILNS1_3genE9ELNS1_11target_archE1100ELNS1_3gpuE3ELNS1_3repE0EEENS1_47radix_sort_onesweep_sort_config_static_selectorELNS0_4arch9wavefront6targetE1EEEvSK_
	.globl	_ZN7rocprim17ROCPRIM_400000_NS6detail17trampoline_kernelINS0_14default_configENS1_35radix_sort_onesweep_config_selectorIyNS0_10empty_typeEEEZZNS1_29radix_sort_onesweep_iterationIS3_Lb0EN6thrust23THRUST_200600_302600_NS6detail15normal_iteratorINS9_10device_ptrIyEEEESE_PS5_SF_jNS0_19identity_decomposerENS1_16block_id_wrapperIjLb0EEEEE10hipError_tT1_PNSt15iterator_traitsISK_E10value_typeET2_T3_PNSL_ISQ_E10value_typeET4_T5_PSV_SW_PNS1_23onesweep_lookback_stateEbbT6_jjT7_P12ihipStream_tbENKUlT_T0_SK_SP_E_clISE_PySF_SF_EEDaS13_S14_SK_SP_EUlS13_E_NS1_11comp_targetILNS1_3genE9ELNS1_11target_archE1100ELNS1_3gpuE3ELNS1_3repE0EEENS1_47radix_sort_onesweep_sort_config_static_selectorELNS0_4arch9wavefront6targetE1EEEvSK_
	.p2align	8
	.type	_ZN7rocprim17ROCPRIM_400000_NS6detail17trampoline_kernelINS0_14default_configENS1_35radix_sort_onesweep_config_selectorIyNS0_10empty_typeEEEZZNS1_29radix_sort_onesweep_iterationIS3_Lb0EN6thrust23THRUST_200600_302600_NS6detail15normal_iteratorINS9_10device_ptrIyEEEESE_PS5_SF_jNS0_19identity_decomposerENS1_16block_id_wrapperIjLb0EEEEE10hipError_tT1_PNSt15iterator_traitsISK_E10value_typeET2_T3_PNSL_ISQ_E10value_typeET4_T5_PSV_SW_PNS1_23onesweep_lookback_stateEbbT6_jjT7_P12ihipStream_tbENKUlT_T0_SK_SP_E_clISE_PySF_SF_EEDaS13_S14_SK_SP_EUlS13_E_NS1_11comp_targetILNS1_3genE9ELNS1_11target_archE1100ELNS1_3gpuE3ELNS1_3repE0EEENS1_47radix_sort_onesweep_sort_config_static_selectorELNS0_4arch9wavefront6targetE1EEEvSK_,@function
_ZN7rocprim17ROCPRIM_400000_NS6detail17trampoline_kernelINS0_14default_configENS1_35radix_sort_onesweep_config_selectorIyNS0_10empty_typeEEEZZNS1_29radix_sort_onesweep_iterationIS3_Lb0EN6thrust23THRUST_200600_302600_NS6detail15normal_iteratorINS9_10device_ptrIyEEEESE_PS5_SF_jNS0_19identity_decomposerENS1_16block_id_wrapperIjLb0EEEEE10hipError_tT1_PNSt15iterator_traitsISK_E10value_typeET2_T3_PNSL_ISQ_E10value_typeET4_T5_PSV_SW_PNS1_23onesweep_lookback_stateEbbT6_jjT7_P12ihipStream_tbENKUlT_T0_SK_SP_E_clISE_PySF_SF_EEDaS13_S14_SK_SP_EUlS13_E_NS1_11comp_targetILNS1_3genE9ELNS1_11target_archE1100ELNS1_3gpuE3ELNS1_3repE0EEENS1_47radix_sort_onesweep_sort_config_static_selectorELNS0_4arch9wavefront6targetE1EEEvSK_: ; @_ZN7rocprim17ROCPRIM_400000_NS6detail17trampoline_kernelINS0_14default_configENS1_35radix_sort_onesweep_config_selectorIyNS0_10empty_typeEEEZZNS1_29radix_sort_onesweep_iterationIS3_Lb0EN6thrust23THRUST_200600_302600_NS6detail15normal_iteratorINS9_10device_ptrIyEEEESE_PS5_SF_jNS0_19identity_decomposerENS1_16block_id_wrapperIjLb0EEEEE10hipError_tT1_PNSt15iterator_traitsISK_E10value_typeET2_T3_PNSL_ISQ_E10value_typeET4_T5_PSV_SW_PNS1_23onesweep_lookback_stateEbbT6_jjT7_P12ihipStream_tbENKUlT_T0_SK_SP_E_clISE_PySF_SF_EEDaS13_S14_SK_SP_EUlS13_E_NS1_11comp_targetILNS1_3genE9ELNS1_11target_archE1100ELNS1_3gpuE3ELNS1_3repE0EEENS1_47radix_sort_onesweep_sort_config_static_selectorELNS0_4arch9wavefront6targetE1EEEvSK_
; %bb.0:
	.section	.rodata,"a",@progbits
	.p2align	6, 0x0
	.amdhsa_kernel _ZN7rocprim17ROCPRIM_400000_NS6detail17trampoline_kernelINS0_14default_configENS1_35radix_sort_onesweep_config_selectorIyNS0_10empty_typeEEEZZNS1_29radix_sort_onesweep_iterationIS3_Lb0EN6thrust23THRUST_200600_302600_NS6detail15normal_iteratorINS9_10device_ptrIyEEEESE_PS5_SF_jNS0_19identity_decomposerENS1_16block_id_wrapperIjLb0EEEEE10hipError_tT1_PNSt15iterator_traitsISK_E10value_typeET2_T3_PNSL_ISQ_E10value_typeET4_T5_PSV_SW_PNS1_23onesweep_lookback_stateEbbT6_jjT7_P12ihipStream_tbENKUlT_T0_SK_SP_E_clISE_PySF_SF_EEDaS13_S14_SK_SP_EUlS13_E_NS1_11comp_targetILNS1_3genE9ELNS1_11target_archE1100ELNS1_3gpuE3ELNS1_3repE0EEENS1_47radix_sort_onesweep_sort_config_static_selectorELNS0_4arch9wavefront6targetE1EEEvSK_
		.amdhsa_group_segment_fixed_size 0
		.amdhsa_private_segment_fixed_size 0
		.amdhsa_kernarg_size 88
		.amdhsa_user_sgpr_count 6
		.amdhsa_user_sgpr_private_segment_buffer 1
		.amdhsa_user_sgpr_dispatch_ptr 0
		.amdhsa_user_sgpr_queue_ptr 0
		.amdhsa_user_sgpr_kernarg_segment_ptr 1
		.amdhsa_user_sgpr_dispatch_id 0
		.amdhsa_user_sgpr_flat_scratch_init 0
		.amdhsa_user_sgpr_kernarg_preload_length 0
		.amdhsa_user_sgpr_kernarg_preload_offset 0
		.amdhsa_user_sgpr_private_segment_size 0
		.amdhsa_uses_dynamic_stack 0
		.amdhsa_system_sgpr_private_segment_wavefront_offset 0
		.amdhsa_system_sgpr_workgroup_id_x 1
		.amdhsa_system_sgpr_workgroup_id_y 0
		.amdhsa_system_sgpr_workgroup_id_z 0
		.amdhsa_system_sgpr_workgroup_info 0
		.amdhsa_system_vgpr_workitem_id 0
		.amdhsa_next_free_vgpr 1
		.amdhsa_next_free_sgpr 0
		.amdhsa_accum_offset 4
		.amdhsa_reserve_vcc 0
		.amdhsa_reserve_flat_scratch 0
		.amdhsa_float_round_mode_32 0
		.amdhsa_float_round_mode_16_64 0
		.amdhsa_float_denorm_mode_32 3
		.amdhsa_float_denorm_mode_16_64 3
		.amdhsa_dx10_clamp 1
		.amdhsa_ieee_mode 1
		.amdhsa_fp16_overflow 0
		.amdhsa_tg_split 0
		.amdhsa_exception_fp_ieee_invalid_op 0
		.amdhsa_exception_fp_denorm_src 0
		.amdhsa_exception_fp_ieee_div_zero 0
		.amdhsa_exception_fp_ieee_overflow 0
		.amdhsa_exception_fp_ieee_underflow 0
		.amdhsa_exception_fp_ieee_inexact 0
		.amdhsa_exception_int_div_zero 0
	.end_amdhsa_kernel
	.section	.text._ZN7rocprim17ROCPRIM_400000_NS6detail17trampoline_kernelINS0_14default_configENS1_35radix_sort_onesweep_config_selectorIyNS0_10empty_typeEEEZZNS1_29radix_sort_onesweep_iterationIS3_Lb0EN6thrust23THRUST_200600_302600_NS6detail15normal_iteratorINS9_10device_ptrIyEEEESE_PS5_SF_jNS0_19identity_decomposerENS1_16block_id_wrapperIjLb0EEEEE10hipError_tT1_PNSt15iterator_traitsISK_E10value_typeET2_T3_PNSL_ISQ_E10value_typeET4_T5_PSV_SW_PNS1_23onesweep_lookback_stateEbbT6_jjT7_P12ihipStream_tbENKUlT_T0_SK_SP_E_clISE_PySF_SF_EEDaS13_S14_SK_SP_EUlS13_E_NS1_11comp_targetILNS1_3genE9ELNS1_11target_archE1100ELNS1_3gpuE3ELNS1_3repE0EEENS1_47radix_sort_onesweep_sort_config_static_selectorELNS0_4arch9wavefront6targetE1EEEvSK_,"axG",@progbits,_ZN7rocprim17ROCPRIM_400000_NS6detail17trampoline_kernelINS0_14default_configENS1_35radix_sort_onesweep_config_selectorIyNS0_10empty_typeEEEZZNS1_29radix_sort_onesweep_iterationIS3_Lb0EN6thrust23THRUST_200600_302600_NS6detail15normal_iteratorINS9_10device_ptrIyEEEESE_PS5_SF_jNS0_19identity_decomposerENS1_16block_id_wrapperIjLb0EEEEE10hipError_tT1_PNSt15iterator_traitsISK_E10value_typeET2_T3_PNSL_ISQ_E10value_typeET4_T5_PSV_SW_PNS1_23onesweep_lookback_stateEbbT6_jjT7_P12ihipStream_tbENKUlT_T0_SK_SP_E_clISE_PySF_SF_EEDaS13_S14_SK_SP_EUlS13_E_NS1_11comp_targetILNS1_3genE9ELNS1_11target_archE1100ELNS1_3gpuE3ELNS1_3repE0EEENS1_47radix_sort_onesweep_sort_config_static_selectorELNS0_4arch9wavefront6targetE1EEEvSK_,comdat
.Lfunc_end907:
	.size	_ZN7rocprim17ROCPRIM_400000_NS6detail17trampoline_kernelINS0_14default_configENS1_35radix_sort_onesweep_config_selectorIyNS0_10empty_typeEEEZZNS1_29radix_sort_onesweep_iterationIS3_Lb0EN6thrust23THRUST_200600_302600_NS6detail15normal_iteratorINS9_10device_ptrIyEEEESE_PS5_SF_jNS0_19identity_decomposerENS1_16block_id_wrapperIjLb0EEEEE10hipError_tT1_PNSt15iterator_traitsISK_E10value_typeET2_T3_PNSL_ISQ_E10value_typeET4_T5_PSV_SW_PNS1_23onesweep_lookback_stateEbbT6_jjT7_P12ihipStream_tbENKUlT_T0_SK_SP_E_clISE_PySF_SF_EEDaS13_S14_SK_SP_EUlS13_E_NS1_11comp_targetILNS1_3genE9ELNS1_11target_archE1100ELNS1_3gpuE3ELNS1_3repE0EEENS1_47radix_sort_onesweep_sort_config_static_selectorELNS0_4arch9wavefront6targetE1EEEvSK_, .Lfunc_end907-_ZN7rocprim17ROCPRIM_400000_NS6detail17trampoline_kernelINS0_14default_configENS1_35radix_sort_onesweep_config_selectorIyNS0_10empty_typeEEEZZNS1_29radix_sort_onesweep_iterationIS3_Lb0EN6thrust23THRUST_200600_302600_NS6detail15normal_iteratorINS9_10device_ptrIyEEEESE_PS5_SF_jNS0_19identity_decomposerENS1_16block_id_wrapperIjLb0EEEEE10hipError_tT1_PNSt15iterator_traitsISK_E10value_typeET2_T3_PNSL_ISQ_E10value_typeET4_T5_PSV_SW_PNS1_23onesweep_lookback_stateEbbT6_jjT7_P12ihipStream_tbENKUlT_T0_SK_SP_E_clISE_PySF_SF_EEDaS13_S14_SK_SP_EUlS13_E_NS1_11comp_targetILNS1_3genE9ELNS1_11target_archE1100ELNS1_3gpuE3ELNS1_3repE0EEENS1_47radix_sort_onesweep_sort_config_static_selectorELNS0_4arch9wavefront6targetE1EEEvSK_
                                        ; -- End function
	.section	.AMDGPU.csdata,"",@progbits
; Kernel info:
; codeLenInByte = 0
; NumSgprs: 4
; NumVgprs: 0
; NumAgprs: 0
; TotalNumVgprs: 0
; ScratchSize: 0
; MemoryBound: 0
; FloatMode: 240
; IeeeMode: 1
; LDSByteSize: 0 bytes/workgroup (compile time only)
; SGPRBlocks: 0
; VGPRBlocks: 0
; NumSGPRsForWavesPerEU: 4
; NumVGPRsForWavesPerEU: 1
; AccumOffset: 4
; Occupancy: 8
; WaveLimiterHint : 0
; COMPUTE_PGM_RSRC2:SCRATCH_EN: 0
; COMPUTE_PGM_RSRC2:USER_SGPR: 6
; COMPUTE_PGM_RSRC2:TRAP_HANDLER: 0
; COMPUTE_PGM_RSRC2:TGID_X_EN: 1
; COMPUTE_PGM_RSRC2:TGID_Y_EN: 0
; COMPUTE_PGM_RSRC2:TGID_Z_EN: 0
; COMPUTE_PGM_RSRC2:TIDIG_COMP_CNT: 0
; COMPUTE_PGM_RSRC3_GFX90A:ACCUM_OFFSET: 0
; COMPUTE_PGM_RSRC3_GFX90A:TG_SPLIT: 0
	.section	.text._ZN7rocprim17ROCPRIM_400000_NS6detail17trampoline_kernelINS0_14default_configENS1_35radix_sort_onesweep_config_selectorIyNS0_10empty_typeEEEZZNS1_29radix_sort_onesweep_iterationIS3_Lb0EN6thrust23THRUST_200600_302600_NS6detail15normal_iteratorINS9_10device_ptrIyEEEESE_PS5_SF_jNS0_19identity_decomposerENS1_16block_id_wrapperIjLb0EEEEE10hipError_tT1_PNSt15iterator_traitsISK_E10value_typeET2_T3_PNSL_ISQ_E10value_typeET4_T5_PSV_SW_PNS1_23onesweep_lookback_stateEbbT6_jjT7_P12ihipStream_tbENKUlT_T0_SK_SP_E_clISE_PySF_SF_EEDaS13_S14_SK_SP_EUlS13_E_NS1_11comp_targetILNS1_3genE8ELNS1_11target_archE1030ELNS1_3gpuE2ELNS1_3repE0EEENS1_47radix_sort_onesweep_sort_config_static_selectorELNS0_4arch9wavefront6targetE1EEEvSK_,"axG",@progbits,_ZN7rocprim17ROCPRIM_400000_NS6detail17trampoline_kernelINS0_14default_configENS1_35radix_sort_onesweep_config_selectorIyNS0_10empty_typeEEEZZNS1_29radix_sort_onesweep_iterationIS3_Lb0EN6thrust23THRUST_200600_302600_NS6detail15normal_iteratorINS9_10device_ptrIyEEEESE_PS5_SF_jNS0_19identity_decomposerENS1_16block_id_wrapperIjLb0EEEEE10hipError_tT1_PNSt15iterator_traitsISK_E10value_typeET2_T3_PNSL_ISQ_E10value_typeET4_T5_PSV_SW_PNS1_23onesweep_lookback_stateEbbT6_jjT7_P12ihipStream_tbENKUlT_T0_SK_SP_E_clISE_PySF_SF_EEDaS13_S14_SK_SP_EUlS13_E_NS1_11comp_targetILNS1_3genE8ELNS1_11target_archE1030ELNS1_3gpuE2ELNS1_3repE0EEENS1_47radix_sort_onesweep_sort_config_static_selectorELNS0_4arch9wavefront6targetE1EEEvSK_,comdat
	.protected	_ZN7rocprim17ROCPRIM_400000_NS6detail17trampoline_kernelINS0_14default_configENS1_35radix_sort_onesweep_config_selectorIyNS0_10empty_typeEEEZZNS1_29radix_sort_onesweep_iterationIS3_Lb0EN6thrust23THRUST_200600_302600_NS6detail15normal_iteratorINS9_10device_ptrIyEEEESE_PS5_SF_jNS0_19identity_decomposerENS1_16block_id_wrapperIjLb0EEEEE10hipError_tT1_PNSt15iterator_traitsISK_E10value_typeET2_T3_PNSL_ISQ_E10value_typeET4_T5_PSV_SW_PNS1_23onesweep_lookback_stateEbbT6_jjT7_P12ihipStream_tbENKUlT_T0_SK_SP_E_clISE_PySF_SF_EEDaS13_S14_SK_SP_EUlS13_E_NS1_11comp_targetILNS1_3genE8ELNS1_11target_archE1030ELNS1_3gpuE2ELNS1_3repE0EEENS1_47radix_sort_onesweep_sort_config_static_selectorELNS0_4arch9wavefront6targetE1EEEvSK_ ; -- Begin function _ZN7rocprim17ROCPRIM_400000_NS6detail17trampoline_kernelINS0_14default_configENS1_35radix_sort_onesweep_config_selectorIyNS0_10empty_typeEEEZZNS1_29radix_sort_onesweep_iterationIS3_Lb0EN6thrust23THRUST_200600_302600_NS6detail15normal_iteratorINS9_10device_ptrIyEEEESE_PS5_SF_jNS0_19identity_decomposerENS1_16block_id_wrapperIjLb0EEEEE10hipError_tT1_PNSt15iterator_traitsISK_E10value_typeET2_T3_PNSL_ISQ_E10value_typeET4_T5_PSV_SW_PNS1_23onesweep_lookback_stateEbbT6_jjT7_P12ihipStream_tbENKUlT_T0_SK_SP_E_clISE_PySF_SF_EEDaS13_S14_SK_SP_EUlS13_E_NS1_11comp_targetILNS1_3genE8ELNS1_11target_archE1030ELNS1_3gpuE2ELNS1_3repE0EEENS1_47radix_sort_onesweep_sort_config_static_selectorELNS0_4arch9wavefront6targetE1EEEvSK_
	.globl	_ZN7rocprim17ROCPRIM_400000_NS6detail17trampoline_kernelINS0_14default_configENS1_35radix_sort_onesweep_config_selectorIyNS0_10empty_typeEEEZZNS1_29radix_sort_onesweep_iterationIS3_Lb0EN6thrust23THRUST_200600_302600_NS6detail15normal_iteratorINS9_10device_ptrIyEEEESE_PS5_SF_jNS0_19identity_decomposerENS1_16block_id_wrapperIjLb0EEEEE10hipError_tT1_PNSt15iterator_traitsISK_E10value_typeET2_T3_PNSL_ISQ_E10value_typeET4_T5_PSV_SW_PNS1_23onesweep_lookback_stateEbbT6_jjT7_P12ihipStream_tbENKUlT_T0_SK_SP_E_clISE_PySF_SF_EEDaS13_S14_SK_SP_EUlS13_E_NS1_11comp_targetILNS1_3genE8ELNS1_11target_archE1030ELNS1_3gpuE2ELNS1_3repE0EEENS1_47radix_sort_onesweep_sort_config_static_selectorELNS0_4arch9wavefront6targetE1EEEvSK_
	.p2align	8
	.type	_ZN7rocprim17ROCPRIM_400000_NS6detail17trampoline_kernelINS0_14default_configENS1_35radix_sort_onesweep_config_selectorIyNS0_10empty_typeEEEZZNS1_29radix_sort_onesweep_iterationIS3_Lb0EN6thrust23THRUST_200600_302600_NS6detail15normal_iteratorINS9_10device_ptrIyEEEESE_PS5_SF_jNS0_19identity_decomposerENS1_16block_id_wrapperIjLb0EEEEE10hipError_tT1_PNSt15iterator_traitsISK_E10value_typeET2_T3_PNSL_ISQ_E10value_typeET4_T5_PSV_SW_PNS1_23onesweep_lookback_stateEbbT6_jjT7_P12ihipStream_tbENKUlT_T0_SK_SP_E_clISE_PySF_SF_EEDaS13_S14_SK_SP_EUlS13_E_NS1_11comp_targetILNS1_3genE8ELNS1_11target_archE1030ELNS1_3gpuE2ELNS1_3repE0EEENS1_47radix_sort_onesweep_sort_config_static_selectorELNS0_4arch9wavefront6targetE1EEEvSK_,@function
_ZN7rocprim17ROCPRIM_400000_NS6detail17trampoline_kernelINS0_14default_configENS1_35radix_sort_onesweep_config_selectorIyNS0_10empty_typeEEEZZNS1_29radix_sort_onesweep_iterationIS3_Lb0EN6thrust23THRUST_200600_302600_NS6detail15normal_iteratorINS9_10device_ptrIyEEEESE_PS5_SF_jNS0_19identity_decomposerENS1_16block_id_wrapperIjLb0EEEEE10hipError_tT1_PNSt15iterator_traitsISK_E10value_typeET2_T3_PNSL_ISQ_E10value_typeET4_T5_PSV_SW_PNS1_23onesweep_lookback_stateEbbT6_jjT7_P12ihipStream_tbENKUlT_T0_SK_SP_E_clISE_PySF_SF_EEDaS13_S14_SK_SP_EUlS13_E_NS1_11comp_targetILNS1_3genE8ELNS1_11target_archE1030ELNS1_3gpuE2ELNS1_3repE0EEENS1_47radix_sort_onesweep_sort_config_static_selectorELNS0_4arch9wavefront6targetE1EEEvSK_: ; @_ZN7rocprim17ROCPRIM_400000_NS6detail17trampoline_kernelINS0_14default_configENS1_35radix_sort_onesweep_config_selectorIyNS0_10empty_typeEEEZZNS1_29radix_sort_onesweep_iterationIS3_Lb0EN6thrust23THRUST_200600_302600_NS6detail15normal_iteratorINS9_10device_ptrIyEEEESE_PS5_SF_jNS0_19identity_decomposerENS1_16block_id_wrapperIjLb0EEEEE10hipError_tT1_PNSt15iterator_traitsISK_E10value_typeET2_T3_PNSL_ISQ_E10value_typeET4_T5_PSV_SW_PNS1_23onesweep_lookback_stateEbbT6_jjT7_P12ihipStream_tbENKUlT_T0_SK_SP_E_clISE_PySF_SF_EEDaS13_S14_SK_SP_EUlS13_E_NS1_11comp_targetILNS1_3genE8ELNS1_11target_archE1030ELNS1_3gpuE2ELNS1_3repE0EEENS1_47radix_sort_onesweep_sort_config_static_selectorELNS0_4arch9wavefront6targetE1EEEvSK_
; %bb.0:
	.section	.rodata,"a",@progbits
	.p2align	6, 0x0
	.amdhsa_kernel _ZN7rocprim17ROCPRIM_400000_NS6detail17trampoline_kernelINS0_14default_configENS1_35radix_sort_onesweep_config_selectorIyNS0_10empty_typeEEEZZNS1_29radix_sort_onesweep_iterationIS3_Lb0EN6thrust23THRUST_200600_302600_NS6detail15normal_iteratorINS9_10device_ptrIyEEEESE_PS5_SF_jNS0_19identity_decomposerENS1_16block_id_wrapperIjLb0EEEEE10hipError_tT1_PNSt15iterator_traitsISK_E10value_typeET2_T3_PNSL_ISQ_E10value_typeET4_T5_PSV_SW_PNS1_23onesweep_lookback_stateEbbT6_jjT7_P12ihipStream_tbENKUlT_T0_SK_SP_E_clISE_PySF_SF_EEDaS13_S14_SK_SP_EUlS13_E_NS1_11comp_targetILNS1_3genE8ELNS1_11target_archE1030ELNS1_3gpuE2ELNS1_3repE0EEENS1_47radix_sort_onesweep_sort_config_static_selectorELNS0_4arch9wavefront6targetE1EEEvSK_
		.amdhsa_group_segment_fixed_size 0
		.amdhsa_private_segment_fixed_size 0
		.amdhsa_kernarg_size 88
		.amdhsa_user_sgpr_count 6
		.amdhsa_user_sgpr_private_segment_buffer 1
		.amdhsa_user_sgpr_dispatch_ptr 0
		.amdhsa_user_sgpr_queue_ptr 0
		.amdhsa_user_sgpr_kernarg_segment_ptr 1
		.amdhsa_user_sgpr_dispatch_id 0
		.amdhsa_user_sgpr_flat_scratch_init 0
		.amdhsa_user_sgpr_kernarg_preload_length 0
		.amdhsa_user_sgpr_kernarg_preload_offset 0
		.amdhsa_user_sgpr_private_segment_size 0
		.amdhsa_uses_dynamic_stack 0
		.amdhsa_system_sgpr_private_segment_wavefront_offset 0
		.amdhsa_system_sgpr_workgroup_id_x 1
		.amdhsa_system_sgpr_workgroup_id_y 0
		.amdhsa_system_sgpr_workgroup_id_z 0
		.amdhsa_system_sgpr_workgroup_info 0
		.amdhsa_system_vgpr_workitem_id 0
		.amdhsa_next_free_vgpr 1
		.amdhsa_next_free_sgpr 0
		.amdhsa_accum_offset 4
		.amdhsa_reserve_vcc 0
		.amdhsa_reserve_flat_scratch 0
		.amdhsa_float_round_mode_32 0
		.amdhsa_float_round_mode_16_64 0
		.amdhsa_float_denorm_mode_32 3
		.amdhsa_float_denorm_mode_16_64 3
		.amdhsa_dx10_clamp 1
		.amdhsa_ieee_mode 1
		.amdhsa_fp16_overflow 0
		.amdhsa_tg_split 0
		.amdhsa_exception_fp_ieee_invalid_op 0
		.amdhsa_exception_fp_denorm_src 0
		.amdhsa_exception_fp_ieee_div_zero 0
		.amdhsa_exception_fp_ieee_overflow 0
		.amdhsa_exception_fp_ieee_underflow 0
		.amdhsa_exception_fp_ieee_inexact 0
		.amdhsa_exception_int_div_zero 0
	.end_amdhsa_kernel
	.section	.text._ZN7rocprim17ROCPRIM_400000_NS6detail17trampoline_kernelINS0_14default_configENS1_35radix_sort_onesweep_config_selectorIyNS0_10empty_typeEEEZZNS1_29radix_sort_onesweep_iterationIS3_Lb0EN6thrust23THRUST_200600_302600_NS6detail15normal_iteratorINS9_10device_ptrIyEEEESE_PS5_SF_jNS0_19identity_decomposerENS1_16block_id_wrapperIjLb0EEEEE10hipError_tT1_PNSt15iterator_traitsISK_E10value_typeET2_T3_PNSL_ISQ_E10value_typeET4_T5_PSV_SW_PNS1_23onesweep_lookback_stateEbbT6_jjT7_P12ihipStream_tbENKUlT_T0_SK_SP_E_clISE_PySF_SF_EEDaS13_S14_SK_SP_EUlS13_E_NS1_11comp_targetILNS1_3genE8ELNS1_11target_archE1030ELNS1_3gpuE2ELNS1_3repE0EEENS1_47radix_sort_onesweep_sort_config_static_selectorELNS0_4arch9wavefront6targetE1EEEvSK_,"axG",@progbits,_ZN7rocprim17ROCPRIM_400000_NS6detail17trampoline_kernelINS0_14default_configENS1_35radix_sort_onesweep_config_selectorIyNS0_10empty_typeEEEZZNS1_29radix_sort_onesweep_iterationIS3_Lb0EN6thrust23THRUST_200600_302600_NS6detail15normal_iteratorINS9_10device_ptrIyEEEESE_PS5_SF_jNS0_19identity_decomposerENS1_16block_id_wrapperIjLb0EEEEE10hipError_tT1_PNSt15iterator_traitsISK_E10value_typeET2_T3_PNSL_ISQ_E10value_typeET4_T5_PSV_SW_PNS1_23onesweep_lookback_stateEbbT6_jjT7_P12ihipStream_tbENKUlT_T0_SK_SP_E_clISE_PySF_SF_EEDaS13_S14_SK_SP_EUlS13_E_NS1_11comp_targetILNS1_3genE8ELNS1_11target_archE1030ELNS1_3gpuE2ELNS1_3repE0EEENS1_47radix_sort_onesweep_sort_config_static_selectorELNS0_4arch9wavefront6targetE1EEEvSK_,comdat
.Lfunc_end908:
	.size	_ZN7rocprim17ROCPRIM_400000_NS6detail17trampoline_kernelINS0_14default_configENS1_35radix_sort_onesweep_config_selectorIyNS0_10empty_typeEEEZZNS1_29radix_sort_onesweep_iterationIS3_Lb0EN6thrust23THRUST_200600_302600_NS6detail15normal_iteratorINS9_10device_ptrIyEEEESE_PS5_SF_jNS0_19identity_decomposerENS1_16block_id_wrapperIjLb0EEEEE10hipError_tT1_PNSt15iterator_traitsISK_E10value_typeET2_T3_PNSL_ISQ_E10value_typeET4_T5_PSV_SW_PNS1_23onesweep_lookback_stateEbbT6_jjT7_P12ihipStream_tbENKUlT_T0_SK_SP_E_clISE_PySF_SF_EEDaS13_S14_SK_SP_EUlS13_E_NS1_11comp_targetILNS1_3genE8ELNS1_11target_archE1030ELNS1_3gpuE2ELNS1_3repE0EEENS1_47radix_sort_onesweep_sort_config_static_selectorELNS0_4arch9wavefront6targetE1EEEvSK_, .Lfunc_end908-_ZN7rocprim17ROCPRIM_400000_NS6detail17trampoline_kernelINS0_14default_configENS1_35radix_sort_onesweep_config_selectorIyNS0_10empty_typeEEEZZNS1_29radix_sort_onesweep_iterationIS3_Lb0EN6thrust23THRUST_200600_302600_NS6detail15normal_iteratorINS9_10device_ptrIyEEEESE_PS5_SF_jNS0_19identity_decomposerENS1_16block_id_wrapperIjLb0EEEEE10hipError_tT1_PNSt15iterator_traitsISK_E10value_typeET2_T3_PNSL_ISQ_E10value_typeET4_T5_PSV_SW_PNS1_23onesweep_lookback_stateEbbT6_jjT7_P12ihipStream_tbENKUlT_T0_SK_SP_E_clISE_PySF_SF_EEDaS13_S14_SK_SP_EUlS13_E_NS1_11comp_targetILNS1_3genE8ELNS1_11target_archE1030ELNS1_3gpuE2ELNS1_3repE0EEENS1_47radix_sort_onesweep_sort_config_static_selectorELNS0_4arch9wavefront6targetE1EEEvSK_
                                        ; -- End function
	.section	.AMDGPU.csdata,"",@progbits
; Kernel info:
; codeLenInByte = 0
; NumSgprs: 4
; NumVgprs: 0
; NumAgprs: 0
; TotalNumVgprs: 0
; ScratchSize: 0
; MemoryBound: 0
; FloatMode: 240
; IeeeMode: 1
; LDSByteSize: 0 bytes/workgroup (compile time only)
; SGPRBlocks: 0
; VGPRBlocks: 0
; NumSGPRsForWavesPerEU: 4
; NumVGPRsForWavesPerEU: 1
; AccumOffset: 4
; Occupancy: 8
; WaveLimiterHint : 0
; COMPUTE_PGM_RSRC2:SCRATCH_EN: 0
; COMPUTE_PGM_RSRC2:USER_SGPR: 6
; COMPUTE_PGM_RSRC2:TRAP_HANDLER: 0
; COMPUTE_PGM_RSRC2:TGID_X_EN: 1
; COMPUTE_PGM_RSRC2:TGID_Y_EN: 0
; COMPUTE_PGM_RSRC2:TGID_Z_EN: 0
; COMPUTE_PGM_RSRC2:TIDIG_COMP_CNT: 0
; COMPUTE_PGM_RSRC3_GFX90A:ACCUM_OFFSET: 0
; COMPUTE_PGM_RSRC3_GFX90A:TG_SPLIT: 0
	.section	.text._ZN7rocprim17ROCPRIM_400000_NS6detail17trampoline_kernelINS0_14default_configENS1_35radix_sort_onesweep_config_selectorIyNS0_10empty_typeEEEZZNS1_29radix_sort_onesweep_iterationIS3_Lb0EN6thrust23THRUST_200600_302600_NS6detail15normal_iteratorINS9_10device_ptrIyEEEESE_PS5_SF_jNS0_19identity_decomposerENS1_16block_id_wrapperIjLb0EEEEE10hipError_tT1_PNSt15iterator_traitsISK_E10value_typeET2_T3_PNSL_ISQ_E10value_typeET4_T5_PSV_SW_PNS1_23onesweep_lookback_stateEbbT6_jjT7_P12ihipStream_tbENKUlT_T0_SK_SP_E_clIPySE_SF_SF_EEDaS13_S14_SK_SP_EUlS13_E_NS1_11comp_targetILNS1_3genE0ELNS1_11target_archE4294967295ELNS1_3gpuE0ELNS1_3repE0EEENS1_47radix_sort_onesweep_sort_config_static_selectorELNS0_4arch9wavefront6targetE1EEEvSK_,"axG",@progbits,_ZN7rocprim17ROCPRIM_400000_NS6detail17trampoline_kernelINS0_14default_configENS1_35radix_sort_onesweep_config_selectorIyNS0_10empty_typeEEEZZNS1_29radix_sort_onesweep_iterationIS3_Lb0EN6thrust23THRUST_200600_302600_NS6detail15normal_iteratorINS9_10device_ptrIyEEEESE_PS5_SF_jNS0_19identity_decomposerENS1_16block_id_wrapperIjLb0EEEEE10hipError_tT1_PNSt15iterator_traitsISK_E10value_typeET2_T3_PNSL_ISQ_E10value_typeET4_T5_PSV_SW_PNS1_23onesweep_lookback_stateEbbT6_jjT7_P12ihipStream_tbENKUlT_T0_SK_SP_E_clIPySE_SF_SF_EEDaS13_S14_SK_SP_EUlS13_E_NS1_11comp_targetILNS1_3genE0ELNS1_11target_archE4294967295ELNS1_3gpuE0ELNS1_3repE0EEENS1_47radix_sort_onesweep_sort_config_static_selectorELNS0_4arch9wavefront6targetE1EEEvSK_,comdat
	.protected	_ZN7rocprim17ROCPRIM_400000_NS6detail17trampoline_kernelINS0_14default_configENS1_35radix_sort_onesweep_config_selectorIyNS0_10empty_typeEEEZZNS1_29radix_sort_onesweep_iterationIS3_Lb0EN6thrust23THRUST_200600_302600_NS6detail15normal_iteratorINS9_10device_ptrIyEEEESE_PS5_SF_jNS0_19identity_decomposerENS1_16block_id_wrapperIjLb0EEEEE10hipError_tT1_PNSt15iterator_traitsISK_E10value_typeET2_T3_PNSL_ISQ_E10value_typeET4_T5_PSV_SW_PNS1_23onesweep_lookback_stateEbbT6_jjT7_P12ihipStream_tbENKUlT_T0_SK_SP_E_clIPySE_SF_SF_EEDaS13_S14_SK_SP_EUlS13_E_NS1_11comp_targetILNS1_3genE0ELNS1_11target_archE4294967295ELNS1_3gpuE0ELNS1_3repE0EEENS1_47radix_sort_onesweep_sort_config_static_selectorELNS0_4arch9wavefront6targetE1EEEvSK_ ; -- Begin function _ZN7rocprim17ROCPRIM_400000_NS6detail17trampoline_kernelINS0_14default_configENS1_35radix_sort_onesweep_config_selectorIyNS0_10empty_typeEEEZZNS1_29radix_sort_onesweep_iterationIS3_Lb0EN6thrust23THRUST_200600_302600_NS6detail15normal_iteratorINS9_10device_ptrIyEEEESE_PS5_SF_jNS0_19identity_decomposerENS1_16block_id_wrapperIjLb0EEEEE10hipError_tT1_PNSt15iterator_traitsISK_E10value_typeET2_T3_PNSL_ISQ_E10value_typeET4_T5_PSV_SW_PNS1_23onesweep_lookback_stateEbbT6_jjT7_P12ihipStream_tbENKUlT_T0_SK_SP_E_clIPySE_SF_SF_EEDaS13_S14_SK_SP_EUlS13_E_NS1_11comp_targetILNS1_3genE0ELNS1_11target_archE4294967295ELNS1_3gpuE0ELNS1_3repE0EEENS1_47radix_sort_onesweep_sort_config_static_selectorELNS0_4arch9wavefront6targetE1EEEvSK_
	.globl	_ZN7rocprim17ROCPRIM_400000_NS6detail17trampoline_kernelINS0_14default_configENS1_35radix_sort_onesweep_config_selectorIyNS0_10empty_typeEEEZZNS1_29radix_sort_onesweep_iterationIS3_Lb0EN6thrust23THRUST_200600_302600_NS6detail15normal_iteratorINS9_10device_ptrIyEEEESE_PS5_SF_jNS0_19identity_decomposerENS1_16block_id_wrapperIjLb0EEEEE10hipError_tT1_PNSt15iterator_traitsISK_E10value_typeET2_T3_PNSL_ISQ_E10value_typeET4_T5_PSV_SW_PNS1_23onesweep_lookback_stateEbbT6_jjT7_P12ihipStream_tbENKUlT_T0_SK_SP_E_clIPySE_SF_SF_EEDaS13_S14_SK_SP_EUlS13_E_NS1_11comp_targetILNS1_3genE0ELNS1_11target_archE4294967295ELNS1_3gpuE0ELNS1_3repE0EEENS1_47radix_sort_onesweep_sort_config_static_selectorELNS0_4arch9wavefront6targetE1EEEvSK_
	.p2align	8
	.type	_ZN7rocprim17ROCPRIM_400000_NS6detail17trampoline_kernelINS0_14default_configENS1_35radix_sort_onesweep_config_selectorIyNS0_10empty_typeEEEZZNS1_29radix_sort_onesweep_iterationIS3_Lb0EN6thrust23THRUST_200600_302600_NS6detail15normal_iteratorINS9_10device_ptrIyEEEESE_PS5_SF_jNS0_19identity_decomposerENS1_16block_id_wrapperIjLb0EEEEE10hipError_tT1_PNSt15iterator_traitsISK_E10value_typeET2_T3_PNSL_ISQ_E10value_typeET4_T5_PSV_SW_PNS1_23onesweep_lookback_stateEbbT6_jjT7_P12ihipStream_tbENKUlT_T0_SK_SP_E_clIPySE_SF_SF_EEDaS13_S14_SK_SP_EUlS13_E_NS1_11comp_targetILNS1_3genE0ELNS1_11target_archE4294967295ELNS1_3gpuE0ELNS1_3repE0EEENS1_47radix_sort_onesweep_sort_config_static_selectorELNS0_4arch9wavefront6targetE1EEEvSK_,@function
_ZN7rocprim17ROCPRIM_400000_NS6detail17trampoline_kernelINS0_14default_configENS1_35radix_sort_onesweep_config_selectorIyNS0_10empty_typeEEEZZNS1_29radix_sort_onesweep_iterationIS3_Lb0EN6thrust23THRUST_200600_302600_NS6detail15normal_iteratorINS9_10device_ptrIyEEEESE_PS5_SF_jNS0_19identity_decomposerENS1_16block_id_wrapperIjLb0EEEEE10hipError_tT1_PNSt15iterator_traitsISK_E10value_typeET2_T3_PNSL_ISQ_E10value_typeET4_T5_PSV_SW_PNS1_23onesweep_lookback_stateEbbT6_jjT7_P12ihipStream_tbENKUlT_T0_SK_SP_E_clIPySE_SF_SF_EEDaS13_S14_SK_SP_EUlS13_E_NS1_11comp_targetILNS1_3genE0ELNS1_11target_archE4294967295ELNS1_3gpuE0ELNS1_3repE0EEENS1_47radix_sort_onesweep_sort_config_static_selectorELNS0_4arch9wavefront6targetE1EEEvSK_: ; @_ZN7rocprim17ROCPRIM_400000_NS6detail17trampoline_kernelINS0_14default_configENS1_35radix_sort_onesweep_config_selectorIyNS0_10empty_typeEEEZZNS1_29radix_sort_onesweep_iterationIS3_Lb0EN6thrust23THRUST_200600_302600_NS6detail15normal_iteratorINS9_10device_ptrIyEEEESE_PS5_SF_jNS0_19identity_decomposerENS1_16block_id_wrapperIjLb0EEEEE10hipError_tT1_PNSt15iterator_traitsISK_E10value_typeET2_T3_PNSL_ISQ_E10value_typeET4_T5_PSV_SW_PNS1_23onesweep_lookback_stateEbbT6_jjT7_P12ihipStream_tbENKUlT_T0_SK_SP_E_clIPySE_SF_SF_EEDaS13_S14_SK_SP_EUlS13_E_NS1_11comp_targetILNS1_3genE0ELNS1_11target_archE4294967295ELNS1_3gpuE0ELNS1_3repE0EEENS1_47radix_sort_onesweep_sort_config_static_selectorELNS0_4arch9wavefront6targetE1EEEvSK_
; %bb.0:
	.section	.rodata,"a",@progbits
	.p2align	6, 0x0
	.amdhsa_kernel _ZN7rocprim17ROCPRIM_400000_NS6detail17trampoline_kernelINS0_14default_configENS1_35radix_sort_onesweep_config_selectorIyNS0_10empty_typeEEEZZNS1_29radix_sort_onesweep_iterationIS3_Lb0EN6thrust23THRUST_200600_302600_NS6detail15normal_iteratorINS9_10device_ptrIyEEEESE_PS5_SF_jNS0_19identity_decomposerENS1_16block_id_wrapperIjLb0EEEEE10hipError_tT1_PNSt15iterator_traitsISK_E10value_typeET2_T3_PNSL_ISQ_E10value_typeET4_T5_PSV_SW_PNS1_23onesweep_lookback_stateEbbT6_jjT7_P12ihipStream_tbENKUlT_T0_SK_SP_E_clIPySE_SF_SF_EEDaS13_S14_SK_SP_EUlS13_E_NS1_11comp_targetILNS1_3genE0ELNS1_11target_archE4294967295ELNS1_3gpuE0ELNS1_3repE0EEENS1_47radix_sort_onesweep_sort_config_static_selectorELNS0_4arch9wavefront6targetE1EEEvSK_
		.amdhsa_group_segment_fixed_size 0
		.amdhsa_private_segment_fixed_size 0
		.amdhsa_kernarg_size 88
		.amdhsa_user_sgpr_count 6
		.amdhsa_user_sgpr_private_segment_buffer 1
		.amdhsa_user_sgpr_dispatch_ptr 0
		.amdhsa_user_sgpr_queue_ptr 0
		.amdhsa_user_sgpr_kernarg_segment_ptr 1
		.amdhsa_user_sgpr_dispatch_id 0
		.amdhsa_user_sgpr_flat_scratch_init 0
		.amdhsa_user_sgpr_kernarg_preload_length 0
		.amdhsa_user_sgpr_kernarg_preload_offset 0
		.amdhsa_user_sgpr_private_segment_size 0
		.amdhsa_uses_dynamic_stack 0
		.amdhsa_system_sgpr_private_segment_wavefront_offset 0
		.amdhsa_system_sgpr_workgroup_id_x 1
		.amdhsa_system_sgpr_workgroup_id_y 0
		.amdhsa_system_sgpr_workgroup_id_z 0
		.amdhsa_system_sgpr_workgroup_info 0
		.amdhsa_system_vgpr_workitem_id 0
		.amdhsa_next_free_vgpr 1
		.amdhsa_next_free_sgpr 0
		.amdhsa_accum_offset 4
		.amdhsa_reserve_vcc 0
		.amdhsa_reserve_flat_scratch 0
		.amdhsa_float_round_mode_32 0
		.amdhsa_float_round_mode_16_64 0
		.amdhsa_float_denorm_mode_32 3
		.amdhsa_float_denorm_mode_16_64 3
		.amdhsa_dx10_clamp 1
		.amdhsa_ieee_mode 1
		.amdhsa_fp16_overflow 0
		.amdhsa_tg_split 0
		.amdhsa_exception_fp_ieee_invalid_op 0
		.amdhsa_exception_fp_denorm_src 0
		.amdhsa_exception_fp_ieee_div_zero 0
		.amdhsa_exception_fp_ieee_overflow 0
		.amdhsa_exception_fp_ieee_underflow 0
		.amdhsa_exception_fp_ieee_inexact 0
		.amdhsa_exception_int_div_zero 0
	.end_amdhsa_kernel
	.section	.text._ZN7rocprim17ROCPRIM_400000_NS6detail17trampoline_kernelINS0_14default_configENS1_35radix_sort_onesweep_config_selectorIyNS0_10empty_typeEEEZZNS1_29radix_sort_onesweep_iterationIS3_Lb0EN6thrust23THRUST_200600_302600_NS6detail15normal_iteratorINS9_10device_ptrIyEEEESE_PS5_SF_jNS0_19identity_decomposerENS1_16block_id_wrapperIjLb0EEEEE10hipError_tT1_PNSt15iterator_traitsISK_E10value_typeET2_T3_PNSL_ISQ_E10value_typeET4_T5_PSV_SW_PNS1_23onesweep_lookback_stateEbbT6_jjT7_P12ihipStream_tbENKUlT_T0_SK_SP_E_clIPySE_SF_SF_EEDaS13_S14_SK_SP_EUlS13_E_NS1_11comp_targetILNS1_3genE0ELNS1_11target_archE4294967295ELNS1_3gpuE0ELNS1_3repE0EEENS1_47radix_sort_onesweep_sort_config_static_selectorELNS0_4arch9wavefront6targetE1EEEvSK_,"axG",@progbits,_ZN7rocprim17ROCPRIM_400000_NS6detail17trampoline_kernelINS0_14default_configENS1_35radix_sort_onesweep_config_selectorIyNS0_10empty_typeEEEZZNS1_29radix_sort_onesweep_iterationIS3_Lb0EN6thrust23THRUST_200600_302600_NS6detail15normal_iteratorINS9_10device_ptrIyEEEESE_PS5_SF_jNS0_19identity_decomposerENS1_16block_id_wrapperIjLb0EEEEE10hipError_tT1_PNSt15iterator_traitsISK_E10value_typeET2_T3_PNSL_ISQ_E10value_typeET4_T5_PSV_SW_PNS1_23onesweep_lookback_stateEbbT6_jjT7_P12ihipStream_tbENKUlT_T0_SK_SP_E_clIPySE_SF_SF_EEDaS13_S14_SK_SP_EUlS13_E_NS1_11comp_targetILNS1_3genE0ELNS1_11target_archE4294967295ELNS1_3gpuE0ELNS1_3repE0EEENS1_47radix_sort_onesweep_sort_config_static_selectorELNS0_4arch9wavefront6targetE1EEEvSK_,comdat
.Lfunc_end909:
	.size	_ZN7rocprim17ROCPRIM_400000_NS6detail17trampoline_kernelINS0_14default_configENS1_35radix_sort_onesweep_config_selectorIyNS0_10empty_typeEEEZZNS1_29radix_sort_onesweep_iterationIS3_Lb0EN6thrust23THRUST_200600_302600_NS6detail15normal_iteratorINS9_10device_ptrIyEEEESE_PS5_SF_jNS0_19identity_decomposerENS1_16block_id_wrapperIjLb0EEEEE10hipError_tT1_PNSt15iterator_traitsISK_E10value_typeET2_T3_PNSL_ISQ_E10value_typeET4_T5_PSV_SW_PNS1_23onesweep_lookback_stateEbbT6_jjT7_P12ihipStream_tbENKUlT_T0_SK_SP_E_clIPySE_SF_SF_EEDaS13_S14_SK_SP_EUlS13_E_NS1_11comp_targetILNS1_3genE0ELNS1_11target_archE4294967295ELNS1_3gpuE0ELNS1_3repE0EEENS1_47radix_sort_onesweep_sort_config_static_selectorELNS0_4arch9wavefront6targetE1EEEvSK_, .Lfunc_end909-_ZN7rocprim17ROCPRIM_400000_NS6detail17trampoline_kernelINS0_14default_configENS1_35radix_sort_onesweep_config_selectorIyNS0_10empty_typeEEEZZNS1_29radix_sort_onesweep_iterationIS3_Lb0EN6thrust23THRUST_200600_302600_NS6detail15normal_iteratorINS9_10device_ptrIyEEEESE_PS5_SF_jNS0_19identity_decomposerENS1_16block_id_wrapperIjLb0EEEEE10hipError_tT1_PNSt15iterator_traitsISK_E10value_typeET2_T3_PNSL_ISQ_E10value_typeET4_T5_PSV_SW_PNS1_23onesweep_lookback_stateEbbT6_jjT7_P12ihipStream_tbENKUlT_T0_SK_SP_E_clIPySE_SF_SF_EEDaS13_S14_SK_SP_EUlS13_E_NS1_11comp_targetILNS1_3genE0ELNS1_11target_archE4294967295ELNS1_3gpuE0ELNS1_3repE0EEENS1_47radix_sort_onesweep_sort_config_static_selectorELNS0_4arch9wavefront6targetE1EEEvSK_
                                        ; -- End function
	.section	.AMDGPU.csdata,"",@progbits
; Kernel info:
; codeLenInByte = 0
; NumSgprs: 4
; NumVgprs: 0
; NumAgprs: 0
; TotalNumVgprs: 0
; ScratchSize: 0
; MemoryBound: 0
; FloatMode: 240
; IeeeMode: 1
; LDSByteSize: 0 bytes/workgroup (compile time only)
; SGPRBlocks: 0
; VGPRBlocks: 0
; NumSGPRsForWavesPerEU: 4
; NumVGPRsForWavesPerEU: 1
; AccumOffset: 4
; Occupancy: 8
; WaveLimiterHint : 0
; COMPUTE_PGM_RSRC2:SCRATCH_EN: 0
; COMPUTE_PGM_RSRC2:USER_SGPR: 6
; COMPUTE_PGM_RSRC2:TRAP_HANDLER: 0
; COMPUTE_PGM_RSRC2:TGID_X_EN: 1
; COMPUTE_PGM_RSRC2:TGID_Y_EN: 0
; COMPUTE_PGM_RSRC2:TGID_Z_EN: 0
; COMPUTE_PGM_RSRC2:TIDIG_COMP_CNT: 0
; COMPUTE_PGM_RSRC3_GFX90A:ACCUM_OFFSET: 0
; COMPUTE_PGM_RSRC3_GFX90A:TG_SPLIT: 0
	.section	.text._ZN7rocprim17ROCPRIM_400000_NS6detail17trampoline_kernelINS0_14default_configENS1_35radix_sort_onesweep_config_selectorIyNS0_10empty_typeEEEZZNS1_29radix_sort_onesweep_iterationIS3_Lb0EN6thrust23THRUST_200600_302600_NS6detail15normal_iteratorINS9_10device_ptrIyEEEESE_PS5_SF_jNS0_19identity_decomposerENS1_16block_id_wrapperIjLb0EEEEE10hipError_tT1_PNSt15iterator_traitsISK_E10value_typeET2_T3_PNSL_ISQ_E10value_typeET4_T5_PSV_SW_PNS1_23onesweep_lookback_stateEbbT6_jjT7_P12ihipStream_tbENKUlT_T0_SK_SP_E_clIPySE_SF_SF_EEDaS13_S14_SK_SP_EUlS13_E_NS1_11comp_targetILNS1_3genE6ELNS1_11target_archE950ELNS1_3gpuE13ELNS1_3repE0EEENS1_47radix_sort_onesweep_sort_config_static_selectorELNS0_4arch9wavefront6targetE1EEEvSK_,"axG",@progbits,_ZN7rocprim17ROCPRIM_400000_NS6detail17trampoline_kernelINS0_14default_configENS1_35radix_sort_onesweep_config_selectorIyNS0_10empty_typeEEEZZNS1_29radix_sort_onesweep_iterationIS3_Lb0EN6thrust23THRUST_200600_302600_NS6detail15normal_iteratorINS9_10device_ptrIyEEEESE_PS5_SF_jNS0_19identity_decomposerENS1_16block_id_wrapperIjLb0EEEEE10hipError_tT1_PNSt15iterator_traitsISK_E10value_typeET2_T3_PNSL_ISQ_E10value_typeET4_T5_PSV_SW_PNS1_23onesweep_lookback_stateEbbT6_jjT7_P12ihipStream_tbENKUlT_T0_SK_SP_E_clIPySE_SF_SF_EEDaS13_S14_SK_SP_EUlS13_E_NS1_11comp_targetILNS1_3genE6ELNS1_11target_archE950ELNS1_3gpuE13ELNS1_3repE0EEENS1_47radix_sort_onesweep_sort_config_static_selectorELNS0_4arch9wavefront6targetE1EEEvSK_,comdat
	.protected	_ZN7rocprim17ROCPRIM_400000_NS6detail17trampoline_kernelINS0_14default_configENS1_35radix_sort_onesweep_config_selectorIyNS0_10empty_typeEEEZZNS1_29radix_sort_onesweep_iterationIS3_Lb0EN6thrust23THRUST_200600_302600_NS6detail15normal_iteratorINS9_10device_ptrIyEEEESE_PS5_SF_jNS0_19identity_decomposerENS1_16block_id_wrapperIjLb0EEEEE10hipError_tT1_PNSt15iterator_traitsISK_E10value_typeET2_T3_PNSL_ISQ_E10value_typeET4_T5_PSV_SW_PNS1_23onesweep_lookback_stateEbbT6_jjT7_P12ihipStream_tbENKUlT_T0_SK_SP_E_clIPySE_SF_SF_EEDaS13_S14_SK_SP_EUlS13_E_NS1_11comp_targetILNS1_3genE6ELNS1_11target_archE950ELNS1_3gpuE13ELNS1_3repE0EEENS1_47radix_sort_onesweep_sort_config_static_selectorELNS0_4arch9wavefront6targetE1EEEvSK_ ; -- Begin function _ZN7rocprim17ROCPRIM_400000_NS6detail17trampoline_kernelINS0_14default_configENS1_35radix_sort_onesweep_config_selectorIyNS0_10empty_typeEEEZZNS1_29radix_sort_onesweep_iterationIS3_Lb0EN6thrust23THRUST_200600_302600_NS6detail15normal_iteratorINS9_10device_ptrIyEEEESE_PS5_SF_jNS0_19identity_decomposerENS1_16block_id_wrapperIjLb0EEEEE10hipError_tT1_PNSt15iterator_traitsISK_E10value_typeET2_T3_PNSL_ISQ_E10value_typeET4_T5_PSV_SW_PNS1_23onesweep_lookback_stateEbbT6_jjT7_P12ihipStream_tbENKUlT_T0_SK_SP_E_clIPySE_SF_SF_EEDaS13_S14_SK_SP_EUlS13_E_NS1_11comp_targetILNS1_3genE6ELNS1_11target_archE950ELNS1_3gpuE13ELNS1_3repE0EEENS1_47radix_sort_onesweep_sort_config_static_selectorELNS0_4arch9wavefront6targetE1EEEvSK_
	.globl	_ZN7rocprim17ROCPRIM_400000_NS6detail17trampoline_kernelINS0_14default_configENS1_35radix_sort_onesweep_config_selectorIyNS0_10empty_typeEEEZZNS1_29radix_sort_onesweep_iterationIS3_Lb0EN6thrust23THRUST_200600_302600_NS6detail15normal_iteratorINS9_10device_ptrIyEEEESE_PS5_SF_jNS0_19identity_decomposerENS1_16block_id_wrapperIjLb0EEEEE10hipError_tT1_PNSt15iterator_traitsISK_E10value_typeET2_T3_PNSL_ISQ_E10value_typeET4_T5_PSV_SW_PNS1_23onesweep_lookback_stateEbbT6_jjT7_P12ihipStream_tbENKUlT_T0_SK_SP_E_clIPySE_SF_SF_EEDaS13_S14_SK_SP_EUlS13_E_NS1_11comp_targetILNS1_3genE6ELNS1_11target_archE950ELNS1_3gpuE13ELNS1_3repE0EEENS1_47radix_sort_onesweep_sort_config_static_selectorELNS0_4arch9wavefront6targetE1EEEvSK_
	.p2align	8
	.type	_ZN7rocprim17ROCPRIM_400000_NS6detail17trampoline_kernelINS0_14default_configENS1_35radix_sort_onesweep_config_selectorIyNS0_10empty_typeEEEZZNS1_29radix_sort_onesweep_iterationIS3_Lb0EN6thrust23THRUST_200600_302600_NS6detail15normal_iteratorINS9_10device_ptrIyEEEESE_PS5_SF_jNS0_19identity_decomposerENS1_16block_id_wrapperIjLb0EEEEE10hipError_tT1_PNSt15iterator_traitsISK_E10value_typeET2_T3_PNSL_ISQ_E10value_typeET4_T5_PSV_SW_PNS1_23onesweep_lookback_stateEbbT6_jjT7_P12ihipStream_tbENKUlT_T0_SK_SP_E_clIPySE_SF_SF_EEDaS13_S14_SK_SP_EUlS13_E_NS1_11comp_targetILNS1_3genE6ELNS1_11target_archE950ELNS1_3gpuE13ELNS1_3repE0EEENS1_47radix_sort_onesweep_sort_config_static_selectorELNS0_4arch9wavefront6targetE1EEEvSK_,@function
_ZN7rocprim17ROCPRIM_400000_NS6detail17trampoline_kernelINS0_14default_configENS1_35radix_sort_onesweep_config_selectorIyNS0_10empty_typeEEEZZNS1_29radix_sort_onesweep_iterationIS3_Lb0EN6thrust23THRUST_200600_302600_NS6detail15normal_iteratorINS9_10device_ptrIyEEEESE_PS5_SF_jNS0_19identity_decomposerENS1_16block_id_wrapperIjLb0EEEEE10hipError_tT1_PNSt15iterator_traitsISK_E10value_typeET2_T3_PNSL_ISQ_E10value_typeET4_T5_PSV_SW_PNS1_23onesweep_lookback_stateEbbT6_jjT7_P12ihipStream_tbENKUlT_T0_SK_SP_E_clIPySE_SF_SF_EEDaS13_S14_SK_SP_EUlS13_E_NS1_11comp_targetILNS1_3genE6ELNS1_11target_archE950ELNS1_3gpuE13ELNS1_3repE0EEENS1_47radix_sort_onesweep_sort_config_static_selectorELNS0_4arch9wavefront6targetE1EEEvSK_: ; @_ZN7rocprim17ROCPRIM_400000_NS6detail17trampoline_kernelINS0_14default_configENS1_35radix_sort_onesweep_config_selectorIyNS0_10empty_typeEEEZZNS1_29radix_sort_onesweep_iterationIS3_Lb0EN6thrust23THRUST_200600_302600_NS6detail15normal_iteratorINS9_10device_ptrIyEEEESE_PS5_SF_jNS0_19identity_decomposerENS1_16block_id_wrapperIjLb0EEEEE10hipError_tT1_PNSt15iterator_traitsISK_E10value_typeET2_T3_PNSL_ISQ_E10value_typeET4_T5_PSV_SW_PNS1_23onesweep_lookback_stateEbbT6_jjT7_P12ihipStream_tbENKUlT_T0_SK_SP_E_clIPySE_SF_SF_EEDaS13_S14_SK_SP_EUlS13_E_NS1_11comp_targetILNS1_3genE6ELNS1_11target_archE950ELNS1_3gpuE13ELNS1_3repE0EEENS1_47radix_sort_onesweep_sort_config_static_selectorELNS0_4arch9wavefront6targetE1EEEvSK_
; %bb.0:
	.section	.rodata,"a",@progbits
	.p2align	6, 0x0
	.amdhsa_kernel _ZN7rocprim17ROCPRIM_400000_NS6detail17trampoline_kernelINS0_14default_configENS1_35radix_sort_onesweep_config_selectorIyNS0_10empty_typeEEEZZNS1_29radix_sort_onesweep_iterationIS3_Lb0EN6thrust23THRUST_200600_302600_NS6detail15normal_iteratorINS9_10device_ptrIyEEEESE_PS5_SF_jNS0_19identity_decomposerENS1_16block_id_wrapperIjLb0EEEEE10hipError_tT1_PNSt15iterator_traitsISK_E10value_typeET2_T3_PNSL_ISQ_E10value_typeET4_T5_PSV_SW_PNS1_23onesweep_lookback_stateEbbT6_jjT7_P12ihipStream_tbENKUlT_T0_SK_SP_E_clIPySE_SF_SF_EEDaS13_S14_SK_SP_EUlS13_E_NS1_11comp_targetILNS1_3genE6ELNS1_11target_archE950ELNS1_3gpuE13ELNS1_3repE0EEENS1_47radix_sort_onesweep_sort_config_static_selectorELNS0_4arch9wavefront6targetE1EEEvSK_
		.amdhsa_group_segment_fixed_size 0
		.amdhsa_private_segment_fixed_size 0
		.amdhsa_kernarg_size 88
		.amdhsa_user_sgpr_count 6
		.amdhsa_user_sgpr_private_segment_buffer 1
		.amdhsa_user_sgpr_dispatch_ptr 0
		.amdhsa_user_sgpr_queue_ptr 0
		.amdhsa_user_sgpr_kernarg_segment_ptr 1
		.amdhsa_user_sgpr_dispatch_id 0
		.amdhsa_user_sgpr_flat_scratch_init 0
		.amdhsa_user_sgpr_kernarg_preload_length 0
		.amdhsa_user_sgpr_kernarg_preload_offset 0
		.amdhsa_user_sgpr_private_segment_size 0
		.amdhsa_uses_dynamic_stack 0
		.amdhsa_system_sgpr_private_segment_wavefront_offset 0
		.amdhsa_system_sgpr_workgroup_id_x 1
		.amdhsa_system_sgpr_workgroup_id_y 0
		.amdhsa_system_sgpr_workgroup_id_z 0
		.amdhsa_system_sgpr_workgroup_info 0
		.amdhsa_system_vgpr_workitem_id 0
		.amdhsa_next_free_vgpr 1
		.amdhsa_next_free_sgpr 0
		.amdhsa_accum_offset 4
		.amdhsa_reserve_vcc 0
		.amdhsa_reserve_flat_scratch 0
		.amdhsa_float_round_mode_32 0
		.amdhsa_float_round_mode_16_64 0
		.amdhsa_float_denorm_mode_32 3
		.amdhsa_float_denorm_mode_16_64 3
		.amdhsa_dx10_clamp 1
		.amdhsa_ieee_mode 1
		.amdhsa_fp16_overflow 0
		.amdhsa_tg_split 0
		.amdhsa_exception_fp_ieee_invalid_op 0
		.amdhsa_exception_fp_denorm_src 0
		.amdhsa_exception_fp_ieee_div_zero 0
		.amdhsa_exception_fp_ieee_overflow 0
		.amdhsa_exception_fp_ieee_underflow 0
		.amdhsa_exception_fp_ieee_inexact 0
		.amdhsa_exception_int_div_zero 0
	.end_amdhsa_kernel
	.section	.text._ZN7rocprim17ROCPRIM_400000_NS6detail17trampoline_kernelINS0_14default_configENS1_35radix_sort_onesweep_config_selectorIyNS0_10empty_typeEEEZZNS1_29radix_sort_onesweep_iterationIS3_Lb0EN6thrust23THRUST_200600_302600_NS6detail15normal_iteratorINS9_10device_ptrIyEEEESE_PS5_SF_jNS0_19identity_decomposerENS1_16block_id_wrapperIjLb0EEEEE10hipError_tT1_PNSt15iterator_traitsISK_E10value_typeET2_T3_PNSL_ISQ_E10value_typeET4_T5_PSV_SW_PNS1_23onesweep_lookback_stateEbbT6_jjT7_P12ihipStream_tbENKUlT_T0_SK_SP_E_clIPySE_SF_SF_EEDaS13_S14_SK_SP_EUlS13_E_NS1_11comp_targetILNS1_3genE6ELNS1_11target_archE950ELNS1_3gpuE13ELNS1_3repE0EEENS1_47radix_sort_onesweep_sort_config_static_selectorELNS0_4arch9wavefront6targetE1EEEvSK_,"axG",@progbits,_ZN7rocprim17ROCPRIM_400000_NS6detail17trampoline_kernelINS0_14default_configENS1_35radix_sort_onesweep_config_selectorIyNS0_10empty_typeEEEZZNS1_29radix_sort_onesweep_iterationIS3_Lb0EN6thrust23THRUST_200600_302600_NS6detail15normal_iteratorINS9_10device_ptrIyEEEESE_PS5_SF_jNS0_19identity_decomposerENS1_16block_id_wrapperIjLb0EEEEE10hipError_tT1_PNSt15iterator_traitsISK_E10value_typeET2_T3_PNSL_ISQ_E10value_typeET4_T5_PSV_SW_PNS1_23onesweep_lookback_stateEbbT6_jjT7_P12ihipStream_tbENKUlT_T0_SK_SP_E_clIPySE_SF_SF_EEDaS13_S14_SK_SP_EUlS13_E_NS1_11comp_targetILNS1_3genE6ELNS1_11target_archE950ELNS1_3gpuE13ELNS1_3repE0EEENS1_47radix_sort_onesweep_sort_config_static_selectorELNS0_4arch9wavefront6targetE1EEEvSK_,comdat
.Lfunc_end910:
	.size	_ZN7rocprim17ROCPRIM_400000_NS6detail17trampoline_kernelINS0_14default_configENS1_35radix_sort_onesweep_config_selectorIyNS0_10empty_typeEEEZZNS1_29radix_sort_onesweep_iterationIS3_Lb0EN6thrust23THRUST_200600_302600_NS6detail15normal_iteratorINS9_10device_ptrIyEEEESE_PS5_SF_jNS0_19identity_decomposerENS1_16block_id_wrapperIjLb0EEEEE10hipError_tT1_PNSt15iterator_traitsISK_E10value_typeET2_T3_PNSL_ISQ_E10value_typeET4_T5_PSV_SW_PNS1_23onesweep_lookback_stateEbbT6_jjT7_P12ihipStream_tbENKUlT_T0_SK_SP_E_clIPySE_SF_SF_EEDaS13_S14_SK_SP_EUlS13_E_NS1_11comp_targetILNS1_3genE6ELNS1_11target_archE950ELNS1_3gpuE13ELNS1_3repE0EEENS1_47radix_sort_onesweep_sort_config_static_selectorELNS0_4arch9wavefront6targetE1EEEvSK_, .Lfunc_end910-_ZN7rocprim17ROCPRIM_400000_NS6detail17trampoline_kernelINS0_14default_configENS1_35radix_sort_onesweep_config_selectorIyNS0_10empty_typeEEEZZNS1_29radix_sort_onesweep_iterationIS3_Lb0EN6thrust23THRUST_200600_302600_NS6detail15normal_iteratorINS9_10device_ptrIyEEEESE_PS5_SF_jNS0_19identity_decomposerENS1_16block_id_wrapperIjLb0EEEEE10hipError_tT1_PNSt15iterator_traitsISK_E10value_typeET2_T3_PNSL_ISQ_E10value_typeET4_T5_PSV_SW_PNS1_23onesweep_lookback_stateEbbT6_jjT7_P12ihipStream_tbENKUlT_T0_SK_SP_E_clIPySE_SF_SF_EEDaS13_S14_SK_SP_EUlS13_E_NS1_11comp_targetILNS1_3genE6ELNS1_11target_archE950ELNS1_3gpuE13ELNS1_3repE0EEENS1_47radix_sort_onesweep_sort_config_static_selectorELNS0_4arch9wavefront6targetE1EEEvSK_
                                        ; -- End function
	.section	.AMDGPU.csdata,"",@progbits
; Kernel info:
; codeLenInByte = 0
; NumSgprs: 4
; NumVgprs: 0
; NumAgprs: 0
; TotalNumVgprs: 0
; ScratchSize: 0
; MemoryBound: 0
; FloatMode: 240
; IeeeMode: 1
; LDSByteSize: 0 bytes/workgroup (compile time only)
; SGPRBlocks: 0
; VGPRBlocks: 0
; NumSGPRsForWavesPerEU: 4
; NumVGPRsForWavesPerEU: 1
; AccumOffset: 4
; Occupancy: 8
; WaveLimiterHint : 0
; COMPUTE_PGM_RSRC2:SCRATCH_EN: 0
; COMPUTE_PGM_RSRC2:USER_SGPR: 6
; COMPUTE_PGM_RSRC2:TRAP_HANDLER: 0
; COMPUTE_PGM_RSRC2:TGID_X_EN: 1
; COMPUTE_PGM_RSRC2:TGID_Y_EN: 0
; COMPUTE_PGM_RSRC2:TGID_Z_EN: 0
; COMPUTE_PGM_RSRC2:TIDIG_COMP_CNT: 0
; COMPUTE_PGM_RSRC3_GFX90A:ACCUM_OFFSET: 0
; COMPUTE_PGM_RSRC3_GFX90A:TG_SPLIT: 0
	.section	.text._ZN7rocprim17ROCPRIM_400000_NS6detail17trampoline_kernelINS0_14default_configENS1_35radix_sort_onesweep_config_selectorIyNS0_10empty_typeEEEZZNS1_29radix_sort_onesweep_iterationIS3_Lb0EN6thrust23THRUST_200600_302600_NS6detail15normal_iteratorINS9_10device_ptrIyEEEESE_PS5_SF_jNS0_19identity_decomposerENS1_16block_id_wrapperIjLb0EEEEE10hipError_tT1_PNSt15iterator_traitsISK_E10value_typeET2_T3_PNSL_ISQ_E10value_typeET4_T5_PSV_SW_PNS1_23onesweep_lookback_stateEbbT6_jjT7_P12ihipStream_tbENKUlT_T0_SK_SP_E_clIPySE_SF_SF_EEDaS13_S14_SK_SP_EUlS13_E_NS1_11comp_targetILNS1_3genE5ELNS1_11target_archE942ELNS1_3gpuE9ELNS1_3repE0EEENS1_47radix_sort_onesweep_sort_config_static_selectorELNS0_4arch9wavefront6targetE1EEEvSK_,"axG",@progbits,_ZN7rocprim17ROCPRIM_400000_NS6detail17trampoline_kernelINS0_14default_configENS1_35radix_sort_onesweep_config_selectorIyNS0_10empty_typeEEEZZNS1_29radix_sort_onesweep_iterationIS3_Lb0EN6thrust23THRUST_200600_302600_NS6detail15normal_iteratorINS9_10device_ptrIyEEEESE_PS5_SF_jNS0_19identity_decomposerENS1_16block_id_wrapperIjLb0EEEEE10hipError_tT1_PNSt15iterator_traitsISK_E10value_typeET2_T3_PNSL_ISQ_E10value_typeET4_T5_PSV_SW_PNS1_23onesweep_lookback_stateEbbT6_jjT7_P12ihipStream_tbENKUlT_T0_SK_SP_E_clIPySE_SF_SF_EEDaS13_S14_SK_SP_EUlS13_E_NS1_11comp_targetILNS1_3genE5ELNS1_11target_archE942ELNS1_3gpuE9ELNS1_3repE0EEENS1_47radix_sort_onesweep_sort_config_static_selectorELNS0_4arch9wavefront6targetE1EEEvSK_,comdat
	.protected	_ZN7rocprim17ROCPRIM_400000_NS6detail17trampoline_kernelINS0_14default_configENS1_35radix_sort_onesweep_config_selectorIyNS0_10empty_typeEEEZZNS1_29radix_sort_onesweep_iterationIS3_Lb0EN6thrust23THRUST_200600_302600_NS6detail15normal_iteratorINS9_10device_ptrIyEEEESE_PS5_SF_jNS0_19identity_decomposerENS1_16block_id_wrapperIjLb0EEEEE10hipError_tT1_PNSt15iterator_traitsISK_E10value_typeET2_T3_PNSL_ISQ_E10value_typeET4_T5_PSV_SW_PNS1_23onesweep_lookback_stateEbbT6_jjT7_P12ihipStream_tbENKUlT_T0_SK_SP_E_clIPySE_SF_SF_EEDaS13_S14_SK_SP_EUlS13_E_NS1_11comp_targetILNS1_3genE5ELNS1_11target_archE942ELNS1_3gpuE9ELNS1_3repE0EEENS1_47radix_sort_onesweep_sort_config_static_selectorELNS0_4arch9wavefront6targetE1EEEvSK_ ; -- Begin function _ZN7rocprim17ROCPRIM_400000_NS6detail17trampoline_kernelINS0_14default_configENS1_35radix_sort_onesweep_config_selectorIyNS0_10empty_typeEEEZZNS1_29radix_sort_onesweep_iterationIS3_Lb0EN6thrust23THRUST_200600_302600_NS6detail15normal_iteratorINS9_10device_ptrIyEEEESE_PS5_SF_jNS0_19identity_decomposerENS1_16block_id_wrapperIjLb0EEEEE10hipError_tT1_PNSt15iterator_traitsISK_E10value_typeET2_T3_PNSL_ISQ_E10value_typeET4_T5_PSV_SW_PNS1_23onesweep_lookback_stateEbbT6_jjT7_P12ihipStream_tbENKUlT_T0_SK_SP_E_clIPySE_SF_SF_EEDaS13_S14_SK_SP_EUlS13_E_NS1_11comp_targetILNS1_3genE5ELNS1_11target_archE942ELNS1_3gpuE9ELNS1_3repE0EEENS1_47radix_sort_onesweep_sort_config_static_selectorELNS0_4arch9wavefront6targetE1EEEvSK_
	.globl	_ZN7rocprim17ROCPRIM_400000_NS6detail17trampoline_kernelINS0_14default_configENS1_35radix_sort_onesweep_config_selectorIyNS0_10empty_typeEEEZZNS1_29radix_sort_onesweep_iterationIS3_Lb0EN6thrust23THRUST_200600_302600_NS6detail15normal_iteratorINS9_10device_ptrIyEEEESE_PS5_SF_jNS0_19identity_decomposerENS1_16block_id_wrapperIjLb0EEEEE10hipError_tT1_PNSt15iterator_traitsISK_E10value_typeET2_T3_PNSL_ISQ_E10value_typeET4_T5_PSV_SW_PNS1_23onesweep_lookback_stateEbbT6_jjT7_P12ihipStream_tbENKUlT_T0_SK_SP_E_clIPySE_SF_SF_EEDaS13_S14_SK_SP_EUlS13_E_NS1_11comp_targetILNS1_3genE5ELNS1_11target_archE942ELNS1_3gpuE9ELNS1_3repE0EEENS1_47radix_sort_onesweep_sort_config_static_selectorELNS0_4arch9wavefront6targetE1EEEvSK_
	.p2align	8
	.type	_ZN7rocprim17ROCPRIM_400000_NS6detail17trampoline_kernelINS0_14default_configENS1_35radix_sort_onesweep_config_selectorIyNS0_10empty_typeEEEZZNS1_29radix_sort_onesweep_iterationIS3_Lb0EN6thrust23THRUST_200600_302600_NS6detail15normal_iteratorINS9_10device_ptrIyEEEESE_PS5_SF_jNS0_19identity_decomposerENS1_16block_id_wrapperIjLb0EEEEE10hipError_tT1_PNSt15iterator_traitsISK_E10value_typeET2_T3_PNSL_ISQ_E10value_typeET4_T5_PSV_SW_PNS1_23onesweep_lookback_stateEbbT6_jjT7_P12ihipStream_tbENKUlT_T0_SK_SP_E_clIPySE_SF_SF_EEDaS13_S14_SK_SP_EUlS13_E_NS1_11comp_targetILNS1_3genE5ELNS1_11target_archE942ELNS1_3gpuE9ELNS1_3repE0EEENS1_47radix_sort_onesweep_sort_config_static_selectorELNS0_4arch9wavefront6targetE1EEEvSK_,@function
_ZN7rocprim17ROCPRIM_400000_NS6detail17trampoline_kernelINS0_14default_configENS1_35radix_sort_onesweep_config_selectorIyNS0_10empty_typeEEEZZNS1_29radix_sort_onesweep_iterationIS3_Lb0EN6thrust23THRUST_200600_302600_NS6detail15normal_iteratorINS9_10device_ptrIyEEEESE_PS5_SF_jNS0_19identity_decomposerENS1_16block_id_wrapperIjLb0EEEEE10hipError_tT1_PNSt15iterator_traitsISK_E10value_typeET2_T3_PNSL_ISQ_E10value_typeET4_T5_PSV_SW_PNS1_23onesweep_lookback_stateEbbT6_jjT7_P12ihipStream_tbENKUlT_T0_SK_SP_E_clIPySE_SF_SF_EEDaS13_S14_SK_SP_EUlS13_E_NS1_11comp_targetILNS1_3genE5ELNS1_11target_archE942ELNS1_3gpuE9ELNS1_3repE0EEENS1_47radix_sort_onesweep_sort_config_static_selectorELNS0_4arch9wavefront6targetE1EEEvSK_: ; @_ZN7rocprim17ROCPRIM_400000_NS6detail17trampoline_kernelINS0_14default_configENS1_35radix_sort_onesweep_config_selectorIyNS0_10empty_typeEEEZZNS1_29radix_sort_onesweep_iterationIS3_Lb0EN6thrust23THRUST_200600_302600_NS6detail15normal_iteratorINS9_10device_ptrIyEEEESE_PS5_SF_jNS0_19identity_decomposerENS1_16block_id_wrapperIjLb0EEEEE10hipError_tT1_PNSt15iterator_traitsISK_E10value_typeET2_T3_PNSL_ISQ_E10value_typeET4_T5_PSV_SW_PNS1_23onesweep_lookback_stateEbbT6_jjT7_P12ihipStream_tbENKUlT_T0_SK_SP_E_clIPySE_SF_SF_EEDaS13_S14_SK_SP_EUlS13_E_NS1_11comp_targetILNS1_3genE5ELNS1_11target_archE942ELNS1_3gpuE9ELNS1_3repE0EEENS1_47radix_sort_onesweep_sort_config_static_selectorELNS0_4arch9wavefront6targetE1EEEvSK_
; %bb.0:
	.section	.rodata,"a",@progbits
	.p2align	6, 0x0
	.amdhsa_kernel _ZN7rocprim17ROCPRIM_400000_NS6detail17trampoline_kernelINS0_14default_configENS1_35radix_sort_onesweep_config_selectorIyNS0_10empty_typeEEEZZNS1_29radix_sort_onesweep_iterationIS3_Lb0EN6thrust23THRUST_200600_302600_NS6detail15normal_iteratorINS9_10device_ptrIyEEEESE_PS5_SF_jNS0_19identity_decomposerENS1_16block_id_wrapperIjLb0EEEEE10hipError_tT1_PNSt15iterator_traitsISK_E10value_typeET2_T3_PNSL_ISQ_E10value_typeET4_T5_PSV_SW_PNS1_23onesweep_lookback_stateEbbT6_jjT7_P12ihipStream_tbENKUlT_T0_SK_SP_E_clIPySE_SF_SF_EEDaS13_S14_SK_SP_EUlS13_E_NS1_11comp_targetILNS1_3genE5ELNS1_11target_archE942ELNS1_3gpuE9ELNS1_3repE0EEENS1_47radix_sort_onesweep_sort_config_static_selectorELNS0_4arch9wavefront6targetE1EEEvSK_
		.amdhsa_group_segment_fixed_size 0
		.amdhsa_private_segment_fixed_size 0
		.amdhsa_kernarg_size 88
		.amdhsa_user_sgpr_count 6
		.amdhsa_user_sgpr_private_segment_buffer 1
		.amdhsa_user_sgpr_dispatch_ptr 0
		.amdhsa_user_sgpr_queue_ptr 0
		.amdhsa_user_sgpr_kernarg_segment_ptr 1
		.amdhsa_user_sgpr_dispatch_id 0
		.amdhsa_user_sgpr_flat_scratch_init 0
		.amdhsa_user_sgpr_kernarg_preload_length 0
		.amdhsa_user_sgpr_kernarg_preload_offset 0
		.amdhsa_user_sgpr_private_segment_size 0
		.amdhsa_uses_dynamic_stack 0
		.amdhsa_system_sgpr_private_segment_wavefront_offset 0
		.amdhsa_system_sgpr_workgroup_id_x 1
		.amdhsa_system_sgpr_workgroup_id_y 0
		.amdhsa_system_sgpr_workgroup_id_z 0
		.amdhsa_system_sgpr_workgroup_info 0
		.amdhsa_system_vgpr_workitem_id 0
		.amdhsa_next_free_vgpr 1
		.amdhsa_next_free_sgpr 0
		.amdhsa_accum_offset 4
		.amdhsa_reserve_vcc 0
		.amdhsa_reserve_flat_scratch 0
		.amdhsa_float_round_mode_32 0
		.amdhsa_float_round_mode_16_64 0
		.amdhsa_float_denorm_mode_32 3
		.amdhsa_float_denorm_mode_16_64 3
		.amdhsa_dx10_clamp 1
		.amdhsa_ieee_mode 1
		.amdhsa_fp16_overflow 0
		.amdhsa_tg_split 0
		.amdhsa_exception_fp_ieee_invalid_op 0
		.amdhsa_exception_fp_denorm_src 0
		.amdhsa_exception_fp_ieee_div_zero 0
		.amdhsa_exception_fp_ieee_overflow 0
		.amdhsa_exception_fp_ieee_underflow 0
		.amdhsa_exception_fp_ieee_inexact 0
		.amdhsa_exception_int_div_zero 0
	.end_amdhsa_kernel
	.section	.text._ZN7rocprim17ROCPRIM_400000_NS6detail17trampoline_kernelINS0_14default_configENS1_35radix_sort_onesweep_config_selectorIyNS0_10empty_typeEEEZZNS1_29radix_sort_onesweep_iterationIS3_Lb0EN6thrust23THRUST_200600_302600_NS6detail15normal_iteratorINS9_10device_ptrIyEEEESE_PS5_SF_jNS0_19identity_decomposerENS1_16block_id_wrapperIjLb0EEEEE10hipError_tT1_PNSt15iterator_traitsISK_E10value_typeET2_T3_PNSL_ISQ_E10value_typeET4_T5_PSV_SW_PNS1_23onesweep_lookback_stateEbbT6_jjT7_P12ihipStream_tbENKUlT_T0_SK_SP_E_clIPySE_SF_SF_EEDaS13_S14_SK_SP_EUlS13_E_NS1_11comp_targetILNS1_3genE5ELNS1_11target_archE942ELNS1_3gpuE9ELNS1_3repE0EEENS1_47radix_sort_onesweep_sort_config_static_selectorELNS0_4arch9wavefront6targetE1EEEvSK_,"axG",@progbits,_ZN7rocprim17ROCPRIM_400000_NS6detail17trampoline_kernelINS0_14default_configENS1_35radix_sort_onesweep_config_selectorIyNS0_10empty_typeEEEZZNS1_29radix_sort_onesweep_iterationIS3_Lb0EN6thrust23THRUST_200600_302600_NS6detail15normal_iteratorINS9_10device_ptrIyEEEESE_PS5_SF_jNS0_19identity_decomposerENS1_16block_id_wrapperIjLb0EEEEE10hipError_tT1_PNSt15iterator_traitsISK_E10value_typeET2_T3_PNSL_ISQ_E10value_typeET4_T5_PSV_SW_PNS1_23onesweep_lookback_stateEbbT6_jjT7_P12ihipStream_tbENKUlT_T0_SK_SP_E_clIPySE_SF_SF_EEDaS13_S14_SK_SP_EUlS13_E_NS1_11comp_targetILNS1_3genE5ELNS1_11target_archE942ELNS1_3gpuE9ELNS1_3repE0EEENS1_47radix_sort_onesweep_sort_config_static_selectorELNS0_4arch9wavefront6targetE1EEEvSK_,comdat
.Lfunc_end911:
	.size	_ZN7rocprim17ROCPRIM_400000_NS6detail17trampoline_kernelINS0_14default_configENS1_35radix_sort_onesweep_config_selectorIyNS0_10empty_typeEEEZZNS1_29radix_sort_onesweep_iterationIS3_Lb0EN6thrust23THRUST_200600_302600_NS6detail15normal_iteratorINS9_10device_ptrIyEEEESE_PS5_SF_jNS0_19identity_decomposerENS1_16block_id_wrapperIjLb0EEEEE10hipError_tT1_PNSt15iterator_traitsISK_E10value_typeET2_T3_PNSL_ISQ_E10value_typeET4_T5_PSV_SW_PNS1_23onesweep_lookback_stateEbbT6_jjT7_P12ihipStream_tbENKUlT_T0_SK_SP_E_clIPySE_SF_SF_EEDaS13_S14_SK_SP_EUlS13_E_NS1_11comp_targetILNS1_3genE5ELNS1_11target_archE942ELNS1_3gpuE9ELNS1_3repE0EEENS1_47radix_sort_onesweep_sort_config_static_selectorELNS0_4arch9wavefront6targetE1EEEvSK_, .Lfunc_end911-_ZN7rocprim17ROCPRIM_400000_NS6detail17trampoline_kernelINS0_14default_configENS1_35radix_sort_onesweep_config_selectorIyNS0_10empty_typeEEEZZNS1_29radix_sort_onesweep_iterationIS3_Lb0EN6thrust23THRUST_200600_302600_NS6detail15normal_iteratorINS9_10device_ptrIyEEEESE_PS5_SF_jNS0_19identity_decomposerENS1_16block_id_wrapperIjLb0EEEEE10hipError_tT1_PNSt15iterator_traitsISK_E10value_typeET2_T3_PNSL_ISQ_E10value_typeET4_T5_PSV_SW_PNS1_23onesweep_lookback_stateEbbT6_jjT7_P12ihipStream_tbENKUlT_T0_SK_SP_E_clIPySE_SF_SF_EEDaS13_S14_SK_SP_EUlS13_E_NS1_11comp_targetILNS1_3genE5ELNS1_11target_archE942ELNS1_3gpuE9ELNS1_3repE0EEENS1_47radix_sort_onesweep_sort_config_static_selectorELNS0_4arch9wavefront6targetE1EEEvSK_
                                        ; -- End function
	.section	.AMDGPU.csdata,"",@progbits
; Kernel info:
; codeLenInByte = 0
; NumSgprs: 4
; NumVgprs: 0
; NumAgprs: 0
; TotalNumVgprs: 0
; ScratchSize: 0
; MemoryBound: 0
; FloatMode: 240
; IeeeMode: 1
; LDSByteSize: 0 bytes/workgroup (compile time only)
; SGPRBlocks: 0
; VGPRBlocks: 0
; NumSGPRsForWavesPerEU: 4
; NumVGPRsForWavesPerEU: 1
; AccumOffset: 4
; Occupancy: 8
; WaveLimiterHint : 0
; COMPUTE_PGM_RSRC2:SCRATCH_EN: 0
; COMPUTE_PGM_RSRC2:USER_SGPR: 6
; COMPUTE_PGM_RSRC2:TRAP_HANDLER: 0
; COMPUTE_PGM_RSRC2:TGID_X_EN: 1
; COMPUTE_PGM_RSRC2:TGID_Y_EN: 0
; COMPUTE_PGM_RSRC2:TGID_Z_EN: 0
; COMPUTE_PGM_RSRC2:TIDIG_COMP_CNT: 0
; COMPUTE_PGM_RSRC3_GFX90A:ACCUM_OFFSET: 0
; COMPUTE_PGM_RSRC3_GFX90A:TG_SPLIT: 0
	.section	.text._ZN7rocprim17ROCPRIM_400000_NS6detail17trampoline_kernelINS0_14default_configENS1_35radix_sort_onesweep_config_selectorIyNS0_10empty_typeEEEZZNS1_29radix_sort_onesweep_iterationIS3_Lb0EN6thrust23THRUST_200600_302600_NS6detail15normal_iteratorINS9_10device_ptrIyEEEESE_PS5_SF_jNS0_19identity_decomposerENS1_16block_id_wrapperIjLb0EEEEE10hipError_tT1_PNSt15iterator_traitsISK_E10value_typeET2_T3_PNSL_ISQ_E10value_typeET4_T5_PSV_SW_PNS1_23onesweep_lookback_stateEbbT6_jjT7_P12ihipStream_tbENKUlT_T0_SK_SP_E_clIPySE_SF_SF_EEDaS13_S14_SK_SP_EUlS13_E_NS1_11comp_targetILNS1_3genE2ELNS1_11target_archE906ELNS1_3gpuE6ELNS1_3repE0EEENS1_47radix_sort_onesweep_sort_config_static_selectorELNS0_4arch9wavefront6targetE1EEEvSK_,"axG",@progbits,_ZN7rocprim17ROCPRIM_400000_NS6detail17trampoline_kernelINS0_14default_configENS1_35radix_sort_onesweep_config_selectorIyNS0_10empty_typeEEEZZNS1_29radix_sort_onesweep_iterationIS3_Lb0EN6thrust23THRUST_200600_302600_NS6detail15normal_iteratorINS9_10device_ptrIyEEEESE_PS5_SF_jNS0_19identity_decomposerENS1_16block_id_wrapperIjLb0EEEEE10hipError_tT1_PNSt15iterator_traitsISK_E10value_typeET2_T3_PNSL_ISQ_E10value_typeET4_T5_PSV_SW_PNS1_23onesweep_lookback_stateEbbT6_jjT7_P12ihipStream_tbENKUlT_T0_SK_SP_E_clIPySE_SF_SF_EEDaS13_S14_SK_SP_EUlS13_E_NS1_11comp_targetILNS1_3genE2ELNS1_11target_archE906ELNS1_3gpuE6ELNS1_3repE0EEENS1_47radix_sort_onesweep_sort_config_static_selectorELNS0_4arch9wavefront6targetE1EEEvSK_,comdat
	.protected	_ZN7rocprim17ROCPRIM_400000_NS6detail17trampoline_kernelINS0_14default_configENS1_35radix_sort_onesweep_config_selectorIyNS0_10empty_typeEEEZZNS1_29radix_sort_onesweep_iterationIS3_Lb0EN6thrust23THRUST_200600_302600_NS6detail15normal_iteratorINS9_10device_ptrIyEEEESE_PS5_SF_jNS0_19identity_decomposerENS1_16block_id_wrapperIjLb0EEEEE10hipError_tT1_PNSt15iterator_traitsISK_E10value_typeET2_T3_PNSL_ISQ_E10value_typeET4_T5_PSV_SW_PNS1_23onesweep_lookback_stateEbbT6_jjT7_P12ihipStream_tbENKUlT_T0_SK_SP_E_clIPySE_SF_SF_EEDaS13_S14_SK_SP_EUlS13_E_NS1_11comp_targetILNS1_3genE2ELNS1_11target_archE906ELNS1_3gpuE6ELNS1_3repE0EEENS1_47radix_sort_onesweep_sort_config_static_selectorELNS0_4arch9wavefront6targetE1EEEvSK_ ; -- Begin function _ZN7rocprim17ROCPRIM_400000_NS6detail17trampoline_kernelINS0_14default_configENS1_35radix_sort_onesweep_config_selectorIyNS0_10empty_typeEEEZZNS1_29radix_sort_onesweep_iterationIS3_Lb0EN6thrust23THRUST_200600_302600_NS6detail15normal_iteratorINS9_10device_ptrIyEEEESE_PS5_SF_jNS0_19identity_decomposerENS1_16block_id_wrapperIjLb0EEEEE10hipError_tT1_PNSt15iterator_traitsISK_E10value_typeET2_T3_PNSL_ISQ_E10value_typeET4_T5_PSV_SW_PNS1_23onesweep_lookback_stateEbbT6_jjT7_P12ihipStream_tbENKUlT_T0_SK_SP_E_clIPySE_SF_SF_EEDaS13_S14_SK_SP_EUlS13_E_NS1_11comp_targetILNS1_3genE2ELNS1_11target_archE906ELNS1_3gpuE6ELNS1_3repE0EEENS1_47radix_sort_onesweep_sort_config_static_selectorELNS0_4arch9wavefront6targetE1EEEvSK_
	.globl	_ZN7rocprim17ROCPRIM_400000_NS6detail17trampoline_kernelINS0_14default_configENS1_35radix_sort_onesweep_config_selectorIyNS0_10empty_typeEEEZZNS1_29radix_sort_onesweep_iterationIS3_Lb0EN6thrust23THRUST_200600_302600_NS6detail15normal_iteratorINS9_10device_ptrIyEEEESE_PS5_SF_jNS0_19identity_decomposerENS1_16block_id_wrapperIjLb0EEEEE10hipError_tT1_PNSt15iterator_traitsISK_E10value_typeET2_T3_PNSL_ISQ_E10value_typeET4_T5_PSV_SW_PNS1_23onesweep_lookback_stateEbbT6_jjT7_P12ihipStream_tbENKUlT_T0_SK_SP_E_clIPySE_SF_SF_EEDaS13_S14_SK_SP_EUlS13_E_NS1_11comp_targetILNS1_3genE2ELNS1_11target_archE906ELNS1_3gpuE6ELNS1_3repE0EEENS1_47radix_sort_onesweep_sort_config_static_selectorELNS0_4arch9wavefront6targetE1EEEvSK_
	.p2align	8
	.type	_ZN7rocprim17ROCPRIM_400000_NS6detail17trampoline_kernelINS0_14default_configENS1_35radix_sort_onesweep_config_selectorIyNS0_10empty_typeEEEZZNS1_29radix_sort_onesweep_iterationIS3_Lb0EN6thrust23THRUST_200600_302600_NS6detail15normal_iteratorINS9_10device_ptrIyEEEESE_PS5_SF_jNS0_19identity_decomposerENS1_16block_id_wrapperIjLb0EEEEE10hipError_tT1_PNSt15iterator_traitsISK_E10value_typeET2_T3_PNSL_ISQ_E10value_typeET4_T5_PSV_SW_PNS1_23onesweep_lookback_stateEbbT6_jjT7_P12ihipStream_tbENKUlT_T0_SK_SP_E_clIPySE_SF_SF_EEDaS13_S14_SK_SP_EUlS13_E_NS1_11comp_targetILNS1_3genE2ELNS1_11target_archE906ELNS1_3gpuE6ELNS1_3repE0EEENS1_47radix_sort_onesweep_sort_config_static_selectorELNS0_4arch9wavefront6targetE1EEEvSK_,@function
_ZN7rocprim17ROCPRIM_400000_NS6detail17trampoline_kernelINS0_14default_configENS1_35radix_sort_onesweep_config_selectorIyNS0_10empty_typeEEEZZNS1_29radix_sort_onesweep_iterationIS3_Lb0EN6thrust23THRUST_200600_302600_NS6detail15normal_iteratorINS9_10device_ptrIyEEEESE_PS5_SF_jNS0_19identity_decomposerENS1_16block_id_wrapperIjLb0EEEEE10hipError_tT1_PNSt15iterator_traitsISK_E10value_typeET2_T3_PNSL_ISQ_E10value_typeET4_T5_PSV_SW_PNS1_23onesweep_lookback_stateEbbT6_jjT7_P12ihipStream_tbENKUlT_T0_SK_SP_E_clIPySE_SF_SF_EEDaS13_S14_SK_SP_EUlS13_E_NS1_11comp_targetILNS1_3genE2ELNS1_11target_archE906ELNS1_3gpuE6ELNS1_3repE0EEENS1_47radix_sort_onesweep_sort_config_static_selectorELNS0_4arch9wavefront6targetE1EEEvSK_: ; @_ZN7rocprim17ROCPRIM_400000_NS6detail17trampoline_kernelINS0_14default_configENS1_35radix_sort_onesweep_config_selectorIyNS0_10empty_typeEEEZZNS1_29radix_sort_onesweep_iterationIS3_Lb0EN6thrust23THRUST_200600_302600_NS6detail15normal_iteratorINS9_10device_ptrIyEEEESE_PS5_SF_jNS0_19identity_decomposerENS1_16block_id_wrapperIjLb0EEEEE10hipError_tT1_PNSt15iterator_traitsISK_E10value_typeET2_T3_PNSL_ISQ_E10value_typeET4_T5_PSV_SW_PNS1_23onesweep_lookback_stateEbbT6_jjT7_P12ihipStream_tbENKUlT_T0_SK_SP_E_clIPySE_SF_SF_EEDaS13_S14_SK_SP_EUlS13_E_NS1_11comp_targetILNS1_3genE2ELNS1_11target_archE906ELNS1_3gpuE6ELNS1_3repE0EEENS1_47radix_sort_onesweep_sort_config_static_selectorELNS0_4arch9wavefront6targetE1EEEvSK_
; %bb.0:
	.section	.rodata,"a",@progbits
	.p2align	6, 0x0
	.amdhsa_kernel _ZN7rocprim17ROCPRIM_400000_NS6detail17trampoline_kernelINS0_14default_configENS1_35radix_sort_onesweep_config_selectorIyNS0_10empty_typeEEEZZNS1_29radix_sort_onesweep_iterationIS3_Lb0EN6thrust23THRUST_200600_302600_NS6detail15normal_iteratorINS9_10device_ptrIyEEEESE_PS5_SF_jNS0_19identity_decomposerENS1_16block_id_wrapperIjLb0EEEEE10hipError_tT1_PNSt15iterator_traitsISK_E10value_typeET2_T3_PNSL_ISQ_E10value_typeET4_T5_PSV_SW_PNS1_23onesweep_lookback_stateEbbT6_jjT7_P12ihipStream_tbENKUlT_T0_SK_SP_E_clIPySE_SF_SF_EEDaS13_S14_SK_SP_EUlS13_E_NS1_11comp_targetILNS1_3genE2ELNS1_11target_archE906ELNS1_3gpuE6ELNS1_3repE0EEENS1_47radix_sort_onesweep_sort_config_static_selectorELNS0_4arch9wavefront6targetE1EEEvSK_
		.amdhsa_group_segment_fixed_size 0
		.amdhsa_private_segment_fixed_size 0
		.amdhsa_kernarg_size 88
		.amdhsa_user_sgpr_count 6
		.amdhsa_user_sgpr_private_segment_buffer 1
		.amdhsa_user_sgpr_dispatch_ptr 0
		.amdhsa_user_sgpr_queue_ptr 0
		.amdhsa_user_sgpr_kernarg_segment_ptr 1
		.amdhsa_user_sgpr_dispatch_id 0
		.amdhsa_user_sgpr_flat_scratch_init 0
		.amdhsa_user_sgpr_kernarg_preload_length 0
		.amdhsa_user_sgpr_kernarg_preload_offset 0
		.amdhsa_user_sgpr_private_segment_size 0
		.amdhsa_uses_dynamic_stack 0
		.amdhsa_system_sgpr_private_segment_wavefront_offset 0
		.amdhsa_system_sgpr_workgroup_id_x 1
		.amdhsa_system_sgpr_workgroup_id_y 0
		.amdhsa_system_sgpr_workgroup_id_z 0
		.amdhsa_system_sgpr_workgroup_info 0
		.amdhsa_system_vgpr_workitem_id 0
		.amdhsa_next_free_vgpr 1
		.amdhsa_next_free_sgpr 0
		.amdhsa_accum_offset 4
		.amdhsa_reserve_vcc 0
		.amdhsa_reserve_flat_scratch 0
		.amdhsa_float_round_mode_32 0
		.amdhsa_float_round_mode_16_64 0
		.amdhsa_float_denorm_mode_32 3
		.amdhsa_float_denorm_mode_16_64 3
		.amdhsa_dx10_clamp 1
		.amdhsa_ieee_mode 1
		.amdhsa_fp16_overflow 0
		.amdhsa_tg_split 0
		.amdhsa_exception_fp_ieee_invalid_op 0
		.amdhsa_exception_fp_denorm_src 0
		.amdhsa_exception_fp_ieee_div_zero 0
		.amdhsa_exception_fp_ieee_overflow 0
		.amdhsa_exception_fp_ieee_underflow 0
		.amdhsa_exception_fp_ieee_inexact 0
		.amdhsa_exception_int_div_zero 0
	.end_amdhsa_kernel
	.section	.text._ZN7rocprim17ROCPRIM_400000_NS6detail17trampoline_kernelINS0_14default_configENS1_35radix_sort_onesweep_config_selectorIyNS0_10empty_typeEEEZZNS1_29radix_sort_onesweep_iterationIS3_Lb0EN6thrust23THRUST_200600_302600_NS6detail15normal_iteratorINS9_10device_ptrIyEEEESE_PS5_SF_jNS0_19identity_decomposerENS1_16block_id_wrapperIjLb0EEEEE10hipError_tT1_PNSt15iterator_traitsISK_E10value_typeET2_T3_PNSL_ISQ_E10value_typeET4_T5_PSV_SW_PNS1_23onesweep_lookback_stateEbbT6_jjT7_P12ihipStream_tbENKUlT_T0_SK_SP_E_clIPySE_SF_SF_EEDaS13_S14_SK_SP_EUlS13_E_NS1_11comp_targetILNS1_3genE2ELNS1_11target_archE906ELNS1_3gpuE6ELNS1_3repE0EEENS1_47radix_sort_onesweep_sort_config_static_selectorELNS0_4arch9wavefront6targetE1EEEvSK_,"axG",@progbits,_ZN7rocprim17ROCPRIM_400000_NS6detail17trampoline_kernelINS0_14default_configENS1_35radix_sort_onesweep_config_selectorIyNS0_10empty_typeEEEZZNS1_29radix_sort_onesweep_iterationIS3_Lb0EN6thrust23THRUST_200600_302600_NS6detail15normal_iteratorINS9_10device_ptrIyEEEESE_PS5_SF_jNS0_19identity_decomposerENS1_16block_id_wrapperIjLb0EEEEE10hipError_tT1_PNSt15iterator_traitsISK_E10value_typeET2_T3_PNSL_ISQ_E10value_typeET4_T5_PSV_SW_PNS1_23onesweep_lookback_stateEbbT6_jjT7_P12ihipStream_tbENKUlT_T0_SK_SP_E_clIPySE_SF_SF_EEDaS13_S14_SK_SP_EUlS13_E_NS1_11comp_targetILNS1_3genE2ELNS1_11target_archE906ELNS1_3gpuE6ELNS1_3repE0EEENS1_47radix_sort_onesweep_sort_config_static_selectorELNS0_4arch9wavefront6targetE1EEEvSK_,comdat
.Lfunc_end912:
	.size	_ZN7rocprim17ROCPRIM_400000_NS6detail17trampoline_kernelINS0_14default_configENS1_35radix_sort_onesweep_config_selectorIyNS0_10empty_typeEEEZZNS1_29radix_sort_onesweep_iterationIS3_Lb0EN6thrust23THRUST_200600_302600_NS6detail15normal_iteratorINS9_10device_ptrIyEEEESE_PS5_SF_jNS0_19identity_decomposerENS1_16block_id_wrapperIjLb0EEEEE10hipError_tT1_PNSt15iterator_traitsISK_E10value_typeET2_T3_PNSL_ISQ_E10value_typeET4_T5_PSV_SW_PNS1_23onesweep_lookback_stateEbbT6_jjT7_P12ihipStream_tbENKUlT_T0_SK_SP_E_clIPySE_SF_SF_EEDaS13_S14_SK_SP_EUlS13_E_NS1_11comp_targetILNS1_3genE2ELNS1_11target_archE906ELNS1_3gpuE6ELNS1_3repE0EEENS1_47radix_sort_onesweep_sort_config_static_selectorELNS0_4arch9wavefront6targetE1EEEvSK_, .Lfunc_end912-_ZN7rocprim17ROCPRIM_400000_NS6detail17trampoline_kernelINS0_14default_configENS1_35radix_sort_onesweep_config_selectorIyNS0_10empty_typeEEEZZNS1_29radix_sort_onesweep_iterationIS3_Lb0EN6thrust23THRUST_200600_302600_NS6detail15normal_iteratorINS9_10device_ptrIyEEEESE_PS5_SF_jNS0_19identity_decomposerENS1_16block_id_wrapperIjLb0EEEEE10hipError_tT1_PNSt15iterator_traitsISK_E10value_typeET2_T3_PNSL_ISQ_E10value_typeET4_T5_PSV_SW_PNS1_23onesweep_lookback_stateEbbT6_jjT7_P12ihipStream_tbENKUlT_T0_SK_SP_E_clIPySE_SF_SF_EEDaS13_S14_SK_SP_EUlS13_E_NS1_11comp_targetILNS1_3genE2ELNS1_11target_archE906ELNS1_3gpuE6ELNS1_3repE0EEENS1_47radix_sort_onesweep_sort_config_static_selectorELNS0_4arch9wavefront6targetE1EEEvSK_
                                        ; -- End function
	.section	.AMDGPU.csdata,"",@progbits
; Kernel info:
; codeLenInByte = 0
; NumSgprs: 4
; NumVgprs: 0
; NumAgprs: 0
; TotalNumVgprs: 0
; ScratchSize: 0
; MemoryBound: 0
; FloatMode: 240
; IeeeMode: 1
; LDSByteSize: 0 bytes/workgroup (compile time only)
; SGPRBlocks: 0
; VGPRBlocks: 0
; NumSGPRsForWavesPerEU: 4
; NumVGPRsForWavesPerEU: 1
; AccumOffset: 4
; Occupancy: 8
; WaveLimiterHint : 0
; COMPUTE_PGM_RSRC2:SCRATCH_EN: 0
; COMPUTE_PGM_RSRC2:USER_SGPR: 6
; COMPUTE_PGM_RSRC2:TRAP_HANDLER: 0
; COMPUTE_PGM_RSRC2:TGID_X_EN: 1
; COMPUTE_PGM_RSRC2:TGID_Y_EN: 0
; COMPUTE_PGM_RSRC2:TGID_Z_EN: 0
; COMPUTE_PGM_RSRC2:TIDIG_COMP_CNT: 0
; COMPUTE_PGM_RSRC3_GFX90A:ACCUM_OFFSET: 0
; COMPUTE_PGM_RSRC3_GFX90A:TG_SPLIT: 0
	.section	.text._ZN7rocprim17ROCPRIM_400000_NS6detail17trampoline_kernelINS0_14default_configENS1_35radix_sort_onesweep_config_selectorIyNS0_10empty_typeEEEZZNS1_29radix_sort_onesweep_iterationIS3_Lb0EN6thrust23THRUST_200600_302600_NS6detail15normal_iteratorINS9_10device_ptrIyEEEESE_PS5_SF_jNS0_19identity_decomposerENS1_16block_id_wrapperIjLb0EEEEE10hipError_tT1_PNSt15iterator_traitsISK_E10value_typeET2_T3_PNSL_ISQ_E10value_typeET4_T5_PSV_SW_PNS1_23onesweep_lookback_stateEbbT6_jjT7_P12ihipStream_tbENKUlT_T0_SK_SP_E_clIPySE_SF_SF_EEDaS13_S14_SK_SP_EUlS13_E_NS1_11comp_targetILNS1_3genE4ELNS1_11target_archE910ELNS1_3gpuE8ELNS1_3repE0EEENS1_47radix_sort_onesweep_sort_config_static_selectorELNS0_4arch9wavefront6targetE1EEEvSK_,"axG",@progbits,_ZN7rocprim17ROCPRIM_400000_NS6detail17trampoline_kernelINS0_14default_configENS1_35radix_sort_onesweep_config_selectorIyNS0_10empty_typeEEEZZNS1_29radix_sort_onesweep_iterationIS3_Lb0EN6thrust23THRUST_200600_302600_NS6detail15normal_iteratorINS9_10device_ptrIyEEEESE_PS5_SF_jNS0_19identity_decomposerENS1_16block_id_wrapperIjLb0EEEEE10hipError_tT1_PNSt15iterator_traitsISK_E10value_typeET2_T3_PNSL_ISQ_E10value_typeET4_T5_PSV_SW_PNS1_23onesweep_lookback_stateEbbT6_jjT7_P12ihipStream_tbENKUlT_T0_SK_SP_E_clIPySE_SF_SF_EEDaS13_S14_SK_SP_EUlS13_E_NS1_11comp_targetILNS1_3genE4ELNS1_11target_archE910ELNS1_3gpuE8ELNS1_3repE0EEENS1_47radix_sort_onesweep_sort_config_static_selectorELNS0_4arch9wavefront6targetE1EEEvSK_,comdat
	.protected	_ZN7rocprim17ROCPRIM_400000_NS6detail17trampoline_kernelINS0_14default_configENS1_35radix_sort_onesweep_config_selectorIyNS0_10empty_typeEEEZZNS1_29radix_sort_onesweep_iterationIS3_Lb0EN6thrust23THRUST_200600_302600_NS6detail15normal_iteratorINS9_10device_ptrIyEEEESE_PS5_SF_jNS0_19identity_decomposerENS1_16block_id_wrapperIjLb0EEEEE10hipError_tT1_PNSt15iterator_traitsISK_E10value_typeET2_T3_PNSL_ISQ_E10value_typeET4_T5_PSV_SW_PNS1_23onesweep_lookback_stateEbbT6_jjT7_P12ihipStream_tbENKUlT_T0_SK_SP_E_clIPySE_SF_SF_EEDaS13_S14_SK_SP_EUlS13_E_NS1_11comp_targetILNS1_3genE4ELNS1_11target_archE910ELNS1_3gpuE8ELNS1_3repE0EEENS1_47radix_sort_onesweep_sort_config_static_selectorELNS0_4arch9wavefront6targetE1EEEvSK_ ; -- Begin function _ZN7rocprim17ROCPRIM_400000_NS6detail17trampoline_kernelINS0_14default_configENS1_35radix_sort_onesweep_config_selectorIyNS0_10empty_typeEEEZZNS1_29radix_sort_onesweep_iterationIS3_Lb0EN6thrust23THRUST_200600_302600_NS6detail15normal_iteratorINS9_10device_ptrIyEEEESE_PS5_SF_jNS0_19identity_decomposerENS1_16block_id_wrapperIjLb0EEEEE10hipError_tT1_PNSt15iterator_traitsISK_E10value_typeET2_T3_PNSL_ISQ_E10value_typeET4_T5_PSV_SW_PNS1_23onesweep_lookback_stateEbbT6_jjT7_P12ihipStream_tbENKUlT_T0_SK_SP_E_clIPySE_SF_SF_EEDaS13_S14_SK_SP_EUlS13_E_NS1_11comp_targetILNS1_3genE4ELNS1_11target_archE910ELNS1_3gpuE8ELNS1_3repE0EEENS1_47radix_sort_onesweep_sort_config_static_selectorELNS0_4arch9wavefront6targetE1EEEvSK_
	.globl	_ZN7rocprim17ROCPRIM_400000_NS6detail17trampoline_kernelINS0_14default_configENS1_35radix_sort_onesweep_config_selectorIyNS0_10empty_typeEEEZZNS1_29radix_sort_onesweep_iterationIS3_Lb0EN6thrust23THRUST_200600_302600_NS6detail15normal_iteratorINS9_10device_ptrIyEEEESE_PS5_SF_jNS0_19identity_decomposerENS1_16block_id_wrapperIjLb0EEEEE10hipError_tT1_PNSt15iterator_traitsISK_E10value_typeET2_T3_PNSL_ISQ_E10value_typeET4_T5_PSV_SW_PNS1_23onesweep_lookback_stateEbbT6_jjT7_P12ihipStream_tbENKUlT_T0_SK_SP_E_clIPySE_SF_SF_EEDaS13_S14_SK_SP_EUlS13_E_NS1_11comp_targetILNS1_3genE4ELNS1_11target_archE910ELNS1_3gpuE8ELNS1_3repE0EEENS1_47radix_sort_onesweep_sort_config_static_selectorELNS0_4arch9wavefront6targetE1EEEvSK_
	.p2align	8
	.type	_ZN7rocprim17ROCPRIM_400000_NS6detail17trampoline_kernelINS0_14default_configENS1_35radix_sort_onesweep_config_selectorIyNS0_10empty_typeEEEZZNS1_29radix_sort_onesweep_iterationIS3_Lb0EN6thrust23THRUST_200600_302600_NS6detail15normal_iteratorINS9_10device_ptrIyEEEESE_PS5_SF_jNS0_19identity_decomposerENS1_16block_id_wrapperIjLb0EEEEE10hipError_tT1_PNSt15iterator_traitsISK_E10value_typeET2_T3_PNSL_ISQ_E10value_typeET4_T5_PSV_SW_PNS1_23onesweep_lookback_stateEbbT6_jjT7_P12ihipStream_tbENKUlT_T0_SK_SP_E_clIPySE_SF_SF_EEDaS13_S14_SK_SP_EUlS13_E_NS1_11comp_targetILNS1_3genE4ELNS1_11target_archE910ELNS1_3gpuE8ELNS1_3repE0EEENS1_47radix_sort_onesweep_sort_config_static_selectorELNS0_4arch9wavefront6targetE1EEEvSK_,@function
_ZN7rocprim17ROCPRIM_400000_NS6detail17trampoline_kernelINS0_14default_configENS1_35radix_sort_onesweep_config_selectorIyNS0_10empty_typeEEEZZNS1_29radix_sort_onesweep_iterationIS3_Lb0EN6thrust23THRUST_200600_302600_NS6detail15normal_iteratorINS9_10device_ptrIyEEEESE_PS5_SF_jNS0_19identity_decomposerENS1_16block_id_wrapperIjLb0EEEEE10hipError_tT1_PNSt15iterator_traitsISK_E10value_typeET2_T3_PNSL_ISQ_E10value_typeET4_T5_PSV_SW_PNS1_23onesweep_lookback_stateEbbT6_jjT7_P12ihipStream_tbENKUlT_T0_SK_SP_E_clIPySE_SF_SF_EEDaS13_S14_SK_SP_EUlS13_E_NS1_11comp_targetILNS1_3genE4ELNS1_11target_archE910ELNS1_3gpuE8ELNS1_3repE0EEENS1_47radix_sort_onesweep_sort_config_static_selectorELNS0_4arch9wavefront6targetE1EEEvSK_: ; @_ZN7rocprim17ROCPRIM_400000_NS6detail17trampoline_kernelINS0_14default_configENS1_35radix_sort_onesweep_config_selectorIyNS0_10empty_typeEEEZZNS1_29radix_sort_onesweep_iterationIS3_Lb0EN6thrust23THRUST_200600_302600_NS6detail15normal_iteratorINS9_10device_ptrIyEEEESE_PS5_SF_jNS0_19identity_decomposerENS1_16block_id_wrapperIjLb0EEEEE10hipError_tT1_PNSt15iterator_traitsISK_E10value_typeET2_T3_PNSL_ISQ_E10value_typeET4_T5_PSV_SW_PNS1_23onesweep_lookback_stateEbbT6_jjT7_P12ihipStream_tbENKUlT_T0_SK_SP_E_clIPySE_SF_SF_EEDaS13_S14_SK_SP_EUlS13_E_NS1_11comp_targetILNS1_3genE4ELNS1_11target_archE910ELNS1_3gpuE8ELNS1_3repE0EEENS1_47radix_sort_onesweep_sort_config_static_selectorELNS0_4arch9wavefront6targetE1EEEvSK_
; %bb.0:
	s_load_dwordx2 s[24:25], s[4:5], 0x38
	s_load_dwordx4 s[16:19], s[4:5], 0x44
	s_load_dwordx4 s[20:23], s[4:5], 0x0
	;; [unrolled: 1-line block ×3, first 2 shown]
	v_mbcnt_lo_u32_b32 v1, -1, 0
	s_waitcnt lgkmcnt(0)
	s_cmp_ge_u32 s6, s18
	s_cbranch_scc0 .LBB913_59
; %bb.1:
	s_load_dword s2, s[4:5], 0x20
	s_lshl_b32 s3, s18, 13
	s_lshl_b32 s0, s6, 13
	s_mov_b32 s1, 0
	s_lshl_b64 s[0:1], s[0:1], 3
	s_waitcnt lgkmcnt(0)
	s_sub_i32 s7, s2, s3
	v_mbcnt_hi_u32_b32 v24, -1, v1
	v_and_b32_e32 v2, 0x3ff, v0
	s_add_u32 s0, s20, s0
	v_and_b32_e32 v4, 63, v24
	s_addc_u32 s1, s21, s1
	v_lshlrev_b32_e32 v3, 3, v2
	v_lshlrev_b32_e32 v6, 3, v4
	v_and_b32_e32 v5, 0x1e00, v3
	v_mov_b32_e32 v7, s1
	v_add_co_u32_e32 v6, vcc, s0, v6
	v_addc_co_u32_e32 v7, vcc, 0, v7, vcc
	v_lshlrev_b32_e32 v8, 3, v5
	v_add_co_u32_e32 v20, vcc, v6, v8
	v_addc_co_u32_e32 v21, vcc, 0, v7, vcc
	v_or_b32_e32 v22, v4, v5
	v_pk_mov_b32 v[4:5], -1, -1
	v_cmp_gt_u32_e32 vcc, s7, v22
	v_pk_mov_b32 v[6:7], v[4:5], v[4:5] op_sel:[0,1]
	s_and_saveexec_b64 s[0:1], vcc
	s_cbranch_execz .LBB913_3
; %bb.2:
	global_load_dwordx2 v[6:7], v[20:21], off
.LBB913_3:
	s_or_b64 exec, exec, s[0:1]
	v_or_b32_e32 v8, 64, v22
	v_cmp_gt_u32_e32 vcc, s7, v8
	s_and_saveexec_b64 s[0:1], vcc
	s_cbranch_execz .LBB913_5
; %bb.4:
	global_load_dwordx2 v[4:5], v[20:21], off offset:512
.LBB913_5:
	s_or_b64 exec, exec, s[0:1]
	v_or_b32_e32 v8, 0x80, v22
	v_cmp_gt_u32_e32 vcc, s7, v8
	v_pk_mov_b32 v[8:9], -1, -1
	v_pk_mov_b32 v[10:11], v[8:9], v[8:9] op_sel:[0,1]
	s_and_saveexec_b64 s[0:1], vcc
	s_cbranch_execz .LBB913_7
; %bb.6:
	global_load_dwordx2 v[10:11], v[20:21], off offset:1024
.LBB913_7:
	s_or_b64 exec, exec, s[0:1]
	v_or_b32_e32 v12, 0xc0, v22
	v_cmp_gt_u32_e32 vcc, s7, v12
	s_and_saveexec_b64 s[0:1], vcc
	s_cbranch_execz .LBB913_9
; %bb.8:
	global_load_dwordx2 v[8:9], v[20:21], off offset:1536
.LBB913_9:
	s_or_b64 exec, exec, s[0:1]
	v_or_b32_e32 v12, 0x100, v22
	v_cmp_gt_u32_e32 vcc, s7, v12
	v_pk_mov_b32 v[12:13], -1, -1
	v_pk_mov_b32 v[14:15], v[12:13], v[12:13] op_sel:[0,1]
	s_and_saveexec_b64 s[0:1], vcc
	s_cbranch_execz .LBB913_11
; %bb.10:
	global_load_dwordx2 v[14:15], v[20:21], off offset:2048
.LBB913_11:
	;; [unrolled: 18-line block ×3, first 2 shown]
	s_or_b64 exec, exec, s[0:1]
	v_or_b32_e32 v22, 0x1c0, v22
	v_cmp_gt_u32_e32 vcc, s7, v22
	s_and_saveexec_b64 s[0:1], vcc
	s_cbranch_execz .LBB913_17
; %bb.16:
	global_load_dwordx2 v[16:17], v[20:21], off offset:3584
.LBB913_17:
	s_or_b64 exec, exec, s[0:1]
	s_load_dword s0, s[4:5], 0x64
	s_load_dword s26, s[4:5], 0x58
	s_add_u32 s1, s4, 0x58
	s_addc_u32 s2, s5, 0
	v_mov_b32_e32 v20, 0
	s_waitcnt lgkmcnt(0)
	s_lshr_b32 s3, s0, 16
	s_cmp_lt_u32 s6, s26
	s_cselect_b32 s0, 12, 18
	s_add_u32 s0, s1, s0
	s_addc_u32 s1, s2, 0
	global_load_ushort v26, v20, s[0:1]
	s_lshl_b32 s0, -1, s17
	s_waitcnt vmcnt(1)
	v_lshrrev_b64 v[22:23], s16, v[6:7]
	s_not_b32 s27, s0
	v_and_b32_e32 v22, s27, v22
	v_and_b32_e32 v28, 1, v22
	v_bfe_u32 v21, v0, 10, 10
	v_bfe_u32 v27, v0, 20, 10
	v_add_co_u32_e32 v29, vcc, -1, v28
	v_mad_u32_u24 v23, v27, s3, v21
	v_lshlrev_b32_e32 v21, 30, v22
	v_addc_co_u32_e64 v30, s[0:1], 0, -1, vcc
	v_cmp_ne_u32_e32 vcc, 0, v28
	v_cmp_gt_i64_e64 s[0:1], 0, v[20:21]
	v_not_b32_e32 v28, v21
	v_lshlrev_b32_e32 v21, 29, v22
	v_xor_b32_e32 v30, vcc_hi, v30
	v_xor_b32_e32 v29, vcc_lo, v29
	v_ashrrev_i32_e32 v28, 31, v28
	v_cmp_gt_i64_e32 vcc, 0, v[20:21]
	v_not_b32_e32 v31, v21
	v_lshlrev_b32_e32 v21, 28, v22
	v_and_b32_e32 v30, exec_hi, v30
	v_and_b32_e32 v29, exec_lo, v29
	v_xor_b32_e32 v32, s1, v28
	v_xor_b32_e32 v28, s0, v28
	v_ashrrev_i32_e32 v31, 31, v31
	v_cmp_gt_i64_e64 s[0:1], 0, v[20:21]
	v_not_b32_e32 v33, v21
	v_lshlrev_b32_e32 v21, 27, v22
	v_and_b32_e32 v30, v30, v32
	v_and_b32_e32 v28, v29, v28
	v_xor_b32_e32 v29, vcc_hi, v31
	v_xor_b32_e32 v31, vcc_lo, v31
	v_ashrrev_i32_e32 v32, 31, v33
	v_cmp_gt_i64_e32 vcc, 0, v[20:21]
	v_not_b32_e32 v33, v21
	v_lshlrev_b32_e32 v21, 26, v22
	v_and_b32_e32 v29, v30, v29
	v_and_b32_e32 v28, v28, v31
	v_xor_b32_e32 v30, s1, v32
	v_xor_b32_e32 v31, s0, v32
	v_ashrrev_i32_e32 v32, 31, v33
	v_cmp_gt_i64_e64 s[0:1], 0, v[20:21]
	v_not_b32_e32 v33, v21
	v_lshlrev_b32_e32 v21, 25, v22
	v_and_b32_e32 v29, v29, v30
	v_and_b32_e32 v28, v28, v31
	v_xor_b32_e32 v30, vcc_hi, v32
	v_xor_b32_e32 v31, vcc_lo, v32
	v_ashrrev_i32_e32 v32, 31, v33
	v_not_b32_e32 v33, v21
	v_lshl_add_u32 v27, v22, 4, v22
	v_cmp_gt_i64_e32 vcc, 0, v[20:21]
	v_lshlrev_b32_e32 v21, 24, v22
	v_and_b32_e32 v22, v29, v30
	v_and_b32_e32 v28, v28, v31
	v_xor_b32_e32 v29, s1, v32
	v_ashrrev_i32_e32 v31, 31, v33
	v_xor_b32_e32 v30, s0, v32
	v_cmp_gt_i64_e64 s[0:1], 0, v[20:21]
	v_not_b32_e32 v21, v21
	v_and_b32_e32 v22, v22, v29
	v_xor_b32_e32 v29, vcc_hi, v31
	v_and_b32_e32 v28, v28, v30
	v_xor_b32_e32 v30, vcc_lo, v31
	v_ashrrev_i32_e32 v21, 31, v21
	v_and_b32_e32 v29, v22, v29
	v_and_b32_e32 v28, v28, v30
	v_mul_u32_u24_e32 v25, 5, v2
	v_lshlrev_b32_e32 v25, 2, v25
	ds_write2_b32 v25, v20, v20 offset0:16 offset1:17
	ds_write2_b32 v25, v20, v20 offset0:18 offset1:19
	ds_write_b32 v25, v20 offset:80
	s_waitcnt lgkmcnt(0)
	s_barrier
	s_waitcnt lgkmcnt(0)
	; wave barrier
	s_waitcnt vmcnt(0)
	v_mad_u64_u32 v[22:23], s[2:3], v23, v26, v[2:3]
	v_lshrrev_b32_e32 v37, 6, v22
	v_xor_b32_e32 v22, s1, v21
	v_xor_b32_e32 v21, s0, v21
	v_and_b32_e32 v23, v29, v22
	v_and_b32_e32 v22, v28, v21
	v_mbcnt_lo_u32_b32 v21, v22, 0
	v_mbcnt_hi_u32_b32 v26, v23, v21
	v_cmp_eq_u32_e32 vcc, 0, v26
	v_cmp_ne_u64_e64 s[0:1], 0, v[22:23]
	v_add_lshl_u32 v30, v37, v27, 2
	s_and_b64 s[2:3], s[0:1], vcc
	s_and_saveexec_b64 s[0:1], s[2:3]
	s_cbranch_execz .LBB913_19
; %bb.18:
	v_bcnt_u32_b32 v21, v22, 0
	v_bcnt_u32_b32 v21, v23, v21
	ds_write_b32 v30, v21 offset:64
.LBB913_19:
	s_or_b64 exec, exec, s[0:1]
	v_lshrrev_b64 v[22:23], s16, v[4:5]
	v_and_b32_e32 v22, s27, v22
	v_lshl_add_u32 v21, v22, 4, v22
	v_add_lshl_u32 v31, v37, v21, 2
	v_and_b32_e32 v21, 1, v22
	v_add_co_u32_e32 v23, vcc, -1, v21
	v_addc_co_u32_e64 v28, s[0:1], 0, -1, vcc
	v_cmp_ne_u32_e32 vcc, 0, v21
	v_xor_b32_e32 v21, vcc_hi, v28
	v_and_b32_e32 v28, exec_hi, v21
	v_lshlrev_b32_e32 v21, 30, v22
	v_xor_b32_e32 v23, vcc_lo, v23
	v_cmp_gt_i64_e32 vcc, 0, v[20:21]
	v_not_b32_e32 v21, v21
	v_ashrrev_i32_e32 v21, 31, v21
	v_and_b32_e32 v23, exec_lo, v23
	v_xor_b32_e32 v29, vcc_hi, v21
	v_xor_b32_e32 v21, vcc_lo, v21
	v_and_b32_e32 v23, v23, v21
	v_lshlrev_b32_e32 v21, 29, v22
	v_cmp_gt_i64_e32 vcc, 0, v[20:21]
	v_not_b32_e32 v21, v21
	v_ashrrev_i32_e32 v21, 31, v21
	v_and_b32_e32 v28, v28, v29
	v_xor_b32_e32 v29, vcc_hi, v21
	v_xor_b32_e32 v21, vcc_lo, v21
	v_and_b32_e32 v23, v23, v21
	v_lshlrev_b32_e32 v21, 28, v22
	v_cmp_gt_i64_e32 vcc, 0, v[20:21]
	v_not_b32_e32 v21, v21
	v_ashrrev_i32_e32 v21, 31, v21
	v_and_b32_e32 v28, v28, v29
	;; [unrolled: 8-line block ×5, first 2 shown]
	v_xor_b32_e32 v29, vcc_hi, v21
	v_xor_b32_e32 v21, vcc_lo, v21
	v_and_b32_e32 v23, v23, v21
	v_lshlrev_b32_e32 v21, 24, v22
	v_cmp_gt_i64_e32 vcc, 0, v[20:21]
	v_not_b32_e32 v20, v21
	v_ashrrev_i32_e32 v20, 31, v20
	v_xor_b32_e32 v21, vcc_hi, v20
	v_xor_b32_e32 v20, vcc_lo, v20
	; wave barrier
	ds_read_b32 v27, v31 offset:64
	v_and_b32_e32 v28, v28, v29
	v_and_b32_e32 v20, v23, v20
	;; [unrolled: 1-line block ×3, first 2 shown]
	v_mbcnt_lo_u32_b32 v22, v20, 0
	v_mbcnt_hi_u32_b32 v28, v21, v22
	v_cmp_eq_u32_e32 vcc, 0, v28
	v_cmp_ne_u64_e64 s[0:1], 0, v[20:21]
	s_and_b64 s[2:3], s[0:1], vcc
	; wave barrier
	s_and_saveexec_b64 s[0:1], s[2:3]
	s_cbranch_execz .LBB913_21
; %bb.20:
	v_bcnt_u32_b32 v20, v20, 0
	v_bcnt_u32_b32 v20, v21, v20
	s_waitcnt lgkmcnt(0)
	v_add_u32_e32 v20, v27, v20
	ds_write_b32 v31, v20 offset:64
.LBB913_21:
	s_or_b64 exec, exec, s[0:1]
	v_lshrrev_b64 v[20:21], s16, v[10:11]
	v_and_b32_e32 v22, s27, v20
	v_and_b32_e32 v21, 1, v22
	v_add_co_u32_e32 v23, vcc, -1, v21
	v_addc_co_u32_e64 v32, s[0:1], 0, -1, vcc
	v_cmp_ne_u32_e32 vcc, 0, v21
	v_lshl_add_u32 v20, v22, 4, v22
	v_xor_b32_e32 v21, vcc_hi, v32
	v_add_lshl_u32 v34, v37, v20, 2
	v_mov_b32_e32 v20, 0
	v_and_b32_e32 v32, exec_hi, v21
	v_lshlrev_b32_e32 v21, 30, v22
	v_xor_b32_e32 v23, vcc_lo, v23
	v_cmp_gt_i64_e32 vcc, 0, v[20:21]
	v_not_b32_e32 v21, v21
	v_ashrrev_i32_e32 v21, 31, v21
	v_and_b32_e32 v23, exec_lo, v23
	v_xor_b32_e32 v33, vcc_hi, v21
	v_xor_b32_e32 v21, vcc_lo, v21
	v_and_b32_e32 v23, v23, v21
	v_lshlrev_b32_e32 v21, 29, v22
	v_cmp_gt_i64_e32 vcc, 0, v[20:21]
	v_not_b32_e32 v21, v21
	v_ashrrev_i32_e32 v21, 31, v21
	v_and_b32_e32 v32, v32, v33
	v_xor_b32_e32 v33, vcc_hi, v21
	v_xor_b32_e32 v21, vcc_lo, v21
	v_and_b32_e32 v23, v23, v21
	v_lshlrev_b32_e32 v21, 28, v22
	v_cmp_gt_i64_e32 vcc, 0, v[20:21]
	v_not_b32_e32 v21, v21
	v_ashrrev_i32_e32 v21, 31, v21
	v_and_b32_e32 v32, v32, v33
	;; [unrolled: 8-line block ×5, first 2 shown]
	v_xor_b32_e32 v33, vcc_hi, v21
	v_xor_b32_e32 v21, vcc_lo, v21
	v_and_b32_e32 v32, v32, v33
	v_and_b32_e32 v33, v23, v21
	v_lshlrev_b32_e32 v21, 24, v22
	v_cmp_gt_i64_e32 vcc, 0, v[20:21]
	v_not_b32_e32 v21, v21
	v_ashrrev_i32_e32 v21, 31, v21
	v_xor_b32_e32 v22, vcc_hi, v21
	v_xor_b32_e32 v21, vcc_lo, v21
	; wave barrier
	ds_read_b32 v29, v34 offset:64
	v_and_b32_e32 v23, v32, v22
	v_and_b32_e32 v22, v33, v21
	v_mbcnt_lo_u32_b32 v21, v22, 0
	v_mbcnt_hi_u32_b32 v32, v23, v21
	v_cmp_eq_u32_e32 vcc, 0, v32
	v_cmp_ne_u64_e64 s[0:1], 0, v[22:23]
	s_and_b64 s[2:3], s[0:1], vcc
	; wave barrier
	s_and_saveexec_b64 s[0:1], s[2:3]
	s_cbranch_execz .LBB913_23
; %bb.22:
	v_bcnt_u32_b32 v21, v22, 0
	v_bcnt_u32_b32 v21, v23, v21
	s_waitcnt lgkmcnt(0)
	v_add_u32_e32 v21, v29, v21
	ds_write_b32 v34, v21 offset:64
.LBB913_23:
	s_or_b64 exec, exec, s[0:1]
	v_lshrrev_b64 v[22:23], s16, v[8:9]
	v_and_b32_e32 v22, s27, v22
	v_lshl_add_u32 v21, v22, 4, v22
	v_add_lshl_u32 v38, v37, v21, 2
	v_and_b32_e32 v21, 1, v22
	v_add_co_u32_e32 v23, vcc, -1, v21
	v_addc_co_u32_e64 v35, s[0:1], 0, -1, vcc
	v_cmp_ne_u32_e32 vcc, 0, v21
	v_xor_b32_e32 v21, vcc_hi, v35
	v_and_b32_e32 v35, exec_hi, v21
	v_lshlrev_b32_e32 v21, 30, v22
	v_xor_b32_e32 v23, vcc_lo, v23
	v_cmp_gt_i64_e32 vcc, 0, v[20:21]
	v_not_b32_e32 v21, v21
	v_ashrrev_i32_e32 v21, 31, v21
	v_and_b32_e32 v23, exec_lo, v23
	v_xor_b32_e32 v36, vcc_hi, v21
	v_xor_b32_e32 v21, vcc_lo, v21
	v_and_b32_e32 v23, v23, v21
	v_lshlrev_b32_e32 v21, 29, v22
	v_cmp_gt_i64_e32 vcc, 0, v[20:21]
	v_not_b32_e32 v21, v21
	v_ashrrev_i32_e32 v21, 31, v21
	v_and_b32_e32 v35, v35, v36
	v_xor_b32_e32 v36, vcc_hi, v21
	v_xor_b32_e32 v21, vcc_lo, v21
	v_and_b32_e32 v23, v23, v21
	v_lshlrev_b32_e32 v21, 28, v22
	v_cmp_gt_i64_e32 vcc, 0, v[20:21]
	v_not_b32_e32 v21, v21
	v_ashrrev_i32_e32 v21, 31, v21
	v_and_b32_e32 v35, v35, v36
	;; [unrolled: 8-line block ×5, first 2 shown]
	v_xor_b32_e32 v36, vcc_hi, v21
	v_xor_b32_e32 v21, vcc_lo, v21
	v_and_b32_e32 v23, v23, v21
	v_lshlrev_b32_e32 v21, 24, v22
	v_cmp_gt_i64_e32 vcc, 0, v[20:21]
	v_not_b32_e32 v20, v21
	v_ashrrev_i32_e32 v20, 31, v20
	v_xor_b32_e32 v21, vcc_hi, v20
	v_xor_b32_e32 v20, vcc_lo, v20
	; wave barrier
	ds_read_b32 v33, v38 offset:64
	v_and_b32_e32 v35, v35, v36
	v_and_b32_e32 v20, v23, v20
	;; [unrolled: 1-line block ×3, first 2 shown]
	v_mbcnt_lo_u32_b32 v22, v20, 0
	v_mbcnt_hi_u32_b32 v35, v21, v22
	v_cmp_eq_u32_e32 vcc, 0, v35
	v_cmp_ne_u64_e64 s[0:1], 0, v[20:21]
	s_and_b64 s[2:3], s[0:1], vcc
	; wave barrier
	s_and_saveexec_b64 s[0:1], s[2:3]
	s_cbranch_execz .LBB913_25
; %bb.24:
	v_bcnt_u32_b32 v20, v20, 0
	v_bcnt_u32_b32 v20, v21, v20
	s_waitcnt lgkmcnt(0)
	v_add_u32_e32 v20, v33, v20
	ds_write_b32 v38, v20 offset:64
.LBB913_25:
	s_or_b64 exec, exec, s[0:1]
	v_lshrrev_b64 v[20:21], s16, v[14:15]
	v_and_b32_e32 v22, s27, v20
	v_and_b32_e32 v21, 1, v22
	v_add_co_u32_e32 v23, vcc, -1, v21
	v_addc_co_u32_e64 v39, s[0:1], 0, -1, vcc
	v_cmp_ne_u32_e32 vcc, 0, v21
	v_lshl_add_u32 v20, v22, 4, v22
	v_xor_b32_e32 v21, vcc_hi, v39
	v_add_lshl_u32 v41, v37, v20, 2
	v_mov_b32_e32 v20, 0
	v_and_b32_e32 v39, exec_hi, v21
	v_lshlrev_b32_e32 v21, 30, v22
	v_xor_b32_e32 v23, vcc_lo, v23
	v_cmp_gt_i64_e32 vcc, 0, v[20:21]
	v_not_b32_e32 v21, v21
	v_ashrrev_i32_e32 v21, 31, v21
	v_and_b32_e32 v23, exec_lo, v23
	v_xor_b32_e32 v40, vcc_hi, v21
	v_xor_b32_e32 v21, vcc_lo, v21
	v_and_b32_e32 v23, v23, v21
	v_lshlrev_b32_e32 v21, 29, v22
	v_cmp_gt_i64_e32 vcc, 0, v[20:21]
	v_not_b32_e32 v21, v21
	v_ashrrev_i32_e32 v21, 31, v21
	v_and_b32_e32 v39, v39, v40
	v_xor_b32_e32 v40, vcc_hi, v21
	v_xor_b32_e32 v21, vcc_lo, v21
	v_and_b32_e32 v23, v23, v21
	v_lshlrev_b32_e32 v21, 28, v22
	v_cmp_gt_i64_e32 vcc, 0, v[20:21]
	v_not_b32_e32 v21, v21
	v_ashrrev_i32_e32 v21, 31, v21
	v_and_b32_e32 v39, v39, v40
	;; [unrolled: 8-line block ×5, first 2 shown]
	v_xor_b32_e32 v40, vcc_hi, v21
	v_xor_b32_e32 v21, vcc_lo, v21
	v_and_b32_e32 v39, v39, v40
	v_and_b32_e32 v40, v23, v21
	v_lshlrev_b32_e32 v21, 24, v22
	v_cmp_gt_i64_e32 vcc, 0, v[20:21]
	v_not_b32_e32 v21, v21
	v_ashrrev_i32_e32 v21, 31, v21
	v_xor_b32_e32 v22, vcc_hi, v21
	v_xor_b32_e32 v21, vcc_lo, v21
	; wave barrier
	ds_read_b32 v36, v41 offset:64
	v_and_b32_e32 v23, v39, v22
	v_and_b32_e32 v22, v40, v21
	v_mbcnt_lo_u32_b32 v21, v22, 0
	v_mbcnt_hi_u32_b32 v39, v23, v21
	v_cmp_eq_u32_e32 vcc, 0, v39
	v_cmp_ne_u64_e64 s[0:1], 0, v[22:23]
	s_and_b64 s[2:3], s[0:1], vcc
	; wave barrier
	s_and_saveexec_b64 s[0:1], s[2:3]
	s_cbranch_execz .LBB913_27
; %bb.26:
	v_bcnt_u32_b32 v21, v22, 0
	v_bcnt_u32_b32 v21, v23, v21
	s_waitcnt lgkmcnt(0)
	v_add_u32_e32 v21, v36, v21
	ds_write_b32 v41, v21 offset:64
.LBB913_27:
	s_or_b64 exec, exec, s[0:1]
	v_lshrrev_b64 v[22:23], s16, v[12:13]
	v_and_b32_e32 v22, s27, v22
	v_lshl_add_u32 v21, v22, 4, v22
	v_add_lshl_u32 v44, v37, v21, 2
	v_and_b32_e32 v21, 1, v22
	v_add_co_u32_e32 v23, vcc, -1, v21
	v_addc_co_u32_e64 v42, s[0:1], 0, -1, vcc
	v_cmp_ne_u32_e32 vcc, 0, v21
	v_xor_b32_e32 v21, vcc_hi, v42
	v_and_b32_e32 v42, exec_hi, v21
	v_lshlrev_b32_e32 v21, 30, v22
	v_xor_b32_e32 v23, vcc_lo, v23
	v_cmp_gt_i64_e32 vcc, 0, v[20:21]
	v_not_b32_e32 v21, v21
	v_ashrrev_i32_e32 v21, 31, v21
	v_and_b32_e32 v23, exec_lo, v23
	v_xor_b32_e32 v43, vcc_hi, v21
	v_xor_b32_e32 v21, vcc_lo, v21
	v_and_b32_e32 v23, v23, v21
	v_lshlrev_b32_e32 v21, 29, v22
	v_cmp_gt_i64_e32 vcc, 0, v[20:21]
	v_not_b32_e32 v21, v21
	v_ashrrev_i32_e32 v21, 31, v21
	v_and_b32_e32 v42, v42, v43
	v_xor_b32_e32 v43, vcc_hi, v21
	v_xor_b32_e32 v21, vcc_lo, v21
	v_and_b32_e32 v23, v23, v21
	v_lshlrev_b32_e32 v21, 28, v22
	v_cmp_gt_i64_e32 vcc, 0, v[20:21]
	v_not_b32_e32 v21, v21
	v_ashrrev_i32_e32 v21, 31, v21
	v_and_b32_e32 v42, v42, v43
	;; [unrolled: 8-line block ×5, first 2 shown]
	v_xor_b32_e32 v43, vcc_hi, v21
	v_xor_b32_e32 v21, vcc_lo, v21
	v_and_b32_e32 v23, v23, v21
	v_lshlrev_b32_e32 v21, 24, v22
	v_cmp_gt_i64_e32 vcc, 0, v[20:21]
	v_not_b32_e32 v20, v21
	v_ashrrev_i32_e32 v20, 31, v20
	v_xor_b32_e32 v21, vcc_hi, v20
	v_xor_b32_e32 v20, vcc_lo, v20
	; wave barrier
	ds_read_b32 v40, v44 offset:64
	v_and_b32_e32 v42, v42, v43
	v_and_b32_e32 v20, v23, v20
	;; [unrolled: 1-line block ×3, first 2 shown]
	v_mbcnt_lo_u32_b32 v22, v20, 0
	v_mbcnt_hi_u32_b32 v42, v21, v22
	v_cmp_eq_u32_e32 vcc, 0, v42
	v_cmp_ne_u64_e64 s[0:1], 0, v[20:21]
	s_and_b64 s[2:3], s[0:1], vcc
	; wave barrier
	s_and_saveexec_b64 s[0:1], s[2:3]
	s_cbranch_execz .LBB913_29
; %bb.28:
	v_bcnt_u32_b32 v20, v20, 0
	v_bcnt_u32_b32 v20, v21, v20
	s_waitcnt lgkmcnt(0)
	v_add_u32_e32 v20, v40, v20
	ds_write_b32 v44, v20 offset:64
.LBB913_29:
	s_or_b64 exec, exec, s[0:1]
	v_lshrrev_b64 v[20:21], s16, v[18:19]
	v_and_b32_e32 v22, s27, v20
	v_and_b32_e32 v21, 1, v22
	v_add_co_u32_e32 v23, vcc, -1, v21
	v_addc_co_u32_e64 v45, s[0:1], 0, -1, vcc
	v_cmp_ne_u32_e32 vcc, 0, v21
	v_lshl_add_u32 v20, v22, 4, v22
	v_xor_b32_e32 v21, vcc_hi, v45
	v_add_lshl_u32 v46, v37, v20, 2
	v_mov_b32_e32 v20, 0
	v_and_b32_e32 v45, exec_hi, v21
	v_lshlrev_b32_e32 v21, 30, v22
	v_xor_b32_e32 v23, vcc_lo, v23
	v_cmp_gt_i64_e32 vcc, 0, v[20:21]
	v_not_b32_e32 v21, v21
	v_ashrrev_i32_e32 v21, 31, v21
	v_and_b32_e32 v23, exec_lo, v23
	v_xor_b32_e32 v47, vcc_hi, v21
	v_xor_b32_e32 v21, vcc_lo, v21
	v_and_b32_e32 v23, v23, v21
	v_lshlrev_b32_e32 v21, 29, v22
	v_cmp_gt_i64_e32 vcc, 0, v[20:21]
	v_not_b32_e32 v21, v21
	v_ashrrev_i32_e32 v21, 31, v21
	v_and_b32_e32 v45, v45, v47
	v_xor_b32_e32 v47, vcc_hi, v21
	v_xor_b32_e32 v21, vcc_lo, v21
	v_and_b32_e32 v23, v23, v21
	v_lshlrev_b32_e32 v21, 28, v22
	v_cmp_gt_i64_e32 vcc, 0, v[20:21]
	v_not_b32_e32 v21, v21
	v_ashrrev_i32_e32 v21, 31, v21
	v_and_b32_e32 v45, v45, v47
	v_xor_b32_e32 v47, vcc_hi, v21
	v_xor_b32_e32 v21, vcc_lo, v21
	v_and_b32_e32 v23, v23, v21
	v_lshlrev_b32_e32 v21, 27, v22
	v_cmp_gt_i64_e32 vcc, 0, v[20:21]
	v_not_b32_e32 v21, v21
	v_ashrrev_i32_e32 v21, 31, v21
	v_and_b32_e32 v45, v45, v47
	v_xor_b32_e32 v47, vcc_hi, v21
	v_xor_b32_e32 v21, vcc_lo, v21
	v_and_b32_e32 v23, v23, v21
	v_lshlrev_b32_e32 v21, 26, v22
	v_cmp_gt_i64_e32 vcc, 0, v[20:21]
	v_not_b32_e32 v21, v21
	v_ashrrev_i32_e32 v21, 31, v21
	v_and_b32_e32 v45, v45, v47
	v_xor_b32_e32 v47, vcc_hi, v21
	v_xor_b32_e32 v21, vcc_lo, v21
	v_and_b32_e32 v23, v23, v21
	v_lshlrev_b32_e32 v21, 25, v22
	v_cmp_gt_i64_e32 vcc, 0, v[20:21]
	v_not_b32_e32 v21, v21
	v_ashrrev_i32_e32 v21, 31, v21
	v_and_b32_e32 v45, v45, v47
	v_xor_b32_e32 v47, vcc_hi, v21
	v_xor_b32_e32 v21, vcc_lo, v21
	v_and_b32_e32 v45, v45, v47
	v_and_b32_e32 v47, v23, v21
	v_lshlrev_b32_e32 v21, 24, v22
	v_cmp_gt_i64_e32 vcc, 0, v[20:21]
	v_not_b32_e32 v21, v21
	v_ashrrev_i32_e32 v21, 31, v21
	v_xor_b32_e32 v22, vcc_hi, v21
	v_xor_b32_e32 v21, vcc_lo, v21
	; wave barrier
	ds_read_b32 v43, v46 offset:64
	v_and_b32_e32 v23, v45, v22
	v_and_b32_e32 v22, v47, v21
	v_mbcnt_lo_u32_b32 v21, v22, 0
	v_mbcnt_hi_u32_b32 v45, v23, v21
	v_cmp_eq_u32_e32 vcc, 0, v45
	v_cmp_ne_u64_e64 s[0:1], 0, v[22:23]
	s_and_b64 s[2:3], s[0:1], vcc
	; wave barrier
	s_and_saveexec_b64 s[0:1], s[2:3]
	s_cbranch_execz .LBB913_31
; %bb.30:
	v_bcnt_u32_b32 v21, v22, 0
	v_bcnt_u32_b32 v21, v23, v21
	s_waitcnt lgkmcnt(0)
	v_add_u32_e32 v21, v43, v21
	ds_write_b32 v46, v21 offset:64
.LBB913_31:
	s_or_b64 exec, exec, s[0:1]
	v_lshrrev_b64 v[22:23], s16, v[16:17]
	v_and_b32_e32 v22, s27, v22
	v_lshl_add_u32 v21, v22, 4, v22
	v_add_lshl_u32 v49, v37, v21, 2
	v_and_b32_e32 v21, 1, v22
	v_add_co_u32_e32 v23, vcc, -1, v21
	v_addc_co_u32_e64 v47, s[0:1], 0, -1, vcc
	v_cmp_ne_u32_e32 vcc, 0, v21
	v_xor_b32_e32 v21, vcc_hi, v47
	v_and_b32_e32 v47, exec_hi, v21
	v_lshlrev_b32_e32 v21, 30, v22
	v_xor_b32_e32 v23, vcc_lo, v23
	v_cmp_gt_i64_e32 vcc, 0, v[20:21]
	v_not_b32_e32 v21, v21
	v_ashrrev_i32_e32 v21, 31, v21
	v_and_b32_e32 v23, exec_lo, v23
	v_xor_b32_e32 v48, vcc_hi, v21
	v_xor_b32_e32 v21, vcc_lo, v21
	v_and_b32_e32 v23, v23, v21
	v_lshlrev_b32_e32 v21, 29, v22
	v_cmp_gt_i64_e32 vcc, 0, v[20:21]
	v_not_b32_e32 v21, v21
	v_ashrrev_i32_e32 v21, 31, v21
	v_and_b32_e32 v47, v47, v48
	v_xor_b32_e32 v48, vcc_hi, v21
	v_xor_b32_e32 v21, vcc_lo, v21
	v_and_b32_e32 v23, v23, v21
	v_lshlrev_b32_e32 v21, 28, v22
	v_cmp_gt_i64_e32 vcc, 0, v[20:21]
	v_not_b32_e32 v21, v21
	v_ashrrev_i32_e32 v21, 31, v21
	v_and_b32_e32 v47, v47, v48
	;; [unrolled: 8-line block ×5, first 2 shown]
	v_xor_b32_e32 v48, vcc_hi, v21
	v_xor_b32_e32 v21, vcc_lo, v21
	v_and_b32_e32 v23, v23, v21
	v_lshlrev_b32_e32 v21, 24, v22
	v_cmp_gt_i64_e32 vcc, 0, v[20:21]
	v_not_b32_e32 v20, v21
	v_ashrrev_i32_e32 v20, 31, v20
	v_xor_b32_e32 v21, vcc_hi, v20
	v_xor_b32_e32 v20, vcc_lo, v20
	; wave barrier
	ds_read_b32 v37, v49 offset:64
	v_and_b32_e32 v47, v47, v48
	v_and_b32_e32 v20, v23, v20
	;; [unrolled: 1-line block ×3, first 2 shown]
	v_mbcnt_lo_u32_b32 v22, v20, 0
	v_mbcnt_hi_u32_b32 v47, v21, v22
	v_cmp_eq_u32_e32 vcc, 0, v47
	v_cmp_ne_u64_e64 s[0:1], 0, v[20:21]
	v_add_u32_e32 v50, 64, v25
	s_and_b64 s[2:3], s[0:1], vcc
	; wave barrier
	s_and_saveexec_b64 s[0:1], s[2:3]
	s_cbranch_execz .LBB913_33
; %bb.32:
	v_bcnt_u32_b32 v20, v20, 0
	v_bcnt_u32_b32 v20, v21, v20
	s_waitcnt lgkmcnt(0)
	v_add_u32_e32 v20, v37, v20
	ds_write_b32 v49, v20 offset:64
.LBB913_33:
	s_or_b64 exec, exec, s[0:1]
	; wave barrier
	s_waitcnt lgkmcnt(0)
	s_barrier
	ds_read2_b32 v[22:23], v25 offset0:16 offset1:17
	ds_read2_b32 v[20:21], v50 offset0:2 offset1:3
	ds_read_b32 v48, v50 offset:16
	v_cmp_lt_u32_e64 s[10:11], 31, v24
	s_waitcnt lgkmcnt(1)
	v_add3_u32 v51, v23, v22, v20
	s_waitcnt lgkmcnt(0)
	v_add3_u32 v48, v51, v21, v48
	v_and_b32_e32 v51, 15, v24
	v_cmp_eq_u32_e32 vcc, 0, v51
	v_mov_b32_dpp v52, v48 row_shr:1 row_mask:0xf bank_mask:0xf
	v_cndmask_b32_e64 v52, v52, 0, vcc
	v_add_u32_e32 v48, v52, v48
	v_cmp_lt_u32_e64 s[0:1], 1, v51
	v_cmp_lt_u32_e64 s[2:3], 3, v51
	v_mov_b32_dpp v52, v48 row_shr:2 row_mask:0xf bank_mask:0xf
	v_cndmask_b32_e64 v52, 0, v52, s[0:1]
	v_add_u32_e32 v48, v48, v52
	v_cmp_lt_u32_e64 s[8:9], 7, v51
	s_nop 0
	v_mov_b32_dpp v52, v48 row_shr:4 row_mask:0xf bank_mask:0xf
	v_cndmask_b32_e64 v52, 0, v52, s[2:3]
	v_add_u32_e32 v48, v48, v52
	s_nop 1
	v_mov_b32_dpp v52, v48 row_shr:8 row_mask:0xf bank_mask:0xf
	v_cndmask_b32_e64 v51, 0, v52, s[8:9]
	v_add_u32_e32 v48, v48, v51
	v_bfe_i32 v52, v24, 4, 1
	s_nop 0
	v_mov_b32_dpp v51, v48 row_bcast:15 row_mask:0xf bank_mask:0xf
	v_and_b32_e32 v51, v52, v51
	v_add_u32_e32 v48, v48, v51
	v_lshrrev_b32_e32 v52, 6, v2
	s_nop 0
	v_mov_b32_dpp v51, v48 row_bcast:31 row_mask:0xf bank_mask:0xf
	v_cndmask_b32_e64 v51, 0, v51, s[10:11]
	v_add_u32_e32 v51, v48, v51
	v_and_b32_e32 v48, 63, v2
	v_cmp_eq_u32_e64 s[10:11], 63, v48
	s_and_saveexec_b64 s[18:19], s[10:11]
	s_cbranch_execz .LBB913_35
; %bb.34:
	v_lshlrev_b32_e32 v48, 2, v52
	ds_write_b32 v48, v51
.LBB913_35:
	s_or_b64 exec, exec, s[18:19]
	v_cmp_gt_u32_e64 s[10:11], 16, v2
	v_lshlrev_b32_e32 v48, 2, v2
	s_waitcnt lgkmcnt(0)
	s_barrier
	s_and_saveexec_b64 s[18:19], s[10:11]
	s_cbranch_execz .LBB913_37
; %bb.36:
	ds_read_b32 v53, v48
	s_waitcnt lgkmcnt(0)
	s_nop 0
	v_mov_b32_dpp v54, v53 row_shr:1 row_mask:0xf bank_mask:0xf
	v_cndmask_b32_e64 v54, v54, 0, vcc
	v_add_u32_e32 v53, v54, v53
	s_nop 1
	v_mov_b32_dpp v54, v53 row_shr:2 row_mask:0xf bank_mask:0xf
	v_cndmask_b32_e64 v54, 0, v54, s[0:1]
	v_add_u32_e32 v53, v53, v54
	s_nop 1
	v_mov_b32_dpp v54, v53 row_shr:4 row_mask:0xf bank_mask:0xf
	v_cndmask_b32_e64 v54, 0, v54, s[2:3]
	;; [unrolled: 4-line block ×3, first 2 shown]
	v_add_u32_e32 v53, v53, v54
	ds_write_b32 v48, v53
.LBB913_37:
	s_or_b64 exec, exec, s[18:19]
	v_cmp_lt_u32_e32 vcc, 63, v2
	v_mov_b32_e32 v53, 0
	s_waitcnt lgkmcnt(0)
	s_barrier
	s_and_saveexec_b64 s[0:1], vcc
	s_cbranch_execz .LBB913_39
; %bb.38:
	v_lshl_add_u32 v52, v52, 2, -4
	ds_read_b32 v53, v52
.LBB913_39:
	s_or_b64 exec, exec, s[0:1]
	v_add_u32_e32 v52, -1, v24
	v_and_b32_e32 v54, 64, v24
	v_cmp_lt_i32_e32 vcc, v52, v54
	v_cndmask_b32_e32 v52, v52, v24, vcc
	s_waitcnt lgkmcnt(0)
	v_add_u32_e32 v51, v53, v51
	v_lshlrev_b32_e32 v52, 2, v52
	ds_bpermute_b32 v51, v52, v51
	v_cmp_eq_u32_e32 vcc, 0, v24
	s_movk_i32 s0, 0x100
	s_waitcnt lgkmcnt(0)
	v_cndmask_b32_e32 v24, v51, v53, vcc
	v_cmp_ne_u32_e32 vcc, 0, v2
	v_cndmask_b32_e32 v24, 0, v24, vcc
	v_add_u32_e32 v22, v24, v22
	v_add_u32_e32 v23, v22, v23
	;; [unrolled: 1-line block ×4, first 2 shown]
	ds_write2_b32 v25, v24, v22 offset0:16 offset1:17
	ds_write2_b32 v50, v23, v20 offset0:2 offset1:3
	ds_write_b32 v50, v21 offset:16
	s_waitcnt lgkmcnt(0)
	s_barrier
	ds_read_b32 v51, v30 offset:64
	ds_read_b32 v50, v31 offset:64
	;; [unrolled: 1-line block ×8, first 2 shown]
	v_cmp_gt_u32_e32 vcc, s0, v2
                                        ; implicit-def: $vgpr30
                                        ; implicit-def: $vgpr31
	s_and_saveexec_b64 s[2:3], vcc
	s_cbranch_execz .LBB913_43
; %bb.40:
	v_mul_u32_u24_e32 v20, 17, v2
	v_lshlrev_b32_e32 v21, 2, v20
	ds_read_b32 v30, v21 offset:64
	s_movk_i32 s0, 0xff
	v_cmp_ne_u32_e64 s[0:1], s0, v2
	v_mov_b32_e32 v20, 0x2000
	s_and_saveexec_b64 s[8:9], s[0:1]
	s_cbranch_execz .LBB913_42
; %bb.41:
	ds_read_b32 v20, v21 offset:132
.LBB913_42:
	s_or_b64 exec, exec, s[8:9]
	s_waitcnt lgkmcnt(0)
	v_sub_u32_e32 v31, v20, v30
.LBB913_43:
	s_or_b64 exec, exec, s[2:3]
	s_waitcnt lgkmcnt(0)
	s_barrier
	s_and_saveexec_b64 s[2:3], vcc
	s_cbranch_execz .LBB913_53
; %bb.44:
	v_lshl_or_b32 v20, s6, 8, v2
	v_mov_b32_e32 v21, 0
	v_lshlrev_b64 v[22:23], 2, v[20:21]
	v_mov_b32_e32 v52, s25
	v_add_co_u32_e64 v22, s[0:1], s24, v22
	v_addc_co_u32_e64 v23, s[0:1], v52, v23, s[0:1]
	v_or_b32_e32 v20, 2.0, v31
	s_mov_b64 s[8:9], 0
	s_brev_b32 s28, 1
	s_mov_b32 s29, s6
	v_mov_b32_e32 v53, 0
	global_store_dword v[22:23], v20, off
                                        ; implicit-def: $sgpr0_sgpr1
	s_branch .LBB913_46
.LBB913_45:                             ;   in Loop: Header=BB913_46 Depth=1
	s_or_b64 exec, exec, s[10:11]
	v_and_b32_e32 v24, 0x3fffffff, v54
	v_add_u32_e32 v53, v24, v53
	v_cmp_eq_u32_e64 s[0:1], s28, v20
	s_and_b64 s[10:11], exec, s[0:1]
	s_or_b64 s[8:9], s[10:11], s[8:9]
	s_andn2_b64 exec, exec, s[8:9]
	s_cbranch_execz .LBB913_52
.LBB913_46:                             ; =>This Loop Header: Depth=1
                                        ;     Child Loop BB913_49 Depth 2
	s_or_b64 s[0:1], s[0:1], exec
	s_cmp_eq_u32 s29, 0
	s_cbranch_scc1 .LBB913_51
; %bb.47:                               ;   in Loop: Header=BB913_46 Depth=1
	s_add_i32 s29, s29, -1
	v_lshl_or_b32 v20, s29, 8, v2
	v_lshlrev_b64 v[24:25], 2, v[20:21]
	v_add_co_u32_e64 v24, s[0:1], s24, v24
	v_addc_co_u32_e64 v25, s[0:1], v52, v25, s[0:1]
	global_load_dword v54, v[24:25], off glc
	s_waitcnt vmcnt(0)
	v_and_b32_e32 v20, -2.0, v54
	v_cmp_eq_u32_e64 s[0:1], 0, v20
	s_and_saveexec_b64 s[10:11], s[0:1]
	s_cbranch_execz .LBB913_45
; %bb.48:                               ;   in Loop: Header=BB913_46 Depth=1
	s_mov_b64 s[18:19], 0
.LBB913_49:                             ;   Parent Loop BB913_46 Depth=1
                                        ; =>  This Inner Loop Header: Depth=2
	global_load_dword v54, v[24:25], off glc
	s_waitcnt vmcnt(0)
	v_and_b32_e32 v20, -2.0, v54
	v_cmp_ne_u32_e64 s[0:1], 0, v20
	s_or_b64 s[18:19], s[0:1], s[18:19]
	s_andn2_b64 exec, exec, s[18:19]
	s_cbranch_execnz .LBB913_49
; %bb.50:                               ;   in Loop: Header=BB913_46 Depth=1
	s_or_b64 exec, exec, s[18:19]
	s_branch .LBB913_45
.LBB913_51:                             ;   in Loop: Header=BB913_46 Depth=1
                                        ; implicit-def: $sgpr29
	s_and_b64 s[10:11], exec, s[0:1]
	s_or_b64 s[8:9], s[10:11], s[8:9]
	s_andn2_b64 exec, exec, s[8:9]
	s_cbranch_execnz .LBB913_46
.LBB913_52:
	s_or_b64 exec, exec, s[8:9]
	v_add_u32_e32 v20, v53, v31
	v_or_b32_e32 v20, 0x80000000, v20
	global_store_dword v[22:23], v20, off
	global_load_dword v20, v48, s[12:13]
	v_sub_u32_e32 v21, v53, v30
	s_waitcnt vmcnt(0)
	v_add_u32_e32 v20, v21, v20
	ds_write_b32 v48, v20
.LBB913_53:
	s_or_b64 exec, exec, s[2:3]
	v_add_u32_e32 v22, v51, v26
	s_movk_i32 s8, 0x400
	v_add_u32_e32 v23, 0x400, v3
	v_add3_u32 v24, v47, v49, v37
	v_add3_u32 v25, v45, v46, v43
	;; [unrolled: 1-line block ×7, first 2 shown]
	s_mov_b32 s9, 0
	v_mov_b32_e32 v21, 0
	v_mov_b32_e32 v28, v2
	s_branch .LBB913_55
.LBB913_54:                             ;   in Loop: Header=BB913_55 Depth=1
	s_or_b64 exec, exec, s[2:3]
	s_addk_i32 s9, 0xf800
	s_cmpk_eq_i32 s9, 0xe000
	v_add_u32_e32 v28, 0x800, v28
	s_barrier
	s_cbranch_scc1 .LBB913_60
.LBB913_55:                             ; =>This Inner Loop Header: Depth=1
	v_add_u32_e32 v20, s9, v22
	v_min_u32_e32 v20, 0x800, v20
	v_lshlrev_b32_e32 v20, 3, v20
	ds_write_b64 v20, v[6:7] offset:1024
	v_add_u32_e32 v20, s9, v27
	v_min_u32_e32 v20, 0x800, v20
	v_lshlrev_b32_e32 v20, 3, v20
	ds_write_b64 v20, v[4:5] offset:1024
	;; [unrolled: 4-line block ×7, first 2 shown]
	v_add_u32_e32 v20, s9, v24
	v_min_u32_e32 v20, 0x800, v20
	v_lshlrev_b32_e32 v20, 3, v20
	v_cmp_gt_u32_e64 s[0:1], s7, v28
	ds_write_b64 v20, v[16:17] offset:1024
	s_waitcnt lgkmcnt(0)
	s_barrier
	s_and_saveexec_b64 s[2:3], s[0:1]
	s_cbranch_execz .LBB913_57
; %bb.56:                               ;   in Loop: Header=BB913_55 Depth=1
	ds_read_b64 v[34:35], v3 offset:1024
	v_mov_b32_e32 v32, s23
	s_waitcnt lgkmcnt(0)
	v_lshrrev_b64 v[38:39], s16, v[34:35]
	v_and_b32_e32 v20, s27, v38
	v_lshlrev_b32_e32 v20, 2, v20
	ds_read_b32 v20, v20
	s_waitcnt lgkmcnt(0)
	v_add_u32_e32 v20, v28, v20
	v_lshlrev_b64 v[38:39], 3, v[20:21]
	v_add_co_u32_e64 v38, s[0:1], s22, v38
	v_addc_co_u32_e64 v39, s[0:1], v32, v39, s[0:1]
	global_store_dwordx2 v[38:39], v[34:35], off
.LBB913_57:                             ;   in Loop: Header=BB913_55 Depth=1
	s_or_b64 exec, exec, s[2:3]
	v_add_u32_e32 v20, 0x400, v28
	v_cmp_gt_u32_e64 s[0:1], s7, v20
	s_and_saveexec_b64 s[2:3], s[0:1]
	s_cbranch_execz .LBB913_54
; %bb.58:                               ;   in Loop: Header=BB913_55 Depth=1
	ds_read_b64 v[34:35], v23 offset:8192
	v_mov_b32_e32 v32, s23
	s_waitcnt lgkmcnt(0)
	v_lshrrev_b64 v[38:39], s16, v[34:35]
	v_and_b32_e32 v20, s27, v38
	v_lshlrev_b32_e32 v20, 2, v20
	ds_read_b32 v20, v20
	s_waitcnt lgkmcnt(0)
	v_add3_u32 v20, v28, v20, s8
	v_lshlrev_b64 v[38:39], 3, v[20:21]
	v_add_co_u32_e64 v38, s[0:1], s22, v38
	v_addc_co_u32_e64 v39, s[0:1], v32, v39, s[0:1]
	global_store_dwordx2 v[38:39], v[34:35], off
	s_branch .LBB913_54
.LBB913_59:
	s_mov_b64 s[10:11], 0
                                        ; implicit-def: $vgpr4
                                        ; implicit-def: $vgpr2
	s_cbranch_execnz .LBB913_63
	s_branch .LBB913_104
.LBB913_60:
	s_add_i32 s26, s26, -1
	s_cmp_eq_u32 s26, s6
	s_cselect_b64 s[0:1], -1, 0
	s_and_b64 s[2:3], vcc, s[0:1]
	s_mov_b64 s[0:1], 0
	s_mov_b64 s[10:11], 0
                                        ; implicit-def: $vgpr4
	s_and_saveexec_b64 s[8:9], s[2:3]
	s_xor_b64 s[2:3], exec, s[8:9]
; %bb.61:
	s_mov_b64 s[10:11], exec
	v_add_u32_e32 v4, v30, v31
; %bb.62:
	s_or_b64 exec, exec, s[2:3]
	s_and_b64 vcc, exec, s[0:1]
	s_cbranch_vccz .LBB913_104
.LBB913_63:
	s_lshl_b32 s0, s6, 13
	s_mov_b32 s1, 0
	v_mbcnt_hi_u32_b32 v22, -1, v1
	s_lshl_b64 s[0:1], s[0:1], 3
	v_and_b32_e32 v1, 63, v22
	s_add_u32 s0, s20, s0
	v_lshlrev_b32_e32 v1, 3, v1
	v_add_co_u32_e32 v1, vcc, s0, v1
	s_load_dword s7, s[4:5], 0x58
	s_load_dword s0, s[4:5], 0x64
	v_and_b32_e32 v2, 0x3ff, v0
	s_addc_u32 s1, s21, s1
	v_mov_b32_e32 v3, s1
	v_lshlrev_b32_e32 v4, 6, v2
	v_addc_co_u32_e32 v3, vcc, 0, v3, vcc
	v_and_b32_e32 v4, 0xf000, v4
	s_add_u32 s1, s4, 0x58
	v_add_co_u32_e32 v20, vcc, v1, v4
	s_addc_u32 s2, s5, 0
	s_waitcnt lgkmcnt(0)
	s_lshr_b32 s3, s0, 16
	v_addc_co_u32_e32 v21, vcc, 0, v3, vcc
	s_cmp_lt_u32 s6, s7
	global_load_dwordx2 v[4:5], v[20:21], off
	s_cselect_b32 s0, 12, 18
	s_add_u32 s0, s1, s0
	v_mov_b32_e32 v18, 0
	s_addc_u32 s1, s2, 0
	global_load_ushort v3, v18, s[0:1]
	v_mul_u32_u24_e32 v6, 5, v2
	v_lshlrev_b32_e32 v23, 2, v6
	v_bfe_u32 v1, v0, 10, 10
	v_bfe_u32 v0, v0, 20, 10
	ds_write2_b32 v23, v18, v18 offset0:16 offset1:17
	ds_write2_b32 v23, v18, v18 offset0:18 offset1:19
	ds_write_b32 v23, v18 offset:80
	v_mad_u32_u24 v24, v0, s3, v1
	global_load_dwordx2 v[0:1], v[20:21], off offset:512
	global_load_dwordx2 v[6:7], v[20:21], off offset:1024
	global_load_dwordx2 v[8:9], v[20:21], off offset:1536
	global_load_dwordx2 v[10:11], v[20:21], off offset:2048
	global_load_dwordx2 v[12:13], v[20:21], off offset:2560
	global_load_dwordx2 v[14:15], v[20:21], off offset:3072
	global_load_dwordx2 v[16:17], v[20:21], off offset:3584
	s_lshl_b32 s0, -1, s17
	s_not_b32 s17, s0
	s_waitcnt lgkmcnt(0)
	s_barrier
	s_waitcnt lgkmcnt(0)
	; wave barrier
	s_waitcnt vmcnt(8)
	v_lshrrev_b64 v[20:21], s16, v[4:5]
	v_and_b32_e32 v26, s17, v20
	v_and_b32_e32 v27, 1, v26
	v_lshlrev_b32_e32 v19, 30, v26
	v_lshl_add_u32 v25, v26, 4, v26
	s_waitcnt vmcnt(7)
	v_mad_u64_u32 v[20:21], s[0:1], v24, v3, v[2:3]
	v_add_co_u32_e32 v3, vcc, -1, v27
	v_addc_co_u32_e64 v21, s[0:1], 0, -1, vcc
	v_cmp_ne_u32_e32 vcc, 0, v27
	v_cmp_gt_i64_e64 s[0:1], 0, v[18:19]
	v_not_b32_e32 v24, v19
	v_lshlrev_b32_e32 v19, 29, v26
	v_lshrrev_b32_e32 v32, 6, v20
	v_xor_b32_e32 v20, vcc_hi, v21
	v_xor_b32_e32 v3, vcc_lo, v3
	v_ashrrev_i32_e32 v21, 31, v24
	v_cmp_gt_i64_e32 vcc, 0, v[18:19]
	v_not_b32_e32 v24, v19
	v_lshlrev_b32_e32 v19, 28, v26
	v_and_b32_e32 v20, exec_hi, v20
	v_and_b32_e32 v3, exec_lo, v3
	v_xor_b32_e32 v27, s1, v21
	v_xor_b32_e32 v21, s0, v21
	v_ashrrev_i32_e32 v24, 31, v24
	v_cmp_gt_i64_e64 s[0:1], 0, v[18:19]
	v_not_b32_e32 v28, v19
	v_lshlrev_b32_e32 v19, 27, v26
	v_and_b32_e32 v20, v20, v27
	v_and_b32_e32 v3, v3, v21
	v_xor_b32_e32 v21, vcc_hi, v24
	v_xor_b32_e32 v24, vcc_lo, v24
	v_ashrrev_i32_e32 v27, 31, v28
	v_cmp_gt_i64_e32 vcc, 0, v[18:19]
	v_not_b32_e32 v19, v19
	v_and_b32_e32 v20, v20, v21
	v_and_b32_e32 v3, v3, v24
	v_xor_b32_e32 v21, s1, v27
	v_xor_b32_e32 v24, s0, v27
	v_ashrrev_i32_e32 v19, 31, v19
	v_and_b32_e32 v20, v20, v21
	v_and_b32_e32 v3, v3, v24
	v_xor_b32_e32 v21, vcc_hi, v19
	v_xor_b32_e32 v19, vcc_lo, v19
	v_and_b32_e32 v3, v3, v19
	v_lshlrev_b32_e32 v19, 26, v26
	v_cmp_gt_i64_e32 vcc, 0, v[18:19]
	v_not_b32_e32 v19, v19
	v_ashrrev_i32_e32 v19, 31, v19
	v_and_b32_e32 v20, v20, v21
	v_xor_b32_e32 v21, vcc_hi, v19
	v_xor_b32_e32 v19, vcc_lo, v19
	v_and_b32_e32 v3, v3, v19
	v_lshlrev_b32_e32 v19, 25, v26
	v_cmp_gt_i64_e32 vcc, 0, v[18:19]
	v_not_b32_e32 v19, v19
	v_ashrrev_i32_e32 v19, 31, v19
	v_and_b32_e32 v20, v20, v21
	v_xor_b32_e32 v21, vcc_hi, v19
	v_xor_b32_e32 v19, vcc_lo, v19
	v_and_b32_e32 v3, v3, v19
	v_lshlrev_b32_e32 v19, 24, v26
	v_cmp_gt_i64_e32 vcc, 0, v[18:19]
	v_not_b32_e32 v19, v19
	v_ashrrev_i32_e32 v19, 31, v19
	v_and_b32_e32 v20, v20, v21
	v_xor_b32_e32 v21, vcc_hi, v19
	v_xor_b32_e32 v19, vcc_lo, v19
	v_and_b32_e32 v21, v20, v21
	v_and_b32_e32 v20, v3, v19
	v_mbcnt_lo_u32_b32 v3, v20, 0
	v_mbcnt_hi_u32_b32 v3, v21, v3
	v_cmp_eq_u32_e32 vcc, 0, v3
	v_cmp_ne_u64_e64 s[0:1], 0, v[20:21]
	v_add_lshl_u32 v25, v32, v25, 2
	s_and_b64 s[2:3], s[0:1], vcc
	s_and_saveexec_b64 s[0:1], s[2:3]
	s_cbranch_execz .LBB913_65
; %bb.64:
	v_bcnt_u32_b32 v19, v20, 0
	v_bcnt_u32_b32 v19, v21, v19
	ds_write_b32 v25, v19 offset:64
.LBB913_65:
	s_or_b64 exec, exec, s[0:1]
	s_waitcnt vmcnt(6)
	v_lshrrev_b64 v[20:21], s16, v[0:1]
	v_and_b32_e32 v20, s17, v20
	v_lshl_add_u32 v19, v20, 4, v20
	v_add_lshl_u32 v28, v32, v19, 2
	v_and_b32_e32 v19, 1, v20
	v_add_co_u32_e32 v21, vcc, -1, v19
	v_addc_co_u32_e64 v26, s[0:1], 0, -1, vcc
	v_cmp_ne_u32_e32 vcc, 0, v19
	v_xor_b32_e32 v19, vcc_hi, v26
	v_and_b32_e32 v26, exec_hi, v19
	v_lshlrev_b32_e32 v19, 30, v20
	v_xor_b32_e32 v21, vcc_lo, v21
	v_cmp_gt_i64_e32 vcc, 0, v[18:19]
	v_not_b32_e32 v19, v19
	v_ashrrev_i32_e32 v19, 31, v19
	v_and_b32_e32 v21, exec_lo, v21
	v_xor_b32_e32 v27, vcc_hi, v19
	v_xor_b32_e32 v19, vcc_lo, v19
	v_and_b32_e32 v21, v21, v19
	v_lshlrev_b32_e32 v19, 29, v20
	v_cmp_gt_i64_e32 vcc, 0, v[18:19]
	v_not_b32_e32 v19, v19
	v_ashrrev_i32_e32 v19, 31, v19
	v_and_b32_e32 v26, v26, v27
	v_xor_b32_e32 v27, vcc_hi, v19
	v_xor_b32_e32 v19, vcc_lo, v19
	v_and_b32_e32 v21, v21, v19
	v_lshlrev_b32_e32 v19, 28, v20
	v_cmp_gt_i64_e32 vcc, 0, v[18:19]
	v_not_b32_e32 v19, v19
	v_ashrrev_i32_e32 v19, 31, v19
	v_and_b32_e32 v26, v26, v27
	;; [unrolled: 8-line block ×5, first 2 shown]
	v_xor_b32_e32 v27, vcc_hi, v19
	v_xor_b32_e32 v19, vcc_lo, v19
	v_and_b32_e32 v21, v21, v19
	v_lshlrev_b32_e32 v19, 24, v20
	v_cmp_gt_i64_e32 vcc, 0, v[18:19]
	v_not_b32_e32 v18, v19
	v_ashrrev_i32_e32 v18, 31, v18
	v_xor_b32_e32 v19, vcc_hi, v18
	v_xor_b32_e32 v18, vcc_lo, v18
	; wave barrier
	ds_read_b32 v24, v28 offset:64
	v_and_b32_e32 v26, v26, v27
	v_and_b32_e32 v18, v21, v18
	;; [unrolled: 1-line block ×3, first 2 shown]
	v_mbcnt_lo_u32_b32 v20, v18, 0
	v_mbcnt_hi_u32_b32 v26, v19, v20
	v_cmp_eq_u32_e32 vcc, 0, v26
	v_cmp_ne_u64_e64 s[0:1], 0, v[18:19]
	s_and_b64 s[2:3], s[0:1], vcc
	; wave barrier
	s_and_saveexec_b64 s[0:1], s[2:3]
	s_cbranch_execz .LBB913_67
; %bb.66:
	v_bcnt_u32_b32 v18, v18, 0
	v_bcnt_u32_b32 v18, v19, v18
	s_waitcnt lgkmcnt(0)
	v_add_u32_e32 v18, v24, v18
	ds_write_b32 v28, v18 offset:64
.LBB913_67:
	s_or_b64 exec, exec, s[0:1]
	s_waitcnt vmcnt(5)
	v_lshrrev_b64 v[18:19], s16, v[6:7]
	v_and_b32_e32 v20, s17, v18
	v_and_b32_e32 v19, 1, v20
	v_add_co_u32_e32 v21, vcc, -1, v19
	v_addc_co_u32_e64 v29, s[0:1], 0, -1, vcc
	v_cmp_ne_u32_e32 vcc, 0, v19
	v_lshl_add_u32 v18, v20, 4, v20
	v_xor_b32_e32 v19, vcc_hi, v29
	v_add_lshl_u32 v31, v32, v18, 2
	v_mov_b32_e32 v18, 0
	v_and_b32_e32 v29, exec_hi, v19
	v_lshlrev_b32_e32 v19, 30, v20
	v_xor_b32_e32 v21, vcc_lo, v21
	v_cmp_gt_i64_e32 vcc, 0, v[18:19]
	v_not_b32_e32 v19, v19
	v_ashrrev_i32_e32 v19, 31, v19
	v_and_b32_e32 v21, exec_lo, v21
	v_xor_b32_e32 v30, vcc_hi, v19
	v_xor_b32_e32 v19, vcc_lo, v19
	v_and_b32_e32 v21, v21, v19
	v_lshlrev_b32_e32 v19, 29, v20
	v_cmp_gt_i64_e32 vcc, 0, v[18:19]
	v_not_b32_e32 v19, v19
	v_ashrrev_i32_e32 v19, 31, v19
	v_and_b32_e32 v29, v29, v30
	v_xor_b32_e32 v30, vcc_hi, v19
	v_xor_b32_e32 v19, vcc_lo, v19
	v_and_b32_e32 v21, v21, v19
	v_lshlrev_b32_e32 v19, 28, v20
	v_cmp_gt_i64_e32 vcc, 0, v[18:19]
	v_not_b32_e32 v19, v19
	v_ashrrev_i32_e32 v19, 31, v19
	v_and_b32_e32 v29, v29, v30
	v_xor_b32_e32 v30, vcc_hi, v19
	v_xor_b32_e32 v19, vcc_lo, v19
	v_and_b32_e32 v21, v21, v19
	v_lshlrev_b32_e32 v19, 27, v20
	v_cmp_gt_i64_e32 vcc, 0, v[18:19]
	v_not_b32_e32 v19, v19
	v_ashrrev_i32_e32 v19, 31, v19
	v_and_b32_e32 v29, v29, v30
	v_xor_b32_e32 v30, vcc_hi, v19
	v_xor_b32_e32 v19, vcc_lo, v19
	v_and_b32_e32 v21, v21, v19
	v_lshlrev_b32_e32 v19, 26, v20
	v_cmp_gt_i64_e32 vcc, 0, v[18:19]
	v_not_b32_e32 v19, v19
	v_ashrrev_i32_e32 v19, 31, v19
	v_and_b32_e32 v29, v29, v30
	v_xor_b32_e32 v30, vcc_hi, v19
	v_xor_b32_e32 v19, vcc_lo, v19
	v_and_b32_e32 v21, v21, v19
	v_lshlrev_b32_e32 v19, 25, v20
	v_cmp_gt_i64_e32 vcc, 0, v[18:19]
	v_not_b32_e32 v19, v19
	v_ashrrev_i32_e32 v19, 31, v19
	v_and_b32_e32 v29, v29, v30
	v_xor_b32_e32 v30, vcc_hi, v19
	v_xor_b32_e32 v19, vcc_lo, v19
	v_and_b32_e32 v29, v29, v30
	v_and_b32_e32 v30, v21, v19
	v_lshlrev_b32_e32 v19, 24, v20
	v_cmp_gt_i64_e32 vcc, 0, v[18:19]
	v_not_b32_e32 v19, v19
	v_ashrrev_i32_e32 v19, 31, v19
	v_xor_b32_e32 v20, vcc_hi, v19
	v_xor_b32_e32 v19, vcc_lo, v19
	; wave barrier
	ds_read_b32 v27, v31 offset:64
	v_and_b32_e32 v21, v29, v20
	v_and_b32_e32 v20, v30, v19
	v_mbcnt_lo_u32_b32 v19, v20, 0
	v_mbcnt_hi_u32_b32 v29, v21, v19
	v_cmp_eq_u32_e32 vcc, 0, v29
	v_cmp_ne_u64_e64 s[0:1], 0, v[20:21]
	s_and_b64 s[2:3], s[0:1], vcc
	; wave barrier
	s_and_saveexec_b64 s[0:1], s[2:3]
	s_cbranch_execz .LBB913_69
; %bb.68:
	v_bcnt_u32_b32 v19, v20, 0
	v_bcnt_u32_b32 v19, v21, v19
	s_waitcnt lgkmcnt(0)
	v_add_u32_e32 v19, v27, v19
	ds_write_b32 v31, v19 offset:64
.LBB913_69:
	s_or_b64 exec, exec, s[0:1]
	s_waitcnt vmcnt(4)
	v_lshrrev_b64 v[20:21], s16, v[8:9]
	v_and_b32_e32 v20, s17, v20
	v_lshl_add_u32 v19, v20, 4, v20
	v_add_lshl_u32 v35, v32, v19, 2
	v_and_b32_e32 v19, 1, v20
	v_add_co_u32_e32 v21, vcc, -1, v19
	v_addc_co_u32_e64 v33, s[0:1], 0, -1, vcc
	v_cmp_ne_u32_e32 vcc, 0, v19
	v_xor_b32_e32 v19, vcc_hi, v33
	v_and_b32_e32 v33, exec_hi, v19
	v_lshlrev_b32_e32 v19, 30, v20
	v_xor_b32_e32 v21, vcc_lo, v21
	v_cmp_gt_i64_e32 vcc, 0, v[18:19]
	v_not_b32_e32 v19, v19
	v_ashrrev_i32_e32 v19, 31, v19
	v_and_b32_e32 v21, exec_lo, v21
	v_xor_b32_e32 v34, vcc_hi, v19
	v_xor_b32_e32 v19, vcc_lo, v19
	v_and_b32_e32 v21, v21, v19
	v_lshlrev_b32_e32 v19, 29, v20
	v_cmp_gt_i64_e32 vcc, 0, v[18:19]
	v_not_b32_e32 v19, v19
	v_ashrrev_i32_e32 v19, 31, v19
	v_and_b32_e32 v33, v33, v34
	v_xor_b32_e32 v34, vcc_hi, v19
	v_xor_b32_e32 v19, vcc_lo, v19
	v_and_b32_e32 v21, v21, v19
	v_lshlrev_b32_e32 v19, 28, v20
	v_cmp_gt_i64_e32 vcc, 0, v[18:19]
	v_not_b32_e32 v19, v19
	v_ashrrev_i32_e32 v19, 31, v19
	v_and_b32_e32 v33, v33, v34
	;; [unrolled: 8-line block ×5, first 2 shown]
	v_xor_b32_e32 v34, vcc_hi, v19
	v_xor_b32_e32 v19, vcc_lo, v19
	v_and_b32_e32 v21, v21, v19
	v_lshlrev_b32_e32 v19, 24, v20
	v_cmp_gt_i64_e32 vcc, 0, v[18:19]
	v_not_b32_e32 v18, v19
	v_ashrrev_i32_e32 v18, 31, v18
	v_xor_b32_e32 v19, vcc_hi, v18
	v_xor_b32_e32 v18, vcc_lo, v18
	; wave barrier
	ds_read_b32 v30, v35 offset:64
	v_and_b32_e32 v33, v33, v34
	v_and_b32_e32 v18, v21, v18
	v_and_b32_e32 v19, v33, v19
	v_mbcnt_lo_u32_b32 v20, v18, 0
	v_mbcnt_hi_u32_b32 v33, v19, v20
	v_cmp_eq_u32_e32 vcc, 0, v33
	v_cmp_ne_u64_e64 s[0:1], 0, v[18:19]
	s_and_b64 s[2:3], s[0:1], vcc
	; wave barrier
	s_and_saveexec_b64 s[0:1], s[2:3]
	s_cbranch_execz .LBB913_71
; %bb.70:
	v_bcnt_u32_b32 v18, v18, 0
	v_bcnt_u32_b32 v18, v19, v18
	s_waitcnt lgkmcnt(0)
	v_add_u32_e32 v18, v30, v18
	ds_write_b32 v35, v18 offset:64
.LBB913_71:
	s_or_b64 exec, exec, s[0:1]
	s_waitcnt vmcnt(3)
	v_lshrrev_b64 v[18:19], s16, v[10:11]
	v_and_b32_e32 v20, s17, v18
	v_and_b32_e32 v19, 1, v20
	v_add_co_u32_e32 v21, vcc, -1, v19
	v_addc_co_u32_e64 v36, s[0:1], 0, -1, vcc
	v_cmp_ne_u32_e32 vcc, 0, v19
	v_lshl_add_u32 v18, v20, 4, v20
	v_xor_b32_e32 v19, vcc_hi, v36
	v_add_lshl_u32 v38, v32, v18, 2
	v_mov_b32_e32 v18, 0
	v_and_b32_e32 v36, exec_hi, v19
	v_lshlrev_b32_e32 v19, 30, v20
	v_xor_b32_e32 v21, vcc_lo, v21
	v_cmp_gt_i64_e32 vcc, 0, v[18:19]
	v_not_b32_e32 v19, v19
	v_ashrrev_i32_e32 v19, 31, v19
	v_and_b32_e32 v21, exec_lo, v21
	v_xor_b32_e32 v37, vcc_hi, v19
	v_xor_b32_e32 v19, vcc_lo, v19
	v_and_b32_e32 v21, v21, v19
	v_lshlrev_b32_e32 v19, 29, v20
	v_cmp_gt_i64_e32 vcc, 0, v[18:19]
	v_not_b32_e32 v19, v19
	v_ashrrev_i32_e32 v19, 31, v19
	v_and_b32_e32 v36, v36, v37
	v_xor_b32_e32 v37, vcc_hi, v19
	v_xor_b32_e32 v19, vcc_lo, v19
	v_and_b32_e32 v21, v21, v19
	v_lshlrev_b32_e32 v19, 28, v20
	v_cmp_gt_i64_e32 vcc, 0, v[18:19]
	v_not_b32_e32 v19, v19
	v_ashrrev_i32_e32 v19, 31, v19
	v_and_b32_e32 v36, v36, v37
	;; [unrolled: 8-line block ×5, first 2 shown]
	v_xor_b32_e32 v37, vcc_hi, v19
	v_xor_b32_e32 v19, vcc_lo, v19
	v_and_b32_e32 v36, v36, v37
	v_and_b32_e32 v37, v21, v19
	v_lshlrev_b32_e32 v19, 24, v20
	v_cmp_gt_i64_e32 vcc, 0, v[18:19]
	v_not_b32_e32 v19, v19
	v_ashrrev_i32_e32 v19, 31, v19
	v_xor_b32_e32 v20, vcc_hi, v19
	v_xor_b32_e32 v19, vcc_lo, v19
	; wave barrier
	ds_read_b32 v34, v38 offset:64
	v_and_b32_e32 v21, v36, v20
	v_and_b32_e32 v20, v37, v19
	v_mbcnt_lo_u32_b32 v19, v20, 0
	v_mbcnt_hi_u32_b32 v36, v21, v19
	v_cmp_eq_u32_e32 vcc, 0, v36
	v_cmp_ne_u64_e64 s[0:1], 0, v[20:21]
	s_and_b64 s[2:3], s[0:1], vcc
	; wave barrier
	s_and_saveexec_b64 s[0:1], s[2:3]
	s_cbranch_execz .LBB913_73
; %bb.72:
	v_bcnt_u32_b32 v19, v20, 0
	v_bcnt_u32_b32 v19, v21, v19
	s_waitcnt lgkmcnt(0)
	v_add_u32_e32 v19, v34, v19
	ds_write_b32 v38, v19 offset:64
.LBB913_73:
	s_or_b64 exec, exec, s[0:1]
	s_waitcnt vmcnt(2)
	v_lshrrev_b64 v[20:21], s16, v[12:13]
	v_and_b32_e32 v20, s17, v20
	v_lshl_add_u32 v19, v20, 4, v20
	v_add_lshl_u32 v41, v32, v19, 2
	v_and_b32_e32 v19, 1, v20
	v_add_co_u32_e32 v21, vcc, -1, v19
	v_addc_co_u32_e64 v39, s[0:1], 0, -1, vcc
	v_cmp_ne_u32_e32 vcc, 0, v19
	v_xor_b32_e32 v19, vcc_hi, v39
	v_and_b32_e32 v39, exec_hi, v19
	v_lshlrev_b32_e32 v19, 30, v20
	v_xor_b32_e32 v21, vcc_lo, v21
	v_cmp_gt_i64_e32 vcc, 0, v[18:19]
	v_not_b32_e32 v19, v19
	v_ashrrev_i32_e32 v19, 31, v19
	v_and_b32_e32 v21, exec_lo, v21
	v_xor_b32_e32 v40, vcc_hi, v19
	v_xor_b32_e32 v19, vcc_lo, v19
	v_and_b32_e32 v21, v21, v19
	v_lshlrev_b32_e32 v19, 29, v20
	v_cmp_gt_i64_e32 vcc, 0, v[18:19]
	v_not_b32_e32 v19, v19
	v_ashrrev_i32_e32 v19, 31, v19
	v_and_b32_e32 v39, v39, v40
	v_xor_b32_e32 v40, vcc_hi, v19
	v_xor_b32_e32 v19, vcc_lo, v19
	v_and_b32_e32 v21, v21, v19
	v_lshlrev_b32_e32 v19, 28, v20
	v_cmp_gt_i64_e32 vcc, 0, v[18:19]
	v_not_b32_e32 v19, v19
	v_ashrrev_i32_e32 v19, 31, v19
	v_and_b32_e32 v39, v39, v40
	;; [unrolled: 8-line block ×5, first 2 shown]
	v_xor_b32_e32 v40, vcc_hi, v19
	v_xor_b32_e32 v19, vcc_lo, v19
	v_and_b32_e32 v21, v21, v19
	v_lshlrev_b32_e32 v19, 24, v20
	v_cmp_gt_i64_e32 vcc, 0, v[18:19]
	v_not_b32_e32 v18, v19
	v_ashrrev_i32_e32 v18, 31, v18
	v_xor_b32_e32 v19, vcc_hi, v18
	v_xor_b32_e32 v18, vcc_lo, v18
	; wave barrier
	ds_read_b32 v37, v41 offset:64
	v_and_b32_e32 v39, v39, v40
	v_and_b32_e32 v18, v21, v18
	;; [unrolled: 1-line block ×3, first 2 shown]
	v_mbcnt_lo_u32_b32 v20, v18, 0
	v_mbcnt_hi_u32_b32 v39, v19, v20
	v_cmp_eq_u32_e32 vcc, 0, v39
	v_cmp_ne_u64_e64 s[0:1], 0, v[18:19]
	s_and_b64 s[2:3], s[0:1], vcc
	; wave barrier
	s_and_saveexec_b64 s[0:1], s[2:3]
	s_cbranch_execz .LBB913_75
; %bb.74:
	v_bcnt_u32_b32 v18, v18, 0
	v_bcnt_u32_b32 v18, v19, v18
	s_waitcnt lgkmcnt(0)
	v_add_u32_e32 v18, v37, v18
	ds_write_b32 v41, v18 offset:64
.LBB913_75:
	s_or_b64 exec, exec, s[0:1]
	s_waitcnt vmcnt(1)
	v_lshrrev_b64 v[18:19], s16, v[14:15]
	v_and_b32_e32 v20, s17, v18
	v_and_b32_e32 v19, 1, v20
	v_add_co_u32_e32 v21, vcc, -1, v19
	v_addc_co_u32_e64 v42, s[0:1], 0, -1, vcc
	v_cmp_ne_u32_e32 vcc, 0, v19
	v_lshl_add_u32 v18, v20, 4, v20
	v_xor_b32_e32 v19, vcc_hi, v42
	v_add_lshl_u32 v43, v32, v18, 2
	v_mov_b32_e32 v18, 0
	v_and_b32_e32 v42, exec_hi, v19
	v_lshlrev_b32_e32 v19, 30, v20
	v_xor_b32_e32 v21, vcc_lo, v21
	v_cmp_gt_i64_e32 vcc, 0, v[18:19]
	v_not_b32_e32 v19, v19
	v_ashrrev_i32_e32 v19, 31, v19
	v_and_b32_e32 v21, exec_lo, v21
	v_xor_b32_e32 v44, vcc_hi, v19
	v_xor_b32_e32 v19, vcc_lo, v19
	v_and_b32_e32 v21, v21, v19
	v_lshlrev_b32_e32 v19, 29, v20
	v_cmp_gt_i64_e32 vcc, 0, v[18:19]
	v_not_b32_e32 v19, v19
	v_ashrrev_i32_e32 v19, 31, v19
	v_and_b32_e32 v42, v42, v44
	v_xor_b32_e32 v44, vcc_hi, v19
	v_xor_b32_e32 v19, vcc_lo, v19
	v_and_b32_e32 v21, v21, v19
	v_lshlrev_b32_e32 v19, 28, v20
	v_cmp_gt_i64_e32 vcc, 0, v[18:19]
	v_not_b32_e32 v19, v19
	v_ashrrev_i32_e32 v19, 31, v19
	v_and_b32_e32 v42, v42, v44
	;; [unrolled: 8-line block ×5, first 2 shown]
	v_xor_b32_e32 v44, vcc_hi, v19
	v_xor_b32_e32 v19, vcc_lo, v19
	v_and_b32_e32 v42, v42, v44
	v_and_b32_e32 v44, v21, v19
	v_lshlrev_b32_e32 v19, 24, v20
	v_cmp_gt_i64_e32 vcc, 0, v[18:19]
	v_not_b32_e32 v19, v19
	v_ashrrev_i32_e32 v19, 31, v19
	v_xor_b32_e32 v20, vcc_hi, v19
	v_xor_b32_e32 v19, vcc_lo, v19
	; wave barrier
	ds_read_b32 v40, v43 offset:64
	v_and_b32_e32 v21, v42, v20
	v_and_b32_e32 v20, v44, v19
	v_mbcnt_lo_u32_b32 v19, v20, 0
	v_mbcnt_hi_u32_b32 v42, v21, v19
	v_cmp_eq_u32_e32 vcc, 0, v42
	v_cmp_ne_u64_e64 s[0:1], 0, v[20:21]
	s_and_b64 s[2:3], s[0:1], vcc
	; wave barrier
	s_and_saveexec_b64 s[0:1], s[2:3]
	s_cbranch_execz .LBB913_77
; %bb.76:
	v_bcnt_u32_b32 v19, v20, 0
	v_bcnt_u32_b32 v19, v21, v19
	s_waitcnt lgkmcnt(0)
	v_add_u32_e32 v19, v40, v19
	ds_write_b32 v43, v19 offset:64
.LBB913_77:
	s_or_b64 exec, exec, s[0:1]
	s_waitcnt vmcnt(0)
	v_lshrrev_b64 v[20:21], s16, v[16:17]
	v_and_b32_e32 v20, s17, v20
	v_lshl_add_u32 v19, v20, 4, v20
	v_add_lshl_u32 v46, v32, v19, 2
	v_and_b32_e32 v19, 1, v20
	v_add_co_u32_e32 v21, vcc, -1, v19
	v_addc_co_u32_e64 v44, s[0:1], 0, -1, vcc
	v_cmp_ne_u32_e32 vcc, 0, v19
	v_xor_b32_e32 v19, vcc_hi, v44
	v_and_b32_e32 v44, exec_hi, v19
	v_lshlrev_b32_e32 v19, 30, v20
	v_xor_b32_e32 v21, vcc_lo, v21
	v_cmp_gt_i64_e32 vcc, 0, v[18:19]
	v_not_b32_e32 v19, v19
	v_ashrrev_i32_e32 v19, 31, v19
	v_and_b32_e32 v21, exec_lo, v21
	v_xor_b32_e32 v45, vcc_hi, v19
	v_xor_b32_e32 v19, vcc_lo, v19
	v_and_b32_e32 v21, v21, v19
	v_lshlrev_b32_e32 v19, 29, v20
	v_cmp_gt_i64_e32 vcc, 0, v[18:19]
	v_not_b32_e32 v19, v19
	v_ashrrev_i32_e32 v19, 31, v19
	v_and_b32_e32 v44, v44, v45
	v_xor_b32_e32 v45, vcc_hi, v19
	v_xor_b32_e32 v19, vcc_lo, v19
	v_and_b32_e32 v21, v21, v19
	v_lshlrev_b32_e32 v19, 28, v20
	v_cmp_gt_i64_e32 vcc, 0, v[18:19]
	v_not_b32_e32 v19, v19
	v_ashrrev_i32_e32 v19, 31, v19
	v_and_b32_e32 v44, v44, v45
	;; [unrolled: 8-line block ×5, first 2 shown]
	v_xor_b32_e32 v45, vcc_hi, v19
	v_xor_b32_e32 v19, vcc_lo, v19
	v_and_b32_e32 v21, v21, v19
	v_lshlrev_b32_e32 v19, 24, v20
	v_cmp_gt_i64_e32 vcc, 0, v[18:19]
	v_not_b32_e32 v18, v19
	v_ashrrev_i32_e32 v18, 31, v18
	v_xor_b32_e32 v19, vcc_hi, v18
	v_xor_b32_e32 v18, vcc_lo, v18
	; wave barrier
	ds_read_b32 v32, v46 offset:64
	v_and_b32_e32 v44, v44, v45
	v_and_b32_e32 v18, v21, v18
	;; [unrolled: 1-line block ×3, first 2 shown]
	v_mbcnt_lo_u32_b32 v20, v18, 0
	v_mbcnt_hi_u32_b32 v44, v19, v20
	v_cmp_eq_u32_e32 vcc, 0, v44
	v_cmp_ne_u64_e64 s[0:1], 0, v[18:19]
	v_add_u32_e32 v47, 64, v23
	s_and_b64 s[2:3], s[0:1], vcc
	; wave barrier
	s_and_saveexec_b64 s[0:1], s[2:3]
	s_cbranch_execz .LBB913_79
; %bb.78:
	v_bcnt_u32_b32 v18, v18, 0
	v_bcnt_u32_b32 v18, v19, v18
	s_waitcnt lgkmcnt(0)
	v_add_u32_e32 v18, v32, v18
	ds_write_b32 v46, v18 offset:64
.LBB913_79:
	s_or_b64 exec, exec, s[0:1]
	; wave barrier
	s_waitcnt lgkmcnt(0)
	s_barrier
	ds_read2_b32 v[20:21], v23 offset0:16 offset1:17
	ds_read2_b32 v[18:19], v47 offset0:2 offset1:3
	ds_read_b32 v45, v47 offset:16
	v_cmp_lt_u32_e64 s[8:9], 31, v22
	s_waitcnt lgkmcnt(1)
	v_add3_u32 v48, v21, v20, v18
	s_waitcnt lgkmcnt(0)
	v_add3_u32 v45, v48, v19, v45
	v_and_b32_e32 v48, 15, v22
	v_cmp_eq_u32_e32 vcc, 0, v48
	v_mov_b32_dpp v49, v45 row_shr:1 row_mask:0xf bank_mask:0xf
	v_cndmask_b32_e64 v49, v49, 0, vcc
	v_add_u32_e32 v45, v49, v45
	v_cmp_lt_u32_e64 s[0:1], 1, v48
	v_cmp_lt_u32_e64 s[2:3], 3, v48
	v_mov_b32_dpp v49, v45 row_shr:2 row_mask:0xf bank_mask:0xf
	v_cndmask_b32_e64 v49, 0, v49, s[0:1]
	v_add_u32_e32 v45, v45, v49
	v_cmp_lt_u32_e64 s[4:5], 7, v48
	s_nop 0
	v_mov_b32_dpp v49, v45 row_shr:4 row_mask:0xf bank_mask:0xf
	v_cndmask_b32_e64 v49, 0, v49, s[2:3]
	v_add_u32_e32 v45, v45, v49
	s_nop 1
	v_mov_b32_dpp v49, v45 row_shr:8 row_mask:0xf bank_mask:0xf
	v_cndmask_b32_e64 v48, 0, v49, s[4:5]
	v_add_u32_e32 v45, v45, v48
	v_bfe_i32 v49, v22, 4, 1
	s_nop 0
	v_mov_b32_dpp v48, v45 row_bcast:15 row_mask:0xf bank_mask:0xf
	v_and_b32_e32 v48, v49, v48
	v_add_u32_e32 v45, v45, v48
	v_lshrrev_b32_e32 v49, 6, v2
	s_nop 0
	v_mov_b32_dpp v48, v45 row_bcast:31 row_mask:0xf bank_mask:0xf
	v_cndmask_b32_e64 v48, 0, v48, s[8:9]
	v_add_u32_e32 v48, v45, v48
	v_and_b32_e32 v45, 63, v2
	v_cmp_eq_u32_e64 s[8:9], 63, v45
	s_and_saveexec_b64 s[18:19], s[8:9]
	s_cbranch_execz .LBB913_81
; %bb.80:
	v_lshlrev_b32_e32 v45, 2, v49
	ds_write_b32 v45, v48
.LBB913_81:
	s_or_b64 exec, exec, s[18:19]
	v_cmp_gt_u32_e64 s[8:9], 16, v2
	v_lshlrev_b32_e32 v45, 2, v2
	s_waitcnt lgkmcnt(0)
	s_barrier
	s_and_saveexec_b64 s[18:19], s[8:9]
	s_cbranch_execz .LBB913_83
; %bb.82:
	ds_read_b32 v50, v45
	s_waitcnt lgkmcnt(0)
	s_nop 0
	v_mov_b32_dpp v51, v50 row_shr:1 row_mask:0xf bank_mask:0xf
	v_cndmask_b32_e64 v51, v51, 0, vcc
	v_add_u32_e32 v50, v51, v50
	s_nop 1
	v_mov_b32_dpp v51, v50 row_shr:2 row_mask:0xf bank_mask:0xf
	v_cndmask_b32_e64 v51, 0, v51, s[0:1]
	v_add_u32_e32 v50, v50, v51
	s_nop 1
	v_mov_b32_dpp v51, v50 row_shr:4 row_mask:0xf bank_mask:0xf
	v_cndmask_b32_e64 v51, 0, v51, s[2:3]
	;; [unrolled: 4-line block ×3, first 2 shown]
	v_add_u32_e32 v50, v50, v51
	ds_write_b32 v45, v50
.LBB913_83:
	s_or_b64 exec, exec, s[18:19]
	v_cmp_lt_u32_e32 vcc, 63, v2
	v_mov_b32_e32 v50, 0
	s_waitcnt lgkmcnt(0)
	s_barrier
	s_and_saveexec_b64 s[0:1], vcc
	s_cbranch_execz .LBB913_85
; %bb.84:
	v_lshl_add_u32 v49, v49, 2, -4
	ds_read_b32 v50, v49
.LBB913_85:
	s_or_b64 exec, exec, s[0:1]
	v_add_u32_e32 v49, -1, v22
	v_and_b32_e32 v51, 64, v22
	v_cmp_lt_i32_e32 vcc, v49, v51
	v_cndmask_b32_e32 v49, v49, v22, vcc
	s_waitcnt lgkmcnt(0)
	v_add_u32_e32 v48, v50, v48
	v_lshlrev_b32_e32 v49, 2, v49
	ds_bpermute_b32 v48, v49, v48
	v_cmp_eq_u32_e32 vcc, 0, v22
	s_movk_i32 s0, 0x100
	s_waitcnt lgkmcnt(0)
	v_cndmask_b32_e32 v22, v48, v50, vcc
	v_cmp_ne_u32_e32 vcc, 0, v2
	v_cndmask_b32_e32 v22, 0, v22, vcc
	v_add_u32_e32 v20, v22, v20
	v_add_u32_e32 v21, v20, v21
	;; [unrolled: 1-line block ×4, first 2 shown]
	ds_write2_b32 v23, v22, v20 offset0:16 offset1:17
	ds_write2_b32 v47, v21, v18 offset0:2 offset1:3
	ds_write_b32 v47, v19 offset:16
	s_waitcnt lgkmcnt(0)
	s_barrier
	ds_read_b32 v48, v25 offset:64
	ds_read_b32 v47, v28 offset:64
	;; [unrolled: 1-line block ×8, first 2 shown]
	v_cmp_gt_u32_e32 vcc, s0, v2
                                        ; implicit-def: $vgpr25
                                        ; implicit-def: $vgpr28
	s_and_saveexec_b64 s[2:3], vcc
	s_cbranch_execz .LBB913_89
; %bb.86:
	v_mul_u32_u24_e32 v18, 17, v2
	v_lshlrev_b32_e32 v19, 2, v18
	ds_read_b32 v25, v19 offset:64
	s_movk_i32 s0, 0xff
	v_cmp_ne_u32_e64 s[0:1], s0, v2
	v_mov_b32_e32 v18, 0x2000
	s_and_saveexec_b64 s[4:5], s[0:1]
	s_cbranch_execz .LBB913_88
; %bb.87:
	ds_read_b32 v18, v19 offset:132
.LBB913_88:
	s_or_b64 exec, exec, s[4:5]
	s_waitcnt lgkmcnt(0)
	v_sub_u32_e32 v28, v18, v25
.LBB913_89:
	s_or_b64 exec, exec, s[2:3]
	s_waitcnt lgkmcnt(0)
	s_barrier
	s_and_saveexec_b64 s[2:3], vcc
	s_cbranch_execz .LBB913_99
; %bb.90:
	v_lshl_or_b32 v18, s6, 8, v2
	v_mov_b32_e32 v19, 0
	v_lshlrev_b64 v[20:21], 2, v[18:19]
	v_mov_b32_e32 v49, s25
	v_add_co_u32_e64 v20, s[0:1], s24, v20
	v_addc_co_u32_e64 v21, s[0:1], v49, v21, s[0:1]
	v_or_b32_e32 v18, 2.0, v28
	s_mov_b64 s[4:5], 0
	s_brev_b32 s20, 1
	s_mov_b32 s21, s6
	v_mov_b32_e32 v50, 0
	global_store_dword v[20:21], v18, off
                                        ; implicit-def: $sgpr0_sgpr1
	s_branch .LBB913_93
.LBB913_91:                             ;   in Loop: Header=BB913_93 Depth=1
	s_or_b64 exec, exec, s[18:19]
.LBB913_92:                             ;   in Loop: Header=BB913_93 Depth=1
	s_or_b64 exec, exec, s[8:9]
	v_and_b32_e32 v22, 0x3fffffff, v51
	v_add_u32_e32 v50, v22, v50
	v_cmp_eq_u32_e64 s[0:1], s20, v18
	s_and_b64 s[8:9], exec, s[0:1]
	s_or_b64 s[4:5], s[8:9], s[4:5]
	s_andn2_b64 exec, exec, s[4:5]
	s_cbranch_execz .LBB913_98
.LBB913_93:                             ; =>This Loop Header: Depth=1
                                        ;     Child Loop BB913_96 Depth 2
	s_or_b64 s[0:1], s[0:1], exec
	s_cmp_eq_u32 s21, 0
	s_cbranch_scc1 .LBB913_97
; %bb.94:                               ;   in Loop: Header=BB913_93 Depth=1
	s_add_i32 s21, s21, -1
	v_lshl_or_b32 v18, s21, 8, v2
	v_lshlrev_b64 v[22:23], 2, v[18:19]
	v_add_co_u32_e64 v22, s[0:1], s24, v22
	v_addc_co_u32_e64 v23, s[0:1], v49, v23, s[0:1]
	global_load_dword v51, v[22:23], off glc
	s_waitcnt vmcnt(0)
	v_and_b32_e32 v18, -2.0, v51
	v_cmp_eq_u32_e64 s[0:1], 0, v18
	s_and_saveexec_b64 s[8:9], s[0:1]
	s_cbranch_execz .LBB913_92
; %bb.95:                               ;   in Loop: Header=BB913_93 Depth=1
	s_mov_b64 s[18:19], 0
.LBB913_96:                             ;   Parent Loop BB913_93 Depth=1
                                        ; =>  This Inner Loop Header: Depth=2
	global_load_dword v51, v[22:23], off glc
	s_waitcnt vmcnt(0)
	v_and_b32_e32 v18, -2.0, v51
	v_cmp_ne_u32_e64 s[0:1], 0, v18
	s_or_b64 s[18:19], s[0:1], s[18:19]
	s_andn2_b64 exec, exec, s[18:19]
	s_cbranch_execnz .LBB913_96
	s_branch .LBB913_91
.LBB913_97:                             ;   in Loop: Header=BB913_93 Depth=1
                                        ; implicit-def: $sgpr21
	s_and_b64 s[8:9], exec, s[0:1]
	s_or_b64 s[4:5], s[8:9], s[4:5]
	s_andn2_b64 exec, exec, s[4:5]
	s_cbranch_execnz .LBB913_93
.LBB913_98:
	s_or_b64 exec, exec, s[4:5]
	v_add_u32_e32 v18, v50, v28
	v_or_b32_e32 v18, 0x80000000, v18
	global_store_dword v[20:21], v18, off
	global_load_dword v18, v45, s[12:13]
	v_sub_u32_e32 v19, v50, v25
	s_waitcnt vmcnt(0)
	v_add_u32_e32 v18, v19, v18
	ds_write_b32 v45, v18
.LBB913_99:
	s_or_b64 exec, exec, s[2:3]
	v_lshlrev_b32_e32 v20, 3, v2
	v_add_u32_e32 v3, v48, v3
	s_movk_i32 s2, 0x400
	v_add_u32_e32 v21, 0x400, v20
	v_add3_u32 v22, v44, v46, v32
	v_add3_u32 v23, v42, v43, v40
	;; [unrolled: 1-line block ×7, first 2 shown]
	s_mov_b32 s3, 0
	v_mov_b32_e32 v26, s23
	v_mov_b32_e32 v19, 0
	;; [unrolled: 1-line block ×3, first 2 shown]
.LBB913_100:                            ; =>This Inner Loop Header: Depth=1
	v_add_u32_e32 v18, s3, v3
	v_add_u32_e32 v36, s3, v34
	;; [unrolled: 1-line block ×8, first 2 shown]
	v_min_u32_e32 v18, 0x800, v18
	v_min_u32_e32 v36, 0x800, v36
	;; [unrolled: 1-line block ×8, first 2 shown]
	v_lshlrev_b32_e32 v18, 3, v18
	v_lshlrev_b32_e32 v36, 3, v36
	;; [unrolled: 1-line block ×8, first 2 shown]
	ds_write_b64 v18, v[4:5] offset:1024
	ds_write_b64 v31, v[0:1] offset:1024
	;; [unrolled: 1-line block ×8, first 2 shown]
	s_waitcnt lgkmcnt(0)
	s_barrier
	ds_read_b64 v[36:37], v20 offset:1024
	ds_read_b64 v[38:39], v21 offset:8192
	s_addk_i32 s3, 0xf800
	s_cmpk_lg_i32 s3, 0xe000
	s_waitcnt lgkmcnt(1)
	v_lshrrev_b64 v[40:41], s16, v[36:37]
	s_waitcnt lgkmcnt(0)
	v_lshrrev_b64 v[42:43], s16, v[38:39]
	v_and_b32_e32 v18, s17, v40
	v_and_b32_e32 v31, s17, v42
	v_lshlrev_b32_e32 v18, 2, v18
	v_lshlrev_b32_e32 v31, 2, v31
	ds_read_b32 v18, v18
	ds_read_b32 v31, v31
	s_waitcnt lgkmcnt(1)
	v_add_u32_e32 v18, v29, v18
	v_lshlrev_b64 v[40:41], 3, v[18:19]
	s_waitcnt lgkmcnt(0)
	v_add3_u32 v18, v29, v31, s2
	v_add_co_u32_e64 v40, s[0:1], s22, v40
	v_addc_co_u32_e64 v41, s[0:1], v26, v41, s[0:1]
	v_lshlrev_b64 v[42:43], 3, v[18:19]
	global_store_dwordx2 v[40:41], v[36:37], off
	v_add_co_u32_e64 v36, s[0:1], s22, v42
	v_add_u32_e32 v29, 0x800, v29
	v_addc_co_u32_e64 v37, s[0:1], v26, v43, s[0:1]
	global_store_dwordx2 v[36:37], v[38:39], off
	s_barrier
	s_cbranch_scc1 .LBB913_100
; %bb.101:
	s_add_i32 s7, s7, -1
	s_cmp_eq_u32 s7, s6
	s_cselect_b64 s[0:1], -1, 0
	s_and_b64 s[2:3], vcc, s[0:1]
                                        ; implicit-def: $vgpr4
	s_and_saveexec_b64 s[0:1], s[2:3]
; %bb.102:
	v_add_u32_e32 v4, v25, v28
	s_or_b64 s[10:11], s[10:11], exec
; %bb.103:
	s_or_b64 exec, exec, s[0:1]
.LBB913_104:
	s_and_saveexec_b64 s[0:1], s[10:11]
	s_cbranch_execnz .LBB913_106
; %bb.105:
	s_endpgm
.LBB913_106:
	v_mov_b32_e32 v3, 0
	v_lshlrev_b32_e32 v5, 2, v2
	v_lshlrev_b64 v[0:1], 2, v[2:3]
	ds_read_b32 v3, v5
	v_mov_b32_e32 v2, s15
	v_add_co_u32_e32 v0, vcc, s14, v0
	v_addc_co_u32_e32 v1, vcc, v2, v1, vcc
	s_waitcnt lgkmcnt(0)
	v_add_u32_e32 v2, v3, v4
	global_store_dword v[0:1], v2, off
	s_endpgm
	.section	.rodata,"a",@progbits
	.p2align	6, 0x0
	.amdhsa_kernel _ZN7rocprim17ROCPRIM_400000_NS6detail17trampoline_kernelINS0_14default_configENS1_35radix_sort_onesweep_config_selectorIyNS0_10empty_typeEEEZZNS1_29radix_sort_onesweep_iterationIS3_Lb0EN6thrust23THRUST_200600_302600_NS6detail15normal_iteratorINS9_10device_ptrIyEEEESE_PS5_SF_jNS0_19identity_decomposerENS1_16block_id_wrapperIjLb0EEEEE10hipError_tT1_PNSt15iterator_traitsISK_E10value_typeET2_T3_PNSL_ISQ_E10value_typeET4_T5_PSV_SW_PNS1_23onesweep_lookback_stateEbbT6_jjT7_P12ihipStream_tbENKUlT_T0_SK_SP_E_clIPySE_SF_SF_EEDaS13_S14_SK_SP_EUlS13_E_NS1_11comp_targetILNS1_3genE4ELNS1_11target_archE910ELNS1_3gpuE8ELNS1_3repE0EEENS1_47radix_sort_onesweep_sort_config_static_selectorELNS0_4arch9wavefront6targetE1EEEvSK_
		.amdhsa_group_segment_fixed_size 20552
		.amdhsa_private_segment_fixed_size 0
		.amdhsa_kernarg_size 344
		.amdhsa_user_sgpr_count 6
		.amdhsa_user_sgpr_private_segment_buffer 1
		.amdhsa_user_sgpr_dispatch_ptr 0
		.amdhsa_user_sgpr_queue_ptr 0
		.amdhsa_user_sgpr_kernarg_segment_ptr 1
		.amdhsa_user_sgpr_dispatch_id 0
		.amdhsa_user_sgpr_flat_scratch_init 0
		.amdhsa_user_sgpr_kernarg_preload_length 0
		.amdhsa_user_sgpr_kernarg_preload_offset 0
		.amdhsa_user_sgpr_private_segment_size 0
		.amdhsa_uses_dynamic_stack 0
		.amdhsa_system_sgpr_private_segment_wavefront_offset 0
		.amdhsa_system_sgpr_workgroup_id_x 1
		.amdhsa_system_sgpr_workgroup_id_y 0
		.amdhsa_system_sgpr_workgroup_id_z 0
		.amdhsa_system_sgpr_workgroup_info 0
		.amdhsa_system_vgpr_workitem_id 2
		.amdhsa_next_free_vgpr 55
		.amdhsa_next_free_sgpr 30
		.amdhsa_accum_offset 56
		.amdhsa_reserve_vcc 1
		.amdhsa_reserve_flat_scratch 0
		.amdhsa_float_round_mode_32 0
		.amdhsa_float_round_mode_16_64 0
		.amdhsa_float_denorm_mode_32 3
		.amdhsa_float_denorm_mode_16_64 3
		.amdhsa_dx10_clamp 1
		.amdhsa_ieee_mode 1
		.amdhsa_fp16_overflow 0
		.amdhsa_tg_split 0
		.amdhsa_exception_fp_ieee_invalid_op 0
		.amdhsa_exception_fp_denorm_src 0
		.amdhsa_exception_fp_ieee_div_zero 0
		.amdhsa_exception_fp_ieee_overflow 0
		.amdhsa_exception_fp_ieee_underflow 0
		.amdhsa_exception_fp_ieee_inexact 0
		.amdhsa_exception_int_div_zero 0
	.end_amdhsa_kernel
	.section	.text._ZN7rocprim17ROCPRIM_400000_NS6detail17trampoline_kernelINS0_14default_configENS1_35radix_sort_onesweep_config_selectorIyNS0_10empty_typeEEEZZNS1_29radix_sort_onesweep_iterationIS3_Lb0EN6thrust23THRUST_200600_302600_NS6detail15normal_iteratorINS9_10device_ptrIyEEEESE_PS5_SF_jNS0_19identity_decomposerENS1_16block_id_wrapperIjLb0EEEEE10hipError_tT1_PNSt15iterator_traitsISK_E10value_typeET2_T3_PNSL_ISQ_E10value_typeET4_T5_PSV_SW_PNS1_23onesweep_lookback_stateEbbT6_jjT7_P12ihipStream_tbENKUlT_T0_SK_SP_E_clIPySE_SF_SF_EEDaS13_S14_SK_SP_EUlS13_E_NS1_11comp_targetILNS1_3genE4ELNS1_11target_archE910ELNS1_3gpuE8ELNS1_3repE0EEENS1_47radix_sort_onesweep_sort_config_static_selectorELNS0_4arch9wavefront6targetE1EEEvSK_,"axG",@progbits,_ZN7rocprim17ROCPRIM_400000_NS6detail17trampoline_kernelINS0_14default_configENS1_35radix_sort_onesweep_config_selectorIyNS0_10empty_typeEEEZZNS1_29radix_sort_onesweep_iterationIS3_Lb0EN6thrust23THRUST_200600_302600_NS6detail15normal_iteratorINS9_10device_ptrIyEEEESE_PS5_SF_jNS0_19identity_decomposerENS1_16block_id_wrapperIjLb0EEEEE10hipError_tT1_PNSt15iterator_traitsISK_E10value_typeET2_T3_PNSL_ISQ_E10value_typeET4_T5_PSV_SW_PNS1_23onesweep_lookback_stateEbbT6_jjT7_P12ihipStream_tbENKUlT_T0_SK_SP_E_clIPySE_SF_SF_EEDaS13_S14_SK_SP_EUlS13_E_NS1_11comp_targetILNS1_3genE4ELNS1_11target_archE910ELNS1_3gpuE8ELNS1_3repE0EEENS1_47radix_sort_onesweep_sort_config_static_selectorELNS0_4arch9wavefront6targetE1EEEvSK_,comdat
.Lfunc_end913:
	.size	_ZN7rocprim17ROCPRIM_400000_NS6detail17trampoline_kernelINS0_14default_configENS1_35radix_sort_onesweep_config_selectorIyNS0_10empty_typeEEEZZNS1_29radix_sort_onesweep_iterationIS3_Lb0EN6thrust23THRUST_200600_302600_NS6detail15normal_iteratorINS9_10device_ptrIyEEEESE_PS5_SF_jNS0_19identity_decomposerENS1_16block_id_wrapperIjLb0EEEEE10hipError_tT1_PNSt15iterator_traitsISK_E10value_typeET2_T3_PNSL_ISQ_E10value_typeET4_T5_PSV_SW_PNS1_23onesweep_lookback_stateEbbT6_jjT7_P12ihipStream_tbENKUlT_T0_SK_SP_E_clIPySE_SF_SF_EEDaS13_S14_SK_SP_EUlS13_E_NS1_11comp_targetILNS1_3genE4ELNS1_11target_archE910ELNS1_3gpuE8ELNS1_3repE0EEENS1_47radix_sort_onesweep_sort_config_static_selectorELNS0_4arch9wavefront6targetE1EEEvSK_, .Lfunc_end913-_ZN7rocprim17ROCPRIM_400000_NS6detail17trampoline_kernelINS0_14default_configENS1_35radix_sort_onesweep_config_selectorIyNS0_10empty_typeEEEZZNS1_29radix_sort_onesweep_iterationIS3_Lb0EN6thrust23THRUST_200600_302600_NS6detail15normal_iteratorINS9_10device_ptrIyEEEESE_PS5_SF_jNS0_19identity_decomposerENS1_16block_id_wrapperIjLb0EEEEE10hipError_tT1_PNSt15iterator_traitsISK_E10value_typeET2_T3_PNSL_ISQ_E10value_typeET4_T5_PSV_SW_PNS1_23onesweep_lookback_stateEbbT6_jjT7_P12ihipStream_tbENKUlT_T0_SK_SP_E_clIPySE_SF_SF_EEDaS13_S14_SK_SP_EUlS13_E_NS1_11comp_targetILNS1_3genE4ELNS1_11target_archE910ELNS1_3gpuE8ELNS1_3repE0EEENS1_47radix_sort_onesweep_sort_config_static_selectorELNS0_4arch9wavefront6targetE1EEEvSK_
                                        ; -- End function
	.section	.AMDGPU.csdata,"",@progbits
; Kernel info:
; codeLenInByte = 10188
; NumSgprs: 34
; NumVgprs: 55
; NumAgprs: 0
; TotalNumVgprs: 55
; ScratchSize: 0
; MemoryBound: 0
; FloatMode: 240
; IeeeMode: 1
; LDSByteSize: 20552 bytes/workgroup (compile time only)
; SGPRBlocks: 4
; VGPRBlocks: 6
; NumSGPRsForWavesPerEU: 34
; NumVGPRsForWavesPerEU: 55
; AccumOffset: 56
; Occupancy: 8
; WaveLimiterHint : 1
; COMPUTE_PGM_RSRC2:SCRATCH_EN: 0
; COMPUTE_PGM_RSRC2:USER_SGPR: 6
; COMPUTE_PGM_RSRC2:TRAP_HANDLER: 0
; COMPUTE_PGM_RSRC2:TGID_X_EN: 1
; COMPUTE_PGM_RSRC2:TGID_Y_EN: 0
; COMPUTE_PGM_RSRC2:TGID_Z_EN: 0
; COMPUTE_PGM_RSRC2:TIDIG_COMP_CNT: 2
; COMPUTE_PGM_RSRC3_GFX90A:ACCUM_OFFSET: 13
; COMPUTE_PGM_RSRC3_GFX90A:TG_SPLIT: 0
	.section	.text._ZN7rocprim17ROCPRIM_400000_NS6detail17trampoline_kernelINS0_14default_configENS1_35radix_sort_onesweep_config_selectorIyNS0_10empty_typeEEEZZNS1_29radix_sort_onesweep_iterationIS3_Lb0EN6thrust23THRUST_200600_302600_NS6detail15normal_iteratorINS9_10device_ptrIyEEEESE_PS5_SF_jNS0_19identity_decomposerENS1_16block_id_wrapperIjLb0EEEEE10hipError_tT1_PNSt15iterator_traitsISK_E10value_typeET2_T3_PNSL_ISQ_E10value_typeET4_T5_PSV_SW_PNS1_23onesweep_lookback_stateEbbT6_jjT7_P12ihipStream_tbENKUlT_T0_SK_SP_E_clIPySE_SF_SF_EEDaS13_S14_SK_SP_EUlS13_E_NS1_11comp_targetILNS1_3genE3ELNS1_11target_archE908ELNS1_3gpuE7ELNS1_3repE0EEENS1_47radix_sort_onesweep_sort_config_static_selectorELNS0_4arch9wavefront6targetE1EEEvSK_,"axG",@progbits,_ZN7rocprim17ROCPRIM_400000_NS6detail17trampoline_kernelINS0_14default_configENS1_35radix_sort_onesweep_config_selectorIyNS0_10empty_typeEEEZZNS1_29radix_sort_onesweep_iterationIS3_Lb0EN6thrust23THRUST_200600_302600_NS6detail15normal_iteratorINS9_10device_ptrIyEEEESE_PS5_SF_jNS0_19identity_decomposerENS1_16block_id_wrapperIjLb0EEEEE10hipError_tT1_PNSt15iterator_traitsISK_E10value_typeET2_T3_PNSL_ISQ_E10value_typeET4_T5_PSV_SW_PNS1_23onesweep_lookback_stateEbbT6_jjT7_P12ihipStream_tbENKUlT_T0_SK_SP_E_clIPySE_SF_SF_EEDaS13_S14_SK_SP_EUlS13_E_NS1_11comp_targetILNS1_3genE3ELNS1_11target_archE908ELNS1_3gpuE7ELNS1_3repE0EEENS1_47radix_sort_onesweep_sort_config_static_selectorELNS0_4arch9wavefront6targetE1EEEvSK_,comdat
	.protected	_ZN7rocprim17ROCPRIM_400000_NS6detail17trampoline_kernelINS0_14default_configENS1_35radix_sort_onesweep_config_selectorIyNS0_10empty_typeEEEZZNS1_29radix_sort_onesweep_iterationIS3_Lb0EN6thrust23THRUST_200600_302600_NS6detail15normal_iteratorINS9_10device_ptrIyEEEESE_PS5_SF_jNS0_19identity_decomposerENS1_16block_id_wrapperIjLb0EEEEE10hipError_tT1_PNSt15iterator_traitsISK_E10value_typeET2_T3_PNSL_ISQ_E10value_typeET4_T5_PSV_SW_PNS1_23onesweep_lookback_stateEbbT6_jjT7_P12ihipStream_tbENKUlT_T0_SK_SP_E_clIPySE_SF_SF_EEDaS13_S14_SK_SP_EUlS13_E_NS1_11comp_targetILNS1_3genE3ELNS1_11target_archE908ELNS1_3gpuE7ELNS1_3repE0EEENS1_47radix_sort_onesweep_sort_config_static_selectorELNS0_4arch9wavefront6targetE1EEEvSK_ ; -- Begin function _ZN7rocprim17ROCPRIM_400000_NS6detail17trampoline_kernelINS0_14default_configENS1_35radix_sort_onesweep_config_selectorIyNS0_10empty_typeEEEZZNS1_29radix_sort_onesweep_iterationIS3_Lb0EN6thrust23THRUST_200600_302600_NS6detail15normal_iteratorINS9_10device_ptrIyEEEESE_PS5_SF_jNS0_19identity_decomposerENS1_16block_id_wrapperIjLb0EEEEE10hipError_tT1_PNSt15iterator_traitsISK_E10value_typeET2_T3_PNSL_ISQ_E10value_typeET4_T5_PSV_SW_PNS1_23onesweep_lookback_stateEbbT6_jjT7_P12ihipStream_tbENKUlT_T0_SK_SP_E_clIPySE_SF_SF_EEDaS13_S14_SK_SP_EUlS13_E_NS1_11comp_targetILNS1_3genE3ELNS1_11target_archE908ELNS1_3gpuE7ELNS1_3repE0EEENS1_47radix_sort_onesweep_sort_config_static_selectorELNS0_4arch9wavefront6targetE1EEEvSK_
	.globl	_ZN7rocprim17ROCPRIM_400000_NS6detail17trampoline_kernelINS0_14default_configENS1_35radix_sort_onesweep_config_selectorIyNS0_10empty_typeEEEZZNS1_29radix_sort_onesweep_iterationIS3_Lb0EN6thrust23THRUST_200600_302600_NS6detail15normal_iteratorINS9_10device_ptrIyEEEESE_PS5_SF_jNS0_19identity_decomposerENS1_16block_id_wrapperIjLb0EEEEE10hipError_tT1_PNSt15iterator_traitsISK_E10value_typeET2_T3_PNSL_ISQ_E10value_typeET4_T5_PSV_SW_PNS1_23onesweep_lookback_stateEbbT6_jjT7_P12ihipStream_tbENKUlT_T0_SK_SP_E_clIPySE_SF_SF_EEDaS13_S14_SK_SP_EUlS13_E_NS1_11comp_targetILNS1_3genE3ELNS1_11target_archE908ELNS1_3gpuE7ELNS1_3repE0EEENS1_47radix_sort_onesweep_sort_config_static_selectorELNS0_4arch9wavefront6targetE1EEEvSK_
	.p2align	8
	.type	_ZN7rocprim17ROCPRIM_400000_NS6detail17trampoline_kernelINS0_14default_configENS1_35radix_sort_onesweep_config_selectorIyNS0_10empty_typeEEEZZNS1_29radix_sort_onesweep_iterationIS3_Lb0EN6thrust23THRUST_200600_302600_NS6detail15normal_iteratorINS9_10device_ptrIyEEEESE_PS5_SF_jNS0_19identity_decomposerENS1_16block_id_wrapperIjLb0EEEEE10hipError_tT1_PNSt15iterator_traitsISK_E10value_typeET2_T3_PNSL_ISQ_E10value_typeET4_T5_PSV_SW_PNS1_23onesweep_lookback_stateEbbT6_jjT7_P12ihipStream_tbENKUlT_T0_SK_SP_E_clIPySE_SF_SF_EEDaS13_S14_SK_SP_EUlS13_E_NS1_11comp_targetILNS1_3genE3ELNS1_11target_archE908ELNS1_3gpuE7ELNS1_3repE0EEENS1_47radix_sort_onesweep_sort_config_static_selectorELNS0_4arch9wavefront6targetE1EEEvSK_,@function
_ZN7rocprim17ROCPRIM_400000_NS6detail17trampoline_kernelINS0_14default_configENS1_35radix_sort_onesweep_config_selectorIyNS0_10empty_typeEEEZZNS1_29radix_sort_onesweep_iterationIS3_Lb0EN6thrust23THRUST_200600_302600_NS6detail15normal_iteratorINS9_10device_ptrIyEEEESE_PS5_SF_jNS0_19identity_decomposerENS1_16block_id_wrapperIjLb0EEEEE10hipError_tT1_PNSt15iterator_traitsISK_E10value_typeET2_T3_PNSL_ISQ_E10value_typeET4_T5_PSV_SW_PNS1_23onesweep_lookback_stateEbbT6_jjT7_P12ihipStream_tbENKUlT_T0_SK_SP_E_clIPySE_SF_SF_EEDaS13_S14_SK_SP_EUlS13_E_NS1_11comp_targetILNS1_3genE3ELNS1_11target_archE908ELNS1_3gpuE7ELNS1_3repE0EEENS1_47radix_sort_onesweep_sort_config_static_selectorELNS0_4arch9wavefront6targetE1EEEvSK_: ; @_ZN7rocprim17ROCPRIM_400000_NS6detail17trampoline_kernelINS0_14default_configENS1_35radix_sort_onesweep_config_selectorIyNS0_10empty_typeEEEZZNS1_29radix_sort_onesweep_iterationIS3_Lb0EN6thrust23THRUST_200600_302600_NS6detail15normal_iteratorINS9_10device_ptrIyEEEESE_PS5_SF_jNS0_19identity_decomposerENS1_16block_id_wrapperIjLb0EEEEE10hipError_tT1_PNSt15iterator_traitsISK_E10value_typeET2_T3_PNSL_ISQ_E10value_typeET4_T5_PSV_SW_PNS1_23onesweep_lookback_stateEbbT6_jjT7_P12ihipStream_tbENKUlT_T0_SK_SP_E_clIPySE_SF_SF_EEDaS13_S14_SK_SP_EUlS13_E_NS1_11comp_targetILNS1_3genE3ELNS1_11target_archE908ELNS1_3gpuE7ELNS1_3repE0EEENS1_47radix_sort_onesweep_sort_config_static_selectorELNS0_4arch9wavefront6targetE1EEEvSK_
; %bb.0:
	.section	.rodata,"a",@progbits
	.p2align	6, 0x0
	.amdhsa_kernel _ZN7rocprim17ROCPRIM_400000_NS6detail17trampoline_kernelINS0_14default_configENS1_35radix_sort_onesweep_config_selectorIyNS0_10empty_typeEEEZZNS1_29radix_sort_onesweep_iterationIS3_Lb0EN6thrust23THRUST_200600_302600_NS6detail15normal_iteratorINS9_10device_ptrIyEEEESE_PS5_SF_jNS0_19identity_decomposerENS1_16block_id_wrapperIjLb0EEEEE10hipError_tT1_PNSt15iterator_traitsISK_E10value_typeET2_T3_PNSL_ISQ_E10value_typeET4_T5_PSV_SW_PNS1_23onesweep_lookback_stateEbbT6_jjT7_P12ihipStream_tbENKUlT_T0_SK_SP_E_clIPySE_SF_SF_EEDaS13_S14_SK_SP_EUlS13_E_NS1_11comp_targetILNS1_3genE3ELNS1_11target_archE908ELNS1_3gpuE7ELNS1_3repE0EEENS1_47radix_sort_onesweep_sort_config_static_selectorELNS0_4arch9wavefront6targetE1EEEvSK_
		.amdhsa_group_segment_fixed_size 0
		.amdhsa_private_segment_fixed_size 0
		.amdhsa_kernarg_size 88
		.amdhsa_user_sgpr_count 6
		.amdhsa_user_sgpr_private_segment_buffer 1
		.amdhsa_user_sgpr_dispatch_ptr 0
		.amdhsa_user_sgpr_queue_ptr 0
		.amdhsa_user_sgpr_kernarg_segment_ptr 1
		.amdhsa_user_sgpr_dispatch_id 0
		.amdhsa_user_sgpr_flat_scratch_init 0
		.amdhsa_user_sgpr_kernarg_preload_length 0
		.amdhsa_user_sgpr_kernarg_preload_offset 0
		.amdhsa_user_sgpr_private_segment_size 0
		.amdhsa_uses_dynamic_stack 0
		.amdhsa_system_sgpr_private_segment_wavefront_offset 0
		.amdhsa_system_sgpr_workgroup_id_x 1
		.amdhsa_system_sgpr_workgroup_id_y 0
		.amdhsa_system_sgpr_workgroup_id_z 0
		.amdhsa_system_sgpr_workgroup_info 0
		.amdhsa_system_vgpr_workitem_id 0
		.amdhsa_next_free_vgpr 1
		.amdhsa_next_free_sgpr 0
		.amdhsa_accum_offset 4
		.amdhsa_reserve_vcc 0
		.amdhsa_reserve_flat_scratch 0
		.amdhsa_float_round_mode_32 0
		.amdhsa_float_round_mode_16_64 0
		.amdhsa_float_denorm_mode_32 3
		.amdhsa_float_denorm_mode_16_64 3
		.amdhsa_dx10_clamp 1
		.amdhsa_ieee_mode 1
		.amdhsa_fp16_overflow 0
		.amdhsa_tg_split 0
		.amdhsa_exception_fp_ieee_invalid_op 0
		.amdhsa_exception_fp_denorm_src 0
		.amdhsa_exception_fp_ieee_div_zero 0
		.amdhsa_exception_fp_ieee_overflow 0
		.amdhsa_exception_fp_ieee_underflow 0
		.amdhsa_exception_fp_ieee_inexact 0
		.amdhsa_exception_int_div_zero 0
	.end_amdhsa_kernel
	.section	.text._ZN7rocprim17ROCPRIM_400000_NS6detail17trampoline_kernelINS0_14default_configENS1_35radix_sort_onesweep_config_selectorIyNS0_10empty_typeEEEZZNS1_29radix_sort_onesweep_iterationIS3_Lb0EN6thrust23THRUST_200600_302600_NS6detail15normal_iteratorINS9_10device_ptrIyEEEESE_PS5_SF_jNS0_19identity_decomposerENS1_16block_id_wrapperIjLb0EEEEE10hipError_tT1_PNSt15iterator_traitsISK_E10value_typeET2_T3_PNSL_ISQ_E10value_typeET4_T5_PSV_SW_PNS1_23onesweep_lookback_stateEbbT6_jjT7_P12ihipStream_tbENKUlT_T0_SK_SP_E_clIPySE_SF_SF_EEDaS13_S14_SK_SP_EUlS13_E_NS1_11comp_targetILNS1_3genE3ELNS1_11target_archE908ELNS1_3gpuE7ELNS1_3repE0EEENS1_47radix_sort_onesweep_sort_config_static_selectorELNS0_4arch9wavefront6targetE1EEEvSK_,"axG",@progbits,_ZN7rocprim17ROCPRIM_400000_NS6detail17trampoline_kernelINS0_14default_configENS1_35radix_sort_onesweep_config_selectorIyNS0_10empty_typeEEEZZNS1_29radix_sort_onesweep_iterationIS3_Lb0EN6thrust23THRUST_200600_302600_NS6detail15normal_iteratorINS9_10device_ptrIyEEEESE_PS5_SF_jNS0_19identity_decomposerENS1_16block_id_wrapperIjLb0EEEEE10hipError_tT1_PNSt15iterator_traitsISK_E10value_typeET2_T3_PNSL_ISQ_E10value_typeET4_T5_PSV_SW_PNS1_23onesweep_lookback_stateEbbT6_jjT7_P12ihipStream_tbENKUlT_T0_SK_SP_E_clIPySE_SF_SF_EEDaS13_S14_SK_SP_EUlS13_E_NS1_11comp_targetILNS1_3genE3ELNS1_11target_archE908ELNS1_3gpuE7ELNS1_3repE0EEENS1_47radix_sort_onesweep_sort_config_static_selectorELNS0_4arch9wavefront6targetE1EEEvSK_,comdat
.Lfunc_end914:
	.size	_ZN7rocprim17ROCPRIM_400000_NS6detail17trampoline_kernelINS0_14default_configENS1_35radix_sort_onesweep_config_selectorIyNS0_10empty_typeEEEZZNS1_29radix_sort_onesweep_iterationIS3_Lb0EN6thrust23THRUST_200600_302600_NS6detail15normal_iteratorINS9_10device_ptrIyEEEESE_PS5_SF_jNS0_19identity_decomposerENS1_16block_id_wrapperIjLb0EEEEE10hipError_tT1_PNSt15iterator_traitsISK_E10value_typeET2_T3_PNSL_ISQ_E10value_typeET4_T5_PSV_SW_PNS1_23onesweep_lookback_stateEbbT6_jjT7_P12ihipStream_tbENKUlT_T0_SK_SP_E_clIPySE_SF_SF_EEDaS13_S14_SK_SP_EUlS13_E_NS1_11comp_targetILNS1_3genE3ELNS1_11target_archE908ELNS1_3gpuE7ELNS1_3repE0EEENS1_47radix_sort_onesweep_sort_config_static_selectorELNS0_4arch9wavefront6targetE1EEEvSK_, .Lfunc_end914-_ZN7rocprim17ROCPRIM_400000_NS6detail17trampoline_kernelINS0_14default_configENS1_35radix_sort_onesweep_config_selectorIyNS0_10empty_typeEEEZZNS1_29radix_sort_onesweep_iterationIS3_Lb0EN6thrust23THRUST_200600_302600_NS6detail15normal_iteratorINS9_10device_ptrIyEEEESE_PS5_SF_jNS0_19identity_decomposerENS1_16block_id_wrapperIjLb0EEEEE10hipError_tT1_PNSt15iterator_traitsISK_E10value_typeET2_T3_PNSL_ISQ_E10value_typeET4_T5_PSV_SW_PNS1_23onesweep_lookback_stateEbbT6_jjT7_P12ihipStream_tbENKUlT_T0_SK_SP_E_clIPySE_SF_SF_EEDaS13_S14_SK_SP_EUlS13_E_NS1_11comp_targetILNS1_3genE3ELNS1_11target_archE908ELNS1_3gpuE7ELNS1_3repE0EEENS1_47radix_sort_onesweep_sort_config_static_selectorELNS0_4arch9wavefront6targetE1EEEvSK_
                                        ; -- End function
	.section	.AMDGPU.csdata,"",@progbits
; Kernel info:
; codeLenInByte = 0
; NumSgprs: 4
; NumVgprs: 0
; NumAgprs: 0
; TotalNumVgprs: 0
; ScratchSize: 0
; MemoryBound: 0
; FloatMode: 240
; IeeeMode: 1
; LDSByteSize: 0 bytes/workgroup (compile time only)
; SGPRBlocks: 0
; VGPRBlocks: 0
; NumSGPRsForWavesPerEU: 4
; NumVGPRsForWavesPerEU: 1
; AccumOffset: 4
; Occupancy: 8
; WaveLimiterHint : 0
; COMPUTE_PGM_RSRC2:SCRATCH_EN: 0
; COMPUTE_PGM_RSRC2:USER_SGPR: 6
; COMPUTE_PGM_RSRC2:TRAP_HANDLER: 0
; COMPUTE_PGM_RSRC2:TGID_X_EN: 1
; COMPUTE_PGM_RSRC2:TGID_Y_EN: 0
; COMPUTE_PGM_RSRC2:TGID_Z_EN: 0
; COMPUTE_PGM_RSRC2:TIDIG_COMP_CNT: 0
; COMPUTE_PGM_RSRC3_GFX90A:ACCUM_OFFSET: 0
; COMPUTE_PGM_RSRC3_GFX90A:TG_SPLIT: 0
	.section	.text._ZN7rocprim17ROCPRIM_400000_NS6detail17trampoline_kernelINS0_14default_configENS1_35radix_sort_onesweep_config_selectorIyNS0_10empty_typeEEEZZNS1_29radix_sort_onesweep_iterationIS3_Lb0EN6thrust23THRUST_200600_302600_NS6detail15normal_iteratorINS9_10device_ptrIyEEEESE_PS5_SF_jNS0_19identity_decomposerENS1_16block_id_wrapperIjLb0EEEEE10hipError_tT1_PNSt15iterator_traitsISK_E10value_typeET2_T3_PNSL_ISQ_E10value_typeET4_T5_PSV_SW_PNS1_23onesweep_lookback_stateEbbT6_jjT7_P12ihipStream_tbENKUlT_T0_SK_SP_E_clIPySE_SF_SF_EEDaS13_S14_SK_SP_EUlS13_E_NS1_11comp_targetILNS1_3genE10ELNS1_11target_archE1201ELNS1_3gpuE5ELNS1_3repE0EEENS1_47radix_sort_onesweep_sort_config_static_selectorELNS0_4arch9wavefront6targetE1EEEvSK_,"axG",@progbits,_ZN7rocprim17ROCPRIM_400000_NS6detail17trampoline_kernelINS0_14default_configENS1_35radix_sort_onesweep_config_selectorIyNS0_10empty_typeEEEZZNS1_29radix_sort_onesweep_iterationIS3_Lb0EN6thrust23THRUST_200600_302600_NS6detail15normal_iteratorINS9_10device_ptrIyEEEESE_PS5_SF_jNS0_19identity_decomposerENS1_16block_id_wrapperIjLb0EEEEE10hipError_tT1_PNSt15iterator_traitsISK_E10value_typeET2_T3_PNSL_ISQ_E10value_typeET4_T5_PSV_SW_PNS1_23onesweep_lookback_stateEbbT6_jjT7_P12ihipStream_tbENKUlT_T0_SK_SP_E_clIPySE_SF_SF_EEDaS13_S14_SK_SP_EUlS13_E_NS1_11comp_targetILNS1_3genE10ELNS1_11target_archE1201ELNS1_3gpuE5ELNS1_3repE0EEENS1_47radix_sort_onesweep_sort_config_static_selectorELNS0_4arch9wavefront6targetE1EEEvSK_,comdat
	.protected	_ZN7rocprim17ROCPRIM_400000_NS6detail17trampoline_kernelINS0_14default_configENS1_35radix_sort_onesweep_config_selectorIyNS0_10empty_typeEEEZZNS1_29radix_sort_onesweep_iterationIS3_Lb0EN6thrust23THRUST_200600_302600_NS6detail15normal_iteratorINS9_10device_ptrIyEEEESE_PS5_SF_jNS0_19identity_decomposerENS1_16block_id_wrapperIjLb0EEEEE10hipError_tT1_PNSt15iterator_traitsISK_E10value_typeET2_T3_PNSL_ISQ_E10value_typeET4_T5_PSV_SW_PNS1_23onesweep_lookback_stateEbbT6_jjT7_P12ihipStream_tbENKUlT_T0_SK_SP_E_clIPySE_SF_SF_EEDaS13_S14_SK_SP_EUlS13_E_NS1_11comp_targetILNS1_3genE10ELNS1_11target_archE1201ELNS1_3gpuE5ELNS1_3repE0EEENS1_47radix_sort_onesweep_sort_config_static_selectorELNS0_4arch9wavefront6targetE1EEEvSK_ ; -- Begin function _ZN7rocprim17ROCPRIM_400000_NS6detail17trampoline_kernelINS0_14default_configENS1_35radix_sort_onesweep_config_selectorIyNS0_10empty_typeEEEZZNS1_29radix_sort_onesweep_iterationIS3_Lb0EN6thrust23THRUST_200600_302600_NS6detail15normal_iteratorINS9_10device_ptrIyEEEESE_PS5_SF_jNS0_19identity_decomposerENS1_16block_id_wrapperIjLb0EEEEE10hipError_tT1_PNSt15iterator_traitsISK_E10value_typeET2_T3_PNSL_ISQ_E10value_typeET4_T5_PSV_SW_PNS1_23onesweep_lookback_stateEbbT6_jjT7_P12ihipStream_tbENKUlT_T0_SK_SP_E_clIPySE_SF_SF_EEDaS13_S14_SK_SP_EUlS13_E_NS1_11comp_targetILNS1_3genE10ELNS1_11target_archE1201ELNS1_3gpuE5ELNS1_3repE0EEENS1_47radix_sort_onesweep_sort_config_static_selectorELNS0_4arch9wavefront6targetE1EEEvSK_
	.globl	_ZN7rocprim17ROCPRIM_400000_NS6detail17trampoline_kernelINS0_14default_configENS1_35radix_sort_onesweep_config_selectorIyNS0_10empty_typeEEEZZNS1_29radix_sort_onesweep_iterationIS3_Lb0EN6thrust23THRUST_200600_302600_NS6detail15normal_iteratorINS9_10device_ptrIyEEEESE_PS5_SF_jNS0_19identity_decomposerENS1_16block_id_wrapperIjLb0EEEEE10hipError_tT1_PNSt15iterator_traitsISK_E10value_typeET2_T3_PNSL_ISQ_E10value_typeET4_T5_PSV_SW_PNS1_23onesweep_lookback_stateEbbT6_jjT7_P12ihipStream_tbENKUlT_T0_SK_SP_E_clIPySE_SF_SF_EEDaS13_S14_SK_SP_EUlS13_E_NS1_11comp_targetILNS1_3genE10ELNS1_11target_archE1201ELNS1_3gpuE5ELNS1_3repE0EEENS1_47radix_sort_onesweep_sort_config_static_selectorELNS0_4arch9wavefront6targetE1EEEvSK_
	.p2align	8
	.type	_ZN7rocprim17ROCPRIM_400000_NS6detail17trampoline_kernelINS0_14default_configENS1_35radix_sort_onesweep_config_selectorIyNS0_10empty_typeEEEZZNS1_29radix_sort_onesweep_iterationIS3_Lb0EN6thrust23THRUST_200600_302600_NS6detail15normal_iteratorINS9_10device_ptrIyEEEESE_PS5_SF_jNS0_19identity_decomposerENS1_16block_id_wrapperIjLb0EEEEE10hipError_tT1_PNSt15iterator_traitsISK_E10value_typeET2_T3_PNSL_ISQ_E10value_typeET4_T5_PSV_SW_PNS1_23onesweep_lookback_stateEbbT6_jjT7_P12ihipStream_tbENKUlT_T0_SK_SP_E_clIPySE_SF_SF_EEDaS13_S14_SK_SP_EUlS13_E_NS1_11comp_targetILNS1_3genE10ELNS1_11target_archE1201ELNS1_3gpuE5ELNS1_3repE0EEENS1_47radix_sort_onesweep_sort_config_static_selectorELNS0_4arch9wavefront6targetE1EEEvSK_,@function
_ZN7rocprim17ROCPRIM_400000_NS6detail17trampoline_kernelINS0_14default_configENS1_35radix_sort_onesweep_config_selectorIyNS0_10empty_typeEEEZZNS1_29radix_sort_onesweep_iterationIS3_Lb0EN6thrust23THRUST_200600_302600_NS6detail15normal_iteratorINS9_10device_ptrIyEEEESE_PS5_SF_jNS0_19identity_decomposerENS1_16block_id_wrapperIjLb0EEEEE10hipError_tT1_PNSt15iterator_traitsISK_E10value_typeET2_T3_PNSL_ISQ_E10value_typeET4_T5_PSV_SW_PNS1_23onesweep_lookback_stateEbbT6_jjT7_P12ihipStream_tbENKUlT_T0_SK_SP_E_clIPySE_SF_SF_EEDaS13_S14_SK_SP_EUlS13_E_NS1_11comp_targetILNS1_3genE10ELNS1_11target_archE1201ELNS1_3gpuE5ELNS1_3repE0EEENS1_47radix_sort_onesweep_sort_config_static_selectorELNS0_4arch9wavefront6targetE1EEEvSK_: ; @_ZN7rocprim17ROCPRIM_400000_NS6detail17trampoline_kernelINS0_14default_configENS1_35radix_sort_onesweep_config_selectorIyNS0_10empty_typeEEEZZNS1_29radix_sort_onesweep_iterationIS3_Lb0EN6thrust23THRUST_200600_302600_NS6detail15normal_iteratorINS9_10device_ptrIyEEEESE_PS5_SF_jNS0_19identity_decomposerENS1_16block_id_wrapperIjLb0EEEEE10hipError_tT1_PNSt15iterator_traitsISK_E10value_typeET2_T3_PNSL_ISQ_E10value_typeET4_T5_PSV_SW_PNS1_23onesweep_lookback_stateEbbT6_jjT7_P12ihipStream_tbENKUlT_T0_SK_SP_E_clIPySE_SF_SF_EEDaS13_S14_SK_SP_EUlS13_E_NS1_11comp_targetILNS1_3genE10ELNS1_11target_archE1201ELNS1_3gpuE5ELNS1_3repE0EEENS1_47radix_sort_onesweep_sort_config_static_selectorELNS0_4arch9wavefront6targetE1EEEvSK_
; %bb.0:
	.section	.rodata,"a",@progbits
	.p2align	6, 0x0
	.amdhsa_kernel _ZN7rocprim17ROCPRIM_400000_NS6detail17trampoline_kernelINS0_14default_configENS1_35radix_sort_onesweep_config_selectorIyNS0_10empty_typeEEEZZNS1_29radix_sort_onesweep_iterationIS3_Lb0EN6thrust23THRUST_200600_302600_NS6detail15normal_iteratorINS9_10device_ptrIyEEEESE_PS5_SF_jNS0_19identity_decomposerENS1_16block_id_wrapperIjLb0EEEEE10hipError_tT1_PNSt15iterator_traitsISK_E10value_typeET2_T3_PNSL_ISQ_E10value_typeET4_T5_PSV_SW_PNS1_23onesweep_lookback_stateEbbT6_jjT7_P12ihipStream_tbENKUlT_T0_SK_SP_E_clIPySE_SF_SF_EEDaS13_S14_SK_SP_EUlS13_E_NS1_11comp_targetILNS1_3genE10ELNS1_11target_archE1201ELNS1_3gpuE5ELNS1_3repE0EEENS1_47radix_sort_onesweep_sort_config_static_selectorELNS0_4arch9wavefront6targetE1EEEvSK_
		.amdhsa_group_segment_fixed_size 0
		.amdhsa_private_segment_fixed_size 0
		.amdhsa_kernarg_size 88
		.amdhsa_user_sgpr_count 6
		.amdhsa_user_sgpr_private_segment_buffer 1
		.amdhsa_user_sgpr_dispatch_ptr 0
		.amdhsa_user_sgpr_queue_ptr 0
		.amdhsa_user_sgpr_kernarg_segment_ptr 1
		.amdhsa_user_sgpr_dispatch_id 0
		.amdhsa_user_sgpr_flat_scratch_init 0
		.amdhsa_user_sgpr_kernarg_preload_length 0
		.amdhsa_user_sgpr_kernarg_preload_offset 0
		.amdhsa_user_sgpr_private_segment_size 0
		.amdhsa_uses_dynamic_stack 0
		.amdhsa_system_sgpr_private_segment_wavefront_offset 0
		.amdhsa_system_sgpr_workgroup_id_x 1
		.amdhsa_system_sgpr_workgroup_id_y 0
		.amdhsa_system_sgpr_workgroup_id_z 0
		.amdhsa_system_sgpr_workgroup_info 0
		.amdhsa_system_vgpr_workitem_id 0
		.amdhsa_next_free_vgpr 1
		.amdhsa_next_free_sgpr 0
		.amdhsa_accum_offset 4
		.amdhsa_reserve_vcc 0
		.amdhsa_reserve_flat_scratch 0
		.amdhsa_float_round_mode_32 0
		.amdhsa_float_round_mode_16_64 0
		.amdhsa_float_denorm_mode_32 3
		.amdhsa_float_denorm_mode_16_64 3
		.amdhsa_dx10_clamp 1
		.amdhsa_ieee_mode 1
		.amdhsa_fp16_overflow 0
		.amdhsa_tg_split 0
		.amdhsa_exception_fp_ieee_invalid_op 0
		.amdhsa_exception_fp_denorm_src 0
		.amdhsa_exception_fp_ieee_div_zero 0
		.amdhsa_exception_fp_ieee_overflow 0
		.amdhsa_exception_fp_ieee_underflow 0
		.amdhsa_exception_fp_ieee_inexact 0
		.amdhsa_exception_int_div_zero 0
	.end_amdhsa_kernel
	.section	.text._ZN7rocprim17ROCPRIM_400000_NS6detail17trampoline_kernelINS0_14default_configENS1_35radix_sort_onesweep_config_selectorIyNS0_10empty_typeEEEZZNS1_29radix_sort_onesweep_iterationIS3_Lb0EN6thrust23THRUST_200600_302600_NS6detail15normal_iteratorINS9_10device_ptrIyEEEESE_PS5_SF_jNS0_19identity_decomposerENS1_16block_id_wrapperIjLb0EEEEE10hipError_tT1_PNSt15iterator_traitsISK_E10value_typeET2_T3_PNSL_ISQ_E10value_typeET4_T5_PSV_SW_PNS1_23onesweep_lookback_stateEbbT6_jjT7_P12ihipStream_tbENKUlT_T0_SK_SP_E_clIPySE_SF_SF_EEDaS13_S14_SK_SP_EUlS13_E_NS1_11comp_targetILNS1_3genE10ELNS1_11target_archE1201ELNS1_3gpuE5ELNS1_3repE0EEENS1_47radix_sort_onesweep_sort_config_static_selectorELNS0_4arch9wavefront6targetE1EEEvSK_,"axG",@progbits,_ZN7rocprim17ROCPRIM_400000_NS6detail17trampoline_kernelINS0_14default_configENS1_35radix_sort_onesweep_config_selectorIyNS0_10empty_typeEEEZZNS1_29radix_sort_onesweep_iterationIS3_Lb0EN6thrust23THRUST_200600_302600_NS6detail15normal_iteratorINS9_10device_ptrIyEEEESE_PS5_SF_jNS0_19identity_decomposerENS1_16block_id_wrapperIjLb0EEEEE10hipError_tT1_PNSt15iterator_traitsISK_E10value_typeET2_T3_PNSL_ISQ_E10value_typeET4_T5_PSV_SW_PNS1_23onesweep_lookback_stateEbbT6_jjT7_P12ihipStream_tbENKUlT_T0_SK_SP_E_clIPySE_SF_SF_EEDaS13_S14_SK_SP_EUlS13_E_NS1_11comp_targetILNS1_3genE10ELNS1_11target_archE1201ELNS1_3gpuE5ELNS1_3repE0EEENS1_47radix_sort_onesweep_sort_config_static_selectorELNS0_4arch9wavefront6targetE1EEEvSK_,comdat
.Lfunc_end915:
	.size	_ZN7rocprim17ROCPRIM_400000_NS6detail17trampoline_kernelINS0_14default_configENS1_35radix_sort_onesweep_config_selectorIyNS0_10empty_typeEEEZZNS1_29radix_sort_onesweep_iterationIS3_Lb0EN6thrust23THRUST_200600_302600_NS6detail15normal_iteratorINS9_10device_ptrIyEEEESE_PS5_SF_jNS0_19identity_decomposerENS1_16block_id_wrapperIjLb0EEEEE10hipError_tT1_PNSt15iterator_traitsISK_E10value_typeET2_T3_PNSL_ISQ_E10value_typeET4_T5_PSV_SW_PNS1_23onesweep_lookback_stateEbbT6_jjT7_P12ihipStream_tbENKUlT_T0_SK_SP_E_clIPySE_SF_SF_EEDaS13_S14_SK_SP_EUlS13_E_NS1_11comp_targetILNS1_3genE10ELNS1_11target_archE1201ELNS1_3gpuE5ELNS1_3repE0EEENS1_47radix_sort_onesweep_sort_config_static_selectorELNS0_4arch9wavefront6targetE1EEEvSK_, .Lfunc_end915-_ZN7rocprim17ROCPRIM_400000_NS6detail17trampoline_kernelINS0_14default_configENS1_35radix_sort_onesweep_config_selectorIyNS0_10empty_typeEEEZZNS1_29radix_sort_onesweep_iterationIS3_Lb0EN6thrust23THRUST_200600_302600_NS6detail15normal_iteratorINS9_10device_ptrIyEEEESE_PS5_SF_jNS0_19identity_decomposerENS1_16block_id_wrapperIjLb0EEEEE10hipError_tT1_PNSt15iterator_traitsISK_E10value_typeET2_T3_PNSL_ISQ_E10value_typeET4_T5_PSV_SW_PNS1_23onesweep_lookback_stateEbbT6_jjT7_P12ihipStream_tbENKUlT_T0_SK_SP_E_clIPySE_SF_SF_EEDaS13_S14_SK_SP_EUlS13_E_NS1_11comp_targetILNS1_3genE10ELNS1_11target_archE1201ELNS1_3gpuE5ELNS1_3repE0EEENS1_47radix_sort_onesweep_sort_config_static_selectorELNS0_4arch9wavefront6targetE1EEEvSK_
                                        ; -- End function
	.section	.AMDGPU.csdata,"",@progbits
; Kernel info:
; codeLenInByte = 0
; NumSgprs: 4
; NumVgprs: 0
; NumAgprs: 0
; TotalNumVgprs: 0
; ScratchSize: 0
; MemoryBound: 0
; FloatMode: 240
; IeeeMode: 1
; LDSByteSize: 0 bytes/workgroup (compile time only)
; SGPRBlocks: 0
; VGPRBlocks: 0
; NumSGPRsForWavesPerEU: 4
; NumVGPRsForWavesPerEU: 1
; AccumOffset: 4
; Occupancy: 8
; WaveLimiterHint : 0
; COMPUTE_PGM_RSRC2:SCRATCH_EN: 0
; COMPUTE_PGM_RSRC2:USER_SGPR: 6
; COMPUTE_PGM_RSRC2:TRAP_HANDLER: 0
; COMPUTE_PGM_RSRC2:TGID_X_EN: 1
; COMPUTE_PGM_RSRC2:TGID_Y_EN: 0
; COMPUTE_PGM_RSRC2:TGID_Z_EN: 0
; COMPUTE_PGM_RSRC2:TIDIG_COMP_CNT: 0
; COMPUTE_PGM_RSRC3_GFX90A:ACCUM_OFFSET: 0
; COMPUTE_PGM_RSRC3_GFX90A:TG_SPLIT: 0
	.section	.text._ZN7rocprim17ROCPRIM_400000_NS6detail17trampoline_kernelINS0_14default_configENS1_35radix_sort_onesweep_config_selectorIyNS0_10empty_typeEEEZZNS1_29radix_sort_onesweep_iterationIS3_Lb0EN6thrust23THRUST_200600_302600_NS6detail15normal_iteratorINS9_10device_ptrIyEEEESE_PS5_SF_jNS0_19identity_decomposerENS1_16block_id_wrapperIjLb0EEEEE10hipError_tT1_PNSt15iterator_traitsISK_E10value_typeET2_T3_PNSL_ISQ_E10value_typeET4_T5_PSV_SW_PNS1_23onesweep_lookback_stateEbbT6_jjT7_P12ihipStream_tbENKUlT_T0_SK_SP_E_clIPySE_SF_SF_EEDaS13_S14_SK_SP_EUlS13_E_NS1_11comp_targetILNS1_3genE9ELNS1_11target_archE1100ELNS1_3gpuE3ELNS1_3repE0EEENS1_47radix_sort_onesweep_sort_config_static_selectorELNS0_4arch9wavefront6targetE1EEEvSK_,"axG",@progbits,_ZN7rocprim17ROCPRIM_400000_NS6detail17trampoline_kernelINS0_14default_configENS1_35radix_sort_onesweep_config_selectorIyNS0_10empty_typeEEEZZNS1_29radix_sort_onesweep_iterationIS3_Lb0EN6thrust23THRUST_200600_302600_NS6detail15normal_iteratorINS9_10device_ptrIyEEEESE_PS5_SF_jNS0_19identity_decomposerENS1_16block_id_wrapperIjLb0EEEEE10hipError_tT1_PNSt15iterator_traitsISK_E10value_typeET2_T3_PNSL_ISQ_E10value_typeET4_T5_PSV_SW_PNS1_23onesweep_lookback_stateEbbT6_jjT7_P12ihipStream_tbENKUlT_T0_SK_SP_E_clIPySE_SF_SF_EEDaS13_S14_SK_SP_EUlS13_E_NS1_11comp_targetILNS1_3genE9ELNS1_11target_archE1100ELNS1_3gpuE3ELNS1_3repE0EEENS1_47radix_sort_onesweep_sort_config_static_selectorELNS0_4arch9wavefront6targetE1EEEvSK_,comdat
	.protected	_ZN7rocprim17ROCPRIM_400000_NS6detail17trampoline_kernelINS0_14default_configENS1_35radix_sort_onesweep_config_selectorIyNS0_10empty_typeEEEZZNS1_29radix_sort_onesweep_iterationIS3_Lb0EN6thrust23THRUST_200600_302600_NS6detail15normal_iteratorINS9_10device_ptrIyEEEESE_PS5_SF_jNS0_19identity_decomposerENS1_16block_id_wrapperIjLb0EEEEE10hipError_tT1_PNSt15iterator_traitsISK_E10value_typeET2_T3_PNSL_ISQ_E10value_typeET4_T5_PSV_SW_PNS1_23onesweep_lookback_stateEbbT6_jjT7_P12ihipStream_tbENKUlT_T0_SK_SP_E_clIPySE_SF_SF_EEDaS13_S14_SK_SP_EUlS13_E_NS1_11comp_targetILNS1_3genE9ELNS1_11target_archE1100ELNS1_3gpuE3ELNS1_3repE0EEENS1_47radix_sort_onesweep_sort_config_static_selectorELNS0_4arch9wavefront6targetE1EEEvSK_ ; -- Begin function _ZN7rocprim17ROCPRIM_400000_NS6detail17trampoline_kernelINS0_14default_configENS1_35radix_sort_onesweep_config_selectorIyNS0_10empty_typeEEEZZNS1_29radix_sort_onesweep_iterationIS3_Lb0EN6thrust23THRUST_200600_302600_NS6detail15normal_iteratorINS9_10device_ptrIyEEEESE_PS5_SF_jNS0_19identity_decomposerENS1_16block_id_wrapperIjLb0EEEEE10hipError_tT1_PNSt15iterator_traitsISK_E10value_typeET2_T3_PNSL_ISQ_E10value_typeET4_T5_PSV_SW_PNS1_23onesweep_lookback_stateEbbT6_jjT7_P12ihipStream_tbENKUlT_T0_SK_SP_E_clIPySE_SF_SF_EEDaS13_S14_SK_SP_EUlS13_E_NS1_11comp_targetILNS1_3genE9ELNS1_11target_archE1100ELNS1_3gpuE3ELNS1_3repE0EEENS1_47radix_sort_onesweep_sort_config_static_selectorELNS0_4arch9wavefront6targetE1EEEvSK_
	.globl	_ZN7rocprim17ROCPRIM_400000_NS6detail17trampoline_kernelINS0_14default_configENS1_35radix_sort_onesweep_config_selectorIyNS0_10empty_typeEEEZZNS1_29radix_sort_onesweep_iterationIS3_Lb0EN6thrust23THRUST_200600_302600_NS6detail15normal_iteratorINS9_10device_ptrIyEEEESE_PS5_SF_jNS0_19identity_decomposerENS1_16block_id_wrapperIjLb0EEEEE10hipError_tT1_PNSt15iterator_traitsISK_E10value_typeET2_T3_PNSL_ISQ_E10value_typeET4_T5_PSV_SW_PNS1_23onesweep_lookback_stateEbbT6_jjT7_P12ihipStream_tbENKUlT_T0_SK_SP_E_clIPySE_SF_SF_EEDaS13_S14_SK_SP_EUlS13_E_NS1_11comp_targetILNS1_3genE9ELNS1_11target_archE1100ELNS1_3gpuE3ELNS1_3repE0EEENS1_47radix_sort_onesweep_sort_config_static_selectorELNS0_4arch9wavefront6targetE1EEEvSK_
	.p2align	8
	.type	_ZN7rocprim17ROCPRIM_400000_NS6detail17trampoline_kernelINS0_14default_configENS1_35radix_sort_onesweep_config_selectorIyNS0_10empty_typeEEEZZNS1_29radix_sort_onesweep_iterationIS3_Lb0EN6thrust23THRUST_200600_302600_NS6detail15normal_iteratorINS9_10device_ptrIyEEEESE_PS5_SF_jNS0_19identity_decomposerENS1_16block_id_wrapperIjLb0EEEEE10hipError_tT1_PNSt15iterator_traitsISK_E10value_typeET2_T3_PNSL_ISQ_E10value_typeET4_T5_PSV_SW_PNS1_23onesweep_lookback_stateEbbT6_jjT7_P12ihipStream_tbENKUlT_T0_SK_SP_E_clIPySE_SF_SF_EEDaS13_S14_SK_SP_EUlS13_E_NS1_11comp_targetILNS1_3genE9ELNS1_11target_archE1100ELNS1_3gpuE3ELNS1_3repE0EEENS1_47radix_sort_onesweep_sort_config_static_selectorELNS0_4arch9wavefront6targetE1EEEvSK_,@function
_ZN7rocprim17ROCPRIM_400000_NS6detail17trampoline_kernelINS0_14default_configENS1_35radix_sort_onesweep_config_selectorIyNS0_10empty_typeEEEZZNS1_29radix_sort_onesweep_iterationIS3_Lb0EN6thrust23THRUST_200600_302600_NS6detail15normal_iteratorINS9_10device_ptrIyEEEESE_PS5_SF_jNS0_19identity_decomposerENS1_16block_id_wrapperIjLb0EEEEE10hipError_tT1_PNSt15iterator_traitsISK_E10value_typeET2_T3_PNSL_ISQ_E10value_typeET4_T5_PSV_SW_PNS1_23onesweep_lookback_stateEbbT6_jjT7_P12ihipStream_tbENKUlT_T0_SK_SP_E_clIPySE_SF_SF_EEDaS13_S14_SK_SP_EUlS13_E_NS1_11comp_targetILNS1_3genE9ELNS1_11target_archE1100ELNS1_3gpuE3ELNS1_3repE0EEENS1_47radix_sort_onesweep_sort_config_static_selectorELNS0_4arch9wavefront6targetE1EEEvSK_: ; @_ZN7rocprim17ROCPRIM_400000_NS6detail17trampoline_kernelINS0_14default_configENS1_35radix_sort_onesweep_config_selectorIyNS0_10empty_typeEEEZZNS1_29radix_sort_onesweep_iterationIS3_Lb0EN6thrust23THRUST_200600_302600_NS6detail15normal_iteratorINS9_10device_ptrIyEEEESE_PS5_SF_jNS0_19identity_decomposerENS1_16block_id_wrapperIjLb0EEEEE10hipError_tT1_PNSt15iterator_traitsISK_E10value_typeET2_T3_PNSL_ISQ_E10value_typeET4_T5_PSV_SW_PNS1_23onesweep_lookback_stateEbbT6_jjT7_P12ihipStream_tbENKUlT_T0_SK_SP_E_clIPySE_SF_SF_EEDaS13_S14_SK_SP_EUlS13_E_NS1_11comp_targetILNS1_3genE9ELNS1_11target_archE1100ELNS1_3gpuE3ELNS1_3repE0EEENS1_47radix_sort_onesweep_sort_config_static_selectorELNS0_4arch9wavefront6targetE1EEEvSK_
; %bb.0:
	.section	.rodata,"a",@progbits
	.p2align	6, 0x0
	.amdhsa_kernel _ZN7rocprim17ROCPRIM_400000_NS6detail17trampoline_kernelINS0_14default_configENS1_35radix_sort_onesweep_config_selectorIyNS0_10empty_typeEEEZZNS1_29radix_sort_onesweep_iterationIS3_Lb0EN6thrust23THRUST_200600_302600_NS6detail15normal_iteratorINS9_10device_ptrIyEEEESE_PS5_SF_jNS0_19identity_decomposerENS1_16block_id_wrapperIjLb0EEEEE10hipError_tT1_PNSt15iterator_traitsISK_E10value_typeET2_T3_PNSL_ISQ_E10value_typeET4_T5_PSV_SW_PNS1_23onesweep_lookback_stateEbbT6_jjT7_P12ihipStream_tbENKUlT_T0_SK_SP_E_clIPySE_SF_SF_EEDaS13_S14_SK_SP_EUlS13_E_NS1_11comp_targetILNS1_3genE9ELNS1_11target_archE1100ELNS1_3gpuE3ELNS1_3repE0EEENS1_47radix_sort_onesweep_sort_config_static_selectorELNS0_4arch9wavefront6targetE1EEEvSK_
		.amdhsa_group_segment_fixed_size 0
		.amdhsa_private_segment_fixed_size 0
		.amdhsa_kernarg_size 88
		.amdhsa_user_sgpr_count 6
		.amdhsa_user_sgpr_private_segment_buffer 1
		.amdhsa_user_sgpr_dispatch_ptr 0
		.amdhsa_user_sgpr_queue_ptr 0
		.amdhsa_user_sgpr_kernarg_segment_ptr 1
		.amdhsa_user_sgpr_dispatch_id 0
		.amdhsa_user_sgpr_flat_scratch_init 0
		.amdhsa_user_sgpr_kernarg_preload_length 0
		.amdhsa_user_sgpr_kernarg_preload_offset 0
		.amdhsa_user_sgpr_private_segment_size 0
		.amdhsa_uses_dynamic_stack 0
		.amdhsa_system_sgpr_private_segment_wavefront_offset 0
		.amdhsa_system_sgpr_workgroup_id_x 1
		.amdhsa_system_sgpr_workgroup_id_y 0
		.amdhsa_system_sgpr_workgroup_id_z 0
		.amdhsa_system_sgpr_workgroup_info 0
		.amdhsa_system_vgpr_workitem_id 0
		.amdhsa_next_free_vgpr 1
		.amdhsa_next_free_sgpr 0
		.amdhsa_accum_offset 4
		.amdhsa_reserve_vcc 0
		.amdhsa_reserve_flat_scratch 0
		.amdhsa_float_round_mode_32 0
		.amdhsa_float_round_mode_16_64 0
		.amdhsa_float_denorm_mode_32 3
		.amdhsa_float_denorm_mode_16_64 3
		.amdhsa_dx10_clamp 1
		.amdhsa_ieee_mode 1
		.amdhsa_fp16_overflow 0
		.amdhsa_tg_split 0
		.amdhsa_exception_fp_ieee_invalid_op 0
		.amdhsa_exception_fp_denorm_src 0
		.amdhsa_exception_fp_ieee_div_zero 0
		.amdhsa_exception_fp_ieee_overflow 0
		.amdhsa_exception_fp_ieee_underflow 0
		.amdhsa_exception_fp_ieee_inexact 0
		.amdhsa_exception_int_div_zero 0
	.end_amdhsa_kernel
	.section	.text._ZN7rocprim17ROCPRIM_400000_NS6detail17trampoline_kernelINS0_14default_configENS1_35radix_sort_onesweep_config_selectorIyNS0_10empty_typeEEEZZNS1_29radix_sort_onesweep_iterationIS3_Lb0EN6thrust23THRUST_200600_302600_NS6detail15normal_iteratorINS9_10device_ptrIyEEEESE_PS5_SF_jNS0_19identity_decomposerENS1_16block_id_wrapperIjLb0EEEEE10hipError_tT1_PNSt15iterator_traitsISK_E10value_typeET2_T3_PNSL_ISQ_E10value_typeET4_T5_PSV_SW_PNS1_23onesweep_lookback_stateEbbT6_jjT7_P12ihipStream_tbENKUlT_T0_SK_SP_E_clIPySE_SF_SF_EEDaS13_S14_SK_SP_EUlS13_E_NS1_11comp_targetILNS1_3genE9ELNS1_11target_archE1100ELNS1_3gpuE3ELNS1_3repE0EEENS1_47radix_sort_onesweep_sort_config_static_selectorELNS0_4arch9wavefront6targetE1EEEvSK_,"axG",@progbits,_ZN7rocprim17ROCPRIM_400000_NS6detail17trampoline_kernelINS0_14default_configENS1_35radix_sort_onesweep_config_selectorIyNS0_10empty_typeEEEZZNS1_29radix_sort_onesweep_iterationIS3_Lb0EN6thrust23THRUST_200600_302600_NS6detail15normal_iteratorINS9_10device_ptrIyEEEESE_PS5_SF_jNS0_19identity_decomposerENS1_16block_id_wrapperIjLb0EEEEE10hipError_tT1_PNSt15iterator_traitsISK_E10value_typeET2_T3_PNSL_ISQ_E10value_typeET4_T5_PSV_SW_PNS1_23onesweep_lookback_stateEbbT6_jjT7_P12ihipStream_tbENKUlT_T0_SK_SP_E_clIPySE_SF_SF_EEDaS13_S14_SK_SP_EUlS13_E_NS1_11comp_targetILNS1_3genE9ELNS1_11target_archE1100ELNS1_3gpuE3ELNS1_3repE0EEENS1_47radix_sort_onesweep_sort_config_static_selectorELNS0_4arch9wavefront6targetE1EEEvSK_,comdat
.Lfunc_end916:
	.size	_ZN7rocprim17ROCPRIM_400000_NS6detail17trampoline_kernelINS0_14default_configENS1_35radix_sort_onesweep_config_selectorIyNS0_10empty_typeEEEZZNS1_29radix_sort_onesweep_iterationIS3_Lb0EN6thrust23THRUST_200600_302600_NS6detail15normal_iteratorINS9_10device_ptrIyEEEESE_PS5_SF_jNS0_19identity_decomposerENS1_16block_id_wrapperIjLb0EEEEE10hipError_tT1_PNSt15iterator_traitsISK_E10value_typeET2_T3_PNSL_ISQ_E10value_typeET4_T5_PSV_SW_PNS1_23onesweep_lookback_stateEbbT6_jjT7_P12ihipStream_tbENKUlT_T0_SK_SP_E_clIPySE_SF_SF_EEDaS13_S14_SK_SP_EUlS13_E_NS1_11comp_targetILNS1_3genE9ELNS1_11target_archE1100ELNS1_3gpuE3ELNS1_3repE0EEENS1_47radix_sort_onesweep_sort_config_static_selectorELNS0_4arch9wavefront6targetE1EEEvSK_, .Lfunc_end916-_ZN7rocprim17ROCPRIM_400000_NS6detail17trampoline_kernelINS0_14default_configENS1_35radix_sort_onesweep_config_selectorIyNS0_10empty_typeEEEZZNS1_29radix_sort_onesweep_iterationIS3_Lb0EN6thrust23THRUST_200600_302600_NS6detail15normal_iteratorINS9_10device_ptrIyEEEESE_PS5_SF_jNS0_19identity_decomposerENS1_16block_id_wrapperIjLb0EEEEE10hipError_tT1_PNSt15iterator_traitsISK_E10value_typeET2_T3_PNSL_ISQ_E10value_typeET4_T5_PSV_SW_PNS1_23onesweep_lookback_stateEbbT6_jjT7_P12ihipStream_tbENKUlT_T0_SK_SP_E_clIPySE_SF_SF_EEDaS13_S14_SK_SP_EUlS13_E_NS1_11comp_targetILNS1_3genE9ELNS1_11target_archE1100ELNS1_3gpuE3ELNS1_3repE0EEENS1_47radix_sort_onesweep_sort_config_static_selectorELNS0_4arch9wavefront6targetE1EEEvSK_
                                        ; -- End function
	.section	.AMDGPU.csdata,"",@progbits
; Kernel info:
; codeLenInByte = 0
; NumSgprs: 4
; NumVgprs: 0
; NumAgprs: 0
; TotalNumVgprs: 0
; ScratchSize: 0
; MemoryBound: 0
; FloatMode: 240
; IeeeMode: 1
; LDSByteSize: 0 bytes/workgroup (compile time only)
; SGPRBlocks: 0
; VGPRBlocks: 0
; NumSGPRsForWavesPerEU: 4
; NumVGPRsForWavesPerEU: 1
; AccumOffset: 4
; Occupancy: 8
; WaveLimiterHint : 0
; COMPUTE_PGM_RSRC2:SCRATCH_EN: 0
; COMPUTE_PGM_RSRC2:USER_SGPR: 6
; COMPUTE_PGM_RSRC2:TRAP_HANDLER: 0
; COMPUTE_PGM_RSRC2:TGID_X_EN: 1
; COMPUTE_PGM_RSRC2:TGID_Y_EN: 0
; COMPUTE_PGM_RSRC2:TGID_Z_EN: 0
; COMPUTE_PGM_RSRC2:TIDIG_COMP_CNT: 0
; COMPUTE_PGM_RSRC3_GFX90A:ACCUM_OFFSET: 0
; COMPUTE_PGM_RSRC3_GFX90A:TG_SPLIT: 0
	.section	.text._ZN7rocprim17ROCPRIM_400000_NS6detail17trampoline_kernelINS0_14default_configENS1_35radix_sort_onesweep_config_selectorIyNS0_10empty_typeEEEZZNS1_29radix_sort_onesweep_iterationIS3_Lb0EN6thrust23THRUST_200600_302600_NS6detail15normal_iteratorINS9_10device_ptrIyEEEESE_PS5_SF_jNS0_19identity_decomposerENS1_16block_id_wrapperIjLb0EEEEE10hipError_tT1_PNSt15iterator_traitsISK_E10value_typeET2_T3_PNSL_ISQ_E10value_typeET4_T5_PSV_SW_PNS1_23onesweep_lookback_stateEbbT6_jjT7_P12ihipStream_tbENKUlT_T0_SK_SP_E_clIPySE_SF_SF_EEDaS13_S14_SK_SP_EUlS13_E_NS1_11comp_targetILNS1_3genE8ELNS1_11target_archE1030ELNS1_3gpuE2ELNS1_3repE0EEENS1_47radix_sort_onesweep_sort_config_static_selectorELNS0_4arch9wavefront6targetE1EEEvSK_,"axG",@progbits,_ZN7rocprim17ROCPRIM_400000_NS6detail17trampoline_kernelINS0_14default_configENS1_35radix_sort_onesweep_config_selectorIyNS0_10empty_typeEEEZZNS1_29radix_sort_onesweep_iterationIS3_Lb0EN6thrust23THRUST_200600_302600_NS6detail15normal_iteratorINS9_10device_ptrIyEEEESE_PS5_SF_jNS0_19identity_decomposerENS1_16block_id_wrapperIjLb0EEEEE10hipError_tT1_PNSt15iterator_traitsISK_E10value_typeET2_T3_PNSL_ISQ_E10value_typeET4_T5_PSV_SW_PNS1_23onesweep_lookback_stateEbbT6_jjT7_P12ihipStream_tbENKUlT_T0_SK_SP_E_clIPySE_SF_SF_EEDaS13_S14_SK_SP_EUlS13_E_NS1_11comp_targetILNS1_3genE8ELNS1_11target_archE1030ELNS1_3gpuE2ELNS1_3repE0EEENS1_47radix_sort_onesweep_sort_config_static_selectorELNS0_4arch9wavefront6targetE1EEEvSK_,comdat
	.protected	_ZN7rocprim17ROCPRIM_400000_NS6detail17trampoline_kernelINS0_14default_configENS1_35radix_sort_onesweep_config_selectorIyNS0_10empty_typeEEEZZNS1_29radix_sort_onesweep_iterationIS3_Lb0EN6thrust23THRUST_200600_302600_NS6detail15normal_iteratorINS9_10device_ptrIyEEEESE_PS5_SF_jNS0_19identity_decomposerENS1_16block_id_wrapperIjLb0EEEEE10hipError_tT1_PNSt15iterator_traitsISK_E10value_typeET2_T3_PNSL_ISQ_E10value_typeET4_T5_PSV_SW_PNS1_23onesweep_lookback_stateEbbT6_jjT7_P12ihipStream_tbENKUlT_T0_SK_SP_E_clIPySE_SF_SF_EEDaS13_S14_SK_SP_EUlS13_E_NS1_11comp_targetILNS1_3genE8ELNS1_11target_archE1030ELNS1_3gpuE2ELNS1_3repE0EEENS1_47radix_sort_onesweep_sort_config_static_selectorELNS0_4arch9wavefront6targetE1EEEvSK_ ; -- Begin function _ZN7rocprim17ROCPRIM_400000_NS6detail17trampoline_kernelINS0_14default_configENS1_35radix_sort_onesweep_config_selectorIyNS0_10empty_typeEEEZZNS1_29radix_sort_onesweep_iterationIS3_Lb0EN6thrust23THRUST_200600_302600_NS6detail15normal_iteratorINS9_10device_ptrIyEEEESE_PS5_SF_jNS0_19identity_decomposerENS1_16block_id_wrapperIjLb0EEEEE10hipError_tT1_PNSt15iterator_traitsISK_E10value_typeET2_T3_PNSL_ISQ_E10value_typeET4_T5_PSV_SW_PNS1_23onesweep_lookback_stateEbbT6_jjT7_P12ihipStream_tbENKUlT_T0_SK_SP_E_clIPySE_SF_SF_EEDaS13_S14_SK_SP_EUlS13_E_NS1_11comp_targetILNS1_3genE8ELNS1_11target_archE1030ELNS1_3gpuE2ELNS1_3repE0EEENS1_47radix_sort_onesweep_sort_config_static_selectorELNS0_4arch9wavefront6targetE1EEEvSK_
	.globl	_ZN7rocprim17ROCPRIM_400000_NS6detail17trampoline_kernelINS0_14default_configENS1_35radix_sort_onesweep_config_selectorIyNS0_10empty_typeEEEZZNS1_29radix_sort_onesweep_iterationIS3_Lb0EN6thrust23THRUST_200600_302600_NS6detail15normal_iteratorINS9_10device_ptrIyEEEESE_PS5_SF_jNS0_19identity_decomposerENS1_16block_id_wrapperIjLb0EEEEE10hipError_tT1_PNSt15iterator_traitsISK_E10value_typeET2_T3_PNSL_ISQ_E10value_typeET4_T5_PSV_SW_PNS1_23onesweep_lookback_stateEbbT6_jjT7_P12ihipStream_tbENKUlT_T0_SK_SP_E_clIPySE_SF_SF_EEDaS13_S14_SK_SP_EUlS13_E_NS1_11comp_targetILNS1_3genE8ELNS1_11target_archE1030ELNS1_3gpuE2ELNS1_3repE0EEENS1_47radix_sort_onesweep_sort_config_static_selectorELNS0_4arch9wavefront6targetE1EEEvSK_
	.p2align	8
	.type	_ZN7rocprim17ROCPRIM_400000_NS6detail17trampoline_kernelINS0_14default_configENS1_35radix_sort_onesweep_config_selectorIyNS0_10empty_typeEEEZZNS1_29radix_sort_onesweep_iterationIS3_Lb0EN6thrust23THRUST_200600_302600_NS6detail15normal_iteratorINS9_10device_ptrIyEEEESE_PS5_SF_jNS0_19identity_decomposerENS1_16block_id_wrapperIjLb0EEEEE10hipError_tT1_PNSt15iterator_traitsISK_E10value_typeET2_T3_PNSL_ISQ_E10value_typeET4_T5_PSV_SW_PNS1_23onesweep_lookback_stateEbbT6_jjT7_P12ihipStream_tbENKUlT_T0_SK_SP_E_clIPySE_SF_SF_EEDaS13_S14_SK_SP_EUlS13_E_NS1_11comp_targetILNS1_3genE8ELNS1_11target_archE1030ELNS1_3gpuE2ELNS1_3repE0EEENS1_47radix_sort_onesweep_sort_config_static_selectorELNS0_4arch9wavefront6targetE1EEEvSK_,@function
_ZN7rocprim17ROCPRIM_400000_NS6detail17trampoline_kernelINS0_14default_configENS1_35radix_sort_onesweep_config_selectorIyNS0_10empty_typeEEEZZNS1_29radix_sort_onesweep_iterationIS3_Lb0EN6thrust23THRUST_200600_302600_NS6detail15normal_iteratorINS9_10device_ptrIyEEEESE_PS5_SF_jNS0_19identity_decomposerENS1_16block_id_wrapperIjLb0EEEEE10hipError_tT1_PNSt15iterator_traitsISK_E10value_typeET2_T3_PNSL_ISQ_E10value_typeET4_T5_PSV_SW_PNS1_23onesweep_lookback_stateEbbT6_jjT7_P12ihipStream_tbENKUlT_T0_SK_SP_E_clIPySE_SF_SF_EEDaS13_S14_SK_SP_EUlS13_E_NS1_11comp_targetILNS1_3genE8ELNS1_11target_archE1030ELNS1_3gpuE2ELNS1_3repE0EEENS1_47radix_sort_onesweep_sort_config_static_selectorELNS0_4arch9wavefront6targetE1EEEvSK_: ; @_ZN7rocprim17ROCPRIM_400000_NS6detail17trampoline_kernelINS0_14default_configENS1_35radix_sort_onesweep_config_selectorIyNS0_10empty_typeEEEZZNS1_29radix_sort_onesweep_iterationIS3_Lb0EN6thrust23THRUST_200600_302600_NS6detail15normal_iteratorINS9_10device_ptrIyEEEESE_PS5_SF_jNS0_19identity_decomposerENS1_16block_id_wrapperIjLb0EEEEE10hipError_tT1_PNSt15iterator_traitsISK_E10value_typeET2_T3_PNSL_ISQ_E10value_typeET4_T5_PSV_SW_PNS1_23onesweep_lookback_stateEbbT6_jjT7_P12ihipStream_tbENKUlT_T0_SK_SP_E_clIPySE_SF_SF_EEDaS13_S14_SK_SP_EUlS13_E_NS1_11comp_targetILNS1_3genE8ELNS1_11target_archE1030ELNS1_3gpuE2ELNS1_3repE0EEENS1_47radix_sort_onesweep_sort_config_static_selectorELNS0_4arch9wavefront6targetE1EEEvSK_
; %bb.0:
	.section	.rodata,"a",@progbits
	.p2align	6, 0x0
	.amdhsa_kernel _ZN7rocprim17ROCPRIM_400000_NS6detail17trampoline_kernelINS0_14default_configENS1_35radix_sort_onesweep_config_selectorIyNS0_10empty_typeEEEZZNS1_29radix_sort_onesweep_iterationIS3_Lb0EN6thrust23THRUST_200600_302600_NS6detail15normal_iteratorINS9_10device_ptrIyEEEESE_PS5_SF_jNS0_19identity_decomposerENS1_16block_id_wrapperIjLb0EEEEE10hipError_tT1_PNSt15iterator_traitsISK_E10value_typeET2_T3_PNSL_ISQ_E10value_typeET4_T5_PSV_SW_PNS1_23onesweep_lookback_stateEbbT6_jjT7_P12ihipStream_tbENKUlT_T0_SK_SP_E_clIPySE_SF_SF_EEDaS13_S14_SK_SP_EUlS13_E_NS1_11comp_targetILNS1_3genE8ELNS1_11target_archE1030ELNS1_3gpuE2ELNS1_3repE0EEENS1_47radix_sort_onesweep_sort_config_static_selectorELNS0_4arch9wavefront6targetE1EEEvSK_
		.amdhsa_group_segment_fixed_size 0
		.amdhsa_private_segment_fixed_size 0
		.amdhsa_kernarg_size 88
		.amdhsa_user_sgpr_count 6
		.amdhsa_user_sgpr_private_segment_buffer 1
		.amdhsa_user_sgpr_dispatch_ptr 0
		.amdhsa_user_sgpr_queue_ptr 0
		.amdhsa_user_sgpr_kernarg_segment_ptr 1
		.amdhsa_user_sgpr_dispatch_id 0
		.amdhsa_user_sgpr_flat_scratch_init 0
		.amdhsa_user_sgpr_kernarg_preload_length 0
		.amdhsa_user_sgpr_kernarg_preload_offset 0
		.amdhsa_user_sgpr_private_segment_size 0
		.amdhsa_uses_dynamic_stack 0
		.amdhsa_system_sgpr_private_segment_wavefront_offset 0
		.amdhsa_system_sgpr_workgroup_id_x 1
		.amdhsa_system_sgpr_workgroup_id_y 0
		.amdhsa_system_sgpr_workgroup_id_z 0
		.amdhsa_system_sgpr_workgroup_info 0
		.amdhsa_system_vgpr_workitem_id 0
		.amdhsa_next_free_vgpr 1
		.amdhsa_next_free_sgpr 0
		.amdhsa_accum_offset 4
		.amdhsa_reserve_vcc 0
		.amdhsa_reserve_flat_scratch 0
		.amdhsa_float_round_mode_32 0
		.amdhsa_float_round_mode_16_64 0
		.amdhsa_float_denorm_mode_32 3
		.amdhsa_float_denorm_mode_16_64 3
		.amdhsa_dx10_clamp 1
		.amdhsa_ieee_mode 1
		.amdhsa_fp16_overflow 0
		.amdhsa_tg_split 0
		.amdhsa_exception_fp_ieee_invalid_op 0
		.amdhsa_exception_fp_denorm_src 0
		.amdhsa_exception_fp_ieee_div_zero 0
		.amdhsa_exception_fp_ieee_overflow 0
		.amdhsa_exception_fp_ieee_underflow 0
		.amdhsa_exception_fp_ieee_inexact 0
		.amdhsa_exception_int_div_zero 0
	.end_amdhsa_kernel
	.section	.text._ZN7rocprim17ROCPRIM_400000_NS6detail17trampoline_kernelINS0_14default_configENS1_35radix_sort_onesweep_config_selectorIyNS0_10empty_typeEEEZZNS1_29radix_sort_onesweep_iterationIS3_Lb0EN6thrust23THRUST_200600_302600_NS6detail15normal_iteratorINS9_10device_ptrIyEEEESE_PS5_SF_jNS0_19identity_decomposerENS1_16block_id_wrapperIjLb0EEEEE10hipError_tT1_PNSt15iterator_traitsISK_E10value_typeET2_T3_PNSL_ISQ_E10value_typeET4_T5_PSV_SW_PNS1_23onesweep_lookback_stateEbbT6_jjT7_P12ihipStream_tbENKUlT_T0_SK_SP_E_clIPySE_SF_SF_EEDaS13_S14_SK_SP_EUlS13_E_NS1_11comp_targetILNS1_3genE8ELNS1_11target_archE1030ELNS1_3gpuE2ELNS1_3repE0EEENS1_47radix_sort_onesweep_sort_config_static_selectorELNS0_4arch9wavefront6targetE1EEEvSK_,"axG",@progbits,_ZN7rocprim17ROCPRIM_400000_NS6detail17trampoline_kernelINS0_14default_configENS1_35radix_sort_onesweep_config_selectorIyNS0_10empty_typeEEEZZNS1_29radix_sort_onesweep_iterationIS3_Lb0EN6thrust23THRUST_200600_302600_NS6detail15normal_iteratorINS9_10device_ptrIyEEEESE_PS5_SF_jNS0_19identity_decomposerENS1_16block_id_wrapperIjLb0EEEEE10hipError_tT1_PNSt15iterator_traitsISK_E10value_typeET2_T3_PNSL_ISQ_E10value_typeET4_T5_PSV_SW_PNS1_23onesweep_lookback_stateEbbT6_jjT7_P12ihipStream_tbENKUlT_T0_SK_SP_E_clIPySE_SF_SF_EEDaS13_S14_SK_SP_EUlS13_E_NS1_11comp_targetILNS1_3genE8ELNS1_11target_archE1030ELNS1_3gpuE2ELNS1_3repE0EEENS1_47radix_sort_onesweep_sort_config_static_selectorELNS0_4arch9wavefront6targetE1EEEvSK_,comdat
.Lfunc_end917:
	.size	_ZN7rocprim17ROCPRIM_400000_NS6detail17trampoline_kernelINS0_14default_configENS1_35radix_sort_onesweep_config_selectorIyNS0_10empty_typeEEEZZNS1_29radix_sort_onesweep_iterationIS3_Lb0EN6thrust23THRUST_200600_302600_NS6detail15normal_iteratorINS9_10device_ptrIyEEEESE_PS5_SF_jNS0_19identity_decomposerENS1_16block_id_wrapperIjLb0EEEEE10hipError_tT1_PNSt15iterator_traitsISK_E10value_typeET2_T3_PNSL_ISQ_E10value_typeET4_T5_PSV_SW_PNS1_23onesweep_lookback_stateEbbT6_jjT7_P12ihipStream_tbENKUlT_T0_SK_SP_E_clIPySE_SF_SF_EEDaS13_S14_SK_SP_EUlS13_E_NS1_11comp_targetILNS1_3genE8ELNS1_11target_archE1030ELNS1_3gpuE2ELNS1_3repE0EEENS1_47radix_sort_onesweep_sort_config_static_selectorELNS0_4arch9wavefront6targetE1EEEvSK_, .Lfunc_end917-_ZN7rocprim17ROCPRIM_400000_NS6detail17trampoline_kernelINS0_14default_configENS1_35radix_sort_onesweep_config_selectorIyNS0_10empty_typeEEEZZNS1_29radix_sort_onesweep_iterationIS3_Lb0EN6thrust23THRUST_200600_302600_NS6detail15normal_iteratorINS9_10device_ptrIyEEEESE_PS5_SF_jNS0_19identity_decomposerENS1_16block_id_wrapperIjLb0EEEEE10hipError_tT1_PNSt15iterator_traitsISK_E10value_typeET2_T3_PNSL_ISQ_E10value_typeET4_T5_PSV_SW_PNS1_23onesweep_lookback_stateEbbT6_jjT7_P12ihipStream_tbENKUlT_T0_SK_SP_E_clIPySE_SF_SF_EEDaS13_S14_SK_SP_EUlS13_E_NS1_11comp_targetILNS1_3genE8ELNS1_11target_archE1030ELNS1_3gpuE2ELNS1_3repE0EEENS1_47radix_sort_onesweep_sort_config_static_selectorELNS0_4arch9wavefront6targetE1EEEvSK_
                                        ; -- End function
	.section	.AMDGPU.csdata,"",@progbits
; Kernel info:
; codeLenInByte = 0
; NumSgprs: 4
; NumVgprs: 0
; NumAgprs: 0
; TotalNumVgprs: 0
; ScratchSize: 0
; MemoryBound: 0
; FloatMode: 240
; IeeeMode: 1
; LDSByteSize: 0 bytes/workgroup (compile time only)
; SGPRBlocks: 0
; VGPRBlocks: 0
; NumSGPRsForWavesPerEU: 4
; NumVGPRsForWavesPerEU: 1
; AccumOffset: 4
; Occupancy: 8
; WaveLimiterHint : 0
; COMPUTE_PGM_RSRC2:SCRATCH_EN: 0
; COMPUTE_PGM_RSRC2:USER_SGPR: 6
; COMPUTE_PGM_RSRC2:TRAP_HANDLER: 0
; COMPUTE_PGM_RSRC2:TGID_X_EN: 1
; COMPUTE_PGM_RSRC2:TGID_Y_EN: 0
; COMPUTE_PGM_RSRC2:TGID_Z_EN: 0
; COMPUTE_PGM_RSRC2:TIDIG_COMP_CNT: 0
; COMPUTE_PGM_RSRC3_GFX90A:ACCUM_OFFSET: 0
; COMPUTE_PGM_RSRC3_GFX90A:TG_SPLIT: 0
	.section	.text._ZN6thrust23THRUST_200600_302600_NS11hip_rocprim14__parallel_for6kernelILj256ENS1_20__uninitialized_copy7functorINS0_6detail15normal_iteratorINS0_10device_ptrIjEEEENS7_INS0_7pointerIjNS1_3tagENS0_11use_defaultESD_EEEEEElLj1EEEvT0_T1_SI_,"axG",@progbits,_ZN6thrust23THRUST_200600_302600_NS11hip_rocprim14__parallel_for6kernelILj256ENS1_20__uninitialized_copy7functorINS0_6detail15normal_iteratorINS0_10device_ptrIjEEEENS7_INS0_7pointerIjNS1_3tagENS0_11use_defaultESD_EEEEEElLj1EEEvT0_T1_SI_,comdat
	.protected	_ZN6thrust23THRUST_200600_302600_NS11hip_rocprim14__parallel_for6kernelILj256ENS1_20__uninitialized_copy7functorINS0_6detail15normal_iteratorINS0_10device_ptrIjEEEENS7_INS0_7pointerIjNS1_3tagENS0_11use_defaultESD_EEEEEElLj1EEEvT0_T1_SI_ ; -- Begin function _ZN6thrust23THRUST_200600_302600_NS11hip_rocprim14__parallel_for6kernelILj256ENS1_20__uninitialized_copy7functorINS0_6detail15normal_iteratorINS0_10device_ptrIjEEEENS7_INS0_7pointerIjNS1_3tagENS0_11use_defaultESD_EEEEEElLj1EEEvT0_T1_SI_
	.globl	_ZN6thrust23THRUST_200600_302600_NS11hip_rocprim14__parallel_for6kernelILj256ENS1_20__uninitialized_copy7functorINS0_6detail15normal_iteratorINS0_10device_ptrIjEEEENS7_INS0_7pointerIjNS1_3tagENS0_11use_defaultESD_EEEEEElLj1EEEvT0_T1_SI_
	.p2align	8
	.type	_ZN6thrust23THRUST_200600_302600_NS11hip_rocprim14__parallel_for6kernelILj256ENS1_20__uninitialized_copy7functorINS0_6detail15normal_iteratorINS0_10device_ptrIjEEEENS7_INS0_7pointerIjNS1_3tagENS0_11use_defaultESD_EEEEEElLj1EEEvT0_T1_SI_,@function
_ZN6thrust23THRUST_200600_302600_NS11hip_rocprim14__parallel_for6kernelILj256ENS1_20__uninitialized_copy7functorINS0_6detail15normal_iteratorINS0_10device_ptrIjEEEENS7_INS0_7pointerIjNS1_3tagENS0_11use_defaultESD_EEEEEElLj1EEEvT0_T1_SI_: ; @_ZN6thrust23THRUST_200600_302600_NS11hip_rocprim14__parallel_for6kernelILj256ENS1_20__uninitialized_copy7functorINS0_6detail15normal_iteratorINS0_10device_ptrIjEEEENS7_INS0_7pointerIjNS1_3tagENS0_11use_defaultESD_EEEEEElLj1EEEvT0_T1_SI_
; %bb.0:
	s_load_dwordx8 s[8:15], s[4:5], 0x0
	s_lshl_b32 s0, s6, 8
	v_mov_b32_e32 v2, 0x100
	v_mov_b32_e32 v3, 0
	s_waitcnt lgkmcnt(0)
	s_add_u32 s6, s0, s14
	s_addc_u32 s7, 0, s15
	s_sub_u32 s0, s12, s6
	s_subb_u32 s1, s13, s7
	v_cmp_lt_i64_e32 vcc, s[0:1], v[2:3]
	s_and_b64 s[2:3], vcc, exec
	s_cselect_b32 s0, s0, 0x100
	s_cmpk_lg_i32 s0, 0x100
	s_cbranch_scc0 .LBB918_4
; %bb.1:
	v_cmp_gt_u32_e32 vcc, s0, v0
	s_mov_b64 s[2:3], 0
	s_mov_b64 s[0:1], 0
                                        ; implicit-def: $vgpr2_vgpr3
                                        ; implicit-def: $vgpr4_vgpr5
	s_and_saveexec_b64 s[4:5], vcc
	s_xor_b64 s[4:5], exec, s[4:5]
; %bb.2:
	v_mov_b32_e32 v1, s7
	v_add_co_u32_e32 v2, vcc, s6, v0
	v_addc_co_u32_e32 v3, vcc, 0, v1, vcc
	v_lshlrev_b64 v[4:5], 2, v[2:3]
	v_mov_b32_e32 v1, s11
	v_add_co_u32_e32 v2, vcc, s10, v4
	v_addc_co_u32_e32 v3, vcc, v1, v5, vcc
	v_mov_b32_e32 v1, s9
	v_add_co_u32_e32 v4, vcc, s8, v4
	s_mov_b64 s[0:1], exec
	v_addc_co_u32_e32 v5, vcc, v1, v5, vcc
; %bb.3:
	s_or_b64 exec, exec, s[4:5]
	s_and_b64 vcc, exec, s[2:3]
	s_cbranch_vccnz .LBB918_5
	s_branch .LBB918_6
.LBB918_4:
	s_mov_b64 s[0:1], 0
                                        ; implicit-def: $vgpr2_vgpr3
                                        ; implicit-def: $vgpr4_vgpr5
	s_cbranch_execz .LBB918_6
.LBB918_5:
	v_mov_b32_e32 v1, s7
	v_add_co_u32_e32 v0, vcc, s6, v0
	v_addc_co_u32_e32 v1, vcc, 0, v1, vcc
	v_lshlrev_b64 v[0:1], 2, v[0:1]
	v_mov_b32_e32 v2, s9
	v_add_co_u32_e32 v4, vcc, s8, v0
	v_addc_co_u32_e32 v5, vcc, v2, v1, vcc
	v_mov_b32_e32 v3, s11
	v_add_co_u32_e32 v2, vcc, s10, v0
	v_addc_co_u32_e32 v3, vcc, v3, v1, vcc
	s_or_b64 s[0:1], s[0:1], exec
.LBB918_6:
	s_and_saveexec_b64 s[2:3], s[0:1]
	s_cbranch_execnz .LBB918_8
; %bb.7:
	s_endpgm
.LBB918_8:
	flat_load_dword v0, v[4:5]
	s_waitcnt vmcnt(0) lgkmcnt(0)
	flat_store_dword v[2:3], v0
	s_endpgm
	.section	.rodata,"a",@progbits
	.p2align	6, 0x0
	.amdhsa_kernel _ZN6thrust23THRUST_200600_302600_NS11hip_rocprim14__parallel_for6kernelILj256ENS1_20__uninitialized_copy7functorINS0_6detail15normal_iteratorINS0_10device_ptrIjEEEENS7_INS0_7pointerIjNS1_3tagENS0_11use_defaultESD_EEEEEElLj1EEEvT0_T1_SI_
		.amdhsa_group_segment_fixed_size 0
		.amdhsa_private_segment_fixed_size 0
		.amdhsa_kernarg_size 32
		.amdhsa_user_sgpr_count 6
		.amdhsa_user_sgpr_private_segment_buffer 1
		.amdhsa_user_sgpr_dispatch_ptr 0
		.amdhsa_user_sgpr_queue_ptr 0
		.amdhsa_user_sgpr_kernarg_segment_ptr 1
		.amdhsa_user_sgpr_dispatch_id 0
		.amdhsa_user_sgpr_flat_scratch_init 0
		.amdhsa_user_sgpr_kernarg_preload_length 0
		.amdhsa_user_sgpr_kernarg_preload_offset 0
		.amdhsa_user_sgpr_private_segment_size 0
		.amdhsa_uses_dynamic_stack 0
		.amdhsa_system_sgpr_private_segment_wavefront_offset 0
		.amdhsa_system_sgpr_workgroup_id_x 1
		.amdhsa_system_sgpr_workgroup_id_y 0
		.amdhsa_system_sgpr_workgroup_id_z 0
		.amdhsa_system_sgpr_workgroup_info 0
		.amdhsa_system_vgpr_workitem_id 0
		.amdhsa_next_free_vgpr 6
		.amdhsa_next_free_sgpr 16
		.amdhsa_accum_offset 8
		.amdhsa_reserve_vcc 1
		.amdhsa_reserve_flat_scratch 0
		.amdhsa_float_round_mode_32 0
		.amdhsa_float_round_mode_16_64 0
		.amdhsa_float_denorm_mode_32 3
		.amdhsa_float_denorm_mode_16_64 3
		.amdhsa_dx10_clamp 1
		.amdhsa_ieee_mode 1
		.amdhsa_fp16_overflow 0
		.amdhsa_tg_split 0
		.amdhsa_exception_fp_ieee_invalid_op 0
		.amdhsa_exception_fp_denorm_src 0
		.amdhsa_exception_fp_ieee_div_zero 0
		.amdhsa_exception_fp_ieee_overflow 0
		.amdhsa_exception_fp_ieee_underflow 0
		.amdhsa_exception_fp_ieee_inexact 0
		.amdhsa_exception_int_div_zero 0
	.end_amdhsa_kernel
	.section	.text._ZN6thrust23THRUST_200600_302600_NS11hip_rocprim14__parallel_for6kernelILj256ENS1_20__uninitialized_copy7functorINS0_6detail15normal_iteratorINS0_10device_ptrIjEEEENS7_INS0_7pointerIjNS1_3tagENS0_11use_defaultESD_EEEEEElLj1EEEvT0_T1_SI_,"axG",@progbits,_ZN6thrust23THRUST_200600_302600_NS11hip_rocprim14__parallel_for6kernelILj256ENS1_20__uninitialized_copy7functorINS0_6detail15normal_iteratorINS0_10device_ptrIjEEEENS7_INS0_7pointerIjNS1_3tagENS0_11use_defaultESD_EEEEEElLj1EEEvT0_T1_SI_,comdat
.Lfunc_end918:
	.size	_ZN6thrust23THRUST_200600_302600_NS11hip_rocprim14__parallel_for6kernelILj256ENS1_20__uninitialized_copy7functorINS0_6detail15normal_iteratorINS0_10device_ptrIjEEEENS7_INS0_7pointerIjNS1_3tagENS0_11use_defaultESD_EEEEEElLj1EEEvT0_T1_SI_, .Lfunc_end918-_ZN6thrust23THRUST_200600_302600_NS11hip_rocprim14__parallel_for6kernelILj256ENS1_20__uninitialized_copy7functorINS0_6detail15normal_iteratorINS0_10device_ptrIjEEEENS7_INS0_7pointerIjNS1_3tagENS0_11use_defaultESD_EEEEEElLj1EEEvT0_T1_SI_
                                        ; -- End function
	.section	.AMDGPU.csdata,"",@progbits
; Kernel info:
; codeLenInByte = 244
; NumSgprs: 20
; NumVgprs: 6
; NumAgprs: 0
; TotalNumVgprs: 6
; ScratchSize: 0
; MemoryBound: 0
; FloatMode: 240
; IeeeMode: 1
; LDSByteSize: 0 bytes/workgroup (compile time only)
; SGPRBlocks: 2
; VGPRBlocks: 0
; NumSGPRsForWavesPerEU: 20
; NumVGPRsForWavesPerEU: 6
; AccumOffset: 8
; Occupancy: 8
; WaveLimiterHint : 0
; COMPUTE_PGM_RSRC2:SCRATCH_EN: 0
; COMPUTE_PGM_RSRC2:USER_SGPR: 6
; COMPUTE_PGM_RSRC2:TRAP_HANDLER: 0
; COMPUTE_PGM_RSRC2:TGID_X_EN: 1
; COMPUTE_PGM_RSRC2:TGID_Y_EN: 0
; COMPUTE_PGM_RSRC2:TGID_Z_EN: 0
; COMPUTE_PGM_RSRC2:TIDIG_COMP_CNT: 0
; COMPUTE_PGM_RSRC3_GFX90A:ACCUM_OFFSET: 1
; COMPUTE_PGM_RSRC3_GFX90A:TG_SPLIT: 0
	.section	.text._ZN7rocprim17ROCPRIM_400000_NS6detail17trampoline_kernelINS0_14default_configENS1_25partition_config_selectorILNS1_17partition_subalgoE3EjNS0_10empty_typeEbEEZZNS1_14partition_implILS5_3ELb0ES3_jN6thrust23THRUST_200600_302600_NS6detail15normal_iteratorINSA_7pointerIjNSA_11hip_rocprim3tagENSA_11use_defaultESG_EEEEPS6_SJ_NS0_5tupleIJPjSJ_EEENSK_IJSJ_SJ_EEES6_PlJ7is_evenIjEEEE10hipError_tPvRmT3_T4_T5_T6_T7_T9_mT8_P12ihipStream_tbDpT10_ENKUlT_T0_E_clISt17integral_constantIbLb0EES1A_EEDaS15_S16_EUlS15_E_NS1_11comp_targetILNS1_3genE0ELNS1_11target_archE4294967295ELNS1_3gpuE0ELNS1_3repE0EEENS1_30default_config_static_selectorELNS0_4arch9wavefront6targetE1EEEvT1_,"axG",@progbits,_ZN7rocprim17ROCPRIM_400000_NS6detail17trampoline_kernelINS0_14default_configENS1_25partition_config_selectorILNS1_17partition_subalgoE3EjNS0_10empty_typeEbEEZZNS1_14partition_implILS5_3ELb0ES3_jN6thrust23THRUST_200600_302600_NS6detail15normal_iteratorINSA_7pointerIjNSA_11hip_rocprim3tagENSA_11use_defaultESG_EEEEPS6_SJ_NS0_5tupleIJPjSJ_EEENSK_IJSJ_SJ_EEES6_PlJ7is_evenIjEEEE10hipError_tPvRmT3_T4_T5_T6_T7_T9_mT8_P12ihipStream_tbDpT10_ENKUlT_T0_E_clISt17integral_constantIbLb0EES1A_EEDaS15_S16_EUlS15_E_NS1_11comp_targetILNS1_3genE0ELNS1_11target_archE4294967295ELNS1_3gpuE0ELNS1_3repE0EEENS1_30default_config_static_selectorELNS0_4arch9wavefront6targetE1EEEvT1_,comdat
	.protected	_ZN7rocprim17ROCPRIM_400000_NS6detail17trampoline_kernelINS0_14default_configENS1_25partition_config_selectorILNS1_17partition_subalgoE3EjNS0_10empty_typeEbEEZZNS1_14partition_implILS5_3ELb0ES3_jN6thrust23THRUST_200600_302600_NS6detail15normal_iteratorINSA_7pointerIjNSA_11hip_rocprim3tagENSA_11use_defaultESG_EEEEPS6_SJ_NS0_5tupleIJPjSJ_EEENSK_IJSJ_SJ_EEES6_PlJ7is_evenIjEEEE10hipError_tPvRmT3_T4_T5_T6_T7_T9_mT8_P12ihipStream_tbDpT10_ENKUlT_T0_E_clISt17integral_constantIbLb0EES1A_EEDaS15_S16_EUlS15_E_NS1_11comp_targetILNS1_3genE0ELNS1_11target_archE4294967295ELNS1_3gpuE0ELNS1_3repE0EEENS1_30default_config_static_selectorELNS0_4arch9wavefront6targetE1EEEvT1_ ; -- Begin function _ZN7rocprim17ROCPRIM_400000_NS6detail17trampoline_kernelINS0_14default_configENS1_25partition_config_selectorILNS1_17partition_subalgoE3EjNS0_10empty_typeEbEEZZNS1_14partition_implILS5_3ELb0ES3_jN6thrust23THRUST_200600_302600_NS6detail15normal_iteratorINSA_7pointerIjNSA_11hip_rocprim3tagENSA_11use_defaultESG_EEEEPS6_SJ_NS0_5tupleIJPjSJ_EEENSK_IJSJ_SJ_EEES6_PlJ7is_evenIjEEEE10hipError_tPvRmT3_T4_T5_T6_T7_T9_mT8_P12ihipStream_tbDpT10_ENKUlT_T0_E_clISt17integral_constantIbLb0EES1A_EEDaS15_S16_EUlS15_E_NS1_11comp_targetILNS1_3genE0ELNS1_11target_archE4294967295ELNS1_3gpuE0ELNS1_3repE0EEENS1_30default_config_static_selectorELNS0_4arch9wavefront6targetE1EEEvT1_
	.globl	_ZN7rocprim17ROCPRIM_400000_NS6detail17trampoline_kernelINS0_14default_configENS1_25partition_config_selectorILNS1_17partition_subalgoE3EjNS0_10empty_typeEbEEZZNS1_14partition_implILS5_3ELb0ES3_jN6thrust23THRUST_200600_302600_NS6detail15normal_iteratorINSA_7pointerIjNSA_11hip_rocprim3tagENSA_11use_defaultESG_EEEEPS6_SJ_NS0_5tupleIJPjSJ_EEENSK_IJSJ_SJ_EEES6_PlJ7is_evenIjEEEE10hipError_tPvRmT3_T4_T5_T6_T7_T9_mT8_P12ihipStream_tbDpT10_ENKUlT_T0_E_clISt17integral_constantIbLb0EES1A_EEDaS15_S16_EUlS15_E_NS1_11comp_targetILNS1_3genE0ELNS1_11target_archE4294967295ELNS1_3gpuE0ELNS1_3repE0EEENS1_30default_config_static_selectorELNS0_4arch9wavefront6targetE1EEEvT1_
	.p2align	8
	.type	_ZN7rocprim17ROCPRIM_400000_NS6detail17trampoline_kernelINS0_14default_configENS1_25partition_config_selectorILNS1_17partition_subalgoE3EjNS0_10empty_typeEbEEZZNS1_14partition_implILS5_3ELb0ES3_jN6thrust23THRUST_200600_302600_NS6detail15normal_iteratorINSA_7pointerIjNSA_11hip_rocprim3tagENSA_11use_defaultESG_EEEEPS6_SJ_NS0_5tupleIJPjSJ_EEENSK_IJSJ_SJ_EEES6_PlJ7is_evenIjEEEE10hipError_tPvRmT3_T4_T5_T6_T7_T9_mT8_P12ihipStream_tbDpT10_ENKUlT_T0_E_clISt17integral_constantIbLb0EES1A_EEDaS15_S16_EUlS15_E_NS1_11comp_targetILNS1_3genE0ELNS1_11target_archE4294967295ELNS1_3gpuE0ELNS1_3repE0EEENS1_30default_config_static_selectorELNS0_4arch9wavefront6targetE1EEEvT1_,@function
_ZN7rocprim17ROCPRIM_400000_NS6detail17trampoline_kernelINS0_14default_configENS1_25partition_config_selectorILNS1_17partition_subalgoE3EjNS0_10empty_typeEbEEZZNS1_14partition_implILS5_3ELb0ES3_jN6thrust23THRUST_200600_302600_NS6detail15normal_iteratorINSA_7pointerIjNSA_11hip_rocprim3tagENSA_11use_defaultESG_EEEEPS6_SJ_NS0_5tupleIJPjSJ_EEENSK_IJSJ_SJ_EEES6_PlJ7is_evenIjEEEE10hipError_tPvRmT3_T4_T5_T6_T7_T9_mT8_P12ihipStream_tbDpT10_ENKUlT_T0_E_clISt17integral_constantIbLb0EES1A_EEDaS15_S16_EUlS15_E_NS1_11comp_targetILNS1_3genE0ELNS1_11target_archE4294967295ELNS1_3gpuE0ELNS1_3repE0EEENS1_30default_config_static_selectorELNS0_4arch9wavefront6targetE1EEEvT1_: ; @_ZN7rocprim17ROCPRIM_400000_NS6detail17trampoline_kernelINS0_14default_configENS1_25partition_config_selectorILNS1_17partition_subalgoE3EjNS0_10empty_typeEbEEZZNS1_14partition_implILS5_3ELb0ES3_jN6thrust23THRUST_200600_302600_NS6detail15normal_iteratorINSA_7pointerIjNSA_11hip_rocprim3tagENSA_11use_defaultESG_EEEEPS6_SJ_NS0_5tupleIJPjSJ_EEENSK_IJSJ_SJ_EEES6_PlJ7is_evenIjEEEE10hipError_tPvRmT3_T4_T5_T6_T7_T9_mT8_P12ihipStream_tbDpT10_ENKUlT_T0_E_clISt17integral_constantIbLb0EES1A_EEDaS15_S16_EUlS15_E_NS1_11comp_targetILNS1_3genE0ELNS1_11target_archE4294967295ELNS1_3gpuE0ELNS1_3repE0EEENS1_30default_config_static_selectorELNS0_4arch9wavefront6targetE1EEEvT1_
; %bb.0:
	.section	.rodata,"a",@progbits
	.p2align	6, 0x0
	.amdhsa_kernel _ZN7rocprim17ROCPRIM_400000_NS6detail17trampoline_kernelINS0_14default_configENS1_25partition_config_selectorILNS1_17partition_subalgoE3EjNS0_10empty_typeEbEEZZNS1_14partition_implILS5_3ELb0ES3_jN6thrust23THRUST_200600_302600_NS6detail15normal_iteratorINSA_7pointerIjNSA_11hip_rocprim3tagENSA_11use_defaultESG_EEEEPS6_SJ_NS0_5tupleIJPjSJ_EEENSK_IJSJ_SJ_EEES6_PlJ7is_evenIjEEEE10hipError_tPvRmT3_T4_T5_T6_T7_T9_mT8_P12ihipStream_tbDpT10_ENKUlT_T0_E_clISt17integral_constantIbLb0EES1A_EEDaS15_S16_EUlS15_E_NS1_11comp_targetILNS1_3genE0ELNS1_11target_archE4294967295ELNS1_3gpuE0ELNS1_3repE0EEENS1_30default_config_static_selectorELNS0_4arch9wavefront6targetE1EEEvT1_
		.amdhsa_group_segment_fixed_size 0
		.amdhsa_private_segment_fixed_size 0
		.amdhsa_kernarg_size 120
		.amdhsa_user_sgpr_count 6
		.amdhsa_user_sgpr_private_segment_buffer 1
		.amdhsa_user_sgpr_dispatch_ptr 0
		.amdhsa_user_sgpr_queue_ptr 0
		.amdhsa_user_sgpr_kernarg_segment_ptr 1
		.amdhsa_user_sgpr_dispatch_id 0
		.amdhsa_user_sgpr_flat_scratch_init 0
		.amdhsa_user_sgpr_kernarg_preload_length 0
		.amdhsa_user_sgpr_kernarg_preload_offset 0
		.amdhsa_user_sgpr_private_segment_size 0
		.amdhsa_uses_dynamic_stack 0
		.amdhsa_system_sgpr_private_segment_wavefront_offset 0
		.amdhsa_system_sgpr_workgroup_id_x 1
		.amdhsa_system_sgpr_workgroup_id_y 0
		.amdhsa_system_sgpr_workgroup_id_z 0
		.amdhsa_system_sgpr_workgroup_info 0
		.amdhsa_system_vgpr_workitem_id 0
		.amdhsa_next_free_vgpr 1
		.amdhsa_next_free_sgpr 0
		.amdhsa_accum_offset 4
		.amdhsa_reserve_vcc 0
		.amdhsa_reserve_flat_scratch 0
		.amdhsa_float_round_mode_32 0
		.amdhsa_float_round_mode_16_64 0
		.amdhsa_float_denorm_mode_32 3
		.amdhsa_float_denorm_mode_16_64 3
		.amdhsa_dx10_clamp 1
		.amdhsa_ieee_mode 1
		.amdhsa_fp16_overflow 0
		.amdhsa_tg_split 0
		.amdhsa_exception_fp_ieee_invalid_op 0
		.amdhsa_exception_fp_denorm_src 0
		.amdhsa_exception_fp_ieee_div_zero 0
		.amdhsa_exception_fp_ieee_overflow 0
		.amdhsa_exception_fp_ieee_underflow 0
		.amdhsa_exception_fp_ieee_inexact 0
		.amdhsa_exception_int_div_zero 0
	.end_amdhsa_kernel
	.section	.text._ZN7rocprim17ROCPRIM_400000_NS6detail17trampoline_kernelINS0_14default_configENS1_25partition_config_selectorILNS1_17partition_subalgoE3EjNS0_10empty_typeEbEEZZNS1_14partition_implILS5_3ELb0ES3_jN6thrust23THRUST_200600_302600_NS6detail15normal_iteratorINSA_7pointerIjNSA_11hip_rocprim3tagENSA_11use_defaultESG_EEEEPS6_SJ_NS0_5tupleIJPjSJ_EEENSK_IJSJ_SJ_EEES6_PlJ7is_evenIjEEEE10hipError_tPvRmT3_T4_T5_T6_T7_T9_mT8_P12ihipStream_tbDpT10_ENKUlT_T0_E_clISt17integral_constantIbLb0EES1A_EEDaS15_S16_EUlS15_E_NS1_11comp_targetILNS1_3genE0ELNS1_11target_archE4294967295ELNS1_3gpuE0ELNS1_3repE0EEENS1_30default_config_static_selectorELNS0_4arch9wavefront6targetE1EEEvT1_,"axG",@progbits,_ZN7rocprim17ROCPRIM_400000_NS6detail17trampoline_kernelINS0_14default_configENS1_25partition_config_selectorILNS1_17partition_subalgoE3EjNS0_10empty_typeEbEEZZNS1_14partition_implILS5_3ELb0ES3_jN6thrust23THRUST_200600_302600_NS6detail15normal_iteratorINSA_7pointerIjNSA_11hip_rocprim3tagENSA_11use_defaultESG_EEEEPS6_SJ_NS0_5tupleIJPjSJ_EEENSK_IJSJ_SJ_EEES6_PlJ7is_evenIjEEEE10hipError_tPvRmT3_T4_T5_T6_T7_T9_mT8_P12ihipStream_tbDpT10_ENKUlT_T0_E_clISt17integral_constantIbLb0EES1A_EEDaS15_S16_EUlS15_E_NS1_11comp_targetILNS1_3genE0ELNS1_11target_archE4294967295ELNS1_3gpuE0ELNS1_3repE0EEENS1_30default_config_static_selectorELNS0_4arch9wavefront6targetE1EEEvT1_,comdat
.Lfunc_end919:
	.size	_ZN7rocprim17ROCPRIM_400000_NS6detail17trampoline_kernelINS0_14default_configENS1_25partition_config_selectorILNS1_17partition_subalgoE3EjNS0_10empty_typeEbEEZZNS1_14partition_implILS5_3ELb0ES3_jN6thrust23THRUST_200600_302600_NS6detail15normal_iteratorINSA_7pointerIjNSA_11hip_rocprim3tagENSA_11use_defaultESG_EEEEPS6_SJ_NS0_5tupleIJPjSJ_EEENSK_IJSJ_SJ_EEES6_PlJ7is_evenIjEEEE10hipError_tPvRmT3_T4_T5_T6_T7_T9_mT8_P12ihipStream_tbDpT10_ENKUlT_T0_E_clISt17integral_constantIbLb0EES1A_EEDaS15_S16_EUlS15_E_NS1_11comp_targetILNS1_3genE0ELNS1_11target_archE4294967295ELNS1_3gpuE0ELNS1_3repE0EEENS1_30default_config_static_selectorELNS0_4arch9wavefront6targetE1EEEvT1_, .Lfunc_end919-_ZN7rocprim17ROCPRIM_400000_NS6detail17trampoline_kernelINS0_14default_configENS1_25partition_config_selectorILNS1_17partition_subalgoE3EjNS0_10empty_typeEbEEZZNS1_14partition_implILS5_3ELb0ES3_jN6thrust23THRUST_200600_302600_NS6detail15normal_iteratorINSA_7pointerIjNSA_11hip_rocprim3tagENSA_11use_defaultESG_EEEEPS6_SJ_NS0_5tupleIJPjSJ_EEENSK_IJSJ_SJ_EEES6_PlJ7is_evenIjEEEE10hipError_tPvRmT3_T4_T5_T6_T7_T9_mT8_P12ihipStream_tbDpT10_ENKUlT_T0_E_clISt17integral_constantIbLb0EES1A_EEDaS15_S16_EUlS15_E_NS1_11comp_targetILNS1_3genE0ELNS1_11target_archE4294967295ELNS1_3gpuE0ELNS1_3repE0EEENS1_30default_config_static_selectorELNS0_4arch9wavefront6targetE1EEEvT1_
                                        ; -- End function
	.section	.AMDGPU.csdata,"",@progbits
; Kernel info:
; codeLenInByte = 0
; NumSgprs: 4
; NumVgprs: 0
; NumAgprs: 0
; TotalNumVgprs: 0
; ScratchSize: 0
; MemoryBound: 0
; FloatMode: 240
; IeeeMode: 1
; LDSByteSize: 0 bytes/workgroup (compile time only)
; SGPRBlocks: 0
; VGPRBlocks: 0
; NumSGPRsForWavesPerEU: 4
; NumVGPRsForWavesPerEU: 1
; AccumOffset: 4
; Occupancy: 8
; WaveLimiterHint : 0
; COMPUTE_PGM_RSRC2:SCRATCH_EN: 0
; COMPUTE_PGM_RSRC2:USER_SGPR: 6
; COMPUTE_PGM_RSRC2:TRAP_HANDLER: 0
; COMPUTE_PGM_RSRC2:TGID_X_EN: 1
; COMPUTE_PGM_RSRC2:TGID_Y_EN: 0
; COMPUTE_PGM_RSRC2:TGID_Z_EN: 0
; COMPUTE_PGM_RSRC2:TIDIG_COMP_CNT: 0
; COMPUTE_PGM_RSRC3_GFX90A:ACCUM_OFFSET: 0
; COMPUTE_PGM_RSRC3_GFX90A:TG_SPLIT: 0
	.section	.text._ZN7rocprim17ROCPRIM_400000_NS6detail17trampoline_kernelINS0_14default_configENS1_25partition_config_selectorILNS1_17partition_subalgoE3EjNS0_10empty_typeEbEEZZNS1_14partition_implILS5_3ELb0ES3_jN6thrust23THRUST_200600_302600_NS6detail15normal_iteratorINSA_7pointerIjNSA_11hip_rocprim3tagENSA_11use_defaultESG_EEEEPS6_SJ_NS0_5tupleIJPjSJ_EEENSK_IJSJ_SJ_EEES6_PlJ7is_evenIjEEEE10hipError_tPvRmT3_T4_T5_T6_T7_T9_mT8_P12ihipStream_tbDpT10_ENKUlT_T0_E_clISt17integral_constantIbLb0EES1A_EEDaS15_S16_EUlS15_E_NS1_11comp_targetILNS1_3genE5ELNS1_11target_archE942ELNS1_3gpuE9ELNS1_3repE0EEENS1_30default_config_static_selectorELNS0_4arch9wavefront6targetE1EEEvT1_,"axG",@progbits,_ZN7rocprim17ROCPRIM_400000_NS6detail17trampoline_kernelINS0_14default_configENS1_25partition_config_selectorILNS1_17partition_subalgoE3EjNS0_10empty_typeEbEEZZNS1_14partition_implILS5_3ELb0ES3_jN6thrust23THRUST_200600_302600_NS6detail15normal_iteratorINSA_7pointerIjNSA_11hip_rocprim3tagENSA_11use_defaultESG_EEEEPS6_SJ_NS0_5tupleIJPjSJ_EEENSK_IJSJ_SJ_EEES6_PlJ7is_evenIjEEEE10hipError_tPvRmT3_T4_T5_T6_T7_T9_mT8_P12ihipStream_tbDpT10_ENKUlT_T0_E_clISt17integral_constantIbLb0EES1A_EEDaS15_S16_EUlS15_E_NS1_11comp_targetILNS1_3genE5ELNS1_11target_archE942ELNS1_3gpuE9ELNS1_3repE0EEENS1_30default_config_static_selectorELNS0_4arch9wavefront6targetE1EEEvT1_,comdat
	.protected	_ZN7rocprim17ROCPRIM_400000_NS6detail17trampoline_kernelINS0_14default_configENS1_25partition_config_selectorILNS1_17partition_subalgoE3EjNS0_10empty_typeEbEEZZNS1_14partition_implILS5_3ELb0ES3_jN6thrust23THRUST_200600_302600_NS6detail15normal_iteratorINSA_7pointerIjNSA_11hip_rocprim3tagENSA_11use_defaultESG_EEEEPS6_SJ_NS0_5tupleIJPjSJ_EEENSK_IJSJ_SJ_EEES6_PlJ7is_evenIjEEEE10hipError_tPvRmT3_T4_T5_T6_T7_T9_mT8_P12ihipStream_tbDpT10_ENKUlT_T0_E_clISt17integral_constantIbLb0EES1A_EEDaS15_S16_EUlS15_E_NS1_11comp_targetILNS1_3genE5ELNS1_11target_archE942ELNS1_3gpuE9ELNS1_3repE0EEENS1_30default_config_static_selectorELNS0_4arch9wavefront6targetE1EEEvT1_ ; -- Begin function _ZN7rocprim17ROCPRIM_400000_NS6detail17trampoline_kernelINS0_14default_configENS1_25partition_config_selectorILNS1_17partition_subalgoE3EjNS0_10empty_typeEbEEZZNS1_14partition_implILS5_3ELb0ES3_jN6thrust23THRUST_200600_302600_NS6detail15normal_iteratorINSA_7pointerIjNSA_11hip_rocprim3tagENSA_11use_defaultESG_EEEEPS6_SJ_NS0_5tupleIJPjSJ_EEENSK_IJSJ_SJ_EEES6_PlJ7is_evenIjEEEE10hipError_tPvRmT3_T4_T5_T6_T7_T9_mT8_P12ihipStream_tbDpT10_ENKUlT_T0_E_clISt17integral_constantIbLb0EES1A_EEDaS15_S16_EUlS15_E_NS1_11comp_targetILNS1_3genE5ELNS1_11target_archE942ELNS1_3gpuE9ELNS1_3repE0EEENS1_30default_config_static_selectorELNS0_4arch9wavefront6targetE1EEEvT1_
	.globl	_ZN7rocprim17ROCPRIM_400000_NS6detail17trampoline_kernelINS0_14default_configENS1_25partition_config_selectorILNS1_17partition_subalgoE3EjNS0_10empty_typeEbEEZZNS1_14partition_implILS5_3ELb0ES3_jN6thrust23THRUST_200600_302600_NS6detail15normal_iteratorINSA_7pointerIjNSA_11hip_rocprim3tagENSA_11use_defaultESG_EEEEPS6_SJ_NS0_5tupleIJPjSJ_EEENSK_IJSJ_SJ_EEES6_PlJ7is_evenIjEEEE10hipError_tPvRmT3_T4_T5_T6_T7_T9_mT8_P12ihipStream_tbDpT10_ENKUlT_T0_E_clISt17integral_constantIbLb0EES1A_EEDaS15_S16_EUlS15_E_NS1_11comp_targetILNS1_3genE5ELNS1_11target_archE942ELNS1_3gpuE9ELNS1_3repE0EEENS1_30default_config_static_selectorELNS0_4arch9wavefront6targetE1EEEvT1_
	.p2align	8
	.type	_ZN7rocprim17ROCPRIM_400000_NS6detail17trampoline_kernelINS0_14default_configENS1_25partition_config_selectorILNS1_17partition_subalgoE3EjNS0_10empty_typeEbEEZZNS1_14partition_implILS5_3ELb0ES3_jN6thrust23THRUST_200600_302600_NS6detail15normal_iteratorINSA_7pointerIjNSA_11hip_rocprim3tagENSA_11use_defaultESG_EEEEPS6_SJ_NS0_5tupleIJPjSJ_EEENSK_IJSJ_SJ_EEES6_PlJ7is_evenIjEEEE10hipError_tPvRmT3_T4_T5_T6_T7_T9_mT8_P12ihipStream_tbDpT10_ENKUlT_T0_E_clISt17integral_constantIbLb0EES1A_EEDaS15_S16_EUlS15_E_NS1_11comp_targetILNS1_3genE5ELNS1_11target_archE942ELNS1_3gpuE9ELNS1_3repE0EEENS1_30default_config_static_selectorELNS0_4arch9wavefront6targetE1EEEvT1_,@function
_ZN7rocprim17ROCPRIM_400000_NS6detail17trampoline_kernelINS0_14default_configENS1_25partition_config_selectorILNS1_17partition_subalgoE3EjNS0_10empty_typeEbEEZZNS1_14partition_implILS5_3ELb0ES3_jN6thrust23THRUST_200600_302600_NS6detail15normal_iteratorINSA_7pointerIjNSA_11hip_rocprim3tagENSA_11use_defaultESG_EEEEPS6_SJ_NS0_5tupleIJPjSJ_EEENSK_IJSJ_SJ_EEES6_PlJ7is_evenIjEEEE10hipError_tPvRmT3_T4_T5_T6_T7_T9_mT8_P12ihipStream_tbDpT10_ENKUlT_T0_E_clISt17integral_constantIbLb0EES1A_EEDaS15_S16_EUlS15_E_NS1_11comp_targetILNS1_3genE5ELNS1_11target_archE942ELNS1_3gpuE9ELNS1_3repE0EEENS1_30default_config_static_selectorELNS0_4arch9wavefront6targetE1EEEvT1_: ; @_ZN7rocprim17ROCPRIM_400000_NS6detail17trampoline_kernelINS0_14default_configENS1_25partition_config_selectorILNS1_17partition_subalgoE3EjNS0_10empty_typeEbEEZZNS1_14partition_implILS5_3ELb0ES3_jN6thrust23THRUST_200600_302600_NS6detail15normal_iteratorINSA_7pointerIjNSA_11hip_rocprim3tagENSA_11use_defaultESG_EEEEPS6_SJ_NS0_5tupleIJPjSJ_EEENSK_IJSJ_SJ_EEES6_PlJ7is_evenIjEEEE10hipError_tPvRmT3_T4_T5_T6_T7_T9_mT8_P12ihipStream_tbDpT10_ENKUlT_T0_E_clISt17integral_constantIbLb0EES1A_EEDaS15_S16_EUlS15_E_NS1_11comp_targetILNS1_3genE5ELNS1_11target_archE942ELNS1_3gpuE9ELNS1_3repE0EEENS1_30default_config_static_selectorELNS0_4arch9wavefront6targetE1EEEvT1_
; %bb.0:
	.section	.rodata,"a",@progbits
	.p2align	6, 0x0
	.amdhsa_kernel _ZN7rocprim17ROCPRIM_400000_NS6detail17trampoline_kernelINS0_14default_configENS1_25partition_config_selectorILNS1_17partition_subalgoE3EjNS0_10empty_typeEbEEZZNS1_14partition_implILS5_3ELb0ES3_jN6thrust23THRUST_200600_302600_NS6detail15normal_iteratorINSA_7pointerIjNSA_11hip_rocprim3tagENSA_11use_defaultESG_EEEEPS6_SJ_NS0_5tupleIJPjSJ_EEENSK_IJSJ_SJ_EEES6_PlJ7is_evenIjEEEE10hipError_tPvRmT3_T4_T5_T6_T7_T9_mT8_P12ihipStream_tbDpT10_ENKUlT_T0_E_clISt17integral_constantIbLb0EES1A_EEDaS15_S16_EUlS15_E_NS1_11comp_targetILNS1_3genE5ELNS1_11target_archE942ELNS1_3gpuE9ELNS1_3repE0EEENS1_30default_config_static_selectorELNS0_4arch9wavefront6targetE1EEEvT1_
		.amdhsa_group_segment_fixed_size 0
		.amdhsa_private_segment_fixed_size 0
		.amdhsa_kernarg_size 120
		.amdhsa_user_sgpr_count 6
		.amdhsa_user_sgpr_private_segment_buffer 1
		.amdhsa_user_sgpr_dispatch_ptr 0
		.amdhsa_user_sgpr_queue_ptr 0
		.amdhsa_user_sgpr_kernarg_segment_ptr 1
		.amdhsa_user_sgpr_dispatch_id 0
		.amdhsa_user_sgpr_flat_scratch_init 0
		.amdhsa_user_sgpr_kernarg_preload_length 0
		.amdhsa_user_sgpr_kernarg_preload_offset 0
		.amdhsa_user_sgpr_private_segment_size 0
		.amdhsa_uses_dynamic_stack 0
		.amdhsa_system_sgpr_private_segment_wavefront_offset 0
		.amdhsa_system_sgpr_workgroup_id_x 1
		.amdhsa_system_sgpr_workgroup_id_y 0
		.amdhsa_system_sgpr_workgroup_id_z 0
		.amdhsa_system_sgpr_workgroup_info 0
		.amdhsa_system_vgpr_workitem_id 0
		.amdhsa_next_free_vgpr 1
		.amdhsa_next_free_sgpr 0
		.amdhsa_accum_offset 4
		.amdhsa_reserve_vcc 0
		.amdhsa_reserve_flat_scratch 0
		.amdhsa_float_round_mode_32 0
		.amdhsa_float_round_mode_16_64 0
		.amdhsa_float_denorm_mode_32 3
		.amdhsa_float_denorm_mode_16_64 3
		.amdhsa_dx10_clamp 1
		.amdhsa_ieee_mode 1
		.amdhsa_fp16_overflow 0
		.amdhsa_tg_split 0
		.amdhsa_exception_fp_ieee_invalid_op 0
		.amdhsa_exception_fp_denorm_src 0
		.amdhsa_exception_fp_ieee_div_zero 0
		.amdhsa_exception_fp_ieee_overflow 0
		.amdhsa_exception_fp_ieee_underflow 0
		.amdhsa_exception_fp_ieee_inexact 0
		.amdhsa_exception_int_div_zero 0
	.end_amdhsa_kernel
	.section	.text._ZN7rocprim17ROCPRIM_400000_NS6detail17trampoline_kernelINS0_14default_configENS1_25partition_config_selectorILNS1_17partition_subalgoE3EjNS0_10empty_typeEbEEZZNS1_14partition_implILS5_3ELb0ES3_jN6thrust23THRUST_200600_302600_NS6detail15normal_iteratorINSA_7pointerIjNSA_11hip_rocprim3tagENSA_11use_defaultESG_EEEEPS6_SJ_NS0_5tupleIJPjSJ_EEENSK_IJSJ_SJ_EEES6_PlJ7is_evenIjEEEE10hipError_tPvRmT3_T4_T5_T6_T7_T9_mT8_P12ihipStream_tbDpT10_ENKUlT_T0_E_clISt17integral_constantIbLb0EES1A_EEDaS15_S16_EUlS15_E_NS1_11comp_targetILNS1_3genE5ELNS1_11target_archE942ELNS1_3gpuE9ELNS1_3repE0EEENS1_30default_config_static_selectorELNS0_4arch9wavefront6targetE1EEEvT1_,"axG",@progbits,_ZN7rocprim17ROCPRIM_400000_NS6detail17trampoline_kernelINS0_14default_configENS1_25partition_config_selectorILNS1_17partition_subalgoE3EjNS0_10empty_typeEbEEZZNS1_14partition_implILS5_3ELb0ES3_jN6thrust23THRUST_200600_302600_NS6detail15normal_iteratorINSA_7pointerIjNSA_11hip_rocprim3tagENSA_11use_defaultESG_EEEEPS6_SJ_NS0_5tupleIJPjSJ_EEENSK_IJSJ_SJ_EEES6_PlJ7is_evenIjEEEE10hipError_tPvRmT3_T4_T5_T6_T7_T9_mT8_P12ihipStream_tbDpT10_ENKUlT_T0_E_clISt17integral_constantIbLb0EES1A_EEDaS15_S16_EUlS15_E_NS1_11comp_targetILNS1_3genE5ELNS1_11target_archE942ELNS1_3gpuE9ELNS1_3repE0EEENS1_30default_config_static_selectorELNS0_4arch9wavefront6targetE1EEEvT1_,comdat
.Lfunc_end920:
	.size	_ZN7rocprim17ROCPRIM_400000_NS6detail17trampoline_kernelINS0_14default_configENS1_25partition_config_selectorILNS1_17partition_subalgoE3EjNS0_10empty_typeEbEEZZNS1_14partition_implILS5_3ELb0ES3_jN6thrust23THRUST_200600_302600_NS6detail15normal_iteratorINSA_7pointerIjNSA_11hip_rocprim3tagENSA_11use_defaultESG_EEEEPS6_SJ_NS0_5tupleIJPjSJ_EEENSK_IJSJ_SJ_EEES6_PlJ7is_evenIjEEEE10hipError_tPvRmT3_T4_T5_T6_T7_T9_mT8_P12ihipStream_tbDpT10_ENKUlT_T0_E_clISt17integral_constantIbLb0EES1A_EEDaS15_S16_EUlS15_E_NS1_11comp_targetILNS1_3genE5ELNS1_11target_archE942ELNS1_3gpuE9ELNS1_3repE0EEENS1_30default_config_static_selectorELNS0_4arch9wavefront6targetE1EEEvT1_, .Lfunc_end920-_ZN7rocprim17ROCPRIM_400000_NS6detail17trampoline_kernelINS0_14default_configENS1_25partition_config_selectorILNS1_17partition_subalgoE3EjNS0_10empty_typeEbEEZZNS1_14partition_implILS5_3ELb0ES3_jN6thrust23THRUST_200600_302600_NS6detail15normal_iteratorINSA_7pointerIjNSA_11hip_rocprim3tagENSA_11use_defaultESG_EEEEPS6_SJ_NS0_5tupleIJPjSJ_EEENSK_IJSJ_SJ_EEES6_PlJ7is_evenIjEEEE10hipError_tPvRmT3_T4_T5_T6_T7_T9_mT8_P12ihipStream_tbDpT10_ENKUlT_T0_E_clISt17integral_constantIbLb0EES1A_EEDaS15_S16_EUlS15_E_NS1_11comp_targetILNS1_3genE5ELNS1_11target_archE942ELNS1_3gpuE9ELNS1_3repE0EEENS1_30default_config_static_selectorELNS0_4arch9wavefront6targetE1EEEvT1_
                                        ; -- End function
	.section	.AMDGPU.csdata,"",@progbits
; Kernel info:
; codeLenInByte = 0
; NumSgprs: 4
; NumVgprs: 0
; NumAgprs: 0
; TotalNumVgprs: 0
; ScratchSize: 0
; MemoryBound: 0
; FloatMode: 240
; IeeeMode: 1
; LDSByteSize: 0 bytes/workgroup (compile time only)
; SGPRBlocks: 0
; VGPRBlocks: 0
; NumSGPRsForWavesPerEU: 4
; NumVGPRsForWavesPerEU: 1
; AccumOffset: 4
; Occupancy: 8
; WaveLimiterHint : 0
; COMPUTE_PGM_RSRC2:SCRATCH_EN: 0
; COMPUTE_PGM_RSRC2:USER_SGPR: 6
; COMPUTE_PGM_RSRC2:TRAP_HANDLER: 0
; COMPUTE_PGM_RSRC2:TGID_X_EN: 1
; COMPUTE_PGM_RSRC2:TGID_Y_EN: 0
; COMPUTE_PGM_RSRC2:TGID_Z_EN: 0
; COMPUTE_PGM_RSRC2:TIDIG_COMP_CNT: 0
; COMPUTE_PGM_RSRC3_GFX90A:ACCUM_OFFSET: 0
; COMPUTE_PGM_RSRC3_GFX90A:TG_SPLIT: 0
	.section	.text._ZN7rocprim17ROCPRIM_400000_NS6detail17trampoline_kernelINS0_14default_configENS1_25partition_config_selectorILNS1_17partition_subalgoE3EjNS0_10empty_typeEbEEZZNS1_14partition_implILS5_3ELb0ES3_jN6thrust23THRUST_200600_302600_NS6detail15normal_iteratorINSA_7pointerIjNSA_11hip_rocprim3tagENSA_11use_defaultESG_EEEEPS6_SJ_NS0_5tupleIJPjSJ_EEENSK_IJSJ_SJ_EEES6_PlJ7is_evenIjEEEE10hipError_tPvRmT3_T4_T5_T6_T7_T9_mT8_P12ihipStream_tbDpT10_ENKUlT_T0_E_clISt17integral_constantIbLb0EES1A_EEDaS15_S16_EUlS15_E_NS1_11comp_targetILNS1_3genE4ELNS1_11target_archE910ELNS1_3gpuE8ELNS1_3repE0EEENS1_30default_config_static_selectorELNS0_4arch9wavefront6targetE1EEEvT1_,"axG",@progbits,_ZN7rocprim17ROCPRIM_400000_NS6detail17trampoline_kernelINS0_14default_configENS1_25partition_config_selectorILNS1_17partition_subalgoE3EjNS0_10empty_typeEbEEZZNS1_14partition_implILS5_3ELb0ES3_jN6thrust23THRUST_200600_302600_NS6detail15normal_iteratorINSA_7pointerIjNSA_11hip_rocprim3tagENSA_11use_defaultESG_EEEEPS6_SJ_NS0_5tupleIJPjSJ_EEENSK_IJSJ_SJ_EEES6_PlJ7is_evenIjEEEE10hipError_tPvRmT3_T4_T5_T6_T7_T9_mT8_P12ihipStream_tbDpT10_ENKUlT_T0_E_clISt17integral_constantIbLb0EES1A_EEDaS15_S16_EUlS15_E_NS1_11comp_targetILNS1_3genE4ELNS1_11target_archE910ELNS1_3gpuE8ELNS1_3repE0EEENS1_30default_config_static_selectorELNS0_4arch9wavefront6targetE1EEEvT1_,comdat
	.protected	_ZN7rocprim17ROCPRIM_400000_NS6detail17trampoline_kernelINS0_14default_configENS1_25partition_config_selectorILNS1_17partition_subalgoE3EjNS0_10empty_typeEbEEZZNS1_14partition_implILS5_3ELb0ES3_jN6thrust23THRUST_200600_302600_NS6detail15normal_iteratorINSA_7pointerIjNSA_11hip_rocprim3tagENSA_11use_defaultESG_EEEEPS6_SJ_NS0_5tupleIJPjSJ_EEENSK_IJSJ_SJ_EEES6_PlJ7is_evenIjEEEE10hipError_tPvRmT3_T4_T5_T6_T7_T9_mT8_P12ihipStream_tbDpT10_ENKUlT_T0_E_clISt17integral_constantIbLb0EES1A_EEDaS15_S16_EUlS15_E_NS1_11comp_targetILNS1_3genE4ELNS1_11target_archE910ELNS1_3gpuE8ELNS1_3repE0EEENS1_30default_config_static_selectorELNS0_4arch9wavefront6targetE1EEEvT1_ ; -- Begin function _ZN7rocprim17ROCPRIM_400000_NS6detail17trampoline_kernelINS0_14default_configENS1_25partition_config_selectorILNS1_17partition_subalgoE3EjNS0_10empty_typeEbEEZZNS1_14partition_implILS5_3ELb0ES3_jN6thrust23THRUST_200600_302600_NS6detail15normal_iteratorINSA_7pointerIjNSA_11hip_rocprim3tagENSA_11use_defaultESG_EEEEPS6_SJ_NS0_5tupleIJPjSJ_EEENSK_IJSJ_SJ_EEES6_PlJ7is_evenIjEEEE10hipError_tPvRmT3_T4_T5_T6_T7_T9_mT8_P12ihipStream_tbDpT10_ENKUlT_T0_E_clISt17integral_constantIbLb0EES1A_EEDaS15_S16_EUlS15_E_NS1_11comp_targetILNS1_3genE4ELNS1_11target_archE910ELNS1_3gpuE8ELNS1_3repE0EEENS1_30default_config_static_selectorELNS0_4arch9wavefront6targetE1EEEvT1_
	.globl	_ZN7rocprim17ROCPRIM_400000_NS6detail17trampoline_kernelINS0_14default_configENS1_25partition_config_selectorILNS1_17partition_subalgoE3EjNS0_10empty_typeEbEEZZNS1_14partition_implILS5_3ELb0ES3_jN6thrust23THRUST_200600_302600_NS6detail15normal_iteratorINSA_7pointerIjNSA_11hip_rocprim3tagENSA_11use_defaultESG_EEEEPS6_SJ_NS0_5tupleIJPjSJ_EEENSK_IJSJ_SJ_EEES6_PlJ7is_evenIjEEEE10hipError_tPvRmT3_T4_T5_T6_T7_T9_mT8_P12ihipStream_tbDpT10_ENKUlT_T0_E_clISt17integral_constantIbLb0EES1A_EEDaS15_S16_EUlS15_E_NS1_11comp_targetILNS1_3genE4ELNS1_11target_archE910ELNS1_3gpuE8ELNS1_3repE0EEENS1_30default_config_static_selectorELNS0_4arch9wavefront6targetE1EEEvT1_
	.p2align	8
	.type	_ZN7rocprim17ROCPRIM_400000_NS6detail17trampoline_kernelINS0_14default_configENS1_25partition_config_selectorILNS1_17partition_subalgoE3EjNS0_10empty_typeEbEEZZNS1_14partition_implILS5_3ELb0ES3_jN6thrust23THRUST_200600_302600_NS6detail15normal_iteratorINSA_7pointerIjNSA_11hip_rocprim3tagENSA_11use_defaultESG_EEEEPS6_SJ_NS0_5tupleIJPjSJ_EEENSK_IJSJ_SJ_EEES6_PlJ7is_evenIjEEEE10hipError_tPvRmT3_T4_T5_T6_T7_T9_mT8_P12ihipStream_tbDpT10_ENKUlT_T0_E_clISt17integral_constantIbLb0EES1A_EEDaS15_S16_EUlS15_E_NS1_11comp_targetILNS1_3genE4ELNS1_11target_archE910ELNS1_3gpuE8ELNS1_3repE0EEENS1_30default_config_static_selectorELNS0_4arch9wavefront6targetE1EEEvT1_,@function
_ZN7rocprim17ROCPRIM_400000_NS6detail17trampoline_kernelINS0_14default_configENS1_25partition_config_selectorILNS1_17partition_subalgoE3EjNS0_10empty_typeEbEEZZNS1_14partition_implILS5_3ELb0ES3_jN6thrust23THRUST_200600_302600_NS6detail15normal_iteratorINSA_7pointerIjNSA_11hip_rocprim3tagENSA_11use_defaultESG_EEEEPS6_SJ_NS0_5tupleIJPjSJ_EEENSK_IJSJ_SJ_EEES6_PlJ7is_evenIjEEEE10hipError_tPvRmT3_T4_T5_T6_T7_T9_mT8_P12ihipStream_tbDpT10_ENKUlT_T0_E_clISt17integral_constantIbLb0EES1A_EEDaS15_S16_EUlS15_E_NS1_11comp_targetILNS1_3genE4ELNS1_11target_archE910ELNS1_3gpuE8ELNS1_3repE0EEENS1_30default_config_static_selectorELNS0_4arch9wavefront6targetE1EEEvT1_: ; @_ZN7rocprim17ROCPRIM_400000_NS6detail17trampoline_kernelINS0_14default_configENS1_25partition_config_selectorILNS1_17partition_subalgoE3EjNS0_10empty_typeEbEEZZNS1_14partition_implILS5_3ELb0ES3_jN6thrust23THRUST_200600_302600_NS6detail15normal_iteratorINSA_7pointerIjNSA_11hip_rocprim3tagENSA_11use_defaultESG_EEEEPS6_SJ_NS0_5tupleIJPjSJ_EEENSK_IJSJ_SJ_EEES6_PlJ7is_evenIjEEEE10hipError_tPvRmT3_T4_T5_T6_T7_T9_mT8_P12ihipStream_tbDpT10_ENKUlT_T0_E_clISt17integral_constantIbLb0EES1A_EEDaS15_S16_EUlS15_E_NS1_11comp_targetILNS1_3genE4ELNS1_11target_archE910ELNS1_3gpuE8ELNS1_3repE0EEENS1_30default_config_static_selectorELNS0_4arch9wavefront6targetE1EEEvT1_
; %bb.0:
	s_load_dwordx4 s[20:23], s[4:5], 0x8
	s_load_dwordx4 s[24:27], s[4:5], 0x48
	s_load_dwordx2 s[28:29], s[4:5], 0x58
	s_load_dword s2, s[4:5], 0x70
	s_mul_i32 s30, s6, 0xa00
	s_waitcnt lgkmcnt(0)
	s_lshl_b64 s[0:1], s[22:23], 2
	s_add_u32 s7, s20, s0
	s_addc_u32 s8, s21, s1
	s_mul_i32 s0, s2, 0xa00
	s_add_i32 s1, s0, s22
	s_sub_i32 s33, s28, s1
	s_add_i32 s3, s2, -1
	s_addk_i32 s33, 0xa00
	s_add_u32 s0, s22, s0
	s_addc_u32 s1, s23, 0
	s_cmp_eq_u32 s6, s3
	s_load_dwordx2 s[34:35], s[26:27], 0x0
	v_pk_mov_b32 v[2:3], s[28:29], s[28:29] op_sel:[0,1]
	s_cselect_b64 s[26:27], -1, 0
	s_cmp_lg_u32 s6, s3
	s_mov_b32 s31, 0
	v_cmp_lt_u64_e32 vcc, s[0:1], v[2:3]
	s_cselect_b64 s[0:1], -1, 0
	s_or_b64 s[2:3], s[0:1], vcc
	s_lshl_b64 s[0:1], s[30:31], 2
	s_add_u32 s7, s7, s0
	s_addc_u32 s10, s8, s1
	s_mov_b64 s[0:1], -1
	s_and_b64 vcc, exec, s[2:3]
	v_lshlrev_b32_e32 v1, 2, v0
	s_cbranch_vccz .LBB921_2
; %bb.1:
	v_mov_b32_e32 v3, s10
	v_add_co_u32_e32 v2, vcc, s7, v1
	v_addc_co_u32_e32 v3, vcc, 0, v3, vcc
	v_add_co_u32_e32 v4, vcc, 0x1000, v2
	v_addc_co_u32_e32 v5, vcc, 0, v3, vcc
	flat_load_dword v6, v[2:3]
	flat_load_dword v7, v[2:3] offset:1024
	flat_load_dword v8, v[2:3] offset:2048
	;; [unrolled: 1-line block ×3, first 2 shown]
	flat_load_dword v10, v[4:5]
	flat_load_dword v11, v[4:5] offset:1024
	flat_load_dword v12, v[4:5] offset:2048
	;; [unrolled: 1-line block ×3, first 2 shown]
	v_add_co_u32_e32 v2, vcc, 0x2000, v2
	v_addc_co_u32_e32 v3, vcc, 0, v3, vcc
	flat_load_dword v4, v[2:3]
	flat_load_dword v5, v[2:3] offset:1024
	s_mov_b64 s[0:1], 0
	s_waitcnt vmcnt(0) lgkmcnt(0)
	ds_write2st64_b32 v1, v6, v7 offset1:4
	ds_write2st64_b32 v1, v8, v9 offset0:8 offset1:12
	ds_write2st64_b32 v1, v10, v11 offset0:16 offset1:20
	ds_write2st64_b32 v1, v12, v13 offset0:24 offset1:28
	ds_write2st64_b32 v1, v4, v5 offset0:32 offset1:36
	s_waitcnt lgkmcnt(0)
	s_barrier
.LBB921_2:
	s_andn2_b64 vcc, exec, s[0:1]
	v_cmp_gt_u32_e64 s[0:1], s33, v0
	s_cbranch_vccnz .LBB921_24
; %bb.3:
                                        ; implicit-def: $vgpr2_vgpr3_vgpr4_vgpr5_vgpr6_vgpr7_vgpr8_vgpr9_vgpr10_vgpr11
	s_and_saveexec_b64 s[8:9], s[0:1]
	s_cbranch_execz .LBB921_5
; %bb.4:
	v_mov_b32_e32 v3, s10
	v_add_co_u32_e32 v2, vcc, s7, v1
	v_addc_co_u32_e32 v3, vcc, 0, v3, vcc
	flat_load_dword v2, v[2:3]
.LBB921_5:
	s_or_b64 exec, exec, s[8:9]
	v_or_b32_e32 v12, 0x100, v0
	v_cmp_gt_u32_e32 vcc, s33, v12
	s_and_saveexec_b64 s[0:1], vcc
	s_cbranch_execz .LBB921_7
; %bb.6:
	v_mov_b32_e32 v3, s10
	v_add_co_u32_e32 v12, vcc, s7, v1
	v_addc_co_u32_e32 v13, vcc, 0, v3, vcc
	flat_load_dword v3, v[12:13] offset:1024
.LBB921_7:
	s_or_b64 exec, exec, s[0:1]
	v_or_b32_e32 v12, 0x200, v0
	v_cmp_gt_u32_e32 vcc, s33, v12
	s_and_saveexec_b64 s[0:1], vcc
	s_cbranch_execz .LBB921_9
; %bb.8:
	v_mov_b32_e32 v4, s10
	v_add_co_u32_e32 v12, vcc, s7, v1
	v_addc_co_u32_e32 v13, vcc, 0, v4, vcc
	flat_load_dword v4, v[12:13] offset:2048
.LBB921_9:
	;; [unrolled: 11-line block ×3, first 2 shown]
	s_or_b64 exec, exec, s[0:1]
	v_or_b32_e32 v12, 0x400, v0
	v_cmp_gt_u32_e32 vcc, s33, v12
	s_and_saveexec_b64 s[0:1], vcc
	s_cbranch_execz .LBB921_13
; %bb.12:
	v_lshlrev_b32_e32 v6, 2, v12
	v_mov_b32_e32 v13, s10
	v_add_co_u32_e32 v12, vcc, s7, v6
	v_addc_co_u32_e32 v13, vcc, 0, v13, vcc
	flat_load_dword v6, v[12:13]
.LBB921_13:
	s_or_b64 exec, exec, s[0:1]
	v_or_b32_e32 v12, 0x500, v0
	v_cmp_gt_u32_e32 vcc, s33, v12
	s_and_saveexec_b64 s[0:1], vcc
	s_cbranch_execz .LBB921_15
; %bb.14:
	v_lshlrev_b32_e32 v7, 2, v12
	v_mov_b32_e32 v13, s10
	v_add_co_u32_e32 v12, vcc, s7, v7
	v_addc_co_u32_e32 v13, vcc, 0, v13, vcc
	flat_load_dword v7, v[12:13]
.LBB921_15:
	;; [unrolled: 12-line block ×6, first 2 shown]
	s_or_b64 exec, exec, s[0:1]
	s_waitcnt vmcnt(0) lgkmcnt(0)
	ds_write2st64_b32 v1, v2, v3 offset1:4
	ds_write2st64_b32 v1, v4, v5 offset0:8 offset1:12
	ds_write2st64_b32 v1, v6, v7 offset0:16 offset1:20
	;; [unrolled: 1-line block ×4, first 2 shown]
	s_waitcnt lgkmcnt(0)
	s_barrier
.LBB921_24:
	v_mul_u32_u24_e32 v23, 10, v0
	v_lshlrev_b32_e32 v29, 2, v23
	s_waitcnt lgkmcnt(0)
	ds_read2_b64 v[6:9], v29 offset1:1
	ds_read2_b64 v[2:5], v29 offset0:2 offset1:3
	ds_read_b64 v[12:13], v29 offset:32
	v_cndmask_b32_e64 v10, 0, 1, s[2:3]
	v_cmp_ne_u32_e64 s[0:1], 1, v10
	s_andn2_b64 vcc, exec, s[2:3]
	s_waitcnt lgkmcnt(2)
	v_xor_b32_e32 v21, -1, v6
	v_xor_b32_e32 v20, -1, v7
	;; [unrolled: 1-line block ×4, first 2 shown]
	s_waitcnt lgkmcnt(1)
	v_xor_b32_e32 v17, -1, v2
	v_xor_b32_e32 v16, -1, v3
	;; [unrolled: 1-line block ×4, first 2 shown]
	s_waitcnt lgkmcnt(0)
	v_xor_b32_e32 v11, -1, v12
	v_xor_b32_e32 v10, -1, v13
	s_barrier
	s_cbranch_vccnz .LBB921_26
; %bb.25:
	v_mov_b32_e32 v22, 1
	v_and_b32_e32 v25, 1, v21
	v_and_b32_sdwa v26, v20, v22 dst_sel:BYTE_1 dst_unused:UNUSED_PAD src0_sel:DWORD src1_sel:DWORD
	v_and_b32_e32 v27, 1, v19
	v_and_b32_sdwa v28, v18, v22 dst_sel:BYTE_1 dst_unused:UNUSED_PAD src0_sel:DWORD src1_sel:DWORD
	v_and_b32_e32 v30, 1, v17
	v_and_b32_sdwa v31, v16, v22 dst_sel:BYTE_1 dst_unused:UNUSED_PAD src0_sel:DWORD src1_sel:DWORD
	v_and_b32_e32 v32, 1, v15
	v_and_b32_sdwa v33, v14, v22 dst_sel:BYTE_1 dst_unused:UNUSED_PAD src0_sel:DWORD src1_sel:DWORD
	v_or_b32_e32 v25, v25, v26
	v_or_b32_sdwa v26, v27, v28 dst_sel:WORD_1 dst_unused:UNUSED_PAD src0_sel:DWORD src1_sel:DWORD
	v_or_b32_sdwa v26, v25, v26 dst_sel:DWORD dst_unused:UNUSED_PAD src0_sel:WORD_0 src1_sel:DWORD
	v_or_b32_e32 v25, v30, v31
	v_or_b32_sdwa v27, v32, v33 dst_sel:WORD_1 dst_unused:UNUSED_PAD src0_sel:DWORD src1_sel:DWORD
	v_and_b32_e32 v24, 1, v11
	v_and_b32_e32 v22, 1, v10
	v_or_b32_sdwa v25, v25, v27 dst_sel:DWORD dst_unused:UNUSED_PAD src0_sel:WORD_0 src1_sel:DWORD
	s_load_dwordx2 s[36:37], s[4:5], 0x68
	s_cbranch_execz .LBB921_27
	s_branch .LBB921_28
.LBB921_26:
                                        ; implicit-def: $vgpr22
                                        ; implicit-def: $vgpr24
                                        ; implicit-def: $vgpr25
                                        ; implicit-def: $vgpr26
	s_load_dwordx2 s[36:37], s[4:5], 0x68
.LBB921_27:
	v_or_b32_e32 v32, 1, v23
	v_cmp_gt_u32_e32 vcc, s33, v23
	v_add_u32_e32 v22, 2, v23
	v_cndmask_b32_e64 v33, 0, 1, vcc
	v_cmp_gt_u32_e32 vcc, s33, v32
	v_add_u32_e32 v31, 3, v23
	v_cndmask_b32_e64 v32, 0, 1, vcc
	;; [unrolled: 3-line block ×3, first 2 shown]
	v_cmp_gt_u32_e32 vcc, s33, v31
	v_add_u32_e32 v30, 5, v23
	v_and_b32_e32 v19, v22, v19
	v_cndmask_b32_e64 v22, 0, 1, vcc
	v_cmp_gt_u32_e32 vcc, s33, v24
	v_add_u32_e32 v25, 6, v23
	v_and_b32_sdwa v18, v22, v18 dst_sel:BYTE_1 dst_unused:UNUSED_PAD src0_sel:DWORD src1_sel:DWORD
	v_cndmask_b32_e64 v22, 0, 1, vcc
	v_cmp_gt_u32_e32 vcc, s33, v30
	v_add_u32_e32 v28, 7, v23
	v_and_b32_e32 v17, v22, v17
	v_cndmask_b32_e64 v22, 0, 1, vcc
	v_cmp_gt_u32_e32 vcc, s33, v25
	v_add_u32_e32 v26, 8, v23
	v_and_b32_sdwa v16, v22, v16 dst_sel:BYTE_1 dst_unused:UNUSED_PAD src0_sel:DWORD src1_sel:DWORD
	v_cndmask_b32_e64 v22, 0, 1, vcc
	v_cmp_gt_u32_e32 vcc, s33, v28
	v_add_u32_e32 v27, 9, v23
	v_and_b32_e32 v15, v22, v15
	v_cndmask_b32_e64 v22, 0, 1, vcc
	v_cmp_gt_u32_e32 vcc, s33, v26
	v_and_b32_sdwa v14, v22, v14 dst_sel:BYTE_1 dst_unused:UNUSED_PAD src0_sel:DWORD src1_sel:DWORD
	v_cndmask_b32_e64 v22, 0, 1, vcc
	v_cmp_gt_u32_e32 vcc, s33, v27
	v_and_b32_e32 v21, v33, v21
	v_and_b32_sdwa v20, v32, v20 dst_sel:BYTE_1 dst_unused:UNUSED_PAD src0_sel:DWORD src1_sel:DWORD
	v_and_b32_e32 v24, v22, v11
	v_cndmask_b32_e64 v11, 0, 1, vcc
	v_and_b32_e32 v22, v11, v10
	v_or_b32_e32 v10, v21, v20
	v_or_b32_sdwa v11, v19, v18 dst_sel:WORD_1 dst_unused:UNUSED_PAD src0_sel:DWORD src1_sel:DWORD
	v_or_b32_sdwa v26, v10, v11 dst_sel:DWORD dst_unused:UNUSED_PAD src0_sel:WORD_0 src1_sel:DWORD
	v_or_b32_e32 v10, v17, v16
	v_or_b32_sdwa v11, v15, v14 dst_sel:WORD_1 dst_unused:UNUSED_PAD src0_sel:DWORD src1_sel:DWORD
	v_or_b32_sdwa v25, v10, v11 dst_sel:DWORD dst_unused:UNUSED_PAD src0_sel:WORD_0 src1_sel:DWORD
.LBB921_28:
	v_bfe_u32 v30, v26, 16, 8
	v_lshrrev_b32_e32 v28, 24, v26
	v_add_u32_sdwa v11, v26, v26 dst_sel:DWORD dst_unused:UNUSED_PAD src0_sel:BYTE_1 src1_sel:BYTE_0
	v_and_b32_e32 v31, 0xff, v25
	v_bfe_u32 v32, v25, 8, 8
	v_add3_u32 v11, v11, v30, v28
	v_bfe_u32 v33, v25, 16, 8
	v_lshrrev_b32_e32 v27, 24, v25
	v_add3_u32 v11, v11, v31, v32
	v_and_b32_e32 v34, 0xff, v24
	v_and_b32_e32 v10, 0xff, v22
	v_add3_u32 v11, v11, v33, v27
	v_add3_u32 v37, v11, v34, v10
	v_mbcnt_lo_u32_b32 v10, -1, 0
	v_mbcnt_hi_u32_b32 v35, -1, v10
	v_and_b32_e32 v10, 15, v35
	v_cmp_eq_u32_e64 s[16:17], 0, v10
	v_cmp_lt_u32_e64 s[14:15], 1, v10
	v_cmp_lt_u32_e64 s[12:13], 3, v10
	;; [unrolled: 1-line block ×3, first 2 shown]
	v_and_b32_e32 v10, 16, v35
	v_cmp_eq_u32_e64 s[8:9], 0, v10
	v_or_b32_e32 v10, 63, v0
	s_cmp_lg_u32 s6, 0
	v_cmp_lt_u32_e64 s[2:3], 31, v35
	v_lshrrev_b32_e32 v36, 6, v0
	v_cmp_eq_u32_e64 s[20:21], v10, v0
	s_cbranch_scc0 .LBB921_55
; %bb.29:
	v_mov_b32_dpp v10, v37 row_shr:1 row_mask:0xf bank_mask:0xf
	v_cndmask_b32_e64 v10, v10, 0, s[16:17]
	v_add_u32_e32 v10, v10, v37
	s_nop 1
	v_mov_b32_dpp v11, v10 row_shr:2 row_mask:0xf bank_mask:0xf
	v_cndmask_b32_e64 v11, 0, v11, s[14:15]
	v_add_u32_e32 v10, v10, v11
	s_nop 1
	;; [unrolled: 4-line block ×4, first 2 shown]
	v_mov_b32_dpp v11, v10 row_bcast:15 row_mask:0xf bank_mask:0xf
	v_cndmask_b32_e64 v11, v11, 0, s[8:9]
	v_add_u32_e32 v10, v10, v11
	s_nop 1
	v_mov_b32_dpp v11, v10 row_bcast:31 row_mask:0xf bank_mask:0xf
	v_cndmask_b32_e64 v11, 0, v11, s[2:3]
	v_add_u32_e32 v10, v10, v11
	s_and_saveexec_b64 s[18:19], s[20:21]
	s_cbranch_execz .LBB921_31
; %bb.30:
	v_lshlrev_b32_e32 v11, 2, v36
	ds_write_b32 v11, v10
.LBB921_31:
	s_or_b64 exec, exec, s[18:19]
	v_cmp_gt_u32_e32 vcc, 4, v0
	s_waitcnt lgkmcnt(0)
	s_barrier
	s_and_saveexec_b64 s[18:19], vcc
	s_cbranch_execz .LBB921_33
; %bb.32:
	ds_read_b32 v11, v1
	v_and_b32_e32 v14, 3, v35
	v_cmp_ne_u32_e32 vcc, 0, v14
	s_waitcnt lgkmcnt(0)
	v_mov_b32_dpp v15, v11 row_shr:1 row_mask:0xf bank_mask:0xf
	v_cndmask_b32_e32 v15, 0, v15, vcc
	v_add_u32_e32 v11, v15, v11
	v_cmp_lt_u32_e32 vcc, 1, v14
	s_nop 0
	v_mov_b32_dpp v15, v11 row_shr:2 row_mask:0xf bank_mask:0xf
	v_cndmask_b32_e32 v14, 0, v15, vcc
	v_add_u32_e32 v11, v11, v14
	ds_write_b32 v1, v11
.LBB921_33:
	s_or_b64 exec, exec, s[18:19]
	v_cmp_gt_u32_e32 vcc, 64, v0
	v_cmp_lt_u32_e64 s[18:19], 63, v0
	s_waitcnt lgkmcnt(0)
	s_barrier
	s_waitcnt lgkmcnt(0)
                                        ; implicit-def: $vgpr38
	s_and_saveexec_b64 s[38:39], s[18:19]
	s_cbranch_execz .LBB921_35
; %bb.34:
	v_lshl_add_u32 v11, v36, 2, -4
	ds_read_b32 v38, v11
	s_waitcnt lgkmcnt(0)
	v_add_u32_e32 v10, v38, v10
.LBB921_35:
	s_or_b64 exec, exec, s[38:39]
	v_add_u32_e32 v11, -1, v35
	v_and_b32_e32 v14, 64, v35
	v_cmp_lt_i32_e64 s[18:19], v11, v14
	v_cndmask_b32_e64 v11, v11, v35, s[18:19]
	v_lshlrev_b32_e32 v11, 2, v11
	ds_bpermute_b32 v39, v11, v10
	v_cmp_eq_u32_e64 s[18:19], 0, v35
	s_and_saveexec_b64 s[38:39], vcc
	s_cbranch_execz .LBB921_54
; %bb.36:
	v_mov_b32_e32 v19, 0
	ds_read_b32 v10, v19 offset:12
	s_and_saveexec_b64 s[40:41], s[18:19]
	s_cbranch_execz .LBB921_38
; %bb.37:
	s_add_i32 s42, s6, 64
	s_mov_b32 s43, 0
	s_lshl_b64 s[42:43], s[42:43], 3
	s_add_u32 s42, s36, s42
	v_mov_b32_e32 v11, 1
	s_addc_u32 s43, s37, s43
	s_waitcnt lgkmcnt(0)
	global_store_dwordx2 v19, v[10:11], s[42:43]
.LBB921_38:
	s_or_b64 exec, exec, s[40:41]
	v_xad_u32 v14, v35, -1, s6
	v_add_u32_e32 v18, 64, v14
	v_lshlrev_b64 v[16:17], 3, v[18:19]
	v_mov_b32_e32 v11, s37
	v_add_co_u32_e32 v20, vcc, s36, v16
	v_addc_co_u32_e32 v21, vcc, v11, v17, vcc
	global_load_dwordx2 v[16:17], v[20:21], off glc
	s_waitcnt vmcnt(0)
	v_cmp_eq_u16_sdwa s[42:43], v17, v19 src0_sel:BYTE_0 src1_sel:DWORD
	s_and_saveexec_b64 s[40:41], s[42:43]
	s_cbranch_execz .LBB921_42
; %bb.39:
	s_mov_b64 s[42:43], 0
	v_mov_b32_e32 v11, 0
.LBB921_40:                             ; =>This Inner Loop Header: Depth=1
	global_load_dwordx2 v[16:17], v[20:21], off glc
	s_waitcnt vmcnt(0)
	v_cmp_ne_u16_sdwa s[44:45], v17, v11 src0_sel:BYTE_0 src1_sel:DWORD
	s_or_b64 s[42:43], s[44:45], s[42:43]
	s_andn2_b64 exec, exec, s[42:43]
	s_cbranch_execnz .LBB921_40
; %bb.41:
	s_or_b64 exec, exec, s[42:43]
.LBB921_42:
	s_or_b64 exec, exec, s[40:41]
	v_and_b32_e32 v41, 63, v35
	v_mov_b32_e32 v40, 2
	v_cmp_ne_u32_e32 vcc, 63, v41
	v_cmp_eq_u16_sdwa s[40:41], v17, v40 src0_sel:BYTE_0 src1_sel:DWORD
	v_lshlrev_b64 v[18:19], v35, -1
	v_addc_co_u32_e32 v20, vcc, 0, v35, vcc
	v_and_b32_e32 v11, s41, v19
	v_lshlrev_b32_e32 v42, 2, v20
	v_or_b32_e32 v11, 0x80000000, v11
	ds_bpermute_b32 v20, v42, v16
	v_and_b32_e32 v15, s40, v18
	v_ffbl_b32_e32 v11, v11
	v_add_u32_e32 v11, 32, v11
	v_ffbl_b32_e32 v15, v15
	v_min_u32_e32 v11, v15, v11
	v_cmp_lt_u32_e32 vcc, v41, v11
	s_waitcnt lgkmcnt(0)
	v_cndmask_b32_e32 v15, 0, v20, vcc
	v_cmp_gt_u32_e32 vcc, 62, v41
	v_add_u32_e32 v15, v15, v16
	v_cndmask_b32_e64 v16, 0, 1, vcc
	v_lshlrev_b32_e32 v16, 1, v16
	v_add_lshl_u32 v43, v16, v35, 2
	ds_bpermute_b32 v16, v43, v15
	v_add_u32_e32 v44, 2, v41
	v_cmp_le_u32_e32 vcc, v44, v11
	v_add_u32_e32 v46, 4, v41
	v_add_u32_e32 v48, 8, v41
	s_waitcnt lgkmcnt(0)
	v_cndmask_b32_e32 v16, 0, v16, vcc
	v_cmp_gt_u32_e32 vcc, 60, v41
	v_add_u32_e32 v15, v15, v16
	v_cndmask_b32_e64 v16, 0, 1, vcc
	v_lshlrev_b32_e32 v16, 2, v16
	v_add_lshl_u32 v45, v16, v35, 2
	ds_bpermute_b32 v16, v45, v15
	v_cmp_le_u32_e32 vcc, v46, v11
	v_add_u32_e32 v50, 16, v41
	v_add_u32_e32 v52, 32, v41
	s_waitcnt lgkmcnt(0)
	v_cndmask_b32_e32 v16, 0, v16, vcc
	v_cmp_gt_u32_e32 vcc, 56, v41
	v_add_u32_e32 v15, v15, v16
	v_cndmask_b32_e64 v16, 0, 1, vcc
	v_lshlrev_b32_e32 v16, 3, v16
	v_add_lshl_u32 v47, v16, v35, 2
	ds_bpermute_b32 v16, v47, v15
	v_cmp_le_u32_e32 vcc, v48, v11
	s_waitcnt lgkmcnt(0)
	v_cndmask_b32_e32 v16, 0, v16, vcc
	v_cmp_gt_u32_e32 vcc, 48, v41
	v_add_u32_e32 v15, v15, v16
	v_cndmask_b32_e64 v16, 0, 1, vcc
	v_lshlrev_b32_e32 v16, 4, v16
	v_add_lshl_u32 v49, v16, v35, 2
	ds_bpermute_b32 v16, v49, v15
	v_cmp_le_u32_e32 vcc, v50, v11
	;; [unrolled: 9-line block ×3, first 2 shown]
	s_waitcnt lgkmcnt(0)
	v_cndmask_b32_e32 v11, 0, v16, vcc
	v_add_u32_e32 v16, v15, v11
	v_mov_b32_e32 v15, 0
	s_branch .LBB921_44
.LBB921_43:                             ;   in Loop: Header=BB921_44 Depth=1
	s_or_b64 exec, exec, s[40:41]
	v_cmp_eq_u16_sdwa s[40:41], v17, v40 src0_sel:BYTE_0 src1_sel:DWORD
	v_and_b32_e32 v20, s41, v19
	v_or_b32_e32 v20, 0x80000000, v20
	ds_bpermute_b32 v53, v42, v16
	v_and_b32_e32 v21, s40, v18
	v_ffbl_b32_e32 v20, v20
	v_add_u32_e32 v20, 32, v20
	v_ffbl_b32_e32 v21, v21
	v_min_u32_e32 v20, v21, v20
	v_cmp_lt_u32_e32 vcc, v41, v20
	s_waitcnt lgkmcnt(0)
	v_cndmask_b32_e32 v21, 0, v53, vcc
	v_add_u32_e32 v16, v21, v16
	ds_bpermute_b32 v21, v43, v16
	v_cmp_le_u32_e32 vcc, v44, v20
	v_subrev_u32_e32 v14, 64, v14
	s_waitcnt lgkmcnt(0)
	v_cndmask_b32_e32 v21, 0, v21, vcc
	v_add_u32_e32 v16, v16, v21
	ds_bpermute_b32 v21, v45, v16
	v_cmp_le_u32_e32 vcc, v46, v20
	s_waitcnt lgkmcnt(0)
	v_cndmask_b32_e32 v21, 0, v21, vcc
	v_add_u32_e32 v16, v16, v21
	ds_bpermute_b32 v21, v47, v16
	v_cmp_le_u32_e32 vcc, v48, v20
	;; [unrolled: 5-line block ×4, first 2 shown]
	s_waitcnt lgkmcnt(0)
	v_cndmask_b32_e32 v20, 0, v21, vcc
	v_add3_u32 v16, v20, v11, v16
.LBB921_44:                             ; =>This Loop Header: Depth=1
                                        ;     Child Loop BB921_47 Depth 2
	v_cmp_ne_u16_sdwa s[40:41], v17, v40 src0_sel:BYTE_0 src1_sel:DWORD
	v_cndmask_b32_e64 v11, 0, 1, s[40:41]
	;;#ASMSTART
	;;#ASMEND
	v_cmp_ne_u32_e32 vcc, 0, v11
	s_cmp_lg_u64 vcc, exec
	v_mov_b32_e32 v11, v16
	s_cbranch_scc1 .LBB921_49
; %bb.45:                               ;   in Loop: Header=BB921_44 Depth=1
	v_lshlrev_b64 v[16:17], 3, v[14:15]
	v_mov_b32_e32 v21, s37
	v_add_co_u32_e32 v20, vcc, s36, v16
	v_addc_co_u32_e32 v21, vcc, v21, v17, vcc
	global_load_dwordx2 v[16:17], v[20:21], off glc
	s_waitcnt vmcnt(0)
	v_cmp_eq_u16_sdwa s[42:43], v17, v15 src0_sel:BYTE_0 src1_sel:DWORD
	s_and_saveexec_b64 s[40:41], s[42:43]
	s_cbranch_execz .LBB921_43
; %bb.46:                               ;   in Loop: Header=BB921_44 Depth=1
	s_mov_b64 s[42:43], 0
.LBB921_47:                             ;   Parent Loop BB921_44 Depth=1
                                        ; =>  This Inner Loop Header: Depth=2
	global_load_dwordx2 v[16:17], v[20:21], off glc
	s_waitcnt vmcnt(0)
	v_cmp_ne_u16_sdwa s[44:45], v17, v15 src0_sel:BYTE_0 src1_sel:DWORD
	s_or_b64 s[42:43], s[44:45], s[42:43]
	s_andn2_b64 exec, exec, s[42:43]
	s_cbranch_execnz .LBB921_47
; %bb.48:                               ;   in Loop: Header=BB921_44 Depth=1
	s_or_b64 exec, exec, s[42:43]
	s_branch .LBB921_43
.LBB921_49:                             ;   in Loop: Header=BB921_44 Depth=1
                                        ; implicit-def: $vgpr16
                                        ; implicit-def: $vgpr17
	s_cbranch_execz .LBB921_44
; %bb.50:
	s_and_saveexec_b64 s[40:41], s[18:19]
	s_cbranch_execz .LBB921_52
; %bb.51:
	s_add_i32 s6, s6, 64
	s_mov_b32 s7, 0
	s_lshl_b64 s[6:7], s[6:7], 3
	s_add_u32 s6, s36, s6
	v_add_u32_e32 v14, v11, v10
	v_mov_b32_e32 v15, 2
	s_addc_u32 s7, s37, s7
	v_mov_b32_e32 v16, 0
	global_store_dwordx2 v16, v[14:15], s[6:7]
	ds_write_b64 v16, v[10:11] offset:10240
.LBB921_52:
	s_or_b64 exec, exec, s[40:41]
	v_cmp_eq_u32_e32 vcc, 0, v0
	s_and_b64 exec, exec, vcc
	s_cbranch_execz .LBB921_54
; %bb.53:
	v_mov_b32_e32 v10, 0
	ds_write_b32 v10, v11 offset:12
.LBB921_54:
	s_or_b64 exec, exec, s[38:39]
	v_mov_b32_e32 v10, 0
	s_waitcnt lgkmcnt(0)
	s_barrier
	ds_read_b32 v11, v10 offset:12
	v_cndmask_b32_e64 v14, v39, v38, s[18:19]
	v_cmp_ne_u32_e32 vcc, 0, v0
	v_cndmask_b32_e32 v14, 0, v14, vcc
	s_waitcnt lgkmcnt(0)
	v_add_u32_e32 v39, v11, v14
	v_add_u32_sdwa v38, v39, v26 dst_sel:DWORD dst_unused:UNUSED_PAD src0_sel:DWORD src1_sel:BYTE_0
	v_add_u32_sdwa v21, v38, v26 dst_sel:DWORD dst_unused:UNUSED_PAD src0_sel:DWORD src1_sel:BYTE_1
	v_add_u32_e32 v20, v21, v30
	v_add_u32_e32 v19, v20, v28
	;; [unrolled: 1-line block ×3, first 2 shown]
	s_barrier
	ds_read_b64 v[10:11], v10 offset:10240
	v_add_u32_e32 v17, v18, v32
	v_add_u32_e32 v16, v17, v33
	;; [unrolled: 1-line block ×4, first 2 shown]
	s_load_dwordx2 s[4:5], s[4:5], 0x28
	s_branch .LBB921_65
.LBB921_55:
                                        ; implicit-def: $vgpr11
                                        ; implicit-def: $vgpr14
                                        ; implicit-def: $vgpr15
                                        ; implicit-def: $vgpr16
                                        ; implicit-def: $vgpr17
                                        ; implicit-def: $vgpr18
                                        ; implicit-def: $vgpr19
                                        ; implicit-def: $vgpr20
                                        ; implicit-def: $vgpr21
                                        ; implicit-def: $vgpr38
                                        ; implicit-def: $vgpr39
	s_load_dwordx2 s[4:5], s[4:5], 0x28
	s_cbranch_execz .LBB921_65
; %bb.56:
	s_waitcnt lgkmcnt(0)
	v_mov_b32_dpp v10, v37 row_shr:1 row_mask:0xf bank_mask:0xf
	v_cndmask_b32_e64 v10, v10, 0, s[16:17]
	v_add_u32_e32 v10, v10, v37
	s_nop 1
	v_mov_b32_dpp v11, v10 row_shr:2 row_mask:0xf bank_mask:0xf
	v_cndmask_b32_e64 v11, 0, v11, s[14:15]
	v_add_u32_e32 v10, v10, v11
	s_nop 1
	;; [unrolled: 4-line block ×4, first 2 shown]
	v_mov_b32_dpp v11, v10 row_bcast:15 row_mask:0xf bank_mask:0xf
	v_cndmask_b32_e64 v11, v11, 0, s[8:9]
	v_add_u32_e32 v10, v10, v11
	s_nop 1
	v_mov_b32_dpp v11, v10 row_bcast:31 row_mask:0xf bank_mask:0xf
	v_cndmask_b32_e64 v11, 0, v11, s[2:3]
	v_add_u32_e32 v10, v10, v11
	s_and_saveexec_b64 s[2:3], s[20:21]
	s_cbranch_execz .LBB921_58
; %bb.57:
	v_lshlrev_b32_e32 v11, 2, v36
	ds_write_b32 v11, v10
.LBB921_58:
	s_or_b64 exec, exec, s[2:3]
	v_cmp_gt_u32_e32 vcc, 4, v0
	s_waitcnt lgkmcnt(0)
	s_barrier
	s_and_saveexec_b64 s[2:3], vcc
	s_cbranch_execz .LBB921_60
; %bb.59:
	s_movk_i32 s6, 0xffdc
	v_mad_i32_i24 v11, v0, s6, v29
	ds_read_b32 v14, v11
	v_and_b32_e32 v15, 3, v35
	v_cmp_ne_u32_e32 vcc, 0, v15
	s_waitcnt lgkmcnt(0)
	v_mov_b32_dpp v16, v14 row_shr:1 row_mask:0xf bank_mask:0xf
	v_cndmask_b32_e32 v16, 0, v16, vcc
	v_add_u32_e32 v14, v16, v14
	v_cmp_lt_u32_e32 vcc, 1, v15
	s_nop 0
	v_mov_b32_dpp v16, v14 row_shr:2 row_mask:0xf bank_mask:0xf
	v_cndmask_b32_e32 v15, 0, v16, vcc
	v_add_u32_e32 v14, v14, v15
	ds_write_b32 v11, v14
.LBB921_60:
	s_or_b64 exec, exec, s[2:3]
	v_cmp_lt_u32_e32 vcc, 63, v0
	v_mov_b32_e32 v11, 0
	v_mov_b32_e32 v14, 0
	s_waitcnt lgkmcnt(0)
	s_barrier
	s_and_saveexec_b64 s[2:3], vcc
	s_cbranch_execz .LBB921_62
; %bb.61:
	v_lshl_add_u32 v14, v36, 2, -4
	ds_read_b32 v14, v14
.LBB921_62:
	s_or_b64 exec, exec, s[2:3]
	v_add_u32_e32 v15, -1, v35
	v_and_b32_e32 v16, 64, v35
	v_cmp_lt_i32_e32 vcc, v15, v16
	v_cndmask_b32_e32 v15, v15, v35, vcc
	s_waitcnt lgkmcnt(0)
	v_add_u32_e32 v10, v14, v10
	v_lshlrev_b32_e32 v15, 2, v15
	ds_bpermute_b32 v15, v15, v10
	ds_read_b32 v10, v11 offset:12
	v_cmp_eq_u32_e32 vcc, 0, v0
	s_and_saveexec_b64 s[2:3], vcc
	s_cbranch_execz .LBB921_64
; %bb.63:
	v_mov_b32_e32 v16, 0
	v_mov_b32_e32 v11, 2
	s_waitcnt lgkmcnt(0)
	global_store_dwordx2 v16, v[10:11], s[36:37] offset:512
.LBB921_64:
	s_or_b64 exec, exec, s[2:3]
	v_cmp_eq_u32_e64 s[2:3], 0, v35
	s_waitcnt lgkmcnt(1)
	v_cndmask_b32_e64 v14, v15, v14, s[2:3]
	v_cndmask_b32_e64 v39, v14, 0, vcc
	v_add_u32_sdwa v38, v39, v26 dst_sel:DWORD dst_unused:UNUSED_PAD src0_sel:DWORD src1_sel:BYTE_0
	v_add_u32_sdwa v21, v38, v26 dst_sel:DWORD dst_unused:UNUSED_PAD src0_sel:DWORD src1_sel:BYTE_1
	v_add_u32_e32 v20, v21, v30
	v_add_u32_e32 v19, v20, v28
	;; [unrolled: 1-line block ×6, first 2 shown]
	v_mov_b32_e32 v11, 0
	v_add_u32_e32 v14, v15, v34
	s_waitcnt lgkmcnt(0)
	s_barrier
.LBB921_65:
	s_waitcnt lgkmcnt(0)
	v_add_u32_e32 v23, v10, v23
	v_sub_u32_e32 v31, v39, v11
	v_and_b32_e32 v33, 1, v26
	v_sub_u32_e32 v32, v23, v31
	v_cmp_eq_u32_e32 vcc, 1, v33
	v_cndmask_b32_e32 v31, v32, v31, vcc
	v_lshlrev_b32_e32 v31, 2, v31
	v_lshrrev_b32_e32 v30, 8, v26
	ds_write_b32 v31, v6
	v_sub_u32_e32 v6, v38, v11
	v_sub_u32_e32 v31, v23, v6
	v_and_b32_e32 v30, 1, v30
	v_add_u32_e32 v31, 1, v31
	v_cmp_eq_u32_e32 vcc, 1, v30
	v_cndmask_b32_e32 v6, v31, v6, vcc
	v_lshlrev_b32_e32 v6, 2, v6
	ds_write_b32 v6, v7
	v_sub_u32_e32 v6, v21, v11
	v_mov_b32_e32 v21, 1
	v_sub_u32_e32 v7, v23, v6
	v_and_b32_sdwa v26, v21, v26 dst_sel:DWORD dst_unused:UNUSED_PAD src0_sel:DWORD src1_sel:WORD_1
	v_add_u32_e32 v7, 2, v7
	v_cmp_eq_u32_e32 vcc, 1, v26
	v_cndmask_b32_e32 v6, v7, v6, vcc
	v_lshlrev_b32_e32 v6, 2, v6
	ds_write_b32 v6, v8
	v_sub_u32_e32 v6, v20, v11
	v_sub_u32_e32 v7, v23, v6
	v_and_b32_e32 v8, 1, v28
	v_add_u32_e32 v7, 3, v7
	v_cmp_eq_u32_e32 vcc, 1, v8
	v_cndmask_b32_e32 v6, v7, v6, vcc
	v_lshlrev_b32_e32 v6, 2, v6
	ds_write_b32 v6, v9
	v_sub_u32_e32 v6, v19, v11
	v_sub_u32_e32 v7, v23, v6
	v_and_b32_e32 v8, 1, v25
	v_add_u32_e32 v7, 4, v7
	v_cmp_eq_u32_e32 vcc, 1, v8
	v_cndmask_b32_e32 v6, v7, v6, vcc
	v_lshlrev_b32_e32 v6, 2, v6
	v_lshrrev_b32_e32 v29, 8, v25
	ds_write_b32 v6, v2
	v_sub_u32_e32 v2, v18, v11
	v_sub_u32_e32 v6, v23, v2
	v_and_b32_e32 v7, 1, v29
	v_add_u32_e32 v6, 5, v6
	v_cmp_eq_u32_e32 vcc, 1, v7
	v_cndmask_b32_e32 v2, v6, v2, vcc
	v_lshlrev_b32_e32 v2, 2, v2
	ds_write_b32 v2, v3
	v_sub_u32_e32 v2, v17, v11
	v_sub_u32_e32 v3, v23, v2
	v_and_b32_sdwa v6, v21, v25 dst_sel:DWORD dst_unused:UNUSED_PAD src0_sel:DWORD src1_sel:WORD_1
	v_add_u32_e32 v3, 6, v3
	v_cmp_eq_u32_e32 vcc, 1, v6
	v_cndmask_b32_e32 v2, v3, v2, vcc
	v_lshlrev_b32_e32 v2, 2, v2
	ds_write_b32 v2, v4
	v_sub_u32_e32 v2, v16, v11
	v_sub_u32_e32 v3, v23, v2
	v_and_b32_e32 v4, 1, v27
	v_add_u32_e32 v3, 7, v3
	v_cmp_eq_u32_e32 vcc, 1, v4
	v_cndmask_b32_e32 v2, v3, v2, vcc
	v_lshlrev_b32_e32 v2, 2, v2
	ds_write_b32 v2, v5
	v_sub_u32_e32 v2, v15, v11
	v_sub_u32_e32 v3, v23, v2
	v_and_b32_e32 v4, 1, v24
	;; [unrolled: 8-line block ×3, first 2 shown]
	v_add_u32_e32 v3, 9, v3
	v_cmp_eq_u32_e32 vcc, 1, v4
	v_cndmask_b32_e32 v2, v3, v2, vcc
	s_add_u32 s2, s22, s30
	v_lshlrev_b32_e32 v2, 2, v2
	s_addc_u32 s3, s23, 0
	ds_write_b32 v2, v13
	s_waitcnt lgkmcnt(0)
	s_barrier
	ds_read2st64_b32 v[12:13], v1 offset1:4
	ds_read2st64_b32 v[8:9], v1 offset0:8 offset1:12
	ds_read2st64_b32 v[6:7], v1 offset0:16 offset1:20
	;; [unrolled: 1-line block ×4, first 2 shown]
	v_mov_b32_e32 v14, s35
	v_add_co_u32_e32 v1, vcc, s34, v11
	s_sub_u32 s2, s28, s2
	v_addc_co_u32_e32 v11, vcc, 0, v14, vcc
	s_subb_u32 s3, s29, s3
	v_mov_b32_e32 v14, s3
	v_add_co_u32_e32 v15, vcc, s2, v10
	v_addc_co_u32_e32 v14, vcc, 0, v14, vcc
	s_and_b64 vcc, exec, s[0:1]
	v_add_co_u32_e64 v17, s[0:1], v15, v1
	v_or_b32_e32 v26, 0x100, v0
	v_or_b32_e32 v25, 0x200, v0
	;; [unrolled: 1-line block ×9, first 2 shown]
	v_addc_co_u32_e64 v18, s[0:1], v14, v11, s[0:1]
	s_cbranch_vccnz .LBB921_107
; %bb.66:
	v_cmp_ge_u32_e32 vcc, v0, v10
                                        ; implicit-def: $vgpr14_vgpr15
	s_and_saveexec_b64 s[0:1], vcc
	s_xor_b64 s[0:1], exec, s[0:1]
; %bb.67:
	v_not_b32_e32 v14, v0
	v_ashrrev_i32_e32 v15, 31, v14
	v_add_co_u32_e32 v14, vcc, v17, v14
	v_addc_co_u32_e32 v15, vcc, v18, v15, vcc
; %bb.68:
	s_andn2_saveexec_b64 s[0:1], s[0:1]
; %bb.69:
	v_add_co_u32_e32 v14, vcc, v1, v0
	v_addc_co_u32_e32 v15, vcc, 0, v11, vcc
; %bb.70:
	s_or_b64 exec, exec, s[0:1]
	v_lshlrev_b64 v[14:15], 2, v[14:15]
	v_mov_b32_e32 v27, s5
	v_add_co_u32_e32 v14, vcc, s4, v14
	v_addc_co_u32_e32 v15, vcc, v27, v15, vcc
	v_cmp_ge_u32_e32 vcc, v26, v10
	s_waitcnt lgkmcnt(4)
	global_store_dword v[14:15], v12, off
                                        ; implicit-def: $vgpr14_vgpr15
	s_and_saveexec_b64 s[0:1], vcc
	s_xor_b64 s[0:1], exec, s[0:1]
; %bb.71:
	v_xor_b32_e32 v14, 0xfffffeff, v0
	v_ashrrev_i32_e32 v15, 31, v14
	v_add_co_u32_e32 v14, vcc, v17, v14
	v_addc_co_u32_e32 v15, vcc, v18, v15, vcc
; %bb.72:
	s_andn2_saveexec_b64 s[0:1], s[0:1]
; %bb.73:
	v_add_co_u32_e32 v14, vcc, v1, v26
	v_addc_co_u32_e32 v15, vcc, 0, v11, vcc
; %bb.74:
	s_or_b64 exec, exec, s[0:1]
	v_lshlrev_b64 v[14:15], 2, v[14:15]
	v_mov_b32_e32 v27, s5
	v_add_co_u32_e32 v14, vcc, s4, v14
	v_addc_co_u32_e32 v15, vcc, v27, v15, vcc
	v_cmp_ge_u32_e32 vcc, v25, v10
	global_store_dword v[14:15], v13, off
                                        ; implicit-def: $vgpr14_vgpr15
	s_and_saveexec_b64 s[0:1], vcc
	s_xor_b64 s[0:1], exec, s[0:1]
; %bb.75:
	v_xor_b32_e32 v14, 0xfffffdff, v0
	v_ashrrev_i32_e32 v15, 31, v14
	v_add_co_u32_e32 v14, vcc, v17, v14
	v_addc_co_u32_e32 v15, vcc, v18, v15, vcc
; %bb.76:
	s_andn2_saveexec_b64 s[0:1], s[0:1]
; %bb.77:
	v_add_co_u32_e32 v14, vcc, v1, v25
	v_addc_co_u32_e32 v15, vcc, 0, v11, vcc
; %bb.78:
	s_or_b64 exec, exec, s[0:1]
	v_lshlrev_b64 v[14:15], 2, v[14:15]
	v_mov_b32_e32 v27, s5
	v_add_co_u32_e32 v14, vcc, s4, v14
	v_addc_co_u32_e32 v15, vcc, v27, v15, vcc
	v_cmp_ge_u32_e32 vcc, v24, v10
	s_waitcnt lgkmcnt(3)
	global_store_dword v[14:15], v8, off
                                        ; implicit-def: $vgpr14_vgpr15
	s_and_saveexec_b64 s[0:1], vcc
	s_xor_b64 s[0:1], exec, s[0:1]
; %bb.79:
	v_xor_b32_e32 v14, 0xfffffcff, v0
	v_ashrrev_i32_e32 v15, 31, v14
	v_add_co_u32_e32 v14, vcc, v17, v14
	v_addc_co_u32_e32 v15, vcc, v18, v15, vcc
; %bb.80:
	s_andn2_saveexec_b64 s[0:1], s[0:1]
; %bb.81:
	v_add_co_u32_e32 v14, vcc, v1, v24
	v_addc_co_u32_e32 v15, vcc, 0, v11, vcc
; %bb.82:
	s_or_b64 exec, exec, s[0:1]
	v_lshlrev_b64 v[14:15], 2, v[14:15]
	v_mov_b32_e32 v27, s5
	v_add_co_u32_e32 v14, vcc, s4, v14
	v_addc_co_u32_e32 v15, vcc, v27, v15, vcc
	v_cmp_ge_u32_e32 vcc, v23, v10
	global_store_dword v[14:15], v9, off
                                        ; implicit-def: $vgpr14_vgpr15
	s_and_saveexec_b64 s[0:1], vcc
	s_xor_b64 s[0:1], exec, s[0:1]
; %bb.83:
	v_xor_b32_e32 v14, 0xfffffbff, v0
	;; [unrolled: 43-line block ×4, first 2 shown]
	v_ashrrev_i32_e32 v15, 31, v14
	v_add_co_u32_e32 v14, vcc, v17, v14
	v_addc_co_u32_e32 v15, vcc, v18, v15, vcc
; %bb.100:
	s_andn2_saveexec_b64 s[0:1], s[0:1]
; %bb.101:
	v_add_co_u32_e32 v14, vcc, v1, v19
	v_addc_co_u32_e32 v15, vcc, 0, v11, vcc
; %bb.102:
	s_or_b64 exec, exec, s[0:1]
	v_lshlrev_b64 v[14:15], 2, v[14:15]
	v_mov_b32_e32 v27, s5
	v_add_co_u32_e32 v14, vcc, s4, v14
	v_addc_co_u32_e32 v15, vcc, v27, v15, vcc
	v_cmp_ge_u32_e32 vcc, v16, v10
	s_waitcnt lgkmcnt(0)
	global_store_dword v[14:15], v2, off
                                        ; implicit-def: $vgpr14_vgpr15
	s_and_saveexec_b64 s[0:1], vcc
	s_xor_b64 s[0:1], exec, s[0:1]
; %bb.103:
	v_xor_b32_e32 v14, 0xfffff6ff, v0
	v_ashrrev_i32_e32 v15, 31, v14
	v_add_co_u32_e32 v14, vcc, v17, v14
	v_addc_co_u32_e32 v15, vcc, v18, v15, vcc
; %bb.104:
	s_andn2_saveexec_b64 s[0:1], s[0:1]
; %bb.105:
	v_add_co_u32_e32 v14, vcc, v1, v16
	v_addc_co_u32_e32 v15, vcc, 0, v11, vcc
; %bb.106:
	s_or_b64 exec, exec, s[0:1]
	s_mov_b64 s[0:1], -1
	s_branch .LBB921_169
.LBB921_107:
	s_mov_b64 s[0:1], 0
                                        ; implicit-def: $vgpr14_vgpr15
	s_cbranch_execz .LBB921_169
; %bb.108:
	v_cmp_gt_u32_e32 vcc, s33, v0
	s_and_saveexec_b64 s[2:3], vcc
	s_cbranch_execz .LBB921_134
; %bb.109:
	v_cmp_ge_u32_e32 vcc, v0, v10
                                        ; implicit-def: $vgpr14_vgpr15
	s_and_saveexec_b64 s[6:7], vcc
	s_xor_b64 s[6:7], exec, s[6:7]
; %bb.110:
	v_not_b32_e32 v14, v0
	v_ashrrev_i32_e32 v15, 31, v14
	v_add_co_u32_e32 v14, vcc, v17, v14
	v_addc_co_u32_e32 v15, vcc, v18, v15, vcc
; %bb.111:
	s_andn2_saveexec_b64 s[6:7], s[6:7]
; %bb.112:
	v_add_co_u32_e32 v14, vcc, v1, v0
	v_addc_co_u32_e32 v15, vcc, 0, v11, vcc
; %bb.113:
	s_or_b64 exec, exec, s[6:7]
	v_lshlrev_b64 v[14:15], 2, v[14:15]
	v_mov_b32_e32 v27, s5
	v_add_co_u32_e32 v14, vcc, s4, v14
	v_addc_co_u32_e32 v15, vcc, v27, v15, vcc
	s_waitcnt lgkmcnt(4)
	global_store_dword v[14:15], v12, off
	s_or_b64 exec, exec, s[2:3]
	v_cmp_gt_u32_e32 vcc, s33, v26
	s_and_saveexec_b64 s[2:3], vcc
	s_cbranch_execnz .LBB921_135
.LBB921_114:
	s_or_b64 exec, exec, s[2:3]
	v_cmp_gt_u32_e32 vcc, s33, v25
	s_and_saveexec_b64 s[2:3], vcc
	s_cbranch_execz .LBB921_140
.LBB921_115:
	v_cmp_ge_u32_e32 vcc, v25, v10
                                        ; implicit-def: $vgpr12_vgpr13
	s_and_saveexec_b64 s[6:7], vcc
	s_xor_b64 s[6:7], exec, s[6:7]
	s_cbranch_execz .LBB921_117
; %bb.116:
	s_waitcnt lgkmcnt(4)
	v_xor_b32_e32 v12, 0xfffffdff, v0
	v_ashrrev_i32_e32 v13, 31, v12
	v_add_co_u32_e32 v12, vcc, v17, v12
	v_addc_co_u32_e32 v13, vcc, v18, v13, vcc
                                        ; implicit-def: $vgpr25
.LBB921_117:
	s_andn2_saveexec_b64 s[6:7], s[6:7]
	s_cbranch_execz .LBB921_119
; %bb.118:
	s_waitcnt lgkmcnt(4)
	v_add_co_u32_e32 v12, vcc, v1, v25
	v_addc_co_u32_e32 v13, vcc, 0, v11, vcc
.LBB921_119:
	s_or_b64 exec, exec, s[6:7]
	s_waitcnt lgkmcnt(4)
	v_lshlrev_b64 v[12:13], 2, v[12:13]
	v_mov_b32_e32 v14, s5
	v_add_co_u32_e32 v12, vcc, s4, v12
	v_addc_co_u32_e32 v13, vcc, v14, v13, vcc
	s_waitcnt lgkmcnt(3)
	global_store_dword v[12:13], v8, off
	s_or_b64 exec, exec, s[2:3]
	v_cmp_gt_u32_e32 vcc, s33, v24
	s_and_saveexec_b64 s[2:3], vcc
	s_cbranch_execnz .LBB921_141
.LBB921_120:
	s_or_b64 exec, exec, s[2:3]
	v_cmp_gt_u32_e32 vcc, s33, v23
	s_and_saveexec_b64 s[2:3], vcc
	s_cbranch_execz .LBB921_146
.LBB921_121:
	v_cmp_ge_u32_e32 vcc, v23, v10
                                        ; implicit-def: $vgpr8_vgpr9
	s_and_saveexec_b64 s[6:7], vcc
	s_xor_b64 s[6:7], exec, s[6:7]
	s_cbranch_execz .LBB921_123
; %bb.122:
	s_waitcnt lgkmcnt(3)
	v_xor_b32_e32 v8, 0xfffffbff, v0
	v_ashrrev_i32_e32 v9, 31, v8
	v_add_co_u32_e32 v8, vcc, v17, v8
	v_addc_co_u32_e32 v9, vcc, v18, v9, vcc
                                        ; implicit-def: $vgpr23
.LBB921_123:
	s_andn2_saveexec_b64 s[6:7], s[6:7]
	s_cbranch_execz .LBB921_125
; %bb.124:
	s_waitcnt lgkmcnt(3)
	v_add_co_u32_e32 v8, vcc, v1, v23
	v_addc_co_u32_e32 v9, vcc, 0, v11, vcc
.LBB921_125:
	s_or_b64 exec, exec, s[6:7]
	s_waitcnt lgkmcnt(3)
	v_lshlrev_b64 v[8:9], 2, v[8:9]
	v_mov_b32_e32 v12, s5
	v_add_co_u32_e32 v8, vcc, s4, v8
	v_addc_co_u32_e32 v9, vcc, v12, v9, vcc
	s_waitcnt lgkmcnt(2)
	global_store_dword v[8:9], v6, off
	s_or_b64 exec, exec, s[2:3]
	v_cmp_gt_u32_e32 vcc, s33, v22
	s_and_saveexec_b64 s[2:3], vcc
	s_cbranch_execnz .LBB921_147
.LBB921_126:
	s_or_b64 exec, exec, s[2:3]
	v_cmp_gt_u32_e32 vcc, s33, v21
	s_and_saveexec_b64 s[2:3], vcc
	s_cbranch_execz .LBB921_152
.LBB921_127:
	v_cmp_ge_u32_e32 vcc, v21, v10
                                        ; implicit-def: $vgpr6_vgpr7
	s_and_saveexec_b64 s[6:7], vcc
	s_xor_b64 s[6:7], exec, s[6:7]
	s_cbranch_execz .LBB921_129
; %bb.128:
	s_waitcnt lgkmcnt(2)
	v_xor_b32_e32 v6, 0xfffff9ff, v0
	v_ashrrev_i32_e32 v7, 31, v6
	v_add_co_u32_e32 v6, vcc, v17, v6
	v_addc_co_u32_e32 v7, vcc, v18, v7, vcc
                                        ; implicit-def: $vgpr21
.LBB921_129:
	s_andn2_saveexec_b64 s[6:7], s[6:7]
	s_cbranch_execz .LBB921_131
; %bb.130:
	s_waitcnt lgkmcnt(2)
	v_add_co_u32_e32 v6, vcc, v1, v21
	v_addc_co_u32_e32 v7, vcc, 0, v11, vcc
.LBB921_131:
	s_or_b64 exec, exec, s[6:7]
	s_waitcnt lgkmcnt(2)
	v_lshlrev_b64 v[6:7], 2, v[6:7]
	v_mov_b32_e32 v8, s5
	v_add_co_u32_e32 v6, vcc, s4, v6
	v_addc_co_u32_e32 v7, vcc, v8, v7, vcc
	s_waitcnt lgkmcnt(1)
	global_store_dword v[6:7], v4, off
	s_or_b64 exec, exec, s[2:3]
	v_cmp_gt_u32_e32 vcc, s33, v20
	s_and_saveexec_b64 s[2:3], vcc
	s_cbranch_execnz .LBB921_153
.LBB921_132:
	s_or_b64 exec, exec, s[2:3]
	v_cmp_gt_u32_e32 vcc, s33, v19
	s_and_saveexec_b64 s[2:3], vcc
	s_cbranch_execnz .LBB921_158
.LBB921_133:
	s_or_b64 exec, exec, s[2:3]
	v_cmp_gt_u32_e32 vcc, s33, v16
                                        ; implicit-def: $vgpr14_vgpr15
	s_and_saveexec_b64 s[2:3], vcc
	s_cbranch_execz .LBB921_168
	s_branch .LBB921_163
.LBB921_134:
	s_or_b64 exec, exec, s[2:3]
	v_cmp_gt_u32_e32 vcc, s33, v26
	s_and_saveexec_b64 s[2:3], vcc
	s_cbranch_execz .LBB921_114
.LBB921_135:
	v_cmp_ge_u32_e32 vcc, v26, v10
                                        ; implicit-def: $vgpr14_vgpr15
	s_and_saveexec_b64 s[6:7], vcc
	s_xor_b64 s[6:7], exec, s[6:7]
	s_cbranch_execz .LBB921_137
; %bb.136:
	s_waitcnt lgkmcnt(4)
	v_xor_b32_e32 v12, 0xfffffeff, v0
	v_ashrrev_i32_e32 v15, 31, v12
	v_add_co_u32_e32 v14, vcc, v17, v12
	v_addc_co_u32_e32 v15, vcc, v18, v15, vcc
                                        ; implicit-def: $vgpr26
.LBB921_137:
	s_andn2_saveexec_b64 s[6:7], s[6:7]
; %bb.138:
	v_add_co_u32_e32 v14, vcc, v1, v26
	v_addc_co_u32_e32 v15, vcc, 0, v11, vcc
; %bb.139:
	s_or_b64 exec, exec, s[6:7]
	v_lshlrev_b64 v[14:15], 2, v[14:15]
	s_waitcnt lgkmcnt(4)
	v_mov_b32_e32 v12, s5
	v_add_co_u32_e32 v14, vcc, s4, v14
	v_addc_co_u32_e32 v15, vcc, v12, v15, vcc
	global_store_dword v[14:15], v13, off
	s_or_b64 exec, exec, s[2:3]
	v_cmp_gt_u32_e32 vcc, s33, v25
	s_and_saveexec_b64 s[2:3], vcc
	s_cbranch_execnz .LBB921_115
.LBB921_140:
	s_or_b64 exec, exec, s[2:3]
	v_cmp_gt_u32_e32 vcc, s33, v24
	s_and_saveexec_b64 s[2:3], vcc
	s_cbranch_execz .LBB921_120
.LBB921_141:
	v_cmp_ge_u32_e32 vcc, v24, v10
                                        ; implicit-def: $vgpr12_vgpr13
	s_and_saveexec_b64 s[6:7], vcc
	s_xor_b64 s[6:7], exec, s[6:7]
	s_cbranch_execz .LBB921_143
; %bb.142:
	s_waitcnt lgkmcnt(3)
	v_xor_b32_e32 v8, 0xfffffcff, v0
	v_ashrrev_i32_e32 v13, 31, v8
	v_add_co_u32_e32 v12, vcc, v17, v8
	v_addc_co_u32_e32 v13, vcc, v18, v13, vcc
                                        ; implicit-def: $vgpr24
.LBB921_143:
	s_andn2_saveexec_b64 s[6:7], s[6:7]
	s_cbranch_execz .LBB921_145
; %bb.144:
	s_waitcnt lgkmcnt(4)
	v_add_co_u32_e32 v12, vcc, v1, v24
	v_addc_co_u32_e32 v13, vcc, 0, v11, vcc
.LBB921_145:
	s_or_b64 exec, exec, s[6:7]
	s_waitcnt lgkmcnt(4)
	v_lshlrev_b64 v[12:13], 2, v[12:13]
	s_waitcnt lgkmcnt(3)
	v_mov_b32_e32 v8, s5
	v_add_co_u32_e32 v12, vcc, s4, v12
	v_addc_co_u32_e32 v13, vcc, v8, v13, vcc
	global_store_dword v[12:13], v9, off
	s_or_b64 exec, exec, s[2:3]
	v_cmp_gt_u32_e32 vcc, s33, v23
	s_and_saveexec_b64 s[2:3], vcc
	s_cbranch_execnz .LBB921_121
.LBB921_146:
	s_or_b64 exec, exec, s[2:3]
	v_cmp_gt_u32_e32 vcc, s33, v22
	s_and_saveexec_b64 s[2:3], vcc
	s_cbranch_execz .LBB921_126
.LBB921_147:
	v_cmp_ge_u32_e32 vcc, v22, v10
                                        ; implicit-def: $vgpr8_vgpr9
	s_and_saveexec_b64 s[6:7], vcc
	s_xor_b64 s[6:7], exec, s[6:7]
	s_cbranch_execz .LBB921_149
; %bb.148:
	s_waitcnt lgkmcnt(2)
	v_xor_b32_e32 v6, 0xfffffaff, v0
	v_ashrrev_i32_e32 v9, 31, v6
	v_add_co_u32_e32 v8, vcc, v17, v6
	v_addc_co_u32_e32 v9, vcc, v18, v9, vcc
                                        ; implicit-def: $vgpr22
.LBB921_149:
	s_andn2_saveexec_b64 s[6:7], s[6:7]
	s_cbranch_execz .LBB921_151
; %bb.150:
	s_waitcnt lgkmcnt(3)
	v_add_co_u32_e32 v8, vcc, v1, v22
	v_addc_co_u32_e32 v9, vcc, 0, v11, vcc
.LBB921_151:
	s_or_b64 exec, exec, s[6:7]
	s_waitcnt lgkmcnt(3)
	v_lshlrev_b64 v[8:9], 2, v[8:9]
	s_waitcnt lgkmcnt(2)
	v_mov_b32_e32 v6, s5
	v_add_co_u32_e32 v8, vcc, s4, v8
	v_addc_co_u32_e32 v9, vcc, v6, v9, vcc
	global_store_dword v[8:9], v7, off
	s_or_b64 exec, exec, s[2:3]
	v_cmp_gt_u32_e32 vcc, s33, v21
	s_and_saveexec_b64 s[2:3], vcc
	s_cbranch_execnz .LBB921_127
.LBB921_152:
	s_or_b64 exec, exec, s[2:3]
	v_cmp_gt_u32_e32 vcc, s33, v20
	s_and_saveexec_b64 s[2:3], vcc
	s_cbranch_execz .LBB921_132
.LBB921_153:
	v_cmp_ge_u32_e32 vcc, v20, v10
                                        ; implicit-def: $vgpr6_vgpr7
	s_and_saveexec_b64 s[6:7], vcc
	s_xor_b64 s[6:7], exec, s[6:7]
	s_cbranch_execz .LBB921_155
; %bb.154:
	s_waitcnt lgkmcnt(1)
	v_xor_b32_e32 v4, 0xfffff8ff, v0
	v_ashrrev_i32_e32 v7, 31, v4
	v_add_co_u32_e32 v6, vcc, v17, v4
	v_addc_co_u32_e32 v7, vcc, v18, v7, vcc
                                        ; implicit-def: $vgpr20
.LBB921_155:
	s_andn2_saveexec_b64 s[6:7], s[6:7]
	s_cbranch_execz .LBB921_157
; %bb.156:
	s_waitcnt lgkmcnt(2)
	v_add_co_u32_e32 v6, vcc, v1, v20
	v_addc_co_u32_e32 v7, vcc, 0, v11, vcc
.LBB921_157:
	s_or_b64 exec, exec, s[6:7]
	s_waitcnt lgkmcnt(2)
	v_lshlrev_b64 v[6:7], 2, v[6:7]
	s_waitcnt lgkmcnt(1)
	v_mov_b32_e32 v4, s5
	v_add_co_u32_e32 v6, vcc, s4, v6
	v_addc_co_u32_e32 v7, vcc, v4, v7, vcc
	global_store_dword v[6:7], v5, off
	s_or_b64 exec, exec, s[2:3]
	v_cmp_gt_u32_e32 vcc, s33, v19
	s_and_saveexec_b64 s[2:3], vcc
	s_cbranch_execz .LBB921_133
.LBB921_158:
	v_cmp_ge_u32_e32 vcc, v19, v10
                                        ; implicit-def: $vgpr4_vgpr5
	s_and_saveexec_b64 s[6:7], vcc
	s_xor_b64 s[6:7], exec, s[6:7]
	s_cbranch_execz .LBB921_160
; %bb.159:
	s_waitcnt lgkmcnt(1)
	v_xor_b32_e32 v4, 0xfffff7ff, v0
	v_ashrrev_i32_e32 v5, 31, v4
	v_add_co_u32_e32 v4, vcc, v17, v4
	v_addc_co_u32_e32 v5, vcc, v18, v5, vcc
                                        ; implicit-def: $vgpr19
.LBB921_160:
	s_andn2_saveexec_b64 s[6:7], s[6:7]
	s_cbranch_execz .LBB921_162
; %bb.161:
	s_waitcnt lgkmcnt(1)
	v_add_co_u32_e32 v4, vcc, v1, v19
	v_addc_co_u32_e32 v5, vcc, 0, v11, vcc
.LBB921_162:
	s_or_b64 exec, exec, s[6:7]
	s_waitcnt lgkmcnt(1)
	v_lshlrev_b64 v[4:5], 2, v[4:5]
	v_mov_b32_e32 v6, s5
	v_add_co_u32_e32 v4, vcc, s4, v4
	v_addc_co_u32_e32 v5, vcc, v6, v5, vcc
	s_waitcnt lgkmcnt(0)
	global_store_dword v[4:5], v2, off
	s_or_b64 exec, exec, s[2:3]
	v_cmp_gt_u32_e32 vcc, s33, v16
                                        ; implicit-def: $vgpr14_vgpr15
	s_and_saveexec_b64 s[2:3], vcc
	s_cbranch_execz .LBB921_168
.LBB921_163:
	v_cmp_ge_u32_e32 vcc, v16, v10
                                        ; implicit-def: $vgpr14_vgpr15
	s_and_saveexec_b64 s[6:7], vcc
	s_xor_b64 s[6:7], exec, s[6:7]
	s_cbranch_execz .LBB921_165
; %bb.164:
	s_waitcnt lgkmcnt(0)
	v_xor_b32_e32 v2, 0xfffff6ff, v0
	v_ashrrev_i32_e32 v4, 31, v2
	v_add_co_u32_e32 v14, vcc, v17, v2
	v_addc_co_u32_e32 v15, vcc, v18, v4, vcc
                                        ; implicit-def: $vgpr16
.LBB921_165:
	s_andn2_saveexec_b64 s[6:7], s[6:7]
; %bb.166:
	v_add_co_u32_e32 v14, vcc, v1, v16
	v_addc_co_u32_e32 v15, vcc, 0, v11, vcc
; %bb.167:
	s_or_b64 exec, exec, s[6:7]
	s_or_b64 s[0:1], s[0:1], exec
.LBB921_168:
	s_or_b64 exec, exec, s[2:3]
.LBB921_169:
	s_and_saveexec_b64 s[2:3], s[0:1]
	s_cbranch_execz .LBB921_171
; %bb.170:
	s_waitcnt lgkmcnt(1)
	v_lshlrev_b64 v[4:5], 2, v[14:15]
	s_waitcnt lgkmcnt(0)
	v_mov_b32_e32 v2, s5
	v_add_co_u32_e32 v4, vcc, s4, v4
	v_addc_co_u32_e32 v5, vcc, v2, v5, vcc
	global_store_dword v[4:5], v3, off
.LBB921_171:
	s_or_b64 exec, exec, s[2:3]
	v_cmp_eq_u32_e32 vcc, 0, v0
	s_and_b64 s[0:1], vcc, s[26:27]
	s_and_saveexec_b64 s[2:3], s[0:1]
	s_cbranch_execz .LBB921_173
; %bb.172:
	v_add_co_u32_e32 v0, vcc, v1, v10
	s_waitcnt lgkmcnt(0)
	v_mov_b32_e32 v2, 0
	v_addc_co_u32_e32 v1, vcc, 0, v11, vcc
	global_store_dwordx2 v2, v[0:1], s[24:25]
.LBB921_173:
	s_endpgm
	.section	.rodata,"a",@progbits
	.p2align	6, 0x0
	.amdhsa_kernel _ZN7rocprim17ROCPRIM_400000_NS6detail17trampoline_kernelINS0_14default_configENS1_25partition_config_selectorILNS1_17partition_subalgoE3EjNS0_10empty_typeEbEEZZNS1_14partition_implILS5_3ELb0ES3_jN6thrust23THRUST_200600_302600_NS6detail15normal_iteratorINSA_7pointerIjNSA_11hip_rocprim3tagENSA_11use_defaultESG_EEEEPS6_SJ_NS0_5tupleIJPjSJ_EEENSK_IJSJ_SJ_EEES6_PlJ7is_evenIjEEEE10hipError_tPvRmT3_T4_T5_T6_T7_T9_mT8_P12ihipStream_tbDpT10_ENKUlT_T0_E_clISt17integral_constantIbLb0EES1A_EEDaS15_S16_EUlS15_E_NS1_11comp_targetILNS1_3genE4ELNS1_11target_archE910ELNS1_3gpuE8ELNS1_3repE0EEENS1_30default_config_static_selectorELNS0_4arch9wavefront6targetE1EEEvT1_
		.amdhsa_group_segment_fixed_size 10248
		.amdhsa_private_segment_fixed_size 0
		.amdhsa_kernarg_size 120
		.amdhsa_user_sgpr_count 6
		.amdhsa_user_sgpr_private_segment_buffer 1
		.amdhsa_user_sgpr_dispatch_ptr 0
		.amdhsa_user_sgpr_queue_ptr 0
		.amdhsa_user_sgpr_kernarg_segment_ptr 1
		.amdhsa_user_sgpr_dispatch_id 0
		.amdhsa_user_sgpr_flat_scratch_init 0
		.amdhsa_user_sgpr_kernarg_preload_length 0
		.amdhsa_user_sgpr_kernarg_preload_offset 0
		.amdhsa_user_sgpr_private_segment_size 0
		.amdhsa_uses_dynamic_stack 0
		.amdhsa_system_sgpr_private_segment_wavefront_offset 0
		.amdhsa_system_sgpr_workgroup_id_x 1
		.amdhsa_system_sgpr_workgroup_id_y 0
		.amdhsa_system_sgpr_workgroup_id_z 0
		.amdhsa_system_sgpr_workgroup_info 0
		.amdhsa_system_vgpr_workitem_id 0
		.amdhsa_next_free_vgpr 54
		.amdhsa_next_free_sgpr 46
		.amdhsa_accum_offset 56
		.amdhsa_reserve_vcc 1
		.amdhsa_reserve_flat_scratch 0
		.amdhsa_float_round_mode_32 0
		.amdhsa_float_round_mode_16_64 0
		.amdhsa_float_denorm_mode_32 3
		.amdhsa_float_denorm_mode_16_64 3
		.amdhsa_dx10_clamp 1
		.amdhsa_ieee_mode 1
		.amdhsa_fp16_overflow 0
		.amdhsa_tg_split 0
		.amdhsa_exception_fp_ieee_invalid_op 0
		.amdhsa_exception_fp_denorm_src 0
		.amdhsa_exception_fp_ieee_div_zero 0
		.amdhsa_exception_fp_ieee_overflow 0
		.amdhsa_exception_fp_ieee_underflow 0
		.amdhsa_exception_fp_ieee_inexact 0
		.amdhsa_exception_int_div_zero 0
	.end_amdhsa_kernel
	.section	.text._ZN7rocprim17ROCPRIM_400000_NS6detail17trampoline_kernelINS0_14default_configENS1_25partition_config_selectorILNS1_17partition_subalgoE3EjNS0_10empty_typeEbEEZZNS1_14partition_implILS5_3ELb0ES3_jN6thrust23THRUST_200600_302600_NS6detail15normal_iteratorINSA_7pointerIjNSA_11hip_rocprim3tagENSA_11use_defaultESG_EEEEPS6_SJ_NS0_5tupleIJPjSJ_EEENSK_IJSJ_SJ_EEES6_PlJ7is_evenIjEEEE10hipError_tPvRmT3_T4_T5_T6_T7_T9_mT8_P12ihipStream_tbDpT10_ENKUlT_T0_E_clISt17integral_constantIbLb0EES1A_EEDaS15_S16_EUlS15_E_NS1_11comp_targetILNS1_3genE4ELNS1_11target_archE910ELNS1_3gpuE8ELNS1_3repE0EEENS1_30default_config_static_selectorELNS0_4arch9wavefront6targetE1EEEvT1_,"axG",@progbits,_ZN7rocprim17ROCPRIM_400000_NS6detail17trampoline_kernelINS0_14default_configENS1_25partition_config_selectorILNS1_17partition_subalgoE3EjNS0_10empty_typeEbEEZZNS1_14partition_implILS5_3ELb0ES3_jN6thrust23THRUST_200600_302600_NS6detail15normal_iteratorINSA_7pointerIjNSA_11hip_rocprim3tagENSA_11use_defaultESG_EEEEPS6_SJ_NS0_5tupleIJPjSJ_EEENSK_IJSJ_SJ_EEES6_PlJ7is_evenIjEEEE10hipError_tPvRmT3_T4_T5_T6_T7_T9_mT8_P12ihipStream_tbDpT10_ENKUlT_T0_E_clISt17integral_constantIbLb0EES1A_EEDaS15_S16_EUlS15_E_NS1_11comp_targetILNS1_3genE4ELNS1_11target_archE910ELNS1_3gpuE8ELNS1_3repE0EEENS1_30default_config_static_selectorELNS0_4arch9wavefront6targetE1EEEvT1_,comdat
.Lfunc_end921:
	.size	_ZN7rocprim17ROCPRIM_400000_NS6detail17trampoline_kernelINS0_14default_configENS1_25partition_config_selectorILNS1_17partition_subalgoE3EjNS0_10empty_typeEbEEZZNS1_14partition_implILS5_3ELb0ES3_jN6thrust23THRUST_200600_302600_NS6detail15normal_iteratorINSA_7pointerIjNSA_11hip_rocprim3tagENSA_11use_defaultESG_EEEEPS6_SJ_NS0_5tupleIJPjSJ_EEENSK_IJSJ_SJ_EEES6_PlJ7is_evenIjEEEE10hipError_tPvRmT3_T4_T5_T6_T7_T9_mT8_P12ihipStream_tbDpT10_ENKUlT_T0_E_clISt17integral_constantIbLb0EES1A_EEDaS15_S16_EUlS15_E_NS1_11comp_targetILNS1_3genE4ELNS1_11target_archE910ELNS1_3gpuE8ELNS1_3repE0EEENS1_30default_config_static_selectorELNS0_4arch9wavefront6targetE1EEEvT1_, .Lfunc_end921-_ZN7rocprim17ROCPRIM_400000_NS6detail17trampoline_kernelINS0_14default_configENS1_25partition_config_selectorILNS1_17partition_subalgoE3EjNS0_10empty_typeEbEEZZNS1_14partition_implILS5_3ELb0ES3_jN6thrust23THRUST_200600_302600_NS6detail15normal_iteratorINSA_7pointerIjNSA_11hip_rocprim3tagENSA_11use_defaultESG_EEEEPS6_SJ_NS0_5tupleIJPjSJ_EEENSK_IJSJ_SJ_EEES6_PlJ7is_evenIjEEEE10hipError_tPvRmT3_T4_T5_T6_T7_T9_mT8_P12ihipStream_tbDpT10_ENKUlT_T0_E_clISt17integral_constantIbLb0EES1A_EEDaS15_S16_EUlS15_E_NS1_11comp_targetILNS1_3genE4ELNS1_11target_archE910ELNS1_3gpuE8ELNS1_3repE0EEENS1_30default_config_static_selectorELNS0_4arch9wavefront6targetE1EEEvT1_
                                        ; -- End function
	.section	.AMDGPU.csdata,"",@progbits
; Kernel info:
; codeLenInByte = 6108
; NumSgprs: 50
; NumVgprs: 54
; NumAgprs: 0
; TotalNumVgprs: 54
; ScratchSize: 0
; MemoryBound: 0
; FloatMode: 240
; IeeeMode: 1
; LDSByteSize: 10248 bytes/workgroup (compile time only)
; SGPRBlocks: 6
; VGPRBlocks: 6
; NumSGPRsForWavesPerEU: 50
; NumVGPRsForWavesPerEU: 54
; AccumOffset: 56
; Occupancy: 6
; WaveLimiterHint : 1
; COMPUTE_PGM_RSRC2:SCRATCH_EN: 0
; COMPUTE_PGM_RSRC2:USER_SGPR: 6
; COMPUTE_PGM_RSRC2:TRAP_HANDLER: 0
; COMPUTE_PGM_RSRC2:TGID_X_EN: 1
; COMPUTE_PGM_RSRC2:TGID_Y_EN: 0
; COMPUTE_PGM_RSRC2:TGID_Z_EN: 0
; COMPUTE_PGM_RSRC2:TIDIG_COMP_CNT: 0
; COMPUTE_PGM_RSRC3_GFX90A:ACCUM_OFFSET: 13
; COMPUTE_PGM_RSRC3_GFX90A:TG_SPLIT: 0
	.section	.text._ZN7rocprim17ROCPRIM_400000_NS6detail17trampoline_kernelINS0_14default_configENS1_25partition_config_selectorILNS1_17partition_subalgoE3EjNS0_10empty_typeEbEEZZNS1_14partition_implILS5_3ELb0ES3_jN6thrust23THRUST_200600_302600_NS6detail15normal_iteratorINSA_7pointerIjNSA_11hip_rocprim3tagENSA_11use_defaultESG_EEEEPS6_SJ_NS0_5tupleIJPjSJ_EEENSK_IJSJ_SJ_EEES6_PlJ7is_evenIjEEEE10hipError_tPvRmT3_T4_T5_T6_T7_T9_mT8_P12ihipStream_tbDpT10_ENKUlT_T0_E_clISt17integral_constantIbLb0EES1A_EEDaS15_S16_EUlS15_E_NS1_11comp_targetILNS1_3genE3ELNS1_11target_archE908ELNS1_3gpuE7ELNS1_3repE0EEENS1_30default_config_static_selectorELNS0_4arch9wavefront6targetE1EEEvT1_,"axG",@progbits,_ZN7rocprim17ROCPRIM_400000_NS6detail17trampoline_kernelINS0_14default_configENS1_25partition_config_selectorILNS1_17partition_subalgoE3EjNS0_10empty_typeEbEEZZNS1_14partition_implILS5_3ELb0ES3_jN6thrust23THRUST_200600_302600_NS6detail15normal_iteratorINSA_7pointerIjNSA_11hip_rocprim3tagENSA_11use_defaultESG_EEEEPS6_SJ_NS0_5tupleIJPjSJ_EEENSK_IJSJ_SJ_EEES6_PlJ7is_evenIjEEEE10hipError_tPvRmT3_T4_T5_T6_T7_T9_mT8_P12ihipStream_tbDpT10_ENKUlT_T0_E_clISt17integral_constantIbLb0EES1A_EEDaS15_S16_EUlS15_E_NS1_11comp_targetILNS1_3genE3ELNS1_11target_archE908ELNS1_3gpuE7ELNS1_3repE0EEENS1_30default_config_static_selectorELNS0_4arch9wavefront6targetE1EEEvT1_,comdat
	.protected	_ZN7rocprim17ROCPRIM_400000_NS6detail17trampoline_kernelINS0_14default_configENS1_25partition_config_selectorILNS1_17partition_subalgoE3EjNS0_10empty_typeEbEEZZNS1_14partition_implILS5_3ELb0ES3_jN6thrust23THRUST_200600_302600_NS6detail15normal_iteratorINSA_7pointerIjNSA_11hip_rocprim3tagENSA_11use_defaultESG_EEEEPS6_SJ_NS0_5tupleIJPjSJ_EEENSK_IJSJ_SJ_EEES6_PlJ7is_evenIjEEEE10hipError_tPvRmT3_T4_T5_T6_T7_T9_mT8_P12ihipStream_tbDpT10_ENKUlT_T0_E_clISt17integral_constantIbLb0EES1A_EEDaS15_S16_EUlS15_E_NS1_11comp_targetILNS1_3genE3ELNS1_11target_archE908ELNS1_3gpuE7ELNS1_3repE0EEENS1_30default_config_static_selectorELNS0_4arch9wavefront6targetE1EEEvT1_ ; -- Begin function _ZN7rocprim17ROCPRIM_400000_NS6detail17trampoline_kernelINS0_14default_configENS1_25partition_config_selectorILNS1_17partition_subalgoE3EjNS0_10empty_typeEbEEZZNS1_14partition_implILS5_3ELb0ES3_jN6thrust23THRUST_200600_302600_NS6detail15normal_iteratorINSA_7pointerIjNSA_11hip_rocprim3tagENSA_11use_defaultESG_EEEEPS6_SJ_NS0_5tupleIJPjSJ_EEENSK_IJSJ_SJ_EEES6_PlJ7is_evenIjEEEE10hipError_tPvRmT3_T4_T5_T6_T7_T9_mT8_P12ihipStream_tbDpT10_ENKUlT_T0_E_clISt17integral_constantIbLb0EES1A_EEDaS15_S16_EUlS15_E_NS1_11comp_targetILNS1_3genE3ELNS1_11target_archE908ELNS1_3gpuE7ELNS1_3repE0EEENS1_30default_config_static_selectorELNS0_4arch9wavefront6targetE1EEEvT1_
	.globl	_ZN7rocprim17ROCPRIM_400000_NS6detail17trampoline_kernelINS0_14default_configENS1_25partition_config_selectorILNS1_17partition_subalgoE3EjNS0_10empty_typeEbEEZZNS1_14partition_implILS5_3ELb0ES3_jN6thrust23THRUST_200600_302600_NS6detail15normal_iteratorINSA_7pointerIjNSA_11hip_rocprim3tagENSA_11use_defaultESG_EEEEPS6_SJ_NS0_5tupleIJPjSJ_EEENSK_IJSJ_SJ_EEES6_PlJ7is_evenIjEEEE10hipError_tPvRmT3_T4_T5_T6_T7_T9_mT8_P12ihipStream_tbDpT10_ENKUlT_T0_E_clISt17integral_constantIbLb0EES1A_EEDaS15_S16_EUlS15_E_NS1_11comp_targetILNS1_3genE3ELNS1_11target_archE908ELNS1_3gpuE7ELNS1_3repE0EEENS1_30default_config_static_selectorELNS0_4arch9wavefront6targetE1EEEvT1_
	.p2align	8
	.type	_ZN7rocprim17ROCPRIM_400000_NS6detail17trampoline_kernelINS0_14default_configENS1_25partition_config_selectorILNS1_17partition_subalgoE3EjNS0_10empty_typeEbEEZZNS1_14partition_implILS5_3ELb0ES3_jN6thrust23THRUST_200600_302600_NS6detail15normal_iteratorINSA_7pointerIjNSA_11hip_rocprim3tagENSA_11use_defaultESG_EEEEPS6_SJ_NS0_5tupleIJPjSJ_EEENSK_IJSJ_SJ_EEES6_PlJ7is_evenIjEEEE10hipError_tPvRmT3_T4_T5_T6_T7_T9_mT8_P12ihipStream_tbDpT10_ENKUlT_T0_E_clISt17integral_constantIbLb0EES1A_EEDaS15_S16_EUlS15_E_NS1_11comp_targetILNS1_3genE3ELNS1_11target_archE908ELNS1_3gpuE7ELNS1_3repE0EEENS1_30default_config_static_selectorELNS0_4arch9wavefront6targetE1EEEvT1_,@function
_ZN7rocprim17ROCPRIM_400000_NS6detail17trampoline_kernelINS0_14default_configENS1_25partition_config_selectorILNS1_17partition_subalgoE3EjNS0_10empty_typeEbEEZZNS1_14partition_implILS5_3ELb0ES3_jN6thrust23THRUST_200600_302600_NS6detail15normal_iteratorINSA_7pointerIjNSA_11hip_rocprim3tagENSA_11use_defaultESG_EEEEPS6_SJ_NS0_5tupleIJPjSJ_EEENSK_IJSJ_SJ_EEES6_PlJ7is_evenIjEEEE10hipError_tPvRmT3_T4_T5_T6_T7_T9_mT8_P12ihipStream_tbDpT10_ENKUlT_T0_E_clISt17integral_constantIbLb0EES1A_EEDaS15_S16_EUlS15_E_NS1_11comp_targetILNS1_3genE3ELNS1_11target_archE908ELNS1_3gpuE7ELNS1_3repE0EEENS1_30default_config_static_selectorELNS0_4arch9wavefront6targetE1EEEvT1_: ; @_ZN7rocprim17ROCPRIM_400000_NS6detail17trampoline_kernelINS0_14default_configENS1_25partition_config_selectorILNS1_17partition_subalgoE3EjNS0_10empty_typeEbEEZZNS1_14partition_implILS5_3ELb0ES3_jN6thrust23THRUST_200600_302600_NS6detail15normal_iteratorINSA_7pointerIjNSA_11hip_rocprim3tagENSA_11use_defaultESG_EEEEPS6_SJ_NS0_5tupleIJPjSJ_EEENSK_IJSJ_SJ_EEES6_PlJ7is_evenIjEEEE10hipError_tPvRmT3_T4_T5_T6_T7_T9_mT8_P12ihipStream_tbDpT10_ENKUlT_T0_E_clISt17integral_constantIbLb0EES1A_EEDaS15_S16_EUlS15_E_NS1_11comp_targetILNS1_3genE3ELNS1_11target_archE908ELNS1_3gpuE7ELNS1_3repE0EEENS1_30default_config_static_selectorELNS0_4arch9wavefront6targetE1EEEvT1_
; %bb.0:
	.section	.rodata,"a",@progbits
	.p2align	6, 0x0
	.amdhsa_kernel _ZN7rocprim17ROCPRIM_400000_NS6detail17trampoline_kernelINS0_14default_configENS1_25partition_config_selectorILNS1_17partition_subalgoE3EjNS0_10empty_typeEbEEZZNS1_14partition_implILS5_3ELb0ES3_jN6thrust23THRUST_200600_302600_NS6detail15normal_iteratorINSA_7pointerIjNSA_11hip_rocprim3tagENSA_11use_defaultESG_EEEEPS6_SJ_NS0_5tupleIJPjSJ_EEENSK_IJSJ_SJ_EEES6_PlJ7is_evenIjEEEE10hipError_tPvRmT3_T4_T5_T6_T7_T9_mT8_P12ihipStream_tbDpT10_ENKUlT_T0_E_clISt17integral_constantIbLb0EES1A_EEDaS15_S16_EUlS15_E_NS1_11comp_targetILNS1_3genE3ELNS1_11target_archE908ELNS1_3gpuE7ELNS1_3repE0EEENS1_30default_config_static_selectorELNS0_4arch9wavefront6targetE1EEEvT1_
		.amdhsa_group_segment_fixed_size 0
		.amdhsa_private_segment_fixed_size 0
		.amdhsa_kernarg_size 120
		.amdhsa_user_sgpr_count 6
		.amdhsa_user_sgpr_private_segment_buffer 1
		.amdhsa_user_sgpr_dispatch_ptr 0
		.amdhsa_user_sgpr_queue_ptr 0
		.amdhsa_user_sgpr_kernarg_segment_ptr 1
		.amdhsa_user_sgpr_dispatch_id 0
		.amdhsa_user_sgpr_flat_scratch_init 0
		.amdhsa_user_sgpr_kernarg_preload_length 0
		.amdhsa_user_sgpr_kernarg_preload_offset 0
		.amdhsa_user_sgpr_private_segment_size 0
		.amdhsa_uses_dynamic_stack 0
		.amdhsa_system_sgpr_private_segment_wavefront_offset 0
		.amdhsa_system_sgpr_workgroup_id_x 1
		.amdhsa_system_sgpr_workgroup_id_y 0
		.amdhsa_system_sgpr_workgroup_id_z 0
		.amdhsa_system_sgpr_workgroup_info 0
		.amdhsa_system_vgpr_workitem_id 0
		.amdhsa_next_free_vgpr 1
		.amdhsa_next_free_sgpr 0
		.amdhsa_accum_offset 4
		.amdhsa_reserve_vcc 0
		.amdhsa_reserve_flat_scratch 0
		.amdhsa_float_round_mode_32 0
		.amdhsa_float_round_mode_16_64 0
		.amdhsa_float_denorm_mode_32 3
		.amdhsa_float_denorm_mode_16_64 3
		.amdhsa_dx10_clamp 1
		.amdhsa_ieee_mode 1
		.amdhsa_fp16_overflow 0
		.amdhsa_tg_split 0
		.amdhsa_exception_fp_ieee_invalid_op 0
		.amdhsa_exception_fp_denorm_src 0
		.amdhsa_exception_fp_ieee_div_zero 0
		.amdhsa_exception_fp_ieee_overflow 0
		.amdhsa_exception_fp_ieee_underflow 0
		.amdhsa_exception_fp_ieee_inexact 0
		.amdhsa_exception_int_div_zero 0
	.end_amdhsa_kernel
	.section	.text._ZN7rocprim17ROCPRIM_400000_NS6detail17trampoline_kernelINS0_14default_configENS1_25partition_config_selectorILNS1_17partition_subalgoE3EjNS0_10empty_typeEbEEZZNS1_14partition_implILS5_3ELb0ES3_jN6thrust23THRUST_200600_302600_NS6detail15normal_iteratorINSA_7pointerIjNSA_11hip_rocprim3tagENSA_11use_defaultESG_EEEEPS6_SJ_NS0_5tupleIJPjSJ_EEENSK_IJSJ_SJ_EEES6_PlJ7is_evenIjEEEE10hipError_tPvRmT3_T4_T5_T6_T7_T9_mT8_P12ihipStream_tbDpT10_ENKUlT_T0_E_clISt17integral_constantIbLb0EES1A_EEDaS15_S16_EUlS15_E_NS1_11comp_targetILNS1_3genE3ELNS1_11target_archE908ELNS1_3gpuE7ELNS1_3repE0EEENS1_30default_config_static_selectorELNS0_4arch9wavefront6targetE1EEEvT1_,"axG",@progbits,_ZN7rocprim17ROCPRIM_400000_NS6detail17trampoline_kernelINS0_14default_configENS1_25partition_config_selectorILNS1_17partition_subalgoE3EjNS0_10empty_typeEbEEZZNS1_14partition_implILS5_3ELb0ES3_jN6thrust23THRUST_200600_302600_NS6detail15normal_iteratorINSA_7pointerIjNSA_11hip_rocprim3tagENSA_11use_defaultESG_EEEEPS6_SJ_NS0_5tupleIJPjSJ_EEENSK_IJSJ_SJ_EEES6_PlJ7is_evenIjEEEE10hipError_tPvRmT3_T4_T5_T6_T7_T9_mT8_P12ihipStream_tbDpT10_ENKUlT_T0_E_clISt17integral_constantIbLb0EES1A_EEDaS15_S16_EUlS15_E_NS1_11comp_targetILNS1_3genE3ELNS1_11target_archE908ELNS1_3gpuE7ELNS1_3repE0EEENS1_30default_config_static_selectorELNS0_4arch9wavefront6targetE1EEEvT1_,comdat
.Lfunc_end922:
	.size	_ZN7rocprim17ROCPRIM_400000_NS6detail17trampoline_kernelINS0_14default_configENS1_25partition_config_selectorILNS1_17partition_subalgoE3EjNS0_10empty_typeEbEEZZNS1_14partition_implILS5_3ELb0ES3_jN6thrust23THRUST_200600_302600_NS6detail15normal_iteratorINSA_7pointerIjNSA_11hip_rocprim3tagENSA_11use_defaultESG_EEEEPS6_SJ_NS0_5tupleIJPjSJ_EEENSK_IJSJ_SJ_EEES6_PlJ7is_evenIjEEEE10hipError_tPvRmT3_T4_T5_T6_T7_T9_mT8_P12ihipStream_tbDpT10_ENKUlT_T0_E_clISt17integral_constantIbLb0EES1A_EEDaS15_S16_EUlS15_E_NS1_11comp_targetILNS1_3genE3ELNS1_11target_archE908ELNS1_3gpuE7ELNS1_3repE0EEENS1_30default_config_static_selectorELNS0_4arch9wavefront6targetE1EEEvT1_, .Lfunc_end922-_ZN7rocprim17ROCPRIM_400000_NS6detail17trampoline_kernelINS0_14default_configENS1_25partition_config_selectorILNS1_17partition_subalgoE3EjNS0_10empty_typeEbEEZZNS1_14partition_implILS5_3ELb0ES3_jN6thrust23THRUST_200600_302600_NS6detail15normal_iteratorINSA_7pointerIjNSA_11hip_rocprim3tagENSA_11use_defaultESG_EEEEPS6_SJ_NS0_5tupleIJPjSJ_EEENSK_IJSJ_SJ_EEES6_PlJ7is_evenIjEEEE10hipError_tPvRmT3_T4_T5_T6_T7_T9_mT8_P12ihipStream_tbDpT10_ENKUlT_T0_E_clISt17integral_constantIbLb0EES1A_EEDaS15_S16_EUlS15_E_NS1_11comp_targetILNS1_3genE3ELNS1_11target_archE908ELNS1_3gpuE7ELNS1_3repE0EEENS1_30default_config_static_selectorELNS0_4arch9wavefront6targetE1EEEvT1_
                                        ; -- End function
	.section	.AMDGPU.csdata,"",@progbits
; Kernel info:
; codeLenInByte = 0
; NumSgprs: 4
; NumVgprs: 0
; NumAgprs: 0
; TotalNumVgprs: 0
; ScratchSize: 0
; MemoryBound: 0
; FloatMode: 240
; IeeeMode: 1
; LDSByteSize: 0 bytes/workgroup (compile time only)
; SGPRBlocks: 0
; VGPRBlocks: 0
; NumSGPRsForWavesPerEU: 4
; NumVGPRsForWavesPerEU: 1
; AccumOffset: 4
; Occupancy: 8
; WaveLimiterHint : 0
; COMPUTE_PGM_RSRC2:SCRATCH_EN: 0
; COMPUTE_PGM_RSRC2:USER_SGPR: 6
; COMPUTE_PGM_RSRC2:TRAP_HANDLER: 0
; COMPUTE_PGM_RSRC2:TGID_X_EN: 1
; COMPUTE_PGM_RSRC2:TGID_Y_EN: 0
; COMPUTE_PGM_RSRC2:TGID_Z_EN: 0
; COMPUTE_PGM_RSRC2:TIDIG_COMP_CNT: 0
; COMPUTE_PGM_RSRC3_GFX90A:ACCUM_OFFSET: 0
; COMPUTE_PGM_RSRC3_GFX90A:TG_SPLIT: 0
	.section	.text._ZN7rocprim17ROCPRIM_400000_NS6detail17trampoline_kernelINS0_14default_configENS1_25partition_config_selectorILNS1_17partition_subalgoE3EjNS0_10empty_typeEbEEZZNS1_14partition_implILS5_3ELb0ES3_jN6thrust23THRUST_200600_302600_NS6detail15normal_iteratorINSA_7pointerIjNSA_11hip_rocprim3tagENSA_11use_defaultESG_EEEEPS6_SJ_NS0_5tupleIJPjSJ_EEENSK_IJSJ_SJ_EEES6_PlJ7is_evenIjEEEE10hipError_tPvRmT3_T4_T5_T6_T7_T9_mT8_P12ihipStream_tbDpT10_ENKUlT_T0_E_clISt17integral_constantIbLb0EES1A_EEDaS15_S16_EUlS15_E_NS1_11comp_targetILNS1_3genE2ELNS1_11target_archE906ELNS1_3gpuE6ELNS1_3repE0EEENS1_30default_config_static_selectorELNS0_4arch9wavefront6targetE1EEEvT1_,"axG",@progbits,_ZN7rocprim17ROCPRIM_400000_NS6detail17trampoline_kernelINS0_14default_configENS1_25partition_config_selectorILNS1_17partition_subalgoE3EjNS0_10empty_typeEbEEZZNS1_14partition_implILS5_3ELb0ES3_jN6thrust23THRUST_200600_302600_NS6detail15normal_iteratorINSA_7pointerIjNSA_11hip_rocprim3tagENSA_11use_defaultESG_EEEEPS6_SJ_NS0_5tupleIJPjSJ_EEENSK_IJSJ_SJ_EEES6_PlJ7is_evenIjEEEE10hipError_tPvRmT3_T4_T5_T6_T7_T9_mT8_P12ihipStream_tbDpT10_ENKUlT_T0_E_clISt17integral_constantIbLb0EES1A_EEDaS15_S16_EUlS15_E_NS1_11comp_targetILNS1_3genE2ELNS1_11target_archE906ELNS1_3gpuE6ELNS1_3repE0EEENS1_30default_config_static_selectorELNS0_4arch9wavefront6targetE1EEEvT1_,comdat
	.protected	_ZN7rocprim17ROCPRIM_400000_NS6detail17trampoline_kernelINS0_14default_configENS1_25partition_config_selectorILNS1_17partition_subalgoE3EjNS0_10empty_typeEbEEZZNS1_14partition_implILS5_3ELb0ES3_jN6thrust23THRUST_200600_302600_NS6detail15normal_iteratorINSA_7pointerIjNSA_11hip_rocprim3tagENSA_11use_defaultESG_EEEEPS6_SJ_NS0_5tupleIJPjSJ_EEENSK_IJSJ_SJ_EEES6_PlJ7is_evenIjEEEE10hipError_tPvRmT3_T4_T5_T6_T7_T9_mT8_P12ihipStream_tbDpT10_ENKUlT_T0_E_clISt17integral_constantIbLb0EES1A_EEDaS15_S16_EUlS15_E_NS1_11comp_targetILNS1_3genE2ELNS1_11target_archE906ELNS1_3gpuE6ELNS1_3repE0EEENS1_30default_config_static_selectorELNS0_4arch9wavefront6targetE1EEEvT1_ ; -- Begin function _ZN7rocprim17ROCPRIM_400000_NS6detail17trampoline_kernelINS0_14default_configENS1_25partition_config_selectorILNS1_17partition_subalgoE3EjNS0_10empty_typeEbEEZZNS1_14partition_implILS5_3ELb0ES3_jN6thrust23THRUST_200600_302600_NS6detail15normal_iteratorINSA_7pointerIjNSA_11hip_rocprim3tagENSA_11use_defaultESG_EEEEPS6_SJ_NS0_5tupleIJPjSJ_EEENSK_IJSJ_SJ_EEES6_PlJ7is_evenIjEEEE10hipError_tPvRmT3_T4_T5_T6_T7_T9_mT8_P12ihipStream_tbDpT10_ENKUlT_T0_E_clISt17integral_constantIbLb0EES1A_EEDaS15_S16_EUlS15_E_NS1_11comp_targetILNS1_3genE2ELNS1_11target_archE906ELNS1_3gpuE6ELNS1_3repE0EEENS1_30default_config_static_selectorELNS0_4arch9wavefront6targetE1EEEvT1_
	.globl	_ZN7rocprim17ROCPRIM_400000_NS6detail17trampoline_kernelINS0_14default_configENS1_25partition_config_selectorILNS1_17partition_subalgoE3EjNS0_10empty_typeEbEEZZNS1_14partition_implILS5_3ELb0ES3_jN6thrust23THRUST_200600_302600_NS6detail15normal_iteratorINSA_7pointerIjNSA_11hip_rocprim3tagENSA_11use_defaultESG_EEEEPS6_SJ_NS0_5tupleIJPjSJ_EEENSK_IJSJ_SJ_EEES6_PlJ7is_evenIjEEEE10hipError_tPvRmT3_T4_T5_T6_T7_T9_mT8_P12ihipStream_tbDpT10_ENKUlT_T0_E_clISt17integral_constantIbLb0EES1A_EEDaS15_S16_EUlS15_E_NS1_11comp_targetILNS1_3genE2ELNS1_11target_archE906ELNS1_3gpuE6ELNS1_3repE0EEENS1_30default_config_static_selectorELNS0_4arch9wavefront6targetE1EEEvT1_
	.p2align	8
	.type	_ZN7rocprim17ROCPRIM_400000_NS6detail17trampoline_kernelINS0_14default_configENS1_25partition_config_selectorILNS1_17partition_subalgoE3EjNS0_10empty_typeEbEEZZNS1_14partition_implILS5_3ELb0ES3_jN6thrust23THRUST_200600_302600_NS6detail15normal_iteratorINSA_7pointerIjNSA_11hip_rocprim3tagENSA_11use_defaultESG_EEEEPS6_SJ_NS0_5tupleIJPjSJ_EEENSK_IJSJ_SJ_EEES6_PlJ7is_evenIjEEEE10hipError_tPvRmT3_T4_T5_T6_T7_T9_mT8_P12ihipStream_tbDpT10_ENKUlT_T0_E_clISt17integral_constantIbLb0EES1A_EEDaS15_S16_EUlS15_E_NS1_11comp_targetILNS1_3genE2ELNS1_11target_archE906ELNS1_3gpuE6ELNS1_3repE0EEENS1_30default_config_static_selectorELNS0_4arch9wavefront6targetE1EEEvT1_,@function
_ZN7rocprim17ROCPRIM_400000_NS6detail17trampoline_kernelINS0_14default_configENS1_25partition_config_selectorILNS1_17partition_subalgoE3EjNS0_10empty_typeEbEEZZNS1_14partition_implILS5_3ELb0ES3_jN6thrust23THRUST_200600_302600_NS6detail15normal_iteratorINSA_7pointerIjNSA_11hip_rocprim3tagENSA_11use_defaultESG_EEEEPS6_SJ_NS0_5tupleIJPjSJ_EEENSK_IJSJ_SJ_EEES6_PlJ7is_evenIjEEEE10hipError_tPvRmT3_T4_T5_T6_T7_T9_mT8_P12ihipStream_tbDpT10_ENKUlT_T0_E_clISt17integral_constantIbLb0EES1A_EEDaS15_S16_EUlS15_E_NS1_11comp_targetILNS1_3genE2ELNS1_11target_archE906ELNS1_3gpuE6ELNS1_3repE0EEENS1_30default_config_static_selectorELNS0_4arch9wavefront6targetE1EEEvT1_: ; @_ZN7rocprim17ROCPRIM_400000_NS6detail17trampoline_kernelINS0_14default_configENS1_25partition_config_selectorILNS1_17partition_subalgoE3EjNS0_10empty_typeEbEEZZNS1_14partition_implILS5_3ELb0ES3_jN6thrust23THRUST_200600_302600_NS6detail15normal_iteratorINSA_7pointerIjNSA_11hip_rocprim3tagENSA_11use_defaultESG_EEEEPS6_SJ_NS0_5tupleIJPjSJ_EEENSK_IJSJ_SJ_EEES6_PlJ7is_evenIjEEEE10hipError_tPvRmT3_T4_T5_T6_T7_T9_mT8_P12ihipStream_tbDpT10_ENKUlT_T0_E_clISt17integral_constantIbLb0EES1A_EEDaS15_S16_EUlS15_E_NS1_11comp_targetILNS1_3genE2ELNS1_11target_archE906ELNS1_3gpuE6ELNS1_3repE0EEENS1_30default_config_static_selectorELNS0_4arch9wavefront6targetE1EEEvT1_
; %bb.0:
	.section	.rodata,"a",@progbits
	.p2align	6, 0x0
	.amdhsa_kernel _ZN7rocprim17ROCPRIM_400000_NS6detail17trampoline_kernelINS0_14default_configENS1_25partition_config_selectorILNS1_17partition_subalgoE3EjNS0_10empty_typeEbEEZZNS1_14partition_implILS5_3ELb0ES3_jN6thrust23THRUST_200600_302600_NS6detail15normal_iteratorINSA_7pointerIjNSA_11hip_rocprim3tagENSA_11use_defaultESG_EEEEPS6_SJ_NS0_5tupleIJPjSJ_EEENSK_IJSJ_SJ_EEES6_PlJ7is_evenIjEEEE10hipError_tPvRmT3_T4_T5_T6_T7_T9_mT8_P12ihipStream_tbDpT10_ENKUlT_T0_E_clISt17integral_constantIbLb0EES1A_EEDaS15_S16_EUlS15_E_NS1_11comp_targetILNS1_3genE2ELNS1_11target_archE906ELNS1_3gpuE6ELNS1_3repE0EEENS1_30default_config_static_selectorELNS0_4arch9wavefront6targetE1EEEvT1_
		.amdhsa_group_segment_fixed_size 0
		.amdhsa_private_segment_fixed_size 0
		.amdhsa_kernarg_size 120
		.amdhsa_user_sgpr_count 6
		.amdhsa_user_sgpr_private_segment_buffer 1
		.amdhsa_user_sgpr_dispatch_ptr 0
		.amdhsa_user_sgpr_queue_ptr 0
		.amdhsa_user_sgpr_kernarg_segment_ptr 1
		.amdhsa_user_sgpr_dispatch_id 0
		.amdhsa_user_sgpr_flat_scratch_init 0
		.amdhsa_user_sgpr_kernarg_preload_length 0
		.amdhsa_user_sgpr_kernarg_preload_offset 0
		.amdhsa_user_sgpr_private_segment_size 0
		.amdhsa_uses_dynamic_stack 0
		.amdhsa_system_sgpr_private_segment_wavefront_offset 0
		.amdhsa_system_sgpr_workgroup_id_x 1
		.amdhsa_system_sgpr_workgroup_id_y 0
		.amdhsa_system_sgpr_workgroup_id_z 0
		.amdhsa_system_sgpr_workgroup_info 0
		.amdhsa_system_vgpr_workitem_id 0
		.amdhsa_next_free_vgpr 1
		.amdhsa_next_free_sgpr 0
		.amdhsa_accum_offset 4
		.amdhsa_reserve_vcc 0
		.amdhsa_reserve_flat_scratch 0
		.amdhsa_float_round_mode_32 0
		.amdhsa_float_round_mode_16_64 0
		.amdhsa_float_denorm_mode_32 3
		.amdhsa_float_denorm_mode_16_64 3
		.amdhsa_dx10_clamp 1
		.amdhsa_ieee_mode 1
		.amdhsa_fp16_overflow 0
		.amdhsa_tg_split 0
		.amdhsa_exception_fp_ieee_invalid_op 0
		.amdhsa_exception_fp_denorm_src 0
		.amdhsa_exception_fp_ieee_div_zero 0
		.amdhsa_exception_fp_ieee_overflow 0
		.amdhsa_exception_fp_ieee_underflow 0
		.amdhsa_exception_fp_ieee_inexact 0
		.amdhsa_exception_int_div_zero 0
	.end_amdhsa_kernel
	.section	.text._ZN7rocprim17ROCPRIM_400000_NS6detail17trampoline_kernelINS0_14default_configENS1_25partition_config_selectorILNS1_17partition_subalgoE3EjNS0_10empty_typeEbEEZZNS1_14partition_implILS5_3ELb0ES3_jN6thrust23THRUST_200600_302600_NS6detail15normal_iteratorINSA_7pointerIjNSA_11hip_rocprim3tagENSA_11use_defaultESG_EEEEPS6_SJ_NS0_5tupleIJPjSJ_EEENSK_IJSJ_SJ_EEES6_PlJ7is_evenIjEEEE10hipError_tPvRmT3_T4_T5_T6_T7_T9_mT8_P12ihipStream_tbDpT10_ENKUlT_T0_E_clISt17integral_constantIbLb0EES1A_EEDaS15_S16_EUlS15_E_NS1_11comp_targetILNS1_3genE2ELNS1_11target_archE906ELNS1_3gpuE6ELNS1_3repE0EEENS1_30default_config_static_selectorELNS0_4arch9wavefront6targetE1EEEvT1_,"axG",@progbits,_ZN7rocprim17ROCPRIM_400000_NS6detail17trampoline_kernelINS0_14default_configENS1_25partition_config_selectorILNS1_17partition_subalgoE3EjNS0_10empty_typeEbEEZZNS1_14partition_implILS5_3ELb0ES3_jN6thrust23THRUST_200600_302600_NS6detail15normal_iteratorINSA_7pointerIjNSA_11hip_rocprim3tagENSA_11use_defaultESG_EEEEPS6_SJ_NS0_5tupleIJPjSJ_EEENSK_IJSJ_SJ_EEES6_PlJ7is_evenIjEEEE10hipError_tPvRmT3_T4_T5_T6_T7_T9_mT8_P12ihipStream_tbDpT10_ENKUlT_T0_E_clISt17integral_constantIbLb0EES1A_EEDaS15_S16_EUlS15_E_NS1_11comp_targetILNS1_3genE2ELNS1_11target_archE906ELNS1_3gpuE6ELNS1_3repE0EEENS1_30default_config_static_selectorELNS0_4arch9wavefront6targetE1EEEvT1_,comdat
.Lfunc_end923:
	.size	_ZN7rocprim17ROCPRIM_400000_NS6detail17trampoline_kernelINS0_14default_configENS1_25partition_config_selectorILNS1_17partition_subalgoE3EjNS0_10empty_typeEbEEZZNS1_14partition_implILS5_3ELb0ES3_jN6thrust23THRUST_200600_302600_NS6detail15normal_iteratorINSA_7pointerIjNSA_11hip_rocprim3tagENSA_11use_defaultESG_EEEEPS6_SJ_NS0_5tupleIJPjSJ_EEENSK_IJSJ_SJ_EEES6_PlJ7is_evenIjEEEE10hipError_tPvRmT3_T4_T5_T6_T7_T9_mT8_P12ihipStream_tbDpT10_ENKUlT_T0_E_clISt17integral_constantIbLb0EES1A_EEDaS15_S16_EUlS15_E_NS1_11comp_targetILNS1_3genE2ELNS1_11target_archE906ELNS1_3gpuE6ELNS1_3repE0EEENS1_30default_config_static_selectorELNS0_4arch9wavefront6targetE1EEEvT1_, .Lfunc_end923-_ZN7rocprim17ROCPRIM_400000_NS6detail17trampoline_kernelINS0_14default_configENS1_25partition_config_selectorILNS1_17partition_subalgoE3EjNS0_10empty_typeEbEEZZNS1_14partition_implILS5_3ELb0ES3_jN6thrust23THRUST_200600_302600_NS6detail15normal_iteratorINSA_7pointerIjNSA_11hip_rocprim3tagENSA_11use_defaultESG_EEEEPS6_SJ_NS0_5tupleIJPjSJ_EEENSK_IJSJ_SJ_EEES6_PlJ7is_evenIjEEEE10hipError_tPvRmT3_T4_T5_T6_T7_T9_mT8_P12ihipStream_tbDpT10_ENKUlT_T0_E_clISt17integral_constantIbLb0EES1A_EEDaS15_S16_EUlS15_E_NS1_11comp_targetILNS1_3genE2ELNS1_11target_archE906ELNS1_3gpuE6ELNS1_3repE0EEENS1_30default_config_static_selectorELNS0_4arch9wavefront6targetE1EEEvT1_
                                        ; -- End function
	.section	.AMDGPU.csdata,"",@progbits
; Kernel info:
; codeLenInByte = 0
; NumSgprs: 4
; NumVgprs: 0
; NumAgprs: 0
; TotalNumVgprs: 0
; ScratchSize: 0
; MemoryBound: 0
; FloatMode: 240
; IeeeMode: 1
; LDSByteSize: 0 bytes/workgroup (compile time only)
; SGPRBlocks: 0
; VGPRBlocks: 0
; NumSGPRsForWavesPerEU: 4
; NumVGPRsForWavesPerEU: 1
; AccumOffset: 4
; Occupancy: 8
; WaveLimiterHint : 0
; COMPUTE_PGM_RSRC2:SCRATCH_EN: 0
; COMPUTE_PGM_RSRC2:USER_SGPR: 6
; COMPUTE_PGM_RSRC2:TRAP_HANDLER: 0
; COMPUTE_PGM_RSRC2:TGID_X_EN: 1
; COMPUTE_PGM_RSRC2:TGID_Y_EN: 0
; COMPUTE_PGM_RSRC2:TGID_Z_EN: 0
; COMPUTE_PGM_RSRC2:TIDIG_COMP_CNT: 0
; COMPUTE_PGM_RSRC3_GFX90A:ACCUM_OFFSET: 0
; COMPUTE_PGM_RSRC3_GFX90A:TG_SPLIT: 0
	.section	.text._ZN7rocprim17ROCPRIM_400000_NS6detail17trampoline_kernelINS0_14default_configENS1_25partition_config_selectorILNS1_17partition_subalgoE3EjNS0_10empty_typeEbEEZZNS1_14partition_implILS5_3ELb0ES3_jN6thrust23THRUST_200600_302600_NS6detail15normal_iteratorINSA_7pointerIjNSA_11hip_rocprim3tagENSA_11use_defaultESG_EEEEPS6_SJ_NS0_5tupleIJPjSJ_EEENSK_IJSJ_SJ_EEES6_PlJ7is_evenIjEEEE10hipError_tPvRmT3_T4_T5_T6_T7_T9_mT8_P12ihipStream_tbDpT10_ENKUlT_T0_E_clISt17integral_constantIbLb0EES1A_EEDaS15_S16_EUlS15_E_NS1_11comp_targetILNS1_3genE10ELNS1_11target_archE1200ELNS1_3gpuE4ELNS1_3repE0EEENS1_30default_config_static_selectorELNS0_4arch9wavefront6targetE1EEEvT1_,"axG",@progbits,_ZN7rocprim17ROCPRIM_400000_NS6detail17trampoline_kernelINS0_14default_configENS1_25partition_config_selectorILNS1_17partition_subalgoE3EjNS0_10empty_typeEbEEZZNS1_14partition_implILS5_3ELb0ES3_jN6thrust23THRUST_200600_302600_NS6detail15normal_iteratorINSA_7pointerIjNSA_11hip_rocprim3tagENSA_11use_defaultESG_EEEEPS6_SJ_NS0_5tupleIJPjSJ_EEENSK_IJSJ_SJ_EEES6_PlJ7is_evenIjEEEE10hipError_tPvRmT3_T4_T5_T6_T7_T9_mT8_P12ihipStream_tbDpT10_ENKUlT_T0_E_clISt17integral_constantIbLb0EES1A_EEDaS15_S16_EUlS15_E_NS1_11comp_targetILNS1_3genE10ELNS1_11target_archE1200ELNS1_3gpuE4ELNS1_3repE0EEENS1_30default_config_static_selectorELNS0_4arch9wavefront6targetE1EEEvT1_,comdat
	.protected	_ZN7rocprim17ROCPRIM_400000_NS6detail17trampoline_kernelINS0_14default_configENS1_25partition_config_selectorILNS1_17partition_subalgoE3EjNS0_10empty_typeEbEEZZNS1_14partition_implILS5_3ELb0ES3_jN6thrust23THRUST_200600_302600_NS6detail15normal_iteratorINSA_7pointerIjNSA_11hip_rocprim3tagENSA_11use_defaultESG_EEEEPS6_SJ_NS0_5tupleIJPjSJ_EEENSK_IJSJ_SJ_EEES6_PlJ7is_evenIjEEEE10hipError_tPvRmT3_T4_T5_T6_T7_T9_mT8_P12ihipStream_tbDpT10_ENKUlT_T0_E_clISt17integral_constantIbLb0EES1A_EEDaS15_S16_EUlS15_E_NS1_11comp_targetILNS1_3genE10ELNS1_11target_archE1200ELNS1_3gpuE4ELNS1_3repE0EEENS1_30default_config_static_selectorELNS0_4arch9wavefront6targetE1EEEvT1_ ; -- Begin function _ZN7rocprim17ROCPRIM_400000_NS6detail17trampoline_kernelINS0_14default_configENS1_25partition_config_selectorILNS1_17partition_subalgoE3EjNS0_10empty_typeEbEEZZNS1_14partition_implILS5_3ELb0ES3_jN6thrust23THRUST_200600_302600_NS6detail15normal_iteratorINSA_7pointerIjNSA_11hip_rocprim3tagENSA_11use_defaultESG_EEEEPS6_SJ_NS0_5tupleIJPjSJ_EEENSK_IJSJ_SJ_EEES6_PlJ7is_evenIjEEEE10hipError_tPvRmT3_T4_T5_T6_T7_T9_mT8_P12ihipStream_tbDpT10_ENKUlT_T0_E_clISt17integral_constantIbLb0EES1A_EEDaS15_S16_EUlS15_E_NS1_11comp_targetILNS1_3genE10ELNS1_11target_archE1200ELNS1_3gpuE4ELNS1_3repE0EEENS1_30default_config_static_selectorELNS0_4arch9wavefront6targetE1EEEvT1_
	.globl	_ZN7rocprim17ROCPRIM_400000_NS6detail17trampoline_kernelINS0_14default_configENS1_25partition_config_selectorILNS1_17partition_subalgoE3EjNS0_10empty_typeEbEEZZNS1_14partition_implILS5_3ELb0ES3_jN6thrust23THRUST_200600_302600_NS6detail15normal_iteratorINSA_7pointerIjNSA_11hip_rocprim3tagENSA_11use_defaultESG_EEEEPS6_SJ_NS0_5tupleIJPjSJ_EEENSK_IJSJ_SJ_EEES6_PlJ7is_evenIjEEEE10hipError_tPvRmT3_T4_T5_T6_T7_T9_mT8_P12ihipStream_tbDpT10_ENKUlT_T0_E_clISt17integral_constantIbLb0EES1A_EEDaS15_S16_EUlS15_E_NS1_11comp_targetILNS1_3genE10ELNS1_11target_archE1200ELNS1_3gpuE4ELNS1_3repE0EEENS1_30default_config_static_selectorELNS0_4arch9wavefront6targetE1EEEvT1_
	.p2align	8
	.type	_ZN7rocprim17ROCPRIM_400000_NS6detail17trampoline_kernelINS0_14default_configENS1_25partition_config_selectorILNS1_17partition_subalgoE3EjNS0_10empty_typeEbEEZZNS1_14partition_implILS5_3ELb0ES3_jN6thrust23THRUST_200600_302600_NS6detail15normal_iteratorINSA_7pointerIjNSA_11hip_rocprim3tagENSA_11use_defaultESG_EEEEPS6_SJ_NS0_5tupleIJPjSJ_EEENSK_IJSJ_SJ_EEES6_PlJ7is_evenIjEEEE10hipError_tPvRmT3_T4_T5_T6_T7_T9_mT8_P12ihipStream_tbDpT10_ENKUlT_T0_E_clISt17integral_constantIbLb0EES1A_EEDaS15_S16_EUlS15_E_NS1_11comp_targetILNS1_3genE10ELNS1_11target_archE1200ELNS1_3gpuE4ELNS1_3repE0EEENS1_30default_config_static_selectorELNS0_4arch9wavefront6targetE1EEEvT1_,@function
_ZN7rocprim17ROCPRIM_400000_NS6detail17trampoline_kernelINS0_14default_configENS1_25partition_config_selectorILNS1_17partition_subalgoE3EjNS0_10empty_typeEbEEZZNS1_14partition_implILS5_3ELb0ES3_jN6thrust23THRUST_200600_302600_NS6detail15normal_iteratorINSA_7pointerIjNSA_11hip_rocprim3tagENSA_11use_defaultESG_EEEEPS6_SJ_NS0_5tupleIJPjSJ_EEENSK_IJSJ_SJ_EEES6_PlJ7is_evenIjEEEE10hipError_tPvRmT3_T4_T5_T6_T7_T9_mT8_P12ihipStream_tbDpT10_ENKUlT_T0_E_clISt17integral_constantIbLb0EES1A_EEDaS15_S16_EUlS15_E_NS1_11comp_targetILNS1_3genE10ELNS1_11target_archE1200ELNS1_3gpuE4ELNS1_3repE0EEENS1_30default_config_static_selectorELNS0_4arch9wavefront6targetE1EEEvT1_: ; @_ZN7rocprim17ROCPRIM_400000_NS6detail17trampoline_kernelINS0_14default_configENS1_25partition_config_selectorILNS1_17partition_subalgoE3EjNS0_10empty_typeEbEEZZNS1_14partition_implILS5_3ELb0ES3_jN6thrust23THRUST_200600_302600_NS6detail15normal_iteratorINSA_7pointerIjNSA_11hip_rocprim3tagENSA_11use_defaultESG_EEEEPS6_SJ_NS0_5tupleIJPjSJ_EEENSK_IJSJ_SJ_EEES6_PlJ7is_evenIjEEEE10hipError_tPvRmT3_T4_T5_T6_T7_T9_mT8_P12ihipStream_tbDpT10_ENKUlT_T0_E_clISt17integral_constantIbLb0EES1A_EEDaS15_S16_EUlS15_E_NS1_11comp_targetILNS1_3genE10ELNS1_11target_archE1200ELNS1_3gpuE4ELNS1_3repE0EEENS1_30default_config_static_selectorELNS0_4arch9wavefront6targetE1EEEvT1_
; %bb.0:
	.section	.rodata,"a",@progbits
	.p2align	6, 0x0
	.amdhsa_kernel _ZN7rocprim17ROCPRIM_400000_NS6detail17trampoline_kernelINS0_14default_configENS1_25partition_config_selectorILNS1_17partition_subalgoE3EjNS0_10empty_typeEbEEZZNS1_14partition_implILS5_3ELb0ES3_jN6thrust23THRUST_200600_302600_NS6detail15normal_iteratorINSA_7pointerIjNSA_11hip_rocprim3tagENSA_11use_defaultESG_EEEEPS6_SJ_NS0_5tupleIJPjSJ_EEENSK_IJSJ_SJ_EEES6_PlJ7is_evenIjEEEE10hipError_tPvRmT3_T4_T5_T6_T7_T9_mT8_P12ihipStream_tbDpT10_ENKUlT_T0_E_clISt17integral_constantIbLb0EES1A_EEDaS15_S16_EUlS15_E_NS1_11comp_targetILNS1_3genE10ELNS1_11target_archE1200ELNS1_3gpuE4ELNS1_3repE0EEENS1_30default_config_static_selectorELNS0_4arch9wavefront6targetE1EEEvT1_
		.amdhsa_group_segment_fixed_size 0
		.amdhsa_private_segment_fixed_size 0
		.amdhsa_kernarg_size 120
		.amdhsa_user_sgpr_count 6
		.amdhsa_user_sgpr_private_segment_buffer 1
		.amdhsa_user_sgpr_dispatch_ptr 0
		.amdhsa_user_sgpr_queue_ptr 0
		.amdhsa_user_sgpr_kernarg_segment_ptr 1
		.amdhsa_user_sgpr_dispatch_id 0
		.amdhsa_user_sgpr_flat_scratch_init 0
		.amdhsa_user_sgpr_kernarg_preload_length 0
		.amdhsa_user_sgpr_kernarg_preload_offset 0
		.amdhsa_user_sgpr_private_segment_size 0
		.amdhsa_uses_dynamic_stack 0
		.amdhsa_system_sgpr_private_segment_wavefront_offset 0
		.amdhsa_system_sgpr_workgroup_id_x 1
		.amdhsa_system_sgpr_workgroup_id_y 0
		.amdhsa_system_sgpr_workgroup_id_z 0
		.amdhsa_system_sgpr_workgroup_info 0
		.amdhsa_system_vgpr_workitem_id 0
		.amdhsa_next_free_vgpr 1
		.amdhsa_next_free_sgpr 0
		.amdhsa_accum_offset 4
		.amdhsa_reserve_vcc 0
		.amdhsa_reserve_flat_scratch 0
		.amdhsa_float_round_mode_32 0
		.amdhsa_float_round_mode_16_64 0
		.amdhsa_float_denorm_mode_32 3
		.amdhsa_float_denorm_mode_16_64 3
		.amdhsa_dx10_clamp 1
		.amdhsa_ieee_mode 1
		.amdhsa_fp16_overflow 0
		.amdhsa_tg_split 0
		.amdhsa_exception_fp_ieee_invalid_op 0
		.amdhsa_exception_fp_denorm_src 0
		.amdhsa_exception_fp_ieee_div_zero 0
		.amdhsa_exception_fp_ieee_overflow 0
		.amdhsa_exception_fp_ieee_underflow 0
		.amdhsa_exception_fp_ieee_inexact 0
		.amdhsa_exception_int_div_zero 0
	.end_amdhsa_kernel
	.section	.text._ZN7rocprim17ROCPRIM_400000_NS6detail17trampoline_kernelINS0_14default_configENS1_25partition_config_selectorILNS1_17partition_subalgoE3EjNS0_10empty_typeEbEEZZNS1_14partition_implILS5_3ELb0ES3_jN6thrust23THRUST_200600_302600_NS6detail15normal_iteratorINSA_7pointerIjNSA_11hip_rocprim3tagENSA_11use_defaultESG_EEEEPS6_SJ_NS0_5tupleIJPjSJ_EEENSK_IJSJ_SJ_EEES6_PlJ7is_evenIjEEEE10hipError_tPvRmT3_T4_T5_T6_T7_T9_mT8_P12ihipStream_tbDpT10_ENKUlT_T0_E_clISt17integral_constantIbLb0EES1A_EEDaS15_S16_EUlS15_E_NS1_11comp_targetILNS1_3genE10ELNS1_11target_archE1200ELNS1_3gpuE4ELNS1_3repE0EEENS1_30default_config_static_selectorELNS0_4arch9wavefront6targetE1EEEvT1_,"axG",@progbits,_ZN7rocprim17ROCPRIM_400000_NS6detail17trampoline_kernelINS0_14default_configENS1_25partition_config_selectorILNS1_17partition_subalgoE3EjNS0_10empty_typeEbEEZZNS1_14partition_implILS5_3ELb0ES3_jN6thrust23THRUST_200600_302600_NS6detail15normal_iteratorINSA_7pointerIjNSA_11hip_rocprim3tagENSA_11use_defaultESG_EEEEPS6_SJ_NS0_5tupleIJPjSJ_EEENSK_IJSJ_SJ_EEES6_PlJ7is_evenIjEEEE10hipError_tPvRmT3_T4_T5_T6_T7_T9_mT8_P12ihipStream_tbDpT10_ENKUlT_T0_E_clISt17integral_constantIbLb0EES1A_EEDaS15_S16_EUlS15_E_NS1_11comp_targetILNS1_3genE10ELNS1_11target_archE1200ELNS1_3gpuE4ELNS1_3repE0EEENS1_30default_config_static_selectorELNS0_4arch9wavefront6targetE1EEEvT1_,comdat
.Lfunc_end924:
	.size	_ZN7rocprim17ROCPRIM_400000_NS6detail17trampoline_kernelINS0_14default_configENS1_25partition_config_selectorILNS1_17partition_subalgoE3EjNS0_10empty_typeEbEEZZNS1_14partition_implILS5_3ELb0ES3_jN6thrust23THRUST_200600_302600_NS6detail15normal_iteratorINSA_7pointerIjNSA_11hip_rocprim3tagENSA_11use_defaultESG_EEEEPS6_SJ_NS0_5tupleIJPjSJ_EEENSK_IJSJ_SJ_EEES6_PlJ7is_evenIjEEEE10hipError_tPvRmT3_T4_T5_T6_T7_T9_mT8_P12ihipStream_tbDpT10_ENKUlT_T0_E_clISt17integral_constantIbLb0EES1A_EEDaS15_S16_EUlS15_E_NS1_11comp_targetILNS1_3genE10ELNS1_11target_archE1200ELNS1_3gpuE4ELNS1_3repE0EEENS1_30default_config_static_selectorELNS0_4arch9wavefront6targetE1EEEvT1_, .Lfunc_end924-_ZN7rocprim17ROCPRIM_400000_NS6detail17trampoline_kernelINS0_14default_configENS1_25partition_config_selectorILNS1_17partition_subalgoE3EjNS0_10empty_typeEbEEZZNS1_14partition_implILS5_3ELb0ES3_jN6thrust23THRUST_200600_302600_NS6detail15normal_iteratorINSA_7pointerIjNSA_11hip_rocprim3tagENSA_11use_defaultESG_EEEEPS6_SJ_NS0_5tupleIJPjSJ_EEENSK_IJSJ_SJ_EEES6_PlJ7is_evenIjEEEE10hipError_tPvRmT3_T4_T5_T6_T7_T9_mT8_P12ihipStream_tbDpT10_ENKUlT_T0_E_clISt17integral_constantIbLb0EES1A_EEDaS15_S16_EUlS15_E_NS1_11comp_targetILNS1_3genE10ELNS1_11target_archE1200ELNS1_3gpuE4ELNS1_3repE0EEENS1_30default_config_static_selectorELNS0_4arch9wavefront6targetE1EEEvT1_
                                        ; -- End function
	.section	.AMDGPU.csdata,"",@progbits
; Kernel info:
; codeLenInByte = 0
; NumSgprs: 4
; NumVgprs: 0
; NumAgprs: 0
; TotalNumVgprs: 0
; ScratchSize: 0
; MemoryBound: 0
; FloatMode: 240
; IeeeMode: 1
; LDSByteSize: 0 bytes/workgroup (compile time only)
; SGPRBlocks: 0
; VGPRBlocks: 0
; NumSGPRsForWavesPerEU: 4
; NumVGPRsForWavesPerEU: 1
; AccumOffset: 4
; Occupancy: 8
; WaveLimiterHint : 0
; COMPUTE_PGM_RSRC2:SCRATCH_EN: 0
; COMPUTE_PGM_RSRC2:USER_SGPR: 6
; COMPUTE_PGM_RSRC2:TRAP_HANDLER: 0
; COMPUTE_PGM_RSRC2:TGID_X_EN: 1
; COMPUTE_PGM_RSRC2:TGID_Y_EN: 0
; COMPUTE_PGM_RSRC2:TGID_Z_EN: 0
; COMPUTE_PGM_RSRC2:TIDIG_COMP_CNT: 0
; COMPUTE_PGM_RSRC3_GFX90A:ACCUM_OFFSET: 0
; COMPUTE_PGM_RSRC3_GFX90A:TG_SPLIT: 0
	.section	.text._ZN7rocprim17ROCPRIM_400000_NS6detail17trampoline_kernelINS0_14default_configENS1_25partition_config_selectorILNS1_17partition_subalgoE3EjNS0_10empty_typeEbEEZZNS1_14partition_implILS5_3ELb0ES3_jN6thrust23THRUST_200600_302600_NS6detail15normal_iteratorINSA_7pointerIjNSA_11hip_rocprim3tagENSA_11use_defaultESG_EEEEPS6_SJ_NS0_5tupleIJPjSJ_EEENSK_IJSJ_SJ_EEES6_PlJ7is_evenIjEEEE10hipError_tPvRmT3_T4_T5_T6_T7_T9_mT8_P12ihipStream_tbDpT10_ENKUlT_T0_E_clISt17integral_constantIbLb0EES1A_EEDaS15_S16_EUlS15_E_NS1_11comp_targetILNS1_3genE9ELNS1_11target_archE1100ELNS1_3gpuE3ELNS1_3repE0EEENS1_30default_config_static_selectorELNS0_4arch9wavefront6targetE1EEEvT1_,"axG",@progbits,_ZN7rocprim17ROCPRIM_400000_NS6detail17trampoline_kernelINS0_14default_configENS1_25partition_config_selectorILNS1_17partition_subalgoE3EjNS0_10empty_typeEbEEZZNS1_14partition_implILS5_3ELb0ES3_jN6thrust23THRUST_200600_302600_NS6detail15normal_iteratorINSA_7pointerIjNSA_11hip_rocprim3tagENSA_11use_defaultESG_EEEEPS6_SJ_NS0_5tupleIJPjSJ_EEENSK_IJSJ_SJ_EEES6_PlJ7is_evenIjEEEE10hipError_tPvRmT3_T4_T5_T6_T7_T9_mT8_P12ihipStream_tbDpT10_ENKUlT_T0_E_clISt17integral_constantIbLb0EES1A_EEDaS15_S16_EUlS15_E_NS1_11comp_targetILNS1_3genE9ELNS1_11target_archE1100ELNS1_3gpuE3ELNS1_3repE0EEENS1_30default_config_static_selectorELNS0_4arch9wavefront6targetE1EEEvT1_,comdat
	.protected	_ZN7rocprim17ROCPRIM_400000_NS6detail17trampoline_kernelINS0_14default_configENS1_25partition_config_selectorILNS1_17partition_subalgoE3EjNS0_10empty_typeEbEEZZNS1_14partition_implILS5_3ELb0ES3_jN6thrust23THRUST_200600_302600_NS6detail15normal_iteratorINSA_7pointerIjNSA_11hip_rocprim3tagENSA_11use_defaultESG_EEEEPS6_SJ_NS0_5tupleIJPjSJ_EEENSK_IJSJ_SJ_EEES6_PlJ7is_evenIjEEEE10hipError_tPvRmT3_T4_T5_T6_T7_T9_mT8_P12ihipStream_tbDpT10_ENKUlT_T0_E_clISt17integral_constantIbLb0EES1A_EEDaS15_S16_EUlS15_E_NS1_11comp_targetILNS1_3genE9ELNS1_11target_archE1100ELNS1_3gpuE3ELNS1_3repE0EEENS1_30default_config_static_selectorELNS0_4arch9wavefront6targetE1EEEvT1_ ; -- Begin function _ZN7rocprim17ROCPRIM_400000_NS6detail17trampoline_kernelINS0_14default_configENS1_25partition_config_selectorILNS1_17partition_subalgoE3EjNS0_10empty_typeEbEEZZNS1_14partition_implILS5_3ELb0ES3_jN6thrust23THRUST_200600_302600_NS6detail15normal_iteratorINSA_7pointerIjNSA_11hip_rocprim3tagENSA_11use_defaultESG_EEEEPS6_SJ_NS0_5tupleIJPjSJ_EEENSK_IJSJ_SJ_EEES6_PlJ7is_evenIjEEEE10hipError_tPvRmT3_T4_T5_T6_T7_T9_mT8_P12ihipStream_tbDpT10_ENKUlT_T0_E_clISt17integral_constantIbLb0EES1A_EEDaS15_S16_EUlS15_E_NS1_11comp_targetILNS1_3genE9ELNS1_11target_archE1100ELNS1_3gpuE3ELNS1_3repE0EEENS1_30default_config_static_selectorELNS0_4arch9wavefront6targetE1EEEvT1_
	.globl	_ZN7rocprim17ROCPRIM_400000_NS6detail17trampoline_kernelINS0_14default_configENS1_25partition_config_selectorILNS1_17partition_subalgoE3EjNS0_10empty_typeEbEEZZNS1_14partition_implILS5_3ELb0ES3_jN6thrust23THRUST_200600_302600_NS6detail15normal_iteratorINSA_7pointerIjNSA_11hip_rocprim3tagENSA_11use_defaultESG_EEEEPS6_SJ_NS0_5tupleIJPjSJ_EEENSK_IJSJ_SJ_EEES6_PlJ7is_evenIjEEEE10hipError_tPvRmT3_T4_T5_T6_T7_T9_mT8_P12ihipStream_tbDpT10_ENKUlT_T0_E_clISt17integral_constantIbLb0EES1A_EEDaS15_S16_EUlS15_E_NS1_11comp_targetILNS1_3genE9ELNS1_11target_archE1100ELNS1_3gpuE3ELNS1_3repE0EEENS1_30default_config_static_selectorELNS0_4arch9wavefront6targetE1EEEvT1_
	.p2align	8
	.type	_ZN7rocprim17ROCPRIM_400000_NS6detail17trampoline_kernelINS0_14default_configENS1_25partition_config_selectorILNS1_17partition_subalgoE3EjNS0_10empty_typeEbEEZZNS1_14partition_implILS5_3ELb0ES3_jN6thrust23THRUST_200600_302600_NS6detail15normal_iteratorINSA_7pointerIjNSA_11hip_rocprim3tagENSA_11use_defaultESG_EEEEPS6_SJ_NS0_5tupleIJPjSJ_EEENSK_IJSJ_SJ_EEES6_PlJ7is_evenIjEEEE10hipError_tPvRmT3_T4_T5_T6_T7_T9_mT8_P12ihipStream_tbDpT10_ENKUlT_T0_E_clISt17integral_constantIbLb0EES1A_EEDaS15_S16_EUlS15_E_NS1_11comp_targetILNS1_3genE9ELNS1_11target_archE1100ELNS1_3gpuE3ELNS1_3repE0EEENS1_30default_config_static_selectorELNS0_4arch9wavefront6targetE1EEEvT1_,@function
_ZN7rocprim17ROCPRIM_400000_NS6detail17trampoline_kernelINS0_14default_configENS1_25partition_config_selectorILNS1_17partition_subalgoE3EjNS0_10empty_typeEbEEZZNS1_14partition_implILS5_3ELb0ES3_jN6thrust23THRUST_200600_302600_NS6detail15normal_iteratorINSA_7pointerIjNSA_11hip_rocprim3tagENSA_11use_defaultESG_EEEEPS6_SJ_NS0_5tupleIJPjSJ_EEENSK_IJSJ_SJ_EEES6_PlJ7is_evenIjEEEE10hipError_tPvRmT3_T4_T5_T6_T7_T9_mT8_P12ihipStream_tbDpT10_ENKUlT_T0_E_clISt17integral_constantIbLb0EES1A_EEDaS15_S16_EUlS15_E_NS1_11comp_targetILNS1_3genE9ELNS1_11target_archE1100ELNS1_3gpuE3ELNS1_3repE0EEENS1_30default_config_static_selectorELNS0_4arch9wavefront6targetE1EEEvT1_: ; @_ZN7rocprim17ROCPRIM_400000_NS6detail17trampoline_kernelINS0_14default_configENS1_25partition_config_selectorILNS1_17partition_subalgoE3EjNS0_10empty_typeEbEEZZNS1_14partition_implILS5_3ELb0ES3_jN6thrust23THRUST_200600_302600_NS6detail15normal_iteratorINSA_7pointerIjNSA_11hip_rocprim3tagENSA_11use_defaultESG_EEEEPS6_SJ_NS0_5tupleIJPjSJ_EEENSK_IJSJ_SJ_EEES6_PlJ7is_evenIjEEEE10hipError_tPvRmT3_T4_T5_T6_T7_T9_mT8_P12ihipStream_tbDpT10_ENKUlT_T0_E_clISt17integral_constantIbLb0EES1A_EEDaS15_S16_EUlS15_E_NS1_11comp_targetILNS1_3genE9ELNS1_11target_archE1100ELNS1_3gpuE3ELNS1_3repE0EEENS1_30default_config_static_selectorELNS0_4arch9wavefront6targetE1EEEvT1_
; %bb.0:
	.section	.rodata,"a",@progbits
	.p2align	6, 0x0
	.amdhsa_kernel _ZN7rocprim17ROCPRIM_400000_NS6detail17trampoline_kernelINS0_14default_configENS1_25partition_config_selectorILNS1_17partition_subalgoE3EjNS0_10empty_typeEbEEZZNS1_14partition_implILS5_3ELb0ES3_jN6thrust23THRUST_200600_302600_NS6detail15normal_iteratorINSA_7pointerIjNSA_11hip_rocprim3tagENSA_11use_defaultESG_EEEEPS6_SJ_NS0_5tupleIJPjSJ_EEENSK_IJSJ_SJ_EEES6_PlJ7is_evenIjEEEE10hipError_tPvRmT3_T4_T5_T6_T7_T9_mT8_P12ihipStream_tbDpT10_ENKUlT_T0_E_clISt17integral_constantIbLb0EES1A_EEDaS15_S16_EUlS15_E_NS1_11comp_targetILNS1_3genE9ELNS1_11target_archE1100ELNS1_3gpuE3ELNS1_3repE0EEENS1_30default_config_static_selectorELNS0_4arch9wavefront6targetE1EEEvT1_
		.amdhsa_group_segment_fixed_size 0
		.amdhsa_private_segment_fixed_size 0
		.amdhsa_kernarg_size 120
		.amdhsa_user_sgpr_count 6
		.amdhsa_user_sgpr_private_segment_buffer 1
		.amdhsa_user_sgpr_dispatch_ptr 0
		.amdhsa_user_sgpr_queue_ptr 0
		.amdhsa_user_sgpr_kernarg_segment_ptr 1
		.amdhsa_user_sgpr_dispatch_id 0
		.amdhsa_user_sgpr_flat_scratch_init 0
		.amdhsa_user_sgpr_kernarg_preload_length 0
		.amdhsa_user_sgpr_kernarg_preload_offset 0
		.amdhsa_user_sgpr_private_segment_size 0
		.amdhsa_uses_dynamic_stack 0
		.amdhsa_system_sgpr_private_segment_wavefront_offset 0
		.amdhsa_system_sgpr_workgroup_id_x 1
		.amdhsa_system_sgpr_workgroup_id_y 0
		.amdhsa_system_sgpr_workgroup_id_z 0
		.amdhsa_system_sgpr_workgroup_info 0
		.amdhsa_system_vgpr_workitem_id 0
		.amdhsa_next_free_vgpr 1
		.amdhsa_next_free_sgpr 0
		.amdhsa_accum_offset 4
		.amdhsa_reserve_vcc 0
		.amdhsa_reserve_flat_scratch 0
		.amdhsa_float_round_mode_32 0
		.amdhsa_float_round_mode_16_64 0
		.amdhsa_float_denorm_mode_32 3
		.amdhsa_float_denorm_mode_16_64 3
		.amdhsa_dx10_clamp 1
		.amdhsa_ieee_mode 1
		.amdhsa_fp16_overflow 0
		.amdhsa_tg_split 0
		.amdhsa_exception_fp_ieee_invalid_op 0
		.amdhsa_exception_fp_denorm_src 0
		.amdhsa_exception_fp_ieee_div_zero 0
		.amdhsa_exception_fp_ieee_overflow 0
		.amdhsa_exception_fp_ieee_underflow 0
		.amdhsa_exception_fp_ieee_inexact 0
		.amdhsa_exception_int_div_zero 0
	.end_amdhsa_kernel
	.section	.text._ZN7rocprim17ROCPRIM_400000_NS6detail17trampoline_kernelINS0_14default_configENS1_25partition_config_selectorILNS1_17partition_subalgoE3EjNS0_10empty_typeEbEEZZNS1_14partition_implILS5_3ELb0ES3_jN6thrust23THRUST_200600_302600_NS6detail15normal_iteratorINSA_7pointerIjNSA_11hip_rocprim3tagENSA_11use_defaultESG_EEEEPS6_SJ_NS0_5tupleIJPjSJ_EEENSK_IJSJ_SJ_EEES6_PlJ7is_evenIjEEEE10hipError_tPvRmT3_T4_T5_T6_T7_T9_mT8_P12ihipStream_tbDpT10_ENKUlT_T0_E_clISt17integral_constantIbLb0EES1A_EEDaS15_S16_EUlS15_E_NS1_11comp_targetILNS1_3genE9ELNS1_11target_archE1100ELNS1_3gpuE3ELNS1_3repE0EEENS1_30default_config_static_selectorELNS0_4arch9wavefront6targetE1EEEvT1_,"axG",@progbits,_ZN7rocprim17ROCPRIM_400000_NS6detail17trampoline_kernelINS0_14default_configENS1_25partition_config_selectorILNS1_17partition_subalgoE3EjNS0_10empty_typeEbEEZZNS1_14partition_implILS5_3ELb0ES3_jN6thrust23THRUST_200600_302600_NS6detail15normal_iteratorINSA_7pointerIjNSA_11hip_rocprim3tagENSA_11use_defaultESG_EEEEPS6_SJ_NS0_5tupleIJPjSJ_EEENSK_IJSJ_SJ_EEES6_PlJ7is_evenIjEEEE10hipError_tPvRmT3_T4_T5_T6_T7_T9_mT8_P12ihipStream_tbDpT10_ENKUlT_T0_E_clISt17integral_constantIbLb0EES1A_EEDaS15_S16_EUlS15_E_NS1_11comp_targetILNS1_3genE9ELNS1_11target_archE1100ELNS1_3gpuE3ELNS1_3repE0EEENS1_30default_config_static_selectorELNS0_4arch9wavefront6targetE1EEEvT1_,comdat
.Lfunc_end925:
	.size	_ZN7rocprim17ROCPRIM_400000_NS6detail17trampoline_kernelINS0_14default_configENS1_25partition_config_selectorILNS1_17partition_subalgoE3EjNS0_10empty_typeEbEEZZNS1_14partition_implILS5_3ELb0ES3_jN6thrust23THRUST_200600_302600_NS6detail15normal_iteratorINSA_7pointerIjNSA_11hip_rocprim3tagENSA_11use_defaultESG_EEEEPS6_SJ_NS0_5tupleIJPjSJ_EEENSK_IJSJ_SJ_EEES6_PlJ7is_evenIjEEEE10hipError_tPvRmT3_T4_T5_T6_T7_T9_mT8_P12ihipStream_tbDpT10_ENKUlT_T0_E_clISt17integral_constantIbLb0EES1A_EEDaS15_S16_EUlS15_E_NS1_11comp_targetILNS1_3genE9ELNS1_11target_archE1100ELNS1_3gpuE3ELNS1_3repE0EEENS1_30default_config_static_selectorELNS0_4arch9wavefront6targetE1EEEvT1_, .Lfunc_end925-_ZN7rocprim17ROCPRIM_400000_NS6detail17trampoline_kernelINS0_14default_configENS1_25partition_config_selectorILNS1_17partition_subalgoE3EjNS0_10empty_typeEbEEZZNS1_14partition_implILS5_3ELb0ES3_jN6thrust23THRUST_200600_302600_NS6detail15normal_iteratorINSA_7pointerIjNSA_11hip_rocprim3tagENSA_11use_defaultESG_EEEEPS6_SJ_NS0_5tupleIJPjSJ_EEENSK_IJSJ_SJ_EEES6_PlJ7is_evenIjEEEE10hipError_tPvRmT3_T4_T5_T6_T7_T9_mT8_P12ihipStream_tbDpT10_ENKUlT_T0_E_clISt17integral_constantIbLb0EES1A_EEDaS15_S16_EUlS15_E_NS1_11comp_targetILNS1_3genE9ELNS1_11target_archE1100ELNS1_3gpuE3ELNS1_3repE0EEENS1_30default_config_static_selectorELNS0_4arch9wavefront6targetE1EEEvT1_
                                        ; -- End function
	.section	.AMDGPU.csdata,"",@progbits
; Kernel info:
; codeLenInByte = 0
; NumSgprs: 4
; NumVgprs: 0
; NumAgprs: 0
; TotalNumVgprs: 0
; ScratchSize: 0
; MemoryBound: 0
; FloatMode: 240
; IeeeMode: 1
; LDSByteSize: 0 bytes/workgroup (compile time only)
; SGPRBlocks: 0
; VGPRBlocks: 0
; NumSGPRsForWavesPerEU: 4
; NumVGPRsForWavesPerEU: 1
; AccumOffset: 4
; Occupancy: 8
; WaveLimiterHint : 0
; COMPUTE_PGM_RSRC2:SCRATCH_EN: 0
; COMPUTE_PGM_RSRC2:USER_SGPR: 6
; COMPUTE_PGM_RSRC2:TRAP_HANDLER: 0
; COMPUTE_PGM_RSRC2:TGID_X_EN: 1
; COMPUTE_PGM_RSRC2:TGID_Y_EN: 0
; COMPUTE_PGM_RSRC2:TGID_Z_EN: 0
; COMPUTE_PGM_RSRC2:TIDIG_COMP_CNT: 0
; COMPUTE_PGM_RSRC3_GFX90A:ACCUM_OFFSET: 0
; COMPUTE_PGM_RSRC3_GFX90A:TG_SPLIT: 0
	.section	.text._ZN7rocprim17ROCPRIM_400000_NS6detail17trampoline_kernelINS0_14default_configENS1_25partition_config_selectorILNS1_17partition_subalgoE3EjNS0_10empty_typeEbEEZZNS1_14partition_implILS5_3ELb0ES3_jN6thrust23THRUST_200600_302600_NS6detail15normal_iteratorINSA_7pointerIjNSA_11hip_rocprim3tagENSA_11use_defaultESG_EEEEPS6_SJ_NS0_5tupleIJPjSJ_EEENSK_IJSJ_SJ_EEES6_PlJ7is_evenIjEEEE10hipError_tPvRmT3_T4_T5_T6_T7_T9_mT8_P12ihipStream_tbDpT10_ENKUlT_T0_E_clISt17integral_constantIbLb0EES1A_EEDaS15_S16_EUlS15_E_NS1_11comp_targetILNS1_3genE8ELNS1_11target_archE1030ELNS1_3gpuE2ELNS1_3repE0EEENS1_30default_config_static_selectorELNS0_4arch9wavefront6targetE1EEEvT1_,"axG",@progbits,_ZN7rocprim17ROCPRIM_400000_NS6detail17trampoline_kernelINS0_14default_configENS1_25partition_config_selectorILNS1_17partition_subalgoE3EjNS0_10empty_typeEbEEZZNS1_14partition_implILS5_3ELb0ES3_jN6thrust23THRUST_200600_302600_NS6detail15normal_iteratorINSA_7pointerIjNSA_11hip_rocprim3tagENSA_11use_defaultESG_EEEEPS6_SJ_NS0_5tupleIJPjSJ_EEENSK_IJSJ_SJ_EEES6_PlJ7is_evenIjEEEE10hipError_tPvRmT3_T4_T5_T6_T7_T9_mT8_P12ihipStream_tbDpT10_ENKUlT_T0_E_clISt17integral_constantIbLb0EES1A_EEDaS15_S16_EUlS15_E_NS1_11comp_targetILNS1_3genE8ELNS1_11target_archE1030ELNS1_3gpuE2ELNS1_3repE0EEENS1_30default_config_static_selectorELNS0_4arch9wavefront6targetE1EEEvT1_,comdat
	.protected	_ZN7rocprim17ROCPRIM_400000_NS6detail17trampoline_kernelINS0_14default_configENS1_25partition_config_selectorILNS1_17partition_subalgoE3EjNS0_10empty_typeEbEEZZNS1_14partition_implILS5_3ELb0ES3_jN6thrust23THRUST_200600_302600_NS6detail15normal_iteratorINSA_7pointerIjNSA_11hip_rocprim3tagENSA_11use_defaultESG_EEEEPS6_SJ_NS0_5tupleIJPjSJ_EEENSK_IJSJ_SJ_EEES6_PlJ7is_evenIjEEEE10hipError_tPvRmT3_T4_T5_T6_T7_T9_mT8_P12ihipStream_tbDpT10_ENKUlT_T0_E_clISt17integral_constantIbLb0EES1A_EEDaS15_S16_EUlS15_E_NS1_11comp_targetILNS1_3genE8ELNS1_11target_archE1030ELNS1_3gpuE2ELNS1_3repE0EEENS1_30default_config_static_selectorELNS0_4arch9wavefront6targetE1EEEvT1_ ; -- Begin function _ZN7rocprim17ROCPRIM_400000_NS6detail17trampoline_kernelINS0_14default_configENS1_25partition_config_selectorILNS1_17partition_subalgoE3EjNS0_10empty_typeEbEEZZNS1_14partition_implILS5_3ELb0ES3_jN6thrust23THRUST_200600_302600_NS6detail15normal_iteratorINSA_7pointerIjNSA_11hip_rocprim3tagENSA_11use_defaultESG_EEEEPS6_SJ_NS0_5tupleIJPjSJ_EEENSK_IJSJ_SJ_EEES6_PlJ7is_evenIjEEEE10hipError_tPvRmT3_T4_T5_T6_T7_T9_mT8_P12ihipStream_tbDpT10_ENKUlT_T0_E_clISt17integral_constantIbLb0EES1A_EEDaS15_S16_EUlS15_E_NS1_11comp_targetILNS1_3genE8ELNS1_11target_archE1030ELNS1_3gpuE2ELNS1_3repE0EEENS1_30default_config_static_selectorELNS0_4arch9wavefront6targetE1EEEvT1_
	.globl	_ZN7rocprim17ROCPRIM_400000_NS6detail17trampoline_kernelINS0_14default_configENS1_25partition_config_selectorILNS1_17partition_subalgoE3EjNS0_10empty_typeEbEEZZNS1_14partition_implILS5_3ELb0ES3_jN6thrust23THRUST_200600_302600_NS6detail15normal_iteratorINSA_7pointerIjNSA_11hip_rocprim3tagENSA_11use_defaultESG_EEEEPS6_SJ_NS0_5tupleIJPjSJ_EEENSK_IJSJ_SJ_EEES6_PlJ7is_evenIjEEEE10hipError_tPvRmT3_T4_T5_T6_T7_T9_mT8_P12ihipStream_tbDpT10_ENKUlT_T0_E_clISt17integral_constantIbLb0EES1A_EEDaS15_S16_EUlS15_E_NS1_11comp_targetILNS1_3genE8ELNS1_11target_archE1030ELNS1_3gpuE2ELNS1_3repE0EEENS1_30default_config_static_selectorELNS0_4arch9wavefront6targetE1EEEvT1_
	.p2align	8
	.type	_ZN7rocprim17ROCPRIM_400000_NS6detail17trampoline_kernelINS0_14default_configENS1_25partition_config_selectorILNS1_17partition_subalgoE3EjNS0_10empty_typeEbEEZZNS1_14partition_implILS5_3ELb0ES3_jN6thrust23THRUST_200600_302600_NS6detail15normal_iteratorINSA_7pointerIjNSA_11hip_rocprim3tagENSA_11use_defaultESG_EEEEPS6_SJ_NS0_5tupleIJPjSJ_EEENSK_IJSJ_SJ_EEES6_PlJ7is_evenIjEEEE10hipError_tPvRmT3_T4_T5_T6_T7_T9_mT8_P12ihipStream_tbDpT10_ENKUlT_T0_E_clISt17integral_constantIbLb0EES1A_EEDaS15_S16_EUlS15_E_NS1_11comp_targetILNS1_3genE8ELNS1_11target_archE1030ELNS1_3gpuE2ELNS1_3repE0EEENS1_30default_config_static_selectorELNS0_4arch9wavefront6targetE1EEEvT1_,@function
_ZN7rocprim17ROCPRIM_400000_NS6detail17trampoline_kernelINS0_14default_configENS1_25partition_config_selectorILNS1_17partition_subalgoE3EjNS0_10empty_typeEbEEZZNS1_14partition_implILS5_3ELb0ES3_jN6thrust23THRUST_200600_302600_NS6detail15normal_iteratorINSA_7pointerIjNSA_11hip_rocprim3tagENSA_11use_defaultESG_EEEEPS6_SJ_NS0_5tupleIJPjSJ_EEENSK_IJSJ_SJ_EEES6_PlJ7is_evenIjEEEE10hipError_tPvRmT3_T4_T5_T6_T7_T9_mT8_P12ihipStream_tbDpT10_ENKUlT_T0_E_clISt17integral_constantIbLb0EES1A_EEDaS15_S16_EUlS15_E_NS1_11comp_targetILNS1_3genE8ELNS1_11target_archE1030ELNS1_3gpuE2ELNS1_3repE0EEENS1_30default_config_static_selectorELNS0_4arch9wavefront6targetE1EEEvT1_: ; @_ZN7rocprim17ROCPRIM_400000_NS6detail17trampoline_kernelINS0_14default_configENS1_25partition_config_selectorILNS1_17partition_subalgoE3EjNS0_10empty_typeEbEEZZNS1_14partition_implILS5_3ELb0ES3_jN6thrust23THRUST_200600_302600_NS6detail15normal_iteratorINSA_7pointerIjNSA_11hip_rocprim3tagENSA_11use_defaultESG_EEEEPS6_SJ_NS0_5tupleIJPjSJ_EEENSK_IJSJ_SJ_EEES6_PlJ7is_evenIjEEEE10hipError_tPvRmT3_T4_T5_T6_T7_T9_mT8_P12ihipStream_tbDpT10_ENKUlT_T0_E_clISt17integral_constantIbLb0EES1A_EEDaS15_S16_EUlS15_E_NS1_11comp_targetILNS1_3genE8ELNS1_11target_archE1030ELNS1_3gpuE2ELNS1_3repE0EEENS1_30default_config_static_selectorELNS0_4arch9wavefront6targetE1EEEvT1_
; %bb.0:
	.section	.rodata,"a",@progbits
	.p2align	6, 0x0
	.amdhsa_kernel _ZN7rocprim17ROCPRIM_400000_NS6detail17trampoline_kernelINS0_14default_configENS1_25partition_config_selectorILNS1_17partition_subalgoE3EjNS0_10empty_typeEbEEZZNS1_14partition_implILS5_3ELb0ES3_jN6thrust23THRUST_200600_302600_NS6detail15normal_iteratorINSA_7pointerIjNSA_11hip_rocprim3tagENSA_11use_defaultESG_EEEEPS6_SJ_NS0_5tupleIJPjSJ_EEENSK_IJSJ_SJ_EEES6_PlJ7is_evenIjEEEE10hipError_tPvRmT3_T4_T5_T6_T7_T9_mT8_P12ihipStream_tbDpT10_ENKUlT_T0_E_clISt17integral_constantIbLb0EES1A_EEDaS15_S16_EUlS15_E_NS1_11comp_targetILNS1_3genE8ELNS1_11target_archE1030ELNS1_3gpuE2ELNS1_3repE0EEENS1_30default_config_static_selectorELNS0_4arch9wavefront6targetE1EEEvT1_
		.amdhsa_group_segment_fixed_size 0
		.amdhsa_private_segment_fixed_size 0
		.amdhsa_kernarg_size 120
		.amdhsa_user_sgpr_count 6
		.amdhsa_user_sgpr_private_segment_buffer 1
		.amdhsa_user_sgpr_dispatch_ptr 0
		.amdhsa_user_sgpr_queue_ptr 0
		.amdhsa_user_sgpr_kernarg_segment_ptr 1
		.amdhsa_user_sgpr_dispatch_id 0
		.amdhsa_user_sgpr_flat_scratch_init 0
		.amdhsa_user_sgpr_kernarg_preload_length 0
		.amdhsa_user_sgpr_kernarg_preload_offset 0
		.amdhsa_user_sgpr_private_segment_size 0
		.amdhsa_uses_dynamic_stack 0
		.amdhsa_system_sgpr_private_segment_wavefront_offset 0
		.amdhsa_system_sgpr_workgroup_id_x 1
		.amdhsa_system_sgpr_workgroup_id_y 0
		.amdhsa_system_sgpr_workgroup_id_z 0
		.amdhsa_system_sgpr_workgroup_info 0
		.amdhsa_system_vgpr_workitem_id 0
		.amdhsa_next_free_vgpr 1
		.amdhsa_next_free_sgpr 0
		.amdhsa_accum_offset 4
		.amdhsa_reserve_vcc 0
		.amdhsa_reserve_flat_scratch 0
		.amdhsa_float_round_mode_32 0
		.amdhsa_float_round_mode_16_64 0
		.amdhsa_float_denorm_mode_32 3
		.amdhsa_float_denorm_mode_16_64 3
		.amdhsa_dx10_clamp 1
		.amdhsa_ieee_mode 1
		.amdhsa_fp16_overflow 0
		.amdhsa_tg_split 0
		.amdhsa_exception_fp_ieee_invalid_op 0
		.amdhsa_exception_fp_denorm_src 0
		.amdhsa_exception_fp_ieee_div_zero 0
		.amdhsa_exception_fp_ieee_overflow 0
		.amdhsa_exception_fp_ieee_underflow 0
		.amdhsa_exception_fp_ieee_inexact 0
		.amdhsa_exception_int_div_zero 0
	.end_amdhsa_kernel
	.section	.text._ZN7rocprim17ROCPRIM_400000_NS6detail17trampoline_kernelINS0_14default_configENS1_25partition_config_selectorILNS1_17partition_subalgoE3EjNS0_10empty_typeEbEEZZNS1_14partition_implILS5_3ELb0ES3_jN6thrust23THRUST_200600_302600_NS6detail15normal_iteratorINSA_7pointerIjNSA_11hip_rocprim3tagENSA_11use_defaultESG_EEEEPS6_SJ_NS0_5tupleIJPjSJ_EEENSK_IJSJ_SJ_EEES6_PlJ7is_evenIjEEEE10hipError_tPvRmT3_T4_T5_T6_T7_T9_mT8_P12ihipStream_tbDpT10_ENKUlT_T0_E_clISt17integral_constantIbLb0EES1A_EEDaS15_S16_EUlS15_E_NS1_11comp_targetILNS1_3genE8ELNS1_11target_archE1030ELNS1_3gpuE2ELNS1_3repE0EEENS1_30default_config_static_selectorELNS0_4arch9wavefront6targetE1EEEvT1_,"axG",@progbits,_ZN7rocprim17ROCPRIM_400000_NS6detail17trampoline_kernelINS0_14default_configENS1_25partition_config_selectorILNS1_17partition_subalgoE3EjNS0_10empty_typeEbEEZZNS1_14partition_implILS5_3ELb0ES3_jN6thrust23THRUST_200600_302600_NS6detail15normal_iteratorINSA_7pointerIjNSA_11hip_rocprim3tagENSA_11use_defaultESG_EEEEPS6_SJ_NS0_5tupleIJPjSJ_EEENSK_IJSJ_SJ_EEES6_PlJ7is_evenIjEEEE10hipError_tPvRmT3_T4_T5_T6_T7_T9_mT8_P12ihipStream_tbDpT10_ENKUlT_T0_E_clISt17integral_constantIbLb0EES1A_EEDaS15_S16_EUlS15_E_NS1_11comp_targetILNS1_3genE8ELNS1_11target_archE1030ELNS1_3gpuE2ELNS1_3repE0EEENS1_30default_config_static_selectorELNS0_4arch9wavefront6targetE1EEEvT1_,comdat
.Lfunc_end926:
	.size	_ZN7rocprim17ROCPRIM_400000_NS6detail17trampoline_kernelINS0_14default_configENS1_25partition_config_selectorILNS1_17partition_subalgoE3EjNS0_10empty_typeEbEEZZNS1_14partition_implILS5_3ELb0ES3_jN6thrust23THRUST_200600_302600_NS6detail15normal_iteratorINSA_7pointerIjNSA_11hip_rocprim3tagENSA_11use_defaultESG_EEEEPS6_SJ_NS0_5tupleIJPjSJ_EEENSK_IJSJ_SJ_EEES6_PlJ7is_evenIjEEEE10hipError_tPvRmT3_T4_T5_T6_T7_T9_mT8_P12ihipStream_tbDpT10_ENKUlT_T0_E_clISt17integral_constantIbLb0EES1A_EEDaS15_S16_EUlS15_E_NS1_11comp_targetILNS1_3genE8ELNS1_11target_archE1030ELNS1_3gpuE2ELNS1_3repE0EEENS1_30default_config_static_selectorELNS0_4arch9wavefront6targetE1EEEvT1_, .Lfunc_end926-_ZN7rocprim17ROCPRIM_400000_NS6detail17trampoline_kernelINS0_14default_configENS1_25partition_config_selectorILNS1_17partition_subalgoE3EjNS0_10empty_typeEbEEZZNS1_14partition_implILS5_3ELb0ES3_jN6thrust23THRUST_200600_302600_NS6detail15normal_iteratorINSA_7pointerIjNSA_11hip_rocprim3tagENSA_11use_defaultESG_EEEEPS6_SJ_NS0_5tupleIJPjSJ_EEENSK_IJSJ_SJ_EEES6_PlJ7is_evenIjEEEE10hipError_tPvRmT3_T4_T5_T6_T7_T9_mT8_P12ihipStream_tbDpT10_ENKUlT_T0_E_clISt17integral_constantIbLb0EES1A_EEDaS15_S16_EUlS15_E_NS1_11comp_targetILNS1_3genE8ELNS1_11target_archE1030ELNS1_3gpuE2ELNS1_3repE0EEENS1_30default_config_static_selectorELNS0_4arch9wavefront6targetE1EEEvT1_
                                        ; -- End function
	.section	.AMDGPU.csdata,"",@progbits
; Kernel info:
; codeLenInByte = 0
; NumSgprs: 4
; NumVgprs: 0
; NumAgprs: 0
; TotalNumVgprs: 0
; ScratchSize: 0
; MemoryBound: 0
; FloatMode: 240
; IeeeMode: 1
; LDSByteSize: 0 bytes/workgroup (compile time only)
; SGPRBlocks: 0
; VGPRBlocks: 0
; NumSGPRsForWavesPerEU: 4
; NumVGPRsForWavesPerEU: 1
; AccumOffset: 4
; Occupancy: 8
; WaveLimiterHint : 0
; COMPUTE_PGM_RSRC2:SCRATCH_EN: 0
; COMPUTE_PGM_RSRC2:USER_SGPR: 6
; COMPUTE_PGM_RSRC2:TRAP_HANDLER: 0
; COMPUTE_PGM_RSRC2:TGID_X_EN: 1
; COMPUTE_PGM_RSRC2:TGID_Y_EN: 0
; COMPUTE_PGM_RSRC2:TGID_Z_EN: 0
; COMPUTE_PGM_RSRC2:TIDIG_COMP_CNT: 0
; COMPUTE_PGM_RSRC3_GFX90A:ACCUM_OFFSET: 0
; COMPUTE_PGM_RSRC3_GFX90A:TG_SPLIT: 0
	.section	.text._ZN7rocprim17ROCPRIM_400000_NS6detail17trampoline_kernelINS0_14default_configENS1_25partition_config_selectorILNS1_17partition_subalgoE3EjNS0_10empty_typeEbEEZZNS1_14partition_implILS5_3ELb0ES3_jN6thrust23THRUST_200600_302600_NS6detail15normal_iteratorINSA_7pointerIjNSA_11hip_rocprim3tagENSA_11use_defaultESG_EEEEPS6_SJ_NS0_5tupleIJPjSJ_EEENSK_IJSJ_SJ_EEES6_PlJ7is_evenIjEEEE10hipError_tPvRmT3_T4_T5_T6_T7_T9_mT8_P12ihipStream_tbDpT10_ENKUlT_T0_E_clISt17integral_constantIbLb1EES1A_EEDaS15_S16_EUlS15_E_NS1_11comp_targetILNS1_3genE0ELNS1_11target_archE4294967295ELNS1_3gpuE0ELNS1_3repE0EEENS1_30default_config_static_selectorELNS0_4arch9wavefront6targetE1EEEvT1_,"axG",@progbits,_ZN7rocprim17ROCPRIM_400000_NS6detail17trampoline_kernelINS0_14default_configENS1_25partition_config_selectorILNS1_17partition_subalgoE3EjNS0_10empty_typeEbEEZZNS1_14partition_implILS5_3ELb0ES3_jN6thrust23THRUST_200600_302600_NS6detail15normal_iteratorINSA_7pointerIjNSA_11hip_rocprim3tagENSA_11use_defaultESG_EEEEPS6_SJ_NS0_5tupleIJPjSJ_EEENSK_IJSJ_SJ_EEES6_PlJ7is_evenIjEEEE10hipError_tPvRmT3_T4_T5_T6_T7_T9_mT8_P12ihipStream_tbDpT10_ENKUlT_T0_E_clISt17integral_constantIbLb1EES1A_EEDaS15_S16_EUlS15_E_NS1_11comp_targetILNS1_3genE0ELNS1_11target_archE4294967295ELNS1_3gpuE0ELNS1_3repE0EEENS1_30default_config_static_selectorELNS0_4arch9wavefront6targetE1EEEvT1_,comdat
	.protected	_ZN7rocprim17ROCPRIM_400000_NS6detail17trampoline_kernelINS0_14default_configENS1_25partition_config_selectorILNS1_17partition_subalgoE3EjNS0_10empty_typeEbEEZZNS1_14partition_implILS5_3ELb0ES3_jN6thrust23THRUST_200600_302600_NS6detail15normal_iteratorINSA_7pointerIjNSA_11hip_rocprim3tagENSA_11use_defaultESG_EEEEPS6_SJ_NS0_5tupleIJPjSJ_EEENSK_IJSJ_SJ_EEES6_PlJ7is_evenIjEEEE10hipError_tPvRmT3_T4_T5_T6_T7_T9_mT8_P12ihipStream_tbDpT10_ENKUlT_T0_E_clISt17integral_constantIbLb1EES1A_EEDaS15_S16_EUlS15_E_NS1_11comp_targetILNS1_3genE0ELNS1_11target_archE4294967295ELNS1_3gpuE0ELNS1_3repE0EEENS1_30default_config_static_selectorELNS0_4arch9wavefront6targetE1EEEvT1_ ; -- Begin function _ZN7rocprim17ROCPRIM_400000_NS6detail17trampoline_kernelINS0_14default_configENS1_25partition_config_selectorILNS1_17partition_subalgoE3EjNS0_10empty_typeEbEEZZNS1_14partition_implILS5_3ELb0ES3_jN6thrust23THRUST_200600_302600_NS6detail15normal_iteratorINSA_7pointerIjNSA_11hip_rocprim3tagENSA_11use_defaultESG_EEEEPS6_SJ_NS0_5tupleIJPjSJ_EEENSK_IJSJ_SJ_EEES6_PlJ7is_evenIjEEEE10hipError_tPvRmT3_T4_T5_T6_T7_T9_mT8_P12ihipStream_tbDpT10_ENKUlT_T0_E_clISt17integral_constantIbLb1EES1A_EEDaS15_S16_EUlS15_E_NS1_11comp_targetILNS1_3genE0ELNS1_11target_archE4294967295ELNS1_3gpuE0ELNS1_3repE0EEENS1_30default_config_static_selectorELNS0_4arch9wavefront6targetE1EEEvT1_
	.globl	_ZN7rocprim17ROCPRIM_400000_NS6detail17trampoline_kernelINS0_14default_configENS1_25partition_config_selectorILNS1_17partition_subalgoE3EjNS0_10empty_typeEbEEZZNS1_14partition_implILS5_3ELb0ES3_jN6thrust23THRUST_200600_302600_NS6detail15normal_iteratorINSA_7pointerIjNSA_11hip_rocprim3tagENSA_11use_defaultESG_EEEEPS6_SJ_NS0_5tupleIJPjSJ_EEENSK_IJSJ_SJ_EEES6_PlJ7is_evenIjEEEE10hipError_tPvRmT3_T4_T5_T6_T7_T9_mT8_P12ihipStream_tbDpT10_ENKUlT_T0_E_clISt17integral_constantIbLb1EES1A_EEDaS15_S16_EUlS15_E_NS1_11comp_targetILNS1_3genE0ELNS1_11target_archE4294967295ELNS1_3gpuE0ELNS1_3repE0EEENS1_30default_config_static_selectorELNS0_4arch9wavefront6targetE1EEEvT1_
	.p2align	8
	.type	_ZN7rocprim17ROCPRIM_400000_NS6detail17trampoline_kernelINS0_14default_configENS1_25partition_config_selectorILNS1_17partition_subalgoE3EjNS0_10empty_typeEbEEZZNS1_14partition_implILS5_3ELb0ES3_jN6thrust23THRUST_200600_302600_NS6detail15normal_iteratorINSA_7pointerIjNSA_11hip_rocprim3tagENSA_11use_defaultESG_EEEEPS6_SJ_NS0_5tupleIJPjSJ_EEENSK_IJSJ_SJ_EEES6_PlJ7is_evenIjEEEE10hipError_tPvRmT3_T4_T5_T6_T7_T9_mT8_P12ihipStream_tbDpT10_ENKUlT_T0_E_clISt17integral_constantIbLb1EES1A_EEDaS15_S16_EUlS15_E_NS1_11comp_targetILNS1_3genE0ELNS1_11target_archE4294967295ELNS1_3gpuE0ELNS1_3repE0EEENS1_30default_config_static_selectorELNS0_4arch9wavefront6targetE1EEEvT1_,@function
_ZN7rocprim17ROCPRIM_400000_NS6detail17trampoline_kernelINS0_14default_configENS1_25partition_config_selectorILNS1_17partition_subalgoE3EjNS0_10empty_typeEbEEZZNS1_14partition_implILS5_3ELb0ES3_jN6thrust23THRUST_200600_302600_NS6detail15normal_iteratorINSA_7pointerIjNSA_11hip_rocprim3tagENSA_11use_defaultESG_EEEEPS6_SJ_NS0_5tupleIJPjSJ_EEENSK_IJSJ_SJ_EEES6_PlJ7is_evenIjEEEE10hipError_tPvRmT3_T4_T5_T6_T7_T9_mT8_P12ihipStream_tbDpT10_ENKUlT_T0_E_clISt17integral_constantIbLb1EES1A_EEDaS15_S16_EUlS15_E_NS1_11comp_targetILNS1_3genE0ELNS1_11target_archE4294967295ELNS1_3gpuE0ELNS1_3repE0EEENS1_30default_config_static_selectorELNS0_4arch9wavefront6targetE1EEEvT1_: ; @_ZN7rocprim17ROCPRIM_400000_NS6detail17trampoline_kernelINS0_14default_configENS1_25partition_config_selectorILNS1_17partition_subalgoE3EjNS0_10empty_typeEbEEZZNS1_14partition_implILS5_3ELb0ES3_jN6thrust23THRUST_200600_302600_NS6detail15normal_iteratorINSA_7pointerIjNSA_11hip_rocprim3tagENSA_11use_defaultESG_EEEEPS6_SJ_NS0_5tupleIJPjSJ_EEENSK_IJSJ_SJ_EEES6_PlJ7is_evenIjEEEE10hipError_tPvRmT3_T4_T5_T6_T7_T9_mT8_P12ihipStream_tbDpT10_ENKUlT_T0_E_clISt17integral_constantIbLb1EES1A_EEDaS15_S16_EUlS15_E_NS1_11comp_targetILNS1_3genE0ELNS1_11target_archE4294967295ELNS1_3gpuE0ELNS1_3repE0EEENS1_30default_config_static_selectorELNS0_4arch9wavefront6targetE1EEEvT1_
; %bb.0:
	.section	.rodata,"a",@progbits
	.p2align	6, 0x0
	.amdhsa_kernel _ZN7rocprim17ROCPRIM_400000_NS6detail17trampoline_kernelINS0_14default_configENS1_25partition_config_selectorILNS1_17partition_subalgoE3EjNS0_10empty_typeEbEEZZNS1_14partition_implILS5_3ELb0ES3_jN6thrust23THRUST_200600_302600_NS6detail15normal_iteratorINSA_7pointerIjNSA_11hip_rocprim3tagENSA_11use_defaultESG_EEEEPS6_SJ_NS0_5tupleIJPjSJ_EEENSK_IJSJ_SJ_EEES6_PlJ7is_evenIjEEEE10hipError_tPvRmT3_T4_T5_T6_T7_T9_mT8_P12ihipStream_tbDpT10_ENKUlT_T0_E_clISt17integral_constantIbLb1EES1A_EEDaS15_S16_EUlS15_E_NS1_11comp_targetILNS1_3genE0ELNS1_11target_archE4294967295ELNS1_3gpuE0ELNS1_3repE0EEENS1_30default_config_static_selectorELNS0_4arch9wavefront6targetE1EEEvT1_
		.amdhsa_group_segment_fixed_size 0
		.amdhsa_private_segment_fixed_size 0
		.amdhsa_kernarg_size 136
		.amdhsa_user_sgpr_count 6
		.amdhsa_user_sgpr_private_segment_buffer 1
		.amdhsa_user_sgpr_dispatch_ptr 0
		.amdhsa_user_sgpr_queue_ptr 0
		.amdhsa_user_sgpr_kernarg_segment_ptr 1
		.amdhsa_user_sgpr_dispatch_id 0
		.amdhsa_user_sgpr_flat_scratch_init 0
		.amdhsa_user_sgpr_kernarg_preload_length 0
		.amdhsa_user_sgpr_kernarg_preload_offset 0
		.amdhsa_user_sgpr_private_segment_size 0
		.amdhsa_uses_dynamic_stack 0
		.amdhsa_system_sgpr_private_segment_wavefront_offset 0
		.amdhsa_system_sgpr_workgroup_id_x 1
		.amdhsa_system_sgpr_workgroup_id_y 0
		.amdhsa_system_sgpr_workgroup_id_z 0
		.amdhsa_system_sgpr_workgroup_info 0
		.amdhsa_system_vgpr_workitem_id 0
		.amdhsa_next_free_vgpr 1
		.amdhsa_next_free_sgpr 0
		.amdhsa_accum_offset 4
		.amdhsa_reserve_vcc 0
		.amdhsa_reserve_flat_scratch 0
		.amdhsa_float_round_mode_32 0
		.amdhsa_float_round_mode_16_64 0
		.amdhsa_float_denorm_mode_32 3
		.amdhsa_float_denorm_mode_16_64 3
		.amdhsa_dx10_clamp 1
		.amdhsa_ieee_mode 1
		.amdhsa_fp16_overflow 0
		.amdhsa_tg_split 0
		.amdhsa_exception_fp_ieee_invalid_op 0
		.amdhsa_exception_fp_denorm_src 0
		.amdhsa_exception_fp_ieee_div_zero 0
		.amdhsa_exception_fp_ieee_overflow 0
		.amdhsa_exception_fp_ieee_underflow 0
		.amdhsa_exception_fp_ieee_inexact 0
		.amdhsa_exception_int_div_zero 0
	.end_amdhsa_kernel
	.section	.text._ZN7rocprim17ROCPRIM_400000_NS6detail17trampoline_kernelINS0_14default_configENS1_25partition_config_selectorILNS1_17partition_subalgoE3EjNS0_10empty_typeEbEEZZNS1_14partition_implILS5_3ELb0ES3_jN6thrust23THRUST_200600_302600_NS6detail15normal_iteratorINSA_7pointerIjNSA_11hip_rocprim3tagENSA_11use_defaultESG_EEEEPS6_SJ_NS0_5tupleIJPjSJ_EEENSK_IJSJ_SJ_EEES6_PlJ7is_evenIjEEEE10hipError_tPvRmT3_T4_T5_T6_T7_T9_mT8_P12ihipStream_tbDpT10_ENKUlT_T0_E_clISt17integral_constantIbLb1EES1A_EEDaS15_S16_EUlS15_E_NS1_11comp_targetILNS1_3genE0ELNS1_11target_archE4294967295ELNS1_3gpuE0ELNS1_3repE0EEENS1_30default_config_static_selectorELNS0_4arch9wavefront6targetE1EEEvT1_,"axG",@progbits,_ZN7rocprim17ROCPRIM_400000_NS6detail17trampoline_kernelINS0_14default_configENS1_25partition_config_selectorILNS1_17partition_subalgoE3EjNS0_10empty_typeEbEEZZNS1_14partition_implILS5_3ELb0ES3_jN6thrust23THRUST_200600_302600_NS6detail15normal_iteratorINSA_7pointerIjNSA_11hip_rocprim3tagENSA_11use_defaultESG_EEEEPS6_SJ_NS0_5tupleIJPjSJ_EEENSK_IJSJ_SJ_EEES6_PlJ7is_evenIjEEEE10hipError_tPvRmT3_T4_T5_T6_T7_T9_mT8_P12ihipStream_tbDpT10_ENKUlT_T0_E_clISt17integral_constantIbLb1EES1A_EEDaS15_S16_EUlS15_E_NS1_11comp_targetILNS1_3genE0ELNS1_11target_archE4294967295ELNS1_3gpuE0ELNS1_3repE0EEENS1_30default_config_static_selectorELNS0_4arch9wavefront6targetE1EEEvT1_,comdat
.Lfunc_end927:
	.size	_ZN7rocprim17ROCPRIM_400000_NS6detail17trampoline_kernelINS0_14default_configENS1_25partition_config_selectorILNS1_17partition_subalgoE3EjNS0_10empty_typeEbEEZZNS1_14partition_implILS5_3ELb0ES3_jN6thrust23THRUST_200600_302600_NS6detail15normal_iteratorINSA_7pointerIjNSA_11hip_rocprim3tagENSA_11use_defaultESG_EEEEPS6_SJ_NS0_5tupleIJPjSJ_EEENSK_IJSJ_SJ_EEES6_PlJ7is_evenIjEEEE10hipError_tPvRmT3_T4_T5_T6_T7_T9_mT8_P12ihipStream_tbDpT10_ENKUlT_T0_E_clISt17integral_constantIbLb1EES1A_EEDaS15_S16_EUlS15_E_NS1_11comp_targetILNS1_3genE0ELNS1_11target_archE4294967295ELNS1_3gpuE0ELNS1_3repE0EEENS1_30default_config_static_selectorELNS0_4arch9wavefront6targetE1EEEvT1_, .Lfunc_end927-_ZN7rocprim17ROCPRIM_400000_NS6detail17trampoline_kernelINS0_14default_configENS1_25partition_config_selectorILNS1_17partition_subalgoE3EjNS0_10empty_typeEbEEZZNS1_14partition_implILS5_3ELb0ES3_jN6thrust23THRUST_200600_302600_NS6detail15normal_iteratorINSA_7pointerIjNSA_11hip_rocprim3tagENSA_11use_defaultESG_EEEEPS6_SJ_NS0_5tupleIJPjSJ_EEENSK_IJSJ_SJ_EEES6_PlJ7is_evenIjEEEE10hipError_tPvRmT3_T4_T5_T6_T7_T9_mT8_P12ihipStream_tbDpT10_ENKUlT_T0_E_clISt17integral_constantIbLb1EES1A_EEDaS15_S16_EUlS15_E_NS1_11comp_targetILNS1_3genE0ELNS1_11target_archE4294967295ELNS1_3gpuE0ELNS1_3repE0EEENS1_30default_config_static_selectorELNS0_4arch9wavefront6targetE1EEEvT1_
                                        ; -- End function
	.section	.AMDGPU.csdata,"",@progbits
; Kernel info:
; codeLenInByte = 0
; NumSgprs: 4
; NumVgprs: 0
; NumAgprs: 0
; TotalNumVgprs: 0
; ScratchSize: 0
; MemoryBound: 0
; FloatMode: 240
; IeeeMode: 1
; LDSByteSize: 0 bytes/workgroup (compile time only)
; SGPRBlocks: 0
; VGPRBlocks: 0
; NumSGPRsForWavesPerEU: 4
; NumVGPRsForWavesPerEU: 1
; AccumOffset: 4
; Occupancy: 8
; WaveLimiterHint : 0
; COMPUTE_PGM_RSRC2:SCRATCH_EN: 0
; COMPUTE_PGM_RSRC2:USER_SGPR: 6
; COMPUTE_PGM_RSRC2:TRAP_HANDLER: 0
; COMPUTE_PGM_RSRC2:TGID_X_EN: 1
; COMPUTE_PGM_RSRC2:TGID_Y_EN: 0
; COMPUTE_PGM_RSRC2:TGID_Z_EN: 0
; COMPUTE_PGM_RSRC2:TIDIG_COMP_CNT: 0
; COMPUTE_PGM_RSRC3_GFX90A:ACCUM_OFFSET: 0
; COMPUTE_PGM_RSRC3_GFX90A:TG_SPLIT: 0
	.section	.text._ZN7rocprim17ROCPRIM_400000_NS6detail17trampoline_kernelINS0_14default_configENS1_25partition_config_selectorILNS1_17partition_subalgoE3EjNS0_10empty_typeEbEEZZNS1_14partition_implILS5_3ELb0ES3_jN6thrust23THRUST_200600_302600_NS6detail15normal_iteratorINSA_7pointerIjNSA_11hip_rocprim3tagENSA_11use_defaultESG_EEEEPS6_SJ_NS0_5tupleIJPjSJ_EEENSK_IJSJ_SJ_EEES6_PlJ7is_evenIjEEEE10hipError_tPvRmT3_T4_T5_T6_T7_T9_mT8_P12ihipStream_tbDpT10_ENKUlT_T0_E_clISt17integral_constantIbLb1EES1A_EEDaS15_S16_EUlS15_E_NS1_11comp_targetILNS1_3genE5ELNS1_11target_archE942ELNS1_3gpuE9ELNS1_3repE0EEENS1_30default_config_static_selectorELNS0_4arch9wavefront6targetE1EEEvT1_,"axG",@progbits,_ZN7rocprim17ROCPRIM_400000_NS6detail17trampoline_kernelINS0_14default_configENS1_25partition_config_selectorILNS1_17partition_subalgoE3EjNS0_10empty_typeEbEEZZNS1_14partition_implILS5_3ELb0ES3_jN6thrust23THRUST_200600_302600_NS6detail15normal_iteratorINSA_7pointerIjNSA_11hip_rocprim3tagENSA_11use_defaultESG_EEEEPS6_SJ_NS0_5tupleIJPjSJ_EEENSK_IJSJ_SJ_EEES6_PlJ7is_evenIjEEEE10hipError_tPvRmT3_T4_T5_T6_T7_T9_mT8_P12ihipStream_tbDpT10_ENKUlT_T0_E_clISt17integral_constantIbLb1EES1A_EEDaS15_S16_EUlS15_E_NS1_11comp_targetILNS1_3genE5ELNS1_11target_archE942ELNS1_3gpuE9ELNS1_3repE0EEENS1_30default_config_static_selectorELNS0_4arch9wavefront6targetE1EEEvT1_,comdat
	.protected	_ZN7rocprim17ROCPRIM_400000_NS6detail17trampoline_kernelINS0_14default_configENS1_25partition_config_selectorILNS1_17partition_subalgoE3EjNS0_10empty_typeEbEEZZNS1_14partition_implILS5_3ELb0ES3_jN6thrust23THRUST_200600_302600_NS6detail15normal_iteratorINSA_7pointerIjNSA_11hip_rocprim3tagENSA_11use_defaultESG_EEEEPS6_SJ_NS0_5tupleIJPjSJ_EEENSK_IJSJ_SJ_EEES6_PlJ7is_evenIjEEEE10hipError_tPvRmT3_T4_T5_T6_T7_T9_mT8_P12ihipStream_tbDpT10_ENKUlT_T0_E_clISt17integral_constantIbLb1EES1A_EEDaS15_S16_EUlS15_E_NS1_11comp_targetILNS1_3genE5ELNS1_11target_archE942ELNS1_3gpuE9ELNS1_3repE0EEENS1_30default_config_static_selectorELNS0_4arch9wavefront6targetE1EEEvT1_ ; -- Begin function _ZN7rocprim17ROCPRIM_400000_NS6detail17trampoline_kernelINS0_14default_configENS1_25partition_config_selectorILNS1_17partition_subalgoE3EjNS0_10empty_typeEbEEZZNS1_14partition_implILS5_3ELb0ES3_jN6thrust23THRUST_200600_302600_NS6detail15normal_iteratorINSA_7pointerIjNSA_11hip_rocprim3tagENSA_11use_defaultESG_EEEEPS6_SJ_NS0_5tupleIJPjSJ_EEENSK_IJSJ_SJ_EEES6_PlJ7is_evenIjEEEE10hipError_tPvRmT3_T4_T5_T6_T7_T9_mT8_P12ihipStream_tbDpT10_ENKUlT_T0_E_clISt17integral_constantIbLb1EES1A_EEDaS15_S16_EUlS15_E_NS1_11comp_targetILNS1_3genE5ELNS1_11target_archE942ELNS1_3gpuE9ELNS1_3repE0EEENS1_30default_config_static_selectorELNS0_4arch9wavefront6targetE1EEEvT1_
	.globl	_ZN7rocprim17ROCPRIM_400000_NS6detail17trampoline_kernelINS0_14default_configENS1_25partition_config_selectorILNS1_17partition_subalgoE3EjNS0_10empty_typeEbEEZZNS1_14partition_implILS5_3ELb0ES3_jN6thrust23THRUST_200600_302600_NS6detail15normal_iteratorINSA_7pointerIjNSA_11hip_rocprim3tagENSA_11use_defaultESG_EEEEPS6_SJ_NS0_5tupleIJPjSJ_EEENSK_IJSJ_SJ_EEES6_PlJ7is_evenIjEEEE10hipError_tPvRmT3_T4_T5_T6_T7_T9_mT8_P12ihipStream_tbDpT10_ENKUlT_T0_E_clISt17integral_constantIbLb1EES1A_EEDaS15_S16_EUlS15_E_NS1_11comp_targetILNS1_3genE5ELNS1_11target_archE942ELNS1_3gpuE9ELNS1_3repE0EEENS1_30default_config_static_selectorELNS0_4arch9wavefront6targetE1EEEvT1_
	.p2align	8
	.type	_ZN7rocprim17ROCPRIM_400000_NS6detail17trampoline_kernelINS0_14default_configENS1_25partition_config_selectorILNS1_17partition_subalgoE3EjNS0_10empty_typeEbEEZZNS1_14partition_implILS5_3ELb0ES3_jN6thrust23THRUST_200600_302600_NS6detail15normal_iteratorINSA_7pointerIjNSA_11hip_rocprim3tagENSA_11use_defaultESG_EEEEPS6_SJ_NS0_5tupleIJPjSJ_EEENSK_IJSJ_SJ_EEES6_PlJ7is_evenIjEEEE10hipError_tPvRmT3_T4_T5_T6_T7_T9_mT8_P12ihipStream_tbDpT10_ENKUlT_T0_E_clISt17integral_constantIbLb1EES1A_EEDaS15_S16_EUlS15_E_NS1_11comp_targetILNS1_3genE5ELNS1_11target_archE942ELNS1_3gpuE9ELNS1_3repE0EEENS1_30default_config_static_selectorELNS0_4arch9wavefront6targetE1EEEvT1_,@function
_ZN7rocprim17ROCPRIM_400000_NS6detail17trampoline_kernelINS0_14default_configENS1_25partition_config_selectorILNS1_17partition_subalgoE3EjNS0_10empty_typeEbEEZZNS1_14partition_implILS5_3ELb0ES3_jN6thrust23THRUST_200600_302600_NS6detail15normal_iteratorINSA_7pointerIjNSA_11hip_rocprim3tagENSA_11use_defaultESG_EEEEPS6_SJ_NS0_5tupleIJPjSJ_EEENSK_IJSJ_SJ_EEES6_PlJ7is_evenIjEEEE10hipError_tPvRmT3_T4_T5_T6_T7_T9_mT8_P12ihipStream_tbDpT10_ENKUlT_T0_E_clISt17integral_constantIbLb1EES1A_EEDaS15_S16_EUlS15_E_NS1_11comp_targetILNS1_3genE5ELNS1_11target_archE942ELNS1_3gpuE9ELNS1_3repE0EEENS1_30default_config_static_selectorELNS0_4arch9wavefront6targetE1EEEvT1_: ; @_ZN7rocprim17ROCPRIM_400000_NS6detail17trampoline_kernelINS0_14default_configENS1_25partition_config_selectorILNS1_17partition_subalgoE3EjNS0_10empty_typeEbEEZZNS1_14partition_implILS5_3ELb0ES3_jN6thrust23THRUST_200600_302600_NS6detail15normal_iteratorINSA_7pointerIjNSA_11hip_rocprim3tagENSA_11use_defaultESG_EEEEPS6_SJ_NS0_5tupleIJPjSJ_EEENSK_IJSJ_SJ_EEES6_PlJ7is_evenIjEEEE10hipError_tPvRmT3_T4_T5_T6_T7_T9_mT8_P12ihipStream_tbDpT10_ENKUlT_T0_E_clISt17integral_constantIbLb1EES1A_EEDaS15_S16_EUlS15_E_NS1_11comp_targetILNS1_3genE5ELNS1_11target_archE942ELNS1_3gpuE9ELNS1_3repE0EEENS1_30default_config_static_selectorELNS0_4arch9wavefront6targetE1EEEvT1_
; %bb.0:
	.section	.rodata,"a",@progbits
	.p2align	6, 0x0
	.amdhsa_kernel _ZN7rocprim17ROCPRIM_400000_NS6detail17trampoline_kernelINS0_14default_configENS1_25partition_config_selectorILNS1_17partition_subalgoE3EjNS0_10empty_typeEbEEZZNS1_14partition_implILS5_3ELb0ES3_jN6thrust23THRUST_200600_302600_NS6detail15normal_iteratorINSA_7pointerIjNSA_11hip_rocprim3tagENSA_11use_defaultESG_EEEEPS6_SJ_NS0_5tupleIJPjSJ_EEENSK_IJSJ_SJ_EEES6_PlJ7is_evenIjEEEE10hipError_tPvRmT3_T4_T5_T6_T7_T9_mT8_P12ihipStream_tbDpT10_ENKUlT_T0_E_clISt17integral_constantIbLb1EES1A_EEDaS15_S16_EUlS15_E_NS1_11comp_targetILNS1_3genE5ELNS1_11target_archE942ELNS1_3gpuE9ELNS1_3repE0EEENS1_30default_config_static_selectorELNS0_4arch9wavefront6targetE1EEEvT1_
		.amdhsa_group_segment_fixed_size 0
		.amdhsa_private_segment_fixed_size 0
		.amdhsa_kernarg_size 136
		.amdhsa_user_sgpr_count 6
		.amdhsa_user_sgpr_private_segment_buffer 1
		.amdhsa_user_sgpr_dispatch_ptr 0
		.amdhsa_user_sgpr_queue_ptr 0
		.amdhsa_user_sgpr_kernarg_segment_ptr 1
		.amdhsa_user_sgpr_dispatch_id 0
		.amdhsa_user_sgpr_flat_scratch_init 0
		.amdhsa_user_sgpr_kernarg_preload_length 0
		.amdhsa_user_sgpr_kernarg_preload_offset 0
		.amdhsa_user_sgpr_private_segment_size 0
		.amdhsa_uses_dynamic_stack 0
		.amdhsa_system_sgpr_private_segment_wavefront_offset 0
		.amdhsa_system_sgpr_workgroup_id_x 1
		.amdhsa_system_sgpr_workgroup_id_y 0
		.amdhsa_system_sgpr_workgroup_id_z 0
		.amdhsa_system_sgpr_workgroup_info 0
		.amdhsa_system_vgpr_workitem_id 0
		.amdhsa_next_free_vgpr 1
		.amdhsa_next_free_sgpr 0
		.amdhsa_accum_offset 4
		.amdhsa_reserve_vcc 0
		.amdhsa_reserve_flat_scratch 0
		.amdhsa_float_round_mode_32 0
		.amdhsa_float_round_mode_16_64 0
		.amdhsa_float_denorm_mode_32 3
		.amdhsa_float_denorm_mode_16_64 3
		.amdhsa_dx10_clamp 1
		.amdhsa_ieee_mode 1
		.amdhsa_fp16_overflow 0
		.amdhsa_tg_split 0
		.amdhsa_exception_fp_ieee_invalid_op 0
		.amdhsa_exception_fp_denorm_src 0
		.amdhsa_exception_fp_ieee_div_zero 0
		.amdhsa_exception_fp_ieee_overflow 0
		.amdhsa_exception_fp_ieee_underflow 0
		.amdhsa_exception_fp_ieee_inexact 0
		.amdhsa_exception_int_div_zero 0
	.end_amdhsa_kernel
	.section	.text._ZN7rocprim17ROCPRIM_400000_NS6detail17trampoline_kernelINS0_14default_configENS1_25partition_config_selectorILNS1_17partition_subalgoE3EjNS0_10empty_typeEbEEZZNS1_14partition_implILS5_3ELb0ES3_jN6thrust23THRUST_200600_302600_NS6detail15normal_iteratorINSA_7pointerIjNSA_11hip_rocprim3tagENSA_11use_defaultESG_EEEEPS6_SJ_NS0_5tupleIJPjSJ_EEENSK_IJSJ_SJ_EEES6_PlJ7is_evenIjEEEE10hipError_tPvRmT3_T4_T5_T6_T7_T9_mT8_P12ihipStream_tbDpT10_ENKUlT_T0_E_clISt17integral_constantIbLb1EES1A_EEDaS15_S16_EUlS15_E_NS1_11comp_targetILNS1_3genE5ELNS1_11target_archE942ELNS1_3gpuE9ELNS1_3repE0EEENS1_30default_config_static_selectorELNS0_4arch9wavefront6targetE1EEEvT1_,"axG",@progbits,_ZN7rocprim17ROCPRIM_400000_NS6detail17trampoline_kernelINS0_14default_configENS1_25partition_config_selectorILNS1_17partition_subalgoE3EjNS0_10empty_typeEbEEZZNS1_14partition_implILS5_3ELb0ES3_jN6thrust23THRUST_200600_302600_NS6detail15normal_iteratorINSA_7pointerIjNSA_11hip_rocprim3tagENSA_11use_defaultESG_EEEEPS6_SJ_NS0_5tupleIJPjSJ_EEENSK_IJSJ_SJ_EEES6_PlJ7is_evenIjEEEE10hipError_tPvRmT3_T4_T5_T6_T7_T9_mT8_P12ihipStream_tbDpT10_ENKUlT_T0_E_clISt17integral_constantIbLb1EES1A_EEDaS15_S16_EUlS15_E_NS1_11comp_targetILNS1_3genE5ELNS1_11target_archE942ELNS1_3gpuE9ELNS1_3repE0EEENS1_30default_config_static_selectorELNS0_4arch9wavefront6targetE1EEEvT1_,comdat
.Lfunc_end928:
	.size	_ZN7rocprim17ROCPRIM_400000_NS6detail17trampoline_kernelINS0_14default_configENS1_25partition_config_selectorILNS1_17partition_subalgoE3EjNS0_10empty_typeEbEEZZNS1_14partition_implILS5_3ELb0ES3_jN6thrust23THRUST_200600_302600_NS6detail15normal_iteratorINSA_7pointerIjNSA_11hip_rocprim3tagENSA_11use_defaultESG_EEEEPS6_SJ_NS0_5tupleIJPjSJ_EEENSK_IJSJ_SJ_EEES6_PlJ7is_evenIjEEEE10hipError_tPvRmT3_T4_T5_T6_T7_T9_mT8_P12ihipStream_tbDpT10_ENKUlT_T0_E_clISt17integral_constantIbLb1EES1A_EEDaS15_S16_EUlS15_E_NS1_11comp_targetILNS1_3genE5ELNS1_11target_archE942ELNS1_3gpuE9ELNS1_3repE0EEENS1_30default_config_static_selectorELNS0_4arch9wavefront6targetE1EEEvT1_, .Lfunc_end928-_ZN7rocprim17ROCPRIM_400000_NS6detail17trampoline_kernelINS0_14default_configENS1_25partition_config_selectorILNS1_17partition_subalgoE3EjNS0_10empty_typeEbEEZZNS1_14partition_implILS5_3ELb0ES3_jN6thrust23THRUST_200600_302600_NS6detail15normal_iteratorINSA_7pointerIjNSA_11hip_rocprim3tagENSA_11use_defaultESG_EEEEPS6_SJ_NS0_5tupleIJPjSJ_EEENSK_IJSJ_SJ_EEES6_PlJ7is_evenIjEEEE10hipError_tPvRmT3_T4_T5_T6_T7_T9_mT8_P12ihipStream_tbDpT10_ENKUlT_T0_E_clISt17integral_constantIbLb1EES1A_EEDaS15_S16_EUlS15_E_NS1_11comp_targetILNS1_3genE5ELNS1_11target_archE942ELNS1_3gpuE9ELNS1_3repE0EEENS1_30default_config_static_selectorELNS0_4arch9wavefront6targetE1EEEvT1_
                                        ; -- End function
	.section	.AMDGPU.csdata,"",@progbits
; Kernel info:
; codeLenInByte = 0
; NumSgprs: 4
; NumVgprs: 0
; NumAgprs: 0
; TotalNumVgprs: 0
; ScratchSize: 0
; MemoryBound: 0
; FloatMode: 240
; IeeeMode: 1
; LDSByteSize: 0 bytes/workgroup (compile time only)
; SGPRBlocks: 0
; VGPRBlocks: 0
; NumSGPRsForWavesPerEU: 4
; NumVGPRsForWavesPerEU: 1
; AccumOffset: 4
; Occupancy: 8
; WaveLimiterHint : 0
; COMPUTE_PGM_RSRC2:SCRATCH_EN: 0
; COMPUTE_PGM_RSRC2:USER_SGPR: 6
; COMPUTE_PGM_RSRC2:TRAP_HANDLER: 0
; COMPUTE_PGM_RSRC2:TGID_X_EN: 1
; COMPUTE_PGM_RSRC2:TGID_Y_EN: 0
; COMPUTE_PGM_RSRC2:TGID_Z_EN: 0
; COMPUTE_PGM_RSRC2:TIDIG_COMP_CNT: 0
; COMPUTE_PGM_RSRC3_GFX90A:ACCUM_OFFSET: 0
; COMPUTE_PGM_RSRC3_GFX90A:TG_SPLIT: 0
	.section	.text._ZN7rocprim17ROCPRIM_400000_NS6detail17trampoline_kernelINS0_14default_configENS1_25partition_config_selectorILNS1_17partition_subalgoE3EjNS0_10empty_typeEbEEZZNS1_14partition_implILS5_3ELb0ES3_jN6thrust23THRUST_200600_302600_NS6detail15normal_iteratorINSA_7pointerIjNSA_11hip_rocprim3tagENSA_11use_defaultESG_EEEEPS6_SJ_NS0_5tupleIJPjSJ_EEENSK_IJSJ_SJ_EEES6_PlJ7is_evenIjEEEE10hipError_tPvRmT3_T4_T5_T6_T7_T9_mT8_P12ihipStream_tbDpT10_ENKUlT_T0_E_clISt17integral_constantIbLb1EES1A_EEDaS15_S16_EUlS15_E_NS1_11comp_targetILNS1_3genE4ELNS1_11target_archE910ELNS1_3gpuE8ELNS1_3repE0EEENS1_30default_config_static_selectorELNS0_4arch9wavefront6targetE1EEEvT1_,"axG",@progbits,_ZN7rocprim17ROCPRIM_400000_NS6detail17trampoline_kernelINS0_14default_configENS1_25partition_config_selectorILNS1_17partition_subalgoE3EjNS0_10empty_typeEbEEZZNS1_14partition_implILS5_3ELb0ES3_jN6thrust23THRUST_200600_302600_NS6detail15normal_iteratorINSA_7pointerIjNSA_11hip_rocprim3tagENSA_11use_defaultESG_EEEEPS6_SJ_NS0_5tupleIJPjSJ_EEENSK_IJSJ_SJ_EEES6_PlJ7is_evenIjEEEE10hipError_tPvRmT3_T4_T5_T6_T7_T9_mT8_P12ihipStream_tbDpT10_ENKUlT_T0_E_clISt17integral_constantIbLb1EES1A_EEDaS15_S16_EUlS15_E_NS1_11comp_targetILNS1_3genE4ELNS1_11target_archE910ELNS1_3gpuE8ELNS1_3repE0EEENS1_30default_config_static_selectorELNS0_4arch9wavefront6targetE1EEEvT1_,comdat
	.protected	_ZN7rocprim17ROCPRIM_400000_NS6detail17trampoline_kernelINS0_14default_configENS1_25partition_config_selectorILNS1_17partition_subalgoE3EjNS0_10empty_typeEbEEZZNS1_14partition_implILS5_3ELb0ES3_jN6thrust23THRUST_200600_302600_NS6detail15normal_iteratorINSA_7pointerIjNSA_11hip_rocprim3tagENSA_11use_defaultESG_EEEEPS6_SJ_NS0_5tupleIJPjSJ_EEENSK_IJSJ_SJ_EEES6_PlJ7is_evenIjEEEE10hipError_tPvRmT3_T4_T5_T6_T7_T9_mT8_P12ihipStream_tbDpT10_ENKUlT_T0_E_clISt17integral_constantIbLb1EES1A_EEDaS15_S16_EUlS15_E_NS1_11comp_targetILNS1_3genE4ELNS1_11target_archE910ELNS1_3gpuE8ELNS1_3repE0EEENS1_30default_config_static_selectorELNS0_4arch9wavefront6targetE1EEEvT1_ ; -- Begin function _ZN7rocprim17ROCPRIM_400000_NS6detail17trampoline_kernelINS0_14default_configENS1_25partition_config_selectorILNS1_17partition_subalgoE3EjNS0_10empty_typeEbEEZZNS1_14partition_implILS5_3ELb0ES3_jN6thrust23THRUST_200600_302600_NS6detail15normal_iteratorINSA_7pointerIjNSA_11hip_rocprim3tagENSA_11use_defaultESG_EEEEPS6_SJ_NS0_5tupleIJPjSJ_EEENSK_IJSJ_SJ_EEES6_PlJ7is_evenIjEEEE10hipError_tPvRmT3_T4_T5_T6_T7_T9_mT8_P12ihipStream_tbDpT10_ENKUlT_T0_E_clISt17integral_constantIbLb1EES1A_EEDaS15_S16_EUlS15_E_NS1_11comp_targetILNS1_3genE4ELNS1_11target_archE910ELNS1_3gpuE8ELNS1_3repE0EEENS1_30default_config_static_selectorELNS0_4arch9wavefront6targetE1EEEvT1_
	.globl	_ZN7rocprim17ROCPRIM_400000_NS6detail17trampoline_kernelINS0_14default_configENS1_25partition_config_selectorILNS1_17partition_subalgoE3EjNS0_10empty_typeEbEEZZNS1_14partition_implILS5_3ELb0ES3_jN6thrust23THRUST_200600_302600_NS6detail15normal_iteratorINSA_7pointerIjNSA_11hip_rocprim3tagENSA_11use_defaultESG_EEEEPS6_SJ_NS0_5tupleIJPjSJ_EEENSK_IJSJ_SJ_EEES6_PlJ7is_evenIjEEEE10hipError_tPvRmT3_T4_T5_T6_T7_T9_mT8_P12ihipStream_tbDpT10_ENKUlT_T0_E_clISt17integral_constantIbLb1EES1A_EEDaS15_S16_EUlS15_E_NS1_11comp_targetILNS1_3genE4ELNS1_11target_archE910ELNS1_3gpuE8ELNS1_3repE0EEENS1_30default_config_static_selectorELNS0_4arch9wavefront6targetE1EEEvT1_
	.p2align	8
	.type	_ZN7rocprim17ROCPRIM_400000_NS6detail17trampoline_kernelINS0_14default_configENS1_25partition_config_selectorILNS1_17partition_subalgoE3EjNS0_10empty_typeEbEEZZNS1_14partition_implILS5_3ELb0ES3_jN6thrust23THRUST_200600_302600_NS6detail15normal_iteratorINSA_7pointerIjNSA_11hip_rocprim3tagENSA_11use_defaultESG_EEEEPS6_SJ_NS0_5tupleIJPjSJ_EEENSK_IJSJ_SJ_EEES6_PlJ7is_evenIjEEEE10hipError_tPvRmT3_T4_T5_T6_T7_T9_mT8_P12ihipStream_tbDpT10_ENKUlT_T0_E_clISt17integral_constantIbLb1EES1A_EEDaS15_S16_EUlS15_E_NS1_11comp_targetILNS1_3genE4ELNS1_11target_archE910ELNS1_3gpuE8ELNS1_3repE0EEENS1_30default_config_static_selectorELNS0_4arch9wavefront6targetE1EEEvT1_,@function
_ZN7rocprim17ROCPRIM_400000_NS6detail17trampoline_kernelINS0_14default_configENS1_25partition_config_selectorILNS1_17partition_subalgoE3EjNS0_10empty_typeEbEEZZNS1_14partition_implILS5_3ELb0ES3_jN6thrust23THRUST_200600_302600_NS6detail15normal_iteratorINSA_7pointerIjNSA_11hip_rocprim3tagENSA_11use_defaultESG_EEEEPS6_SJ_NS0_5tupleIJPjSJ_EEENSK_IJSJ_SJ_EEES6_PlJ7is_evenIjEEEE10hipError_tPvRmT3_T4_T5_T6_T7_T9_mT8_P12ihipStream_tbDpT10_ENKUlT_T0_E_clISt17integral_constantIbLb1EES1A_EEDaS15_S16_EUlS15_E_NS1_11comp_targetILNS1_3genE4ELNS1_11target_archE910ELNS1_3gpuE8ELNS1_3repE0EEENS1_30default_config_static_selectorELNS0_4arch9wavefront6targetE1EEEvT1_: ; @_ZN7rocprim17ROCPRIM_400000_NS6detail17trampoline_kernelINS0_14default_configENS1_25partition_config_selectorILNS1_17partition_subalgoE3EjNS0_10empty_typeEbEEZZNS1_14partition_implILS5_3ELb0ES3_jN6thrust23THRUST_200600_302600_NS6detail15normal_iteratorINSA_7pointerIjNSA_11hip_rocprim3tagENSA_11use_defaultESG_EEEEPS6_SJ_NS0_5tupleIJPjSJ_EEENSK_IJSJ_SJ_EEES6_PlJ7is_evenIjEEEE10hipError_tPvRmT3_T4_T5_T6_T7_T9_mT8_P12ihipStream_tbDpT10_ENKUlT_T0_E_clISt17integral_constantIbLb1EES1A_EEDaS15_S16_EUlS15_E_NS1_11comp_targetILNS1_3genE4ELNS1_11target_archE910ELNS1_3gpuE8ELNS1_3repE0EEENS1_30default_config_static_selectorELNS0_4arch9wavefront6targetE1EEEvT1_
; %bb.0:
	s_load_dwordx2 s[28:29], s[4:5], 0x28
	s_load_dwordx4 s[20:23], s[4:5], 0x48
	s_load_dwordx2 s[30:31], s[4:5], 0x58
	s_load_dwordx2 s[34:35], s[4:5], 0x68
	v_cmp_eq_u32_e64 s[0:1], 0, v0
	s_and_saveexec_b64 s[2:3], s[0:1]
	s_cbranch_execz .LBB929_4
; %bb.1:
	s_mov_b64 s[8:9], exec
	v_mbcnt_lo_u32_b32 v1, s8, 0
	v_mbcnt_hi_u32_b32 v1, s9, v1
	v_cmp_eq_u32_e32 vcc, 0, v1
                                        ; implicit-def: $vgpr2
	s_and_saveexec_b64 s[6:7], vcc
	s_cbranch_execz .LBB929_3
; %bb.2:
	s_load_dwordx2 s[10:11], s[4:5], 0x78
	s_bcnt1_i32_b64 s8, s[8:9]
	v_mov_b32_e32 v2, 0
	v_mov_b32_e32 v3, s8
	s_waitcnt lgkmcnt(0)
	global_atomic_add v2, v2, v3, s[10:11] glc
.LBB929_3:
	s_or_b64 exec, exec, s[6:7]
	s_waitcnt vmcnt(0)
	v_readfirstlane_b32 s6, v2
	v_add_u32_e32 v1, s6, v1
	v_mov_b32_e32 v2, 0
	ds_write_b32 v2, v1
.LBB929_4:
	s_or_b64 exec, exec, s[2:3]
	v_mov_b32_e32 v13, 0
	s_load_dwordx4 s[24:27], s[4:5], 0x8
	s_load_dword s2, s[4:5], 0x70
	s_waitcnt lgkmcnt(0)
	s_barrier
	ds_read_b32 v1, v13
	s_waitcnt lgkmcnt(0)
	s_barrier
	global_load_dwordx2 v[14:15], v13, s[22:23]
	s_lshl_b64 s[4:5], s[26:27], 2
	s_add_u32 s6, s24, s4
	s_addc_u32 s7, s25, s5
	s_movk_i32 s3, 0xa00
	s_add_i32 s4, s2, -1
	s_mulk_i32 s2, 0xa00
	v_mul_lo_u32 v12, v1, s3
	s_add_i32 s3, s2, s26
	s_sub_i32 s33, s30, s3
	s_addk_i32 s33, 0xa00
	s_add_u32 s2, s26, s2
	v_readfirstlane_b32 s40, v1
	s_addc_u32 s3, s27, 0
	s_cmp_eq_u32 s40, s4
	v_pk_mov_b32 v[2:3], s[30:31], s[30:31] op_sel:[0,1]
	s_cselect_b64 s[22:23], -1, 0
	s_cmp_lg_u32 s40, s4
	v_cmp_lt_u64_e32 vcc, s[2:3], v[2:3]
	s_cselect_b64 s[2:3], -1, 0
	v_lshlrev_b64 v[2:3], 2, v[12:13]
	s_or_b64 s[4:5], vcc, s[2:3]
	v_mov_b32_e32 v1, s7
	v_add_co_u32_e32 v13, vcc, s6, v2
	v_addc_co_u32_e32 v16, vcc, v1, v3, vcc
	s_mov_b64 s[2:3], -1
	s_and_b64 vcc, exec, s[4:5]
	v_lshlrev_b32_e32 v1, 2, v0
	s_cbranch_vccz .LBB929_6
; %bb.5:
	v_add_co_u32_e32 v2, vcc, v13, v1
	v_addc_co_u32_e32 v3, vcc, 0, v16, vcc
	v_add_co_u32_e32 v4, vcc, 0x1000, v2
	v_addc_co_u32_e32 v5, vcc, 0, v3, vcc
	flat_load_dword v6, v[2:3]
	flat_load_dword v7, v[2:3] offset:1024
	flat_load_dword v8, v[2:3] offset:2048
	;; [unrolled: 1-line block ×3, first 2 shown]
	flat_load_dword v10, v[4:5]
	flat_load_dword v11, v[4:5] offset:1024
	flat_load_dword v17, v[4:5] offset:2048
	;; [unrolled: 1-line block ×3, first 2 shown]
	v_add_co_u32_e32 v2, vcc, 0x2000, v2
	v_addc_co_u32_e32 v3, vcc, 0, v3, vcc
	flat_load_dword v4, v[2:3]
	flat_load_dword v5, v[2:3] offset:1024
	s_mov_b64 s[2:3], 0
	s_waitcnt vmcnt(0) lgkmcnt(0)
	ds_write2st64_b32 v1, v6, v7 offset1:4
	ds_write2st64_b32 v1, v8, v9 offset0:8 offset1:12
	ds_write2st64_b32 v1, v10, v11 offset0:16 offset1:20
	ds_write2st64_b32 v1, v17, v18 offset0:24 offset1:28
	ds_write2st64_b32 v1, v4, v5 offset0:32 offset1:36
	s_waitcnt lgkmcnt(0)
	s_barrier
.LBB929_6:
	s_andn2_b64 vcc, exec, s[2:3]
	v_cmp_gt_u32_e64 s[2:3], s33, v0
	s_cbranch_vccnz .LBB929_28
; %bb.7:
                                        ; implicit-def: $vgpr2_vgpr3_vgpr4_vgpr5_vgpr6_vgpr7_vgpr8_vgpr9_vgpr10_vgpr11
	s_and_saveexec_b64 s[6:7], s[2:3]
	s_cbranch_execz .LBB929_9
; %bb.8:
	v_add_co_u32_e32 v2, vcc, v13, v1
	v_addc_co_u32_e32 v3, vcc, 0, v16, vcc
	flat_load_dword v2, v[2:3]
.LBB929_9:
	s_or_b64 exec, exec, s[6:7]
	v_or_b32_e32 v17, 0x100, v0
	v_cmp_gt_u32_e32 vcc, s33, v17
	s_and_saveexec_b64 s[2:3], vcc
	s_cbranch_execz .LBB929_11
; %bb.10:
	v_add_co_u32_e32 v18, vcc, v13, v1
	v_addc_co_u32_e32 v19, vcc, 0, v16, vcc
	flat_load_dword v3, v[18:19] offset:1024
.LBB929_11:
	s_or_b64 exec, exec, s[2:3]
	v_or_b32_e32 v17, 0x200, v0
	v_cmp_gt_u32_e32 vcc, s33, v17
	s_and_saveexec_b64 s[2:3], vcc
	s_cbranch_execz .LBB929_13
; %bb.12:
	v_add_co_u32_e32 v18, vcc, v13, v1
	v_addc_co_u32_e32 v19, vcc, 0, v16, vcc
	flat_load_dword v4, v[18:19] offset:2048
.LBB929_13:
	;; [unrolled: 10-line block ×3, first 2 shown]
	s_or_b64 exec, exec, s[2:3]
	v_or_b32_e32 v17, 0x400, v0
	v_cmp_gt_u32_e32 vcc, s33, v17
	s_and_saveexec_b64 s[2:3], vcc
	s_cbranch_execz .LBB929_17
; %bb.16:
	v_lshlrev_b32_e32 v6, 2, v17
	v_add_co_u32_e32 v18, vcc, v13, v6
	v_addc_co_u32_e32 v19, vcc, 0, v16, vcc
	flat_load_dword v6, v[18:19]
.LBB929_17:
	s_or_b64 exec, exec, s[2:3]
	v_or_b32_e32 v17, 0x500, v0
	v_cmp_gt_u32_e32 vcc, s33, v17
	s_and_saveexec_b64 s[2:3], vcc
	s_cbranch_execz .LBB929_19
; %bb.18:
	v_lshlrev_b32_e32 v7, 2, v17
	v_add_co_u32_e32 v18, vcc, v13, v7
	v_addc_co_u32_e32 v19, vcc, 0, v16, vcc
	flat_load_dword v7, v[18:19]
.LBB929_19:
	;; [unrolled: 11-line block ×6, first 2 shown]
	s_or_b64 exec, exec, s[2:3]
	s_waitcnt vmcnt(0) lgkmcnt(0)
	ds_write2st64_b32 v1, v2, v3 offset1:4
	ds_write2st64_b32 v1, v4, v5 offset0:8 offset1:12
	ds_write2st64_b32 v1, v6, v7 offset0:16 offset1:20
	;; [unrolled: 1-line block ×4, first 2 shown]
	s_waitcnt lgkmcnt(0)
	s_barrier
.LBB929_28:
	v_mul_u32_u24_e32 v26, 10, v0
	v_lshlrev_b32_e32 v32, 2, v26
	ds_read2_b64 v[6:9], v32 offset1:1
	ds_read2_b64 v[2:5], v32 offset0:2 offset1:3
	ds_read_b64 v[16:17], v32 offset:32
	v_cndmask_b32_e64 v10, 0, 1, s[4:5]
	v_cmp_ne_u32_e64 s[2:3], 1, v10
	s_andn2_b64 vcc, exec, s[4:5]
	s_waitcnt lgkmcnt(2)
	v_xor_b32_e32 v25, -1, v6
	v_xor_b32_e32 v24, -1, v7
	;; [unrolled: 1-line block ×4, first 2 shown]
	s_waitcnt lgkmcnt(1)
	v_xor_b32_e32 v21, -1, v2
	v_xor_b32_e32 v20, -1, v3
	;; [unrolled: 1-line block ×4, first 2 shown]
	s_waitcnt lgkmcnt(0)
	v_xor_b32_e32 v11, -1, v16
	v_xor_b32_e32 v10, -1, v17
	s_barrier
	s_cbranch_vccnz .LBB929_30
; %bb.29:
	v_mov_b32_e32 v13, 1
	v_and_b32_e32 v28, 1, v25
	v_and_b32_sdwa v29, v24, v13 dst_sel:BYTE_1 dst_unused:UNUSED_PAD src0_sel:DWORD src1_sel:DWORD
	v_and_b32_e32 v30, 1, v23
	v_and_b32_sdwa v31, v22, v13 dst_sel:BYTE_1 dst_unused:UNUSED_PAD src0_sel:DWORD src1_sel:DWORD
	;; [unrolled: 2-line block ×4, first 2 shown]
	v_or_b32_e32 v28, v28, v29
	v_or_b32_sdwa v29, v30, v31 dst_sel:WORD_1 dst_unused:UNUSED_PAD src0_sel:DWORD src1_sel:DWORD
	v_or_b32_sdwa v29, v28, v29 dst_sel:DWORD dst_unused:UNUSED_PAD src0_sel:WORD_0 src1_sel:DWORD
	v_or_b32_e32 v28, v33, v34
	v_or_b32_sdwa v30, v35, v36 dst_sel:WORD_1 dst_unused:UNUSED_PAD src0_sel:DWORD src1_sel:DWORD
	v_and_b32_e32 v27, 1, v11
	v_and_b32_e32 v13, 1, v10
	v_or_b32_sdwa v28, v28, v30 dst_sel:DWORD dst_unused:UNUSED_PAD src0_sel:WORD_0 src1_sel:DWORD
	s_cbranch_execz .LBB929_31
	s_branch .LBB929_32
.LBB929_30:
                                        ; implicit-def: $vgpr13
                                        ; implicit-def: $vgpr27
                                        ; implicit-def: $vgpr28
                                        ; implicit-def: $vgpr29
.LBB929_31:
	v_or_b32_e32 v35, 1, v26
	v_cmp_gt_u32_e32 vcc, s33, v26
	v_add_u32_e32 v13, 2, v26
	v_cndmask_b32_e64 v36, 0, 1, vcc
	v_cmp_gt_u32_e32 vcc, s33, v35
	v_add_u32_e32 v34, 3, v26
	v_cndmask_b32_e64 v35, 0, 1, vcc
	;; [unrolled: 3-line block ×3, first 2 shown]
	v_cmp_gt_u32_e32 vcc, s33, v34
	v_add_u32_e32 v33, 5, v26
	v_and_b32_e32 v23, v13, v23
	v_cndmask_b32_e64 v13, 0, 1, vcc
	v_cmp_gt_u32_e32 vcc, s33, v27
	v_add_u32_e32 v28, 6, v26
	v_and_b32_sdwa v22, v13, v22 dst_sel:BYTE_1 dst_unused:UNUSED_PAD src0_sel:DWORD src1_sel:DWORD
	v_cndmask_b32_e64 v13, 0, 1, vcc
	v_cmp_gt_u32_e32 vcc, s33, v33
	v_add_u32_e32 v31, 7, v26
	v_and_b32_e32 v21, v13, v21
	v_cndmask_b32_e64 v13, 0, 1, vcc
	v_cmp_gt_u32_e32 vcc, s33, v28
	v_add_u32_e32 v29, 8, v26
	v_and_b32_sdwa v20, v13, v20 dst_sel:BYTE_1 dst_unused:UNUSED_PAD src0_sel:DWORD src1_sel:DWORD
	v_cndmask_b32_e64 v13, 0, 1, vcc
	v_cmp_gt_u32_e32 vcc, s33, v31
	v_add_u32_e32 v30, 9, v26
	v_and_b32_e32 v19, v13, v19
	v_cndmask_b32_e64 v13, 0, 1, vcc
	v_cmp_gt_u32_e32 vcc, s33, v29
	v_and_b32_sdwa v18, v13, v18 dst_sel:BYTE_1 dst_unused:UNUSED_PAD src0_sel:DWORD src1_sel:DWORD
	v_cndmask_b32_e64 v13, 0, 1, vcc
	v_cmp_gt_u32_e32 vcc, s33, v30
	v_and_b32_e32 v25, v36, v25
	v_and_b32_sdwa v24, v35, v24 dst_sel:BYTE_1 dst_unused:UNUSED_PAD src0_sel:DWORD src1_sel:DWORD
	v_and_b32_e32 v27, v13, v11
	v_cndmask_b32_e64 v11, 0, 1, vcc
	v_and_b32_e32 v13, v11, v10
	v_or_b32_e32 v10, v25, v24
	v_or_b32_sdwa v11, v23, v22 dst_sel:WORD_1 dst_unused:UNUSED_PAD src0_sel:DWORD src1_sel:DWORD
	v_or_b32_sdwa v29, v10, v11 dst_sel:DWORD dst_unused:UNUSED_PAD src0_sel:WORD_0 src1_sel:DWORD
	v_or_b32_e32 v10, v21, v20
	v_or_b32_sdwa v11, v19, v18 dst_sel:WORD_1 dst_unused:UNUSED_PAD src0_sel:DWORD src1_sel:DWORD
	v_or_b32_sdwa v28, v10, v11 dst_sel:DWORD dst_unused:UNUSED_PAD src0_sel:WORD_0 src1_sel:DWORD
.LBB929_32:
	v_bfe_u32 v33, v29, 16, 8
	v_lshrrev_b32_e32 v31, 24, v29
	v_add_u32_sdwa v11, v29, v29 dst_sel:DWORD dst_unused:UNUSED_PAD src0_sel:BYTE_1 src1_sel:BYTE_0
	v_and_b32_e32 v34, 0xff, v28
	v_bfe_u32 v35, v28, 8, 8
	v_add3_u32 v11, v11, v33, v31
	v_bfe_u32 v36, v28, 16, 8
	v_lshrrev_b32_e32 v30, 24, v28
	v_add3_u32 v11, v11, v34, v35
	v_and_b32_e32 v37, 0xff, v27
	v_and_b32_e32 v10, 0xff, v13
	v_add3_u32 v11, v11, v36, v30
	v_add3_u32 v40, v11, v37, v10
	v_mbcnt_lo_u32_b32 v10, -1, 0
	v_mbcnt_hi_u32_b32 v38, -1, v10
	v_and_b32_e32 v10, 15, v38
	v_cmp_eq_u32_e64 s[16:17], 0, v10
	v_cmp_lt_u32_e64 s[14:15], 1, v10
	v_cmp_lt_u32_e64 s[12:13], 3, v10
	;; [unrolled: 1-line block ×3, first 2 shown]
	v_and_b32_e32 v10, 16, v38
	v_cmp_eq_u32_e64 s[8:9], 0, v10
	v_or_b32_e32 v10, 63, v0
	s_cmp_lg_u32 s40, 0
	v_cmp_lt_u32_e64 s[4:5], 31, v38
	v_lshrrev_b32_e32 v39, 6, v0
	v_cmp_eq_u32_e64 s[6:7], v10, v0
	s_cbranch_scc0 .LBB929_63
; %bb.33:
	v_mov_b32_dpp v10, v40 row_shr:1 row_mask:0xf bank_mask:0xf
	v_cndmask_b32_e64 v10, v10, 0, s[16:17]
	v_add_u32_e32 v10, v10, v40
	s_nop 1
	v_mov_b32_dpp v11, v10 row_shr:2 row_mask:0xf bank_mask:0xf
	v_cndmask_b32_e64 v11, 0, v11, s[14:15]
	v_add_u32_e32 v10, v10, v11
	s_nop 1
	;; [unrolled: 4-line block ×4, first 2 shown]
	v_mov_b32_dpp v11, v10 row_bcast:15 row_mask:0xf bank_mask:0xf
	v_cndmask_b32_e64 v11, v11, 0, s[8:9]
	v_add_u32_e32 v10, v10, v11
	s_nop 1
	v_mov_b32_dpp v11, v10 row_bcast:31 row_mask:0xf bank_mask:0xf
	v_cndmask_b32_e64 v11, 0, v11, s[4:5]
	v_add_u32_e32 v10, v10, v11
	s_and_saveexec_b64 s[18:19], s[6:7]
	s_cbranch_execz .LBB929_35
; %bb.34:
	v_lshlrev_b32_e32 v11, 2, v39
	ds_write_b32 v11, v10
.LBB929_35:
	s_or_b64 exec, exec, s[18:19]
	v_cmp_gt_u32_e32 vcc, 4, v0
	s_waitcnt lgkmcnt(0)
	s_barrier
	s_and_saveexec_b64 s[18:19], vcc
	s_cbranch_execz .LBB929_37
; %bb.36:
	ds_read_b32 v11, v1
	v_and_b32_e32 v18, 3, v38
	v_cmp_ne_u32_e32 vcc, 0, v18
	s_waitcnt lgkmcnt(0)
	v_mov_b32_dpp v19, v11 row_shr:1 row_mask:0xf bank_mask:0xf
	v_cndmask_b32_e32 v19, 0, v19, vcc
	v_add_u32_e32 v11, v19, v11
	v_cmp_lt_u32_e32 vcc, 1, v18
	s_nop 0
	v_mov_b32_dpp v19, v11 row_shr:2 row_mask:0xf bank_mask:0xf
	v_cndmask_b32_e32 v18, 0, v19, vcc
	v_add_u32_e32 v11, v11, v18
	ds_write_b32 v1, v11
.LBB929_37:
	s_or_b64 exec, exec, s[18:19]
	v_cmp_gt_u32_e32 vcc, 64, v0
	v_cmp_lt_u32_e64 s[18:19], 63, v0
	s_waitcnt lgkmcnt(0)
	s_barrier
	s_waitcnt lgkmcnt(0)
                                        ; implicit-def: $vgpr41
	s_and_saveexec_b64 s[24:25], s[18:19]
	s_cbranch_execz .LBB929_39
; %bb.38:
	v_lshl_add_u32 v11, v39, 2, -4
	ds_read_b32 v41, v11
	s_waitcnt lgkmcnt(0)
	v_add_u32_e32 v10, v41, v10
.LBB929_39:
	s_or_b64 exec, exec, s[24:25]
	v_add_u32_e32 v11, -1, v38
	v_and_b32_e32 v18, 64, v38
	v_cmp_lt_i32_e64 s[18:19], v11, v18
	v_cndmask_b32_e64 v11, v11, v38, s[18:19]
	v_lshlrev_b32_e32 v11, 2, v11
	ds_bpermute_b32 v42, v11, v10
	v_cmp_eq_u32_e64 s[18:19], 0, v38
	s_and_saveexec_b64 s[24:25], vcc
	s_cbranch_execz .LBB929_62
; %bb.40:
	v_mov_b32_e32 v25, 0
	ds_read_b32 v10, v25 offset:12
	s_and_saveexec_b64 s[36:37], s[18:19]
	s_cbranch_execz .LBB929_42
; %bb.41:
	s_add_i32 s38, s40, 64
	s_mov_b32 s39, 0
	s_lshl_b64 s[38:39], s[38:39], 3
	s_add_u32 s38, s34, s38
	v_mov_b32_e32 v11, 1
	s_addc_u32 s39, s35, s39
	s_waitcnt lgkmcnt(0)
	global_store_dwordx2 v25, v[10:11], s[38:39]
.LBB929_42:
	s_or_b64 exec, exec, s[36:37]
	v_xad_u32 v18, v38, -1, s40
	v_add_u32_e32 v24, 64, v18
	v_lshlrev_b64 v[20:21], 3, v[24:25]
	v_mov_b32_e32 v11, s35
	v_add_co_u32_e32 v20, vcc, s34, v20
	v_addc_co_u32_e32 v21, vcc, v11, v21, vcc
	global_load_dwordx2 v[22:23], v[20:21], off glc
	s_waitcnt vmcnt(0)
	v_cmp_eq_u16_sdwa s[38:39], v23, v25 src0_sel:BYTE_0 src1_sel:DWORD
	s_and_saveexec_b64 s[36:37], s[38:39]
	s_cbranch_execz .LBB929_48
; %bb.43:
	s_mov_b32 s41, 1
	s_mov_b64 s[38:39], 0
	v_mov_b32_e32 v11, 0
.LBB929_44:                             ; =>This Loop Header: Depth=1
                                        ;     Child Loop BB929_45 Depth 2
	s_max_u32 s42, s41, 1
.LBB929_45:                             ;   Parent Loop BB929_44 Depth=1
                                        ; =>  This Inner Loop Header: Depth=2
	s_add_i32 s42, s42, -1
	s_cmp_eq_u32 s42, 0
	s_sleep 1
	s_cbranch_scc0 .LBB929_45
; %bb.46:                               ;   in Loop: Header=BB929_44 Depth=1
	global_load_dwordx2 v[22:23], v[20:21], off glc
	s_cmp_lt_u32 s41, 32
	s_cselect_b64 s[42:43], -1, 0
	s_cmp_lg_u64 s[42:43], 0
	s_addc_u32 s41, s41, 0
	s_waitcnt vmcnt(0)
	v_cmp_ne_u16_sdwa s[42:43], v23, v11 src0_sel:BYTE_0 src1_sel:DWORD
	s_or_b64 s[38:39], s[42:43], s[38:39]
	s_andn2_b64 exec, exec, s[38:39]
	s_cbranch_execnz .LBB929_44
; %bb.47:
	s_or_b64 exec, exec, s[38:39]
.LBB929_48:
	s_or_b64 exec, exec, s[36:37]
	v_and_b32_e32 v44, 63, v38
	v_mov_b32_e32 v43, 2
	v_cmp_ne_u32_e32 vcc, 63, v44
	v_cmp_eq_u16_sdwa s[36:37], v23, v43 src0_sel:BYTE_0 src1_sel:DWORD
	v_lshlrev_b64 v[20:21], v38, -1
	v_addc_co_u32_e32 v24, vcc, 0, v38, vcc
	v_and_b32_e32 v11, s37, v21
	v_lshlrev_b32_e32 v45, 2, v24
	v_or_b32_e32 v11, 0x80000000, v11
	ds_bpermute_b32 v24, v45, v22
	v_and_b32_e32 v19, s36, v20
	v_ffbl_b32_e32 v11, v11
	v_add_u32_e32 v11, 32, v11
	v_ffbl_b32_e32 v19, v19
	v_min_u32_e32 v11, v19, v11
	v_cmp_lt_u32_e32 vcc, v44, v11
	s_waitcnt lgkmcnt(0)
	v_cndmask_b32_e32 v19, 0, v24, vcc
	v_cmp_gt_u32_e32 vcc, 62, v44
	v_add_u32_e32 v19, v19, v22
	v_cndmask_b32_e64 v22, 0, 1, vcc
	v_lshlrev_b32_e32 v22, 1, v22
	v_add_lshl_u32 v46, v22, v38, 2
	ds_bpermute_b32 v22, v46, v19
	v_add_u32_e32 v47, 2, v44
	v_cmp_le_u32_e32 vcc, v47, v11
	v_add_u32_e32 v49, 4, v44
	v_add_u32_e32 v51, 8, v44
	s_waitcnt lgkmcnt(0)
	v_cndmask_b32_e32 v22, 0, v22, vcc
	v_cmp_gt_u32_e32 vcc, 60, v44
	v_add_u32_e32 v19, v19, v22
	v_cndmask_b32_e64 v22, 0, 1, vcc
	v_lshlrev_b32_e32 v22, 2, v22
	v_add_lshl_u32 v48, v22, v38, 2
	ds_bpermute_b32 v22, v48, v19
	v_cmp_le_u32_e32 vcc, v49, v11
	v_add_u32_e32 v53, 16, v44
	v_add_u32_e32 v55, 32, v44
	s_waitcnt lgkmcnt(0)
	v_cndmask_b32_e32 v22, 0, v22, vcc
	v_cmp_gt_u32_e32 vcc, 56, v44
	v_add_u32_e32 v19, v19, v22
	v_cndmask_b32_e64 v22, 0, 1, vcc
	v_lshlrev_b32_e32 v22, 3, v22
	v_add_lshl_u32 v50, v22, v38, 2
	ds_bpermute_b32 v22, v50, v19
	v_cmp_le_u32_e32 vcc, v51, v11
	s_waitcnt lgkmcnt(0)
	v_cndmask_b32_e32 v22, 0, v22, vcc
	v_cmp_gt_u32_e32 vcc, 48, v44
	v_add_u32_e32 v19, v19, v22
	v_cndmask_b32_e64 v22, 0, 1, vcc
	v_lshlrev_b32_e32 v22, 4, v22
	v_add_lshl_u32 v52, v22, v38, 2
	ds_bpermute_b32 v22, v52, v19
	v_cmp_le_u32_e32 vcc, v53, v11
	s_waitcnt lgkmcnt(0)
	v_cndmask_b32_e32 v22, 0, v22, vcc
	v_cmp_gt_u32_e32 vcc, 32, v44
	v_add_u32_e32 v19, v19, v22
	v_cndmask_b32_e64 v22, 0, 1, vcc
	v_lshlrev_b32_e32 v22, 5, v22
	v_add_lshl_u32 v54, v22, v38, 2
	ds_bpermute_b32 v22, v54, v19
	v_cmp_le_u32_e32 vcc, v55, v11
	s_waitcnt lgkmcnt(0)
	v_cndmask_b32_e32 v11, 0, v22, vcc
	v_add_u32_e32 v22, v19, v11
	v_mov_b32_e32 v19, 0
	s_branch .LBB929_50
.LBB929_49:                             ;   in Loop: Header=BB929_50 Depth=1
	s_or_b64 exec, exec, s[36:37]
	v_cmp_eq_u16_sdwa s[36:37], v23, v43 src0_sel:BYTE_0 src1_sel:DWORD
	v_and_b32_e32 v24, s37, v21
	v_or_b32_e32 v24, 0x80000000, v24
	ds_bpermute_b32 v56, v45, v22
	v_and_b32_e32 v25, s36, v20
	v_ffbl_b32_e32 v24, v24
	v_add_u32_e32 v24, 32, v24
	v_ffbl_b32_e32 v25, v25
	v_min_u32_e32 v24, v25, v24
	v_cmp_lt_u32_e32 vcc, v44, v24
	s_waitcnt lgkmcnt(0)
	v_cndmask_b32_e32 v25, 0, v56, vcc
	v_add_u32_e32 v22, v25, v22
	ds_bpermute_b32 v25, v46, v22
	v_cmp_le_u32_e32 vcc, v47, v24
	v_subrev_u32_e32 v18, 64, v18
	s_waitcnt lgkmcnt(0)
	v_cndmask_b32_e32 v25, 0, v25, vcc
	v_add_u32_e32 v22, v22, v25
	ds_bpermute_b32 v25, v48, v22
	v_cmp_le_u32_e32 vcc, v49, v24
	s_waitcnt lgkmcnt(0)
	v_cndmask_b32_e32 v25, 0, v25, vcc
	v_add_u32_e32 v22, v22, v25
	ds_bpermute_b32 v25, v50, v22
	v_cmp_le_u32_e32 vcc, v51, v24
	;; [unrolled: 5-line block ×4, first 2 shown]
	s_waitcnt lgkmcnt(0)
	v_cndmask_b32_e32 v24, 0, v25, vcc
	v_add3_u32 v22, v24, v11, v22
.LBB929_50:                             ; =>This Loop Header: Depth=1
                                        ;     Child Loop BB929_53 Depth 2
                                        ;       Child Loop BB929_54 Depth 3
	v_cmp_ne_u16_sdwa s[36:37], v23, v43 src0_sel:BYTE_0 src1_sel:DWORD
	v_cndmask_b32_e64 v11, 0, 1, s[36:37]
	;;#ASMSTART
	;;#ASMEND
	v_cmp_ne_u32_e32 vcc, 0, v11
	s_cmp_lg_u64 vcc, exec
	v_mov_b32_e32 v11, v22
	s_cbranch_scc1 .LBB929_57
; %bb.51:                               ;   in Loop: Header=BB929_50 Depth=1
	v_lshlrev_b64 v[22:23], 3, v[18:19]
	v_mov_b32_e32 v25, s35
	v_add_co_u32_e32 v24, vcc, s34, v22
	v_addc_co_u32_e32 v25, vcc, v25, v23, vcc
	global_load_dwordx2 v[22:23], v[24:25], off glc
	s_waitcnt vmcnt(0)
	v_cmp_eq_u16_sdwa s[38:39], v23, v19 src0_sel:BYTE_0 src1_sel:DWORD
	s_and_saveexec_b64 s[36:37], s[38:39]
	s_cbranch_execz .LBB929_49
; %bb.52:                               ;   in Loop: Header=BB929_50 Depth=1
	s_mov_b32 s41, 1
	s_mov_b64 s[38:39], 0
.LBB929_53:                             ;   Parent Loop BB929_50 Depth=1
                                        ; =>  This Loop Header: Depth=2
                                        ;       Child Loop BB929_54 Depth 3
	s_max_u32 s42, s41, 1
.LBB929_54:                             ;   Parent Loop BB929_50 Depth=1
                                        ;     Parent Loop BB929_53 Depth=2
                                        ; =>    This Inner Loop Header: Depth=3
	s_add_i32 s42, s42, -1
	s_cmp_eq_u32 s42, 0
	s_sleep 1
	s_cbranch_scc0 .LBB929_54
; %bb.55:                               ;   in Loop: Header=BB929_53 Depth=2
	global_load_dwordx2 v[22:23], v[24:25], off glc
	s_cmp_lt_u32 s41, 32
	s_cselect_b64 s[42:43], -1, 0
	s_cmp_lg_u64 s[42:43], 0
	s_addc_u32 s41, s41, 0
	s_waitcnt vmcnt(0)
	v_cmp_ne_u16_sdwa s[42:43], v23, v19 src0_sel:BYTE_0 src1_sel:DWORD
	s_or_b64 s[38:39], s[42:43], s[38:39]
	s_andn2_b64 exec, exec, s[38:39]
	s_cbranch_execnz .LBB929_53
; %bb.56:                               ;   in Loop: Header=BB929_50 Depth=1
	s_or_b64 exec, exec, s[38:39]
	s_branch .LBB929_49
.LBB929_57:                             ;   in Loop: Header=BB929_50 Depth=1
                                        ; implicit-def: $vgpr22
                                        ; implicit-def: $vgpr23
	s_cbranch_execz .LBB929_50
; %bb.58:
	s_and_saveexec_b64 s[36:37], s[18:19]
	s_cbranch_execz .LBB929_60
; %bb.59:
	s_add_i32 s38, s40, 64
	s_mov_b32 s39, 0
	s_lshl_b64 s[38:39], s[38:39], 3
	s_add_u32 s38, s34, s38
	v_add_u32_e32 v18, v11, v10
	v_mov_b32_e32 v19, 2
	s_addc_u32 s39, s35, s39
	v_mov_b32_e32 v20, 0
	global_store_dwordx2 v20, v[18:19], s[38:39]
	ds_write_b64 v20, v[10:11] offset:10240
.LBB929_60:
	s_or_b64 exec, exec, s[36:37]
	s_and_b64 exec, exec, s[0:1]
	s_cbranch_execz .LBB929_62
; %bb.61:
	v_mov_b32_e32 v10, 0
	ds_write_b32 v10, v11 offset:12
.LBB929_62:
	s_or_b64 exec, exec, s[24:25]
	v_mov_b32_e32 v10, 0
	s_waitcnt lgkmcnt(0)
	s_barrier
	ds_read_b32 v11, v10 offset:12
	v_cndmask_b32_e64 v18, v42, v41, s[18:19]
	v_cndmask_b32_e64 v18, v18, 0, s[0:1]
	s_waitcnt lgkmcnt(0)
	s_barrier
	v_add_u32_e32 v42, v11, v18
	v_add_u32_sdwa v41, v42, v29 dst_sel:DWORD dst_unused:UNUSED_PAD src0_sel:DWORD src1_sel:BYTE_0
	v_add_u32_sdwa v25, v41, v29 dst_sel:DWORD dst_unused:UNUSED_PAD src0_sel:DWORD src1_sel:BYTE_1
	v_add_u32_e32 v24, v25, v33
	v_add_u32_e32 v23, v24, v31
	;; [unrolled: 1-line block ×3, first 2 shown]
	ds_read_b64 v[10:11], v10 offset:10240
	v_add_u32_e32 v21, v22, v35
	v_add_u32_e32 v20, v21, v36
	;; [unrolled: 1-line block ×4, first 2 shown]
	s_branch .LBB929_73
.LBB929_63:
                                        ; implicit-def: $vgpr11
                                        ; implicit-def: $vgpr18
                                        ; implicit-def: $vgpr19
                                        ; implicit-def: $vgpr20
                                        ; implicit-def: $vgpr21
                                        ; implicit-def: $vgpr22
                                        ; implicit-def: $vgpr23
                                        ; implicit-def: $vgpr24
                                        ; implicit-def: $vgpr25
                                        ; implicit-def: $vgpr41
                                        ; implicit-def: $vgpr42
	s_cbranch_execz .LBB929_73
; %bb.64:
	s_waitcnt lgkmcnt(0)
	v_mov_b32_dpp v10, v40 row_shr:1 row_mask:0xf bank_mask:0xf
	v_cndmask_b32_e64 v10, v10, 0, s[16:17]
	v_add_u32_e32 v10, v10, v40
	s_nop 1
	v_mov_b32_dpp v11, v10 row_shr:2 row_mask:0xf bank_mask:0xf
	v_cndmask_b32_e64 v11, 0, v11, s[14:15]
	v_add_u32_e32 v10, v10, v11
	s_nop 1
	;; [unrolled: 4-line block ×4, first 2 shown]
	v_mov_b32_dpp v11, v10 row_bcast:15 row_mask:0xf bank_mask:0xf
	v_cndmask_b32_e64 v11, v11, 0, s[8:9]
	v_add_u32_e32 v10, v10, v11
	s_nop 1
	v_mov_b32_dpp v11, v10 row_bcast:31 row_mask:0xf bank_mask:0xf
	v_cndmask_b32_e64 v11, 0, v11, s[4:5]
	v_add_u32_e32 v10, v10, v11
	s_and_saveexec_b64 s[4:5], s[6:7]
	s_cbranch_execz .LBB929_66
; %bb.65:
	v_lshlrev_b32_e32 v11, 2, v39
	ds_write_b32 v11, v10
.LBB929_66:
	s_or_b64 exec, exec, s[4:5]
	v_cmp_gt_u32_e32 vcc, 4, v0
	s_waitcnt lgkmcnt(0)
	s_barrier
	s_and_saveexec_b64 s[4:5], vcc
	s_cbranch_execz .LBB929_68
; %bb.67:
	s_movk_i32 s6, 0xffdc
	v_mad_i32_i24 v11, v0, s6, v32
	ds_read_b32 v18, v11
	v_and_b32_e32 v19, 3, v38
	v_cmp_ne_u32_e32 vcc, 0, v19
	s_waitcnt lgkmcnt(0)
	v_mov_b32_dpp v20, v18 row_shr:1 row_mask:0xf bank_mask:0xf
	v_cndmask_b32_e32 v20, 0, v20, vcc
	v_add_u32_e32 v18, v20, v18
	v_cmp_lt_u32_e32 vcc, 1, v19
	s_nop 0
	v_mov_b32_dpp v20, v18 row_shr:2 row_mask:0xf bank_mask:0xf
	v_cndmask_b32_e32 v19, 0, v20, vcc
	v_add_u32_e32 v18, v18, v19
	ds_write_b32 v11, v18
.LBB929_68:
	s_or_b64 exec, exec, s[4:5]
	v_cmp_lt_u32_e32 vcc, 63, v0
	v_mov_b32_e32 v11, 0
	v_mov_b32_e32 v18, 0
	s_waitcnt lgkmcnt(0)
	s_barrier
	s_and_saveexec_b64 s[4:5], vcc
	s_cbranch_execz .LBB929_70
; %bb.69:
	v_lshl_add_u32 v18, v39, 2, -4
	ds_read_b32 v18, v18
.LBB929_70:
	s_or_b64 exec, exec, s[4:5]
	v_add_u32_e32 v19, -1, v38
	v_and_b32_e32 v20, 64, v38
	v_cmp_lt_i32_e32 vcc, v19, v20
	v_cndmask_b32_e32 v19, v19, v38, vcc
	s_waitcnt lgkmcnt(0)
	v_add_u32_e32 v10, v18, v10
	v_lshlrev_b32_e32 v19, 2, v19
	ds_bpermute_b32 v19, v19, v10
	ds_read_b32 v10, v11 offset:12
	s_and_saveexec_b64 s[4:5], s[0:1]
	s_cbranch_execz .LBB929_72
; %bb.71:
	v_mov_b32_e32 v20, 0
	v_mov_b32_e32 v11, 2
	s_waitcnt lgkmcnt(0)
	global_store_dwordx2 v20, v[10:11], s[34:35] offset:512
.LBB929_72:
	s_or_b64 exec, exec, s[4:5]
	v_cmp_eq_u32_e32 vcc, 0, v38
	s_waitcnt lgkmcnt(1)
	v_cndmask_b32_e32 v18, v19, v18, vcc
	v_cndmask_b32_e64 v42, v18, 0, s[0:1]
	v_add_u32_sdwa v41, v42, v29 dst_sel:DWORD dst_unused:UNUSED_PAD src0_sel:DWORD src1_sel:BYTE_0
	v_add_u32_sdwa v25, v41, v29 dst_sel:DWORD dst_unused:UNUSED_PAD src0_sel:DWORD src1_sel:BYTE_1
	v_add_u32_e32 v24, v25, v33
	v_add_u32_e32 v23, v24, v31
	;; [unrolled: 1-line block ×6, first 2 shown]
	v_mov_b32_e32 v11, 0
	v_add_u32_e32 v18, v19, v37
	s_waitcnt lgkmcnt(0)
	s_barrier
.LBB929_73:
	s_waitcnt lgkmcnt(0)
	v_add_u32_e32 v26, v10, v26
	v_sub_u32_e32 v34, v42, v11
	v_and_b32_e32 v36, 1, v29
	v_sub_u32_e32 v35, v26, v34
	v_cmp_eq_u32_e32 vcc, 1, v36
	v_cndmask_b32_e32 v34, v35, v34, vcc
	v_lshlrev_b32_e32 v34, 2, v34
	v_lshrrev_b32_e32 v33, 8, v29
	ds_write_b32 v34, v6
	v_sub_u32_e32 v6, v41, v11
	v_sub_u32_e32 v34, v26, v6
	v_and_b32_e32 v33, 1, v33
	v_add_u32_e32 v34, 1, v34
	v_cmp_eq_u32_e32 vcc, 1, v33
	v_cndmask_b32_e32 v6, v34, v6, vcc
	v_lshlrev_b32_e32 v6, 2, v6
	ds_write_b32 v6, v7
	v_sub_u32_e32 v6, v25, v11
	v_mov_b32_e32 v25, 1
	v_sub_u32_e32 v7, v26, v6
	v_and_b32_sdwa v29, v25, v29 dst_sel:DWORD dst_unused:UNUSED_PAD src0_sel:DWORD src1_sel:WORD_1
	v_add_u32_e32 v7, 2, v7
	v_cmp_eq_u32_e32 vcc, 1, v29
	v_cndmask_b32_e32 v6, v7, v6, vcc
	v_lshlrev_b32_e32 v6, 2, v6
	ds_write_b32 v6, v8
	v_sub_u32_e32 v6, v24, v11
	v_sub_u32_e32 v7, v26, v6
	v_and_b32_e32 v8, 1, v31
	v_add_u32_e32 v7, 3, v7
	v_cmp_eq_u32_e32 vcc, 1, v8
	v_cndmask_b32_e32 v6, v7, v6, vcc
	v_lshlrev_b32_e32 v6, 2, v6
	ds_write_b32 v6, v9
	v_sub_u32_e32 v6, v23, v11
	v_sub_u32_e32 v7, v26, v6
	v_and_b32_e32 v8, 1, v28
	v_add_u32_e32 v7, 4, v7
	v_cmp_eq_u32_e32 vcc, 1, v8
	v_cndmask_b32_e32 v6, v7, v6, vcc
	v_lshlrev_b32_e32 v6, 2, v6
	v_lshrrev_b32_e32 v32, 8, v28
	ds_write_b32 v6, v2
	v_sub_u32_e32 v2, v22, v11
	v_sub_u32_e32 v6, v26, v2
	v_and_b32_e32 v7, 1, v32
	v_add_u32_e32 v6, 5, v6
	v_cmp_eq_u32_e32 vcc, 1, v7
	v_cndmask_b32_e32 v2, v6, v2, vcc
	v_lshlrev_b32_e32 v2, 2, v2
	ds_write_b32 v2, v3
	v_sub_u32_e32 v2, v21, v11
	v_sub_u32_e32 v3, v26, v2
	v_and_b32_sdwa v6, v25, v28 dst_sel:DWORD dst_unused:UNUSED_PAD src0_sel:DWORD src1_sel:WORD_1
	v_add_u32_e32 v3, 6, v3
	v_cmp_eq_u32_e32 vcc, 1, v6
	v_cndmask_b32_e32 v2, v3, v2, vcc
	v_lshlrev_b32_e32 v2, 2, v2
	ds_write_b32 v2, v4
	v_sub_u32_e32 v2, v20, v11
	v_sub_u32_e32 v3, v26, v2
	v_and_b32_e32 v4, 1, v30
	v_add_u32_e32 v3, 7, v3
	v_cmp_eq_u32_e32 vcc, 1, v4
	v_cndmask_b32_e32 v2, v3, v2, vcc
	v_lshlrev_b32_e32 v2, 2, v2
	ds_write_b32 v2, v5
	v_sub_u32_e32 v2, v19, v11
	v_sub_u32_e32 v3, v26, v2
	v_and_b32_e32 v4, 1, v27
	;; [unrolled: 8-line block ×3, first 2 shown]
	v_add_u32_e32 v3, 9, v3
	v_cmp_eq_u32_e32 vcc, 1, v4
	v_cndmask_b32_e32 v2, v3, v2, vcc
	v_lshlrev_b32_e32 v2, 2, v2
	ds_write_b32 v2, v17
	s_waitcnt lgkmcnt(0)
	s_barrier
	ds_read2st64_b32 v[16:17], v1 offset1:4
	ds_read2st64_b32 v[8:9], v1 offset0:8 offset1:12
	ds_read2st64_b32 v[6:7], v1 offset0:16 offset1:20
	;; [unrolled: 1-line block ×4, first 2 shown]
	s_waitcnt vmcnt(0)
	v_add_co_u32_e32 v1, vcc, v14, v11
	v_addc_co_u32_e32 v11, vcc, 0, v15, vcc
	v_mov_b32_e32 v13, s27
	v_add_co_u32_e32 v12, vcc, s26, v12
	v_addc_co_u32_e32 v13, vcc, 0, v13, vcc
	v_mov_b32_e32 v14, s31
	v_sub_co_u32_e32 v12, vcc, s30, v12
	v_subb_co_u32_e32 v13, vcc, v14, v13, vcc
	v_add_co_u32_e32 v12, vcc, v12, v10
	v_addc_co_u32_e32 v13, vcc, 0, v13, vcc
	s_and_b64 vcc, exec, s[2:3]
	v_add_co_u32_e64 v14, s[2:3], v12, v1
	v_or_b32_e32 v26, 0x100, v0
	v_or_b32_e32 v25, 0x200, v0
	;; [unrolled: 1-line block ×9, first 2 shown]
	v_addc_co_u32_e64 v15, s[2:3], v13, v11, s[2:3]
	s_cbranch_vccnz .LBB929_118
; %bb.74:
	v_cmp_ge_u32_e32 vcc, v0, v10
                                        ; implicit-def: $vgpr12_vgpr13
	s_and_saveexec_b64 s[2:3], vcc
	s_xor_b64 s[2:3], exec, s[2:3]
; %bb.75:
	v_not_b32_e32 v12, v0
	v_ashrrev_i32_e32 v13, 31, v12
	v_add_co_u32_e32 v12, vcc, v14, v12
	v_addc_co_u32_e32 v13, vcc, v15, v13, vcc
; %bb.76:
	s_andn2_saveexec_b64 s[2:3], s[2:3]
; %bb.77:
	v_add_co_u32_e32 v12, vcc, v1, v0
	v_addc_co_u32_e32 v13, vcc, 0, v11, vcc
; %bb.78:
	s_or_b64 exec, exec, s[2:3]
	v_lshlrev_b64 v[12:13], 2, v[12:13]
	v_mov_b32_e32 v27, s29
	v_add_co_u32_e32 v12, vcc, s28, v12
	v_addc_co_u32_e32 v13, vcc, v27, v13, vcc
	v_cmp_ge_u32_e32 vcc, v26, v10
	s_waitcnt lgkmcnt(4)
	global_store_dword v[12:13], v16, off
                                        ; implicit-def: $vgpr12_vgpr13
	s_and_saveexec_b64 s[2:3], vcc
	s_xor_b64 s[2:3], exec, s[2:3]
; %bb.79:
	v_xor_b32_e32 v12, 0xfffffeff, v0
	v_ashrrev_i32_e32 v13, 31, v12
	v_add_co_u32_e32 v12, vcc, v14, v12
	v_addc_co_u32_e32 v13, vcc, v15, v13, vcc
; %bb.80:
	s_andn2_saveexec_b64 s[2:3], s[2:3]
; %bb.81:
	v_add_co_u32_e32 v12, vcc, v1, v26
	v_addc_co_u32_e32 v13, vcc, 0, v11, vcc
; %bb.82:
	s_or_b64 exec, exec, s[2:3]
	v_lshlrev_b64 v[12:13], 2, v[12:13]
	v_mov_b32_e32 v27, s29
	v_add_co_u32_e32 v12, vcc, s28, v12
	v_addc_co_u32_e32 v13, vcc, v27, v13, vcc
	v_cmp_ge_u32_e32 vcc, v25, v10
	global_store_dword v[12:13], v17, off
                                        ; implicit-def: $vgpr12_vgpr13
	s_and_saveexec_b64 s[2:3], vcc
	s_xor_b64 s[2:3], exec, s[2:3]
; %bb.83:
	v_xor_b32_e32 v12, 0xfffffdff, v0
	v_ashrrev_i32_e32 v13, 31, v12
	v_add_co_u32_e32 v12, vcc, v14, v12
	v_addc_co_u32_e32 v13, vcc, v15, v13, vcc
; %bb.84:
	s_andn2_saveexec_b64 s[2:3], s[2:3]
; %bb.85:
	v_add_co_u32_e32 v12, vcc, v1, v25
	v_addc_co_u32_e32 v13, vcc, 0, v11, vcc
; %bb.86:
	s_or_b64 exec, exec, s[2:3]
	v_lshlrev_b64 v[12:13], 2, v[12:13]
	v_mov_b32_e32 v27, s29
	v_add_co_u32_e32 v12, vcc, s28, v12
	v_addc_co_u32_e32 v13, vcc, v27, v13, vcc
	v_cmp_ge_u32_e32 vcc, v24, v10
	s_waitcnt lgkmcnt(3)
	global_store_dword v[12:13], v8, off
                                        ; implicit-def: $vgpr12_vgpr13
	s_and_saveexec_b64 s[2:3], vcc
	s_xor_b64 s[2:3], exec, s[2:3]
; %bb.87:
	v_xor_b32_e32 v12, 0xfffffcff, v0
	v_ashrrev_i32_e32 v13, 31, v12
	v_add_co_u32_e32 v12, vcc, v14, v12
	v_addc_co_u32_e32 v13, vcc, v15, v13, vcc
; %bb.88:
	s_andn2_saveexec_b64 s[2:3], s[2:3]
; %bb.89:
	v_add_co_u32_e32 v12, vcc, v1, v24
	v_addc_co_u32_e32 v13, vcc, 0, v11, vcc
; %bb.90:
	s_or_b64 exec, exec, s[2:3]
	v_lshlrev_b64 v[12:13], 2, v[12:13]
	v_mov_b32_e32 v27, s29
	v_add_co_u32_e32 v12, vcc, s28, v12
	v_addc_co_u32_e32 v13, vcc, v27, v13, vcc
	v_cmp_ge_u32_e32 vcc, v23, v10
	global_store_dword v[12:13], v9, off
                                        ; implicit-def: $vgpr12_vgpr13
	s_and_saveexec_b64 s[2:3], vcc
	s_xor_b64 s[2:3], exec, s[2:3]
; %bb.91:
	v_xor_b32_e32 v12, 0xfffffbff, v0
	;; [unrolled: 43-line block ×4, first 2 shown]
	v_ashrrev_i32_e32 v13, 31, v12
	v_add_co_u32_e32 v12, vcc, v14, v12
	v_addc_co_u32_e32 v13, vcc, v15, v13, vcc
; %bb.108:
	s_andn2_saveexec_b64 s[2:3], s[2:3]
; %bb.109:
	v_add_co_u32_e32 v12, vcc, v1, v19
	v_addc_co_u32_e32 v13, vcc, 0, v11, vcc
; %bb.110:
	s_or_b64 exec, exec, s[2:3]
	v_lshlrev_b64 v[12:13], 2, v[12:13]
	v_mov_b32_e32 v27, s29
	v_add_co_u32_e32 v12, vcc, s28, v12
	v_addc_co_u32_e32 v13, vcc, v27, v13, vcc
	v_cmp_ge_u32_e32 vcc, v18, v10
	s_waitcnt lgkmcnt(0)
	global_store_dword v[12:13], v2, off
                                        ; implicit-def: $vgpr12_vgpr13
	s_and_saveexec_b64 s[2:3], vcc
	s_xor_b64 s[2:3], exec, s[2:3]
; %bb.111:
	v_xor_b32_e32 v12, 0xfffff6ff, v0
	v_ashrrev_i32_e32 v13, 31, v12
	v_add_co_u32_e32 v12, vcc, v14, v12
	v_addc_co_u32_e32 v13, vcc, v15, v13, vcc
; %bb.112:
	s_andn2_saveexec_b64 s[2:3], s[2:3]
; %bb.113:
	v_add_co_u32_e32 v12, vcc, v1, v18
	v_addc_co_u32_e32 v13, vcc, 0, v11, vcc
; %bb.114:
	s_or_b64 exec, exec, s[2:3]
	s_mov_b64 s[2:3], -1
.LBB929_115:
	s_and_saveexec_b64 s[4:5], s[2:3]
	s_cbranch_execz .LBB929_146
.LBB929_116:
	s_waitcnt lgkmcnt(1)
	v_lshlrev_b64 v[4:5], 2, v[12:13]
	v_mov_b32_e32 v0, s29
	v_add_co_u32_e32 v4, vcc, s28, v4
	v_addc_co_u32_e32 v5, vcc, v0, v5, vcc
	s_waitcnt lgkmcnt(0)
	global_store_dword v[4:5], v3, off
	s_or_b64 exec, exec, s[4:5]
	s_and_b64 s[0:1], s[0:1], s[22:23]
	s_and_saveexec_b64 s[2:3], s[0:1]
	s_cbranch_execnz .LBB929_147
.LBB929_117:
	s_endpgm
.LBB929_118:
	s_mov_b64 s[2:3], 0
                                        ; implicit-def: $vgpr12_vgpr13
	s_cbranch_execz .LBB929_115
; %bb.119:
	v_cmp_gt_u32_e32 vcc, s33, v0
	s_and_saveexec_b64 s[4:5], vcc
	s_cbranch_execz .LBB929_148
; %bb.120:
	v_cmp_ge_u32_e32 vcc, v0, v10
                                        ; implicit-def: $vgpr12_vgpr13
	s_and_saveexec_b64 s[6:7], vcc
	s_xor_b64 s[6:7], exec, s[6:7]
; %bb.121:
	v_not_b32_e32 v12, v0
	v_ashrrev_i32_e32 v13, 31, v12
	v_add_co_u32_e32 v12, vcc, v14, v12
	v_addc_co_u32_e32 v13, vcc, v15, v13, vcc
; %bb.122:
	s_andn2_saveexec_b64 s[6:7], s[6:7]
; %bb.123:
	v_add_co_u32_e32 v12, vcc, v1, v0
	v_addc_co_u32_e32 v13, vcc, 0, v11, vcc
; %bb.124:
	s_or_b64 exec, exec, s[6:7]
	v_lshlrev_b64 v[12:13], 2, v[12:13]
	v_mov_b32_e32 v27, s29
	v_add_co_u32_e32 v12, vcc, s28, v12
	v_addc_co_u32_e32 v13, vcc, v27, v13, vcc
	s_waitcnt lgkmcnt(4)
	global_store_dword v[12:13], v16, off
	s_or_b64 exec, exec, s[4:5]
	v_cmp_gt_u32_e32 vcc, s33, v26
	s_and_saveexec_b64 s[4:5], vcc
	s_cbranch_execnz .LBB929_149
.LBB929_125:
	s_or_b64 exec, exec, s[4:5]
	v_cmp_gt_u32_e32 vcc, s33, v25
	s_and_saveexec_b64 s[4:5], vcc
	s_cbranch_execz .LBB929_154
.LBB929_126:
	v_cmp_ge_u32_e32 vcc, v25, v10
                                        ; implicit-def: $vgpr12_vgpr13
	s_and_saveexec_b64 s[6:7], vcc
	s_xor_b64 s[6:7], exec, s[6:7]
; %bb.127:
	v_xor_b32_e32 v12, 0xfffffdff, v0
	v_ashrrev_i32_e32 v13, 31, v12
	v_add_co_u32_e32 v12, vcc, v14, v12
	v_addc_co_u32_e32 v13, vcc, v15, v13, vcc
                                        ; implicit-def: $vgpr25
; %bb.128:
	s_andn2_saveexec_b64 s[6:7], s[6:7]
; %bb.129:
	v_add_co_u32_e32 v12, vcc, v1, v25
	v_addc_co_u32_e32 v13, vcc, 0, v11, vcc
; %bb.130:
	s_or_b64 exec, exec, s[6:7]
	v_lshlrev_b64 v[12:13], 2, v[12:13]
	s_waitcnt lgkmcnt(4)
	v_mov_b32_e32 v16, s29
	v_add_co_u32_e32 v12, vcc, s28, v12
	v_addc_co_u32_e32 v13, vcc, v16, v13, vcc
	s_waitcnt lgkmcnt(3)
	global_store_dword v[12:13], v8, off
	s_or_b64 exec, exec, s[4:5]
	v_cmp_gt_u32_e32 vcc, s33, v24
	s_and_saveexec_b64 s[4:5], vcc
	s_cbranch_execnz .LBB929_155
.LBB929_131:
	s_or_b64 exec, exec, s[4:5]
	v_cmp_gt_u32_e32 vcc, s33, v23
	s_and_saveexec_b64 s[4:5], vcc
	s_cbranch_execz .LBB929_160
.LBB929_132:
	v_cmp_ge_u32_e32 vcc, v23, v10
                                        ; implicit-def: $vgpr8_vgpr9
	s_and_saveexec_b64 s[6:7], vcc
	s_xor_b64 s[6:7], exec, s[6:7]
	s_cbranch_execz .LBB929_134
; %bb.133:
	s_waitcnt lgkmcnt(3)
	v_xor_b32_e32 v8, 0xfffffbff, v0
	v_ashrrev_i32_e32 v9, 31, v8
	v_add_co_u32_e32 v8, vcc, v14, v8
	v_addc_co_u32_e32 v9, vcc, v15, v9, vcc
                                        ; implicit-def: $vgpr23
.LBB929_134:
	s_andn2_saveexec_b64 s[6:7], s[6:7]
	s_cbranch_execz .LBB929_136
; %bb.135:
	s_waitcnt lgkmcnt(3)
	v_add_co_u32_e32 v8, vcc, v1, v23
	v_addc_co_u32_e32 v9, vcc, 0, v11, vcc
.LBB929_136:
	s_or_b64 exec, exec, s[6:7]
	s_waitcnt lgkmcnt(3)
	v_lshlrev_b64 v[8:9], 2, v[8:9]
	v_mov_b32_e32 v12, s29
	v_add_co_u32_e32 v8, vcc, s28, v8
	v_addc_co_u32_e32 v9, vcc, v12, v9, vcc
	s_waitcnt lgkmcnt(2)
	global_store_dword v[8:9], v6, off
	s_or_b64 exec, exec, s[4:5]
	v_cmp_gt_u32_e32 vcc, s33, v22
	s_and_saveexec_b64 s[4:5], vcc
	s_cbranch_execnz .LBB929_161
.LBB929_137:
	s_or_b64 exec, exec, s[4:5]
	v_cmp_gt_u32_e32 vcc, s33, v21
	s_and_saveexec_b64 s[4:5], vcc
	s_cbranch_execz .LBB929_166
.LBB929_138:
	v_cmp_ge_u32_e32 vcc, v21, v10
                                        ; implicit-def: $vgpr6_vgpr7
	s_and_saveexec_b64 s[6:7], vcc
	s_xor_b64 s[6:7], exec, s[6:7]
	s_cbranch_execz .LBB929_140
; %bb.139:
	s_waitcnt lgkmcnt(2)
	v_xor_b32_e32 v6, 0xfffff9ff, v0
	v_ashrrev_i32_e32 v7, 31, v6
	v_add_co_u32_e32 v6, vcc, v14, v6
	v_addc_co_u32_e32 v7, vcc, v15, v7, vcc
                                        ; implicit-def: $vgpr21
.LBB929_140:
	s_andn2_saveexec_b64 s[6:7], s[6:7]
	s_cbranch_execz .LBB929_142
; %bb.141:
	s_waitcnt lgkmcnt(2)
	v_add_co_u32_e32 v6, vcc, v1, v21
	v_addc_co_u32_e32 v7, vcc, 0, v11, vcc
.LBB929_142:
	s_or_b64 exec, exec, s[6:7]
	s_waitcnt lgkmcnt(2)
	v_lshlrev_b64 v[6:7], 2, v[6:7]
	v_mov_b32_e32 v8, s29
	v_add_co_u32_e32 v6, vcc, s28, v6
	v_addc_co_u32_e32 v7, vcc, v8, v7, vcc
	s_waitcnt lgkmcnt(1)
	global_store_dword v[6:7], v4, off
	s_or_b64 exec, exec, s[4:5]
	v_cmp_gt_u32_e32 vcc, s33, v20
	s_and_saveexec_b64 s[4:5], vcc
	s_cbranch_execnz .LBB929_167
.LBB929_143:
	s_or_b64 exec, exec, s[4:5]
	v_cmp_gt_u32_e32 vcc, s33, v19
	s_and_saveexec_b64 s[4:5], vcc
	s_cbranch_execnz .LBB929_172
.LBB929_144:
	s_or_b64 exec, exec, s[4:5]
	v_cmp_gt_u32_e32 vcc, s33, v18
                                        ; implicit-def: $vgpr12_vgpr13
	s_and_saveexec_b64 s[4:5], vcc
	s_cbranch_execnz .LBB929_177
.LBB929_145:
	s_or_b64 exec, exec, s[4:5]
	s_and_saveexec_b64 s[4:5], s[2:3]
	s_cbranch_execnz .LBB929_116
.LBB929_146:
	s_or_b64 exec, exec, s[4:5]
	s_and_b64 s[0:1], s[0:1], s[22:23]
	s_and_saveexec_b64 s[2:3], s[0:1]
	s_cbranch_execz .LBB929_117
.LBB929_147:
	v_add_co_u32_e32 v0, vcc, v1, v10
	s_waitcnt lgkmcnt(0)
	v_mov_b32_e32 v2, 0
	v_addc_co_u32_e32 v1, vcc, 0, v11, vcc
	global_store_dwordx2 v2, v[0:1], s[20:21]
	s_endpgm
.LBB929_148:
	s_or_b64 exec, exec, s[4:5]
	v_cmp_gt_u32_e32 vcc, s33, v26
	s_and_saveexec_b64 s[4:5], vcc
	s_cbranch_execz .LBB929_125
.LBB929_149:
	v_cmp_ge_u32_e32 vcc, v26, v10
                                        ; implicit-def: $vgpr12_vgpr13
	s_and_saveexec_b64 s[6:7], vcc
	s_xor_b64 s[6:7], exec, s[6:7]
; %bb.150:
	v_xor_b32_e32 v12, 0xfffffeff, v0
	v_ashrrev_i32_e32 v13, 31, v12
	v_add_co_u32_e32 v12, vcc, v14, v12
	v_addc_co_u32_e32 v13, vcc, v15, v13, vcc
                                        ; implicit-def: $vgpr26
; %bb.151:
	s_andn2_saveexec_b64 s[6:7], s[6:7]
; %bb.152:
	v_add_co_u32_e32 v12, vcc, v1, v26
	v_addc_co_u32_e32 v13, vcc, 0, v11, vcc
; %bb.153:
	s_or_b64 exec, exec, s[6:7]
	v_lshlrev_b64 v[12:13], 2, v[12:13]
	s_waitcnt lgkmcnt(4)
	v_mov_b32_e32 v16, s29
	v_add_co_u32_e32 v12, vcc, s28, v12
	v_addc_co_u32_e32 v13, vcc, v16, v13, vcc
	global_store_dword v[12:13], v17, off
	s_or_b64 exec, exec, s[4:5]
	v_cmp_gt_u32_e32 vcc, s33, v25
	s_and_saveexec_b64 s[4:5], vcc
	s_cbranch_execnz .LBB929_126
.LBB929_154:
	s_or_b64 exec, exec, s[4:5]
	v_cmp_gt_u32_e32 vcc, s33, v24
	s_and_saveexec_b64 s[4:5], vcc
	s_cbranch_execz .LBB929_131
.LBB929_155:
	v_cmp_ge_u32_e32 vcc, v24, v10
                                        ; implicit-def: $vgpr12_vgpr13
	s_and_saveexec_b64 s[6:7], vcc
	s_xor_b64 s[6:7], exec, s[6:7]
	s_cbranch_execz .LBB929_157
; %bb.156:
	s_waitcnt lgkmcnt(3)
	v_xor_b32_e32 v8, 0xfffffcff, v0
	v_ashrrev_i32_e32 v13, 31, v8
	v_add_co_u32_e32 v12, vcc, v14, v8
	v_addc_co_u32_e32 v13, vcc, v15, v13, vcc
                                        ; implicit-def: $vgpr24
.LBB929_157:
	s_andn2_saveexec_b64 s[6:7], s[6:7]
; %bb.158:
	v_add_co_u32_e32 v12, vcc, v1, v24
	v_addc_co_u32_e32 v13, vcc, 0, v11, vcc
; %bb.159:
	s_or_b64 exec, exec, s[6:7]
	v_lshlrev_b64 v[12:13], 2, v[12:13]
	s_waitcnt lgkmcnt(3)
	v_mov_b32_e32 v8, s29
	v_add_co_u32_e32 v12, vcc, s28, v12
	v_addc_co_u32_e32 v13, vcc, v8, v13, vcc
	global_store_dword v[12:13], v9, off
	s_or_b64 exec, exec, s[4:5]
	v_cmp_gt_u32_e32 vcc, s33, v23
	s_and_saveexec_b64 s[4:5], vcc
	s_cbranch_execnz .LBB929_132
.LBB929_160:
	s_or_b64 exec, exec, s[4:5]
	v_cmp_gt_u32_e32 vcc, s33, v22
	s_and_saveexec_b64 s[4:5], vcc
	s_cbranch_execz .LBB929_137
.LBB929_161:
	v_cmp_ge_u32_e32 vcc, v22, v10
                                        ; implicit-def: $vgpr8_vgpr9
	s_and_saveexec_b64 s[6:7], vcc
	s_xor_b64 s[6:7], exec, s[6:7]
	s_cbranch_execz .LBB929_163
; %bb.162:
	s_waitcnt lgkmcnt(2)
	v_xor_b32_e32 v6, 0xfffffaff, v0
	v_ashrrev_i32_e32 v9, 31, v6
	v_add_co_u32_e32 v8, vcc, v14, v6
	v_addc_co_u32_e32 v9, vcc, v15, v9, vcc
                                        ; implicit-def: $vgpr22
.LBB929_163:
	s_andn2_saveexec_b64 s[6:7], s[6:7]
	s_cbranch_execz .LBB929_165
; %bb.164:
	s_waitcnt lgkmcnt(3)
	v_add_co_u32_e32 v8, vcc, v1, v22
	v_addc_co_u32_e32 v9, vcc, 0, v11, vcc
.LBB929_165:
	s_or_b64 exec, exec, s[6:7]
	s_waitcnt lgkmcnt(3)
	v_lshlrev_b64 v[8:9], 2, v[8:9]
	s_waitcnt lgkmcnt(2)
	v_mov_b32_e32 v6, s29
	v_add_co_u32_e32 v8, vcc, s28, v8
	v_addc_co_u32_e32 v9, vcc, v6, v9, vcc
	global_store_dword v[8:9], v7, off
	s_or_b64 exec, exec, s[4:5]
	v_cmp_gt_u32_e32 vcc, s33, v21
	s_and_saveexec_b64 s[4:5], vcc
	s_cbranch_execnz .LBB929_138
.LBB929_166:
	s_or_b64 exec, exec, s[4:5]
	v_cmp_gt_u32_e32 vcc, s33, v20
	s_and_saveexec_b64 s[4:5], vcc
	s_cbranch_execz .LBB929_143
.LBB929_167:
	v_cmp_ge_u32_e32 vcc, v20, v10
                                        ; implicit-def: $vgpr6_vgpr7
	s_and_saveexec_b64 s[6:7], vcc
	s_xor_b64 s[6:7], exec, s[6:7]
	s_cbranch_execz .LBB929_169
; %bb.168:
	s_waitcnt lgkmcnt(1)
	v_xor_b32_e32 v4, 0xfffff8ff, v0
	v_ashrrev_i32_e32 v7, 31, v4
	v_add_co_u32_e32 v6, vcc, v14, v4
	v_addc_co_u32_e32 v7, vcc, v15, v7, vcc
                                        ; implicit-def: $vgpr20
.LBB929_169:
	s_andn2_saveexec_b64 s[6:7], s[6:7]
	s_cbranch_execz .LBB929_171
; %bb.170:
	s_waitcnt lgkmcnt(2)
	v_add_co_u32_e32 v6, vcc, v1, v20
	v_addc_co_u32_e32 v7, vcc, 0, v11, vcc
.LBB929_171:
	s_or_b64 exec, exec, s[6:7]
	s_waitcnt lgkmcnt(2)
	v_lshlrev_b64 v[6:7], 2, v[6:7]
	s_waitcnt lgkmcnt(1)
	v_mov_b32_e32 v4, s29
	v_add_co_u32_e32 v6, vcc, s28, v6
	v_addc_co_u32_e32 v7, vcc, v4, v7, vcc
	global_store_dword v[6:7], v5, off
	s_or_b64 exec, exec, s[4:5]
	v_cmp_gt_u32_e32 vcc, s33, v19
	s_and_saveexec_b64 s[4:5], vcc
	s_cbranch_execz .LBB929_144
.LBB929_172:
	v_cmp_ge_u32_e32 vcc, v19, v10
                                        ; implicit-def: $vgpr4_vgpr5
	s_and_saveexec_b64 s[6:7], vcc
	s_xor_b64 s[6:7], exec, s[6:7]
	s_cbranch_execz .LBB929_174
; %bb.173:
	s_waitcnt lgkmcnt(1)
	v_xor_b32_e32 v4, 0xfffff7ff, v0
	v_ashrrev_i32_e32 v5, 31, v4
	v_add_co_u32_e32 v4, vcc, v14, v4
	v_addc_co_u32_e32 v5, vcc, v15, v5, vcc
                                        ; implicit-def: $vgpr19
.LBB929_174:
	s_andn2_saveexec_b64 s[6:7], s[6:7]
	s_cbranch_execz .LBB929_176
; %bb.175:
	s_waitcnt lgkmcnt(1)
	v_add_co_u32_e32 v4, vcc, v1, v19
	v_addc_co_u32_e32 v5, vcc, 0, v11, vcc
.LBB929_176:
	s_or_b64 exec, exec, s[6:7]
	s_waitcnt lgkmcnt(1)
	v_lshlrev_b64 v[4:5], 2, v[4:5]
	v_mov_b32_e32 v6, s29
	v_add_co_u32_e32 v4, vcc, s28, v4
	v_addc_co_u32_e32 v5, vcc, v6, v5, vcc
	s_waitcnt lgkmcnt(0)
	global_store_dword v[4:5], v2, off
	s_or_b64 exec, exec, s[4:5]
	v_cmp_gt_u32_e32 vcc, s33, v18
                                        ; implicit-def: $vgpr12_vgpr13
	s_and_saveexec_b64 s[4:5], vcc
	s_cbranch_execz .LBB929_145
.LBB929_177:
	v_cmp_ge_u32_e32 vcc, v18, v10
                                        ; implicit-def: $vgpr12_vgpr13
	s_and_saveexec_b64 s[6:7], vcc
	s_xor_b64 s[6:7], exec, s[6:7]
	s_cbranch_execz .LBB929_179
; %bb.178:
	v_xor_b32_e32 v0, 0xfffff6ff, v0
	s_waitcnt lgkmcnt(0)
	v_ashrrev_i32_e32 v2, 31, v0
	v_add_co_u32_e32 v12, vcc, v14, v0
	v_addc_co_u32_e32 v13, vcc, v15, v2, vcc
                                        ; implicit-def: $vgpr18
.LBB929_179:
	s_andn2_saveexec_b64 s[6:7], s[6:7]
; %bb.180:
	v_add_co_u32_e32 v12, vcc, v1, v18
	v_addc_co_u32_e32 v13, vcc, 0, v11, vcc
; %bb.181:
	s_or_b64 exec, exec, s[6:7]
	s_or_b64 s[2:3], s[2:3], exec
	s_or_b64 exec, exec, s[4:5]
	s_and_saveexec_b64 s[4:5], s[2:3]
	s_cbranch_execnz .LBB929_116
	s_branch .LBB929_146
	.section	.rodata,"a",@progbits
	.p2align	6, 0x0
	.amdhsa_kernel _ZN7rocprim17ROCPRIM_400000_NS6detail17trampoline_kernelINS0_14default_configENS1_25partition_config_selectorILNS1_17partition_subalgoE3EjNS0_10empty_typeEbEEZZNS1_14partition_implILS5_3ELb0ES3_jN6thrust23THRUST_200600_302600_NS6detail15normal_iteratorINSA_7pointerIjNSA_11hip_rocprim3tagENSA_11use_defaultESG_EEEEPS6_SJ_NS0_5tupleIJPjSJ_EEENSK_IJSJ_SJ_EEES6_PlJ7is_evenIjEEEE10hipError_tPvRmT3_T4_T5_T6_T7_T9_mT8_P12ihipStream_tbDpT10_ENKUlT_T0_E_clISt17integral_constantIbLb1EES1A_EEDaS15_S16_EUlS15_E_NS1_11comp_targetILNS1_3genE4ELNS1_11target_archE910ELNS1_3gpuE8ELNS1_3repE0EEENS1_30default_config_static_selectorELNS0_4arch9wavefront6targetE1EEEvT1_
		.amdhsa_group_segment_fixed_size 10248
		.amdhsa_private_segment_fixed_size 0
		.amdhsa_kernarg_size 136
		.amdhsa_user_sgpr_count 6
		.amdhsa_user_sgpr_private_segment_buffer 1
		.amdhsa_user_sgpr_dispatch_ptr 0
		.amdhsa_user_sgpr_queue_ptr 0
		.amdhsa_user_sgpr_kernarg_segment_ptr 1
		.amdhsa_user_sgpr_dispatch_id 0
		.amdhsa_user_sgpr_flat_scratch_init 0
		.amdhsa_user_sgpr_kernarg_preload_length 0
		.amdhsa_user_sgpr_kernarg_preload_offset 0
		.amdhsa_user_sgpr_private_segment_size 0
		.amdhsa_uses_dynamic_stack 0
		.amdhsa_system_sgpr_private_segment_wavefront_offset 0
		.amdhsa_system_sgpr_workgroup_id_x 1
		.amdhsa_system_sgpr_workgroup_id_y 0
		.amdhsa_system_sgpr_workgroup_id_z 0
		.amdhsa_system_sgpr_workgroup_info 0
		.amdhsa_system_vgpr_workitem_id 0
		.amdhsa_next_free_vgpr 57
		.amdhsa_next_free_sgpr 44
		.amdhsa_accum_offset 60
		.amdhsa_reserve_vcc 1
		.amdhsa_reserve_flat_scratch 0
		.amdhsa_float_round_mode_32 0
		.amdhsa_float_round_mode_16_64 0
		.amdhsa_float_denorm_mode_32 3
		.amdhsa_float_denorm_mode_16_64 3
		.amdhsa_dx10_clamp 1
		.amdhsa_ieee_mode 1
		.amdhsa_fp16_overflow 0
		.amdhsa_tg_split 0
		.amdhsa_exception_fp_ieee_invalid_op 0
		.amdhsa_exception_fp_denorm_src 0
		.amdhsa_exception_fp_ieee_div_zero 0
		.amdhsa_exception_fp_ieee_overflow 0
		.amdhsa_exception_fp_ieee_underflow 0
		.amdhsa_exception_fp_ieee_inexact 0
		.amdhsa_exception_int_div_zero 0
	.end_amdhsa_kernel
	.section	.text._ZN7rocprim17ROCPRIM_400000_NS6detail17trampoline_kernelINS0_14default_configENS1_25partition_config_selectorILNS1_17partition_subalgoE3EjNS0_10empty_typeEbEEZZNS1_14partition_implILS5_3ELb0ES3_jN6thrust23THRUST_200600_302600_NS6detail15normal_iteratorINSA_7pointerIjNSA_11hip_rocprim3tagENSA_11use_defaultESG_EEEEPS6_SJ_NS0_5tupleIJPjSJ_EEENSK_IJSJ_SJ_EEES6_PlJ7is_evenIjEEEE10hipError_tPvRmT3_T4_T5_T6_T7_T9_mT8_P12ihipStream_tbDpT10_ENKUlT_T0_E_clISt17integral_constantIbLb1EES1A_EEDaS15_S16_EUlS15_E_NS1_11comp_targetILNS1_3genE4ELNS1_11target_archE910ELNS1_3gpuE8ELNS1_3repE0EEENS1_30default_config_static_selectorELNS0_4arch9wavefront6targetE1EEEvT1_,"axG",@progbits,_ZN7rocprim17ROCPRIM_400000_NS6detail17trampoline_kernelINS0_14default_configENS1_25partition_config_selectorILNS1_17partition_subalgoE3EjNS0_10empty_typeEbEEZZNS1_14partition_implILS5_3ELb0ES3_jN6thrust23THRUST_200600_302600_NS6detail15normal_iteratorINSA_7pointerIjNSA_11hip_rocprim3tagENSA_11use_defaultESG_EEEEPS6_SJ_NS0_5tupleIJPjSJ_EEENSK_IJSJ_SJ_EEES6_PlJ7is_evenIjEEEE10hipError_tPvRmT3_T4_T5_T6_T7_T9_mT8_P12ihipStream_tbDpT10_ENKUlT_T0_E_clISt17integral_constantIbLb1EES1A_EEDaS15_S16_EUlS15_E_NS1_11comp_targetILNS1_3genE4ELNS1_11target_archE910ELNS1_3gpuE8ELNS1_3repE0EEENS1_30default_config_static_selectorELNS0_4arch9wavefront6targetE1EEEvT1_,comdat
.Lfunc_end929:
	.size	_ZN7rocprim17ROCPRIM_400000_NS6detail17trampoline_kernelINS0_14default_configENS1_25partition_config_selectorILNS1_17partition_subalgoE3EjNS0_10empty_typeEbEEZZNS1_14partition_implILS5_3ELb0ES3_jN6thrust23THRUST_200600_302600_NS6detail15normal_iteratorINSA_7pointerIjNSA_11hip_rocprim3tagENSA_11use_defaultESG_EEEEPS6_SJ_NS0_5tupleIJPjSJ_EEENSK_IJSJ_SJ_EEES6_PlJ7is_evenIjEEEE10hipError_tPvRmT3_T4_T5_T6_T7_T9_mT8_P12ihipStream_tbDpT10_ENKUlT_T0_E_clISt17integral_constantIbLb1EES1A_EEDaS15_S16_EUlS15_E_NS1_11comp_targetILNS1_3genE4ELNS1_11target_archE910ELNS1_3gpuE8ELNS1_3repE0EEENS1_30default_config_static_selectorELNS0_4arch9wavefront6targetE1EEEvT1_, .Lfunc_end929-_ZN7rocprim17ROCPRIM_400000_NS6detail17trampoline_kernelINS0_14default_configENS1_25partition_config_selectorILNS1_17partition_subalgoE3EjNS0_10empty_typeEbEEZZNS1_14partition_implILS5_3ELb0ES3_jN6thrust23THRUST_200600_302600_NS6detail15normal_iteratorINSA_7pointerIjNSA_11hip_rocprim3tagENSA_11use_defaultESG_EEEEPS6_SJ_NS0_5tupleIJPjSJ_EEENSK_IJSJ_SJ_EEES6_PlJ7is_evenIjEEEE10hipError_tPvRmT3_T4_T5_T6_T7_T9_mT8_P12ihipStream_tbDpT10_ENKUlT_T0_E_clISt17integral_constantIbLb1EES1A_EEDaS15_S16_EUlS15_E_NS1_11comp_targetILNS1_3genE4ELNS1_11target_archE910ELNS1_3gpuE8ELNS1_3repE0EEENS1_30default_config_static_selectorELNS0_4arch9wavefront6targetE1EEEvT1_
                                        ; -- End function
	.section	.AMDGPU.csdata,"",@progbits
; Kernel info:
; codeLenInByte = 6252
; NumSgprs: 48
; NumVgprs: 57
; NumAgprs: 0
; TotalNumVgprs: 57
; ScratchSize: 0
; MemoryBound: 0
; FloatMode: 240
; IeeeMode: 1
; LDSByteSize: 10248 bytes/workgroup (compile time only)
; SGPRBlocks: 5
; VGPRBlocks: 7
; NumSGPRsForWavesPerEU: 48
; NumVGPRsForWavesPerEU: 57
; AccumOffset: 60
; Occupancy: 6
; WaveLimiterHint : 1
; COMPUTE_PGM_RSRC2:SCRATCH_EN: 0
; COMPUTE_PGM_RSRC2:USER_SGPR: 6
; COMPUTE_PGM_RSRC2:TRAP_HANDLER: 0
; COMPUTE_PGM_RSRC2:TGID_X_EN: 1
; COMPUTE_PGM_RSRC2:TGID_Y_EN: 0
; COMPUTE_PGM_RSRC2:TGID_Z_EN: 0
; COMPUTE_PGM_RSRC2:TIDIG_COMP_CNT: 0
; COMPUTE_PGM_RSRC3_GFX90A:ACCUM_OFFSET: 14
; COMPUTE_PGM_RSRC3_GFX90A:TG_SPLIT: 0
	.section	.text._ZN7rocprim17ROCPRIM_400000_NS6detail17trampoline_kernelINS0_14default_configENS1_25partition_config_selectorILNS1_17partition_subalgoE3EjNS0_10empty_typeEbEEZZNS1_14partition_implILS5_3ELb0ES3_jN6thrust23THRUST_200600_302600_NS6detail15normal_iteratorINSA_7pointerIjNSA_11hip_rocprim3tagENSA_11use_defaultESG_EEEEPS6_SJ_NS0_5tupleIJPjSJ_EEENSK_IJSJ_SJ_EEES6_PlJ7is_evenIjEEEE10hipError_tPvRmT3_T4_T5_T6_T7_T9_mT8_P12ihipStream_tbDpT10_ENKUlT_T0_E_clISt17integral_constantIbLb1EES1A_EEDaS15_S16_EUlS15_E_NS1_11comp_targetILNS1_3genE3ELNS1_11target_archE908ELNS1_3gpuE7ELNS1_3repE0EEENS1_30default_config_static_selectorELNS0_4arch9wavefront6targetE1EEEvT1_,"axG",@progbits,_ZN7rocprim17ROCPRIM_400000_NS6detail17trampoline_kernelINS0_14default_configENS1_25partition_config_selectorILNS1_17partition_subalgoE3EjNS0_10empty_typeEbEEZZNS1_14partition_implILS5_3ELb0ES3_jN6thrust23THRUST_200600_302600_NS6detail15normal_iteratorINSA_7pointerIjNSA_11hip_rocprim3tagENSA_11use_defaultESG_EEEEPS6_SJ_NS0_5tupleIJPjSJ_EEENSK_IJSJ_SJ_EEES6_PlJ7is_evenIjEEEE10hipError_tPvRmT3_T4_T5_T6_T7_T9_mT8_P12ihipStream_tbDpT10_ENKUlT_T0_E_clISt17integral_constantIbLb1EES1A_EEDaS15_S16_EUlS15_E_NS1_11comp_targetILNS1_3genE3ELNS1_11target_archE908ELNS1_3gpuE7ELNS1_3repE0EEENS1_30default_config_static_selectorELNS0_4arch9wavefront6targetE1EEEvT1_,comdat
	.protected	_ZN7rocprim17ROCPRIM_400000_NS6detail17trampoline_kernelINS0_14default_configENS1_25partition_config_selectorILNS1_17partition_subalgoE3EjNS0_10empty_typeEbEEZZNS1_14partition_implILS5_3ELb0ES3_jN6thrust23THRUST_200600_302600_NS6detail15normal_iteratorINSA_7pointerIjNSA_11hip_rocprim3tagENSA_11use_defaultESG_EEEEPS6_SJ_NS0_5tupleIJPjSJ_EEENSK_IJSJ_SJ_EEES6_PlJ7is_evenIjEEEE10hipError_tPvRmT3_T4_T5_T6_T7_T9_mT8_P12ihipStream_tbDpT10_ENKUlT_T0_E_clISt17integral_constantIbLb1EES1A_EEDaS15_S16_EUlS15_E_NS1_11comp_targetILNS1_3genE3ELNS1_11target_archE908ELNS1_3gpuE7ELNS1_3repE0EEENS1_30default_config_static_selectorELNS0_4arch9wavefront6targetE1EEEvT1_ ; -- Begin function _ZN7rocprim17ROCPRIM_400000_NS6detail17trampoline_kernelINS0_14default_configENS1_25partition_config_selectorILNS1_17partition_subalgoE3EjNS0_10empty_typeEbEEZZNS1_14partition_implILS5_3ELb0ES3_jN6thrust23THRUST_200600_302600_NS6detail15normal_iteratorINSA_7pointerIjNSA_11hip_rocprim3tagENSA_11use_defaultESG_EEEEPS6_SJ_NS0_5tupleIJPjSJ_EEENSK_IJSJ_SJ_EEES6_PlJ7is_evenIjEEEE10hipError_tPvRmT3_T4_T5_T6_T7_T9_mT8_P12ihipStream_tbDpT10_ENKUlT_T0_E_clISt17integral_constantIbLb1EES1A_EEDaS15_S16_EUlS15_E_NS1_11comp_targetILNS1_3genE3ELNS1_11target_archE908ELNS1_3gpuE7ELNS1_3repE0EEENS1_30default_config_static_selectorELNS0_4arch9wavefront6targetE1EEEvT1_
	.globl	_ZN7rocprim17ROCPRIM_400000_NS6detail17trampoline_kernelINS0_14default_configENS1_25partition_config_selectorILNS1_17partition_subalgoE3EjNS0_10empty_typeEbEEZZNS1_14partition_implILS5_3ELb0ES3_jN6thrust23THRUST_200600_302600_NS6detail15normal_iteratorINSA_7pointerIjNSA_11hip_rocprim3tagENSA_11use_defaultESG_EEEEPS6_SJ_NS0_5tupleIJPjSJ_EEENSK_IJSJ_SJ_EEES6_PlJ7is_evenIjEEEE10hipError_tPvRmT3_T4_T5_T6_T7_T9_mT8_P12ihipStream_tbDpT10_ENKUlT_T0_E_clISt17integral_constantIbLb1EES1A_EEDaS15_S16_EUlS15_E_NS1_11comp_targetILNS1_3genE3ELNS1_11target_archE908ELNS1_3gpuE7ELNS1_3repE0EEENS1_30default_config_static_selectorELNS0_4arch9wavefront6targetE1EEEvT1_
	.p2align	8
	.type	_ZN7rocprim17ROCPRIM_400000_NS6detail17trampoline_kernelINS0_14default_configENS1_25partition_config_selectorILNS1_17partition_subalgoE3EjNS0_10empty_typeEbEEZZNS1_14partition_implILS5_3ELb0ES3_jN6thrust23THRUST_200600_302600_NS6detail15normal_iteratorINSA_7pointerIjNSA_11hip_rocprim3tagENSA_11use_defaultESG_EEEEPS6_SJ_NS0_5tupleIJPjSJ_EEENSK_IJSJ_SJ_EEES6_PlJ7is_evenIjEEEE10hipError_tPvRmT3_T4_T5_T6_T7_T9_mT8_P12ihipStream_tbDpT10_ENKUlT_T0_E_clISt17integral_constantIbLb1EES1A_EEDaS15_S16_EUlS15_E_NS1_11comp_targetILNS1_3genE3ELNS1_11target_archE908ELNS1_3gpuE7ELNS1_3repE0EEENS1_30default_config_static_selectorELNS0_4arch9wavefront6targetE1EEEvT1_,@function
_ZN7rocprim17ROCPRIM_400000_NS6detail17trampoline_kernelINS0_14default_configENS1_25partition_config_selectorILNS1_17partition_subalgoE3EjNS0_10empty_typeEbEEZZNS1_14partition_implILS5_3ELb0ES3_jN6thrust23THRUST_200600_302600_NS6detail15normal_iteratorINSA_7pointerIjNSA_11hip_rocprim3tagENSA_11use_defaultESG_EEEEPS6_SJ_NS0_5tupleIJPjSJ_EEENSK_IJSJ_SJ_EEES6_PlJ7is_evenIjEEEE10hipError_tPvRmT3_T4_T5_T6_T7_T9_mT8_P12ihipStream_tbDpT10_ENKUlT_T0_E_clISt17integral_constantIbLb1EES1A_EEDaS15_S16_EUlS15_E_NS1_11comp_targetILNS1_3genE3ELNS1_11target_archE908ELNS1_3gpuE7ELNS1_3repE0EEENS1_30default_config_static_selectorELNS0_4arch9wavefront6targetE1EEEvT1_: ; @_ZN7rocprim17ROCPRIM_400000_NS6detail17trampoline_kernelINS0_14default_configENS1_25partition_config_selectorILNS1_17partition_subalgoE3EjNS0_10empty_typeEbEEZZNS1_14partition_implILS5_3ELb0ES3_jN6thrust23THRUST_200600_302600_NS6detail15normal_iteratorINSA_7pointerIjNSA_11hip_rocprim3tagENSA_11use_defaultESG_EEEEPS6_SJ_NS0_5tupleIJPjSJ_EEENSK_IJSJ_SJ_EEES6_PlJ7is_evenIjEEEE10hipError_tPvRmT3_T4_T5_T6_T7_T9_mT8_P12ihipStream_tbDpT10_ENKUlT_T0_E_clISt17integral_constantIbLb1EES1A_EEDaS15_S16_EUlS15_E_NS1_11comp_targetILNS1_3genE3ELNS1_11target_archE908ELNS1_3gpuE7ELNS1_3repE0EEENS1_30default_config_static_selectorELNS0_4arch9wavefront6targetE1EEEvT1_
; %bb.0:
	.section	.rodata,"a",@progbits
	.p2align	6, 0x0
	.amdhsa_kernel _ZN7rocprim17ROCPRIM_400000_NS6detail17trampoline_kernelINS0_14default_configENS1_25partition_config_selectorILNS1_17partition_subalgoE3EjNS0_10empty_typeEbEEZZNS1_14partition_implILS5_3ELb0ES3_jN6thrust23THRUST_200600_302600_NS6detail15normal_iteratorINSA_7pointerIjNSA_11hip_rocprim3tagENSA_11use_defaultESG_EEEEPS6_SJ_NS0_5tupleIJPjSJ_EEENSK_IJSJ_SJ_EEES6_PlJ7is_evenIjEEEE10hipError_tPvRmT3_T4_T5_T6_T7_T9_mT8_P12ihipStream_tbDpT10_ENKUlT_T0_E_clISt17integral_constantIbLb1EES1A_EEDaS15_S16_EUlS15_E_NS1_11comp_targetILNS1_3genE3ELNS1_11target_archE908ELNS1_3gpuE7ELNS1_3repE0EEENS1_30default_config_static_selectorELNS0_4arch9wavefront6targetE1EEEvT1_
		.amdhsa_group_segment_fixed_size 0
		.amdhsa_private_segment_fixed_size 0
		.amdhsa_kernarg_size 136
		.amdhsa_user_sgpr_count 6
		.amdhsa_user_sgpr_private_segment_buffer 1
		.amdhsa_user_sgpr_dispatch_ptr 0
		.amdhsa_user_sgpr_queue_ptr 0
		.amdhsa_user_sgpr_kernarg_segment_ptr 1
		.amdhsa_user_sgpr_dispatch_id 0
		.amdhsa_user_sgpr_flat_scratch_init 0
		.amdhsa_user_sgpr_kernarg_preload_length 0
		.amdhsa_user_sgpr_kernarg_preload_offset 0
		.amdhsa_user_sgpr_private_segment_size 0
		.amdhsa_uses_dynamic_stack 0
		.amdhsa_system_sgpr_private_segment_wavefront_offset 0
		.amdhsa_system_sgpr_workgroup_id_x 1
		.amdhsa_system_sgpr_workgroup_id_y 0
		.amdhsa_system_sgpr_workgroup_id_z 0
		.amdhsa_system_sgpr_workgroup_info 0
		.amdhsa_system_vgpr_workitem_id 0
		.amdhsa_next_free_vgpr 1
		.amdhsa_next_free_sgpr 0
		.amdhsa_accum_offset 4
		.amdhsa_reserve_vcc 0
		.amdhsa_reserve_flat_scratch 0
		.amdhsa_float_round_mode_32 0
		.amdhsa_float_round_mode_16_64 0
		.amdhsa_float_denorm_mode_32 3
		.amdhsa_float_denorm_mode_16_64 3
		.amdhsa_dx10_clamp 1
		.amdhsa_ieee_mode 1
		.amdhsa_fp16_overflow 0
		.amdhsa_tg_split 0
		.amdhsa_exception_fp_ieee_invalid_op 0
		.amdhsa_exception_fp_denorm_src 0
		.amdhsa_exception_fp_ieee_div_zero 0
		.amdhsa_exception_fp_ieee_overflow 0
		.amdhsa_exception_fp_ieee_underflow 0
		.amdhsa_exception_fp_ieee_inexact 0
		.amdhsa_exception_int_div_zero 0
	.end_amdhsa_kernel
	.section	.text._ZN7rocprim17ROCPRIM_400000_NS6detail17trampoline_kernelINS0_14default_configENS1_25partition_config_selectorILNS1_17partition_subalgoE3EjNS0_10empty_typeEbEEZZNS1_14partition_implILS5_3ELb0ES3_jN6thrust23THRUST_200600_302600_NS6detail15normal_iteratorINSA_7pointerIjNSA_11hip_rocprim3tagENSA_11use_defaultESG_EEEEPS6_SJ_NS0_5tupleIJPjSJ_EEENSK_IJSJ_SJ_EEES6_PlJ7is_evenIjEEEE10hipError_tPvRmT3_T4_T5_T6_T7_T9_mT8_P12ihipStream_tbDpT10_ENKUlT_T0_E_clISt17integral_constantIbLb1EES1A_EEDaS15_S16_EUlS15_E_NS1_11comp_targetILNS1_3genE3ELNS1_11target_archE908ELNS1_3gpuE7ELNS1_3repE0EEENS1_30default_config_static_selectorELNS0_4arch9wavefront6targetE1EEEvT1_,"axG",@progbits,_ZN7rocprim17ROCPRIM_400000_NS6detail17trampoline_kernelINS0_14default_configENS1_25partition_config_selectorILNS1_17partition_subalgoE3EjNS0_10empty_typeEbEEZZNS1_14partition_implILS5_3ELb0ES3_jN6thrust23THRUST_200600_302600_NS6detail15normal_iteratorINSA_7pointerIjNSA_11hip_rocprim3tagENSA_11use_defaultESG_EEEEPS6_SJ_NS0_5tupleIJPjSJ_EEENSK_IJSJ_SJ_EEES6_PlJ7is_evenIjEEEE10hipError_tPvRmT3_T4_T5_T6_T7_T9_mT8_P12ihipStream_tbDpT10_ENKUlT_T0_E_clISt17integral_constantIbLb1EES1A_EEDaS15_S16_EUlS15_E_NS1_11comp_targetILNS1_3genE3ELNS1_11target_archE908ELNS1_3gpuE7ELNS1_3repE0EEENS1_30default_config_static_selectorELNS0_4arch9wavefront6targetE1EEEvT1_,comdat
.Lfunc_end930:
	.size	_ZN7rocprim17ROCPRIM_400000_NS6detail17trampoline_kernelINS0_14default_configENS1_25partition_config_selectorILNS1_17partition_subalgoE3EjNS0_10empty_typeEbEEZZNS1_14partition_implILS5_3ELb0ES3_jN6thrust23THRUST_200600_302600_NS6detail15normal_iteratorINSA_7pointerIjNSA_11hip_rocprim3tagENSA_11use_defaultESG_EEEEPS6_SJ_NS0_5tupleIJPjSJ_EEENSK_IJSJ_SJ_EEES6_PlJ7is_evenIjEEEE10hipError_tPvRmT3_T4_T5_T6_T7_T9_mT8_P12ihipStream_tbDpT10_ENKUlT_T0_E_clISt17integral_constantIbLb1EES1A_EEDaS15_S16_EUlS15_E_NS1_11comp_targetILNS1_3genE3ELNS1_11target_archE908ELNS1_3gpuE7ELNS1_3repE0EEENS1_30default_config_static_selectorELNS0_4arch9wavefront6targetE1EEEvT1_, .Lfunc_end930-_ZN7rocprim17ROCPRIM_400000_NS6detail17trampoline_kernelINS0_14default_configENS1_25partition_config_selectorILNS1_17partition_subalgoE3EjNS0_10empty_typeEbEEZZNS1_14partition_implILS5_3ELb0ES3_jN6thrust23THRUST_200600_302600_NS6detail15normal_iteratorINSA_7pointerIjNSA_11hip_rocprim3tagENSA_11use_defaultESG_EEEEPS6_SJ_NS0_5tupleIJPjSJ_EEENSK_IJSJ_SJ_EEES6_PlJ7is_evenIjEEEE10hipError_tPvRmT3_T4_T5_T6_T7_T9_mT8_P12ihipStream_tbDpT10_ENKUlT_T0_E_clISt17integral_constantIbLb1EES1A_EEDaS15_S16_EUlS15_E_NS1_11comp_targetILNS1_3genE3ELNS1_11target_archE908ELNS1_3gpuE7ELNS1_3repE0EEENS1_30default_config_static_selectorELNS0_4arch9wavefront6targetE1EEEvT1_
                                        ; -- End function
	.section	.AMDGPU.csdata,"",@progbits
; Kernel info:
; codeLenInByte = 0
; NumSgprs: 4
; NumVgprs: 0
; NumAgprs: 0
; TotalNumVgprs: 0
; ScratchSize: 0
; MemoryBound: 0
; FloatMode: 240
; IeeeMode: 1
; LDSByteSize: 0 bytes/workgroup (compile time only)
; SGPRBlocks: 0
; VGPRBlocks: 0
; NumSGPRsForWavesPerEU: 4
; NumVGPRsForWavesPerEU: 1
; AccumOffset: 4
; Occupancy: 8
; WaveLimiterHint : 0
; COMPUTE_PGM_RSRC2:SCRATCH_EN: 0
; COMPUTE_PGM_RSRC2:USER_SGPR: 6
; COMPUTE_PGM_RSRC2:TRAP_HANDLER: 0
; COMPUTE_PGM_RSRC2:TGID_X_EN: 1
; COMPUTE_PGM_RSRC2:TGID_Y_EN: 0
; COMPUTE_PGM_RSRC2:TGID_Z_EN: 0
; COMPUTE_PGM_RSRC2:TIDIG_COMP_CNT: 0
; COMPUTE_PGM_RSRC3_GFX90A:ACCUM_OFFSET: 0
; COMPUTE_PGM_RSRC3_GFX90A:TG_SPLIT: 0
	.section	.text._ZN7rocprim17ROCPRIM_400000_NS6detail17trampoline_kernelINS0_14default_configENS1_25partition_config_selectorILNS1_17partition_subalgoE3EjNS0_10empty_typeEbEEZZNS1_14partition_implILS5_3ELb0ES3_jN6thrust23THRUST_200600_302600_NS6detail15normal_iteratorINSA_7pointerIjNSA_11hip_rocprim3tagENSA_11use_defaultESG_EEEEPS6_SJ_NS0_5tupleIJPjSJ_EEENSK_IJSJ_SJ_EEES6_PlJ7is_evenIjEEEE10hipError_tPvRmT3_T4_T5_T6_T7_T9_mT8_P12ihipStream_tbDpT10_ENKUlT_T0_E_clISt17integral_constantIbLb1EES1A_EEDaS15_S16_EUlS15_E_NS1_11comp_targetILNS1_3genE2ELNS1_11target_archE906ELNS1_3gpuE6ELNS1_3repE0EEENS1_30default_config_static_selectorELNS0_4arch9wavefront6targetE1EEEvT1_,"axG",@progbits,_ZN7rocprim17ROCPRIM_400000_NS6detail17trampoline_kernelINS0_14default_configENS1_25partition_config_selectorILNS1_17partition_subalgoE3EjNS0_10empty_typeEbEEZZNS1_14partition_implILS5_3ELb0ES3_jN6thrust23THRUST_200600_302600_NS6detail15normal_iteratorINSA_7pointerIjNSA_11hip_rocprim3tagENSA_11use_defaultESG_EEEEPS6_SJ_NS0_5tupleIJPjSJ_EEENSK_IJSJ_SJ_EEES6_PlJ7is_evenIjEEEE10hipError_tPvRmT3_T4_T5_T6_T7_T9_mT8_P12ihipStream_tbDpT10_ENKUlT_T0_E_clISt17integral_constantIbLb1EES1A_EEDaS15_S16_EUlS15_E_NS1_11comp_targetILNS1_3genE2ELNS1_11target_archE906ELNS1_3gpuE6ELNS1_3repE0EEENS1_30default_config_static_selectorELNS0_4arch9wavefront6targetE1EEEvT1_,comdat
	.protected	_ZN7rocprim17ROCPRIM_400000_NS6detail17trampoline_kernelINS0_14default_configENS1_25partition_config_selectorILNS1_17partition_subalgoE3EjNS0_10empty_typeEbEEZZNS1_14partition_implILS5_3ELb0ES3_jN6thrust23THRUST_200600_302600_NS6detail15normal_iteratorINSA_7pointerIjNSA_11hip_rocprim3tagENSA_11use_defaultESG_EEEEPS6_SJ_NS0_5tupleIJPjSJ_EEENSK_IJSJ_SJ_EEES6_PlJ7is_evenIjEEEE10hipError_tPvRmT3_T4_T5_T6_T7_T9_mT8_P12ihipStream_tbDpT10_ENKUlT_T0_E_clISt17integral_constantIbLb1EES1A_EEDaS15_S16_EUlS15_E_NS1_11comp_targetILNS1_3genE2ELNS1_11target_archE906ELNS1_3gpuE6ELNS1_3repE0EEENS1_30default_config_static_selectorELNS0_4arch9wavefront6targetE1EEEvT1_ ; -- Begin function _ZN7rocprim17ROCPRIM_400000_NS6detail17trampoline_kernelINS0_14default_configENS1_25partition_config_selectorILNS1_17partition_subalgoE3EjNS0_10empty_typeEbEEZZNS1_14partition_implILS5_3ELb0ES3_jN6thrust23THRUST_200600_302600_NS6detail15normal_iteratorINSA_7pointerIjNSA_11hip_rocprim3tagENSA_11use_defaultESG_EEEEPS6_SJ_NS0_5tupleIJPjSJ_EEENSK_IJSJ_SJ_EEES6_PlJ7is_evenIjEEEE10hipError_tPvRmT3_T4_T5_T6_T7_T9_mT8_P12ihipStream_tbDpT10_ENKUlT_T0_E_clISt17integral_constantIbLb1EES1A_EEDaS15_S16_EUlS15_E_NS1_11comp_targetILNS1_3genE2ELNS1_11target_archE906ELNS1_3gpuE6ELNS1_3repE0EEENS1_30default_config_static_selectorELNS0_4arch9wavefront6targetE1EEEvT1_
	.globl	_ZN7rocprim17ROCPRIM_400000_NS6detail17trampoline_kernelINS0_14default_configENS1_25partition_config_selectorILNS1_17partition_subalgoE3EjNS0_10empty_typeEbEEZZNS1_14partition_implILS5_3ELb0ES3_jN6thrust23THRUST_200600_302600_NS6detail15normal_iteratorINSA_7pointerIjNSA_11hip_rocprim3tagENSA_11use_defaultESG_EEEEPS6_SJ_NS0_5tupleIJPjSJ_EEENSK_IJSJ_SJ_EEES6_PlJ7is_evenIjEEEE10hipError_tPvRmT3_T4_T5_T6_T7_T9_mT8_P12ihipStream_tbDpT10_ENKUlT_T0_E_clISt17integral_constantIbLb1EES1A_EEDaS15_S16_EUlS15_E_NS1_11comp_targetILNS1_3genE2ELNS1_11target_archE906ELNS1_3gpuE6ELNS1_3repE0EEENS1_30default_config_static_selectorELNS0_4arch9wavefront6targetE1EEEvT1_
	.p2align	8
	.type	_ZN7rocprim17ROCPRIM_400000_NS6detail17trampoline_kernelINS0_14default_configENS1_25partition_config_selectorILNS1_17partition_subalgoE3EjNS0_10empty_typeEbEEZZNS1_14partition_implILS5_3ELb0ES3_jN6thrust23THRUST_200600_302600_NS6detail15normal_iteratorINSA_7pointerIjNSA_11hip_rocprim3tagENSA_11use_defaultESG_EEEEPS6_SJ_NS0_5tupleIJPjSJ_EEENSK_IJSJ_SJ_EEES6_PlJ7is_evenIjEEEE10hipError_tPvRmT3_T4_T5_T6_T7_T9_mT8_P12ihipStream_tbDpT10_ENKUlT_T0_E_clISt17integral_constantIbLb1EES1A_EEDaS15_S16_EUlS15_E_NS1_11comp_targetILNS1_3genE2ELNS1_11target_archE906ELNS1_3gpuE6ELNS1_3repE0EEENS1_30default_config_static_selectorELNS0_4arch9wavefront6targetE1EEEvT1_,@function
_ZN7rocprim17ROCPRIM_400000_NS6detail17trampoline_kernelINS0_14default_configENS1_25partition_config_selectorILNS1_17partition_subalgoE3EjNS0_10empty_typeEbEEZZNS1_14partition_implILS5_3ELb0ES3_jN6thrust23THRUST_200600_302600_NS6detail15normal_iteratorINSA_7pointerIjNSA_11hip_rocprim3tagENSA_11use_defaultESG_EEEEPS6_SJ_NS0_5tupleIJPjSJ_EEENSK_IJSJ_SJ_EEES6_PlJ7is_evenIjEEEE10hipError_tPvRmT3_T4_T5_T6_T7_T9_mT8_P12ihipStream_tbDpT10_ENKUlT_T0_E_clISt17integral_constantIbLb1EES1A_EEDaS15_S16_EUlS15_E_NS1_11comp_targetILNS1_3genE2ELNS1_11target_archE906ELNS1_3gpuE6ELNS1_3repE0EEENS1_30default_config_static_selectorELNS0_4arch9wavefront6targetE1EEEvT1_: ; @_ZN7rocprim17ROCPRIM_400000_NS6detail17trampoline_kernelINS0_14default_configENS1_25partition_config_selectorILNS1_17partition_subalgoE3EjNS0_10empty_typeEbEEZZNS1_14partition_implILS5_3ELb0ES3_jN6thrust23THRUST_200600_302600_NS6detail15normal_iteratorINSA_7pointerIjNSA_11hip_rocprim3tagENSA_11use_defaultESG_EEEEPS6_SJ_NS0_5tupleIJPjSJ_EEENSK_IJSJ_SJ_EEES6_PlJ7is_evenIjEEEE10hipError_tPvRmT3_T4_T5_T6_T7_T9_mT8_P12ihipStream_tbDpT10_ENKUlT_T0_E_clISt17integral_constantIbLb1EES1A_EEDaS15_S16_EUlS15_E_NS1_11comp_targetILNS1_3genE2ELNS1_11target_archE906ELNS1_3gpuE6ELNS1_3repE0EEENS1_30default_config_static_selectorELNS0_4arch9wavefront6targetE1EEEvT1_
; %bb.0:
	.section	.rodata,"a",@progbits
	.p2align	6, 0x0
	.amdhsa_kernel _ZN7rocprim17ROCPRIM_400000_NS6detail17trampoline_kernelINS0_14default_configENS1_25partition_config_selectorILNS1_17partition_subalgoE3EjNS0_10empty_typeEbEEZZNS1_14partition_implILS5_3ELb0ES3_jN6thrust23THRUST_200600_302600_NS6detail15normal_iteratorINSA_7pointerIjNSA_11hip_rocprim3tagENSA_11use_defaultESG_EEEEPS6_SJ_NS0_5tupleIJPjSJ_EEENSK_IJSJ_SJ_EEES6_PlJ7is_evenIjEEEE10hipError_tPvRmT3_T4_T5_T6_T7_T9_mT8_P12ihipStream_tbDpT10_ENKUlT_T0_E_clISt17integral_constantIbLb1EES1A_EEDaS15_S16_EUlS15_E_NS1_11comp_targetILNS1_3genE2ELNS1_11target_archE906ELNS1_3gpuE6ELNS1_3repE0EEENS1_30default_config_static_selectorELNS0_4arch9wavefront6targetE1EEEvT1_
		.amdhsa_group_segment_fixed_size 0
		.amdhsa_private_segment_fixed_size 0
		.amdhsa_kernarg_size 136
		.amdhsa_user_sgpr_count 6
		.amdhsa_user_sgpr_private_segment_buffer 1
		.amdhsa_user_sgpr_dispatch_ptr 0
		.amdhsa_user_sgpr_queue_ptr 0
		.amdhsa_user_sgpr_kernarg_segment_ptr 1
		.amdhsa_user_sgpr_dispatch_id 0
		.amdhsa_user_sgpr_flat_scratch_init 0
		.amdhsa_user_sgpr_kernarg_preload_length 0
		.amdhsa_user_sgpr_kernarg_preload_offset 0
		.amdhsa_user_sgpr_private_segment_size 0
		.amdhsa_uses_dynamic_stack 0
		.amdhsa_system_sgpr_private_segment_wavefront_offset 0
		.amdhsa_system_sgpr_workgroup_id_x 1
		.amdhsa_system_sgpr_workgroup_id_y 0
		.amdhsa_system_sgpr_workgroup_id_z 0
		.amdhsa_system_sgpr_workgroup_info 0
		.amdhsa_system_vgpr_workitem_id 0
		.amdhsa_next_free_vgpr 1
		.amdhsa_next_free_sgpr 0
		.amdhsa_accum_offset 4
		.amdhsa_reserve_vcc 0
		.amdhsa_reserve_flat_scratch 0
		.amdhsa_float_round_mode_32 0
		.amdhsa_float_round_mode_16_64 0
		.amdhsa_float_denorm_mode_32 3
		.amdhsa_float_denorm_mode_16_64 3
		.amdhsa_dx10_clamp 1
		.amdhsa_ieee_mode 1
		.amdhsa_fp16_overflow 0
		.amdhsa_tg_split 0
		.amdhsa_exception_fp_ieee_invalid_op 0
		.amdhsa_exception_fp_denorm_src 0
		.amdhsa_exception_fp_ieee_div_zero 0
		.amdhsa_exception_fp_ieee_overflow 0
		.amdhsa_exception_fp_ieee_underflow 0
		.amdhsa_exception_fp_ieee_inexact 0
		.amdhsa_exception_int_div_zero 0
	.end_amdhsa_kernel
	.section	.text._ZN7rocprim17ROCPRIM_400000_NS6detail17trampoline_kernelINS0_14default_configENS1_25partition_config_selectorILNS1_17partition_subalgoE3EjNS0_10empty_typeEbEEZZNS1_14partition_implILS5_3ELb0ES3_jN6thrust23THRUST_200600_302600_NS6detail15normal_iteratorINSA_7pointerIjNSA_11hip_rocprim3tagENSA_11use_defaultESG_EEEEPS6_SJ_NS0_5tupleIJPjSJ_EEENSK_IJSJ_SJ_EEES6_PlJ7is_evenIjEEEE10hipError_tPvRmT3_T4_T5_T6_T7_T9_mT8_P12ihipStream_tbDpT10_ENKUlT_T0_E_clISt17integral_constantIbLb1EES1A_EEDaS15_S16_EUlS15_E_NS1_11comp_targetILNS1_3genE2ELNS1_11target_archE906ELNS1_3gpuE6ELNS1_3repE0EEENS1_30default_config_static_selectorELNS0_4arch9wavefront6targetE1EEEvT1_,"axG",@progbits,_ZN7rocprim17ROCPRIM_400000_NS6detail17trampoline_kernelINS0_14default_configENS1_25partition_config_selectorILNS1_17partition_subalgoE3EjNS0_10empty_typeEbEEZZNS1_14partition_implILS5_3ELb0ES3_jN6thrust23THRUST_200600_302600_NS6detail15normal_iteratorINSA_7pointerIjNSA_11hip_rocprim3tagENSA_11use_defaultESG_EEEEPS6_SJ_NS0_5tupleIJPjSJ_EEENSK_IJSJ_SJ_EEES6_PlJ7is_evenIjEEEE10hipError_tPvRmT3_T4_T5_T6_T7_T9_mT8_P12ihipStream_tbDpT10_ENKUlT_T0_E_clISt17integral_constantIbLb1EES1A_EEDaS15_S16_EUlS15_E_NS1_11comp_targetILNS1_3genE2ELNS1_11target_archE906ELNS1_3gpuE6ELNS1_3repE0EEENS1_30default_config_static_selectorELNS0_4arch9wavefront6targetE1EEEvT1_,comdat
.Lfunc_end931:
	.size	_ZN7rocprim17ROCPRIM_400000_NS6detail17trampoline_kernelINS0_14default_configENS1_25partition_config_selectorILNS1_17partition_subalgoE3EjNS0_10empty_typeEbEEZZNS1_14partition_implILS5_3ELb0ES3_jN6thrust23THRUST_200600_302600_NS6detail15normal_iteratorINSA_7pointerIjNSA_11hip_rocprim3tagENSA_11use_defaultESG_EEEEPS6_SJ_NS0_5tupleIJPjSJ_EEENSK_IJSJ_SJ_EEES6_PlJ7is_evenIjEEEE10hipError_tPvRmT3_T4_T5_T6_T7_T9_mT8_P12ihipStream_tbDpT10_ENKUlT_T0_E_clISt17integral_constantIbLb1EES1A_EEDaS15_S16_EUlS15_E_NS1_11comp_targetILNS1_3genE2ELNS1_11target_archE906ELNS1_3gpuE6ELNS1_3repE0EEENS1_30default_config_static_selectorELNS0_4arch9wavefront6targetE1EEEvT1_, .Lfunc_end931-_ZN7rocprim17ROCPRIM_400000_NS6detail17trampoline_kernelINS0_14default_configENS1_25partition_config_selectorILNS1_17partition_subalgoE3EjNS0_10empty_typeEbEEZZNS1_14partition_implILS5_3ELb0ES3_jN6thrust23THRUST_200600_302600_NS6detail15normal_iteratorINSA_7pointerIjNSA_11hip_rocprim3tagENSA_11use_defaultESG_EEEEPS6_SJ_NS0_5tupleIJPjSJ_EEENSK_IJSJ_SJ_EEES6_PlJ7is_evenIjEEEE10hipError_tPvRmT3_T4_T5_T6_T7_T9_mT8_P12ihipStream_tbDpT10_ENKUlT_T0_E_clISt17integral_constantIbLb1EES1A_EEDaS15_S16_EUlS15_E_NS1_11comp_targetILNS1_3genE2ELNS1_11target_archE906ELNS1_3gpuE6ELNS1_3repE0EEENS1_30default_config_static_selectorELNS0_4arch9wavefront6targetE1EEEvT1_
                                        ; -- End function
	.section	.AMDGPU.csdata,"",@progbits
; Kernel info:
; codeLenInByte = 0
; NumSgprs: 4
; NumVgprs: 0
; NumAgprs: 0
; TotalNumVgprs: 0
; ScratchSize: 0
; MemoryBound: 0
; FloatMode: 240
; IeeeMode: 1
; LDSByteSize: 0 bytes/workgroup (compile time only)
; SGPRBlocks: 0
; VGPRBlocks: 0
; NumSGPRsForWavesPerEU: 4
; NumVGPRsForWavesPerEU: 1
; AccumOffset: 4
; Occupancy: 8
; WaveLimiterHint : 0
; COMPUTE_PGM_RSRC2:SCRATCH_EN: 0
; COMPUTE_PGM_RSRC2:USER_SGPR: 6
; COMPUTE_PGM_RSRC2:TRAP_HANDLER: 0
; COMPUTE_PGM_RSRC2:TGID_X_EN: 1
; COMPUTE_PGM_RSRC2:TGID_Y_EN: 0
; COMPUTE_PGM_RSRC2:TGID_Z_EN: 0
; COMPUTE_PGM_RSRC2:TIDIG_COMP_CNT: 0
; COMPUTE_PGM_RSRC3_GFX90A:ACCUM_OFFSET: 0
; COMPUTE_PGM_RSRC3_GFX90A:TG_SPLIT: 0
	.section	.text._ZN7rocprim17ROCPRIM_400000_NS6detail17trampoline_kernelINS0_14default_configENS1_25partition_config_selectorILNS1_17partition_subalgoE3EjNS0_10empty_typeEbEEZZNS1_14partition_implILS5_3ELb0ES3_jN6thrust23THRUST_200600_302600_NS6detail15normal_iteratorINSA_7pointerIjNSA_11hip_rocprim3tagENSA_11use_defaultESG_EEEEPS6_SJ_NS0_5tupleIJPjSJ_EEENSK_IJSJ_SJ_EEES6_PlJ7is_evenIjEEEE10hipError_tPvRmT3_T4_T5_T6_T7_T9_mT8_P12ihipStream_tbDpT10_ENKUlT_T0_E_clISt17integral_constantIbLb1EES1A_EEDaS15_S16_EUlS15_E_NS1_11comp_targetILNS1_3genE10ELNS1_11target_archE1200ELNS1_3gpuE4ELNS1_3repE0EEENS1_30default_config_static_selectorELNS0_4arch9wavefront6targetE1EEEvT1_,"axG",@progbits,_ZN7rocprim17ROCPRIM_400000_NS6detail17trampoline_kernelINS0_14default_configENS1_25partition_config_selectorILNS1_17partition_subalgoE3EjNS0_10empty_typeEbEEZZNS1_14partition_implILS5_3ELb0ES3_jN6thrust23THRUST_200600_302600_NS6detail15normal_iteratorINSA_7pointerIjNSA_11hip_rocprim3tagENSA_11use_defaultESG_EEEEPS6_SJ_NS0_5tupleIJPjSJ_EEENSK_IJSJ_SJ_EEES6_PlJ7is_evenIjEEEE10hipError_tPvRmT3_T4_T5_T6_T7_T9_mT8_P12ihipStream_tbDpT10_ENKUlT_T0_E_clISt17integral_constantIbLb1EES1A_EEDaS15_S16_EUlS15_E_NS1_11comp_targetILNS1_3genE10ELNS1_11target_archE1200ELNS1_3gpuE4ELNS1_3repE0EEENS1_30default_config_static_selectorELNS0_4arch9wavefront6targetE1EEEvT1_,comdat
	.protected	_ZN7rocprim17ROCPRIM_400000_NS6detail17trampoline_kernelINS0_14default_configENS1_25partition_config_selectorILNS1_17partition_subalgoE3EjNS0_10empty_typeEbEEZZNS1_14partition_implILS5_3ELb0ES3_jN6thrust23THRUST_200600_302600_NS6detail15normal_iteratorINSA_7pointerIjNSA_11hip_rocprim3tagENSA_11use_defaultESG_EEEEPS6_SJ_NS0_5tupleIJPjSJ_EEENSK_IJSJ_SJ_EEES6_PlJ7is_evenIjEEEE10hipError_tPvRmT3_T4_T5_T6_T7_T9_mT8_P12ihipStream_tbDpT10_ENKUlT_T0_E_clISt17integral_constantIbLb1EES1A_EEDaS15_S16_EUlS15_E_NS1_11comp_targetILNS1_3genE10ELNS1_11target_archE1200ELNS1_3gpuE4ELNS1_3repE0EEENS1_30default_config_static_selectorELNS0_4arch9wavefront6targetE1EEEvT1_ ; -- Begin function _ZN7rocprim17ROCPRIM_400000_NS6detail17trampoline_kernelINS0_14default_configENS1_25partition_config_selectorILNS1_17partition_subalgoE3EjNS0_10empty_typeEbEEZZNS1_14partition_implILS5_3ELb0ES3_jN6thrust23THRUST_200600_302600_NS6detail15normal_iteratorINSA_7pointerIjNSA_11hip_rocprim3tagENSA_11use_defaultESG_EEEEPS6_SJ_NS0_5tupleIJPjSJ_EEENSK_IJSJ_SJ_EEES6_PlJ7is_evenIjEEEE10hipError_tPvRmT3_T4_T5_T6_T7_T9_mT8_P12ihipStream_tbDpT10_ENKUlT_T0_E_clISt17integral_constantIbLb1EES1A_EEDaS15_S16_EUlS15_E_NS1_11comp_targetILNS1_3genE10ELNS1_11target_archE1200ELNS1_3gpuE4ELNS1_3repE0EEENS1_30default_config_static_selectorELNS0_4arch9wavefront6targetE1EEEvT1_
	.globl	_ZN7rocprim17ROCPRIM_400000_NS6detail17trampoline_kernelINS0_14default_configENS1_25partition_config_selectorILNS1_17partition_subalgoE3EjNS0_10empty_typeEbEEZZNS1_14partition_implILS5_3ELb0ES3_jN6thrust23THRUST_200600_302600_NS6detail15normal_iteratorINSA_7pointerIjNSA_11hip_rocprim3tagENSA_11use_defaultESG_EEEEPS6_SJ_NS0_5tupleIJPjSJ_EEENSK_IJSJ_SJ_EEES6_PlJ7is_evenIjEEEE10hipError_tPvRmT3_T4_T5_T6_T7_T9_mT8_P12ihipStream_tbDpT10_ENKUlT_T0_E_clISt17integral_constantIbLb1EES1A_EEDaS15_S16_EUlS15_E_NS1_11comp_targetILNS1_3genE10ELNS1_11target_archE1200ELNS1_3gpuE4ELNS1_3repE0EEENS1_30default_config_static_selectorELNS0_4arch9wavefront6targetE1EEEvT1_
	.p2align	8
	.type	_ZN7rocprim17ROCPRIM_400000_NS6detail17trampoline_kernelINS0_14default_configENS1_25partition_config_selectorILNS1_17partition_subalgoE3EjNS0_10empty_typeEbEEZZNS1_14partition_implILS5_3ELb0ES3_jN6thrust23THRUST_200600_302600_NS6detail15normal_iteratorINSA_7pointerIjNSA_11hip_rocprim3tagENSA_11use_defaultESG_EEEEPS6_SJ_NS0_5tupleIJPjSJ_EEENSK_IJSJ_SJ_EEES6_PlJ7is_evenIjEEEE10hipError_tPvRmT3_T4_T5_T6_T7_T9_mT8_P12ihipStream_tbDpT10_ENKUlT_T0_E_clISt17integral_constantIbLb1EES1A_EEDaS15_S16_EUlS15_E_NS1_11comp_targetILNS1_3genE10ELNS1_11target_archE1200ELNS1_3gpuE4ELNS1_3repE0EEENS1_30default_config_static_selectorELNS0_4arch9wavefront6targetE1EEEvT1_,@function
_ZN7rocprim17ROCPRIM_400000_NS6detail17trampoline_kernelINS0_14default_configENS1_25partition_config_selectorILNS1_17partition_subalgoE3EjNS0_10empty_typeEbEEZZNS1_14partition_implILS5_3ELb0ES3_jN6thrust23THRUST_200600_302600_NS6detail15normal_iteratorINSA_7pointerIjNSA_11hip_rocprim3tagENSA_11use_defaultESG_EEEEPS6_SJ_NS0_5tupleIJPjSJ_EEENSK_IJSJ_SJ_EEES6_PlJ7is_evenIjEEEE10hipError_tPvRmT3_T4_T5_T6_T7_T9_mT8_P12ihipStream_tbDpT10_ENKUlT_T0_E_clISt17integral_constantIbLb1EES1A_EEDaS15_S16_EUlS15_E_NS1_11comp_targetILNS1_3genE10ELNS1_11target_archE1200ELNS1_3gpuE4ELNS1_3repE0EEENS1_30default_config_static_selectorELNS0_4arch9wavefront6targetE1EEEvT1_: ; @_ZN7rocprim17ROCPRIM_400000_NS6detail17trampoline_kernelINS0_14default_configENS1_25partition_config_selectorILNS1_17partition_subalgoE3EjNS0_10empty_typeEbEEZZNS1_14partition_implILS5_3ELb0ES3_jN6thrust23THRUST_200600_302600_NS6detail15normal_iteratorINSA_7pointerIjNSA_11hip_rocprim3tagENSA_11use_defaultESG_EEEEPS6_SJ_NS0_5tupleIJPjSJ_EEENSK_IJSJ_SJ_EEES6_PlJ7is_evenIjEEEE10hipError_tPvRmT3_T4_T5_T6_T7_T9_mT8_P12ihipStream_tbDpT10_ENKUlT_T0_E_clISt17integral_constantIbLb1EES1A_EEDaS15_S16_EUlS15_E_NS1_11comp_targetILNS1_3genE10ELNS1_11target_archE1200ELNS1_3gpuE4ELNS1_3repE0EEENS1_30default_config_static_selectorELNS0_4arch9wavefront6targetE1EEEvT1_
; %bb.0:
	.section	.rodata,"a",@progbits
	.p2align	6, 0x0
	.amdhsa_kernel _ZN7rocprim17ROCPRIM_400000_NS6detail17trampoline_kernelINS0_14default_configENS1_25partition_config_selectorILNS1_17partition_subalgoE3EjNS0_10empty_typeEbEEZZNS1_14partition_implILS5_3ELb0ES3_jN6thrust23THRUST_200600_302600_NS6detail15normal_iteratorINSA_7pointerIjNSA_11hip_rocprim3tagENSA_11use_defaultESG_EEEEPS6_SJ_NS0_5tupleIJPjSJ_EEENSK_IJSJ_SJ_EEES6_PlJ7is_evenIjEEEE10hipError_tPvRmT3_T4_T5_T6_T7_T9_mT8_P12ihipStream_tbDpT10_ENKUlT_T0_E_clISt17integral_constantIbLb1EES1A_EEDaS15_S16_EUlS15_E_NS1_11comp_targetILNS1_3genE10ELNS1_11target_archE1200ELNS1_3gpuE4ELNS1_3repE0EEENS1_30default_config_static_selectorELNS0_4arch9wavefront6targetE1EEEvT1_
		.amdhsa_group_segment_fixed_size 0
		.amdhsa_private_segment_fixed_size 0
		.amdhsa_kernarg_size 136
		.amdhsa_user_sgpr_count 6
		.amdhsa_user_sgpr_private_segment_buffer 1
		.amdhsa_user_sgpr_dispatch_ptr 0
		.amdhsa_user_sgpr_queue_ptr 0
		.amdhsa_user_sgpr_kernarg_segment_ptr 1
		.amdhsa_user_sgpr_dispatch_id 0
		.amdhsa_user_sgpr_flat_scratch_init 0
		.amdhsa_user_sgpr_kernarg_preload_length 0
		.amdhsa_user_sgpr_kernarg_preload_offset 0
		.amdhsa_user_sgpr_private_segment_size 0
		.amdhsa_uses_dynamic_stack 0
		.amdhsa_system_sgpr_private_segment_wavefront_offset 0
		.amdhsa_system_sgpr_workgroup_id_x 1
		.amdhsa_system_sgpr_workgroup_id_y 0
		.amdhsa_system_sgpr_workgroup_id_z 0
		.amdhsa_system_sgpr_workgroup_info 0
		.amdhsa_system_vgpr_workitem_id 0
		.amdhsa_next_free_vgpr 1
		.amdhsa_next_free_sgpr 0
		.amdhsa_accum_offset 4
		.amdhsa_reserve_vcc 0
		.amdhsa_reserve_flat_scratch 0
		.amdhsa_float_round_mode_32 0
		.amdhsa_float_round_mode_16_64 0
		.amdhsa_float_denorm_mode_32 3
		.amdhsa_float_denorm_mode_16_64 3
		.amdhsa_dx10_clamp 1
		.amdhsa_ieee_mode 1
		.amdhsa_fp16_overflow 0
		.amdhsa_tg_split 0
		.amdhsa_exception_fp_ieee_invalid_op 0
		.amdhsa_exception_fp_denorm_src 0
		.amdhsa_exception_fp_ieee_div_zero 0
		.amdhsa_exception_fp_ieee_overflow 0
		.amdhsa_exception_fp_ieee_underflow 0
		.amdhsa_exception_fp_ieee_inexact 0
		.amdhsa_exception_int_div_zero 0
	.end_amdhsa_kernel
	.section	.text._ZN7rocprim17ROCPRIM_400000_NS6detail17trampoline_kernelINS0_14default_configENS1_25partition_config_selectorILNS1_17partition_subalgoE3EjNS0_10empty_typeEbEEZZNS1_14partition_implILS5_3ELb0ES3_jN6thrust23THRUST_200600_302600_NS6detail15normal_iteratorINSA_7pointerIjNSA_11hip_rocprim3tagENSA_11use_defaultESG_EEEEPS6_SJ_NS0_5tupleIJPjSJ_EEENSK_IJSJ_SJ_EEES6_PlJ7is_evenIjEEEE10hipError_tPvRmT3_T4_T5_T6_T7_T9_mT8_P12ihipStream_tbDpT10_ENKUlT_T0_E_clISt17integral_constantIbLb1EES1A_EEDaS15_S16_EUlS15_E_NS1_11comp_targetILNS1_3genE10ELNS1_11target_archE1200ELNS1_3gpuE4ELNS1_3repE0EEENS1_30default_config_static_selectorELNS0_4arch9wavefront6targetE1EEEvT1_,"axG",@progbits,_ZN7rocprim17ROCPRIM_400000_NS6detail17trampoline_kernelINS0_14default_configENS1_25partition_config_selectorILNS1_17partition_subalgoE3EjNS0_10empty_typeEbEEZZNS1_14partition_implILS5_3ELb0ES3_jN6thrust23THRUST_200600_302600_NS6detail15normal_iteratorINSA_7pointerIjNSA_11hip_rocprim3tagENSA_11use_defaultESG_EEEEPS6_SJ_NS0_5tupleIJPjSJ_EEENSK_IJSJ_SJ_EEES6_PlJ7is_evenIjEEEE10hipError_tPvRmT3_T4_T5_T6_T7_T9_mT8_P12ihipStream_tbDpT10_ENKUlT_T0_E_clISt17integral_constantIbLb1EES1A_EEDaS15_S16_EUlS15_E_NS1_11comp_targetILNS1_3genE10ELNS1_11target_archE1200ELNS1_3gpuE4ELNS1_3repE0EEENS1_30default_config_static_selectorELNS0_4arch9wavefront6targetE1EEEvT1_,comdat
.Lfunc_end932:
	.size	_ZN7rocprim17ROCPRIM_400000_NS6detail17trampoline_kernelINS0_14default_configENS1_25partition_config_selectorILNS1_17partition_subalgoE3EjNS0_10empty_typeEbEEZZNS1_14partition_implILS5_3ELb0ES3_jN6thrust23THRUST_200600_302600_NS6detail15normal_iteratorINSA_7pointerIjNSA_11hip_rocprim3tagENSA_11use_defaultESG_EEEEPS6_SJ_NS0_5tupleIJPjSJ_EEENSK_IJSJ_SJ_EEES6_PlJ7is_evenIjEEEE10hipError_tPvRmT3_T4_T5_T6_T7_T9_mT8_P12ihipStream_tbDpT10_ENKUlT_T0_E_clISt17integral_constantIbLb1EES1A_EEDaS15_S16_EUlS15_E_NS1_11comp_targetILNS1_3genE10ELNS1_11target_archE1200ELNS1_3gpuE4ELNS1_3repE0EEENS1_30default_config_static_selectorELNS0_4arch9wavefront6targetE1EEEvT1_, .Lfunc_end932-_ZN7rocprim17ROCPRIM_400000_NS6detail17trampoline_kernelINS0_14default_configENS1_25partition_config_selectorILNS1_17partition_subalgoE3EjNS0_10empty_typeEbEEZZNS1_14partition_implILS5_3ELb0ES3_jN6thrust23THRUST_200600_302600_NS6detail15normal_iteratorINSA_7pointerIjNSA_11hip_rocprim3tagENSA_11use_defaultESG_EEEEPS6_SJ_NS0_5tupleIJPjSJ_EEENSK_IJSJ_SJ_EEES6_PlJ7is_evenIjEEEE10hipError_tPvRmT3_T4_T5_T6_T7_T9_mT8_P12ihipStream_tbDpT10_ENKUlT_T0_E_clISt17integral_constantIbLb1EES1A_EEDaS15_S16_EUlS15_E_NS1_11comp_targetILNS1_3genE10ELNS1_11target_archE1200ELNS1_3gpuE4ELNS1_3repE0EEENS1_30default_config_static_selectorELNS0_4arch9wavefront6targetE1EEEvT1_
                                        ; -- End function
	.section	.AMDGPU.csdata,"",@progbits
; Kernel info:
; codeLenInByte = 0
; NumSgprs: 4
; NumVgprs: 0
; NumAgprs: 0
; TotalNumVgprs: 0
; ScratchSize: 0
; MemoryBound: 0
; FloatMode: 240
; IeeeMode: 1
; LDSByteSize: 0 bytes/workgroup (compile time only)
; SGPRBlocks: 0
; VGPRBlocks: 0
; NumSGPRsForWavesPerEU: 4
; NumVGPRsForWavesPerEU: 1
; AccumOffset: 4
; Occupancy: 8
; WaveLimiterHint : 0
; COMPUTE_PGM_RSRC2:SCRATCH_EN: 0
; COMPUTE_PGM_RSRC2:USER_SGPR: 6
; COMPUTE_PGM_RSRC2:TRAP_HANDLER: 0
; COMPUTE_PGM_RSRC2:TGID_X_EN: 1
; COMPUTE_PGM_RSRC2:TGID_Y_EN: 0
; COMPUTE_PGM_RSRC2:TGID_Z_EN: 0
; COMPUTE_PGM_RSRC2:TIDIG_COMP_CNT: 0
; COMPUTE_PGM_RSRC3_GFX90A:ACCUM_OFFSET: 0
; COMPUTE_PGM_RSRC3_GFX90A:TG_SPLIT: 0
	.section	.text._ZN7rocprim17ROCPRIM_400000_NS6detail17trampoline_kernelINS0_14default_configENS1_25partition_config_selectorILNS1_17partition_subalgoE3EjNS0_10empty_typeEbEEZZNS1_14partition_implILS5_3ELb0ES3_jN6thrust23THRUST_200600_302600_NS6detail15normal_iteratorINSA_7pointerIjNSA_11hip_rocprim3tagENSA_11use_defaultESG_EEEEPS6_SJ_NS0_5tupleIJPjSJ_EEENSK_IJSJ_SJ_EEES6_PlJ7is_evenIjEEEE10hipError_tPvRmT3_T4_T5_T6_T7_T9_mT8_P12ihipStream_tbDpT10_ENKUlT_T0_E_clISt17integral_constantIbLb1EES1A_EEDaS15_S16_EUlS15_E_NS1_11comp_targetILNS1_3genE9ELNS1_11target_archE1100ELNS1_3gpuE3ELNS1_3repE0EEENS1_30default_config_static_selectorELNS0_4arch9wavefront6targetE1EEEvT1_,"axG",@progbits,_ZN7rocprim17ROCPRIM_400000_NS6detail17trampoline_kernelINS0_14default_configENS1_25partition_config_selectorILNS1_17partition_subalgoE3EjNS0_10empty_typeEbEEZZNS1_14partition_implILS5_3ELb0ES3_jN6thrust23THRUST_200600_302600_NS6detail15normal_iteratorINSA_7pointerIjNSA_11hip_rocprim3tagENSA_11use_defaultESG_EEEEPS6_SJ_NS0_5tupleIJPjSJ_EEENSK_IJSJ_SJ_EEES6_PlJ7is_evenIjEEEE10hipError_tPvRmT3_T4_T5_T6_T7_T9_mT8_P12ihipStream_tbDpT10_ENKUlT_T0_E_clISt17integral_constantIbLb1EES1A_EEDaS15_S16_EUlS15_E_NS1_11comp_targetILNS1_3genE9ELNS1_11target_archE1100ELNS1_3gpuE3ELNS1_3repE0EEENS1_30default_config_static_selectorELNS0_4arch9wavefront6targetE1EEEvT1_,comdat
	.protected	_ZN7rocprim17ROCPRIM_400000_NS6detail17trampoline_kernelINS0_14default_configENS1_25partition_config_selectorILNS1_17partition_subalgoE3EjNS0_10empty_typeEbEEZZNS1_14partition_implILS5_3ELb0ES3_jN6thrust23THRUST_200600_302600_NS6detail15normal_iteratorINSA_7pointerIjNSA_11hip_rocprim3tagENSA_11use_defaultESG_EEEEPS6_SJ_NS0_5tupleIJPjSJ_EEENSK_IJSJ_SJ_EEES6_PlJ7is_evenIjEEEE10hipError_tPvRmT3_T4_T5_T6_T7_T9_mT8_P12ihipStream_tbDpT10_ENKUlT_T0_E_clISt17integral_constantIbLb1EES1A_EEDaS15_S16_EUlS15_E_NS1_11comp_targetILNS1_3genE9ELNS1_11target_archE1100ELNS1_3gpuE3ELNS1_3repE0EEENS1_30default_config_static_selectorELNS0_4arch9wavefront6targetE1EEEvT1_ ; -- Begin function _ZN7rocprim17ROCPRIM_400000_NS6detail17trampoline_kernelINS0_14default_configENS1_25partition_config_selectorILNS1_17partition_subalgoE3EjNS0_10empty_typeEbEEZZNS1_14partition_implILS5_3ELb0ES3_jN6thrust23THRUST_200600_302600_NS6detail15normal_iteratorINSA_7pointerIjNSA_11hip_rocprim3tagENSA_11use_defaultESG_EEEEPS6_SJ_NS0_5tupleIJPjSJ_EEENSK_IJSJ_SJ_EEES6_PlJ7is_evenIjEEEE10hipError_tPvRmT3_T4_T5_T6_T7_T9_mT8_P12ihipStream_tbDpT10_ENKUlT_T0_E_clISt17integral_constantIbLb1EES1A_EEDaS15_S16_EUlS15_E_NS1_11comp_targetILNS1_3genE9ELNS1_11target_archE1100ELNS1_3gpuE3ELNS1_3repE0EEENS1_30default_config_static_selectorELNS0_4arch9wavefront6targetE1EEEvT1_
	.globl	_ZN7rocprim17ROCPRIM_400000_NS6detail17trampoline_kernelINS0_14default_configENS1_25partition_config_selectorILNS1_17partition_subalgoE3EjNS0_10empty_typeEbEEZZNS1_14partition_implILS5_3ELb0ES3_jN6thrust23THRUST_200600_302600_NS6detail15normal_iteratorINSA_7pointerIjNSA_11hip_rocprim3tagENSA_11use_defaultESG_EEEEPS6_SJ_NS0_5tupleIJPjSJ_EEENSK_IJSJ_SJ_EEES6_PlJ7is_evenIjEEEE10hipError_tPvRmT3_T4_T5_T6_T7_T9_mT8_P12ihipStream_tbDpT10_ENKUlT_T0_E_clISt17integral_constantIbLb1EES1A_EEDaS15_S16_EUlS15_E_NS1_11comp_targetILNS1_3genE9ELNS1_11target_archE1100ELNS1_3gpuE3ELNS1_3repE0EEENS1_30default_config_static_selectorELNS0_4arch9wavefront6targetE1EEEvT1_
	.p2align	8
	.type	_ZN7rocprim17ROCPRIM_400000_NS6detail17trampoline_kernelINS0_14default_configENS1_25partition_config_selectorILNS1_17partition_subalgoE3EjNS0_10empty_typeEbEEZZNS1_14partition_implILS5_3ELb0ES3_jN6thrust23THRUST_200600_302600_NS6detail15normal_iteratorINSA_7pointerIjNSA_11hip_rocprim3tagENSA_11use_defaultESG_EEEEPS6_SJ_NS0_5tupleIJPjSJ_EEENSK_IJSJ_SJ_EEES6_PlJ7is_evenIjEEEE10hipError_tPvRmT3_T4_T5_T6_T7_T9_mT8_P12ihipStream_tbDpT10_ENKUlT_T0_E_clISt17integral_constantIbLb1EES1A_EEDaS15_S16_EUlS15_E_NS1_11comp_targetILNS1_3genE9ELNS1_11target_archE1100ELNS1_3gpuE3ELNS1_3repE0EEENS1_30default_config_static_selectorELNS0_4arch9wavefront6targetE1EEEvT1_,@function
_ZN7rocprim17ROCPRIM_400000_NS6detail17trampoline_kernelINS0_14default_configENS1_25partition_config_selectorILNS1_17partition_subalgoE3EjNS0_10empty_typeEbEEZZNS1_14partition_implILS5_3ELb0ES3_jN6thrust23THRUST_200600_302600_NS6detail15normal_iteratorINSA_7pointerIjNSA_11hip_rocprim3tagENSA_11use_defaultESG_EEEEPS6_SJ_NS0_5tupleIJPjSJ_EEENSK_IJSJ_SJ_EEES6_PlJ7is_evenIjEEEE10hipError_tPvRmT3_T4_T5_T6_T7_T9_mT8_P12ihipStream_tbDpT10_ENKUlT_T0_E_clISt17integral_constantIbLb1EES1A_EEDaS15_S16_EUlS15_E_NS1_11comp_targetILNS1_3genE9ELNS1_11target_archE1100ELNS1_3gpuE3ELNS1_3repE0EEENS1_30default_config_static_selectorELNS0_4arch9wavefront6targetE1EEEvT1_: ; @_ZN7rocprim17ROCPRIM_400000_NS6detail17trampoline_kernelINS0_14default_configENS1_25partition_config_selectorILNS1_17partition_subalgoE3EjNS0_10empty_typeEbEEZZNS1_14partition_implILS5_3ELb0ES3_jN6thrust23THRUST_200600_302600_NS6detail15normal_iteratorINSA_7pointerIjNSA_11hip_rocprim3tagENSA_11use_defaultESG_EEEEPS6_SJ_NS0_5tupleIJPjSJ_EEENSK_IJSJ_SJ_EEES6_PlJ7is_evenIjEEEE10hipError_tPvRmT3_T4_T5_T6_T7_T9_mT8_P12ihipStream_tbDpT10_ENKUlT_T0_E_clISt17integral_constantIbLb1EES1A_EEDaS15_S16_EUlS15_E_NS1_11comp_targetILNS1_3genE9ELNS1_11target_archE1100ELNS1_3gpuE3ELNS1_3repE0EEENS1_30default_config_static_selectorELNS0_4arch9wavefront6targetE1EEEvT1_
; %bb.0:
	.section	.rodata,"a",@progbits
	.p2align	6, 0x0
	.amdhsa_kernel _ZN7rocprim17ROCPRIM_400000_NS6detail17trampoline_kernelINS0_14default_configENS1_25partition_config_selectorILNS1_17partition_subalgoE3EjNS0_10empty_typeEbEEZZNS1_14partition_implILS5_3ELb0ES3_jN6thrust23THRUST_200600_302600_NS6detail15normal_iteratorINSA_7pointerIjNSA_11hip_rocprim3tagENSA_11use_defaultESG_EEEEPS6_SJ_NS0_5tupleIJPjSJ_EEENSK_IJSJ_SJ_EEES6_PlJ7is_evenIjEEEE10hipError_tPvRmT3_T4_T5_T6_T7_T9_mT8_P12ihipStream_tbDpT10_ENKUlT_T0_E_clISt17integral_constantIbLb1EES1A_EEDaS15_S16_EUlS15_E_NS1_11comp_targetILNS1_3genE9ELNS1_11target_archE1100ELNS1_3gpuE3ELNS1_3repE0EEENS1_30default_config_static_selectorELNS0_4arch9wavefront6targetE1EEEvT1_
		.amdhsa_group_segment_fixed_size 0
		.amdhsa_private_segment_fixed_size 0
		.amdhsa_kernarg_size 136
		.amdhsa_user_sgpr_count 6
		.amdhsa_user_sgpr_private_segment_buffer 1
		.amdhsa_user_sgpr_dispatch_ptr 0
		.amdhsa_user_sgpr_queue_ptr 0
		.amdhsa_user_sgpr_kernarg_segment_ptr 1
		.amdhsa_user_sgpr_dispatch_id 0
		.amdhsa_user_sgpr_flat_scratch_init 0
		.amdhsa_user_sgpr_kernarg_preload_length 0
		.amdhsa_user_sgpr_kernarg_preload_offset 0
		.amdhsa_user_sgpr_private_segment_size 0
		.amdhsa_uses_dynamic_stack 0
		.amdhsa_system_sgpr_private_segment_wavefront_offset 0
		.amdhsa_system_sgpr_workgroup_id_x 1
		.amdhsa_system_sgpr_workgroup_id_y 0
		.amdhsa_system_sgpr_workgroup_id_z 0
		.amdhsa_system_sgpr_workgroup_info 0
		.amdhsa_system_vgpr_workitem_id 0
		.amdhsa_next_free_vgpr 1
		.amdhsa_next_free_sgpr 0
		.amdhsa_accum_offset 4
		.amdhsa_reserve_vcc 0
		.amdhsa_reserve_flat_scratch 0
		.amdhsa_float_round_mode_32 0
		.amdhsa_float_round_mode_16_64 0
		.amdhsa_float_denorm_mode_32 3
		.amdhsa_float_denorm_mode_16_64 3
		.amdhsa_dx10_clamp 1
		.amdhsa_ieee_mode 1
		.amdhsa_fp16_overflow 0
		.amdhsa_tg_split 0
		.amdhsa_exception_fp_ieee_invalid_op 0
		.amdhsa_exception_fp_denorm_src 0
		.amdhsa_exception_fp_ieee_div_zero 0
		.amdhsa_exception_fp_ieee_overflow 0
		.amdhsa_exception_fp_ieee_underflow 0
		.amdhsa_exception_fp_ieee_inexact 0
		.amdhsa_exception_int_div_zero 0
	.end_amdhsa_kernel
	.section	.text._ZN7rocprim17ROCPRIM_400000_NS6detail17trampoline_kernelINS0_14default_configENS1_25partition_config_selectorILNS1_17partition_subalgoE3EjNS0_10empty_typeEbEEZZNS1_14partition_implILS5_3ELb0ES3_jN6thrust23THRUST_200600_302600_NS6detail15normal_iteratorINSA_7pointerIjNSA_11hip_rocprim3tagENSA_11use_defaultESG_EEEEPS6_SJ_NS0_5tupleIJPjSJ_EEENSK_IJSJ_SJ_EEES6_PlJ7is_evenIjEEEE10hipError_tPvRmT3_T4_T5_T6_T7_T9_mT8_P12ihipStream_tbDpT10_ENKUlT_T0_E_clISt17integral_constantIbLb1EES1A_EEDaS15_S16_EUlS15_E_NS1_11comp_targetILNS1_3genE9ELNS1_11target_archE1100ELNS1_3gpuE3ELNS1_3repE0EEENS1_30default_config_static_selectorELNS0_4arch9wavefront6targetE1EEEvT1_,"axG",@progbits,_ZN7rocprim17ROCPRIM_400000_NS6detail17trampoline_kernelINS0_14default_configENS1_25partition_config_selectorILNS1_17partition_subalgoE3EjNS0_10empty_typeEbEEZZNS1_14partition_implILS5_3ELb0ES3_jN6thrust23THRUST_200600_302600_NS6detail15normal_iteratorINSA_7pointerIjNSA_11hip_rocprim3tagENSA_11use_defaultESG_EEEEPS6_SJ_NS0_5tupleIJPjSJ_EEENSK_IJSJ_SJ_EEES6_PlJ7is_evenIjEEEE10hipError_tPvRmT3_T4_T5_T6_T7_T9_mT8_P12ihipStream_tbDpT10_ENKUlT_T0_E_clISt17integral_constantIbLb1EES1A_EEDaS15_S16_EUlS15_E_NS1_11comp_targetILNS1_3genE9ELNS1_11target_archE1100ELNS1_3gpuE3ELNS1_3repE0EEENS1_30default_config_static_selectorELNS0_4arch9wavefront6targetE1EEEvT1_,comdat
.Lfunc_end933:
	.size	_ZN7rocprim17ROCPRIM_400000_NS6detail17trampoline_kernelINS0_14default_configENS1_25partition_config_selectorILNS1_17partition_subalgoE3EjNS0_10empty_typeEbEEZZNS1_14partition_implILS5_3ELb0ES3_jN6thrust23THRUST_200600_302600_NS6detail15normal_iteratorINSA_7pointerIjNSA_11hip_rocprim3tagENSA_11use_defaultESG_EEEEPS6_SJ_NS0_5tupleIJPjSJ_EEENSK_IJSJ_SJ_EEES6_PlJ7is_evenIjEEEE10hipError_tPvRmT3_T4_T5_T6_T7_T9_mT8_P12ihipStream_tbDpT10_ENKUlT_T0_E_clISt17integral_constantIbLb1EES1A_EEDaS15_S16_EUlS15_E_NS1_11comp_targetILNS1_3genE9ELNS1_11target_archE1100ELNS1_3gpuE3ELNS1_3repE0EEENS1_30default_config_static_selectorELNS0_4arch9wavefront6targetE1EEEvT1_, .Lfunc_end933-_ZN7rocprim17ROCPRIM_400000_NS6detail17trampoline_kernelINS0_14default_configENS1_25partition_config_selectorILNS1_17partition_subalgoE3EjNS0_10empty_typeEbEEZZNS1_14partition_implILS5_3ELb0ES3_jN6thrust23THRUST_200600_302600_NS6detail15normal_iteratorINSA_7pointerIjNSA_11hip_rocprim3tagENSA_11use_defaultESG_EEEEPS6_SJ_NS0_5tupleIJPjSJ_EEENSK_IJSJ_SJ_EEES6_PlJ7is_evenIjEEEE10hipError_tPvRmT3_T4_T5_T6_T7_T9_mT8_P12ihipStream_tbDpT10_ENKUlT_T0_E_clISt17integral_constantIbLb1EES1A_EEDaS15_S16_EUlS15_E_NS1_11comp_targetILNS1_3genE9ELNS1_11target_archE1100ELNS1_3gpuE3ELNS1_3repE0EEENS1_30default_config_static_selectorELNS0_4arch9wavefront6targetE1EEEvT1_
                                        ; -- End function
	.section	.AMDGPU.csdata,"",@progbits
; Kernel info:
; codeLenInByte = 0
; NumSgprs: 4
; NumVgprs: 0
; NumAgprs: 0
; TotalNumVgprs: 0
; ScratchSize: 0
; MemoryBound: 0
; FloatMode: 240
; IeeeMode: 1
; LDSByteSize: 0 bytes/workgroup (compile time only)
; SGPRBlocks: 0
; VGPRBlocks: 0
; NumSGPRsForWavesPerEU: 4
; NumVGPRsForWavesPerEU: 1
; AccumOffset: 4
; Occupancy: 8
; WaveLimiterHint : 0
; COMPUTE_PGM_RSRC2:SCRATCH_EN: 0
; COMPUTE_PGM_RSRC2:USER_SGPR: 6
; COMPUTE_PGM_RSRC2:TRAP_HANDLER: 0
; COMPUTE_PGM_RSRC2:TGID_X_EN: 1
; COMPUTE_PGM_RSRC2:TGID_Y_EN: 0
; COMPUTE_PGM_RSRC2:TGID_Z_EN: 0
; COMPUTE_PGM_RSRC2:TIDIG_COMP_CNT: 0
; COMPUTE_PGM_RSRC3_GFX90A:ACCUM_OFFSET: 0
; COMPUTE_PGM_RSRC3_GFX90A:TG_SPLIT: 0
	.section	.text._ZN7rocprim17ROCPRIM_400000_NS6detail17trampoline_kernelINS0_14default_configENS1_25partition_config_selectorILNS1_17partition_subalgoE3EjNS0_10empty_typeEbEEZZNS1_14partition_implILS5_3ELb0ES3_jN6thrust23THRUST_200600_302600_NS6detail15normal_iteratorINSA_7pointerIjNSA_11hip_rocprim3tagENSA_11use_defaultESG_EEEEPS6_SJ_NS0_5tupleIJPjSJ_EEENSK_IJSJ_SJ_EEES6_PlJ7is_evenIjEEEE10hipError_tPvRmT3_T4_T5_T6_T7_T9_mT8_P12ihipStream_tbDpT10_ENKUlT_T0_E_clISt17integral_constantIbLb1EES1A_EEDaS15_S16_EUlS15_E_NS1_11comp_targetILNS1_3genE8ELNS1_11target_archE1030ELNS1_3gpuE2ELNS1_3repE0EEENS1_30default_config_static_selectorELNS0_4arch9wavefront6targetE1EEEvT1_,"axG",@progbits,_ZN7rocprim17ROCPRIM_400000_NS6detail17trampoline_kernelINS0_14default_configENS1_25partition_config_selectorILNS1_17partition_subalgoE3EjNS0_10empty_typeEbEEZZNS1_14partition_implILS5_3ELb0ES3_jN6thrust23THRUST_200600_302600_NS6detail15normal_iteratorINSA_7pointerIjNSA_11hip_rocprim3tagENSA_11use_defaultESG_EEEEPS6_SJ_NS0_5tupleIJPjSJ_EEENSK_IJSJ_SJ_EEES6_PlJ7is_evenIjEEEE10hipError_tPvRmT3_T4_T5_T6_T7_T9_mT8_P12ihipStream_tbDpT10_ENKUlT_T0_E_clISt17integral_constantIbLb1EES1A_EEDaS15_S16_EUlS15_E_NS1_11comp_targetILNS1_3genE8ELNS1_11target_archE1030ELNS1_3gpuE2ELNS1_3repE0EEENS1_30default_config_static_selectorELNS0_4arch9wavefront6targetE1EEEvT1_,comdat
	.protected	_ZN7rocprim17ROCPRIM_400000_NS6detail17trampoline_kernelINS0_14default_configENS1_25partition_config_selectorILNS1_17partition_subalgoE3EjNS0_10empty_typeEbEEZZNS1_14partition_implILS5_3ELb0ES3_jN6thrust23THRUST_200600_302600_NS6detail15normal_iteratorINSA_7pointerIjNSA_11hip_rocprim3tagENSA_11use_defaultESG_EEEEPS6_SJ_NS0_5tupleIJPjSJ_EEENSK_IJSJ_SJ_EEES6_PlJ7is_evenIjEEEE10hipError_tPvRmT3_T4_T5_T6_T7_T9_mT8_P12ihipStream_tbDpT10_ENKUlT_T0_E_clISt17integral_constantIbLb1EES1A_EEDaS15_S16_EUlS15_E_NS1_11comp_targetILNS1_3genE8ELNS1_11target_archE1030ELNS1_3gpuE2ELNS1_3repE0EEENS1_30default_config_static_selectorELNS0_4arch9wavefront6targetE1EEEvT1_ ; -- Begin function _ZN7rocprim17ROCPRIM_400000_NS6detail17trampoline_kernelINS0_14default_configENS1_25partition_config_selectorILNS1_17partition_subalgoE3EjNS0_10empty_typeEbEEZZNS1_14partition_implILS5_3ELb0ES3_jN6thrust23THRUST_200600_302600_NS6detail15normal_iteratorINSA_7pointerIjNSA_11hip_rocprim3tagENSA_11use_defaultESG_EEEEPS6_SJ_NS0_5tupleIJPjSJ_EEENSK_IJSJ_SJ_EEES6_PlJ7is_evenIjEEEE10hipError_tPvRmT3_T4_T5_T6_T7_T9_mT8_P12ihipStream_tbDpT10_ENKUlT_T0_E_clISt17integral_constantIbLb1EES1A_EEDaS15_S16_EUlS15_E_NS1_11comp_targetILNS1_3genE8ELNS1_11target_archE1030ELNS1_3gpuE2ELNS1_3repE0EEENS1_30default_config_static_selectorELNS0_4arch9wavefront6targetE1EEEvT1_
	.globl	_ZN7rocprim17ROCPRIM_400000_NS6detail17trampoline_kernelINS0_14default_configENS1_25partition_config_selectorILNS1_17partition_subalgoE3EjNS0_10empty_typeEbEEZZNS1_14partition_implILS5_3ELb0ES3_jN6thrust23THRUST_200600_302600_NS6detail15normal_iteratorINSA_7pointerIjNSA_11hip_rocprim3tagENSA_11use_defaultESG_EEEEPS6_SJ_NS0_5tupleIJPjSJ_EEENSK_IJSJ_SJ_EEES6_PlJ7is_evenIjEEEE10hipError_tPvRmT3_T4_T5_T6_T7_T9_mT8_P12ihipStream_tbDpT10_ENKUlT_T0_E_clISt17integral_constantIbLb1EES1A_EEDaS15_S16_EUlS15_E_NS1_11comp_targetILNS1_3genE8ELNS1_11target_archE1030ELNS1_3gpuE2ELNS1_3repE0EEENS1_30default_config_static_selectorELNS0_4arch9wavefront6targetE1EEEvT1_
	.p2align	8
	.type	_ZN7rocprim17ROCPRIM_400000_NS6detail17trampoline_kernelINS0_14default_configENS1_25partition_config_selectorILNS1_17partition_subalgoE3EjNS0_10empty_typeEbEEZZNS1_14partition_implILS5_3ELb0ES3_jN6thrust23THRUST_200600_302600_NS6detail15normal_iteratorINSA_7pointerIjNSA_11hip_rocprim3tagENSA_11use_defaultESG_EEEEPS6_SJ_NS0_5tupleIJPjSJ_EEENSK_IJSJ_SJ_EEES6_PlJ7is_evenIjEEEE10hipError_tPvRmT3_T4_T5_T6_T7_T9_mT8_P12ihipStream_tbDpT10_ENKUlT_T0_E_clISt17integral_constantIbLb1EES1A_EEDaS15_S16_EUlS15_E_NS1_11comp_targetILNS1_3genE8ELNS1_11target_archE1030ELNS1_3gpuE2ELNS1_3repE0EEENS1_30default_config_static_selectorELNS0_4arch9wavefront6targetE1EEEvT1_,@function
_ZN7rocprim17ROCPRIM_400000_NS6detail17trampoline_kernelINS0_14default_configENS1_25partition_config_selectorILNS1_17partition_subalgoE3EjNS0_10empty_typeEbEEZZNS1_14partition_implILS5_3ELb0ES3_jN6thrust23THRUST_200600_302600_NS6detail15normal_iteratorINSA_7pointerIjNSA_11hip_rocprim3tagENSA_11use_defaultESG_EEEEPS6_SJ_NS0_5tupleIJPjSJ_EEENSK_IJSJ_SJ_EEES6_PlJ7is_evenIjEEEE10hipError_tPvRmT3_T4_T5_T6_T7_T9_mT8_P12ihipStream_tbDpT10_ENKUlT_T0_E_clISt17integral_constantIbLb1EES1A_EEDaS15_S16_EUlS15_E_NS1_11comp_targetILNS1_3genE8ELNS1_11target_archE1030ELNS1_3gpuE2ELNS1_3repE0EEENS1_30default_config_static_selectorELNS0_4arch9wavefront6targetE1EEEvT1_: ; @_ZN7rocprim17ROCPRIM_400000_NS6detail17trampoline_kernelINS0_14default_configENS1_25partition_config_selectorILNS1_17partition_subalgoE3EjNS0_10empty_typeEbEEZZNS1_14partition_implILS5_3ELb0ES3_jN6thrust23THRUST_200600_302600_NS6detail15normal_iteratorINSA_7pointerIjNSA_11hip_rocprim3tagENSA_11use_defaultESG_EEEEPS6_SJ_NS0_5tupleIJPjSJ_EEENSK_IJSJ_SJ_EEES6_PlJ7is_evenIjEEEE10hipError_tPvRmT3_T4_T5_T6_T7_T9_mT8_P12ihipStream_tbDpT10_ENKUlT_T0_E_clISt17integral_constantIbLb1EES1A_EEDaS15_S16_EUlS15_E_NS1_11comp_targetILNS1_3genE8ELNS1_11target_archE1030ELNS1_3gpuE2ELNS1_3repE0EEENS1_30default_config_static_selectorELNS0_4arch9wavefront6targetE1EEEvT1_
; %bb.0:
	.section	.rodata,"a",@progbits
	.p2align	6, 0x0
	.amdhsa_kernel _ZN7rocprim17ROCPRIM_400000_NS6detail17trampoline_kernelINS0_14default_configENS1_25partition_config_selectorILNS1_17partition_subalgoE3EjNS0_10empty_typeEbEEZZNS1_14partition_implILS5_3ELb0ES3_jN6thrust23THRUST_200600_302600_NS6detail15normal_iteratorINSA_7pointerIjNSA_11hip_rocprim3tagENSA_11use_defaultESG_EEEEPS6_SJ_NS0_5tupleIJPjSJ_EEENSK_IJSJ_SJ_EEES6_PlJ7is_evenIjEEEE10hipError_tPvRmT3_T4_T5_T6_T7_T9_mT8_P12ihipStream_tbDpT10_ENKUlT_T0_E_clISt17integral_constantIbLb1EES1A_EEDaS15_S16_EUlS15_E_NS1_11comp_targetILNS1_3genE8ELNS1_11target_archE1030ELNS1_3gpuE2ELNS1_3repE0EEENS1_30default_config_static_selectorELNS0_4arch9wavefront6targetE1EEEvT1_
		.amdhsa_group_segment_fixed_size 0
		.amdhsa_private_segment_fixed_size 0
		.amdhsa_kernarg_size 136
		.amdhsa_user_sgpr_count 6
		.amdhsa_user_sgpr_private_segment_buffer 1
		.amdhsa_user_sgpr_dispatch_ptr 0
		.amdhsa_user_sgpr_queue_ptr 0
		.amdhsa_user_sgpr_kernarg_segment_ptr 1
		.amdhsa_user_sgpr_dispatch_id 0
		.amdhsa_user_sgpr_flat_scratch_init 0
		.amdhsa_user_sgpr_kernarg_preload_length 0
		.amdhsa_user_sgpr_kernarg_preload_offset 0
		.amdhsa_user_sgpr_private_segment_size 0
		.amdhsa_uses_dynamic_stack 0
		.amdhsa_system_sgpr_private_segment_wavefront_offset 0
		.amdhsa_system_sgpr_workgroup_id_x 1
		.amdhsa_system_sgpr_workgroup_id_y 0
		.amdhsa_system_sgpr_workgroup_id_z 0
		.amdhsa_system_sgpr_workgroup_info 0
		.amdhsa_system_vgpr_workitem_id 0
		.amdhsa_next_free_vgpr 1
		.amdhsa_next_free_sgpr 0
		.amdhsa_accum_offset 4
		.amdhsa_reserve_vcc 0
		.amdhsa_reserve_flat_scratch 0
		.amdhsa_float_round_mode_32 0
		.amdhsa_float_round_mode_16_64 0
		.amdhsa_float_denorm_mode_32 3
		.amdhsa_float_denorm_mode_16_64 3
		.amdhsa_dx10_clamp 1
		.amdhsa_ieee_mode 1
		.amdhsa_fp16_overflow 0
		.amdhsa_tg_split 0
		.amdhsa_exception_fp_ieee_invalid_op 0
		.amdhsa_exception_fp_denorm_src 0
		.amdhsa_exception_fp_ieee_div_zero 0
		.amdhsa_exception_fp_ieee_overflow 0
		.amdhsa_exception_fp_ieee_underflow 0
		.amdhsa_exception_fp_ieee_inexact 0
		.amdhsa_exception_int_div_zero 0
	.end_amdhsa_kernel
	.section	.text._ZN7rocprim17ROCPRIM_400000_NS6detail17trampoline_kernelINS0_14default_configENS1_25partition_config_selectorILNS1_17partition_subalgoE3EjNS0_10empty_typeEbEEZZNS1_14partition_implILS5_3ELb0ES3_jN6thrust23THRUST_200600_302600_NS6detail15normal_iteratorINSA_7pointerIjNSA_11hip_rocprim3tagENSA_11use_defaultESG_EEEEPS6_SJ_NS0_5tupleIJPjSJ_EEENSK_IJSJ_SJ_EEES6_PlJ7is_evenIjEEEE10hipError_tPvRmT3_T4_T5_T6_T7_T9_mT8_P12ihipStream_tbDpT10_ENKUlT_T0_E_clISt17integral_constantIbLb1EES1A_EEDaS15_S16_EUlS15_E_NS1_11comp_targetILNS1_3genE8ELNS1_11target_archE1030ELNS1_3gpuE2ELNS1_3repE0EEENS1_30default_config_static_selectorELNS0_4arch9wavefront6targetE1EEEvT1_,"axG",@progbits,_ZN7rocprim17ROCPRIM_400000_NS6detail17trampoline_kernelINS0_14default_configENS1_25partition_config_selectorILNS1_17partition_subalgoE3EjNS0_10empty_typeEbEEZZNS1_14partition_implILS5_3ELb0ES3_jN6thrust23THRUST_200600_302600_NS6detail15normal_iteratorINSA_7pointerIjNSA_11hip_rocprim3tagENSA_11use_defaultESG_EEEEPS6_SJ_NS0_5tupleIJPjSJ_EEENSK_IJSJ_SJ_EEES6_PlJ7is_evenIjEEEE10hipError_tPvRmT3_T4_T5_T6_T7_T9_mT8_P12ihipStream_tbDpT10_ENKUlT_T0_E_clISt17integral_constantIbLb1EES1A_EEDaS15_S16_EUlS15_E_NS1_11comp_targetILNS1_3genE8ELNS1_11target_archE1030ELNS1_3gpuE2ELNS1_3repE0EEENS1_30default_config_static_selectorELNS0_4arch9wavefront6targetE1EEEvT1_,comdat
.Lfunc_end934:
	.size	_ZN7rocprim17ROCPRIM_400000_NS6detail17trampoline_kernelINS0_14default_configENS1_25partition_config_selectorILNS1_17partition_subalgoE3EjNS0_10empty_typeEbEEZZNS1_14partition_implILS5_3ELb0ES3_jN6thrust23THRUST_200600_302600_NS6detail15normal_iteratorINSA_7pointerIjNSA_11hip_rocprim3tagENSA_11use_defaultESG_EEEEPS6_SJ_NS0_5tupleIJPjSJ_EEENSK_IJSJ_SJ_EEES6_PlJ7is_evenIjEEEE10hipError_tPvRmT3_T4_T5_T6_T7_T9_mT8_P12ihipStream_tbDpT10_ENKUlT_T0_E_clISt17integral_constantIbLb1EES1A_EEDaS15_S16_EUlS15_E_NS1_11comp_targetILNS1_3genE8ELNS1_11target_archE1030ELNS1_3gpuE2ELNS1_3repE0EEENS1_30default_config_static_selectorELNS0_4arch9wavefront6targetE1EEEvT1_, .Lfunc_end934-_ZN7rocprim17ROCPRIM_400000_NS6detail17trampoline_kernelINS0_14default_configENS1_25partition_config_selectorILNS1_17partition_subalgoE3EjNS0_10empty_typeEbEEZZNS1_14partition_implILS5_3ELb0ES3_jN6thrust23THRUST_200600_302600_NS6detail15normal_iteratorINSA_7pointerIjNSA_11hip_rocprim3tagENSA_11use_defaultESG_EEEEPS6_SJ_NS0_5tupleIJPjSJ_EEENSK_IJSJ_SJ_EEES6_PlJ7is_evenIjEEEE10hipError_tPvRmT3_T4_T5_T6_T7_T9_mT8_P12ihipStream_tbDpT10_ENKUlT_T0_E_clISt17integral_constantIbLb1EES1A_EEDaS15_S16_EUlS15_E_NS1_11comp_targetILNS1_3genE8ELNS1_11target_archE1030ELNS1_3gpuE2ELNS1_3repE0EEENS1_30default_config_static_selectorELNS0_4arch9wavefront6targetE1EEEvT1_
                                        ; -- End function
	.section	.AMDGPU.csdata,"",@progbits
; Kernel info:
; codeLenInByte = 0
; NumSgprs: 4
; NumVgprs: 0
; NumAgprs: 0
; TotalNumVgprs: 0
; ScratchSize: 0
; MemoryBound: 0
; FloatMode: 240
; IeeeMode: 1
; LDSByteSize: 0 bytes/workgroup (compile time only)
; SGPRBlocks: 0
; VGPRBlocks: 0
; NumSGPRsForWavesPerEU: 4
; NumVGPRsForWavesPerEU: 1
; AccumOffset: 4
; Occupancy: 8
; WaveLimiterHint : 0
; COMPUTE_PGM_RSRC2:SCRATCH_EN: 0
; COMPUTE_PGM_RSRC2:USER_SGPR: 6
; COMPUTE_PGM_RSRC2:TRAP_HANDLER: 0
; COMPUTE_PGM_RSRC2:TGID_X_EN: 1
; COMPUTE_PGM_RSRC2:TGID_Y_EN: 0
; COMPUTE_PGM_RSRC2:TGID_Z_EN: 0
; COMPUTE_PGM_RSRC2:TIDIG_COMP_CNT: 0
; COMPUTE_PGM_RSRC3_GFX90A:ACCUM_OFFSET: 0
; COMPUTE_PGM_RSRC3_GFX90A:TG_SPLIT: 0
	.section	.text._ZN7rocprim17ROCPRIM_400000_NS6detail17trampoline_kernelINS0_14default_configENS1_25partition_config_selectorILNS1_17partition_subalgoE3EjNS0_10empty_typeEbEEZZNS1_14partition_implILS5_3ELb0ES3_jN6thrust23THRUST_200600_302600_NS6detail15normal_iteratorINSA_7pointerIjNSA_11hip_rocprim3tagENSA_11use_defaultESG_EEEEPS6_SJ_NS0_5tupleIJPjSJ_EEENSK_IJSJ_SJ_EEES6_PlJ7is_evenIjEEEE10hipError_tPvRmT3_T4_T5_T6_T7_T9_mT8_P12ihipStream_tbDpT10_ENKUlT_T0_E_clISt17integral_constantIbLb1EES19_IbLb0EEEEDaS15_S16_EUlS15_E_NS1_11comp_targetILNS1_3genE0ELNS1_11target_archE4294967295ELNS1_3gpuE0ELNS1_3repE0EEENS1_30default_config_static_selectorELNS0_4arch9wavefront6targetE1EEEvT1_,"axG",@progbits,_ZN7rocprim17ROCPRIM_400000_NS6detail17trampoline_kernelINS0_14default_configENS1_25partition_config_selectorILNS1_17partition_subalgoE3EjNS0_10empty_typeEbEEZZNS1_14partition_implILS5_3ELb0ES3_jN6thrust23THRUST_200600_302600_NS6detail15normal_iteratorINSA_7pointerIjNSA_11hip_rocprim3tagENSA_11use_defaultESG_EEEEPS6_SJ_NS0_5tupleIJPjSJ_EEENSK_IJSJ_SJ_EEES6_PlJ7is_evenIjEEEE10hipError_tPvRmT3_T4_T5_T6_T7_T9_mT8_P12ihipStream_tbDpT10_ENKUlT_T0_E_clISt17integral_constantIbLb1EES19_IbLb0EEEEDaS15_S16_EUlS15_E_NS1_11comp_targetILNS1_3genE0ELNS1_11target_archE4294967295ELNS1_3gpuE0ELNS1_3repE0EEENS1_30default_config_static_selectorELNS0_4arch9wavefront6targetE1EEEvT1_,comdat
	.protected	_ZN7rocprim17ROCPRIM_400000_NS6detail17trampoline_kernelINS0_14default_configENS1_25partition_config_selectorILNS1_17partition_subalgoE3EjNS0_10empty_typeEbEEZZNS1_14partition_implILS5_3ELb0ES3_jN6thrust23THRUST_200600_302600_NS6detail15normal_iteratorINSA_7pointerIjNSA_11hip_rocprim3tagENSA_11use_defaultESG_EEEEPS6_SJ_NS0_5tupleIJPjSJ_EEENSK_IJSJ_SJ_EEES6_PlJ7is_evenIjEEEE10hipError_tPvRmT3_T4_T5_T6_T7_T9_mT8_P12ihipStream_tbDpT10_ENKUlT_T0_E_clISt17integral_constantIbLb1EES19_IbLb0EEEEDaS15_S16_EUlS15_E_NS1_11comp_targetILNS1_3genE0ELNS1_11target_archE4294967295ELNS1_3gpuE0ELNS1_3repE0EEENS1_30default_config_static_selectorELNS0_4arch9wavefront6targetE1EEEvT1_ ; -- Begin function _ZN7rocprim17ROCPRIM_400000_NS6detail17trampoline_kernelINS0_14default_configENS1_25partition_config_selectorILNS1_17partition_subalgoE3EjNS0_10empty_typeEbEEZZNS1_14partition_implILS5_3ELb0ES3_jN6thrust23THRUST_200600_302600_NS6detail15normal_iteratorINSA_7pointerIjNSA_11hip_rocprim3tagENSA_11use_defaultESG_EEEEPS6_SJ_NS0_5tupleIJPjSJ_EEENSK_IJSJ_SJ_EEES6_PlJ7is_evenIjEEEE10hipError_tPvRmT3_T4_T5_T6_T7_T9_mT8_P12ihipStream_tbDpT10_ENKUlT_T0_E_clISt17integral_constantIbLb1EES19_IbLb0EEEEDaS15_S16_EUlS15_E_NS1_11comp_targetILNS1_3genE0ELNS1_11target_archE4294967295ELNS1_3gpuE0ELNS1_3repE0EEENS1_30default_config_static_selectorELNS0_4arch9wavefront6targetE1EEEvT1_
	.globl	_ZN7rocprim17ROCPRIM_400000_NS6detail17trampoline_kernelINS0_14default_configENS1_25partition_config_selectorILNS1_17partition_subalgoE3EjNS0_10empty_typeEbEEZZNS1_14partition_implILS5_3ELb0ES3_jN6thrust23THRUST_200600_302600_NS6detail15normal_iteratorINSA_7pointerIjNSA_11hip_rocprim3tagENSA_11use_defaultESG_EEEEPS6_SJ_NS0_5tupleIJPjSJ_EEENSK_IJSJ_SJ_EEES6_PlJ7is_evenIjEEEE10hipError_tPvRmT3_T4_T5_T6_T7_T9_mT8_P12ihipStream_tbDpT10_ENKUlT_T0_E_clISt17integral_constantIbLb1EES19_IbLb0EEEEDaS15_S16_EUlS15_E_NS1_11comp_targetILNS1_3genE0ELNS1_11target_archE4294967295ELNS1_3gpuE0ELNS1_3repE0EEENS1_30default_config_static_selectorELNS0_4arch9wavefront6targetE1EEEvT1_
	.p2align	8
	.type	_ZN7rocprim17ROCPRIM_400000_NS6detail17trampoline_kernelINS0_14default_configENS1_25partition_config_selectorILNS1_17partition_subalgoE3EjNS0_10empty_typeEbEEZZNS1_14partition_implILS5_3ELb0ES3_jN6thrust23THRUST_200600_302600_NS6detail15normal_iteratorINSA_7pointerIjNSA_11hip_rocprim3tagENSA_11use_defaultESG_EEEEPS6_SJ_NS0_5tupleIJPjSJ_EEENSK_IJSJ_SJ_EEES6_PlJ7is_evenIjEEEE10hipError_tPvRmT3_T4_T5_T6_T7_T9_mT8_P12ihipStream_tbDpT10_ENKUlT_T0_E_clISt17integral_constantIbLb1EES19_IbLb0EEEEDaS15_S16_EUlS15_E_NS1_11comp_targetILNS1_3genE0ELNS1_11target_archE4294967295ELNS1_3gpuE0ELNS1_3repE0EEENS1_30default_config_static_selectorELNS0_4arch9wavefront6targetE1EEEvT1_,@function
_ZN7rocprim17ROCPRIM_400000_NS6detail17trampoline_kernelINS0_14default_configENS1_25partition_config_selectorILNS1_17partition_subalgoE3EjNS0_10empty_typeEbEEZZNS1_14partition_implILS5_3ELb0ES3_jN6thrust23THRUST_200600_302600_NS6detail15normal_iteratorINSA_7pointerIjNSA_11hip_rocprim3tagENSA_11use_defaultESG_EEEEPS6_SJ_NS0_5tupleIJPjSJ_EEENSK_IJSJ_SJ_EEES6_PlJ7is_evenIjEEEE10hipError_tPvRmT3_T4_T5_T6_T7_T9_mT8_P12ihipStream_tbDpT10_ENKUlT_T0_E_clISt17integral_constantIbLb1EES19_IbLb0EEEEDaS15_S16_EUlS15_E_NS1_11comp_targetILNS1_3genE0ELNS1_11target_archE4294967295ELNS1_3gpuE0ELNS1_3repE0EEENS1_30default_config_static_selectorELNS0_4arch9wavefront6targetE1EEEvT1_: ; @_ZN7rocprim17ROCPRIM_400000_NS6detail17trampoline_kernelINS0_14default_configENS1_25partition_config_selectorILNS1_17partition_subalgoE3EjNS0_10empty_typeEbEEZZNS1_14partition_implILS5_3ELb0ES3_jN6thrust23THRUST_200600_302600_NS6detail15normal_iteratorINSA_7pointerIjNSA_11hip_rocprim3tagENSA_11use_defaultESG_EEEEPS6_SJ_NS0_5tupleIJPjSJ_EEENSK_IJSJ_SJ_EEES6_PlJ7is_evenIjEEEE10hipError_tPvRmT3_T4_T5_T6_T7_T9_mT8_P12ihipStream_tbDpT10_ENKUlT_T0_E_clISt17integral_constantIbLb1EES19_IbLb0EEEEDaS15_S16_EUlS15_E_NS1_11comp_targetILNS1_3genE0ELNS1_11target_archE4294967295ELNS1_3gpuE0ELNS1_3repE0EEENS1_30default_config_static_selectorELNS0_4arch9wavefront6targetE1EEEvT1_
; %bb.0:
	.section	.rodata,"a",@progbits
	.p2align	6, 0x0
	.amdhsa_kernel _ZN7rocprim17ROCPRIM_400000_NS6detail17trampoline_kernelINS0_14default_configENS1_25partition_config_selectorILNS1_17partition_subalgoE3EjNS0_10empty_typeEbEEZZNS1_14partition_implILS5_3ELb0ES3_jN6thrust23THRUST_200600_302600_NS6detail15normal_iteratorINSA_7pointerIjNSA_11hip_rocprim3tagENSA_11use_defaultESG_EEEEPS6_SJ_NS0_5tupleIJPjSJ_EEENSK_IJSJ_SJ_EEES6_PlJ7is_evenIjEEEE10hipError_tPvRmT3_T4_T5_T6_T7_T9_mT8_P12ihipStream_tbDpT10_ENKUlT_T0_E_clISt17integral_constantIbLb1EES19_IbLb0EEEEDaS15_S16_EUlS15_E_NS1_11comp_targetILNS1_3genE0ELNS1_11target_archE4294967295ELNS1_3gpuE0ELNS1_3repE0EEENS1_30default_config_static_selectorELNS0_4arch9wavefront6targetE1EEEvT1_
		.amdhsa_group_segment_fixed_size 0
		.amdhsa_private_segment_fixed_size 0
		.amdhsa_kernarg_size 120
		.amdhsa_user_sgpr_count 6
		.amdhsa_user_sgpr_private_segment_buffer 1
		.amdhsa_user_sgpr_dispatch_ptr 0
		.amdhsa_user_sgpr_queue_ptr 0
		.amdhsa_user_sgpr_kernarg_segment_ptr 1
		.amdhsa_user_sgpr_dispatch_id 0
		.amdhsa_user_sgpr_flat_scratch_init 0
		.amdhsa_user_sgpr_kernarg_preload_length 0
		.amdhsa_user_sgpr_kernarg_preload_offset 0
		.amdhsa_user_sgpr_private_segment_size 0
		.amdhsa_uses_dynamic_stack 0
		.amdhsa_system_sgpr_private_segment_wavefront_offset 0
		.amdhsa_system_sgpr_workgroup_id_x 1
		.amdhsa_system_sgpr_workgroup_id_y 0
		.amdhsa_system_sgpr_workgroup_id_z 0
		.amdhsa_system_sgpr_workgroup_info 0
		.amdhsa_system_vgpr_workitem_id 0
		.amdhsa_next_free_vgpr 1
		.amdhsa_next_free_sgpr 0
		.amdhsa_accum_offset 4
		.amdhsa_reserve_vcc 0
		.amdhsa_reserve_flat_scratch 0
		.amdhsa_float_round_mode_32 0
		.amdhsa_float_round_mode_16_64 0
		.amdhsa_float_denorm_mode_32 3
		.amdhsa_float_denorm_mode_16_64 3
		.amdhsa_dx10_clamp 1
		.amdhsa_ieee_mode 1
		.amdhsa_fp16_overflow 0
		.amdhsa_tg_split 0
		.amdhsa_exception_fp_ieee_invalid_op 0
		.amdhsa_exception_fp_denorm_src 0
		.amdhsa_exception_fp_ieee_div_zero 0
		.amdhsa_exception_fp_ieee_overflow 0
		.amdhsa_exception_fp_ieee_underflow 0
		.amdhsa_exception_fp_ieee_inexact 0
		.amdhsa_exception_int_div_zero 0
	.end_amdhsa_kernel
	.section	.text._ZN7rocprim17ROCPRIM_400000_NS6detail17trampoline_kernelINS0_14default_configENS1_25partition_config_selectorILNS1_17partition_subalgoE3EjNS0_10empty_typeEbEEZZNS1_14partition_implILS5_3ELb0ES3_jN6thrust23THRUST_200600_302600_NS6detail15normal_iteratorINSA_7pointerIjNSA_11hip_rocprim3tagENSA_11use_defaultESG_EEEEPS6_SJ_NS0_5tupleIJPjSJ_EEENSK_IJSJ_SJ_EEES6_PlJ7is_evenIjEEEE10hipError_tPvRmT3_T4_T5_T6_T7_T9_mT8_P12ihipStream_tbDpT10_ENKUlT_T0_E_clISt17integral_constantIbLb1EES19_IbLb0EEEEDaS15_S16_EUlS15_E_NS1_11comp_targetILNS1_3genE0ELNS1_11target_archE4294967295ELNS1_3gpuE0ELNS1_3repE0EEENS1_30default_config_static_selectorELNS0_4arch9wavefront6targetE1EEEvT1_,"axG",@progbits,_ZN7rocprim17ROCPRIM_400000_NS6detail17trampoline_kernelINS0_14default_configENS1_25partition_config_selectorILNS1_17partition_subalgoE3EjNS0_10empty_typeEbEEZZNS1_14partition_implILS5_3ELb0ES3_jN6thrust23THRUST_200600_302600_NS6detail15normal_iteratorINSA_7pointerIjNSA_11hip_rocprim3tagENSA_11use_defaultESG_EEEEPS6_SJ_NS0_5tupleIJPjSJ_EEENSK_IJSJ_SJ_EEES6_PlJ7is_evenIjEEEE10hipError_tPvRmT3_T4_T5_T6_T7_T9_mT8_P12ihipStream_tbDpT10_ENKUlT_T0_E_clISt17integral_constantIbLb1EES19_IbLb0EEEEDaS15_S16_EUlS15_E_NS1_11comp_targetILNS1_3genE0ELNS1_11target_archE4294967295ELNS1_3gpuE0ELNS1_3repE0EEENS1_30default_config_static_selectorELNS0_4arch9wavefront6targetE1EEEvT1_,comdat
.Lfunc_end935:
	.size	_ZN7rocprim17ROCPRIM_400000_NS6detail17trampoline_kernelINS0_14default_configENS1_25partition_config_selectorILNS1_17partition_subalgoE3EjNS0_10empty_typeEbEEZZNS1_14partition_implILS5_3ELb0ES3_jN6thrust23THRUST_200600_302600_NS6detail15normal_iteratorINSA_7pointerIjNSA_11hip_rocprim3tagENSA_11use_defaultESG_EEEEPS6_SJ_NS0_5tupleIJPjSJ_EEENSK_IJSJ_SJ_EEES6_PlJ7is_evenIjEEEE10hipError_tPvRmT3_T4_T5_T6_T7_T9_mT8_P12ihipStream_tbDpT10_ENKUlT_T0_E_clISt17integral_constantIbLb1EES19_IbLb0EEEEDaS15_S16_EUlS15_E_NS1_11comp_targetILNS1_3genE0ELNS1_11target_archE4294967295ELNS1_3gpuE0ELNS1_3repE0EEENS1_30default_config_static_selectorELNS0_4arch9wavefront6targetE1EEEvT1_, .Lfunc_end935-_ZN7rocprim17ROCPRIM_400000_NS6detail17trampoline_kernelINS0_14default_configENS1_25partition_config_selectorILNS1_17partition_subalgoE3EjNS0_10empty_typeEbEEZZNS1_14partition_implILS5_3ELb0ES3_jN6thrust23THRUST_200600_302600_NS6detail15normal_iteratorINSA_7pointerIjNSA_11hip_rocprim3tagENSA_11use_defaultESG_EEEEPS6_SJ_NS0_5tupleIJPjSJ_EEENSK_IJSJ_SJ_EEES6_PlJ7is_evenIjEEEE10hipError_tPvRmT3_T4_T5_T6_T7_T9_mT8_P12ihipStream_tbDpT10_ENKUlT_T0_E_clISt17integral_constantIbLb1EES19_IbLb0EEEEDaS15_S16_EUlS15_E_NS1_11comp_targetILNS1_3genE0ELNS1_11target_archE4294967295ELNS1_3gpuE0ELNS1_3repE0EEENS1_30default_config_static_selectorELNS0_4arch9wavefront6targetE1EEEvT1_
                                        ; -- End function
	.section	.AMDGPU.csdata,"",@progbits
; Kernel info:
; codeLenInByte = 0
; NumSgprs: 4
; NumVgprs: 0
; NumAgprs: 0
; TotalNumVgprs: 0
; ScratchSize: 0
; MemoryBound: 0
; FloatMode: 240
; IeeeMode: 1
; LDSByteSize: 0 bytes/workgroup (compile time only)
; SGPRBlocks: 0
; VGPRBlocks: 0
; NumSGPRsForWavesPerEU: 4
; NumVGPRsForWavesPerEU: 1
; AccumOffset: 4
; Occupancy: 8
; WaveLimiterHint : 0
; COMPUTE_PGM_RSRC2:SCRATCH_EN: 0
; COMPUTE_PGM_RSRC2:USER_SGPR: 6
; COMPUTE_PGM_RSRC2:TRAP_HANDLER: 0
; COMPUTE_PGM_RSRC2:TGID_X_EN: 1
; COMPUTE_PGM_RSRC2:TGID_Y_EN: 0
; COMPUTE_PGM_RSRC2:TGID_Z_EN: 0
; COMPUTE_PGM_RSRC2:TIDIG_COMP_CNT: 0
; COMPUTE_PGM_RSRC3_GFX90A:ACCUM_OFFSET: 0
; COMPUTE_PGM_RSRC3_GFX90A:TG_SPLIT: 0
	.section	.text._ZN7rocprim17ROCPRIM_400000_NS6detail17trampoline_kernelINS0_14default_configENS1_25partition_config_selectorILNS1_17partition_subalgoE3EjNS0_10empty_typeEbEEZZNS1_14partition_implILS5_3ELb0ES3_jN6thrust23THRUST_200600_302600_NS6detail15normal_iteratorINSA_7pointerIjNSA_11hip_rocprim3tagENSA_11use_defaultESG_EEEEPS6_SJ_NS0_5tupleIJPjSJ_EEENSK_IJSJ_SJ_EEES6_PlJ7is_evenIjEEEE10hipError_tPvRmT3_T4_T5_T6_T7_T9_mT8_P12ihipStream_tbDpT10_ENKUlT_T0_E_clISt17integral_constantIbLb1EES19_IbLb0EEEEDaS15_S16_EUlS15_E_NS1_11comp_targetILNS1_3genE5ELNS1_11target_archE942ELNS1_3gpuE9ELNS1_3repE0EEENS1_30default_config_static_selectorELNS0_4arch9wavefront6targetE1EEEvT1_,"axG",@progbits,_ZN7rocprim17ROCPRIM_400000_NS6detail17trampoline_kernelINS0_14default_configENS1_25partition_config_selectorILNS1_17partition_subalgoE3EjNS0_10empty_typeEbEEZZNS1_14partition_implILS5_3ELb0ES3_jN6thrust23THRUST_200600_302600_NS6detail15normal_iteratorINSA_7pointerIjNSA_11hip_rocprim3tagENSA_11use_defaultESG_EEEEPS6_SJ_NS0_5tupleIJPjSJ_EEENSK_IJSJ_SJ_EEES6_PlJ7is_evenIjEEEE10hipError_tPvRmT3_T4_T5_T6_T7_T9_mT8_P12ihipStream_tbDpT10_ENKUlT_T0_E_clISt17integral_constantIbLb1EES19_IbLb0EEEEDaS15_S16_EUlS15_E_NS1_11comp_targetILNS1_3genE5ELNS1_11target_archE942ELNS1_3gpuE9ELNS1_3repE0EEENS1_30default_config_static_selectorELNS0_4arch9wavefront6targetE1EEEvT1_,comdat
	.protected	_ZN7rocprim17ROCPRIM_400000_NS6detail17trampoline_kernelINS0_14default_configENS1_25partition_config_selectorILNS1_17partition_subalgoE3EjNS0_10empty_typeEbEEZZNS1_14partition_implILS5_3ELb0ES3_jN6thrust23THRUST_200600_302600_NS6detail15normal_iteratorINSA_7pointerIjNSA_11hip_rocprim3tagENSA_11use_defaultESG_EEEEPS6_SJ_NS0_5tupleIJPjSJ_EEENSK_IJSJ_SJ_EEES6_PlJ7is_evenIjEEEE10hipError_tPvRmT3_T4_T5_T6_T7_T9_mT8_P12ihipStream_tbDpT10_ENKUlT_T0_E_clISt17integral_constantIbLb1EES19_IbLb0EEEEDaS15_S16_EUlS15_E_NS1_11comp_targetILNS1_3genE5ELNS1_11target_archE942ELNS1_3gpuE9ELNS1_3repE0EEENS1_30default_config_static_selectorELNS0_4arch9wavefront6targetE1EEEvT1_ ; -- Begin function _ZN7rocprim17ROCPRIM_400000_NS6detail17trampoline_kernelINS0_14default_configENS1_25partition_config_selectorILNS1_17partition_subalgoE3EjNS0_10empty_typeEbEEZZNS1_14partition_implILS5_3ELb0ES3_jN6thrust23THRUST_200600_302600_NS6detail15normal_iteratorINSA_7pointerIjNSA_11hip_rocprim3tagENSA_11use_defaultESG_EEEEPS6_SJ_NS0_5tupleIJPjSJ_EEENSK_IJSJ_SJ_EEES6_PlJ7is_evenIjEEEE10hipError_tPvRmT3_T4_T5_T6_T7_T9_mT8_P12ihipStream_tbDpT10_ENKUlT_T0_E_clISt17integral_constantIbLb1EES19_IbLb0EEEEDaS15_S16_EUlS15_E_NS1_11comp_targetILNS1_3genE5ELNS1_11target_archE942ELNS1_3gpuE9ELNS1_3repE0EEENS1_30default_config_static_selectorELNS0_4arch9wavefront6targetE1EEEvT1_
	.globl	_ZN7rocprim17ROCPRIM_400000_NS6detail17trampoline_kernelINS0_14default_configENS1_25partition_config_selectorILNS1_17partition_subalgoE3EjNS0_10empty_typeEbEEZZNS1_14partition_implILS5_3ELb0ES3_jN6thrust23THRUST_200600_302600_NS6detail15normal_iteratorINSA_7pointerIjNSA_11hip_rocprim3tagENSA_11use_defaultESG_EEEEPS6_SJ_NS0_5tupleIJPjSJ_EEENSK_IJSJ_SJ_EEES6_PlJ7is_evenIjEEEE10hipError_tPvRmT3_T4_T5_T6_T7_T9_mT8_P12ihipStream_tbDpT10_ENKUlT_T0_E_clISt17integral_constantIbLb1EES19_IbLb0EEEEDaS15_S16_EUlS15_E_NS1_11comp_targetILNS1_3genE5ELNS1_11target_archE942ELNS1_3gpuE9ELNS1_3repE0EEENS1_30default_config_static_selectorELNS0_4arch9wavefront6targetE1EEEvT1_
	.p2align	8
	.type	_ZN7rocprim17ROCPRIM_400000_NS6detail17trampoline_kernelINS0_14default_configENS1_25partition_config_selectorILNS1_17partition_subalgoE3EjNS0_10empty_typeEbEEZZNS1_14partition_implILS5_3ELb0ES3_jN6thrust23THRUST_200600_302600_NS6detail15normal_iteratorINSA_7pointerIjNSA_11hip_rocprim3tagENSA_11use_defaultESG_EEEEPS6_SJ_NS0_5tupleIJPjSJ_EEENSK_IJSJ_SJ_EEES6_PlJ7is_evenIjEEEE10hipError_tPvRmT3_T4_T5_T6_T7_T9_mT8_P12ihipStream_tbDpT10_ENKUlT_T0_E_clISt17integral_constantIbLb1EES19_IbLb0EEEEDaS15_S16_EUlS15_E_NS1_11comp_targetILNS1_3genE5ELNS1_11target_archE942ELNS1_3gpuE9ELNS1_3repE0EEENS1_30default_config_static_selectorELNS0_4arch9wavefront6targetE1EEEvT1_,@function
_ZN7rocprim17ROCPRIM_400000_NS6detail17trampoline_kernelINS0_14default_configENS1_25partition_config_selectorILNS1_17partition_subalgoE3EjNS0_10empty_typeEbEEZZNS1_14partition_implILS5_3ELb0ES3_jN6thrust23THRUST_200600_302600_NS6detail15normal_iteratorINSA_7pointerIjNSA_11hip_rocprim3tagENSA_11use_defaultESG_EEEEPS6_SJ_NS0_5tupleIJPjSJ_EEENSK_IJSJ_SJ_EEES6_PlJ7is_evenIjEEEE10hipError_tPvRmT3_T4_T5_T6_T7_T9_mT8_P12ihipStream_tbDpT10_ENKUlT_T0_E_clISt17integral_constantIbLb1EES19_IbLb0EEEEDaS15_S16_EUlS15_E_NS1_11comp_targetILNS1_3genE5ELNS1_11target_archE942ELNS1_3gpuE9ELNS1_3repE0EEENS1_30default_config_static_selectorELNS0_4arch9wavefront6targetE1EEEvT1_: ; @_ZN7rocprim17ROCPRIM_400000_NS6detail17trampoline_kernelINS0_14default_configENS1_25partition_config_selectorILNS1_17partition_subalgoE3EjNS0_10empty_typeEbEEZZNS1_14partition_implILS5_3ELb0ES3_jN6thrust23THRUST_200600_302600_NS6detail15normal_iteratorINSA_7pointerIjNSA_11hip_rocprim3tagENSA_11use_defaultESG_EEEEPS6_SJ_NS0_5tupleIJPjSJ_EEENSK_IJSJ_SJ_EEES6_PlJ7is_evenIjEEEE10hipError_tPvRmT3_T4_T5_T6_T7_T9_mT8_P12ihipStream_tbDpT10_ENKUlT_T0_E_clISt17integral_constantIbLb1EES19_IbLb0EEEEDaS15_S16_EUlS15_E_NS1_11comp_targetILNS1_3genE5ELNS1_11target_archE942ELNS1_3gpuE9ELNS1_3repE0EEENS1_30default_config_static_selectorELNS0_4arch9wavefront6targetE1EEEvT1_
; %bb.0:
	.section	.rodata,"a",@progbits
	.p2align	6, 0x0
	.amdhsa_kernel _ZN7rocprim17ROCPRIM_400000_NS6detail17trampoline_kernelINS0_14default_configENS1_25partition_config_selectorILNS1_17partition_subalgoE3EjNS0_10empty_typeEbEEZZNS1_14partition_implILS5_3ELb0ES3_jN6thrust23THRUST_200600_302600_NS6detail15normal_iteratorINSA_7pointerIjNSA_11hip_rocprim3tagENSA_11use_defaultESG_EEEEPS6_SJ_NS0_5tupleIJPjSJ_EEENSK_IJSJ_SJ_EEES6_PlJ7is_evenIjEEEE10hipError_tPvRmT3_T4_T5_T6_T7_T9_mT8_P12ihipStream_tbDpT10_ENKUlT_T0_E_clISt17integral_constantIbLb1EES19_IbLb0EEEEDaS15_S16_EUlS15_E_NS1_11comp_targetILNS1_3genE5ELNS1_11target_archE942ELNS1_3gpuE9ELNS1_3repE0EEENS1_30default_config_static_selectorELNS0_4arch9wavefront6targetE1EEEvT1_
		.amdhsa_group_segment_fixed_size 0
		.amdhsa_private_segment_fixed_size 0
		.amdhsa_kernarg_size 120
		.amdhsa_user_sgpr_count 6
		.amdhsa_user_sgpr_private_segment_buffer 1
		.amdhsa_user_sgpr_dispatch_ptr 0
		.amdhsa_user_sgpr_queue_ptr 0
		.amdhsa_user_sgpr_kernarg_segment_ptr 1
		.amdhsa_user_sgpr_dispatch_id 0
		.amdhsa_user_sgpr_flat_scratch_init 0
		.amdhsa_user_sgpr_kernarg_preload_length 0
		.amdhsa_user_sgpr_kernarg_preload_offset 0
		.amdhsa_user_sgpr_private_segment_size 0
		.amdhsa_uses_dynamic_stack 0
		.amdhsa_system_sgpr_private_segment_wavefront_offset 0
		.amdhsa_system_sgpr_workgroup_id_x 1
		.amdhsa_system_sgpr_workgroup_id_y 0
		.amdhsa_system_sgpr_workgroup_id_z 0
		.amdhsa_system_sgpr_workgroup_info 0
		.amdhsa_system_vgpr_workitem_id 0
		.amdhsa_next_free_vgpr 1
		.amdhsa_next_free_sgpr 0
		.amdhsa_accum_offset 4
		.amdhsa_reserve_vcc 0
		.amdhsa_reserve_flat_scratch 0
		.amdhsa_float_round_mode_32 0
		.amdhsa_float_round_mode_16_64 0
		.amdhsa_float_denorm_mode_32 3
		.amdhsa_float_denorm_mode_16_64 3
		.amdhsa_dx10_clamp 1
		.amdhsa_ieee_mode 1
		.amdhsa_fp16_overflow 0
		.amdhsa_tg_split 0
		.amdhsa_exception_fp_ieee_invalid_op 0
		.amdhsa_exception_fp_denorm_src 0
		.amdhsa_exception_fp_ieee_div_zero 0
		.amdhsa_exception_fp_ieee_overflow 0
		.amdhsa_exception_fp_ieee_underflow 0
		.amdhsa_exception_fp_ieee_inexact 0
		.amdhsa_exception_int_div_zero 0
	.end_amdhsa_kernel
	.section	.text._ZN7rocprim17ROCPRIM_400000_NS6detail17trampoline_kernelINS0_14default_configENS1_25partition_config_selectorILNS1_17partition_subalgoE3EjNS0_10empty_typeEbEEZZNS1_14partition_implILS5_3ELb0ES3_jN6thrust23THRUST_200600_302600_NS6detail15normal_iteratorINSA_7pointerIjNSA_11hip_rocprim3tagENSA_11use_defaultESG_EEEEPS6_SJ_NS0_5tupleIJPjSJ_EEENSK_IJSJ_SJ_EEES6_PlJ7is_evenIjEEEE10hipError_tPvRmT3_T4_T5_T6_T7_T9_mT8_P12ihipStream_tbDpT10_ENKUlT_T0_E_clISt17integral_constantIbLb1EES19_IbLb0EEEEDaS15_S16_EUlS15_E_NS1_11comp_targetILNS1_3genE5ELNS1_11target_archE942ELNS1_3gpuE9ELNS1_3repE0EEENS1_30default_config_static_selectorELNS0_4arch9wavefront6targetE1EEEvT1_,"axG",@progbits,_ZN7rocprim17ROCPRIM_400000_NS6detail17trampoline_kernelINS0_14default_configENS1_25partition_config_selectorILNS1_17partition_subalgoE3EjNS0_10empty_typeEbEEZZNS1_14partition_implILS5_3ELb0ES3_jN6thrust23THRUST_200600_302600_NS6detail15normal_iteratorINSA_7pointerIjNSA_11hip_rocprim3tagENSA_11use_defaultESG_EEEEPS6_SJ_NS0_5tupleIJPjSJ_EEENSK_IJSJ_SJ_EEES6_PlJ7is_evenIjEEEE10hipError_tPvRmT3_T4_T5_T6_T7_T9_mT8_P12ihipStream_tbDpT10_ENKUlT_T0_E_clISt17integral_constantIbLb1EES19_IbLb0EEEEDaS15_S16_EUlS15_E_NS1_11comp_targetILNS1_3genE5ELNS1_11target_archE942ELNS1_3gpuE9ELNS1_3repE0EEENS1_30default_config_static_selectorELNS0_4arch9wavefront6targetE1EEEvT1_,comdat
.Lfunc_end936:
	.size	_ZN7rocprim17ROCPRIM_400000_NS6detail17trampoline_kernelINS0_14default_configENS1_25partition_config_selectorILNS1_17partition_subalgoE3EjNS0_10empty_typeEbEEZZNS1_14partition_implILS5_3ELb0ES3_jN6thrust23THRUST_200600_302600_NS6detail15normal_iteratorINSA_7pointerIjNSA_11hip_rocprim3tagENSA_11use_defaultESG_EEEEPS6_SJ_NS0_5tupleIJPjSJ_EEENSK_IJSJ_SJ_EEES6_PlJ7is_evenIjEEEE10hipError_tPvRmT3_T4_T5_T6_T7_T9_mT8_P12ihipStream_tbDpT10_ENKUlT_T0_E_clISt17integral_constantIbLb1EES19_IbLb0EEEEDaS15_S16_EUlS15_E_NS1_11comp_targetILNS1_3genE5ELNS1_11target_archE942ELNS1_3gpuE9ELNS1_3repE0EEENS1_30default_config_static_selectorELNS0_4arch9wavefront6targetE1EEEvT1_, .Lfunc_end936-_ZN7rocprim17ROCPRIM_400000_NS6detail17trampoline_kernelINS0_14default_configENS1_25partition_config_selectorILNS1_17partition_subalgoE3EjNS0_10empty_typeEbEEZZNS1_14partition_implILS5_3ELb0ES3_jN6thrust23THRUST_200600_302600_NS6detail15normal_iteratorINSA_7pointerIjNSA_11hip_rocprim3tagENSA_11use_defaultESG_EEEEPS6_SJ_NS0_5tupleIJPjSJ_EEENSK_IJSJ_SJ_EEES6_PlJ7is_evenIjEEEE10hipError_tPvRmT3_T4_T5_T6_T7_T9_mT8_P12ihipStream_tbDpT10_ENKUlT_T0_E_clISt17integral_constantIbLb1EES19_IbLb0EEEEDaS15_S16_EUlS15_E_NS1_11comp_targetILNS1_3genE5ELNS1_11target_archE942ELNS1_3gpuE9ELNS1_3repE0EEENS1_30default_config_static_selectorELNS0_4arch9wavefront6targetE1EEEvT1_
                                        ; -- End function
	.section	.AMDGPU.csdata,"",@progbits
; Kernel info:
; codeLenInByte = 0
; NumSgprs: 4
; NumVgprs: 0
; NumAgprs: 0
; TotalNumVgprs: 0
; ScratchSize: 0
; MemoryBound: 0
; FloatMode: 240
; IeeeMode: 1
; LDSByteSize: 0 bytes/workgroup (compile time only)
; SGPRBlocks: 0
; VGPRBlocks: 0
; NumSGPRsForWavesPerEU: 4
; NumVGPRsForWavesPerEU: 1
; AccumOffset: 4
; Occupancy: 8
; WaveLimiterHint : 0
; COMPUTE_PGM_RSRC2:SCRATCH_EN: 0
; COMPUTE_PGM_RSRC2:USER_SGPR: 6
; COMPUTE_PGM_RSRC2:TRAP_HANDLER: 0
; COMPUTE_PGM_RSRC2:TGID_X_EN: 1
; COMPUTE_PGM_RSRC2:TGID_Y_EN: 0
; COMPUTE_PGM_RSRC2:TGID_Z_EN: 0
; COMPUTE_PGM_RSRC2:TIDIG_COMP_CNT: 0
; COMPUTE_PGM_RSRC3_GFX90A:ACCUM_OFFSET: 0
; COMPUTE_PGM_RSRC3_GFX90A:TG_SPLIT: 0
	.section	.text._ZN7rocprim17ROCPRIM_400000_NS6detail17trampoline_kernelINS0_14default_configENS1_25partition_config_selectorILNS1_17partition_subalgoE3EjNS0_10empty_typeEbEEZZNS1_14partition_implILS5_3ELb0ES3_jN6thrust23THRUST_200600_302600_NS6detail15normal_iteratorINSA_7pointerIjNSA_11hip_rocprim3tagENSA_11use_defaultESG_EEEEPS6_SJ_NS0_5tupleIJPjSJ_EEENSK_IJSJ_SJ_EEES6_PlJ7is_evenIjEEEE10hipError_tPvRmT3_T4_T5_T6_T7_T9_mT8_P12ihipStream_tbDpT10_ENKUlT_T0_E_clISt17integral_constantIbLb1EES19_IbLb0EEEEDaS15_S16_EUlS15_E_NS1_11comp_targetILNS1_3genE4ELNS1_11target_archE910ELNS1_3gpuE8ELNS1_3repE0EEENS1_30default_config_static_selectorELNS0_4arch9wavefront6targetE1EEEvT1_,"axG",@progbits,_ZN7rocprim17ROCPRIM_400000_NS6detail17trampoline_kernelINS0_14default_configENS1_25partition_config_selectorILNS1_17partition_subalgoE3EjNS0_10empty_typeEbEEZZNS1_14partition_implILS5_3ELb0ES3_jN6thrust23THRUST_200600_302600_NS6detail15normal_iteratorINSA_7pointerIjNSA_11hip_rocprim3tagENSA_11use_defaultESG_EEEEPS6_SJ_NS0_5tupleIJPjSJ_EEENSK_IJSJ_SJ_EEES6_PlJ7is_evenIjEEEE10hipError_tPvRmT3_T4_T5_T6_T7_T9_mT8_P12ihipStream_tbDpT10_ENKUlT_T0_E_clISt17integral_constantIbLb1EES19_IbLb0EEEEDaS15_S16_EUlS15_E_NS1_11comp_targetILNS1_3genE4ELNS1_11target_archE910ELNS1_3gpuE8ELNS1_3repE0EEENS1_30default_config_static_selectorELNS0_4arch9wavefront6targetE1EEEvT1_,comdat
	.protected	_ZN7rocprim17ROCPRIM_400000_NS6detail17trampoline_kernelINS0_14default_configENS1_25partition_config_selectorILNS1_17partition_subalgoE3EjNS0_10empty_typeEbEEZZNS1_14partition_implILS5_3ELb0ES3_jN6thrust23THRUST_200600_302600_NS6detail15normal_iteratorINSA_7pointerIjNSA_11hip_rocprim3tagENSA_11use_defaultESG_EEEEPS6_SJ_NS0_5tupleIJPjSJ_EEENSK_IJSJ_SJ_EEES6_PlJ7is_evenIjEEEE10hipError_tPvRmT3_T4_T5_T6_T7_T9_mT8_P12ihipStream_tbDpT10_ENKUlT_T0_E_clISt17integral_constantIbLb1EES19_IbLb0EEEEDaS15_S16_EUlS15_E_NS1_11comp_targetILNS1_3genE4ELNS1_11target_archE910ELNS1_3gpuE8ELNS1_3repE0EEENS1_30default_config_static_selectorELNS0_4arch9wavefront6targetE1EEEvT1_ ; -- Begin function _ZN7rocprim17ROCPRIM_400000_NS6detail17trampoline_kernelINS0_14default_configENS1_25partition_config_selectorILNS1_17partition_subalgoE3EjNS0_10empty_typeEbEEZZNS1_14partition_implILS5_3ELb0ES3_jN6thrust23THRUST_200600_302600_NS6detail15normal_iteratorINSA_7pointerIjNSA_11hip_rocprim3tagENSA_11use_defaultESG_EEEEPS6_SJ_NS0_5tupleIJPjSJ_EEENSK_IJSJ_SJ_EEES6_PlJ7is_evenIjEEEE10hipError_tPvRmT3_T4_T5_T6_T7_T9_mT8_P12ihipStream_tbDpT10_ENKUlT_T0_E_clISt17integral_constantIbLb1EES19_IbLb0EEEEDaS15_S16_EUlS15_E_NS1_11comp_targetILNS1_3genE4ELNS1_11target_archE910ELNS1_3gpuE8ELNS1_3repE0EEENS1_30default_config_static_selectorELNS0_4arch9wavefront6targetE1EEEvT1_
	.globl	_ZN7rocprim17ROCPRIM_400000_NS6detail17trampoline_kernelINS0_14default_configENS1_25partition_config_selectorILNS1_17partition_subalgoE3EjNS0_10empty_typeEbEEZZNS1_14partition_implILS5_3ELb0ES3_jN6thrust23THRUST_200600_302600_NS6detail15normal_iteratorINSA_7pointerIjNSA_11hip_rocprim3tagENSA_11use_defaultESG_EEEEPS6_SJ_NS0_5tupleIJPjSJ_EEENSK_IJSJ_SJ_EEES6_PlJ7is_evenIjEEEE10hipError_tPvRmT3_T4_T5_T6_T7_T9_mT8_P12ihipStream_tbDpT10_ENKUlT_T0_E_clISt17integral_constantIbLb1EES19_IbLb0EEEEDaS15_S16_EUlS15_E_NS1_11comp_targetILNS1_3genE4ELNS1_11target_archE910ELNS1_3gpuE8ELNS1_3repE0EEENS1_30default_config_static_selectorELNS0_4arch9wavefront6targetE1EEEvT1_
	.p2align	8
	.type	_ZN7rocprim17ROCPRIM_400000_NS6detail17trampoline_kernelINS0_14default_configENS1_25partition_config_selectorILNS1_17partition_subalgoE3EjNS0_10empty_typeEbEEZZNS1_14partition_implILS5_3ELb0ES3_jN6thrust23THRUST_200600_302600_NS6detail15normal_iteratorINSA_7pointerIjNSA_11hip_rocprim3tagENSA_11use_defaultESG_EEEEPS6_SJ_NS0_5tupleIJPjSJ_EEENSK_IJSJ_SJ_EEES6_PlJ7is_evenIjEEEE10hipError_tPvRmT3_T4_T5_T6_T7_T9_mT8_P12ihipStream_tbDpT10_ENKUlT_T0_E_clISt17integral_constantIbLb1EES19_IbLb0EEEEDaS15_S16_EUlS15_E_NS1_11comp_targetILNS1_3genE4ELNS1_11target_archE910ELNS1_3gpuE8ELNS1_3repE0EEENS1_30default_config_static_selectorELNS0_4arch9wavefront6targetE1EEEvT1_,@function
_ZN7rocprim17ROCPRIM_400000_NS6detail17trampoline_kernelINS0_14default_configENS1_25partition_config_selectorILNS1_17partition_subalgoE3EjNS0_10empty_typeEbEEZZNS1_14partition_implILS5_3ELb0ES3_jN6thrust23THRUST_200600_302600_NS6detail15normal_iteratorINSA_7pointerIjNSA_11hip_rocprim3tagENSA_11use_defaultESG_EEEEPS6_SJ_NS0_5tupleIJPjSJ_EEENSK_IJSJ_SJ_EEES6_PlJ7is_evenIjEEEE10hipError_tPvRmT3_T4_T5_T6_T7_T9_mT8_P12ihipStream_tbDpT10_ENKUlT_T0_E_clISt17integral_constantIbLb1EES19_IbLb0EEEEDaS15_S16_EUlS15_E_NS1_11comp_targetILNS1_3genE4ELNS1_11target_archE910ELNS1_3gpuE8ELNS1_3repE0EEENS1_30default_config_static_selectorELNS0_4arch9wavefront6targetE1EEEvT1_: ; @_ZN7rocprim17ROCPRIM_400000_NS6detail17trampoline_kernelINS0_14default_configENS1_25partition_config_selectorILNS1_17partition_subalgoE3EjNS0_10empty_typeEbEEZZNS1_14partition_implILS5_3ELb0ES3_jN6thrust23THRUST_200600_302600_NS6detail15normal_iteratorINSA_7pointerIjNSA_11hip_rocprim3tagENSA_11use_defaultESG_EEEEPS6_SJ_NS0_5tupleIJPjSJ_EEENSK_IJSJ_SJ_EEES6_PlJ7is_evenIjEEEE10hipError_tPvRmT3_T4_T5_T6_T7_T9_mT8_P12ihipStream_tbDpT10_ENKUlT_T0_E_clISt17integral_constantIbLb1EES19_IbLb0EEEEDaS15_S16_EUlS15_E_NS1_11comp_targetILNS1_3genE4ELNS1_11target_archE910ELNS1_3gpuE8ELNS1_3repE0EEENS1_30default_config_static_selectorELNS0_4arch9wavefront6targetE1EEEvT1_
; %bb.0:
	s_load_dwordx4 s[20:23], s[4:5], 0x8
	s_load_dwordx4 s[24:27], s[4:5], 0x48
	s_load_dwordx2 s[28:29], s[4:5], 0x58
	s_load_dword s2, s[4:5], 0x70
	s_mul_i32 s30, s6, 0xa00
	s_waitcnt lgkmcnt(0)
	s_lshl_b64 s[0:1], s[22:23], 2
	s_add_u32 s7, s20, s0
	s_addc_u32 s8, s21, s1
	s_mul_i32 s0, s2, 0xa00
	s_add_i32 s1, s0, s22
	s_sub_i32 s33, s28, s1
	s_add_i32 s3, s2, -1
	s_addk_i32 s33, 0xa00
	s_add_u32 s0, s22, s0
	s_addc_u32 s1, s23, 0
	s_cmp_eq_u32 s6, s3
	s_load_dwordx2 s[34:35], s[26:27], 0x0
	v_pk_mov_b32 v[2:3], s[28:29], s[28:29] op_sel:[0,1]
	s_cselect_b64 s[26:27], -1, 0
	s_cmp_lg_u32 s6, s3
	s_mov_b32 s31, 0
	v_cmp_lt_u64_e32 vcc, s[0:1], v[2:3]
	s_cselect_b64 s[0:1], -1, 0
	s_or_b64 s[2:3], s[0:1], vcc
	s_lshl_b64 s[0:1], s[30:31], 2
	s_add_u32 s7, s7, s0
	s_addc_u32 s10, s8, s1
	s_mov_b64 s[0:1], -1
	s_and_b64 vcc, exec, s[2:3]
	v_lshlrev_b32_e32 v1, 2, v0
	s_cbranch_vccz .LBB937_2
; %bb.1:
	v_mov_b32_e32 v3, s10
	v_add_co_u32_e32 v2, vcc, s7, v1
	v_addc_co_u32_e32 v3, vcc, 0, v3, vcc
	v_add_co_u32_e32 v4, vcc, 0x1000, v2
	v_addc_co_u32_e32 v5, vcc, 0, v3, vcc
	flat_load_dword v6, v[2:3]
	flat_load_dword v7, v[2:3] offset:1024
	flat_load_dword v8, v[2:3] offset:2048
	flat_load_dword v9, v[2:3] offset:3072
	flat_load_dword v10, v[4:5]
	flat_load_dword v11, v[4:5] offset:1024
	flat_load_dword v12, v[4:5] offset:2048
	flat_load_dword v13, v[4:5] offset:3072
	v_add_co_u32_e32 v2, vcc, 0x2000, v2
	v_addc_co_u32_e32 v3, vcc, 0, v3, vcc
	flat_load_dword v4, v[2:3]
	flat_load_dword v5, v[2:3] offset:1024
	s_mov_b64 s[0:1], 0
	s_waitcnt vmcnt(0) lgkmcnt(0)
	ds_write2st64_b32 v1, v6, v7 offset1:4
	ds_write2st64_b32 v1, v8, v9 offset0:8 offset1:12
	ds_write2st64_b32 v1, v10, v11 offset0:16 offset1:20
	;; [unrolled: 1-line block ×4, first 2 shown]
	s_waitcnt lgkmcnt(0)
	s_barrier
.LBB937_2:
	s_andn2_b64 vcc, exec, s[0:1]
	v_cmp_gt_u32_e64 s[0:1], s33, v0
	s_cbranch_vccnz .LBB937_24
; %bb.3:
                                        ; implicit-def: $vgpr2_vgpr3_vgpr4_vgpr5_vgpr6_vgpr7_vgpr8_vgpr9_vgpr10_vgpr11
	s_and_saveexec_b64 s[8:9], s[0:1]
	s_cbranch_execz .LBB937_5
; %bb.4:
	v_mov_b32_e32 v3, s10
	v_add_co_u32_e32 v2, vcc, s7, v1
	v_addc_co_u32_e32 v3, vcc, 0, v3, vcc
	flat_load_dword v2, v[2:3]
.LBB937_5:
	s_or_b64 exec, exec, s[8:9]
	v_or_b32_e32 v12, 0x100, v0
	v_cmp_gt_u32_e32 vcc, s33, v12
	s_and_saveexec_b64 s[0:1], vcc
	s_cbranch_execz .LBB937_7
; %bb.6:
	v_mov_b32_e32 v3, s10
	v_add_co_u32_e32 v12, vcc, s7, v1
	v_addc_co_u32_e32 v13, vcc, 0, v3, vcc
	flat_load_dword v3, v[12:13] offset:1024
.LBB937_7:
	s_or_b64 exec, exec, s[0:1]
	v_or_b32_e32 v12, 0x200, v0
	v_cmp_gt_u32_e32 vcc, s33, v12
	s_and_saveexec_b64 s[0:1], vcc
	s_cbranch_execz .LBB937_9
; %bb.8:
	v_mov_b32_e32 v4, s10
	v_add_co_u32_e32 v12, vcc, s7, v1
	v_addc_co_u32_e32 v13, vcc, 0, v4, vcc
	flat_load_dword v4, v[12:13] offset:2048
.LBB937_9:
	;; [unrolled: 11-line block ×3, first 2 shown]
	s_or_b64 exec, exec, s[0:1]
	v_or_b32_e32 v12, 0x400, v0
	v_cmp_gt_u32_e32 vcc, s33, v12
	s_and_saveexec_b64 s[0:1], vcc
	s_cbranch_execz .LBB937_13
; %bb.12:
	v_lshlrev_b32_e32 v6, 2, v12
	v_mov_b32_e32 v13, s10
	v_add_co_u32_e32 v12, vcc, s7, v6
	v_addc_co_u32_e32 v13, vcc, 0, v13, vcc
	flat_load_dword v6, v[12:13]
.LBB937_13:
	s_or_b64 exec, exec, s[0:1]
	v_or_b32_e32 v12, 0x500, v0
	v_cmp_gt_u32_e32 vcc, s33, v12
	s_and_saveexec_b64 s[0:1], vcc
	s_cbranch_execz .LBB937_15
; %bb.14:
	v_lshlrev_b32_e32 v7, 2, v12
	v_mov_b32_e32 v13, s10
	v_add_co_u32_e32 v12, vcc, s7, v7
	v_addc_co_u32_e32 v13, vcc, 0, v13, vcc
	flat_load_dword v7, v[12:13]
.LBB937_15:
	;; [unrolled: 12-line block ×6, first 2 shown]
	s_or_b64 exec, exec, s[0:1]
	s_waitcnt vmcnt(0) lgkmcnt(0)
	ds_write2st64_b32 v1, v2, v3 offset1:4
	ds_write2st64_b32 v1, v4, v5 offset0:8 offset1:12
	ds_write2st64_b32 v1, v6, v7 offset0:16 offset1:20
	;; [unrolled: 1-line block ×4, first 2 shown]
	s_waitcnt lgkmcnt(0)
	s_barrier
.LBB937_24:
	v_mul_u32_u24_e32 v23, 10, v0
	v_lshlrev_b32_e32 v29, 2, v23
	s_waitcnt lgkmcnt(0)
	ds_read2_b64 v[6:9], v29 offset1:1
	ds_read2_b64 v[2:5], v29 offset0:2 offset1:3
	ds_read_b64 v[12:13], v29 offset:32
	v_cndmask_b32_e64 v10, 0, 1, s[2:3]
	v_cmp_ne_u32_e64 s[0:1], 1, v10
	s_andn2_b64 vcc, exec, s[2:3]
	s_waitcnt lgkmcnt(2)
	v_xor_b32_e32 v21, -1, v6
	v_xor_b32_e32 v20, -1, v7
	;; [unrolled: 1-line block ×4, first 2 shown]
	s_waitcnt lgkmcnt(1)
	v_xor_b32_e32 v17, -1, v2
	v_xor_b32_e32 v16, -1, v3
	;; [unrolled: 1-line block ×4, first 2 shown]
	s_waitcnt lgkmcnt(0)
	v_xor_b32_e32 v11, -1, v12
	v_xor_b32_e32 v10, -1, v13
	s_barrier
	s_cbranch_vccnz .LBB937_26
; %bb.25:
	v_mov_b32_e32 v22, 1
	v_and_b32_e32 v25, 1, v21
	v_and_b32_sdwa v26, v20, v22 dst_sel:BYTE_1 dst_unused:UNUSED_PAD src0_sel:DWORD src1_sel:DWORD
	v_and_b32_e32 v27, 1, v19
	v_and_b32_sdwa v28, v18, v22 dst_sel:BYTE_1 dst_unused:UNUSED_PAD src0_sel:DWORD src1_sel:DWORD
	;; [unrolled: 2-line block ×4, first 2 shown]
	v_or_b32_e32 v25, v25, v26
	v_or_b32_sdwa v26, v27, v28 dst_sel:WORD_1 dst_unused:UNUSED_PAD src0_sel:DWORD src1_sel:DWORD
	v_or_b32_sdwa v26, v25, v26 dst_sel:DWORD dst_unused:UNUSED_PAD src0_sel:WORD_0 src1_sel:DWORD
	v_or_b32_e32 v25, v30, v31
	v_or_b32_sdwa v27, v32, v33 dst_sel:WORD_1 dst_unused:UNUSED_PAD src0_sel:DWORD src1_sel:DWORD
	v_and_b32_e32 v24, 1, v11
	v_and_b32_e32 v22, 1, v10
	v_or_b32_sdwa v25, v25, v27 dst_sel:DWORD dst_unused:UNUSED_PAD src0_sel:WORD_0 src1_sel:DWORD
	s_load_dwordx2 s[36:37], s[4:5], 0x68
	s_cbranch_execz .LBB937_27
	s_branch .LBB937_28
.LBB937_26:
                                        ; implicit-def: $vgpr22
                                        ; implicit-def: $vgpr24
                                        ; implicit-def: $vgpr25
                                        ; implicit-def: $vgpr26
	s_load_dwordx2 s[36:37], s[4:5], 0x68
.LBB937_27:
	v_or_b32_e32 v32, 1, v23
	v_cmp_gt_u32_e32 vcc, s33, v23
	v_add_u32_e32 v22, 2, v23
	v_cndmask_b32_e64 v33, 0, 1, vcc
	v_cmp_gt_u32_e32 vcc, s33, v32
	v_add_u32_e32 v31, 3, v23
	v_cndmask_b32_e64 v32, 0, 1, vcc
	;; [unrolled: 3-line block ×3, first 2 shown]
	v_cmp_gt_u32_e32 vcc, s33, v31
	v_add_u32_e32 v30, 5, v23
	v_and_b32_e32 v19, v22, v19
	v_cndmask_b32_e64 v22, 0, 1, vcc
	v_cmp_gt_u32_e32 vcc, s33, v24
	v_add_u32_e32 v25, 6, v23
	v_and_b32_sdwa v18, v22, v18 dst_sel:BYTE_1 dst_unused:UNUSED_PAD src0_sel:DWORD src1_sel:DWORD
	v_cndmask_b32_e64 v22, 0, 1, vcc
	v_cmp_gt_u32_e32 vcc, s33, v30
	v_add_u32_e32 v28, 7, v23
	v_and_b32_e32 v17, v22, v17
	v_cndmask_b32_e64 v22, 0, 1, vcc
	v_cmp_gt_u32_e32 vcc, s33, v25
	v_add_u32_e32 v26, 8, v23
	v_and_b32_sdwa v16, v22, v16 dst_sel:BYTE_1 dst_unused:UNUSED_PAD src0_sel:DWORD src1_sel:DWORD
	v_cndmask_b32_e64 v22, 0, 1, vcc
	v_cmp_gt_u32_e32 vcc, s33, v28
	v_add_u32_e32 v27, 9, v23
	v_and_b32_e32 v15, v22, v15
	v_cndmask_b32_e64 v22, 0, 1, vcc
	v_cmp_gt_u32_e32 vcc, s33, v26
	v_and_b32_sdwa v14, v22, v14 dst_sel:BYTE_1 dst_unused:UNUSED_PAD src0_sel:DWORD src1_sel:DWORD
	v_cndmask_b32_e64 v22, 0, 1, vcc
	v_cmp_gt_u32_e32 vcc, s33, v27
	v_and_b32_e32 v21, v33, v21
	v_and_b32_sdwa v20, v32, v20 dst_sel:BYTE_1 dst_unused:UNUSED_PAD src0_sel:DWORD src1_sel:DWORD
	v_and_b32_e32 v24, v22, v11
	v_cndmask_b32_e64 v11, 0, 1, vcc
	v_and_b32_e32 v22, v11, v10
	v_or_b32_e32 v10, v21, v20
	v_or_b32_sdwa v11, v19, v18 dst_sel:WORD_1 dst_unused:UNUSED_PAD src0_sel:DWORD src1_sel:DWORD
	v_or_b32_sdwa v26, v10, v11 dst_sel:DWORD dst_unused:UNUSED_PAD src0_sel:WORD_0 src1_sel:DWORD
	v_or_b32_e32 v10, v17, v16
	v_or_b32_sdwa v11, v15, v14 dst_sel:WORD_1 dst_unused:UNUSED_PAD src0_sel:DWORD src1_sel:DWORD
	v_or_b32_sdwa v25, v10, v11 dst_sel:DWORD dst_unused:UNUSED_PAD src0_sel:WORD_0 src1_sel:DWORD
.LBB937_28:
	v_bfe_u32 v30, v26, 16, 8
	v_lshrrev_b32_e32 v28, 24, v26
	v_add_u32_sdwa v11, v26, v26 dst_sel:DWORD dst_unused:UNUSED_PAD src0_sel:BYTE_1 src1_sel:BYTE_0
	v_and_b32_e32 v31, 0xff, v25
	v_bfe_u32 v32, v25, 8, 8
	v_add3_u32 v11, v11, v30, v28
	v_bfe_u32 v33, v25, 16, 8
	v_lshrrev_b32_e32 v27, 24, v25
	v_add3_u32 v11, v11, v31, v32
	v_and_b32_e32 v34, 0xff, v24
	v_and_b32_e32 v10, 0xff, v22
	v_add3_u32 v11, v11, v33, v27
	v_add3_u32 v37, v11, v34, v10
	v_mbcnt_lo_u32_b32 v10, -1, 0
	v_mbcnt_hi_u32_b32 v35, -1, v10
	v_and_b32_e32 v10, 15, v35
	v_cmp_eq_u32_e64 s[16:17], 0, v10
	v_cmp_lt_u32_e64 s[14:15], 1, v10
	v_cmp_lt_u32_e64 s[12:13], 3, v10
	;; [unrolled: 1-line block ×3, first 2 shown]
	v_and_b32_e32 v10, 16, v35
	v_cmp_eq_u32_e64 s[8:9], 0, v10
	v_or_b32_e32 v10, 63, v0
	s_cmp_lg_u32 s6, 0
	v_cmp_lt_u32_e64 s[2:3], 31, v35
	v_lshrrev_b32_e32 v36, 6, v0
	v_cmp_eq_u32_e64 s[20:21], v10, v0
	s_cbranch_scc0 .LBB937_59
; %bb.29:
	v_mov_b32_dpp v10, v37 row_shr:1 row_mask:0xf bank_mask:0xf
	v_cndmask_b32_e64 v10, v10, 0, s[16:17]
	v_add_u32_e32 v10, v10, v37
	s_nop 1
	v_mov_b32_dpp v11, v10 row_shr:2 row_mask:0xf bank_mask:0xf
	v_cndmask_b32_e64 v11, 0, v11, s[14:15]
	v_add_u32_e32 v10, v10, v11
	s_nop 1
	;; [unrolled: 4-line block ×4, first 2 shown]
	v_mov_b32_dpp v11, v10 row_bcast:15 row_mask:0xf bank_mask:0xf
	v_cndmask_b32_e64 v11, v11, 0, s[8:9]
	v_add_u32_e32 v10, v10, v11
	s_nop 1
	v_mov_b32_dpp v11, v10 row_bcast:31 row_mask:0xf bank_mask:0xf
	v_cndmask_b32_e64 v11, 0, v11, s[2:3]
	v_add_u32_e32 v10, v10, v11
	s_and_saveexec_b64 s[18:19], s[20:21]
	s_cbranch_execz .LBB937_31
; %bb.30:
	v_lshlrev_b32_e32 v11, 2, v36
	ds_write_b32 v11, v10
.LBB937_31:
	s_or_b64 exec, exec, s[18:19]
	v_cmp_gt_u32_e32 vcc, 4, v0
	s_waitcnt lgkmcnt(0)
	s_barrier
	s_and_saveexec_b64 s[18:19], vcc
	s_cbranch_execz .LBB937_33
; %bb.32:
	ds_read_b32 v11, v1
	v_and_b32_e32 v14, 3, v35
	v_cmp_ne_u32_e32 vcc, 0, v14
	s_waitcnt lgkmcnt(0)
	v_mov_b32_dpp v15, v11 row_shr:1 row_mask:0xf bank_mask:0xf
	v_cndmask_b32_e32 v15, 0, v15, vcc
	v_add_u32_e32 v11, v15, v11
	v_cmp_lt_u32_e32 vcc, 1, v14
	s_nop 0
	v_mov_b32_dpp v15, v11 row_shr:2 row_mask:0xf bank_mask:0xf
	v_cndmask_b32_e32 v14, 0, v15, vcc
	v_add_u32_e32 v11, v11, v14
	ds_write_b32 v1, v11
.LBB937_33:
	s_or_b64 exec, exec, s[18:19]
	v_cmp_gt_u32_e32 vcc, 64, v0
	v_cmp_lt_u32_e64 s[18:19], 63, v0
	s_waitcnt lgkmcnt(0)
	s_barrier
	s_waitcnt lgkmcnt(0)
                                        ; implicit-def: $vgpr38
	s_and_saveexec_b64 s[38:39], s[18:19]
	s_cbranch_execz .LBB937_35
; %bb.34:
	v_lshl_add_u32 v11, v36, 2, -4
	ds_read_b32 v38, v11
	s_waitcnt lgkmcnt(0)
	v_add_u32_e32 v10, v38, v10
.LBB937_35:
	s_or_b64 exec, exec, s[38:39]
	v_add_u32_e32 v11, -1, v35
	v_and_b32_e32 v14, 64, v35
	v_cmp_lt_i32_e64 s[18:19], v11, v14
	v_cndmask_b32_e64 v11, v11, v35, s[18:19]
	v_lshlrev_b32_e32 v11, 2, v11
	ds_bpermute_b32 v39, v11, v10
	v_cmp_eq_u32_e64 s[18:19], 0, v35
	s_and_saveexec_b64 s[38:39], vcc
	s_cbranch_execz .LBB937_58
; %bb.36:
	v_mov_b32_e32 v21, 0
	ds_read_b32 v10, v21 offset:12
	s_and_saveexec_b64 s[40:41], s[18:19]
	s_cbranch_execz .LBB937_38
; %bb.37:
	s_add_i32 s42, s6, 64
	s_mov_b32 s43, 0
	s_lshl_b64 s[42:43], s[42:43], 3
	s_add_u32 s42, s36, s42
	v_mov_b32_e32 v11, 1
	s_addc_u32 s43, s37, s43
	s_waitcnt lgkmcnt(0)
	global_store_dwordx2 v21, v[10:11], s[42:43]
.LBB937_38:
	s_or_b64 exec, exec, s[40:41]
	v_xad_u32 v14, v35, -1, s6
	v_add_u32_e32 v20, 64, v14
	v_lshlrev_b64 v[16:17], 3, v[20:21]
	v_mov_b32_e32 v11, s37
	v_add_co_u32_e32 v16, vcc, s36, v16
	v_addc_co_u32_e32 v17, vcc, v11, v17, vcc
	global_load_dwordx2 v[18:19], v[16:17], off glc
	s_waitcnt vmcnt(0)
	v_cmp_eq_u16_sdwa s[42:43], v19, v21 src0_sel:BYTE_0 src1_sel:DWORD
	s_and_saveexec_b64 s[40:41], s[42:43]
	s_cbranch_execz .LBB937_44
; %bb.39:
	s_mov_b32 s7, 1
	s_mov_b64 s[42:43], 0
	v_mov_b32_e32 v11, 0
.LBB937_40:                             ; =>This Loop Header: Depth=1
                                        ;     Child Loop BB937_41 Depth 2
	s_max_u32 s31, s7, 1
.LBB937_41:                             ;   Parent Loop BB937_40 Depth=1
                                        ; =>  This Inner Loop Header: Depth=2
	s_add_i32 s31, s31, -1
	s_cmp_eq_u32 s31, 0
	s_sleep 1
	s_cbranch_scc0 .LBB937_41
; %bb.42:                               ;   in Loop: Header=BB937_40 Depth=1
	global_load_dwordx2 v[18:19], v[16:17], off glc
	s_cmp_lt_u32 s7, 32
	s_cselect_b64 s[44:45], -1, 0
	s_cmp_lg_u64 s[44:45], 0
	s_addc_u32 s7, s7, 0
	s_waitcnt vmcnt(0)
	v_cmp_ne_u16_sdwa s[44:45], v19, v11 src0_sel:BYTE_0 src1_sel:DWORD
	s_or_b64 s[42:43], s[44:45], s[42:43]
	s_andn2_b64 exec, exec, s[42:43]
	s_cbranch_execnz .LBB937_40
; %bb.43:
	s_or_b64 exec, exec, s[42:43]
.LBB937_44:
	s_or_b64 exec, exec, s[40:41]
	v_and_b32_e32 v41, 63, v35
	v_mov_b32_e32 v40, 2
	v_cmp_ne_u32_e32 vcc, 63, v41
	v_cmp_eq_u16_sdwa s[40:41], v19, v40 src0_sel:BYTE_0 src1_sel:DWORD
	v_lshlrev_b64 v[16:17], v35, -1
	v_addc_co_u32_e32 v20, vcc, 0, v35, vcc
	v_and_b32_e32 v11, s41, v17
	v_lshlrev_b32_e32 v42, 2, v20
	v_or_b32_e32 v11, 0x80000000, v11
	ds_bpermute_b32 v20, v42, v18
	v_and_b32_e32 v15, s40, v16
	v_ffbl_b32_e32 v11, v11
	v_add_u32_e32 v11, 32, v11
	v_ffbl_b32_e32 v15, v15
	v_min_u32_e32 v11, v15, v11
	v_cmp_lt_u32_e32 vcc, v41, v11
	s_waitcnt lgkmcnt(0)
	v_cndmask_b32_e32 v15, 0, v20, vcc
	v_cmp_gt_u32_e32 vcc, 62, v41
	v_add_u32_e32 v15, v15, v18
	v_cndmask_b32_e64 v18, 0, 1, vcc
	v_lshlrev_b32_e32 v18, 1, v18
	v_add_lshl_u32 v43, v18, v35, 2
	ds_bpermute_b32 v18, v43, v15
	v_add_u32_e32 v44, 2, v41
	v_cmp_le_u32_e32 vcc, v44, v11
	v_add_u32_e32 v46, 4, v41
	v_add_u32_e32 v48, 8, v41
	s_waitcnt lgkmcnt(0)
	v_cndmask_b32_e32 v18, 0, v18, vcc
	v_cmp_gt_u32_e32 vcc, 60, v41
	v_add_u32_e32 v15, v15, v18
	v_cndmask_b32_e64 v18, 0, 1, vcc
	v_lshlrev_b32_e32 v18, 2, v18
	v_add_lshl_u32 v45, v18, v35, 2
	ds_bpermute_b32 v18, v45, v15
	v_cmp_le_u32_e32 vcc, v46, v11
	v_add_u32_e32 v50, 16, v41
	v_add_u32_e32 v52, 32, v41
	s_waitcnt lgkmcnt(0)
	v_cndmask_b32_e32 v18, 0, v18, vcc
	v_cmp_gt_u32_e32 vcc, 56, v41
	v_add_u32_e32 v15, v15, v18
	v_cndmask_b32_e64 v18, 0, 1, vcc
	v_lshlrev_b32_e32 v18, 3, v18
	v_add_lshl_u32 v47, v18, v35, 2
	ds_bpermute_b32 v18, v47, v15
	v_cmp_le_u32_e32 vcc, v48, v11
	s_waitcnt lgkmcnt(0)
	v_cndmask_b32_e32 v18, 0, v18, vcc
	v_cmp_gt_u32_e32 vcc, 48, v41
	v_add_u32_e32 v15, v15, v18
	v_cndmask_b32_e64 v18, 0, 1, vcc
	v_lshlrev_b32_e32 v18, 4, v18
	v_add_lshl_u32 v49, v18, v35, 2
	ds_bpermute_b32 v18, v49, v15
	v_cmp_le_u32_e32 vcc, v50, v11
	;; [unrolled: 9-line block ×3, first 2 shown]
	s_waitcnt lgkmcnt(0)
	v_cndmask_b32_e32 v11, 0, v18, vcc
	v_add_u32_e32 v18, v15, v11
	v_mov_b32_e32 v15, 0
	s_branch .LBB937_46
.LBB937_45:                             ;   in Loop: Header=BB937_46 Depth=1
	s_or_b64 exec, exec, s[40:41]
	v_cmp_eq_u16_sdwa s[40:41], v19, v40 src0_sel:BYTE_0 src1_sel:DWORD
	v_and_b32_e32 v20, s41, v17
	v_or_b32_e32 v20, 0x80000000, v20
	ds_bpermute_b32 v53, v42, v18
	v_and_b32_e32 v21, s40, v16
	v_ffbl_b32_e32 v20, v20
	v_add_u32_e32 v20, 32, v20
	v_ffbl_b32_e32 v21, v21
	v_min_u32_e32 v20, v21, v20
	v_cmp_lt_u32_e32 vcc, v41, v20
	s_waitcnt lgkmcnt(0)
	v_cndmask_b32_e32 v21, 0, v53, vcc
	v_add_u32_e32 v18, v21, v18
	ds_bpermute_b32 v21, v43, v18
	v_cmp_le_u32_e32 vcc, v44, v20
	v_subrev_u32_e32 v14, 64, v14
	s_waitcnt lgkmcnt(0)
	v_cndmask_b32_e32 v21, 0, v21, vcc
	v_add_u32_e32 v18, v18, v21
	ds_bpermute_b32 v21, v45, v18
	v_cmp_le_u32_e32 vcc, v46, v20
	s_waitcnt lgkmcnt(0)
	v_cndmask_b32_e32 v21, 0, v21, vcc
	v_add_u32_e32 v18, v18, v21
	ds_bpermute_b32 v21, v47, v18
	v_cmp_le_u32_e32 vcc, v48, v20
	;; [unrolled: 5-line block ×4, first 2 shown]
	s_waitcnt lgkmcnt(0)
	v_cndmask_b32_e32 v20, 0, v21, vcc
	v_add3_u32 v18, v20, v11, v18
.LBB937_46:                             ; =>This Loop Header: Depth=1
                                        ;     Child Loop BB937_49 Depth 2
                                        ;       Child Loop BB937_50 Depth 3
	v_cmp_ne_u16_sdwa s[40:41], v19, v40 src0_sel:BYTE_0 src1_sel:DWORD
	v_cndmask_b32_e64 v11, 0, 1, s[40:41]
	;;#ASMSTART
	;;#ASMEND
	v_cmp_ne_u32_e32 vcc, 0, v11
	s_cmp_lg_u64 vcc, exec
	v_mov_b32_e32 v11, v18
	s_cbranch_scc1 .LBB937_53
; %bb.47:                               ;   in Loop: Header=BB937_46 Depth=1
	v_lshlrev_b64 v[18:19], 3, v[14:15]
	v_mov_b32_e32 v21, s37
	v_add_co_u32_e32 v20, vcc, s36, v18
	v_addc_co_u32_e32 v21, vcc, v21, v19, vcc
	global_load_dwordx2 v[18:19], v[20:21], off glc
	s_waitcnt vmcnt(0)
	v_cmp_eq_u16_sdwa s[42:43], v19, v15 src0_sel:BYTE_0 src1_sel:DWORD
	s_and_saveexec_b64 s[40:41], s[42:43]
	s_cbranch_execz .LBB937_45
; %bb.48:                               ;   in Loop: Header=BB937_46 Depth=1
	s_mov_b32 s7, 1
	s_mov_b64 s[42:43], 0
.LBB937_49:                             ;   Parent Loop BB937_46 Depth=1
                                        ; =>  This Loop Header: Depth=2
                                        ;       Child Loop BB937_50 Depth 3
	s_max_u32 s31, s7, 1
.LBB937_50:                             ;   Parent Loop BB937_46 Depth=1
                                        ;     Parent Loop BB937_49 Depth=2
                                        ; =>    This Inner Loop Header: Depth=3
	s_add_i32 s31, s31, -1
	s_cmp_eq_u32 s31, 0
	s_sleep 1
	s_cbranch_scc0 .LBB937_50
; %bb.51:                               ;   in Loop: Header=BB937_49 Depth=2
	global_load_dwordx2 v[18:19], v[20:21], off glc
	s_cmp_lt_u32 s7, 32
	s_cselect_b64 s[44:45], -1, 0
	s_cmp_lg_u64 s[44:45], 0
	s_addc_u32 s7, s7, 0
	s_waitcnt vmcnt(0)
	v_cmp_ne_u16_sdwa s[44:45], v19, v15 src0_sel:BYTE_0 src1_sel:DWORD
	s_or_b64 s[42:43], s[44:45], s[42:43]
	s_andn2_b64 exec, exec, s[42:43]
	s_cbranch_execnz .LBB937_49
; %bb.52:                               ;   in Loop: Header=BB937_46 Depth=1
	s_or_b64 exec, exec, s[42:43]
	s_branch .LBB937_45
.LBB937_53:                             ;   in Loop: Header=BB937_46 Depth=1
                                        ; implicit-def: $vgpr18
                                        ; implicit-def: $vgpr19
	s_cbranch_execz .LBB937_46
; %bb.54:
	s_and_saveexec_b64 s[40:41], s[18:19]
	s_cbranch_execz .LBB937_56
; %bb.55:
	s_add_i32 s6, s6, 64
	s_mov_b32 s7, 0
	s_lshl_b64 s[6:7], s[6:7], 3
	s_add_u32 s6, s36, s6
	v_add_u32_e32 v14, v11, v10
	v_mov_b32_e32 v15, 2
	s_addc_u32 s7, s37, s7
	v_mov_b32_e32 v16, 0
	global_store_dwordx2 v16, v[14:15], s[6:7]
	ds_write_b64 v16, v[10:11] offset:10240
.LBB937_56:
	s_or_b64 exec, exec, s[40:41]
	v_cmp_eq_u32_e32 vcc, 0, v0
	s_and_b64 exec, exec, vcc
	s_cbranch_execz .LBB937_58
; %bb.57:
	v_mov_b32_e32 v10, 0
	ds_write_b32 v10, v11 offset:12
.LBB937_58:
	s_or_b64 exec, exec, s[38:39]
	v_mov_b32_e32 v10, 0
	s_waitcnt lgkmcnt(0)
	s_barrier
	ds_read_b32 v11, v10 offset:12
	v_cndmask_b32_e64 v14, v39, v38, s[18:19]
	v_cmp_ne_u32_e32 vcc, 0, v0
	v_cndmask_b32_e32 v14, 0, v14, vcc
	s_waitcnt lgkmcnt(0)
	v_add_u32_e32 v39, v11, v14
	v_add_u32_sdwa v38, v39, v26 dst_sel:DWORD dst_unused:UNUSED_PAD src0_sel:DWORD src1_sel:BYTE_0
	v_add_u32_sdwa v21, v38, v26 dst_sel:DWORD dst_unused:UNUSED_PAD src0_sel:DWORD src1_sel:BYTE_1
	v_add_u32_e32 v20, v21, v30
	v_add_u32_e32 v19, v20, v28
	;; [unrolled: 1-line block ×3, first 2 shown]
	s_barrier
	ds_read_b64 v[10:11], v10 offset:10240
	v_add_u32_e32 v17, v18, v32
	v_add_u32_e32 v16, v17, v33
	;; [unrolled: 1-line block ×4, first 2 shown]
	s_load_dwordx2 s[4:5], s[4:5], 0x28
	s_branch .LBB937_69
.LBB937_59:
                                        ; implicit-def: $vgpr11
                                        ; implicit-def: $vgpr14
                                        ; implicit-def: $vgpr15
                                        ; implicit-def: $vgpr16
                                        ; implicit-def: $vgpr17
                                        ; implicit-def: $vgpr18
                                        ; implicit-def: $vgpr19
                                        ; implicit-def: $vgpr20
                                        ; implicit-def: $vgpr21
                                        ; implicit-def: $vgpr38
                                        ; implicit-def: $vgpr39
	s_load_dwordx2 s[4:5], s[4:5], 0x28
	s_cbranch_execz .LBB937_69
; %bb.60:
	s_waitcnt lgkmcnt(0)
	v_mov_b32_dpp v10, v37 row_shr:1 row_mask:0xf bank_mask:0xf
	v_cndmask_b32_e64 v10, v10, 0, s[16:17]
	v_add_u32_e32 v10, v10, v37
	s_nop 1
	v_mov_b32_dpp v11, v10 row_shr:2 row_mask:0xf bank_mask:0xf
	v_cndmask_b32_e64 v11, 0, v11, s[14:15]
	v_add_u32_e32 v10, v10, v11
	s_nop 1
	;; [unrolled: 4-line block ×4, first 2 shown]
	v_mov_b32_dpp v11, v10 row_bcast:15 row_mask:0xf bank_mask:0xf
	v_cndmask_b32_e64 v11, v11, 0, s[8:9]
	v_add_u32_e32 v10, v10, v11
	s_nop 1
	v_mov_b32_dpp v11, v10 row_bcast:31 row_mask:0xf bank_mask:0xf
	v_cndmask_b32_e64 v11, 0, v11, s[2:3]
	v_add_u32_e32 v10, v10, v11
	s_and_saveexec_b64 s[2:3], s[20:21]
	s_cbranch_execz .LBB937_62
; %bb.61:
	v_lshlrev_b32_e32 v11, 2, v36
	ds_write_b32 v11, v10
.LBB937_62:
	s_or_b64 exec, exec, s[2:3]
	v_cmp_gt_u32_e32 vcc, 4, v0
	s_waitcnt lgkmcnt(0)
	s_barrier
	s_and_saveexec_b64 s[2:3], vcc
	s_cbranch_execz .LBB937_64
; %bb.63:
	s_movk_i32 s6, 0xffdc
	v_mad_i32_i24 v11, v0, s6, v29
	ds_read_b32 v14, v11
	v_and_b32_e32 v15, 3, v35
	v_cmp_ne_u32_e32 vcc, 0, v15
	s_waitcnt lgkmcnt(0)
	v_mov_b32_dpp v16, v14 row_shr:1 row_mask:0xf bank_mask:0xf
	v_cndmask_b32_e32 v16, 0, v16, vcc
	v_add_u32_e32 v14, v16, v14
	v_cmp_lt_u32_e32 vcc, 1, v15
	s_nop 0
	v_mov_b32_dpp v16, v14 row_shr:2 row_mask:0xf bank_mask:0xf
	v_cndmask_b32_e32 v15, 0, v16, vcc
	v_add_u32_e32 v14, v14, v15
	ds_write_b32 v11, v14
.LBB937_64:
	s_or_b64 exec, exec, s[2:3]
	v_cmp_lt_u32_e32 vcc, 63, v0
	v_mov_b32_e32 v11, 0
	v_mov_b32_e32 v14, 0
	s_waitcnt lgkmcnt(0)
	s_barrier
	s_and_saveexec_b64 s[2:3], vcc
	s_cbranch_execz .LBB937_66
; %bb.65:
	v_lshl_add_u32 v14, v36, 2, -4
	ds_read_b32 v14, v14
.LBB937_66:
	s_or_b64 exec, exec, s[2:3]
	v_add_u32_e32 v15, -1, v35
	v_and_b32_e32 v16, 64, v35
	v_cmp_lt_i32_e32 vcc, v15, v16
	v_cndmask_b32_e32 v15, v15, v35, vcc
	s_waitcnt lgkmcnt(0)
	v_add_u32_e32 v10, v14, v10
	v_lshlrev_b32_e32 v15, 2, v15
	ds_bpermute_b32 v15, v15, v10
	ds_read_b32 v10, v11 offset:12
	v_cmp_eq_u32_e32 vcc, 0, v0
	s_and_saveexec_b64 s[2:3], vcc
	s_cbranch_execz .LBB937_68
; %bb.67:
	v_mov_b32_e32 v16, 0
	v_mov_b32_e32 v11, 2
	s_waitcnt lgkmcnt(0)
	global_store_dwordx2 v16, v[10:11], s[36:37] offset:512
.LBB937_68:
	s_or_b64 exec, exec, s[2:3]
	v_cmp_eq_u32_e64 s[2:3], 0, v35
	s_waitcnt lgkmcnt(1)
	v_cndmask_b32_e64 v14, v15, v14, s[2:3]
	v_cndmask_b32_e64 v39, v14, 0, vcc
	v_add_u32_sdwa v38, v39, v26 dst_sel:DWORD dst_unused:UNUSED_PAD src0_sel:DWORD src1_sel:BYTE_0
	v_add_u32_sdwa v21, v38, v26 dst_sel:DWORD dst_unused:UNUSED_PAD src0_sel:DWORD src1_sel:BYTE_1
	v_add_u32_e32 v20, v21, v30
	v_add_u32_e32 v19, v20, v28
	;; [unrolled: 1-line block ×6, first 2 shown]
	v_mov_b32_e32 v11, 0
	v_add_u32_e32 v14, v15, v34
	s_waitcnt lgkmcnt(0)
	s_barrier
.LBB937_69:
	s_waitcnt lgkmcnt(0)
	v_add_u32_e32 v23, v10, v23
	v_sub_u32_e32 v31, v39, v11
	v_and_b32_e32 v33, 1, v26
	v_sub_u32_e32 v32, v23, v31
	v_cmp_eq_u32_e32 vcc, 1, v33
	v_cndmask_b32_e32 v31, v32, v31, vcc
	v_lshlrev_b32_e32 v31, 2, v31
	v_lshrrev_b32_e32 v30, 8, v26
	ds_write_b32 v31, v6
	v_sub_u32_e32 v6, v38, v11
	v_sub_u32_e32 v31, v23, v6
	v_and_b32_e32 v30, 1, v30
	v_add_u32_e32 v31, 1, v31
	v_cmp_eq_u32_e32 vcc, 1, v30
	v_cndmask_b32_e32 v6, v31, v6, vcc
	v_lshlrev_b32_e32 v6, 2, v6
	ds_write_b32 v6, v7
	v_sub_u32_e32 v6, v21, v11
	v_mov_b32_e32 v21, 1
	v_sub_u32_e32 v7, v23, v6
	v_and_b32_sdwa v26, v21, v26 dst_sel:DWORD dst_unused:UNUSED_PAD src0_sel:DWORD src1_sel:WORD_1
	v_add_u32_e32 v7, 2, v7
	v_cmp_eq_u32_e32 vcc, 1, v26
	v_cndmask_b32_e32 v6, v7, v6, vcc
	v_lshlrev_b32_e32 v6, 2, v6
	ds_write_b32 v6, v8
	v_sub_u32_e32 v6, v20, v11
	v_sub_u32_e32 v7, v23, v6
	v_and_b32_e32 v8, 1, v28
	v_add_u32_e32 v7, 3, v7
	v_cmp_eq_u32_e32 vcc, 1, v8
	v_cndmask_b32_e32 v6, v7, v6, vcc
	v_lshlrev_b32_e32 v6, 2, v6
	ds_write_b32 v6, v9
	v_sub_u32_e32 v6, v19, v11
	v_sub_u32_e32 v7, v23, v6
	v_and_b32_e32 v8, 1, v25
	v_add_u32_e32 v7, 4, v7
	v_cmp_eq_u32_e32 vcc, 1, v8
	v_cndmask_b32_e32 v6, v7, v6, vcc
	v_lshlrev_b32_e32 v6, 2, v6
	v_lshrrev_b32_e32 v29, 8, v25
	ds_write_b32 v6, v2
	v_sub_u32_e32 v2, v18, v11
	v_sub_u32_e32 v6, v23, v2
	v_and_b32_e32 v7, 1, v29
	v_add_u32_e32 v6, 5, v6
	v_cmp_eq_u32_e32 vcc, 1, v7
	v_cndmask_b32_e32 v2, v6, v2, vcc
	v_lshlrev_b32_e32 v2, 2, v2
	ds_write_b32 v2, v3
	v_sub_u32_e32 v2, v17, v11
	v_sub_u32_e32 v3, v23, v2
	v_and_b32_sdwa v6, v21, v25 dst_sel:DWORD dst_unused:UNUSED_PAD src0_sel:DWORD src1_sel:WORD_1
	v_add_u32_e32 v3, 6, v3
	v_cmp_eq_u32_e32 vcc, 1, v6
	v_cndmask_b32_e32 v2, v3, v2, vcc
	v_lshlrev_b32_e32 v2, 2, v2
	ds_write_b32 v2, v4
	v_sub_u32_e32 v2, v16, v11
	v_sub_u32_e32 v3, v23, v2
	v_and_b32_e32 v4, 1, v27
	v_add_u32_e32 v3, 7, v3
	v_cmp_eq_u32_e32 vcc, 1, v4
	v_cndmask_b32_e32 v2, v3, v2, vcc
	v_lshlrev_b32_e32 v2, 2, v2
	ds_write_b32 v2, v5
	v_sub_u32_e32 v2, v15, v11
	v_sub_u32_e32 v3, v23, v2
	v_and_b32_e32 v4, 1, v24
	v_add_u32_e32 v3, 8, v3
	v_cmp_eq_u32_e32 vcc, 1, v4
	v_cndmask_b32_e32 v2, v3, v2, vcc
	v_lshlrev_b32_e32 v2, 2, v2
	ds_write_b32 v2, v12
	v_sub_u32_e32 v2, v14, v11
	v_sub_u32_e32 v3, v23, v2
	v_and_b32_e32 v4, 1, v22
	v_add_u32_e32 v3, 9, v3
	v_cmp_eq_u32_e32 vcc, 1, v4
	v_cndmask_b32_e32 v2, v3, v2, vcc
	s_add_u32 s2, s22, s30
	v_lshlrev_b32_e32 v2, 2, v2
	s_addc_u32 s3, s23, 0
	ds_write_b32 v2, v13
	s_waitcnt lgkmcnt(0)
	s_barrier
	ds_read2st64_b32 v[12:13], v1 offset1:4
	ds_read2st64_b32 v[8:9], v1 offset0:8 offset1:12
	ds_read2st64_b32 v[6:7], v1 offset0:16 offset1:20
	;; [unrolled: 1-line block ×4, first 2 shown]
	v_mov_b32_e32 v14, s35
	v_add_co_u32_e32 v1, vcc, s34, v11
	s_sub_u32 s2, s28, s2
	v_addc_co_u32_e32 v11, vcc, 0, v14, vcc
	s_subb_u32 s3, s29, s3
	v_mov_b32_e32 v14, s3
	v_add_co_u32_e32 v15, vcc, s2, v10
	v_addc_co_u32_e32 v14, vcc, 0, v14, vcc
	s_and_b64 vcc, exec, s[0:1]
	v_add_co_u32_e64 v17, s[0:1], v15, v1
	v_or_b32_e32 v26, 0x100, v0
	v_or_b32_e32 v25, 0x200, v0
	;; [unrolled: 1-line block ×9, first 2 shown]
	v_addc_co_u32_e64 v18, s[0:1], v14, v11, s[0:1]
	s_cbranch_vccnz .LBB937_111
; %bb.70:
	v_cmp_ge_u32_e32 vcc, v0, v10
                                        ; implicit-def: $vgpr14_vgpr15
	s_and_saveexec_b64 s[0:1], vcc
	s_xor_b64 s[0:1], exec, s[0:1]
; %bb.71:
	v_not_b32_e32 v14, v0
	v_ashrrev_i32_e32 v15, 31, v14
	v_add_co_u32_e32 v14, vcc, v17, v14
	v_addc_co_u32_e32 v15, vcc, v18, v15, vcc
; %bb.72:
	s_andn2_saveexec_b64 s[0:1], s[0:1]
; %bb.73:
	v_add_co_u32_e32 v14, vcc, v1, v0
	v_addc_co_u32_e32 v15, vcc, 0, v11, vcc
; %bb.74:
	s_or_b64 exec, exec, s[0:1]
	v_lshlrev_b64 v[14:15], 2, v[14:15]
	v_mov_b32_e32 v27, s5
	v_add_co_u32_e32 v14, vcc, s4, v14
	v_addc_co_u32_e32 v15, vcc, v27, v15, vcc
	v_cmp_ge_u32_e32 vcc, v26, v10
	s_waitcnt lgkmcnt(4)
	global_store_dword v[14:15], v12, off
                                        ; implicit-def: $vgpr14_vgpr15
	s_and_saveexec_b64 s[0:1], vcc
	s_xor_b64 s[0:1], exec, s[0:1]
; %bb.75:
	v_xor_b32_e32 v14, 0xfffffeff, v0
	v_ashrrev_i32_e32 v15, 31, v14
	v_add_co_u32_e32 v14, vcc, v17, v14
	v_addc_co_u32_e32 v15, vcc, v18, v15, vcc
; %bb.76:
	s_andn2_saveexec_b64 s[0:1], s[0:1]
; %bb.77:
	v_add_co_u32_e32 v14, vcc, v1, v26
	v_addc_co_u32_e32 v15, vcc, 0, v11, vcc
; %bb.78:
	s_or_b64 exec, exec, s[0:1]
	v_lshlrev_b64 v[14:15], 2, v[14:15]
	v_mov_b32_e32 v27, s5
	v_add_co_u32_e32 v14, vcc, s4, v14
	v_addc_co_u32_e32 v15, vcc, v27, v15, vcc
	v_cmp_ge_u32_e32 vcc, v25, v10
	global_store_dword v[14:15], v13, off
                                        ; implicit-def: $vgpr14_vgpr15
	s_and_saveexec_b64 s[0:1], vcc
	s_xor_b64 s[0:1], exec, s[0:1]
; %bb.79:
	v_xor_b32_e32 v14, 0xfffffdff, v0
	v_ashrrev_i32_e32 v15, 31, v14
	v_add_co_u32_e32 v14, vcc, v17, v14
	v_addc_co_u32_e32 v15, vcc, v18, v15, vcc
; %bb.80:
	s_andn2_saveexec_b64 s[0:1], s[0:1]
; %bb.81:
	v_add_co_u32_e32 v14, vcc, v1, v25
	v_addc_co_u32_e32 v15, vcc, 0, v11, vcc
; %bb.82:
	s_or_b64 exec, exec, s[0:1]
	v_lshlrev_b64 v[14:15], 2, v[14:15]
	v_mov_b32_e32 v27, s5
	v_add_co_u32_e32 v14, vcc, s4, v14
	v_addc_co_u32_e32 v15, vcc, v27, v15, vcc
	v_cmp_ge_u32_e32 vcc, v24, v10
	s_waitcnt lgkmcnt(3)
	global_store_dword v[14:15], v8, off
                                        ; implicit-def: $vgpr14_vgpr15
	s_and_saveexec_b64 s[0:1], vcc
	s_xor_b64 s[0:1], exec, s[0:1]
; %bb.83:
	v_xor_b32_e32 v14, 0xfffffcff, v0
	v_ashrrev_i32_e32 v15, 31, v14
	v_add_co_u32_e32 v14, vcc, v17, v14
	v_addc_co_u32_e32 v15, vcc, v18, v15, vcc
; %bb.84:
	s_andn2_saveexec_b64 s[0:1], s[0:1]
; %bb.85:
	v_add_co_u32_e32 v14, vcc, v1, v24
	v_addc_co_u32_e32 v15, vcc, 0, v11, vcc
; %bb.86:
	s_or_b64 exec, exec, s[0:1]
	v_lshlrev_b64 v[14:15], 2, v[14:15]
	v_mov_b32_e32 v27, s5
	v_add_co_u32_e32 v14, vcc, s4, v14
	v_addc_co_u32_e32 v15, vcc, v27, v15, vcc
	v_cmp_ge_u32_e32 vcc, v23, v10
	global_store_dword v[14:15], v9, off
                                        ; implicit-def: $vgpr14_vgpr15
	s_and_saveexec_b64 s[0:1], vcc
	s_xor_b64 s[0:1], exec, s[0:1]
; %bb.87:
	v_xor_b32_e32 v14, 0xfffffbff, v0
	;; [unrolled: 43-line block ×4, first 2 shown]
	v_ashrrev_i32_e32 v15, 31, v14
	v_add_co_u32_e32 v14, vcc, v17, v14
	v_addc_co_u32_e32 v15, vcc, v18, v15, vcc
; %bb.104:
	s_andn2_saveexec_b64 s[0:1], s[0:1]
; %bb.105:
	v_add_co_u32_e32 v14, vcc, v1, v19
	v_addc_co_u32_e32 v15, vcc, 0, v11, vcc
; %bb.106:
	s_or_b64 exec, exec, s[0:1]
	v_lshlrev_b64 v[14:15], 2, v[14:15]
	v_mov_b32_e32 v27, s5
	v_add_co_u32_e32 v14, vcc, s4, v14
	v_addc_co_u32_e32 v15, vcc, v27, v15, vcc
	v_cmp_ge_u32_e32 vcc, v16, v10
	s_waitcnt lgkmcnt(0)
	global_store_dword v[14:15], v2, off
                                        ; implicit-def: $vgpr14_vgpr15
	s_and_saveexec_b64 s[0:1], vcc
	s_xor_b64 s[0:1], exec, s[0:1]
; %bb.107:
	v_xor_b32_e32 v14, 0xfffff6ff, v0
	v_ashrrev_i32_e32 v15, 31, v14
	v_add_co_u32_e32 v14, vcc, v17, v14
	v_addc_co_u32_e32 v15, vcc, v18, v15, vcc
; %bb.108:
	s_andn2_saveexec_b64 s[0:1], s[0:1]
; %bb.109:
	v_add_co_u32_e32 v14, vcc, v1, v16
	v_addc_co_u32_e32 v15, vcc, 0, v11, vcc
; %bb.110:
	s_or_b64 exec, exec, s[0:1]
	s_mov_b64 s[0:1], -1
	s_branch .LBB937_173
.LBB937_111:
	s_mov_b64 s[0:1], 0
                                        ; implicit-def: $vgpr14_vgpr15
	s_cbranch_execz .LBB937_173
; %bb.112:
	v_cmp_gt_u32_e32 vcc, s33, v0
	s_and_saveexec_b64 s[2:3], vcc
	s_cbranch_execz .LBB937_138
; %bb.113:
	v_cmp_ge_u32_e32 vcc, v0, v10
                                        ; implicit-def: $vgpr14_vgpr15
	s_and_saveexec_b64 s[6:7], vcc
	s_xor_b64 s[6:7], exec, s[6:7]
; %bb.114:
	v_not_b32_e32 v14, v0
	v_ashrrev_i32_e32 v15, 31, v14
	v_add_co_u32_e32 v14, vcc, v17, v14
	v_addc_co_u32_e32 v15, vcc, v18, v15, vcc
; %bb.115:
	s_andn2_saveexec_b64 s[6:7], s[6:7]
; %bb.116:
	v_add_co_u32_e32 v14, vcc, v1, v0
	v_addc_co_u32_e32 v15, vcc, 0, v11, vcc
; %bb.117:
	s_or_b64 exec, exec, s[6:7]
	v_lshlrev_b64 v[14:15], 2, v[14:15]
	v_mov_b32_e32 v27, s5
	v_add_co_u32_e32 v14, vcc, s4, v14
	v_addc_co_u32_e32 v15, vcc, v27, v15, vcc
	s_waitcnt lgkmcnt(4)
	global_store_dword v[14:15], v12, off
	s_or_b64 exec, exec, s[2:3]
	v_cmp_gt_u32_e32 vcc, s33, v26
	s_and_saveexec_b64 s[2:3], vcc
	s_cbranch_execnz .LBB937_139
.LBB937_118:
	s_or_b64 exec, exec, s[2:3]
	v_cmp_gt_u32_e32 vcc, s33, v25
	s_and_saveexec_b64 s[2:3], vcc
	s_cbranch_execz .LBB937_144
.LBB937_119:
	v_cmp_ge_u32_e32 vcc, v25, v10
                                        ; implicit-def: $vgpr12_vgpr13
	s_and_saveexec_b64 s[6:7], vcc
	s_xor_b64 s[6:7], exec, s[6:7]
	s_cbranch_execz .LBB937_121
; %bb.120:
	s_waitcnt lgkmcnt(4)
	v_xor_b32_e32 v12, 0xfffffdff, v0
	v_ashrrev_i32_e32 v13, 31, v12
	v_add_co_u32_e32 v12, vcc, v17, v12
	v_addc_co_u32_e32 v13, vcc, v18, v13, vcc
                                        ; implicit-def: $vgpr25
.LBB937_121:
	s_andn2_saveexec_b64 s[6:7], s[6:7]
	s_cbranch_execz .LBB937_123
; %bb.122:
	s_waitcnt lgkmcnt(4)
	v_add_co_u32_e32 v12, vcc, v1, v25
	v_addc_co_u32_e32 v13, vcc, 0, v11, vcc
.LBB937_123:
	s_or_b64 exec, exec, s[6:7]
	s_waitcnt lgkmcnt(4)
	v_lshlrev_b64 v[12:13], 2, v[12:13]
	v_mov_b32_e32 v14, s5
	v_add_co_u32_e32 v12, vcc, s4, v12
	v_addc_co_u32_e32 v13, vcc, v14, v13, vcc
	s_waitcnt lgkmcnt(3)
	global_store_dword v[12:13], v8, off
	s_or_b64 exec, exec, s[2:3]
	v_cmp_gt_u32_e32 vcc, s33, v24
	s_and_saveexec_b64 s[2:3], vcc
	s_cbranch_execnz .LBB937_145
.LBB937_124:
	s_or_b64 exec, exec, s[2:3]
	v_cmp_gt_u32_e32 vcc, s33, v23
	s_and_saveexec_b64 s[2:3], vcc
	s_cbranch_execz .LBB937_150
.LBB937_125:
	v_cmp_ge_u32_e32 vcc, v23, v10
                                        ; implicit-def: $vgpr8_vgpr9
	s_and_saveexec_b64 s[6:7], vcc
	s_xor_b64 s[6:7], exec, s[6:7]
	s_cbranch_execz .LBB937_127
; %bb.126:
	s_waitcnt lgkmcnt(3)
	v_xor_b32_e32 v8, 0xfffffbff, v0
	v_ashrrev_i32_e32 v9, 31, v8
	v_add_co_u32_e32 v8, vcc, v17, v8
	v_addc_co_u32_e32 v9, vcc, v18, v9, vcc
                                        ; implicit-def: $vgpr23
.LBB937_127:
	s_andn2_saveexec_b64 s[6:7], s[6:7]
	s_cbranch_execz .LBB937_129
; %bb.128:
	s_waitcnt lgkmcnt(3)
	v_add_co_u32_e32 v8, vcc, v1, v23
	v_addc_co_u32_e32 v9, vcc, 0, v11, vcc
.LBB937_129:
	s_or_b64 exec, exec, s[6:7]
	s_waitcnt lgkmcnt(3)
	v_lshlrev_b64 v[8:9], 2, v[8:9]
	v_mov_b32_e32 v12, s5
	v_add_co_u32_e32 v8, vcc, s4, v8
	v_addc_co_u32_e32 v9, vcc, v12, v9, vcc
	s_waitcnt lgkmcnt(2)
	global_store_dword v[8:9], v6, off
	s_or_b64 exec, exec, s[2:3]
	v_cmp_gt_u32_e32 vcc, s33, v22
	s_and_saveexec_b64 s[2:3], vcc
	s_cbranch_execnz .LBB937_151
.LBB937_130:
	s_or_b64 exec, exec, s[2:3]
	v_cmp_gt_u32_e32 vcc, s33, v21
	s_and_saveexec_b64 s[2:3], vcc
	s_cbranch_execz .LBB937_156
.LBB937_131:
	v_cmp_ge_u32_e32 vcc, v21, v10
                                        ; implicit-def: $vgpr6_vgpr7
	s_and_saveexec_b64 s[6:7], vcc
	s_xor_b64 s[6:7], exec, s[6:7]
	s_cbranch_execz .LBB937_133
; %bb.132:
	s_waitcnt lgkmcnt(2)
	v_xor_b32_e32 v6, 0xfffff9ff, v0
	v_ashrrev_i32_e32 v7, 31, v6
	v_add_co_u32_e32 v6, vcc, v17, v6
	v_addc_co_u32_e32 v7, vcc, v18, v7, vcc
                                        ; implicit-def: $vgpr21
.LBB937_133:
	s_andn2_saveexec_b64 s[6:7], s[6:7]
	s_cbranch_execz .LBB937_135
; %bb.134:
	s_waitcnt lgkmcnt(2)
	v_add_co_u32_e32 v6, vcc, v1, v21
	v_addc_co_u32_e32 v7, vcc, 0, v11, vcc
.LBB937_135:
	s_or_b64 exec, exec, s[6:7]
	s_waitcnt lgkmcnt(2)
	v_lshlrev_b64 v[6:7], 2, v[6:7]
	v_mov_b32_e32 v8, s5
	v_add_co_u32_e32 v6, vcc, s4, v6
	v_addc_co_u32_e32 v7, vcc, v8, v7, vcc
	s_waitcnt lgkmcnt(1)
	global_store_dword v[6:7], v4, off
	s_or_b64 exec, exec, s[2:3]
	v_cmp_gt_u32_e32 vcc, s33, v20
	s_and_saveexec_b64 s[2:3], vcc
	s_cbranch_execnz .LBB937_157
.LBB937_136:
	s_or_b64 exec, exec, s[2:3]
	v_cmp_gt_u32_e32 vcc, s33, v19
	s_and_saveexec_b64 s[2:3], vcc
	s_cbranch_execnz .LBB937_162
.LBB937_137:
	s_or_b64 exec, exec, s[2:3]
	v_cmp_gt_u32_e32 vcc, s33, v16
                                        ; implicit-def: $vgpr14_vgpr15
	s_and_saveexec_b64 s[2:3], vcc
	s_cbranch_execz .LBB937_172
	s_branch .LBB937_167
.LBB937_138:
	s_or_b64 exec, exec, s[2:3]
	v_cmp_gt_u32_e32 vcc, s33, v26
	s_and_saveexec_b64 s[2:3], vcc
	s_cbranch_execz .LBB937_118
.LBB937_139:
	v_cmp_ge_u32_e32 vcc, v26, v10
                                        ; implicit-def: $vgpr14_vgpr15
	s_and_saveexec_b64 s[6:7], vcc
	s_xor_b64 s[6:7], exec, s[6:7]
	s_cbranch_execz .LBB937_141
; %bb.140:
	s_waitcnt lgkmcnt(4)
	v_xor_b32_e32 v12, 0xfffffeff, v0
	v_ashrrev_i32_e32 v15, 31, v12
	v_add_co_u32_e32 v14, vcc, v17, v12
	v_addc_co_u32_e32 v15, vcc, v18, v15, vcc
                                        ; implicit-def: $vgpr26
.LBB937_141:
	s_andn2_saveexec_b64 s[6:7], s[6:7]
; %bb.142:
	v_add_co_u32_e32 v14, vcc, v1, v26
	v_addc_co_u32_e32 v15, vcc, 0, v11, vcc
; %bb.143:
	s_or_b64 exec, exec, s[6:7]
	v_lshlrev_b64 v[14:15], 2, v[14:15]
	s_waitcnt lgkmcnt(4)
	v_mov_b32_e32 v12, s5
	v_add_co_u32_e32 v14, vcc, s4, v14
	v_addc_co_u32_e32 v15, vcc, v12, v15, vcc
	global_store_dword v[14:15], v13, off
	s_or_b64 exec, exec, s[2:3]
	v_cmp_gt_u32_e32 vcc, s33, v25
	s_and_saveexec_b64 s[2:3], vcc
	s_cbranch_execnz .LBB937_119
.LBB937_144:
	s_or_b64 exec, exec, s[2:3]
	v_cmp_gt_u32_e32 vcc, s33, v24
	s_and_saveexec_b64 s[2:3], vcc
	s_cbranch_execz .LBB937_124
.LBB937_145:
	v_cmp_ge_u32_e32 vcc, v24, v10
                                        ; implicit-def: $vgpr12_vgpr13
	s_and_saveexec_b64 s[6:7], vcc
	s_xor_b64 s[6:7], exec, s[6:7]
	s_cbranch_execz .LBB937_147
; %bb.146:
	s_waitcnt lgkmcnt(3)
	v_xor_b32_e32 v8, 0xfffffcff, v0
	v_ashrrev_i32_e32 v13, 31, v8
	v_add_co_u32_e32 v12, vcc, v17, v8
	v_addc_co_u32_e32 v13, vcc, v18, v13, vcc
                                        ; implicit-def: $vgpr24
.LBB937_147:
	s_andn2_saveexec_b64 s[6:7], s[6:7]
	s_cbranch_execz .LBB937_149
; %bb.148:
	s_waitcnt lgkmcnt(4)
	v_add_co_u32_e32 v12, vcc, v1, v24
	v_addc_co_u32_e32 v13, vcc, 0, v11, vcc
.LBB937_149:
	s_or_b64 exec, exec, s[6:7]
	s_waitcnt lgkmcnt(4)
	v_lshlrev_b64 v[12:13], 2, v[12:13]
	s_waitcnt lgkmcnt(3)
	v_mov_b32_e32 v8, s5
	v_add_co_u32_e32 v12, vcc, s4, v12
	v_addc_co_u32_e32 v13, vcc, v8, v13, vcc
	global_store_dword v[12:13], v9, off
	s_or_b64 exec, exec, s[2:3]
	v_cmp_gt_u32_e32 vcc, s33, v23
	s_and_saveexec_b64 s[2:3], vcc
	s_cbranch_execnz .LBB937_125
.LBB937_150:
	s_or_b64 exec, exec, s[2:3]
	v_cmp_gt_u32_e32 vcc, s33, v22
	s_and_saveexec_b64 s[2:3], vcc
	s_cbranch_execz .LBB937_130
.LBB937_151:
	v_cmp_ge_u32_e32 vcc, v22, v10
                                        ; implicit-def: $vgpr8_vgpr9
	s_and_saveexec_b64 s[6:7], vcc
	s_xor_b64 s[6:7], exec, s[6:7]
	s_cbranch_execz .LBB937_153
; %bb.152:
	s_waitcnt lgkmcnt(2)
	v_xor_b32_e32 v6, 0xfffffaff, v0
	v_ashrrev_i32_e32 v9, 31, v6
	v_add_co_u32_e32 v8, vcc, v17, v6
	v_addc_co_u32_e32 v9, vcc, v18, v9, vcc
                                        ; implicit-def: $vgpr22
.LBB937_153:
	s_andn2_saveexec_b64 s[6:7], s[6:7]
	s_cbranch_execz .LBB937_155
; %bb.154:
	s_waitcnt lgkmcnt(3)
	v_add_co_u32_e32 v8, vcc, v1, v22
	v_addc_co_u32_e32 v9, vcc, 0, v11, vcc
.LBB937_155:
	s_or_b64 exec, exec, s[6:7]
	s_waitcnt lgkmcnt(3)
	v_lshlrev_b64 v[8:9], 2, v[8:9]
	s_waitcnt lgkmcnt(2)
	v_mov_b32_e32 v6, s5
	v_add_co_u32_e32 v8, vcc, s4, v8
	v_addc_co_u32_e32 v9, vcc, v6, v9, vcc
	global_store_dword v[8:9], v7, off
	s_or_b64 exec, exec, s[2:3]
	v_cmp_gt_u32_e32 vcc, s33, v21
	s_and_saveexec_b64 s[2:3], vcc
	s_cbranch_execnz .LBB937_131
.LBB937_156:
	s_or_b64 exec, exec, s[2:3]
	v_cmp_gt_u32_e32 vcc, s33, v20
	s_and_saveexec_b64 s[2:3], vcc
	s_cbranch_execz .LBB937_136
.LBB937_157:
	v_cmp_ge_u32_e32 vcc, v20, v10
                                        ; implicit-def: $vgpr6_vgpr7
	s_and_saveexec_b64 s[6:7], vcc
	s_xor_b64 s[6:7], exec, s[6:7]
	s_cbranch_execz .LBB937_159
; %bb.158:
	s_waitcnt lgkmcnt(1)
	v_xor_b32_e32 v4, 0xfffff8ff, v0
	v_ashrrev_i32_e32 v7, 31, v4
	v_add_co_u32_e32 v6, vcc, v17, v4
	v_addc_co_u32_e32 v7, vcc, v18, v7, vcc
                                        ; implicit-def: $vgpr20
.LBB937_159:
	s_andn2_saveexec_b64 s[6:7], s[6:7]
	s_cbranch_execz .LBB937_161
; %bb.160:
	s_waitcnt lgkmcnt(2)
	v_add_co_u32_e32 v6, vcc, v1, v20
	v_addc_co_u32_e32 v7, vcc, 0, v11, vcc
.LBB937_161:
	s_or_b64 exec, exec, s[6:7]
	s_waitcnt lgkmcnt(2)
	v_lshlrev_b64 v[6:7], 2, v[6:7]
	s_waitcnt lgkmcnt(1)
	v_mov_b32_e32 v4, s5
	v_add_co_u32_e32 v6, vcc, s4, v6
	v_addc_co_u32_e32 v7, vcc, v4, v7, vcc
	global_store_dword v[6:7], v5, off
	s_or_b64 exec, exec, s[2:3]
	v_cmp_gt_u32_e32 vcc, s33, v19
	s_and_saveexec_b64 s[2:3], vcc
	s_cbranch_execz .LBB937_137
.LBB937_162:
	v_cmp_ge_u32_e32 vcc, v19, v10
                                        ; implicit-def: $vgpr4_vgpr5
	s_and_saveexec_b64 s[6:7], vcc
	s_xor_b64 s[6:7], exec, s[6:7]
	s_cbranch_execz .LBB937_164
; %bb.163:
	s_waitcnt lgkmcnt(1)
	v_xor_b32_e32 v4, 0xfffff7ff, v0
	v_ashrrev_i32_e32 v5, 31, v4
	v_add_co_u32_e32 v4, vcc, v17, v4
	v_addc_co_u32_e32 v5, vcc, v18, v5, vcc
                                        ; implicit-def: $vgpr19
.LBB937_164:
	s_andn2_saveexec_b64 s[6:7], s[6:7]
	s_cbranch_execz .LBB937_166
; %bb.165:
	s_waitcnt lgkmcnt(1)
	v_add_co_u32_e32 v4, vcc, v1, v19
	v_addc_co_u32_e32 v5, vcc, 0, v11, vcc
.LBB937_166:
	s_or_b64 exec, exec, s[6:7]
	s_waitcnt lgkmcnt(1)
	v_lshlrev_b64 v[4:5], 2, v[4:5]
	v_mov_b32_e32 v6, s5
	v_add_co_u32_e32 v4, vcc, s4, v4
	v_addc_co_u32_e32 v5, vcc, v6, v5, vcc
	s_waitcnt lgkmcnt(0)
	global_store_dword v[4:5], v2, off
	s_or_b64 exec, exec, s[2:3]
	v_cmp_gt_u32_e32 vcc, s33, v16
                                        ; implicit-def: $vgpr14_vgpr15
	s_and_saveexec_b64 s[2:3], vcc
	s_cbranch_execz .LBB937_172
.LBB937_167:
	v_cmp_ge_u32_e32 vcc, v16, v10
                                        ; implicit-def: $vgpr14_vgpr15
	s_and_saveexec_b64 s[6:7], vcc
	s_xor_b64 s[6:7], exec, s[6:7]
	s_cbranch_execz .LBB937_169
; %bb.168:
	s_waitcnt lgkmcnt(0)
	v_xor_b32_e32 v2, 0xfffff6ff, v0
	v_ashrrev_i32_e32 v4, 31, v2
	v_add_co_u32_e32 v14, vcc, v17, v2
	v_addc_co_u32_e32 v15, vcc, v18, v4, vcc
                                        ; implicit-def: $vgpr16
.LBB937_169:
	s_andn2_saveexec_b64 s[6:7], s[6:7]
; %bb.170:
	v_add_co_u32_e32 v14, vcc, v1, v16
	v_addc_co_u32_e32 v15, vcc, 0, v11, vcc
; %bb.171:
	s_or_b64 exec, exec, s[6:7]
	s_or_b64 s[0:1], s[0:1], exec
.LBB937_172:
	s_or_b64 exec, exec, s[2:3]
.LBB937_173:
	s_and_saveexec_b64 s[2:3], s[0:1]
	s_cbranch_execz .LBB937_175
; %bb.174:
	s_waitcnt lgkmcnt(1)
	v_lshlrev_b64 v[4:5], 2, v[14:15]
	s_waitcnt lgkmcnt(0)
	v_mov_b32_e32 v2, s5
	v_add_co_u32_e32 v4, vcc, s4, v4
	v_addc_co_u32_e32 v5, vcc, v2, v5, vcc
	global_store_dword v[4:5], v3, off
.LBB937_175:
	s_or_b64 exec, exec, s[2:3]
	v_cmp_eq_u32_e32 vcc, 0, v0
	s_and_b64 s[0:1], vcc, s[26:27]
	s_and_saveexec_b64 s[2:3], s[0:1]
	s_cbranch_execz .LBB937_177
; %bb.176:
	v_add_co_u32_e32 v0, vcc, v1, v10
	s_waitcnt lgkmcnt(0)
	v_mov_b32_e32 v2, 0
	v_addc_co_u32_e32 v1, vcc, 0, v11, vcc
	global_store_dwordx2 v2, v[0:1], s[24:25]
.LBB937_177:
	s_endpgm
	.section	.rodata,"a",@progbits
	.p2align	6, 0x0
	.amdhsa_kernel _ZN7rocprim17ROCPRIM_400000_NS6detail17trampoline_kernelINS0_14default_configENS1_25partition_config_selectorILNS1_17partition_subalgoE3EjNS0_10empty_typeEbEEZZNS1_14partition_implILS5_3ELb0ES3_jN6thrust23THRUST_200600_302600_NS6detail15normal_iteratorINSA_7pointerIjNSA_11hip_rocprim3tagENSA_11use_defaultESG_EEEEPS6_SJ_NS0_5tupleIJPjSJ_EEENSK_IJSJ_SJ_EEES6_PlJ7is_evenIjEEEE10hipError_tPvRmT3_T4_T5_T6_T7_T9_mT8_P12ihipStream_tbDpT10_ENKUlT_T0_E_clISt17integral_constantIbLb1EES19_IbLb0EEEEDaS15_S16_EUlS15_E_NS1_11comp_targetILNS1_3genE4ELNS1_11target_archE910ELNS1_3gpuE8ELNS1_3repE0EEENS1_30default_config_static_selectorELNS0_4arch9wavefront6targetE1EEEvT1_
		.amdhsa_group_segment_fixed_size 10248
		.amdhsa_private_segment_fixed_size 0
		.amdhsa_kernarg_size 120
		.amdhsa_user_sgpr_count 6
		.amdhsa_user_sgpr_private_segment_buffer 1
		.amdhsa_user_sgpr_dispatch_ptr 0
		.amdhsa_user_sgpr_queue_ptr 0
		.amdhsa_user_sgpr_kernarg_segment_ptr 1
		.amdhsa_user_sgpr_dispatch_id 0
		.amdhsa_user_sgpr_flat_scratch_init 0
		.amdhsa_user_sgpr_kernarg_preload_length 0
		.amdhsa_user_sgpr_kernarg_preload_offset 0
		.amdhsa_user_sgpr_private_segment_size 0
		.amdhsa_uses_dynamic_stack 0
		.amdhsa_system_sgpr_private_segment_wavefront_offset 0
		.amdhsa_system_sgpr_workgroup_id_x 1
		.amdhsa_system_sgpr_workgroup_id_y 0
		.amdhsa_system_sgpr_workgroup_id_z 0
		.amdhsa_system_sgpr_workgroup_info 0
		.amdhsa_system_vgpr_workitem_id 0
		.amdhsa_next_free_vgpr 54
		.amdhsa_next_free_sgpr 46
		.amdhsa_accum_offset 56
		.amdhsa_reserve_vcc 1
		.amdhsa_reserve_flat_scratch 0
		.amdhsa_float_round_mode_32 0
		.amdhsa_float_round_mode_16_64 0
		.amdhsa_float_denorm_mode_32 3
		.amdhsa_float_denorm_mode_16_64 3
		.amdhsa_dx10_clamp 1
		.amdhsa_ieee_mode 1
		.amdhsa_fp16_overflow 0
		.amdhsa_tg_split 0
		.amdhsa_exception_fp_ieee_invalid_op 0
		.amdhsa_exception_fp_denorm_src 0
		.amdhsa_exception_fp_ieee_div_zero 0
		.amdhsa_exception_fp_ieee_overflow 0
		.amdhsa_exception_fp_ieee_underflow 0
		.amdhsa_exception_fp_ieee_inexact 0
		.amdhsa_exception_int_div_zero 0
	.end_amdhsa_kernel
	.section	.text._ZN7rocprim17ROCPRIM_400000_NS6detail17trampoline_kernelINS0_14default_configENS1_25partition_config_selectorILNS1_17partition_subalgoE3EjNS0_10empty_typeEbEEZZNS1_14partition_implILS5_3ELb0ES3_jN6thrust23THRUST_200600_302600_NS6detail15normal_iteratorINSA_7pointerIjNSA_11hip_rocprim3tagENSA_11use_defaultESG_EEEEPS6_SJ_NS0_5tupleIJPjSJ_EEENSK_IJSJ_SJ_EEES6_PlJ7is_evenIjEEEE10hipError_tPvRmT3_T4_T5_T6_T7_T9_mT8_P12ihipStream_tbDpT10_ENKUlT_T0_E_clISt17integral_constantIbLb1EES19_IbLb0EEEEDaS15_S16_EUlS15_E_NS1_11comp_targetILNS1_3genE4ELNS1_11target_archE910ELNS1_3gpuE8ELNS1_3repE0EEENS1_30default_config_static_selectorELNS0_4arch9wavefront6targetE1EEEvT1_,"axG",@progbits,_ZN7rocprim17ROCPRIM_400000_NS6detail17trampoline_kernelINS0_14default_configENS1_25partition_config_selectorILNS1_17partition_subalgoE3EjNS0_10empty_typeEbEEZZNS1_14partition_implILS5_3ELb0ES3_jN6thrust23THRUST_200600_302600_NS6detail15normal_iteratorINSA_7pointerIjNSA_11hip_rocprim3tagENSA_11use_defaultESG_EEEEPS6_SJ_NS0_5tupleIJPjSJ_EEENSK_IJSJ_SJ_EEES6_PlJ7is_evenIjEEEE10hipError_tPvRmT3_T4_T5_T6_T7_T9_mT8_P12ihipStream_tbDpT10_ENKUlT_T0_E_clISt17integral_constantIbLb1EES19_IbLb0EEEEDaS15_S16_EUlS15_E_NS1_11comp_targetILNS1_3genE4ELNS1_11target_archE910ELNS1_3gpuE8ELNS1_3repE0EEENS1_30default_config_static_selectorELNS0_4arch9wavefront6targetE1EEEvT1_,comdat
.Lfunc_end937:
	.size	_ZN7rocprim17ROCPRIM_400000_NS6detail17trampoline_kernelINS0_14default_configENS1_25partition_config_selectorILNS1_17partition_subalgoE3EjNS0_10empty_typeEbEEZZNS1_14partition_implILS5_3ELb0ES3_jN6thrust23THRUST_200600_302600_NS6detail15normal_iteratorINSA_7pointerIjNSA_11hip_rocprim3tagENSA_11use_defaultESG_EEEEPS6_SJ_NS0_5tupleIJPjSJ_EEENSK_IJSJ_SJ_EEES6_PlJ7is_evenIjEEEE10hipError_tPvRmT3_T4_T5_T6_T7_T9_mT8_P12ihipStream_tbDpT10_ENKUlT_T0_E_clISt17integral_constantIbLb1EES19_IbLb0EEEEDaS15_S16_EUlS15_E_NS1_11comp_targetILNS1_3genE4ELNS1_11target_archE910ELNS1_3gpuE8ELNS1_3repE0EEENS1_30default_config_static_selectorELNS0_4arch9wavefront6targetE1EEEvT1_, .Lfunc_end937-_ZN7rocprim17ROCPRIM_400000_NS6detail17trampoline_kernelINS0_14default_configENS1_25partition_config_selectorILNS1_17partition_subalgoE3EjNS0_10empty_typeEbEEZZNS1_14partition_implILS5_3ELb0ES3_jN6thrust23THRUST_200600_302600_NS6detail15normal_iteratorINSA_7pointerIjNSA_11hip_rocprim3tagENSA_11use_defaultESG_EEEEPS6_SJ_NS0_5tupleIJPjSJ_EEENSK_IJSJ_SJ_EEES6_PlJ7is_evenIjEEEE10hipError_tPvRmT3_T4_T5_T6_T7_T9_mT8_P12ihipStream_tbDpT10_ENKUlT_T0_E_clISt17integral_constantIbLb1EES19_IbLb0EEEEDaS15_S16_EUlS15_E_NS1_11comp_targetILNS1_3genE4ELNS1_11target_archE910ELNS1_3gpuE8ELNS1_3repE0EEENS1_30default_config_static_selectorELNS0_4arch9wavefront6targetE1EEEvT1_
                                        ; -- End function
	.section	.AMDGPU.csdata,"",@progbits
; Kernel info:
; codeLenInByte = 6188
; NumSgprs: 50
; NumVgprs: 54
; NumAgprs: 0
; TotalNumVgprs: 54
; ScratchSize: 0
; MemoryBound: 0
; FloatMode: 240
; IeeeMode: 1
; LDSByteSize: 10248 bytes/workgroup (compile time only)
; SGPRBlocks: 6
; VGPRBlocks: 6
; NumSGPRsForWavesPerEU: 50
; NumVGPRsForWavesPerEU: 54
; AccumOffset: 56
; Occupancy: 6
; WaveLimiterHint : 1
; COMPUTE_PGM_RSRC2:SCRATCH_EN: 0
; COMPUTE_PGM_RSRC2:USER_SGPR: 6
; COMPUTE_PGM_RSRC2:TRAP_HANDLER: 0
; COMPUTE_PGM_RSRC2:TGID_X_EN: 1
; COMPUTE_PGM_RSRC2:TGID_Y_EN: 0
; COMPUTE_PGM_RSRC2:TGID_Z_EN: 0
; COMPUTE_PGM_RSRC2:TIDIG_COMP_CNT: 0
; COMPUTE_PGM_RSRC3_GFX90A:ACCUM_OFFSET: 13
; COMPUTE_PGM_RSRC3_GFX90A:TG_SPLIT: 0
	.section	.text._ZN7rocprim17ROCPRIM_400000_NS6detail17trampoline_kernelINS0_14default_configENS1_25partition_config_selectorILNS1_17partition_subalgoE3EjNS0_10empty_typeEbEEZZNS1_14partition_implILS5_3ELb0ES3_jN6thrust23THRUST_200600_302600_NS6detail15normal_iteratorINSA_7pointerIjNSA_11hip_rocprim3tagENSA_11use_defaultESG_EEEEPS6_SJ_NS0_5tupleIJPjSJ_EEENSK_IJSJ_SJ_EEES6_PlJ7is_evenIjEEEE10hipError_tPvRmT3_T4_T5_T6_T7_T9_mT8_P12ihipStream_tbDpT10_ENKUlT_T0_E_clISt17integral_constantIbLb1EES19_IbLb0EEEEDaS15_S16_EUlS15_E_NS1_11comp_targetILNS1_3genE3ELNS1_11target_archE908ELNS1_3gpuE7ELNS1_3repE0EEENS1_30default_config_static_selectorELNS0_4arch9wavefront6targetE1EEEvT1_,"axG",@progbits,_ZN7rocprim17ROCPRIM_400000_NS6detail17trampoline_kernelINS0_14default_configENS1_25partition_config_selectorILNS1_17partition_subalgoE3EjNS0_10empty_typeEbEEZZNS1_14partition_implILS5_3ELb0ES3_jN6thrust23THRUST_200600_302600_NS6detail15normal_iteratorINSA_7pointerIjNSA_11hip_rocprim3tagENSA_11use_defaultESG_EEEEPS6_SJ_NS0_5tupleIJPjSJ_EEENSK_IJSJ_SJ_EEES6_PlJ7is_evenIjEEEE10hipError_tPvRmT3_T4_T5_T6_T7_T9_mT8_P12ihipStream_tbDpT10_ENKUlT_T0_E_clISt17integral_constantIbLb1EES19_IbLb0EEEEDaS15_S16_EUlS15_E_NS1_11comp_targetILNS1_3genE3ELNS1_11target_archE908ELNS1_3gpuE7ELNS1_3repE0EEENS1_30default_config_static_selectorELNS0_4arch9wavefront6targetE1EEEvT1_,comdat
	.protected	_ZN7rocprim17ROCPRIM_400000_NS6detail17trampoline_kernelINS0_14default_configENS1_25partition_config_selectorILNS1_17partition_subalgoE3EjNS0_10empty_typeEbEEZZNS1_14partition_implILS5_3ELb0ES3_jN6thrust23THRUST_200600_302600_NS6detail15normal_iteratorINSA_7pointerIjNSA_11hip_rocprim3tagENSA_11use_defaultESG_EEEEPS6_SJ_NS0_5tupleIJPjSJ_EEENSK_IJSJ_SJ_EEES6_PlJ7is_evenIjEEEE10hipError_tPvRmT3_T4_T5_T6_T7_T9_mT8_P12ihipStream_tbDpT10_ENKUlT_T0_E_clISt17integral_constantIbLb1EES19_IbLb0EEEEDaS15_S16_EUlS15_E_NS1_11comp_targetILNS1_3genE3ELNS1_11target_archE908ELNS1_3gpuE7ELNS1_3repE0EEENS1_30default_config_static_selectorELNS0_4arch9wavefront6targetE1EEEvT1_ ; -- Begin function _ZN7rocprim17ROCPRIM_400000_NS6detail17trampoline_kernelINS0_14default_configENS1_25partition_config_selectorILNS1_17partition_subalgoE3EjNS0_10empty_typeEbEEZZNS1_14partition_implILS5_3ELb0ES3_jN6thrust23THRUST_200600_302600_NS6detail15normal_iteratorINSA_7pointerIjNSA_11hip_rocprim3tagENSA_11use_defaultESG_EEEEPS6_SJ_NS0_5tupleIJPjSJ_EEENSK_IJSJ_SJ_EEES6_PlJ7is_evenIjEEEE10hipError_tPvRmT3_T4_T5_T6_T7_T9_mT8_P12ihipStream_tbDpT10_ENKUlT_T0_E_clISt17integral_constantIbLb1EES19_IbLb0EEEEDaS15_S16_EUlS15_E_NS1_11comp_targetILNS1_3genE3ELNS1_11target_archE908ELNS1_3gpuE7ELNS1_3repE0EEENS1_30default_config_static_selectorELNS0_4arch9wavefront6targetE1EEEvT1_
	.globl	_ZN7rocprim17ROCPRIM_400000_NS6detail17trampoline_kernelINS0_14default_configENS1_25partition_config_selectorILNS1_17partition_subalgoE3EjNS0_10empty_typeEbEEZZNS1_14partition_implILS5_3ELb0ES3_jN6thrust23THRUST_200600_302600_NS6detail15normal_iteratorINSA_7pointerIjNSA_11hip_rocprim3tagENSA_11use_defaultESG_EEEEPS6_SJ_NS0_5tupleIJPjSJ_EEENSK_IJSJ_SJ_EEES6_PlJ7is_evenIjEEEE10hipError_tPvRmT3_T4_T5_T6_T7_T9_mT8_P12ihipStream_tbDpT10_ENKUlT_T0_E_clISt17integral_constantIbLb1EES19_IbLb0EEEEDaS15_S16_EUlS15_E_NS1_11comp_targetILNS1_3genE3ELNS1_11target_archE908ELNS1_3gpuE7ELNS1_3repE0EEENS1_30default_config_static_selectorELNS0_4arch9wavefront6targetE1EEEvT1_
	.p2align	8
	.type	_ZN7rocprim17ROCPRIM_400000_NS6detail17trampoline_kernelINS0_14default_configENS1_25partition_config_selectorILNS1_17partition_subalgoE3EjNS0_10empty_typeEbEEZZNS1_14partition_implILS5_3ELb0ES3_jN6thrust23THRUST_200600_302600_NS6detail15normal_iteratorINSA_7pointerIjNSA_11hip_rocprim3tagENSA_11use_defaultESG_EEEEPS6_SJ_NS0_5tupleIJPjSJ_EEENSK_IJSJ_SJ_EEES6_PlJ7is_evenIjEEEE10hipError_tPvRmT3_T4_T5_T6_T7_T9_mT8_P12ihipStream_tbDpT10_ENKUlT_T0_E_clISt17integral_constantIbLb1EES19_IbLb0EEEEDaS15_S16_EUlS15_E_NS1_11comp_targetILNS1_3genE3ELNS1_11target_archE908ELNS1_3gpuE7ELNS1_3repE0EEENS1_30default_config_static_selectorELNS0_4arch9wavefront6targetE1EEEvT1_,@function
_ZN7rocprim17ROCPRIM_400000_NS6detail17trampoline_kernelINS0_14default_configENS1_25partition_config_selectorILNS1_17partition_subalgoE3EjNS0_10empty_typeEbEEZZNS1_14partition_implILS5_3ELb0ES3_jN6thrust23THRUST_200600_302600_NS6detail15normal_iteratorINSA_7pointerIjNSA_11hip_rocprim3tagENSA_11use_defaultESG_EEEEPS6_SJ_NS0_5tupleIJPjSJ_EEENSK_IJSJ_SJ_EEES6_PlJ7is_evenIjEEEE10hipError_tPvRmT3_T4_T5_T6_T7_T9_mT8_P12ihipStream_tbDpT10_ENKUlT_T0_E_clISt17integral_constantIbLb1EES19_IbLb0EEEEDaS15_S16_EUlS15_E_NS1_11comp_targetILNS1_3genE3ELNS1_11target_archE908ELNS1_3gpuE7ELNS1_3repE0EEENS1_30default_config_static_selectorELNS0_4arch9wavefront6targetE1EEEvT1_: ; @_ZN7rocprim17ROCPRIM_400000_NS6detail17trampoline_kernelINS0_14default_configENS1_25partition_config_selectorILNS1_17partition_subalgoE3EjNS0_10empty_typeEbEEZZNS1_14partition_implILS5_3ELb0ES3_jN6thrust23THRUST_200600_302600_NS6detail15normal_iteratorINSA_7pointerIjNSA_11hip_rocprim3tagENSA_11use_defaultESG_EEEEPS6_SJ_NS0_5tupleIJPjSJ_EEENSK_IJSJ_SJ_EEES6_PlJ7is_evenIjEEEE10hipError_tPvRmT3_T4_T5_T6_T7_T9_mT8_P12ihipStream_tbDpT10_ENKUlT_T0_E_clISt17integral_constantIbLb1EES19_IbLb0EEEEDaS15_S16_EUlS15_E_NS1_11comp_targetILNS1_3genE3ELNS1_11target_archE908ELNS1_3gpuE7ELNS1_3repE0EEENS1_30default_config_static_selectorELNS0_4arch9wavefront6targetE1EEEvT1_
; %bb.0:
	.section	.rodata,"a",@progbits
	.p2align	6, 0x0
	.amdhsa_kernel _ZN7rocprim17ROCPRIM_400000_NS6detail17trampoline_kernelINS0_14default_configENS1_25partition_config_selectorILNS1_17partition_subalgoE3EjNS0_10empty_typeEbEEZZNS1_14partition_implILS5_3ELb0ES3_jN6thrust23THRUST_200600_302600_NS6detail15normal_iteratorINSA_7pointerIjNSA_11hip_rocprim3tagENSA_11use_defaultESG_EEEEPS6_SJ_NS0_5tupleIJPjSJ_EEENSK_IJSJ_SJ_EEES6_PlJ7is_evenIjEEEE10hipError_tPvRmT3_T4_T5_T6_T7_T9_mT8_P12ihipStream_tbDpT10_ENKUlT_T0_E_clISt17integral_constantIbLb1EES19_IbLb0EEEEDaS15_S16_EUlS15_E_NS1_11comp_targetILNS1_3genE3ELNS1_11target_archE908ELNS1_3gpuE7ELNS1_3repE0EEENS1_30default_config_static_selectorELNS0_4arch9wavefront6targetE1EEEvT1_
		.amdhsa_group_segment_fixed_size 0
		.amdhsa_private_segment_fixed_size 0
		.amdhsa_kernarg_size 120
		.amdhsa_user_sgpr_count 6
		.amdhsa_user_sgpr_private_segment_buffer 1
		.amdhsa_user_sgpr_dispatch_ptr 0
		.amdhsa_user_sgpr_queue_ptr 0
		.amdhsa_user_sgpr_kernarg_segment_ptr 1
		.amdhsa_user_sgpr_dispatch_id 0
		.amdhsa_user_sgpr_flat_scratch_init 0
		.amdhsa_user_sgpr_kernarg_preload_length 0
		.amdhsa_user_sgpr_kernarg_preload_offset 0
		.amdhsa_user_sgpr_private_segment_size 0
		.amdhsa_uses_dynamic_stack 0
		.amdhsa_system_sgpr_private_segment_wavefront_offset 0
		.amdhsa_system_sgpr_workgroup_id_x 1
		.amdhsa_system_sgpr_workgroup_id_y 0
		.amdhsa_system_sgpr_workgroup_id_z 0
		.amdhsa_system_sgpr_workgroup_info 0
		.amdhsa_system_vgpr_workitem_id 0
		.amdhsa_next_free_vgpr 1
		.amdhsa_next_free_sgpr 0
		.amdhsa_accum_offset 4
		.amdhsa_reserve_vcc 0
		.amdhsa_reserve_flat_scratch 0
		.amdhsa_float_round_mode_32 0
		.amdhsa_float_round_mode_16_64 0
		.amdhsa_float_denorm_mode_32 3
		.amdhsa_float_denorm_mode_16_64 3
		.amdhsa_dx10_clamp 1
		.amdhsa_ieee_mode 1
		.amdhsa_fp16_overflow 0
		.amdhsa_tg_split 0
		.amdhsa_exception_fp_ieee_invalid_op 0
		.amdhsa_exception_fp_denorm_src 0
		.amdhsa_exception_fp_ieee_div_zero 0
		.amdhsa_exception_fp_ieee_overflow 0
		.amdhsa_exception_fp_ieee_underflow 0
		.amdhsa_exception_fp_ieee_inexact 0
		.amdhsa_exception_int_div_zero 0
	.end_amdhsa_kernel
	.section	.text._ZN7rocprim17ROCPRIM_400000_NS6detail17trampoline_kernelINS0_14default_configENS1_25partition_config_selectorILNS1_17partition_subalgoE3EjNS0_10empty_typeEbEEZZNS1_14partition_implILS5_3ELb0ES3_jN6thrust23THRUST_200600_302600_NS6detail15normal_iteratorINSA_7pointerIjNSA_11hip_rocprim3tagENSA_11use_defaultESG_EEEEPS6_SJ_NS0_5tupleIJPjSJ_EEENSK_IJSJ_SJ_EEES6_PlJ7is_evenIjEEEE10hipError_tPvRmT3_T4_T5_T6_T7_T9_mT8_P12ihipStream_tbDpT10_ENKUlT_T0_E_clISt17integral_constantIbLb1EES19_IbLb0EEEEDaS15_S16_EUlS15_E_NS1_11comp_targetILNS1_3genE3ELNS1_11target_archE908ELNS1_3gpuE7ELNS1_3repE0EEENS1_30default_config_static_selectorELNS0_4arch9wavefront6targetE1EEEvT1_,"axG",@progbits,_ZN7rocprim17ROCPRIM_400000_NS6detail17trampoline_kernelINS0_14default_configENS1_25partition_config_selectorILNS1_17partition_subalgoE3EjNS0_10empty_typeEbEEZZNS1_14partition_implILS5_3ELb0ES3_jN6thrust23THRUST_200600_302600_NS6detail15normal_iteratorINSA_7pointerIjNSA_11hip_rocprim3tagENSA_11use_defaultESG_EEEEPS6_SJ_NS0_5tupleIJPjSJ_EEENSK_IJSJ_SJ_EEES6_PlJ7is_evenIjEEEE10hipError_tPvRmT3_T4_T5_T6_T7_T9_mT8_P12ihipStream_tbDpT10_ENKUlT_T0_E_clISt17integral_constantIbLb1EES19_IbLb0EEEEDaS15_S16_EUlS15_E_NS1_11comp_targetILNS1_3genE3ELNS1_11target_archE908ELNS1_3gpuE7ELNS1_3repE0EEENS1_30default_config_static_selectorELNS0_4arch9wavefront6targetE1EEEvT1_,comdat
.Lfunc_end938:
	.size	_ZN7rocprim17ROCPRIM_400000_NS6detail17trampoline_kernelINS0_14default_configENS1_25partition_config_selectorILNS1_17partition_subalgoE3EjNS0_10empty_typeEbEEZZNS1_14partition_implILS5_3ELb0ES3_jN6thrust23THRUST_200600_302600_NS6detail15normal_iteratorINSA_7pointerIjNSA_11hip_rocprim3tagENSA_11use_defaultESG_EEEEPS6_SJ_NS0_5tupleIJPjSJ_EEENSK_IJSJ_SJ_EEES6_PlJ7is_evenIjEEEE10hipError_tPvRmT3_T4_T5_T6_T7_T9_mT8_P12ihipStream_tbDpT10_ENKUlT_T0_E_clISt17integral_constantIbLb1EES19_IbLb0EEEEDaS15_S16_EUlS15_E_NS1_11comp_targetILNS1_3genE3ELNS1_11target_archE908ELNS1_3gpuE7ELNS1_3repE0EEENS1_30default_config_static_selectorELNS0_4arch9wavefront6targetE1EEEvT1_, .Lfunc_end938-_ZN7rocprim17ROCPRIM_400000_NS6detail17trampoline_kernelINS0_14default_configENS1_25partition_config_selectorILNS1_17partition_subalgoE3EjNS0_10empty_typeEbEEZZNS1_14partition_implILS5_3ELb0ES3_jN6thrust23THRUST_200600_302600_NS6detail15normal_iteratorINSA_7pointerIjNSA_11hip_rocprim3tagENSA_11use_defaultESG_EEEEPS6_SJ_NS0_5tupleIJPjSJ_EEENSK_IJSJ_SJ_EEES6_PlJ7is_evenIjEEEE10hipError_tPvRmT3_T4_T5_T6_T7_T9_mT8_P12ihipStream_tbDpT10_ENKUlT_T0_E_clISt17integral_constantIbLb1EES19_IbLb0EEEEDaS15_S16_EUlS15_E_NS1_11comp_targetILNS1_3genE3ELNS1_11target_archE908ELNS1_3gpuE7ELNS1_3repE0EEENS1_30default_config_static_selectorELNS0_4arch9wavefront6targetE1EEEvT1_
                                        ; -- End function
	.section	.AMDGPU.csdata,"",@progbits
; Kernel info:
; codeLenInByte = 0
; NumSgprs: 4
; NumVgprs: 0
; NumAgprs: 0
; TotalNumVgprs: 0
; ScratchSize: 0
; MemoryBound: 0
; FloatMode: 240
; IeeeMode: 1
; LDSByteSize: 0 bytes/workgroup (compile time only)
; SGPRBlocks: 0
; VGPRBlocks: 0
; NumSGPRsForWavesPerEU: 4
; NumVGPRsForWavesPerEU: 1
; AccumOffset: 4
; Occupancy: 8
; WaveLimiterHint : 0
; COMPUTE_PGM_RSRC2:SCRATCH_EN: 0
; COMPUTE_PGM_RSRC2:USER_SGPR: 6
; COMPUTE_PGM_RSRC2:TRAP_HANDLER: 0
; COMPUTE_PGM_RSRC2:TGID_X_EN: 1
; COMPUTE_PGM_RSRC2:TGID_Y_EN: 0
; COMPUTE_PGM_RSRC2:TGID_Z_EN: 0
; COMPUTE_PGM_RSRC2:TIDIG_COMP_CNT: 0
; COMPUTE_PGM_RSRC3_GFX90A:ACCUM_OFFSET: 0
; COMPUTE_PGM_RSRC3_GFX90A:TG_SPLIT: 0
	.section	.text._ZN7rocprim17ROCPRIM_400000_NS6detail17trampoline_kernelINS0_14default_configENS1_25partition_config_selectorILNS1_17partition_subalgoE3EjNS0_10empty_typeEbEEZZNS1_14partition_implILS5_3ELb0ES3_jN6thrust23THRUST_200600_302600_NS6detail15normal_iteratorINSA_7pointerIjNSA_11hip_rocprim3tagENSA_11use_defaultESG_EEEEPS6_SJ_NS0_5tupleIJPjSJ_EEENSK_IJSJ_SJ_EEES6_PlJ7is_evenIjEEEE10hipError_tPvRmT3_T4_T5_T6_T7_T9_mT8_P12ihipStream_tbDpT10_ENKUlT_T0_E_clISt17integral_constantIbLb1EES19_IbLb0EEEEDaS15_S16_EUlS15_E_NS1_11comp_targetILNS1_3genE2ELNS1_11target_archE906ELNS1_3gpuE6ELNS1_3repE0EEENS1_30default_config_static_selectorELNS0_4arch9wavefront6targetE1EEEvT1_,"axG",@progbits,_ZN7rocprim17ROCPRIM_400000_NS6detail17trampoline_kernelINS0_14default_configENS1_25partition_config_selectorILNS1_17partition_subalgoE3EjNS0_10empty_typeEbEEZZNS1_14partition_implILS5_3ELb0ES3_jN6thrust23THRUST_200600_302600_NS6detail15normal_iteratorINSA_7pointerIjNSA_11hip_rocprim3tagENSA_11use_defaultESG_EEEEPS6_SJ_NS0_5tupleIJPjSJ_EEENSK_IJSJ_SJ_EEES6_PlJ7is_evenIjEEEE10hipError_tPvRmT3_T4_T5_T6_T7_T9_mT8_P12ihipStream_tbDpT10_ENKUlT_T0_E_clISt17integral_constantIbLb1EES19_IbLb0EEEEDaS15_S16_EUlS15_E_NS1_11comp_targetILNS1_3genE2ELNS1_11target_archE906ELNS1_3gpuE6ELNS1_3repE0EEENS1_30default_config_static_selectorELNS0_4arch9wavefront6targetE1EEEvT1_,comdat
	.protected	_ZN7rocprim17ROCPRIM_400000_NS6detail17trampoline_kernelINS0_14default_configENS1_25partition_config_selectorILNS1_17partition_subalgoE3EjNS0_10empty_typeEbEEZZNS1_14partition_implILS5_3ELb0ES3_jN6thrust23THRUST_200600_302600_NS6detail15normal_iteratorINSA_7pointerIjNSA_11hip_rocprim3tagENSA_11use_defaultESG_EEEEPS6_SJ_NS0_5tupleIJPjSJ_EEENSK_IJSJ_SJ_EEES6_PlJ7is_evenIjEEEE10hipError_tPvRmT3_T4_T5_T6_T7_T9_mT8_P12ihipStream_tbDpT10_ENKUlT_T0_E_clISt17integral_constantIbLb1EES19_IbLb0EEEEDaS15_S16_EUlS15_E_NS1_11comp_targetILNS1_3genE2ELNS1_11target_archE906ELNS1_3gpuE6ELNS1_3repE0EEENS1_30default_config_static_selectorELNS0_4arch9wavefront6targetE1EEEvT1_ ; -- Begin function _ZN7rocprim17ROCPRIM_400000_NS6detail17trampoline_kernelINS0_14default_configENS1_25partition_config_selectorILNS1_17partition_subalgoE3EjNS0_10empty_typeEbEEZZNS1_14partition_implILS5_3ELb0ES3_jN6thrust23THRUST_200600_302600_NS6detail15normal_iteratorINSA_7pointerIjNSA_11hip_rocprim3tagENSA_11use_defaultESG_EEEEPS6_SJ_NS0_5tupleIJPjSJ_EEENSK_IJSJ_SJ_EEES6_PlJ7is_evenIjEEEE10hipError_tPvRmT3_T4_T5_T6_T7_T9_mT8_P12ihipStream_tbDpT10_ENKUlT_T0_E_clISt17integral_constantIbLb1EES19_IbLb0EEEEDaS15_S16_EUlS15_E_NS1_11comp_targetILNS1_3genE2ELNS1_11target_archE906ELNS1_3gpuE6ELNS1_3repE0EEENS1_30default_config_static_selectorELNS0_4arch9wavefront6targetE1EEEvT1_
	.globl	_ZN7rocprim17ROCPRIM_400000_NS6detail17trampoline_kernelINS0_14default_configENS1_25partition_config_selectorILNS1_17partition_subalgoE3EjNS0_10empty_typeEbEEZZNS1_14partition_implILS5_3ELb0ES3_jN6thrust23THRUST_200600_302600_NS6detail15normal_iteratorINSA_7pointerIjNSA_11hip_rocprim3tagENSA_11use_defaultESG_EEEEPS6_SJ_NS0_5tupleIJPjSJ_EEENSK_IJSJ_SJ_EEES6_PlJ7is_evenIjEEEE10hipError_tPvRmT3_T4_T5_T6_T7_T9_mT8_P12ihipStream_tbDpT10_ENKUlT_T0_E_clISt17integral_constantIbLb1EES19_IbLb0EEEEDaS15_S16_EUlS15_E_NS1_11comp_targetILNS1_3genE2ELNS1_11target_archE906ELNS1_3gpuE6ELNS1_3repE0EEENS1_30default_config_static_selectorELNS0_4arch9wavefront6targetE1EEEvT1_
	.p2align	8
	.type	_ZN7rocprim17ROCPRIM_400000_NS6detail17trampoline_kernelINS0_14default_configENS1_25partition_config_selectorILNS1_17partition_subalgoE3EjNS0_10empty_typeEbEEZZNS1_14partition_implILS5_3ELb0ES3_jN6thrust23THRUST_200600_302600_NS6detail15normal_iteratorINSA_7pointerIjNSA_11hip_rocprim3tagENSA_11use_defaultESG_EEEEPS6_SJ_NS0_5tupleIJPjSJ_EEENSK_IJSJ_SJ_EEES6_PlJ7is_evenIjEEEE10hipError_tPvRmT3_T4_T5_T6_T7_T9_mT8_P12ihipStream_tbDpT10_ENKUlT_T0_E_clISt17integral_constantIbLb1EES19_IbLb0EEEEDaS15_S16_EUlS15_E_NS1_11comp_targetILNS1_3genE2ELNS1_11target_archE906ELNS1_3gpuE6ELNS1_3repE0EEENS1_30default_config_static_selectorELNS0_4arch9wavefront6targetE1EEEvT1_,@function
_ZN7rocprim17ROCPRIM_400000_NS6detail17trampoline_kernelINS0_14default_configENS1_25partition_config_selectorILNS1_17partition_subalgoE3EjNS0_10empty_typeEbEEZZNS1_14partition_implILS5_3ELb0ES3_jN6thrust23THRUST_200600_302600_NS6detail15normal_iteratorINSA_7pointerIjNSA_11hip_rocprim3tagENSA_11use_defaultESG_EEEEPS6_SJ_NS0_5tupleIJPjSJ_EEENSK_IJSJ_SJ_EEES6_PlJ7is_evenIjEEEE10hipError_tPvRmT3_T4_T5_T6_T7_T9_mT8_P12ihipStream_tbDpT10_ENKUlT_T0_E_clISt17integral_constantIbLb1EES19_IbLb0EEEEDaS15_S16_EUlS15_E_NS1_11comp_targetILNS1_3genE2ELNS1_11target_archE906ELNS1_3gpuE6ELNS1_3repE0EEENS1_30default_config_static_selectorELNS0_4arch9wavefront6targetE1EEEvT1_: ; @_ZN7rocprim17ROCPRIM_400000_NS6detail17trampoline_kernelINS0_14default_configENS1_25partition_config_selectorILNS1_17partition_subalgoE3EjNS0_10empty_typeEbEEZZNS1_14partition_implILS5_3ELb0ES3_jN6thrust23THRUST_200600_302600_NS6detail15normal_iteratorINSA_7pointerIjNSA_11hip_rocprim3tagENSA_11use_defaultESG_EEEEPS6_SJ_NS0_5tupleIJPjSJ_EEENSK_IJSJ_SJ_EEES6_PlJ7is_evenIjEEEE10hipError_tPvRmT3_T4_T5_T6_T7_T9_mT8_P12ihipStream_tbDpT10_ENKUlT_T0_E_clISt17integral_constantIbLb1EES19_IbLb0EEEEDaS15_S16_EUlS15_E_NS1_11comp_targetILNS1_3genE2ELNS1_11target_archE906ELNS1_3gpuE6ELNS1_3repE0EEENS1_30default_config_static_selectorELNS0_4arch9wavefront6targetE1EEEvT1_
; %bb.0:
	.section	.rodata,"a",@progbits
	.p2align	6, 0x0
	.amdhsa_kernel _ZN7rocprim17ROCPRIM_400000_NS6detail17trampoline_kernelINS0_14default_configENS1_25partition_config_selectorILNS1_17partition_subalgoE3EjNS0_10empty_typeEbEEZZNS1_14partition_implILS5_3ELb0ES3_jN6thrust23THRUST_200600_302600_NS6detail15normal_iteratorINSA_7pointerIjNSA_11hip_rocprim3tagENSA_11use_defaultESG_EEEEPS6_SJ_NS0_5tupleIJPjSJ_EEENSK_IJSJ_SJ_EEES6_PlJ7is_evenIjEEEE10hipError_tPvRmT3_T4_T5_T6_T7_T9_mT8_P12ihipStream_tbDpT10_ENKUlT_T0_E_clISt17integral_constantIbLb1EES19_IbLb0EEEEDaS15_S16_EUlS15_E_NS1_11comp_targetILNS1_3genE2ELNS1_11target_archE906ELNS1_3gpuE6ELNS1_3repE0EEENS1_30default_config_static_selectorELNS0_4arch9wavefront6targetE1EEEvT1_
		.amdhsa_group_segment_fixed_size 0
		.amdhsa_private_segment_fixed_size 0
		.amdhsa_kernarg_size 120
		.amdhsa_user_sgpr_count 6
		.amdhsa_user_sgpr_private_segment_buffer 1
		.amdhsa_user_sgpr_dispatch_ptr 0
		.amdhsa_user_sgpr_queue_ptr 0
		.amdhsa_user_sgpr_kernarg_segment_ptr 1
		.amdhsa_user_sgpr_dispatch_id 0
		.amdhsa_user_sgpr_flat_scratch_init 0
		.amdhsa_user_sgpr_kernarg_preload_length 0
		.amdhsa_user_sgpr_kernarg_preload_offset 0
		.amdhsa_user_sgpr_private_segment_size 0
		.amdhsa_uses_dynamic_stack 0
		.amdhsa_system_sgpr_private_segment_wavefront_offset 0
		.amdhsa_system_sgpr_workgroup_id_x 1
		.amdhsa_system_sgpr_workgroup_id_y 0
		.amdhsa_system_sgpr_workgroup_id_z 0
		.amdhsa_system_sgpr_workgroup_info 0
		.amdhsa_system_vgpr_workitem_id 0
		.amdhsa_next_free_vgpr 1
		.amdhsa_next_free_sgpr 0
		.amdhsa_accum_offset 4
		.amdhsa_reserve_vcc 0
		.amdhsa_reserve_flat_scratch 0
		.amdhsa_float_round_mode_32 0
		.amdhsa_float_round_mode_16_64 0
		.amdhsa_float_denorm_mode_32 3
		.amdhsa_float_denorm_mode_16_64 3
		.amdhsa_dx10_clamp 1
		.amdhsa_ieee_mode 1
		.amdhsa_fp16_overflow 0
		.amdhsa_tg_split 0
		.amdhsa_exception_fp_ieee_invalid_op 0
		.amdhsa_exception_fp_denorm_src 0
		.amdhsa_exception_fp_ieee_div_zero 0
		.amdhsa_exception_fp_ieee_overflow 0
		.amdhsa_exception_fp_ieee_underflow 0
		.amdhsa_exception_fp_ieee_inexact 0
		.amdhsa_exception_int_div_zero 0
	.end_amdhsa_kernel
	.section	.text._ZN7rocprim17ROCPRIM_400000_NS6detail17trampoline_kernelINS0_14default_configENS1_25partition_config_selectorILNS1_17partition_subalgoE3EjNS0_10empty_typeEbEEZZNS1_14partition_implILS5_3ELb0ES3_jN6thrust23THRUST_200600_302600_NS6detail15normal_iteratorINSA_7pointerIjNSA_11hip_rocprim3tagENSA_11use_defaultESG_EEEEPS6_SJ_NS0_5tupleIJPjSJ_EEENSK_IJSJ_SJ_EEES6_PlJ7is_evenIjEEEE10hipError_tPvRmT3_T4_T5_T6_T7_T9_mT8_P12ihipStream_tbDpT10_ENKUlT_T0_E_clISt17integral_constantIbLb1EES19_IbLb0EEEEDaS15_S16_EUlS15_E_NS1_11comp_targetILNS1_3genE2ELNS1_11target_archE906ELNS1_3gpuE6ELNS1_3repE0EEENS1_30default_config_static_selectorELNS0_4arch9wavefront6targetE1EEEvT1_,"axG",@progbits,_ZN7rocprim17ROCPRIM_400000_NS6detail17trampoline_kernelINS0_14default_configENS1_25partition_config_selectorILNS1_17partition_subalgoE3EjNS0_10empty_typeEbEEZZNS1_14partition_implILS5_3ELb0ES3_jN6thrust23THRUST_200600_302600_NS6detail15normal_iteratorINSA_7pointerIjNSA_11hip_rocprim3tagENSA_11use_defaultESG_EEEEPS6_SJ_NS0_5tupleIJPjSJ_EEENSK_IJSJ_SJ_EEES6_PlJ7is_evenIjEEEE10hipError_tPvRmT3_T4_T5_T6_T7_T9_mT8_P12ihipStream_tbDpT10_ENKUlT_T0_E_clISt17integral_constantIbLb1EES19_IbLb0EEEEDaS15_S16_EUlS15_E_NS1_11comp_targetILNS1_3genE2ELNS1_11target_archE906ELNS1_3gpuE6ELNS1_3repE0EEENS1_30default_config_static_selectorELNS0_4arch9wavefront6targetE1EEEvT1_,comdat
.Lfunc_end939:
	.size	_ZN7rocprim17ROCPRIM_400000_NS6detail17trampoline_kernelINS0_14default_configENS1_25partition_config_selectorILNS1_17partition_subalgoE3EjNS0_10empty_typeEbEEZZNS1_14partition_implILS5_3ELb0ES3_jN6thrust23THRUST_200600_302600_NS6detail15normal_iteratorINSA_7pointerIjNSA_11hip_rocprim3tagENSA_11use_defaultESG_EEEEPS6_SJ_NS0_5tupleIJPjSJ_EEENSK_IJSJ_SJ_EEES6_PlJ7is_evenIjEEEE10hipError_tPvRmT3_T4_T5_T6_T7_T9_mT8_P12ihipStream_tbDpT10_ENKUlT_T0_E_clISt17integral_constantIbLb1EES19_IbLb0EEEEDaS15_S16_EUlS15_E_NS1_11comp_targetILNS1_3genE2ELNS1_11target_archE906ELNS1_3gpuE6ELNS1_3repE0EEENS1_30default_config_static_selectorELNS0_4arch9wavefront6targetE1EEEvT1_, .Lfunc_end939-_ZN7rocprim17ROCPRIM_400000_NS6detail17trampoline_kernelINS0_14default_configENS1_25partition_config_selectorILNS1_17partition_subalgoE3EjNS0_10empty_typeEbEEZZNS1_14partition_implILS5_3ELb0ES3_jN6thrust23THRUST_200600_302600_NS6detail15normal_iteratorINSA_7pointerIjNSA_11hip_rocprim3tagENSA_11use_defaultESG_EEEEPS6_SJ_NS0_5tupleIJPjSJ_EEENSK_IJSJ_SJ_EEES6_PlJ7is_evenIjEEEE10hipError_tPvRmT3_T4_T5_T6_T7_T9_mT8_P12ihipStream_tbDpT10_ENKUlT_T0_E_clISt17integral_constantIbLb1EES19_IbLb0EEEEDaS15_S16_EUlS15_E_NS1_11comp_targetILNS1_3genE2ELNS1_11target_archE906ELNS1_3gpuE6ELNS1_3repE0EEENS1_30default_config_static_selectorELNS0_4arch9wavefront6targetE1EEEvT1_
                                        ; -- End function
	.section	.AMDGPU.csdata,"",@progbits
; Kernel info:
; codeLenInByte = 0
; NumSgprs: 4
; NumVgprs: 0
; NumAgprs: 0
; TotalNumVgprs: 0
; ScratchSize: 0
; MemoryBound: 0
; FloatMode: 240
; IeeeMode: 1
; LDSByteSize: 0 bytes/workgroup (compile time only)
; SGPRBlocks: 0
; VGPRBlocks: 0
; NumSGPRsForWavesPerEU: 4
; NumVGPRsForWavesPerEU: 1
; AccumOffset: 4
; Occupancy: 8
; WaveLimiterHint : 0
; COMPUTE_PGM_RSRC2:SCRATCH_EN: 0
; COMPUTE_PGM_RSRC2:USER_SGPR: 6
; COMPUTE_PGM_RSRC2:TRAP_HANDLER: 0
; COMPUTE_PGM_RSRC2:TGID_X_EN: 1
; COMPUTE_PGM_RSRC2:TGID_Y_EN: 0
; COMPUTE_PGM_RSRC2:TGID_Z_EN: 0
; COMPUTE_PGM_RSRC2:TIDIG_COMP_CNT: 0
; COMPUTE_PGM_RSRC3_GFX90A:ACCUM_OFFSET: 0
; COMPUTE_PGM_RSRC3_GFX90A:TG_SPLIT: 0
	.section	.text._ZN7rocprim17ROCPRIM_400000_NS6detail17trampoline_kernelINS0_14default_configENS1_25partition_config_selectorILNS1_17partition_subalgoE3EjNS0_10empty_typeEbEEZZNS1_14partition_implILS5_3ELb0ES3_jN6thrust23THRUST_200600_302600_NS6detail15normal_iteratorINSA_7pointerIjNSA_11hip_rocprim3tagENSA_11use_defaultESG_EEEEPS6_SJ_NS0_5tupleIJPjSJ_EEENSK_IJSJ_SJ_EEES6_PlJ7is_evenIjEEEE10hipError_tPvRmT3_T4_T5_T6_T7_T9_mT8_P12ihipStream_tbDpT10_ENKUlT_T0_E_clISt17integral_constantIbLb1EES19_IbLb0EEEEDaS15_S16_EUlS15_E_NS1_11comp_targetILNS1_3genE10ELNS1_11target_archE1200ELNS1_3gpuE4ELNS1_3repE0EEENS1_30default_config_static_selectorELNS0_4arch9wavefront6targetE1EEEvT1_,"axG",@progbits,_ZN7rocprim17ROCPRIM_400000_NS6detail17trampoline_kernelINS0_14default_configENS1_25partition_config_selectorILNS1_17partition_subalgoE3EjNS0_10empty_typeEbEEZZNS1_14partition_implILS5_3ELb0ES3_jN6thrust23THRUST_200600_302600_NS6detail15normal_iteratorINSA_7pointerIjNSA_11hip_rocprim3tagENSA_11use_defaultESG_EEEEPS6_SJ_NS0_5tupleIJPjSJ_EEENSK_IJSJ_SJ_EEES6_PlJ7is_evenIjEEEE10hipError_tPvRmT3_T4_T5_T6_T7_T9_mT8_P12ihipStream_tbDpT10_ENKUlT_T0_E_clISt17integral_constantIbLb1EES19_IbLb0EEEEDaS15_S16_EUlS15_E_NS1_11comp_targetILNS1_3genE10ELNS1_11target_archE1200ELNS1_3gpuE4ELNS1_3repE0EEENS1_30default_config_static_selectorELNS0_4arch9wavefront6targetE1EEEvT1_,comdat
	.protected	_ZN7rocprim17ROCPRIM_400000_NS6detail17trampoline_kernelINS0_14default_configENS1_25partition_config_selectorILNS1_17partition_subalgoE3EjNS0_10empty_typeEbEEZZNS1_14partition_implILS5_3ELb0ES3_jN6thrust23THRUST_200600_302600_NS6detail15normal_iteratorINSA_7pointerIjNSA_11hip_rocprim3tagENSA_11use_defaultESG_EEEEPS6_SJ_NS0_5tupleIJPjSJ_EEENSK_IJSJ_SJ_EEES6_PlJ7is_evenIjEEEE10hipError_tPvRmT3_T4_T5_T6_T7_T9_mT8_P12ihipStream_tbDpT10_ENKUlT_T0_E_clISt17integral_constantIbLb1EES19_IbLb0EEEEDaS15_S16_EUlS15_E_NS1_11comp_targetILNS1_3genE10ELNS1_11target_archE1200ELNS1_3gpuE4ELNS1_3repE0EEENS1_30default_config_static_selectorELNS0_4arch9wavefront6targetE1EEEvT1_ ; -- Begin function _ZN7rocprim17ROCPRIM_400000_NS6detail17trampoline_kernelINS0_14default_configENS1_25partition_config_selectorILNS1_17partition_subalgoE3EjNS0_10empty_typeEbEEZZNS1_14partition_implILS5_3ELb0ES3_jN6thrust23THRUST_200600_302600_NS6detail15normal_iteratorINSA_7pointerIjNSA_11hip_rocprim3tagENSA_11use_defaultESG_EEEEPS6_SJ_NS0_5tupleIJPjSJ_EEENSK_IJSJ_SJ_EEES6_PlJ7is_evenIjEEEE10hipError_tPvRmT3_T4_T5_T6_T7_T9_mT8_P12ihipStream_tbDpT10_ENKUlT_T0_E_clISt17integral_constantIbLb1EES19_IbLb0EEEEDaS15_S16_EUlS15_E_NS1_11comp_targetILNS1_3genE10ELNS1_11target_archE1200ELNS1_3gpuE4ELNS1_3repE0EEENS1_30default_config_static_selectorELNS0_4arch9wavefront6targetE1EEEvT1_
	.globl	_ZN7rocprim17ROCPRIM_400000_NS6detail17trampoline_kernelINS0_14default_configENS1_25partition_config_selectorILNS1_17partition_subalgoE3EjNS0_10empty_typeEbEEZZNS1_14partition_implILS5_3ELb0ES3_jN6thrust23THRUST_200600_302600_NS6detail15normal_iteratorINSA_7pointerIjNSA_11hip_rocprim3tagENSA_11use_defaultESG_EEEEPS6_SJ_NS0_5tupleIJPjSJ_EEENSK_IJSJ_SJ_EEES6_PlJ7is_evenIjEEEE10hipError_tPvRmT3_T4_T5_T6_T7_T9_mT8_P12ihipStream_tbDpT10_ENKUlT_T0_E_clISt17integral_constantIbLb1EES19_IbLb0EEEEDaS15_S16_EUlS15_E_NS1_11comp_targetILNS1_3genE10ELNS1_11target_archE1200ELNS1_3gpuE4ELNS1_3repE0EEENS1_30default_config_static_selectorELNS0_4arch9wavefront6targetE1EEEvT1_
	.p2align	8
	.type	_ZN7rocprim17ROCPRIM_400000_NS6detail17trampoline_kernelINS0_14default_configENS1_25partition_config_selectorILNS1_17partition_subalgoE3EjNS0_10empty_typeEbEEZZNS1_14partition_implILS5_3ELb0ES3_jN6thrust23THRUST_200600_302600_NS6detail15normal_iteratorINSA_7pointerIjNSA_11hip_rocprim3tagENSA_11use_defaultESG_EEEEPS6_SJ_NS0_5tupleIJPjSJ_EEENSK_IJSJ_SJ_EEES6_PlJ7is_evenIjEEEE10hipError_tPvRmT3_T4_T5_T6_T7_T9_mT8_P12ihipStream_tbDpT10_ENKUlT_T0_E_clISt17integral_constantIbLb1EES19_IbLb0EEEEDaS15_S16_EUlS15_E_NS1_11comp_targetILNS1_3genE10ELNS1_11target_archE1200ELNS1_3gpuE4ELNS1_3repE0EEENS1_30default_config_static_selectorELNS0_4arch9wavefront6targetE1EEEvT1_,@function
_ZN7rocprim17ROCPRIM_400000_NS6detail17trampoline_kernelINS0_14default_configENS1_25partition_config_selectorILNS1_17partition_subalgoE3EjNS0_10empty_typeEbEEZZNS1_14partition_implILS5_3ELb0ES3_jN6thrust23THRUST_200600_302600_NS6detail15normal_iteratorINSA_7pointerIjNSA_11hip_rocprim3tagENSA_11use_defaultESG_EEEEPS6_SJ_NS0_5tupleIJPjSJ_EEENSK_IJSJ_SJ_EEES6_PlJ7is_evenIjEEEE10hipError_tPvRmT3_T4_T5_T6_T7_T9_mT8_P12ihipStream_tbDpT10_ENKUlT_T0_E_clISt17integral_constantIbLb1EES19_IbLb0EEEEDaS15_S16_EUlS15_E_NS1_11comp_targetILNS1_3genE10ELNS1_11target_archE1200ELNS1_3gpuE4ELNS1_3repE0EEENS1_30default_config_static_selectorELNS0_4arch9wavefront6targetE1EEEvT1_: ; @_ZN7rocprim17ROCPRIM_400000_NS6detail17trampoline_kernelINS0_14default_configENS1_25partition_config_selectorILNS1_17partition_subalgoE3EjNS0_10empty_typeEbEEZZNS1_14partition_implILS5_3ELb0ES3_jN6thrust23THRUST_200600_302600_NS6detail15normal_iteratorINSA_7pointerIjNSA_11hip_rocprim3tagENSA_11use_defaultESG_EEEEPS6_SJ_NS0_5tupleIJPjSJ_EEENSK_IJSJ_SJ_EEES6_PlJ7is_evenIjEEEE10hipError_tPvRmT3_T4_T5_T6_T7_T9_mT8_P12ihipStream_tbDpT10_ENKUlT_T0_E_clISt17integral_constantIbLb1EES19_IbLb0EEEEDaS15_S16_EUlS15_E_NS1_11comp_targetILNS1_3genE10ELNS1_11target_archE1200ELNS1_3gpuE4ELNS1_3repE0EEENS1_30default_config_static_selectorELNS0_4arch9wavefront6targetE1EEEvT1_
; %bb.0:
	.section	.rodata,"a",@progbits
	.p2align	6, 0x0
	.amdhsa_kernel _ZN7rocprim17ROCPRIM_400000_NS6detail17trampoline_kernelINS0_14default_configENS1_25partition_config_selectorILNS1_17partition_subalgoE3EjNS0_10empty_typeEbEEZZNS1_14partition_implILS5_3ELb0ES3_jN6thrust23THRUST_200600_302600_NS6detail15normal_iteratorINSA_7pointerIjNSA_11hip_rocprim3tagENSA_11use_defaultESG_EEEEPS6_SJ_NS0_5tupleIJPjSJ_EEENSK_IJSJ_SJ_EEES6_PlJ7is_evenIjEEEE10hipError_tPvRmT3_T4_T5_T6_T7_T9_mT8_P12ihipStream_tbDpT10_ENKUlT_T0_E_clISt17integral_constantIbLb1EES19_IbLb0EEEEDaS15_S16_EUlS15_E_NS1_11comp_targetILNS1_3genE10ELNS1_11target_archE1200ELNS1_3gpuE4ELNS1_3repE0EEENS1_30default_config_static_selectorELNS0_4arch9wavefront6targetE1EEEvT1_
		.amdhsa_group_segment_fixed_size 0
		.amdhsa_private_segment_fixed_size 0
		.amdhsa_kernarg_size 120
		.amdhsa_user_sgpr_count 6
		.amdhsa_user_sgpr_private_segment_buffer 1
		.amdhsa_user_sgpr_dispatch_ptr 0
		.amdhsa_user_sgpr_queue_ptr 0
		.amdhsa_user_sgpr_kernarg_segment_ptr 1
		.amdhsa_user_sgpr_dispatch_id 0
		.amdhsa_user_sgpr_flat_scratch_init 0
		.amdhsa_user_sgpr_kernarg_preload_length 0
		.amdhsa_user_sgpr_kernarg_preload_offset 0
		.amdhsa_user_sgpr_private_segment_size 0
		.amdhsa_uses_dynamic_stack 0
		.amdhsa_system_sgpr_private_segment_wavefront_offset 0
		.amdhsa_system_sgpr_workgroup_id_x 1
		.amdhsa_system_sgpr_workgroup_id_y 0
		.amdhsa_system_sgpr_workgroup_id_z 0
		.amdhsa_system_sgpr_workgroup_info 0
		.amdhsa_system_vgpr_workitem_id 0
		.amdhsa_next_free_vgpr 1
		.amdhsa_next_free_sgpr 0
		.amdhsa_accum_offset 4
		.amdhsa_reserve_vcc 0
		.amdhsa_reserve_flat_scratch 0
		.amdhsa_float_round_mode_32 0
		.amdhsa_float_round_mode_16_64 0
		.amdhsa_float_denorm_mode_32 3
		.amdhsa_float_denorm_mode_16_64 3
		.amdhsa_dx10_clamp 1
		.amdhsa_ieee_mode 1
		.amdhsa_fp16_overflow 0
		.amdhsa_tg_split 0
		.amdhsa_exception_fp_ieee_invalid_op 0
		.amdhsa_exception_fp_denorm_src 0
		.amdhsa_exception_fp_ieee_div_zero 0
		.amdhsa_exception_fp_ieee_overflow 0
		.amdhsa_exception_fp_ieee_underflow 0
		.amdhsa_exception_fp_ieee_inexact 0
		.amdhsa_exception_int_div_zero 0
	.end_amdhsa_kernel
	.section	.text._ZN7rocprim17ROCPRIM_400000_NS6detail17trampoline_kernelINS0_14default_configENS1_25partition_config_selectorILNS1_17partition_subalgoE3EjNS0_10empty_typeEbEEZZNS1_14partition_implILS5_3ELb0ES3_jN6thrust23THRUST_200600_302600_NS6detail15normal_iteratorINSA_7pointerIjNSA_11hip_rocprim3tagENSA_11use_defaultESG_EEEEPS6_SJ_NS0_5tupleIJPjSJ_EEENSK_IJSJ_SJ_EEES6_PlJ7is_evenIjEEEE10hipError_tPvRmT3_T4_T5_T6_T7_T9_mT8_P12ihipStream_tbDpT10_ENKUlT_T0_E_clISt17integral_constantIbLb1EES19_IbLb0EEEEDaS15_S16_EUlS15_E_NS1_11comp_targetILNS1_3genE10ELNS1_11target_archE1200ELNS1_3gpuE4ELNS1_3repE0EEENS1_30default_config_static_selectorELNS0_4arch9wavefront6targetE1EEEvT1_,"axG",@progbits,_ZN7rocprim17ROCPRIM_400000_NS6detail17trampoline_kernelINS0_14default_configENS1_25partition_config_selectorILNS1_17partition_subalgoE3EjNS0_10empty_typeEbEEZZNS1_14partition_implILS5_3ELb0ES3_jN6thrust23THRUST_200600_302600_NS6detail15normal_iteratorINSA_7pointerIjNSA_11hip_rocprim3tagENSA_11use_defaultESG_EEEEPS6_SJ_NS0_5tupleIJPjSJ_EEENSK_IJSJ_SJ_EEES6_PlJ7is_evenIjEEEE10hipError_tPvRmT3_T4_T5_T6_T7_T9_mT8_P12ihipStream_tbDpT10_ENKUlT_T0_E_clISt17integral_constantIbLb1EES19_IbLb0EEEEDaS15_S16_EUlS15_E_NS1_11comp_targetILNS1_3genE10ELNS1_11target_archE1200ELNS1_3gpuE4ELNS1_3repE0EEENS1_30default_config_static_selectorELNS0_4arch9wavefront6targetE1EEEvT1_,comdat
.Lfunc_end940:
	.size	_ZN7rocprim17ROCPRIM_400000_NS6detail17trampoline_kernelINS0_14default_configENS1_25partition_config_selectorILNS1_17partition_subalgoE3EjNS0_10empty_typeEbEEZZNS1_14partition_implILS5_3ELb0ES3_jN6thrust23THRUST_200600_302600_NS6detail15normal_iteratorINSA_7pointerIjNSA_11hip_rocprim3tagENSA_11use_defaultESG_EEEEPS6_SJ_NS0_5tupleIJPjSJ_EEENSK_IJSJ_SJ_EEES6_PlJ7is_evenIjEEEE10hipError_tPvRmT3_T4_T5_T6_T7_T9_mT8_P12ihipStream_tbDpT10_ENKUlT_T0_E_clISt17integral_constantIbLb1EES19_IbLb0EEEEDaS15_S16_EUlS15_E_NS1_11comp_targetILNS1_3genE10ELNS1_11target_archE1200ELNS1_3gpuE4ELNS1_3repE0EEENS1_30default_config_static_selectorELNS0_4arch9wavefront6targetE1EEEvT1_, .Lfunc_end940-_ZN7rocprim17ROCPRIM_400000_NS6detail17trampoline_kernelINS0_14default_configENS1_25partition_config_selectorILNS1_17partition_subalgoE3EjNS0_10empty_typeEbEEZZNS1_14partition_implILS5_3ELb0ES3_jN6thrust23THRUST_200600_302600_NS6detail15normal_iteratorINSA_7pointerIjNSA_11hip_rocprim3tagENSA_11use_defaultESG_EEEEPS6_SJ_NS0_5tupleIJPjSJ_EEENSK_IJSJ_SJ_EEES6_PlJ7is_evenIjEEEE10hipError_tPvRmT3_T4_T5_T6_T7_T9_mT8_P12ihipStream_tbDpT10_ENKUlT_T0_E_clISt17integral_constantIbLb1EES19_IbLb0EEEEDaS15_S16_EUlS15_E_NS1_11comp_targetILNS1_3genE10ELNS1_11target_archE1200ELNS1_3gpuE4ELNS1_3repE0EEENS1_30default_config_static_selectorELNS0_4arch9wavefront6targetE1EEEvT1_
                                        ; -- End function
	.section	.AMDGPU.csdata,"",@progbits
; Kernel info:
; codeLenInByte = 0
; NumSgprs: 4
; NumVgprs: 0
; NumAgprs: 0
; TotalNumVgprs: 0
; ScratchSize: 0
; MemoryBound: 0
; FloatMode: 240
; IeeeMode: 1
; LDSByteSize: 0 bytes/workgroup (compile time only)
; SGPRBlocks: 0
; VGPRBlocks: 0
; NumSGPRsForWavesPerEU: 4
; NumVGPRsForWavesPerEU: 1
; AccumOffset: 4
; Occupancy: 8
; WaveLimiterHint : 0
; COMPUTE_PGM_RSRC2:SCRATCH_EN: 0
; COMPUTE_PGM_RSRC2:USER_SGPR: 6
; COMPUTE_PGM_RSRC2:TRAP_HANDLER: 0
; COMPUTE_PGM_RSRC2:TGID_X_EN: 1
; COMPUTE_PGM_RSRC2:TGID_Y_EN: 0
; COMPUTE_PGM_RSRC2:TGID_Z_EN: 0
; COMPUTE_PGM_RSRC2:TIDIG_COMP_CNT: 0
; COMPUTE_PGM_RSRC3_GFX90A:ACCUM_OFFSET: 0
; COMPUTE_PGM_RSRC3_GFX90A:TG_SPLIT: 0
	.section	.text._ZN7rocprim17ROCPRIM_400000_NS6detail17trampoline_kernelINS0_14default_configENS1_25partition_config_selectorILNS1_17partition_subalgoE3EjNS0_10empty_typeEbEEZZNS1_14partition_implILS5_3ELb0ES3_jN6thrust23THRUST_200600_302600_NS6detail15normal_iteratorINSA_7pointerIjNSA_11hip_rocprim3tagENSA_11use_defaultESG_EEEEPS6_SJ_NS0_5tupleIJPjSJ_EEENSK_IJSJ_SJ_EEES6_PlJ7is_evenIjEEEE10hipError_tPvRmT3_T4_T5_T6_T7_T9_mT8_P12ihipStream_tbDpT10_ENKUlT_T0_E_clISt17integral_constantIbLb1EES19_IbLb0EEEEDaS15_S16_EUlS15_E_NS1_11comp_targetILNS1_3genE9ELNS1_11target_archE1100ELNS1_3gpuE3ELNS1_3repE0EEENS1_30default_config_static_selectorELNS0_4arch9wavefront6targetE1EEEvT1_,"axG",@progbits,_ZN7rocprim17ROCPRIM_400000_NS6detail17trampoline_kernelINS0_14default_configENS1_25partition_config_selectorILNS1_17partition_subalgoE3EjNS0_10empty_typeEbEEZZNS1_14partition_implILS5_3ELb0ES3_jN6thrust23THRUST_200600_302600_NS6detail15normal_iteratorINSA_7pointerIjNSA_11hip_rocprim3tagENSA_11use_defaultESG_EEEEPS6_SJ_NS0_5tupleIJPjSJ_EEENSK_IJSJ_SJ_EEES6_PlJ7is_evenIjEEEE10hipError_tPvRmT3_T4_T5_T6_T7_T9_mT8_P12ihipStream_tbDpT10_ENKUlT_T0_E_clISt17integral_constantIbLb1EES19_IbLb0EEEEDaS15_S16_EUlS15_E_NS1_11comp_targetILNS1_3genE9ELNS1_11target_archE1100ELNS1_3gpuE3ELNS1_3repE0EEENS1_30default_config_static_selectorELNS0_4arch9wavefront6targetE1EEEvT1_,comdat
	.protected	_ZN7rocprim17ROCPRIM_400000_NS6detail17trampoline_kernelINS0_14default_configENS1_25partition_config_selectorILNS1_17partition_subalgoE3EjNS0_10empty_typeEbEEZZNS1_14partition_implILS5_3ELb0ES3_jN6thrust23THRUST_200600_302600_NS6detail15normal_iteratorINSA_7pointerIjNSA_11hip_rocprim3tagENSA_11use_defaultESG_EEEEPS6_SJ_NS0_5tupleIJPjSJ_EEENSK_IJSJ_SJ_EEES6_PlJ7is_evenIjEEEE10hipError_tPvRmT3_T4_T5_T6_T7_T9_mT8_P12ihipStream_tbDpT10_ENKUlT_T0_E_clISt17integral_constantIbLb1EES19_IbLb0EEEEDaS15_S16_EUlS15_E_NS1_11comp_targetILNS1_3genE9ELNS1_11target_archE1100ELNS1_3gpuE3ELNS1_3repE0EEENS1_30default_config_static_selectorELNS0_4arch9wavefront6targetE1EEEvT1_ ; -- Begin function _ZN7rocprim17ROCPRIM_400000_NS6detail17trampoline_kernelINS0_14default_configENS1_25partition_config_selectorILNS1_17partition_subalgoE3EjNS0_10empty_typeEbEEZZNS1_14partition_implILS5_3ELb0ES3_jN6thrust23THRUST_200600_302600_NS6detail15normal_iteratorINSA_7pointerIjNSA_11hip_rocprim3tagENSA_11use_defaultESG_EEEEPS6_SJ_NS0_5tupleIJPjSJ_EEENSK_IJSJ_SJ_EEES6_PlJ7is_evenIjEEEE10hipError_tPvRmT3_T4_T5_T6_T7_T9_mT8_P12ihipStream_tbDpT10_ENKUlT_T0_E_clISt17integral_constantIbLb1EES19_IbLb0EEEEDaS15_S16_EUlS15_E_NS1_11comp_targetILNS1_3genE9ELNS1_11target_archE1100ELNS1_3gpuE3ELNS1_3repE0EEENS1_30default_config_static_selectorELNS0_4arch9wavefront6targetE1EEEvT1_
	.globl	_ZN7rocprim17ROCPRIM_400000_NS6detail17trampoline_kernelINS0_14default_configENS1_25partition_config_selectorILNS1_17partition_subalgoE3EjNS0_10empty_typeEbEEZZNS1_14partition_implILS5_3ELb0ES3_jN6thrust23THRUST_200600_302600_NS6detail15normal_iteratorINSA_7pointerIjNSA_11hip_rocprim3tagENSA_11use_defaultESG_EEEEPS6_SJ_NS0_5tupleIJPjSJ_EEENSK_IJSJ_SJ_EEES6_PlJ7is_evenIjEEEE10hipError_tPvRmT3_T4_T5_T6_T7_T9_mT8_P12ihipStream_tbDpT10_ENKUlT_T0_E_clISt17integral_constantIbLb1EES19_IbLb0EEEEDaS15_S16_EUlS15_E_NS1_11comp_targetILNS1_3genE9ELNS1_11target_archE1100ELNS1_3gpuE3ELNS1_3repE0EEENS1_30default_config_static_selectorELNS0_4arch9wavefront6targetE1EEEvT1_
	.p2align	8
	.type	_ZN7rocprim17ROCPRIM_400000_NS6detail17trampoline_kernelINS0_14default_configENS1_25partition_config_selectorILNS1_17partition_subalgoE3EjNS0_10empty_typeEbEEZZNS1_14partition_implILS5_3ELb0ES3_jN6thrust23THRUST_200600_302600_NS6detail15normal_iteratorINSA_7pointerIjNSA_11hip_rocprim3tagENSA_11use_defaultESG_EEEEPS6_SJ_NS0_5tupleIJPjSJ_EEENSK_IJSJ_SJ_EEES6_PlJ7is_evenIjEEEE10hipError_tPvRmT3_T4_T5_T6_T7_T9_mT8_P12ihipStream_tbDpT10_ENKUlT_T0_E_clISt17integral_constantIbLb1EES19_IbLb0EEEEDaS15_S16_EUlS15_E_NS1_11comp_targetILNS1_3genE9ELNS1_11target_archE1100ELNS1_3gpuE3ELNS1_3repE0EEENS1_30default_config_static_selectorELNS0_4arch9wavefront6targetE1EEEvT1_,@function
_ZN7rocprim17ROCPRIM_400000_NS6detail17trampoline_kernelINS0_14default_configENS1_25partition_config_selectorILNS1_17partition_subalgoE3EjNS0_10empty_typeEbEEZZNS1_14partition_implILS5_3ELb0ES3_jN6thrust23THRUST_200600_302600_NS6detail15normal_iteratorINSA_7pointerIjNSA_11hip_rocprim3tagENSA_11use_defaultESG_EEEEPS6_SJ_NS0_5tupleIJPjSJ_EEENSK_IJSJ_SJ_EEES6_PlJ7is_evenIjEEEE10hipError_tPvRmT3_T4_T5_T6_T7_T9_mT8_P12ihipStream_tbDpT10_ENKUlT_T0_E_clISt17integral_constantIbLb1EES19_IbLb0EEEEDaS15_S16_EUlS15_E_NS1_11comp_targetILNS1_3genE9ELNS1_11target_archE1100ELNS1_3gpuE3ELNS1_3repE0EEENS1_30default_config_static_selectorELNS0_4arch9wavefront6targetE1EEEvT1_: ; @_ZN7rocprim17ROCPRIM_400000_NS6detail17trampoline_kernelINS0_14default_configENS1_25partition_config_selectorILNS1_17partition_subalgoE3EjNS0_10empty_typeEbEEZZNS1_14partition_implILS5_3ELb0ES3_jN6thrust23THRUST_200600_302600_NS6detail15normal_iteratorINSA_7pointerIjNSA_11hip_rocprim3tagENSA_11use_defaultESG_EEEEPS6_SJ_NS0_5tupleIJPjSJ_EEENSK_IJSJ_SJ_EEES6_PlJ7is_evenIjEEEE10hipError_tPvRmT3_T4_T5_T6_T7_T9_mT8_P12ihipStream_tbDpT10_ENKUlT_T0_E_clISt17integral_constantIbLb1EES19_IbLb0EEEEDaS15_S16_EUlS15_E_NS1_11comp_targetILNS1_3genE9ELNS1_11target_archE1100ELNS1_3gpuE3ELNS1_3repE0EEENS1_30default_config_static_selectorELNS0_4arch9wavefront6targetE1EEEvT1_
; %bb.0:
	.section	.rodata,"a",@progbits
	.p2align	6, 0x0
	.amdhsa_kernel _ZN7rocprim17ROCPRIM_400000_NS6detail17trampoline_kernelINS0_14default_configENS1_25partition_config_selectorILNS1_17partition_subalgoE3EjNS0_10empty_typeEbEEZZNS1_14partition_implILS5_3ELb0ES3_jN6thrust23THRUST_200600_302600_NS6detail15normal_iteratorINSA_7pointerIjNSA_11hip_rocprim3tagENSA_11use_defaultESG_EEEEPS6_SJ_NS0_5tupleIJPjSJ_EEENSK_IJSJ_SJ_EEES6_PlJ7is_evenIjEEEE10hipError_tPvRmT3_T4_T5_T6_T7_T9_mT8_P12ihipStream_tbDpT10_ENKUlT_T0_E_clISt17integral_constantIbLb1EES19_IbLb0EEEEDaS15_S16_EUlS15_E_NS1_11comp_targetILNS1_3genE9ELNS1_11target_archE1100ELNS1_3gpuE3ELNS1_3repE0EEENS1_30default_config_static_selectorELNS0_4arch9wavefront6targetE1EEEvT1_
		.amdhsa_group_segment_fixed_size 0
		.amdhsa_private_segment_fixed_size 0
		.amdhsa_kernarg_size 120
		.amdhsa_user_sgpr_count 6
		.amdhsa_user_sgpr_private_segment_buffer 1
		.amdhsa_user_sgpr_dispatch_ptr 0
		.amdhsa_user_sgpr_queue_ptr 0
		.amdhsa_user_sgpr_kernarg_segment_ptr 1
		.amdhsa_user_sgpr_dispatch_id 0
		.amdhsa_user_sgpr_flat_scratch_init 0
		.amdhsa_user_sgpr_kernarg_preload_length 0
		.amdhsa_user_sgpr_kernarg_preload_offset 0
		.amdhsa_user_sgpr_private_segment_size 0
		.amdhsa_uses_dynamic_stack 0
		.amdhsa_system_sgpr_private_segment_wavefront_offset 0
		.amdhsa_system_sgpr_workgroup_id_x 1
		.amdhsa_system_sgpr_workgroup_id_y 0
		.amdhsa_system_sgpr_workgroup_id_z 0
		.amdhsa_system_sgpr_workgroup_info 0
		.amdhsa_system_vgpr_workitem_id 0
		.amdhsa_next_free_vgpr 1
		.amdhsa_next_free_sgpr 0
		.amdhsa_accum_offset 4
		.amdhsa_reserve_vcc 0
		.amdhsa_reserve_flat_scratch 0
		.amdhsa_float_round_mode_32 0
		.amdhsa_float_round_mode_16_64 0
		.amdhsa_float_denorm_mode_32 3
		.amdhsa_float_denorm_mode_16_64 3
		.amdhsa_dx10_clamp 1
		.amdhsa_ieee_mode 1
		.amdhsa_fp16_overflow 0
		.amdhsa_tg_split 0
		.amdhsa_exception_fp_ieee_invalid_op 0
		.amdhsa_exception_fp_denorm_src 0
		.amdhsa_exception_fp_ieee_div_zero 0
		.amdhsa_exception_fp_ieee_overflow 0
		.amdhsa_exception_fp_ieee_underflow 0
		.amdhsa_exception_fp_ieee_inexact 0
		.amdhsa_exception_int_div_zero 0
	.end_amdhsa_kernel
	.section	.text._ZN7rocprim17ROCPRIM_400000_NS6detail17trampoline_kernelINS0_14default_configENS1_25partition_config_selectorILNS1_17partition_subalgoE3EjNS0_10empty_typeEbEEZZNS1_14partition_implILS5_3ELb0ES3_jN6thrust23THRUST_200600_302600_NS6detail15normal_iteratorINSA_7pointerIjNSA_11hip_rocprim3tagENSA_11use_defaultESG_EEEEPS6_SJ_NS0_5tupleIJPjSJ_EEENSK_IJSJ_SJ_EEES6_PlJ7is_evenIjEEEE10hipError_tPvRmT3_T4_T5_T6_T7_T9_mT8_P12ihipStream_tbDpT10_ENKUlT_T0_E_clISt17integral_constantIbLb1EES19_IbLb0EEEEDaS15_S16_EUlS15_E_NS1_11comp_targetILNS1_3genE9ELNS1_11target_archE1100ELNS1_3gpuE3ELNS1_3repE0EEENS1_30default_config_static_selectorELNS0_4arch9wavefront6targetE1EEEvT1_,"axG",@progbits,_ZN7rocprim17ROCPRIM_400000_NS6detail17trampoline_kernelINS0_14default_configENS1_25partition_config_selectorILNS1_17partition_subalgoE3EjNS0_10empty_typeEbEEZZNS1_14partition_implILS5_3ELb0ES3_jN6thrust23THRUST_200600_302600_NS6detail15normal_iteratorINSA_7pointerIjNSA_11hip_rocprim3tagENSA_11use_defaultESG_EEEEPS6_SJ_NS0_5tupleIJPjSJ_EEENSK_IJSJ_SJ_EEES6_PlJ7is_evenIjEEEE10hipError_tPvRmT3_T4_T5_T6_T7_T9_mT8_P12ihipStream_tbDpT10_ENKUlT_T0_E_clISt17integral_constantIbLb1EES19_IbLb0EEEEDaS15_S16_EUlS15_E_NS1_11comp_targetILNS1_3genE9ELNS1_11target_archE1100ELNS1_3gpuE3ELNS1_3repE0EEENS1_30default_config_static_selectorELNS0_4arch9wavefront6targetE1EEEvT1_,comdat
.Lfunc_end941:
	.size	_ZN7rocprim17ROCPRIM_400000_NS6detail17trampoline_kernelINS0_14default_configENS1_25partition_config_selectorILNS1_17partition_subalgoE3EjNS0_10empty_typeEbEEZZNS1_14partition_implILS5_3ELb0ES3_jN6thrust23THRUST_200600_302600_NS6detail15normal_iteratorINSA_7pointerIjNSA_11hip_rocprim3tagENSA_11use_defaultESG_EEEEPS6_SJ_NS0_5tupleIJPjSJ_EEENSK_IJSJ_SJ_EEES6_PlJ7is_evenIjEEEE10hipError_tPvRmT3_T4_T5_T6_T7_T9_mT8_P12ihipStream_tbDpT10_ENKUlT_T0_E_clISt17integral_constantIbLb1EES19_IbLb0EEEEDaS15_S16_EUlS15_E_NS1_11comp_targetILNS1_3genE9ELNS1_11target_archE1100ELNS1_3gpuE3ELNS1_3repE0EEENS1_30default_config_static_selectorELNS0_4arch9wavefront6targetE1EEEvT1_, .Lfunc_end941-_ZN7rocprim17ROCPRIM_400000_NS6detail17trampoline_kernelINS0_14default_configENS1_25partition_config_selectorILNS1_17partition_subalgoE3EjNS0_10empty_typeEbEEZZNS1_14partition_implILS5_3ELb0ES3_jN6thrust23THRUST_200600_302600_NS6detail15normal_iteratorINSA_7pointerIjNSA_11hip_rocprim3tagENSA_11use_defaultESG_EEEEPS6_SJ_NS0_5tupleIJPjSJ_EEENSK_IJSJ_SJ_EEES6_PlJ7is_evenIjEEEE10hipError_tPvRmT3_T4_T5_T6_T7_T9_mT8_P12ihipStream_tbDpT10_ENKUlT_T0_E_clISt17integral_constantIbLb1EES19_IbLb0EEEEDaS15_S16_EUlS15_E_NS1_11comp_targetILNS1_3genE9ELNS1_11target_archE1100ELNS1_3gpuE3ELNS1_3repE0EEENS1_30default_config_static_selectorELNS0_4arch9wavefront6targetE1EEEvT1_
                                        ; -- End function
	.section	.AMDGPU.csdata,"",@progbits
; Kernel info:
; codeLenInByte = 0
; NumSgprs: 4
; NumVgprs: 0
; NumAgprs: 0
; TotalNumVgprs: 0
; ScratchSize: 0
; MemoryBound: 0
; FloatMode: 240
; IeeeMode: 1
; LDSByteSize: 0 bytes/workgroup (compile time only)
; SGPRBlocks: 0
; VGPRBlocks: 0
; NumSGPRsForWavesPerEU: 4
; NumVGPRsForWavesPerEU: 1
; AccumOffset: 4
; Occupancy: 8
; WaveLimiterHint : 0
; COMPUTE_PGM_RSRC2:SCRATCH_EN: 0
; COMPUTE_PGM_RSRC2:USER_SGPR: 6
; COMPUTE_PGM_RSRC2:TRAP_HANDLER: 0
; COMPUTE_PGM_RSRC2:TGID_X_EN: 1
; COMPUTE_PGM_RSRC2:TGID_Y_EN: 0
; COMPUTE_PGM_RSRC2:TGID_Z_EN: 0
; COMPUTE_PGM_RSRC2:TIDIG_COMP_CNT: 0
; COMPUTE_PGM_RSRC3_GFX90A:ACCUM_OFFSET: 0
; COMPUTE_PGM_RSRC3_GFX90A:TG_SPLIT: 0
	.section	.text._ZN7rocprim17ROCPRIM_400000_NS6detail17trampoline_kernelINS0_14default_configENS1_25partition_config_selectorILNS1_17partition_subalgoE3EjNS0_10empty_typeEbEEZZNS1_14partition_implILS5_3ELb0ES3_jN6thrust23THRUST_200600_302600_NS6detail15normal_iteratorINSA_7pointerIjNSA_11hip_rocprim3tagENSA_11use_defaultESG_EEEEPS6_SJ_NS0_5tupleIJPjSJ_EEENSK_IJSJ_SJ_EEES6_PlJ7is_evenIjEEEE10hipError_tPvRmT3_T4_T5_T6_T7_T9_mT8_P12ihipStream_tbDpT10_ENKUlT_T0_E_clISt17integral_constantIbLb1EES19_IbLb0EEEEDaS15_S16_EUlS15_E_NS1_11comp_targetILNS1_3genE8ELNS1_11target_archE1030ELNS1_3gpuE2ELNS1_3repE0EEENS1_30default_config_static_selectorELNS0_4arch9wavefront6targetE1EEEvT1_,"axG",@progbits,_ZN7rocprim17ROCPRIM_400000_NS6detail17trampoline_kernelINS0_14default_configENS1_25partition_config_selectorILNS1_17partition_subalgoE3EjNS0_10empty_typeEbEEZZNS1_14partition_implILS5_3ELb0ES3_jN6thrust23THRUST_200600_302600_NS6detail15normal_iteratorINSA_7pointerIjNSA_11hip_rocprim3tagENSA_11use_defaultESG_EEEEPS6_SJ_NS0_5tupleIJPjSJ_EEENSK_IJSJ_SJ_EEES6_PlJ7is_evenIjEEEE10hipError_tPvRmT3_T4_T5_T6_T7_T9_mT8_P12ihipStream_tbDpT10_ENKUlT_T0_E_clISt17integral_constantIbLb1EES19_IbLb0EEEEDaS15_S16_EUlS15_E_NS1_11comp_targetILNS1_3genE8ELNS1_11target_archE1030ELNS1_3gpuE2ELNS1_3repE0EEENS1_30default_config_static_selectorELNS0_4arch9wavefront6targetE1EEEvT1_,comdat
	.protected	_ZN7rocprim17ROCPRIM_400000_NS6detail17trampoline_kernelINS0_14default_configENS1_25partition_config_selectorILNS1_17partition_subalgoE3EjNS0_10empty_typeEbEEZZNS1_14partition_implILS5_3ELb0ES3_jN6thrust23THRUST_200600_302600_NS6detail15normal_iteratorINSA_7pointerIjNSA_11hip_rocprim3tagENSA_11use_defaultESG_EEEEPS6_SJ_NS0_5tupleIJPjSJ_EEENSK_IJSJ_SJ_EEES6_PlJ7is_evenIjEEEE10hipError_tPvRmT3_T4_T5_T6_T7_T9_mT8_P12ihipStream_tbDpT10_ENKUlT_T0_E_clISt17integral_constantIbLb1EES19_IbLb0EEEEDaS15_S16_EUlS15_E_NS1_11comp_targetILNS1_3genE8ELNS1_11target_archE1030ELNS1_3gpuE2ELNS1_3repE0EEENS1_30default_config_static_selectorELNS0_4arch9wavefront6targetE1EEEvT1_ ; -- Begin function _ZN7rocprim17ROCPRIM_400000_NS6detail17trampoline_kernelINS0_14default_configENS1_25partition_config_selectorILNS1_17partition_subalgoE3EjNS0_10empty_typeEbEEZZNS1_14partition_implILS5_3ELb0ES3_jN6thrust23THRUST_200600_302600_NS6detail15normal_iteratorINSA_7pointerIjNSA_11hip_rocprim3tagENSA_11use_defaultESG_EEEEPS6_SJ_NS0_5tupleIJPjSJ_EEENSK_IJSJ_SJ_EEES6_PlJ7is_evenIjEEEE10hipError_tPvRmT3_T4_T5_T6_T7_T9_mT8_P12ihipStream_tbDpT10_ENKUlT_T0_E_clISt17integral_constantIbLb1EES19_IbLb0EEEEDaS15_S16_EUlS15_E_NS1_11comp_targetILNS1_3genE8ELNS1_11target_archE1030ELNS1_3gpuE2ELNS1_3repE0EEENS1_30default_config_static_selectorELNS0_4arch9wavefront6targetE1EEEvT1_
	.globl	_ZN7rocprim17ROCPRIM_400000_NS6detail17trampoline_kernelINS0_14default_configENS1_25partition_config_selectorILNS1_17partition_subalgoE3EjNS0_10empty_typeEbEEZZNS1_14partition_implILS5_3ELb0ES3_jN6thrust23THRUST_200600_302600_NS6detail15normal_iteratorINSA_7pointerIjNSA_11hip_rocprim3tagENSA_11use_defaultESG_EEEEPS6_SJ_NS0_5tupleIJPjSJ_EEENSK_IJSJ_SJ_EEES6_PlJ7is_evenIjEEEE10hipError_tPvRmT3_T4_T5_T6_T7_T9_mT8_P12ihipStream_tbDpT10_ENKUlT_T0_E_clISt17integral_constantIbLb1EES19_IbLb0EEEEDaS15_S16_EUlS15_E_NS1_11comp_targetILNS1_3genE8ELNS1_11target_archE1030ELNS1_3gpuE2ELNS1_3repE0EEENS1_30default_config_static_selectorELNS0_4arch9wavefront6targetE1EEEvT1_
	.p2align	8
	.type	_ZN7rocprim17ROCPRIM_400000_NS6detail17trampoline_kernelINS0_14default_configENS1_25partition_config_selectorILNS1_17partition_subalgoE3EjNS0_10empty_typeEbEEZZNS1_14partition_implILS5_3ELb0ES3_jN6thrust23THRUST_200600_302600_NS6detail15normal_iteratorINSA_7pointerIjNSA_11hip_rocprim3tagENSA_11use_defaultESG_EEEEPS6_SJ_NS0_5tupleIJPjSJ_EEENSK_IJSJ_SJ_EEES6_PlJ7is_evenIjEEEE10hipError_tPvRmT3_T4_T5_T6_T7_T9_mT8_P12ihipStream_tbDpT10_ENKUlT_T0_E_clISt17integral_constantIbLb1EES19_IbLb0EEEEDaS15_S16_EUlS15_E_NS1_11comp_targetILNS1_3genE8ELNS1_11target_archE1030ELNS1_3gpuE2ELNS1_3repE0EEENS1_30default_config_static_selectorELNS0_4arch9wavefront6targetE1EEEvT1_,@function
_ZN7rocprim17ROCPRIM_400000_NS6detail17trampoline_kernelINS0_14default_configENS1_25partition_config_selectorILNS1_17partition_subalgoE3EjNS0_10empty_typeEbEEZZNS1_14partition_implILS5_3ELb0ES3_jN6thrust23THRUST_200600_302600_NS6detail15normal_iteratorINSA_7pointerIjNSA_11hip_rocprim3tagENSA_11use_defaultESG_EEEEPS6_SJ_NS0_5tupleIJPjSJ_EEENSK_IJSJ_SJ_EEES6_PlJ7is_evenIjEEEE10hipError_tPvRmT3_T4_T5_T6_T7_T9_mT8_P12ihipStream_tbDpT10_ENKUlT_T0_E_clISt17integral_constantIbLb1EES19_IbLb0EEEEDaS15_S16_EUlS15_E_NS1_11comp_targetILNS1_3genE8ELNS1_11target_archE1030ELNS1_3gpuE2ELNS1_3repE0EEENS1_30default_config_static_selectorELNS0_4arch9wavefront6targetE1EEEvT1_: ; @_ZN7rocprim17ROCPRIM_400000_NS6detail17trampoline_kernelINS0_14default_configENS1_25partition_config_selectorILNS1_17partition_subalgoE3EjNS0_10empty_typeEbEEZZNS1_14partition_implILS5_3ELb0ES3_jN6thrust23THRUST_200600_302600_NS6detail15normal_iteratorINSA_7pointerIjNSA_11hip_rocprim3tagENSA_11use_defaultESG_EEEEPS6_SJ_NS0_5tupleIJPjSJ_EEENSK_IJSJ_SJ_EEES6_PlJ7is_evenIjEEEE10hipError_tPvRmT3_T4_T5_T6_T7_T9_mT8_P12ihipStream_tbDpT10_ENKUlT_T0_E_clISt17integral_constantIbLb1EES19_IbLb0EEEEDaS15_S16_EUlS15_E_NS1_11comp_targetILNS1_3genE8ELNS1_11target_archE1030ELNS1_3gpuE2ELNS1_3repE0EEENS1_30default_config_static_selectorELNS0_4arch9wavefront6targetE1EEEvT1_
; %bb.0:
	.section	.rodata,"a",@progbits
	.p2align	6, 0x0
	.amdhsa_kernel _ZN7rocprim17ROCPRIM_400000_NS6detail17trampoline_kernelINS0_14default_configENS1_25partition_config_selectorILNS1_17partition_subalgoE3EjNS0_10empty_typeEbEEZZNS1_14partition_implILS5_3ELb0ES3_jN6thrust23THRUST_200600_302600_NS6detail15normal_iteratorINSA_7pointerIjNSA_11hip_rocprim3tagENSA_11use_defaultESG_EEEEPS6_SJ_NS0_5tupleIJPjSJ_EEENSK_IJSJ_SJ_EEES6_PlJ7is_evenIjEEEE10hipError_tPvRmT3_T4_T5_T6_T7_T9_mT8_P12ihipStream_tbDpT10_ENKUlT_T0_E_clISt17integral_constantIbLb1EES19_IbLb0EEEEDaS15_S16_EUlS15_E_NS1_11comp_targetILNS1_3genE8ELNS1_11target_archE1030ELNS1_3gpuE2ELNS1_3repE0EEENS1_30default_config_static_selectorELNS0_4arch9wavefront6targetE1EEEvT1_
		.amdhsa_group_segment_fixed_size 0
		.amdhsa_private_segment_fixed_size 0
		.amdhsa_kernarg_size 120
		.amdhsa_user_sgpr_count 6
		.amdhsa_user_sgpr_private_segment_buffer 1
		.amdhsa_user_sgpr_dispatch_ptr 0
		.amdhsa_user_sgpr_queue_ptr 0
		.amdhsa_user_sgpr_kernarg_segment_ptr 1
		.amdhsa_user_sgpr_dispatch_id 0
		.amdhsa_user_sgpr_flat_scratch_init 0
		.amdhsa_user_sgpr_kernarg_preload_length 0
		.amdhsa_user_sgpr_kernarg_preload_offset 0
		.amdhsa_user_sgpr_private_segment_size 0
		.amdhsa_uses_dynamic_stack 0
		.amdhsa_system_sgpr_private_segment_wavefront_offset 0
		.amdhsa_system_sgpr_workgroup_id_x 1
		.amdhsa_system_sgpr_workgroup_id_y 0
		.amdhsa_system_sgpr_workgroup_id_z 0
		.amdhsa_system_sgpr_workgroup_info 0
		.amdhsa_system_vgpr_workitem_id 0
		.amdhsa_next_free_vgpr 1
		.amdhsa_next_free_sgpr 0
		.amdhsa_accum_offset 4
		.amdhsa_reserve_vcc 0
		.amdhsa_reserve_flat_scratch 0
		.amdhsa_float_round_mode_32 0
		.amdhsa_float_round_mode_16_64 0
		.amdhsa_float_denorm_mode_32 3
		.amdhsa_float_denorm_mode_16_64 3
		.amdhsa_dx10_clamp 1
		.amdhsa_ieee_mode 1
		.amdhsa_fp16_overflow 0
		.amdhsa_tg_split 0
		.amdhsa_exception_fp_ieee_invalid_op 0
		.amdhsa_exception_fp_denorm_src 0
		.amdhsa_exception_fp_ieee_div_zero 0
		.amdhsa_exception_fp_ieee_overflow 0
		.amdhsa_exception_fp_ieee_underflow 0
		.amdhsa_exception_fp_ieee_inexact 0
		.amdhsa_exception_int_div_zero 0
	.end_amdhsa_kernel
	.section	.text._ZN7rocprim17ROCPRIM_400000_NS6detail17trampoline_kernelINS0_14default_configENS1_25partition_config_selectorILNS1_17partition_subalgoE3EjNS0_10empty_typeEbEEZZNS1_14partition_implILS5_3ELb0ES3_jN6thrust23THRUST_200600_302600_NS6detail15normal_iteratorINSA_7pointerIjNSA_11hip_rocprim3tagENSA_11use_defaultESG_EEEEPS6_SJ_NS0_5tupleIJPjSJ_EEENSK_IJSJ_SJ_EEES6_PlJ7is_evenIjEEEE10hipError_tPvRmT3_T4_T5_T6_T7_T9_mT8_P12ihipStream_tbDpT10_ENKUlT_T0_E_clISt17integral_constantIbLb1EES19_IbLb0EEEEDaS15_S16_EUlS15_E_NS1_11comp_targetILNS1_3genE8ELNS1_11target_archE1030ELNS1_3gpuE2ELNS1_3repE0EEENS1_30default_config_static_selectorELNS0_4arch9wavefront6targetE1EEEvT1_,"axG",@progbits,_ZN7rocprim17ROCPRIM_400000_NS6detail17trampoline_kernelINS0_14default_configENS1_25partition_config_selectorILNS1_17partition_subalgoE3EjNS0_10empty_typeEbEEZZNS1_14partition_implILS5_3ELb0ES3_jN6thrust23THRUST_200600_302600_NS6detail15normal_iteratorINSA_7pointerIjNSA_11hip_rocprim3tagENSA_11use_defaultESG_EEEEPS6_SJ_NS0_5tupleIJPjSJ_EEENSK_IJSJ_SJ_EEES6_PlJ7is_evenIjEEEE10hipError_tPvRmT3_T4_T5_T6_T7_T9_mT8_P12ihipStream_tbDpT10_ENKUlT_T0_E_clISt17integral_constantIbLb1EES19_IbLb0EEEEDaS15_S16_EUlS15_E_NS1_11comp_targetILNS1_3genE8ELNS1_11target_archE1030ELNS1_3gpuE2ELNS1_3repE0EEENS1_30default_config_static_selectorELNS0_4arch9wavefront6targetE1EEEvT1_,comdat
.Lfunc_end942:
	.size	_ZN7rocprim17ROCPRIM_400000_NS6detail17trampoline_kernelINS0_14default_configENS1_25partition_config_selectorILNS1_17partition_subalgoE3EjNS0_10empty_typeEbEEZZNS1_14partition_implILS5_3ELb0ES3_jN6thrust23THRUST_200600_302600_NS6detail15normal_iteratorINSA_7pointerIjNSA_11hip_rocprim3tagENSA_11use_defaultESG_EEEEPS6_SJ_NS0_5tupleIJPjSJ_EEENSK_IJSJ_SJ_EEES6_PlJ7is_evenIjEEEE10hipError_tPvRmT3_T4_T5_T6_T7_T9_mT8_P12ihipStream_tbDpT10_ENKUlT_T0_E_clISt17integral_constantIbLb1EES19_IbLb0EEEEDaS15_S16_EUlS15_E_NS1_11comp_targetILNS1_3genE8ELNS1_11target_archE1030ELNS1_3gpuE2ELNS1_3repE0EEENS1_30default_config_static_selectorELNS0_4arch9wavefront6targetE1EEEvT1_, .Lfunc_end942-_ZN7rocprim17ROCPRIM_400000_NS6detail17trampoline_kernelINS0_14default_configENS1_25partition_config_selectorILNS1_17partition_subalgoE3EjNS0_10empty_typeEbEEZZNS1_14partition_implILS5_3ELb0ES3_jN6thrust23THRUST_200600_302600_NS6detail15normal_iteratorINSA_7pointerIjNSA_11hip_rocprim3tagENSA_11use_defaultESG_EEEEPS6_SJ_NS0_5tupleIJPjSJ_EEENSK_IJSJ_SJ_EEES6_PlJ7is_evenIjEEEE10hipError_tPvRmT3_T4_T5_T6_T7_T9_mT8_P12ihipStream_tbDpT10_ENKUlT_T0_E_clISt17integral_constantIbLb1EES19_IbLb0EEEEDaS15_S16_EUlS15_E_NS1_11comp_targetILNS1_3genE8ELNS1_11target_archE1030ELNS1_3gpuE2ELNS1_3repE0EEENS1_30default_config_static_selectorELNS0_4arch9wavefront6targetE1EEEvT1_
                                        ; -- End function
	.section	.AMDGPU.csdata,"",@progbits
; Kernel info:
; codeLenInByte = 0
; NumSgprs: 4
; NumVgprs: 0
; NumAgprs: 0
; TotalNumVgprs: 0
; ScratchSize: 0
; MemoryBound: 0
; FloatMode: 240
; IeeeMode: 1
; LDSByteSize: 0 bytes/workgroup (compile time only)
; SGPRBlocks: 0
; VGPRBlocks: 0
; NumSGPRsForWavesPerEU: 4
; NumVGPRsForWavesPerEU: 1
; AccumOffset: 4
; Occupancy: 8
; WaveLimiterHint : 0
; COMPUTE_PGM_RSRC2:SCRATCH_EN: 0
; COMPUTE_PGM_RSRC2:USER_SGPR: 6
; COMPUTE_PGM_RSRC2:TRAP_HANDLER: 0
; COMPUTE_PGM_RSRC2:TGID_X_EN: 1
; COMPUTE_PGM_RSRC2:TGID_Y_EN: 0
; COMPUTE_PGM_RSRC2:TGID_Z_EN: 0
; COMPUTE_PGM_RSRC2:TIDIG_COMP_CNT: 0
; COMPUTE_PGM_RSRC3_GFX90A:ACCUM_OFFSET: 0
; COMPUTE_PGM_RSRC3_GFX90A:TG_SPLIT: 0
	.section	.text._ZN7rocprim17ROCPRIM_400000_NS6detail17trampoline_kernelINS0_14default_configENS1_25partition_config_selectorILNS1_17partition_subalgoE3EjNS0_10empty_typeEbEEZZNS1_14partition_implILS5_3ELb0ES3_jN6thrust23THRUST_200600_302600_NS6detail15normal_iteratorINSA_7pointerIjNSA_11hip_rocprim3tagENSA_11use_defaultESG_EEEEPS6_SJ_NS0_5tupleIJPjSJ_EEENSK_IJSJ_SJ_EEES6_PlJ7is_evenIjEEEE10hipError_tPvRmT3_T4_T5_T6_T7_T9_mT8_P12ihipStream_tbDpT10_ENKUlT_T0_E_clISt17integral_constantIbLb0EES19_IbLb1EEEEDaS15_S16_EUlS15_E_NS1_11comp_targetILNS1_3genE0ELNS1_11target_archE4294967295ELNS1_3gpuE0ELNS1_3repE0EEENS1_30default_config_static_selectorELNS0_4arch9wavefront6targetE1EEEvT1_,"axG",@progbits,_ZN7rocprim17ROCPRIM_400000_NS6detail17trampoline_kernelINS0_14default_configENS1_25partition_config_selectorILNS1_17partition_subalgoE3EjNS0_10empty_typeEbEEZZNS1_14partition_implILS5_3ELb0ES3_jN6thrust23THRUST_200600_302600_NS6detail15normal_iteratorINSA_7pointerIjNSA_11hip_rocprim3tagENSA_11use_defaultESG_EEEEPS6_SJ_NS0_5tupleIJPjSJ_EEENSK_IJSJ_SJ_EEES6_PlJ7is_evenIjEEEE10hipError_tPvRmT3_T4_T5_T6_T7_T9_mT8_P12ihipStream_tbDpT10_ENKUlT_T0_E_clISt17integral_constantIbLb0EES19_IbLb1EEEEDaS15_S16_EUlS15_E_NS1_11comp_targetILNS1_3genE0ELNS1_11target_archE4294967295ELNS1_3gpuE0ELNS1_3repE0EEENS1_30default_config_static_selectorELNS0_4arch9wavefront6targetE1EEEvT1_,comdat
	.protected	_ZN7rocprim17ROCPRIM_400000_NS6detail17trampoline_kernelINS0_14default_configENS1_25partition_config_selectorILNS1_17partition_subalgoE3EjNS0_10empty_typeEbEEZZNS1_14partition_implILS5_3ELb0ES3_jN6thrust23THRUST_200600_302600_NS6detail15normal_iteratorINSA_7pointerIjNSA_11hip_rocprim3tagENSA_11use_defaultESG_EEEEPS6_SJ_NS0_5tupleIJPjSJ_EEENSK_IJSJ_SJ_EEES6_PlJ7is_evenIjEEEE10hipError_tPvRmT3_T4_T5_T6_T7_T9_mT8_P12ihipStream_tbDpT10_ENKUlT_T0_E_clISt17integral_constantIbLb0EES19_IbLb1EEEEDaS15_S16_EUlS15_E_NS1_11comp_targetILNS1_3genE0ELNS1_11target_archE4294967295ELNS1_3gpuE0ELNS1_3repE0EEENS1_30default_config_static_selectorELNS0_4arch9wavefront6targetE1EEEvT1_ ; -- Begin function _ZN7rocprim17ROCPRIM_400000_NS6detail17trampoline_kernelINS0_14default_configENS1_25partition_config_selectorILNS1_17partition_subalgoE3EjNS0_10empty_typeEbEEZZNS1_14partition_implILS5_3ELb0ES3_jN6thrust23THRUST_200600_302600_NS6detail15normal_iteratorINSA_7pointerIjNSA_11hip_rocprim3tagENSA_11use_defaultESG_EEEEPS6_SJ_NS0_5tupleIJPjSJ_EEENSK_IJSJ_SJ_EEES6_PlJ7is_evenIjEEEE10hipError_tPvRmT3_T4_T5_T6_T7_T9_mT8_P12ihipStream_tbDpT10_ENKUlT_T0_E_clISt17integral_constantIbLb0EES19_IbLb1EEEEDaS15_S16_EUlS15_E_NS1_11comp_targetILNS1_3genE0ELNS1_11target_archE4294967295ELNS1_3gpuE0ELNS1_3repE0EEENS1_30default_config_static_selectorELNS0_4arch9wavefront6targetE1EEEvT1_
	.globl	_ZN7rocprim17ROCPRIM_400000_NS6detail17trampoline_kernelINS0_14default_configENS1_25partition_config_selectorILNS1_17partition_subalgoE3EjNS0_10empty_typeEbEEZZNS1_14partition_implILS5_3ELb0ES3_jN6thrust23THRUST_200600_302600_NS6detail15normal_iteratorINSA_7pointerIjNSA_11hip_rocprim3tagENSA_11use_defaultESG_EEEEPS6_SJ_NS0_5tupleIJPjSJ_EEENSK_IJSJ_SJ_EEES6_PlJ7is_evenIjEEEE10hipError_tPvRmT3_T4_T5_T6_T7_T9_mT8_P12ihipStream_tbDpT10_ENKUlT_T0_E_clISt17integral_constantIbLb0EES19_IbLb1EEEEDaS15_S16_EUlS15_E_NS1_11comp_targetILNS1_3genE0ELNS1_11target_archE4294967295ELNS1_3gpuE0ELNS1_3repE0EEENS1_30default_config_static_selectorELNS0_4arch9wavefront6targetE1EEEvT1_
	.p2align	8
	.type	_ZN7rocprim17ROCPRIM_400000_NS6detail17trampoline_kernelINS0_14default_configENS1_25partition_config_selectorILNS1_17partition_subalgoE3EjNS0_10empty_typeEbEEZZNS1_14partition_implILS5_3ELb0ES3_jN6thrust23THRUST_200600_302600_NS6detail15normal_iteratorINSA_7pointerIjNSA_11hip_rocprim3tagENSA_11use_defaultESG_EEEEPS6_SJ_NS0_5tupleIJPjSJ_EEENSK_IJSJ_SJ_EEES6_PlJ7is_evenIjEEEE10hipError_tPvRmT3_T4_T5_T6_T7_T9_mT8_P12ihipStream_tbDpT10_ENKUlT_T0_E_clISt17integral_constantIbLb0EES19_IbLb1EEEEDaS15_S16_EUlS15_E_NS1_11comp_targetILNS1_3genE0ELNS1_11target_archE4294967295ELNS1_3gpuE0ELNS1_3repE0EEENS1_30default_config_static_selectorELNS0_4arch9wavefront6targetE1EEEvT1_,@function
_ZN7rocprim17ROCPRIM_400000_NS6detail17trampoline_kernelINS0_14default_configENS1_25partition_config_selectorILNS1_17partition_subalgoE3EjNS0_10empty_typeEbEEZZNS1_14partition_implILS5_3ELb0ES3_jN6thrust23THRUST_200600_302600_NS6detail15normal_iteratorINSA_7pointerIjNSA_11hip_rocprim3tagENSA_11use_defaultESG_EEEEPS6_SJ_NS0_5tupleIJPjSJ_EEENSK_IJSJ_SJ_EEES6_PlJ7is_evenIjEEEE10hipError_tPvRmT3_T4_T5_T6_T7_T9_mT8_P12ihipStream_tbDpT10_ENKUlT_T0_E_clISt17integral_constantIbLb0EES19_IbLb1EEEEDaS15_S16_EUlS15_E_NS1_11comp_targetILNS1_3genE0ELNS1_11target_archE4294967295ELNS1_3gpuE0ELNS1_3repE0EEENS1_30default_config_static_selectorELNS0_4arch9wavefront6targetE1EEEvT1_: ; @_ZN7rocprim17ROCPRIM_400000_NS6detail17trampoline_kernelINS0_14default_configENS1_25partition_config_selectorILNS1_17partition_subalgoE3EjNS0_10empty_typeEbEEZZNS1_14partition_implILS5_3ELb0ES3_jN6thrust23THRUST_200600_302600_NS6detail15normal_iteratorINSA_7pointerIjNSA_11hip_rocprim3tagENSA_11use_defaultESG_EEEEPS6_SJ_NS0_5tupleIJPjSJ_EEENSK_IJSJ_SJ_EEES6_PlJ7is_evenIjEEEE10hipError_tPvRmT3_T4_T5_T6_T7_T9_mT8_P12ihipStream_tbDpT10_ENKUlT_T0_E_clISt17integral_constantIbLb0EES19_IbLb1EEEEDaS15_S16_EUlS15_E_NS1_11comp_targetILNS1_3genE0ELNS1_11target_archE4294967295ELNS1_3gpuE0ELNS1_3repE0EEENS1_30default_config_static_selectorELNS0_4arch9wavefront6targetE1EEEvT1_
; %bb.0:
	.section	.rodata,"a",@progbits
	.p2align	6, 0x0
	.amdhsa_kernel _ZN7rocprim17ROCPRIM_400000_NS6detail17trampoline_kernelINS0_14default_configENS1_25partition_config_selectorILNS1_17partition_subalgoE3EjNS0_10empty_typeEbEEZZNS1_14partition_implILS5_3ELb0ES3_jN6thrust23THRUST_200600_302600_NS6detail15normal_iteratorINSA_7pointerIjNSA_11hip_rocprim3tagENSA_11use_defaultESG_EEEEPS6_SJ_NS0_5tupleIJPjSJ_EEENSK_IJSJ_SJ_EEES6_PlJ7is_evenIjEEEE10hipError_tPvRmT3_T4_T5_T6_T7_T9_mT8_P12ihipStream_tbDpT10_ENKUlT_T0_E_clISt17integral_constantIbLb0EES19_IbLb1EEEEDaS15_S16_EUlS15_E_NS1_11comp_targetILNS1_3genE0ELNS1_11target_archE4294967295ELNS1_3gpuE0ELNS1_3repE0EEENS1_30default_config_static_selectorELNS0_4arch9wavefront6targetE1EEEvT1_
		.amdhsa_group_segment_fixed_size 0
		.amdhsa_private_segment_fixed_size 0
		.amdhsa_kernarg_size 136
		.amdhsa_user_sgpr_count 6
		.amdhsa_user_sgpr_private_segment_buffer 1
		.amdhsa_user_sgpr_dispatch_ptr 0
		.amdhsa_user_sgpr_queue_ptr 0
		.amdhsa_user_sgpr_kernarg_segment_ptr 1
		.amdhsa_user_sgpr_dispatch_id 0
		.amdhsa_user_sgpr_flat_scratch_init 0
		.amdhsa_user_sgpr_kernarg_preload_length 0
		.amdhsa_user_sgpr_kernarg_preload_offset 0
		.amdhsa_user_sgpr_private_segment_size 0
		.amdhsa_uses_dynamic_stack 0
		.amdhsa_system_sgpr_private_segment_wavefront_offset 0
		.amdhsa_system_sgpr_workgroup_id_x 1
		.amdhsa_system_sgpr_workgroup_id_y 0
		.amdhsa_system_sgpr_workgroup_id_z 0
		.amdhsa_system_sgpr_workgroup_info 0
		.amdhsa_system_vgpr_workitem_id 0
		.amdhsa_next_free_vgpr 1
		.amdhsa_next_free_sgpr 0
		.amdhsa_accum_offset 4
		.amdhsa_reserve_vcc 0
		.amdhsa_reserve_flat_scratch 0
		.amdhsa_float_round_mode_32 0
		.amdhsa_float_round_mode_16_64 0
		.amdhsa_float_denorm_mode_32 3
		.amdhsa_float_denorm_mode_16_64 3
		.amdhsa_dx10_clamp 1
		.amdhsa_ieee_mode 1
		.amdhsa_fp16_overflow 0
		.amdhsa_tg_split 0
		.amdhsa_exception_fp_ieee_invalid_op 0
		.amdhsa_exception_fp_denorm_src 0
		.amdhsa_exception_fp_ieee_div_zero 0
		.amdhsa_exception_fp_ieee_overflow 0
		.amdhsa_exception_fp_ieee_underflow 0
		.amdhsa_exception_fp_ieee_inexact 0
		.amdhsa_exception_int_div_zero 0
	.end_amdhsa_kernel
	.section	.text._ZN7rocprim17ROCPRIM_400000_NS6detail17trampoline_kernelINS0_14default_configENS1_25partition_config_selectorILNS1_17partition_subalgoE3EjNS0_10empty_typeEbEEZZNS1_14partition_implILS5_3ELb0ES3_jN6thrust23THRUST_200600_302600_NS6detail15normal_iteratorINSA_7pointerIjNSA_11hip_rocprim3tagENSA_11use_defaultESG_EEEEPS6_SJ_NS0_5tupleIJPjSJ_EEENSK_IJSJ_SJ_EEES6_PlJ7is_evenIjEEEE10hipError_tPvRmT3_T4_T5_T6_T7_T9_mT8_P12ihipStream_tbDpT10_ENKUlT_T0_E_clISt17integral_constantIbLb0EES19_IbLb1EEEEDaS15_S16_EUlS15_E_NS1_11comp_targetILNS1_3genE0ELNS1_11target_archE4294967295ELNS1_3gpuE0ELNS1_3repE0EEENS1_30default_config_static_selectorELNS0_4arch9wavefront6targetE1EEEvT1_,"axG",@progbits,_ZN7rocprim17ROCPRIM_400000_NS6detail17trampoline_kernelINS0_14default_configENS1_25partition_config_selectorILNS1_17partition_subalgoE3EjNS0_10empty_typeEbEEZZNS1_14partition_implILS5_3ELb0ES3_jN6thrust23THRUST_200600_302600_NS6detail15normal_iteratorINSA_7pointerIjNSA_11hip_rocprim3tagENSA_11use_defaultESG_EEEEPS6_SJ_NS0_5tupleIJPjSJ_EEENSK_IJSJ_SJ_EEES6_PlJ7is_evenIjEEEE10hipError_tPvRmT3_T4_T5_T6_T7_T9_mT8_P12ihipStream_tbDpT10_ENKUlT_T0_E_clISt17integral_constantIbLb0EES19_IbLb1EEEEDaS15_S16_EUlS15_E_NS1_11comp_targetILNS1_3genE0ELNS1_11target_archE4294967295ELNS1_3gpuE0ELNS1_3repE0EEENS1_30default_config_static_selectorELNS0_4arch9wavefront6targetE1EEEvT1_,comdat
.Lfunc_end943:
	.size	_ZN7rocprim17ROCPRIM_400000_NS6detail17trampoline_kernelINS0_14default_configENS1_25partition_config_selectorILNS1_17partition_subalgoE3EjNS0_10empty_typeEbEEZZNS1_14partition_implILS5_3ELb0ES3_jN6thrust23THRUST_200600_302600_NS6detail15normal_iteratorINSA_7pointerIjNSA_11hip_rocprim3tagENSA_11use_defaultESG_EEEEPS6_SJ_NS0_5tupleIJPjSJ_EEENSK_IJSJ_SJ_EEES6_PlJ7is_evenIjEEEE10hipError_tPvRmT3_T4_T5_T6_T7_T9_mT8_P12ihipStream_tbDpT10_ENKUlT_T0_E_clISt17integral_constantIbLb0EES19_IbLb1EEEEDaS15_S16_EUlS15_E_NS1_11comp_targetILNS1_3genE0ELNS1_11target_archE4294967295ELNS1_3gpuE0ELNS1_3repE0EEENS1_30default_config_static_selectorELNS0_4arch9wavefront6targetE1EEEvT1_, .Lfunc_end943-_ZN7rocprim17ROCPRIM_400000_NS6detail17trampoline_kernelINS0_14default_configENS1_25partition_config_selectorILNS1_17partition_subalgoE3EjNS0_10empty_typeEbEEZZNS1_14partition_implILS5_3ELb0ES3_jN6thrust23THRUST_200600_302600_NS6detail15normal_iteratorINSA_7pointerIjNSA_11hip_rocprim3tagENSA_11use_defaultESG_EEEEPS6_SJ_NS0_5tupleIJPjSJ_EEENSK_IJSJ_SJ_EEES6_PlJ7is_evenIjEEEE10hipError_tPvRmT3_T4_T5_T6_T7_T9_mT8_P12ihipStream_tbDpT10_ENKUlT_T0_E_clISt17integral_constantIbLb0EES19_IbLb1EEEEDaS15_S16_EUlS15_E_NS1_11comp_targetILNS1_3genE0ELNS1_11target_archE4294967295ELNS1_3gpuE0ELNS1_3repE0EEENS1_30default_config_static_selectorELNS0_4arch9wavefront6targetE1EEEvT1_
                                        ; -- End function
	.section	.AMDGPU.csdata,"",@progbits
; Kernel info:
; codeLenInByte = 0
; NumSgprs: 4
; NumVgprs: 0
; NumAgprs: 0
; TotalNumVgprs: 0
; ScratchSize: 0
; MemoryBound: 0
; FloatMode: 240
; IeeeMode: 1
; LDSByteSize: 0 bytes/workgroup (compile time only)
; SGPRBlocks: 0
; VGPRBlocks: 0
; NumSGPRsForWavesPerEU: 4
; NumVGPRsForWavesPerEU: 1
; AccumOffset: 4
; Occupancy: 8
; WaveLimiterHint : 0
; COMPUTE_PGM_RSRC2:SCRATCH_EN: 0
; COMPUTE_PGM_RSRC2:USER_SGPR: 6
; COMPUTE_PGM_RSRC2:TRAP_HANDLER: 0
; COMPUTE_PGM_RSRC2:TGID_X_EN: 1
; COMPUTE_PGM_RSRC2:TGID_Y_EN: 0
; COMPUTE_PGM_RSRC2:TGID_Z_EN: 0
; COMPUTE_PGM_RSRC2:TIDIG_COMP_CNT: 0
; COMPUTE_PGM_RSRC3_GFX90A:ACCUM_OFFSET: 0
; COMPUTE_PGM_RSRC3_GFX90A:TG_SPLIT: 0
	.section	.text._ZN7rocprim17ROCPRIM_400000_NS6detail17trampoline_kernelINS0_14default_configENS1_25partition_config_selectorILNS1_17partition_subalgoE3EjNS0_10empty_typeEbEEZZNS1_14partition_implILS5_3ELb0ES3_jN6thrust23THRUST_200600_302600_NS6detail15normal_iteratorINSA_7pointerIjNSA_11hip_rocprim3tagENSA_11use_defaultESG_EEEEPS6_SJ_NS0_5tupleIJPjSJ_EEENSK_IJSJ_SJ_EEES6_PlJ7is_evenIjEEEE10hipError_tPvRmT3_T4_T5_T6_T7_T9_mT8_P12ihipStream_tbDpT10_ENKUlT_T0_E_clISt17integral_constantIbLb0EES19_IbLb1EEEEDaS15_S16_EUlS15_E_NS1_11comp_targetILNS1_3genE5ELNS1_11target_archE942ELNS1_3gpuE9ELNS1_3repE0EEENS1_30default_config_static_selectorELNS0_4arch9wavefront6targetE1EEEvT1_,"axG",@progbits,_ZN7rocprim17ROCPRIM_400000_NS6detail17trampoline_kernelINS0_14default_configENS1_25partition_config_selectorILNS1_17partition_subalgoE3EjNS0_10empty_typeEbEEZZNS1_14partition_implILS5_3ELb0ES3_jN6thrust23THRUST_200600_302600_NS6detail15normal_iteratorINSA_7pointerIjNSA_11hip_rocprim3tagENSA_11use_defaultESG_EEEEPS6_SJ_NS0_5tupleIJPjSJ_EEENSK_IJSJ_SJ_EEES6_PlJ7is_evenIjEEEE10hipError_tPvRmT3_T4_T5_T6_T7_T9_mT8_P12ihipStream_tbDpT10_ENKUlT_T0_E_clISt17integral_constantIbLb0EES19_IbLb1EEEEDaS15_S16_EUlS15_E_NS1_11comp_targetILNS1_3genE5ELNS1_11target_archE942ELNS1_3gpuE9ELNS1_3repE0EEENS1_30default_config_static_selectorELNS0_4arch9wavefront6targetE1EEEvT1_,comdat
	.protected	_ZN7rocprim17ROCPRIM_400000_NS6detail17trampoline_kernelINS0_14default_configENS1_25partition_config_selectorILNS1_17partition_subalgoE3EjNS0_10empty_typeEbEEZZNS1_14partition_implILS5_3ELb0ES3_jN6thrust23THRUST_200600_302600_NS6detail15normal_iteratorINSA_7pointerIjNSA_11hip_rocprim3tagENSA_11use_defaultESG_EEEEPS6_SJ_NS0_5tupleIJPjSJ_EEENSK_IJSJ_SJ_EEES6_PlJ7is_evenIjEEEE10hipError_tPvRmT3_T4_T5_T6_T7_T9_mT8_P12ihipStream_tbDpT10_ENKUlT_T0_E_clISt17integral_constantIbLb0EES19_IbLb1EEEEDaS15_S16_EUlS15_E_NS1_11comp_targetILNS1_3genE5ELNS1_11target_archE942ELNS1_3gpuE9ELNS1_3repE0EEENS1_30default_config_static_selectorELNS0_4arch9wavefront6targetE1EEEvT1_ ; -- Begin function _ZN7rocprim17ROCPRIM_400000_NS6detail17trampoline_kernelINS0_14default_configENS1_25partition_config_selectorILNS1_17partition_subalgoE3EjNS0_10empty_typeEbEEZZNS1_14partition_implILS5_3ELb0ES3_jN6thrust23THRUST_200600_302600_NS6detail15normal_iteratorINSA_7pointerIjNSA_11hip_rocprim3tagENSA_11use_defaultESG_EEEEPS6_SJ_NS0_5tupleIJPjSJ_EEENSK_IJSJ_SJ_EEES6_PlJ7is_evenIjEEEE10hipError_tPvRmT3_T4_T5_T6_T7_T9_mT8_P12ihipStream_tbDpT10_ENKUlT_T0_E_clISt17integral_constantIbLb0EES19_IbLb1EEEEDaS15_S16_EUlS15_E_NS1_11comp_targetILNS1_3genE5ELNS1_11target_archE942ELNS1_3gpuE9ELNS1_3repE0EEENS1_30default_config_static_selectorELNS0_4arch9wavefront6targetE1EEEvT1_
	.globl	_ZN7rocprim17ROCPRIM_400000_NS6detail17trampoline_kernelINS0_14default_configENS1_25partition_config_selectorILNS1_17partition_subalgoE3EjNS0_10empty_typeEbEEZZNS1_14partition_implILS5_3ELb0ES3_jN6thrust23THRUST_200600_302600_NS6detail15normal_iteratorINSA_7pointerIjNSA_11hip_rocprim3tagENSA_11use_defaultESG_EEEEPS6_SJ_NS0_5tupleIJPjSJ_EEENSK_IJSJ_SJ_EEES6_PlJ7is_evenIjEEEE10hipError_tPvRmT3_T4_T5_T6_T7_T9_mT8_P12ihipStream_tbDpT10_ENKUlT_T0_E_clISt17integral_constantIbLb0EES19_IbLb1EEEEDaS15_S16_EUlS15_E_NS1_11comp_targetILNS1_3genE5ELNS1_11target_archE942ELNS1_3gpuE9ELNS1_3repE0EEENS1_30default_config_static_selectorELNS0_4arch9wavefront6targetE1EEEvT1_
	.p2align	8
	.type	_ZN7rocprim17ROCPRIM_400000_NS6detail17trampoline_kernelINS0_14default_configENS1_25partition_config_selectorILNS1_17partition_subalgoE3EjNS0_10empty_typeEbEEZZNS1_14partition_implILS5_3ELb0ES3_jN6thrust23THRUST_200600_302600_NS6detail15normal_iteratorINSA_7pointerIjNSA_11hip_rocprim3tagENSA_11use_defaultESG_EEEEPS6_SJ_NS0_5tupleIJPjSJ_EEENSK_IJSJ_SJ_EEES6_PlJ7is_evenIjEEEE10hipError_tPvRmT3_T4_T5_T6_T7_T9_mT8_P12ihipStream_tbDpT10_ENKUlT_T0_E_clISt17integral_constantIbLb0EES19_IbLb1EEEEDaS15_S16_EUlS15_E_NS1_11comp_targetILNS1_3genE5ELNS1_11target_archE942ELNS1_3gpuE9ELNS1_3repE0EEENS1_30default_config_static_selectorELNS0_4arch9wavefront6targetE1EEEvT1_,@function
_ZN7rocprim17ROCPRIM_400000_NS6detail17trampoline_kernelINS0_14default_configENS1_25partition_config_selectorILNS1_17partition_subalgoE3EjNS0_10empty_typeEbEEZZNS1_14partition_implILS5_3ELb0ES3_jN6thrust23THRUST_200600_302600_NS6detail15normal_iteratorINSA_7pointerIjNSA_11hip_rocprim3tagENSA_11use_defaultESG_EEEEPS6_SJ_NS0_5tupleIJPjSJ_EEENSK_IJSJ_SJ_EEES6_PlJ7is_evenIjEEEE10hipError_tPvRmT3_T4_T5_T6_T7_T9_mT8_P12ihipStream_tbDpT10_ENKUlT_T0_E_clISt17integral_constantIbLb0EES19_IbLb1EEEEDaS15_S16_EUlS15_E_NS1_11comp_targetILNS1_3genE5ELNS1_11target_archE942ELNS1_3gpuE9ELNS1_3repE0EEENS1_30default_config_static_selectorELNS0_4arch9wavefront6targetE1EEEvT1_: ; @_ZN7rocprim17ROCPRIM_400000_NS6detail17trampoline_kernelINS0_14default_configENS1_25partition_config_selectorILNS1_17partition_subalgoE3EjNS0_10empty_typeEbEEZZNS1_14partition_implILS5_3ELb0ES3_jN6thrust23THRUST_200600_302600_NS6detail15normal_iteratorINSA_7pointerIjNSA_11hip_rocprim3tagENSA_11use_defaultESG_EEEEPS6_SJ_NS0_5tupleIJPjSJ_EEENSK_IJSJ_SJ_EEES6_PlJ7is_evenIjEEEE10hipError_tPvRmT3_T4_T5_T6_T7_T9_mT8_P12ihipStream_tbDpT10_ENKUlT_T0_E_clISt17integral_constantIbLb0EES19_IbLb1EEEEDaS15_S16_EUlS15_E_NS1_11comp_targetILNS1_3genE5ELNS1_11target_archE942ELNS1_3gpuE9ELNS1_3repE0EEENS1_30default_config_static_selectorELNS0_4arch9wavefront6targetE1EEEvT1_
; %bb.0:
	.section	.rodata,"a",@progbits
	.p2align	6, 0x0
	.amdhsa_kernel _ZN7rocprim17ROCPRIM_400000_NS6detail17trampoline_kernelINS0_14default_configENS1_25partition_config_selectorILNS1_17partition_subalgoE3EjNS0_10empty_typeEbEEZZNS1_14partition_implILS5_3ELb0ES3_jN6thrust23THRUST_200600_302600_NS6detail15normal_iteratorINSA_7pointerIjNSA_11hip_rocprim3tagENSA_11use_defaultESG_EEEEPS6_SJ_NS0_5tupleIJPjSJ_EEENSK_IJSJ_SJ_EEES6_PlJ7is_evenIjEEEE10hipError_tPvRmT3_T4_T5_T6_T7_T9_mT8_P12ihipStream_tbDpT10_ENKUlT_T0_E_clISt17integral_constantIbLb0EES19_IbLb1EEEEDaS15_S16_EUlS15_E_NS1_11comp_targetILNS1_3genE5ELNS1_11target_archE942ELNS1_3gpuE9ELNS1_3repE0EEENS1_30default_config_static_selectorELNS0_4arch9wavefront6targetE1EEEvT1_
		.amdhsa_group_segment_fixed_size 0
		.amdhsa_private_segment_fixed_size 0
		.amdhsa_kernarg_size 136
		.amdhsa_user_sgpr_count 6
		.amdhsa_user_sgpr_private_segment_buffer 1
		.amdhsa_user_sgpr_dispatch_ptr 0
		.amdhsa_user_sgpr_queue_ptr 0
		.amdhsa_user_sgpr_kernarg_segment_ptr 1
		.amdhsa_user_sgpr_dispatch_id 0
		.amdhsa_user_sgpr_flat_scratch_init 0
		.amdhsa_user_sgpr_kernarg_preload_length 0
		.amdhsa_user_sgpr_kernarg_preload_offset 0
		.amdhsa_user_sgpr_private_segment_size 0
		.amdhsa_uses_dynamic_stack 0
		.amdhsa_system_sgpr_private_segment_wavefront_offset 0
		.amdhsa_system_sgpr_workgroup_id_x 1
		.amdhsa_system_sgpr_workgroup_id_y 0
		.amdhsa_system_sgpr_workgroup_id_z 0
		.amdhsa_system_sgpr_workgroup_info 0
		.amdhsa_system_vgpr_workitem_id 0
		.amdhsa_next_free_vgpr 1
		.amdhsa_next_free_sgpr 0
		.amdhsa_accum_offset 4
		.amdhsa_reserve_vcc 0
		.amdhsa_reserve_flat_scratch 0
		.amdhsa_float_round_mode_32 0
		.amdhsa_float_round_mode_16_64 0
		.amdhsa_float_denorm_mode_32 3
		.amdhsa_float_denorm_mode_16_64 3
		.amdhsa_dx10_clamp 1
		.amdhsa_ieee_mode 1
		.amdhsa_fp16_overflow 0
		.amdhsa_tg_split 0
		.amdhsa_exception_fp_ieee_invalid_op 0
		.amdhsa_exception_fp_denorm_src 0
		.amdhsa_exception_fp_ieee_div_zero 0
		.amdhsa_exception_fp_ieee_overflow 0
		.amdhsa_exception_fp_ieee_underflow 0
		.amdhsa_exception_fp_ieee_inexact 0
		.amdhsa_exception_int_div_zero 0
	.end_amdhsa_kernel
	.section	.text._ZN7rocprim17ROCPRIM_400000_NS6detail17trampoline_kernelINS0_14default_configENS1_25partition_config_selectorILNS1_17partition_subalgoE3EjNS0_10empty_typeEbEEZZNS1_14partition_implILS5_3ELb0ES3_jN6thrust23THRUST_200600_302600_NS6detail15normal_iteratorINSA_7pointerIjNSA_11hip_rocprim3tagENSA_11use_defaultESG_EEEEPS6_SJ_NS0_5tupleIJPjSJ_EEENSK_IJSJ_SJ_EEES6_PlJ7is_evenIjEEEE10hipError_tPvRmT3_T4_T5_T6_T7_T9_mT8_P12ihipStream_tbDpT10_ENKUlT_T0_E_clISt17integral_constantIbLb0EES19_IbLb1EEEEDaS15_S16_EUlS15_E_NS1_11comp_targetILNS1_3genE5ELNS1_11target_archE942ELNS1_3gpuE9ELNS1_3repE0EEENS1_30default_config_static_selectorELNS0_4arch9wavefront6targetE1EEEvT1_,"axG",@progbits,_ZN7rocprim17ROCPRIM_400000_NS6detail17trampoline_kernelINS0_14default_configENS1_25partition_config_selectorILNS1_17partition_subalgoE3EjNS0_10empty_typeEbEEZZNS1_14partition_implILS5_3ELb0ES3_jN6thrust23THRUST_200600_302600_NS6detail15normal_iteratorINSA_7pointerIjNSA_11hip_rocprim3tagENSA_11use_defaultESG_EEEEPS6_SJ_NS0_5tupleIJPjSJ_EEENSK_IJSJ_SJ_EEES6_PlJ7is_evenIjEEEE10hipError_tPvRmT3_T4_T5_T6_T7_T9_mT8_P12ihipStream_tbDpT10_ENKUlT_T0_E_clISt17integral_constantIbLb0EES19_IbLb1EEEEDaS15_S16_EUlS15_E_NS1_11comp_targetILNS1_3genE5ELNS1_11target_archE942ELNS1_3gpuE9ELNS1_3repE0EEENS1_30default_config_static_selectorELNS0_4arch9wavefront6targetE1EEEvT1_,comdat
.Lfunc_end944:
	.size	_ZN7rocprim17ROCPRIM_400000_NS6detail17trampoline_kernelINS0_14default_configENS1_25partition_config_selectorILNS1_17partition_subalgoE3EjNS0_10empty_typeEbEEZZNS1_14partition_implILS5_3ELb0ES3_jN6thrust23THRUST_200600_302600_NS6detail15normal_iteratorINSA_7pointerIjNSA_11hip_rocprim3tagENSA_11use_defaultESG_EEEEPS6_SJ_NS0_5tupleIJPjSJ_EEENSK_IJSJ_SJ_EEES6_PlJ7is_evenIjEEEE10hipError_tPvRmT3_T4_T5_T6_T7_T9_mT8_P12ihipStream_tbDpT10_ENKUlT_T0_E_clISt17integral_constantIbLb0EES19_IbLb1EEEEDaS15_S16_EUlS15_E_NS1_11comp_targetILNS1_3genE5ELNS1_11target_archE942ELNS1_3gpuE9ELNS1_3repE0EEENS1_30default_config_static_selectorELNS0_4arch9wavefront6targetE1EEEvT1_, .Lfunc_end944-_ZN7rocprim17ROCPRIM_400000_NS6detail17trampoline_kernelINS0_14default_configENS1_25partition_config_selectorILNS1_17partition_subalgoE3EjNS0_10empty_typeEbEEZZNS1_14partition_implILS5_3ELb0ES3_jN6thrust23THRUST_200600_302600_NS6detail15normal_iteratorINSA_7pointerIjNSA_11hip_rocprim3tagENSA_11use_defaultESG_EEEEPS6_SJ_NS0_5tupleIJPjSJ_EEENSK_IJSJ_SJ_EEES6_PlJ7is_evenIjEEEE10hipError_tPvRmT3_T4_T5_T6_T7_T9_mT8_P12ihipStream_tbDpT10_ENKUlT_T0_E_clISt17integral_constantIbLb0EES19_IbLb1EEEEDaS15_S16_EUlS15_E_NS1_11comp_targetILNS1_3genE5ELNS1_11target_archE942ELNS1_3gpuE9ELNS1_3repE0EEENS1_30default_config_static_selectorELNS0_4arch9wavefront6targetE1EEEvT1_
                                        ; -- End function
	.section	.AMDGPU.csdata,"",@progbits
; Kernel info:
; codeLenInByte = 0
; NumSgprs: 4
; NumVgprs: 0
; NumAgprs: 0
; TotalNumVgprs: 0
; ScratchSize: 0
; MemoryBound: 0
; FloatMode: 240
; IeeeMode: 1
; LDSByteSize: 0 bytes/workgroup (compile time only)
; SGPRBlocks: 0
; VGPRBlocks: 0
; NumSGPRsForWavesPerEU: 4
; NumVGPRsForWavesPerEU: 1
; AccumOffset: 4
; Occupancy: 8
; WaveLimiterHint : 0
; COMPUTE_PGM_RSRC2:SCRATCH_EN: 0
; COMPUTE_PGM_RSRC2:USER_SGPR: 6
; COMPUTE_PGM_RSRC2:TRAP_HANDLER: 0
; COMPUTE_PGM_RSRC2:TGID_X_EN: 1
; COMPUTE_PGM_RSRC2:TGID_Y_EN: 0
; COMPUTE_PGM_RSRC2:TGID_Z_EN: 0
; COMPUTE_PGM_RSRC2:TIDIG_COMP_CNT: 0
; COMPUTE_PGM_RSRC3_GFX90A:ACCUM_OFFSET: 0
; COMPUTE_PGM_RSRC3_GFX90A:TG_SPLIT: 0
	.section	.text._ZN7rocprim17ROCPRIM_400000_NS6detail17trampoline_kernelINS0_14default_configENS1_25partition_config_selectorILNS1_17partition_subalgoE3EjNS0_10empty_typeEbEEZZNS1_14partition_implILS5_3ELb0ES3_jN6thrust23THRUST_200600_302600_NS6detail15normal_iteratorINSA_7pointerIjNSA_11hip_rocprim3tagENSA_11use_defaultESG_EEEEPS6_SJ_NS0_5tupleIJPjSJ_EEENSK_IJSJ_SJ_EEES6_PlJ7is_evenIjEEEE10hipError_tPvRmT3_T4_T5_T6_T7_T9_mT8_P12ihipStream_tbDpT10_ENKUlT_T0_E_clISt17integral_constantIbLb0EES19_IbLb1EEEEDaS15_S16_EUlS15_E_NS1_11comp_targetILNS1_3genE4ELNS1_11target_archE910ELNS1_3gpuE8ELNS1_3repE0EEENS1_30default_config_static_selectorELNS0_4arch9wavefront6targetE1EEEvT1_,"axG",@progbits,_ZN7rocprim17ROCPRIM_400000_NS6detail17trampoline_kernelINS0_14default_configENS1_25partition_config_selectorILNS1_17partition_subalgoE3EjNS0_10empty_typeEbEEZZNS1_14partition_implILS5_3ELb0ES3_jN6thrust23THRUST_200600_302600_NS6detail15normal_iteratorINSA_7pointerIjNSA_11hip_rocprim3tagENSA_11use_defaultESG_EEEEPS6_SJ_NS0_5tupleIJPjSJ_EEENSK_IJSJ_SJ_EEES6_PlJ7is_evenIjEEEE10hipError_tPvRmT3_T4_T5_T6_T7_T9_mT8_P12ihipStream_tbDpT10_ENKUlT_T0_E_clISt17integral_constantIbLb0EES19_IbLb1EEEEDaS15_S16_EUlS15_E_NS1_11comp_targetILNS1_3genE4ELNS1_11target_archE910ELNS1_3gpuE8ELNS1_3repE0EEENS1_30default_config_static_selectorELNS0_4arch9wavefront6targetE1EEEvT1_,comdat
	.protected	_ZN7rocprim17ROCPRIM_400000_NS6detail17trampoline_kernelINS0_14default_configENS1_25partition_config_selectorILNS1_17partition_subalgoE3EjNS0_10empty_typeEbEEZZNS1_14partition_implILS5_3ELb0ES3_jN6thrust23THRUST_200600_302600_NS6detail15normal_iteratorINSA_7pointerIjNSA_11hip_rocprim3tagENSA_11use_defaultESG_EEEEPS6_SJ_NS0_5tupleIJPjSJ_EEENSK_IJSJ_SJ_EEES6_PlJ7is_evenIjEEEE10hipError_tPvRmT3_T4_T5_T6_T7_T9_mT8_P12ihipStream_tbDpT10_ENKUlT_T0_E_clISt17integral_constantIbLb0EES19_IbLb1EEEEDaS15_S16_EUlS15_E_NS1_11comp_targetILNS1_3genE4ELNS1_11target_archE910ELNS1_3gpuE8ELNS1_3repE0EEENS1_30default_config_static_selectorELNS0_4arch9wavefront6targetE1EEEvT1_ ; -- Begin function _ZN7rocprim17ROCPRIM_400000_NS6detail17trampoline_kernelINS0_14default_configENS1_25partition_config_selectorILNS1_17partition_subalgoE3EjNS0_10empty_typeEbEEZZNS1_14partition_implILS5_3ELb0ES3_jN6thrust23THRUST_200600_302600_NS6detail15normal_iteratorINSA_7pointerIjNSA_11hip_rocprim3tagENSA_11use_defaultESG_EEEEPS6_SJ_NS0_5tupleIJPjSJ_EEENSK_IJSJ_SJ_EEES6_PlJ7is_evenIjEEEE10hipError_tPvRmT3_T4_T5_T6_T7_T9_mT8_P12ihipStream_tbDpT10_ENKUlT_T0_E_clISt17integral_constantIbLb0EES19_IbLb1EEEEDaS15_S16_EUlS15_E_NS1_11comp_targetILNS1_3genE4ELNS1_11target_archE910ELNS1_3gpuE8ELNS1_3repE0EEENS1_30default_config_static_selectorELNS0_4arch9wavefront6targetE1EEEvT1_
	.globl	_ZN7rocprim17ROCPRIM_400000_NS6detail17trampoline_kernelINS0_14default_configENS1_25partition_config_selectorILNS1_17partition_subalgoE3EjNS0_10empty_typeEbEEZZNS1_14partition_implILS5_3ELb0ES3_jN6thrust23THRUST_200600_302600_NS6detail15normal_iteratorINSA_7pointerIjNSA_11hip_rocprim3tagENSA_11use_defaultESG_EEEEPS6_SJ_NS0_5tupleIJPjSJ_EEENSK_IJSJ_SJ_EEES6_PlJ7is_evenIjEEEE10hipError_tPvRmT3_T4_T5_T6_T7_T9_mT8_P12ihipStream_tbDpT10_ENKUlT_T0_E_clISt17integral_constantIbLb0EES19_IbLb1EEEEDaS15_S16_EUlS15_E_NS1_11comp_targetILNS1_3genE4ELNS1_11target_archE910ELNS1_3gpuE8ELNS1_3repE0EEENS1_30default_config_static_selectorELNS0_4arch9wavefront6targetE1EEEvT1_
	.p2align	8
	.type	_ZN7rocprim17ROCPRIM_400000_NS6detail17trampoline_kernelINS0_14default_configENS1_25partition_config_selectorILNS1_17partition_subalgoE3EjNS0_10empty_typeEbEEZZNS1_14partition_implILS5_3ELb0ES3_jN6thrust23THRUST_200600_302600_NS6detail15normal_iteratorINSA_7pointerIjNSA_11hip_rocprim3tagENSA_11use_defaultESG_EEEEPS6_SJ_NS0_5tupleIJPjSJ_EEENSK_IJSJ_SJ_EEES6_PlJ7is_evenIjEEEE10hipError_tPvRmT3_T4_T5_T6_T7_T9_mT8_P12ihipStream_tbDpT10_ENKUlT_T0_E_clISt17integral_constantIbLb0EES19_IbLb1EEEEDaS15_S16_EUlS15_E_NS1_11comp_targetILNS1_3genE4ELNS1_11target_archE910ELNS1_3gpuE8ELNS1_3repE0EEENS1_30default_config_static_selectorELNS0_4arch9wavefront6targetE1EEEvT1_,@function
_ZN7rocprim17ROCPRIM_400000_NS6detail17trampoline_kernelINS0_14default_configENS1_25partition_config_selectorILNS1_17partition_subalgoE3EjNS0_10empty_typeEbEEZZNS1_14partition_implILS5_3ELb0ES3_jN6thrust23THRUST_200600_302600_NS6detail15normal_iteratorINSA_7pointerIjNSA_11hip_rocprim3tagENSA_11use_defaultESG_EEEEPS6_SJ_NS0_5tupleIJPjSJ_EEENSK_IJSJ_SJ_EEES6_PlJ7is_evenIjEEEE10hipError_tPvRmT3_T4_T5_T6_T7_T9_mT8_P12ihipStream_tbDpT10_ENKUlT_T0_E_clISt17integral_constantIbLb0EES19_IbLb1EEEEDaS15_S16_EUlS15_E_NS1_11comp_targetILNS1_3genE4ELNS1_11target_archE910ELNS1_3gpuE8ELNS1_3repE0EEENS1_30default_config_static_selectorELNS0_4arch9wavefront6targetE1EEEvT1_: ; @_ZN7rocprim17ROCPRIM_400000_NS6detail17trampoline_kernelINS0_14default_configENS1_25partition_config_selectorILNS1_17partition_subalgoE3EjNS0_10empty_typeEbEEZZNS1_14partition_implILS5_3ELb0ES3_jN6thrust23THRUST_200600_302600_NS6detail15normal_iteratorINSA_7pointerIjNSA_11hip_rocprim3tagENSA_11use_defaultESG_EEEEPS6_SJ_NS0_5tupleIJPjSJ_EEENSK_IJSJ_SJ_EEES6_PlJ7is_evenIjEEEE10hipError_tPvRmT3_T4_T5_T6_T7_T9_mT8_P12ihipStream_tbDpT10_ENKUlT_T0_E_clISt17integral_constantIbLb0EES19_IbLb1EEEEDaS15_S16_EUlS15_E_NS1_11comp_targetILNS1_3genE4ELNS1_11target_archE910ELNS1_3gpuE8ELNS1_3repE0EEENS1_30default_config_static_selectorELNS0_4arch9wavefront6targetE1EEEvT1_
; %bb.0:
	s_load_dwordx2 s[28:29], s[4:5], 0x28
	s_load_dwordx4 s[20:23], s[4:5], 0x48
	s_load_dwordx2 s[30:31], s[4:5], 0x58
	s_load_dwordx2 s[34:35], s[4:5], 0x68
	v_cmp_eq_u32_e64 s[0:1], 0, v0
	s_and_saveexec_b64 s[2:3], s[0:1]
	s_cbranch_execz .LBB945_4
; %bb.1:
	s_mov_b64 s[8:9], exec
	v_mbcnt_lo_u32_b32 v1, s8, 0
	v_mbcnt_hi_u32_b32 v1, s9, v1
	v_cmp_eq_u32_e32 vcc, 0, v1
                                        ; implicit-def: $vgpr2
	s_and_saveexec_b64 s[6:7], vcc
	s_cbranch_execz .LBB945_3
; %bb.2:
	s_load_dwordx2 s[10:11], s[4:5], 0x78
	s_bcnt1_i32_b64 s8, s[8:9]
	v_mov_b32_e32 v2, 0
	v_mov_b32_e32 v3, s8
	s_waitcnt lgkmcnt(0)
	global_atomic_add v2, v2, v3, s[10:11] glc
.LBB945_3:
	s_or_b64 exec, exec, s[6:7]
	s_waitcnt vmcnt(0)
	v_readfirstlane_b32 s6, v2
	v_add_u32_e32 v1, s6, v1
	v_mov_b32_e32 v2, 0
	ds_write_b32 v2, v1
.LBB945_4:
	s_or_b64 exec, exec, s[2:3]
	v_mov_b32_e32 v13, 0
	s_load_dwordx4 s[24:27], s[4:5], 0x8
	s_load_dword s2, s[4:5], 0x70
	s_waitcnt lgkmcnt(0)
	s_barrier
	ds_read_b32 v1, v13
	s_waitcnt lgkmcnt(0)
	s_barrier
	global_load_dwordx2 v[14:15], v13, s[22:23]
	s_lshl_b64 s[4:5], s[26:27], 2
	s_add_u32 s6, s24, s4
	s_addc_u32 s7, s25, s5
	s_movk_i32 s3, 0xa00
	s_add_i32 s4, s2, -1
	s_mulk_i32 s2, 0xa00
	v_mul_lo_u32 v12, v1, s3
	s_add_i32 s3, s2, s26
	s_sub_i32 s33, s30, s3
	s_addk_i32 s33, 0xa00
	s_add_u32 s2, s26, s2
	v_readfirstlane_b32 s40, v1
	s_addc_u32 s3, s27, 0
	s_cmp_eq_u32 s40, s4
	v_pk_mov_b32 v[2:3], s[30:31], s[30:31] op_sel:[0,1]
	s_cselect_b64 s[22:23], -1, 0
	s_cmp_lg_u32 s40, s4
	v_cmp_lt_u64_e32 vcc, s[2:3], v[2:3]
	s_cselect_b64 s[2:3], -1, 0
	v_lshlrev_b64 v[2:3], 2, v[12:13]
	s_or_b64 s[4:5], vcc, s[2:3]
	v_mov_b32_e32 v1, s7
	v_add_co_u32_e32 v13, vcc, s6, v2
	v_addc_co_u32_e32 v16, vcc, v1, v3, vcc
	s_mov_b64 s[2:3], -1
	s_and_b64 vcc, exec, s[4:5]
	v_lshlrev_b32_e32 v1, 2, v0
	s_cbranch_vccz .LBB945_6
; %bb.5:
	v_add_co_u32_e32 v2, vcc, v13, v1
	v_addc_co_u32_e32 v3, vcc, 0, v16, vcc
	v_add_co_u32_e32 v4, vcc, 0x1000, v2
	v_addc_co_u32_e32 v5, vcc, 0, v3, vcc
	flat_load_dword v6, v[2:3]
	flat_load_dword v7, v[2:3] offset:1024
	flat_load_dword v8, v[2:3] offset:2048
	;; [unrolled: 1-line block ×3, first 2 shown]
	flat_load_dword v10, v[4:5]
	flat_load_dword v11, v[4:5] offset:1024
	flat_load_dword v17, v[4:5] offset:2048
	;; [unrolled: 1-line block ×3, first 2 shown]
	v_add_co_u32_e32 v2, vcc, 0x2000, v2
	v_addc_co_u32_e32 v3, vcc, 0, v3, vcc
	flat_load_dword v4, v[2:3]
	flat_load_dword v5, v[2:3] offset:1024
	s_mov_b64 s[2:3], 0
	s_waitcnt vmcnt(0) lgkmcnt(0)
	ds_write2st64_b32 v1, v6, v7 offset1:4
	ds_write2st64_b32 v1, v8, v9 offset0:8 offset1:12
	ds_write2st64_b32 v1, v10, v11 offset0:16 offset1:20
	;; [unrolled: 1-line block ×4, first 2 shown]
	s_waitcnt lgkmcnt(0)
	s_barrier
.LBB945_6:
	s_andn2_b64 vcc, exec, s[2:3]
	v_cmp_gt_u32_e64 s[2:3], s33, v0
	s_cbranch_vccnz .LBB945_28
; %bb.7:
                                        ; implicit-def: $vgpr2_vgpr3_vgpr4_vgpr5_vgpr6_vgpr7_vgpr8_vgpr9_vgpr10_vgpr11
	s_and_saveexec_b64 s[6:7], s[2:3]
	s_cbranch_execz .LBB945_9
; %bb.8:
	v_add_co_u32_e32 v2, vcc, v13, v1
	v_addc_co_u32_e32 v3, vcc, 0, v16, vcc
	flat_load_dword v2, v[2:3]
.LBB945_9:
	s_or_b64 exec, exec, s[6:7]
	v_or_b32_e32 v17, 0x100, v0
	v_cmp_gt_u32_e32 vcc, s33, v17
	s_and_saveexec_b64 s[2:3], vcc
	s_cbranch_execz .LBB945_11
; %bb.10:
	v_add_co_u32_e32 v18, vcc, v13, v1
	v_addc_co_u32_e32 v19, vcc, 0, v16, vcc
	flat_load_dword v3, v[18:19] offset:1024
.LBB945_11:
	s_or_b64 exec, exec, s[2:3]
	v_or_b32_e32 v17, 0x200, v0
	v_cmp_gt_u32_e32 vcc, s33, v17
	s_and_saveexec_b64 s[2:3], vcc
	s_cbranch_execz .LBB945_13
; %bb.12:
	v_add_co_u32_e32 v18, vcc, v13, v1
	v_addc_co_u32_e32 v19, vcc, 0, v16, vcc
	flat_load_dword v4, v[18:19] offset:2048
.LBB945_13:
	;; [unrolled: 10-line block ×3, first 2 shown]
	s_or_b64 exec, exec, s[2:3]
	v_or_b32_e32 v17, 0x400, v0
	v_cmp_gt_u32_e32 vcc, s33, v17
	s_and_saveexec_b64 s[2:3], vcc
	s_cbranch_execz .LBB945_17
; %bb.16:
	v_lshlrev_b32_e32 v6, 2, v17
	v_add_co_u32_e32 v18, vcc, v13, v6
	v_addc_co_u32_e32 v19, vcc, 0, v16, vcc
	flat_load_dword v6, v[18:19]
.LBB945_17:
	s_or_b64 exec, exec, s[2:3]
	v_or_b32_e32 v17, 0x500, v0
	v_cmp_gt_u32_e32 vcc, s33, v17
	s_and_saveexec_b64 s[2:3], vcc
	s_cbranch_execz .LBB945_19
; %bb.18:
	v_lshlrev_b32_e32 v7, 2, v17
	v_add_co_u32_e32 v18, vcc, v13, v7
	v_addc_co_u32_e32 v19, vcc, 0, v16, vcc
	flat_load_dword v7, v[18:19]
.LBB945_19:
	s_or_b64 exec, exec, s[2:3]
	v_or_b32_e32 v17, 0x600, v0
	v_cmp_gt_u32_e32 vcc, s33, v17
	s_and_saveexec_b64 s[2:3], vcc
	s_cbranch_execz .LBB945_21
; %bb.20:
	v_lshlrev_b32_e32 v8, 2, v17
	v_add_co_u32_e32 v18, vcc, v13, v8
	v_addc_co_u32_e32 v19, vcc, 0, v16, vcc
	flat_load_dword v8, v[18:19]
.LBB945_21:
	s_or_b64 exec, exec, s[2:3]
	v_or_b32_e32 v17, 0x700, v0
	v_cmp_gt_u32_e32 vcc, s33, v17
	s_and_saveexec_b64 s[2:3], vcc
	s_cbranch_execz .LBB945_23
; %bb.22:
	v_lshlrev_b32_e32 v9, 2, v17
	v_add_co_u32_e32 v18, vcc, v13, v9
	v_addc_co_u32_e32 v19, vcc, 0, v16, vcc
	flat_load_dword v9, v[18:19]
.LBB945_23:
	s_or_b64 exec, exec, s[2:3]
	v_or_b32_e32 v17, 0x800, v0
	v_cmp_gt_u32_e32 vcc, s33, v17
	s_and_saveexec_b64 s[2:3], vcc
	s_cbranch_execz .LBB945_25
; %bb.24:
	v_lshlrev_b32_e32 v10, 2, v17
	v_add_co_u32_e32 v18, vcc, v13, v10
	v_addc_co_u32_e32 v19, vcc, 0, v16, vcc
	flat_load_dword v10, v[18:19]
.LBB945_25:
	s_or_b64 exec, exec, s[2:3]
	v_or_b32_e32 v17, 0x900, v0
	v_cmp_gt_u32_e32 vcc, s33, v17
	s_and_saveexec_b64 s[2:3], vcc
	s_cbranch_execz .LBB945_27
; %bb.26:
	v_lshlrev_b32_e32 v11, 2, v17
	v_add_co_u32_e32 v18, vcc, v13, v11
	v_addc_co_u32_e32 v19, vcc, 0, v16, vcc
	flat_load_dword v11, v[18:19]
.LBB945_27:
	s_or_b64 exec, exec, s[2:3]
	s_waitcnt vmcnt(0) lgkmcnt(0)
	ds_write2st64_b32 v1, v2, v3 offset1:4
	ds_write2st64_b32 v1, v4, v5 offset0:8 offset1:12
	ds_write2st64_b32 v1, v6, v7 offset0:16 offset1:20
	;; [unrolled: 1-line block ×4, first 2 shown]
	s_waitcnt lgkmcnt(0)
	s_barrier
.LBB945_28:
	v_mul_u32_u24_e32 v26, 10, v0
	v_lshlrev_b32_e32 v32, 2, v26
	ds_read2_b64 v[6:9], v32 offset1:1
	ds_read2_b64 v[2:5], v32 offset0:2 offset1:3
	ds_read_b64 v[16:17], v32 offset:32
	v_cndmask_b32_e64 v10, 0, 1, s[4:5]
	v_cmp_ne_u32_e64 s[2:3], 1, v10
	s_andn2_b64 vcc, exec, s[4:5]
	s_waitcnt lgkmcnt(2)
	v_xor_b32_e32 v25, -1, v6
	v_xor_b32_e32 v24, -1, v7
	;; [unrolled: 1-line block ×4, first 2 shown]
	s_waitcnt lgkmcnt(1)
	v_xor_b32_e32 v21, -1, v2
	v_xor_b32_e32 v20, -1, v3
	;; [unrolled: 1-line block ×4, first 2 shown]
	s_waitcnt lgkmcnt(0)
	v_xor_b32_e32 v11, -1, v16
	v_xor_b32_e32 v10, -1, v17
	s_barrier
	s_cbranch_vccnz .LBB945_30
; %bb.29:
	v_mov_b32_e32 v13, 1
	v_and_b32_e32 v28, 1, v25
	v_and_b32_sdwa v29, v24, v13 dst_sel:BYTE_1 dst_unused:UNUSED_PAD src0_sel:DWORD src1_sel:DWORD
	v_and_b32_e32 v30, 1, v23
	v_and_b32_sdwa v31, v22, v13 dst_sel:BYTE_1 dst_unused:UNUSED_PAD src0_sel:DWORD src1_sel:DWORD
	;; [unrolled: 2-line block ×4, first 2 shown]
	v_or_b32_e32 v28, v28, v29
	v_or_b32_sdwa v29, v30, v31 dst_sel:WORD_1 dst_unused:UNUSED_PAD src0_sel:DWORD src1_sel:DWORD
	v_or_b32_sdwa v29, v28, v29 dst_sel:DWORD dst_unused:UNUSED_PAD src0_sel:WORD_0 src1_sel:DWORD
	v_or_b32_e32 v28, v33, v34
	v_or_b32_sdwa v30, v35, v36 dst_sel:WORD_1 dst_unused:UNUSED_PAD src0_sel:DWORD src1_sel:DWORD
	v_and_b32_e32 v27, 1, v11
	v_and_b32_e32 v13, 1, v10
	v_or_b32_sdwa v28, v28, v30 dst_sel:DWORD dst_unused:UNUSED_PAD src0_sel:WORD_0 src1_sel:DWORD
	s_cbranch_execz .LBB945_31
	s_branch .LBB945_32
.LBB945_30:
                                        ; implicit-def: $vgpr13
                                        ; implicit-def: $vgpr27
                                        ; implicit-def: $vgpr28
                                        ; implicit-def: $vgpr29
.LBB945_31:
	v_or_b32_e32 v35, 1, v26
	v_cmp_gt_u32_e32 vcc, s33, v26
	v_add_u32_e32 v13, 2, v26
	v_cndmask_b32_e64 v36, 0, 1, vcc
	v_cmp_gt_u32_e32 vcc, s33, v35
	v_add_u32_e32 v34, 3, v26
	v_cndmask_b32_e64 v35, 0, 1, vcc
	;; [unrolled: 3-line block ×3, first 2 shown]
	v_cmp_gt_u32_e32 vcc, s33, v34
	v_add_u32_e32 v33, 5, v26
	v_and_b32_e32 v23, v13, v23
	v_cndmask_b32_e64 v13, 0, 1, vcc
	v_cmp_gt_u32_e32 vcc, s33, v27
	v_add_u32_e32 v28, 6, v26
	v_and_b32_sdwa v22, v13, v22 dst_sel:BYTE_1 dst_unused:UNUSED_PAD src0_sel:DWORD src1_sel:DWORD
	v_cndmask_b32_e64 v13, 0, 1, vcc
	v_cmp_gt_u32_e32 vcc, s33, v33
	v_add_u32_e32 v31, 7, v26
	v_and_b32_e32 v21, v13, v21
	v_cndmask_b32_e64 v13, 0, 1, vcc
	v_cmp_gt_u32_e32 vcc, s33, v28
	v_add_u32_e32 v29, 8, v26
	v_and_b32_sdwa v20, v13, v20 dst_sel:BYTE_1 dst_unused:UNUSED_PAD src0_sel:DWORD src1_sel:DWORD
	v_cndmask_b32_e64 v13, 0, 1, vcc
	v_cmp_gt_u32_e32 vcc, s33, v31
	v_add_u32_e32 v30, 9, v26
	v_and_b32_e32 v19, v13, v19
	v_cndmask_b32_e64 v13, 0, 1, vcc
	v_cmp_gt_u32_e32 vcc, s33, v29
	v_and_b32_sdwa v18, v13, v18 dst_sel:BYTE_1 dst_unused:UNUSED_PAD src0_sel:DWORD src1_sel:DWORD
	v_cndmask_b32_e64 v13, 0, 1, vcc
	v_cmp_gt_u32_e32 vcc, s33, v30
	v_and_b32_e32 v25, v36, v25
	v_and_b32_sdwa v24, v35, v24 dst_sel:BYTE_1 dst_unused:UNUSED_PAD src0_sel:DWORD src1_sel:DWORD
	v_and_b32_e32 v27, v13, v11
	v_cndmask_b32_e64 v11, 0, 1, vcc
	v_and_b32_e32 v13, v11, v10
	v_or_b32_e32 v10, v25, v24
	v_or_b32_sdwa v11, v23, v22 dst_sel:WORD_1 dst_unused:UNUSED_PAD src0_sel:DWORD src1_sel:DWORD
	v_or_b32_sdwa v29, v10, v11 dst_sel:DWORD dst_unused:UNUSED_PAD src0_sel:WORD_0 src1_sel:DWORD
	v_or_b32_e32 v10, v21, v20
	v_or_b32_sdwa v11, v19, v18 dst_sel:WORD_1 dst_unused:UNUSED_PAD src0_sel:DWORD src1_sel:DWORD
	v_or_b32_sdwa v28, v10, v11 dst_sel:DWORD dst_unused:UNUSED_PAD src0_sel:WORD_0 src1_sel:DWORD
.LBB945_32:
	v_bfe_u32 v33, v29, 16, 8
	v_lshrrev_b32_e32 v31, 24, v29
	v_add_u32_sdwa v11, v29, v29 dst_sel:DWORD dst_unused:UNUSED_PAD src0_sel:BYTE_1 src1_sel:BYTE_0
	v_and_b32_e32 v34, 0xff, v28
	v_bfe_u32 v35, v28, 8, 8
	v_add3_u32 v11, v11, v33, v31
	v_bfe_u32 v36, v28, 16, 8
	v_lshrrev_b32_e32 v30, 24, v28
	v_add3_u32 v11, v11, v34, v35
	v_and_b32_e32 v37, 0xff, v27
	v_and_b32_e32 v10, 0xff, v13
	v_add3_u32 v11, v11, v36, v30
	v_add3_u32 v40, v11, v37, v10
	v_mbcnt_lo_u32_b32 v10, -1, 0
	v_mbcnt_hi_u32_b32 v38, -1, v10
	v_and_b32_e32 v10, 15, v38
	v_cmp_eq_u32_e64 s[16:17], 0, v10
	v_cmp_lt_u32_e64 s[14:15], 1, v10
	v_cmp_lt_u32_e64 s[12:13], 3, v10
	;; [unrolled: 1-line block ×3, first 2 shown]
	v_and_b32_e32 v10, 16, v38
	v_cmp_eq_u32_e64 s[8:9], 0, v10
	v_or_b32_e32 v10, 63, v0
	s_cmp_lg_u32 s40, 0
	v_cmp_lt_u32_e64 s[4:5], 31, v38
	v_lshrrev_b32_e32 v39, 6, v0
	v_cmp_eq_u32_e64 s[6:7], v10, v0
	s_cbranch_scc0 .LBB945_59
; %bb.33:
	v_mov_b32_dpp v10, v40 row_shr:1 row_mask:0xf bank_mask:0xf
	v_cndmask_b32_e64 v10, v10, 0, s[16:17]
	v_add_u32_e32 v10, v10, v40
	s_nop 1
	v_mov_b32_dpp v11, v10 row_shr:2 row_mask:0xf bank_mask:0xf
	v_cndmask_b32_e64 v11, 0, v11, s[14:15]
	v_add_u32_e32 v10, v10, v11
	s_nop 1
	;; [unrolled: 4-line block ×4, first 2 shown]
	v_mov_b32_dpp v11, v10 row_bcast:15 row_mask:0xf bank_mask:0xf
	v_cndmask_b32_e64 v11, v11, 0, s[8:9]
	v_add_u32_e32 v10, v10, v11
	s_nop 1
	v_mov_b32_dpp v11, v10 row_bcast:31 row_mask:0xf bank_mask:0xf
	v_cndmask_b32_e64 v11, 0, v11, s[4:5]
	v_add_u32_e32 v10, v10, v11
	s_and_saveexec_b64 s[18:19], s[6:7]
	s_cbranch_execz .LBB945_35
; %bb.34:
	v_lshlrev_b32_e32 v11, 2, v39
	ds_write_b32 v11, v10
.LBB945_35:
	s_or_b64 exec, exec, s[18:19]
	v_cmp_gt_u32_e32 vcc, 4, v0
	s_waitcnt lgkmcnt(0)
	s_barrier
	s_and_saveexec_b64 s[18:19], vcc
	s_cbranch_execz .LBB945_37
; %bb.36:
	ds_read_b32 v11, v1
	v_and_b32_e32 v18, 3, v38
	v_cmp_ne_u32_e32 vcc, 0, v18
	s_waitcnt lgkmcnt(0)
	v_mov_b32_dpp v19, v11 row_shr:1 row_mask:0xf bank_mask:0xf
	v_cndmask_b32_e32 v19, 0, v19, vcc
	v_add_u32_e32 v11, v19, v11
	v_cmp_lt_u32_e32 vcc, 1, v18
	s_nop 0
	v_mov_b32_dpp v19, v11 row_shr:2 row_mask:0xf bank_mask:0xf
	v_cndmask_b32_e32 v18, 0, v19, vcc
	v_add_u32_e32 v11, v11, v18
	ds_write_b32 v1, v11
.LBB945_37:
	s_or_b64 exec, exec, s[18:19]
	v_cmp_gt_u32_e32 vcc, 64, v0
	v_cmp_lt_u32_e64 s[18:19], 63, v0
	s_waitcnt lgkmcnt(0)
	s_barrier
	s_waitcnt lgkmcnt(0)
                                        ; implicit-def: $vgpr41
	s_and_saveexec_b64 s[24:25], s[18:19]
	s_cbranch_execz .LBB945_39
; %bb.38:
	v_lshl_add_u32 v11, v39, 2, -4
	ds_read_b32 v41, v11
	s_waitcnt lgkmcnt(0)
	v_add_u32_e32 v10, v41, v10
.LBB945_39:
	s_or_b64 exec, exec, s[24:25]
	v_add_u32_e32 v11, -1, v38
	v_and_b32_e32 v18, 64, v38
	v_cmp_lt_i32_e64 s[18:19], v11, v18
	v_cndmask_b32_e64 v11, v11, v38, s[18:19]
	v_lshlrev_b32_e32 v11, 2, v11
	ds_bpermute_b32 v42, v11, v10
	v_cmp_eq_u32_e64 s[18:19], 0, v38
	s_and_saveexec_b64 s[24:25], vcc
	s_cbranch_execz .LBB945_58
; %bb.40:
	v_mov_b32_e32 v23, 0
	ds_read_b32 v10, v23 offset:12
	s_and_saveexec_b64 s[36:37], s[18:19]
	s_cbranch_execz .LBB945_42
; %bb.41:
	s_add_i32 s38, s40, 64
	s_mov_b32 s39, 0
	s_lshl_b64 s[38:39], s[38:39], 3
	s_add_u32 s38, s34, s38
	v_mov_b32_e32 v11, 1
	s_addc_u32 s39, s35, s39
	s_waitcnt lgkmcnt(0)
	global_store_dwordx2 v23, v[10:11], s[38:39]
.LBB945_42:
	s_or_b64 exec, exec, s[36:37]
	v_xad_u32 v18, v38, -1, s40
	v_add_u32_e32 v22, 64, v18
	v_lshlrev_b64 v[20:21], 3, v[22:23]
	v_mov_b32_e32 v11, s35
	v_add_co_u32_e32 v24, vcc, s34, v20
	v_addc_co_u32_e32 v25, vcc, v11, v21, vcc
	global_load_dwordx2 v[20:21], v[24:25], off glc
	s_waitcnt vmcnt(0)
	v_cmp_eq_u16_sdwa s[38:39], v21, v23 src0_sel:BYTE_0 src1_sel:DWORD
	s_and_saveexec_b64 s[36:37], s[38:39]
	s_cbranch_execz .LBB945_46
; %bb.43:
	s_mov_b64 s[38:39], 0
	v_mov_b32_e32 v11, 0
.LBB945_44:                             ; =>This Inner Loop Header: Depth=1
	global_load_dwordx2 v[20:21], v[24:25], off glc
	s_waitcnt vmcnt(0)
	v_cmp_ne_u16_sdwa s[42:43], v21, v11 src0_sel:BYTE_0 src1_sel:DWORD
	s_or_b64 s[38:39], s[42:43], s[38:39]
	s_andn2_b64 exec, exec, s[38:39]
	s_cbranch_execnz .LBB945_44
; %bb.45:
	s_or_b64 exec, exec, s[38:39]
.LBB945_46:
	s_or_b64 exec, exec, s[36:37]
	v_and_b32_e32 v44, 63, v38
	v_mov_b32_e32 v43, 2
	v_cmp_ne_u32_e32 vcc, 63, v44
	v_cmp_eq_u16_sdwa s[36:37], v21, v43 src0_sel:BYTE_0 src1_sel:DWORD
	v_lshlrev_b64 v[22:23], v38, -1
	v_addc_co_u32_e32 v24, vcc, 0, v38, vcc
	v_and_b32_e32 v11, s37, v23
	v_lshlrev_b32_e32 v45, 2, v24
	v_or_b32_e32 v11, 0x80000000, v11
	ds_bpermute_b32 v24, v45, v20
	v_and_b32_e32 v19, s36, v22
	v_ffbl_b32_e32 v11, v11
	v_add_u32_e32 v11, 32, v11
	v_ffbl_b32_e32 v19, v19
	v_min_u32_e32 v11, v19, v11
	v_cmp_lt_u32_e32 vcc, v44, v11
	s_waitcnt lgkmcnt(0)
	v_cndmask_b32_e32 v19, 0, v24, vcc
	v_cmp_gt_u32_e32 vcc, 62, v44
	v_add_u32_e32 v19, v19, v20
	v_cndmask_b32_e64 v20, 0, 1, vcc
	v_lshlrev_b32_e32 v20, 1, v20
	v_add_lshl_u32 v46, v20, v38, 2
	ds_bpermute_b32 v20, v46, v19
	v_add_u32_e32 v47, 2, v44
	v_cmp_le_u32_e32 vcc, v47, v11
	v_add_u32_e32 v49, 4, v44
	v_add_u32_e32 v51, 8, v44
	s_waitcnt lgkmcnt(0)
	v_cndmask_b32_e32 v20, 0, v20, vcc
	v_cmp_gt_u32_e32 vcc, 60, v44
	v_add_u32_e32 v19, v19, v20
	v_cndmask_b32_e64 v20, 0, 1, vcc
	v_lshlrev_b32_e32 v20, 2, v20
	v_add_lshl_u32 v48, v20, v38, 2
	ds_bpermute_b32 v20, v48, v19
	v_cmp_le_u32_e32 vcc, v49, v11
	v_add_u32_e32 v53, 16, v44
	v_add_u32_e32 v55, 32, v44
	s_waitcnt lgkmcnt(0)
	v_cndmask_b32_e32 v20, 0, v20, vcc
	v_cmp_gt_u32_e32 vcc, 56, v44
	v_add_u32_e32 v19, v19, v20
	v_cndmask_b32_e64 v20, 0, 1, vcc
	v_lshlrev_b32_e32 v20, 3, v20
	v_add_lshl_u32 v50, v20, v38, 2
	ds_bpermute_b32 v20, v50, v19
	v_cmp_le_u32_e32 vcc, v51, v11
	s_waitcnt lgkmcnt(0)
	v_cndmask_b32_e32 v20, 0, v20, vcc
	v_cmp_gt_u32_e32 vcc, 48, v44
	v_add_u32_e32 v19, v19, v20
	v_cndmask_b32_e64 v20, 0, 1, vcc
	v_lshlrev_b32_e32 v20, 4, v20
	v_add_lshl_u32 v52, v20, v38, 2
	ds_bpermute_b32 v20, v52, v19
	v_cmp_le_u32_e32 vcc, v53, v11
	;; [unrolled: 9-line block ×3, first 2 shown]
	s_waitcnt lgkmcnt(0)
	v_cndmask_b32_e32 v11, 0, v20, vcc
	v_add_u32_e32 v20, v19, v11
	v_mov_b32_e32 v19, 0
	s_branch .LBB945_48
.LBB945_47:                             ;   in Loop: Header=BB945_48 Depth=1
	s_or_b64 exec, exec, s[36:37]
	v_cmp_eq_u16_sdwa s[36:37], v21, v43 src0_sel:BYTE_0 src1_sel:DWORD
	v_and_b32_e32 v24, s37, v23
	v_or_b32_e32 v24, 0x80000000, v24
	ds_bpermute_b32 v56, v45, v20
	v_and_b32_e32 v25, s36, v22
	v_ffbl_b32_e32 v24, v24
	v_add_u32_e32 v24, 32, v24
	v_ffbl_b32_e32 v25, v25
	v_min_u32_e32 v24, v25, v24
	v_cmp_lt_u32_e32 vcc, v44, v24
	s_waitcnt lgkmcnt(0)
	v_cndmask_b32_e32 v25, 0, v56, vcc
	v_add_u32_e32 v20, v25, v20
	ds_bpermute_b32 v25, v46, v20
	v_cmp_le_u32_e32 vcc, v47, v24
	v_subrev_u32_e32 v18, 64, v18
	s_waitcnt lgkmcnt(0)
	v_cndmask_b32_e32 v25, 0, v25, vcc
	v_add_u32_e32 v20, v20, v25
	ds_bpermute_b32 v25, v48, v20
	v_cmp_le_u32_e32 vcc, v49, v24
	s_waitcnt lgkmcnt(0)
	v_cndmask_b32_e32 v25, 0, v25, vcc
	v_add_u32_e32 v20, v20, v25
	ds_bpermute_b32 v25, v50, v20
	v_cmp_le_u32_e32 vcc, v51, v24
	;; [unrolled: 5-line block ×4, first 2 shown]
	s_waitcnt lgkmcnt(0)
	v_cndmask_b32_e32 v24, 0, v25, vcc
	v_add3_u32 v20, v24, v11, v20
.LBB945_48:                             ; =>This Loop Header: Depth=1
                                        ;     Child Loop BB945_51 Depth 2
	v_cmp_ne_u16_sdwa s[36:37], v21, v43 src0_sel:BYTE_0 src1_sel:DWORD
	v_cndmask_b32_e64 v11, 0, 1, s[36:37]
	;;#ASMSTART
	;;#ASMEND
	v_cmp_ne_u32_e32 vcc, 0, v11
	s_cmp_lg_u64 vcc, exec
	v_mov_b32_e32 v11, v20
	s_cbranch_scc1 .LBB945_53
; %bb.49:                               ;   in Loop: Header=BB945_48 Depth=1
	v_lshlrev_b64 v[20:21], 3, v[18:19]
	v_mov_b32_e32 v25, s35
	v_add_co_u32_e32 v24, vcc, s34, v20
	v_addc_co_u32_e32 v25, vcc, v25, v21, vcc
	global_load_dwordx2 v[20:21], v[24:25], off glc
	s_waitcnt vmcnt(0)
	v_cmp_eq_u16_sdwa s[38:39], v21, v19 src0_sel:BYTE_0 src1_sel:DWORD
	s_and_saveexec_b64 s[36:37], s[38:39]
	s_cbranch_execz .LBB945_47
; %bb.50:                               ;   in Loop: Header=BB945_48 Depth=1
	s_mov_b64 s[38:39], 0
.LBB945_51:                             ;   Parent Loop BB945_48 Depth=1
                                        ; =>  This Inner Loop Header: Depth=2
	global_load_dwordx2 v[20:21], v[24:25], off glc
	s_waitcnt vmcnt(0)
	v_cmp_ne_u16_sdwa s[42:43], v21, v19 src0_sel:BYTE_0 src1_sel:DWORD
	s_or_b64 s[38:39], s[42:43], s[38:39]
	s_andn2_b64 exec, exec, s[38:39]
	s_cbranch_execnz .LBB945_51
; %bb.52:                               ;   in Loop: Header=BB945_48 Depth=1
	s_or_b64 exec, exec, s[38:39]
	s_branch .LBB945_47
.LBB945_53:                             ;   in Loop: Header=BB945_48 Depth=1
                                        ; implicit-def: $vgpr20
                                        ; implicit-def: $vgpr21
	s_cbranch_execz .LBB945_48
; %bb.54:
	s_and_saveexec_b64 s[36:37], s[18:19]
	s_cbranch_execz .LBB945_56
; %bb.55:
	s_add_i32 s38, s40, 64
	s_mov_b32 s39, 0
	s_lshl_b64 s[38:39], s[38:39], 3
	s_add_u32 s38, s34, s38
	v_add_u32_e32 v18, v11, v10
	v_mov_b32_e32 v19, 2
	s_addc_u32 s39, s35, s39
	v_mov_b32_e32 v20, 0
	global_store_dwordx2 v20, v[18:19], s[38:39]
	ds_write_b64 v20, v[10:11] offset:10240
.LBB945_56:
	s_or_b64 exec, exec, s[36:37]
	s_and_b64 exec, exec, s[0:1]
	s_cbranch_execz .LBB945_58
; %bb.57:
	v_mov_b32_e32 v10, 0
	ds_write_b32 v10, v11 offset:12
.LBB945_58:
	s_or_b64 exec, exec, s[24:25]
	v_mov_b32_e32 v10, 0
	s_waitcnt lgkmcnt(0)
	s_barrier
	ds_read_b32 v11, v10 offset:12
	v_cndmask_b32_e64 v18, v42, v41, s[18:19]
	v_cndmask_b32_e64 v18, v18, 0, s[0:1]
	s_waitcnt lgkmcnt(0)
	s_barrier
	v_add_u32_e32 v42, v11, v18
	v_add_u32_sdwa v41, v42, v29 dst_sel:DWORD dst_unused:UNUSED_PAD src0_sel:DWORD src1_sel:BYTE_0
	v_add_u32_sdwa v25, v41, v29 dst_sel:DWORD dst_unused:UNUSED_PAD src0_sel:DWORD src1_sel:BYTE_1
	v_add_u32_e32 v24, v25, v33
	v_add_u32_e32 v23, v24, v31
	;; [unrolled: 1-line block ×3, first 2 shown]
	ds_read_b64 v[10:11], v10 offset:10240
	v_add_u32_e32 v21, v22, v35
	v_add_u32_e32 v20, v21, v36
	;; [unrolled: 1-line block ×4, first 2 shown]
	s_branch .LBB945_69
.LBB945_59:
                                        ; implicit-def: $vgpr11
                                        ; implicit-def: $vgpr18
                                        ; implicit-def: $vgpr19
                                        ; implicit-def: $vgpr20
                                        ; implicit-def: $vgpr21
                                        ; implicit-def: $vgpr22
                                        ; implicit-def: $vgpr23
                                        ; implicit-def: $vgpr24
                                        ; implicit-def: $vgpr25
                                        ; implicit-def: $vgpr41
                                        ; implicit-def: $vgpr42
	s_cbranch_execz .LBB945_69
; %bb.60:
	s_waitcnt lgkmcnt(0)
	v_mov_b32_dpp v10, v40 row_shr:1 row_mask:0xf bank_mask:0xf
	v_cndmask_b32_e64 v10, v10, 0, s[16:17]
	v_add_u32_e32 v10, v10, v40
	s_nop 1
	v_mov_b32_dpp v11, v10 row_shr:2 row_mask:0xf bank_mask:0xf
	v_cndmask_b32_e64 v11, 0, v11, s[14:15]
	v_add_u32_e32 v10, v10, v11
	s_nop 1
	;; [unrolled: 4-line block ×4, first 2 shown]
	v_mov_b32_dpp v11, v10 row_bcast:15 row_mask:0xf bank_mask:0xf
	v_cndmask_b32_e64 v11, v11, 0, s[8:9]
	v_add_u32_e32 v10, v10, v11
	s_nop 1
	v_mov_b32_dpp v11, v10 row_bcast:31 row_mask:0xf bank_mask:0xf
	v_cndmask_b32_e64 v11, 0, v11, s[4:5]
	v_add_u32_e32 v10, v10, v11
	s_and_saveexec_b64 s[4:5], s[6:7]
	s_cbranch_execz .LBB945_62
; %bb.61:
	v_lshlrev_b32_e32 v11, 2, v39
	ds_write_b32 v11, v10
.LBB945_62:
	s_or_b64 exec, exec, s[4:5]
	v_cmp_gt_u32_e32 vcc, 4, v0
	s_waitcnt lgkmcnt(0)
	s_barrier
	s_and_saveexec_b64 s[4:5], vcc
	s_cbranch_execz .LBB945_64
; %bb.63:
	s_movk_i32 s6, 0xffdc
	v_mad_i32_i24 v11, v0, s6, v32
	ds_read_b32 v18, v11
	v_and_b32_e32 v19, 3, v38
	v_cmp_ne_u32_e32 vcc, 0, v19
	s_waitcnt lgkmcnt(0)
	v_mov_b32_dpp v20, v18 row_shr:1 row_mask:0xf bank_mask:0xf
	v_cndmask_b32_e32 v20, 0, v20, vcc
	v_add_u32_e32 v18, v20, v18
	v_cmp_lt_u32_e32 vcc, 1, v19
	s_nop 0
	v_mov_b32_dpp v20, v18 row_shr:2 row_mask:0xf bank_mask:0xf
	v_cndmask_b32_e32 v19, 0, v20, vcc
	v_add_u32_e32 v18, v18, v19
	ds_write_b32 v11, v18
.LBB945_64:
	s_or_b64 exec, exec, s[4:5]
	v_cmp_lt_u32_e32 vcc, 63, v0
	v_mov_b32_e32 v11, 0
	v_mov_b32_e32 v18, 0
	s_waitcnt lgkmcnt(0)
	s_barrier
	s_and_saveexec_b64 s[4:5], vcc
	s_cbranch_execz .LBB945_66
; %bb.65:
	v_lshl_add_u32 v18, v39, 2, -4
	ds_read_b32 v18, v18
.LBB945_66:
	s_or_b64 exec, exec, s[4:5]
	v_add_u32_e32 v19, -1, v38
	v_and_b32_e32 v20, 64, v38
	v_cmp_lt_i32_e32 vcc, v19, v20
	v_cndmask_b32_e32 v19, v19, v38, vcc
	s_waitcnt lgkmcnt(0)
	v_add_u32_e32 v10, v18, v10
	v_lshlrev_b32_e32 v19, 2, v19
	ds_bpermute_b32 v19, v19, v10
	ds_read_b32 v10, v11 offset:12
	s_and_saveexec_b64 s[4:5], s[0:1]
	s_cbranch_execz .LBB945_68
; %bb.67:
	v_mov_b32_e32 v20, 0
	v_mov_b32_e32 v11, 2
	s_waitcnt lgkmcnt(0)
	global_store_dwordx2 v20, v[10:11], s[34:35] offset:512
.LBB945_68:
	s_or_b64 exec, exec, s[4:5]
	v_cmp_eq_u32_e32 vcc, 0, v38
	s_waitcnt lgkmcnt(1)
	v_cndmask_b32_e32 v18, v19, v18, vcc
	v_cndmask_b32_e64 v42, v18, 0, s[0:1]
	v_add_u32_sdwa v41, v42, v29 dst_sel:DWORD dst_unused:UNUSED_PAD src0_sel:DWORD src1_sel:BYTE_0
	v_add_u32_sdwa v25, v41, v29 dst_sel:DWORD dst_unused:UNUSED_PAD src0_sel:DWORD src1_sel:BYTE_1
	v_add_u32_e32 v24, v25, v33
	v_add_u32_e32 v23, v24, v31
	;; [unrolled: 1-line block ×6, first 2 shown]
	v_mov_b32_e32 v11, 0
	v_add_u32_e32 v18, v19, v37
	s_waitcnt lgkmcnt(0)
	s_barrier
.LBB945_69:
	s_waitcnt lgkmcnt(0)
	v_add_u32_e32 v26, v10, v26
	v_sub_u32_e32 v34, v42, v11
	v_and_b32_e32 v36, 1, v29
	v_sub_u32_e32 v35, v26, v34
	v_cmp_eq_u32_e32 vcc, 1, v36
	v_cndmask_b32_e32 v34, v35, v34, vcc
	v_lshlrev_b32_e32 v34, 2, v34
	v_lshrrev_b32_e32 v33, 8, v29
	ds_write_b32 v34, v6
	v_sub_u32_e32 v6, v41, v11
	v_sub_u32_e32 v34, v26, v6
	v_and_b32_e32 v33, 1, v33
	v_add_u32_e32 v34, 1, v34
	v_cmp_eq_u32_e32 vcc, 1, v33
	v_cndmask_b32_e32 v6, v34, v6, vcc
	v_lshlrev_b32_e32 v6, 2, v6
	ds_write_b32 v6, v7
	v_sub_u32_e32 v6, v25, v11
	v_mov_b32_e32 v25, 1
	v_sub_u32_e32 v7, v26, v6
	v_and_b32_sdwa v29, v25, v29 dst_sel:DWORD dst_unused:UNUSED_PAD src0_sel:DWORD src1_sel:WORD_1
	v_add_u32_e32 v7, 2, v7
	v_cmp_eq_u32_e32 vcc, 1, v29
	v_cndmask_b32_e32 v6, v7, v6, vcc
	v_lshlrev_b32_e32 v6, 2, v6
	ds_write_b32 v6, v8
	v_sub_u32_e32 v6, v24, v11
	v_sub_u32_e32 v7, v26, v6
	v_and_b32_e32 v8, 1, v31
	v_add_u32_e32 v7, 3, v7
	v_cmp_eq_u32_e32 vcc, 1, v8
	v_cndmask_b32_e32 v6, v7, v6, vcc
	v_lshlrev_b32_e32 v6, 2, v6
	ds_write_b32 v6, v9
	v_sub_u32_e32 v6, v23, v11
	v_sub_u32_e32 v7, v26, v6
	v_and_b32_e32 v8, 1, v28
	v_add_u32_e32 v7, 4, v7
	v_cmp_eq_u32_e32 vcc, 1, v8
	v_cndmask_b32_e32 v6, v7, v6, vcc
	v_lshlrev_b32_e32 v6, 2, v6
	v_lshrrev_b32_e32 v32, 8, v28
	ds_write_b32 v6, v2
	v_sub_u32_e32 v2, v22, v11
	v_sub_u32_e32 v6, v26, v2
	v_and_b32_e32 v7, 1, v32
	v_add_u32_e32 v6, 5, v6
	v_cmp_eq_u32_e32 vcc, 1, v7
	v_cndmask_b32_e32 v2, v6, v2, vcc
	v_lshlrev_b32_e32 v2, 2, v2
	ds_write_b32 v2, v3
	v_sub_u32_e32 v2, v21, v11
	v_sub_u32_e32 v3, v26, v2
	v_and_b32_sdwa v6, v25, v28 dst_sel:DWORD dst_unused:UNUSED_PAD src0_sel:DWORD src1_sel:WORD_1
	v_add_u32_e32 v3, 6, v3
	v_cmp_eq_u32_e32 vcc, 1, v6
	v_cndmask_b32_e32 v2, v3, v2, vcc
	v_lshlrev_b32_e32 v2, 2, v2
	ds_write_b32 v2, v4
	v_sub_u32_e32 v2, v20, v11
	v_sub_u32_e32 v3, v26, v2
	v_and_b32_e32 v4, 1, v30
	v_add_u32_e32 v3, 7, v3
	v_cmp_eq_u32_e32 vcc, 1, v4
	v_cndmask_b32_e32 v2, v3, v2, vcc
	v_lshlrev_b32_e32 v2, 2, v2
	ds_write_b32 v2, v5
	v_sub_u32_e32 v2, v19, v11
	v_sub_u32_e32 v3, v26, v2
	v_and_b32_e32 v4, 1, v27
	;; [unrolled: 8-line block ×3, first 2 shown]
	v_add_u32_e32 v3, 9, v3
	v_cmp_eq_u32_e32 vcc, 1, v4
	v_cndmask_b32_e32 v2, v3, v2, vcc
	v_lshlrev_b32_e32 v2, 2, v2
	ds_write_b32 v2, v17
	s_waitcnt lgkmcnt(0)
	s_barrier
	ds_read2st64_b32 v[16:17], v1 offset1:4
	ds_read2st64_b32 v[8:9], v1 offset0:8 offset1:12
	ds_read2st64_b32 v[6:7], v1 offset0:16 offset1:20
	ds_read2st64_b32 v[4:5], v1 offset0:24 offset1:28
	ds_read2st64_b32 v[2:3], v1 offset0:32 offset1:36
	s_waitcnt vmcnt(0)
	v_add_co_u32_e32 v1, vcc, v14, v11
	v_addc_co_u32_e32 v11, vcc, 0, v15, vcc
	v_mov_b32_e32 v13, s27
	v_add_co_u32_e32 v12, vcc, s26, v12
	v_addc_co_u32_e32 v13, vcc, 0, v13, vcc
	v_mov_b32_e32 v14, s31
	v_sub_co_u32_e32 v12, vcc, s30, v12
	v_subb_co_u32_e32 v13, vcc, v14, v13, vcc
	v_add_co_u32_e32 v12, vcc, v12, v10
	v_addc_co_u32_e32 v13, vcc, 0, v13, vcc
	s_and_b64 vcc, exec, s[2:3]
	v_add_co_u32_e64 v14, s[2:3], v12, v1
	v_or_b32_e32 v26, 0x100, v0
	v_or_b32_e32 v25, 0x200, v0
	;; [unrolled: 1-line block ×9, first 2 shown]
	v_addc_co_u32_e64 v15, s[2:3], v13, v11, s[2:3]
	s_cbranch_vccnz .LBB945_114
; %bb.70:
	v_cmp_ge_u32_e32 vcc, v0, v10
                                        ; implicit-def: $vgpr12_vgpr13
	s_and_saveexec_b64 s[2:3], vcc
	s_xor_b64 s[2:3], exec, s[2:3]
; %bb.71:
	v_not_b32_e32 v12, v0
	v_ashrrev_i32_e32 v13, 31, v12
	v_add_co_u32_e32 v12, vcc, v14, v12
	v_addc_co_u32_e32 v13, vcc, v15, v13, vcc
; %bb.72:
	s_andn2_saveexec_b64 s[2:3], s[2:3]
; %bb.73:
	v_add_co_u32_e32 v12, vcc, v1, v0
	v_addc_co_u32_e32 v13, vcc, 0, v11, vcc
; %bb.74:
	s_or_b64 exec, exec, s[2:3]
	v_lshlrev_b64 v[12:13], 2, v[12:13]
	v_mov_b32_e32 v27, s29
	v_add_co_u32_e32 v12, vcc, s28, v12
	v_addc_co_u32_e32 v13, vcc, v27, v13, vcc
	v_cmp_ge_u32_e32 vcc, v26, v10
	s_waitcnt lgkmcnt(4)
	global_store_dword v[12:13], v16, off
                                        ; implicit-def: $vgpr12_vgpr13
	s_and_saveexec_b64 s[2:3], vcc
	s_xor_b64 s[2:3], exec, s[2:3]
; %bb.75:
	v_xor_b32_e32 v12, 0xfffffeff, v0
	v_ashrrev_i32_e32 v13, 31, v12
	v_add_co_u32_e32 v12, vcc, v14, v12
	v_addc_co_u32_e32 v13, vcc, v15, v13, vcc
; %bb.76:
	s_andn2_saveexec_b64 s[2:3], s[2:3]
; %bb.77:
	v_add_co_u32_e32 v12, vcc, v1, v26
	v_addc_co_u32_e32 v13, vcc, 0, v11, vcc
; %bb.78:
	s_or_b64 exec, exec, s[2:3]
	v_lshlrev_b64 v[12:13], 2, v[12:13]
	v_mov_b32_e32 v27, s29
	v_add_co_u32_e32 v12, vcc, s28, v12
	v_addc_co_u32_e32 v13, vcc, v27, v13, vcc
	v_cmp_ge_u32_e32 vcc, v25, v10
	global_store_dword v[12:13], v17, off
                                        ; implicit-def: $vgpr12_vgpr13
	s_and_saveexec_b64 s[2:3], vcc
	s_xor_b64 s[2:3], exec, s[2:3]
; %bb.79:
	v_xor_b32_e32 v12, 0xfffffdff, v0
	v_ashrrev_i32_e32 v13, 31, v12
	v_add_co_u32_e32 v12, vcc, v14, v12
	v_addc_co_u32_e32 v13, vcc, v15, v13, vcc
; %bb.80:
	s_andn2_saveexec_b64 s[2:3], s[2:3]
; %bb.81:
	v_add_co_u32_e32 v12, vcc, v1, v25
	v_addc_co_u32_e32 v13, vcc, 0, v11, vcc
; %bb.82:
	s_or_b64 exec, exec, s[2:3]
	v_lshlrev_b64 v[12:13], 2, v[12:13]
	v_mov_b32_e32 v27, s29
	v_add_co_u32_e32 v12, vcc, s28, v12
	v_addc_co_u32_e32 v13, vcc, v27, v13, vcc
	v_cmp_ge_u32_e32 vcc, v24, v10
	s_waitcnt lgkmcnt(3)
	global_store_dword v[12:13], v8, off
                                        ; implicit-def: $vgpr12_vgpr13
	s_and_saveexec_b64 s[2:3], vcc
	s_xor_b64 s[2:3], exec, s[2:3]
; %bb.83:
	v_xor_b32_e32 v12, 0xfffffcff, v0
	v_ashrrev_i32_e32 v13, 31, v12
	v_add_co_u32_e32 v12, vcc, v14, v12
	v_addc_co_u32_e32 v13, vcc, v15, v13, vcc
; %bb.84:
	s_andn2_saveexec_b64 s[2:3], s[2:3]
; %bb.85:
	v_add_co_u32_e32 v12, vcc, v1, v24
	v_addc_co_u32_e32 v13, vcc, 0, v11, vcc
; %bb.86:
	s_or_b64 exec, exec, s[2:3]
	v_lshlrev_b64 v[12:13], 2, v[12:13]
	v_mov_b32_e32 v27, s29
	v_add_co_u32_e32 v12, vcc, s28, v12
	v_addc_co_u32_e32 v13, vcc, v27, v13, vcc
	v_cmp_ge_u32_e32 vcc, v23, v10
	global_store_dword v[12:13], v9, off
                                        ; implicit-def: $vgpr12_vgpr13
	s_and_saveexec_b64 s[2:3], vcc
	s_xor_b64 s[2:3], exec, s[2:3]
; %bb.87:
	v_xor_b32_e32 v12, 0xfffffbff, v0
	v_ashrrev_i32_e32 v13, 31, v12
	v_add_co_u32_e32 v12, vcc, v14, v12
	v_addc_co_u32_e32 v13, vcc, v15, v13, vcc
; %bb.88:
	s_andn2_saveexec_b64 s[2:3], s[2:3]
; %bb.89:
	v_add_co_u32_e32 v12, vcc, v1, v23
	v_addc_co_u32_e32 v13, vcc, 0, v11, vcc
; %bb.90:
	s_or_b64 exec, exec, s[2:3]
	v_lshlrev_b64 v[12:13], 2, v[12:13]
	v_mov_b32_e32 v27, s29
	v_add_co_u32_e32 v12, vcc, s28, v12
	v_addc_co_u32_e32 v13, vcc, v27, v13, vcc
	v_cmp_ge_u32_e32 vcc, v22, v10
	s_waitcnt lgkmcnt(2)
	global_store_dword v[12:13], v6, off
                                        ; implicit-def: $vgpr12_vgpr13
	s_and_saveexec_b64 s[2:3], vcc
	s_xor_b64 s[2:3], exec, s[2:3]
; %bb.91:
	v_xor_b32_e32 v12, 0xfffffaff, v0
	v_ashrrev_i32_e32 v13, 31, v12
	v_add_co_u32_e32 v12, vcc, v14, v12
	v_addc_co_u32_e32 v13, vcc, v15, v13, vcc
; %bb.92:
	s_andn2_saveexec_b64 s[2:3], s[2:3]
; %bb.93:
	v_add_co_u32_e32 v12, vcc, v1, v22
	v_addc_co_u32_e32 v13, vcc, 0, v11, vcc
; %bb.94:
	s_or_b64 exec, exec, s[2:3]
	v_lshlrev_b64 v[12:13], 2, v[12:13]
	v_mov_b32_e32 v27, s29
	v_add_co_u32_e32 v12, vcc, s28, v12
	v_addc_co_u32_e32 v13, vcc, v27, v13, vcc
	v_cmp_ge_u32_e32 vcc, v21, v10
	global_store_dword v[12:13], v7, off
                                        ; implicit-def: $vgpr12_vgpr13
	s_and_saveexec_b64 s[2:3], vcc
	s_xor_b64 s[2:3], exec, s[2:3]
; %bb.95:
	v_xor_b32_e32 v12, 0xfffff9ff, v0
	v_ashrrev_i32_e32 v13, 31, v12
	v_add_co_u32_e32 v12, vcc, v14, v12
	v_addc_co_u32_e32 v13, vcc, v15, v13, vcc
; %bb.96:
	s_andn2_saveexec_b64 s[2:3], s[2:3]
; %bb.97:
	v_add_co_u32_e32 v12, vcc, v1, v21
	v_addc_co_u32_e32 v13, vcc, 0, v11, vcc
; %bb.98:
	s_or_b64 exec, exec, s[2:3]
	v_lshlrev_b64 v[12:13], 2, v[12:13]
	v_mov_b32_e32 v27, s29
	v_add_co_u32_e32 v12, vcc, s28, v12
	v_addc_co_u32_e32 v13, vcc, v27, v13, vcc
	v_cmp_ge_u32_e32 vcc, v20, v10
	s_waitcnt lgkmcnt(1)
	global_store_dword v[12:13], v4, off
                                        ; implicit-def: $vgpr12_vgpr13
	s_and_saveexec_b64 s[2:3], vcc
	s_xor_b64 s[2:3], exec, s[2:3]
; %bb.99:
	v_xor_b32_e32 v12, 0xfffff8ff, v0
	v_ashrrev_i32_e32 v13, 31, v12
	v_add_co_u32_e32 v12, vcc, v14, v12
	v_addc_co_u32_e32 v13, vcc, v15, v13, vcc
; %bb.100:
	s_andn2_saveexec_b64 s[2:3], s[2:3]
; %bb.101:
	v_add_co_u32_e32 v12, vcc, v1, v20
	v_addc_co_u32_e32 v13, vcc, 0, v11, vcc
; %bb.102:
	s_or_b64 exec, exec, s[2:3]
	v_lshlrev_b64 v[12:13], 2, v[12:13]
	v_mov_b32_e32 v27, s29
	v_add_co_u32_e32 v12, vcc, s28, v12
	v_addc_co_u32_e32 v13, vcc, v27, v13, vcc
	v_cmp_ge_u32_e32 vcc, v19, v10
	global_store_dword v[12:13], v5, off
                                        ; implicit-def: $vgpr12_vgpr13
	s_and_saveexec_b64 s[2:3], vcc
	s_xor_b64 s[2:3], exec, s[2:3]
; %bb.103:
	v_xor_b32_e32 v12, 0xfffff7ff, v0
	v_ashrrev_i32_e32 v13, 31, v12
	v_add_co_u32_e32 v12, vcc, v14, v12
	v_addc_co_u32_e32 v13, vcc, v15, v13, vcc
; %bb.104:
	s_andn2_saveexec_b64 s[2:3], s[2:3]
; %bb.105:
	v_add_co_u32_e32 v12, vcc, v1, v19
	v_addc_co_u32_e32 v13, vcc, 0, v11, vcc
; %bb.106:
	s_or_b64 exec, exec, s[2:3]
	v_lshlrev_b64 v[12:13], 2, v[12:13]
	v_mov_b32_e32 v27, s29
	v_add_co_u32_e32 v12, vcc, s28, v12
	v_addc_co_u32_e32 v13, vcc, v27, v13, vcc
	v_cmp_ge_u32_e32 vcc, v18, v10
	s_waitcnt lgkmcnt(0)
	global_store_dword v[12:13], v2, off
                                        ; implicit-def: $vgpr12_vgpr13
	s_and_saveexec_b64 s[2:3], vcc
	s_xor_b64 s[2:3], exec, s[2:3]
; %bb.107:
	v_xor_b32_e32 v12, 0xfffff6ff, v0
	v_ashrrev_i32_e32 v13, 31, v12
	v_add_co_u32_e32 v12, vcc, v14, v12
	v_addc_co_u32_e32 v13, vcc, v15, v13, vcc
; %bb.108:
	s_andn2_saveexec_b64 s[2:3], s[2:3]
; %bb.109:
	v_add_co_u32_e32 v12, vcc, v1, v18
	v_addc_co_u32_e32 v13, vcc, 0, v11, vcc
; %bb.110:
	s_or_b64 exec, exec, s[2:3]
	s_mov_b64 s[2:3], -1
.LBB945_111:
	s_and_saveexec_b64 s[4:5], s[2:3]
	s_cbranch_execz .LBB945_142
.LBB945_112:
	s_waitcnt lgkmcnt(1)
	v_lshlrev_b64 v[4:5], 2, v[12:13]
	v_mov_b32_e32 v0, s29
	v_add_co_u32_e32 v4, vcc, s28, v4
	v_addc_co_u32_e32 v5, vcc, v0, v5, vcc
	s_waitcnt lgkmcnt(0)
	global_store_dword v[4:5], v3, off
	s_or_b64 exec, exec, s[4:5]
	s_and_b64 s[0:1], s[0:1], s[22:23]
	s_and_saveexec_b64 s[2:3], s[0:1]
	s_cbranch_execnz .LBB945_143
.LBB945_113:
	s_endpgm
.LBB945_114:
	s_mov_b64 s[2:3], 0
                                        ; implicit-def: $vgpr12_vgpr13
	s_cbranch_execz .LBB945_111
; %bb.115:
	v_cmp_gt_u32_e32 vcc, s33, v0
	s_and_saveexec_b64 s[4:5], vcc
	s_cbranch_execz .LBB945_144
; %bb.116:
	v_cmp_ge_u32_e32 vcc, v0, v10
                                        ; implicit-def: $vgpr12_vgpr13
	s_and_saveexec_b64 s[6:7], vcc
	s_xor_b64 s[6:7], exec, s[6:7]
; %bb.117:
	v_not_b32_e32 v12, v0
	v_ashrrev_i32_e32 v13, 31, v12
	v_add_co_u32_e32 v12, vcc, v14, v12
	v_addc_co_u32_e32 v13, vcc, v15, v13, vcc
; %bb.118:
	s_andn2_saveexec_b64 s[6:7], s[6:7]
; %bb.119:
	v_add_co_u32_e32 v12, vcc, v1, v0
	v_addc_co_u32_e32 v13, vcc, 0, v11, vcc
; %bb.120:
	s_or_b64 exec, exec, s[6:7]
	v_lshlrev_b64 v[12:13], 2, v[12:13]
	v_mov_b32_e32 v27, s29
	v_add_co_u32_e32 v12, vcc, s28, v12
	v_addc_co_u32_e32 v13, vcc, v27, v13, vcc
	s_waitcnt lgkmcnt(4)
	global_store_dword v[12:13], v16, off
	s_or_b64 exec, exec, s[4:5]
	v_cmp_gt_u32_e32 vcc, s33, v26
	s_and_saveexec_b64 s[4:5], vcc
	s_cbranch_execnz .LBB945_145
.LBB945_121:
	s_or_b64 exec, exec, s[4:5]
	v_cmp_gt_u32_e32 vcc, s33, v25
	s_and_saveexec_b64 s[4:5], vcc
	s_cbranch_execz .LBB945_150
.LBB945_122:
	v_cmp_ge_u32_e32 vcc, v25, v10
                                        ; implicit-def: $vgpr12_vgpr13
	s_and_saveexec_b64 s[6:7], vcc
	s_xor_b64 s[6:7], exec, s[6:7]
; %bb.123:
	v_xor_b32_e32 v12, 0xfffffdff, v0
	v_ashrrev_i32_e32 v13, 31, v12
	v_add_co_u32_e32 v12, vcc, v14, v12
	v_addc_co_u32_e32 v13, vcc, v15, v13, vcc
                                        ; implicit-def: $vgpr25
; %bb.124:
	s_andn2_saveexec_b64 s[6:7], s[6:7]
; %bb.125:
	v_add_co_u32_e32 v12, vcc, v1, v25
	v_addc_co_u32_e32 v13, vcc, 0, v11, vcc
; %bb.126:
	s_or_b64 exec, exec, s[6:7]
	v_lshlrev_b64 v[12:13], 2, v[12:13]
	s_waitcnt lgkmcnt(4)
	v_mov_b32_e32 v16, s29
	v_add_co_u32_e32 v12, vcc, s28, v12
	v_addc_co_u32_e32 v13, vcc, v16, v13, vcc
	s_waitcnt lgkmcnt(3)
	global_store_dword v[12:13], v8, off
	s_or_b64 exec, exec, s[4:5]
	v_cmp_gt_u32_e32 vcc, s33, v24
	s_and_saveexec_b64 s[4:5], vcc
	s_cbranch_execnz .LBB945_151
.LBB945_127:
	s_or_b64 exec, exec, s[4:5]
	v_cmp_gt_u32_e32 vcc, s33, v23
	s_and_saveexec_b64 s[4:5], vcc
	s_cbranch_execz .LBB945_156
.LBB945_128:
	v_cmp_ge_u32_e32 vcc, v23, v10
                                        ; implicit-def: $vgpr8_vgpr9
	s_and_saveexec_b64 s[6:7], vcc
	s_xor_b64 s[6:7], exec, s[6:7]
	s_cbranch_execz .LBB945_130
; %bb.129:
	s_waitcnt lgkmcnt(3)
	v_xor_b32_e32 v8, 0xfffffbff, v0
	v_ashrrev_i32_e32 v9, 31, v8
	v_add_co_u32_e32 v8, vcc, v14, v8
	v_addc_co_u32_e32 v9, vcc, v15, v9, vcc
                                        ; implicit-def: $vgpr23
.LBB945_130:
	s_andn2_saveexec_b64 s[6:7], s[6:7]
	s_cbranch_execz .LBB945_132
; %bb.131:
	s_waitcnt lgkmcnt(3)
	v_add_co_u32_e32 v8, vcc, v1, v23
	v_addc_co_u32_e32 v9, vcc, 0, v11, vcc
.LBB945_132:
	s_or_b64 exec, exec, s[6:7]
	s_waitcnt lgkmcnt(3)
	v_lshlrev_b64 v[8:9], 2, v[8:9]
	v_mov_b32_e32 v12, s29
	v_add_co_u32_e32 v8, vcc, s28, v8
	v_addc_co_u32_e32 v9, vcc, v12, v9, vcc
	s_waitcnt lgkmcnt(2)
	global_store_dword v[8:9], v6, off
	s_or_b64 exec, exec, s[4:5]
	v_cmp_gt_u32_e32 vcc, s33, v22
	s_and_saveexec_b64 s[4:5], vcc
	s_cbranch_execnz .LBB945_157
.LBB945_133:
	s_or_b64 exec, exec, s[4:5]
	v_cmp_gt_u32_e32 vcc, s33, v21
	s_and_saveexec_b64 s[4:5], vcc
	s_cbranch_execz .LBB945_162
.LBB945_134:
	v_cmp_ge_u32_e32 vcc, v21, v10
                                        ; implicit-def: $vgpr6_vgpr7
	s_and_saveexec_b64 s[6:7], vcc
	s_xor_b64 s[6:7], exec, s[6:7]
	s_cbranch_execz .LBB945_136
; %bb.135:
	s_waitcnt lgkmcnt(2)
	v_xor_b32_e32 v6, 0xfffff9ff, v0
	v_ashrrev_i32_e32 v7, 31, v6
	v_add_co_u32_e32 v6, vcc, v14, v6
	v_addc_co_u32_e32 v7, vcc, v15, v7, vcc
                                        ; implicit-def: $vgpr21
.LBB945_136:
	s_andn2_saveexec_b64 s[6:7], s[6:7]
	s_cbranch_execz .LBB945_138
; %bb.137:
	s_waitcnt lgkmcnt(2)
	v_add_co_u32_e32 v6, vcc, v1, v21
	v_addc_co_u32_e32 v7, vcc, 0, v11, vcc
.LBB945_138:
	s_or_b64 exec, exec, s[6:7]
	s_waitcnt lgkmcnt(2)
	v_lshlrev_b64 v[6:7], 2, v[6:7]
	v_mov_b32_e32 v8, s29
	v_add_co_u32_e32 v6, vcc, s28, v6
	v_addc_co_u32_e32 v7, vcc, v8, v7, vcc
	s_waitcnt lgkmcnt(1)
	global_store_dword v[6:7], v4, off
	s_or_b64 exec, exec, s[4:5]
	v_cmp_gt_u32_e32 vcc, s33, v20
	s_and_saveexec_b64 s[4:5], vcc
	s_cbranch_execnz .LBB945_163
.LBB945_139:
	s_or_b64 exec, exec, s[4:5]
	v_cmp_gt_u32_e32 vcc, s33, v19
	s_and_saveexec_b64 s[4:5], vcc
	s_cbranch_execnz .LBB945_168
.LBB945_140:
	s_or_b64 exec, exec, s[4:5]
	v_cmp_gt_u32_e32 vcc, s33, v18
                                        ; implicit-def: $vgpr12_vgpr13
	s_and_saveexec_b64 s[4:5], vcc
	s_cbranch_execnz .LBB945_173
.LBB945_141:
	s_or_b64 exec, exec, s[4:5]
	s_and_saveexec_b64 s[4:5], s[2:3]
	s_cbranch_execnz .LBB945_112
.LBB945_142:
	s_or_b64 exec, exec, s[4:5]
	s_and_b64 s[0:1], s[0:1], s[22:23]
	s_and_saveexec_b64 s[2:3], s[0:1]
	s_cbranch_execz .LBB945_113
.LBB945_143:
	v_add_co_u32_e32 v0, vcc, v1, v10
	s_waitcnt lgkmcnt(0)
	v_mov_b32_e32 v2, 0
	v_addc_co_u32_e32 v1, vcc, 0, v11, vcc
	global_store_dwordx2 v2, v[0:1], s[20:21]
	s_endpgm
.LBB945_144:
	s_or_b64 exec, exec, s[4:5]
	v_cmp_gt_u32_e32 vcc, s33, v26
	s_and_saveexec_b64 s[4:5], vcc
	s_cbranch_execz .LBB945_121
.LBB945_145:
	v_cmp_ge_u32_e32 vcc, v26, v10
                                        ; implicit-def: $vgpr12_vgpr13
	s_and_saveexec_b64 s[6:7], vcc
	s_xor_b64 s[6:7], exec, s[6:7]
; %bb.146:
	v_xor_b32_e32 v12, 0xfffffeff, v0
	v_ashrrev_i32_e32 v13, 31, v12
	v_add_co_u32_e32 v12, vcc, v14, v12
	v_addc_co_u32_e32 v13, vcc, v15, v13, vcc
                                        ; implicit-def: $vgpr26
; %bb.147:
	s_andn2_saveexec_b64 s[6:7], s[6:7]
; %bb.148:
	v_add_co_u32_e32 v12, vcc, v1, v26
	v_addc_co_u32_e32 v13, vcc, 0, v11, vcc
; %bb.149:
	s_or_b64 exec, exec, s[6:7]
	v_lshlrev_b64 v[12:13], 2, v[12:13]
	s_waitcnt lgkmcnt(4)
	v_mov_b32_e32 v16, s29
	v_add_co_u32_e32 v12, vcc, s28, v12
	v_addc_co_u32_e32 v13, vcc, v16, v13, vcc
	global_store_dword v[12:13], v17, off
	s_or_b64 exec, exec, s[4:5]
	v_cmp_gt_u32_e32 vcc, s33, v25
	s_and_saveexec_b64 s[4:5], vcc
	s_cbranch_execnz .LBB945_122
.LBB945_150:
	s_or_b64 exec, exec, s[4:5]
	v_cmp_gt_u32_e32 vcc, s33, v24
	s_and_saveexec_b64 s[4:5], vcc
	s_cbranch_execz .LBB945_127
.LBB945_151:
	v_cmp_ge_u32_e32 vcc, v24, v10
                                        ; implicit-def: $vgpr12_vgpr13
	s_and_saveexec_b64 s[6:7], vcc
	s_xor_b64 s[6:7], exec, s[6:7]
	s_cbranch_execz .LBB945_153
; %bb.152:
	s_waitcnt lgkmcnt(3)
	v_xor_b32_e32 v8, 0xfffffcff, v0
	v_ashrrev_i32_e32 v13, 31, v8
	v_add_co_u32_e32 v12, vcc, v14, v8
	v_addc_co_u32_e32 v13, vcc, v15, v13, vcc
                                        ; implicit-def: $vgpr24
.LBB945_153:
	s_andn2_saveexec_b64 s[6:7], s[6:7]
; %bb.154:
	v_add_co_u32_e32 v12, vcc, v1, v24
	v_addc_co_u32_e32 v13, vcc, 0, v11, vcc
; %bb.155:
	s_or_b64 exec, exec, s[6:7]
	v_lshlrev_b64 v[12:13], 2, v[12:13]
	s_waitcnt lgkmcnt(3)
	v_mov_b32_e32 v8, s29
	v_add_co_u32_e32 v12, vcc, s28, v12
	v_addc_co_u32_e32 v13, vcc, v8, v13, vcc
	global_store_dword v[12:13], v9, off
	s_or_b64 exec, exec, s[4:5]
	v_cmp_gt_u32_e32 vcc, s33, v23
	s_and_saveexec_b64 s[4:5], vcc
	s_cbranch_execnz .LBB945_128
.LBB945_156:
	s_or_b64 exec, exec, s[4:5]
	v_cmp_gt_u32_e32 vcc, s33, v22
	s_and_saveexec_b64 s[4:5], vcc
	s_cbranch_execz .LBB945_133
.LBB945_157:
	v_cmp_ge_u32_e32 vcc, v22, v10
                                        ; implicit-def: $vgpr8_vgpr9
	s_and_saveexec_b64 s[6:7], vcc
	s_xor_b64 s[6:7], exec, s[6:7]
	s_cbranch_execz .LBB945_159
; %bb.158:
	s_waitcnt lgkmcnt(2)
	v_xor_b32_e32 v6, 0xfffffaff, v0
	v_ashrrev_i32_e32 v9, 31, v6
	v_add_co_u32_e32 v8, vcc, v14, v6
	v_addc_co_u32_e32 v9, vcc, v15, v9, vcc
                                        ; implicit-def: $vgpr22
.LBB945_159:
	s_andn2_saveexec_b64 s[6:7], s[6:7]
	s_cbranch_execz .LBB945_161
; %bb.160:
	s_waitcnt lgkmcnt(3)
	v_add_co_u32_e32 v8, vcc, v1, v22
	v_addc_co_u32_e32 v9, vcc, 0, v11, vcc
.LBB945_161:
	s_or_b64 exec, exec, s[6:7]
	s_waitcnt lgkmcnt(3)
	v_lshlrev_b64 v[8:9], 2, v[8:9]
	s_waitcnt lgkmcnt(2)
	v_mov_b32_e32 v6, s29
	v_add_co_u32_e32 v8, vcc, s28, v8
	v_addc_co_u32_e32 v9, vcc, v6, v9, vcc
	global_store_dword v[8:9], v7, off
	s_or_b64 exec, exec, s[4:5]
	v_cmp_gt_u32_e32 vcc, s33, v21
	s_and_saveexec_b64 s[4:5], vcc
	s_cbranch_execnz .LBB945_134
.LBB945_162:
	s_or_b64 exec, exec, s[4:5]
	v_cmp_gt_u32_e32 vcc, s33, v20
	s_and_saveexec_b64 s[4:5], vcc
	s_cbranch_execz .LBB945_139
.LBB945_163:
	v_cmp_ge_u32_e32 vcc, v20, v10
                                        ; implicit-def: $vgpr6_vgpr7
	s_and_saveexec_b64 s[6:7], vcc
	s_xor_b64 s[6:7], exec, s[6:7]
	s_cbranch_execz .LBB945_165
; %bb.164:
	s_waitcnt lgkmcnt(1)
	v_xor_b32_e32 v4, 0xfffff8ff, v0
	v_ashrrev_i32_e32 v7, 31, v4
	v_add_co_u32_e32 v6, vcc, v14, v4
	v_addc_co_u32_e32 v7, vcc, v15, v7, vcc
                                        ; implicit-def: $vgpr20
.LBB945_165:
	s_andn2_saveexec_b64 s[6:7], s[6:7]
	s_cbranch_execz .LBB945_167
; %bb.166:
	s_waitcnt lgkmcnt(2)
	v_add_co_u32_e32 v6, vcc, v1, v20
	v_addc_co_u32_e32 v7, vcc, 0, v11, vcc
.LBB945_167:
	s_or_b64 exec, exec, s[6:7]
	s_waitcnt lgkmcnt(2)
	v_lshlrev_b64 v[6:7], 2, v[6:7]
	s_waitcnt lgkmcnt(1)
	v_mov_b32_e32 v4, s29
	v_add_co_u32_e32 v6, vcc, s28, v6
	v_addc_co_u32_e32 v7, vcc, v4, v7, vcc
	global_store_dword v[6:7], v5, off
	s_or_b64 exec, exec, s[4:5]
	v_cmp_gt_u32_e32 vcc, s33, v19
	s_and_saveexec_b64 s[4:5], vcc
	s_cbranch_execz .LBB945_140
.LBB945_168:
	v_cmp_ge_u32_e32 vcc, v19, v10
                                        ; implicit-def: $vgpr4_vgpr5
	s_and_saveexec_b64 s[6:7], vcc
	s_xor_b64 s[6:7], exec, s[6:7]
	s_cbranch_execz .LBB945_170
; %bb.169:
	s_waitcnt lgkmcnt(1)
	v_xor_b32_e32 v4, 0xfffff7ff, v0
	v_ashrrev_i32_e32 v5, 31, v4
	v_add_co_u32_e32 v4, vcc, v14, v4
	v_addc_co_u32_e32 v5, vcc, v15, v5, vcc
                                        ; implicit-def: $vgpr19
.LBB945_170:
	s_andn2_saveexec_b64 s[6:7], s[6:7]
	s_cbranch_execz .LBB945_172
; %bb.171:
	s_waitcnt lgkmcnt(1)
	v_add_co_u32_e32 v4, vcc, v1, v19
	v_addc_co_u32_e32 v5, vcc, 0, v11, vcc
.LBB945_172:
	s_or_b64 exec, exec, s[6:7]
	s_waitcnt lgkmcnt(1)
	v_lshlrev_b64 v[4:5], 2, v[4:5]
	v_mov_b32_e32 v6, s29
	v_add_co_u32_e32 v4, vcc, s28, v4
	v_addc_co_u32_e32 v5, vcc, v6, v5, vcc
	s_waitcnt lgkmcnt(0)
	global_store_dword v[4:5], v2, off
	s_or_b64 exec, exec, s[4:5]
	v_cmp_gt_u32_e32 vcc, s33, v18
                                        ; implicit-def: $vgpr12_vgpr13
	s_and_saveexec_b64 s[4:5], vcc
	s_cbranch_execz .LBB945_141
.LBB945_173:
	v_cmp_ge_u32_e32 vcc, v18, v10
                                        ; implicit-def: $vgpr12_vgpr13
	s_and_saveexec_b64 s[6:7], vcc
	s_xor_b64 s[6:7], exec, s[6:7]
	s_cbranch_execz .LBB945_175
; %bb.174:
	v_xor_b32_e32 v0, 0xfffff6ff, v0
	s_waitcnt lgkmcnt(0)
	v_ashrrev_i32_e32 v2, 31, v0
	v_add_co_u32_e32 v12, vcc, v14, v0
	v_addc_co_u32_e32 v13, vcc, v15, v2, vcc
                                        ; implicit-def: $vgpr18
.LBB945_175:
	s_andn2_saveexec_b64 s[6:7], s[6:7]
; %bb.176:
	v_add_co_u32_e32 v12, vcc, v1, v18
	v_addc_co_u32_e32 v13, vcc, 0, v11, vcc
; %bb.177:
	s_or_b64 exec, exec, s[6:7]
	s_or_b64 s[2:3], s[2:3], exec
	s_or_b64 exec, exec, s[4:5]
	s_and_saveexec_b64 s[4:5], s[2:3]
	s_cbranch_execnz .LBB945_112
	s_branch .LBB945_142
	.section	.rodata,"a",@progbits
	.p2align	6, 0x0
	.amdhsa_kernel _ZN7rocprim17ROCPRIM_400000_NS6detail17trampoline_kernelINS0_14default_configENS1_25partition_config_selectorILNS1_17partition_subalgoE3EjNS0_10empty_typeEbEEZZNS1_14partition_implILS5_3ELb0ES3_jN6thrust23THRUST_200600_302600_NS6detail15normal_iteratorINSA_7pointerIjNSA_11hip_rocprim3tagENSA_11use_defaultESG_EEEEPS6_SJ_NS0_5tupleIJPjSJ_EEENSK_IJSJ_SJ_EEES6_PlJ7is_evenIjEEEE10hipError_tPvRmT3_T4_T5_T6_T7_T9_mT8_P12ihipStream_tbDpT10_ENKUlT_T0_E_clISt17integral_constantIbLb0EES19_IbLb1EEEEDaS15_S16_EUlS15_E_NS1_11comp_targetILNS1_3genE4ELNS1_11target_archE910ELNS1_3gpuE8ELNS1_3repE0EEENS1_30default_config_static_selectorELNS0_4arch9wavefront6targetE1EEEvT1_
		.amdhsa_group_segment_fixed_size 10248
		.amdhsa_private_segment_fixed_size 0
		.amdhsa_kernarg_size 136
		.amdhsa_user_sgpr_count 6
		.amdhsa_user_sgpr_private_segment_buffer 1
		.amdhsa_user_sgpr_dispatch_ptr 0
		.amdhsa_user_sgpr_queue_ptr 0
		.amdhsa_user_sgpr_kernarg_segment_ptr 1
		.amdhsa_user_sgpr_dispatch_id 0
		.amdhsa_user_sgpr_flat_scratch_init 0
		.amdhsa_user_sgpr_kernarg_preload_length 0
		.amdhsa_user_sgpr_kernarg_preload_offset 0
		.amdhsa_user_sgpr_private_segment_size 0
		.amdhsa_uses_dynamic_stack 0
		.amdhsa_system_sgpr_private_segment_wavefront_offset 0
		.amdhsa_system_sgpr_workgroup_id_x 1
		.amdhsa_system_sgpr_workgroup_id_y 0
		.amdhsa_system_sgpr_workgroup_id_z 0
		.amdhsa_system_sgpr_workgroup_info 0
		.amdhsa_system_vgpr_workitem_id 0
		.amdhsa_next_free_vgpr 57
		.amdhsa_next_free_sgpr 44
		.amdhsa_accum_offset 60
		.amdhsa_reserve_vcc 1
		.amdhsa_reserve_flat_scratch 0
		.amdhsa_float_round_mode_32 0
		.amdhsa_float_round_mode_16_64 0
		.amdhsa_float_denorm_mode_32 3
		.amdhsa_float_denorm_mode_16_64 3
		.amdhsa_dx10_clamp 1
		.amdhsa_ieee_mode 1
		.amdhsa_fp16_overflow 0
		.amdhsa_tg_split 0
		.amdhsa_exception_fp_ieee_invalid_op 0
		.amdhsa_exception_fp_denorm_src 0
		.amdhsa_exception_fp_ieee_div_zero 0
		.amdhsa_exception_fp_ieee_overflow 0
		.amdhsa_exception_fp_ieee_underflow 0
		.amdhsa_exception_fp_ieee_inexact 0
		.amdhsa_exception_int_div_zero 0
	.end_amdhsa_kernel
	.section	.text._ZN7rocprim17ROCPRIM_400000_NS6detail17trampoline_kernelINS0_14default_configENS1_25partition_config_selectorILNS1_17partition_subalgoE3EjNS0_10empty_typeEbEEZZNS1_14partition_implILS5_3ELb0ES3_jN6thrust23THRUST_200600_302600_NS6detail15normal_iteratorINSA_7pointerIjNSA_11hip_rocprim3tagENSA_11use_defaultESG_EEEEPS6_SJ_NS0_5tupleIJPjSJ_EEENSK_IJSJ_SJ_EEES6_PlJ7is_evenIjEEEE10hipError_tPvRmT3_T4_T5_T6_T7_T9_mT8_P12ihipStream_tbDpT10_ENKUlT_T0_E_clISt17integral_constantIbLb0EES19_IbLb1EEEEDaS15_S16_EUlS15_E_NS1_11comp_targetILNS1_3genE4ELNS1_11target_archE910ELNS1_3gpuE8ELNS1_3repE0EEENS1_30default_config_static_selectorELNS0_4arch9wavefront6targetE1EEEvT1_,"axG",@progbits,_ZN7rocprim17ROCPRIM_400000_NS6detail17trampoline_kernelINS0_14default_configENS1_25partition_config_selectorILNS1_17partition_subalgoE3EjNS0_10empty_typeEbEEZZNS1_14partition_implILS5_3ELb0ES3_jN6thrust23THRUST_200600_302600_NS6detail15normal_iteratorINSA_7pointerIjNSA_11hip_rocprim3tagENSA_11use_defaultESG_EEEEPS6_SJ_NS0_5tupleIJPjSJ_EEENSK_IJSJ_SJ_EEES6_PlJ7is_evenIjEEEE10hipError_tPvRmT3_T4_T5_T6_T7_T9_mT8_P12ihipStream_tbDpT10_ENKUlT_T0_E_clISt17integral_constantIbLb0EES19_IbLb1EEEEDaS15_S16_EUlS15_E_NS1_11comp_targetILNS1_3genE4ELNS1_11target_archE910ELNS1_3gpuE8ELNS1_3repE0EEENS1_30default_config_static_selectorELNS0_4arch9wavefront6targetE1EEEvT1_,comdat
.Lfunc_end945:
	.size	_ZN7rocprim17ROCPRIM_400000_NS6detail17trampoline_kernelINS0_14default_configENS1_25partition_config_selectorILNS1_17partition_subalgoE3EjNS0_10empty_typeEbEEZZNS1_14partition_implILS5_3ELb0ES3_jN6thrust23THRUST_200600_302600_NS6detail15normal_iteratorINSA_7pointerIjNSA_11hip_rocprim3tagENSA_11use_defaultESG_EEEEPS6_SJ_NS0_5tupleIJPjSJ_EEENSK_IJSJ_SJ_EEES6_PlJ7is_evenIjEEEE10hipError_tPvRmT3_T4_T5_T6_T7_T9_mT8_P12ihipStream_tbDpT10_ENKUlT_T0_E_clISt17integral_constantIbLb0EES19_IbLb1EEEEDaS15_S16_EUlS15_E_NS1_11comp_targetILNS1_3genE4ELNS1_11target_archE910ELNS1_3gpuE8ELNS1_3repE0EEENS1_30default_config_static_selectorELNS0_4arch9wavefront6targetE1EEEvT1_, .Lfunc_end945-_ZN7rocprim17ROCPRIM_400000_NS6detail17trampoline_kernelINS0_14default_configENS1_25partition_config_selectorILNS1_17partition_subalgoE3EjNS0_10empty_typeEbEEZZNS1_14partition_implILS5_3ELb0ES3_jN6thrust23THRUST_200600_302600_NS6detail15normal_iteratorINSA_7pointerIjNSA_11hip_rocprim3tagENSA_11use_defaultESG_EEEEPS6_SJ_NS0_5tupleIJPjSJ_EEENSK_IJSJ_SJ_EEES6_PlJ7is_evenIjEEEE10hipError_tPvRmT3_T4_T5_T6_T7_T9_mT8_P12ihipStream_tbDpT10_ENKUlT_T0_E_clISt17integral_constantIbLb0EES19_IbLb1EEEEDaS15_S16_EUlS15_E_NS1_11comp_targetILNS1_3genE4ELNS1_11target_archE910ELNS1_3gpuE8ELNS1_3repE0EEENS1_30default_config_static_selectorELNS0_4arch9wavefront6targetE1EEEvT1_
                                        ; -- End function
	.section	.AMDGPU.csdata,"",@progbits
; Kernel info:
; codeLenInByte = 6172
; NumSgprs: 48
; NumVgprs: 57
; NumAgprs: 0
; TotalNumVgprs: 57
; ScratchSize: 0
; MemoryBound: 0
; FloatMode: 240
; IeeeMode: 1
; LDSByteSize: 10248 bytes/workgroup (compile time only)
; SGPRBlocks: 5
; VGPRBlocks: 7
; NumSGPRsForWavesPerEU: 48
; NumVGPRsForWavesPerEU: 57
; AccumOffset: 60
; Occupancy: 6
; WaveLimiterHint : 1
; COMPUTE_PGM_RSRC2:SCRATCH_EN: 0
; COMPUTE_PGM_RSRC2:USER_SGPR: 6
; COMPUTE_PGM_RSRC2:TRAP_HANDLER: 0
; COMPUTE_PGM_RSRC2:TGID_X_EN: 1
; COMPUTE_PGM_RSRC2:TGID_Y_EN: 0
; COMPUTE_PGM_RSRC2:TGID_Z_EN: 0
; COMPUTE_PGM_RSRC2:TIDIG_COMP_CNT: 0
; COMPUTE_PGM_RSRC3_GFX90A:ACCUM_OFFSET: 14
; COMPUTE_PGM_RSRC3_GFX90A:TG_SPLIT: 0
	.section	.text._ZN7rocprim17ROCPRIM_400000_NS6detail17trampoline_kernelINS0_14default_configENS1_25partition_config_selectorILNS1_17partition_subalgoE3EjNS0_10empty_typeEbEEZZNS1_14partition_implILS5_3ELb0ES3_jN6thrust23THRUST_200600_302600_NS6detail15normal_iteratorINSA_7pointerIjNSA_11hip_rocprim3tagENSA_11use_defaultESG_EEEEPS6_SJ_NS0_5tupleIJPjSJ_EEENSK_IJSJ_SJ_EEES6_PlJ7is_evenIjEEEE10hipError_tPvRmT3_T4_T5_T6_T7_T9_mT8_P12ihipStream_tbDpT10_ENKUlT_T0_E_clISt17integral_constantIbLb0EES19_IbLb1EEEEDaS15_S16_EUlS15_E_NS1_11comp_targetILNS1_3genE3ELNS1_11target_archE908ELNS1_3gpuE7ELNS1_3repE0EEENS1_30default_config_static_selectorELNS0_4arch9wavefront6targetE1EEEvT1_,"axG",@progbits,_ZN7rocprim17ROCPRIM_400000_NS6detail17trampoline_kernelINS0_14default_configENS1_25partition_config_selectorILNS1_17partition_subalgoE3EjNS0_10empty_typeEbEEZZNS1_14partition_implILS5_3ELb0ES3_jN6thrust23THRUST_200600_302600_NS6detail15normal_iteratorINSA_7pointerIjNSA_11hip_rocprim3tagENSA_11use_defaultESG_EEEEPS6_SJ_NS0_5tupleIJPjSJ_EEENSK_IJSJ_SJ_EEES6_PlJ7is_evenIjEEEE10hipError_tPvRmT3_T4_T5_T6_T7_T9_mT8_P12ihipStream_tbDpT10_ENKUlT_T0_E_clISt17integral_constantIbLb0EES19_IbLb1EEEEDaS15_S16_EUlS15_E_NS1_11comp_targetILNS1_3genE3ELNS1_11target_archE908ELNS1_3gpuE7ELNS1_3repE0EEENS1_30default_config_static_selectorELNS0_4arch9wavefront6targetE1EEEvT1_,comdat
	.protected	_ZN7rocprim17ROCPRIM_400000_NS6detail17trampoline_kernelINS0_14default_configENS1_25partition_config_selectorILNS1_17partition_subalgoE3EjNS0_10empty_typeEbEEZZNS1_14partition_implILS5_3ELb0ES3_jN6thrust23THRUST_200600_302600_NS6detail15normal_iteratorINSA_7pointerIjNSA_11hip_rocprim3tagENSA_11use_defaultESG_EEEEPS6_SJ_NS0_5tupleIJPjSJ_EEENSK_IJSJ_SJ_EEES6_PlJ7is_evenIjEEEE10hipError_tPvRmT3_T4_T5_T6_T7_T9_mT8_P12ihipStream_tbDpT10_ENKUlT_T0_E_clISt17integral_constantIbLb0EES19_IbLb1EEEEDaS15_S16_EUlS15_E_NS1_11comp_targetILNS1_3genE3ELNS1_11target_archE908ELNS1_3gpuE7ELNS1_3repE0EEENS1_30default_config_static_selectorELNS0_4arch9wavefront6targetE1EEEvT1_ ; -- Begin function _ZN7rocprim17ROCPRIM_400000_NS6detail17trampoline_kernelINS0_14default_configENS1_25partition_config_selectorILNS1_17partition_subalgoE3EjNS0_10empty_typeEbEEZZNS1_14partition_implILS5_3ELb0ES3_jN6thrust23THRUST_200600_302600_NS6detail15normal_iteratorINSA_7pointerIjNSA_11hip_rocprim3tagENSA_11use_defaultESG_EEEEPS6_SJ_NS0_5tupleIJPjSJ_EEENSK_IJSJ_SJ_EEES6_PlJ7is_evenIjEEEE10hipError_tPvRmT3_T4_T5_T6_T7_T9_mT8_P12ihipStream_tbDpT10_ENKUlT_T0_E_clISt17integral_constantIbLb0EES19_IbLb1EEEEDaS15_S16_EUlS15_E_NS1_11comp_targetILNS1_3genE3ELNS1_11target_archE908ELNS1_3gpuE7ELNS1_3repE0EEENS1_30default_config_static_selectorELNS0_4arch9wavefront6targetE1EEEvT1_
	.globl	_ZN7rocprim17ROCPRIM_400000_NS6detail17trampoline_kernelINS0_14default_configENS1_25partition_config_selectorILNS1_17partition_subalgoE3EjNS0_10empty_typeEbEEZZNS1_14partition_implILS5_3ELb0ES3_jN6thrust23THRUST_200600_302600_NS6detail15normal_iteratorINSA_7pointerIjNSA_11hip_rocprim3tagENSA_11use_defaultESG_EEEEPS6_SJ_NS0_5tupleIJPjSJ_EEENSK_IJSJ_SJ_EEES6_PlJ7is_evenIjEEEE10hipError_tPvRmT3_T4_T5_T6_T7_T9_mT8_P12ihipStream_tbDpT10_ENKUlT_T0_E_clISt17integral_constantIbLb0EES19_IbLb1EEEEDaS15_S16_EUlS15_E_NS1_11comp_targetILNS1_3genE3ELNS1_11target_archE908ELNS1_3gpuE7ELNS1_3repE0EEENS1_30default_config_static_selectorELNS0_4arch9wavefront6targetE1EEEvT1_
	.p2align	8
	.type	_ZN7rocprim17ROCPRIM_400000_NS6detail17trampoline_kernelINS0_14default_configENS1_25partition_config_selectorILNS1_17partition_subalgoE3EjNS0_10empty_typeEbEEZZNS1_14partition_implILS5_3ELb0ES3_jN6thrust23THRUST_200600_302600_NS6detail15normal_iteratorINSA_7pointerIjNSA_11hip_rocprim3tagENSA_11use_defaultESG_EEEEPS6_SJ_NS0_5tupleIJPjSJ_EEENSK_IJSJ_SJ_EEES6_PlJ7is_evenIjEEEE10hipError_tPvRmT3_T4_T5_T6_T7_T9_mT8_P12ihipStream_tbDpT10_ENKUlT_T0_E_clISt17integral_constantIbLb0EES19_IbLb1EEEEDaS15_S16_EUlS15_E_NS1_11comp_targetILNS1_3genE3ELNS1_11target_archE908ELNS1_3gpuE7ELNS1_3repE0EEENS1_30default_config_static_selectorELNS0_4arch9wavefront6targetE1EEEvT1_,@function
_ZN7rocprim17ROCPRIM_400000_NS6detail17trampoline_kernelINS0_14default_configENS1_25partition_config_selectorILNS1_17partition_subalgoE3EjNS0_10empty_typeEbEEZZNS1_14partition_implILS5_3ELb0ES3_jN6thrust23THRUST_200600_302600_NS6detail15normal_iteratorINSA_7pointerIjNSA_11hip_rocprim3tagENSA_11use_defaultESG_EEEEPS6_SJ_NS0_5tupleIJPjSJ_EEENSK_IJSJ_SJ_EEES6_PlJ7is_evenIjEEEE10hipError_tPvRmT3_T4_T5_T6_T7_T9_mT8_P12ihipStream_tbDpT10_ENKUlT_T0_E_clISt17integral_constantIbLb0EES19_IbLb1EEEEDaS15_S16_EUlS15_E_NS1_11comp_targetILNS1_3genE3ELNS1_11target_archE908ELNS1_3gpuE7ELNS1_3repE0EEENS1_30default_config_static_selectorELNS0_4arch9wavefront6targetE1EEEvT1_: ; @_ZN7rocprim17ROCPRIM_400000_NS6detail17trampoline_kernelINS0_14default_configENS1_25partition_config_selectorILNS1_17partition_subalgoE3EjNS0_10empty_typeEbEEZZNS1_14partition_implILS5_3ELb0ES3_jN6thrust23THRUST_200600_302600_NS6detail15normal_iteratorINSA_7pointerIjNSA_11hip_rocprim3tagENSA_11use_defaultESG_EEEEPS6_SJ_NS0_5tupleIJPjSJ_EEENSK_IJSJ_SJ_EEES6_PlJ7is_evenIjEEEE10hipError_tPvRmT3_T4_T5_T6_T7_T9_mT8_P12ihipStream_tbDpT10_ENKUlT_T0_E_clISt17integral_constantIbLb0EES19_IbLb1EEEEDaS15_S16_EUlS15_E_NS1_11comp_targetILNS1_3genE3ELNS1_11target_archE908ELNS1_3gpuE7ELNS1_3repE0EEENS1_30default_config_static_selectorELNS0_4arch9wavefront6targetE1EEEvT1_
; %bb.0:
	.section	.rodata,"a",@progbits
	.p2align	6, 0x0
	.amdhsa_kernel _ZN7rocprim17ROCPRIM_400000_NS6detail17trampoline_kernelINS0_14default_configENS1_25partition_config_selectorILNS1_17partition_subalgoE3EjNS0_10empty_typeEbEEZZNS1_14partition_implILS5_3ELb0ES3_jN6thrust23THRUST_200600_302600_NS6detail15normal_iteratorINSA_7pointerIjNSA_11hip_rocprim3tagENSA_11use_defaultESG_EEEEPS6_SJ_NS0_5tupleIJPjSJ_EEENSK_IJSJ_SJ_EEES6_PlJ7is_evenIjEEEE10hipError_tPvRmT3_T4_T5_T6_T7_T9_mT8_P12ihipStream_tbDpT10_ENKUlT_T0_E_clISt17integral_constantIbLb0EES19_IbLb1EEEEDaS15_S16_EUlS15_E_NS1_11comp_targetILNS1_3genE3ELNS1_11target_archE908ELNS1_3gpuE7ELNS1_3repE0EEENS1_30default_config_static_selectorELNS0_4arch9wavefront6targetE1EEEvT1_
		.amdhsa_group_segment_fixed_size 0
		.amdhsa_private_segment_fixed_size 0
		.amdhsa_kernarg_size 136
		.amdhsa_user_sgpr_count 6
		.amdhsa_user_sgpr_private_segment_buffer 1
		.amdhsa_user_sgpr_dispatch_ptr 0
		.amdhsa_user_sgpr_queue_ptr 0
		.amdhsa_user_sgpr_kernarg_segment_ptr 1
		.amdhsa_user_sgpr_dispatch_id 0
		.amdhsa_user_sgpr_flat_scratch_init 0
		.amdhsa_user_sgpr_kernarg_preload_length 0
		.amdhsa_user_sgpr_kernarg_preload_offset 0
		.amdhsa_user_sgpr_private_segment_size 0
		.amdhsa_uses_dynamic_stack 0
		.amdhsa_system_sgpr_private_segment_wavefront_offset 0
		.amdhsa_system_sgpr_workgroup_id_x 1
		.amdhsa_system_sgpr_workgroup_id_y 0
		.amdhsa_system_sgpr_workgroup_id_z 0
		.amdhsa_system_sgpr_workgroup_info 0
		.amdhsa_system_vgpr_workitem_id 0
		.amdhsa_next_free_vgpr 1
		.amdhsa_next_free_sgpr 0
		.amdhsa_accum_offset 4
		.amdhsa_reserve_vcc 0
		.amdhsa_reserve_flat_scratch 0
		.amdhsa_float_round_mode_32 0
		.amdhsa_float_round_mode_16_64 0
		.amdhsa_float_denorm_mode_32 3
		.amdhsa_float_denorm_mode_16_64 3
		.amdhsa_dx10_clamp 1
		.amdhsa_ieee_mode 1
		.amdhsa_fp16_overflow 0
		.amdhsa_tg_split 0
		.amdhsa_exception_fp_ieee_invalid_op 0
		.amdhsa_exception_fp_denorm_src 0
		.amdhsa_exception_fp_ieee_div_zero 0
		.amdhsa_exception_fp_ieee_overflow 0
		.amdhsa_exception_fp_ieee_underflow 0
		.amdhsa_exception_fp_ieee_inexact 0
		.amdhsa_exception_int_div_zero 0
	.end_amdhsa_kernel
	.section	.text._ZN7rocprim17ROCPRIM_400000_NS6detail17trampoline_kernelINS0_14default_configENS1_25partition_config_selectorILNS1_17partition_subalgoE3EjNS0_10empty_typeEbEEZZNS1_14partition_implILS5_3ELb0ES3_jN6thrust23THRUST_200600_302600_NS6detail15normal_iteratorINSA_7pointerIjNSA_11hip_rocprim3tagENSA_11use_defaultESG_EEEEPS6_SJ_NS0_5tupleIJPjSJ_EEENSK_IJSJ_SJ_EEES6_PlJ7is_evenIjEEEE10hipError_tPvRmT3_T4_T5_T6_T7_T9_mT8_P12ihipStream_tbDpT10_ENKUlT_T0_E_clISt17integral_constantIbLb0EES19_IbLb1EEEEDaS15_S16_EUlS15_E_NS1_11comp_targetILNS1_3genE3ELNS1_11target_archE908ELNS1_3gpuE7ELNS1_3repE0EEENS1_30default_config_static_selectorELNS0_4arch9wavefront6targetE1EEEvT1_,"axG",@progbits,_ZN7rocprim17ROCPRIM_400000_NS6detail17trampoline_kernelINS0_14default_configENS1_25partition_config_selectorILNS1_17partition_subalgoE3EjNS0_10empty_typeEbEEZZNS1_14partition_implILS5_3ELb0ES3_jN6thrust23THRUST_200600_302600_NS6detail15normal_iteratorINSA_7pointerIjNSA_11hip_rocprim3tagENSA_11use_defaultESG_EEEEPS6_SJ_NS0_5tupleIJPjSJ_EEENSK_IJSJ_SJ_EEES6_PlJ7is_evenIjEEEE10hipError_tPvRmT3_T4_T5_T6_T7_T9_mT8_P12ihipStream_tbDpT10_ENKUlT_T0_E_clISt17integral_constantIbLb0EES19_IbLb1EEEEDaS15_S16_EUlS15_E_NS1_11comp_targetILNS1_3genE3ELNS1_11target_archE908ELNS1_3gpuE7ELNS1_3repE0EEENS1_30default_config_static_selectorELNS0_4arch9wavefront6targetE1EEEvT1_,comdat
.Lfunc_end946:
	.size	_ZN7rocprim17ROCPRIM_400000_NS6detail17trampoline_kernelINS0_14default_configENS1_25partition_config_selectorILNS1_17partition_subalgoE3EjNS0_10empty_typeEbEEZZNS1_14partition_implILS5_3ELb0ES3_jN6thrust23THRUST_200600_302600_NS6detail15normal_iteratorINSA_7pointerIjNSA_11hip_rocprim3tagENSA_11use_defaultESG_EEEEPS6_SJ_NS0_5tupleIJPjSJ_EEENSK_IJSJ_SJ_EEES6_PlJ7is_evenIjEEEE10hipError_tPvRmT3_T4_T5_T6_T7_T9_mT8_P12ihipStream_tbDpT10_ENKUlT_T0_E_clISt17integral_constantIbLb0EES19_IbLb1EEEEDaS15_S16_EUlS15_E_NS1_11comp_targetILNS1_3genE3ELNS1_11target_archE908ELNS1_3gpuE7ELNS1_3repE0EEENS1_30default_config_static_selectorELNS0_4arch9wavefront6targetE1EEEvT1_, .Lfunc_end946-_ZN7rocprim17ROCPRIM_400000_NS6detail17trampoline_kernelINS0_14default_configENS1_25partition_config_selectorILNS1_17partition_subalgoE3EjNS0_10empty_typeEbEEZZNS1_14partition_implILS5_3ELb0ES3_jN6thrust23THRUST_200600_302600_NS6detail15normal_iteratorINSA_7pointerIjNSA_11hip_rocprim3tagENSA_11use_defaultESG_EEEEPS6_SJ_NS0_5tupleIJPjSJ_EEENSK_IJSJ_SJ_EEES6_PlJ7is_evenIjEEEE10hipError_tPvRmT3_T4_T5_T6_T7_T9_mT8_P12ihipStream_tbDpT10_ENKUlT_T0_E_clISt17integral_constantIbLb0EES19_IbLb1EEEEDaS15_S16_EUlS15_E_NS1_11comp_targetILNS1_3genE3ELNS1_11target_archE908ELNS1_3gpuE7ELNS1_3repE0EEENS1_30default_config_static_selectorELNS0_4arch9wavefront6targetE1EEEvT1_
                                        ; -- End function
	.section	.AMDGPU.csdata,"",@progbits
; Kernel info:
; codeLenInByte = 0
; NumSgprs: 4
; NumVgprs: 0
; NumAgprs: 0
; TotalNumVgprs: 0
; ScratchSize: 0
; MemoryBound: 0
; FloatMode: 240
; IeeeMode: 1
; LDSByteSize: 0 bytes/workgroup (compile time only)
; SGPRBlocks: 0
; VGPRBlocks: 0
; NumSGPRsForWavesPerEU: 4
; NumVGPRsForWavesPerEU: 1
; AccumOffset: 4
; Occupancy: 8
; WaveLimiterHint : 0
; COMPUTE_PGM_RSRC2:SCRATCH_EN: 0
; COMPUTE_PGM_RSRC2:USER_SGPR: 6
; COMPUTE_PGM_RSRC2:TRAP_HANDLER: 0
; COMPUTE_PGM_RSRC2:TGID_X_EN: 1
; COMPUTE_PGM_RSRC2:TGID_Y_EN: 0
; COMPUTE_PGM_RSRC2:TGID_Z_EN: 0
; COMPUTE_PGM_RSRC2:TIDIG_COMP_CNT: 0
; COMPUTE_PGM_RSRC3_GFX90A:ACCUM_OFFSET: 0
; COMPUTE_PGM_RSRC3_GFX90A:TG_SPLIT: 0
	.section	.text._ZN7rocprim17ROCPRIM_400000_NS6detail17trampoline_kernelINS0_14default_configENS1_25partition_config_selectorILNS1_17partition_subalgoE3EjNS0_10empty_typeEbEEZZNS1_14partition_implILS5_3ELb0ES3_jN6thrust23THRUST_200600_302600_NS6detail15normal_iteratorINSA_7pointerIjNSA_11hip_rocprim3tagENSA_11use_defaultESG_EEEEPS6_SJ_NS0_5tupleIJPjSJ_EEENSK_IJSJ_SJ_EEES6_PlJ7is_evenIjEEEE10hipError_tPvRmT3_T4_T5_T6_T7_T9_mT8_P12ihipStream_tbDpT10_ENKUlT_T0_E_clISt17integral_constantIbLb0EES19_IbLb1EEEEDaS15_S16_EUlS15_E_NS1_11comp_targetILNS1_3genE2ELNS1_11target_archE906ELNS1_3gpuE6ELNS1_3repE0EEENS1_30default_config_static_selectorELNS0_4arch9wavefront6targetE1EEEvT1_,"axG",@progbits,_ZN7rocprim17ROCPRIM_400000_NS6detail17trampoline_kernelINS0_14default_configENS1_25partition_config_selectorILNS1_17partition_subalgoE3EjNS0_10empty_typeEbEEZZNS1_14partition_implILS5_3ELb0ES3_jN6thrust23THRUST_200600_302600_NS6detail15normal_iteratorINSA_7pointerIjNSA_11hip_rocprim3tagENSA_11use_defaultESG_EEEEPS6_SJ_NS0_5tupleIJPjSJ_EEENSK_IJSJ_SJ_EEES6_PlJ7is_evenIjEEEE10hipError_tPvRmT3_T4_T5_T6_T7_T9_mT8_P12ihipStream_tbDpT10_ENKUlT_T0_E_clISt17integral_constantIbLb0EES19_IbLb1EEEEDaS15_S16_EUlS15_E_NS1_11comp_targetILNS1_3genE2ELNS1_11target_archE906ELNS1_3gpuE6ELNS1_3repE0EEENS1_30default_config_static_selectorELNS0_4arch9wavefront6targetE1EEEvT1_,comdat
	.protected	_ZN7rocprim17ROCPRIM_400000_NS6detail17trampoline_kernelINS0_14default_configENS1_25partition_config_selectorILNS1_17partition_subalgoE3EjNS0_10empty_typeEbEEZZNS1_14partition_implILS5_3ELb0ES3_jN6thrust23THRUST_200600_302600_NS6detail15normal_iteratorINSA_7pointerIjNSA_11hip_rocprim3tagENSA_11use_defaultESG_EEEEPS6_SJ_NS0_5tupleIJPjSJ_EEENSK_IJSJ_SJ_EEES6_PlJ7is_evenIjEEEE10hipError_tPvRmT3_T4_T5_T6_T7_T9_mT8_P12ihipStream_tbDpT10_ENKUlT_T0_E_clISt17integral_constantIbLb0EES19_IbLb1EEEEDaS15_S16_EUlS15_E_NS1_11comp_targetILNS1_3genE2ELNS1_11target_archE906ELNS1_3gpuE6ELNS1_3repE0EEENS1_30default_config_static_selectorELNS0_4arch9wavefront6targetE1EEEvT1_ ; -- Begin function _ZN7rocprim17ROCPRIM_400000_NS6detail17trampoline_kernelINS0_14default_configENS1_25partition_config_selectorILNS1_17partition_subalgoE3EjNS0_10empty_typeEbEEZZNS1_14partition_implILS5_3ELb0ES3_jN6thrust23THRUST_200600_302600_NS6detail15normal_iteratorINSA_7pointerIjNSA_11hip_rocprim3tagENSA_11use_defaultESG_EEEEPS6_SJ_NS0_5tupleIJPjSJ_EEENSK_IJSJ_SJ_EEES6_PlJ7is_evenIjEEEE10hipError_tPvRmT3_T4_T5_T6_T7_T9_mT8_P12ihipStream_tbDpT10_ENKUlT_T0_E_clISt17integral_constantIbLb0EES19_IbLb1EEEEDaS15_S16_EUlS15_E_NS1_11comp_targetILNS1_3genE2ELNS1_11target_archE906ELNS1_3gpuE6ELNS1_3repE0EEENS1_30default_config_static_selectorELNS0_4arch9wavefront6targetE1EEEvT1_
	.globl	_ZN7rocprim17ROCPRIM_400000_NS6detail17trampoline_kernelINS0_14default_configENS1_25partition_config_selectorILNS1_17partition_subalgoE3EjNS0_10empty_typeEbEEZZNS1_14partition_implILS5_3ELb0ES3_jN6thrust23THRUST_200600_302600_NS6detail15normal_iteratorINSA_7pointerIjNSA_11hip_rocprim3tagENSA_11use_defaultESG_EEEEPS6_SJ_NS0_5tupleIJPjSJ_EEENSK_IJSJ_SJ_EEES6_PlJ7is_evenIjEEEE10hipError_tPvRmT3_T4_T5_T6_T7_T9_mT8_P12ihipStream_tbDpT10_ENKUlT_T0_E_clISt17integral_constantIbLb0EES19_IbLb1EEEEDaS15_S16_EUlS15_E_NS1_11comp_targetILNS1_3genE2ELNS1_11target_archE906ELNS1_3gpuE6ELNS1_3repE0EEENS1_30default_config_static_selectorELNS0_4arch9wavefront6targetE1EEEvT1_
	.p2align	8
	.type	_ZN7rocprim17ROCPRIM_400000_NS6detail17trampoline_kernelINS0_14default_configENS1_25partition_config_selectorILNS1_17partition_subalgoE3EjNS0_10empty_typeEbEEZZNS1_14partition_implILS5_3ELb0ES3_jN6thrust23THRUST_200600_302600_NS6detail15normal_iteratorINSA_7pointerIjNSA_11hip_rocprim3tagENSA_11use_defaultESG_EEEEPS6_SJ_NS0_5tupleIJPjSJ_EEENSK_IJSJ_SJ_EEES6_PlJ7is_evenIjEEEE10hipError_tPvRmT3_T4_T5_T6_T7_T9_mT8_P12ihipStream_tbDpT10_ENKUlT_T0_E_clISt17integral_constantIbLb0EES19_IbLb1EEEEDaS15_S16_EUlS15_E_NS1_11comp_targetILNS1_3genE2ELNS1_11target_archE906ELNS1_3gpuE6ELNS1_3repE0EEENS1_30default_config_static_selectorELNS0_4arch9wavefront6targetE1EEEvT1_,@function
_ZN7rocprim17ROCPRIM_400000_NS6detail17trampoline_kernelINS0_14default_configENS1_25partition_config_selectorILNS1_17partition_subalgoE3EjNS0_10empty_typeEbEEZZNS1_14partition_implILS5_3ELb0ES3_jN6thrust23THRUST_200600_302600_NS6detail15normal_iteratorINSA_7pointerIjNSA_11hip_rocprim3tagENSA_11use_defaultESG_EEEEPS6_SJ_NS0_5tupleIJPjSJ_EEENSK_IJSJ_SJ_EEES6_PlJ7is_evenIjEEEE10hipError_tPvRmT3_T4_T5_T6_T7_T9_mT8_P12ihipStream_tbDpT10_ENKUlT_T0_E_clISt17integral_constantIbLb0EES19_IbLb1EEEEDaS15_S16_EUlS15_E_NS1_11comp_targetILNS1_3genE2ELNS1_11target_archE906ELNS1_3gpuE6ELNS1_3repE0EEENS1_30default_config_static_selectorELNS0_4arch9wavefront6targetE1EEEvT1_: ; @_ZN7rocprim17ROCPRIM_400000_NS6detail17trampoline_kernelINS0_14default_configENS1_25partition_config_selectorILNS1_17partition_subalgoE3EjNS0_10empty_typeEbEEZZNS1_14partition_implILS5_3ELb0ES3_jN6thrust23THRUST_200600_302600_NS6detail15normal_iteratorINSA_7pointerIjNSA_11hip_rocprim3tagENSA_11use_defaultESG_EEEEPS6_SJ_NS0_5tupleIJPjSJ_EEENSK_IJSJ_SJ_EEES6_PlJ7is_evenIjEEEE10hipError_tPvRmT3_T4_T5_T6_T7_T9_mT8_P12ihipStream_tbDpT10_ENKUlT_T0_E_clISt17integral_constantIbLb0EES19_IbLb1EEEEDaS15_S16_EUlS15_E_NS1_11comp_targetILNS1_3genE2ELNS1_11target_archE906ELNS1_3gpuE6ELNS1_3repE0EEENS1_30default_config_static_selectorELNS0_4arch9wavefront6targetE1EEEvT1_
; %bb.0:
	.section	.rodata,"a",@progbits
	.p2align	6, 0x0
	.amdhsa_kernel _ZN7rocprim17ROCPRIM_400000_NS6detail17trampoline_kernelINS0_14default_configENS1_25partition_config_selectorILNS1_17partition_subalgoE3EjNS0_10empty_typeEbEEZZNS1_14partition_implILS5_3ELb0ES3_jN6thrust23THRUST_200600_302600_NS6detail15normal_iteratorINSA_7pointerIjNSA_11hip_rocprim3tagENSA_11use_defaultESG_EEEEPS6_SJ_NS0_5tupleIJPjSJ_EEENSK_IJSJ_SJ_EEES6_PlJ7is_evenIjEEEE10hipError_tPvRmT3_T4_T5_T6_T7_T9_mT8_P12ihipStream_tbDpT10_ENKUlT_T0_E_clISt17integral_constantIbLb0EES19_IbLb1EEEEDaS15_S16_EUlS15_E_NS1_11comp_targetILNS1_3genE2ELNS1_11target_archE906ELNS1_3gpuE6ELNS1_3repE0EEENS1_30default_config_static_selectorELNS0_4arch9wavefront6targetE1EEEvT1_
		.amdhsa_group_segment_fixed_size 0
		.amdhsa_private_segment_fixed_size 0
		.amdhsa_kernarg_size 136
		.amdhsa_user_sgpr_count 6
		.amdhsa_user_sgpr_private_segment_buffer 1
		.amdhsa_user_sgpr_dispatch_ptr 0
		.amdhsa_user_sgpr_queue_ptr 0
		.amdhsa_user_sgpr_kernarg_segment_ptr 1
		.amdhsa_user_sgpr_dispatch_id 0
		.amdhsa_user_sgpr_flat_scratch_init 0
		.amdhsa_user_sgpr_kernarg_preload_length 0
		.amdhsa_user_sgpr_kernarg_preload_offset 0
		.amdhsa_user_sgpr_private_segment_size 0
		.amdhsa_uses_dynamic_stack 0
		.amdhsa_system_sgpr_private_segment_wavefront_offset 0
		.amdhsa_system_sgpr_workgroup_id_x 1
		.amdhsa_system_sgpr_workgroup_id_y 0
		.amdhsa_system_sgpr_workgroup_id_z 0
		.amdhsa_system_sgpr_workgroup_info 0
		.amdhsa_system_vgpr_workitem_id 0
		.amdhsa_next_free_vgpr 1
		.amdhsa_next_free_sgpr 0
		.amdhsa_accum_offset 4
		.amdhsa_reserve_vcc 0
		.amdhsa_reserve_flat_scratch 0
		.amdhsa_float_round_mode_32 0
		.amdhsa_float_round_mode_16_64 0
		.amdhsa_float_denorm_mode_32 3
		.amdhsa_float_denorm_mode_16_64 3
		.amdhsa_dx10_clamp 1
		.amdhsa_ieee_mode 1
		.amdhsa_fp16_overflow 0
		.amdhsa_tg_split 0
		.amdhsa_exception_fp_ieee_invalid_op 0
		.amdhsa_exception_fp_denorm_src 0
		.amdhsa_exception_fp_ieee_div_zero 0
		.amdhsa_exception_fp_ieee_overflow 0
		.amdhsa_exception_fp_ieee_underflow 0
		.amdhsa_exception_fp_ieee_inexact 0
		.amdhsa_exception_int_div_zero 0
	.end_amdhsa_kernel
	.section	.text._ZN7rocprim17ROCPRIM_400000_NS6detail17trampoline_kernelINS0_14default_configENS1_25partition_config_selectorILNS1_17partition_subalgoE3EjNS0_10empty_typeEbEEZZNS1_14partition_implILS5_3ELb0ES3_jN6thrust23THRUST_200600_302600_NS6detail15normal_iteratorINSA_7pointerIjNSA_11hip_rocprim3tagENSA_11use_defaultESG_EEEEPS6_SJ_NS0_5tupleIJPjSJ_EEENSK_IJSJ_SJ_EEES6_PlJ7is_evenIjEEEE10hipError_tPvRmT3_T4_T5_T6_T7_T9_mT8_P12ihipStream_tbDpT10_ENKUlT_T0_E_clISt17integral_constantIbLb0EES19_IbLb1EEEEDaS15_S16_EUlS15_E_NS1_11comp_targetILNS1_3genE2ELNS1_11target_archE906ELNS1_3gpuE6ELNS1_3repE0EEENS1_30default_config_static_selectorELNS0_4arch9wavefront6targetE1EEEvT1_,"axG",@progbits,_ZN7rocprim17ROCPRIM_400000_NS6detail17trampoline_kernelINS0_14default_configENS1_25partition_config_selectorILNS1_17partition_subalgoE3EjNS0_10empty_typeEbEEZZNS1_14partition_implILS5_3ELb0ES3_jN6thrust23THRUST_200600_302600_NS6detail15normal_iteratorINSA_7pointerIjNSA_11hip_rocprim3tagENSA_11use_defaultESG_EEEEPS6_SJ_NS0_5tupleIJPjSJ_EEENSK_IJSJ_SJ_EEES6_PlJ7is_evenIjEEEE10hipError_tPvRmT3_T4_T5_T6_T7_T9_mT8_P12ihipStream_tbDpT10_ENKUlT_T0_E_clISt17integral_constantIbLb0EES19_IbLb1EEEEDaS15_S16_EUlS15_E_NS1_11comp_targetILNS1_3genE2ELNS1_11target_archE906ELNS1_3gpuE6ELNS1_3repE0EEENS1_30default_config_static_selectorELNS0_4arch9wavefront6targetE1EEEvT1_,comdat
.Lfunc_end947:
	.size	_ZN7rocprim17ROCPRIM_400000_NS6detail17trampoline_kernelINS0_14default_configENS1_25partition_config_selectorILNS1_17partition_subalgoE3EjNS0_10empty_typeEbEEZZNS1_14partition_implILS5_3ELb0ES3_jN6thrust23THRUST_200600_302600_NS6detail15normal_iteratorINSA_7pointerIjNSA_11hip_rocprim3tagENSA_11use_defaultESG_EEEEPS6_SJ_NS0_5tupleIJPjSJ_EEENSK_IJSJ_SJ_EEES6_PlJ7is_evenIjEEEE10hipError_tPvRmT3_T4_T5_T6_T7_T9_mT8_P12ihipStream_tbDpT10_ENKUlT_T0_E_clISt17integral_constantIbLb0EES19_IbLb1EEEEDaS15_S16_EUlS15_E_NS1_11comp_targetILNS1_3genE2ELNS1_11target_archE906ELNS1_3gpuE6ELNS1_3repE0EEENS1_30default_config_static_selectorELNS0_4arch9wavefront6targetE1EEEvT1_, .Lfunc_end947-_ZN7rocprim17ROCPRIM_400000_NS6detail17trampoline_kernelINS0_14default_configENS1_25partition_config_selectorILNS1_17partition_subalgoE3EjNS0_10empty_typeEbEEZZNS1_14partition_implILS5_3ELb0ES3_jN6thrust23THRUST_200600_302600_NS6detail15normal_iteratorINSA_7pointerIjNSA_11hip_rocprim3tagENSA_11use_defaultESG_EEEEPS6_SJ_NS0_5tupleIJPjSJ_EEENSK_IJSJ_SJ_EEES6_PlJ7is_evenIjEEEE10hipError_tPvRmT3_T4_T5_T6_T7_T9_mT8_P12ihipStream_tbDpT10_ENKUlT_T0_E_clISt17integral_constantIbLb0EES19_IbLb1EEEEDaS15_S16_EUlS15_E_NS1_11comp_targetILNS1_3genE2ELNS1_11target_archE906ELNS1_3gpuE6ELNS1_3repE0EEENS1_30default_config_static_selectorELNS0_4arch9wavefront6targetE1EEEvT1_
                                        ; -- End function
	.section	.AMDGPU.csdata,"",@progbits
; Kernel info:
; codeLenInByte = 0
; NumSgprs: 4
; NumVgprs: 0
; NumAgprs: 0
; TotalNumVgprs: 0
; ScratchSize: 0
; MemoryBound: 0
; FloatMode: 240
; IeeeMode: 1
; LDSByteSize: 0 bytes/workgroup (compile time only)
; SGPRBlocks: 0
; VGPRBlocks: 0
; NumSGPRsForWavesPerEU: 4
; NumVGPRsForWavesPerEU: 1
; AccumOffset: 4
; Occupancy: 8
; WaveLimiterHint : 0
; COMPUTE_PGM_RSRC2:SCRATCH_EN: 0
; COMPUTE_PGM_RSRC2:USER_SGPR: 6
; COMPUTE_PGM_RSRC2:TRAP_HANDLER: 0
; COMPUTE_PGM_RSRC2:TGID_X_EN: 1
; COMPUTE_PGM_RSRC2:TGID_Y_EN: 0
; COMPUTE_PGM_RSRC2:TGID_Z_EN: 0
; COMPUTE_PGM_RSRC2:TIDIG_COMP_CNT: 0
; COMPUTE_PGM_RSRC3_GFX90A:ACCUM_OFFSET: 0
; COMPUTE_PGM_RSRC3_GFX90A:TG_SPLIT: 0
	.section	.text._ZN7rocprim17ROCPRIM_400000_NS6detail17trampoline_kernelINS0_14default_configENS1_25partition_config_selectorILNS1_17partition_subalgoE3EjNS0_10empty_typeEbEEZZNS1_14partition_implILS5_3ELb0ES3_jN6thrust23THRUST_200600_302600_NS6detail15normal_iteratorINSA_7pointerIjNSA_11hip_rocprim3tagENSA_11use_defaultESG_EEEEPS6_SJ_NS0_5tupleIJPjSJ_EEENSK_IJSJ_SJ_EEES6_PlJ7is_evenIjEEEE10hipError_tPvRmT3_T4_T5_T6_T7_T9_mT8_P12ihipStream_tbDpT10_ENKUlT_T0_E_clISt17integral_constantIbLb0EES19_IbLb1EEEEDaS15_S16_EUlS15_E_NS1_11comp_targetILNS1_3genE10ELNS1_11target_archE1200ELNS1_3gpuE4ELNS1_3repE0EEENS1_30default_config_static_selectorELNS0_4arch9wavefront6targetE1EEEvT1_,"axG",@progbits,_ZN7rocprim17ROCPRIM_400000_NS6detail17trampoline_kernelINS0_14default_configENS1_25partition_config_selectorILNS1_17partition_subalgoE3EjNS0_10empty_typeEbEEZZNS1_14partition_implILS5_3ELb0ES3_jN6thrust23THRUST_200600_302600_NS6detail15normal_iteratorINSA_7pointerIjNSA_11hip_rocprim3tagENSA_11use_defaultESG_EEEEPS6_SJ_NS0_5tupleIJPjSJ_EEENSK_IJSJ_SJ_EEES6_PlJ7is_evenIjEEEE10hipError_tPvRmT3_T4_T5_T6_T7_T9_mT8_P12ihipStream_tbDpT10_ENKUlT_T0_E_clISt17integral_constantIbLb0EES19_IbLb1EEEEDaS15_S16_EUlS15_E_NS1_11comp_targetILNS1_3genE10ELNS1_11target_archE1200ELNS1_3gpuE4ELNS1_3repE0EEENS1_30default_config_static_selectorELNS0_4arch9wavefront6targetE1EEEvT1_,comdat
	.protected	_ZN7rocprim17ROCPRIM_400000_NS6detail17trampoline_kernelINS0_14default_configENS1_25partition_config_selectorILNS1_17partition_subalgoE3EjNS0_10empty_typeEbEEZZNS1_14partition_implILS5_3ELb0ES3_jN6thrust23THRUST_200600_302600_NS6detail15normal_iteratorINSA_7pointerIjNSA_11hip_rocprim3tagENSA_11use_defaultESG_EEEEPS6_SJ_NS0_5tupleIJPjSJ_EEENSK_IJSJ_SJ_EEES6_PlJ7is_evenIjEEEE10hipError_tPvRmT3_T4_T5_T6_T7_T9_mT8_P12ihipStream_tbDpT10_ENKUlT_T0_E_clISt17integral_constantIbLb0EES19_IbLb1EEEEDaS15_S16_EUlS15_E_NS1_11comp_targetILNS1_3genE10ELNS1_11target_archE1200ELNS1_3gpuE4ELNS1_3repE0EEENS1_30default_config_static_selectorELNS0_4arch9wavefront6targetE1EEEvT1_ ; -- Begin function _ZN7rocprim17ROCPRIM_400000_NS6detail17trampoline_kernelINS0_14default_configENS1_25partition_config_selectorILNS1_17partition_subalgoE3EjNS0_10empty_typeEbEEZZNS1_14partition_implILS5_3ELb0ES3_jN6thrust23THRUST_200600_302600_NS6detail15normal_iteratorINSA_7pointerIjNSA_11hip_rocprim3tagENSA_11use_defaultESG_EEEEPS6_SJ_NS0_5tupleIJPjSJ_EEENSK_IJSJ_SJ_EEES6_PlJ7is_evenIjEEEE10hipError_tPvRmT3_T4_T5_T6_T7_T9_mT8_P12ihipStream_tbDpT10_ENKUlT_T0_E_clISt17integral_constantIbLb0EES19_IbLb1EEEEDaS15_S16_EUlS15_E_NS1_11comp_targetILNS1_3genE10ELNS1_11target_archE1200ELNS1_3gpuE4ELNS1_3repE0EEENS1_30default_config_static_selectorELNS0_4arch9wavefront6targetE1EEEvT1_
	.globl	_ZN7rocprim17ROCPRIM_400000_NS6detail17trampoline_kernelINS0_14default_configENS1_25partition_config_selectorILNS1_17partition_subalgoE3EjNS0_10empty_typeEbEEZZNS1_14partition_implILS5_3ELb0ES3_jN6thrust23THRUST_200600_302600_NS6detail15normal_iteratorINSA_7pointerIjNSA_11hip_rocprim3tagENSA_11use_defaultESG_EEEEPS6_SJ_NS0_5tupleIJPjSJ_EEENSK_IJSJ_SJ_EEES6_PlJ7is_evenIjEEEE10hipError_tPvRmT3_T4_T5_T6_T7_T9_mT8_P12ihipStream_tbDpT10_ENKUlT_T0_E_clISt17integral_constantIbLb0EES19_IbLb1EEEEDaS15_S16_EUlS15_E_NS1_11comp_targetILNS1_3genE10ELNS1_11target_archE1200ELNS1_3gpuE4ELNS1_3repE0EEENS1_30default_config_static_selectorELNS0_4arch9wavefront6targetE1EEEvT1_
	.p2align	8
	.type	_ZN7rocprim17ROCPRIM_400000_NS6detail17trampoline_kernelINS0_14default_configENS1_25partition_config_selectorILNS1_17partition_subalgoE3EjNS0_10empty_typeEbEEZZNS1_14partition_implILS5_3ELb0ES3_jN6thrust23THRUST_200600_302600_NS6detail15normal_iteratorINSA_7pointerIjNSA_11hip_rocprim3tagENSA_11use_defaultESG_EEEEPS6_SJ_NS0_5tupleIJPjSJ_EEENSK_IJSJ_SJ_EEES6_PlJ7is_evenIjEEEE10hipError_tPvRmT3_T4_T5_T6_T7_T9_mT8_P12ihipStream_tbDpT10_ENKUlT_T0_E_clISt17integral_constantIbLb0EES19_IbLb1EEEEDaS15_S16_EUlS15_E_NS1_11comp_targetILNS1_3genE10ELNS1_11target_archE1200ELNS1_3gpuE4ELNS1_3repE0EEENS1_30default_config_static_selectorELNS0_4arch9wavefront6targetE1EEEvT1_,@function
_ZN7rocprim17ROCPRIM_400000_NS6detail17trampoline_kernelINS0_14default_configENS1_25partition_config_selectorILNS1_17partition_subalgoE3EjNS0_10empty_typeEbEEZZNS1_14partition_implILS5_3ELb0ES3_jN6thrust23THRUST_200600_302600_NS6detail15normal_iteratorINSA_7pointerIjNSA_11hip_rocprim3tagENSA_11use_defaultESG_EEEEPS6_SJ_NS0_5tupleIJPjSJ_EEENSK_IJSJ_SJ_EEES6_PlJ7is_evenIjEEEE10hipError_tPvRmT3_T4_T5_T6_T7_T9_mT8_P12ihipStream_tbDpT10_ENKUlT_T0_E_clISt17integral_constantIbLb0EES19_IbLb1EEEEDaS15_S16_EUlS15_E_NS1_11comp_targetILNS1_3genE10ELNS1_11target_archE1200ELNS1_3gpuE4ELNS1_3repE0EEENS1_30default_config_static_selectorELNS0_4arch9wavefront6targetE1EEEvT1_: ; @_ZN7rocprim17ROCPRIM_400000_NS6detail17trampoline_kernelINS0_14default_configENS1_25partition_config_selectorILNS1_17partition_subalgoE3EjNS0_10empty_typeEbEEZZNS1_14partition_implILS5_3ELb0ES3_jN6thrust23THRUST_200600_302600_NS6detail15normal_iteratorINSA_7pointerIjNSA_11hip_rocprim3tagENSA_11use_defaultESG_EEEEPS6_SJ_NS0_5tupleIJPjSJ_EEENSK_IJSJ_SJ_EEES6_PlJ7is_evenIjEEEE10hipError_tPvRmT3_T4_T5_T6_T7_T9_mT8_P12ihipStream_tbDpT10_ENKUlT_T0_E_clISt17integral_constantIbLb0EES19_IbLb1EEEEDaS15_S16_EUlS15_E_NS1_11comp_targetILNS1_3genE10ELNS1_11target_archE1200ELNS1_3gpuE4ELNS1_3repE0EEENS1_30default_config_static_selectorELNS0_4arch9wavefront6targetE1EEEvT1_
; %bb.0:
	.section	.rodata,"a",@progbits
	.p2align	6, 0x0
	.amdhsa_kernel _ZN7rocprim17ROCPRIM_400000_NS6detail17trampoline_kernelINS0_14default_configENS1_25partition_config_selectorILNS1_17partition_subalgoE3EjNS0_10empty_typeEbEEZZNS1_14partition_implILS5_3ELb0ES3_jN6thrust23THRUST_200600_302600_NS6detail15normal_iteratorINSA_7pointerIjNSA_11hip_rocprim3tagENSA_11use_defaultESG_EEEEPS6_SJ_NS0_5tupleIJPjSJ_EEENSK_IJSJ_SJ_EEES6_PlJ7is_evenIjEEEE10hipError_tPvRmT3_T4_T5_T6_T7_T9_mT8_P12ihipStream_tbDpT10_ENKUlT_T0_E_clISt17integral_constantIbLb0EES19_IbLb1EEEEDaS15_S16_EUlS15_E_NS1_11comp_targetILNS1_3genE10ELNS1_11target_archE1200ELNS1_3gpuE4ELNS1_3repE0EEENS1_30default_config_static_selectorELNS0_4arch9wavefront6targetE1EEEvT1_
		.amdhsa_group_segment_fixed_size 0
		.amdhsa_private_segment_fixed_size 0
		.amdhsa_kernarg_size 136
		.amdhsa_user_sgpr_count 6
		.amdhsa_user_sgpr_private_segment_buffer 1
		.amdhsa_user_sgpr_dispatch_ptr 0
		.amdhsa_user_sgpr_queue_ptr 0
		.amdhsa_user_sgpr_kernarg_segment_ptr 1
		.amdhsa_user_sgpr_dispatch_id 0
		.amdhsa_user_sgpr_flat_scratch_init 0
		.amdhsa_user_sgpr_kernarg_preload_length 0
		.amdhsa_user_sgpr_kernarg_preload_offset 0
		.amdhsa_user_sgpr_private_segment_size 0
		.amdhsa_uses_dynamic_stack 0
		.amdhsa_system_sgpr_private_segment_wavefront_offset 0
		.amdhsa_system_sgpr_workgroup_id_x 1
		.amdhsa_system_sgpr_workgroup_id_y 0
		.amdhsa_system_sgpr_workgroup_id_z 0
		.amdhsa_system_sgpr_workgroup_info 0
		.amdhsa_system_vgpr_workitem_id 0
		.amdhsa_next_free_vgpr 1
		.amdhsa_next_free_sgpr 0
		.amdhsa_accum_offset 4
		.amdhsa_reserve_vcc 0
		.amdhsa_reserve_flat_scratch 0
		.amdhsa_float_round_mode_32 0
		.amdhsa_float_round_mode_16_64 0
		.amdhsa_float_denorm_mode_32 3
		.amdhsa_float_denorm_mode_16_64 3
		.amdhsa_dx10_clamp 1
		.amdhsa_ieee_mode 1
		.amdhsa_fp16_overflow 0
		.amdhsa_tg_split 0
		.amdhsa_exception_fp_ieee_invalid_op 0
		.amdhsa_exception_fp_denorm_src 0
		.amdhsa_exception_fp_ieee_div_zero 0
		.amdhsa_exception_fp_ieee_overflow 0
		.amdhsa_exception_fp_ieee_underflow 0
		.amdhsa_exception_fp_ieee_inexact 0
		.amdhsa_exception_int_div_zero 0
	.end_amdhsa_kernel
	.section	.text._ZN7rocprim17ROCPRIM_400000_NS6detail17trampoline_kernelINS0_14default_configENS1_25partition_config_selectorILNS1_17partition_subalgoE3EjNS0_10empty_typeEbEEZZNS1_14partition_implILS5_3ELb0ES3_jN6thrust23THRUST_200600_302600_NS6detail15normal_iteratorINSA_7pointerIjNSA_11hip_rocprim3tagENSA_11use_defaultESG_EEEEPS6_SJ_NS0_5tupleIJPjSJ_EEENSK_IJSJ_SJ_EEES6_PlJ7is_evenIjEEEE10hipError_tPvRmT3_T4_T5_T6_T7_T9_mT8_P12ihipStream_tbDpT10_ENKUlT_T0_E_clISt17integral_constantIbLb0EES19_IbLb1EEEEDaS15_S16_EUlS15_E_NS1_11comp_targetILNS1_3genE10ELNS1_11target_archE1200ELNS1_3gpuE4ELNS1_3repE0EEENS1_30default_config_static_selectorELNS0_4arch9wavefront6targetE1EEEvT1_,"axG",@progbits,_ZN7rocprim17ROCPRIM_400000_NS6detail17trampoline_kernelINS0_14default_configENS1_25partition_config_selectorILNS1_17partition_subalgoE3EjNS0_10empty_typeEbEEZZNS1_14partition_implILS5_3ELb0ES3_jN6thrust23THRUST_200600_302600_NS6detail15normal_iteratorINSA_7pointerIjNSA_11hip_rocprim3tagENSA_11use_defaultESG_EEEEPS6_SJ_NS0_5tupleIJPjSJ_EEENSK_IJSJ_SJ_EEES6_PlJ7is_evenIjEEEE10hipError_tPvRmT3_T4_T5_T6_T7_T9_mT8_P12ihipStream_tbDpT10_ENKUlT_T0_E_clISt17integral_constantIbLb0EES19_IbLb1EEEEDaS15_S16_EUlS15_E_NS1_11comp_targetILNS1_3genE10ELNS1_11target_archE1200ELNS1_3gpuE4ELNS1_3repE0EEENS1_30default_config_static_selectorELNS0_4arch9wavefront6targetE1EEEvT1_,comdat
.Lfunc_end948:
	.size	_ZN7rocprim17ROCPRIM_400000_NS6detail17trampoline_kernelINS0_14default_configENS1_25partition_config_selectorILNS1_17partition_subalgoE3EjNS0_10empty_typeEbEEZZNS1_14partition_implILS5_3ELb0ES3_jN6thrust23THRUST_200600_302600_NS6detail15normal_iteratorINSA_7pointerIjNSA_11hip_rocprim3tagENSA_11use_defaultESG_EEEEPS6_SJ_NS0_5tupleIJPjSJ_EEENSK_IJSJ_SJ_EEES6_PlJ7is_evenIjEEEE10hipError_tPvRmT3_T4_T5_T6_T7_T9_mT8_P12ihipStream_tbDpT10_ENKUlT_T0_E_clISt17integral_constantIbLb0EES19_IbLb1EEEEDaS15_S16_EUlS15_E_NS1_11comp_targetILNS1_3genE10ELNS1_11target_archE1200ELNS1_3gpuE4ELNS1_3repE0EEENS1_30default_config_static_selectorELNS0_4arch9wavefront6targetE1EEEvT1_, .Lfunc_end948-_ZN7rocprim17ROCPRIM_400000_NS6detail17trampoline_kernelINS0_14default_configENS1_25partition_config_selectorILNS1_17partition_subalgoE3EjNS0_10empty_typeEbEEZZNS1_14partition_implILS5_3ELb0ES3_jN6thrust23THRUST_200600_302600_NS6detail15normal_iteratorINSA_7pointerIjNSA_11hip_rocprim3tagENSA_11use_defaultESG_EEEEPS6_SJ_NS0_5tupleIJPjSJ_EEENSK_IJSJ_SJ_EEES6_PlJ7is_evenIjEEEE10hipError_tPvRmT3_T4_T5_T6_T7_T9_mT8_P12ihipStream_tbDpT10_ENKUlT_T0_E_clISt17integral_constantIbLb0EES19_IbLb1EEEEDaS15_S16_EUlS15_E_NS1_11comp_targetILNS1_3genE10ELNS1_11target_archE1200ELNS1_3gpuE4ELNS1_3repE0EEENS1_30default_config_static_selectorELNS0_4arch9wavefront6targetE1EEEvT1_
                                        ; -- End function
	.section	.AMDGPU.csdata,"",@progbits
; Kernel info:
; codeLenInByte = 0
; NumSgprs: 4
; NumVgprs: 0
; NumAgprs: 0
; TotalNumVgprs: 0
; ScratchSize: 0
; MemoryBound: 0
; FloatMode: 240
; IeeeMode: 1
; LDSByteSize: 0 bytes/workgroup (compile time only)
; SGPRBlocks: 0
; VGPRBlocks: 0
; NumSGPRsForWavesPerEU: 4
; NumVGPRsForWavesPerEU: 1
; AccumOffset: 4
; Occupancy: 8
; WaveLimiterHint : 0
; COMPUTE_PGM_RSRC2:SCRATCH_EN: 0
; COMPUTE_PGM_RSRC2:USER_SGPR: 6
; COMPUTE_PGM_RSRC2:TRAP_HANDLER: 0
; COMPUTE_PGM_RSRC2:TGID_X_EN: 1
; COMPUTE_PGM_RSRC2:TGID_Y_EN: 0
; COMPUTE_PGM_RSRC2:TGID_Z_EN: 0
; COMPUTE_PGM_RSRC2:TIDIG_COMP_CNT: 0
; COMPUTE_PGM_RSRC3_GFX90A:ACCUM_OFFSET: 0
; COMPUTE_PGM_RSRC3_GFX90A:TG_SPLIT: 0
	.section	.text._ZN7rocprim17ROCPRIM_400000_NS6detail17trampoline_kernelINS0_14default_configENS1_25partition_config_selectorILNS1_17partition_subalgoE3EjNS0_10empty_typeEbEEZZNS1_14partition_implILS5_3ELb0ES3_jN6thrust23THRUST_200600_302600_NS6detail15normal_iteratorINSA_7pointerIjNSA_11hip_rocprim3tagENSA_11use_defaultESG_EEEEPS6_SJ_NS0_5tupleIJPjSJ_EEENSK_IJSJ_SJ_EEES6_PlJ7is_evenIjEEEE10hipError_tPvRmT3_T4_T5_T6_T7_T9_mT8_P12ihipStream_tbDpT10_ENKUlT_T0_E_clISt17integral_constantIbLb0EES19_IbLb1EEEEDaS15_S16_EUlS15_E_NS1_11comp_targetILNS1_3genE9ELNS1_11target_archE1100ELNS1_3gpuE3ELNS1_3repE0EEENS1_30default_config_static_selectorELNS0_4arch9wavefront6targetE1EEEvT1_,"axG",@progbits,_ZN7rocprim17ROCPRIM_400000_NS6detail17trampoline_kernelINS0_14default_configENS1_25partition_config_selectorILNS1_17partition_subalgoE3EjNS0_10empty_typeEbEEZZNS1_14partition_implILS5_3ELb0ES3_jN6thrust23THRUST_200600_302600_NS6detail15normal_iteratorINSA_7pointerIjNSA_11hip_rocprim3tagENSA_11use_defaultESG_EEEEPS6_SJ_NS0_5tupleIJPjSJ_EEENSK_IJSJ_SJ_EEES6_PlJ7is_evenIjEEEE10hipError_tPvRmT3_T4_T5_T6_T7_T9_mT8_P12ihipStream_tbDpT10_ENKUlT_T0_E_clISt17integral_constantIbLb0EES19_IbLb1EEEEDaS15_S16_EUlS15_E_NS1_11comp_targetILNS1_3genE9ELNS1_11target_archE1100ELNS1_3gpuE3ELNS1_3repE0EEENS1_30default_config_static_selectorELNS0_4arch9wavefront6targetE1EEEvT1_,comdat
	.protected	_ZN7rocprim17ROCPRIM_400000_NS6detail17trampoline_kernelINS0_14default_configENS1_25partition_config_selectorILNS1_17partition_subalgoE3EjNS0_10empty_typeEbEEZZNS1_14partition_implILS5_3ELb0ES3_jN6thrust23THRUST_200600_302600_NS6detail15normal_iteratorINSA_7pointerIjNSA_11hip_rocprim3tagENSA_11use_defaultESG_EEEEPS6_SJ_NS0_5tupleIJPjSJ_EEENSK_IJSJ_SJ_EEES6_PlJ7is_evenIjEEEE10hipError_tPvRmT3_T4_T5_T6_T7_T9_mT8_P12ihipStream_tbDpT10_ENKUlT_T0_E_clISt17integral_constantIbLb0EES19_IbLb1EEEEDaS15_S16_EUlS15_E_NS1_11comp_targetILNS1_3genE9ELNS1_11target_archE1100ELNS1_3gpuE3ELNS1_3repE0EEENS1_30default_config_static_selectorELNS0_4arch9wavefront6targetE1EEEvT1_ ; -- Begin function _ZN7rocprim17ROCPRIM_400000_NS6detail17trampoline_kernelINS0_14default_configENS1_25partition_config_selectorILNS1_17partition_subalgoE3EjNS0_10empty_typeEbEEZZNS1_14partition_implILS5_3ELb0ES3_jN6thrust23THRUST_200600_302600_NS6detail15normal_iteratorINSA_7pointerIjNSA_11hip_rocprim3tagENSA_11use_defaultESG_EEEEPS6_SJ_NS0_5tupleIJPjSJ_EEENSK_IJSJ_SJ_EEES6_PlJ7is_evenIjEEEE10hipError_tPvRmT3_T4_T5_T6_T7_T9_mT8_P12ihipStream_tbDpT10_ENKUlT_T0_E_clISt17integral_constantIbLb0EES19_IbLb1EEEEDaS15_S16_EUlS15_E_NS1_11comp_targetILNS1_3genE9ELNS1_11target_archE1100ELNS1_3gpuE3ELNS1_3repE0EEENS1_30default_config_static_selectorELNS0_4arch9wavefront6targetE1EEEvT1_
	.globl	_ZN7rocprim17ROCPRIM_400000_NS6detail17trampoline_kernelINS0_14default_configENS1_25partition_config_selectorILNS1_17partition_subalgoE3EjNS0_10empty_typeEbEEZZNS1_14partition_implILS5_3ELb0ES3_jN6thrust23THRUST_200600_302600_NS6detail15normal_iteratorINSA_7pointerIjNSA_11hip_rocprim3tagENSA_11use_defaultESG_EEEEPS6_SJ_NS0_5tupleIJPjSJ_EEENSK_IJSJ_SJ_EEES6_PlJ7is_evenIjEEEE10hipError_tPvRmT3_T4_T5_T6_T7_T9_mT8_P12ihipStream_tbDpT10_ENKUlT_T0_E_clISt17integral_constantIbLb0EES19_IbLb1EEEEDaS15_S16_EUlS15_E_NS1_11comp_targetILNS1_3genE9ELNS1_11target_archE1100ELNS1_3gpuE3ELNS1_3repE0EEENS1_30default_config_static_selectorELNS0_4arch9wavefront6targetE1EEEvT1_
	.p2align	8
	.type	_ZN7rocprim17ROCPRIM_400000_NS6detail17trampoline_kernelINS0_14default_configENS1_25partition_config_selectorILNS1_17partition_subalgoE3EjNS0_10empty_typeEbEEZZNS1_14partition_implILS5_3ELb0ES3_jN6thrust23THRUST_200600_302600_NS6detail15normal_iteratorINSA_7pointerIjNSA_11hip_rocprim3tagENSA_11use_defaultESG_EEEEPS6_SJ_NS0_5tupleIJPjSJ_EEENSK_IJSJ_SJ_EEES6_PlJ7is_evenIjEEEE10hipError_tPvRmT3_T4_T5_T6_T7_T9_mT8_P12ihipStream_tbDpT10_ENKUlT_T0_E_clISt17integral_constantIbLb0EES19_IbLb1EEEEDaS15_S16_EUlS15_E_NS1_11comp_targetILNS1_3genE9ELNS1_11target_archE1100ELNS1_3gpuE3ELNS1_3repE0EEENS1_30default_config_static_selectorELNS0_4arch9wavefront6targetE1EEEvT1_,@function
_ZN7rocprim17ROCPRIM_400000_NS6detail17trampoline_kernelINS0_14default_configENS1_25partition_config_selectorILNS1_17partition_subalgoE3EjNS0_10empty_typeEbEEZZNS1_14partition_implILS5_3ELb0ES3_jN6thrust23THRUST_200600_302600_NS6detail15normal_iteratorINSA_7pointerIjNSA_11hip_rocprim3tagENSA_11use_defaultESG_EEEEPS6_SJ_NS0_5tupleIJPjSJ_EEENSK_IJSJ_SJ_EEES6_PlJ7is_evenIjEEEE10hipError_tPvRmT3_T4_T5_T6_T7_T9_mT8_P12ihipStream_tbDpT10_ENKUlT_T0_E_clISt17integral_constantIbLb0EES19_IbLb1EEEEDaS15_S16_EUlS15_E_NS1_11comp_targetILNS1_3genE9ELNS1_11target_archE1100ELNS1_3gpuE3ELNS1_3repE0EEENS1_30default_config_static_selectorELNS0_4arch9wavefront6targetE1EEEvT1_: ; @_ZN7rocprim17ROCPRIM_400000_NS6detail17trampoline_kernelINS0_14default_configENS1_25partition_config_selectorILNS1_17partition_subalgoE3EjNS0_10empty_typeEbEEZZNS1_14partition_implILS5_3ELb0ES3_jN6thrust23THRUST_200600_302600_NS6detail15normal_iteratorINSA_7pointerIjNSA_11hip_rocprim3tagENSA_11use_defaultESG_EEEEPS6_SJ_NS0_5tupleIJPjSJ_EEENSK_IJSJ_SJ_EEES6_PlJ7is_evenIjEEEE10hipError_tPvRmT3_T4_T5_T6_T7_T9_mT8_P12ihipStream_tbDpT10_ENKUlT_T0_E_clISt17integral_constantIbLb0EES19_IbLb1EEEEDaS15_S16_EUlS15_E_NS1_11comp_targetILNS1_3genE9ELNS1_11target_archE1100ELNS1_3gpuE3ELNS1_3repE0EEENS1_30default_config_static_selectorELNS0_4arch9wavefront6targetE1EEEvT1_
; %bb.0:
	.section	.rodata,"a",@progbits
	.p2align	6, 0x0
	.amdhsa_kernel _ZN7rocprim17ROCPRIM_400000_NS6detail17trampoline_kernelINS0_14default_configENS1_25partition_config_selectorILNS1_17partition_subalgoE3EjNS0_10empty_typeEbEEZZNS1_14partition_implILS5_3ELb0ES3_jN6thrust23THRUST_200600_302600_NS6detail15normal_iteratorINSA_7pointerIjNSA_11hip_rocprim3tagENSA_11use_defaultESG_EEEEPS6_SJ_NS0_5tupleIJPjSJ_EEENSK_IJSJ_SJ_EEES6_PlJ7is_evenIjEEEE10hipError_tPvRmT3_T4_T5_T6_T7_T9_mT8_P12ihipStream_tbDpT10_ENKUlT_T0_E_clISt17integral_constantIbLb0EES19_IbLb1EEEEDaS15_S16_EUlS15_E_NS1_11comp_targetILNS1_3genE9ELNS1_11target_archE1100ELNS1_3gpuE3ELNS1_3repE0EEENS1_30default_config_static_selectorELNS0_4arch9wavefront6targetE1EEEvT1_
		.amdhsa_group_segment_fixed_size 0
		.amdhsa_private_segment_fixed_size 0
		.amdhsa_kernarg_size 136
		.amdhsa_user_sgpr_count 6
		.amdhsa_user_sgpr_private_segment_buffer 1
		.amdhsa_user_sgpr_dispatch_ptr 0
		.amdhsa_user_sgpr_queue_ptr 0
		.amdhsa_user_sgpr_kernarg_segment_ptr 1
		.amdhsa_user_sgpr_dispatch_id 0
		.amdhsa_user_sgpr_flat_scratch_init 0
		.amdhsa_user_sgpr_kernarg_preload_length 0
		.amdhsa_user_sgpr_kernarg_preload_offset 0
		.amdhsa_user_sgpr_private_segment_size 0
		.amdhsa_uses_dynamic_stack 0
		.amdhsa_system_sgpr_private_segment_wavefront_offset 0
		.amdhsa_system_sgpr_workgroup_id_x 1
		.amdhsa_system_sgpr_workgroup_id_y 0
		.amdhsa_system_sgpr_workgroup_id_z 0
		.amdhsa_system_sgpr_workgroup_info 0
		.amdhsa_system_vgpr_workitem_id 0
		.amdhsa_next_free_vgpr 1
		.amdhsa_next_free_sgpr 0
		.amdhsa_accum_offset 4
		.amdhsa_reserve_vcc 0
		.amdhsa_reserve_flat_scratch 0
		.amdhsa_float_round_mode_32 0
		.amdhsa_float_round_mode_16_64 0
		.amdhsa_float_denorm_mode_32 3
		.amdhsa_float_denorm_mode_16_64 3
		.amdhsa_dx10_clamp 1
		.amdhsa_ieee_mode 1
		.amdhsa_fp16_overflow 0
		.amdhsa_tg_split 0
		.amdhsa_exception_fp_ieee_invalid_op 0
		.amdhsa_exception_fp_denorm_src 0
		.amdhsa_exception_fp_ieee_div_zero 0
		.amdhsa_exception_fp_ieee_overflow 0
		.amdhsa_exception_fp_ieee_underflow 0
		.amdhsa_exception_fp_ieee_inexact 0
		.amdhsa_exception_int_div_zero 0
	.end_amdhsa_kernel
	.section	.text._ZN7rocprim17ROCPRIM_400000_NS6detail17trampoline_kernelINS0_14default_configENS1_25partition_config_selectorILNS1_17partition_subalgoE3EjNS0_10empty_typeEbEEZZNS1_14partition_implILS5_3ELb0ES3_jN6thrust23THRUST_200600_302600_NS6detail15normal_iteratorINSA_7pointerIjNSA_11hip_rocprim3tagENSA_11use_defaultESG_EEEEPS6_SJ_NS0_5tupleIJPjSJ_EEENSK_IJSJ_SJ_EEES6_PlJ7is_evenIjEEEE10hipError_tPvRmT3_T4_T5_T6_T7_T9_mT8_P12ihipStream_tbDpT10_ENKUlT_T0_E_clISt17integral_constantIbLb0EES19_IbLb1EEEEDaS15_S16_EUlS15_E_NS1_11comp_targetILNS1_3genE9ELNS1_11target_archE1100ELNS1_3gpuE3ELNS1_3repE0EEENS1_30default_config_static_selectorELNS0_4arch9wavefront6targetE1EEEvT1_,"axG",@progbits,_ZN7rocprim17ROCPRIM_400000_NS6detail17trampoline_kernelINS0_14default_configENS1_25partition_config_selectorILNS1_17partition_subalgoE3EjNS0_10empty_typeEbEEZZNS1_14partition_implILS5_3ELb0ES3_jN6thrust23THRUST_200600_302600_NS6detail15normal_iteratorINSA_7pointerIjNSA_11hip_rocprim3tagENSA_11use_defaultESG_EEEEPS6_SJ_NS0_5tupleIJPjSJ_EEENSK_IJSJ_SJ_EEES6_PlJ7is_evenIjEEEE10hipError_tPvRmT3_T4_T5_T6_T7_T9_mT8_P12ihipStream_tbDpT10_ENKUlT_T0_E_clISt17integral_constantIbLb0EES19_IbLb1EEEEDaS15_S16_EUlS15_E_NS1_11comp_targetILNS1_3genE9ELNS1_11target_archE1100ELNS1_3gpuE3ELNS1_3repE0EEENS1_30default_config_static_selectorELNS0_4arch9wavefront6targetE1EEEvT1_,comdat
.Lfunc_end949:
	.size	_ZN7rocprim17ROCPRIM_400000_NS6detail17trampoline_kernelINS0_14default_configENS1_25partition_config_selectorILNS1_17partition_subalgoE3EjNS0_10empty_typeEbEEZZNS1_14partition_implILS5_3ELb0ES3_jN6thrust23THRUST_200600_302600_NS6detail15normal_iteratorINSA_7pointerIjNSA_11hip_rocprim3tagENSA_11use_defaultESG_EEEEPS6_SJ_NS0_5tupleIJPjSJ_EEENSK_IJSJ_SJ_EEES6_PlJ7is_evenIjEEEE10hipError_tPvRmT3_T4_T5_T6_T7_T9_mT8_P12ihipStream_tbDpT10_ENKUlT_T0_E_clISt17integral_constantIbLb0EES19_IbLb1EEEEDaS15_S16_EUlS15_E_NS1_11comp_targetILNS1_3genE9ELNS1_11target_archE1100ELNS1_3gpuE3ELNS1_3repE0EEENS1_30default_config_static_selectorELNS0_4arch9wavefront6targetE1EEEvT1_, .Lfunc_end949-_ZN7rocprim17ROCPRIM_400000_NS6detail17trampoline_kernelINS0_14default_configENS1_25partition_config_selectorILNS1_17partition_subalgoE3EjNS0_10empty_typeEbEEZZNS1_14partition_implILS5_3ELb0ES3_jN6thrust23THRUST_200600_302600_NS6detail15normal_iteratorINSA_7pointerIjNSA_11hip_rocprim3tagENSA_11use_defaultESG_EEEEPS6_SJ_NS0_5tupleIJPjSJ_EEENSK_IJSJ_SJ_EEES6_PlJ7is_evenIjEEEE10hipError_tPvRmT3_T4_T5_T6_T7_T9_mT8_P12ihipStream_tbDpT10_ENKUlT_T0_E_clISt17integral_constantIbLb0EES19_IbLb1EEEEDaS15_S16_EUlS15_E_NS1_11comp_targetILNS1_3genE9ELNS1_11target_archE1100ELNS1_3gpuE3ELNS1_3repE0EEENS1_30default_config_static_selectorELNS0_4arch9wavefront6targetE1EEEvT1_
                                        ; -- End function
	.section	.AMDGPU.csdata,"",@progbits
; Kernel info:
; codeLenInByte = 0
; NumSgprs: 4
; NumVgprs: 0
; NumAgprs: 0
; TotalNumVgprs: 0
; ScratchSize: 0
; MemoryBound: 0
; FloatMode: 240
; IeeeMode: 1
; LDSByteSize: 0 bytes/workgroup (compile time only)
; SGPRBlocks: 0
; VGPRBlocks: 0
; NumSGPRsForWavesPerEU: 4
; NumVGPRsForWavesPerEU: 1
; AccumOffset: 4
; Occupancy: 8
; WaveLimiterHint : 0
; COMPUTE_PGM_RSRC2:SCRATCH_EN: 0
; COMPUTE_PGM_RSRC2:USER_SGPR: 6
; COMPUTE_PGM_RSRC2:TRAP_HANDLER: 0
; COMPUTE_PGM_RSRC2:TGID_X_EN: 1
; COMPUTE_PGM_RSRC2:TGID_Y_EN: 0
; COMPUTE_PGM_RSRC2:TGID_Z_EN: 0
; COMPUTE_PGM_RSRC2:TIDIG_COMP_CNT: 0
; COMPUTE_PGM_RSRC3_GFX90A:ACCUM_OFFSET: 0
; COMPUTE_PGM_RSRC3_GFX90A:TG_SPLIT: 0
	.section	.text._ZN7rocprim17ROCPRIM_400000_NS6detail17trampoline_kernelINS0_14default_configENS1_25partition_config_selectorILNS1_17partition_subalgoE3EjNS0_10empty_typeEbEEZZNS1_14partition_implILS5_3ELb0ES3_jN6thrust23THRUST_200600_302600_NS6detail15normal_iteratorINSA_7pointerIjNSA_11hip_rocprim3tagENSA_11use_defaultESG_EEEEPS6_SJ_NS0_5tupleIJPjSJ_EEENSK_IJSJ_SJ_EEES6_PlJ7is_evenIjEEEE10hipError_tPvRmT3_T4_T5_T6_T7_T9_mT8_P12ihipStream_tbDpT10_ENKUlT_T0_E_clISt17integral_constantIbLb0EES19_IbLb1EEEEDaS15_S16_EUlS15_E_NS1_11comp_targetILNS1_3genE8ELNS1_11target_archE1030ELNS1_3gpuE2ELNS1_3repE0EEENS1_30default_config_static_selectorELNS0_4arch9wavefront6targetE1EEEvT1_,"axG",@progbits,_ZN7rocprim17ROCPRIM_400000_NS6detail17trampoline_kernelINS0_14default_configENS1_25partition_config_selectorILNS1_17partition_subalgoE3EjNS0_10empty_typeEbEEZZNS1_14partition_implILS5_3ELb0ES3_jN6thrust23THRUST_200600_302600_NS6detail15normal_iteratorINSA_7pointerIjNSA_11hip_rocprim3tagENSA_11use_defaultESG_EEEEPS6_SJ_NS0_5tupleIJPjSJ_EEENSK_IJSJ_SJ_EEES6_PlJ7is_evenIjEEEE10hipError_tPvRmT3_T4_T5_T6_T7_T9_mT8_P12ihipStream_tbDpT10_ENKUlT_T0_E_clISt17integral_constantIbLb0EES19_IbLb1EEEEDaS15_S16_EUlS15_E_NS1_11comp_targetILNS1_3genE8ELNS1_11target_archE1030ELNS1_3gpuE2ELNS1_3repE0EEENS1_30default_config_static_selectorELNS0_4arch9wavefront6targetE1EEEvT1_,comdat
	.protected	_ZN7rocprim17ROCPRIM_400000_NS6detail17trampoline_kernelINS0_14default_configENS1_25partition_config_selectorILNS1_17partition_subalgoE3EjNS0_10empty_typeEbEEZZNS1_14partition_implILS5_3ELb0ES3_jN6thrust23THRUST_200600_302600_NS6detail15normal_iteratorINSA_7pointerIjNSA_11hip_rocprim3tagENSA_11use_defaultESG_EEEEPS6_SJ_NS0_5tupleIJPjSJ_EEENSK_IJSJ_SJ_EEES6_PlJ7is_evenIjEEEE10hipError_tPvRmT3_T4_T5_T6_T7_T9_mT8_P12ihipStream_tbDpT10_ENKUlT_T0_E_clISt17integral_constantIbLb0EES19_IbLb1EEEEDaS15_S16_EUlS15_E_NS1_11comp_targetILNS1_3genE8ELNS1_11target_archE1030ELNS1_3gpuE2ELNS1_3repE0EEENS1_30default_config_static_selectorELNS0_4arch9wavefront6targetE1EEEvT1_ ; -- Begin function _ZN7rocprim17ROCPRIM_400000_NS6detail17trampoline_kernelINS0_14default_configENS1_25partition_config_selectorILNS1_17partition_subalgoE3EjNS0_10empty_typeEbEEZZNS1_14partition_implILS5_3ELb0ES3_jN6thrust23THRUST_200600_302600_NS6detail15normal_iteratorINSA_7pointerIjNSA_11hip_rocprim3tagENSA_11use_defaultESG_EEEEPS6_SJ_NS0_5tupleIJPjSJ_EEENSK_IJSJ_SJ_EEES6_PlJ7is_evenIjEEEE10hipError_tPvRmT3_T4_T5_T6_T7_T9_mT8_P12ihipStream_tbDpT10_ENKUlT_T0_E_clISt17integral_constantIbLb0EES19_IbLb1EEEEDaS15_S16_EUlS15_E_NS1_11comp_targetILNS1_3genE8ELNS1_11target_archE1030ELNS1_3gpuE2ELNS1_3repE0EEENS1_30default_config_static_selectorELNS0_4arch9wavefront6targetE1EEEvT1_
	.globl	_ZN7rocprim17ROCPRIM_400000_NS6detail17trampoline_kernelINS0_14default_configENS1_25partition_config_selectorILNS1_17partition_subalgoE3EjNS0_10empty_typeEbEEZZNS1_14partition_implILS5_3ELb0ES3_jN6thrust23THRUST_200600_302600_NS6detail15normal_iteratorINSA_7pointerIjNSA_11hip_rocprim3tagENSA_11use_defaultESG_EEEEPS6_SJ_NS0_5tupleIJPjSJ_EEENSK_IJSJ_SJ_EEES6_PlJ7is_evenIjEEEE10hipError_tPvRmT3_T4_T5_T6_T7_T9_mT8_P12ihipStream_tbDpT10_ENKUlT_T0_E_clISt17integral_constantIbLb0EES19_IbLb1EEEEDaS15_S16_EUlS15_E_NS1_11comp_targetILNS1_3genE8ELNS1_11target_archE1030ELNS1_3gpuE2ELNS1_3repE0EEENS1_30default_config_static_selectorELNS0_4arch9wavefront6targetE1EEEvT1_
	.p2align	8
	.type	_ZN7rocprim17ROCPRIM_400000_NS6detail17trampoline_kernelINS0_14default_configENS1_25partition_config_selectorILNS1_17partition_subalgoE3EjNS0_10empty_typeEbEEZZNS1_14partition_implILS5_3ELb0ES3_jN6thrust23THRUST_200600_302600_NS6detail15normal_iteratorINSA_7pointerIjNSA_11hip_rocprim3tagENSA_11use_defaultESG_EEEEPS6_SJ_NS0_5tupleIJPjSJ_EEENSK_IJSJ_SJ_EEES6_PlJ7is_evenIjEEEE10hipError_tPvRmT3_T4_T5_T6_T7_T9_mT8_P12ihipStream_tbDpT10_ENKUlT_T0_E_clISt17integral_constantIbLb0EES19_IbLb1EEEEDaS15_S16_EUlS15_E_NS1_11comp_targetILNS1_3genE8ELNS1_11target_archE1030ELNS1_3gpuE2ELNS1_3repE0EEENS1_30default_config_static_selectorELNS0_4arch9wavefront6targetE1EEEvT1_,@function
_ZN7rocprim17ROCPRIM_400000_NS6detail17trampoline_kernelINS0_14default_configENS1_25partition_config_selectorILNS1_17partition_subalgoE3EjNS0_10empty_typeEbEEZZNS1_14partition_implILS5_3ELb0ES3_jN6thrust23THRUST_200600_302600_NS6detail15normal_iteratorINSA_7pointerIjNSA_11hip_rocprim3tagENSA_11use_defaultESG_EEEEPS6_SJ_NS0_5tupleIJPjSJ_EEENSK_IJSJ_SJ_EEES6_PlJ7is_evenIjEEEE10hipError_tPvRmT3_T4_T5_T6_T7_T9_mT8_P12ihipStream_tbDpT10_ENKUlT_T0_E_clISt17integral_constantIbLb0EES19_IbLb1EEEEDaS15_S16_EUlS15_E_NS1_11comp_targetILNS1_3genE8ELNS1_11target_archE1030ELNS1_3gpuE2ELNS1_3repE0EEENS1_30default_config_static_selectorELNS0_4arch9wavefront6targetE1EEEvT1_: ; @_ZN7rocprim17ROCPRIM_400000_NS6detail17trampoline_kernelINS0_14default_configENS1_25partition_config_selectorILNS1_17partition_subalgoE3EjNS0_10empty_typeEbEEZZNS1_14partition_implILS5_3ELb0ES3_jN6thrust23THRUST_200600_302600_NS6detail15normal_iteratorINSA_7pointerIjNSA_11hip_rocprim3tagENSA_11use_defaultESG_EEEEPS6_SJ_NS0_5tupleIJPjSJ_EEENSK_IJSJ_SJ_EEES6_PlJ7is_evenIjEEEE10hipError_tPvRmT3_T4_T5_T6_T7_T9_mT8_P12ihipStream_tbDpT10_ENKUlT_T0_E_clISt17integral_constantIbLb0EES19_IbLb1EEEEDaS15_S16_EUlS15_E_NS1_11comp_targetILNS1_3genE8ELNS1_11target_archE1030ELNS1_3gpuE2ELNS1_3repE0EEENS1_30default_config_static_selectorELNS0_4arch9wavefront6targetE1EEEvT1_
; %bb.0:
	.section	.rodata,"a",@progbits
	.p2align	6, 0x0
	.amdhsa_kernel _ZN7rocprim17ROCPRIM_400000_NS6detail17trampoline_kernelINS0_14default_configENS1_25partition_config_selectorILNS1_17partition_subalgoE3EjNS0_10empty_typeEbEEZZNS1_14partition_implILS5_3ELb0ES3_jN6thrust23THRUST_200600_302600_NS6detail15normal_iteratorINSA_7pointerIjNSA_11hip_rocprim3tagENSA_11use_defaultESG_EEEEPS6_SJ_NS0_5tupleIJPjSJ_EEENSK_IJSJ_SJ_EEES6_PlJ7is_evenIjEEEE10hipError_tPvRmT3_T4_T5_T6_T7_T9_mT8_P12ihipStream_tbDpT10_ENKUlT_T0_E_clISt17integral_constantIbLb0EES19_IbLb1EEEEDaS15_S16_EUlS15_E_NS1_11comp_targetILNS1_3genE8ELNS1_11target_archE1030ELNS1_3gpuE2ELNS1_3repE0EEENS1_30default_config_static_selectorELNS0_4arch9wavefront6targetE1EEEvT1_
		.amdhsa_group_segment_fixed_size 0
		.amdhsa_private_segment_fixed_size 0
		.amdhsa_kernarg_size 136
		.amdhsa_user_sgpr_count 6
		.amdhsa_user_sgpr_private_segment_buffer 1
		.amdhsa_user_sgpr_dispatch_ptr 0
		.amdhsa_user_sgpr_queue_ptr 0
		.amdhsa_user_sgpr_kernarg_segment_ptr 1
		.amdhsa_user_sgpr_dispatch_id 0
		.amdhsa_user_sgpr_flat_scratch_init 0
		.amdhsa_user_sgpr_kernarg_preload_length 0
		.amdhsa_user_sgpr_kernarg_preload_offset 0
		.amdhsa_user_sgpr_private_segment_size 0
		.amdhsa_uses_dynamic_stack 0
		.amdhsa_system_sgpr_private_segment_wavefront_offset 0
		.amdhsa_system_sgpr_workgroup_id_x 1
		.amdhsa_system_sgpr_workgroup_id_y 0
		.amdhsa_system_sgpr_workgroup_id_z 0
		.amdhsa_system_sgpr_workgroup_info 0
		.amdhsa_system_vgpr_workitem_id 0
		.amdhsa_next_free_vgpr 1
		.amdhsa_next_free_sgpr 0
		.amdhsa_accum_offset 4
		.amdhsa_reserve_vcc 0
		.amdhsa_reserve_flat_scratch 0
		.amdhsa_float_round_mode_32 0
		.amdhsa_float_round_mode_16_64 0
		.amdhsa_float_denorm_mode_32 3
		.amdhsa_float_denorm_mode_16_64 3
		.amdhsa_dx10_clamp 1
		.amdhsa_ieee_mode 1
		.amdhsa_fp16_overflow 0
		.amdhsa_tg_split 0
		.amdhsa_exception_fp_ieee_invalid_op 0
		.amdhsa_exception_fp_denorm_src 0
		.amdhsa_exception_fp_ieee_div_zero 0
		.amdhsa_exception_fp_ieee_overflow 0
		.amdhsa_exception_fp_ieee_underflow 0
		.amdhsa_exception_fp_ieee_inexact 0
		.amdhsa_exception_int_div_zero 0
	.end_amdhsa_kernel
	.section	.text._ZN7rocprim17ROCPRIM_400000_NS6detail17trampoline_kernelINS0_14default_configENS1_25partition_config_selectorILNS1_17partition_subalgoE3EjNS0_10empty_typeEbEEZZNS1_14partition_implILS5_3ELb0ES3_jN6thrust23THRUST_200600_302600_NS6detail15normal_iteratorINSA_7pointerIjNSA_11hip_rocprim3tagENSA_11use_defaultESG_EEEEPS6_SJ_NS0_5tupleIJPjSJ_EEENSK_IJSJ_SJ_EEES6_PlJ7is_evenIjEEEE10hipError_tPvRmT3_T4_T5_T6_T7_T9_mT8_P12ihipStream_tbDpT10_ENKUlT_T0_E_clISt17integral_constantIbLb0EES19_IbLb1EEEEDaS15_S16_EUlS15_E_NS1_11comp_targetILNS1_3genE8ELNS1_11target_archE1030ELNS1_3gpuE2ELNS1_3repE0EEENS1_30default_config_static_selectorELNS0_4arch9wavefront6targetE1EEEvT1_,"axG",@progbits,_ZN7rocprim17ROCPRIM_400000_NS6detail17trampoline_kernelINS0_14default_configENS1_25partition_config_selectorILNS1_17partition_subalgoE3EjNS0_10empty_typeEbEEZZNS1_14partition_implILS5_3ELb0ES3_jN6thrust23THRUST_200600_302600_NS6detail15normal_iteratorINSA_7pointerIjNSA_11hip_rocprim3tagENSA_11use_defaultESG_EEEEPS6_SJ_NS0_5tupleIJPjSJ_EEENSK_IJSJ_SJ_EEES6_PlJ7is_evenIjEEEE10hipError_tPvRmT3_T4_T5_T6_T7_T9_mT8_P12ihipStream_tbDpT10_ENKUlT_T0_E_clISt17integral_constantIbLb0EES19_IbLb1EEEEDaS15_S16_EUlS15_E_NS1_11comp_targetILNS1_3genE8ELNS1_11target_archE1030ELNS1_3gpuE2ELNS1_3repE0EEENS1_30default_config_static_selectorELNS0_4arch9wavefront6targetE1EEEvT1_,comdat
.Lfunc_end950:
	.size	_ZN7rocprim17ROCPRIM_400000_NS6detail17trampoline_kernelINS0_14default_configENS1_25partition_config_selectorILNS1_17partition_subalgoE3EjNS0_10empty_typeEbEEZZNS1_14partition_implILS5_3ELb0ES3_jN6thrust23THRUST_200600_302600_NS6detail15normal_iteratorINSA_7pointerIjNSA_11hip_rocprim3tagENSA_11use_defaultESG_EEEEPS6_SJ_NS0_5tupleIJPjSJ_EEENSK_IJSJ_SJ_EEES6_PlJ7is_evenIjEEEE10hipError_tPvRmT3_T4_T5_T6_T7_T9_mT8_P12ihipStream_tbDpT10_ENKUlT_T0_E_clISt17integral_constantIbLb0EES19_IbLb1EEEEDaS15_S16_EUlS15_E_NS1_11comp_targetILNS1_3genE8ELNS1_11target_archE1030ELNS1_3gpuE2ELNS1_3repE0EEENS1_30default_config_static_selectorELNS0_4arch9wavefront6targetE1EEEvT1_, .Lfunc_end950-_ZN7rocprim17ROCPRIM_400000_NS6detail17trampoline_kernelINS0_14default_configENS1_25partition_config_selectorILNS1_17partition_subalgoE3EjNS0_10empty_typeEbEEZZNS1_14partition_implILS5_3ELb0ES3_jN6thrust23THRUST_200600_302600_NS6detail15normal_iteratorINSA_7pointerIjNSA_11hip_rocprim3tagENSA_11use_defaultESG_EEEEPS6_SJ_NS0_5tupleIJPjSJ_EEENSK_IJSJ_SJ_EEES6_PlJ7is_evenIjEEEE10hipError_tPvRmT3_T4_T5_T6_T7_T9_mT8_P12ihipStream_tbDpT10_ENKUlT_T0_E_clISt17integral_constantIbLb0EES19_IbLb1EEEEDaS15_S16_EUlS15_E_NS1_11comp_targetILNS1_3genE8ELNS1_11target_archE1030ELNS1_3gpuE2ELNS1_3repE0EEENS1_30default_config_static_selectorELNS0_4arch9wavefront6targetE1EEEvT1_
                                        ; -- End function
	.section	.AMDGPU.csdata,"",@progbits
; Kernel info:
; codeLenInByte = 0
; NumSgprs: 4
; NumVgprs: 0
; NumAgprs: 0
; TotalNumVgprs: 0
; ScratchSize: 0
; MemoryBound: 0
; FloatMode: 240
; IeeeMode: 1
; LDSByteSize: 0 bytes/workgroup (compile time only)
; SGPRBlocks: 0
; VGPRBlocks: 0
; NumSGPRsForWavesPerEU: 4
; NumVGPRsForWavesPerEU: 1
; AccumOffset: 4
; Occupancy: 8
; WaveLimiterHint : 0
; COMPUTE_PGM_RSRC2:SCRATCH_EN: 0
; COMPUTE_PGM_RSRC2:USER_SGPR: 6
; COMPUTE_PGM_RSRC2:TRAP_HANDLER: 0
; COMPUTE_PGM_RSRC2:TGID_X_EN: 1
; COMPUTE_PGM_RSRC2:TGID_Y_EN: 0
; COMPUTE_PGM_RSRC2:TGID_Z_EN: 0
; COMPUTE_PGM_RSRC2:TIDIG_COMP_CNT: 0
; COMPUTE_PGM_RSRC3_GFX90A:ACCUM_OFFSET: 0
; COMPUTE_PGM_RSRC3_GFX90A:TG_SPLIT: 0
	.section	.text._ZN7rocprim17ROCPRIM_400000_NS6detail17trampoline_kernelINS0_13kernel_configILj256ELj4ELj4294967295EEENS1_37radix_sort_block_sort_config_selectorIjNS0_10empty_typeEEEZNS1_21radix_sort_block_sortIS4_Lb0EN6thrust23THRUST_200600_302600_NS6detail15normal_iteratorINSA_10device_ptrIjEEEESF_PS6_SG_NS0_19identity_decomposerEEE10hipError_tT1_T2_T3_T4_jRjT5_jjP12ihipStream_tbEUlT_E_NS1_11comp_targetILNS1_3genE0ELNS1_11target_archE4294967295ELNS1_3gpuE0ELNS1_3repE0EEENS1_44radix_sort_block_sort_config_static_selectorELNS0_4arch9wavefront6targetE1EEEvSJ_,"axG",@progbits,_ZN7rocprim17ROCPRIM_400000_NS6detail17trampoline_kernelINS0_13kernel_configILj256ELj4ELj4294967295EEENS1_37radix_sort_block_sort_config_selectorIjNS0_10empty_typeEEEZNS1_21radix_sort_block_sortIS4_Lb0EN6thrust23THRUST_200600_302600_NS6detail15normal_iteratorINSA_10device_ptrIjEEEESF_PS6_SG_NS0_19identity_decomposerEEE10hipError_tT1_T2_T3_T4_jRjT5_jjP12ihipStream_tbEUlT_E_NS1_11comp_targetILNS1_3genE0ELNS1_11target_archE4294967295ELNS1_3gpuE0ELNS1_3repE0EEENS1_44radix_sort_block_sort_config_static_selectorELNS0_4arch9wavefront6targetE1EEEvSJ_,comdat
	.protected	_ZN7rocprim17ROCPRIM_400000_NS6detail17trampoline_kernelINS0_13kernel_configILj256ELj4ELj4294967295EEENS1_37radix_sort_block_sort_config_selectorIjNS0_10empty_typeEEEZNS1_21radix_sort_block_sortIS4_Lb0EN6thrust23THRUST_200600_302600_NS6detail15normal_iteratorINSA_10device_ptrIjEEEESF_PS6_SG_NS0_19identity_decomposerEEE10hipError_tT1_T2_T3_T4_jRjT5_jjP12ihipStream_tbEUlT_E_NS1_11comp_targetILNS1_3genE0ELNS1_11target_archE4294967295ELNS1_3gpuE0ELNS1_3repE0EEENS1_44radix_sort_block_sort_config_static_selectorELNS0_4arch9wavefront6targetE1EEEvSJ_ ; -- Begin function _ZN7rocprim17ROCPRIM_400000_NS6detail17trampoline_kernelINS0_13kernel_configILj256ELj4ELj4294967295EEENS1_37radix_sort_block_sort_config_selectorIjNS0_10empty_typeEEEZNS1_21radix_sort_block_sortIS4_Lb0EN6thrust23THRUST_200600_302600_NS6detail15normal_iteratorINSA_10device_ptrIjEEEESF_PS6_SG_NS0_19identity_decomposerEEE10hipError_tT1_T2_T3_T4_jRjT5_jjP12ihipStream_tbEUlT_E_NS1_11comp_targetILNS1_3genE0ELNS1_11target_archE4294967295ELNS1_3gpuE0ELNS1_3repE0EEENS1_44radix_sort_block_sort_config_static_selectorELNS0_4arch9wavefront6targetE1EEEvSJ_
	.globl	_ZN7rocprim17ROCPRIM_400000_NS6detail17trampoline_kernelINS0_13kernel_configILj256ELj4ELj4294967295EEENS1_37radix_sort_block_sort_config_selectorIjNS0_10empty_typeEEEZNS1_21radix_sort_block_sortIS4_Lb0EN6thrust23THRUST_200600_302600_NS6detail15normal_iteratorINSA_10device_ptrIjEEEESF_PS6_SG_NS0_19identity_decomposerEEE10hipError_tT1_T2_T3_T4_jRjT5_jjP12ihipStream_tbEUlT_E_NS1_11comp_targetILNS1_3genE0ELNS1_11target_archE4294967295ELNS1_3gpuE0ELNS1_3repE0EEENS1_44radix_sort_block_sort_config_static_selectorELNS0_4arch9wavefront6targetE1EEEvSJ_
	.p2align	8
	.type	_ZN7rocprim17ROCPRIM_400000_NS6detail17trampoline_kernelINS0_13kernel_configILj256ELj4ELj4294967295EEENS1_37radix_sort_block_sort_config_selectorIjNS0_10empty_typeEEEZNS1_21radix_sort_block_sortIS4_Lb0EN6thrust23THRUST_200600_302600_NS6detail15normal_iteratorINSA_10device_ptrIjEEEESF_PS6_SG_NS0_19identity_decomposerEEE10hipError_tT1_T2_T3_T4_jRjT5_jjP12ihipStream_tbEUlT_E_NS1_11comp_targetILNS1_3genE0ELNS1_11target_archE4294967295ELNS1_3gpuE0ELNS1_3repE0EEENS1_44radix_sort_block_sort_config_static_selectorELNS0_4arch9wavefront6targetE1EEEvSJ_,@function
_ZN7rocprim17ROCPRIM_400000_NS6detail17trampoline_kernelINS0_13kernel_configILj256ELj4ELj4294967295EEENS1_37radix_sort_block_sort_config_selectorIjNS0_10empty_typeEEEZNS1_21radix_sort_block_sortIS4_Lb0EN6thrust23THRUST_200600_302600_NS6detail15normal_iteratorINSA_10device_ptrIjEEEESF_PS6_SG_NS0_19identity_decomposerEEE10hipError_tT1_T2_T3_T4_jRjT5_jjP12ihipStream_tbEUlT_E_NS1_11comp_targetILNS1_3genE0ELNS1_11target_archE4294967295ELNS1_3gpuE0ELNS1_3repE0EEENS1_44radix_sort_block_sort_config_static_selectorELNS0_4arch9wavefront6targetE1EEEvSJ_: ; @_ZN7rocprim17ROCPRIM_400000_NS6detail17trampoline_kernelINS0_13kernel_configILj256ELj4ELj4294967295EEENS1_37radix_sort_block_sort_config_selectorIjNS0_10empty_typeEEEZNS1_21radix_sort_block_sortIS4_Lb0EN6thrust23THRUST_200600_302600_NS6detail15normal_iteratorINSA_10device_ptrIjEEEESF_PS6_SG_NS0_19identity_decomposerEEE10hipError_tT1_T2_T3_T4_jRjT5_jjP12ihipStream_tbEUlT_E_NS1_11comp_targetILNS1_3genE0ELNS1_11target_archE4294967295ELNS1_3gpuE0ELNS1_3repE0EEENS1_44radix_sort_block_sort_config_static_selectorELNS0_4arch9wavefront6targetE1EEEvSJ_
; %bb.0:
	.section	.rodata,"a",@progbits
	.p2align	6, 0x0
	.amdhsa_kernel _ZN7rocprim17ROCPRIM_400000_NS6detail17trampoline_kernelINS0_13kernel_configILj256ELj4ELj4294967295EEENS1_37radix_sort_block_sort_config_selectorIjNS0_10empty_typeEEEZNS1_21radix_sort_block_sortIS4_Lb0EN6thrust23THRUST_200600_302600_NS6detail15normal_iteratorINSA_10device_ptrIjEEEESF_PS6_SG_NS0_19identity_decomposerEEE10hipError_tT1_T2_T3_T4_jRjT5_jjP12ihipStream_tbEUlT_E_NS1_11comp_targetILNS1_3genE0ELNS1_11target_archE4294967295ELNS1_3gpuE0ELNS1_3repE0EEENS1_44radix_sort_block_sort_config_static_selectorELNS0_4arch9wavefront6targetE1EEEvSJ_
		.amdhsa_group_segment_fixed_size 0
		.amdhsa_private_segment_fixed_size 0
		.amdhsa_kernarg_size 48
		.amdhsa_user_sgpr_count 6
		.amdhsa_user_sgpr_private_segment_buffer 1
		.amdhsa_user_sgpr_dispatch_ptr 0
		.amdhsa_user_sgpr_queue_ptr 0
		.amdhsa_user_sgpr_kernarg_segment_ptr 1
		.amdhsa_user_sgpr_dispatch_id 0
		.amdhsa_user_sgpr_flat_scratch_init 0
		.amdhsa_user_sgpr_kernarg_preload_length 0
		.amdhsa_user_sgpr_kernarg_preload_offset 0
		.amdhsa_user_sgpr_private_segment_size 0
		.amdhsa_uses_dynamic_stack 0
		.amdhsa_system_sgpr_private_segment_wavefront_offset 0
		.amdhsa_system_sgpr_workgroup_id_x 1
		.amdhsa_system_sgpr_workgroup_id_y 0
		.amdhsa_system_sgpr_workgroup_id_z 0
		.amdhsa_system_sgpr_workgroup_info 0
		.amdhsa_system_vgpr_workitem_id 0
		.amdhsa_next_free_vgpr 1
		.amdhsa_next_free_sgpr 0
		.amdhsa_accum_offset 4
		.amdhsa_reserve_vcc 0
		.amdhsa_reserve_flat_scratch 0
		.amdhsa_float_round_mode_32 0
		.amdhsa_float_round_mode_16_64 0
		.amdhsa_float_denorm_mode_32 3
		.amdhsa_float_denorm_mode_16_64 3
		.amdhsa_dx10_clamp 1
		.amdhsa_ieee_mode 1
		.amdhsa_fp16_overflow 0
		.amdhsa_tg_split 0
		.amdhsa_exception_fp_ieee_invalid_op 0
		.amdhsa_exception_fp_denorm_src 0
		.amdhsa_exception_fp_ieee_div_zero 0
		.amdhsa_exception_fp_ieee_overflow 0
		.amdhsa_exception_fp_ieee_underflow 0
		.amdhsa_exception_fp_ieee_inexact 0
		.amdhsa_exception_int_div_zero 0
	.end_amdhsa_kernel
	.section	.text._ZN7rocprim17ROCPRIM_400000_NS6detail17trampoline_kernelINS0_13kernel_configILj256ELj4ELj4294967295EEENS1_37radix_sort_block_sort_config_selectorIjNS0_10empty_typeEEEZNS1_21radix_sort_block_sortIS4_Lb0EN6thrust23THRUST_200600_302600_NS6detail15normal_iteratorINSA_10device_ptrIjEEEESF_PS6_SG_NS0_19identity_decomposerEEE10hipError_tT1_T2_T3_T4_jRjT5_jjP12ihipStream_tbEUlT_E_NS1_11comp_targetILNS1_3genE0ELNS1_11target_archE4294967295ELNS1_3gpuE0ELNS1_3repE0EEENS1_44radix_sort_block_sort_config_static_selectorELNS0_4arch9wavefront6targetE1EEEvSJ_,"axG",@progbits,_ZN7rocprim17ROCPRIM_400000_NS6detail17trampoline_kernelINS0_13kernel_configILj256ELj4ELj4294967295EEENS1_37radix_sort_block_sort_config_selectorIjNS0_10empty_typeEEEZNS1_21radix_sort_block_sortIS4_Lb0EN6thrust23THRUST_200600_302600_NS6detail15normal_iteratorINSA_10device_ptrIjEEEESF_PS6_SG_NS0_19identity_decomposerEEE10hipError_tT1_T2_T3_T4_jRjT5_jjP12ihipStream_tbEUlT_E_NS1_11comp_targetILNS1_3genE0ELNS1_11target_archE4294967295ELNS1_3gpuE0ELNS1_3repE0EEENS1_44radix_sort_block_sort_config_static_selectorELNS0_4arch9wavefront6targetE1EEEvSJ_,comdat
.Lfunc_end951:
	.size	_ZN7rocprim17ROCPRIM_400000_NS6detail17trampoline_kernelINS0_13kernel_configILj256ELj4ELj4294967295EEENS1_37radix_sort_block_sort_config_selectorIjNS0_10empty_typeEEEZNS1_21radix_sort_block_sortIS4_Lb0EN6thrust23THRUST_200600_302600_NS6detail15normal_iteratorINSA_10device_ptrIjEEEESF_PS6_SG_NS0_19identity_decomposerEEE10hipError_tT1_T2_T3_T4_jRjT5_jjP12ihipStream_tbEUlT_E_NS1_11comp_targetILNS1_3genE0ELNS1_11target_archE4294967295ELNS1_3gpuE0ELNS1_3repE0EEENS1_44radix_sort_block_sort_config_static_selectorELNS0_4arch9wavefront6targetE1EEEvSJ_, .Lfunc_end951-_ZN7rocprim17ROCPRIM_400000_NS6detail17trampoline_kernelINS0_13kernel_configILj256ELj4ELj4294967295EEENS1_37radix_sort_block_sort_config_selectorIjNS0_10empty_typeEEEZNS1_21radix_sort_block_sortIS4_Lb0EN6thrust23THRUST_200600_302600_NS6detail15normal_iteratorINSA_10device_ptrIjEEEESF_PS6_SG_NS0_19identity_decomposerEEE10hipError_tT1_T2_T3_T4_jRjT5_jjP12ihipStream_tbEUlT_E_NS1_11comp_targetILNS1_3genE0ELNS1_11target_archE4294967295ELNS1_3gpuE0ELNS1_3repE0EEENS1_44radix_sort_block_sort_config_static_selectorELNS0_4arch9wavefront6targetE1EEEvSJ_
                                        ; -- End function
	.section	.AMDGPU.csdata,"",@progbits
; Kernel info:
; codeLenInByte = 0
; NumSgprs: 4
; NumVgprs: 0
; NumAgprs: 0
; TotalNumVgprs: 0
; ScratchSize: 0
; MemoryBound: 0
; FloatMode: 240
; IeeeMode: 1
; LDSByteSize: 0 bytes/workgroup (compile time only)
; SGPRBlocks: 0
; VGPRBlocks: 0
; NumSGPRsForWavesPerEU: 4
; NumVGPRsForWavesPerEU: 1
; AccumOffset: 4
; Occupancy: 8
; WaveLimiterHint : 0
; COMPUTE_PGM_RSRC2:SCRATCH_EN: 0
; COMPUTE_PGM_RSRC2:USER_SGPR: 6
; COMPUTE_PGM_RSRC2:TRAP_HANDLER: 0
; COMPUTE_PGM_RSRC2:TGID_X_EN: 1
; COMPUTE_PGM_RSRC2:TGID_Y_EN: 0
; COMPUTE_PGM_RSRC2:TGID_Z_EN: 0
; COMPUTE_PGM_RSRC2:TIDIG_COMP_CNT: 0
; COMPUTE_PGM_RSRC3_GFX90A:ACCUM_OFFSET: 0
; COMPUTE_PGM_RSRC3_GFX90A:TG_SPLIT: 0
	.section	.text._ZN7rocprim17ROCPRIM_400000_NS6detail17trampoline_kernelINS0_13kernel_configILj256ELj4ELj4294967295EEENS1_37radix_sort_block_sort_config_selectorIjNS0_10empty_typeEEEZNS1_21radix_sort_block_sortIS4_Lb0EN6thrust23THRUST_200600_302600_NS6detail15normal_iteratorINSA_10device_ptrIjEEEESF_PS6_SG_NS0_19identity_decomposerEEE10hipError_tT1_T2_T3_T4_jRjT5_jjP12ihipStream_tbEUlT_E_NS1_11comp_targetILNS1_3genE5ELNS1_11target_archE942ELNS1_3gpuE9ELNS1_3repE0EEENS1_44radix_sort_block_sort_config_static_selectorELNS0_4arch9wavefront6targetE1EEEvSJ_,"axG",@progbits,_ZN7rocprim17ROCPRIM_400000_NS6detail17trampoline_kernelINS0_13kernel_configILj256ELj4ELj4294967295EEENS1_37radix_sort_block_sort_config_selectorIjNS0_10empty_typeEEEZNS1_21radix_sort_block_sortIS4_Lb0EN6thrust23THRUST_200600_302600_NS6detail15normal_iteratorINSA_10device_ptrIjEEEESF_PS6_SG_NS0_19identity_decomposerEEE10hipError_tT1_T2_T3_T4_jRjT5_jjP12ihipStream_tbEUlT_E_NS1_11comp_targetILNS1_3genE5ELNS1_11target_archE942ELNS1_3gpuE9ELNS1_3repE0EEENS1_44radix_sort_block_sort_config_static_selectorELNS0_4arch9wavefront6targetE1EEEvSJ_,comdat
	.protected	_ZN7rocprim17ROCPRIM_400000_NS6detail17trampoline_kernelINS0_13kernel_configILj256ELj4ELj4294967295EEENS1_37radix_sort_block_sort_config_selectorIjNS0_10empty_typeEEEZNS1_21radix_sort_block_sortIS4_Lb0EN6thrust23THRUST_200600_302600_NS6detail15normal_iteratorINSA_10device_ptrIjEEEESF_PS6_SG_NS0_19identity_decomposerEEE10hipError_tT1_T2_T3_T4_jRjT5_jjP12ihipStream_tbEUlT_E_NS1_11comp_targetILNS1_3genE5ELNS1_11target_archE942ELNS1_3gpuE9ELNS1_3repE0EEENS1_44radix_sort_block_sort_config_static_selectorELNS0_4arch9wavefront6targetE1EEEvSJ_ ; -- Begin function _ZN7rocprim17ROCPRIM_400000_NS6detail17trampoline_kernelINS0_13kernel_configILj256ELj4ELj4294967295EEENS1_37radix_sort_block_sort_config_selectorIjNS0_10empty_typeEEEZNS1_21radix_sort_block_sortIS4_Lb0EN6thrust23THRUST_200600_302600_NS6detail15normal_iteratorINSA_10device_ptrIjEEEESF_PS6_SG_NS0_19identity_decomposerEEE10hipError_tT1_T2_T3_T4_jRjT5_jjP12ihipStream_tbEUlT_E_NS1_11comp_targetILNS1_3genE5ELNS1_11target_archE942ELNS1_3gpuE9ELNS1_3repE0EEENS1_44radix_sort_block_sort_config_static_selectorELNS0_4arch9wavefront6targetE1EEEvSJ_
	.globl	_ZN7rocprim17ROCPRIM_400000_NS6detail17trampoline_kernelINS0_13kernel_configILj256ELj4ELj4294967295EEENS1_37radix_sort_block_sort_config_selectorIjNS0_10empty_typeEEEZNS1_21radix_sort_block_sortIS4_Lb0EN6thrust23THRUST_200600_302600_NS6detail15normal_iteratorINSA_10device_ptrIjEEEESF_PS6_SG_NS0_19identity_decomposerEEE10hipError_tT1_T2_T3_T4_jRjT5_jjP12ihipStream_tbEUlT_E_NS1_11comp_targetILNS1_3genE5ELNS1_11target_archE942ELNS1_3gpuE9ELNS1_3repE0EEENS1_44radix_sort_block_sort_config_static_selectorELNS0_4arch9wavefront6targetE1EEEvSJ_
	.p2align	8
	.type	_ZN7rocprim17ROCPRIM_400000_NS6detail17trampoline_kernelINS0_13kernel_configILj256ELj4ELj4294967295EEENS1_37radix_sort_block_sort_config_selectorIjNS0_10empty_typeEEEZNS1_21radix_sort_block_sortIS4_Lb0EN6thrust23THRUST_200600_302600_NS6detail15normal_iteratorINSA_10device_ptrIjEEEESF_PS6_SG_NS0_19identity_decomposerEEE10hipError_tT1_T2_T3_T4_jRjT5_jjP12ihipStream_tbEUlT_E_NS1_11comp_targetILNS1_3genE5ELNS1_11target_archE942ELNS1_3gpuE9ELNS1_3repE0EEENS1_44radix_sort_block_sort_config_static_selectorELNS0_4arch9wavefront6targetE1EEEvSJ_,@function
_ZN7rocprim17ROCPRIM_400000_NS6detail17trampoline_kernelINS0_13kernel_configILj256ELj4ELj4294967295EEENS1_37radix_sort_block_sort_config_selectorIjNS0_10empty_typeEEEZNS1_21radix_sort_block_sortIS4_Lb0EN6thrust23THRUST_200600_302600_NS6detail15normal_iteratorINSA_10device_ptrIjEEEESF_PS6_SG_NS0_19identity_decomposerEEE10hipError_tT1_T2_T3_T4_jRjT5_jjP12ihipStream_tbEUlT_E_NS1_11comp_targetILNS1_3genE5ELNS1_11target_archE942ELNS1_3gpuE9ELNS1_3repE0EEENS1_44radix_sort_block_sort_config_static_selectorELNS0_4arch9wavefront6targetE1EEEvSJ_: ; @_ZN7rocprim17ROCPRIM_400000_NS6detail17trampoline_kernelINS0_13kernel_configILj256ELj4ELj4294967295EEENS1_37radix_sort_block_sort_config_selectorIjNS0_10empty_typeEEEZNS1_21radix_sort_block_sortIS4_Lb0EN6thrust23THRUST_200600_302600_NS6detail15normal_iteratorINSA_10device_ptrIjEEEESF_PS6_SG_NS0_19identity_decomposerEEE10hipError_tT1_T2_T3_T4_jRjT5_jjP12ihipStream_tbEUlT_E_NS1_11comp_targetILNS1_3genE5ELNS1_11target_archE942ELNS1_3gpuE9ELNS1_3repE0EEENS1_44radix_sort_block_sort_config_static_selectorELNS0_4arch9wavefront6targetE1EEEvSJ_
; %bb.0:
	.section	.rodata,"a",@progbits
	.p2align	6, 0x0
	.amdhsa_kernel _ZN7rocprim17ROCPRIM_400000_NS6detail17trampoline_kernelINS0_13kernel_configILj256ELj4ELj4294967295EEENS1_37radix_sort_block_sort_config_selectorIjNS0_10empty_typeEEEZNS1_21radix_sort_block_sortIS4_Lb0EN6thrust23THRUST_200600_302600_NS6detail15normal_iteratorINSA_10device_ptrIjEEEESF_PS6_SG_NS0_19identity_decomposerEEE10hipError_tT1_T2_T3_T4_jRjT5_jjP12ihipStream_tbEUlT_E_NS1_11comp_targetILNS1_3genE5ELNS1_11target_archE942ELNS1_3gpuE9ELNS1_3repE0EEENS1_44radix_sort_block_sort_config_static_selectorELNS0_4arch9wavefront6targetE1EEEvSJ_
		.amdhsa_group_segment_fixed_size 0
		.amdhsa_private_segment_fixed_size 0
		.amdhsa_kernarg_size 48
		.amdhsa_user_sgpr_count 6
		.amdhsa_user_sgpr_private_segment_buffer 1
		.amdhsa_user_sgpr_dispatch_ptr 0
		.amdhsa_user_sgpr_queue_ptr 0
		.amdhsa_user_sgpr_kernarg_segment_ptr 1
		.amdhsa_user_sgpr_dispatch_id 0
		.amdhsa_user_sgpr_flat_scratch_init 0
		.amdhsa_user_sgpr_kernarg_preload_length 0
		.amdhsa_user_sgpr_kernarg_preload_offset 0
		.amdhsa_user_sgpr_private_segment_size 0
		.amdhsa_uses_dynamic_stack 0
		.amdhsa_system_sgpr_private_segment_wavefront_offset 0
		.amdhsa_system_sgpr_workgroup_id_x 1
		.amdhsa_system_sgpr_workgroup_id_y 0
		.amdhsa_system_sgpr_workgroup_id_z 0
		.amdhsa_system_sgpr_workgroup_info 0
		.amdhsa_system_vgpr_workitem_id 0
		.amdhsa_next_free_vgpr 1
		.amdhsa_next_free_sgpr 0
		.amdhsa_accum_offset 4
		.amdhsa_reserve_vcc 0
		.amdhsa_reserve_flat_scratch 0
		.amdhsa_float_round_mode_32 0
		.amdhsa_float_round_mode_16_64 0
		.amdhsa_float_denorm_mode_32 3
		.amdhsa_float_denorm_mode_16_64 3
		.amdhsa_dx10_clamp 1
		.amdhsa_ieee_mode 1
		.amdhsa_fp16_overflow 0
		.amdhsa_tg_split 0
		.amdhsa_exception_fp_ieee_invalid_op 0
		.amdhsa_exception_fp_denorm_src 0
		.amdhsa_exception_fp_ieee_div_zero 0
		.amdhsa_exception_fp_ieee_overflow 0
		.amdhsa_exception_fp_ieee_underflow 0
		.amdhsa_exception_fp_ieee_inexact 0
		.amdhsa_exception_int_div_zero 0
	.end_amdhsa_kernel
	.section	.text._ZN7rocprim17ROCPRIM_400000_NS6detail17trampoline_kernelINS0_13kernel_configILj256ELj4ELj4294967295EEENS1_37radix_sort_block_sort_config_selectorIjNS0_10empty_typeEEEZNS1_21radix_sort_block_sortIS4_Lb0EN6thrust23THRUST_200600_302600_NS6detail15normal_iteratorINSA_10device_ptrIjEEEESF_PS6_SG_NS0_19identity_decomposerEEE10hipError_tT1_T2_T3_T4_jRjT5_jjP12ihipStream_tbEUlT_E_NS1_11comp_targetILNS1_3genE5ELNS1_11target_archE942ELNS1_3gpuE9ELNS1_3repE0EEENS1_44radix_sort_block_sort_config_static_selectorELNS0_4arch9wavefront6targetE1EEEvSJ_,"axG",@progbits,_ZN7rocprim17ROCPRIM_400000_NS6detail17trampoline_kernelINS0_13kernel_configILj256ELj4ELj4294967295EEENS1_37radix_sort_block_sort_config_selectorIjNS0_10empty_typeEEEZNS1_21radix_sort_block_sortIS4_Lb0EN6thrust23THRUST_200600_302600_NS6detail15normal_iteratorINSA_10device_ptrIjEEEESF_PS6_SG_NS0_19identity_decomposerEEE10hipError_tT1_T2_T3_T4_jRjT5_jjP12ihipStream_tbEUlT_E_NS1_11comp_targetILNS1_3genE5ELNS1_11target_archE942ELNS1_3gpuE9ELNS1_3repE0EEENS1_44radix_sort_block_sort_config_static_selectorELNS0_4arch9wavefront6targetE1EEEvSJ_,comdat
.Lfunc_end952:
	.size	_ZN7rocprim17ROCPRIM_400000_NS6detail17trampoline_kernelINS0_13kernel_configILj256ELj4ELj4294967295EEENS1_37radix_sort_block_sort_config_selectorIjNS0_10empty_typeEEEZNS1_21radix_sort_block_sortIS4_Lb0EN6thrust23THRUST_200600_302600_NS6detail15normal_iteratorINSA_10device_ptrIjEEEESF_PS6_SG_NS0_19identity_decomposerEEE10hipError_tT1_T2_T3_T4_jRjT5_jjP12ihipStream_tbEUlT_E_NS1_11comp_targetILNS1_3genE5ELNS1_11target_archE942ELNS1_3gpuE9ELNS1_3repE0EEENS1_44radix_sort_block_sort_config_static_selectorELNS0_4arch9wavefront6targetE1EEEvSJ_, .Lfunc_end952-_ZN7rocprim17ROCPRIM_400000_NS6detail17trampoline_kernelINS0_13kernel_configILj256ELj4ELj4294967295EEENS1_37radix_sort_block_sort_config_selectorIjNS0_10empty_typeEEEZNS1_21radix_sort_block_sortIS4_Lb0EN6thrust23THRUST_200600_302600_NS6detail15normal_iteratorINSA_10device_ptrIjEEEESF_PS6_SG_NS0_19identity_decomposerEEE10hipError_tT1_T2_T3_T4_jRjT5_jjP12ihipStream_tbEUlT_E_NS1_11comp_targetILNS1_3genE5ELNS1_11target_archE942ELNS1_3gpuE9ELNS1_3repE0EEENS1_44radix_sort_block_sort_config_static_selectorELNS0_4arch9wavefront6targetE1EEEvSJ_
                                        ; -- End function
	.section	.AMDGPU.csdata,"",@progbits
; Kernel info:
; codeLenInByte = 0
; NumSgprs: 4
; NumVgprs: 0
; NumAgprs: 0
; TotalNumVgprs: 0
; ScratchSize: 0
; MemoryBound: 0
; FloatMode: 240
; IeeeMode: 1
; LDSByteSize: 0 bytes/workgroup (compile time only)
; SGPRBlocks: 0
; VGPRBlocks: 0
; NumSGPRsForWavesPerEU: 4
; NumVGPRsForWavesPerEU: 1
; AccumOffset: 4
; Occupancy: 8
; WaveLimiterHint : 0
; COMPUTE_PGM_RSRC2:SCRATCH_EN: 0
; COMPUTE_PGM_RSRC2:USER_SGPR: 6
; COMPUTE_PGM_RSRC2:TRAP_HANDLER: 0
; COMPUTE_PGM_RSRC2:TGID_X_EN: 1
; COMPUTE_PGM_RSRC2:TGID_Y_EN: 0
; COMPUTE_PGM_RSRC2:TGID_Z_EN: 0
; COMPUTE_PGM_RSRC2:TIDIG_COMP_CNT: 0
; COMPUTE_PGM_RSRC3_GFX90A:ACCUM_OFFSET: 0
; COMPUTE_PGM_RSRC3_GFX90A:TG_SPLIT: 0
	.section	.text._ZN7rocprim17ROCPRIM_400000_NS6detail17trampoline_kernelINS0_13kernel_configILj256ELj4ELj4294967295EEENS1_37radix_sort_block_sort_config_selectorIjNS0_10empty_typeEEEZNS1_21radix_sort_block_sortIS4_Lb0EN6thrust23THRUST_200600_302600_NS6detail15normal_iteratorINSA_10device_ptrIjEEEESF_PS6_SG_NS0_19identity_decomposerEEE10hipError_tT1_T2_T3_T4_jRjT5_jjP12ihipStream_tbEUlT_E_NS1_11comp_targetILNS1_3genE4ELNS1_11target_archE910ELNS1_3gpuE8ELNS1_3repE0EEENS1_44radix_sort_block_sort_config_static_selectorELNS0_4arch9wavefront6targetE1EEEvSJ_,"axG",@progbits,_ZN7rocprim17ROCPRIM_400000_NS6detail17trampoline_kernelINS0_13kernel_configILj256ELj4ELj4294967295EEENS1_37radix_sort_block_sort_config_selectorIjNS0_10empty_typeEEEZNS1_21radix_sort_block_sortIS4_Lb0EN6thrust23THRUST_200600_302600_NS6detail15normal_iteratorINSA_10device_ptrIjEEEESF_PS6_SG_NS0_19identity_decomposerEEE10hipError_tT1_T2_T3_T4_jRjT5_jjP12ihipStream_tbEUlT_E_NS1_11comp_targetILNS1_3genE4ELNS1_11target_archE910ELNS1_3gpuE8ELNS1_3repE0EEENS1_44radix_sort_block_sort_config_static_selectorELNS0_4arch9wavefront6targetE1EEEvSJ_,comdat
	.protected	_ZN7rocprim17ROCPRIM_400000_NS6detail17trampoline_kernelINS0_13kernel_configILj256ELj4ELj4294967295EEENS1_37radix_sort_block_sort_config_selectorIjNS0_10empty_typeEEEZNS1_21radix_sort_block_sortIS4_Lb0EN6thrust23THRUST_200600_302600_NS6detail15normal_iteratorINSA_10device_ptrIjEEEESF_PS6_SG_NS0_19identity_decomposerEEE10hipError_tT1_T2_T3_T4_jRjT5_jjP12ihipStream_tbEUlT_E_NS1_11comp_targetILNS1_3genE4ELNS1_11target_archE910ELNS1_3gpuE8ELNS1_3repE0EEENS1_44radix_sort_block_sort_config_static_selectorELNS0_4arch9wavefront6targetE1EEEvSJ_ ; -- Begin function _ZN7rocprim17ROCPRIM_400000_NS6detail17trampoline_kernelINS0_13kernel_configILj256ELj4ELj4294967295EEENS1_37radix_sort_block_sort_config_selectorIjNS0_10empty_typeEEEZNS1_21radix_sort_block_sortIS4_Lb0EN6thrust23THRUST_200600_302600_NS6detail15normal_iteratorINSA_10device_ptrIjEEEESF_PS6_SG_NS0_19identity_decomposerEEE10hipError_tT1_T2_T3_T4_jRjT5_jjP12ihipStream_tbEUlT_E_NS1_11comp_targetILNS1_3genE4ELNS1_11target_archE910ELNS1_3gpuE8ELNS1_3repE0EEENS1_44radix_sort_block_sort_config_static_selectorELNS0_4arch9wavefront6targetE1EEEvSJ_
	.globl	_ZN7rocprim17ROCPRIM_400000_NS6detail17trampoline_kernelINS0_13kernel_configILj256ELj4ELj4294967295EEENS1_37radix_sort_block_sort_config_selectorIjNS0_10empty_typeEEEZNS1_21radix_sort_block_sortIS4_Lb0EN6thrust23THRUST_200600_302600_NS6detail15normal_iteratorINSA_10device_ptrIjEEEESF_PS6_SG_NS0_19identity_decomposerEEE10hipError_tT1_T2_T3_T4_jRjT5_jjP12ihipStream_tbEUlT_E_NS1_11comp_targetILNS1_3genE4ELNS1_11target_archE910ELNS1_3gpuE8ELNS1_3repE0EEENS1_44radix_sort_block_sort_config_static_selectorELNS0_4arch9wavefront6targetE1EEEvSJ_
	.p2align	8
	.type	_ZN7rocprim17ROCPRIM_400000_NS6detail17trampoline_kernelINS0_13kernel_configILj256ELj4ELj4294967295EEENS1_37radix_sort_block_sort_config_selectorIjNS0_10empty_typeEEEZNS1_21radix_sort_block_sortIS4_Lb0EN6thrust23THRUST_200600_302600_NS6detail15normal_iteratorINSA_10device_ptrIjEEEESF_PS6_SG_NS0_19identity_decomposerEEE10hipError_tT1_T2_T3_T4_jRjT5_jjP12ihipStream_tbEUlT_E_NS1_11comp_targetILNS1_3genE4ELNS1_11target_archE910ELNS1_3gpuE8ELNS1_3repE0EEENS1_44radix_sort_block_sort_config_static_selectorELNS0_4arch9wavefront6targetE1EEEvSJ_,@function
_ZN7rocprim17ROCPRIM_400000_NS6detail17trampoline_kernelINS0_13kernel_configILj256ELj4ELj4294967295EEENS1_37radix_sort_block_sort_config_selectorIjNS0_10empty_typeEEEZNS1_21radix_sort_block_sortIS4_Lb0EN6thrust23THRUST_200600_302600_NS6detail15normal_iteratorINSA_10device_ptrIjEEEESF_PS6_SG_NS0_19identity_decomposerEEE10hipError_tT1_T2_T3_T4_jRjT5_jjP12ihipStream_tbEUlT_E_NS1_11comp_targetILNS1_3genE4ELNS1_11target_archE910ELNS1_3gpuE8ELNS1_3repE0EEENS1_44radix_sort_block_sort_config_static_selectorELNS0_4arch9wavefront6targetE1EEEvSJ_: ; @_ZN7rocprim17ROCPRIM_400000_NS6detail17trampoline_kernelINS0_13kernel_configILj256ELj4ELj4294967295EEENS1_37radix_sort_block_sort_config_selectorIjNS0_10empty_typeEEEZNS1_21radix_sort_block_sortIS4_Lb0EN6thrust23THRUST_200600_302600_NS6detail15normal_iteratorINSA_10device_ptrIjEEEESF_PS6_SG_NS0_19identity_decomposerEEE10hipError_tT1_T2_T3_T4_jRjT5_jjP12ihipStream_tbEUlT_E_NS1_11comp_targetILNS1_3genE4ELNS1_11target_archE910ELNS1_3gpuE8ELNS1_3repE0EEENS1_44radix_sort_block_sort_config_static_selectorELNS0_4arch9wavefront6targetE1EEEvSJ_
; %bb.0:
	s_load_dword s7, s[4:5], 0x20
	s_load_dwordx4 s[28:31], s[4:5], 0x0
	s_lshl_b32 s0, s6, 10
	s_mov_b32 s1, 0
	v_mbcnt_lo_u32_b32 v1, -1, 0
	s_waitcnt lgkmcnt(0)
	s_lshr_b32 s2, s7, 10
	s_cmp_lg_u32 s6, s2
	s_cselect_b64 s[34:35], -1, 0
	s_lshl_b64 s[36:37], s[0:1], 2
	v_mbcnt_hi_u32_b32 v1, -1, v1
	v_and_b32_e32 v8, 0x3ff, v0
	s_add_u32 s1, s28, s36
	v_and_b32_e32 v10, 63, v1
	s_addc_u32 s3, s29, s37
	v_lshlrev_b32_e32 v9, 2, v8
	v_lshlrev_b32_e32 v2, 2, v10
	v_and_b32_e32 v11, 0x300, v9
	v_mov_b32_e32 v3, s3
	v_add_co_u32_e32 v2, vcc, s1, v2
	v_addc_co_u32_e32 v3, vcc, 0, v3, vcc
	v_lshlrev_b32_e32 v4, 2, v11
	v_add_co_u32_e32 v2, vcc, v2, v4
	s_cmp_eq_u32 s6, s2
	v_addc_co_u32_e32 v3, vcc, 0, v3, vcc
	v_or_b32_e32 v12, v10, v11
	s_cbranch_scc1 .LBB953_2
; %bb.1:
	global_load_dword v4, v[2:3], off
	global_load_dword v5, v[2:3], off offset:256
	global_load_dword v6, v[2:3], off offset:512
	;; [unrolled: 1-line block ×3, first 2 shown]
	v_or_b32_e32 v14, v10, v11
	v_or_b32_e32 v10, 64, v14
	;; [unrolled: 1-line block ×4, first 2 shown]
	s_load_dwordx2 s[28:29], s[4:5], 0x28
	s_sub_i32 s33, s7, s0
	s_cbranch_execz .LBB953_3
	s_branch .LBB953_12
.LBB953_2:
                                        ; implicit-def: $vgpr4_vgpr5_vgpr6_vgpr7
                                        ; implicit-def: $vgpr14
                                        ; implicit-def: $vgpr10
                                        ; implicit-def: $vgpr11
                                        ; implicit-def: $vgpr13
	s_load_dwordx2 s[28:29], s[4:5], 0x28
	s_sub_i32 s33, s7, s0
.LBB953_3:
	s_mov_b32 s0, -1
	s_mov_b32 s2, s0
	s_mov_b32 s3, s0
	;; [unrolled: 1-line block ×3, first 2 shown]
	s_waitcnt vmcnt(0)
	v_pk_mov_b32 v[6:7], s[2:3], s[2:3] op_sel:[0,1]
	v_cmp_gt_u32_e32 vcc, s33, v12
	v_pk_mov_b32 v[4:5], s[0:1], s[0:1] op_sel:[0,1]
	s_and_saveexec_b64 s[0:1], vcc
	s_cbranch_execz .LBB953_5
; %bb.4:
	global_load_dword v4, v[2:3], off
	v_mov_b32_e32 v5, -1
	v_mov_b32_e32 v6, v5
	v_mov_b32_e32 v7, v5
.LBB953_5:
	s_or_b64 exec, exec, s[0:1]
	v_or_b32_e32 v10, 64, v12
	v_cmp_gt_u32_e32 vcc, s33, v10
	s_and_saveexec_b64 s[0:1], vcc
	s_cbranch_execz .LBB953_7
; %bb.6:
	global_load_dword v5, v[2:3], off offset:256
.LBB953_7:
	s_or_b64 exec, exec, s[0:1]
	v_or_b32_e32 v11, 0x80, v12
	v_cmp_gt_u32_e32 vcc, s33, v11
	s_and_saveexec_b64 s[0:1], vcc
	s_cbranch_execz .LBB953_9
; %bb.8:
	global_load_dword v6, v[2:3], off offset:512
.LBB953_9:
	s_or_b64 exec, exec, s[0:1]
	v_or_b32_e32 v13, 0xc0, v12
	v_cmp_gt_u32_e32 vcc, s33, v13
	s_and_saveexec_b64 s[0:1], vcc
	s_cbranch_execz .LBB953_11
; %bb.10:
	global_load_dword v7, v[2:3], off offset:768
.LBB953_11:
	s_or_b64 exec, exec, s[0:1]
	v_mov_b32_e32 v14, v12
.LBB953_12:
	s_load_dword s2, s[4:5], 0x3c
	s_waitcnt lgkmcnt(0)
	s_add_i32 s38, s29, s28
	s_getpc_b64 s[0:1]
	s_add_u32 s0, s0, _ZN7rocprim17ROCPRIM_400000_NS16block_radix_sortIjLj256ELj4ENS0_10empty_typeELj1ELj1ELj0ELNS0_26block_radix_rank_algorithmE1ELNS0_18block_padding_hintE2ELNS0_4arch9wavefront6targetE1EE19radix_bits_per_passE@rel32@lo+4
	s_addc_u32 s1, s1, _ZN7rocprim17ROCPRIM_400000_NS16block_radix_sortIjLj256ELj4ENS0_10empty_typeELj1ELj1ELj0ELNS0_26block_radix_rank_algorithmE1ELNS0_18block_padding_hintE2ELNS0_4arch9wavefront6targetE1EE19radix_bits_per_passE@rel32@hi+12
	s_load_dword s39, s[0:1], 0x0
	v_bfe_u32 v2, v0, 10, 10
	s_lshr_b32 s0, s2, 16
	v_bfe_u32 v0, v0, 20, 10
	s_and_b32 s1, s2, 0xffff
	v_mad_u32_u24 v0, v0, s0, v2
	v_mad_u64_u32 v[2:3], s[0:1], v0, s1, v[8:9]
	v_and_b32_e32 v0, 15, v1
	v_cmp_eq_u32_e64 s[0:1], 0, v0
	v_cmp_lt_u32_e64 s[2:3], 1, v0
	v_cmp_lt_u32_e64 s[4:5], 3, v0
	;; [unrolled: 1-line block ×3, first 2 shown]
	v_and_b32_e32 v0, 16, v1
	v_cmp_eq_u32_e64 s[8:9], 0, v0
	v_and_b32_e32 v0, 0x3c0, v8
	v_min_u32_e32 v0, 0xc0, v0
	v_or_b32_e32 v0, 63, v0
	v_lshrrev_b32_e32 v17, 6, v2
	v_cmp_eq_u32_e64 s[12:13], v0, v8
	v_add_u32_e32 v0, -1, v1
	v_and_b32_e32 v2, 64, v1
	v_cmp_lt_i32_e32 vcc, v0, v2
	v_cndmask_b32_e32 v0, v0, v1, vcc
	s_mov_b32 s26, 0
	v_lshlrev_b32_e32 v19, 2, v0
	v_lshrrev_b32_e32 v0, 4, v8
	v_and_b32_e32 v20, 60, v0
	v_and_b32_e32 v0, 3, v1
	s_mov_b32 s27, s26
	s_mov_b32 s40, s26
	;; [unrolled: 1-line block ×3, first 2 shown]
	v_lshlrev_b32_e32 v16, 2, v9
	v_cmp_lt_u32_e64 s[10:11], 31, v1
	v_cmp_gt_u32_e64 s[14:15], 4, v8
	v_cmp_lt_u32_e64 s[16:17], 63, v8
	v_cmp_eq_u32_e64 s[18:19], 0, v1
	v_cmp_eq_u32_e64 s[20:21], 0, v8
	v_mul_i32_i24_e32 v18, -12, v8
	v_cmp_eq_u32_e64 s[22:23], 0, v0
	v_cmp_lt_u32_e64 s[24:25], 1, v0
	v_add_u32_e32 v21, -4, v20
	v_lshlrev_b32_e32 v22, 2, v14
	v_lshlrev_b32_e32 v23, 2, v10
	;; [unrolled: 1-line block ×4, first 2 shown]
	v_pk_mov_b32 v[10:11], s[26:27], s[26:27] op_sel:[0,1]
	v_pk_mov_b32 v[12:13], s[40:41], s[40:41] op_sel:[0,1]
	v_mov_b32_e32 v14, 0
	s_branch .LBB953_14
.LBB953_13:                             ;   in Loop: Header=BB953_14 Depth=1
	s_barrier
	ds_write_b32 v26, v0
	ds_write_b32 v27, v1
	;; [unrolled: 1-line block ×4, first 2 shown]
	s_waitcnt lgkmcnt(0)
	s_barrier
	ds_read_b32 v4, v22
	ds_read_b32 v5, v23
	ds_read_b32 v6, v24
	ds_read_b32 v7, v25
	s_add_i32 s29, s29, -8
	s_waitcnt lgkmcnt(0)
	s_barrier
	s_cbranch_execz .LBB953_30
.LBB953_14:                             ; =>This Inner Loop Header: Depth=1
	s_waitcnt lgkmcnt(0)
	s_min_u32 s26, s39, s29
	s_waitcnt vmcnt(0)
	v_pk_mov_b32 v[0:1], v[4:5], v[4:5] op_sel:[0,1]
	s_lshl_b32 s26, -1, s26
	v_pk_mov_b32 v[2:3], v[6:7], v[6:7] op_sel:[0,1]
	s_not_b32 s40, s26
	v_lshrrev_b32_e32 v4, s28, v0
	v_and_b32_e32 v4, s40, v4
	v_lshl_add_u32 v5, v4, 2, v17
	v_lshl_add_u32 v26, v5, 2, 16
	v_and_b32_e32 v5, 1, v4
	v_add_co_u32_e32 v6, vcc, -1, v5
	v_addc_co_u32_e64 v7, s[26:27], 0, -1, vcc
	v_cmp_ne_u32_e32 vcc, 0, v5
	v_lshlrev_b32_e32 v15, 30, v4
	v_xor_b32_e32 v5, vcc_hi, v7
	v_not_b32_e32 v7, v15
	v_xor_b32_e32 v6, vcc_lo, v6
	v_cmp_gt_i64_e32 vcc, 0, v[14:15]
	v_ashrrev_i32_e32 v7, 31, v7
	v_and_b32_e32 v5, exec_hi, v5
	v_xor_b32_e32 v15, vcc_hi, v7
	v_and_b32_e32 v6, exec_lo, v6
	v_xor_b32_e32 v7, vcc_lo, v7
	v_and_b32_e32 v5, v5, v15
	v_lshlrev_b32_e32 v15, 29, v4
	v_and_b32_e32 v6, v6, v7
	v_not_b32_e32 v7, v15
	v_cmp_gt_i64_e32 vcc, 0, v[14:15]
	v_ashrrev_i32_e32 v7, 31, v7
	v_xor_b32_e32 v15, vcc_hi, v7
	v_xor_b32_e32 v7, vcc_lo, v7
	v_and_b32_e32 v5, v5, v15
	v_lshlrev_b32_e32 v15, 28, v4
	v_and_b32_e32 v6, v6, v7
	v_not_b32_e32 v7, v15
	v_cmp_gt_i64_e32 vcc, 0, v[14:15]
	v_ashrrev_i32_e32 v7, 31, v7
	v_xor_b32_e32 v15, vcc_hi, v7
	;; [unrolled: 8-line block ×5, first 2 shown]
	v_and_b32_e32 v5, v5, v15
	v_lshlrev_b32_e32 v15, 24, v4
	v_not_b32_e32 v4, v15
	v_xor_b32_e32 v7, vcc_lo, v7
	v_cmp_gt_i64_e32 vcc, 0, v[14:15]
	v_ashrrev_i32_e32 v4, 31, v4
	v_and_b32_e32 v6, v6, v7
	v_xor_b32_e32 v7, vcc_hi, v4
	v_xor_b32_e32 v4, vcc_lo, v4
	v_and_b32_e32 v4, v6, v4
	v_and_b32_e32 v5, v5, v7
	v_mbcnt_lo_u32_b32 v6, v4, 0
	v_mbcnt_hi_u32_b32 v27, v5, v6
	v_cmp_eq_u32_e32 vcc, 0, v27
	v_cmp_ne_u64_e64 s[26:27], 0, v[4:5]
	s_and_b64 s[42:43], s[26:27], vcc
	ds_write2_b64 v16, v[10:11], v[12:13] offset0:2 offset1:3
	s_waitcnt lgkmcnt(0)
	s_barrier
	s_waitcnt lgkmcnt(0)
	; wave barrier
	s_and_saveexec_b64 s[26:27], s[42:43]
	s_cbranch_execz .LBB953_16
; %bb.15:                               ;   in Loop: Header=BB953_14 Depth=1
	v_bcnt_u32_b32 v4, v4, 0
	v_bcnt_u32_b32 v4, v5, v4
	ds_write_b32 v26, v4
.LBB953_16:                             ;   in Loop: Header=BB953_14 Depth=1
	s_or_b64 exec, exec, s[26:27]
	v_lshrrev_b32_e32 v4, s28, v1
	v_and_b32_e32 v4, s40, v4
	v_lshlrev_b32_e32 v5, 2, v4
	v_add_lshl_u32 v5, v5, v17, 2
	; wave barrier
	v_add_u32_e32 v29, 16, v5
	ds_read_b32 v28, v5 offset:16
	v_and_b32_e32 v5, 1, v4
	v_add_co_u32_e32 v6, vcc, -1, v5
	v_addc_co_u32_e64 v7, s[26:27], 0, -1, vcc
	v_cmp_ne_u32_e32 vcc, 0, v5
	v_lshlrev_b32_e32 v15, 30, v4
	v_xor_b32_e32 v5, vcc_hi, v7
	v_not_b32_e32 v7, v15
	v_xor_b32_e32 v6, vcc_lo, v6
	v_cmp_gt_i64_e32 vcc, 0, v[14:15]
	v_ashrrev_i32_e32 v7, 31, v7
	v_and_b32_e32 v5, exec_hi, v5
	v_xor_b32_e32 v15, vcc_hi, v7
	v_and_b32_e32 v6, exec_lo, v6
	v_xor_b32_e32 v7, vcc_lo, v7
	v_and_b32_e32 v5, v5, v15
	v_lshlrev_b32_e32 v15, 29, v4
	v_and_b32_e32 v6, v6, v7
	v_not_b32_e32 v7, v15
	v_cmp_gt_i64_e32 vcc, 0, v[14:15]
	v_ashrrev_i32_e32 v7, 31, v7
	v_xor_b32_e32 v15, vcc_hi, v7
	v_xor_b32_e32 v7, vcc_lo, v7
	v_and_b32_e32 v5, v5, v15
	v_lshlrev_b32_e32 v15, 28, v4
	v_and_b32_e32 v6, v6, v7
	v_not_b32_e32 v7, v15
	v_cmp_gt_i64_e32 vcc, 0, v[14:15]
	v_ashrrev_i32_e32 v7, 31, v7
	v_xor_b32_e32 v15, vcc_hi, v7
	;; [unrolled: 8-line block ×5, first 2 shown]
	v_and_b32_e32 v5, v5, v15
	v_lshlrev_b32_e32 v15, 24, v4
	v_not_b32_e32 v4, v15
	v_xor_b32_e32 v7, vcc_lo, v7
	v_cmp_gt_i64_e32 vcc, 0, v[14:15]
	v_ashrrev_i32_e32 v4, 31, v4
	v_and_b32_e32 v6, v6, v7
	v_xor_b32_e32 v7, vcc_hi, v4
	v_xor_b32_e32 v4, vcc_lo, v4
	v_and_b32_e32 v4, v6, v4
	v_and_b32_e32 v5, v5, v7
	v_mbcnt_lo_u32_b32 v6, v4, 0
	v_mbcnt_hi_u32_b32 v30, v5, v6
	v_cmp_eq_u32_e32 vcc, 0, v30
	v_cmp_ne_u64_e64 s[26:27], 0, v[4:5]
	s_and_b64 s[42:43], s[26:27], vcc
	; wave barrier
	s_and_saveexec_b64 s[26:27], s[42:43]
	s_cbranch_execz .LBB953_18
; %bb.17:                               ;   in Loop: Header=BB953_14 Depth=1
	v_bcnt_u32_b32 v4, v4, 0
	v_bcnt_u32_b32 v4, v5, v4
	s_waitcnt lgkmcnt(0)
	v_add_u32_e32 v4, v28, v4
	ds_write_b32 v29, v4
.LBB953_18:                             ;   in Loop: Header=BB953_14 Depth=1
	s_or_b64 exec, exec, s[26:27]
	v_lshrrev_b32_e32 v4, s28, v2
	v_and_b32_e32 v4, s40, v4
	v_lshlrev_b32_e32 v5, 2, v4
	v_add_lshl_u32 v5, v5, v17, 2
	; wave barrier
	v_add_u32_e32 v32, 16, v5
	ds_read_b32 v31, v5 offset:16
	v_and_b32_e32 v5, 1, v4
	v_add_co_u32_e32 v6, vcc, -1, v5
	v_addc_co_u32_e64 v7, s[26:27], 0, -1, vcc
	v_cmp_ne_u32_e32 vcc, 0, v5
	v_lshlrev_b32_e32 v15, 30, v4
	v_xor_b32_e32 v5, vcc_hi, v7
	v_not_b32_e32 v7, v15
	v_xor_b32_e32 v6, vcc_lo, v6
	v_cmp_gt_i64_e32 vcc, 0, v[14:15]
	v_ashrrev_i32_e32 v7, 31, v7
	v_and_b32_e32 v5, exec_hi, v5
	v_xor_b32_e32 v15, vcc_hi, v7
	v_and_b32_e32 v6, exec_lo, v6
	v_xor_b32_e32 v7, vcc_lo, v7
	v_and_b32_e32 v5, v5, v15
	v_lshlrev_b32_e32 v15, 29, v4
	v_and_b32_e32 v6, v6, v7
	v_not_b32_e32 v7, v15
	v_cmp_gt_i64_e32 vcc, 0, v[14:15]
	v_ashrrev_i32_e32 v7, 31, v7
	v_xor_b32_e32 v15, vcc_hi, v7
	v_xor_b32_e32 v7, vcc_lo, v7
	v_and_b32_e32 v5, v5, v15
	v_lshlrev_b32_e32 v15, 28, v4
	v_and_b32_e32 v6, v6, v7
	v_not_b32_e32 v7, v15
	v_cmp_gt_i64_e32 vcc, 0, v[14:15]
	v_ashrrev_i32_e32 v7, 31, v7
	v_xor_b32_e32 v15, vcc_hi, v7
	;; [unrolled: 8-line block ×5, first 2 shown]
	v_and_b32_e32 v5, v5, v15
	v_lshlrev_b32_e32 v15, 24, v4
	v_not_b32_e32 v4, v15
	v_xor_b32_e32 v7, vcc_lo, v7
	v_cmp_gt_i64_e32 vcc, 0, v[14:15]
	v_ashrrev_i32_e32 v4, 31, v4
	v_and_b32_e32 v6, v6, v7
	v_xor_b32_e32 v7, vcc_hi, v4
	v_xor_b32_e32 v4, vcc_lo, v4
	v_and_b32_e32 v4, v6, v4
	v_and_b32_e32 v5, v5, v7
	v_mbcnt_lo_u32_b32 v6, v4, 0
	v_mbcnt_hi_u32_b32 v33, v5, v6
	v_cmp_eq_u32_e32 vcc, 0, v33
	v_cmp_ne_u64_e64 s[26:27], 0, v[4:5]
	s_and_b64 s[42:43], s[26:27], vcc
	; wave barrier
	s_and_saveexec_b64 s[26:27], s[42:43]
	s_cbranch_execz .LBB953_20
; %bb.19:                               ;   in Loop: Header=BB953_14 Depth=1
	v_bcnt_u32_b32 v4, v4, 0
	v_bcnt_u32_b32 v4, v5, v4
	s_waitcnt lgkmcnt(0)
	v_add_u32_e32 v4, v31, v4
	ds_write_b32 v32, v4
.LBB953_20:                             ;   in Loop: Header=BB953_14 Depth=1
	s_or_b64 exec, exec, s[26:27]
	v_lshrrev_b32_e32 v4, s28, v3
	v_and_b32_e32 v4, s40, v4
	v_lshlrev_b32_e32 v5, 2, v4
	v_add_lshl_u32 v5, v5, v17, 2
	; wave barrier
	v_add_u32_e32 v35, 16, v5
	ds_read_b32 v34, v5 offset:16
	v_and_b32_e32 v5, 1, v4
	v_add_co_u32_e32 v6, vcc, -1, v5
	v_addc_co_u32_e64 v7, s[26:27], 0, -1, vcc
	v_cmp_ne_u32_e32 vcc, 0, v5
	v_lshlrev_b32_e32 v15, 30, v4
	v_xor_b32_e32 v5, vcc_hi, v7
	v_not_b32_e32 v7, v15
	v_xor_b32_e32 v6, vcc_lo, v6
	v_cmp_gt_i64_e32 vcc, 0, v[14:15]
	v_ashrrev_i32_e32 v7, 31, v7
	v_and_b32_e32 v5, exec_hi, v5
	v_xor_b32_e32 v15, vcc_hi, v7
	v_and_b32_e32 v6, exec_lo, v6
	v_xor_b32_e32 v7, vcc_lo, v7
	v_and_b32_e32 v5, v5, v15
	v_lshlrev_b32_e32 v15, 29, v4
	v_and_b32_e32 v6, v6, v7
	v_not_b32_e32 v7, v15
	v_cmp_gt_i64_e32 vcc, 0, v[14:15]
	v_ashrrev_i32_e32 v7, 31, v7
	v_xor_b32_e32 v15, vcc_hi, v7
	v_xor_b32_e32 v7, vcc_lo, v7
	v_and_b32_e32 v5, v5, v15
	v_lshlrev_b32_e32 v15, 28, v4
	v_and_b32_e32 v6, v6, v7
	v_not_b32_e32 v7, v15
	v_cmp_gt_i64_e32 vcc, 0, v[14:15]
	v_ashrrev_i32_e32 v7, 31, v7
	v_xor_b32_e32 v15, vcc_hi, v7
	;; [unrolled: 8-line block ×5, first 2 shown]
	v_and_b32_e32 v5, v5, v15
	v_lshlrev_b32_e32 v15, 24, v4
	v_not_b32_e32 v4, v15
	v_xor_b32_e32 v7, vcc_lo, v7
	v_cmp_gt_i64_e32 vcc, 0, v[14:15]
	v_ashrrev_i32_e32 v4, 31, v4
	v_and_b32_e32 v6, v6, v7
	v_xor_b32_e32 v7, vcc_hi, v4
	v_xor_b32_e32 v4, vcc_lo, v4
	v_and_b32_e32 v4, v6, v4
	v_and_b32_e32 v5, v5, v7
	v_mbcnt_lo_u32_b32 v6, v4, 0
	v_mbcnt_hi_u32_b32 v15, v5, v6
	v_cmp_eq_u32_e32 vcc, 0, v15
	v_cmp_ne_u64_e64 s[26:27], 0, v[4:5]
	s_and_b64 s[40:41], s[26:27], vcc
	; wave barrier
	s_and_saveexec_b64 s[26:27], s[40:41]
	s_cbranch_execz .LBB953_22
; %bb.21:                               ;   in Loop: Header=BB953_14 Depth=1
	v_bcnt_u32_b32 v4, v4, 0
	v_bcnt_u32_b32 v4, v5, v4
	s_waitcnt lgkmcnt(0)
	v_add_u32_e32 v4, v34, v4
	ds_write_b32 v35, v4
.LBB953_22:                             ;   in Loop: Header=BB953_14 Depth=1
	s_or_b64 exec, exec, s[26:27]
	; wave barrier
	s_waitcnt lgkmcnt(0)
	s_barrier
	ds_read2_b64 v[4:7], v16 offset0:2 offset1:3
	s_waitcnt lgkmcnt(0)
	v_add_u32_e32 v36, v5, v4
	v_add3_u32 v7, v36, v6, v7
	s_nop 1
	v_mov_b32_dpp v36, v7 row_shr:1 row_mask:0xf bank_mask:0xf
	v_cndmask_b32_e64 v36, v36, 0, s[0:1]
	v_add_u32_e32 v7, v36, v7
	s_nop 1
	v_mov_b32_dpp v36, v7 row_shr:2 row_mask:0xf bank_mask:0xf
	v_cndmask_b32_e64 v36, 0, v36, s[2:3]
	v_add_u32_e32 v7, v7, v36
	;; [unrolled: 4-line block ×4, first 2 shown]
	s_nop 1
	v_mov_b32_dpp v36, v7 row_bcast:15 row_mask:0xf bank_mask:0xf
	v_cndmask_b32_e64 v36, v36, 0, s[8:9]
	v_add_u32_e32 v7, v7, v36
	s_nop 1
	v_mov_b32_dpp v36, v7 row_bcast:31 row_mask:0xf bank_mask:0xf
	v_cndmask_b32_e64 v36, 0, v36, s[10:11]
	v_add_u32_e32 v7, v7, v36
	s_and_saveexec_b64 s[26:27], s[12:13]
	s_cbranch_execz .LBB953_24
; %bb.23:                               ;   in Loop: Header=BB953_14 Depth=1
	ds_write_b32 v20, v7
.LBB953_24:                             ;   in Loop: Header=BB953_14 Depth=1
	s_or_b64 exec, exec, s[26:27]
	s_waitcnt lgkmcnt(0)
	s_barrier
	s_and_saveexec_b64 s[26:27], s[14:15]
	s_cbranch_execz .LBB953_26
; %bb.25:                               ;   in Loop: Header=BB953_14 Depth=1
	v_add_u32_e32 v36, v16, v18
	ds_read_b32 v37, v36
	s_waitcnt lgkmcnt(0)
	s_nop 0
	v_mov_b32_dpp v38, v37 row_shr:1 row_mask:0xf bank_mask:0xf
	v_cndmask_b32_e64 v38, v38, 0, s[22:23]
	v_add_u32_e32 v37, v38, v37
	s_nop 1
	v_mov_b32_dpp v38, v37 row_shr:2 row_mask:0xf bank_mask:0xf
	v_cndmask_b32_e64 v38, 0, v38, s[24:25]
	v_add_u32_e32 v37, v37, v38
	ds_write_b32 v36, v37
.LBB953_26:                             ;   in Loop: Header=BB953_14 Depth=1
	s_or_b64 exec, exec, s[26:27]
	v_mov_b32_e32 v36, 0
	s_waitcnt lgkmcnt(0)
	s_barrier
	s_and_saveexec_b64 s[26:27], s[16:17]
	s_cbranch_execz .LBB953_28
; %bb.27:                               ;   in Loop: Header=BB953_14 Depth=1
	ds_read_b32 v36, v21
.LBB953_28:                             ;   in Loop: Header=BB953_14 Depth=1
	s_or_b64 exec, exec, s[26:27]
	s_waitcnt lgkmcnt(0)
	v_add_u32_e32 v7, v36, v7
	ds_bpermute_b32 v7, v19, v7
	s_add_i32 s28, s28, 8
	s_cmp_ge_u32 s28, s38
	s_waitcnt lgkmcnt(0)
	v_cndmask_b32_e64 v7, v7, v36, s[18:19]
	v_cndmask_b32_e64 v36, v7, 0, s[20:21]
	v_add_u32_e32 v37, v36, v4
	v_add_u32_e32 v4, v37, v5
	v_add_u32_e32 v5, v4, v6
	ds_write2_b64 v16, v[36:37], v[4:5] offset0:2 offset1:3
	s_waitcnt lgkmcnt(0)
	s_barrier
	ds_read_b32 v4, v26
	ds_read_b32 v5, v29
	;; [unrolled: 1-line block ×4, first 2 shown]
	v_lshlrev_b32_e32 v26, 2, v27
	s_waitcnt lgkmcnt(3)
	v_lshl_add_u32 v26, v4, 2, v26
	v_lshlrev_b32_e32 v4, 2, v30
	v_lshlrev_b32_e32 v27, 2, v28
	s_waitcnt lgkmcnt(2)
	v_lshlrev_b32_e32 v5, 2, v5
	v_add3_u32 v27, v4, v27, v5
	v_lshlrev_b32_e32 v4, 2, v33
	v_lshlrev_b32_e32 v5, 2, v31
	s_waitcnt lgkmcnt(1)
	v_lshlrev_b32_e32 v6, 2, v6
	v_add3_u32 v28, v4, v5, v6
	;; [unrolled: 5-line block ×3, first 2 shown]
	s_cbranch_scc0 .LBB953_13
; %bb.29:
                                        ; implicit-def: $sgpr28
                                        ; implicit-def: $vgpr4_vgpr5_vgpr6_vgpr7
.LBB953_30:
	s_barrier
	ds_write_b32 v26, v0
	ds_write_b32 v27, v1
	;; [unrolled: 1-line block ×4, first 2 shown]
	s_waitcnt lgkmcnt(0)
	s_barrier
	v_add_u32_e32 v0, v16, v18
	ds_read2st64_b32 v[2:3], v9 offset0:4 offset1:8
	ds_read_b32 v5, v0
	ds_read_b32 v4, v9 offset:3072
	s_add_u32 s0, s30, s36
	s_addc_u32 s1, s31, s37
	v_mov_b32_e32 v1, s1
	v_add_co_u32_e64 v0, s[0:1], s0, v9
	s_andn2_b64 vcc, exec, s[34:35]
	v_addc_co_u32_e64 v1, s[0:1], 0, v1, s[0:1]
	s_cbranch_vccnz .LBB953_32
; %bb.31:
	s_mov_b64 s[0:1], -1
	s_waitcnt lgkmcnt(1)
	global_store_dword v[0:1], v5, off
	global_store_dword v[0:1], v2, off offset:1024
	global_store_dword v[0:1], v3, off offset:2048
	s_cbranch_execz .LBB953_33
	s_branch .LBB953_40
.LBB953_32:
	s_mov_b64 s[0:1], 0
.LBB953_33:
	v_cmp_gt_u32_e32 vcc, s33, v8
	s_and_saveexec_b64 s[0:1], vcc
	s_cbranch_execz .LBB953_35
; %bb.34:
	s_waitcnt lgkmcnt(1)
	global_store_dword v[0:1], v5, off
.LBB953_35:
	s_or_b64 exec, exec, s[0:1]
	s_waitcnt lgkmcnt(1)
	v_add_u32_e32 v5, 0x100, v8
	v_cmp_gt_u32_e32 vcc, s33, v5
	s_and_saveexec_b64 s[0:1], vcc
	s_cbranch_execz .LBB953_37
; %bb.36:
	global_store_dword v[0:1], v2, off offset:1024
.LBB953_37:
	s_or_b64 exec, exec, s[0:1]
	v_add_u32_e32 v2, 0x200, v8
	v_cmp_gt_u32_e32 vcc, s33, v2
	s_and_saveexec_b64 s[0:1], vcc
	s_cbranch_execz .LBB953_39
; %bb.38:
	global_store_dword v[0:1], v3, off offset:2048
.LBB953_39:
	s_or_b64 exec, exec, s[0:1]
	v_add_u32_e32 v2, 0x300, v8
	v_cmp_gt_u32_e64 s[0:1], s33, v2
.LBB953_40:
	s_and_saveexec_b64 s[2:3], s[0:1]
	s_cbranch_execnz .LBB953_42
; %bb.41:
	s_endpgm
.LBB953_42:
	s_waitcnt lgkmcnt(0)
	global_store_dword v[0:1], v4, off offset:3072
	s_endpgm
	.section	.rodata,"a",@progbits
	.p2align	6, 0x0
	.amdhsa_kernel _ZN7rocprim17ROCPRIM_400000_NS6detail17trampoline_kernelINS0_13kernel_configILj256ELj4ELj4294967295EEENS1_37radix_sort_block_sort_config_selectorIjNS0_10empty_typeEEEZNS1_21radix_sort_block_sortIS4_Lb0EN6thrust23THRUST_200600_302600_NS6detail15normal_iteratorINSA_10device_ptrIjEEEESF_PS6_SG_NS0_19identity_decomposerEEE10hipError_tT1_T2_T3_T4_jRjT5_jjP12ihipStream_tbEUlT_E_NS1_11comp_targetILNS1_3genE4ELNS1_11target_archE910ELNS1_3gpuE8ELNS1_3repE0EEENS1_44radix_sort_block_sort_config_static_selectorELNS0_4arch9wavefront6targetE1EEEvSJ_
		.amdhsa_group_segment_fixed_size 4112
		.amdhsa_private_segment_fixed_size 0
		.amdhsa_kernarg_size 304
		.amdhsa_user_sgpr_count 6
		.amdhsa_user_sgpr_private_segment_buffer 1
		.amdhsa_user_sgpr_dispatch_ptr 0
		.amdhsa_user_sgpr_queue_ptr 0
		.amdhsa_user_sgpr_kernarg_segment_ptr 1
		.amdhsa_user_sgpr_dispatch_id 0
		.amdhsa_user_sgpr_flat_scratch_init 0
		.amdhsa_user_sgpr_kernarg_preload_length 0
		.amdhsa_user_sgpr_kernarg_preload_offset 0
		.amdhsa_user_sgpr_private_segment_size 0
		.amdhsa_uses_dynamic_stack 0
		.amdhsa_system_sgpr_private_segment_wavefront_offset 0
		.amdhsa_system_sgpr_workgroup_id_x 1
		.amdhsa_system_sgpr_workgroup_id_y 0
		.amdhsa_system_sgpr_workgroup_id_z 0
		.amdhsa_system_sgpr_workgroup_info 0
		.amdhsa_system_vgpr_workitem_id 2
		.amdhsa_next_free_vgpr 39
		.amdhsa_next_free_sgpr 44
		.amdhsa_accum_offset 40
		.amdhsa_reserve_vcc 1
		.amdhsa_reserve_flat_scratch 0
		.amdhsa_float_round_mode_32 0
		.amdhsa_float_round_mode_16_64 0
		.amdhsa_float_denorm_mode_32 3
		.amdhsa_float_denorm_mode_16_64 3
		.amdhsa_dx10_clamp 1
		.amdhsa_ieee_mode 1
		.amdhsa_fp16_overflow 0
		.amdhsa_tg_split 0
		.amdhsa_exception_fp_ieee_invalid_op 0
		.amdhsa_exception_fp_denorm_src 0
		.amdhsa_exception_fp_ieee_div_zero 0
		.amdhsa_exception_fp_ieee_overflow 0
		.amdhsa_exception_fp_ieee_underflow 0
		.amdhsa_exception_fp_ieee_inexact 0
		.amdhsa_exception_int_div_zero 0
	.end_amdhsa_kernel
	.section	.text._ZN7rocprim17ROCPRIM_400000_NS6detail17trampoline_kernelINS0_13kernel_configILj256ELj4ELj4294967295EEENS1_37radix_sort_block_sort_config_selectorIjNS0_10empty_typeEEEZNS1_21radix_sort_block_sortIS4_Lb0EN6thrust23THRUST_200600_302600_NS6detail15normal_iteratorINSA_10device_ptrIjEEEESF_PS6_SG_NS0_19identity_decomposerEEE10hipError_tT1_T2_T3_T4_jRjT5_jjP12ihipStream_tbEUlT_E_NS1_11comp_targetILNS1_3genE4ELNS1_11target_archE910ELNS1_3gpuE8ELNS1_3repE0EEENS1_44radix_sort_block_sort_config_static_selectorELNS0_4arch9wavefront6targetE1EEEvSJ_,"axG",@progbits,_ZN7rocprim17ROCPRIM_400000_NS6detail17trampoline_kernelINS0_13kernel_configILj256ELj4ELj4294967295EEENS1_37radix_sort_block_sort_config_selectorIjNS0_10empty_typeEEEZNS1_21radix_sort_block_sortIS4_Lb0EN6thrust23THRUST_200600_302600_NS6detail15normal_iteratorINSA_10device_ptrIjEEEESF_PS6_SG_NS0_19identity_decomposerEEE10hipError_tT1_T2_T3_T4_jRjT5_jjP12ihipStream_tbEUlT_E_NS1_11comp_targetILNS1_3genE4ELNS1_11target_archE910ELNS1_3gpuE8ELNS1_3repE0EEENS1_44radix_sort_block_sort_config_static_selectorELNS0_4arch9wavefront6targetE1EEEvSJ_,comdat
.Lfunc_end953:
	.size	_ZN7rocprim17ROCPRIM_400000_NS6detail17trampoline_kernelINS0_13kernel_configILj256ELj4ELj4294967295EEENS1_37radix_sort_block_sort_config_selectorIjNS0_10empty_typeEEEZNS1_21radix_sort_block_sortIS4_Lb0EN6thrust23THRUST_200600_302600_NS6detail15normal_iteratorINSA_10device_ptrIjEEEESF_PS6_SG_NS0_19identity_decomposerEEE10hipError_tT1_T2_T3_T4_jRjT5_jjP12ihipStream_tbEUlT_E_NS1_11comp_targetILNS1_3genE4ELNS1_11target_archE910ELNS1_3gpuE8ELNS1_3repE0EEENS1_44radix_sort_block_sort_config_static_selectorELNS0_4arch9wavefront6targetE1EEEvSJ_, .Lfunc_end953-_ZN7rocprim17ROCPRIM_400000_NS6detail17trampoline_kernelINS0_13kernel_configILj256ELj4ELj4294967295EEENS1_37radix_sort_block_sort_config_selectorIjNS0_10empty_typeEEEZNS1_21radix_sort_block_sortIS4_Lb0EN6thrust23THRUST_200600_302600_NS6detail15normal_iteratorINSA_10device_ptrIjEEEESF_PS6_SG_NS0_19identity_decomposerEEE10hipError_tT1_T2_T3_T4_jRjT5_jjP12ihipStream_tbEUlT_E_NS1_11comp_targetILNS1_3genE4ELNS1_11target_archE910ELNS1_3gpuE8ELNS1_3repE0EEENS1_44radix_sort_block_sort_config_static_selectorELNS0_4arch9wavefront6targetE1EEEvSJ_
                                        ; -- End function
	.section	.AMDGPU.csdata,"",@progbits
; Kernel info:
; codeLenInByte = 3124
; NumSgprs: 48
; NumVgprs: 39
; NumAgprs: 0
; TotalNumVgprs: 39
; ScratchSize: 0
; MemoryBound: 0
; FloatMode: 240
; IeeeMode: 1
; LDSByteSize: 4112 bytes/workgroup (compile time only)
; SGPRBlocks: 5
; VGPRBlocks: 4
; NumSGPRsForWavesPerEU: 48
; NumVGPRsForWavesPerEU: 39
; AccumOffset: 40
; Occupancy: 8
; WaveLimiterHint : 1
; COMPUTE_PGM_RSRC2:SCRATCH_EN: 0
; COMPUTE_PGM_RSRC2:USER_SGPR: 6
; COMPUTE_PGM_RSRC2:TRAP_HANDLER: 0
; COMPUTE_PGM_RSRC2:TGID_X_EN: 1
; COMPUTE_PGM_RSRC2:TGID_Y_EN: 0
; COMPUTE_PGM_RSRC2:TGID_Z_EN: 0
; COMPUTE_PGM_RSRC2:TIDIG_COMP_CNT: 2
; COMPUTE_PGM_RSRC3_GFX90A:ACCUM_OFFSET: 9
; COMPUTE_PGM_RSRC3_GFX90A:TG_SPLIT: 0
	.section	.text._ZN7rocprim17ROCPRIM_400000_NS6detail17trampoline_kernelINS0_13kernel_configILj256ELj4ELj4294967295EEENS1_37radix_sort_block_sort_config_selectorIjNS0_10empty_typeEEEZNS1_21radix_sort_block_sortIS4_Lb0EN6thrust23THRUST_200600_302600_NS6detail15normal_iteratorINSA_10device_ptrIjEEEESF_PS6_SG_NS0_19identity_decomposerEEE10hipError_tT1_T2_T3_T4_jRjT5_jjP12ihipStream_tbEUlT_E_NS1_11comp_targetILNS1_3genE3ELNS1_11target_archE908ELNS1_3gpuE7ELNS1_3repE0EEENS1_44radix_sort_block_sort_config_static_selectorELNS0_4arch9wavefront6targetE1EEEvSJ_,"axG",@progbits,_ZN7rocprim17ROCPRIM_400000_NS6detail17trampoline_kernelINS0_13kernel_configILj256ELj4ELj4294967295EEENS1_37radix_sort_block_sort_config_selectorIjNS0_10empty_typeEEEZNS1_21radix_sort_block_sortIS4_Lb0EN6thrust23THRUST_200600_302600_NS6detail15normal_iteratorINSA_10device_ptrIjEEEESF_PS6_SG_NS0_19identity_decomposerEEE10hipError_tT1_T2_T3_T4_jRjT5_jjP12ihipStream_tbEUlT_E_NS1_11comp_targetILNS1_3genE3ELNS1_11target_archE908ELNS1_3gpuE7ELNS1_3repE0EEENS1_44radix_sort_block_sort_config_static_selectorELNS0_4arch9wavefront6targetE1EEEvSJ_,comdat
	.protected	_ZN7rocprim17ROCPRIM_400000_NS6detail17trampoline_kernelINS0_13kernel_configILj256ELj4ELj4294967295EEENS1_37radix_sort_block_sort_config_selectorIjNS0_10empty_typeEEEZNS1_21radix_sort_block_sortIS4_Lb0EN6thrust23THRUST_200600_302600_NS6detail15normal_iteratorINSA_10device_ptrIjEEEESF_PS6_SG_NS0_19identity_decomposerEEE10hipError_tT1_T2_T3_T4_jRjT5_jjP12ihipStream_tbEUlT_E_NS1_11comp_targetILNS1_3genE3ELNS1_11target_archE908ELNS1_3gpuE7ELNS1_3repE0EEENS1_44radix_sort_block_sort_config_static_selectorELNS0_4arch9wavefront6targetE1EEEvSJ_ ; -- Begin function _ZN7rocprim17ROCPRIM_400000_NS6detail17trampoline_kernelINS0_13kernel_configILj256ELj4ELj4294967295EEENS1_37radix_sort_block_sort_config_selectorIjNS0_10empty_typeEEEZNS1_21radix_sort_block_sortIS4_Lb0EN6thrust23THRUST_200600_302600_NS6detail15normal_iteratorINSA_10device_ptrIjEEEESF_PS6_SG_NS0_19identity_decomposerEEE10hipError_tT1_T2_T3_T4_jRjT5_jjP12ihipStream_tbEUlT_E_NS1_11comp_targetILNS1_3genE3ELNS1_11target_archE908ELNS1_3gpuE7ELNS1_3repE0EEENS1_44radix_sort_block_sort_config_static_selectorELNS0_4arch9wavefront6targetE1EEEvSJ_
	.globl	_ZN7rocprim17ROCPRIM_400000_NS6detail17trampoline_kernelINS0_13kernel_configILj256ELj4ELj4294967295EEENS1_37radix_sort_block_sort_config_selectorIjNS0_10empty_typeEEEZNS1_21radix_sort_block_sortIS4_Lb0EN6thrust23THRUST_200600_302600_NS6detail15normal_iteratorINSA_10device_ptrIjEEEESF_PS6_SG_NS0_19identity_decomposerEEE10hipError_tT1_T2_T3_T4_jRjT5_jjP12ihipStream_tbEUlT_E_NS1_11comp_targetILNS1_3genE3ELNS1_11target_archE908ELNS1_3gpuE7ELNS1_3repE0EEENS1_44radix_sort_block_sort_config_static_selectorELNS0_4arch9wavefront6targetE1EEEvSJ_
	.p2align	8
	.type	_ZN7rocprim17ROCPRIM_400000_NS6detail17trampoline_kernelINS0_13kernel_configILj256ELj4ELj4294967295EEENS1_37radix_sort_block_sort_config_selectorIjNS0_10empty_typeEEEZNS1_21radix_sort_block_sortIS4_Lb0EN6thrust23THRUST_200600_302600_NS6detail15normal_iteratorINSA_10device_ptrIjEEEESF_PS6_SG_NS0_19identity_decomposerEEE10hipError_tT1_T2_T3_T4_jRjT5_jjP12ihipStream_tbEUlT_E_NS1_11comp_targetILNS1_3genE3ELNS1_11target_archE908ELNS1_3gpuE7ELNS1_3repE0EEENS1_44radix_sort_block_sort_config_static_selectorELNS0_4arch9wavefront6targetE1EEEvSJ_,@function
_ZN7rocprim17ROCPRIM_400000_NS6detail17trampoline_kernelINS0_13kernel_configILj256ELj4ELj4294967295EEENS1_37radix_sort_block_sort_config_selectorIjNS0_10empty_typeEEEZNS1_21radix_sort_block_sortIS4_Lb0EN6thrust23THRUST_200600_302600_NS6detail15normal_iteratorINSA_10device_ptrIjEEEESF_PS6_SG_NS0_19identity_decomposerEEE10hipError_tT1_T2_T3_T4_jRjT5_jjP12ihipStream_tbEUlT_E_NS1_11comp_targetILNS1_3genE3ELNS1_11target_archE908ELNS1_3gpuE7ELNS1_3repE0EEENS1_44radix_sort_block_sort_config_static_selectorELNS0_4arch9wavefront6targetE1EEEvSJ_: ; @_ZN7rocprim17ROCPRIM_400000_NS6detail17trampoline_kernelINS0_13kernel_configILj256ELj4ELj4294967295EEENS1_37radix_sort_block_sort_config_selectorIjNS0_10empty_typeEEEZNS1_21radix_sort_block_sortIS4_Lb0EN6thrust23THRUST_200600_302600_NS6detail15normal_iteratorINSA_10device_ptrIjEEEESF_PS6_SG_NS0_19identity_decomposerEEE10hipError_tT1_T2_T3_T4_jRjT5_jjP12ihipStream_tbEUlT_E_NS1_11comp_targetILNS1_3genE3ELNS1_11target_archE908ELNS1_3gpuE7ELNS1_3repE0EEENS1_44radix_sort_block_sort_config_static_selectorELNS0_4arch9wavefront6targetE1EEEvSJ_
; %bb.0:
	.section	.rodata,"a",@progbits
	.p2align	6, 0x0
	.amdhsa_kernel _ZN7rocprim17ROCPRIM_400000_NS6detail17trampoline_kernelINS0_13kernel_configILj256ELj4ELj4294967295EEENS1_37radix_sort_block_sort_config_selectorIjNS0_10empty_typeEEEZNS1_21radix_sort_block_sortIS4_Lb0EN6thrust23THRUST_200600_302600_NS6detail15normal_iteratorINSA_10device_ptrIjEEEESF_PS6_SG_NS0_19identity_decomposerEEE10hipError_tT1_T2_T3_T4_jRjT5_jjP12ihipStream_tbEUlT_E_NS1_11comp_targetILNS1_3genE3ELNS1_11target_archE908ELNS1_3gpuE7ELNS1_3repE0EEENS1_44radix_sort_block_sort_config_static_selectorELNS0_4arch9wavefront6targetE1EEEvSJ_
		.amdhsa_group_segment_fixed_size 0
		.amdhsa_private_segment_fixed_size 0
		.amdhsa_kernarg_size 48
		.amdhsa_user_sgpr_count 6
		.amdhsa_user_sgpr_private_segment_buffer 1
		.amdhsa_user_sgpr_dispatch_ptr 0
		.amdhsa_user_sgpr_queue_ptr 0
		.amdhsa_user_sgpr_kernarg_segment_ptr 1
		.amdhsa_user_sgpr_dispatch_id 0
		.amdhsa_user_sgpr_flat_scratch_init 0
		.amdhsa_user_sgpr_kernarg_preload_length 0
		.amdhsa_user_sgpr_kernarg_preload_offset 0
		.amdhsa_user_sgpr_private_segment_size 0
		.amdhsa_uses_dynamic_stack 0
		.amdhsa_system_sgpr_private_segment_wavefront_offset 0
		.amdhsa_system_sgpr_workgroup_id_x 1
		.amdhsa_system_sgpr_workgroup_id_y 0
		.amdhsa_system_sgpr_workgroup_id_z 0
		.amdhsa_system_sgpr_workgroup_info 0
		.amdhsa_system_vgpr_workitem_id 0
		.amdhsa_next_free_vgpr 1
		.amdhsa_next_free_sgpr 0
		.amdhsa_accum_offset 4
		.amdhsa_reserve_vcc 0
		.amdhsa_reserve_flat_scratch 0
		.amdhsa_float_round_mode_32 0
		.amdhsa_float_round_mode_16_64 0
		.amdhsa_float_denorm_mode_32 3
		.amdhsa_float_denorm_mode_16_64 3
		.amdhsa_dx10_clamp 1
		.amdhsa_ieee_mode 1
		.amdhsa_fp16_overflow 0
		.amdhsa_tg_split 0
		.amdhsa_exception_fp_ieee_invalid_op 0
		.amdhsa_exception_fp_denorm_src 0
		.amdhsa_exception_fp_ieee_div_zero 0
		.amdhsa_exception_fp_ieee_overflow 0
		.amdhsa_exception_fp_ieee_underflow 0
		.amdhsa_exception_fp_ieee_inexact 0
		.amdhsa_exception_int_div_zero 0
	.end_amdhsa_kernel
	.section	.text._ZN7rocprim17ROCPRIM_400000_NS6detail17trampoline_kernelINS0_13kernel_configILj256ELj4ELj4294967295EEENS1_37radix_sort_block_sort_config_selectorIjNS0_10empty_typeEEEZNS1_21radix_sort_block_sortIS4_Lb0EN6thrust23THRUST_200600_302600_NS6detail15normal_iteratorINSA_10device_ptrIjEEEESF_PS6_SG_NS0_19identity_decomposerEEE10hipError_tT1_T2_T3_T4_jRjT5_jjP12ihipStream_tbEUlT_E_NS1_11comp_targetILNS1_3genE3ELNS1_11target_archE908ELNS1_3gpuE7ELNS1_3repE0EEENS1_44radix_sort_block_sort_config_static_selectorELNS0_4arch9wavefront6targetE1EEEvSJ_,"axG",@progbits,_ZN7rocprim17ROCPRIM_400000_NS6detail17trampoline_kernelINS0_13kernel_configILj256ELj4ELj4294967295EEENS1_37radix_sort_block_sort_config_selectorIjNS0_10empty_typeEEEZNS1_21radix_sort_block_sortIS4_Lb0EN6thrust23THRUST_200600_302600_NS6detail15normal_iteratorINSA_10device_ptrIjEEEESF_PS6_SG_NS0_19identity_decomposerEEE10hipError_tT1_T2_T3_T4_jRjT5_jjP12ihipStream_tbEUlT_E_NS1_11comp_targetILNS1_3genE3ELNS1_11target_archE908ELNS1_3gpuE7ELNS1_3repE0EEENS1_44radix_sort_block_sort_config_static_selectorELNS0_4arch9wavefront6targetE1EEEvSJ_,comdat
.Lfunc_end954:
	.size	_ZN7rocprim17ROCPRIM_400000_NS6detail17trampoline_kernelINS0_13kernel_configILj256ELj4ELj4294967295EEENS1_37radix_sort_block_sort_config_selectorIjNS0_10empty_typeEEEZNS1_21radix_sort_block_sortIS4_Lb0EN6thrust23THRUST_200600_302600_NS6detail15normal_iteratorINSA_10device_ptrIjEEEESF_PS6_SG_NS0_19identity_decomposerEEE10hipError_tT1_T2_T3_T4_jRjT5_jjP12ihipStream_tbEUlT_E_NS1_11comp_targetILNS1_3genE3ELNS1_11target_archE908ELNS1_3gpuE7ELNS1_3repE0EEENS1_44radix_sort_block_sort_config_static_selectorELNS0_4arch9wavefront6targetE1EEEvSJ_, .Lfunc_end954-_ZN7rocprim17ROCPRIM_400000_NS6detail17trampoline_kernelINS0_13kernel_configILj256ELj4ELj4294967295EEENS1_37radix_sort_block_sort_config_selectorIjNS0_10empty_typeEEEZNS1_21radix_sort_block_sortIS4_Lb0EN6thrust23THRUST_200600_302600_NS6detail15normal_iteratorINSA_10device_ptrIjEEEESF_PS6_SG_NS0_19identity_decomposerEEE10hipError_tT1_T2_T3_T4_jRjT5_jjP12ihipStream_tbEUlT_E_NS1_11comp_targetILNS1_3genE3ELNS1_11target_archE908ELNS1_3gpuE7ELNS1_3repE0EEENS1_44radix_sort_block_sort_config_static_selectorELNS0_4arch9wavefront6targetE1EEEvSJ_
                                        ; -- End function
	.section	.AMDGPU.csdata,"",@progbits
; Kernel info:
; codeLenInByte = 0
; NumSgprs: 4
; NumVgprs: 0
; NumAgprs: 0
; TotalNumVgprs: 0
; ScratchSize: 0
; MemoryBound: 0
; FloatMode: 240
; IeeeMode: 1
; LDSByteSize: 0 bytes/workgroup (compile time only)
; SGPRBlocks: 0
; VGPRBlocks: 0
; NumSGPRsForWavesPerEU: 4
; NumVGPRsForWavesPerEU: 1
; AccumOffset: 4
; Occupancy: 8
; WaveLimiterHint : 0
; COMPUTE_PGM_RSRC2:SCRATCH_EN: 0
; COMPUTE_PGM_RSRC2:USER_SGPR: 6
; COMPUTE_PGM_RSRC2:TRAP_HANDLER: 0
; COMPUTE_PGM_RSRC2:TGID_X_EN: 1
; COMPUTE_PGM_RSRC2:TGID_Y_EN: 0
; COMPUTE_PGM_RSRC2:TGID_Z_EN: 0
; COMPUTE_PGM_RSRC2:TIDIG_COMP_CNT: 0
; COMPUTE_PGM_RSRC3_GFX90A:ACCUM_OFFSET: 0
; COMPUTE_PGM_RSRC3_GFX90A:TG_SPLIT: 0
	.section	.text._ZN7rocprim17ROCPRIM_400000_NS6detail17trampoline_kernelINS0_13kernel_configILj256ELj4ELj4294967295EEENS1_37radix_sort_block_sort_config_selectorIjNS0_10empty_typeEEEZNS1_21radix_sort_block_sortIS4_Lb0EN6thrust23THRUST_200600_302600_NS6detail15normal_iteratorINSA_10device_ptrIjEEEESF_PS6_SG_NS0_19identity_decomposerEEE10hipError_tT1_T2_T3_T4_jRjT5_jjP12ihipStream_tbEUlT_E_NS1_11comp_targetILNS1_3genE2ELNS1_11target_archE906ELNS1_3gpuE6ELNS1_3repE0EEENS1_44radix_sort_block_sort_config_static_selectorELNS0_4arch9wavefront6targetE1EEEvSJ_,"axG",@progbits,_ZN7rocprim17ROCPRIM_400000_NS6detail17trampoline_kernelINS0_13kernel_configILj256ELj4ELj4294967295EEENS1_37radix_sort_block_sort_config_selectorIjNS0_10empty_typeEEEZNS1_21radix_sort_block_sortIS4_Lb0EN6thrust23THRUST_200600_302600_NS6detail15normal_iteratorINSA_10device_ptrIjEEEESF_PS6_SG_NS0_19identity_decomposerEEE10hipError_tT1_T2_T3_T4_jRjT5_jjP12ihipStream_tbEUlT_E_NS1_11comp_targetILNS1_3genE2ELNS1_11target_archE906ELNS1_3gpuE6ELNS1_3repE0EEENS1_44radix_sort_block_sort_config_static_selectorELNS0_4arch9wavefront6targetE1EEEvSJ_,comdat
	.protected	_ZN7rocprim17ROCPRIM_400000_NS6detail17trampoline_kernelINS0_13kernel_configILj256ELj4ELj4294967295EEENS1_37radix_sort_block_sort_config_selectorIjNS0_10empty_typeEEEZNS1_21radix_sort_block_sortIS4_Lb0EN6thrust23THRUST_200600_302600_NS6detail15normal_iteratorINSA_10device_ptrIjEEEESF_PS6_SG_NS0_19identity_decomposerEEE10hipError_tT1_T2_T3_T4_jRjT5_jjP12ihipStream_tbEUlT_E_NS1_11comp_targetILNS1_3genE2ELNS1_11target_archE906ELNS1_3gpuE6ELNS1_3repE0EEENS1_44radix_sort_block_sort_config_static_selectorELNS0_4arch9wavefront6targetE1EEEvSJ_ ; -- Begin function _ZN7rocprim17ROCPRIM_400000_NS6detail17trampoline_kernelINS0_13kernel_configILj256ELj4ELj4294967295EEENS1_37radix_sort_block_sort_config_selectorIjNS0_10empty_typeEEEZNS1_21radix_sort_block_sortIS4_Lb0EN6thrust23THRUST_200600_302600_NS6detail15normal_iteratorINSA_10device_ptrIjEEEESF_PS6_SG_NS0_19identity_decomposerEEE10hipError_tT1_T2_T3_T4_jRjT5_jjP12ihipStream_tbEUlT_E_NS1_11comp_targetILNS1_3genE2ELNS1_11target_archE906ELNS1_3gpuE6ELNS1_3repE0EEENS1_44radix_sort_block_sort_config_static_selectorELNS0_4arch9wavefront6targetE1EEEvSJ_
	.globl	_ZN7rocprim17ROCPRIM_400000_NS6detail17trampoline_kernelINS0_13kernel_configILj256ELj4ELj4294967295EEENS1_37radix_sort_block_sort_config_selectorIjNS0_10empty_typeEEEZNS1_21radix_sort_block_sortIS4_Lb0EN6thrust23THRUST_200600_302600_NS6detail15normal_iteratorINSA_10device_ptrIjEEEESF_PS6_SG_NS0_19identity_decomposerEEE10hipError_tT1_T2_T3_T4_jRjT5_jjP12ihipStream_tbEUlT_E_NS1_11comp_targetILNS1_3genE2ELNS1_11target_archE906ELNS1_3gpuE6ELNS1_3repE0EEENS1_44radix_sort_block_sort_config_static_selectorELNS0_4arch9wavefront6targetE1EEEvSJ_
	.p2align	8
	.type	_ZN7rocprim17ROCPRIM_400000_NS6detail17trampoline_kernelINS0_13kernel_configILj256ELj4ELj4294967295EEENS1_37radix_sort_block_sort_config_selectorIjNS0_10empty_typeEEEZNS1_21radix_sort_block_sortIS4_Lb0EN6thrust23THRUST_200600_302600_NS6detail15normal_iteratorINSA_10device_ptrIjEEEESF_PS6_SG_NS0_19identity_decomposerEEE10hipError_tT1_T2_T3_T4_jRjT5_jjP12ihipStream_tbEUlT_E_NS1_11comp_targetILNS1_3genE2ELNS1_11target_archE906ELNS1_3gpuE6ELNS1_3repE0EEENS1_44radix_sort_block_sort_config_static_selectorELNS0_4arch9wavefront6targetE1EEEvSJ_,@function
_ZN7rocprim17ROCPRIM_400000_NS6detail17trampoline_kernelINS0_13kernel_configILj256ELj4ELj4294967295EEENS1_37radix_sort_block_sort_config_selectorIjNS0_10empty_typeEEEZNS1_21radix_sort_block_sortIS4_Lb0EN6thrust23THRUST_200600_302600_NS6detail15normal_iteratorINSA_10device_ptrIjEEEESF_PS6_SG_NS0_19identity_decomposerEEE10hipError_tT1_T2_T3_T4_jRjT5_jjP12ihipStream_tbEUlT_E_NS1_11comp_targetILNS1_3genE2ELNS1_11target_archE906ELNS1_3gpuE6ELNS1_3repE0EEENS1_44radix_sort_block_sort_config_static_selectorELNS0_4arch9wavefront6targetE1EEEvSJ_: ; @_ZN7rocprim17ROCPRIM_400000_NS6detail17trampoline_kernelINS0_13kernel_configILj256ELj4ELj4294967295EEENS1_37radix_sort_block_sort_config_selectorIjNS0_10empty_typeEEEZNS1_21radix_sort_block_sortIS4_Lb0EN6thrust23THRUST_200600_302600_NS6detail15normal_iteratorINSA_10device_ptrIjEEEESF_PS6_SG_NS0_19identity_decomposerEEE10hipError_tT1_T2_T3_T4_jRjT5_jjP12ihipStream_tbEUlT_E_NS1_11comp_targetILNS1_3genE2ELNS1_11target_archE906ELNS1_3gpuE6ELNS1_3repE0EEENS1_44radix_sort_block_sort_config_static_selectorELNS0_4arch9wavefront6targetE1EEEvSJ_
; %bb.0:
	.section	.rodata,"a",@progbits
	.p2align	6, 0x0
	.amdhsa_kernel _ZN7rocprim17ROCPRIM_400000_NS6detail17trampoline_kernelINS0_13kernel_configILj256ELj4ELj4294967295EEENS1_37radix_sort_block_sort_config_selectorIjNS0_10empty_typeEEEZNS1_21radix_sort_block_sortIS4_Lb0EN6thrust23THRUST_200600_302600_NS6detail15normal_iteratorINSA_10device_ptrIjEEEESF_PS6_SG_NS0_19identity_decomposerEEE10hipError_tT1_T2_T3_T4_jRjT5_jjP12ihipStream_tbEUlT_E_NS1_11comp_targetILNS1_3genE2ELNS1_11target_archE906ELNS1_3gpuE6ELNS1_3repE0EEENS1_44radix_sort_block_sort_config_static_selectorELNS0_4arch9wavefront6targetE1EEEvSJ_
		.amdhsa_group_segment_fixed_size 0
		.amdhsa_private_segment_fixed_size 0
		.amdhsa_kernarg_size 48
		.amdhsa_user_sgpr_count 6
		.amdhsa_user_sgpr_private_segment_buffer 1
		.amdhsa_user_sgpr_dispatch_ptr 0
		.amdhsa_user_sgpr_queue_ptr 0
		.amdhsa_user_sgpr_kernarg_segment_ptr 1
		.amdhsa_user_sgpr_dispatch_id 0
		.amdhsa_user_sgpr_flat_scratch_init 0
		.amdhsa_user_sgpr_kernarg_preload_length 0
		.amdhsa_user_sgpr_kernarg_preload_offset 0
		.amdhsa_user_sgpr_private_segment_size 0
		.amdhsa_uses_dynamic_stack 0
		.amdhsa_system_sgpr_private_segment_wavefront_offset 0
		.amdhsa_system_sgpr_workgroup_id_x 1
		.amdhsa_system_sgpr_workgroup_id_y 0
		.amdhsa_system_sgpr_workgroup_id_z 0
		.amdhsa_system_sgpr_workgroup_info 0
		.amdhsa_system_vgpr_workitem_id 0
		.amdhsa_next_free_vgpr 1
		.amdhsa_next_free_sgpr 0
		.amdhsa_accum_offset 4
		.amdhsa_reserve_vcc 0
		.amdhsa_reserve_flat_scratch 0
		.amdhsa_float_round_mode_32 0
		.amdhsa_float_round_mode_16_64 0
		.amdhsa_float_denorm_mode_32 3
		.amdhsa_float_denorm_mode_16_64 3
		.amdhsa_dx10_clamp 1
		.amdhsa_ieee_mode 1
		.amdhsa_fp16_overflow 0
		.amdhsa_tg_split 0
		.amdhsa_exception_fp_ieee_invalid_op 0
		.amdhsa_exception_fp_denorm_src 0
		.amdhsa_exception_fp_ieee_div_zero 0
		.amdhsa_exception_fp_ieee_overflow 0
		.amdhsa_exception_fp_ieee_underflow 0
		.amdhsa_exception_fp_ieee_inexact 0
		.amdhsa_exception_int_div_zero 0
	.end_amdhsa_kernel
	.section	.text._ZN7rocprim17ROCPRIM_400000_NS6detail17trampoline_kernelINS0_13kernel_configILj256ELj4ELj4294967295EEENS1_37radix_sort_block_sort_config_selectorIjNS0_10empty_typeEEEZNS1_21radix_sort_block_sortIS4_Lb0EN6thrust23THRUST_200600_302600_NS6detail15normal_iteratorINSA_10device_ptrIjEEEESF_PS6_SG_NS0_19identity_decomposerEEE10hipError_tT1_T2_T3_T4_jRjT5_jjP12ihipStream_tbEUlT_E_NS1_11comp_targetILNS1_3genE2ELNS1_11target_archE906ELNS1_3gpuE6ELNS1_3repE0EEENS1_44radix_sort_block_sort_config_static_selectorELNS0_4arch9wavefront6targetE1EEEvSJ_,"axG",@progbits,_ZN7rocprim17ROCPRIM_400000_NS6detail17trampoline_kernelINS0_13kernel_configILj256ELj4ELj4294967295EEENS1_37radix_sort_block_sort_config_selectorIjNS0_10empty_typeEEEZNS1_21radix_sort_block_sortIS4_Lb0EN6thrust23THRUST_200600_302600_NS6detail15normal_iteratorINSA_10device_ptrIjEEEESF_PS6_SG_NS0_19identity_decomposerEEE10hipError_tT1_T2_T3_T4_jRjT5_jjP12ihipStream_tbEUlT_E_NS1_11comp_targetILNS1_3genE2ELNS1_11target_archE906ELNS1_3gpuE6ELNS1_3repE0EEENS1_44radix_sort_block_sort_config_static_selectorELNS0_4arch9wavefront6targetE1EEEvSJ_,comdat
.Lfunc_end955:
	.size	_ZN7rocprim17ROCPRIM_400000_NS6detail17trampoline_kernelINS0_13kernel_configILj256ELj4ELj4294967295EEENS1_37radix_sort_block_sort_config_selectorIjNS0_10empty_typeEEEZNS1_21radix_sort_block_sortIS4_Lb0EN6thrust23THRUST_200600_302600_NS6detail15normal_iteratorINSA_10device_ptrIjEEEESF_PS6_SG_NS0_19identity_decomposerEEE10hipError_tT1_T2_T3_T4_jRjT5_jjP12ihipStream_tbEUlT_E_NS1_11comp_targetILNS1_3genE2ELNS1_11target_archE906ELNS1_3gpuE6ELNS1_3repE0EEENS1_44radix_sort_block_sort_config_static_selectorELNS0_4arch9wavefront6targetE1EEEvSJ_, .Lfunc_end955-_ZN7rocprim17ROCPRIM_400000_NS6detail17trampoline_kernelINS0_13kernel_configILj256ELj4ELj4294967295EEENS1_37radix_sort_block_sort_config_selectorIjNS0_10empty_typeEEEZNS1_21radix_sort_block_sortIS4_Lb0EN6thrust23THRUST_200600_302600_NS6detail15normal_iteratorINSA_10device_ptrIjEEEESF_PS6_SG_NS0_19identity_decomposerEEE10hipError_tT1_T2_T3_T4_jRjT5_jjP12ihipStream_tbEUlT_E_NS1_11comp_targetILNS1_3genE2ELNS1_11target_archE906ELNS1_3gpuE6ELNS1_3repE0EEENS1_44radix_sort_block_sort_config_static_selectorELNS0_4arch9wavefront6targetE1EEEvSJ_
                                        ; -- End function
	.section	.AMDGPU.csdata,"",@progbits
; Kernel info:
; codeLenInByte = 0
; NumSgprs: 4
; NumVgprs: 0
; NumAgprs: 0
; TotalNumVgprs: 0
; ScratchSize: 0
; MemoryBound: 0
; FloatMode: 240
; IeeeMode: 1
; LDSByteSize: 0 bytes/workgroup (compile time only)
; SGPRBlocks: 0
; VGPRBlocks: 0
; NumSGPRsForWavesPerEU: 4
; NumVGPRsForWavesPerEU: 1
; AccumOffset: 4
; Occupancy: 8
; WaveLimiterHint : 0
; COMPUTE_PGM_RSRC2:SCRATCH_EN: 0
; COMPUTE_PGM_RSRC2:USER_SGPR: 6
; COMPUTE_PGM_RSRC2:TRAP_HANDLER: 0
; COMPUTE_PGM_RSRC2:TGID_X_EN: 1
; COMPUTE_PGM_RSRC2:TGID_Y_EN: 0
; COMPUTE_PGM_RSRC2:TGID_Z_EN: 0
; COMPUTE_PGM_RSRC2:TIDIG_COMP_CNT: 0
; COMPUTE_PGM_RSRC3_GFX90A:ACCUM_OFFSET: 0
; COMPUTE_PGM_RSRC3_GFX90A:TG_SPLIT: 0
	.section	.text._ZN7rocprim17ROCPRIM_400000_NS6detail17trampoline_kernelINS0_13kernel_configILj256ELj4ELj4294967295EEENS1_37radix_sort_block_sort_config_selectorIjNS0_10empty_typeEEEZNS1_21radix_sort_block_sortIS4_Lb0EN6thrust23THRUST_200600_302600_NS6detail15normal_iteratorINSA_10device_ptrIjEEEESF_PS6_SG_NS0_19identity_decomposerEEE10hipError_tT1_T2_T3_T4_jRjT5_jjP12ihipStream_tbEUlT_E_NS1_11comp_targetILNS1_3genE10ELNS1_11target_archE1201ELNS1_3gpuE5ELNS1_3repE0EEENS1_44radix_sort_block_sort_config_static_selectorELNS0_4arch9wavefront6targetE1EEEvSJ_,"axG",@progbits,_ZN7rocprim17ROCPRIM_400000_NS6detail17trampoline_kernelINS0_13kernel_configILj256ELj4ELj4294967295EEENS1_37radix_sort_block_sort_config_selectorIjNS0_10empty_typeEEEZNS1_21radix_sort_block_sortIS4_Lb0EN6thrust23THRUST_200600_302600_NS6detail15normal_iteratorINSA_10device_ptrIjEEEESF_PS6_SG_NS0_19identity_decomposerEEE10hipError_tT1_T2_T3_T4_jRjT5_jjP12ihipStream_tbEUlT_E_NS1_11comp_targetILNS1_3genE10ELNS1_11target_archE1201ELNS1_3gpuE5ELNS1_3repE0EEENS1_44radix_sort_block_sort_config_static_selectorELNS0_4arch9wavefront6targetE1EEEvSJ_,comdat
	.protected	_ZN7rocprim17ROCPRIM_400000_NS6detail17trampoline_kernelINS0_13kernel_configILj256ELj4ELj4294967295EEENS1_37radix_sort_block_sort_config_selectorIjNS0_10empty_typeEEEZNS1_21radix_sort_block_sortIS4_Lb0EN6thrust23THRUST_200600_302600_NS6detail15normal_iteratorINSA_10device_ptrIjEEEESF_PS6_SG_NS0_19identity_decomposerEEE10hipError_tT1_T2_T3_T4_jRjT5_jjP12ihipStream_tbEUlT_E_NS1_11comp_targetILNS1_3genE10ELNS1_11target_archE1201ELNS1_3gpuE5ELNS1_3repE0EEENS1_44radix_sort_block_sort_config_static_selectorELNS0_4arch9wavefront6targetE1EEEvSJ_ ; -- Begin function _ZN7rocprim17ROCPRIM_400000_NS6detail17trampoline_kernelINS0_13kernel_configILj256ELj4ELj4294967295EEENS1_37radix_sort_block_sort_config_selectorIjNS0_10empty_typeEEEZNS1_21radix_sort_block_sortIS4_Lb0EN6thrust23THRUST_200600_302600_NS6detail15normal_iteratorINSA_10device_ptrIjEEEESF_PS6_SG_NS0_19identity_decomposerEEE10hipError_tT1_T2_T3_T4_jRjT5_jjP12ihipStream_tbEUlT_E_NS1_11comp_targetILNS1_3genE10ELNS1_11target_archE1201ELNS1_3gpuE5ELNS1_3repE0EEENS1_44radix_sort_block_sort_config_static_selectorELNS0_4arch9wavefront6targetE1EEEvSJ_
	.globl	_ZN7rocprim17ROCPRIM_400000_NS6detail17trampoline_kernelINS0_13kernel_configILj256ELj4ELj4294967295EEENS1_37radix_sort_block_sort_config_selectorIjNS0_10empty_typeEEEZNS1_21radix_sort_block_sortIS4_Lb0EN6thrust23THRUST_200600_302600_NS6detail15normal_iteratorINSA_10device_ptrIjEEEESF_PS6_SG_NS0_19identity_decomposerEEE10hipError_tT1_T2_T3_T4_jRjT5_jjP12ihipStream_tbEUlT_E_NS1_11comp_targetILNS1_3genE10ELNS1_11target_archE1201ELNS1_3gpuE5ELNS1_3repE0EEENS1_44radix_sort_block_sort_config_static_selectorELNS0_4arch9wavefront6targetE1EEEvSJ_
	.p2align	8
	.type	_ZN7rocprim17ROCPRIM_400000_NS6detail17trampoline_kernelINS0_13kernel_configILj256ELj4ELj4294967295EEENS1_37radix_sort_block_sort_config_selectorIjNS0_10empty_typeEEEZNS1_21radix_sort_block_sortIS4_Lb0EN6thrust23THRUST_200600_302600_NS6detail15normal_iteratorINSA_10device_ptrIjEEEESF_PS6_SG_NS0_19identity_decomposerEEE10hipError_tT1_T2_T3_T4_jRjT5_jjP12ihipStream_tbEUlT_E_NS1_11comp_targetILNS1_3genE10ELNS1_11target_archE1201ELNS1_3gpuE5ELNS1_3repE0EEENS1_44radix_sort_block_sort_config_static_selectorELNS0_4arch9wavefront6targetE1EEEvSJ_,@function
_ZN7rocprim17ROCPRIM_400000_NS6detail17trampoline_kernelINS0_13kernel_configILj256ELj4ELj4294967295EEENS1_37radix_sort_block_sort_config_selectorIjNS0_10empty_typeEEEZNS1_21radix_sort_block_sortIS4_Lb0EN6thrust23THRUST_200600_302600_NS6detail15normal_iteratorINSA_10device_ptrIjEEEESF_PS6_SG_NS0_19identity_decomposerEEE10hipError_tT1_T2_T3_T4_jRjT5_jjP12ihipStream_tbEUlT_E_NS1_11comp_targetILNS1_3genE10ELNS1_11target_archE1201ELNS1_3gpuE5ELNS1_3repE0EEENS1_44radix_sort_block_sort_config_static_selectorELNS0_4arch9wavefront6targetE1EEEvSJ_: ; @_ZN7rocprim17ROCPRIM_400000_NS6detail17trampoline_kernelINS0_13kernel_configILj256ELj4ELj4294967295EEENS1_37radix_sort_block_sort_config_selectorIjNS0_10empty_typeEEEZNS1_21radix_sort_block_sortIS4_Lb0EN6thrust23THRUST_200600_302600_NS6detail15normal_iteratorINSA_10device_ptrIjEEEESF_PS6_SG_NS0_19identity_decomposerEEE10hipError_tT1_T2_T3_T4_jRjT5_jjP12ihipStream_tbEUlT_E_NS1_11comp_targetILNS1_3genE10ELNS1_11target_archE1201ELNS1_3gpuE5ELNS1_3repE0EEENS1_44radix_sort_block_sort_config_static_selectorELNS0_4arch9wavefront6targetE1EEEvSJ_
; %bb.0:
	.section	.rodata,"a",@progbits
	.p2align	6, 0x0
	.amdhsa_kernel _ZN7rocprim17ROCPRIM_400000_NS6detail17trampoline_kernelINS0_13kernel_configILj256ELj4ELj4294967295EEENS1_37radix_sort_block_sort_config_selectorIjNS0_10empty_typeEEEZNS1_21radix_sort_block_sortIS4_Lb0EN6thrust23THRUST_200600_302600_NS6detail15normal_iteratorINSA_10device_ptrIjEEEESF_PS6_SG_NS0_19identity_decomposerEEE10hipError_tT1_T2_T3_T4_jRjT5_jjP12ihipStream_tbEUlT_E_NS1_11comp_targetILNS1_3genE10ELNS1_11target_archE1201ELNS1_3gpuE5ELNS1_3repE0EEENS1_44radix_sort_block_sort_config_static_selectorELNS0_4arch9wavefront6targetE1EEEvSJ_
		.amdhsa_group_segment_fixed_size 0
		.amdhsa_private_segment_fixed_size 0
		.amdhsa_kernarg_size 48
		.amdhsa_user_sgpr_count 6
		.amdhsa_user_sgpr_private_segment_buffer 1
		.amdhsa_user_sgpr_dispatch_ptr 0
		.amdhsa_user_sgpr_queue_ptr 0
		.amdhsa_user_sgpr_kernarg_segment_ptr 1
		.amdhsa_user_sgpr_dispatch_id 0
		.amdhsa_user_sgpr_flat_scratch_init 0
		.amdhsa_user_sgpr_kernarg_preload_length 0
		.amdhsa_user_sgpr_kernarg_preload_offset 0
		.amdhsa_user_sgpr_private_segment_size 0
		.amdhsa_uses_dynamic_stack 0
		.amdhsa_system_sgpr_private_segment_wavefront_offset 0
		.amdhsa_system_sgpr_workgroup_id_x 1
		.amdhsa_system_sgpr_workgroup_id_y 0
		.amdhsa_system_sgpr_workgroup_id_z 0
		.amdhsa_system_sgpr_workgroup_info 0
		.amdhsa_system_vgpr_workitem_id 0
		.amdhsa_next_free_vgpr 1
		.amdhsa_next_free_sgpr 0
		.amdhsa_accum_offset 4
		.amdhsa_reserve_vcc 0
		.amdhsa_reserve_flat_scratch 0
		.amdhsa_float_round_mode_32 0
		.amdhsa_float_round_mode_16_64 0
		.amdhsa_float_denorm_mode_32 3
		.amdhsa_float_denorm_mode_16_64 3
		.amdhsa_dx10_clamp 1
		.amdhsa_ieee_mode 1
		.amdhsa_fp16_overflow 0
		.amdhsa_tg_split 0
		.amdhsa_exception_fp_ieee_invalid_op 0
		.amdhsa_exception_fp_denorm_src 0
		.amdhsa_exception_fp_ieee_div_zero 0
		.amdhsa_exception_fp_ieee_overflow 0
		.amdhsa_exception_fp_ieee_underflow 0
		.amdhsa_exception_fp_ieee_inexact 0
		.amdhsa_exception_int_div_zero 0
	.end_amdhsa_kernel
	.section	.text._ZN7rocprim17ROCPRIM_400000_NS6detail17trampoline_kernelINS0_13kernel_configILj256ELj4ELj4294967295EEENS1_37radix_sort_block_sort_config_selectorIjNS0_10empty_typeEEEZNS1_21radix_sort_block_sortIS4_Lb0EN6thrust23THRUST_200600_302600_NS6detail15normal_iteratorINSA_10device_ptrIjEEEESF_PS6_SG_NS0_19identity_decomposerEEE10hipError_tT1_T2_T3_T4_jRjT5_jjP12ihipStream_tbEUlT_E_NS1_11comp_targetILNS1_3genE10ELNS1_11target_archE1201ELNS1_3gpuE5ELNS1_3repE0EEENS1_44radix_sort_block_sort_config_static_selectorELNS0_4arch9wavefront6targetE1EEEvSJ_,"axG",@progbits,_ZN7rocprim17ROCPRIM_400000_NS6detail17trampoline_kernelINS0_13kernel_configILj256ELj4ELj4294967295EEENS1_37radix_sort_block_sort_config_selectorIjNS0_10empty_typeEEEZNS1_21radix_sort_block_sortIS4_Lb0EN6thrust23THRUST_200600_302600_NS6detail15normal_iteratorINSA_10device_ptrIjEEEESF_PS6_SG_NS0_19identity_decomposerEEE10hipError_tT1_T2_T3_T4_jRjT5_jjP12ihipStream_tbEUlT_E_NS1_11comp_targetILNS1_3genE10ELNS1_11target_archE1201ELNS1_3gpuE5ELNS1_3repE0EEENS1_44radix_sort_block_sort_config_static_selectorELNS0_4arch9wavefront6targetE1EEEvSJ_,comdat
.Lfunc_end956:
	.size	_ZN7rocprim17ROCPRIM_400000_NS6detail17trampoline_kernelINS0_13kernel_configILj256ELj4ELj4294967295EEENS1_37radix_sort_block_sort_config_selectorIjNS0_10empty_typeEEEZNS1_21radix_sort_block_sortIS4_Lb0EN6thrust23THRUST_200600_302600_NS6detail15normal_iteratorINSA_10device_ptrIjEEEESF_PS6_SG_NS0_19identity_decomposerEEE10hipError_tT1_T2_T3_T4_jRjT5_jjP12ihipStream_tbEUlT_E_NS1_11comp_targetILNS1_3genE10ELNS1_11target_archE1201ELNS1_3gpuE5ELNS1_3repE0EEENS1_44radix_sort_block_sort_config_static_selectorELNS0_4arch9wavefront6targetE1EEEvSJ_, .Lfunc_end956-_ZN7rocprim17ROCPRIM_400000_NS6detail17trampoline_kernelINS0_13kernel_configILj256ELj4ELj4294967295EEENS1_37radix_sort_block_sort_config_selectorIjNS0_10empty_typeEEEZNS1_21radix_sort_block_sortIS4_Lb0EN6thrust23THRUST_200600_302600_NS6detail15normal_iteratorINSA_10device_ptrIjEEEESF_PS6_SG_NS0_19identity_decomposerEEE10hipError_tT1_T2_T3_T4_jRjT5_jjP12ihipStream_tbEUlT_E_NS1_11comp_targetILNS1_3genE10ELNS1_11target_archE1201ELNS1_3gpuE5ELNS1_3repE0EEENS1_44radix_sort_block_sort_config_static_selectorELNS0_4arch9wavefront6targetE1EEEvSJ_
                                        ; -- End function
	.section	.AMDGPU.csdata,"",@progbits
; Kernel info:
; codeLenInByte = 0
; NumSgprs: 4
; NumVgprs: 0
; NumAgprs: 0
; TotalNumVgprs: 0
; ScratchSize: 0
; MemoryBound: 0
; FloatMode: 240
; IeeeMode: 1
; LDSByteSize: 0 bytes/workgroup (compile time only)
; SGPRBlocks: 0
; VGPRBlocks: 0
; NumSGPRsForWavesPerEU: 4
; NumVGPRsForWavesPerEU: 1
; AccumOffset: 4
; Occupancy: 8
; WaveLimiterHint : 0
; COMPUTE_PGM_RSRC2:SCRATCH_EN: 0
; COMPUTE_PGM_RSRC2:USER_SGPR: 6
; COMPUTE_PGM_RSRC2:TRAP_HANDLER: 0
; COMPUTE_PGM_RSRC2:TGID_X_EN: 1
; COMPUTE_PGM_RSRC2:TGID_Y_EN: 0
; COMPUTE_PGM_RSRC2:TGID_Z_EN: 0
; COMPUTE_PGM_RSRC2:TIDIG_COMP_CNT: 0
; COMPUTE_PGM_RSRC3_GFX90A:ACCUM_OFFSET: 0
; COMPUTE_PGM_RSRC3_GFX90A:TG_SPLIT: 0
	.section	.text._ZN7rocprim17ROCPRIM_400000_NS6detail17trampoline_kernelINS0_13kernel_configILj256ELj4ELj4294967295EEENS1_37radix_sort_block_sort_config_selectorIjNS0_10empty_typeEEEZNS1_21radix_sort_block_sortIS4_Lb0EN6thrust23THRUST_200600_302600_NS6detail15normal_iteratorINSA_10device_ptrIjEEEESF_PS6_SG_NS0_19identity_decomposerEEE10hipError_tT1_T2_T3_T4_jRjT5_jjP12ihipStream_tbEUlT_E_NS1_11comp_targetILNS1_3genE10ELNS1_11target_archE1200ELNS1_3gpuE4ELNS1_3repE0EEENS1_44radix_sort_block_sort_config_static_selectorELNS0_4arch9wavefront6targetE1EEEvSJ_,"axG",@progbits,_ZN7rocprim17ROCPRIM_400000_NS6detail17trampoline_kernelINS0_13kernel_configILj256ELj4ELj4294967295EEENS1_37radix_sort_block_sort_config_selectorIjNS0_10empty_typeEEEZNS1_21radix_sort_block_sortIS4_Lb0EN6thrust23THRUST_200600_302600_NS6detail15normal_iteratorINSA_10device_ptrIjEEEESF_PS6_SG_NS0_19identity_decomposerEEE10hipError_tT1_T2_T3_T4_jRjT5_jjP12ihipStream_tbEUlT_E_NS1_11comp_targetILNS1_3genE10ELNS1_11target_archE1200ELNS1_3gpuE4ELNS1_3repE0EEENS1_44radix_sort_block_sort_config_static_selectorELNS0_4arch9wavefront6targetE1EEEvSJ_,comdat
	.protected	_ZN7rocprim17ROCPRIM_400000_NS6detail17trampoline_kernelINS0_13kernel_configILj256ELj4ELj4294967295EEENS1_37radix_sort_block_sort_config_selectorIjNS0_10empty_typeEEEZNS1_21radix_sort_block_sortIS4_Lb0EN6thrust23THRUST_200600_302600_NS6detail15normal_iteratorINSA_10device_ptrIjEEEESF_PS6_SG_NS0_19identity_decomposerEEE10hipError_tT1_T2_T3_T4_jRjT5_jjP12ihipStream_tbEUlT_E_NS1_11comp_targetILNS1_3genE10ELNS1_11target_archE1200ELNS1_3gpuE4ELNS1_3repE0EEENS1_44radix_sort_block_sort_config_static_selectorELNS0_4arch9wavefront6targetE1EEEvSJ_ ; -- Begin function _ZN7rocprim17ROCPRIM_400000_NS6detail17trampoline_kernelINS0_13kernel_configILj256ELj4ELj4294967295EEENS1_37radix_sort_block_sort_config_selectorIjNS0_10empty_typeEEEZNS1_21radix_sort_block_sortIS4_Lb0EN6thrust23THRUST_200600_302600_NS6detail15normal_iteratorINSA_10device_ptrIjEEEESF_PS6_SG_NS0_19identity_decomposerEEE10hipError_tT1_T2_T3_T4_jRjT5_jjP12ihipStream_tbEUlT_E_NS1_11comp_targetILNS1_3genE10ELNS1_11target_archE1200ELNS1_3gpuE4ELNS1_3repE0EEENS1_44radix_sort_block_sort_config_static_selectorELNS0_4arch9wavefront6targetE1EEEvSJ_
	.globl	_ZN7rocprim17ROCPRIM_400000_NS6detail17trampoline_kernelINS0_13kernel_configILj256ELj4ELj4294967295EEENS1_37radix_sort_block_sort_config_selectorIjNS0_10empty_typeEEEZNS1_21radix_sort_block_sortIS4_Lb0EN6thrust23THRUST_200600_302600_NS6detail15normal_iteratorINSA_10device_ptrIjEEEESF_PS6_SG_NS0_19identity_decomposerEEE10hipError_tT1_T2_T3_T4_jRjT5_jjP12ihipStream_tbEUlT_E_NS1_11comp_targetILNS1_3genE10ELNS1_11target_archE1200ELNS1_3gpuE4ELNS1_3repE0EEENS1_44radix_sort_block_sort_config_static_selectorELNS0_4arch9wavefront6targetE1EEEvSJ_
	.p2align	8
	.type	_ZN7rocprim17ROCPRIM_400000_NS6detail17trampoline_kernelINS0_13kernel_configILj256ELj4ELj4294967295EEENS1_37radix_sort_block_sort_config_selectorIjNS0_10empty_typeEEEZNS1_21radix_sort_block_sortIS4_Lb0EN6thrust23THRUST_200600_302600_NS6detail15normal_iteratorINSA_10device_ptrIjEEEESF_PS6_SG_NS0_19identity_decomposerEEE10hipError_tT1_T2_T3_T4_jRjT5_jjP12ihipStream_tbEUlT_E_NS1_11comp_targetILNS1_3genE10ELNS1_11target_archE1200ELNS1_3gpuE4ELNS1_3repE0EEENS1_44radix_sort_block_sort_config_static_selectorELNS0_4arch9wavefront6targetE1EEEvSJ_,@function
_ZN7rocprim17ROCPRIM_400000_NS6detail17trampoline_kernelINS0_13kernel_configILj256ELj4ELj4294967295EEENS1_37radix_sort_block_sort_config_selectorIjNS0_10empty_typeEEEZNS1_21radix_sort_block_sortIS4_Lb0EN6thrust23THRUST_200600_302600_NS6detail15normal_iteratorINSA_10device_ptrIjEEEESF_PS6_SG_NS0_19identity_decomposerEEE10hipError_tT1_T2_T3_T4_jRjT5_jjP12ihipStream_tbEUlT_E_NS1_11comp_targetILNS1_3genE10ELNS1_11target_archE1200ELNS1_3gpuE4ELNS1_3repE0EEENS1_44radix_sort_block_sort_config_static_selectorELNS0_4arch9wavefront6targetE1EEEvSJ_: ; @_ZN7rocprim17ROCPRIM_400000_NS6detail17trampoline_kernelINS0_13kernel_configILj256ELj4ELj4294967295EEENS1_37radix_sort_block_sort_config_selectorIjNS0_10empty_typeEEEZNS1_21radix_sort_block_sortIS4_Lb0EN6thrust23THRUST_200600_302600_NS6detail15normal_iteratorINSA_10device_ptrIjEEEESF_PS6_SG_NS0_19identity_decomposerEEE10hipError_tT1_T2_T3_T4_jRjT5_jjP12ihipStream_tbEUlT_E_NS1_11comp_targetILNS1_3genE10ELNS1_11target_archE1200ELNS1_3gpuE4ELNS1_3repE0EEENS1_44radix_sort_block_sort_config_static_selectorELNS0_4arch9wavefront6targetE1EEEvSJ_
; %bb.0:
	.section	.rodata,"a",@progbits
	.p2align	6, 0x0
	.amdhsa_kernel _ZN7rocprim17ROCPRIM_400000_NS6detail17trampoline_kernelINS0_13kernel_configILj256ELj4ELj4294967295EEENS1_37radix_sort_block_sort_config_selectorIjNS0_10empty_typeEEEZNS1_21radix_sort_block_sortIS4_Lb0EN6thrust23THRUST_200600_302600_NS6detail15normal_iteratorINSA_10device_ptrIjEEEESF_PS6_SG_NS0_19identity_decomposerEEE10hipError_tT1_T2_T3_T4_jRjT5_jjP12ihipStream_tbEUlT_E_NS1_11comp_targetILNS1_3genE10ELNS1_11target_archE1200ELNS1_3gpuE4ELNS1_3repE0EEENS1_44radix_sort_block_sort_config_static_selectorELNS0_4arch9wavefront6targetE1EEEvSJ_
		.amdhsa_group_segment_fixed_size 0
		.amdhsa_private_segment_fixed_size 0
		.amdhsa_kernarg_size 48
		.amdhsa_user_sgpr_count 6
		.amdhsa_user_sgpr_private_segment_buffer 1
		.amdhsa_user_sgpr_dispatch_ptr 0
		.amdhsa_user_sgpr_queue_ptr 0
		.amdhsa_user_sgpr_kernarg_segment_ptr 1
		.amdhsa_user_sgpr_dispatch_id 0
		.amdhsa_user_sgpr_flat_scratch_init 0
		.amdhsa_user_sgpr_kernarg_preload_length 0
		.amdhsa_user_sgpr_kernarg_preload_offset 0
		.amdhsa_user_sgpr_private_segment_size 0
		.amdhsa_uses_dynamic_stack 0
		.amdhsa_system_sgpr_private_segment_wavefront_offset 0
		.amdhsa_system_sgpr_workgroup_id_x 1
		.amdhsa_system_sgpr_workgroup_id_y 0
		.amdhsa_system_sgpr_workgroup_id_z 0
		.amdhsa_system_sgpr_workgroup_info 0
		.amdhsa_system_vgpr_workitem_id 0
		.amdhsa_next_free_vgpr 1
		.amdhsa_next_free_sgpr 0
		.amdhsa_accum_offset 4
		.amdhsa_reserve_vcc 0
		.amdhsa_reserve_flat_scratch 0
		.amdhsa_float_round_mode_32 0
		.amdhsa_float_round_mode_16_64 0
		.amdhsa_float_denorm_mode_32 3
		.amdhsa_float_denorm_mode_16_64 3
		.amdhsa_dx10_clamp 1
		.amdhsa_ieee_mode 1
		.amdhsa_fp16_overflow 0
		.amdhsa_tg_split 0
		.amdhsa_exception_fp_ieee_invalid_op 0
		.amdhsa_exception_fp_denorm_src 0
		.amdhsa_exception_fp_ieee_div_zero 0
		.amdhsa_exception_fp_ieee_overflow 0
		.amdhsa_exception_fp_ieee_underflow 0
		.amdhsa_exception_fp_ieee_inexact 0
		.amdhsa_exception_int_div_zero 0
	.end_amdhsa_kernel
	.section	.text._ZN7rocprim17ROCPRIM_400000_NS6detail17trampoline_kernelINS0_13kernel_configILj256ELj4ELj4294967295EEENS1_37radix_sort_block_sort_config_selectorIjNS0_10empty_typeEEEZNS1_21radix_sort_block_sortIS4_Lb0EN6thrust23THRUST_200600_302600_NS6detail15normal_iteratorINSA_10device_ptrIjEEEESF_PS6_SG_NS0_19identity_decomposerEEE10hipError_tT1_T2_T3_T4_jRjT5_jjP12ihipStream_tbEUlT_E_NS1_11comp_targetILNS1_3genE10ELNS1_11target_archE1200ELNS1_3gpuE4ELNS1_3repE0EEENS1_44radix_sort_block_sort_config_static_selectorELNS0_4arch9wavefront6targetE1EEEvSJ_,"axG",@progbits,_ZN7rocprim17ROCPRIM_400000_NS6detail17trampoline_kernelINS0_13kernel_configILj256ELj4ELj4294967295EEENS1_37radix_sort_block_sort_config_selectorIjNS0_10empty_typeEEEZNS1_21radix_sort_block_sortIS4_Lb0EN6thrust23THRUST_200600_302600_NS6detail15normal_iteratorINSA_10device_ptrIjEEEESF_PS6_SG_NS0_19identity_decomposerEEE10hipError_tT1_T2_T3_T4_jRjT5_jjP12ihipStream_tbEUlT_E_NS1_11comp_targetILNS1_3genE10ELNS1_11target_archE1200ELNS1_3gpuE4ELNS1_3repE0EEENS1_44radix_sort_block_sort_config_static_selectorELNS0_4arch9wavefront6targetE1EEEvSJ_,comdat
.Lfunc_end957:
	.size	_ZN7rocprim17ROCPRIM_400000_NS6detail17trampoline_kernelINS0_13kernel_configILj256ELj4ELj4294967295EEENS1_37radix_sort_block_sort_config_selectorIjNS0_10empty_typeEEEZNS1_21radix_sort_block_sortIS4_Lb0EN6thrust23THRUST_200600_302600_NS6detail15normal_iteratorINSA_10device_ptrIjEEEESF_PS6_SG_NS0_19identity_decomposerEEE10hipError_tT1_T2_T3_T4_jRjT5_jjP12ihipStream_tbEUlT_E_NS1_11comp_targetILNS1_3genE10ELNS1_11target_archE1200ELNS1_3gpuE4ELNS1_3repE0EEENS1_44radix_sort_block_sort_config_static_selectorELNS0_4arch9wavefront6targetE1EEEvSJ_, .Lfunc_end957-_ZN7rocprim17ROCPRIM_400000_NS6detail17trampoline_kernelINS0_13kernel_configILj256ELj4ELj4294967295EEENS1_37radix_sort_block_sort_config_selectorIjNS0_10empty_typeEEEZNS1_21radix_sort_block_sortIS4_Lb0EN6thrust23THRUST_200600_302600_NS6detail15normal_iteratorINSA_10device_ptrIjEEEESF_PS6_SG_NS0_19identity_decomposerEEE10hipError_tT1_T2_T3_T4_jRjT5_jjP12ihipStream_tbEUlT_E_NS1_11comp_targetILNS1_3genE10ELNS1_11target_archE1200ELNS1_3gpuE4ELNS1_3repE0EEENS1_44radix_sort_block_sort_config_static_selectorELNS0_4arch9wavefront6targetE1EEEvSJ_
                                        ; -- End function
	.section	.AMDGPU.csdata,"",@progbits
; Kernel info:
; codeLenInByte = 0
; NumSgprs: 4
; NumVgprs: 0
; NumAgprs: 0
; TotalNumVgprs: 0
; ScratchSize: 0
; MemoryBound: 0
; FloatMode: 240
; IeeeMode: 1
; LDSByteSize: 0 bytes/workgroup (compile time only)
; SGPRBlocks: 0
; VGPRBlocks: 0
; NumSGPRsForWavesPerEU: 4
; NumVGPRsForWavesPerEU: 1
; AccumOffset: 4
; Occupancy: 8
; WaveLimiterHint : 0
; COMPUTE_PGM_RSRC2:SCRATCH_EN: 0
; COMPUTE_PGM_RSRC2:USER_SGPR: 6
; COMPUTE_PGM_RSRC2:TRAP_HANDLER: 0
; COMPUTE_PGM_RSRC2:TGID_X_EN: 1
; COMPUTE_PGM_RSRC2:TGID_Y_EN: 0
; COMPUTE_PGM_RSRC2:TGID_Z_EN: 0
; COMPUTE_PGM_RSRC2:TIDIG_COMP_CNT: 0
; COMPUTE_PGM_RSRC3_GFX90A:ACCUM_OFFSET: 0
; COMPUTE_PGM_RSRC3_GFX90A:TG_SPLIT: 0
	.section	.text._ZN7rocprim17ROCPRIM_400000_NS6detail17trampoline_kernelINS0_13kernel_configILj256ELj4ELj4294967295EEENS1_37radix_sort_block_sort_config_selectorIjNS0_10empty_typeEEEZNS1_21radix_sort_block_sortIS4_Lb0EN6thrust23THRUST_200600_302600_NS6detail15normal_iteratorINSA_10device_ptrIjEEEESF_PS6_SG_NS0_19identity_decomposerEEE10hipError_tT1_T2_T3_T4_jRjT5_jjP12ihipStream_tbEUlT_E_NS1_11comp_targetILNS1_3genE9ELNS1_11target_archE1100ELNS1_3gpuE3ELNS1_3repE0EEENS1_44radix_sort_block_sort_config_static_selectorELNS0_4arch9wavefront6targetE1EEEvSJ_,"axG",@progbits,_ZN7rocprim17ROCPRIM_400000_NS6detail17trampoline_kernelINS0_13kernel_configILj256ELj4ELj4294967295EEENS1_37radix_sort_block_sort_config_selectorIjNS0_10empty_typeEEEZNS1_21radix_sort_block_sortIS4_Lb0EN6thrust23THRUST_200600_302600_NS6detail15normal_iteratorINSA_10device_ptrIjEEEESF_PS6_SG_NS0_19identity_decomposerEEE10hipError_tT1_T2_T3_T4_jRjT5_jjP12ihipStream_tbEUlT_E_NS1_11comp_targetILNS1_3genE9ELNS1_11target_archE1100ELNS1_3gpuE3ELNS1_3repE0EEENS1_44radix_sort_block_sort_config_static_selectorELNS0_4arch9wavefront6targetE1EEEvSJ_,comdat
	.protected	_ZN7rocprim17ROCPRIM_400000_NS6detail17trampoline_kernelINS0_13kernel_configILj256ELj4ELj4294967295EEENS1_37radix_sort_block_sort_config_selectorIjNS0_10empty_typeEEEZNS1_21radix_sort_block_sortIS4_Lb0EN6thrust23THRUST_200600_302600_NS6detail15normal_iteratorINSA_10device_ptrIjEEEESF_PS6_SG_NS0_19identity_decomposerEEE10hipError_tT1_T2_T3_T4_jRjT5_jjP12ihipStream_tbEUlT_E_NS1_11comp_targetILNS1_3genE9ELNS1_11target_archE1100ELNS1_3gpuE3ELNS1_3repE0EEENS1_44radix_sort_block_sort_config_static_selectorELNS0_4arch9wavefront6targetE1EEEvSJ_ ; -- Begin function _ZN7rocprim17ROCPRIM_400000_NS6detail17trampoline_kernelINS0_13kernel_configILj256ELj4ELj4294967295EEENS1_37radix_sort_block_sort_config_selectorIjNS0_10empty_typeEEEZNS1_21radix_sort_block_sortIS4_Lb0EN6thrust23THRUST_200600_302600_NS6detail15normal_iteratorINSA_10device_ptrIjEEEESF_PS6_SG_NS0_19identity_decomposerEEE10hipError_tT1_T2_T3_T4_jRjT5_jjP12ihipStream_tbEUlT_E_NS1_11comp_targetILNS1_3genE9ELNS1_11target_archE1100ELNS1_3gpuE3ELNS1_3repE0EEENS1_44radix_sort_block_sort_config_static_selectorELNS0_4arch9wavefront6targetE1EEEvSJ_
	.globl	_ZN7rocprim17ROCPRIM_400000_NS6detail17trampoline_kernelINS0_13kernel_configILj256ELj4ELj4294967295EEENS1_37radix_sort_block_sort_config_selectorIjNS0_10empty_typeEEEZNS1_21radix_sort_block_sortIS4_Lb0EN6thrust23THRUST_200600_302600_NS6detail15normal_iteratorINSA_10device_ptrIjEEEESF_PS6_SG_NS0_19identity_decomposerEEE10hipError_tT1_T2_T3_T4_jRjT5_jjP12ihipStream_tbEUlT_E_NS1_11comp_targetILNS1_3genE9ELNS1_11target_archE1100ELNS1_3gpuE3ELNS1_3repE0EEENS1_44radix_sort_block_sort_config_static_selectorELNS0_4arch9wavefront6targetE1EEEvSJ_
	.p2align	8
	.type	_ZN7rocprim17ROCPRIM_400000_NS6detail17trampoline_kernelINS0_13kernel_configILj256ELj4ELj4294967295EEENS1_37radix_sort_block_sort_config_selectorIjNS0_10empty_typeEEEZNS1_21radix_sort_block_sortIS4_Lb0EN6thrust23THRUST_200600_302600_NS6detail15normal_iteratorINSA_10device_ptrIjEEEESF_PS6_SG_NS0_19identity_decomposerEEE10hipError_tT1_T2_T3_T4_jRjT5_jjP12ihipStream_tbEUlT_E_NS1_11comp_targetILNS1_3genE9ELNS1_11target_archE1100ELNS1_3gpuE3ELNS1_3repE0EEENS1_44radix_sort_block_sort_config_static_selectorELNS0_4arch9wavefront6targetE1EEEvSJ_,@function
_ZN7rocprim17ROCPRIM_400000_NS6detail17trampoline_kernelINS0_13kernel_configILj256ELj4ELj4294967295EEENS1_37radix_sort_block_sort_config_selectorIjNS0_10empty_typeEEEZNS1_21radix_sort_block_sortIS4_Lb0EN6thrust23THRUST_200600_302600_NS6detail15normal_iteratorINSA_10device_ptrIjEEEESF_PS6_SG_NS0_19identity_decomposerEEE10hipError_tT1_T2_T3_T4_jRjT5_jjP12ihipStream_tbEUlT_E_NS1_11comp_targetILNS1_3genE9ELNS1_11target_archE1100ELNS1_3gpuE3ELNS1_3repE0EEENS1_44radix_sort_block_sort_config_static_selectorELNS0_4arch9wavefront6targetE1EEEvSJ_: ; @_ZN7rocprim17ROCPRIM_400000_NS6detail17trampoline_kernelINS0_13kernel_configILj256ELj4ELj4294967295EEENS1_37radix_sort_block_sort_config_selectorIjNS0_10empty_typeEEEZNS1_21radix_sort_block_sortIS4_Lb0EN6thrust23THRUST_200600_302600_NS6detail15normal_iteratorINSA_10device_ptrIjEEEESF_PS6_SG_NS0_19identity_decomposerEEE10hipError_tT1_T2_T3_T4_jRjT5_jjP12ihipStream_tbEUlT_E_NS1_11comp_targetILNS1_3genE9ELNS1_11target_archE1100ELNS1_3gpuE3ELNS1_3repE0EEENS1_44radix_sort_block_sort_config_static_selectorELNS0_4arch9wavefront6targetE1EEEvSJ_
; %bb.0:
	.section	.rodata,"a",@progbits
	.p2align	6, 0x0
	.amdhsa_kernel _ZN7rocprim17ROCPRIM_400000_NS6detail17trampoline_kernelINS0_13kernel_configILj256ELj4ELj4294967295EEENS1_37radix_sort_block_sort_config_selectorIjNS0_10empty_typeEEEZNS1_21radix_sort_block_sortIS4_Lb0EN6thrust23THRUST_200600_302600_NS6detail15normal_iteratorINSA_10device_ptrIjEEEESF_PS6_SG_NS0_19identity_decomposerEEE10hipError_tT1_T2_T3_T4_jRjT5_jjP12ihipStream_tbEUlT_E_NS1_11comp_targetILNS1_3genE9ELNS1_11target_archE1100ELNS1_3gpuE3ELNS1_3repE0EEENS1_44radix_sort_block_sort_config_static_selectorELNS0_4arch9wavefront6targetE1EEEvSJ_
		.amdhsa_group_segment_fixed_size 0
		.amdhsa_private_segment_fixed_size 0
		.amdhsa_kernarg_size 48
		.amdhsa_user_sgpr_count 6
		.amdhsa_user_sgpr_private_segment_buffer 1
		.amdhsa_user_sgpr_dispatch_ptr 0
		.amdhsa_user_sgpr_queue_ptr 0
		.amdhsa_user_sgpr_kernarg_segment_ptr 1
		.amdhsa_user_sgpr_dispatch_id 0
		.amdhsa_user_sgpr_flat_scratch_init 0
		.amdhsa_user_sgpr_kernarg_preload_length 0
		.amdhsa_user_sgpr_kernarg_preload_offset 0
		.amdhsa_user_sgpr_private_segment_size 0
		.amdhsa_uses_dynamic_stack 0
		.amdhsa_system_sgpr_private_segment_wavefront_offset 0
		.amdhsa_system_sgpr_workgroup_id_x 1
		.amdhsa_system_sgpr_workgroup_id_y 0
		.amdhsa_system_sgpr_workgroup_id_z 0
		.amdhsa_system_sgpr_workgroup_info 0
		.amdhsa_system_vgpr_workitem_id 0
		.amdhsa_next_free_vgpr 1
		.amdhsa_next_free_sgpr 0
		.amdhsa_accum_offset 4
		.amdhsa_reserve_vcc 0
		.amdhsa_reserve_flat_scratch 0
		.amdhsa_float_round_mode_32 0
		.amdhsa_float_round_mode_16_64 0
		.amdhsa_float_denorm_mode_32 3
		.amdhsa_float_denorm_mode_16_64 3
		.amdhsa_dx10_clamp 1
		.amdhsa_ieee_mode 1
		.amdhsa_fp16_overflow 0
		.amdhsa_tg_split 0
		.amdhsa_exception_fp_ieee_invalid_op 0
		.amdhsa_exception_fp_denorm_src 0
		.amdhsa_exception_fp_ieee_div_zero 0
		.amdhsa_exception_fp_ieee_overflow 0
		.amdhsa_exception_fp_ieee_underflow 0
		.amdhsa_exception_fp_ieee_inexact 0
		.amdhsa_exception_int_div_zero 0
	.end_amdhsa_kernel
	.section	.text._ZN7rocprim17ROCPRIM_400000_NS6detail17trampoline_kernelINS0_13kernel_configILj256ELj4ELj4294967295EEENS1_37radix_sort_block_sort_config_selectorIjNS0_10empty_typeEEEZNS1_21radix_sort_block_sortIS4_Lb0EN6thrust23THRUST_200600_302600_NS6detail15normal_iteratorINSA_10device_ptrIjEEEESF_PS6_SG_NS0_19identity_decomposerEEE10hipError_tT1_T2_T3_T4_jRjT5_jjP12ihipStream_tbEUlT_E_NS1_11comp_targetILNS1_3genE9ELNS1_11target_archE1100ELNS1_3gpuE3ELNS1_3repE0EEENS1_44radix_sort_block_sort_config_static_selectorELNS0_4arch9wavefront6targetE1EEEvSJ_,"axG",@progbits,_ZN7rocprim17ROCPRIM_400000_NS6detail17trampoline_kernelINS0_13kernel_configILj256ELj4ELj4294967295EEENS1_37radix_sort_block_sort_config_selectorIjNS0_10empty_typeEEEZNS1_21radix_sort_block_sortIS4_Lb0EN6thrust23THRUST_200600_302600_NS6detail15normal_iteratorINSA_10device_ptrIjEEEESF_PS6_SG_NS0_19identity_decomposerEEE10hipError_tT1_T2_T3_T4_jRjT5_jjP12ihipStream_tbEUlT_E_NS1_11comp_targetILNS1_3genE9ELNS1_11target_archE1100ELNS1_3gpuE3ELNS1_3repE0EEENS1_44radix_sort_block_sort_config_static_selectorELNS0_4arch9wavefront6targetE1EEEvSJ_,comdat
.Lfunc_end958:
	.size	_ZN7rocprim17ROCPRIM_400000_NS6detail17trampoline_kernelINS0_13kernel_configILj256ELj4ELj4294967295EEENS1_37radix_sort_block_sort_config_selectorIjNS0_10empty_typeEEEZNS1_21radix_sort_block_sortIS4_Lb0EN6thrust23THRUST_200600_302600_NS6detail15normal_iteratorINSA_10device_ptrIjEEEESF_PS6_SG_NS0_19identity_decomposerEEE10hipError_tT1_T2_T3_T4_jRjT5_jjP12ihipStream_tbEUlT_E_NS1_11comp_targetILNS1_3genE9ELNS1_11target_archE1100ELNS1_3gpuE3ELNS1_3repE0EEENS1_44radix_sort_block_sort_config_static_selectorELNS0_4arch9wavefront6targetE1EEEvSJ_, .Lfunc_end958-_ZN7rocprim17ROCPRIM_400000_NS6detail17trampoline_kernelINS0_13kernel_configILj256ELj4ELj4294967295EEENS1_37radix_sort_block_sort_config_selectorIjNS0_10empty_typeEEEZNS1_21radix_sort_block_sortIS4_Lb0EN6thrust23THRUST_200600_302600_NS6detail15normal_iteratorINSA_10device_ptrIjEEEESF_PS6_SG_NS0_19identity_decomposerEEE10hipError_tT1_T2_T3_T4_jRjT5_jjP12ihipStream_tbEUlT_E_NS1_11comp_targetILNS1_3genE9ELNS1_11target_archE1100ELNS1_3gpuE3ELNS1_3repE0EEENS1_44radix_sort_block_sort_config_static_selectorELNS0_4arch9wavefront6targetE1EEEvSJ_
                                        ; -- End function
	.section	.AMDGPU.csdata,"",@progbits
; Kernel info:
; codeLenInByte = 0
; NumSgprs: 4
; NumVgprs: 0
; NumAgprs: 0
; TotalNumVgprs: 0
; ScratchSize: 0
; MemoryBound: 0
; FloatMode: 240
; IeeeMode: 1
; LDSByteSize: 0 bytes/workgroup (compile time only)
; SGPRBlocks: 0
; VGPRBlocks: 0
; NumSGPRsForWavesPerEU: 4
; NumVGPRsForWavesPerEU: 1
; AccumOffset: 4
; Occupancy: 8
; WaveLimiterHint : 0
; COMPUTE_PGM_RSRC2:SCRATCH_EN: 0
; COMPUTE_PGM_RSRC2:USER_SGPR: 6
; COMPUTE_PGM_RSRC2:TRAP_HANDLER: 0
; COMPUTE_PGM_RSRC2:TGID_X_EN: 1
; COMPUTE_PGM_RSRC2:TGID_Y_EN: 0
; COMPUTE_PGM_RSRC2:TGID_Z_EN: 0
; COMPUTE_PGM_RSRC2:TIDIG_COMP_CNT: 0
; COMPUTE_PGM_RSRC3_GFX90A:ACCUM_OFFSET: 0
; COMPUTE_PGM_RSRC3_GFX90A:TG_SPLIT: 0
	.section	.text._ZN7rocprim17ROCPRIM_400000_NS6detail17trampoline_kernelINS0_13kernel_configILj256ELj4ELj4294967295EEENS1_37radix_sort_block_sort_config_selectorIjNS0_10empty_typeEEEZNS1_21radix_sort_block_sortIS4_Lb0EN6thrust23THRUST_200600_302600_NS6detail15normal_iteratorINSA_10device_ptrIjEEEESF_PS6_SG_NS0_19identity_decomposerEEE10hipError_tT1_T2_T3_T4_jRjT5_jjP12ihipStream_tbEUlT_E_NS1_11comp_targetILNS1_3genE8ELNS1_11target_archE1030ELNS1_3gpuE2ELNS1_3repE0EEENS1_44radix_sort_block_sort_config_static_selectorELNS0_4arch9wavefront6targetE1EEEvSJ_,"axG",@progbits,_ZN7rocprim17ROCPRIM_400000_NS6detail17trampoline_kernelINS0_13kernel_configILj256ELj4ELj4294967295EEENS1_37radix_sort_block_sort_config_selectorIjNS0_10empty_typeEEEZNS1_21radix_sort_block_sortIS4_Lb0EN6thrust23THRUST_200600_302600_NS6detail15normal_iteratorINSA_10device_ptrIjEEEESF_PS6_SG_NS0_19identity_decomposerEEE10hipError_tT1_T2_T3_T4_jRjT5_jjP12ihipStream_tbEUlT_E_NS1_11comp_targetILNS1_3genE8ELNS1_11target_archE1030ELNS1_3gpuE2ELNS1_3repE0EEENS1_44radix_sort_block_sort_config_static_selectorELNS0_4arch9wavefront6targetE1EEEvSJ_,comdat
	.protected	_ZN7rocprim17ROCPRIM_400000_NS6detail17trampoline_kernelINS0_13kernel_configILj256ELj4ELj4294967295EEENS1_37radix_sort_block_sort_config_selectorIjNS0_10empty_typeEEEZNS1_21radix_sort_block_sortIS4_Lb0EN6thrust23THRUST_200600_302600_NS6detail15normal_iteratorINSA_10device_ptrIjEEEESF_PS6_SG_NS0_19identity_decomposerEEE10hipError_tT1_T2_T3_T4_jRjT5_jjP12ihipStream_tbEUlT_E_NS1_11comp_targetILNS1_3genE8ELNS1_11target_archE1030ELNS1_3gpuE2ELNS1_3repE0EEENS1_44radix_sort_block_sort_config_static_selectorELNS0_4arch9wavefront6targetE1EEEvSJ_ ; -- Begin function _ZN7rocprim17ROCPRIM_400000_NS6detail17trampoline_kernelINS0_13kernel_configILj256ELj4ELj4294967295EEENS1_37radix_sort_block_sort_config_selectorIjNS0_10empty_typeEEEZNS1_21radix_sort_block_sortIS4_Lb0EN6thrust23THRUST_200600_302600_NS6detail15normal_iteratorINSA_10device_ptrIjEEEESF_PS6_SG_NS0_19identity_decomposerEEE10hipError_tT1_T2_T3_T4_jRjT5_jjP12ihipStream_tbEUlT_E_NS1_11comp_targetILNS1_3genE8ELNS1_11target_archE1030ELNS1_3gpuE2ELNS1_3repE0EEENS1_44radix_sort_block_sort_config_static_selectorELNS0_4arch9wavefront6targetE1EEEvSJ_
	.globl	_ZN7rocprim17ROCPRIM_400000_NS6detail17trampoline_kernelINS0_13kernel_configILj256ELj4ELj4294967295EEENS1_37radix_sort_block_sort_config_selectorIjNS0_10empty_typeEEEZNS1_21radix_sort_block_sortIS4_Lb0EN6thrust23THRUST_200600_302600_NS6detail15normal_iteratorINSA_10device_ptrIjEEEESF_PS6_SG_NS0_19identity_decomposerEEE10hipError_tT1_T2_T3_T4_jRjT5_jjP12ihipStream_tbEUlT_E_NS1_11comp_targetILNS1_3genE8ELNS1_11target_archE1030ELNS1_3gpuE2ELNS1_3repE0EEENS1_44radix_sort_block_sort_config_static_selectorELNS0_4arch9wavefront6targetE1EEEvSJ_
	.p2align	8
	.type	_ZN7rocprim17ROCPRIM_400000_NS6detail17trampoline_kernelINS0_13kernel_configILj256ELj4ELj4294967295EEENS1_37radix_sort_block_sort_config_selectorIjNS0_10empty_typeEEEZNS1_21radix_sort_block_sortIS4_Lb0EN6thrust23THRUST_200600_302600_NS6detail15normal_iteratorINSA_10device_ptrIjEEEESF_PS6_SG_NS0_19identity_decomposerEEE10hipError_tT1_T2_T3_T4_jRjT5_jjP12ihipStream_tbEUlT_E_NS1_11comp_targetILNS1_3genE8ELNS1_11target_archE1030ELNS1_3gpuE2ELNS1_3repE0EEENS1_44radix_sort_block_sort_config_static_selectorELNS0_4arch9wavefront6targetE1EEEvSJ_,@function
_ZN7rocprim17ROCPRIM_400000_NS6detail17trampoline_kernelINS0_13kernel_configILj256ELj4ELj4294967295EEENS1_37radix_sort_block_sort_config_selectorIjNS0_10empty_typeEEEZNS1_21radix_sort_block_sortIS4_Lb0EN6thrust23THRUST_200600_302600_NS6detail15normal_iteratorINSA_10device_ptrIjEEEESF_PS6_SG_NS0_19identity_decomposerEEE10hipError_tT1_T2_T3_T4_jRjT5_jjP12ihipStream_tbEUlT_E_NS1_11comp_targetILNS1_3genE8ELNS1_11target_archE1030ELNS1_3gpuE2ELNS1_3repE0EEENS1_44radix_sort_block_sort_config_static_selectorELNS0_4arch9wavefront6targetE1EEEvSJ_: ; @_ZN7rocprim17ROCPRIM_400000_NS6detail17trampoline_kernelINS0_13kernel_configILj256ELj4ELj4294967295EEENS1_37radix_sort_block_sort_config_selectorIjNS0_10empty_typeEEEZNS1_21radix_sort_block_sortIS4_Lb0EN6thrust23THRUST_200600_302600_NS6detail15normal_iteratorINSA_10device_ptrIjEEEESF_PS6_SG_NS0_19identity_decomposerEEE10hipError_tT1_T2_T3_T4_jRjT5_jjP12ihipStream_tbEUlT_E_NS1_11comp_targetILNS1_3genE8ELNS1_11target_archE1030ELNS1_3gpuE2ELNS1_3repE0EEENS1_44radix_sort_block_sort_config_static_selectorELNS0_4arch9wavefront6targetE1EEEvSJ_
; %bb.0:
	.section	.rodata,"a",@progbits
	.p2align	6, 0x0
	.amdhsa_kernel _ZN7rocprim17ROCPRIM_400000_NS6detail17trampoline_kernelINS0_13kernel_configILj256ELj4ELj4294967295EEENS1_37radix_sort_block_sort_config_selectorIjNS0_10empty_typeEEEZNS1_21radix_sort_block_sortIS4_Lb0EN6thrust23THRUST_200600_302600_NS6detail15normal_iteratorINSA_10device_ptrIjEEEESF_PS6_SG_NS0_19identity_decomposerEEE10hipError_tT1_T2_T3_T4_jRjT5_jjP12ihipStream_tbEUlT_E_NS1_11comp_targetILNS1_3genE8ELNS1_11target_archE1030ELNS1_3gpuE2ELNS1_3repE0EEENS1_44radix_sort_block_sort_config_static_selectorELNS0_4arch9wavefront6targetE1EEEvSJ_
		.amdhsa_group_segment_fixed_size 0
		.amdhsa_private_segment_fixed_size 0
		.amdhsa_kernarg_size 48
		.amdhsa_user_sgpr_count 6
		.amdhsa_user_sgpr_private_segment_buffer 1
		.amdhsa_user_sgpr_dispatch_ptr 0
		.amdhsa_user_sgpr_queue_ptr 0
		.amdhsa_user_sgpr_kernarg_segment_ptr 1
		.amdhsa_user_sgpr_dispatch_id 0
		.amdhsa_user_sgpr_flat_scratch_init 0
		.amdhsa_user_sgpr_kernarg_preload_length 0
		.amdhsa_user_sgpr_kernarg_preload_offset 0
		.amdhsa_user_sgpr_private_segment_size 0
		.amdhsa_uses_dynamic_stack 0
		.amdhsa_system_sgpr_private_segment_wavefront_offset 0
		.amdhsa_system_sgpr_workgroup_id_x 1
		.amdhsa_system_sgpr_workgroup_id_y 0
		.amdhsa_system_sgpr_workgroup_id_z 0
		.amdhsa_system_sgpr_workgroup_info 0
		.amdhsa_system_vgpr_workitem_id 0
		.amdhsa_next_free_vgpr 1
		.amdhsa_next_free_sgpr 0
		.amdhsa_accum_offset 4
		.amdhsa_reserve_vcc 0
		.amdhsa_reserve_flat_scratch 0
		.amdhsa_float_round_mode_32 0
		.amdhsa_float_round_mode_16_64 0
		.amdhsa_float_denorm_mode_32 3
		.amdhsa_float_denorm_mode_16_64 3
		.amdhsa_dx10_clamp 1
		.amdhsa_ieee_mode 1
		.amdhsa_fp16_overflow 0
		.amdhsa_tg_split 0
		.amdhsa_exception_fp_ieee_invalid_op 0
		.amdhsa_exception_fp_denorm_src 0
		.amdhsa_exception_fp_ieee_div_zero 0
		.amdhsa_exception_fp_ieee_overflow 0
		.amdhsa_exception_fp_ieee_underflow 0
		.amdhsa_exception_fp_ieee_inexact 0
		.amdhsa_exception_int_div_zero 0
	.end_amdhsa_kernel
	.section	.text._ZN7rocprim17ROCPRIM_400000_NS6detail17trampoline_kernelINS0_13kernel_configILj256ELj4ELj4294967295EEENS1_37radix_sort_block_sort_config_selectorIjNS0_10empty_typeEEEZNS1_21radix_sort_block_sortIS4_Lb0EN6thrust23THRUST_200600_302600_NS6detail15normal_iteratorINSA_10device_ptrIjEEEESF_PS6_SG_NS0_19identity_decomposerEEE10hipError_tT1_T2_T3_T4_jRjT5_jjP12ihipStream_tbEUlT_E_NS1_11comp_targetILNS1_3genE8ELNS1_11target_archE1030ELNS1_3gpuE2ELNS1_3repE0EEENS1_44radix_sort_block_sort_config_static_selectorELNS0_4arch9wavefront6targetE1EEEvSJ_,"axG",@progbits,_ZN7rocprim17ROCPRIM_400000_NS6detail17trampoline_kernelINS0_13kernel_configILj256ELj4ELj4294967295EEENS1_37radix_sort_block_sort_config_selectorIjNS0_10empty_typeEEEZNS1_21radix_sort_block_sortIS4_Lb0EN6thrust23THRUST_200600_302600_NS6detail15normal_iteratorINSA_10device_ptrIjEEEESF_PS6_SG_NS0_19identity_decomposerEEE10hipError_tT1_T2_T3_T4_jRjT5_jjP12ihipStream_tbEUlT_E_NS1_11comp_targetILNS1_3genE8ELNS1_11target_archE1030ELNS1_3gpuE2ELNS1_3repE0EEENS1_44radix_sort_block_sort_config_static_selectorELNS0_4arch9wavefront6targetE1EEEvSJ_,comdat
.Lfunc_end959:
	.size	_ZN7rocprim17ROCPRIM_400000_NS6detail17trampoline_kernelINS0_13kernel_configILj256ELj4ELj4294967295EEENS1_37radix_sort_block_sort_config_selectorIjNS0_10empty_typeEEEZNS1_21radix_sort_block_sortIS4_Lb0EN6thrust23THRUST_200600_302600_NS6detail15normal_iteratorINSA_10device_ptrIjEEEESF_PS6_SG_NS0_19identity_decomposerEEE10hipError_tT1_T2_T3_T4_jRjT5_jjP12ihipStream_tbEUlT_E_NS1_11comp_targetILNS1_3genE8ELNS1_11target_archE1030ELNS1_3gpuE2ELNS1_3repE0EEENS1_44radix_sort_block_sort_config_static_selectorELNS0_4arch9wavefront6targetE1EEEvSJ_, .Lfunc_end959-_ZN7rocprim17ROCPRIM_400000_NS6detail17trampoline_kernelINS0_13kernel_configILj256ELj4ELj4294967295EEENS1_37radix_sort_block_sort_config_selectorIjNS0_10empty_typeEEEZNS1_21radix_sort_block_sortIS4_Lb0EN6thrust23THRUST_200600_302600_NS6detail15normal_iteratorINSA_10device_ptrIjEEEESF_PS6_SG_NS0_19identity_decomposerEEE10hipError_tT1_T2_T3_T4_jRjT5_jjP12ihipStream_tbEUlT_E_NS1_11comp_targetILNS1_3genE8ELNS1_11target_archE1030ELNS1_3gpuE2ELNS1_3repE0EEENS1_44radix_sort_block_sort_config_static_selectorELNS0_4arch9wavefront6targetE1EEEvSJ_
                                        ; -- End function
	.section	.AMDGPU.csdata,"",@progbits
; Kernel info:
; codeLenInByte = 0
; NumSgprs: 4
; NumVgprs: 0
; NumAgprs: 0
; TotalNumVgprs: 0
; ScratchSize: 0
; MemoryBound: 0
; FloatMode: 240
; IeeeMode: 1
; LDSByteSize: 0 bytes/workgroup (compile time only)
; SGPRBlocks: 0
; VGPRBlocks: 0
; NumSGPRsForWavesPerEU: 4
; NumVGPRsForWavesPerEU: 1
; AccumOffset: 4
; Occupancy: 8
; WaveLimiterHint : 0
; COMPUTE_PGM_RSRC2:SCRATCH_EN: 0
; COMPUTE_PGM_RSRC2:USER_SGPR: 6
; COMPUTE_PGM_RSRC2:TRAP_HANDLER: 0
; COMPUTE_PGM_RSRC2:TGID_X_EN: 1
; COMPUTE_PGM_RSRC2:TGID_Y_EN: 0
; COMPUTE_PGM_RSRC2:TGID_Z_EN: 0
; COMPUTE_PGM_RSRC2:TIDIG_COMP_CNT: 0
; COMPUTE_PGM_RSRC3_GFX90A:ACCUM_OFFSET: 0
; COMPUTE_PGM_RSRC3_GFX90A:TG_SPLIT: 0
	.section	.text._ZN7rocprim17ROCPRIM_400000_NS6detail44device_merge_sort_compile_time_verifier_archINS1_11comp_targetILNS1_3genE0ELNS1_11target_archE4294967295ELNS1_3gpuE0ELNS1_3repE0EEES8_NS1_28merge_sort_block_sort_configILj256ELj4ELNS0_20block_sort_algorithmE0EEENS0_14default_configENS1_37merge_sort_block_sort_config_selectorIjNS0_10empty_typeEEENS1_38merge_sort_block_merge_config_selectorIjSE_EEEEvv,"axG",@progbits,_ZN7rocprim17ROCPRIM_400000_NS6detail44device_merge_sort_compile_time_verifier_archINS1_11comp_targetILNS1_3genE0ELNS1_11target_archE4294967295ELNS1_3gpuE0ELNS1_3repE0EEES8_NS1_28merge_sort_block_sort_configILj256ELj4ELNS0_20block_sort_algorithmE0EEENS0_14default_configENS1_37merge_sort_block_sort_config_selectorIjNS0_10empty_typeEEENS1_38merge_sort_block_merge_config_selectorIjSE_EEEEvv,comdat
	.protected	_ZN7rocprim17ROCPRIM_400000_NS6detail44device_merge_sort_compile_time_verifier_archINS1_11comp_targetILNS1_3genE0ELNS1_11target_archE4294967295ELNS1_3gpuE0ELNS1_3repE0EEES8_NS1_28merge_sort_block_sort_configILj256ELj4ELNS0_20block_sort_algorithmE0EEENS0_14default_configENS1_37merge_sort_block_sort_config_selectorIjNS0_10empty_typeEEENS1_38merge_sort_block_merge_config_selectorIjSE_EEEEvv ; -- Begin function _ZN7rocprim17ROCPRIM_400000_NS6detail44device_merge_sort_compile_time_verifier_archINS1_11comp_targetILNS1_3genE0ELNS1_11target_archE4294967295ELNS1_3gpuE0ELNS1_3repE0EEES8_NS1_28merge_sort_block_sort_configILj256ELj4ELNS0_20block_sort_algorithmE0EEENS0_14default_configENS1_37merge_sort_block_sort_config_selectorIjNS0_10empty_typeEEENS1_38merge_sort_block_merge_config_selectorIjSE_EEEEvv
	.globl	_ZN7rocprim17ROCPRIM_400000_NS6detail44device_merge_sort_compile_time_verifier_archINS1_11comp_targetILNS1_3genE0ELNS1_11target_archE4294967295ELNS1_3gpuE0ELNS1_3repE0EEES8_NS1_28merge_sort_block_sort_configILj256ELj4ELNS0_20block_sort_algorithmE0EEENS0_14default_configENS1_37merge_sort_block_sort_config_selectorIjNS0_10empty_typeEEENS1_38merge_sort_block_merge_config_selectorIjSE_EEEEvv
	.p2align	8
	.type	_ZN7rocprim17ROCPRIM_400000_NS6detail44device_merge_sort_compile_time_verifier_archINS1_11comp_targetILNS1_3genE0ELNS1_11target_archE4294967295ELNS1_3gpuE0ELNS1_3repE0EEES8_NS1_28merge_sort_block_sort_configILj256ELj4ELNS0_20block_sort_algorithmE0EEENS0_14default_configENS1_37merge_sort_block_sort_config_selectorIjNS0_10empty_typeEEENS1_38merge_sort_block_merge_config_selectorIjSE_EEEEvv,@function
_ZN7rocprim17ROCPRIM_400000_NS6detail44device_merge_sort_compile_time_verifier_archINS1_11comp_targetILNS1_3genE0ELNS1_11target_archE4294967295ELNS1_3gpuE0ELNS1_3repE0EEES8_NS1_28merge_sort_block_sort_configILj256ELj4ELNS0_20block_sort_algorithmE0EEENS0_14default_configENS1_37merge_sort_block_sort_config_selectorIjNS0_10empty_typeEEENS1_38merge_sort_block_merge_config_selectorIjSE_EEEEvv: ; @_ZN7rocprim17ROCPRIM_400000_NS6detail44device_merge_sort_compile_time_verifier_archINS1_11comp_targetILNS1_3genE0ELNS1_11target_archE4294967295ELNS1_3gpuE0ELNS1_3repE0EEES8_NS1_28merge_sort_block_sort_configILj256ELj4ELNS0_20block_sort_algorithmE0EEENS0_14default_configENS1_37merge_sort_block_sort_config_selectorIjNS0_10empty_typeEEENS1_38merge_sort_block_merge_config_selectorIjSE_EEEEvv
; %bb.0:
	s_endpgm
	.section	.rodata,"a",@progbits
	.p2align	6, 0x0
	.amdhsa_kernel _ZN7rocprim17ROCPRIM_400000_NS6detail44device_merge_sort_compile_time_verifier_archINS1_11comp_targetILNS1_3genE0ELNS1_11target_archE4294967295ELNS1_3gpuE0ELNS1_3repE0EEES8_NS1_28merge_sort_block_sort_configILj256ELj4ELNS0_20block_sort_algorithmE0EEENS0_14default_configENS1_37merge_sort_block_sort_config_selectorIjNS0_10empty_typeEEENS1_38merge_sort_block_merge_config_selectorIjSE_EEEEvv
		.amdhsa_group_segment_fixed_size 0
		.amdhsa_private_segment_fixed_size 0
		.amdhsa_kernarg_size 0
		.amdhsa_user_sgpr_count 4
		.amdhsa_user_sgpr_private_segment_buffer 1
		.amdhsa_user_sgpr_dispatch_ptr 0
		.amdhsa_user_sgpr_queue_ptr 0
		.amdhsa_user_sgpr_kernarg_segment_ptr 0
		.amdhsa_user_sgpr_dispatch_id 0
		.amdhsa_user_sgpr_flat_scratch_init 0
		.amdhsa_user_sgpr_kernarg_preload_length 0
		.amdhsa_user_sgpr_kernarg_preload_offset 0
		.amdhsa_user_sgpr_private_segment_size 0
		.amdhsa_uses_dynamic_stack 0
		.amdhsa_system_sgpr_private_segment_wavefront_offset 0
		.amdhsa_system_sgpr_workgroup_id_x 1
		.amdhsa_system_sgpr_workgroup_id_y 0
		.amdhsa_system_sgpr_workgroup_id_z 0
		.amdhsa_system_sgpr_workgroup_info 0
		.amdhsa_system_vgpr_workitem_id 0
		.amdhsa_next_free_vgpr 1
		.amdhsa_next_free_sgpr 0
		.amdhsa_accum_offset 4
		.amdhsa_reserve_vcc 0
		.amdhsa_reserve_flat_scratch 0
		.amdhsa_float_round_mode_32 0
		.amdhsa_float_round_mode_16_64 0
		.amdhsa_float_denorm_mode_32 3
		.amdhsa_float_denorm_mode_16_64 3
		.amdhsa_dx10_clamp 1
		.amdhsa_ieee_mode 1
		.amdhsa_fp16_overflow 0
		.amdhsa_tg_split 0
		.amdhsa_exception_fp_ieee_invalid_op 0
		.amdhsa_exception_fp_denorm_src 0
		.amdhsa_exception_fp_ieee_div_zero 0
		.amdhsa_exception_fp_ieee_overflow 0
		.amdhsa_exception_fp_ieee_underflow 0
		.amdhsa_exception_fp_ieee_inexact 0
		.amdhsa_exception_int_div_zero 0
	.end_amdhsa_kernel
	.section	.text._ZN7rocprim17ROCPRIM_400000_NS6detail44device_merge_sort_compile_time_verifier_archINS1_11comp_targetILNS1_3genE0ELNS1_11target_archE4294967295ELNS1_3gpuE0ELNS1_3repE0EEES8_NS1_28merge_sort_block_sort_configILj256ELj4ELNS0_20block_sort_algorithmE0EEENS0_14default_configENS1_37merge_sort_block_sort_config_selectorIjNS0_10empty_typeEEENS1_38merge_sort_block_merge_config_selectorIjSE_EEEEvv,"axG",@progbits,_ZN7rocprim17ROCPRIM_400000_NS6detail44device_merge_sort_compile_time_verifier_archINS1_11comp_targetILNS1_3genE0ELNS1_11target_archE4294967295ELNS1_3gpuE0ELNS1_3repE0EEES8_NS1_28merge_sort_block_sort_configILj256ELj4ELNS0_20block_sort_algorithmE0EEENS0_14default_configENS1_37merge_sort_block_sort_config_selectorIjNS0_10empty_typeEEENS1_38merge_sort_block_merge_config_selectorIjSE_EEEEvv,comdat
.Lfunc_end960:
	.size	_ZN7rocprim17ROCPRIM_400000_NS6detail44device_merge_sort_compile_time_verifier_archINS1_11comp_targetILNS1_3genE0ELNS1_11target_archE4294967295ELNS1_3gpuE0ELNS1_3repE0EEES8_NS1_28merge_sort_block_sort_configILj256ELj4ELNS0_20block_sort_algorithmE0EEENS0_14default_configENS1_37merge_sort_block_sort_config_selectorIjNS0_10empty_typeEEENS1_38merge_sort_block_merge_config_selectorIjSE_EEEEvv, .Lfunc_end960-_ZN7rocprim17ROCPRIM_400000_NS6detail44device_merge_sort_compile_time_verifier_archINS1_11comp_targetILNS1_3genE0ELNS1_11target_archE4294967295ELNS1_3gpuE0ELNS1_3repE0EEES8_NS1_28merge_sort_block_sort_configILj256ELj4ELNS0_20block_sort_algorithmE0EEENS0_14default_configENS1_37merge_sort_block_sort_config_selectorIjNS0_10empty_typeEEENS1_38merge_sort_block_merge_config_selectorIjSE_EEEEvv
                                        ; -- End function
	.section	.AMDGPU.csdata,"",@progbits
; Kernel info:
; codeLenInByte = 4
; NumSgprs: 4
; NumVgprs: 0
; NumAgprs: 0
; TotalNumVgprs: 0
; ScratchSize: 0
; MemoryBound: 0
; FloatMode: 240
; IeeeMode: 1
; LDSByteSize: 0 bytes/workgroup (compile time only)
; SGPRBlocks: 0
; VGPRBlocks: 0
; NumSGPRsForWavesPerEU: 4
; NumVGPRsForWavesPerEU: 1
; AccumOffset: 4
; Occupancy: 8
; WaveLimiterHint : 0
; COMPUTE_PGM_RSRC2:SCRATCH_EN: 0
; COMPUTE_PGM_RSRC2:USER_SGPR: 4
; COMPUTE_PGM_RSRC2:TRAP_HANDLER: 0
; COMPUTE_PGM_RSRC2:TGID_X_EN: 1
; COMPUTE_PGM_RSRC2:TGID_Y_EN: 0
; COMPUTE_PGM_RSRC2:TGID_Z_EN: 0
; COMPUTE_PGM_RSRC2:TIDIG_COMP_CNT: 0
; COMPUTE_PGM_RSRC3_GFX90A:ACCUM_OFFSET: 0
; COMPUTE_PGM_RSRC3_GFX90A:TG_SPLIT: 0
	.section	.text._ZN7rocprim17ROCPRIM_400000_NS6detail44device_merge_sort_compile_time_verifier_archINS1_11comp_targetILNS1_3genE5ELNS1_11target_archE942ELNS1_3gpuE9ELNS1_3repE0EEES8_NS1_28merge_sort_block_sort_configILj256ELj4ELNS0_20block_sort_algorithmE0EEENS0_14default_configENS1_37merge_sort_block_sort_config_selectorIjNS0_10empty_typeEEENS1_38merge_sort_block_merge_config_selectorIjSE_EEEEvv,"axG",@progbits,_ZN7rocprim17ROCPRIM_400000_NS6detail44device_merge_sort_compile_time_verifier_archINS1_11comp_targetILNS1_3genE5ELNS1_11target_archE942ELNS1_3gpuE9ELNS1_3repE0EEES8_NS1_28merge_sort_block_sort_configILj256ELj4ELNS0_20block_sort_algorithmE0EEENS0_14default_configENS1_37merge_sort_block_sort_config_selectorIjNS0_10empty_typeEEENS1_38merge_sort_block_merge_config_selectorIjSE_EEEEvv,comdat
	.protected	_ZN7rocprim17ROCPRIM_400000_NS6detail44device_merge_sort_compile_time_verifier_archINS1_11comp_targetILNS1_3genE5ELNS1_11target_archE942ELNS1_3gpuE9ELNS1_3repE0EEES8_NS1_28merge_sort_block_sort_configILj256ELj4ELNS0_20block_sort_algorithmE0EEENS0_14default_configENS1_37merge_sort_block_sort_config_selectorIjNS0_10empty_typeEEENS1_38merge_sort_block_merge_config_selectorIjSE_EEEEvv ; -- Begin function _ZN7rocprim17ROCPRIM_400000_NS6detail44device_merge_sort_compile_time_verifier_archINS1_11comp_targetILNS1_3genE5ELNS1_11target_archE942ELNS1_3gpuE9ELNS1_3repE0EEES8_NS1_28merge_sort_block_sort_configILj256ELj4ELNS0_20block_sort_algorithmE0EEENS0_14default_configENS1_37merge_sort_block_sort_config_selectorIjNS0_10empty_typeEEENS1_38merge_sort_block_merge_config_selectorIjSE_EEEEvv
	.globl	_ZN7rocprim17ROCPRIM_400000_NS6detail44device_merge_sort_compile_time_verifier_archINS1_11comp_targetILNS1_3genE5ELNS1_11target_archE942ELNS1_3gpuE9ELNS1_3repE0EEES8_NS1_28merge_sort_block_sort_configILj256ELj4ELNS0_20block_sort_algorithmE0EEENS0_14default_configENS1_37merge_sort_block_sort_config_selectorIjNS0_10empty_typeEEENS1_38merge_sort_block_merge_config_selectorIjSE_EEEEvv
	.p2align	8
	.type	_ZN7rocprim17ROCPRIM_400000_NS6detail44device_merge_sort_compile_time_verifier_archINS1_11comp_targetILNS1_3genE5ELNS1_11target_archE942ELNS1_3gpuE9ELNS1_3repE0EEES8_NS1_28merge_sort_block_sort_configILj256ELj4ELNS0_20block_sort_algorithmE0EEENS0_14default_configENS1_37merge_sort_block_sort_config_selectorIjNS0_10empty_typeEEENS1_38merge_sort_block_merge_config_selectorIjSE_EEEEvv,@function
_ZN7rocprim17ROCPRIM_400000_NS6detail44device_merge_sort_compile_time_verifier_archINS1_11comp_targetILNS1_3genE5ELNS1_11target_archE942ELNS1_3gpuE9ELNS1_3repE0EEES8_NS1_28merge_sort_block_sort_configILj256ELj4ELNS0_20block_sort_algorithmE0EEENS0_14default_configENS1_37merge_sort_block_sort_config_selectorIjNS0_10empty_typeEEENS1_38merge_sort_block_merge_config_selectorIjSE_EEEEvv: ; @_ZN7rocprim17ROCPRIM_400000_NS6detail44device_merge_sort_compile_time_verifier_archINS1_11comp_targetILNS1_3genE5ELNS1_11target_archE942ELNS1_3gpuE9ELNS1_3repE0EEES8_NS1_28merge_sort_block_sort_configILj256ELj4ELNS0_20block_sort_algorithmE0EEENS0_14default_configENS1_37merge_sort_block_sort_config_selectorIjNS0_10empty_typeEEENS1_38merge_sort_block_merge_config_selectorIjSE_EEEEvv
; %bb.0:
	s_endpgm
	.section	.rodata,"a",@progbits
	.p2align	6, 0x0
	.amdhsa_kernel _ZN7rocprim17ROCPRIM_400000_NS6detail44device_merge_sort_compile_time_verifier_archINS1_11comp_targetILNS1_3genE5ELNS1_11target_archE942ELNS1_3gpuE9ELNS1_3repE0EEES8_NS1_28merge_sort_block_sort_configILj256ELj4ELNS0_20block_sort_algorithmE0EEENS0_14default_configENS1_37merge_sort_block_sort_config_selectorIjNS0_10empty_typeEEENS1_38merge_sort_block_merge_config_selectorIjSE_EEEEvv
		.amdhsa_group_segment_fixed_size 0
		.amdhsa_private_segment_fixed_size 0
		.amdhsa_kernarg_size 0
		.amdhsa_user_sgpr_count 4
		.amdhsa_user_sgpr_private_segment_buffer 1
		.amdhsa_user_sgpr_dispatch_ptr 0
		.amdhsa_user_sgpr_queue_ptr 0
		.amdhsa_user_sgpr_kernarg_segment_ptr 0
		.amdhsa_user_sgpr_dispatch_id 0
		.amdhsa_user_sgpr_flat_scratch_init 0
		.amdhsa_user_sgpr_kernarg_preload_length 0
		.amdhsa_user_sgpr_kernarg_preload_offset 0
		.amdhsa_user_sgpr_private_segment_size 0
		.amdhsa_uses_dynamic_stack 0
		.amdhsa_system_sgpr_private_segment_wavefront_offset 0
		.amdhsa_system_sgpr_workgroup_id_x 1
		.amdhsa_system_sgpr_workgroup_id_y 0
		.amdhsa_system_sgpr_workgroup_id_z 0
		.amdhsa_system_sgpr_workgroup_info 0
		.amdhsa_system_vgpr_workitem_id 0
		.amdhsa_next_free_vgpr 1
		.amdhsa_next_free_sgpr 0
		.amdhsa_accum_offset 4
		.amdhsa_reserve_vcc 0
		.amdhsa_reserve_flat_scratch 0
		.amdhsa_float_round_mode_32 0
		.amdhsa_float_round_mode_16_64 0
		.amdhsa_float_denorm_mode_32 3
		.amdhsa_float_denorm_mode_16_64 3
		.amdhsa_dx10_clamp 1
		.amdhsa_ieee_mode 1
		.amdhsa_fp16_overflow 0
		.amdhsa_tg_split 0
		.amdhsa_exception_fp_ieee_invalid_op 0
		.amdhsa_exception_fp_denorm_src 0
		.amdhsa_exception_fp_ieee_div_zero 0
		.amdhsa_exception_fp_ieee_overflow 0
		.amdhsa_exception_fp_ieee_underflow 0
		.amdhsa_exception_fp_ieee_inexact 0
		.amdhsa_exception_int_div_zero 0
	.end_amdhsa_kernel
	.section	.text._ZN7rocprim17ROCPRIM_400000_NS6detail44device_merge_sort_compile_time_verifier_archINS1_11comp_targetILNS1_3genE5ELNS1_11target_archE942ELNS1_3gpuE9ELNS1_3repE0EEES8_NS1_28merge_sort_block_sort_configILj256ELj4ELNS0_20block_sort_algorithmE0EEENS0_14default_configENS1_37merge_sort_block_sort_config_selectorIjNS0_10empty_typeEEENS1_38merge_sort_block_merge_config_selectorIjSE_EEEEvv,"axG",@progbits,_ZN7rocprim17ROCPRIM_400000_NS6detail44device_merge_sort_compile_time_verifier_archINS1_11comp_targetILNS1_3genE5ELNS1_11target_archE942ELNS1_3gpuE9ELNS1_3repE0EEES8_NS1_28merge_sort_block_sort_configILj256ELj4ELNS0_20block_sort_algorithmE0EEENS0_14default_configENS1_37merge_sort_block_sort_config_selectorIjNS0_10empty_typeEEENS1_38merge_sort_block_merge_config_selectorIjSE_EEEEvv,comdat
.Lfunc_end961:
	.size	_ZN7rocprim17ROCPRIM_400000_NS6detail44device_merge_sort_compile_time_verifier_archINS1_11comp_targetILNS1_3genE5ELNS1_11target_archE942ELNS1_3gpuE9ELNS1_3repE0EEES8_NS1_28merge_sort_block_sort_configILj256ELj4ELNS0_20block_sort_algorithmE0EEENS0_14default_configENS1_37merge_sort_block_sort_config_selectorIjNS0_10empty_typeEEENS1_38merge_sort_block_merge_config_selectorIjSE_EEEEvv, .Lfunc_end961-_ZN7rocprim17ROCPRIM_400000_NS6detail44device_merge_sort_compile_time_verifier_archINS1_11comp_targetILNS1_3genE5ELNS1_11target_archE942ELNS1_3gpuE9ELNS1_3repE0EEES8_NS1_28merge_sort_block_sort_configILj256ELj4ELNS0_20block_sort_algorithmE0EEENS0_14default_configENS1_37merge_sort_block_sort_config_selectorIjNS0_10empty_typeEEENS1_38merge_sort_block_merge_config_selectorIjSE_EEEEvv
                                        ; -- End function
	.section	.AMDGPU.csdata,"",@progbits
; Kernel info:
; codeLenInByte = 4
; NumSgprs: 4
; NumVgprs: 0
; NumAgprs: 0
; TotalNumVgprs: 0
; ScratchSize: 0
; MemoryBound: 0
; FloatMode: 240
; IeeeMode: 1
; LDSByteSize: 0 bytes/workgroup (compile time only)
; SGPRBlocks: 0
; VGPRBlocks: 0
; NumSGPRsForWavesPerEU: 4
; NumVGPRsForWavesPerEU: 1
; AccumOffset: 4
; Occupancy: 8
; WaveLimiterHint : 0
; COMPUTE_PGM_RSRC2:SCRATCH_EN: 0
; COMPUTE_PGM_RSRC2:USER_SGPR: 4
; COMPUTE_PGM_RSRC2:TRAP_HANDLER: 0
; COMPUTE_PGM_RSRC2:TGID_X_EN: 1
; COMPUTE_PGM_RSRC2:TGID_Y_EN: 0
; COMPUTE_PGM_RSRC2:TGID_Z_EN: 0
; COMPUTE_PGM_RSRC2:TIDIG_COMP_CNT: 0
; COMPUTE_PGM_RSRC3_GFX90A:ACCUM_OFFSET: 0
; COMPUTE_PGM_RSRC3_GFX90A:TG_SPLIT: 0
	.section	.text._ZN7rocprim17ROCPRIM_400000_NS6detail44device_merge_sort_compile_time_verifier_archINS1_11comp_targetILNS1_3genE4ELNS1_11target_archE910ELNS1_3gpuE8ELNS1_3repE0EEES8_NS1_28merge_sort_block_sort_configILj256ELj4ELNS0_20block_sort_algorithmE0EEENS0_14default_configENS1_37merge_sort_block_sort_config_selectorIjNS0_10empty_typeEEENS1_38merge_sort_block_merge_config_selectorIjSE_EEEEvv,"axG",@progbits,_ZN7rocprim17ROCPRIM_400000_NS6detail44device_merge_sort_compile_time_verifier_archINS1_11comp_targetILNS1_3genE4ELNS1_11target_archE910ELNS1_3gpuE8ELNS1_3repE0EEES8_NS1_28merge_sort_block_sort_configILj256ELj4ELNS0_20block_sort_algorithmE0EEENS0_14default_configENS1_37merge_sort_block_sort_config_selectorIjNS0_10empty_typeEEENS1_38merge_sort_block_merge_config_selectorIjSE_EEEEvv,comdat
	.protected	_ZN7rocprim17ROCPRIM_400000_NS6detail44device_merge_sort_compile_time_verifier_archINS1_11comp_targetILNS1_3genE4ELNS1_11target_archE910ELNS1_3gpuE8ELNS1_3repE0EEES8_NS1_28merge_sort_block_sort_configILj256ELj4ELNS0_20block_sort_algorithmE0EEENS0_14default_configENS1_37merge_sort_block_sort_config_selectorIjNS0_10empty_typeEEENS1_38merge_sort_block_merge_config_selectorIjSE_EEEEvv ; -- Begin function _ZN7rocprim17ROCPRIM_400000_NS6detail44device_merge_sort_compile_time_verifier_archINS1_11comp_targetILNS1_3genE4ELNS1_11target_archE910ELNS1_3gpuE8ELNS1_3repE0EEES8_NS1_28merge_sort_block_sort_configILj256ELj4ELNS0_20block_sort_algorithmE0EEENS0_14default_configENS1_37merge_sort_block_sort_config_selectorIjNS0_10empty_typeEEENS1_38merge_sort_block_merge_config_selectorIjSE_EEEEvv
	.globl	_ZN7rocprim17ROCPRIM_400000_NS6detail44device_merge_sort_compile_time_verifier_archINS1_11comp_targetILNS1_3genE4ELNS1_11target_archE910ELNS1_3gpuE8ELNS1_3repE0EEES8_NS1_28merge_sort_block_sort_configILj256ELj4ELNS0_20block_sort_algorithmE0EEENS0_14default_configENS1_37merge_sort_block_sort_config_selectorIjNS0_10empty_typeEEENS1_38merge_sort_block_merge_config_selectorIjSE_EEEEvv
	.p2align	8
	.type	_ZN7rocprim17ROCPRIM_400000_NS6detail44device_merge_sort_compile_time_verifier_archINS1_11comp_targetILNS1_3genE4ELNS1_11target_archE910ELNS1_3gpuE8ELNS1_3repE0EEES8_NS1_28merge_sort_block_sort_configILj256ELj4ELNS0_20block_sort_algorithmE0EEENS0_14default_configENS1_37merge_sort_block_sort_config_selectorIjNS0_10empty_typeEEENS1_38merge_sort_block_merge_config_selectorIjSE_EEEEvv,@function
_ZN7rocprim17ROCPRIM_400000_NS6detail44device_merge_sort_compile_time_verifier_archINS1_11comp_targetILNS1_3genE4ELNS1_11target_archE910ELNS1_3gpuE8ELNS1_3repE0EEES8_NS1_28merge_sort_block_sort_configILj256ELj4ELNS0_20block_sort_algorithmE0EEENS0_14default_configENS1_37merge_sort_block_sort_config_selectorIjNS0_10empty_typeEEENS1_38merge_sort_block_merge_config_selectorIjSE_EEEEvv: ; @_ZN7rocprim17ROCPRIM_400000_NS6detail44device_merge_sort_compile_time_verifier_archINS1_11comp_targetILNS1_3genE4ELNS1_11target_archE910ELNS1_3gpuE8ELNS1_3repE0EEES8_NS1_28merge_sort_block_sort_configILj256ELj4ELNS0_20block_sort_algorithmE0EEENS0_14default_configENS1_37merge_sort_block_sort_config_selectorIjNS0_10empty_typeEEENS1_38merge_sort_block_merge_config_selectorIjSE_EEEEvv
; %bb.0:
	s_endpgm
	.section	.rodata,"a",@progbits
	.p2align	6, 0x0
	.amdhsa_kernel _ZN7rocprim17ROCPRIM_400000_NS6detail44device_merge_sort_compile_time_verifier_archINS1_11comp_targetILNS1_3genE4ELNS1_11target_archE910ELNS1_3gpuE8ELNS1_3repE0EEES8_NS1_28merge_sort_block_sort_configILj256ELj4ELNS0_20block_sort_algorithmE0EEENS0_14default_configENS1_37merge_sort_block_sort_config_selectorIjNS0_10empty_typeEEENS1_38merge_sort_block_merge_config_selectorIjSE_EEEEvv
		.amdhsa_group_segment_fixed_size 0
		.amdhsa_private_segment_fixed_size 0
		.amdhsa_kernarg_size 0
		.amdhsa_user_sgpr_count 4
		.amdhsa_user_sgpr_private_segment_buffer 1
		.amdhsa_user_sgpr_dispatch_ptr 0
		.amdhsa_user_sgpr_queue_ptr 0
		.amdhsa_user_sgpr_kernarg_segment_ptr 0
		.amdhsa_user_sgpr_dispatch_id 0
		.amdhsa_user_sgpr_flat_scratch_init 0
		.amdhsa_user_sgpr_kernarg_preload_length 0
		.amdhsa_user_sgpr_kernarg_preload_offset 0
		.amdhsa_user_sgpr_private_segment_size 0
		.amdhsa_uses_dynamic_stack 0
		.amdhsa_system_sgpr_private_segment_wavefront_offset 0
		.amdhsa_system_sgpr_workgroup_id_x 1
		.amdhsa_system_sgpr_workgroup_id_y 0
		.amdhsa_system_sgpr_workgroup_id_z 0
		.amdhsa_system_sgpr_workgroup_info 0
		.amdhsa_system_vgpr_workitem_id 0
		.amdhsa_next_free_vgpr 1
		.amdhsa_next_free_sgpr 0
		.amdhsa_accum_offset 4
		.amdhsa_reserve_vcc 0
		.amdhsa_reserve_flat_scratch 0
		.amdhsa_float_round_mode_32 0
		.amdhsa_float_round_mode_16_64 0
		.amdhsa_float_denorm_mode_32 3
		.amdhsa_float_denorm_mode_16_64 3
		.amdhsa_dx10_clamp 1
		.amdhsa_ieee_mode 1
		.amdhsa_fp16_overflow 0
		.amdhsa_tg_split 0
		.amdhsa_exception_fp_ieee_invalid_op 0
		.amdhsa_exception_fp_denorm_src 0
		.amdhsa_exception_fp_ieee_div_zero 0
		.amdhsa_exception_fp_ieee_overflow 0
		.amdhsa_exception_fp_ieee_underflow 0
		.amdhsa_exception_fp_ieee_inexact 0
		.amdhsa_exception_int_div_zero 0
	.end_amdhsa_kernel
	.section	.text._ZN7rocprim17ROCPRIM_400000_NS6detail44device_merge_sort_compile_time_verifier_archINS1_11comp_targetILNS1_3genE4ELNS1_11target_archE910ELNS1_3gpuE8ELNS1_3repE0EEES8_NS1_28merge_sort_block_sort_configILj256ELj4ELNS0_20block_sort_algorithmE0EEENS0_14default_configENS1_37merge_sort_block_sort_config_selectorIjNS0_10empty_typeEEENS1_38merge_sort_block_merge_config_selectorIjSE_EEEEvv,"axG",@progbits,_ZN7rocprim17ROCPRIM_400000_NS6detail44device_merge_sort_compile_time_verifier_archINS1_11comp_targetILNS1_3genE4ELNS1_11target_archE910ELNS1_3gpuE8ELNS1_3repE0EEES8_NS1_28merge_sort_block_sort_configILj256ELj4ELNS0_20block_sort_algorithmE0EEENS0_14default_configENS1_37merge_sort_block_sort_config_selectorIjNS0_10empty_typeEEENS1_38merge_sort_block_merge_config_selectorIjSE_EEEEvv,comdat
.Lfunc_end962:
	.size	_ZN7rocprim17ROCPRIM_400000_NS6detail44device_merge_sort_compile_time_verifier_archINS1_11comp_targetILNS1_3genE4ELNS1_11target_archE910ELNS1_3gpuE8ELNS1_3repE0EEES8_NS1_28merge_sort_block_sort_configILj256ELj4ELNS0_20block_sort_algorithmE0EEENS0_14default_configENS1_37merge_sort_block_sort_config_selectorIjNS0_10empty_typeEEENS1_38merge_sort_block_merge_config_selectorIjSE_EEEEvv, .Lfunc_end962-_ZN7rocprim17ROCPRIM_400000_NS6detail44device_merge_sort_compile_time_verifier_archINS1_11comp_targetILNS1_3genE4ELNS1_11target_archE910ELNS1_3gpuE8ELNS1_3repE0EEES8_NS1_28merge_sort_block_sort_configILj256ELj4ELNS0_20block_sort_algorithmE0EEENS0_14default_configENS1_37merge_sort_block_sort_config_selectorIjNS0_10empty_typeEEENS1_38merge_sort_block_merge_config_selectorIjSE_EEEEvv
                                        ; -- End function
	.section	.AMDGPU.csdata,"",@progbits
; Kernel info:
; codeLenInByte = 4
; NumSgprs: 4
; NumVgprs: 0
; NumAgprs: 0
; TotalNumVgprs: 0
; ScratchSize: 0
; MemoryBound: 0
; FloatMode: 240
; IeeeMode: 1
; LDSByteSize: 0 bytes/workgroup (compile time only)
; SGPRBlocks: 0
; VGPRBlocks: 0
; NumSGPRsForWavesPerEU: 4
; NumVGPRsForWavesPerEU: 1
; AccumOffset: 4
; Occupancy: 8
; WaveLimiterHint : 0
; COMPUTE_PGM_RSRC2:SCRATCH_EN: 0
; COMPUTE_PGM_RSRC2:USER_SGPR: 4
; COMPUTE_PGM_RSRC2:TRAP_HANDLER: 0
; COMPUTE_PGM_RSRC2:TGID_X_EN: 1
; COMPUTE_PGM_RSRC2:TGID_Y_EN: 0
; COMPUTE_PGM_RSRC2:TGID_Z_EN: 0
; COMPUTE_PGM_RSRC2:TIDIG_COMP_CNT: 0
; COMPUTE_PGM_RSRC3_GFX90A:ACCUM_OFFSET: 0
; COMPUTE_PGM_RSRC3_GFX90A:TG_SPLIT: 0
	.section	.text._ZN7rocprim17ROCPRIM_400000_NS6detail44device_merge_sort_compile_time_verifier_archINS1_11comp_targetILNS1_3genE3ELNS1_11target_archE908ELNS1_3gpuE7ELNS1_3repE0EEES8_NS1_28merge_sort_block_sort_configILj256ELj4ELNS0_20block_sort_algorithmE0EEENS0_14default_configENS1_37merge_sort_block_sort_config_selectorIjNS0_10empty_typeEEENS1_38merge_sort_block_merge_config_selectorIjSE_EEEEvv,"axG",@progbits,_ZN7rocprim17ROCPRIM_400000_NS6detail44device_merge_sort_compile_time_verifier_archINS1_11comp_targetILNS1_3genE3ELNS1_11target_archE908ELNS1_3gpuE7ELNS1_3repE0EEES8_NS1_28merge_sort_block_sort_configILj256ELj4ELNS0_20block_sort_algorithmE0EEENS0_14default_configENS1_37merge_sort_block_sort_config_selectorIjNS0_10empty_typeEEENS1_38merge_sort_block_merge_config_selectorIjSE_EEEEvv,comdat
	.protected	_ZN7rocprim17ROCPRIM_400000_NS6detail44device_merge_sort_compile_time_verifier_archINS1_11comp_targetILNS1_3genE3ELNS1_11target_archE908ELNS1_3gpuE7ELNS1_3repE0EEES8_NS1_28merge_sort_block_sort_configILj256ELj4ELNS0_20block_sort_algorithmE0EEENS0_14default_configENS1_37merge_sort_block_sort_config_selectorIjNS0_10empty_typeEEENS1_38merge_sort_block_merge_config_selectorIjSE_EEEEvv ; -- Begin function _ZN7rocprim17ROCPRIM_400000_NS6detail44device_merge_sort_compile_time_verifier_archINS1_11comp_targetILNS1_3genE3ELNS1_11target_archE908ELNS1_3gpuE7ELNS1_3repE0EEES8_NS1_28merge_sort_block_sort_configILj256ELj4ELNS0_20block_sort_algorithmE0EEENS0_14default_configENS1_37merge_sort_block_sort_config_selectorIjNS0_10empty_typeEEENS1_38merge_sort_block_merge_config_selectorIjSE_EEEEvv
	.globl	_ZN7rocprim17ROCPRIM_400000_NS6detail44device_merge_sort_compile_time_verifier_archINS1_11comp_targetILNS1_3genE3ELNS1_11target_archE908ELNS1_3gpuE7ELNS1_3repE0EEES8_NS1_28merge_sort_block_sort_configILj256ELj4ELNS0_20block_sort_algorithmE0EEENS0_14default_configENS1_37merge_sort_block_sort_config_selectorIjNS0_10empty_typeEEENS1_38merge_sort_block_merge_config_selectorIjSE_EEEEvv
	.p2align	8
	.type	_ZN7rocprim17ROCPRIM_400000_NS6detail44device_merge_sort_compile_time_verifier_archINS1_11comp_targetILNS1_3genE3ELNS1_11target_archE908ELNS1_3gpuE7ELNS1_3repE0EEES8_NS1_28merge_sort_block_sort_configILj256ELj4ELNS0_20block_sort_algorithmE0EEENS0_14default_configENS1_37merge_sort_block_sort_config_selectorIjNS0_10empty_typeEEENS1_38merge_sort_block_merge_config_selectorIjSE_EEEEvv,@function
_ZN7rocprim17ROCPRIM_400000_NS6detail44device_merge_sort_compile_time_verifier_archINS1_11comp_targetILNS1_3genE3ELNS1_11target_archE908ELNS1_3gpuE7ELNS1_3repE0EEES8_NS1_28merge_sort_block_sort_configILj256ELj4ELNS0_20block_sort_algorithmE0EEENS0_14default_configENS1_37merge_sort_block_sort_config_selectorIjNS0_10empty_typeEEENS1_38merge_sort_block_merge_config_selectorIjSE_EEEEvv: ; @_ZN7rocprim17ROCPRIM_400000_NS6detail44device_merge_sort_compile_time_verifier_archINS1_11comp_targetILNS1_3genE3ELNS1_11target_archE908ELNS1_3gpuE7ELNS1_3repE0EEES8_NS1_28merge_sort_block_sort_configILj256ELj4ELNS0_20block_sort_algorithmE0EEENS0_14default_configENS1_37merge_sort_block_sort_config_selectorIjNS0_10empty_typeEEENS1_38merge_sort_block_merge_config_selectorIjSE_EEEEvv
; %bb.0:
	s_endpgm
	.section	.rodata,"a",@progbits
	.p2align	6, 0x0
	.amdhsa_kernel _ZN7rocprim17ROCPRIM_400000_NS6detail44device_merge_sort_compile_time_verifier_archINS1_11comp_targetILNS1_3genE3ELNS1_11target_archE908ELNS1_3gpuE7ELNS1_3repE0EEES8_NS1_28merge_sort_block_sort_configILj256ELj4ELNS0_20block_sort_algorithmE0EEENS0_14default_configENS1_37merge_sort_block_sort_config_selectorIjNS0_10empty_typeEEENS1_38merge_sort_block_merge_config_selectorIjSE_EEEEvv
		.amdhsa_group_segment_fixed_size 0
		.amdhsa_private_segment_fixed_size 0
		.amdhsa_kernarg_size 0
		.amdhsa_user_sgpr_count 4
		.amdhsa_user_sgpr_private_segment_buffer 1
		.amdhsa_user_sgpr_dispatch_ptr 0
		.amdhsa_user_sgpr_queue_ptr 0
		.amdhsa_user_sgpr_kernarg_segment_ptr 0
		.amdhsa_user_sgpr_dispatch_id 0
		.amdhsa_user_sgpr_flat_scratch_init 0
		.amdhsa_user_sgpr_kernarg_preload_length 0
		.amdhsa_user_sgpr_kernarg_preload_offset 0
		.amdhsa_user_sgpr_private_segment_size 0
		.amdhsa_uses_dynamic_stack 0
		.amdhsa_system_sgpr_private_segment_wavefront_offset 0
		.amdhsa_system_sgpr_workgroup_id_x 1
		.amdhsa_system_sgpr_workgroup_id_y 0
		.amdhsa_system_sgpr_workgroup_id_z 0
		.amdhsa_system_sgpr_workgroup_info 0
		.amdhsa_system_vgpr_workitem_id 0
		.amdhsa_next_free_vgpr 1
		.amdhsa_next_free_sgpr 0
		.amdhsa_accum_offset 4
		.amdhsa_reserve_vcc 0
		.amdhsa_reserve_flat_scratch 0
		.amdhsa_float_round_mode_32 0
		.amdhsa_float_round_mode_16_64 0
		.amdhsa_float_denorm_mode_32 3
		.amdhsa_float_denorm_mode_16_64 3
		.amdhsa_dx10_clamp 1
		.amdhsa_ieee_mode 1
		.amdhsa_fp16_overflow 0
		.amdhsa_tg_split 0
		.amdhsa_exception_fp_ieee_invalid_op 0
		.amdhsa_exception_fp_denorm_src 0
		.amdhsa_exception_fp_ieee_div_zero 0
		.amdhsa_exception_fp_ieee_overflow 0
		.amdhsa_exception_fp_ieee_underflow 0
		.amdhsa_exception_fp_ieee_inexact 0
		.amdhsa_exception_int_div_zero 0
	.end_amdhsa_kernel
	.section	.text._ZN7rocprim17ROCPRIM_400000_NS6detail44device_merge_sort_compile_time_verifier_archINS1_11comp_targetILNS1_3genE3ELNS1_11target_archE908ELNS1_3gpuE7ELNS1_3repE0EEES8_NS1_28merge_sort_block_sort_configILj256ELj4ELNS0_20block_sort_algorithmE0EEENS0_14default_configENS1_37merge_sort_block_sort_config_selectorIjNS0_10empty_typeEEENS1_38merge_sort_block_merge_config_selectorIjSE_EEEEvv,"axG",@progbits,_ZN7rocprim17ROCPRIM_400000_NS6detail44device_merge_sort_compile_time_verifier_archINS1_11comp_targetILNS1_3genE3ELNS1_11target_archE908ELNS1_3gpuE7ELNS1_3repE0EEES8_NS1_28merge_sort_block_sort_configILj256ELj4ELNS0_20block_sort_algorithmE0EEENS0_14default_configENS1_37merge_sort_block_sort_config_selectorIjNS0_10empty_typeEEENS1_38merge_sort_block_merge_config_selectorIjSE_EEEEvv,comdat
.Lfunc_end963:
	.size	_ZN7rocprim17ROCPRIM_400000_NS6detail44device_merge_sort_compile_time_verifier_archINS1_11comp_targetILNS1_3genE3ELNS1_11target_archE908ELNS1_3gpuE7ELNS1_3repE0EEES8_NS1_28merge_sort_block_sort_configILj256ELj4ELNS0_20block_sort_algorithmE0EEENS0_14default_configENS1_37merge_sort_block_sort_config_selectorIjNS0_10empty_typeEEENS1_38merge_sort_block_merge_config_selectorIjSE_EEEEvv, .Lfunc_end963-_ZN7rocprim17ROCPRIM_400000_NS6detail44device_merge_sort_compile_time_verifier_archINS1_11comp_targetILNS1_3genE3ELNS1_11target_archE908ELNS1_3gpuE7ELNS1_3repE0EEES8_NS1_28merge_sort_block_sort_configILj256ELj4ELNS0_20block_sort_algorithmE0EEENS0_14default_configENS1_37merge_sort_block_sort_config_selectorIjNS0_10empty_typeEEENS1_38merge_sort_block_merge_config_selectorIjSE_EEEEvv
                                        ; -- End function
	.section	.AMDGPU.csdata,"",@progbits
; Kernel info:
; codeLenInByte = 4
; NumSgprs: 4
; NumVgprs: 0
; NumAgprs: 0
; TotalNumVgprs: 0
; ScratchSize: 0
; MemoryBound: 0
; FloatMode: 240
; IeeeMode: 1
; LDSByteSize: 0 bytes/workgroup (compile time only)
; SGPRBlocks: 0
; VGPRBlocks: 0
; NumSGPRsForWavesPerEU: 4
; NumVGPRsForWavesPerEU: 1
; AccumOffset: 4
; Occupancy: 8
; WaveLimiterHint : 0
; COMPUTE_PGM_RSRC2:SCRATCH_EN: 0
; COMPUTE_PGM_RSRC2:USER_SGPR: 4
; COMPUTE_PGM_RSRC2:TRAP_HANDLER: 0
; COMPUTE_PGM_RSRC2:TGID_X_EN: 1
; COMPUTE_PGM_RSRC2:TGID_Y_EN: 0
; COMPUTE_PGM_RSRC2:TGID_Z_EN: 0
; COMPUTE_PGM_RSRC2:TIDIG_COMP_CNT: 0
; COMPUTE_PGM_RSRC3_GFX90A:ACCUM_OFFSET: 0
; COMPUTE_PGM_RSRC3_GFX90A:TG_SPLIT: 0
	.section	.text._ZN7rocprim17ROCPRIM_400000_NS6detail44device_merge_sort_compile_time_verifier_archINS1_11comp_targetILNS1_3genE2ELNS1_11target_archE906ELNS1_3gpuE6ELNS1_3repE0EEES8_NS1_28merge_sort_block_sort_configILj256ELj4ELNS0_20block_sort_algorithmE0EEENS0_14default_configENS1_37merge_sort_block_sort_config_selectorIjNS0_10empty_typeEEENS1_38merge_sort_block_merge_config_selectorIjSE_EEEEvv,"axG",@progbits,_ZN7rocprim17ROCPRIM_400000_NS6detail44device_merge_sort_compile_time_verifier_archINS1_11comp_targetILNS1_3genE2ELNS1_11target_archE906ELNS1_3gpuE6ELNS1_3repE0EEES8_NS1_28merge_sort_block_sort_configILj256ELj4ELNS0_20block_sort_algorithmE0EEENS0_14default_configENS1_37merge_sort_block_sort_config_selectorIjNS0_10empty_typeEEENS1_38merge_sort_block_merge_config_selectorIjSE_EEEEvv,comdat
	.protected	_ZN7rocprim17ROCPRIM_400000_NS6detail44device_merge_sort_compile_time_verifier_archINS1_11comp_targetILNS1_3genE2ELNS1_11target_archE906ELNS1_3gpuE6ELNS1_3repE0EEES8_NS1_28merge_sort_block_sort_configILj256ELj4ELNS0_20block_sort_algorithmE0EEENS0_14default_configENS1_37merge_sort_block_sort_config_selectorIjNS0_10empty_typeEEENS1_38merge_sort_block_merge_config_selectorIjSE_EEEEvv ; -- Begin function _ZN7rocprim17ROCPRIM_400000_NS6detail44device_merge_sort_compile_time_verifier_archINS1_11comp_targetILNS1_3genE2ELNS1_11target_archE906ELNS1_3gpuE6ELNS1_3repE0EEES8_NS1_28merge_sort_block_sort_configILj256ELj4ELNS0_20block_sort_algorithmE0EEENS0_14default_configENS1_37merge_sort_block_sort_config_selectorIjNS0_10empty_typeEEENS1_38merge_sort_block_merge_config_selectorIjSE_EEEEvv
	.globl	_ZN7rocprim17ROCPRIM_400000_NS6detail44device_merge_sort_compile_time_verifier_archINS1_11comp_targetILNS1_3genE2ELNS1_11target_archE906ELNS1_3gpuE6ELNS1_3repE0EEES8_NS1_28merge_sort_block_sort_configILj256ELj4ELNS0_20block_sort_algorithmE0EEENS0_14default_configENS1_37merge_sort_block_sort_config_selectorIjNS0_10empty_typeEEENS1_38merge_sort_block_merge_config_selectorIjSE_EEEEvv
	.p2align	8
	.type	_ZN7rocprim17ROCPRIM_400000_NS6detail44device_merge_sort_compile_time_verifier_archINS1_11comp_targetILNS1_3genE2ELNS1_11target_archE906ELNS1_3gpuE6ELNS1_3repE0EEES8_NS1_28merge_sort_block_sort_configILj256ELj4ELNS0_20block_sort_algorithmE0EEENS0_14default_configENS1_37merge_sort_block_sort_config_selectorIjNS0_10empty_typeEEENS1_38merge_sort_block_merge_config_selectorIjSE_EEEEvv,@function
_ZN7rocprim17ROCPRIM_400000_NS6detail44device_merge_sort_compile_time_verifier_archINS1_11comp_targetILNS1_3genE2ELNS1_11target_archE906ELNS1_3gpuE6ELNS1_3repE0EEES8_NS1_28merge_sort_block_sort_configILj256ELj4ELNS0_20block_sort_algorithmE0EEENS0_14default_configENS1_37merge_sort_block_sort_config_selectorIjNS0_10empty_typeEEENS1_38merge_sort_block_merge_config_selectorIjSE_EEEEvv: ; @_ZN7rocprim17ROCPRIM_400000_NS6detail44device_merge_sort_compile_time_verifier_archINS1_11comp_targetILNS1_3genE2ELNS1_11target_archE906ELNS1_3gpuE6ELNS1_3repE0EEES8_NS1_28merge_sort_block_sort_configILj256ELj4ELNS0_20block_sort_algorithmE0EEENS0_14default_configENS1_37merge_sort_block_sort_config_selectorIjNS0_10empty_typeEEENS1_38merge_sort_block_merge_config_selectorIjSE_EEEEvv
; %bb.0:
	s_endpgm
	.section	.rodata,"a",@progbits
	.p2align	6, 0x0
	.amdhsa_kernel _ZN7rocprim17ROCPRIM_400000_NS6detail44device_merge_sort_compile_time_verifier_archINS1_11comp_targetILNS1_3genE2ELNS1_11target_archE906ELNS1_3gpuE6ELNS1_3repE0EEES8_NS1_28merge_sort_block_sort_configILj256ELj4ELNS0_20block_sort_algorithmE0EEENS0_14default_configENS1_37merge_sort_block_sort_config_selectorIjNS0_10empty_typeEEENS1_38merge_sort_block_merge_config_selectorIjSE_EEEEvv
		.amdhsa_group_segment_fixed_size 0
		.amdhsa_private_segment_fixed_size 0
		.amdhsa_kernarg_size 0
		.amdhsa_user_sgpr_count 4
		.amdhsa_user_sgpr_private_segment_buffer 1
		.amdhsa_user_sgpr_dispatch_ptr 0
		.amdhsa_user_sgpr_queue_ptr 0
		.amdhsa_user_sgpr_kernarg_segment_ptr 0
		.amdhsa_user_sgpr_dispatch_id 0
		.amdhsa_user_sgpr_flat_scratch_init 0
		.amdhsa_user_sgpr_kernarg_preload_length 0
		.amdhsa_user_sgpr_kernarg_preload_offset 0
		.amdhsa_user_sgpr_private_segment_size 0
		.amdhsa_uses_dynamic_stack 0
		.amdhsa_system_sgpr_private_segment_wavefront_offset 0
		.amdhsa_system_sgpr_workgroup_id_x 1
		.amdhsa_system_sgpr_workgroup_id_y 0
		.amdhsa_system_sgpr_workgroup_id_z 0
		.amdhsa_system_sgpr_workgroup_info 0
		.amdhsa_system_vgpr_workitem_id 0
		.amdhsa_next_free_vgpr 1
		.amdhsa_next_free_sgpr 0
		.amdhsa_accum_offset 4
		.amdhsa_reserve_vcc 0
		.amdhsa_reserve_flat_scratch 0
		.amdhsa_float_round_mode_32 0
		.amdhsa_float_round_mode_16_64 0
		.amdhsa_float_denorm_mode_32 3
		.amdhsa_float_denorm_mode_16_64 3
		.amdhsa_dx10_clamp 1
		.amdhsa_ieee_mode 1
		.amdhsa_fp16_overflow 0
		.amdhsa_tg_split 0
		.amdhsa_exception_fp_ieee_invalid_op 0
		.amdhsa_exception_fp_denorm_src 0
		.amdhsa_exception_fp_ieee_div_zero 0
		.amdhsa_exception_fp_ieee_overflow 0
		.amdhsa_exception_fp_ieee_underflow 0
		.amdhsa_exception_fp_ieee_inexact 0
		.amdhsa_exception_int_div_zero 0
	.end_amdhsa_kernel
	.section	.text._ZN7rocprim17ROCPRIM_400000_NS6detail44device_merge_sort_compile_time_verifier_archINS1_11comp_targetILNS1_3genE2ELNS1_11target_archE906ELNS1_3gpuE6ELNS1_3repE0EEES8_NS1_28merge_sort_block_sort_configILj256ELj4ELNS0_20block_sort_algorithmE0EEENS0_14default_configENS1_37merge_sort_block_sort_config_selectorIjNS0_10empty_typeEEENS1_38merge_sort_block_merge_config_selectorIjSE_EEEEvv,"axG",@progbits,_ZN7rocprim17ROCPRIM_400000_NS6detail44device_merge_sort_compile_time_verifier_archINS1_11comp_targetILNS1_3genE2ELNS1_11target_archE906ELNS1_3gpuE6ELNS1_3repE0EEES8_NS1_28merge_sort_block_sort_configILj256ELj4ELNS0_20block_sort_algorithmE0EEENS0_14default_configENS1_37merge_sort_block_sort_config_selectorIjNS0_10empty_typeEEENS1_38merge_sort_block_merge_config_selectorIjSE_EEEEvv,comdat
.Lfunc_end964:
	.size	_ZN7rocprim17ROCPRIM_400000_NS6detail44device_merge_sort_compile_time_verifier_archINS1_11comp_targetILNS1_3genE2ELNS1_11target_archE906ELNS1_3gpuE6ELNS1_3repE0EEES8_NS1_28merge_sort_block_sort_configILj256ELj4ELNS0_20block_sort_algorithmE0EEENS0_14default_configENS1_37merge_sort_block_sort_config_selectorIjNS0_10empty_typeEEENS1_38merge_sort_block_merge_config_selectorIjSE_EEEEvv, .Lfunc_end964-_ZN7rocprim17ROCPRIM_400000_NS6detail44device_merge_sort_compile_time_verifier_archINS1_11comp_targetILNS1_3genE2ELNS1_11target_archE906ELNS1_3gpuE6ELNS1_3repE0EEES8_NS1_28merge_sort_block_sort_configILj256ELj4ELNS0_20block_sort_algorithmE0EEENS0_14default_configENS1_37merge_sort_block_sort_config_selectorIjNS0_10empty_typeEEENS1_38merge_sort_block_merge_config_selectorIjSE_EEEEvv
                                        ; -- End function
	.section	.AMDGPU.csdata,"",@progbits
; Kernel info:
; codeLenInByte = 4
; NumSgprs: 4
; NumVgprs: 0
; NumAgprs: 0
; TotalNumVgprs: 0
; ScratchSize: 0
; MemoryBound: 0
; FloatMode: 240
; IeeeMode: 1
; LDSByteSize: 0 bytes/workgroup (compile time only)
; SGPRBlocks: 0
; VGPRBlocks: 0
; NumSGPRsForWavesPerEU: 4
; NumVGPRsForWavesPerEU: 1
; AccumOffset: 4
; Occupancy: 8
; WaveLimiterHint : 0
; COMPUTE_PGM_RSRC2:SCRATCH_EN: 0
; COMPUTE_PGM_RSRC2:USER_SGPR: 4
; COMPUTE_PGM_RSRC2:TRAP_HANDLER: 0
; COMPUTE_PGM_RSRC2:TGID_X_EN: 1
; COMPUTE_PGM_RSRC2:TGID_Y_EN: 0
; COMPUTE_PGM_RSRC2:TGID_Z_EN: 0
; COMPUTE_PGM_RSRC2:TIDIG_COMP_CNT: 0
; COMPUTE_PGM_RSRC3_GFX90A:ACCUM_OFFSET: 0
; COMPUTE_PGM_RSRC3_GFX90A:TG_SPLIT: 0
	.section	.text._ZN7rocprim17ROCPRIM_400000_NS6detail44device_merge_sort_compile_time_verifier_archINS1_11comp_targetILNS1_3genE10ELNS1_11target_archE1201ELNS1_3gpuE5ELNS1_3repE0EEES8_NS1_28merge_sort_block_sort_configILj256ELj4ELNS0_20block_sort_algorithmE0EEENS0_14default_configENS1_37merge_sort_block_sort_config_selectorIjNS0_10empty_typeEEENS1_38merge_sort_block_merge_config_selectorIjSE_EEEEvv,"axG",@progbits,_ZN7rocprim17ROCPRIM_400000_NS6detail44device_merge_sort_compile_time_verifier_archINS1_11comp_targetILNS1_3genE10ELNS1_11target_archE1201ELNS1_3gpuE5ELNS1_3repE0EEES8_NS1_28merge_sort_block_sort_configILj256ELj4ELNS0_20block_sort_algorithmE0EEENS0_14default_configENS1_37merge_sort_block_sort_config_selectorIjNS0_10empty_typeEEENS1_38merge_sort_block_merge_config_selectorIjSE_EEEEvv,comdat
	.protected	_ZN7rocprim17ROCPRIM_400000_NS6detail44device_merge_sort_compile_time_verifier_archINS1_11comp_targetILNS1_3genE10ELNS1_11target_archE1201ELNS1_3gpuE5ELNS1_3repE0EEES8_NS1_28merge_sort_block_sort_configILj256ELj4ELNS0_20block_sort_algorithmE0EEENS0_14default_configENS1_37merge_sort_block_sort_config_selectorIjNS0_10empty_typeEEENS1_38merge_sort_block_merge_config_selectorIjSE_EEEEvv ; -- Begin function _ZN7rocprim17ROCPRIM_400000_NS6detail44device_merge_sort_compile_time_verifier_archINS1_11comp_targetILNS1_3genE10ELNS1_11target_archE1201ELNS1_3gpuE5ELNS1_3repE0EEES8_NS1_28merge_sort_block_sort_configILj256ELj4ELNS0_20block_sort_algorithmE0EEENS0_14default_configENS1_37merge_sort_block_sort_config_selectorIjNS0_10empty_typeEEENS1_38merge_sort_block_merge_config_selectorIjSE_EEEEvv
	.globl	_ZN7rocprim17ROCPRIM_400000_NS6detail44device_merge_sort_compile_time_verifier_archINS1_11comp_targetILNS1_3genE10ELNS1_11target_archE1201ELNS1_3gpuE5ELNS1_3repE0EEES8_NS1_28merge_sort_block_sort_configILj256ELj4ELNS0_20block_sort_algorithmE0EEENS0_14default_configENS1_37merge_sort_block_sort_config_selectorIjNS0_10empty_typeEEENS1_38merge_sort_block_merge_config_selectorIjSE_EEEEvv
	.p2align	8
	.type	_ZN7rocprim17ROCPRIM_400000_NS6detail44device_merge_sort_compile_time_verifier_archINS1_11comp_targetILNS1_3genE10ELNS1_11target_archE1201ELNS1_3gpuE5ELNS1_3repE0EEES8_NS1_28merge_sort_block_sort_configILj256ELj4ELNS0_20block_sort_algorithmE0EEENS0_14default_configENS1_37merge_sort_block_sort_config_selectorIjNS0_10empty_typeEEENS1_38merge_sort_block_merge_config_selectorIjSE_EEEEvv,@function
_ZN7rocprim17ROCPRIM_400000_NS6detail44device_merge_sort_compile_time_verifier_archINS1_11comp_targetILNS1_3genE10ELNS1_11target_archE1201ELNS1_3gpuE5ELNS1_3repE0EEES8_NS1_28merge_sort_block_sort_configILj256ELj4ELNS0_20block_sort_algorithmE0EEENS0_14default_configENS1_37merge_sort_block_sort_config_selectorIjNS0_10empty_typeEEENS1_38merge_sort_block_merge_config_selectorIjSE_EEEEvv: ; @_ZN7rocprim17ROCPRIM_400000_NS6detail44device_merge_sort_compile_time_verifier_archINS1_11comp_targetILNS1_3genE10ELNS1_11target_archE1201ELNS1_3gpuE5ELNS1_3repE0EEES8_NS1_28merge_sort_block_sort_configILj256ELj4ELNS0_20block_sort_algorithmE0EEENS0_14default_configENS1_37merge_sort_block_sort_config_selectorIjNS0_10empty_typeEEENS1_38merge_sort_block_merge_config_selectorIjSE_EEEEvv
; %bb.0:
	s_endpgm
	.section	.rodata,"a",@progbits
	.p2align	6, 0x0
	.amdhsa_kernel _ZN7rocprim17ROCPRIM_400000_NS6detail44device_merge_sort_compile_time_verifier_archINS1_11comp_targetILNS1_3genE10ELNS1_11target_archE1201ELNS1_3gpuE5ELNS1_3repE0EEES8_NS1_28merge_sort_block_sort_configILj256ELj4ELNS0_20block_sort_algorithmE0EEENS0_14default_configENS1_37merge_sort_block_sort_config_selectorIjNS0_10empty_typeEEENS1_38merge_sort_block_merge_config_selectorIjSE_EEEEvv
		.amdhsa_group_segment_fixed_size 0
		.amdhsa_private_segment_fixed_size 0
		.amdhsa_kernarg_size 0
		.amdhsa_user_sgpr_count 4
		.amdhsa_user_sgpr_private_segment_buffer 1
		.amdhsa_user_sgpr_dispatch_ptr 0
		.amdhsa_user_sgpr_queue_ptr 0
		.amdhsa_user_sgpr_kernarg_segment_ptr 0
		.amdhsa_user_sgpr_dispatch_id 0
		.amdhsa_user_sgpr_flat_scratch_init 0
		.amdhsa_user_sgpr_kernarg_preload_length 0
		.amdhsa_user_sgpr_kernarg_preload_offset 0
		.amdhsa_user_sgpr_private_segment_size 0
		.amdhsa_uses_dynamic_stack 0
		.amdhsa_system_sgpr_private_segment_wavefront_offset 0
		.amdhsa_system_sgpr_workgroup_id_x 1
		.amdhsa_system_sgpr_workgroup_id_y 0
		.amdhsa_system_sgpr_workgroup_id_z 0
		.amdhsa_system_sgpr_workgroup_info 0
		.amdhsa_system_vgpr_workitem_id 0
		.amdhsa_next_free_vgpr 1
		.amdhsa_next_free_sgpr 0
		.amdhsa_accum_offset 4
		.amdhsa_reserve_vcc 0
		.amdhsa_reserve_flat_scratch 0
		.amdhsa_float_round_mode_32 0
		.amdhsa_float_round_mode_16_64 0
		.amdhsa_float_denorm_mode_32 3
		.amdhsa_float_denorm_mode_16_64 3
		.amdhsa_dx10_clamp 1
		.amdhsa_ieee_mode 1
		.amdhsa_fp16_overflow 0
		.amdhsa_tg_split 0
		.amdhsa_exception_fp_ieee_invalid_op 0
		.amdhsa_exception_fp_denorm_src 0
		.amdhsa_exception_fp_ieee_div_zero 0
		.amdhsa_exception_fp_ieee_overflow 0
		.amdhsa_exception_fp_ieee_underflow 0
		.amdhsa_exception_fp_ieee_inexact 0
		.amdhsa_exception_int_div_zero 0
	.end_amdhsa_kernel
	.section	.text._ZN7rocprim17ROCPRIM_400000_NS6detail44device_merge_sort_compile_time_verifier_archINS1_11comp_targetILNS1_3genE10ELNS1_11target_archE1201ELNS1_3gpuE5ELNS1_3repE0EEES8_NS1_28merge_sort_block_sort_configILj256ELj4ELNS0_20block_sort_algorithmE0EEENS0_14default_configENS1_37merge_sort_block_sort_config_selectorIjNS0_10empty_typeEEENS1_38merge_sort_block_merge_config_selectorIjSE_EEEEvv,"axG",@progbits,_ZN7rocprim17ROCPRIM_400000_NS6detail44device_merge_sort_compile_time_verifier_archINS1_11comp_targetILNS1_3genE10ELNS1_11target_archE1201ELNS1_3gpuE5ELNS1_3repE0EEES8_NS1_28merge_sort_block_sort_configILj256ELj4ELNS0_20block_sort_algorithmE0EEENS0_14default_configENS1_37merge_sort_block_sort_config_selectorIjNS0_10empty_typeEEENS1_38merge_sort_block_merge_config_selectorIjSE_EEEEvv,comdat
.Lfunc_end965:
	.size	_ZN7rocprim17ROCPRIM_400000_NS6detail44device_merge_sort_compile_time_verifier_archINS1_11comp_targetILNS1_3genE10ELNS1_11target_archE1201ELNS1_3gpuE5ELNS1_3repE0EEES8_NS1_28merge_sort_block_sort_configILj256ELj4ELNS0_20block_sort_algorithmE0EEENS0_14default_configENS1_37merge_sort_block_sort_config_selectorIjNS0_10empty_typeEEENS1_38merge_sort_block_merge_config_selectorIjSE_EEEEvv, .Lfunc_end965-_ZN7rocprim17ROCPRIM_400000_NS6detail44device_merge_sort_compile_time_verifier_archINS1_11comp_targetILNS1_3genE10ELNS1_11target_archE1201ELNS1_3gpuE5ELNS1_3repE0EEES8_NS1_28merge_sort_block_sort_configILj256ELj4ELNS0_20block_sort_algorithmE0EEENS0_14default_configENS1_37merge_sort_block_sort_config_selectorIjNS0_10empty_typeEEENS1_38merge_sort_block_merge_config_selectorIjSE_EEEEvv
                                        ; -- End function
	.section	.AMDGPU.csdata,"",@progbits
; Kernel info:
; codeLenInByte = 4
; NumSgprs: 4
; NumVgprs: 0
; NumAgprs: 0
; TotalNumVgprs: 0
; ScratchSize: 0
; MemoryBound: 0
; FloatMode: 240
; IeeeMode: 1
; LDSByteSize: 0 bytes/workgroup (compile time only)
; SGPRBlocks: 0
; VGPRBlocks: 0
; NumSGPRsForWavesPerEU: 4
; NumVGPRsForWavesPerEU: 1
; AccumOffset: 4
; Occupancy: 8
; WaveLimiterHint : 0
; COMPUTE_PGM_RSRC2:SCRATCH_EN: 0
; COMPUTE_PGM_RSRC2:USER_SGPR: 4
; COMPUTE_PGM_RSRC2:TRAP_HANDLER: 0
; COMPUTE_PGM_RSRC2:TGID_X_EN: 1
; COMPUTE_PGM_RSRC2:TGID_Y_EN: 0
; COMPUTE_PGM_RSRC2:TGID_Z_EN: 0
; COMPUTE_PGM_RSRC2:TIDIG_COMP_CNT: 0
; COMPUTE_PGM_RSRC3_GFX90A:ACCUM_OFFSET: 0
; COMPUTE_PGM_RSRC3_GFX90A:TG_SPLIT: 0
	.section	.text._ZN7rocprim17ROCPRIM_400000_NS6detail44device_merge_sort_compile_time_verifier_archINS1_11comp_targetILNS1_3genE10ELNS1_11target_archE1200ELNS1_3gpuE4ELNS1_3repE0EEENS3_ILS4_10ELS5_1201ELS6_5ELS7_0EEENS1_28merge_sort_block_sort_configILj256ELj4ELNS0_20block_sort_algorithmE0EEENS0_14default_configENS1_37merge_sort_block_sort_config_selectorIjNS0_10empty_typeEEENS1_38merge_sort_block_merge_config_selectorIjSF_EEEEvv,"axG",@progbits,_ZN7rocprim17ROCPRIM_400000_NS6detail44device_merge_sort_compile_time_verifier_archINS1_11comp_targetILNS1_3genE10ELNS1_11target_archE1200ELNS1_3gpuE4ELNS1_3repE0EEENS3_ILS4_10ELS5_1201ELS6_5ELS7_0EEENS1_28merge_sort_block_sort_configILj256ELj4ELNS0_20block_sort_algorithmE0EEENS0_14default_configENS1_37merge_sort_block_sort_config_selectorIjNS0_10empty_typeEEENS1_38merge_sort_block_merge_config_selectorIjSF_EEEEvv,comdat
	.protected	_ZN7rocprim17ROCPRIM_400000_NS6detail44device_merge_sort_compile_time_verifier_archINS1_11comp_targetILNS1_3genE10ELNS1_11target_archE1200ELNS1_3gpuE4ELNS1_3repE0EEENS3_ILS4_10ELS5_1201ELS6_5ELS7_0EEENS1_28merge_sort_block_sort_configILj256ELj4ELNS0_20block_sort_algorithmE0EEENS0_14default_configENS1_37merge_sort_block_sort_config_selectorIjNS0_10empty_typeEEENS1_38merge_sort_block_merge_config_selectorIjSF_EEEEvv ; -- Begin function _ZN7rocprim17ROCPRIM_400000_NS6detail44device_merge_sort_compile_time_verifier_archINS1_11comp_targetILNS1_3genE10ELNS1_11target_archE1200ELNS1_3gpuE4ELNS1_3repE0EEENS3_ILS4_10ELS5_1201ELS6_5ELS7_0EEENS1_28merge_sort_block_sort_configILj256ELj4ELNS0_20block_sort_algorithmE0EEENS0_14default_configENS1_37merge_sort_block_sort_config_selectorIjNS0_10empty_typeEEENS1_38merge_sort_block_merge_config_selectorIjSF_EEEEvv
	.globl	_ZN7rocprim17ROCPRIM_400000_NS6detail44device_merge_sort_compile_time_verifier_archINS1_11comp_targetILNS1_3genE10ELNS1_11target_archE1200ELNS1_3gpuE4ELNS1_3repE0EEENS3_ILS4_10ELS5_1201ELS6_5ELS7_0EEENS1_28merge_sort_block_sort_configILj256ELj4ELNS0_20block_sort_algorithmE0EEENS0_14default_configENS1_37merge_sort_block_sort_config_selectorIjNS0_10empty_typeEEENS1_38merge_sort_block_merge_config_selectorIjSF_EEEEvv
	.p2align	8
	.type	_ZN7rocprim17ROCPRIM_400000_NS6detail44device_merge_sort_compile_time_verifier_archINS1_11comp_targetILNS1_3genE10ELNS1_11target_archE1200ELNS1_3gpuE4ELNS1_3repE0EEENS3_ILS4_10ELS5_1201ELS6_5ELS7_0EEENS1_28merge_sort_block_sort_configILj256ELj4ELNS0_20block_sort_algorithmE0EEENS0_14default_configENS1_37merge_sort_block_sort_config_selectorIjNS0_10empty_typeEEENS1_38merge_sort_block_merge_config_selectorIjSF_EEEEvv,@function
_ZN7rocprim17ROCPRIM_400000_NS6detail44device_merge_sort_compile_time_verifier_archINS1_11comp_targetILNS1_3genE10ELNS1_11target_archE1200ELNS1_3gpuE4ELNS1_3repE0EEENS3_ILS4_10ELS5_1201ELS6_5ELS7_0EEENS1_28merge_sort_block_sort_configILj256ELj4ELNS0_20block_sort_algorithmE0EEENS0_14default_configENS1_37merge_sort_block_sort_config_selectorIjNS0_10empty_typeEEENS1_38merge_sort_block_merge_config_selectorIjSF_EEEEvv: ; @_ZN7rocprim17ROCPRIM_400000_NS6detail44device_merge_sort_compile_time_verifier_archINS1_11comp_targetILNS1_3genE10ELNS1_11target_archE1200ELNS1_3gpuE4ELNS1_3repE0EEENS3_ILS4_10ELS5_1201ELS6_5ELS7_0EEENS1_28merge_sort_block_sort_configILj256ELj4ELNS0_20block_sort_algorithmE0EEENS0_14default_configENS1_37merge_sort_block_sort_config_selectorIjNS0_10empty_typeEEENS1_38merge_sort_block_merge_config_selectorIjSF_EEEEvv
; %bb.0:
	s_endpgm
	.section	.rodata,"a",@progbits
	.p2align	6, 0x0
	.amdhsa_kernel _ZN7rocprim17ROCPRIM_400000_NS6detail44device_merge_sort_compile_time_verifier_archINS1_11comp_targetILNS1_3genE10ELNS1_11target_archE1200ELNS1_3gpuE4ELNS1_3repE0EEENS3_ILS4_10ELS5_1201ELS6_5ELS7_0EEENS1_28merge_sort_block_sort_configILj256ELj4ELNS0_20block_sort_algorithmE0EEENS0_14default_configENS1_37merge_sort_block_sort_config_selectorIjNS0_10empty_typeEEENS1_38merge_sort_block_merge_config_selectorIjSF_EEEEvv
		.amdhsa_group_segment_fixed_size 0
		.amdhsa_private_segment_fixed_size 0
		.amdhsa_kernarg_size 0
		.amdhsa_user_sgpr_count 4
		.amdhsa_user_sgpr_private_segment_buffer 1
		.amdhsa_user_sgpr_dispatch_ptr 0
		.amdhsa_user_sgpr_queue_ptr 0
		.amdhsa_user_sgpr_kernarg_segment_ptr 0
		.amdhsa_user_sgpr_dispatch_id 0
		.amdhsa_user_sgpr_flat_scratch_init 0
		.amdhsa_user_sgpr_kernarg_preload_length 0
		.amdhsa_user_sgpr_kernarg_preload_offset 0
		.amdhsa_user_sgpr_private_segment_size 0
		.amdhsa_uses_dynamic_stack 0
		.amdhsa_system_sgpr_private_segment_wavefront_offset 0
		.amdhsa_system_sgpr_workgroup_id_x 1
		.amdhsa_system_sgpr_workgroup_id_y 0
		.amdhsa_system_sgpr_workgroup_id_z 0
		.amdhsa_system_sgpr_workgroup_info 0
		.amdhsa_system_vgpr_workitem_id 0
		.amdhsa_next_free_vgpr 1
		.amdhsa_next_free_sgpr 0
		.amdhsa_accum_offset 4
		.amdhsa_reserve_vcc 0
		.amdhsa_reserve_flat_scratch 0
		.amdhsa_float_round_mode_32 0
		.amdhsa_float_round_mode_16_64 0
		.amdhsa_float_denorm_mode_32 3
		.amdhsa_float_denorm_mode_16_64 3
		.amdhsa_dx10_clamp 1
		.amdhsa_ieee_mode 1
		.amdhsa_fp16_overflow 0
		.amdhsa_tg_split 0
		.amdhsa_exception_fp_ieee_invalid_op 0
		.amdhsa_exception_fp_denorm_src 0
		.amdhsa_exception_fp_ieee_div_zero 0
		.amdhsa_exception_fp_ieee_overflow 0
		.amdhsa_exception_fp_ieee_underflow 0
		.amdhsa_exception_fp_ieee_inexact 0
		.amdhsa_exception_int_div_zero 0
	.end_amdhsa_kernel
	.section	.text._ZN7rocprim17ROCPRIM_400000_NS6detail44device_merge_sort_compile_time_verifier_archINS1_11comp_targetILNS1_3genE10ELNS1_11target_archE1200ELNS1_3gpuE4ELNS1_3repE0EEENS3_ILS4_10ELS5_1201ELS6_5ELS7_0EEENS1_28merge_sort_block_sort_configILj256ELj4ELNS0_20block_sort_algorithmE0EEENS0_14default_configENS1_37merge_sort_block_sort_config_selectorIjNS0_10empty_typeEEENS1_38merge_sort_block_merge_config_selectorIjSF_EEEEvv,"axG",@progbits,_ZN7rocprim17ROCPRIM_400000_NS6detail44device_merge_sort_compile_time_verifier_archINS1_11comp_targetILNS1_3genE10ELNS1_11target_archE1200ELNS1_3gpuE4ELNS1_3repE0EEENS3_ILS4_10ELS5_1201ELS6_5ELS7_0EEENS1_28merge_sort_block_sort_configILj256ELj4ELNS0_20block_sort_algorithmE0EEENS0_14default_configENS1_37merge_sort_block_sort_config_selectorIjNS0_10empty_typeEEENS1_38merge_sort_block_merge_config_selectorIjSF_EEEEvv,comdat
.Lfunc_end966:
	.size	_ZN7rocprim17ROCPRIM_400000_NS6detail44device_merge_sort_compile_time_verifier_archINS1_11comp_targetILNS1_3genE10ELNS1_11target_archE1200ELNS1_3gpuE4ELNS1_3repE0EEENS3_ILS4_10ELS5_1201ELS6_5ELS7_0EEENS1_28merge_sort_block_sort_configILj256ELj4ELNS0_20block_sort_algorithmE0EEENS0_14default_configENS1_37merge_sort_block_sort_config_selectorIjNS0_10empty_typeEEENS1_38merge_sort_block_merge_config_selectorIjSF_EEEEvv, .Lfunc_end966-_ZN7rocprim17ROCPRIM_400000_NS6detail44device_merge_sort_compile_time_verifier_archINS1_11comp_targetILNS1_3genE10ELNS1_11target_archE1200ELNS1_3gpuE4ELNS1_3repE0EEENS3_ILS4_10ELS5_1201ELS6_5ELS7_0EEENS1_28merge_sort_block_sort_configILj256ELj4ELNS0_20block_sort_algorithmE0EEENS0_14default_configENS1_37merge_sort_block_sort_config_selectorIjNS0_10empty_typeEEENS1_38merge_sort_block_merge_config_selectorIjSF_EEEEvv
                                        ; -- End function
	.section	.AMDGPU.csdata,"",@progbits
; Kernel info:
; codeLenInByte = 4
; NumSgprs: 4
; NumVgprs: 0
; NumAgprs: 0
; TotalNumVgprs: 0
; ScratchSize: 0
; MemoryBound: 0
; FloatMode: 240
; IeeeMode: 1
; LDSByteSize: 0 bytes/workgroup (compile time only)
; SGPRBlocks: 0
; VGPRBlocks: 0
; NumSGPRsForWavesPerEU: 4
; NumVGPRsForWavesPerEU: 1
; AccumOffset: 4
; Occupancy: 8
; WaveLimiterHint : 0
; COMPUTE_PGM_RSRC2:SCRATCH_EN: 0
; COMPUTE_PGM_RSRC2:USER_SGPR: 4
; COMPUTE_PGM_RSRC2:TRAP_HANDLER: 0
; COMPUTE_PGM_RSRC2:TGID_X_EN: 1
; COMPUTE_PGM_RSRC2:TGID_Y_EN: 0
; COMPUTE_PGM_RSRC2:TGID_Z_EN: 0
; COMPUTE_PGM_RSRC2:TIDIG_COMP_CNT: 0
; COMPUTE_PGM_RSRC3_GFX90A:ACCUM_OFFSET: 0
; COMPUTE_PGM_RSRC3_GFX90A:TG_SPLIT: 0
	.section	.text._ZN7rocprim17ROCPRIM_400000_NS6detail44device_merge_sort_compile_time_verifier_archINS1_11comp_targetILNS1_3genE9ELNS1_11target_archE1100ELNS1_3gpuE3ELNS1_3repE0EEES8_NS1_28merge_sort_block_sort_configILj256ELj4ELNS0_20block_sort_algorithmE0EEENS0_14default_configENS1_37merge_sort_block_sort_config_selectorIjNS0_10empty_typeEEENS1_38merge_sort_block_merge_config_selectorIjSE_EEEEvv,"axG",@progbits,_ZN7rocprim17ROCPRIM_400000_NS6detail44device_merge_sort_compile_time_verifier_archINS1_11comp_targetILNS1_3genE9ELNS1_11target_archE1100ELNS1_3gpuE3ELNS1_3repE0EEES8_NS1_28merge_sort_block_sort_configILj256ELj4ELNS0_20block_sort_algorithmE0EEENS0_14default_configENS1_37merge_sort_block_sort_config_selectorIjNS0_10empty_typeEEENS1_38merge_sort_block_merge_config_selectorIjSE_EEEEvv,comdat
	.protected	_ZN7rocprim17ROCPRIM_400000_NS6detail44device_merge_sort_compile_time_verifier_archINS1_11comp_targetILNS1_3genE9ELNS1_11target_archE1100ELNS1_3gpuE3ELNS1_3repE0EEES8_NS1_28merge_sort_block_sort_configILj256ELj4ELNS0_20block_sort_algorithmE0EEENS0_14default_configENS1_37merge_sort_block_sort_config_selectorIjNS0_10empty_typeEEENS1_38merge_sort_block_merge_config_selectorIjSE_EEEEvv ; -- Begin function _ZN7rocprim17ROCPRIM_400000_NS6detail44device_merge_sort_compile_time_verifier_archINS1_11comp_targetILNS1_3genE9ELNS1_11target_archE1100ELNS1_3gpuE3ELNS1_3repE0EEES8_NS1_28merge_sort_block_sort_configILj256ELj4ELNS0_20block_sort_algorithmE0EEENS0_14default_configENS1_37merge_sort_block_sort_config_selectorIjNS0_10empty_typeEEENS1_38merge_sort_block_merge_config_selectorIjSE_EEEEvv
	.globl	_ZN7rocprim17ROCPRIM_400000_NS6detail44device_merge_sort_compile_time_verifier_archINS1_11comp_targetILNS1_3genE9ELNS1_11target_archE1100ELNS1_3gpuE3ELNS1_3repE0EEES8_NS1_28merge_sort_block_sort_configILj256ELj4ELNS0_20block_sort_algorithmE0EEENS0_14default_configENS1_37merge_sort_block_sort_config_selectorIjNS0_10empty_typeEEENS1_38merge_sort_block_merge_config_selectorIjSE_EEEEvv
	.p2align	8
	.type	_ZN7rocprim17ROCPRIM_400000_NS6detail44device_merge_sort_compile_time_verifier_archINS1_11comp_targetILNS1_3genE9ELNS1_11target_archE1100ELNS1_3gpuE3ELNS1_3repE0EEES8_NS1_28merge_sort_block_sort_configILj256ELj4ELNS0_20block_sort_algorithmE0EEENS0_14default_configENS1_37merge_sort_block_sort_config_selectorIjNS0_10empty_typeEEENS1_38merge_sort_block_merge_config_selectorIjSE_EEEEvv,@function
_ZN7rocprim17ROCPRIM_400000_NS6detail44device_merge_sort_compile_time_verifier_archINS1_11comp_targetILNS1_3genE9ELNS1_11target_archE1100ELNS1_3gpuE3ELNS1_3repE0EEES8_NS1_28merge_sort_block_sort_configILj256ELj4ELNS0_20block_sort_algorithmE0EEENS0_14default_configENS1_37merge_sort_block_sort_config_selectorIjNS0_10empty_typeEEENS1_38merge_sort_block_merge_config_selectorIjSE_EEEEvv: ; @_ZN7rocprim17ROCPRIM_400000_NS6detail44device_merge_sort_compile_time_verifier_archINS1_11comp_targetILNS1_3genE9ELNS1_11target_archE1100ELNS1_3gpuE3ELNS1_3repE0EEES8_NS1_28merge_sort_block_sort_configILj256ELj4ELNS0_20block_sort_algorithmE0EEENS0_14default_configENS1_37merge_sort_block_sort_config_selectorIjNS0_10empty_typeEEENS1_38merge_sort_block_merge_config_selectorIjSE_EEEEvv
; %bb.0:
	s_endpgm
	.section	.rodata,"a",@progbits
	.p2align	6, 0x0
	.amdhsa_kernel _ZN7rocprim17ROCPRIM_400000_NS6detail44device_merge_sort_compile_time_verifier_archINS1_11comp_targetILNS1_3genE9ELNS1_11target_archE1100ELNS1_3gpuE3ELNS1_3repE0EEES8_NS1_28merge_sort_block_sort_configILj256ELj4ELNS0_20block_sort_algorithmE0EEENS0_14default_configENS1_37merge_sort_block_sort_config_selectorIjNS0_10empty_typeEEENS1_38merge_sort_block_merge_config_selectorIjSE_EEEEvv
		.amdhsa_group_segment_fixed_size 0
		.amdhsa_private_segment_fixed_size 0
		.amdhsa_kernarg_size 0
		.amdhsa_user_sgpr_count 4
		.amdhsa_user_sgpr_private_segment_buffer 1
		.amdhsa_user_sgpr_dispatch_ptr 0
		.amdhsa_user_sgpr_queue_ptr 0
		.amdhsa_user_sgpr_kernarg_segment_ptr 0
		.amdhsa_user_sgpr_dispatch_id 0
		.amdhsa_user_sgpr_flat_scratch_init 0
		.amdhsa_user_sgpr_kernarg_preload_length 0
		.amdhsa_user_sgpr_kernarg_preload_offset 0
		.amdhsa_user_sgpr_private_segment_size 0
		.amdhsa_uses_dynamic_stack 0
		.amdhsa_system_sgpr_private_segment_wavefront_offset 0
		.amdhsa_system_sgpr_workgroup_id_x 1
		.amdhsa_system_sgpr_workgroup_id_y 0
		.amdhsa_system_sgpr_workgroup_id_z 0
		.amdhsa_system_sgpr_workgroup_info 0
		.amdhsa_system_vgpr_workitem_id 0
		.amdhsa_next_free_vgpr 1
		.amdhsa_next_free_sgpr 0
		.amdhsa_accum_offset 4
		.amdhsa_reserve_vcc 0
		.amdhsa_reserve_flat_scratch 0
		.amdhsa_float_round_mode_32 0
		.amdhsa_float_round_mode_16_64 0
		.amdhsa_float_denorm_mode_32 3
		.amdhsa_float_denorm_mode_16_64 3
		.amdhsa_dx10_clamp 1
		.amdhsa_ieee_mode 1
		.amdhsa_fp16_overflow 0
		.amdhsa_tg_split 0
		.amdhsa_exception_fp_ieee_invalid_op 0
		.amdhsa_exception_fp_denorm_src 0
		.amdhsa_exception_fp_ieee_div_zero 0
		.amdhsa_exception_fp_ieee_overflow 0
		.amdhsa_exception_fp_ieee_underflow 0
		.amdhsa_exception_fp_ieee_inexact 0
		.amdhsa_exception_int_div_zero 0
	.end_amdhsa_kernel
	.section	.text._ZN7rocprim17ROCPRIM_400000_NS6detail44device_merge_sort_compile_time_verifier_archINS1_11comp_targetILNS1_3genE9ELNS1_11target_archE1100ELNS1_3gpuE3ELNS1_3repE0EEES8_NS1_28merge_sort_block_sort_configILj256ELj4ELNS0_20block_sort_algorithmE0EEENS0_14default_configENS1_37merge_sort_block_sort_config_selectorIjNS0_10empty_typeEEENS1_38merge_sort_block_merge_config_selectorIjSE_EEEEvv,"axG",@progbits,_ZN7rocprim17ROCPRIM_400000_NS6detail44device_merge_sort_compile_time_verifier_archINS1_11comp_targetILNS1_3genE9ELNS1_11target_archE1100ELNS1_3gpuE3ELNS1_3repE0EEES8_NS1_28merge_sort_block_sort_configILj256ELj4ELNS0_20block_sort_algorithmE0EEENS0_14default_configENS1_37merge_sort_block_sort_config_selectorIjNS0_10empty_typeEEENS1_38merge_sort_block_merge_config_selectorIjSE_EEEEvv,comdat
.Lfunc_end967:
	.size	_ZN7rocprim17ROCPRIM_400000_NS6detail44device_merge_sort_compile_time_verifier_archINS1_11comp_targetILNS1_3genE9ELNS1_11target_archE1100ELNS1_3gpuE3ELNS1_3repE0EEES8_NS1_28merge_sort_block_sort_configILj256ELj4ELNS0_20block_sort_algorithmE0EEENS0_14default_configENS1_37merge_sort_block_sort_config_selectorIjNS0_10empty_typeEEENS1_38merge_sort_block_merge_config_selectorIjSE_EEEEvv, .Lfunc_end967-_ZN7rocprim17ROCPRIM_400000_NS6detail44device_merge_sort_compile_time_verifier_archINS1_11comp_targetILNS1_3genE9ELNS1_11target_archE1100ELNS1_3gpuE3ELNS1_3repE0EEES8_NS1_28merge_sort_block_sort_configILj256ELj4ELNS0_20block_sort_algorithmE0EEENS0_14default_configENS1_37merge_sort_block_sort_config_selectorIjNS0_10empty_typeEEENS1_38merge_sort_block_merge_config_selectorIjSE_EEEEvv
                                        ; -- End function
	.section	.AMDGPU.csdata,"",@progbits
; Kernel info:
; codeLenInByte = 4
; NumSgprs: 4
; NumVgprs: 0
; NumAgprs: 0
; TotalNumVgprs: 0
; ScratchSize: 0
; MemoryBound: 0
; FloatMode: 240
; IeeeMode: 1
; LDSByteSize: 0 bytes/workgroup (compile time only)
; SGPRBlocks: 0
; VGPRBlocks: 0
; NumSGPRsForWavesPerEU: 4
; NumVGPRsForWavesPerEU: 1
; AccumOffset: 4
; Occupancy: 8
; WaveLimiterHint : 0
; COMPUTE_PGM_RSRC2:SCRATCH_EN: 0
; COMPUTE_PGM_RSRC2:USER_SGPR: 4
; COMPUTE_PGM_RSRC2:TRAP_HANDLER: 0
; COMPUTE_PGM_RSRC2:TGID_X_EN: 1
; COMPUTE_PGM_RSRC2:TGID_Y_EN: 0
; COMPUTE_PGM_RSRC2:TGID_Z_EN: 0
; COMPUTE_PGM_RSRC2:TIDIG_COMP_CNT: 0
; COMPUTE_PGM_RSRC3_GFX90A:ACCUM_OFFSET: 0
; COMPUTE_PGM_RSRC3_GFX90A:TG_SPLIT: 0
	.section	.text._ZN7rocprim17ROCPRIM_400000_NS6detail44device_merge_sort_compile_time_verifier_archINS1_11comp_targetILNS1_3genE8ELNS1_11target_archE1030ELNS1_3gpuE2ELNS1_3repE0EEES8_NS1_28merge_sort_block_sort_configILj256ELj4ELNS0_20block_sort_algorithmE0EEENS0_14default_configENS1_37merge_sort_block_sort_config_selectorIjNS0_10empty_typeEEENS1_38merge_sort_block_merge_config_selectorIjSE_EEEEvv,"axG",@progbits,_ZN7rocprim17ROCPRIM_400000_NS6detail44device_merge_sort_compile_time_verifier_archINS1_11comp_targetILNS1_3genE8ELNS1_11target_archE1030ELNS1_3gpuE2ELNS1_3repE0EEES8_NS1_28merge_sort_block_sort_configILj256ELj4ELNS0_20block_sort_algorithmE0EEENS0_14default_configENS1_37merge_sort_block_sort_config_selectorIjNS0_10empty_typeEEENS1_38merge_sort_block_merge_config_selectorIjSE_EEEEvv,comdat
	.protected	_ZN7rocprim17ROCPRIM_400000_NS6detail44device_merge_sort_compile_time_verifier_archINS1_11comp_targetILNS1_3genE8ELNS1_11target_archE1030ELNS1_3gpuE2ELNS1_3repE0EEES8_NS1_28merge_sort_block_sort_configILj256ELj4ELNS0_20block_sort_algorithmE0EEENS0_14default_configENS1_37merge_sort_block_sort_config_selectorIjNS0_10empty_typeEEENS1_38merge_sort_block_merge_config_selectorIjSE_EEEEvv ; -- Begin function _ZN7rocprim17ROCPRIM_400000_NS6detail44device_merge_sort_compile_time_verifier_archINS1_11comp_targetILNS1_3genE8ELNS1_11target_archE1030ELNS1_3gpuE2ELNS1_3repE0EEES8_NS1_28merge_sort_block_sort_configILj256ELj4ELNS0_20block_sort_algorithmE0EEENS0_14default_configENS1_37merge_sort_block_sort_config_selectorIjNS0_10empty_typeEEENS1_38merge_sort_block_merge_config_selectorIjSE_EEEEvv
	.globl	_ZN7rocprim17ROCPRIM_400000_NS6detail44device_merge_sort_compile_time_verifier_archINS1_11comp_targetILNS1_3genE8ELNS1_11target_archE1030ELNS1_3gpuE2ELNS1_3repE0EEES8_NS1_28merge_sort_block_sort_configILj256ELj4ELNS0_20block_sort_algorithmE0EEENS0_14default_configENS1_37merge_sort_block_sort_config_selectorIjNS0_10empty_typeEEENS1_38merge_sort_block_merge_config_selectorIjSE_EEEEvv
	.p2align	8
	.type	_ZN7rocprim17ROCPRIM_400000_NS6detail44device_merge_sort_compile_time_verifier_archINS1_11comp_targetILNS1_3genE8ELNS1_11target_archE1030ELNS1_3gpuE2ELNS1_3repE0EEES8_NS1_28merge_sort_block_sort_configILj256ELj4ELNS0_20block_sort_algorithmE0EEENS0_14default_configENS1_37merge_sort_block_sort_config_selectorIjNS0_10empty_typeEEENS1_38merge_sort_block_merge_config_selectorIjSE_EEEEvv,@function
_ZN7rocprim17ROCPRIM_400000_NS6detail44device_merge_sort_compile_time_verifier_archINS1_11comp_targetILNS1_3genE8ELNS1_11target_archE1030ELNS1_3gpuE2ELNS1_3repE0EEES8_NS1_28merge_sort_block_sort_configILj256ELj4ELNS0_20block_sort_algorithmE0EEENS0_14default_configENS1_37merge_sort_block_sort_config_selectorIjNS0_10empty_typeEEENS1_38merge_sort_block_merge_config_selectorIjSE_EEEEvv: ; @_ZN7rocprim17ROCPRIM_400000_NS6detail44device_merge_sort_compile_time_verifier_archINS1_11comp_targetILNS1_3genE8ELNS1_11target_archE1030ELNS1_3gpuE2ELNS1_3repE0EEES8_NS1_28merge_sort_block_sort_configILj256ELj4ELNS0_20block_sort_algorithmE0EEENS0_14default_configENS1_37merge_sort_block_sort_config_selectorIjNS0_10empty_typeEEENS1_38merge_sort_block_merge_config_selectorIjSE_EEEEvv
; %bb.0:
	s_endpgm
	.section	.rodata,"a",@progbits
	.p2align	6, 0x0
	.amdhsa_kernel _ZN7rocprim17ROCPRIM_400000_NS6detail44device_merge_sort_compile_time_verifier_archINS1_11comp_targetILNS1_3genE8ELNS1_11target_archE1030ELNS1_3gpuE2ELNS1_3repE0EEES8_NS1_28merge_sort_block_sort_configILj256ELj4ELNS0_20block_sort_algorithmE0EEENS0_14default_configENS1_37merge_sort_block_sort_config_selectorIjNS0_10empty_typeEEENS1_38merge_sort_block_merge_config_selectorIjSE_EEEEvv
		.amdhsa_group_segment_fixed_size 0
		.amdhsa_private_segment_fixed_size 0
		.amdhsa_kernarg_size 0
		.amdhsa_user_sgpr_count 4
		.amdhsa_user_sgpr_private_segment_buffer 1
		.amdhsa_user_sgpr_dispatch_ptr 0
		.amdhsa_user_sgpr_queue_ptr 0
		.amdhsa_user_sgpr_kernarg_segment_ptr 0
		.amdhsa_user_sgpr_dispatch_id 0
		.amdhsa_user_sgpr_flat_scratch_init 0
		.amdhsa_user_sgpr_kernarg_preload_length 0
		.amdhsa_user_sgpr_kernarg_preload_offset 0
		.amdhsa_user_sgpr_private_segment_size 0
		.amdhsa_uses_dynamic_stack 0
		.amdhsa_system_sgpr_private_segment_wavefront_offset 0
		.amdhsa_system_sgpr_workgroup_id_x 1
		.amdhsa_system_sgpr_workgroup_id_y 0
		.amdhsa_system_sgpr_workgroup_id_z 0
		.amdhsa_system_sgpr_workgroup_info 0
		.amdhsa_system_vgpr_workitem_id 0
		.amdhsa_next_free_vgpr 1
		.amdhsa_next_free_sgpr 0
		.amdhsa_accum_offset 4
		.amdhsa_reserve_vcc 0
		.amdhsa_reserve_flat_scratch 0
		.amdhsa_float_round_mode_32 0
		.amdhsa_float_round_mode_16_64 0
		.amdhsa_float_denorm_mode_32 3
		.amdhsa_float_denorm_mode_16_64 3
		.amdhsa_dx10_clamp 1
		.amdhsa_ieee_mode 1
		.amdhsa_fp16_overflow 0
		.amdhsa_tg_split 0
		.amdhsa_exception_fp_ieee_invalid_op 0
		.amdhsa_exception_fp_denorm_src 0
		.amdhsa_exception_fp_ieee_div_zero 0
		.amdhsa_exception_fp_ieee_overflow 0
		.amdhsa_exception_fp_ieee_underflow 0
		.amdhsa_exception_fp_ieee_inexact 0
		.amdhsa_exception_int_div_zero 0
	.end_amdhsa_kernel
	.section	.text._ZN7rocprim17ROCPRIM_400000_NS6detail44device_merge_sort_compile_time_verifier_archINS1_11comp_targetILNS1_3genE8ELNS1_11target_archE1030ELNS1_3gpuE2ELNS1_3repE0EEES8_NS1_28merge_sort_block_sort_configILj256ELj4ELNS0_20block_sort_algorithmE0EEENS0_14default_configENS1_37merge_sort_block_sort_config_selectorIjNS0_10empty_typeEEENS1_38merge_sort_block_merge_config_selectorIjSE_EEEEvv,"axG",@progbits,_ZN7rocprim17ROCPRIM_400000_NS6detail44device_merge_sort_compile_time_verifier_archINS1_11comp_targetILNS1_3genE8ELNS1_11target_archE1030ELNS1_3gpuE2ELNS1_3repE0EEES8_NS1_28merge_sort_block_sort_configILj256ELj4ELNS0_20block_sort_algorithmE0EEENS0_14default_configENS1_37merge_sort_block_sort_config_selectorIjNS0_10empty_typeEEENS1_38merge_sort_block_merge_config_selectorIjSE_EEEEvv,comdat
.Lfunc_end968:
	.size	_ZN7rocprim17ROCPRIM_400000_NS6detail44device_merge_sort_compile_time_verifier_archINS1_11comp_targetILNS1_3genE8ELNS1_11target_archE1030ELNS1_3gpuE2ELNS1_3repE0EEES8_NS1_28merge_sort_block_sort_configILj256ELj4ELNS0_20block_sort_algorithmE0EEENS0_14default_configENS1_37merge_sort_block_sort_config_selectorIjNS0_10empty_typeEEENS1_38merge_sort_block_merge_config_selectorIjSE_EEEEvv, .Lfunc_end968-_ZN7rocprim17ROCPRIM_400000_NS6detail44device_merge_sort_compile_time_verifier_archINS1_11comp_targetILNS1_3genE8ELNS1_11target_archE1030ELNS1_3gpuE2ELNS1_3repE0EEES8_NS1_28merge_sort_block_sort_configILj256ELj4ELNS0_20block_sort_algorithmE0EEENS0_14default_configENS1_37merge_sort_block_sort_config_selectorIjNS0_10empty_typeEEENS1_38merge_sort_block_merge_config_selectorIjSE_EEEEvv
                                        ; -- End function
	.section	.AMDGPU.csdata,"",@progbits
; Kernel info:
; codeLenInByte = 4
; NumSgprs: 4
; NumVgprs: 0
; NumAgprs: 0
; TotalNumVgprs: 0
; ScratchSize: 0
; MemoryBound: 0
; FloatMode: 240
; IeeeMode: 1
; LDSByteSize: 0 bytes/workgroup (compile time only)
; SGPRBlocks: 0
; VGPRBlocks: 0
; NumSGPRsForWavesPerEU: 4
; NumVGPRsForWavesPerEU: 1
; AccumOffset: 4
; Occupancy: 8
; WaveLimiterHint : 0
; COMPUTE_PGM_RSRC2:SCRATCH_EN: 0
; COMPUTE_PGM_RSRC2:USER_SGPR: 4
; COMPUTE_PGM_RSRC2:TRAP_HANDLER: 0
; COMPUTE_PGM_RSRC2:TGID_X_EN: 1
; COMPUTE_PGM_RSRC2:TGID_Y_EN: 0
; COMPUTE_PGM_RSRC2:TGID_Z_EN: 0
; COMPUTE_PGM_RSRC2:TIDIG_COMP_CNT: 0
; COMPUTE_PGM_RSRC3_GFX90A:ACCUM_OFFSET: 0
; COMPUTE_PGM_RSRC3_GFX90A:TG_SPLIT: 0
	.section	.text._ZN7rocprim17ROCPRIM_400000_NS6detail17trampoline_kernelINS0_14default_configENS1_38merge_sort_block_merge_config_selectorIjNS0_10empty_typeEEEZZNS1_27merge_sort_block_merge_implIS3_N6thrust23THRUST_200600_302600_NS6detail15normal_iteratorINS9_10device_ptrIjEEEEPS5_jNS1_19radix_merge_compareILb0ELb0EjNS0_19identity_decomposerEEEEE10hipError_tT0_T1_T2_jT3_P12ihipStream_tbPNSt15iterator_traitsISK_E10value_typeEPNSQ_ISL_E10value_typeEPSM_NS1_7vsmem_tEENKUlT_SK_SL_SM_E_clIPjSE_SF_SF_EESJ_SZ_SK_SL_SM_EUlSZ_E_NS1_11comp_targetILNS1_3genE0ELNS1_11target_archE4294967295ELNS1_3gpuE0ELNS1_3repE0EEENS1_48merge_mergepath_partition_config_static_selectorELNS0_4arch9wavefront6targetE1EEEvSL_,"axG",@progbits,_ZN7rocprim17ROCPRIM_400000_NS6detail17trampoline_kernelINS0_14default_configENS1_38merge_sort_block_merge_config_selectorIjNS0_10empty_typeEEEZZNS1_27merge_sort_block_merge_implIS3_N6thrust23THRUST_200600_302600_NS6detail15normal_iteratorINS9_10device_ptrIjEEEEPS5_jNS1_19radix_merge_compareILb0ELb0EjNS0_19identity_decomposerEEEEE10hipError_tT0_T1_T2_jT3_P12ihipStream_tbPNSt15iterator_traitsISK_E10value_typeEPNSQ_ISL_E10value_typeEPSM_NS1_7vsmem_tEENKUlT_SK_SL_SM_E_clIPjSE_SF_SF_EESJ_SZ_SK_SL_SM_EUlSZ_E_NS1_11comp_targetILNS1_3genE0ELNS1_11target_archE4294967295ELNS1_3gpuE0ELNS1_3repE0EEENS1_48merge_mergepath_partition_config_static_selectorELNS0_4arch9wavefront6targetE1EEEvSL_,comdat
	.protected	_ZN7rocprim17ROCPRIM_400000_NS6detail17trampoline_kernelINS0_14default_configENS1_38merge_sort_block_merge_config_selectorIjNS0_10empty_typeEEEZZNS1_27merge_sort_block_merge_implIS3_N6thrust23THRUST_200600_302600_NS6detail15normal_iteratorINS9_10device_ptrIjEEEEPS5_jNS1_19radix_merge_compareILb0ELb0EjNS0_19identity_decomposerEEEEE10hipError_tT0_T1_T2_jT3_P12ihipStream_tbPNSt15iterator_traitsISK_E10value_typeEPNSQ_ISL_E10value_typeEPSM_NS1_7vsmem_tEENKUlT_SK_SL_SM_E_clIPjSE_SF_SF_EESJ_SZ_SK_SL_SM_EUlSZ_E_NS1_11comp_targetILNS1_3genE0ELNS1_11target_archE4294967295ELNS1_3gpuE0ELNS1_3repE0EEENS1_48merge_mergepath_partition_config_static_selectorELNS0_4arch9wavefront6targetE1EEEvSL_ ; -- Begin function _ZN7rocprim17ROCPRIM_400000_NS6detail17trampoline_kernelINS0_14default_configENS1_38merge_sort_block_merge_config_selectorIjNS0_10empty_typeEEEZZNS1_27merge_sort_block_merge_implIS3_N6thrust23THRUST_200600_302600_NS6detail15normal_iteratorINS9_10device_ptrIjEEEEPS5_jNS1_19radix_merge_compareILb0ELb0EjNS0_19identity_decomposerEEEEE10hipError_tT0_T1_T2_jT3_P12ihipStream_tbPNSt15iterator_traitsISK_E10value_typeEPNSQ_ISL_E10value_typeEPSM_NS1_7vsmem_tEENKUlT_SK_SL_SM_E_clIPjSE_SF_SF_EESJ_SZ_SK_SL_SM_EUlSZ_E_NS1_11comp_targetILNS1_3genE0ELNS1_11target_archE4294967295ELNS1_3gpuE0ELNS1_3repE0EEENS1_48merge_mergepath_partition_config_static_selectorELNS0_4arch9wavefront6targetE1EEEvSL_
	.globl	_ZN7rocprim17ROCPRIM_400000_NS6detail17trampoline_kernelINS0_14default_configENS1_38merge_sort_block_merge_config_selectorIjNS0_10empty_typeEEEZZNS1_27merge_sort_block_merge_implIS3_N6thrust23THRUST_200600_302600_NS6detail15normal_iteratorINS9_10device_ptrIjEEEEPS5_jNS1_19radix_merge_compareILb0ELb0EjNS0_19identity_decomposerEEEEE10hipError_tT0_T1_T2_jT3_P12ihipStream_tbPNSt15iterator_traitsISK_E10value_typeEPNSQ_ISL_E10value_typeEPSM_NS1_7vsmem_tEENKUlT_SK_SL_SM_E_clIPjSE_SF_SF_EESJ_SZ_SK_SL_SM_EUlSZ_E_NS1_11comp_targetILNS1_3genE0ELNS1_11target_archE4294967295ELNS1_3gpuE0ELNS1_3repE0EEENS1_48merge_mergepath_partition_config_static_selectorELNS0_4arch9wavefront6targetE1EEEvSL_
	.p2align	8
	.type	_ZN7rocprim17ROCPRIM_400000_NS6detail17trampoline_kernelINS0_14default_configENS1_38merge_sort_block_merge_config_selectorIjNS0_10empty_typeEEEZZNS1_27merge_sort_block_merge_implIS3_N6thrust23THRUST_200600_302600_NS6detail15normal_iteratorINS9_10device_ptrIjEEEEPS5_jNS1_19radix_merge_compareILb0ELb0EjNS0_19identity_decomposerEEEEE10hipError_tT0_T1_T2_jT3_P12ihipStream_tbPNSt15iterator_traitsISK_E10value_typeEPNSQ_ISL_E10value_typeEPSM_NS1_7vsmem_tEENKUlT_SK_SL_SM_E_clIPjSE_SF_SF_EESJ_SZ_SK_SL_SM_EUlSZ_E_NS1_11comp_targetILNS1_3genE0ELNS1_11target_archE4294967295ELNS1_3gpuE0ELNS1_3repE0EEENS1_48merge_mergepath_partition_config_static_selectorELNS0_4arch9wavefront6targetE1EEEvSL_,@function
_ZN7rocprim17ROCPRIM_400000_NS6detail17trampoline_kernelINS0_14default_configENS1_38merge_sort_block_merge_config_selectorIjNS0_10empty_typeEEEZZNS1_27merge_sort_block_merge_implIS3_N6thrust23THRUST_200600_302600_NS6detail15normal_iteratorINS9_10device_ptrIjEEEEPS5_jNS1_19radix_merge_compareILb0ELb0EjNS0_19identity_decomposerEEEEE10hipError_tT0_T1_T2_jT3_P12ihipStream_tbPNSt15iterator_traitsISK_E10value_typeEPNSQ_ISL_E10value_typeEPSM_NS1_7vsmem_tEENKUlT_SK_SL_SM_E_clIPjSE_SF_SF_EESJ_SZ_SK_SL_SM_EUlSZ_E_NS1_11comp_targetILNS1_3genE0ELNS1_11target_archE4294967295ELNS1_3gpuE0ELNS1_3repE0EEENS1_48merge_mergepath_partition_config_static_selectorELNS0_4arch9wavefront6targetE1EEEvSL_: ; @_ZN7rocprim17ROCPRIM_400000_NS6detail17trampoline_kernelINS0_14default_configENS1_38merge_sort_block_merge_config_selectorIjNS0_10empty_typeEEEZZNS1_27merge_sort_block_merge_implIS3_N6thrust23THRUST_200600_302600_NS6detail15normal_iteratorINS9_10device_ptrIjEEEEPS5_jNS1_19radix_merge_compareILb0ELb0EjNS0_19identity_decomposerEEEEE10hipError_tT0_T1_T2_jT3_P12ihipStream_tbPNSt15iterator_traitsISK_E10value_typeEPNSQ_ISL_E10value_typeEPSM_NS1_7vsmem_tEENKUlT_SK_SL_SM_E_clIPjSE_SF_SF_EESJ_SZ_SK_SL_SM_EUlSZ_E_NS1_11comp_targetILNS1_3genE0ELNS1_11target_archE4294967295ELNS1_3gpuE0ELNS1_3repE0EEENS1_48merge_mergepath_partition_config_static_selectorELNS0_4arch9wavefront6targetE1EEEvSL_
; %bb.0:
	.section	.rodata,"a",@progbits
	.p2align	6, 0x0
	.amdhsa_kernel _ZN7rocprim17ROCPRIM_400000_NS6detail17trampoline_kernelINS0_14default_configENS1_38merge_sort_block_merge_config_selectorIjNS0_10empty_typeEEEZZNS1_27merge_sort_block_merge_implIS3_N6thrust23THRUST_200600_302600_NS6detail15normal_iteratorINS9_10device_ptrIjEEEEPS5_jNS1_19radix_merge_compareILb0ELb0EjNS0_19identity_decomposerEEEEE10hipError_tT0_T1_T2_jT3_P12ihipStream_tbPNSt15iterator_traitsISK_E10value_typeEPNSQ_ISL_E10value_typeEPSM_NS1_7vsmem_tEENKUlT_SK_SL_SM_E_clIPjSE_SF_SF_EESJ_SZ_SK_SL_SM_EUlSZ_E_NS1_11comp_targetILNS1_3genE0ELNS1_11target_archE4294967295ELNS1_3gpuE0ELNS1_3repE0EEENS1_48merge_mergepath_partition_config_static_selectorELNS0_4arch9wavefront6targetE1EEEvSL_
		.amdhsa_group_segment_fixed_size 0
		.amdhsa_private_segment_fixed_size 0
		.amdhsa_kernarg_size 40
		.amdhsa_user_sgpr_count 6
		.amdhsa_user_sgpr_private_segment_buffer 1
		.amdhsa_user_sgpr_dispatch_ptr 0
		.amdhsa_user_sgpr_queue_ptr 0
		.amdhsa_user_sgpr_kernarg_segment_ptr 1
		.amdhsa_user_sgpr_dispatch_id 0
		.amdhsa_user_sgpr_flat_scratch_init 0
		.amdhsa_user_sgpr_kernarg_preload_length 0
		.amdhsa_user_sgpr_kernarg_preload_offset 0
		.amdhsa_user_sgpr_private_segment_size 0
		.amdhsa_uses_dynamic_stack 0
		.amdhsa_system_sgpr_private_segment_wavefront_offset 0
		.amdhsa_system_sgpr_workgroup_id_x 1
		.amdhsa_system_sgpr_workgroup_id_y 0
		.amdhsa_system_sgpr_workgroup_id_z 0
		.amdhsa_system_sgpr_workgroup_info 0
		.amdhsa_system_vgpr_workitem_id 0
		.amdhsa_next_free_vgpr 1
		.amdhsa_next_free_sgpr 0
		.amdhsa_accum_offset 4
		.amdhsa_reserve_vcc 0
		.amdhsa_reserve_flat_scratch 0
		.amdhsa_float_round_mode_32 0
		.amdhsa_float_round_mode_16_64 0
		.amdhsa_float_denorm_mode_32 3
		.amdhsa_float_denorm_mode_16_64 3
		.amdhsa_dx10_clamp 1
		.amdhsa_ieee_mode 1
		.amdhsa_fp16_overflow 0
		.amdhsa_tg_split 0
		.amdhsa_exception_fp_ieee_invalid_op 0
		.amdhsa_exception_fp_denorm_src 0
		.amdhsa_exception_fp_ieee_div_zero 0
		.amdhsa_exception_fp_ieee_overflow 0
		.amdhsa_exception_fp_ieee_underflow 0
		.amdhsa_exception_fp_ieee_inexact 0
		.amdhsa_exception_int_div_zero 0
	.end_amdhsa_kernel
	.section	.text._ZN7rocprim17ROCPRIM_400000_NS6detail17trampoline_kernelINS0_14default_configENS1_38merge_sort_block_merge_config_selectorIjNS0_10empty_typeEEEZZNS1_27merge_sort_block_merge_implIS3_N6thrust23THRUST_200600_302600_NS6detail15normal_iteratorINS9_10device_ptrIjEEEEPS5_jNS1_19radix_merge_compareILb0ELb0EjNS0_19identity_decomposerEEEEE10hipError_tT0_T1_T2_jT3_P12ihipStream_tbPNSt15iterator_traitsISK_E10value_typeEPNSQ_ISL_E10value_typeEPSM_NS1_7vsmem_tEENKUlT_SK_SL_SM_E_clIPjSE_SF_SF_EESJ_SZ_SK_SL_SM_EUlSZ_E_NS1_11comp_targetILNS1_3genE0ELNS1_11target_archE4294967295ELNS1_3gpuE0ELNS1_3repE0EEENS1_48merge_mergepath_partition_config_static_selectorELNS0_4arch9wavefront6targetE1EEEvSL_,"axG",@progbits,_ZN7rocprim17ROCPRIM_400000_NS6detail17trampoline_kernelINS0_14default_configENS1_38merge_sort_block_merge_config_selectorIjNS0_10empty_typeEEEZZNS1_27merge_sort_block_merge_implIS3_N6thrust23THRUST_200600_302600_NS6detail15normal_iteratorINS9_10device_ptrIjEEEEPS5_jNS1_19radix_merge_compareILb0ELb0EjNS0_19identity_decomposerEEEEE10hipError_tT0_T1_T2_jT3_P12ihipStream_tbPNSt15iterator_traitsISK_E10value_typeEPNSQ_ISL_E10value_typeEPSM_NS1_7vsmem_tEENKUlT_SK_SL_SM_E_clIPjSE_SF_SF_EESJ_SZ_SK_SL_SM_EUlSZ_E_NS1_11comp_targetILNS1_3genE0ELNS1_11target_archE4294967295ELNS1_3gpuE0ELNS1_3repE0EEENS1_48merge_mergepath_partition_config_static_selectorELNS0_4arch9wavefront6targetE1EEEvSL_,comdat
.Lfunc_end969:
	.size	_ZN7rocprim17ROCPRIM_400000_NS6detail17trampoline_kernelINS0_14default_configENS1_38merge_sort_block_merge_config_selectorIjNS0_10empty_typeEEEZZNS1_27merge_sort_block_merge_implIS3_N6thrust23THRUST_200600_302600_NS6detail15normal_iteratorINS9_10device_ptrIjEEEEPS5_jNS1_19radix_merge_compareILb0ELb0EjNS0_19identity_decomposerEEEEE10hipError_tT0_T1_T2_jT3_P12ihipStream_tbPNSt15iterator_traitsISK_E10value_typeEPNSQ_ISL_E10value_typeEPSM_NS1_7vsmem_tEENKUlT_SK_SL_SM_E_clIPjSE_SF_SF_EESJ_SZ_SK_SL_SM_EUlSZ_E_NS1_11comp_targetILNS1_3genE0ELNS1_11target_archE4294967295ELNS1_3gpuE0ELNS1_3repE0EEENS1_48merge_mergepath_partition_config_static_selectorELNS0_4arch9wavefront6targetE1EEEvSL_, .Lfunc_end969-_ZN7rocprim17ROCPRIM_400000_NS6detail17trampoline_kernelINS0_14default_configENS1_38merge_sort_block_merge_config_selectorIjNS0_10empty_typeEEEZZNS1_27merge_sort_block_merge_implIS3_N6thrust23THRUST_200600_302600_NS6detail15normal_iteratorINS9_10device_ptrIjEEEEPS5_jNS1_19radix_merge_compareILb0ELb0EjNS0_19identity_decomposerEEEEE10hipError_tT0_T1_T2_jT3_P12ihipStream_tbPNSt15iterator_traitsISK_E10value_typeEPNSQ_ISL_E10value_typeEPSM_NS1_7vsmem_tEENKUlT_SK_SL_SM_E_clIPjSE_SF_SF_EESJ_SZ_SK_SL_SM_EUlSZ_E_NS1_11comp_targetILNS1_3genE0ELNS1_11target_archE4294967295ELNS1_3gpuE0ELNS1_3repE0EEENS1_48merge_mergepath_partition_config_static_selectorELNS0_4arch9wavefront6targetE1EEEvSL_
                                        ; -- End function
	.section	.AMDGPU.csdata,"",@progbits
; Kernel info:
; codeLenInByte = 0
; NumSgprs: 4
; NumVgprs: 0
; NumAgprs: 0
; TotalNumVgprs: 0
; ScratchSize: 0
; MemoryBound: 0
; FloatMode: 240
; IeeeMode: 1
; LDSByteSize: 0 bytes/workgroup (compile time only)
; SGPRBlocks: 0
; VGPRBlocks: 0
; NumSGPRsForWavesPerEU: 4
; NumVGPRsForWavesPerEU: 1
; AccumOffset: 4
; Occupancy: 8
; WaveLimiterHint : 0
; COMPUTE_PGM_RSRC2:SCRATCH_EN: 0
; COMPUTE_PGM_RSRC2:USER_SGPR: 6
; COMPUTE_PGM_RSRC2:TRAP_HANDLER: 0
; COMPUTE_PGM_RSRC2:TGID_X_EN: 1
; COMPUTE_PGM_RSRC2:TGID_Y_EN: 0
; COMPUTE_PGM_RSRC2:TGID_Z_EN: 0
; COMPUTE_PGM_RSRC2:TIDIG_COMP_CNT: 0
; COMPUTE_PGM_RSRC3_GFX90A:ACCUM_OFFSET: 0
; COMPUTE_PGM_RSRC3_GFX90A:TG_SPLIT: 0
	.section	.text._ZN7rocprim17ROCPRIM_400000_NS6detail17trampoline_kernelINS0_14default_configENS1_38merge_sort_block_merge_config_selectorIjNS0_10empty_typeEEEZZNS1_27merge_sort_block_merge_implIS3_N6thrust23THRUST_200600_302600_NS6detail15normal_iteratorINS9_10device_ptrIjEEEEPS5_jNS1_19radix_merge_compareILb0ELb0EjNS0_19identity_decomposerEEEEE10hipError_tT0_T1_T2_jT3_P12ihipStream_tbPNSt15iterator_traitsISK_E10value_typeEPNSQ_ISL_E10value_typeEPSM_NS1_7vsmem_tEENKUlT_SK_SL_SM_E_clIPjSE_SF_SF_EESJ_SZ_SK_SL_SM_EUlSZ_E_NS1_11comp_targetILNS1_3genE10ELNS1_11target_archE1201ELNS1_3gpuE5ELNS1_3repE0EEENS1_48merge_mergepath_partition_config_static_selectorELNS0_4arch9wavefront6targetE1EEEvSL_,"axG",@progbits,_ZN7rocprim17ROCPRIM_400000_NS6detail17trampoline_kernelINS0_14default_configENS1_38merge_sort_block_merge_config_selectorIjNS0_10empty_typeEEEZZNS1_27merge_sort_block_merge_implIS3_N6thrust23THRUST_200600_302600_NS6detail15normal_iteratorINS9_10device_ptrIjEEEEPS5_jNS1_19radix_merge_compareILb0ELb0EjNS0_19identity_decomposerEEEEE10hipError_tT0_T1_T2_jT3_P12ihipStream_tbPNSt15iterator_traitsISK_E10value_typeEPNSQ_ISL_E10value_typeEPSM_NS1_7vsmem_tEENKUlT_SK_SL_SM_E_clIPjSE_SF_SF_EESJ_SZ_SK_SL_SM_EUlSZ_E_NS1_11comp_targetILNS1_3genE10ELNS1_11target_archE1201ELNS1_3gpuE5ELNS1_3repE0EEENS1_48merge_mergepath_partition_config_static_selectorELNS0_4arch9wavefront6targetE1EEEvSL_,comdat
	.protected	_ZN7rocprim17ROCPRIM_400000_NS6detail17trampoline_kernelINS0_14default_configENS1_38merge_sort_block_merge_config_selectorIjNS0_10empty_typeEEEZZNS1_27merge_sort_block_merge_implIS3_N6thrust23THRUST_200600_302600_NS6detail15normal_iteratorINS9_10device_ptrIjEEEEPS5_jNS1_19radix_merge_compareILb0ELb0EjNS0_19identity_decomposerEEEEE10hipError_tT0_T1_T2_jT3_P12ihipStream_tbPNSt15iterator_traitsISK_E10value_typeEPNSQ_ISL_E10value_typeEPSM_NS1_7vsmem_tEENKUlT_SK_SL_SM_E_clIPjSE_SF_SF_EESJ_SZ_SK_SL_SM_EUlSZ_E_NS1_11comp_targetILNS1_3genE10ELNS1_11target_archE1201ELNS1_3gpuE5ELNS1_3repE0EEENS1_48merge_mergepath_partition_config_static_selectorELNS0_4arch9wavefront6targetE1EEEvSL_ ; -- Begin function _ZN7rocprim17ROCPRIM_400000_NS6detail17trampoline_kernelINS0_14default_configENS1_38merge_sort_block_merge_config_selectorIjNS0_10empty_typeEEEZZNS1_27merge_sort_block_merge_implIS3_N6thrust23THRUST_200600_302600_NS6detail15normal_iteratorINS9_10device_ptrIjEEEEPS5_jNS1_19radix_merge_compareILb0ELb0EjNS0_19identity_decomposerEEEEE10hipError_tT0_T1_T2_jT3_P12ihipStream_tbPNSt15iterator_traitsISK_E10value_typeEPNSQ_ISL_E10value_typeEPSM_NS1_7vsmem_tEENKUlT_SK_SL_SM_E_clIPjSE_SF_SF_EESJ_SZ_SK_SL_SM_EUlSZ_E_NS1_11comp_targetILNS1_3genE10ELNS1_11target_archE1201ELNS1_3gpuE5ELNS1_3repE0EEENS1_48merge_mergepath_partition_config_static_selectorELNS0_4arch9wavefront6targetE1EEEvSL_
	.globl	_ZN7rocprim17ROCPRIM_400000_NS6detail17trampoline_kernelINS0_14default_configENS1_38merge_sort_block_merge_config_selectorIjNS0_10empty_typeEEEZZNS1_27merge_sort_block_merge_implIS3_N6thrust23THRUST_200600_302600_NS6detail15normal_iteratorINS9_10device_ptrIjEEEEPS5_jNS1_19radix_merge_compareILb0ELb0EjNS0_19identity_decomposerEEEEE10hipError_tT0_T1_T2_jT3_P12ihipStream_tbPNSt15iterator_traitsISK_E10value_typeEPNSQ_ISL_E10value_typeEPSM_NS1_7vsmem_tEENKUlT_SK_SL_SM_E_clIPjSE_SF_SF_EESJ_SZ_SK_SL_SM_EUlSZ_E_NS1_11comp_targetILNS1_3genE10ELNS1_11target_archE1201ELNS1_3gpuE5ELNS1_3repE0EEENS1_48merge_mergepath_partition_config_static_selectorELNS0_4arch9wavefront6targetE1EEEvSL_
	.p2align	8
	.type	_ZN7rocprim17ROCPRIM_400000_NS6detail17trampoline_kernelINS0_14default_configENS1_38merge_sort_block_merge_config_selectorIjNS0_10empty_typeEEEZZNS1_27merge_sort_block_merge_implIS3_N6thrust23THRUST_200600_302600_NS6detail15normal_iteratorINS9_10device_ptrIjEEEEPS5_jNS1_19radix_merge_compareILb0ELb0EjNS0_19identity_decomposerEEEEE10hipError_tT0_T1_T2_jT3_P12ihipStream_tbPNSt15iterator_traitsISK_E10value_typeEPNSQ_ISL_E10value_typeEPSM_NS1_7vsmem_tEENKUlT_SK_SL_SM_E_clIPjSE_SF_SF_EESJ_SZ_SK_SL_SM_EUlSZ_E_NS1_11comp_targetILNS1_3genE10ELNS1_11target_archE1201ELNS1_3gpuE5ELNS1_3repE0EEENS1_48merge_mergepath_partition_config_static_selectorELNS0_4arch9wavefront6targetE1EEEvSL_,@function
_ZN7rocprim17ROCPRIM_400000_NS6detail17trampoline_kernelINS0_14default_configENS1_38merge_sort_block_merge_config_selectorIjNS0_10empty_typeEEEZZNS1_27merge_sort_block_merge_implIS3_N6thrust23THRUST_200600_302600_NS6detail15normal_iteratorINS9_10device_ptrIjEEEEPS5_jNS1_19radix_merge_compareILb0ELb0EjNS0_19identity_decomposerEEEEE10hipError_tT0_T1_T2_jT3_P12ihipStream_tbPNSt15iterator_traitsISK_E10value_typeEPNSQ_ISL_E10value_typeEPSM_NS1_7vsmem_tEENKUlT_SK_SL_SM_E_clIPjSE_SF_SF_EESJ_SZ_SK_SL_SM_EUlSZ_E_NS1_11comp_targetILNS1_3genE10ELNS1_11target_archE1201ELNS1_3gpuE5ELNS1_3repE0EEENS1_48merge_mergepath_partition_config_static_selectorELNS0_4arch9wavefront6targetE1EEEvSL_: ; @_ZN7rocprim17ROCPRIM_400000_NS6detail17trampoline_kernelINS0_14default_configENS1_38merge_sort_block_merge_config_selectorIjNS0_10empty_typeEEEZZNS1_27merge_sort_block_merge_implIS3_N6thrust23THRUST_200600_302600_NS6detail15normal_iteratorINS9_10device_ptrIjEEEEPS5_jNS1_19radix_merge_compareILb0ELb0EjNS0_19identity_decomposerEEEEE10hipError_tT0_T1_T2_jT3_P12ihipStream_tbPNSt15iterator_traitsISK_E10value_typeEPNSQ_ISL_E10value_typeEPSM_NS1_7vsmem_tEENKUlT_SK_SL_SM_E_clIPjSE_SF_SF_EESJ_SZ_SK_SL_SM_EUlSZ_E_NS1_11comp_targetILNS1_3genE10ELNS1_11target_archE1201ELNS1_3gpuE5ELNS1_3repE0EEENS1_48merge_mergepath_partition_config_static_selectorELNS0_4arch9wavefront6targetE1EEEvSL_
; %bb.0:
	.section	.rodata,"a",@progbits
	.p2align	6, 0x0
	.amdhsa_kernel _ZN7rocprim17ROCPRIM_400000_NS6detail17trampoline_kernelINS0_14default_configENS1_38merge_sort_block_merge_config_selectorIjNS0_10empty_typeEEEZZNS1_27merge_sort_block_merge_implIS3_N6thrust23THRUST_200600_302600_NS6detail15normal_iteratorINS9_10device_ptrIjEEEEPS5_jNS1_19radix_merge_compareILb0ELb0EjNS0_19identity_decomposerEEEEE10hipError_tT0_T1_T2_jT3_P12ihipStream_tbPNSt15iterator_traitsISK_E10value_typeEPNSQ_ISL_E10value_typeEPSM_NS1_7vsmem_tEENKUlT_SK_SL_SM_E_clIPjSE_SF_SF_EESJ_SZ_SK_SL_SM_EUlSZ_E_NS1_11comp_targetILNS1_3genE10ELNS1_11target_archE1201ELNS1_3gpuE5ELNS1_3repE0EEENS1_48merge_mergepath_partition_config_static_selectorELNS0_4arch9wavefront6targetE1EEEvSL_
		.amdhsa_group_segment_fixed_size 0
		.amdhsa_private_segment_fixed_size 0
		.amdhsa_kernarg_size 40
		.amdhsa_user_sgpr_count 6
		.amdhsa_user_sgpr_private_segment_buffer 1
		.amdhsa_user_sgpr_dispatch_ptr 0
		.amdhsa_user_sgpr_queue_ptr 0
		.amdhsa_user_sgpr_kernarg_segment_ptr 1
		.amdhsa_user_sgpr_dispatch_id 0
		.amdhsa_user_sgpr_flat_scratch_init 0
		.amdhsa_user_sgpr_kernarg_preload_length 0
		.amdhsa_user_sgpr_kernarg_preload_offset 0
		.amdhsa_user_sgpr_private_segment_size 0
		.amdhsa_uses_dynamic_stack 0
		.amdhsa_system_sgpr_private_segment_wavefront_offset 0
		.amdhsa_system_sgpr_workgroup_id_x 1
		.amdhsa_system_sgpr_workgroup_id_y 0
		.amdhsa_system_sgpr_workgroup_id_z 0
		.amdhsa_system_sgpr_workgroup_info 0
		.amdhsa_system_vgpr_workitem_id 0
		.amdhsa_next_free_vgpr 1
		.amdhsa_next_free_sgpr 0
		.amdhsa_accum_offset 4
		.amdhsa_reserve_vcc 0
		.amdhsa_reserve_flat_scratch 0
		.amdhsa_float_round_mode_32 0
		.amdhsa_float_round_mode_16_64 0
		.amdhsa_float_denorm_mode_32 3
		.amdhsa_float_denorm_mode_16_64 3
		.amdhsa_dx10_clamp 1
		.amdhsa_ieee_mode 1
		.amdhsa_fp16_overflow 0
		.amdhsa_tg_split 0
		.amdhsa_exception_fp_ieee_invalid_op 0
		.amdhsa_exception_fp_denorm_src 0
		.amdhsa_exception_fp_ieee_div_zero 0
		.amdhsa_exception_fp_ieee_overflow 0
		.amdhsa_exception_fp_ieee_underflow 0
		.amdhsa_exception_fp_ieee_inexact 0
		.amdhsa_exception_int_div_zero 0
	.end_amdhsa_kernel
	.section	.text._ZN7rocprim17ROCPRIM_400000_NS6detail17trampoline_kernelINS0_14default_configENS1_38merge_sort_block_merge_config_selectorIjNS0_10empty_typeEEEZZNS1_27merge_sort_block_merge_implIS3_N6thrust23THRUST_200600_302600_NS6detail15normal_iteratorINS9_10device_ptrIjEEEEPS5_jNS1_19radix_merge_compareILb0ELb0EjNS0_19identity_decomposerEEEEE10hipError_tT0_T1_T2_jT3_P12ihipStream_tbPNSt15iterator_traitsISK_E10value_typeEPNSQ_ISL_E10value_typeEPSM_NS1_7vsmem_tEENKUlT_SK_SL_SM_E_clIPjSE_SF_SF_EESJ_SZ_SK_SL_SM_EUlSZ_E_NS1_11comp_targetILNS1_3genE10ELNS1_11target_archE1201ELNS1_3gpuE5ELNS1_3repE0EEENS1_48merge_mergepath_partition_config_static_selectorELNS0_4arch9wavefront6targetE1EEEvSL_,"axG",@progbits,_ZN7rocprim17ROCPRIM_400000_NS6detail17trampoline_kernelINS0_14default_configENS1_38merge_sort_block_merge_config_selectorIjNS0_10empty_typeEEEZZNS1_27merge_sort_block_merge_implIS3_N6thrust23THRUST_200600_302600_NS6detail15normal_iteratorINS9_10device_ptrIjEEEEPS5_jNS1_19radix_merge_compareILb0ELb0EjNS0_19identity_decomposerEEEEE10hipError_tT0_T1_T2_jT3_P12ihipStream_tbPNSt15iterator_traitsISK_E10value_typeEPNSQ_ISL_E10value_typeEPSM_NS1_7vsmem_tEENKUlT_SK_SL_SM_E_clIPjSE_SF_SF_EESJ_SZ_SK_SL_SM_EUlSZ_E_NS1_11comp_targetILNS1_3genE10ELNS1_11target_archE1201ELNS1_3gpuE5ELNS1_3repE0EEENS1_48merge_mergepath_partition_config_static_selectorELNS0_4arch9wavefront6targetE1EEEvSL_,comdat
.Lfunc_end970:
	.size	_ZN7rocprim17ROCPRIM_400000_NS6detail17trampoline_kernelINS0_14default_configENS1_38merge_sort_block_merge_config_selectorIjNS0_10empty_typeEEEZZNS1_27merge_sort_block_merge_implIS3_N6thrust23THRUST_200600_302600_NS6detail15normal_iteratorINS9_10device_ptrIjEEEEPS5_jNS1_19radix_merge_compareILb0ELb0EjNS0_19identity_decomposerEEEEE10hipError_tT0_T1_T2_jT3_P12ihipStream_tbPNSt15iterator_traitsISK_E10value_typeEPNSQ_ISL_E10value_typeEPSM_NS1_7vsmem_tEENKUlT_SK_SL_SM_E_clIPjSE_SF_SF_EESJ_SZ_SK_SL_SM_EUlSZ_E_NS1_11comp_targetILNS1_3genE10ELNS1_11target_archE1201ELNS1_3gpuE5ELNS1_3repE0EEENS1_48merge_mergepath_partition_config_static_selectorELNS0_4arch9wavefront6targetE1EEEvSL_, .Lfunc_end970-_ZN7rocprim17ROCPRIM_400000_NS6detail17trampoline_kernelINS0_14default_configENS1_38merge_sort_block_merge_config_selectorIjNS0_10empty_typeEEEZZNS1_27merge_sort_block_merge_implIS3_N6thrust23THRUST_200600_302600_NS6detail15normal_iteratorINS9_10device_ptrIjEEEEPS5_jNS1_19radix_merge_compareILb0ELb0EjNS0_19identity_decomposerEEEEE10hipError_tT0_T1_T2_jT3_P12ihipStream_tbPNSt15iterator_traitsISK_E10value_typeEPNSQ_ISL_E10value_typeEPSM_NS1_7vsmem_tEENKUlT_SK_SL_SM_E_clIPjSE_SF_SF_EESJ_SZ_SK_SL_SM_EUlSZ_E_NS1_11comp_targetILNS1_3genE10ELNS1_11target_archE1201ELNS1_3gpuE5ELNS1_3repE0EEENS1_48merge_mergepath_partition_config_static_selectorELNS0_4arch9wavefront6targetE1EEEvSL_
                                        ; -- End function
	.section	.AMDGPU.csdata,"",@progbits
; Kernel info:
; codeLenInByte = 0
; NumSgprs: 4
; NumVgprs: 0
; NumAgprs: 0
; TotalNumVgprs: 0
; ScratchSize: 0
; MemoryBound: 0
; FloatMode: 240
; IeeeMode: 1
; LDSByteSize: 0 bytes/workgroup (compile time only)
; SGPRBlocks: 0
; VGPRBlocks: 0
; NumSGPRsForWavesPerEU: 4
; NumVGPRsForWavesPerEU: 1
; AccumOffset: 4
; Occupancy: 8
; WaveLimiterHint : 0
; COMPUTE_PGM_RSRC2:SCRATCH_EN: 0
; COMPUTE_PGM_RSRC2:USER_SGPR: 6
; COMPUTE_PGM_RSRC2:TRAP_HANDLER: 0
; COMPUTE_PGM_RSRC2:TGID_X_EN: 1
; COMPUTE_PGM_RSRC2:TGID_Y_EN: 0
; COMPUTE_PGM_RSRC2:TGID_Z_EN: 0
; COMPUTE_PGM_RSRC2:TIDIG_COMP_CNT: 0
; COMPUTE_PGM_RSRC3_GFX90A:ACCUM_OFFSET: 0
; COMPUTE_PGM_RSRC3_GFX90A:TG_SPLIT: 0
	.section	.text._ZN7rocprim17ROCPRIM_400000_NS6detail17trampoline_kernelINS0_14default_configENS1_38merge_sort_block_merge_config_selectorIjNS0_10empty_typeEEEZZNS1_27merge_sort_block_merge_implIS3_N6thrust23THRUST_200600_302600_NS6detail15normal_iteratorINS9_10device_ptrIjEEEEPS5_jNS1_19radix_merge_compareILb0ELb0EjNS0_19identity_decomposerEEEEE10hipError_tT0_T1_T2_jT3_P12ihipStream_tbPNSt15iterator_traitsISK_E10value_typeEPNSQ_ISL_E10value_typeEPSM_NS1_7vsmem_tEENKUlT_SK_SL_SM_E_clIPjSE_SF_SF_EESJ_SZ_SK_SL_SM_EUlSZ_E_NS1_11comp_targetILNS1_3genE5ELNS1_11target_archE942ELNS1_3gpuE9ELNS1_3repE0EEENS1_48merge_mergepath_partition_config_static_selectorELNS0_4arch9wavefront6targetE1EEEvSL_,"axG",@progbits,_ZN7rocprim17ROCPRIM_400000_NS6detail17trampoline_kernelINS0_14default_configENS1_38merge_sort_block_merge_config_selectorIjNS0_10empty_typeEEEZZNS1_27merge_sort_block_merge_implIS3_N6thrust23THRUST_200600_302600_NS6detail15normal_iteratorINS9_10device_ptrIjEEEEPS5_jNS1_19radix_merge_compareILb0ELb0EjNS0_19identity_decomposerEEEEE10hipError_tT0_T1_T2_jT3_P12ihipStream_tbPNSt15iterator_traitsISK_E10value_typeEPNSQ_ISL_E10value_typeEPSM_NS1_7vsmem_tEENKUlT_SK_SL_SM_E_clIPjSE_SF_SF_EESJ_SZ_SK_SL_SM_EUlSZ_E_NS1_11comp_targetILNS1_3genE5ELNS1_11target_archE942ELNS1_3gpuE9ELNS1_3repE0EEENS1_48merge_mergepath_partition_config_static_selectorELNS0_4arch9wavefront6targetE1EEEvSL_,comdat
	.protected	_ZN7rocprim17ROCPRIM_400000_NS6detail17trampoline_kernelINS0_14default_configENS1_38merge_sort_block_merge_config_selectorIjNS0_10empty_typeEEEZZNS1_27merge_sort_block_merge_implIS3_N6thrust23THRUST_200600_302600_NS6detail15normal_iteratorINS9_10device_ptrIjEEEEPS5_jNS1_19radix_merge_compareILb0ELb0EjNS0_19identity_decomposerEEEEE10hipError_tT0_T1_T2_jT3_P12ihipStream_tbPNSt15iterator_traitsISK_E10value_typeEPNSQ_ISL_E10value_typeEPSM_NS1_7vsmem_tEENKUlT_SK_SL_SM_E_clIPjSE_SF_SF_EESJ_SZ_SK_SL_SM_EUlSZ_E_NS1_11comp_targetILNS1_3genE5ELNS1_11target_archE942ELNS1_3gpuE9ELNS1_3repE0EEENS1_48merge_mergepath_partition_config_static_selectorELNS0_4arch9wavefront6targetE1EEEvSL_ ; -- Begin function _ZN7rocprim17ROCPRIM_400000_NS6detail17trampoline_kernelINS0_14default_configENS1_38merge_sort_block_merge_config_selectorIjNS0_10empty_typeEEEZZNS1_27merge_sort_block_merge_implIS3_N6thrust23THRUST_200600_302600_NS6detail15normal_iteratorINS9_10device_ptrIjEEEEPS5_jNS1_19radix_merge_compareILb0ELb0EjNS0_19identity_decomposerEEEEE10hipError_tT0_T1_T2_jT3_P12ihipStream_tbPNSt15iterator_traitsISK_E10value_typeEPNSQ_ISL_E10value_typeEPSM_NS1_7vsmem_tEENKUlT_SK_SL_SM_E_clIPjSE_SF_SF_EESJ_SZ_SK_SL_SM_EUlSZ_E_NS1_11comp_targetILNS1_3genE5ELNS1_11target_archE942ELNS1_3gpuE9ELNS1_3repE0EEENS1_48merge_mergepath_partition_config_static_selectorELNS0_4arch9wavefront6targetE1EEEvSL_
	.globl	_ZN7rocprim17ROCPRIM_400000_NS6detail17trampoline_kernelINS0_14default_configENS1_38merge_sort_block_merge_config_selectorIjNS0_10empty_typeEEEZZNS1_27merge_sort_block_merge_implIS3_N6thrust23THRUST_200600_302600_NS6detail15normal_iteratorINS9_10device_ptrIjEEEEPS5_jNS1_19radix_merge_compareILb0ELb0EjNS0_19identity_decomposerEEEEE10hipError_tT0_T1_T2_jT3_P12ihipStream_tbPNSt15iterator_traitsISK_E10value_typeEPNSQ_ISL_E10value_typeEPSM_NS1_7vsmem_tEENKUlT_SK_SL_SM_E_clIPjSE_SF_SF_EESJ_SZ_SK_SL_SM_EUlSZ_E_NS1_11comp_targetILNS1_3genE5ELNS1_11target_archE942ELNS1_3gpuE9ELNS1_3repE0EEENS1_48merge_mergepath_partition_config_static_selectorELNS0_4arch9wavefront6targetE1EEEvSL_
	.p2align	8
	.type	_ZN7rocprim17ROCPRIM_400000_NS6detail17trampoline_kernelINS0_14default_configENS1_38merge_sort_block_merge_config_selectorIjNS0_10empty_typeEEEZZNS1_27merge_sort_block_merge_implIS3_N6thrust23THRUST_200600_302600_NS6detail15normal_iteratorINS9_10device_ptrIjEEEEPS5_jNS1_19radix_merge_compareILb0ELb0EjNS0_19identity_decomposerEEEEE10hipError_tT0_T1_T2_jT3_P12ihipStream_tbPNSt15iterator_traitsISK_E10value_typeEPNSQ_ISL_E10value_typeEPSM_NS1_7vsmem_tEENKUlT_SK_SL_SM_E_clIPjSE_SF_SF_EESJ_SZ_SK_SL_SM_EUlSZ_E_NS1_11comp_targetILNS1_3genE5ELNS1_11target_archE942ELNS1_3gpuE9ELNS1_3repE0EEENS1_48merge_mergepath_partition_config_static_selectorELNS0_4arch9wavefront6targetE1EEEvSL_,@function
_ZN7rocprim17ROCPRIM_400000_NS6detail17trampoline_kernelINS0_14default_configENS1_38merge_sort_block_merge_config_selectorIjNS0_10empty_typeEEEZZNS1_27merge_sort_block_merge_implIS3_N6thrust23THRUST_200600_302600_NS6detail15normal_iteratorINS9_10device_ptrIjEEEEPS5_jNS1_19radix_merge_compareILb0ELb0EjNS0_19identity_decomposerEEEEE10hipError_tT0_T1_T2_jT3_P12ihipStream_tbPNSt15iterator_traitsISK_E10value_typeEPNSQ_ISL_E10value_typeEPSM_NS1_7vsmem_tEENKUlT_SK_SL_SM_E_clIPjSE_SF_SF_EESJ_SZ_SK_SL_SM_EUlSZ_E_NS1_11comp_targetILNS1_3genE5ELNS1_11target_archE942ELNS1_3gpuE9ELNS1_3repE0EEENS1_48merge_mergepath_partition_config_static_selectorELNS0_4arch9wavefront6targetE1EEEvSL_: ; @_ZN7rocprim17ROCPRIM_400000_NS6detail17trampoline_kernelINS0_14default_configENS1_38merge_sort_block_merge_config_selectorIjNS0_10empty_typeEEEZZNS1_27merge_sort_block_merge_implIS3_N6thrust23THRUST_200600_302600_NS6detail15normal_iteratorINS9_10device_ptrIjEEEEPS5_jNS1_19radix_merge_compareILb0ELb0EjNS0_19identity_decomposerEEEEE10hipError_tT0_T1_T2_jT3_P12ihipStream_tbPNSt15iterator_traitsISK_E10value_typeEPNSQ_ISL_E10value_typeEPSM_NS1_7vsmem_tEENKUlT_SK_SL_SM_E_clIPjSE_SF_SF_EESJ_SZ_SK_SL_SM_EUlSZ_E_NS1_11comp_targetILNS1_3genE5ELNS1_11target_archE942ELNS1_3gpuE9ELNS1_3repE0EEENS1_48merge_mergepath_partition_config_static_selectorELNS0_4arch9wavefront6targetE1EEEvSL_
; %bb.0:
	.section	.rodata,"a",@progbits
	.p2align	6, 0x0
	.amdhsa_kernel _ZN7rocprim17ROCPRIM_400000_NS6detail17trampoline_kernelINS0_14default_configENS1_38merge_sort_block_merge_config_selectorIjNS0_10empty_typeEEEZZNS1_27merge_sort_block_merge_implIS3_N6thrust23THRUST_200600_302600_NS6detail15normal_iteratorINS9_10device_ptrIjEEEEPS5_jNS1_19radix_merge_compareILb0ELb0EjNS0_19identity_decomposerEEEEE10hipError_tT0_T1_T2_jT3_P12ihipStream_tbPNSt15iterator_traitsISK_E10value_typeEPNSQ_ISL_E10value_typeEPSM_NS1_7vsmem_tEENKUlT_SK_SL_SM_E_clIPjSE_SF_SF_EESJ_SZ_SK_SL_SM_EUlSZ_E_NS1_11comp_targetILNS1_3genE5ELNS1_11target_archE942ELNS1_3gpuE9ELNS1_3repE0EEENS1_48merge_mergepath_partition_config_static_selectorELNS0_4arch9wavefront6targetE1EEEvSL_
		.amdhsa_group_segment_fixed_size 0
		.amdhsa_private_segment_fixed_size 0
		.amdhsa_kernarg_size 40
		.amdhsa_user_sgpr_count 6
		.amdhsa_user_sgpr_private_segment_buffer 1
		.amdhsa_user_sgpr_dispatch_ptr 0
		.amdhsa_user_sgpr_queue_ptr 0
		.amdhsa_user_sgpr_kernarg_segment_ptr 1
		.amdhsa_user_sgpr_dispatch_id 0
		.amdhsa_user_sgpr_flat_scratch_init 0
		.amdhsa_user_sgpr_kernarg_preload_length 0
		.amdhsa_user_sgpr_kernarg_preload_offset 0
		.amdhsa_user_sgpr_private_segment_size 0
		.amdhsa_uses_dynamic_stack 0
		.amdhsa_system_sgpr_private_segment_wavefront_offset 0
		.amdhsa_system_sgpr_workgroup_id_x 1
		.amdhsa_system_sgpr_workgroup_id_y 0
		.amdhsa_system_sgpr_workgroup_id_z 0
		.amdhsa_system_sgpr_workgroup_info 0
		.amdhsa_system_vgpr_workitem_id 0
		.amdhsa_next_free_vgpr 1
		.amdhsa_next_free_sgpr 0
		.amdhsa_accum_offset 4
		.amdhsa_reserve_vcc 0
		.amdhsa_reserve_flat_scratch 0
		.amdhsa_float_round_mode_32 0
		.amdhsa_float_round_mode_16_64 0
		.amdhsa_float_denorm_mode_32 3
		.amdhsa_float_denorm_mode_16_64 3
		.amdhsa_dx10_clamp 1
		.amdhsa_ieee_mode 1
		.amdhsa_fp16_overflow 0
		.amdhsa_tg_split 0
		.amdhsa_exception_fp_ieee_invalid_op 0
		.amdhsa_exception_fp_denorm_src 0
		.amdhsa_exception_fp_ieee_div_zero 0
		.amdhsa_exception_fp_ieee_overflow 0
		.amdhsa_exception_fp_ieee_underflow 0
		.amdhsa_exception_fp_ieee_inexact 0
		.amdhsa_exception_int_div_zero 0
	.end_amdhsa_kernel
	.section	.text._ZN7rocprim17ROCPRIM_400000_NS6detail17trampoline_kernelINS0_14default_configENS1_38merge_sort_block_merge_config_selectorIjNS0_10empty_typeEEEZZNS1_27merge_sort_block_merge_implIS3_N6thrust23THRUST_200600_302600_NS6detail15normal_iteratorINS9_10device_ptrIjEEEEPS5_jNS1_19radix_merge_compareILb0ELb0EjNS0_19identity_decomposerEEEEE10hipError_tT0_T1_T2_jT3_P12ihipStream_tbPNSt15iterator_traitsISK_E10value_typeEPNSQ_ISL_E10value_typeEPSM_NS1_7vsmem_tEENKUlT_SK_SL_SM_E_clIPjSE_SF_SF_EESJ_SZ_SK_SL_SM_EUlSZ_E_NS1_11comp_targetILNS1_3genE5ELNS1_11target_archE942ELNS1_3gpuE9ELNS1_3repE0EEENS1_48merge_mergepath_partition_config_static_selectorELNS0_4arch9wavefront6targetE1EEEvSL_,"axG",@progbits,_ZN7rocprim17ROCPRIM_400000_NS6detail17trampoline_kernelINS0_14default_configENS1_38merge_sort_block_merge_config_selectorIjNS0_10empty_typeEEEZZNS1_27merge_sort_block_merge_implIS3_N6thrust23THRUST_200600_302600_NS6detail15normal_iteratorINS9_10device_ptrIjEEEEPS5_jNS1_19radix_merge_compareILb0ELb0EjNS0_19identity_decomposerEEEEE10hipError_tT0_T1_T2_jT3_P12ihipStream_tbPNSt15iterator_traitsISK_E10value_typeEPNSQ_ISL_E10value_typeEPSM_NS1_7vsmem_tEENKUlT_SK_SL_SM_E_clIPjSE_SF_SF_EESJ_SZ_SK_SL_SM_EUlSZ_E_NS1_11comp_targetILNS1_3genE5ELNS1_11target_archE942ELNS1_3gpuE9ELNS1_3repE0EEENS1_48merge_mergepath_partition_config_static_selectorELNS0_4arch9wavefront6targetE1EEEvSL_,comdat
.Lfunc_end971:
	.size	_ZN7rocprim17ROCPRIM_400000_NS6detail17trampoline_kernelINS0_14default_configENS1_38merge_sort_block_merge_config_selectorIjNS0_10empty_typeEEEZZNS1_27merge_sort_block_merge_implIS3_N6thrust23THRUST_200600_302600_NS6detail15normal_iteratorINS9_10device_ptrIjEEEEPS5_jNS1_19radix_merge_compareILb0ELb0EjNS0_19identity_decomposerEEEEE10hipError_tT0_T1_T2_jT3_P12ihipStream_tbPNSt15iterator_traitsISK_E10value_typeEPNSQ_ISL_E10value_typeEPSM_NS1_7vsmem_tEENKUlT_SK_SL_SM_E_clIPjSE_SF_SF_EESJ_SZ_SK_SL_SM_EUlSZ_E_NS1_11comp_targetILNS1_3genE5ELNS1_11target_archE942ELNS1_3gpuE9ELNS1_3repE0EEENS1_48merge_mergepath_partition_config_static_selectorELNS0_4arch9wavefront6targetE1EEEvSL_, .Lfunc_end971-_ZN7rocprim17ROCPRIM_400000_NS6detail17trampoline_kernelINS0_14default_configENS1_38merge_sort_block_merge_config_selectorIjNS0_10empty_typeEEEZZNS1_27merge_sort_block_merge_implIS3_N6thrust23THRUST_200600_302600_NS6detail15normal_iteratorINS9_10device_ptrIjEEEEPS5_jNS1_19radix_merge_compareILb0ELb0EjNS0_19identity_decomposerEEEEE10hipError_tT0_T1_T2_jT3_P12ihipStream_tbPNSt15iterator_traitsISK_E10value_typeEPNSQ_ISL_E10value_typeEPSM_NS1_7vsmem_tEENKUlT_SK_SL_SM_E_clIPjSE_SF_SF_EESJ_SZ_SK_SL_SM_EUlSZ_E_NS1_11comp_targetILNS1_3genE5ELNS1_11target_archE942ELNS1_3gpuE9ELNS1_3repE0EEENS1_48merge_mergepath_partition_config_static_selectorELNS0_4arch9wavefront6targetE1EEEvSL_
                                        ; -- End function
	.section	.AMDGPU.csdata,"",@progbits
; Kernel info:
; codeLenInByte = 0
; NumSgprs: 4
; NumVgprs: 0
; NumAgprs: 0
; TotalNumVgprs: 0
; ScratchSize: 0
; MemoryBound: 0
; FloatMode: 240
; IeeeMode: 1
; LDSByteSize: 0 bytes/workgroup (compile time only)
; SGPRBlocks: 0
; VGPRBlocks: 0
; NumSGPRsForWavesPerEU: 4
; NumVGPRsForWavesPerEU: 1
; AccumOffset: 4
; Occupancy: 8
; WaveLimiterHint : 0
; COMPUTE_PGM_RSRC2:SCRATCH_EN: 0
; COMPUTE_PGM_RSRC2:USER_SGPR: 6
; COMPUTE_PGM_RSRC2:TRAP_HANDLER: 0
; COMPUTE_PGM_RSRC2:TGID_X_EN: 1
; COMPUTE_PGM_RSRC2:TGID_Y_EN: 0
; COMPUTE_PGM_RSRC2:TGID_Z_EN: 0
; COMPUTE_PGM_RSRC2:TIDIG_COMP_CNT: 0
; COMPUTE_PGM_RSRC3_GFX90A:ACCUM_OFFSET: 0
; COMPUTE_PGM_RSRC3_GFX90A:TG_SPLIT: 0
	.section	.text._ZN7rocprim17ROCPRIM_400000_NS6detail17trampoline_kernelINS0_14default_configENS1_38merge_sort_block_merge_config_selectorIjNS0_10empty_typeEEEZZNS1_27merge_sort_block_merge_implIS3_N6thrust23THRUST_200600_302600_NS6detail15normal_iteratorINS9_10device_ptrIjEEEEPS5_jNS1_19radix_merge_compareILb0ELb0EjNS0_19identity_decomposerEEEEE10hipError_tT0_T1_T2_jT3_P12ihipStream_tbPNSt15iterator_traitsISK_E10value_typeEPNSQ_ISL_E10value_typeEPSM_NS1_7vsmem_tEENKUlT_SK_SL_SM_E_clIPjSE_SF_SF_EESJ_SZ_SK_SL_SM_EUlSZ_E_NS1_11comp_targetILNS1_3genE4ELNS1_11target_archE910ELNS1_3gpuE8ELNS1_3repE0EEENS1_48merge_mergepath_partition_config_static_selectorELNS0_4arch9wavefront6targetE1EEEvSL_,"axG",@progbits,_ZN7rocprim17ROCPRIM_400000_NS6detail17trampoline_kernelINS0_14default_configENS1_38merge_sort_block_merge_config_selectorIjNS0_10empty_typeEEEZZNS1_27merge_sort_block_merge_implIS3_N6thrust23THRUST_200600_302600_NS6detail15normal_iteratorINS9_10device_ptrIjEEEEPS5_jNS1_19radix_merge_compareILb0ELb0EjNS0_19identity_decomposerEEEEE10hipError_tT0_T1_T2_jT3_P12ihipStream_tbPNSt15iterator_traitsISK_E10value_typeEPNSQ_ISL_E10value_typeEPSM_NS1_7vsmem_tEENKUlT_SK_SL_SM_E_clIPjSE_SF_SF_EESJ_SZ_SK_SL_SM_EUlSZ_E_NS1_11comp_targetILNS1_3genE4ELNS1_11target_archE910ELNS1_3gpuE8ELNS1_3repE0EEENS1_48merge_mergepath_partition_config_static_selectorELNS0_4arch9wavefront6targetE1EEEvSL_,comdat
	.protected	_ZN7rocprim17ROCPRIM_400000_NS6detail17trampoline_kernelINS0_14default_configENS1_38merge_sort_block_merge_config_selectorIjNS0_10empty_typeEEEZZNS1_27merge_sort_block_merge_implIS3_N6thrust23THRUST_200600_302600_NS6detail15normal_iteratorINS9_10device_ptrIjEEEEPS5_jNS1_19radix_merge_compareILb0ELb0EjNS0_19identity_decomposerEEEEE10hipError_tT0_T1_T2_jT3_P12ihipStream_tbPNSt15iterator_traitsISK_E10value_typeEPNSQ_ISL_E10value_typeEPSM_NS1_7vsmem_tEENKUlT_SK_SL_SM_E_clIPjSE_SF_SF_EESJ_SZ_SK_SL_SM_EUlSZ_E_NS1_11comp_targetILNS1_3genE4ELNS1_11target_archE910ELNS1_3gpuE8ELNS1_3repE0EEENS1_48merge_mergepath_partition_config_static_selectorELNS0_4arch9wavefront6targetE1EEEvSL_ ; -- Begin function _ZN7rocprim17ROCPRIM_400000_NS6detail17trampoline_kernelINS0_14default_configENS1_38merge_sort_block_merge_config_selectorIjNS0_10empty_typeEEEZZNS1_27merge_sort_block_merge_implIS3_N6thrust23THRUST_200600_302600_NS6detail15normal_iteratorINS9_10device_ptrIjEEEEPS5_jNS1_19radix_merge_compareILb0ELb0EjNS0_19identity_decomposerEEEEE10hipError_tT0_T1_T2_jT3_P12ihipStream_tbPNSt15iterator_traitsISK_E10value_typeEPNSQ_ISL_E10value_typeEPSM_NS1_7vsmem_tEENKUlT_SK_SL_SM_E_clIPjSE_SF_SF_EESJ_SZ_SK_SL_SM_EUlSZ_E_NS1_11comp_targetILNS1_3genE4ELNS1_11target_archE910ELNS1_3gpuE8ELNS1_3repE0EEENS1_48merge_mergepath_partition_config_static_selectorELNS0_4arch9wavefront6targetE1EEEvSL_
	.globl	_ZN7rocprim17ROCPRIM_400000_NS6detail17trampoline_kernelINS0_14default_configENS1_38merge_sort_block_merge_config_selectorIjNS0_10empty_typeEEEZZNS1_27merge_sort_block_merge_implIS3_N6thrust23THRUST_200600_302600_NS6detail15normal_iteratorINS9_10device_ptrIjEEEEPS5_jNS1_19radix_merge_compareILb0ELb0EjNS0_19identity_decomposerEEEEE10hipError_tT0_T1_T2_jT3_P12ihipStream_tbPNSt15iterator_traitsISK_E10value_typeEPNSQ_ISL_E10value_typeEPSM_NS1_7vsmem_tEENKUlT_SK_SL_SM_E_clIPjSE_SF_SF_EESJ_SZ_SK_SL_SM_EUlSZ_E_NS1_11comp_targetILNS1_3genE4ELNS1_11target_archE910ELNS1_3gpuE8ELNS1_3repE0EEENS1_48merge_mergepath_partition_config_static_selectorELNS0_4arch9wavefront6targetE1EEEvSL_
	.p2align	8
	.type	_ZN7rocprim17ROCPRIM_400000_NS6detail17trampoline_kernelINS0_14default_configENS1_38merge_sort_block_merge_config_selectorIjNS0_10empty_typeEEEZZNS1_27merge_sort_block_merge_implIS3_N6thrust23THRUST_200600_302600_NS6detail15normal_iteratorINS9_10device_ptrIjEEEEPS5_jNS1_19radix_merge_compareILb0ELb0EjNS0_19identity_decomposerEEEEE10hipError_tT0_T1_T2_jT3_P12ihipStream_tbPNSt15iterator_traitsISK_E10value_typeEPNSQ_ISL_E10value_typeEPSM_NS1_7vsmem_tEENKUlT_SK_SL_SM_E_clIPjSE_SF_SF_EESJ_SZ_SK_SL_SM_EUlSZ_E_NS1_11comp_targetILNS1_3genE4ELNS1_11target_archE910ELNS1_3gpuE8ELNS1_3repE0EEENS1_48merge_mergepath_partition_config_static_selectorELNS0_4arch9wavefront6targetE1EEEvSL_,@function
_ZN7rocprim17ROCPRIM_400000_NS6detail17trampoline_kernelINS0_14default_configENS1_38merge_sort_block_merge_config_selectorIjNS0_10empty_typeEEEZZNS1_27merge_sort_block_merge_implIS3_N6thrust23THRUST_200600_302600_NS6detail15normal_iteratorINS9_10device_ptrIjEEEEPS5_jNS1_19radix_merge_compareILb0ELb0EjNS0_19identity_decomposerEEEEE10hipError_tT0_T1_T2_jT3_P12ihipStream_tbPNSt15iterator_traitsISK_E10value_typeEPNSQ_ISL_E10value_typeEPSM_NS1_7vsmem_tEENKUlT_SK_SL_SM_E_clIPjSE_SF_SF_EESJ_SZ_SK_SL_SM_EUlSZ_E_NS1_11comp_targetILNS1_3genE4ELNS1_11target_archE910ELNS1_3gpuE8ELNS1_3repE0EEENS1_48merge_mergepath_partition_config_static_selectorELNS0_4arch9wavefront6targetE1EEEvSL_: ; @_ZN7rocprim17ROCPRIM_400000_NS6detail17trampoline_kernelINS0_14default_configENS1_38merge_sort_block_merge_config_selectorIjNS0_10empty_typeEEEZZNS1_27merge_sort_block_merge_implIS3_N6thrust23THRUST_200600_302600_NS6detail15normal_iteratorINS9_10device_ptrIjEEEEPS5_jNS1_19radix_merge_compareILb0ELb0EjNS0_19identity_decomposerEEEEE10hipError_tT0_T1_T2_jT3_P12ihipStream_tbPNSt15iterator_traitsISK_E10value_typeEPNSQ_ISL_E10value_typeEPSM_NS1_7vsmem_tEENKUlT_SK_SL_SM_E_clIPjSE_SF_SF_EESJ_SZ_SK_SL_SM_EUlSZ_E_NS1_11comp_targetILNS1_3genE4ELNS1_11target_archE910ELNS1_3gpuE8ELNS1_3repE0EEENS1_48merge_mergepath_partition_config_static_selectorELNS0_4arch9wavefront6targetE1EEEvSL_
; %bb.0:
	s_load_dword s0, s[4:5], 0x0
	v_lshl_or_b32 v0, s6, 7, v0
	s_waitcnt lgkmcnt(0)
	v_cmp_gt_u32_e32 vcc, s0, v0
	s_and_saveexec_b64 s[0:1], vcc
	s_cbranch_execz .LBB972_6
; %bb.1:
	s_load_dwordx2 s[2:3], s[4:5], 0x4
	s_load_dwordx2 s[0:1], s[4:5], 0x20
	s_waitcnt lgkmcnt(0)
	s_lshr_b32 s6, s2, 9
	s_and_b32 s6, s6, 0x7ffffe
	s_add_i32 s7, s6, -1
	s_sub_i32 s6, 0, s6
	v_and_b32_e32 v1, s6, v0
	v_lshlrev_b32_e32 v1, 10, v1
	v_min_u32_e32 v2, s3, v1
	v_add_u32_e32 v1, s2, v1
	v_min_u32_e32 v4, s3, v1
	v_add_u32_e32 v1, s2, v4
	v_and_b32_e32 v3, s7, v0
	v_min_u32_e32 v1, s3, v1
	v_sub_u32_e32 v5, v1, v2
	v_lshlrev_b32_e32 v3, 10, v3
	v_min_u32_e32 v6, v5, v3
	v_sub_u32_e32 v3, v4, v2
	v_sub_u32_e32 v1, v1, v4
	v_sub_u32_e64 v1, v6, v1 clamp
	v_min_u32_e32 v7, v6, v3
	v_cmp_lt_u32_e32 vcc, v1, v7
	s_and_saveexec_b64 s[2:3], vcc
	s_cbranch_execz .LBB972_5
; %bb.2:
	s_load_dwordx2 s[4:5], s[4:5], 0x10
	v_mov_b32_e32 v5, 0
	v_mov_b32_e32 v3, v5
	v_lshlrev_b64 v[8:9], 2, v[2:3]
	v_lshlrev_b64 v[10:11], 2, v[4:5]
	s_waitcnt lgkmcnt(0)
	v_mov_b32_e32 v12, s5
	v_add_co_u32_e32 v3, vcc, s4, v8
	v_addc_co_u32_e32 v8, vcc, v12, v9, vcc
	v_add_co_u32_e32 v9, vcc, s4, v10
	v_addc_co_u32_e32 v10, vcc, v12, v11, vcc
	s_mov_b64 s[4:5], 0
.LBB972_3:                              ; =>This Inner Loop Header: Depth=1
	v_add_u32_e32 v4, v7, v1
	v_lshrrev_b32_e32 v4, 1, v4
	v_lshlrev_b64 v[14:15], 2, v[4:5]
	v_mov_b32_e32 v13, v5
	v_xad_u32 v12, v4, -1, v6
	v_add_co_u32_e32 v14, vcc, v3, v14
	v_addc_co_u32_e32 v15, vcc, v8, v15, vcc
	v_lshlrev_b64 v[12:13], 2, v[12:13]
	v_add_co_u32_e32 v12, vcc, v9, v12
	v_addc_co_u32_e32 v13, vcc, v10, v13, vcc
	global_load_dword v11, v[14:15], off
	global_load_dword v16, v[12:13], off
	v_add_u32_e32 v12, 1, v4
	s_waitcnt vmcnt(0)
	v_cmp_gt_u32_e32 vcc, v11, v16
	v_cndmask_b32_e32 v7, v7, v4, vcc
	v_cndmask_b32_e32 v1, v12, v1, vcc
	v_cmp_ge_u32_e32 vcc, v1, v7
	s_or_b64 s[4:5], vcc, s[4:5]
	s_andn2_b64 exec, exec, s[4:5]
	s_cbranch_execnz .LBB972_3
; %bb.4:
	s_or_b64 exec, exec, s[4:5]
.LBB972_5:
	s_or_b64 exec, exec, s[2:3]
	v_add_u32_e32 v2, v1, v2
	v_mov_b32_e32 v1, 0
	v_lshlrev_b64 v[0:1], 2, v[0:1]
	v_mov_b32_e32 v3, s1
	v_add_co_u32_e32 v0, vcc, s0, v0
	v_addc_co_u32_e32 v1, vcc, v3, v1, vcc
	global_store_dword v[0:1], v2, off
.LBB972_6:
	s_endpgm
	.section	.rodata,"a",@progbits
	.p2align	6, 0x0
	.amdhsa_kernel _ZN7rocprim17ROCPRIM_400000_NS6detail17trampoline_kernelINS0_14default_configENS1_38merge_sort_block_merge_config_selectorIjNS0_10empty_typeEEEZZNS1_27merge_sort_block_merge_implIS3_N6thrust23THRUST_200600_302600_NS6detail15normal_iteratorINS9_10device_ptrIjEEEEPS5_jNS1_19radix_merge_compareILb0ELb0EjNS0_19identity_decomposerEEEEE10hipError_tT0_T1_T2_jT3_P12ihipStream_tbPNSt15iterator_traitsISK_E10value_typeEPNSQ_ISL_E10value_typeEPSM_NS1_7vsmem_tEENKUlT_SK_SL_SM_E_clIPjSE_SF_SF_EESJ_SZ_SK_SL_SM_EUlSZ_E_NS1_11comp_targetILNS1_3genE4ELNS1_11target_archE910ELNS1_3gpuE8ELNS1_3repE0EEENS1_48merge_mergepath_partition_config_static_selectorELNS0_4arch9wavefront6targetE1EEEvSL_
		.amdhsa_group_segment_fixed_size 0
		.amdhsa_private_segment_fixed_size 0
		.amdhsa_kernarg_size 40
		.amdhsa_user_sgpr_count 6
		.amdhsa_user_sgpr_private_segment_buffer 1
		.amdhsa_user_sgpr_dispatch_ptr 0
		.amdhsa_user_sgpr_queue_ptr 0
		.amdhsa_user_sgpr_kernarg_segment_ptr 1
		.amdhsa_user_sgpr_dispatch_id 0
		.amdhsa_user_sgpr_flat_scratch_init 0
		.amdhsa_user_sgpr_kernarg_preload_length 0
		.amdhsa_user_sgpr_kernarg_preload_offset 0
		.amdhsa_user_sgpr_private_segment_size 0
		.amdhsa_uses_dynamic_stack 0
		.amdhsa_system_sgpr_private_segment_wavefront_offset 0
		.amdhsa_system_sgpr_workgroup_id_x 1
		.amdhsa_system_sgpr_workgroup_id_y 0
		.amdhsa_system_sgpr_workgroup_id_z 0
		.amdhsa_system_sgpr_workgroup_info 0
		.amdhsa_system_vgpr_workitem_id 0
		.amdhsa_next_free_vgpr 17
		.amdhsa_next_free_sgpr 8
		.amdhsa_accum_offset 20
		.amdhsa_reserve_vcc 1
		.amdhsa_reserve_flat_scratch 0
		.amdhsa_float_round_mode_32 0
		.amdhsa_float_round_mode_16_64 0
		.amdhsa_float_denorm_mode_32 3
		.amdhsa_float_denorm_mode_16_64 3
		.amdhsa_dx10_clamp 1
		.amdhsa_ieee_mode 1
		.amdhsa_fp16_overflow 0
		.amdhsa_tg_split 0
		.amdhsa_exception_fp_ieee_invalid_op 0
		.amdhsa_exception_fp_denorm_src 0
		.amdhsa_exception_fp_ieee_div_zero 0
		.amdhsa_exception_fp_ieee_overflow 0
		.amdhsa_exception_fp_ieee_underflow 0
		.amdhsa_exception_fp_ieee_inexact 0
		.amdhsa_exception_int_div_zero 0
	.end_amdhsa_kernel
	.section	.text._ZN7rocprim17ROCPRIM_400000_NS6detail17trampoline_kernelINS0_14default_configENS1_38merge_sort_block_merge_config_selectorIjNS0_10empty_typeEEEZZNS1_27merge_sort_block_merge_implIS3_N6thrust23THRUST_200600_302600_NS6detail15normal_iteratorINS9_10device_ptrIjEEEEPS5_jNS1_19radix_merge_compareILb0ELb0EjNS0_19identity_decomposerEEEEE10hipError_tT0_T1_T2_jT3_P12ihipStream_tbPNSt15iterator_traitsISK_E10value_typeEPNSQ_ISL_E10value_typeEPSM_NS1_7vsmem_tEENKUlT_SK_SL_SM_E_clIPjSE_SF_SF_EESJ_SZ_SK_SL_SM_EUlSZ_E_NS1_11comp_targetILNS1_3genE4ELNS1_11target_archE910ELNS1_3gpuE8ELNS1_3repE0EEENS1_48merge_mergepath_partition_config_static_selectorELNS0_4arch9wavefront6targetE1EEEvSL_,"axG",@progbits,_ZN7rocprim17ROCPRIM_400000_NS6detail17trampoline_kernelINS0_14default_configENS1_38merge_sort_block_merge_config_selectorIjNS0_10empty_typeEEEZZNS1_27merge_sort_block_merge_implIS3_N6thrust23THRUST_200600_302600_NS6detail15normal_iteratorINS9_10device_ptrIjEEEEPS5_jNS1_19radix_merge_compareILb0ELb0EjNS0_19identity_decomposerEEEEE10hipError_tT0_T1_T2_jT3_P12ihipStream_tbPNSt15iterator_traitsISK_E10value_typeEPNSQ_ISL_E10value_typeEPSM_NS1_7vsmem_tEENKUlT_SK_SL_SM_E_clIPjSE_SF_SF_EESJ_SZ_SK_SL_SM_EUlSZ_E_NS1_11comp_targetILNS1_3genE4ELNS1_11target_archE910ELNS1_3gpuE8ELNS1_3repE0EEENS1_48merge_mergepath_partition_config_static_selectorELNS0_4arch9wavefront6targetE1EEEvSL_,comdat
.Lfunc_end972:
	.size	_ZN7rocprim17ROCPRIM_400000_NS6detail17trampoline_kernelINS0_14default_configENS1_38merge_sort_block_merge_config_selectorIjNS0_10empty_typeEEEZZNS1_27merge_sort_block_merge_implIS3_N6thrust23THRUST_200600_302600_NS6detail15normal_iteratorINS9_10device_ptrIjEEEEPS5_jNS1_19radix_merge_compareILb0ELb0EjNS0_19identity_decomposerEEEEE10hipError_tT0_T1_T2_jT3_P12ihipStream_tbPNSt15iterator_traitsISK_E10value_typeEPNSQ_ISL_E10value_typeEPSM_NS1_7vsmem_tEENKUlT_SK_SL_SM_E_clIPjSE_SF_SF_EESJ_SZ_SK_SL_SM_EUlSZ_E_NS1_11comp_targetILNS1_3genE4ELNS1_11target_archE910ELNS1_3gpuE8ELNS1_3repE0EEENS1_48merge_mergepath_partition_config_static_selectorELNS0_4arch9wavefront6targetE1EEEvSL_, .Lfunc_end972-_ZN7rocprim17ROCPRIM_400000_NS6detail17trampoline_kernelINS0_14default_configENS1_38merge_sort_block_merge_config_selectorIjNS0_10empty_typeEEEZZNS1_27merge_sort_block_merge_implIS3_N6thrust23THRUST_200600_302600_NS6detail15normal_iteratorINS9_10device_ptrIjEEEEPS5_jNS1_19radix_merge_compareILb0ELb0EjNS0_19identity_decomposerEEEEE10hipError_tT0_T1_T2_jT3_P12ihipStream_tbPNSt15iterator_traitsISK_E10value_typeEPNSQ_ISL_E10value_typeEPSM_NS1_7vsmem_tEENKUlT_SK_SL_SM_E_clIPjSE_SF_SF_EESJ_SZ_SK_SL_SM_EUlSZ_E_NS1_11comp_targetILNS1_3genE4ELNS1_11target_archE910ELNS1_3gpuE8ELNS1_3repE0EEENS1_48merge_mergepath_partition_config_static_selectorELNS0_4arch9wavefront6targetE1EEEvSL_
                                        ; -- End function
	.section	.AMDGPU.csdata,"",@progbits
; Kernel info:
; codeLenInByte = 360
; NumSgprs: 12
; NumVgprs: 17
; NumAgprs: 0
; TotalNumVgprs: 17
; ScratchSize: 0
; MemoryBound: 0
; FloatMode: 240
; IeeeMode: 1
; LDSByteSize: 0 bytes/workgroup (compile time only)
; SGPRBlocks: 1
; VGPRBlocks: 2
; NumSGPRsForWavesPerEU: 12
; NumVGPRsForWavesPerEU: 17
; AccumOffset: 20
; Occupancy: 8
; WaveLimiterHint : 0
; COMPUTE_PGM_RSRC2:SCRATCH_EN: 0
; COMPUTE_PGM_RSRC2:USER_SGPR: 6
; COMPUTE_PGM_RSRC2:TRAP_HANDLER: 0
; COMPUTE_PGM_RSRC2:TGID_X_EN: 1
; COMPUTE_PGM_RSRC2:TGID_Y_EN: 0
; COMPUTE_PGM_RSRC2:TGID_Z_EN: 0
; COMPUTE_PGM_RSRC2:TIDIG_COMP_CNT: 0
; COMPUTE_PGM_RSRC3_GFX90A:ACCUM_OFFSET: 4
; COMPUTE_PGM_RSRC3_GFX90A:TG_SPLIT: 0
	.section	.text._ZN7rocprim17ROCPRIM_400000_NS6detail17trampoline_kernelINS0_14default_configENS1_38merge_sort_block_merge_config_selectorIjNS0_10empty_typeEEEZZNS1_27merge_sort_block_merge_implIS3_N6thrust23THRUST_200600_302600_NS6detail15normal_iteratorINS9_10device_ptrIjEEEEPS5_jNS1_19radix_merge_compareILb0ELb0EjNS0_19identity_decomposerEEEEE10hipError_tT0_T1_T2_jT3_P12ihipStream_tbPNSt15iterator_traitsISK_E10value_typeEPNSQ_ISL_E10value_typeEPSM_NS1_7vsmem_tEENKUlT_SK_SL_SM_E_clIPjSE_SF_SF_EESJ_SZ_SK_SL_SM_EUlSZ_E_NS1_11comp_targetILNS1_3genE3ELNS1_11target_archE908ELNS1_3gpuE7ELNS1_3repE0EEENS1_48merge_mergepath_partition_config_static_selectorELNS0_4arch9wavefront6targetE1EEEvSL_,"axG",@progbits,_ZN7rocprim17ROCPRIM_400000_NS6detail17trampoline_kernelINS0_14default_configENS1_38merge_sort_block_merge_config_selectorIjNS0_10empty_typeEEEZZNS1_27merge_sort_block_merge_implIS3_N6thrust23THRUST_200600_302600_NS6detail15normal_iteratorINS9_10device_ptrIjEEEEPS5_jNS1_19radix_merge_compareILb0ELb0EjNS0_19identity_decomposerEEEEE10hipError_tT0_T1_T2_jT3_P12ihipStream_tbPNSt15iterator_traitsISK_E10value_typeEPNSQ_ISL_E10value_typeEPSM_NS1_7vsmem_tEENKUlT_SK_SL_SM_E_clIPjSE_SF_SF_EESJ_SZ_SK_SL_SM_EUlSZ_E_NS1_11comp_targetILNS1_3genE3ELNS1_11target_archE908ELNS1_3gpuE7ELNS1_3repE0EEENS1_48merge_mergepath_partition_config_static_selectorELNS0_4arch9wavefront6targetE1EEEvSL_,comdat
	.protected	_ZN7rocprim17ROCPRIM_400000_NS6detail17trampoline_kernelINS0_14default_configENS1_38merge_sort_block_merge_config_selectorIjNS0_10empty_typeEEEZZNS1_27merge_sort_block_merge_implIS3_N6thrust23THRUST_200600_302600_NS6detail15normal_iteratorINS9_10device_ptrIjEEEEPS5_jNS1_19radix_merge_compareILb0ELb0EjNS0_19identity_decomposerEEEEE10hipError_tT0_T1_T2_jT3_P12ihipStream_tbPNSt15iterator_traitsISK_E10value_typeEPNSQ_ISL_E10value_typeEPSM_NS1_7vsmem_tEENKUlT_SK_SL_SM_E_clIPjSE_SF_SF_EESJ_SZ_SK_SL_SM_EUlSZ_E_NS1_11comp_targetILNS1_3genE3ELNS1_11target_archE908ELNS1_3gpuE7ELNS1_3repE0EEENS1_48merge_mergepath_partition_config_static_selectorELNS0_4arch9wavefront6targetE1EEEvSL_ ; -- Begin function _ZN7rocprim17ROCPRIM_400000_NS6detail17trampoline_kernelINS0_14default_configENS1_38merge_sort_block_merge_config_selectorIjNS0_10empty_typeEEEZZNS1_27merge_sort_block_merge_implIS3_N6thrust23THRUST_200600_302600_NS6detail15normal_iteratorINS9_10device_ptrIjEEEEPS5_jNS1_19radix_merge_compareILb0ELb0EjNS0_19identity_decomposerEEEEE10hipError_tT0_T1_T2_jT3_P12ihipStream_tbPNSt15iterator_traitsISK_E10value_typeEPNSQ_ISL_E10value_typeEPSM_NS1_7vsmem_tEENKUlT_SK_SL_SM_E_clIPjSE_SF_SF_EESJ_SZ_SK_SL_SM_EUlSZ_E_NS1_11comp_targetILNS1_3genE3ELNS1_11target_archE908ELNS1_3gpuE7ELNS1_3repE0EEENS1_48merge_mergepath_partition_config_static_selectorELNS0_4arch9wavefront6targetE1EEEvSL_
	.globl	_ZN7rocprim17ROCPRIM_400000_NS6detail17trampoline_kernelINS0_14default_configENS1_38merge_sort_block_merge_config_selectorIjNS0_10empty_typeEEEZZNS1_27merge_sort_block_merge_implIS3_N6thrust23THRUST_200600_302600_NS6detail15normal_iteratorINS9_10device_ptrIjEEEEPS5_jNS1_19radix_merge_compareILb0ELb0EjNS0_19identity_decomposerEEEEE10hipError_tT0_T1_T2_jT3_P12ihipStream_tbPNSt15iterator_traitsISK_E10value_typeEPNSQ_ISL_E10value_typeEPSM_NS1_7vsmem_tEENKUlT_SK_SL_SM_E_clIPjSE_SF_SF_EESJ_SZ_SK_SL_SM_EUlSZ_E_NS1_11comp_targetILNS1_3genE3ELNS1_11target_archE908ELNS1_3gpuE7ELNS1_3repE0EEENS1_48merge_mergepath_partition_config_static_selectorELNS0_4arch9wavefront6targetE1EEEvSL_
	.p2align	8
	.type	_ZN7rocprim17ROCPRIM_400000_NS6detail17trampoline_kernelINS0_14default_configENS1_38merge_sort_block_merge_config_selectorIjNS0_10empty_typeEEEZZNS1_27merge_sort_block_merge_implIS3_N6thrust23THRUST_200600_302600_NS6detail15normal_iteratorINS9_10device_ptrIjEEEEPS5_jNS1_19radix_merge_compareILb0ELb0EjNS0_19identity_decomposerEEEEE10hipError_tT0_T1_T2_jT3_P12ihipStream_tbPNSt15iterator_traitsISK_E10value_typeEPNSQ_ISL_E10value_typeEPSM_NS1_7vsmem_tEENKUlT_SK_SL_SM_E_clIPjSE_SF_SF_EESJ_SZ_SK_SL_SM_EUlSZ_E_NS1_11comp_targetILNS1_3genE3ELNS1_11target_archE908ELNS1_3gpuE7ELNS1_3repE0EEENS1_48merge_mergepath_partition_config_static_selectorELNS0_4arch9wavefront6targetE1EEEvSL_,@function
_ZN7rocprim17ROCPRIM_400000_NS6detail17trampoline_kernelINS0_14default_configENS1_38merge_sort_block_merge_config_selectorIjNS0_10empty_typeEEEZZNS1_27merge_sort_block_merge_implIS3_N6thrust23THRUST_200600_302600_NS6detail15normal_iteratorINS9_10device_ptrIjEEEEPS5_jNS1_19radix_merge_compareILb0ELb0EjNS0_19identity_decomposerEEEEE10hipError_tT0_T1_T2_jT3_P12ihipStream_tbPNSt15iterator_traitsISK_E10value_typeEPNSQ_ISL_E10value_typeEPSM_NS1_7vsmem_tEENKUlT_SK_SL_SM_E_clIPjSE_SF_SF_EESJ_SZ_SK_SL_SM_EUlSZ_E_NS1_11comp_targetILNS1_3genE3ELNS1_11target_archE908ELNS1_3gpuE7ELNS1_3repE0EEENS1_48merge_mergepath_partition_config_static_selectorELNS0_4arch9wavefront6targetE1EEEvSL_: ; @_ZN7rocprim17ROCPRIM_400000_NS6detail17trampoline_kernelINS0_14default_configENS1_38merge_sort_block_merge_config_selectorIjNS0_10empty_typeEEEZZNS1_27merge_sort_block_merge_implIS3_N6thrust23THRUST_200600_302600_NS6detail15normal_iteratorINS9_10device_ptrIjEEEEPS5_jNS1_19radix_merge_compareILb0ELb0EjNS0_19identity_decomposerEEEEE10hipError_tT0_T1_T2_jT3_P12ihipStream_tbPNSt15iterator_traitsISK_E10value_typeEPNSQ_ISL_E10value_typeEPSM_NS1_7vsmem_tEENKUlT_SK_SL_SM_E_clIPjSE_SF_SF_EESJ_SZ_SK_SL_SM_EUlSZ_E_NS1_11comp_targetILNS1_3genE3ELNS1_11target_archE908ELNS1_3gpuE7ELNS1_3repE0EEENS1_48merge_mergepath_partition_config_static_selectorELNS0_4arch9wavefront6targetE1EEEvSL_
; %bb.0:
	.section	.rodata,"a",@progbits
	.p2align	6, 0x0
	.amdhsa_kernel _ZN7rocprim17ROCPRIM_400000_NS6detail17trampoline_kernelINS0_14default_configENS1_38merge_sort_block_merge_config_selectorIjNS0_10empty_typeEEEZZNS1_27merge_sort_block_merge_implIS3_N6thrust23THRUST_200600_302600_NS6detail15normal_iteratorINS9_10device_ptrIjEEEEPS5_jNS1_19radix_merge_compareILb0ELb0EjNS0_19identity_decomposerEEEEE10hipError_tT0_T1_T2_jT3_P12ihipStream_tbPNSt15iterator_traitsISK_E10value_typeEPNSQ_ISL_E10value_typeEPSM_NS1_7vsmem_tEENKUlT_SK_SL_SM_E_clIPjSE_SF_SF_EESJ_SZ_SK_SL_SM_EUlSZ_E_NS1_11comp_targetILNS1_3genE3ELNS1_11target_archE908ELNS1_3gpuE7ELNS1_3repE0EEENS1_48merge_mergepath_partition_config_static_selectorELNS0_4arch9wavefront6targetE1EEEvSL_
		.amdhsa_group_segment_fixed_size 0
		.amdhsa_private_segment_fixed_size 0
		.amdhsa_kernarg_size 40
		.amdhsa_user_sgpr_count 6
		.amdhsa_user_sgpr_private_segment_buffer 1
		.amdhsa_user_sgpr_dispatch_ptr 0
		.amdhsa_user_sgpr_queue_ptr 0
		.amdhsa_user_sgpr_kernarg_segment_ptr 1
		.amdhsa_user_sgpr_dispatch_id 0
		.amdhsa_user_sgpr_flat_scratch_init 0
		.amdhsa_user_sgpr_kernarg_preload_length 0
		.amdhsa_user_sgpr_kernarg_preload_offset 0
		.amdhsa_user_sgpr_private_segment_size 0
		.amdhsa_uses_dynamic_stack 0
		.amdhsa_system_sgpr_private_segment_wavefront_offset 0
		.amdhsa_system_sgpr_workgroup_id_x 1
		.amdhsa_system_sgpr_workgroup_id_y 0
		.amdhsa_system_sgpr_workgroup_id_z 0
		.amdhsa_system_sgpr_workgroup_info 0
		.amdhsa_system_vgpr_workitem_id 0
		.amdhsa_next_free_vgpr 1
		.amdhsa_next_free_sgpr 0
		.amdhsa_accum_offset 4
		.amdhsa_reserve_vcc 0
		.amdhsa_reserve_flat_scratch 0
		.amdhsa_float_round_mode_32 0
		.amdhsa_float_round_mode_16_64 0
		.amdhsa_float_denorm_mode_32 3
		.amdhsa_float_denorm_mode_16_64 3
		.amdhsa_dx10_clamp 1
		.amdhsa_ieee_mode 1
		.amdhsa_fp16_overflow 0
		.amdhsa_tg_split 0
		.amdhsa_exception_fp_ieee_invalid_op 0
		.amdhsa_exception_fp_denorm_src 0
		.amdhsa_exception_fp_ieee_div_zero 0
		.amdhsa_exception_fp_ieee_overflow 0
		.amdhsa_exception_fp_ieee_underflow 0
		.amdhsa_exception_fp_ieee_inexact 0
		.amdhsa_exception_int_div_zero 0
	.end_amdhsa_kernel
	.section	.text._ZN7rocprim17ROCPRIM_400000_NS6detail17trampoline_kernelINS0_14default_configENS1_38merge_sort_block_merge_config_selectorIjNS0_10empty_typeEEEZZNS1_27merge_sort_block_merge_implIS3_N6thrust23THRUST_200600_302600_NS6detail15normal_iteratorINS9_10device_ptrIjEEEEPS5_jNS1_19radix_merge_compareILb0ELb0EjNS0_19identity_decomposerEEEEE10hipError_tT0_T1_T2_jT3_P12ihipStream_tbPNSt15iterator_traitsISK_E10value_typeEPNSQ_ISL_E10value_typeEPSM_NS1_7vsmem_tEENKUlT_SK_SL_SM_E_clIPjSE_SF_SF_EESJ_SZ_SK_SL_SM_EUlSZ_E_NS1_11comp_targetILNS1_3genE3ELNS1_11target_archE908ELNS1_3gpuE7ELNS1_3repE0EEENS1_48merge_mergepath_partition_config_static_selectorELNS0_4arch9wavefront6targetE1EEEvSL_,"axG",@progbits,_ZN7rocprim17ROCPRIM_400000_NS6detail17trampoline_kernelINS0_14default_configENS1_38merge_sort_block_merge_config_selectorIjNS0_10empty_typeEEEZZNS1_27merge_sort_block_merge_implIS3_N6thrust23THRUST_200600_302600_NS6detail15normal_iteratorINS9_10device_ptrIjEEEEPS5_jNS1_19radix_merge_compareILb0ELb0EjNS0_19identity_decomposerEEEEE10hipError_tT0_T1_T2_jT3_P12ihipStream_tbPNSt15iterator_traitsISK_E10value_typeEPNSQ_ISL_E10value_typeEPSM_NS1_7vsmem_tEENKUlT_SK_SL_SM_E_clIPjSE_SF_SF_EESJ_SZ_SK_SL_SM_EUlSZ_E_NS1_11comp_targetILNS1_3genE3ELNS1_11target_archE908ELNS1_3gpuE7ELNS1_3repE0EEENS1_48merge_mergepath_partition_config_static_selectorELNS0_4arch9wavefront6targetE1EEEvSL_,comdat
.Lfunc_end973:
	.size	_ZN7rocprim17ROCPRIM_400000_NS6detail17trampoline_kernelINS0_14default_configENS1_38merge_sort_block_merge_config_selectorIjNS0_10empty_typeEEEZZNS1_27merge_sort_block_merge_implIS3_N6thrust23THRUST_200600_302600_NS6detail15normal_iteratorINS9_10device_ptrIjEEEEPS5_jNS1_19radix_merge_compareILb0ELb0EjNS0_19identity_decomposerEEEEE10hipError_tT0_T1_T2_jT3_P12ihipStream_tbPNSt15iterator_traitsISK_E10value_typeEPNSQ_ISL_E10value_typeEPSM_NS1_7vsmem_tEENKUlT_SK_SL_SM_E_clIPjSE_SF_SF_EESJ_SZ_SK_SL_SM_EUlSZ_E_NS1_11comp_targetILNS1_3genE3ELNS1_11target_archE908ELNS1_3gpuE7ELNS1_3repE0EEENS1_48merge_mergepath_partition_config_static_selectorELNS0_4arch9wavefront6targetE1EEEvSL_, .Lfunc_end973-_ZN7rocprim17ROCPRIM_400000_NS6detail17trampoline_kernelINS0_14default_configENS1_38merge_sort_block_merge_config_selectorIjNS0_10empty_typeEEEZZNS1_27merge_sort_block_merge_implIS3_N6thrust23THRUST_200600_302600_NS6detail15normal_iteratorINS9_10device_ptrIjEEEEPS5_jNS1_19radix_merge_compareILb0ELb0EjNS0_19identity_decomposerEEEEE10hipError_tT0_T1_T2_jT3_P12ihipStream_tbPNSt15iterator_traitsISK_E10value_typeEPNSQ_ISL_E10value_typeEPSM_NS1_7vsmem_tEENKUlT_SK_SL_SM_E_clIPjSE_SF_SF_EESJ_SZ_SK_SL_SM_EUlSZ_E_NS1_11comp_targetILNS1_3genE3ELNS1_11target_archE908ELNS1_3gpuE7ELNS1_3repE0EEENS1_48merge_mergepath_partition_config_static_selectorELNS0_4arch9wavefront6targetE1EEEvSL_
                                        ; -- End function
	.section	.AMDGPU.csdata,"",@progbits
; Kernel info:
; codeLenInByte = 0
; NumSgprs: 4
; NumVgprs: 0
; NumAgprs: 0
; TotalNumVgprs: 0
; ScratchSize: 0
; MemoryBound: 0
; FloatMode: 240
; IeeeMode: 1
; LDSByteSize: 0 bytes/workgroup (compile time only)
; SGPRBlocks: 0
; VGPRBlocks: 0
; NumSGPRsForWavesPerEU: 4
; NumVGPRsForWavesPerEU: 1
; AccumOffset: 4
; Occupancy: 8
; WaveLimiterHint : 0
; COMPUTE_PGM_RSRC2:SCRATCH_EN: 0
; COMPUTE_PGM_RSRC2:USER_SGPR: 6
; COMPUTE_PGM_RSRC2:TRAP_HANDLER: 0
; COMPUTE_PGM_RSRC2:TGID_X_EN: 1
; COMPUTE_PGM_RSRC2:TGID_Y_EN: 0
; COMPUTE_PGM_RSRC2:TGID_Z_EN: 0
; COMPUTE_PGM_RSRC2:TIDIG_COMP_CNT: 0
; COMPUTE_PGM_RSRC3_GFX90A:ACCUM_OFFSET: 0
; COMPUTE_PGM_RSRC3_GFX90A:TG_SPLIT: 0
	.section	.text._ZN7rocprim17ROCPRIM_400000_NS6detail17trampoline_kernelINS0_14default_configENS1_38merge_sort_block_merge_config_selectorIjNS0_10empty_typeEEEZZNS1_27merge_sort_block_merge_implIS3_N6thrust23THRUST_200600_302600_NS6detail15normal_iteratorINS9_10device_ptrIjEEEEPS5_jNS1_19radix_merge_compareILb0ELb0EjNS0_19identity_decomposerEEEEE10hipError_tT0_T1_T2_jT3_P12ihipStream_tbPNSt15iterator_traitsISK_E10value_typeEPNSQ_ISL_E10value_typeEPSM_NS1_7vsmem_tEENKUlT_SK_SL_SM_E_clIPjSE_SF_SF_EESJ_SZ_SK_SL_SM_EUlSZ_E_NS1_11comp_targetILNS1_3genE2ELNS1_11target_archE906ELNS1_3gpuE6ELNS1_3repE0EEENS1_48merge_mergepath_partition_config_static_selectorELNS0_4arch9wavefront6targetE1EEEvSL_,"axG",@progbits,_ZN7rocprim17ROCPRIM_400000_NS6detail17trampoline_kernelINS0_14default_configENS1_38merge_sort_block_merge_config_selectorIjNS0_10empty_typeEEEZZNS1_27merge_sort_block_merge_implIS3_N6thrust23THRUST_200600_302600_NS6detail15normal_iteratorINS9_10device_ptrIjEEEEPS5_jNS1_19radix_merge_compareILb0ELb0EjNS0_19identity_decomposerEEEEE10hipError_tT0_T1_T2_jT3_P12ihipStream_tbPNSt15iterator_traitsISK_E10value_typeEPNSQ_ISL_E10value_typeEPSM_NS1_7vsmem_tEENKUlT_SK_SL_SM_E_clIPjSE_SF_SF_EESJ_SZ_SK_SL_SM_EUlSZ_E_NS1_11comp_targetILNS1_3genE2ELNS1_11target_archE906ELNS1_3gpuE6ELNS1_3repE0EEENS1_48merge_mergepath_partition_config_static_selectorELNS0_4arch9wavefront6targetE1EEEvSL_,comdat
	.protected	_ZN7rocprim17ROCPRIM_400000_NS6detail17trampoline_kernelINS0_14default_configENS1_38merge_sort_block_merge_config_selectorIjNS0_10empty_typeEEEZZNS1_27merge_sort_block_merge_implIS3_N6thrust23THRUST_200600_302600_NS6detail15normal_iteratorINS9_10device_ptrIjEEEEPS5_jNS1_19radix_merge_compareILb0ELb0EjNS0_19identity_decomposerEEEEE10hipError_tT0_T1_T2_jT3_P12ihipStream_tbPNSt15iterator_traitsISK_E10value_typeEPNSQ_ISL_E10value_typeEPSM_NS1_7vsmem_tEENKUlT_SK_SL_SM_E_clIPjSE_SF_SF_EESJ_SZ_SK_SL_SM_EUlSZ_E_NS1_11comp_targetILNS1_3genE2ELNS1_11target_archE906ELNS1_3gpuE6ELNS1_3repE0EEENS1_48merge_mergepath_partition_config_static_selectorELNS0_4arch9wavefront6targetE1EEEvSL_ ; -- Begin function _ZN7rocprim17ROCPRIM_400000_NS6detail17trampoline_kernelINS0_14default_configENS1_38merge_sort_block_merge_config_selectorIjNS0_10empty_typeEEEZZNS1_27merge_sort_block_merge_implIS3_N6thrust23THRUST_200600_302600_NS6detail15normal_iteratorINS9_10device_ptrIjEEEEPS5_jNS1_19radix_merge_compareILb0ELb0EjNS0_19identity_decomposerEEEEE10hipError_tT0_T1_T2_jT3_P12ihipStream_tbPNSt15iterator_traitsISK_E10value_typeEPNSQ_ISL_E10value_typeEPSM_NS1_7vsmem_tEENKUlT_SK_SL_SM_E_clIPjSE_SF_SF_EESJ_SZ_SK_SL_SM_EUlSZ_E_NS1_11comp_targetILNS1_3genE2ELNS1_11target_archE906ELNS1_3gpuE6ELNS1_3repE0EEENS1_48merge_mergepath_partition_config_static_selectorELNS0_4arch9wavefront6targetE1EEEvSL_
	.globl	_ZN7rocprim17ROCPRIM_400000_NS6detail17trampoline_kernelINS0_14default_configENS1_38merge_sort_block_merge_config_selectorIjNS0_10empty_typeEEEZZNS1_27merge_sort_block_merge_implIS3_N6thrust23THRUST_200600_302600_NS6detail15normal_iteratorINS9_10device_ptrIjEEEEPS5_jNS1_19radix_merge_compareILb0ELb0EjNS0_19identity_decomposerEEEEE10hipError_tT0_T1_T2_jT3_P12ihipStream_tbPNSt15iterator_traitsISK_E10value_typeEPNSQ_ISL_E10value_typeEPSM_NS1_7vsmem_tEENKUlT_SK_SL_SM_E_clIPjSE_SF_SF_EESJ_SZ_SK_SL_SM_EUlSZ_E_NS1_11comp_targetILNS1_3genE2ELNS1_11target_archE906ELNS1_3gpuE6ELNS1_3repE0EEENS1_48merge_mergepath_partition_config_static_selectorELNS0_4arch9wavefront6targetE1EEEvSL_
	.p2align	8
	.type	_ZN7rocprim17ROCPRIM_400000_NS6detail17trampoline_kernelINS0_14default_configENS1_38merge_sort_block_merge_config_selectorIjNS0_10empty_typeEEEZZNS1_27merge_sort_block_merge_implIS3_N6thrust23THRUST_200600_302600_NS6detail15normal_iteratorINS9_10device_ptrIjEEEEPS5_jNS1_19radix_merge_compareILb0ELb0EjNS0_19identity_decomposerEEEEE10hipError_tT0_T1_T2_jT3_P12ihipStream_tbPNSt15iterator_traitsISK_E10value_typeEPNSQ_ISL_E10value_typeEPSM_NS1_7vsmem_tEENKUlT_SK_SL_SM_E_clIPjSE_SF_SF_EESJ_SZ_SK_SL_SM_EUlSZ_E_NS1_11comp_targetILNS1_3genE2ELNS1_11target_archE906ELNS1_3gpuE6ELNS1_3repE0EEENS1_48merge_mergepath_partition_config_static_selectorELNS0_4arch9wavefront6targetE1EEEvSL_,@function
_ZN7rocprim17ROCPRIM_400000_NS6detail17trampoline_kernelINS0_14default_configENS1_38merge_sort_block_merge_config_selectorIjNS0_10empty_typeEEEZZNS1_27merge_sort_block_merge_implIS3_N6thrust23THRUST_200600_302600_NS6detail15normal_iteratorINS9_10device_ptrIjEEEEPS5_jNS1_19radix_merge_compareILb0ELb0EjNS0_19identity_decomposerEEEEE10hipError_tT0_T1_T2_jT3_P12ihipStream_tbPNSt15iterator_traitsISK_E10value_typeEPNSQ_ISL_E10value_typeEPSM_NS1_7vsmem_tEENKUlT_SK_SL_SM_E_clIPjSE_SF_SF_EESJ_SZ_SK_SL_SM_EUlSZ_E_NS1_11comp_targetILNS1_3genE2ELNS1_11target_archE906ELNS1_3gpuE6ELNS1_3repE0EEENS1_48merge_mergepath_partition_config_static_selectorELNS0_4arch9wavefront6targetE1EEEvSL_: ; @_ZN7rocprim17ROCPRIM_400000_NS6detail17trampoline_kernelINS0_14default_configENS1_38merge_sort_block_merge_config_selectorIjNS0_10empty_typeEEEZZNS1_27merge_sort_block_merge_implIS3_N6thrust23THRUST_200600_302600_NS6detail15normal_iteratorINS9_10device_ptrIjEEEEPS5_jNS1_19radix_merge_compareILb0ELb0EjNS0_19identity_decomposerEEEEE10hipError_tT0_T1_T2_jT3_P12ihipStream_tbPNSt15iterator_traitsISK_E10value_typeEPNSQ_ISL_E10value_typeEPSM_NS1_7vsmem_tEENKUlT_SK_SL_SM_E_clIPjSE_SF_SF_EESJ_SZ_SK_SL_SM_EUlSZ_E_NS1_11comp_targetILNS1_3genE2ELNS1_11target_archE906ELNS1_3gpuE6ELNS1_3repE0EEENS1_48merge_mergepath_partition_config_static_selectorELNS0_4arch9wavefront6targetE1EEEvSL_
; %bb.0:
	.section	.rodata,"a",@progbits
	.p2align	6, 0x0
	.amdhsa_kernel _ZN7rocprim17ROCPRIM_400000_NS6detail17trampoline_kernelINS0_14default_configENS1_38merge_sort_block_merge_config_selectorIjNS0_10empty_typeEEEZZNS1_27merge_sort_block_merge_implIS3_N6thrust23THRUST_200600_302600_NS6detail15normal_iteratorINS9_10device_ptrIjEEEEPS5_jNS1_19radix_merge_compareILb0ELb0EjNS0_19identity_decomposerEEEEE10hipError_tT0_T1_T2_jT3_P12ihipStream_tbPNSt15iterator_traitsISK_E10value_typeEPNSQ_ISL_E10value_typeEPSM_NS1_7vsmem_tEENKUlT_SK_SL_SM_E_clIPjSE_SF_SF_EESJ_SZ_SK_SL_SM_EUlSZ_E_NS1_11comp_targetILNS1_3genE2ELNS1_11target_archE906ELNS1_3gpuE6ELNS1_3repE0EEENS1_48merge_mergepath_partition_config_static_selectorELNS0_4arch9wavefront6targetE1EEEvSL_
		.amdhsa_group_segment_fixed_size 0
		.amdhsa_private_segment_fixed_size 0
		.amdhsa_kernarg_size 40
		.amdhsa_user_sgpr_count 6
		.amdhsa_user_sgpr_private_segment_buffer 1
		.amdhsa_user_sgpr_dispatch_ptr 0
		.amdhsa_user_sgpr_queue_ptr 0
		.amdhsa_user_sgpr_kernarg_segment_ptr 1
		.amdhsa_user_sgpr_dispatch_id 0
		.amdhsa_user_sgpr_flat_scratch_init 0
		.amdhsa_user_sgpr_kernarg_preload_length 0
		.amdhsa_user_sgpr_kernarg_preload_offset 0
		.amdhsa_user_sgpr_private_segment_size 0
		.amdhsa_uses_dynamic_stack 0
		.amdhsa_system_sgpr_private_segment_wavefront_offset 0
		.amdhsa_system_sgpr_workgroup_id_x 1
		.amdhsa_system_sgpr_workgroup_id_y 0
		.amdhsa_system_sgpr_workgroup_id_z 0
		.amdhsa_system_sgpr_workgroup_info 0
		.amdhsa_system_vgpr_workitem_id 0
		.amdhsa_next_free_vgpr 1
		.amdhsa_next_free_sgpr 0
		.amdhsa_accum_offset 4
		.amdhsa_reserve_vcc 0
		.amdhsa_reserve_flat_scratch 0
		.amdhsa_float_round_mode_32 0
		.amdhsa_float_round_mode_16_64 0
		.amdhsa_float_denorm_mode_32 3
		.amdhsa_float_denorm_mode_16_64 3
		.amdhsa_dx10_clamp 1
		.amdhsa_ieee_mode 1
		.amdhsa_fp16_overflow 0
		.amdhsa_tg_split 0
		.amdhsa_exception_fp_ieee_invalid_op 0
		.amdhsa_exception_fp_denorm_src 0
		.amdhsa_exception_fp_ieee_div_zero 0
		.amdhsa_exception_fp_ieee_overflow 0
		.amdhsa_exception_fp_ieee_underflow 0
		.amdhsa_exception_fp_ieee_inexact 0
		.amdhsa_exception_int_div_zero 0
	.end_amdhsa_kernel
	.section	.text._ZN7rocprim17ROCPRIM_400000_NS6detail17trampoline_kernelINS0_14default_configENS1_38merge_sort_block_merge_config_selectorIjNS0_10empty_typeEEEZZNS1_27merge_sort_block_merge_implIS3_N6thrust23THRUST_200600_302600_NS6detail15normal_iteratorINS9_10device_ptrIjEEEEPS5_jNS1_19radix_merge_compareILb0ELb0EjNS0_19identity_decomposerEEEEE10hipError_tT0_T1_T2_jT3_P12ihipStream_tbPNSt15iterator_traitsISK_E10value_typeEPNSQ_ISL_E10value_typeEPSM_NS1_7vsmem_tEENKUlT_SK_SL_SM_E_clIPjSE_SF_SF_EESJ_SZ_SK_SL_SM_EUlSZ_E_NS1_11comp_targetILNS1_3genE2ELNS1_11target_archE906ELNS1_3gpuE6ELNS1_3repE0EEENS1_48merge_mergepath_partition_config_static_selectorELNS0_4arch9wavefront6targetE1EEEvSL_,"axG",@progbits,_ZN7rocprim17ROCPRIM_400000_NS6detail17trampoline_kernelINS0_14default_configENS1_38merge_sort_block_merge_config_selectorIjNS0_10empty_typeEEEZZNS1_27merge_sort_block_merge_implIS3_N6thrust23THRUST_200600_302600_NS6detail15normal_iteratorINS9_10device_ptrIjEEEEPS5_jNS1_19radix_merge_compareILb0ELb0EjNS0_19identity_decomposerEEEEE10hipError_tT0_T1_T2_jT3_P12ihipStream_tbPNSt15iterator_traitsISK_E10value_typeEPNSQ_ISL_E10value_typeEPSM_NS1_7vsmem_tEENKUlT_SK_SL_SM_E_clIPjSE_SF_SF_EESJ_SZ_SK_SL_SM_EUlSZ_E_NS1_11comp_targetILNS1_3genE2ELNS1_11target_archE906ELNS1_3gpuE6ELNS1_3repE0EEENS1_48merge_mergepath_partition_config_static_selectorELNS0_4arch9wavefront6targetE1EEEvSL_,comdat
.Lfunc_end974:
	.size	_ZN7rocprim17ROCPRIM_400000_NS6detail17trampoline_kernelINS0_14default_configENS1_38merge_sort_block_merge_config_selectorIjNS0_10empty_typeEEEZZNS1_27merge_sort_block_merge_implIS3_N6thrust23THRUST_200600_302600_NS6detail15normal_iteratorINS9_10device_ptrIjEEEEPS5_jNS1_19radix_merge_compareILb0ELb0EjNS0_19identity_decomposerEEEEE10hipError_tT0_T1_T2_jT3_P12ihipStream_tbPNSt15iterator_traitsISK_E10value_typeEPNSQ_ISL_E10value_typeEPSM_NS1_7vsmem_tEENKUlT_SK_SL_SM_E_clIPjSE_SF_SF_EESJ_SZ_SK_SL_SM_EUlSZ_E_NS1_11comp_targetILNS1_3genE2ELNS1_11target_archE906ELNS1_3gpuE6ELNS1_3repE0EEENS1_48merge_mergepath_partition_config_static_selectorELNS0_4arch9wavefront6targetE1EEEvSL_, .Lfunc_end974-_ZN7rocprim17ROCPRIM_400000_NS6detail17trampoline_kernelINS0_14default_configENS1_38merge_sort_block_merge_config_selectorIjNS0_10empty_typeEEEZZNS1_27merge_sort_block_merge_implIS3_N6thrust23THRUST_200600_302600_NS6detail15normal_iteratorINS9_10device_ptrIjEEEEPS5_jNS1_19radix_merge_compareILb0ELb0EjNS0_19identity_decomposerEEEEE10hipError_tT0_T1_T2_jT3_P12ihipStream_tbPNSt15iterator_traitsISK_E10value_typeEPNSQ_ISL_E10value_typeEPSM_NS1_7vsmem_tEENKUlT_SK_SL_SM_E_clIPjSE_SF_SF_EESJ_SZ_SK_SL_SM_EUlSZ_E_NS1_11comp_targetILNS1_3genE2ELNS1_11target_archE906ELNS1_3gpuE6ELNS1_3repE0EEENS1_48merge_mergepath_partition_config_static_selectorELNS0_4arch9wavefront6targetE1EEEvSL_
                                        ; -- End function
	.section	.AMDGPU.csdata,"",@progbits
; Kernel info:
; codeLenInByte = 0
; NumSgprs: 4
; NumVgprs: 0
; NumAgprs: 0
; TotalNumVgprs: 0
; ScratchSize: 0
; MemoryBound: 0
; FloatMode: 240
; IeeeMode: 1
; LDSByteSize: 0 bytes/workgroup (compile time only)
; SGPRBlocks: 0
; VGPRBlocks: 0
; NumSGPRsForWavesPerEU: 4
; NumVGPRsForWavesPerEU: 1
; AccumOffset: 4
; Occupancy: 8
; WaveLimiterHint : 0
; COMPUTE_PGM_RSRC2:SCRATCH_EN: 0
; COMPUTE_PGM_RSRC2:USER_SGPR: 6
; COMPUTE_PGM_RSRC2:TRAP_HANDLER: 0
; COMPUTE_PGM_RSRC2:TGID_X_EN: 1
; COMPUTE_PGM_RSRC2:TGID_Y_EN: 0
; COMPUTE_PGM_RSRC2:TGID_Z_EN: 0
; COMPUTE_PGM_RSRC2:TIDIG_COMP_CNT: 0
; COMPUTE_PGM_RSRC3_GFX90A:ACCUM_OFFSET: 0
; COMPUTE_PGM_RSRC3_GFX90A:TG_SPLIT: 0
	.section	.text._ZN7rocprim17ROCPRIM_400000_NS6detail17trampoline_kernelINS0_14default_configENS1_38merge_sort_block_merge_config_selectorIjNS0_10empty_typeEEEZZNS1_27merge_sort_block_merge_implIS3_N6thrust23THRUST_200600_302600_NS6detail15normal_iteratorINS9_10device_ptrIjEEEEPS5_jNS1_19radix_merge_compareILb0ELb0EjNS0_19identity_decomposerEEEEE10hipError_tT0_T1_T2_jT3_P12ihipStream_tbPNSt15iterator_traitsISK_E10value_typeEPNSQ_ISL_E10value_typeEPSM_NS1_7vsmem_tEENKUlT_SK_SL_SM_E_clIPjSE_SF_SF_EESJ_SZ_SK_SL_SM_EUlSZ_E_NS1_11comp_targetILNS1_3genE9ELNS1_11target_archE1100ELNS1_3gpuE3ELNS1_3repE0EEENS1_48merge_mergepath_partition_config_static_selectorELNS0_4arch9wavefront6targetE1EEEvSL_,"axG",@progbits,_ZN7rocprim17ROCPRIM_400000_NS6detail17trampoline_kernelINS0_14default_configENS1_38merge_sort_block_merge_config_selectorIjNS0_10empty_typeEEEZZNS1_27merge_sort_block_merge_implIS3_N6thrust23THRUST_200600_302600_NS6detail15normal_iteratorINS9_10device_ptrIjEEEEPS5_jNS1_19radix_merge_compareILb0ELb0EjNS0_19identity_decomposerEEEEE10hipError_tT0_T1_T2_jT3_P12ihipStream_tbPNSt15iterator_traitsISK_E10value_typeEPNSQ_ISL_E10value_typeEPSM_NS1_7vsmem_tEENKUlT_SK_SL_SM_E_clIPjSE_SF_SF_EESJ_SZ_SK_SL_SM_EUlSZ_E_NS1_11comp_targetILNS1_3genE9ELNS1_11target_archE1100ELNS1_3gpuE3ELNS1_3repE0EEENS1_48merge_mergepath_partition_config_static_selectorELNS0_4arch9wavefront6targetE1EEEvSL_,comdat
	.protected	_ZN7rocprim17ROCPRIM_400000_NS6detail17trampoline_kernelINS0_14default_configENS1_38merge_sort_block_merge_config_selectorIjNS0_10empty_typeEEEZZNS1_27merge_sort_block_merge_implIS3_N6thrust23THRUST_200600_302600_NS6detail15normal_iteratorINS9_10device_ptrIjEEEEPS5_jNS1_19radix_merge_compareILb0ELb0EjNS0_19identity_decomposerEEEEE10hipError_tT0_T1_T2_jT3_P12ihipStream_tbPNSt15iterator_traitsISK_E10value_typeEPNSQ_ISL_E10value_typeEPSM_NS1_7vsmem_tEENKUlT_SK_SL_SM_E_clIPjSE_SF_SF_EESJ_SZ_SK_SL_SM_EUlSZ_E_NS1_11comp_targetILNS1_3genE9ELNS1_11target_archE1100ELNS1_3gpuE3ELNS1_3repE0EEENS1_48merge_mergepath_partition_config_static_selectorELNS0_4arch9wavefront6targetE1EEEvSL_ ; -- Begin function _ZN7rocprim17ROCPRIM_400000_NS6detail17trampoline_kernelINS0_14default_configENS1_38merge_sort_block_merge_config_selectorIjNS0_10empty_typeEEEZZNS1_27merge_sort_block_merge_implIS3_N6thrust23THRUST_200600_302600_NS6detail15normal_iteratorINS9_10device_ptrIjEEEEPS5_jNS1_19radix_merge_compareILb0ELb0EjNS0_19identity_decomposerEEEEE10hipError_tT0_T1_T2_jT3_P12ihipStream_tbPNSt15iterator_traitsISK_E10value_typeEPNSQ_ISL_E10value_typeEPSM_NS1_7vsmem_tEENKUlT_SK_SL_SM_E_clIPjSE_SF_SF_EESJ_SZ_SK_SL_SM_EUlSZ_E_NS1_11comp_targetILNS1_3genE9ELNS1_11target_archE1100ELNS1_3gpuE3ELNS1_3repE0EEENS1_48merge_mergepath_partition_config_static_selectorELNS0_4arch9wavefront6targetE1EEEvSL_
	.globl	_ZN7rocprim17ROCPRIM_400000_NS6detail17trampoline_kernelINS0_14default_configENS1_38merge_sort_block_merge_config_selectorIjNS0_10empty_typeEEEZZNS1_27merge_sort_block_merge_implIS3_N6thrust23THRUST_200600_302600_NS6detail15normal_iteratorINS9_10device_ptrIjEEEEPS5_jNS1_19radix_merge_compareILb0ELb0EjNS0_19identity_decomposerEEEEE10hipError_tT0_T1_T2_jT3_P12ihipStream_tbPNSt15iterator_traitsISK_E10value_typeEPNSQ_ISL_E10value_typeEPSM_NS1_7vsmem_tEENKUlT_SK_SL_SM_E_clIPjSE_SF_SF_EESJ_SZ_SK_SL_SM_EUlSZ_E_NS1_11comp_targetILNS1_3genE9ELNS1_11target_archE1100ELNS1_3gpuE3ELNS1_3repE0EEENS1_48merge_mergepath_partition_config_static_selectorELNS0_4arch9wavefront6targetE1EEEvSL_
	.p2align	8
	.type	_ZN7rocprim17ROCPRIM_400000_NS6detail17trampoline_kernelINS0_14default_configENS1_38merge_sort_block_merge_config_selectorIjNS0_10empty_typeEEEZZNS1_27merge_sort_block_merge_implIS3_N6thrust23THRUST_200600_302600_NS6detail15normal_iteratorINS9_10device_ptrIjEEEEPS5_jNS1_19radix_merge_compareILb0ELb0EjNS0_19identity_decomposerEEEEE10hipError_tT0_T1_T2_jT3_P12ihipStream_tbPNSt15iterator_traitsISK_E10value_typeEPNSQ_ISL_E10value_typeEPSM_NS1_7vsmem_tEENKUlT_SK_SL_SM_E_clIPjSE_SF_SF_EESJ_SZ_SK_SL_SM_EUlSZ_E_NS1_11comp_targetILNS1_3genE9ELNS1_11target_archE1100ELNS1_3gpuE3ELNS1_3repE0EEENS1_48merge_mergepath_partition_config_static_selectorELNS0_4arch9wavefront6targetE1EEEvSL_,@function
_ZN7rocprim17ROCPRIM_400000_NS6detail17trampoline_kernelINS0_14default_configENS1_38merge_sort_block_merge_config_selectorIjNS0_10empty_typeEEEZZNS1_27merge_sort_block_merge_implIS3_N6thrust23THRUST_200600_302600_NS6detail15normal_iteratorINS9_10device_ptrIjEEEEPS5_jNS1_19radix_merge_compareILb0ELb0EjNS0_19identity_decomposerEEEEE10hipError_tT0_T1_T2_jT3_P12ihipStream_tbPNSt15iterator_traitsISK_E10value_typeEPNSQ_ISL_E10value_typeEPSM_NS1_7vsmem_tEENKUlT_SK_SL_SM_E_clIPjSE_SF_SF_EESJ_SZ_SK_SL_SM_EUlSZ_E_NS1_11comp_targetILNS1_3genE9ELNS1_11target_archE1100ELNS1_3gpuE3ELNS1_3repE0EEENS1_48merge_mergepath_partition_config_static_selectorELNS0_4arch9wavefront6targetE1EEEvSL_: ; @_ZN7rocprim17ROCPRIM_400000_NS6detail17trampoline_kernelINS0_14default_configENS1_38merge_sort_block_merge_config_selectorIjNS0_10empty_typeEEEZZNS1_27merge_sort_block_merge_implIS3_N6thrust23THRUST_200600_302600_NS6detail15normal_iteratorINS9_10device_ptrIjEEEEPS5_jNS1_19radix_merge_compareILb0ELb0EjNS0_19identity_decomposerEEEEE10hipError_tT0_T1_T2_jT3_P12ihipStream_tbPNSt15iterator_traitsISK_E10value_typeEPNSQ_ISL_E10value_typeEPSM_NS1_7vsmem_tEENKUlT_SK_SL_SM_E_clIPjSE_SF_SF_EESJ_SZ_SK_SL_SM_EUlSZ_E_NS1_11comp_targetILNS1_3genE9ELNS1_11target_archE1100ELNS1_3gpuE3ELNS1_3repE0EEENS1_48merge_mergepath_partition_config_static_selectorELNS0_4arch9wavefront6targetE1EEEvSL_
; %bb.0:
	.section	.rodata,"a",@progbits
	.p2align	6, 0x0
	.amdhsa_kernel _ZN7rocprim17ROCPRIM_400000_NS6detail17trampoline_kernelINS0_14default_configENS1_38merge_sort_block_merge_config_selectorIjNS0_10empty_typeEEEZZNS1_27merge_sort_block_merge_implIS3_N6thrust23THRUST_200600_302600_NS6detail15normal_iteratorINS9_10device_ptrIjEEEEPS5_jNS1_19radix_merge_compareILb0ELb0EjNS0_19identity_decomposerEEEEE10hipError_tT0_T1_T2_jT3_P12ihipStream_tbPNSt15iterator_traitsISK_E10value_typeEPNSQ_ISL_E10value_typeEPSM_NS1_7vsmem_tEENKUlT_SK_SL_SM_E_clIPjSE_SF_SF_EESJ_SZ_SK_SL_SM_EUlSZ_E_NS1_11comp_targetILNS1_3genE9ELNS1_11target_archE1100ELNS1_3gpuE3ELNS1_3repE0EEENS1_48merge_mergepath_partition_config_static_selectorELNS0_4arch9wavefront6targetE1EEEvSL_
		.amdhsa_group_segment_fixed_size 0
		.amdhsa_private_segment_fixed_size 0
		.amdhsa_kernarg_size 40
		.amdhsa_user_sgpr_count 6
		.amdhsa_user_sgpr_private_segment_buffer 1
		.amdhsa_user_sgpr_dispatch_ptr 0
		.amdhsa_user_sgpr_queue_ptr 0
		.amdhsa_user_sgpr_kernarg_segment_ptr 1
		.amdhsa_user_sgpr_dispatch_id 0
		.amdhsa_user_sgpr_flat_scratch_init 0
		.amdhsa_user_sgpr_kernarg_preload_length 0
		.amdhsa_user_sgpr_kernarg_preload_offset 0
		.amdhsa_user_sgpr_private_segment_size 0
		.amdhsa_uses_dynamic_stack 0
		.amdhsa_system_sgpr_private_segment_wavefront_offset 0
		.amdhsa_system_sgpr_workgroup_id_x 1
		.amdhsa_system_sgpr_workgroup_id_y 0
		.amdhsa_system_sgpr_workgroup_id_z 0
		.amdhsa_system_sgpr_workgroup_info 0
		.amdhsa_system_vgpr_workitem_id 0
		.amdhsa_next_free_vgpr 1
		.amdhsa_next_free_sgpr 0
		.amdhsa_accum_offset 4
		.amdhsa_reserve_vcc 0
		.amdhsa_reserve_flat_scratch 0
		.amdhsa_float_round_mode_32 0
		.amdhsa_float_round_mode_16_64 0
		.amdhsa_float_denorm_mode_32 3
		.amdhsa_float_denorm_mode_16_64 3
		.amdhsa_dx10_clamp 1
		.amdhsa_ieee_mode 1
		.amdhsa_fp16_overflow 0
		.amdhsa_tg_split 0
		.amdhsa_exception_fp_ieee_invalid_op 0
		.amdhsa_exception_fp_denorm_src 0
		.amdhsa_exception_fp_ieee_div_zero 0
		.amdhsa_exception_fp_ieee_overflow 0
		.amdhsa_exception_fp_ieee_underflow 0
		.amdhsa_exception_fp_ieee_inexact 0
		.amdhsa_exception_int_div_zero 0
	.end_amdhsa_kernel
	.section	.text._ZN7rocprim17ROCPRIM_400000_NS6detail17trampoline_kernelINS0_14default_configENS1_38merge_sort_block_merge_config_selectorIjNS0_10empty_typeEEEZZNS1_27merge_sort_block_merge_implIS3_N6thrust23THRUST_200600_302600_NS6detail15normal_iteratorINS9_10device_ptrIjEEEEPS5_jNS1_19radix_merge_compareILb0ELb0EjNS0_19identity_decomposerEEEEE10hipError_tT0_T1_T2_jT3_P12ihipStream_tbPNSt15iterator_traitsISK_E10value_typeEPNSQ_ISL_E10value_typeEPSM_NS1_7vsmem_tEENKUlT_SK_SL_SM_E_clIPjSE_SF_SF_EESJ_SZ_SK_SL_SM_EUlSZ_E_NS1_11comp_targetILNS1_3genE9ELNS1_11target_archE1100ELNS1_3gpuE3ELNS1_3repE0EEENS1_48merge_mergepath_partition_config_static_selectorELNS0_4arch9wavefront6targetE1EEEvSL_,"axG",@progbits,_ZN7rocprim17ROCPRIM_400000_NS6detail17trampoline_kernelINS0_14default_configENS1_38merge_sort_block_merge_config_selectorIjNS0_10empty_typeEEEZZNS1_27merge_sort_block_merge_implIS3_N6thrust23THRUST_200600_302600_NS6detail15normal_iteratorINS9_10device_ptrIjEEEEPS5_jNS1_19radix_merge_compareILb0ELb0EjNS0_19identity_decomposerEEEEE10hipError_tT0_T1_T2_jT3_P12ihipStream_tbPNSt15iterator_traitsISK_E10value_typeEPNSQ_ISL_E10value_typeEPSM_NS1_7vsmem_tEENKUlT_SK_SL_SM_E_clIPjSE_SF_SF_EESJ_SZ_SK_SL_SM_EUlSZ_E_NS1_11comp_targetILNS1_3genE9ELNS1_11target_archE1100ELNS1_3gpuE3ELNS1_3repE0EEENS1_48merge_mergepath_partition_config_static_selectorELNS0_4arch9wavefront6targetE1EEEvSL_,comdat
.Lfunc_end975:
	.size	_ZN7rocprim17ROCPRIM_400000_NS6detail17trampoline_kernelINS0_14default_configENS1_38merge_sort_block_merge_config_selectorIjNS0_10empty_typeEEEZZNS1_27merge_sort_block_merge_implIS3_N6thrust23THRUST_200600_302600_NS6detail15normal_iteratorINS9_10device_ptrIjEEEEPS5_jNS1_19radix_merge_compareILb0ELb0EjNS0_19identity_decomposerEEEEE10hipError_tT0_T1_T2_jT3_P12ihipStream_tbPNSt15iterator_traitsISK_E10value_typeEPNSQ_ISL_E10value_typeEPSM_NS1_7vsmem_tEENKUlT_SK_SL_SM_E_clIPjSE_SF_SF_EESJ_SZ_SK_SL_SM_EUlSZ_E_NS1_11comp_targetILNS1_3genE9ELNS1_11target_archE1100ELNS1_3gpuE3ELNS1_3repE0EEENS1_48merge_mergepath_partition_config_static_selectorELNS0_4arch9wavefront6targetE1EEEvSL_, .Lfunc_end975-_ZN7rocprim17ROCPRIM_400000_NS6detail17trampoline_kernelINS0_14default_configENS1_38merge_sort_block_merge_config_selectorIjNS0_10empty_typeEEEZZNS1_27merge_sort_block_merge_implIS3_N6thrust23THRUST_200600_302600_NS6detail15normal_iteratorINS9_10device_ptrIjEEEEPS5_jNS1_19radix_merge_compareILb0ELb0EjNS0_19identity_decomposerEEEEE10hipError_tT0_T1_T2_jT3_P12ihipStream_tbPNSt15iterator_traitsISK_E10value_typeEPNSQ_ISL_E10value_typeEPSM_NS1_7vsmem_tEENKUlT_SK_SL_SM_E_clIPjSE_SF_SF_EESJ_SZ_SK_SL_SM_EUlSZ_E_NS1_11comp_targetILNS1_3genE9ELNS1_11target_archE1100ELNS1_3gpuE3ELNS1_3repE0EEENS1_48merge_mergepath_partition_config_static_selectorELNS0_4arch9wavefront6targetE1EEEvSL_
                                        ; -- End function
	.section	.AMDGPU.csdata,"",@progbits
; Kernel info:
; codeLenInByte = 0
; NumSgprs: 4
; NumVgprs: 0
; NumAgprs: 0
; TotalNumVgprs: 0
; ScratchSize: 0
; MemoryBound: 0
; FloatMode: 240
; IeeeMode: 1
; LDSByteSize: 0 bytes/workgroup (compile time only)
; SGPRBlocks: 0
; VGPRBlocks: 0
; NumSGPRsForWavesPerEU: 4
; NumVGPRsForWavesPerEU: 1
; AccumOffset: 4
; Occupancy: 8
; WaveLimiterHint : 0
; COMPUTE_PGM_RSRC2:SCRATCH_EN: 0
; COMPUTE_PGM_RSRC2:USER_SGPR: 6
; COMPUTE_PGM_RSRC2:TRAP_HANDLER: 0
; COMPUTE_PGM_RSRC2:TGID_X_EN: 1
; COMPUTE_PGM_RSRC2:TGID_Y_EN: 0
; COMPUTE_PGM_RSRC2:TGID_Z_EN: 0
; COMPUTE_PGM_RSRC2:TIDIG_COMP_CNT: 0
; COMPUTE_PGM_RSRC3_GFX90A:ACCUM_OFFSET: 0
; COMPUTE_PGM_RSRC3_GFX90A:TG_SPLIT: 0
	.section	.text._ZN7rocprim17ROCPRIM_400000_NS6detail17trampoline_kernelINS0_14default_configENS1_38merge_sort_block_merge_config_selectorIjNS0_10empty_typeEEEZZNS1_27merge_sort_block_merge_implIS3_N6thrust23THRUST_200600_302600_NS6detail15normal_iteratorINS9_10device_ptrIjEEEEPS5_jNS1_19radix_merge_compareILb0ELb0EjNS0_19identity_decomposerEEEEE10hipError_tT0_T1_T2_jT3_P12ihipStream_tbPNSt15iterator_traitsISK_E10value_typeEPNSQ_ISL_E10value_typeEPSM_NS1_7vsmem_tEENKUlT_SK_SL_SM_E_clIPjSE_SF_SF_EESJ_SZ_SK_SL_SM_EUlSZ_E_NS1_11comp_targetILNS1_3genE8ELNS1_11target_archE1030ELNS1_3gpuE2ELNS1_3repE0EEENS1_48merge_mergepath_partition_config_static_selectorELNS0_4arch9wavefront6targetE1EEEvSL_,"axG",@progbits,_ZN7rocprim17ROCPRIM_400000_NS6detail17trampoline_kernelINS0_14default_configENS1_38merge_sort_block_merge_config_selectorIjNS0_10empty_typeEEEZZNS1_27merge_sort_block_merge_implIS3_N6thrust23THRUST_200600_302600_NS6detail15normal_iteratorINS9_10device_ptrIjEEEEPS5_jNS1_19radix_merge_compareILb0ELb0EjNS0_19identity_decomposerEEEEE10hipError_tT0_T1_T2_jT3_P12ihipStream_tbPNSt15iterator_traitsISK_E10value_typeEPNSQ_ISL_E10value_typeEPSM_NS1_7vsmem_tEENKUlT_SK_SL_SM_E_clIPjSE_SF_SF_EESJ_SZ_SK_SL_SM_EUlSZ_E_NS1_11comp_targetILNS1_3genE8ELNS1_11target_archE1030ELNS1_3gpuE2ELNS1_3repE0EEENS1_48merge_mergepath_partition_config_static_selectorELNS0_4arch9wavefront6targetE1EEEvSL_,comdat
	.protected	_ZN7rocprim17ROCPRIM_400000_NS6detail17trampoline_kernelINS0_14default_configENS1_38merge_sort_block_merge_config_selectorIjNS0_10empty_typeEEEZZNS1_27merge_sort_block_merge_implIS3_N6thrust23THRUST_200600_302600_NS6detail15normal_iteratorINS9_10device_ptrIjEEEEPS5_jNS1_19radix_merge_compareILb0ELb0EjNS0_19identity_decomposerEEEEE10hipError_tT0_T1_T2_jT3_P12ihipStream_tbPNSt15iterator_traitsISK_E10value_typeEPNSQ_ISL_E10value_typeEPSM_NS1_7vsmem_tEENKUlT_SK_SL_SM_E_clIPjSE_SF_SF_EESJ_SZ_SK_SL_SM_EUlSZ_E_NS1_11comp_targetILNS1_3genE8ELNS1_11target_archE1030ELNS1_3gpuE2ELNS1_3repE0EEENS1_48merge_mergepath_partition_config_static_selectorELNS0_4arch9wavefront6targetE1EEEvSL_ ; -- Begin function _ZN7rocprim17ROCPRIM_400000_NS6detail17trampoline_kernelINS0_14default_configENS1_38merge_sort_block_merge_config_selectorIjNS0_10empty_typeEEEZZNS1_27merge_sort_block_merge_implIS3_N6thrust23THRUST_200600_302600_NS6detail15normal_iteratorINS9_10device_ptrIjEEEEPS5_jNS1_19radix_merge_compareILb0ELb0EjNS0_19identity_decomposerEEEEE10hipError_tT0_T1_T2_jT3_P12ihipStream_tbPNSt15iterator_traitsISK_E10value_typeEPNSQ_ISL_E10value_typeEPSM_NS1_7vsmem_tEENKUlT_SK_SL_SM_E_clIPjSE_SF_SF_EESJ_SZ_SK_SL_SM_EUlSZ_E_NS1_11comp_targetILNS1_3genE8ELNS1_11target_archE1030ELNS1_3gpuE2ELNS1_3repE0EEENS1_48merge_mergepath_partition_config_static_selectorELNS0_4arch9wavefront6targetE1EEEvSL_
	.globl	_ZN7rocprim17ROCPRIM_400000_NS6detail17trampoline_kernelINS0_14default_configENS1_38merge_sort_block_merge_config_selectorIjNS0_10empty_typeEEEZZNS1_27merge_sort_block_merge_implIS3_N6thrust23THRUST_200600_302600_NS6detail15normal_iteratorINS9_10device_ptrIjEEEEPS5_jNS1_19radix_merge_compareILb0ELb0EjNS0_19identity_decomposerEEEEE10hipError_tT0_T1_T2_jT3_P12ihipStream_tbPNSt15iterator_traitsISK_E10value_typeEPNSQ_ISL_E10value_typeEPSM_NS1_7vsmem_tEENKUlT_SK_SL_SM_E_clIPjSE_SF_SF_EESJ_SZ_SK_SL_SM_EUlSZ_E_NS1_11comp_targetILNS1_3genE8ELNS1_11target_archE1030ELNS1_3gpuE2ELNS1_3repE0EEENS1_48merge_mergepath_partition_config_static_selectorELNS0_4arch9wavefront6targetE1EEEvSL_
	.p2align	8
	.type	_ZN7rocprim17ROCPRIM_400000_NS6detail17trampoline_kernelINS0_14default_configENS1_38merge_sort_block_merge_config_selectorIjNS0_10empty_typeEEEZZNS1_27merge_sort_block_merge_implIS3_N6thrust23THRUST_200600_302600_NS6detail15normal_iteratorINS9_10device_ptrIjEEEEPS5_jNS1_19radix_merge_compareILb0ELb0EjNS0_19identity_decomposerEEEEE10hipError_tT0_T1_T2_jT3_P12ihipStream_tbPNSt15iterator_traitsISK_E10value_typeEPNSQ_ISL_E10value_typeEPSM_NS1_7vsmem_tEENKUlT_SK_SL_SM_E_clIPjSE_SF_SF_EESJ_SZ_SK_SL_SM_EUlSZ_E_NS1_11comp_targetILNS1_3genE8ELNS1_11target_archE1030ELNS1_3gpuE2ELNS1_3repE0EEENS1_48merge_mergepath_partition_config_static_selectorELNS0_4arch9wavefront6targetE1EEEvSL_,@function
_ZN7rocprim17ROCPRIM_400000_NS6detail17trampoline_kernelINS0_14default_configENS1_38merge_sort_block_merge_config_selectorIjNS0_10empty_typeEEEZZNS1_27merge_sort_block_merge_implIS3_N6thrust23THRUST_200600_302600_NS6detail15normal_iteratorINS9_10device_ptrIjEEEEPS5_jNS1_19radix_merge_compareILb0ELb0EjNS0_19identity_decomposerEEEEE10hipError_tT0_T1_T2_jT3_P12ihipStream_tbPNSt15iterator_traitsISK_E10value_typeEPNSQ_ISL_E10value_typeEPSM_NS1_7vsmem_tEENKUlT_SK_SL_SM_E_clIPjSE_SF_SF_EESJ_SZ_SK_SL_SM_EUlSZ_E_NS1_11comp_targetILNS1_3genE8ELNS1_11target_archE1030ELNS1_3gpuE2ELNS1_3repE0EEENS1_48merge_mergepath_partition_config_static_selectorELNS0_4arch9wavefront6targetE1EEEvSL_: ; @_ZN7rocprim17ROCPRIM_400000_NS6detail17trampoline_kernelINS0_14default_configENS1_38merge_sort_block_merge_config_selectorIjNS0_10empty_typeEEEZZNS1_27merge_sort_block_merge_implIS3_N6thrust23THRUST_200600_302600_NS6detail15normal_iteratorINS9_10device_ptrIjEEEEPS5_jNS1_19radix_merge_compareILb0ELb0EjNS0_19identity_decomposerEEEEE10hipError_tT0_T1_T2_jT3_P12ihipStream_tbPNSt15iterator_traitsISK_E10value_typeEPNSQ_ISL_E10value_typeEPSM_NS1_7vsmem_tEENKUlT_SK_SL_SM_E_clIPjSE_SF_SF_EESJ_SZ_SK_SL_SM_EUlSZ_E_NS1_11comp_targetILNS1_3genE8ELNS1_11target_archE1030ELNS1_3gpuE2ELNS1_3repE0EEENS1_48merge_mergepath_partition_config_static_selectorELNS0_4arch9wavefront6targetE1EEEvSL_
; %bb.0:
	.section	.rodata,"a",@progbits
	.p2align	6, 0x0
	.amdhsa_kernel _ZN7rocprim17ROCPRIM_400000_NS6detail17trampoline_kernelINS0_14default_configENS1_38merge_sort_block_merge_config_selectorIjNS0_10empty_typeEEEZZNS1_27merge_sort_block_merge_implIS3_N6thrust23THRUST_200600_302600_NS6detail15normal_iteratorINS9_10device_ptrIjEEEEPS5_jNS1_19radix_merge_compareILb0ELb0EjNS0_19identity_decomposerEEEEE10hipError_tT0_T1_T2_jT3_P12ihipStream_tbPNSt15iterator_traitsISK_E10value_typeEPNSQ_ISL_E10value_typeEPSM_NS1_7vsmem_tEENKUlT_SK_SL_SM_E_clIPjSE_SF_SF_EESJ_SZ_SK_SL_SM_EUlSZ_E_NS1_11comp_targetILNS1_3genE8ELNS1_11target_archE1030ELNS1_3gpuE2ELNS1_3repE0EEENS1_48merge_mergepath_partition_config_static_selectorELNS0_4arch9wavefront6targetE1EEEvSL_
		.amdhsa_group_segment_fixed_size 0
		.amdhsa_private_segment_fixed_size 0
		.amdhsa_kernarg_size 40
		.amdhsa_user_sgpr_count 6
		.amdhsa_user_sgpr_private_segment_buffer 1
		.amdhsa_user_sgpr_dispatch_ptr 0
		.amdhsa_user_sgpr_queue_ptr 0
		.amdhsa_user_sgpr_kernarg_segment_ptr 1
		.amdhsa_user_sgpr_dispatch_id 0
		.amdhsa_user_sgpr_flat_scratch_init 0
		.amdhsa_user_sgpr_kernarg_preload_length 0
		.amdhsa_user_sgpr_kernarg_preload_offset 0
		.amdhsa_user_sgpr_private_segment_size 0
		.amdhsa_uses_dynamic_stack 0
		.amdhsa_system_sgpr_private_segment_wavefront_offset 0
		.amdhsa_system_sgpr_workgroup_id_x 1
		.amdhsa_system_sgpr_workgroup_id_y 0
		.amdhsa_system_sgpr_workgroup_id_z 0
		.amdhsa_system_sgpr_workgroup_info 0
		.amdhsa_system_vgpr_workitem_id 0
		.amdhsa_next_free_vgpr 1
		.amdhsa_next_free_sgpr 0
		.amdhsa_accum_offset 4
		.amdhsa_reserve_vcc 0
		.amdhsa_reserve_flat_scratch 0
		.amdhsa_float_round_mode_32 0
		.amdhsa_float_round_mode_16_64 0
		.amdhsa_float_denorm_mode_32 3
		.amdhsa_float_denorm_mode_16_64 3
		.amdhsa_dx10_clamp 1
		.amdhsa_ieee_mode 1
		.amdhsa_fp16_overflow 0
		.amdhsa_tg_split 0
		.amdhsa_exception_fp_ieee_invalid_op 0
		.amdhsa_exception_fp_denorm_src 0
		.amdhsa_exception_fp_ieee_div_zero 0
		.amdhsa_exception_fp_ieee_overflow 0
		.amdhsa_exception_fp_ieee_underflow 0
		.amdhsa_exception_fp_ieee_inexact 0
		.amdhsa_exception_int_div_zero 0
	.end_amdhsa_kernel
	.section	.text._ZN7rocprim17ROCPRIM_400000_NS6detail17trampoline_kernelINS0_14default_configENS1_38merge_sort_block_merge_config_selectorIjNS0_10empty_typeEEEZZNS1_27merge_sort_block_merge_implIS3_N6thrust23THRUST_200600_302600_NS6detail15normal_iteratorINS9_10device_ptrIjEEEEPS5_jNS1_19radix_merge_compareILb0ELb0EjNS0_19identity_decomposerEEEEE10hipError_tT0_T1_T2_jT3_P12ihipStream_tbPNSt15iterator_traitsISK_E10value_typeEPNSQ_ISL_E10value_typeEPSM_NS1_7vsmem_tEENKUlT_SK_SL_SM_E_clIPjSE_SF_SF_EESJ_SZ_SK_SL_SM_EUlSZ_E_NS1_11comp_targetILNS1_3genE8ELNS1_11target_archE1030ELNS1_3gpuE2ELNS1_3repE0EEENS1_48merge_mergepath_partition_config_static_selectorELNS0_4arch9wavefront6targetE1EEEvSL_,"axG",@progbits,_ZN7rocprim17ROCPRIM_400000_NS6detail17trampoline_kernelINS0_14default_configENS1_38merge_sort_block_merge_config_selectorIjNS0_10empty_typeEEEZZNS1_27merge_sort_block_merge_implIS3_N6thrust23THRUST_200600_302600_NS6detail15normal_iteratorINS9_10device_ptrIjEEEEPS5_jNS1_19radix_merge_compareILb0ELb0EjNS0_19identity_decomposerEEEEE10hipError_tT0_T1_T2_jT3_P12ihipStream_tbPNSt15iterator_traitsISK_E10value_typeEPNSQ_ISL_E10value_typeEPSM_NS1_7vsmem_tEENKUlT_SK_SL_SM_E_clIPjSE_SF_SF_EESJ_SZ_SK_SL_SM_EUlSZ_E_NS1_11comp_targetILNS1_3genE8ELNS1_11target_archE1030ELNS1_3gpuE2ELNS1_3repE0EEENS1_48merge_mergepath_partition_config_static_selectorELNS0_4arch9wavefront6targetE1EEEvSL_,comdat
.Lfunc_end976:
	.size	_ZN7rocprim17ROCPRIM_400000_NS6detail17trampoline_kernelINS0_14default_configENS1_38merge_sort_block_merge_config_selectorIjNS0_10empty_typeEEEZZNS1_27merge_sort_block_merge_implIS3_N6thrust23THRUST_200600_302600_NS6detail15normal_iteratorINS9_10device_ptrIjEEEEPS5_jNS1_19radix_merge_compareILb0ELb0EjNS0_19identity_decomposerEEEEE10hipError_tT0_T1_T2_jT3_P12ihipStream_tbPNSt15iterator_traitsISK_E10value_typeEPNSQ_ISL_E10value_typeEPSM_NS1_7vsmem_tEENKUlT_SK_SL_SM_E_clIPjSE_SF_SF_EESJ_SZ_SK_SL_SM_EUlSZ_E_NS1_11comp_targetILNS1_3genE8ELNS1_11target_archE1030ELNS1_3gpuE2ELNS1_3repE0EEENS1_48merge_mergepath_partition_config_static_selectorELNS0_4arch9wavefront6targetE1EEEvSL_, .Lfunc_end976-_ZN7rocprim17ROCPRIM_400000_NS6detail17trampoline_kernelINS0_14default_configENS1_38merge_sort_block_merge_config_selectorIjNS0_10empty_typeEEEZZNS1_27merge_sort_block_merge_implIS3_N6thrust23THRUST_200600_302600_NS6detail15normal_iteratorINS9_10device_ptrIjEEEEPS5_jNS1_19radix_merge_compareILb0ELb0EjNS0_19identity_decomposerEEEEE10hipError_tT0_T1_T2_jT3_P12ihipStream_tbPNSt15iterator_traitsISK_E10value_typeEPNSQ_ISL_E10value_typeEPSM_NS1_7vsmem_tEENKUlT_SK_SL_SM_E_clIPjSE_SF_SF_EESJ_SZ_SK_SL_SM_EUlSZ_E_NS1_11comp_targetILNS1_3genE8ELNS1_11target_archE1030ELNS1_3gpuE2ELNS1_3repE0EEENS1_48merge_mergepath_partition_config_static_selectorELNS0_4arch9wavefront6targetE1EEEvSL_
                                        ; -- End function
	.section	.AMDGPU.csdata,"",@progbits
; Kernel info:
; codeLenInByte = 0
; NumSgprs: 4
; NumVgprs: 0
; NumAgprs: 0
; TotalNumVgprs: 0
; ScratchSize: 0
; MemoryBound: 0
; FloatMode: 240
; IeeeMode: 1
; LDSByteSize: 0 bytes/workgroup (compile time only)
; SGPRBlocks: 0
; VGPRBlocks: 0
; NumSGPRsForWavesPerEU: 4
; NumVGPRsForWavesPerEU: 1
; AccumOffset: 4
; Occupancy: 8
; WaveLimiterHint : 0
; COMPUTE_PGM_RSRC2:SCRATCH_EN: 0
; COMPUTE_PGM_RSRC2:USER_SGPR: 6
; COMPUTE_PGM_RSRC2:TRAP_HANDLER: 0
; COMPUTE_PGM_RSRC2:TGID_X_EN: 1
; COMPUTE_PGM_RSRC2:TGID_Y_EN: 0
; COMPUTE_PGM_RSRC2:TGID_Z_EN: 0
; COMPUTE_PGM_RSRC2:TIDIG_COMP_CNT: 0
; COMPUTE_PGM_RSRC3_GFX90A:ACCUM_OFFSET: 0
; COMPUTE_PGM_RSRC3_GFX90A:TG_SPLIT: 0
	.section	.text._ZN7rocprim17ROCPRIM_400000_NS6detail17trampoline_kernelINS0_14default_configENS1_38merge_sort_block_merge_config_selectorIjNS0_10empty_typeEEEZZNS1_27merge_sort_block_merge_implIS3_N6thrust23THRUST_200600_302600_NS6detail15normal_iteratorINS9_10device_ptrIjEEEEPS5_jNS1_19radix_merge_compareILb0ELb0EjNS0_19identity_decomposerEEEEE10hipError_tT0_T1_T2_jT3_P12ihipStream_tbPNSt15iterator_traitsISK_E10value_typeEPNSQ_ISL_E10value_typeEPSM_NS1_7vsmem_tEENKUlT_SK_SL_SM_E_clIPjSE_SF_SF_EESJ_SZ_SK_SL_SM_EUlSZ_E0_NS1_11comp_targetILNS1_3genE0ELNS1_11target_archE4294967295ELNS1_3gpuE0ELNS1_3repE0EEENS1_38merge_mergepath_config_static_selectorELNS0_4arch9wavefront6targetE1EEEvSL_,"axG",@progbits,_ZN7rocprim17ROCPRIM_400000_NS6detail17trampoline_kernelINS0_14default_configENS1_38merge_sort_block_merge_config_selectorIjNS0_10empty_typeEEEZZNS1_27merge_sort_block_merge_implIS3_N6thrust23THRUST_200600_302600_NS6detail15normal_iteratorINS9_10device_ptrIjEEEEPS5_jNS1_19radix_merge_compareILb0ELb0EjNS0_19identity_decomposerEEEEE10hipError_tT0_T1_T2_jT3_P12ihipStream_tbPNSt15iterator_traitsISK_E10value_typeEPNSQ_ISL_E10value_typeEPSM_NS1_7vsmem_tEENKUlT_SK_SL_SM_E_clIPjSE_SF_SF_EESJ_SZ_SK_SL_SM_EUlSZ_E0_NS1_11comp_targetILNS1_3genE0ELNS1_11target_archE4294967295ELNS1_3gpuE0ELNS1_3repE0EEENS1_38merge_mergepath_config_static_selectorELNS0_4arch9wavefront6targetE1EEEvSL_,comdat
	.protected	_ZN7rocprim17ROCPRIM_400000_NS6detail17trampoline_kernelINS0_14default_configENS1_38merge_sort_block_merge_config_selectorIjNS0_10empty_typeEEEZZNS1_27merge_sort_block_merge_implIS3_N6thrust23THRUST_200600_302600_NS6detail15normal_iteratorINS9_10device_ptrIjEEEEPS5_jNS1_19radix_merge_compareILb0ELb0EjNS0_19identity_decomposerEEEEE10hipError_tT0_T1_T2_jT3_P12ihipStream_tbPNSt15iterator_traitsISK_E10value_typeEPNSQ_ISL_E10value_typeEPSM_NS1_7vsmem_tEENKUlT_SK_SL_SM_E_clIPjSE_SF_SF_EESJ_SZ_SK_SL_SM_EUlSZ_E0_NS1_11comp_targetILNS1_3genE0ELNS1_11target_archE4294967295ELNS1_3gpuE0ELNS1_3repE0EEENS1_38merge_mergepath_config_static_selectorELNS0_4arch9wavefront6targetE1EEEvSL_ ; -- Begin function _ZN7rocprim17ROCPRIM_400000_NS6detail17trampoline_kernelINS0_14default_configENS1_38merge_sort_block_merge_config_selectorIjNS0_10empty_typeEEEZZNS1_27merge_sort_block_merge_implIS3_N6thrust23THRUST_200600_302600_NS6detail15normal_iteratorINS9_10device_ptrIjEEEEPS5_jNS1_19radix_merge_compareILb0ELb0EjNS0_19identity_decomposerEEEEE10hipError_tT0_T1_T2_jT3_P12ihipStream_tbPNSt15iterator_traitsISK_E10value_typeEPNSQ_ISL_E10value_typeEPSM_NS1_7vsmem_tEENKUlT_SK_SL_SM_E_clIPjSE_SF_SF_EESJ_SZ_SK_SL_SM_EUlSZ_E0_NS1_11comp_targetILNS1_3genE0ELNS1_11target_archE4294967295ELNS1_3gpuE0ELNS1_3repE0EEENS1_38merge_mergepath_config_static_selectorELNS0_4arch9wavefront6targetE1EEEvSL_
	.globl	_ZN7rocprim17ROCPRIM_400000_NS6detail17trampoline_kernelINS0_14default_configENS1_38merge_sort_block_merge_config_selectorIjNS0_10empty_typeEEEZZNS1_27merge_sort_block_merge_implIS3_N6thrust23THRUST_200600_302600_NS6detail15normal_iteratorINS9_10device_ptrIjEEEEPS5_jNS1_19radix_merge_compareILb0ELb0EjNS0_19identity_decomposerEEEEE10hipError_tT0_T1_T2_jT3_P12ihipStream_tbPNSt15iterator_traitsISK_E10value_typeEPNSQ_ISL_E10value_typeEPSM_NS1_7vsmem_tEENKUlT_SK_SL_SM_E_clIPjSE_SF_SF_EESJ_SZ_SK_SL_SM_EUlSZ_E0_NS1_11comp_targetILNS1_3genE0ELNS1_11target_archE4294967295ELNS1_3gpuE0ELNS1_3repE0EEENS1_38merge_mergepath_config_static_selectorELNS0_4arch9wavefront6targetE1EEEvSL_
	.p2align	8
	.type	_ZN7rocprim17ROCPRIM_400000_NS6detail17trampoline_kernelINS0_14default_configENS1_38merge_sort_block_merge_config_selectorIjNS0_10empty_typeEEEZZNS1_27merge_sort_block_merge_implIS3_N6thrust23THRUST_200600_302600_NS6detail15normal_iteratorINS9_10device_ptrIjEEEEPS5_jNS1_19radix_merge_compareILb0ELb0EjNS0_19identity_decomposerEEEEE10hipError_tT0_T1_T2_jT3_P12ihipStream_tbPNSt15iterator_traitsISK_E10value_typeEPNSQ_ISL_E10value_typeEPSM_NS1_7vsmem_tEENKUlT_SK_SL_SM_E_clIPjSE_SF_SF_EESJ_SZ_SK_SL_SM_EUlSZ_E0_NS1_11comp_targetILNS1_3genE0ELNS1_11target_archE4294967295ELNS1_3gpuE0ELNS1_3repE0EEENS1_38merge_mergepath_config_static_selectorELNS0_4arch9wavefront6targetE1EEEvSL_,@function
_ZN7rocprim17ROCPRIM_400000_NS6detail17trampoline_kernelINS0_14default_configENS1_38merge_sort_block_merge_config_selectorIjNS0_10empty_typeEEEZZNS1_27merge_sort_block_merge_implIS3_N6thrust23THRUST_200600_302600_NS6detail15normal_iteratorINS9_10device_ptrIjEEEEPS5_jNS1_19radix_merge_compareILb0ELb0EjNS0_19identity_decomposerEEEEE10hipError_tT0_T1_T2_jT3_P12ihipStream_tbPNSt15iterator_traitsISK_E10value_typeEPNSQ_ISL_E10value_typeEPSM_NS1_7vsmem_tEENKUlT_SK_SL_SM_E_clIPjSE_SF_SF_EESJ_SZ_SK_SL_SM_EUlSZ_E0_NS1_11comp_targetILNS1_3genE0ELNS1_11target_archE4294967295ELNS1_3gpuE0ELNS1_3repE0EEENS1_38merge_mergepath_config_static_selectorELNS0_4arch9wavefront6targetE1EEEvSL_: ; @_ZN7rocprim17ROCPRIM_400000_NS6detail17trampoline_kernelINS0_14default_configENS1_38merge_sort_block_merge_config_selectorIjNS0_10empty_typeEEEZZNS1_27merge_sort_block_merge_implIS3_N6thrust23THRUST_200600_302600_NS6detail15normal_iteratorINS9_10device_ptrIjEEEEPS5_jNS1_19radix_merge_compareILb0ELb0EjNS0_19identity_decomposerEEEEE10hipError_tT0_T1_T2_jT3_P12ihipStream_tbPNSt15iterator_traitsISK_E10value_typeEPNSQ_ISL_E10value_typeEPSM_NS1_7vsmem_tEENKUlT_SK_SL_SM_E_clIPjSE_SF_SF_EESJ_SZ_SK_SL_SM_EUlSZ_E0_NS1_11comp_targetILNS1_3genE0ELNS1_11target_archE4294967295ELNS1_3gpuE0ELNS1_3repE0EEENS1_38merge_mergepath_config_static_selectorELNS0_4arch9wavefront6targetE1EEEvSL_
; %bb.0:
	.section	.rodata,"a",@progbits
	.p2align	6, 0x0
	.amdhsa_kernel _ZN7rocprim17ROCPRIM_400000_NS6detail17trampoline_kernelINS0_14default_configENS1_38merge_sort_block_merge_config_selectorIjNS0_10empty_typeEEEZZNS1_27merge_sort_block_merge_implIS3_N6thrust23THRUST_200600_302600_NS6detail15normal_iteratorINS9_10device_ptrIjEEEEPS5_jNS1_19radix_merge_compareILb0ELb0EjNS0_19identity_decomposerEEEEE10hipError_tT0_T1_T2_jT3_P12ihipStream_tbPNSt15iterator_traitsISK_E10value_typeEPNSQ_ISL_E10value_typeEPSM_NS1_7vsmem_tEENKUlT_SK_SL_SM_E_clIPjSE_SF_SF_EESJ_SZ_SK_SL_SM_EUlSZ_E0_NS1_11comp_targetILNS1_3genE0ELNS1_11target_archE4294967295ELNS1_3gpuE0ELNS1_3repE0EEENS1_38merge_mergepath_config_static_selectorELNS0_4arch9wavefront6targetE1EEEvSL_
		.amdhsa_group_segment_fixed_size 0
		.amdhsa_private_segment_fixed_size 0
		.amdhsa_kernarg_size 64
		.amdhsa_user_sgpr_count 6
		.amdhsa_user_sgpr_private_segment_buffer 1
		.amdhsa_user_sgpr_dispatch_ptr 0
		.amdhsa_user_sgpr_queue_ptr 0
		.amdhsa_user_sgpr_kernarg_segment_ptr 1
		.amdhsa_user_sgpr_dispatch_id 0
		.amdhsa_user_sgpr_flat_scratch_init 0
		.amdhsa_user_sgpr_kernarg_preload_length 0
		.amdhsa_user_sgpr_kernarg_preload_offset 0
		.amdhsa_user_sgpr_private_segment_size 0
		.amdhsa_uses_dynamic_stack 0
		.amdhsa_system_sgpr_private_segment_wavefront_offset 0
		.amdhsa_system_sgpr_workgroup_id_x 1
		.amdhsa_system_sgpr_workgroup_id_y 0
		.amdhsa_system_sgpr_workgroup_id_z 0
		.amdhsa_system_sgpr_workgroup_info 0
		.amdhsa_system_vgpr_workitem_id 0
		.amdhsa_next_free_vgpr 1
		.amdhsa_next_free_sgpr 0
		.amdhsa_accum_offset 4
		.amdhsa_reserve_vcc 0
		.amdhsa_reserve_flat_scratch 0
		.amdhsa_float_round_mode_32 0
		.amdhsa_float_round_mode_16_64 0
		.amdhsa_float_denorm_mode_32 3
		.amdhsa_float_denorm_mode_16_64 3
		.amdhsa_dx10_clamp 1
		.amdhsa_ieee_mode 1
		.amdhsa_fp16_overflow 0
		.amdhsa_tg_split 0
		.amdhsa_exception_fp_ieee_invalid_op 0
		.amdhsa_exception_fp_denorm_src 0
		.amdhsa_exception_fp_ieee_div_zero 0
		.amdhsa_exception_fp_ieee_overflow 0
		.amdhsa_exception_fp_ieee_underflow 0
		.amdhsa_exception_fp_ieee_inexact 0
		.amdhsa_exception_int_div_zero 0
	.end_amdhsa_kernel
	.section	.text._ZN7rocprim17ROCPRIM_400000_NS6detail17trampoline_kernelINS0_14default_configENS1_38merge_sort_block_merge_config_selectorIjNS0_10empty_typeEEEZZNS1_27merge_sort_block_merge_implIS3_N6thrust23THRUST_200600_302600_NS6detail15normal_iteratorINS9_10device_ptrIjEEEEPS5_jNS1_19radix_merge_compareILb0ELb0EjNS0_19identity_decomposerEEEEE10hipError_tT0_T1_T2_jT3_P12ihipStream_tbPNSt15iterator_traitsISK_E10value_typeEPNSQ_ISL_E10value_typeEPSM_NS1_7vsmem_tEENKUlT_SK_SL_SM_E_clIPjSE_SF_SF_EESJ_SZ_SK_SL_SM_EUlSZ_E0_NS1_11comp_targetILNS1_3genE0ELNS1_11target_archE4294967295ELNS1_3gpuE0ELNS1_3repE0EEENS1_38merge_mergepath_config_static_selectorELNS0_4arch9wavefront6targetE1EEEvSL_,"axG",@progbits,_ZN7rocprim17ROCPRIM_400000_NS6detail17trampoline_kernelINS0_14default_configENS1_38merge_sort_block_merge_config_selectorIjNS0_10empty_typeEEEZZNS1_27merge_sort_block_merge_implIS3_N6thrust23THRUST_200600_302600_NS6detail15normal_iteratorINS9_10device_ptrIjEEEEPS5_jNS1_19radix_merge_compareILb0ELb0EjNS0_19identity_decomposerEEEEE10hipError_tT0_T1_T2_jT3_P12ihipStream_tbPNSt15iterator_traitsISK_E10value_typeEPNSQ_ISL_E10value_typeEPSM_NS1_7vsmem_tEENKUlT_SK_SL_SM_E_clIPjSE_SF_SF_EESJ_SZ_SK_SL_SM_EUlSZ_E0_NS1_11comp_targetILNS1_3genE0ELNS1_11target_archE4294967295ELNS1_3gpuE0ELNS1_3repE0EEENS1_38merge_mergepath_config_static_selectorELNS0_4arch9wavefront6targetE1EEEvSL_,comdat
.Lfunc_end977:
	.size	_ZN7rocprim17ROCPRIM_400000_NS6detail17trampoline_kernelINS0_14default_configENS1_38merge_sort_block_merge_config_selectorIjNS0_10empty_typeEEEZZNS1_27merge_sort_block_merge_implIS3_N6thrust23THRUST_200600_302600_NS6detail15normal_iteratorINS9_10device_ptrIjEEEEPS5_jNS1_19radix_merge_compareILb0ELb0EjNS0_19identity_decomposerEEEEE10hipError_tT0_T1_T2_jT3_P12ihipStream_tbPNSt15iterator_traitsISK_E10value_typeEPNSQ_ISL_E10value_typeEPSM_NS1_7vsmem_tEENKUlT_SK_SL_SM_E_clIPjSE_SF_SF_EESJ_SZ_SK_SL_SM_EUlSZ_E0_NS1_11comp_targetILNS1_3genE0ELNS1_11target_archE4294967295ELNS1_3gpuE0ELNS1_3repE0EEENS1_38merge_mergepath_config_static_selectorELNS0_4arch9wavefront6targetE1EEEvSL_, .Lfunc_end977-_ZN7rocprim17ROCPRIM_400000_NS6detail17trampoline_kernelINS0_14default_configENS1_38merge_sort_block_merge_config_selectorIjNS0_10empty_typeEEEZZNS1_27merge_sort_block_merge_implIS3_N6thrust23THRUST_200600_302600_NS6detail15normal_iteratorINS9_10device_ptrIjEEEEPS5_jNS1_19radix_merge_compareILb0ELb0EjNS0_19identity_decomposerEEEEE10hipError_tT0_T1_T2_jT3_P12ihipStream_tbPNSt15iterator_traitsISK_E10value_typeEPNSQ_ISL_E10value_typeEPSM_NS1_7vsmem_tEENKUlT_SK_SL_SM_E_clIPjSE_SF_SF_EESJ_SZ_SK_SL_SM_EUlSZ_E0_NS1_11comp_targetILNS1_3genE0ELNS1_11target_archE4294967295ELNS1_3gpuE0ELNS1_3repE0EEENS1_38merge_mergepath_config_static_selectorELNS0_4arch9wavefront6targetE1EEEvSL_
                                        ; -- End function
	.section	.AMDGPU.csdata,"",@progbits
; Kernel info:
; codeLenInByte = 0
; NumSgprs: 4
; NumVgprs: 0
; NumAgprs: 0
; TotalNumVgprs: 0
; ScratchSize: 0
; MemoryBound: 0
; FloatMode: 240
; IeeeMode: 1
; LDSByteSize: 0 bytes/workgroup (compile time only)
; SGPRBlocks: 0
; VGPRBlocks: 0
; NumSGPRsForWavesPerEU: 4
; NumVGPRsForWavesPerEU: 1
; AccumOffset: 4
; Occupancy: 8
; WaveLimiterHint : 0
; COMPUTE_PGM_RSRC2:SCRATCH_EN: 0
; COMPUTE_PGM_RSRC2:USER_SGPR: 6
; COMPUTE_PGM_RSRC2:TRAP_HANDLER: 0
; COMPUTE_PGM_RSRC2:TGID_X_EN: 1
; COMPUTE_PGM_RSRC2:TGID_Y_EN: 0
; COMPUTE_PGM_RSRC2:TGID_Z_EN: 0
; COMPUTE_PGM_RSRC2:TIDIG_COMP_CNT: 0
; COMPUTE_PGM_RSRC3_GFX90A:ACCUM_OFFSET: 0
; COMPUTE_PGM_RSRC3_GFX90A:TG_SPLIT: 0
	.section	.text._ZN7rocprim17ROCPRIM_400000_NS6detail17trampoline_kernelINS0_14default_configENS1_38merge_sort_block_merge_config_selectorIjNS0_10empty_typeEEEZZNS1_27merge_sort_block_merge_implIS3_N6thrust23THRUST_200600_302600_NS6detail15normal_iteratorINS9_10device_ptrIjEEEEPS5_jNS1_19radix_merge_compareILb0ELb0EjNS0_19identity_decomposerEEEEE10hipError_tT0_T1_T2_jT3_P12ihipStream_tbPNSt15iterator_traitsISK_E10value_typeEPNSQ_ISL_E10value_typeEPSM_NS1_7vsmem_tEENKUlT_SK_SL_SM_E_clIPjSE_SF_SF_EESJ_SZ_SK_SL_SM_EUlSZ_E0_NS1_11comp_targetILNS1_3genE10ELNS1_11target_archE1201ELNS1_3gpuE5ELNS1_3repE0EEENS1_38merge_mergepath_config_static_selectorELNS0_4arch9wavefront6targetE1EEEvSL_,"axG",@progbits,_ZN7rocprim17ROCPRIM_400000_NS6detail17trampoline_kernelINS0_14default_configENS1_38merge_sort_block_merge_config_selectorIjNS0_10empty_typeEEEZZNS1_27merge_sort_block_merge_implIS3_N6thrust23THRUST_200600_302600_NS6detail15normal_iteratorINS9_10device_ptrIjEEEEPS5_jNS1_19radix_merge_compareILb0ELb0EjNS0_19identity_decomposerEEEEE10hipError_tT0_T1_T2_jT3_P12ihipStream_tbPNSt15iterator_traitsISK_E10value_typeEPNSQ_ISL_E10value_typeEPSM_NS1_7vsmem_tEENKUlT_SK_SL_SM_E_clIPjSE_SF_SF_EESJ_SZ_SK_SL_SM_EUlSZ_E0_NS1_11comp_targetILNS1_3genE10ELNS1_11target_archE1201ELNS1_3gpuE5ELNS1_3repE0EEENS1_38merge_mergepath_config_static_selectorELNS0_4arch9wavefront6targetE1EEEvSL_,comdat
	.protected	_ZN7rocprim17ROCPRIM_400000_NS6detail17trampoline_kernelINS0_14default_configENS1_38merge_sort_block_merge_config_selectorIjNS0_10empty_typeEEEZZNS1_27merge_sort_block_merge_implIS3_N6thrust23THRUST_200600_302600_NS6detail15normal_iteratorINS9_10device_ptrIjEEEEPS5_jNS1_19radix_merge_compareILb0ELb0EjNS0_19identity_decomposerEEEEE10hipError_tT0_T1_T2_jT3_P12ihipStream_tbPNSt15iterator_traitsISK_E10value_typeEPNSQ_ISL_E10value_typeEPSM_NS1_7vsmem_tEENKUlT_SK_SL_SM_E_clIPjSE_SF_SF_EESJ_SZ_SK_SL_SM_EUlSZ_E0_NS1_11comp_targetILNS1_3genE10ELNS1_11target_archE1201ELNS1_3gpuE5ELNS1_3repE0EEENS1_38merge_mergepath_config_static_selectorELNS0_4arch9wavefront6targetE1EEEvSL_ ; -- Begin function _ZN7rocprim17ROCPRIM_400000_NS6detail17trampoline_kernelINS0_14default_configENS1_38merge_sort_block_merge_config_selectorIjNS0_10empty_typeEEEZZNS1_27merge_sort_block_merge_implIS3_N6thrust23THRUST_200600_302600_NS6detail15normal_iteratorINS9_10device_ptrIjEEEEPS5_jNS1_19radix_merge_compareILb0ELb0EjNS0_19identity_decomposerEEEEE10hipError_tT0_T1_T2_jT3_P12ihipStream_tbPNSt15iterator_traitsISK_E10value_typeEPNSQ_ISL_E10value_typeEPSM_NS1_7vsmem_tEENKUlT_SK_SL_SM_E_clIPjSE_SF_SF_EESJ_SZ_SK_SL_SM_EUlSZ_E0_NS1_11comp_targetILNS1_3genE10ELNS1_11target_archE1201ELNS1_3gpuE5ELNS1_3repE0EEENS1_38merge_mergepath_config_static_selectorELNS0_4arch9wavefront6targetE1EEEvSL_
	.globl	_ZN7rocprim17ROCPRIM_400000_NS6detail17trampoline_kernelINS0_14default_configENS1_38merge_sort_block_merge_config_selectorIjNS0_10empty_typeEEEZZNS1_27merge_sort_block_merge_implIS3_N6thrust23THRUST_200600_302600_NS6detail15normal_iteratorINS9_10device_ptrIjEEEEPS5_jNS1_19radix_merge_compareILb0ELb0EjNS0_19identity_decomposerEEEEE10hipError_tT0_T1_T2_jT3_P12ihipStream_tbPNSt15iterator_traitsISK_E10value_typeEPNSQ_ISL_E10value_typeEPSM_NS1_7vsmem_tEENKUlT_SK_SL_SM_E_clIPjSE_SF_SF_EESJ_SZ_SK_SL_SM_EUlSZ_E0_NS1_11comp_targetILNS1_3genE10ELNS1_11target_archE1201ELNS1_3gpuE5ELNS1_3repE0EEENS1_38merge_mergepath_config_static_selectorELNS0_4arch9wavefront6targetE1EEEvSL_
	.p2align	8
	.type	_ZN7rocprim17ROCPRIM_400000_NS6detail17trampoline_kernelINS0_14default_configENS1_38merge_sort_block_merge_config_selectorIjNS0_10empty_typeEEEZZNS1_27merge_sort_block_merge_implIS3_N6thrust23THRUST_200600_302600_NS6detail15normal_iteratorINS9_10device_ptrIjEEEEPS5_jNS1_19radix_merge_compareILb0ELb0EjNS0_19identity_decomposerEEEEE10hipError_tT0_T1_T2_jT3_P12ihipStream_tbPNSt15iterator_traitsISK_E10value_typeEPNSQ_ISL_E10value_typeEPSM_NS1_7vsmem_tEENKUlT_SK_SL_SM_E_clIPjSE_SF_SF_EESJ_SZ_SK_SL_SM_EUlSZ_E0_NS1_11comp_targetILNS1_3genE10ELNS1_11target_archE1201ELNS1_3gpuE5ELNS1_3repE0EEENS1_38merge_mergepath_config_static_selectorELNS0_4arch9wavefront6targetE1EEEvSL_,@function
_ZN7rocprim17ROCPRIM_400000_NS6detail17trampoline_kernelINS0_14default_configENS1_38merge_sort_block_merge_config_selectorIjNS0_10empty_typeEEEZZNS1_27merge_sort_block_merge_implIS3_N6thrust23THRUST_200600_302600_NS6detail15normal_iteratorINS9_10device_ptrIjEEEEPS5_jNS1_19radix_merge_compareILb0ELb0EjNS0_19identity_decomposerEEEEE10hipError_tT0_T1_T2_jT3_P12ihipStream_tbPNSt15iterator_traitsISK_E10value_typeEPNSQ_ISL_E10value_typeEPSM_NS1_7vsmem_tEENKUlT_SK_SL_SM_E_clIPjSE_SF_SF_EESJ_SZ_SK_SL_SM_EUlSZ_E0_NS1_11comp_targetILNS1_3genE10ELNS1_11target_archE1201ELNS1_3gpuE5ELNS1_3repE0EEENS1_38merge_mergepath_config_static_selectorELNS0_4arch9wavefront6targetE1EEEvSL_: ; @_ZN7rocprim17ROCPRIM_400000_NS6detail17trampoline_kernelINS0_14default_configENS1_38merge_sort_block_merge_config_selectorIjNS0_10empty_typeEEEZZNS1_27merge_sort_block_merge_implIS3_N6thrust23THRUST_200600_302600_NS6detail15normal_iteratorINS9_10device_ptrIjEEEEPS5_jNS1_19radix_merge_compareILb0ELb0EjNS0_19identity_decomposerEEEEE10hipError_tT0_T1_T2_jT3_P12ihipStream_tbPNSt15iterator_traitsISK_E10value_typeEPNSQ_ISL_E10value_typeEPSM_NS1_7vsmem_tEENKUlT_SK_SL_SM_E_clIPjSE_SF_SF_EESJ_SZ_SK_SL_SM_EUlSZ_E0_NS1_11comp_targetILNS1_3genE10ELNS1_11target_archE1201ELNS1_3gpuE5ELNS1_3repE0EEENS1_38merge_mergepath_config_static_selectorELNS0_4arch9wavefront6targetE1EEEvSL_
; %bb.0:
	.section	.rodata,"a",@progbits
	.p2align	6, 0x0
	.amdhsa_kernel _ZN7rocprim17ROCPRIM_400000_NS6detail17trampoline_kernelINS0_14default_configENS1_38merge_sort_block_merge_config_selectorIjNS0_10empty_typeEEEZZNS1_27merge_sort_block_merge_implIS3_N6thrust23THRUST_200600_302600_NS6detail15normal_iteratorINS9_10device_ptrIjEEEEPS5_jNS1_19radix_merge_compareILb0ELb0EjNS0_19identity_decomposerEEEEE10hipError_tT0_T1_T2_jT3_P12ihipStream_tbPNSt15iterator_traitsISK_E10value_typeEPNSQ_ISL_E10value_typeEPSM_NS1_7vsmem_tEENKUlT_SK_SL_SM_E_clIPjSE_SF_SF_EESJ_SZ_SK_SL_SM_EUlSZ_E0_NS1_11comp_targetILNS1_3genE10ELNS1_11target_archE1201ELNS1_3gpuE5ELNS1_3repE0EEENS1_38merge_mergepath_config_static_selectorELNS0_4arch9wavefront6targetE1EEEvSL_
		.amdhsa_group_segment_fixed_size 0
		.amdhsa_private_segment_fixed_size 0
		.amdhsa_kernarg_size 64
		.amdhsa_user_sgpr_count 6
		.amdhsa_user_sgpr_private_segment_buffer 1
		.amdhsa_user_sgpr_dispatch_ptr 0
		.amdhsa_user_sgpr_queue_ptr 0
		.amdhsa_user_sgpr_kernarg_segment_ptr 1
		.amdhsa_user_sgpr_dispatch_id 0
		.amdhsa_user_sgpr_flat_scratch_init 0
		.amdhsa_user_sgpr_kernarg_preload_length 0
		.amdhsa_user_sgpr_kernarg_preload_offset 0
		.amdhsa_user_sgpr_private_segment_size 0
		.amdhsa_uses_dynamic_stack 0
		.amdhsa_system_sgpr_private_segment_wavefront_offset 0
		.amdhsa_system_sgpr_workgroup_id_x 1
		.amdhsa_system_sgpr_workgroup_id_y 0
		.amdhsa_system_sgpr_workgroup_id_z 0
		.amdhsa_system_sgpr_workgroup_info 0
		.amdhsa_system_vgpr_workitem_id 0
		.amdhsa_next_free_vgpr 1
		.amdhsa_next_free_sgpr 0
		.amdhsa_accum_offset 4
		.amdhsa_reserve_vcc 0
		.amdhsa_reserve_flat_scratch 0
		.amdhsa_float_round_mode_32 0
		.amdhsa_float_round_mode_16_64 0
		.amdhsa_float_denorm_mode_32 3
		.amdhsa_float_denorm_mode_16_64 3
		.amdhsa_dx10_clamp 1
		.amdhsa_ieee_mode 1
		.amdhsa_fp16_overflow 0
		.amdhsa_tg_split 0
		.amdhsa_exception_fp_ieee_invalid_op 0
		.amdhsa_exception_fp_denorm_src 0
		.amdhsa_exception_fp_ieee_div_zero 0
		.amdhsa_exception_fp_ieee_overflow 0
		.amdhsa_exception_fp_ieee_underflow 0
		.amdhsa_exception_fp_ieee_inexact 0
		.amdhsa_exception_int_div_zero 0
	.end_amdhsa_kernel
	.section	.text._ZN7rocprim17ROCPRIM_400000_NS6detail17trampoline_kernelINS0_14default_configENS1_38merge_sort_block_merge_config_selectorIjNS0_10empty_typeEEEZZNS1_27merge_sort_block_merge_implIS3_N6thrust23THRUST_200600_302600_NS6detail15normal_iteratorINS9_10device_ptrIjEEEEPS5_jNS1_19radix_merge_compareILb0ELb0EjNS0_19identity_decomposerEEEEE10hipError_tT0_T1_T2_jT3_P12ihipStream_tbPNSt15iterator_traitsISK_E10value_typeEPNSQ_ISL_E10value_typeEPSM_NS1_7vsmem_tEENKUlT_SK_SL_SM_E_clIPjSE_SF_SF_EESJ_SZ_SK_SL_SM_EUlSZ_E0_NS1_11comp_targetILNS1_3genE10ELNS1_11target_archE1201ELNS1_3gpuE5ELNS1_3repE0EEENS1_38merge_mergepath_config_static_selectorELNS0_4arch9wavefront6targetE1EEEvSL_,"axG",@progbits,_ZN7rocprim17ROCPRIM_400000_NS6detail17trampoline_kernelINS0_14default_configENS1_38merge_sort_block_merge_config_selectorIjNS0_10empty_typeEEEZZNS1_27merge_sort_block_merge_implIS3_N6thrust23THRUST_200600_302600_NS6detail15normal_iteratorINS9_10device_ptrIjEEEEPS5_jNS1_19radix_merge_compareILb0ELb0EjNS0_19identity_decomposerEEEEE10hipError_tT0_T1_T2_jT3_P12ihipStream_tbPNSt15iterator_traitsISK_E10value_typeEPNSQ_ISL_E10value_typeEPSM_NS1_7vsmem_tEENKUlT_SK_SL_SM_E_clIPjSE_SF_SF_EESJ_SZ_SK_SL_SM_EUlSZ_E0_NS1_11comp_targetILNS1_3genE10ELNS1_11target_archE1201ELNS1_3gpuE5ELNS1_3repE0EEENS1_38merge_mergepath_config_static_selectorELNS0_4arch9wavefront6targetE1EEEvSL_,comdat
.Lfunc_end978:
	.size	_ZN7rocprim17ROCPRIM_400000_NS6detail17trampoline_kernelINS0_14default_configENS1_38merge_sort_block_merge_config_selectorIjNS0_10empty_typeEEEZZNS1_27merge_sort_block_merge_implIS3_N6thrust23THRUST_200600_302600_NS6detail15normal_iteratorINS9_10device_ptrIjEEEEPS5_jNS1_19radix_merge_compareILb0ELb0EjNS0_19identity_decomposerEEEEE10hipError_tT0_T1_T2_jT3_P12ihipStream_tbPNSt15iterator_traitsISK_E10value_typeEPNSQ_ISL_E10value_typeEPSM_NS1_7vsmem_tEENKUlT_SK_SL_SM_E_clIPjSE_SF_SF_EESJ_SZ_SK_SL_SM_EUlSZ_E0_NS1_11comp_targetILNS1_3genE10ELNS1_11target_archE1201ELNS1_3gpuE5ELNS1_3repE0EEENS1_38merge_mergepath_config_static_selectorELNS0_4arch9wavefront6targetE1EEEvSL_, .Lfunc_end978-_ZN7rocprim17ROCPRIM_400000_NS6detail17trampoline_kernelINS0_14default_configENS1_38merge_sort_block_merge_config_selectorIjNS0_10empty_typeEEEZZNS1_27merge_sort_block_merge_implIS3_N6thrust23THRUST_200600_302600_NS6detail15normal_iteratorINS9_10device_ptrIjEEEEPS5_jNS1_19radix_merge_compareILb0ELb0EjNS0_19identity_decomposerEEEEE10hipError_tT0_T1_T2_jT3_P12ihipStream_tbPNSt15iterator_traitsISK_E10value_typeEPNSQ_ISL_E10value_typeEPSM_NS1_7vsmem_tEENKUlT_SK_SL_SM_E_clIPjSE_SF_SF_EESJ_SZ_SK_SL_SM_EUlSZ_E0_NS1_11comp_targetILNS1_3genE10ELNS1_11target_archE1201ELNS1_3gpuE5ELNS1_3repE0EEENS1_38merge_mergepath_config_static_selectorELNS0_4arch9wavefront6targetE1EEEvSL_
                                        ; -- End function
	.section	.AMDGPU.csdata,"",@progbits
; Kernel info:
; codeLenInByte = 0
; NumSgprs: 4
; NumVgprs: 0
; NumAgprs: 0
; TotalNumVgprs: 0
; ScratchSize: 0
; MemoryBound: 0
; FloatMode: 240
; IeeeMode: 1
; LDSByteSize: 0 bytes/workgroup (compile time only)
; SGPRBlocks: 0
; VGPRBlocks: 0
; NumSGPRsForWavesPerEU: 4
; NumVGPRsForWavesPerEU: 1
; AccumOffset: 4
; Occupancy: 8
; WaveLimiterHint : 0
; COMPUTE_PGM_RSRC2:SCRATCH_EN: 0
; COMPUTE_PGM_RSRC2:USER_SGPR: 6
; COMPUTE_PGM_RSRC2:TRAP_HANDLER: 0
; COMPUTE_PGM_RSRC2:TGID_X_EN: 1
; COMPUTE_PGM_RSRC2:TGID_Y_EN: 0
; COMPUTE_PGM_RSRC2:TGID_Z_EN: 0
; COMPUTE_PGM_RSRC2:TIDIG_COMP_CNT: 0
; COMPUTE_PGM_RSRC3_GFX90A:ACCUM_OFFSET: 0
; COMPUTE_PGM_RSRC3_GFX90A:TG_SPLIT: 0
	.section	.text._ZN7rocprim17ROCPRIM_400000_NS6detail17trampoline_kernelINS0_14default_configENS1_38merge_sort_block_merge_config_selectorIjNS0_10empty_typeEEEZZNS1_27merge_sort_block_merge_implIS3_N6thrust23THRUST_200600_302600_NS6detail15normal_iteratorINS9_10device_ptrIjEEEEPS5_jNS1_19radix_merge_compareILb0ELb0EjNS0_19identity_decomposerEEEEE10hipError_tT0_T1_T2_jT3_P12ihipStream_tbPNSt15iterator_traitsISK_E10value_typeEPNSQ_ISL_E10value_typeEPSM_NS1_7vsmem_tEENKUlT_SK_SL_SM_E_clIPjSE_SF_SF_EESJ_SZ_SK_SL_SM_EUlSZ_E0_NS1_11comp_targetILNS1_3genE5ELNS1_11target_archE942ELNS1_3gpuE9ELNS1_3repE0EEENS1_38merge_mergepath_config_static_selectorELNS0_4arch9wavefront6targetE1EEEvSL_,"axG",@progbits,_ZN7rocprim17ROCPRIM_400000_NS6detail17trampoline_kernelINS0_14default_configENS1_38merge_sort_block_merge_config_selectorIjNS0_10empty_typeEEEZZNS1_27merge_sort_block_merge_implIS3_N6thrust23THRUST_200600_302600_NS6detail15normal_iteratorINS9_10device_ptrIjEEEEPS5_jNS1_19radix_merge_compareILb0ELb0EjNS0_19identity_decomposerEEEEE10hipError_tT0_T1_T2_jT3_P12ihipStream_tbPNSt15iterator_traitsISK_E10value_typeEPNSQ_ISL_E10value_typeEPSM_NS1_7vsmem_tEENKUlT_SK_SL_SM_E_clIPjSE_SF_SF_EESJ_SZ_SK_SL_SM_EUlSZ_E0_NS1_11comp_targetILNS1_3genE5ELNS1_11target_archE942ELNS1_3gpuE9ELNS1_3repE0EEENS1_38merge_mergepath_config_static_selectorELNS0_4arch9wavefront6targetE1EEEvSL_,comdat
	.protected	_ZN7rocprim17ROCPRIM_400000_NS6detail17trampoline_kernelINS0_14default_configENS1_38merge_sort_block_merge_config_selectorIjNS0_10empty_typeEEEZZNS1_27merge_sort_block_merge_implIS3_N6thrust23THRUST_200600_302600_NS6detail15normal_iteratorINS9_10device_ptrIjEEEEPS5_jNS1_19radix_merge_compareILb0ELb0EjNS0_19identity_decomposerEEEEE10hipError_tT0_T1_T2_jT3_P12ihipStream_tbPNSt15iterator_traitsISK_E10value_typeEPNSQ_ISL_E10value_typeEPSM_NS1_7vsmem_tEENKUlT_SK_SL_SM_E_clIPjSE_SF_SF_EESJ_SZ_SK_SL_SM_EUlSZ_E0_NS1_11comp_targetILNS1_3genE5ELNS1_11target_archE942ELNS1_3gpuE9ELNS1_3repE0EEENS1_38merge_mergepath_config_static_selectorELNS0_4arch9wavefront6targetE1EEEvSL_ ; -- Begin function _ZN7rocprim17ROCPRIM_400000_NS6detail17trampoline_kernelINS0_14default_configENS1_38merge_sort_block_merge_config_selectorIjNS0_10empty_typeEEEZZNS1_27merge_sort_block_merge_implIS3_N6thrust23THRUST_200600_302600_NS6detail15normal_iteratorINS9_10device_ptrIjEEEEPS5_jNS1_19radix_merge_compareILb0ELb0EjNS0_19identity_decomposerEEEEE10hipError_tT0_T1_T2_jT3_P12ihipStream_tbPNSt15iterator_traitsISK_E10value_typeEPNSQ_ISL_E10value_typeEPSM_NS1_7vsmem_tEENKUlT_SK_SL_SM_E_clIPjSE_SF_SF_EESJ_SZ_SK_SL_SM_EUlSZ_E0_NS1_11comp_targetILNS1_3genE5ELNS1_11target_archE942ELNS1_3gpuE9ELNS1_3repE0EEENS1_38merge_mergepath_config_static_selectorELNS0_4arch9wavefront6targetE1EEEvSL_
	.globl	_ZN7rocprim17ROCPRIM_400000_NS6detail17trampoline_kernelINS0_14default_configENS1_38merge_sort_block_merge_config_selectorIjNS0_10empty_typeEEEZZNS1_27merge_sort_block_merge_implIS3_N6thrust23THRUST_200600_302600_NS6detail15normal_iteratorINS9_10device_ptrIjEEEEPS5_jNS1_19radix_merge_compareILb0ELb0EjNS0_19identity_decomposerEEEEE10hipError_tT0_T1_T2_jT3_P12ihipStream_tbPNSt15iterator_traitsISK_E10value_typeEPNSQ_ISL_E10value_typeEPSM_NS1_7vsmem_tEENKUlT_SK_SL_SM_E_clIPjSE_SF_SF_EESJ_SZ_SK_SL_SM_EUlSZ_E0_NS1_11comp_targetILNS1_3genE5ELNS1_11target_archE942ELNS1_3gpuE9ELNS1_3repE0EEENS1_38merge_mergepath_config_static_selectorELNS0_4arch9wavefront6targetE1EEEvSL_
	.p2align	8
	.type	_ZN7rocprim17ROCPRIM_400000_NS6detail17trampoline_kernelINS0_14default_configENS1_38merge_sort_block_merge_config_selectorIjNS0_10empty_typeEEEZZNS1_27merge_sort_block_merge_implIS3_N6thrust23THRUST_200600_302600_NS6detail15normal_iteratorINS9_10device_ptrIjEEEEPS5_jNS1_19radix_merge_compareILb0ELb0EjNS0_19identity_decomposerEEEEE10hipError_tT0_T1_T2_jT3_P12ihipStream_tbPNSt15iterator_traitsISK_E10value_typeEPNSQ_ISL_E10value_typeEPSM_NS1_7vsmem_tEENKUlT_SK_SL_SM_E_clIPjSE_SF_SF_EESJ_SZ_SK_SL_SM_EUlSZ_E0_NS1_11comp_targetILNS1_3genE5ELNS1_11target_archE942ELNS1_3gpuE9ELNS1_3repE0EEENS1_38merge_mergepath_config_static_selectorELNS0_4arch9wavefront6targetE1EEEvSL_,@function
_ZN7rocprim17ROCPRIM_400000_NS6detail17trampoline_kernelINS0_14default_configENS1_38merge_sort_block_merge_config_selectorIjNS0_10empty_typeEEEZZNS1_27merge_sort_block_merge_implIS3_N6thrust23THRUST_200600_302600_NS6detail15normal_iteratorINS9_10device_ptrIjEEEEPS5_jNS1_19radix_merge_compareILb0ELb0EjNS0_19identity_decomposerEEEEE10hipError_tT0_T1_T2_jT3_P12ihipStream_tbPNSt15iterator_traitsISK_E10value_typeEPNSQ_ISL_E10value_typeEPSM_NS1_7vsmem_tEENKUlT_SK_SL_SM_E_clIPjSE_SF_SF_EESJ_SZ_SK_SL_SM_EUlSZ_E0_NS1_11comp_targetILNS1_3genE5ELNS1_11target_archE942ELNS1_3gpuE9ELNS1_3repE0EEENS1_38merge_mergepath_config_static_selectorELNS0_4arch9wavefront6targetE1EEEvSL_: ; @_ZN7rocprim17ROCPRIM_400000_NS6detail17trampoline_kernelINS0_14default_configENS1_38merge_sort_block_merge_config_selectorIjNS0_10empty_typeEEEZZNS1_27merge_sort_block_merge_implIS3_N6thrust23THRUST_200600_302600_NS6detail15normal_iteratorINS9_10device_ptrIjEEEEPS5_jNS1_19radix_merge_compareILb0ELb0EjNS0_19identity_decomposerEEEEE10hipError_tT0_T1_T2_jT3_P12ihipStream_tbPNSt15iterator_traitsISK_E10value_typeEPNSQ_ISL_E10value_typeEPSM_NS1_7vsmem_tEENKUlT_SK_SL_SM_E_clIPjSE_SF_SF_EESJ_SZ_SK_SL_SM_EUlSZ_E0_NS1_11comp_targetILNS1_3genE5ELNS1_11target_archE942ELNS1_3gpuE9ELNS1_3repE0EEENS1_38merge_mergepath_config_static_selectorELNS0_4arch9wavefront6targetE1EEEvSL_
; %bb.0:
	.section	.rodata,"a",@progbits
	.p2align	6, 0x0
	.amdhsa_kernel _ZN7rocprim17ROCPRIM_400000_NS6detail17trampoline_kernelINS0_14default_configENS1_38merge_sort_block_merge_config_selectorIjNS0_10empty_typeEEEZZNS1_27merge_sort_block_merge_implIS3_N6thrust23THRUST_200600_302600_NS6detail15normal_iteratorINS9_10device_ptrIjEEEEPS5_jNS1_19radix_merge_compareILb0ELb0EjNS0_19identity_decomposerEEEEE10hipError_tT0_T1_T2_jT3_P12ihipStream_tbPNSt15iterator_traitsISK_E10value_typeEPNSQ_ISL_E10value_typeEPSM_NS1_7vsmem_tEENKUlT_SK_SL_SM_E_clIPjSE_SF_SF_EESJ_SZ_SK_SL_SM_EUlSZ_E0_NS1_11comp_targetILNS1_3genE5ELNS1_11target_archE942ELNS1_3gpuE9ELNS1_3repE0EEENS1_38merge_mergepath_config_static_selectorELNS0_4arch9wavefront6targetE1EEEvSL_
		.amdhsa_group_segment_fixed_size 0
		.amdhsa_private_segment_fixed_size 0
		.amdhsa_kernarg_size 64
		.amdhsa_user_sgpr_count 6
		.amdhsa_user_sgpr_private_segment_buffer 1
		.amdhsa_user_sgpr_dispatch_ptr 0
		.amdhsa_user_sgpr_queue_ptr 0
		.amdhsa_user_sgpr_kernarg_segment_ptr 1
		.amdhsa_user_sgpr_dispatch_id 0
		.amdhsa_user_sgpr_flat_scratch_init 0
		.amdhsa_user_sgpr_kernarg_preload_length 0
		.amdhsa_user_sgpr_kernarg_preload_offset 0
		.amdhsa_user_sgpr_private_segment_size 0
		.amdhsa_uses_dynamic_stack 0
		.amdhsa_system_sgpr_private_segment_wavefront_offset 0
		.amdhsa_system_sgpr_workgroup_id_x 1
		.amdhsa_system_sgpr_workgroup_id_y 0
		.amdhsa_system_sgpr_workgroup_id_z 0
		.amdhsa_system_sgpr_workgroup_info 0
		.amdhsa_system_vgpr_workitem_id 0
		.amdhsa_next_free_vgpr 1
		.amdhsa_next_free_sgpr 0
		.amdhsa_accum_offset 4
		.amdhsa_reserve_vcc 0
		.amdhsa_reserve_flat_scratch 0
		.amdhsa_float_round_mode_32 0
		.amdhsa_float_round_mode_16_64 0
		.amdhsa_float_denorm_mode_32 3
		.amdhsa_float_denorm_mode_16_64 3
		.amdhsa_dx10_clamp 1
		.amdhsa_ieee_mode 1
		.amdhsa_fp16_overflow 0
		.amdhsa_tg_split 0
		.amdhsa_exception_fp_ieee_invalid_op 0
		.amdhsa_exception_fp_denorm_src 0
		.amdhsa_exception_fp_ieee_div_zero 0
		.amdhsa_exception_fp_ieee_overflow 0
		.amdhsa_exception_fp_ieee_underflow 0
		.amdhsa_exception_fp_ieee_inexact 0
		.amdhsa_exception_int_div_zero 0
	.end_amdhsa_kernel
	.section	.text._ZN7rocprim17ROCPRIM_400000_NS6detail17trampoline_kernelINS0_14default_configENS1_38merge_sort_block_merge_config_selectorIjNS0_10empty_typeEEEZZNS1_27merge_sort_block_merge_implIS3_N6thrust23THRUST_200600_302600_NS6detail15normal_iteratorINS9_10device_ptrIjEEEEPS5_jNS1_19radix_merge_compareILb0ELb0EjNS0_19identity_decomposerEEEEE10hipError_tT0_T1_T2_jT3_P12ihipStream_tbPNSt15iterator_traitsISK_E10value_typeEPNSQ_ISL_E10value_typeEPSM_NS1_7vsmem_tEENKUlT_SK_SL_SM_E_clIPjSE_SF_SF_EESJ_SZ_SK_SL_SM_EUlSZ_E0_NS1_11comp_targetILNS1_3genE5ELNS1_11target_archE942ELNS1_3gpuE9ELNS1_3repE0EEENS1_38merge_mergepath_config_static_selectorELNS0_4arch9wavefront6targetE1EEEvSL_,"axG",@progbits,_ZN7rocprim17ROCPRIM_400000_NS6detail17trampoline_kernelINS0_14default_configENS1_38merge_sort_block_merge_config_selectorIjNS0_10empty_typeEEEZZNS1_27merge_sort_block_merge_implIS3_N6thrust23THRUST_200600_302600_NS6detail15normal_iteratorINS9_10device_ptrIjEEEEPS5_jNS1_19radix_merge_compareILb0ELb0EjNS0_19identity_decomposerEEEEE10hipError_tT0_T1_T2_jT3_P12ihipStream_tbPNSt15iterator_traitsISK_E10value_typeEPNSQ_ISL_E10value_typeEPSM_NS1_7vsmem_tEENKUlT_SK_SL_SM_E_clIPjSE_SF_SF_EESJ_SZ_SK_SL_SM_EUlSZ_E0_NS1_11comp_targetILNS1_3genE5ELNS1_11target_archE942ELNS1_3gpuE9ELNS1_3repE0EEENS1_38merge_mergepath_config_static_selectorELNS0_4arch9wavefront6targetE1EEEvSL_,comdat
.Lfunc_end979:
	.size	_ZN7rocprim17ROCPRIM_400000_NS6detail17trampoline_kernelINS0_14default_configENS1_38merge_sort_block_merge_config_selectorIjNS0_10empty_typeEEEZZNS1_27merge_sort_block_merge_implIS3_N6thrust23THRUST_200600_302600_NS6detail15normal_iteratorINS9_10device_ptrIjEEEEPS5_jNS1_19radix_merge_compareILb0ELb0EjNS0_19identity_decomposerEEEEE10hipError_tT0_T1_T2_jT3_P12ihipStream_tbPNSt15iterator_traitsISK_E10value_typeEPNSQ_ISL_E10value_typeEPSM_NS1_7vsmem_tEENKUlT_SK_SL_SM_E_clIPjSE_SF_SF_EESJ_SZ_SK_SL_SM_EUlSZ_E0_NS1_11comp_targetILNS1_3genE5ELNS1_11target_archE942ELNS1_3gpuE9ELNS1_3repE0EEENS1_38merge_mergepath_config_static_selectorELNS0_4arch9wavefront6targetE1EEEvSL_, .Lfunc_end979-_ZN7rocprim17ROCPRIM_400000_NS6detail17trampoline_kernelINS0_14default_configENS1_38merge_sort_block_merge_config_selectorIjNS0_10empty_typeEEEZZNS1_27merge_sort_block_merge_implIS3_N6thrust23THRUST_200600_302600_NS6detail15normal_iteratorINS9_10device_ptrIjEEEEPS5_jNS1_19radix_merge_compareILb0ELb0EjNS0_19identity_decomposerEEEEE10hipError_tT0_T1_T2_jT3_P12ihipStream_tbPNSt15iterator_traitsISK_E10value_typeEPNSQ_ISL_E10value_typeEPSM_NS1_7vsmem_tEENKUlT_SK_SL_SM_E_clIPjSE_SF_SF_EESJ_SZ_SK_SL_SM_EUlSZ_E0_NS1_11comp_targetILNS1_3genE5ELNS1_11target_archE942ELNS1_3gpuE9ELNS1_3repE0EEENS1_38merge_mergepath_config_static_selectorELNS0_4arch9wavefront6targetE1EEEvSL_
                                        ; -- End function
	.section	.AMDGPU.csdata,"",@progbits
; Kernel info:
; codeLenInByte = 0
; NumSgprs: 4
; NumVgprs: 0
; NumAgprs: 0
; TotalNumVgprs: 0
; ScratchSize: 0
; MemoryBound: 0
; FloatMode: 240
; IeeeMode: 1
; LDSByteSize: 0 bytes/workgroup (compile time only)
; SGPRBlocks: 0
; VGPRBlocks: 0
; NumSGPRsForWavesPerEU: 4
; NumVGPRsForWavesPerEU: 1
; AccumOffset: 4
; Occupancy: 8
; WaveLimiterHint : 0
; COMPUTE_PGM_RSRC2:SCRATCH_EN: 0
; COMPUTE_PGM_RSRC2:USER_SGPR: 6
; COMPUTE_PGM_RSRC2:TRAP_HANDLER: 0
; COMPUTE_PGM_RSRC2:TGID_X_EN: 1
; COMPUTE_PGM_RSRC2:TGID_Y_EN: 0
; COMPUTE_PGM_RSRC2:TGID_Z_EN: 0
; COMPUTE_PGM_RSRC2:TIDIG_COMP_CNT: 0
; COMPUTE_PGM_RSRC3_GFX90A:ACCUM_OFFSET: 0
; COMPUTE_PGM_RSRC3_GFX90A:TG_SPLIT: 0
	.section	.text._ZN7rocprim17ROCPRIM_400000_NS6detail17trampoline_kernelINS0_14default_configENS1_38merge_sort_block_merge_config_selectorIjNS0_10empty_typeEEEZZNS1_27merge_sort_block_merge_implIS3_N6thrust23THRUST_200600_302600_NS6detail15normal_iteratorINS9_10device_ptrIjEEEEPS5_jNS1_19radix_merge_compareILb0ELb0EjNS0_19identity_decomposerEEEEE10hipError_tT0_T1_T2_jT3_P12ihipStream_tbPNSt15iterator_traitsISK_E10value_typeEPNSQ_ISL_E10value_typeEPSM_NS1_7vsmem_tEENKUlT_SK_SL_SM_E_clIPjSE_SF_SF_EESJ_SZ_SK_SL_SM_EUlSZ_E0_NS1_11comp_targetILNS1_3genE4ELNS1_11target_archE910ELNS1_3gpuE8ELNS1_3repE0EEENS1_38merge_mergepath_config_static_selectorELNS0_4arch9wavefront6targetE1EEEvSL_,"axG",@progbits,_ZN7rocprim17ROCPRIM_400000_NS6detail17trampoline_kernelINS0_14default_configENS1_38merge_sort_block_merge_config_selectorIjNS0_10empty_typeEEEZZNS1_27merge_sort_block_merge_implIS3_N6thrust23THRUST_200600_302600_NS6detail15normal_iteratorINS9_10device_ptrIjEEEEPS5_jNS1_19radix_merge_compareILb0ELb0EjNS0_19identity_decomposerEEEEE10hipError_tT0_T1_T2_jT3_P12ihipStream_tbPNSt15iterator_traitsISK_E10value_typeEPNSQ_ISL_E10value_typeEPSM_NS1_7vsmem_tEENKUlT_SK_SL_SM_E_clIPjSE_SF_SF_EESJ_SZ_SK_SL_SM_EUlSZ_E0_NS1_11comp_targetILNS1_3genE4ELNS1_11target_archE910ELNS1_3gpuE8ELNS1_3repE0EEENS1_38merge_mergepath_config_static_selectorELNS0_4arch9wavefront6targetE1EEEvSL_,comdat
	.protected	_ZN7rocprim17ROCPRIM_400000_NS6detail17trampoline_kernelINS0_14default_configENS1_38merge_sort_block_merge_config_selectorIjNS0_10empty_typeEEEZZNS1_27merge_sort_block_merge_implIS3_N6thrust23THRUST_200600_302600_NS6detail15normal_iteratorINS9_10device_ptrIjEEEEPS5_jNS1_19radix_merge_compareILb0ELb0EjNS0_19identity_decomposerEEEEE10hipError_tT0_T1_T2_jT3_P12ihipStream_tbPNSt15iterator_traitsISK_E10value_typeEPNSQ_ISL_E10value_typeEPSM_NS1_7vsmem_tEENKUlT_SK_SL_SM_E_clIPjSE_SF_SF_EESJ_SZ_SK_SL_SM_EUlSZ_E0_NS1_11comp_targetILNS1_3genE4ELNS1_11target_archE910ELNS1_3gpuE8ELNS1_3repE0EEENS1_38merge_mergepath_config_static_selectorELNS0_4arch9wavefront6targetE1EEEvSL_ ; -- Begin function _ZN7rocprim17ROCPRIM_400000_NS6detail17trampoline_kernelINS0_14default_configENS1_38merge_sort_block_merge_config_selectorIjNS0_10empty_typeEEEZZNS1_27merge_sort_block_merge_implIS3_N6thrust23THRUST_200600_302600_NS6detail15normal_iteratorINS9_10device_ptrIjEEEEPS5_jNS1_19radix_merge_compareILb0ELb0EjNS0_19identity_decomposerEEEEE10hipError_tT0_T1_T2_jT3_P12ihipStream_tbPNSt15iterator_traitsISK_E10value_typeEPNSQ_ISL_E10value_typeEPSM_NS1_7vsmem_tEENKUlT_SK_SL_SM_E_clIPjSE_SF_SF_EESJ_SZ_SK_SL_SM_EUlSZ_E0_NS1_11comp_targetILNS1_3genE4ELNS1_11target_archE910ELNS1_3gpuE8ELNS1_3repE0EEENS1_38merge_mergepath_config_static_selectorELNS0_4arch9wavefront6targetE1EEEvSL_
	.globl	_ZN7rocprim17ROCPRIM_400000_NS6detail17trampoline_kernelINS0_14default_configENS1_38merge_sort_block_merge_config_selectorIjNS0_10empty_typeEEEZZNS1_27merge_sort_block_merge_implIS3_N6thrust23THRUST_200600_302600_NS6detail15normal_iteratorINS9_10device_ptrIjEEEEPS5_jNS1_19radix_merge_compareILb0ELb0EjNS0_19identity_decomposerEEEEE10hipError_tT0_T1_T2_jT3_P12ihipStream_tbPNSt15iterator_traitsISK_E10value_typeEPNSQ_ISL_E10value_typeEPSM_NS1_7vsmem_tEENKUlT_SK_SL_SM_E_clIPjSE_SF_SF_EESJ_SZ_SK_SL_SM_EUlSZ_E0_NS1_11comp_targetILNS1_3genE4ELNS1_11target_archE910ELNS1_3gpuE8ELNS1_3repE0EEENS1_38merge_mergepath_config_static_selectorELNS0_4arch9wavefront6targetE1EEEvSL_
	.p2align	8
	.type	_ZN7rocprim17ROCPRIM_400000_NS6detail17trampoline_kernelINS0_14default_configENS1_38merge_sort_block_merge_config_selectorIjNS0_10empty_typeEEEZZNS1_27merge_sort_block_merge_implIS3_N6thrust23THRUST_200600_302600_NS6detail15normal_iteratorINS9_10device_ptrIjEEEEPS5_jNS1_19radix_merge_compareILb0ELb0EjNS0_19identity_decomposerEEEEE10hipError_tT0_T1_T2_jT3_P12ihipStream_tbPNSt15iterator_traitsISK_E10value_typeEPNSQ_ISL_E10value_typeEPSM_NS1_7vsmem_tEENKUlT_SK_SL_SM_E_clIPjSE_SF_SF_EESJ_SZ_SK_SL_SM_EUlSZ_E0_NS1_11comp_targetILNS1_3genE4ELNS1_11target_archE910ELNS1_3gpuE8ELNS1_3repE0EEENS1_38merge_mergepath_config_static_selectorELNS0_4arch9wavefront6targetE1EEEvSL_,@function
_ZN7rocprim17ROCPRIM_400000_NS6detail17trampoline_kernelINS0_14default_configENS1_38merge_sort_block_merge_config_selectorIjNS0_10empty_typeEEEZZNS1_27merge_sort_block_merge_implIS3_N6thrust23THRUST_200600_302600_NS6detail15normal_iteratorINS9_10device_ptrIjEEEEPS5_jNS1_19radix_merge_compareILb0ELb0EjNS0_19identity_decomposerEEEEE10hipError_tT0_T1_T2_jT3_P12ihipStream_tbPNSt15iterator_traitsISK_E10value_typeEPNSQ_ISL_E10value_typeEPSM_NS1_7vsmem_tEENKUlT_SK_SL_SM_E_clIPjSE_SF_SF_EESJ_SZ_SK_SL_SM_EUlSZ_E0_NS1_11comp_targetILNS1_3genE4ELNS1_11target_archE910ELNS1_3gpuE8ELNS1_3repE0EEENS1_38merge_mergepath_config_static_selectorELNS0_4arch9wavefront6targetE1EEEvSL_: ; @_ZN7rocprim17ROCPRIM_400000_NS6detail17trampoline_kernelINS0_14default_configENS1_38merge_sort_block_merge_config_selectorIjNS0_10empty_typeEEEZZNS1_27merge_sort_block_merge_implIS3_N6thrust23THRUST_200600_302600_NS6detail15normal_iteratorINS9_10device_ptrIjEEEEPS5_jNS1_19radix_merge_compareILb0ELb0EjNS0_19identity_decomposerEEEEE10hipError_tT0_T1_T2_jT3_P12ihipStream_tbPNSt15iterator_traitsISK_E10value_typeEPNSQ_ISL_E10value_typeEPSM_NS1_7vsmem_tEENKUlT_SK_SL_SM_E_clIPjSE_SF_SF_EESJ_SZ_SK_SL_SM_EUlSZ_E0_NS1_11comp_targetILNS1_3genE4ELNS1_11target_archE910ELNS1_3gpuE8ELNS1_3repE0EEENS1_38merge_mergepath_config_static_selectorELNS0_4arch9wavefront6targetE1EEEvSL_
; %bb.0:
	s_load_dwordx2 s[10:11], s[4:5], 0x40
	s_load_dword s3, s[4:5], 0x30
	s_add_u32 s0, s4, 64
	s_addc_u32 s1, s5, 0
	s_waitcnt lgkmcnt(0)
	s_mul_i32 s2, s11, s8
	s_add_i32 s2, s2, s7
	s_mul_i32 s2, s2, s10
	s_add_i32 s2, s2, s6
	s_cmp_ge_u32 s2, s3
	s_cbranch_scc1 .LBB980_43
; %bb.1:
	s_load_dwordx2 s[14:15], s[4:5], 0x28
	s_load_dwordx2 s[8:9], s[4:5], 0x38
	;; [unrolled: 1-line block ×3, first 2 shown]
	s_mov_b32 s3, 0
	s_mov_b32 s23, s3
	s_waitcnt lgkmcnt(0)
	s_lshr_b32 s17, s14, 10
	s_cmp_lg_u32 s2, s17
	s_cselect_b64 s[18:19], -1, 0
	s_lshl_b64 s[12:13], s[2:3], 2
	s_add_u32 s8, s8, s12
	s_addc_u32 s9, s9, s13
	s_lshr_b32 s7, s15, 9
	s_and_b32 s7, s7, 0x7ffffe
	s_load_dwordx2 s[8:9], s[8:9], 0x0
	s_sub_i32 s7, 0, s7
	s_and_b32 s11, s2, s7
	s_lshl_b32 s12, s11, 10
	s_lshl_b32 s16, s2, 10
	;; [unrolled: 1-line block ×3, first 2 shown]
	s_sub_i32 s13, s16, s12
	s_add_i32 s11, s11, s15
	s_add_i32 s13, s11, s13
	s_waitcnt lgkmcnt(0)
	s_sub_i32 s22, s13, s8
	s_sub_i32 s13, s13, s9
	;; [unrolled: 1-line block ×3, first 2 shown]
	s_min_u32 s22, s14, s22
	s_addk_i32 s13, 0x400
	s_or_b32 s7, s2, s7
	s_min_u32 s12, s14, s11
	s_add_i32 s11, s11, s15
	s_cmp_eq_u32 s7, -1
	s_cselect_b32 s7, s11, s13
	s_cselect_b32 s9, s12, s9
	s_min_u32 s7, s7, s14
	s_sub_i32 s15, s9, s8
	s_mov_b32 s9, s3
	s_sub_i32 s7, s7, s22
	s_lshl_b64 s[8:9], s[8:9], 2
	s_add_u32 s11, s20, s8
	s_addc_u32 s12, s21, s9
	s_lshl_b64 s[8:9], s[22:23], 2
	s_add_u32 s8, s20, s8
	s_addc_u32 s9, s21, s9
	s_cmp_lt_u32 s6, s10
	v_mov_b32_e32 v15, 0
	s_cselect_b32 s3, 12, 18
	global_load_dword v1, v15, s[0:1] offset:14
	s_add_u32 s0, s0, s3
	s_addc_u32 s1, s1, 0
	global_load_ushort v2, v15, s[0:1]
	s_cmp_eq_u32 s2, s17
	s_waitcnt vmcnt(1)
	v_lshrrev_b32_e32 v3, 16, v1
	v_and_b32_e32 v1, 0xffff, v1
	v_mul_lo_u32 v1, v1, v3
	s_waitcnt vmcnt(0)
	v_mul_lo_u32 v16, v1, v2
	v_add_u32_e32 v12, v16, v0
	v_lshlrev_b32_e32 v1, 2, v0
	v_add_u32_e32 v10, v12, v16
	s_cbranch_scc1 .LBB980_3
; %bb.2:
	v_mov_b32_e32 v2, s12
	v_add_co_u32_e32 v4, vcc, s11, v1
	v_subrev_u32_e32 v14, s15, v0
	v_addc_co_u32_e32 v5, vcc, 0, v2, vcc
	v_lshlrev_b64 v[2:3], 2, v[14:15]
	v_mov_b32_e32 v6, s9
	v_add_co_u32_e32 v2, vcc, s8, v2
	v_addc_co_u32_e32 v3, vcc, v6, v3, vcc
	v_cmp_gt_u32_e32 vcc, s15, v0
	v_mov_b32_e32 v13, v15
	v_cndmask_b32_e32 v3, v3, v5, vcc
	v_cndmask_b32_e32 v2, v2, v4, vcc
	v_lshlrev_b64 v[4:5], 2, v[12:13]
	global_load_dword v2, v[2:3], off
	v_mov_b32_e32 v3, s12
	v_add_co_u32_e32 v6, vcc, s11, v4
	v_subrev_u32_e32 v14, s15, v12
	v_addc_co_u32_e32 v3, vcc, v3, v5, vcc
	v_lshlrev_b64 v[4:5], 2, v[14:15]
	v_mov_b32_e32 v7, s9
	v_add_co_u32_e32 v4, vcc, s8, v4
	v_addc_co_u32_e32 v5, vcc, v7, v5, vcc
	v_cmp_gt_u32_e32 vcc, s15, v12
	v_cndmask_b32_e32 v5, v5, v3, vcc
	v_cndmask_b32_e32 v4, v4, v6, vcc
	v_mov_b32_e32 v11, v15
	global_load_dword v3, v[4:5], off
	v_lshlrev_b64 v[4:5], 2, v[10:11]
	v_mov_b32_e32 v6, s12
	v_add_co_u32_e32 v7, vcc, s11, v4
	v_subrev_u32_e32 v14, s15, v10
	v_addc_co_u32_e32 v6, vcc, v6, v5, vcc
	v_lshlrev_b64 v[4:5], 2, v[14:15]
	v_mov_b32_e32 v8, s9
	v_add_co_u32_e32 v4, vcc, s8, v4
	v_addc_co_u32_e32 v5, vcc, v8, v5, vcc
	v_cmp_gt_u32_e32 vcc, s15, v10
	v_add_u32_e32 v14, v10, v16
	v_cndmask_b32_e32 v5, v5, v6, vcc
	v_cndmask_b32_e32 v4, v4, v7, vcc
	v_lshlrev_b64 v[6:7], 2, v[14:15]
	global_load_dword v4, v[4:5], off
	v_mov_b32_e32 v5, s12
	v_add_co_u32_e32 v8, vcc, s11, v6
	v_addc_co_u32_e32 v5, vcc, v5, v7, vcc
	v_subrev_u32_e32 v6, s15, v14
	v_mov_b32_e32 v7, v15
	v_lshlrev_b64 v[6:7], 2, v[6:7]
	v_mov_b32_e32 v9, s9
	v_add_co_u32_e32 v6, vcc, s8, v6
	v_addc_co_u32_e32 v7, vcc, v9, v7, vcc
	v_cmp_gt_u32_e32 vcc, s15, v14
	v_cndmask_b32_e32 v7, v7, v5, vcc
	v_cndmask_b32_e32 v6, v6, v8, vcc
	v_add_u32_e32 v14, v14, v16
	global_load_dword v5, v[6:7], off
	v_lshlrev_b64 v[6:7], 2, v[14:15]
	v_mov_b32_e32 v8, s12
	v_add_co_u32_e32 v9, vcc, s11, v6
	v_addc_co_u32_e32 v8, vcc, v8, v7, vcc
	v_subrev_u32_e32 v6, s15, v14
	v_mov_b32_e32 v7, v15
	v_lshlrev_b64 v[6:7], 2, v[6:7]
	v_mov_b32_e32 v11, s9
	v_add_co_u32_e32 v6, vcc, s8, v6
	v_addc_co_u32_e32 v7, vcc, v11, v7, vcc
	v_cmp_gt_u32_e32 vcc, s15, v14
	v_add_u32_e32 v14, v14, v16
	v_cndmask_b32_e32 v7, v7, v8, vcc
	v_cndmask_b32_e32 v6, v6, v9, vcc
	v_lshlrev_b64 v[8:9], 2, v[14:15]
	global_load_dword v6, v[6:7], off
	v_mov_b32_e32 v7, s12
	v_add_co_u32_e32 v11, vcc, s11, v8
	v_addc_co_u32_e32 v7, vcc, v7, v9, vcc
	v_subrev_u32_e32 v8, s15, v14
	v_mov_b32_e32 v9, v15
	v_lshlrev_b64 v[8:9], 2, v[8:9]
	v_mov_b32_e32 v13, s9
	v_add_co_u32_e32 v8, vcc, s8, v8
	v_addc_co_u32_e32 v9, vcc, v13, v9, vcc
	v_cmp_gt_u32_e32 vcc, s15, v14
	v_cndmask_b32_e32 v9, v9, v7, vcc
	v_cndmask_b32_e32 v8, v8, v11, vcc
	v_add_u32_e32 v14, v14, v16
	global_load_dword v7, v[8:9], off
	v_lshlrev_b64 v[8:9], 2, v[14:15]
	v_mov_b32_e32 v11, s12
	v_add_co_u32_e32 v13, vcc, s11, v8
	v_addc_co_u32_e32 v11, vcc, v11, v9, vcc
	v_subrev_u32_e32 v8, s15, v14
	v_mov_b32_e32 v9, v15
	v_lshlrev_b64 v[8:9], 2, v[8:9]
	v_mov_b32_e32 v17, s9
	v_add_co_u32_e32 v8, vcc, s8, v8
	v_addc_co_u32_e32 v9, vcc, v17, v9, vcc
	v_cmp_gt_u32_e32 vcc, s15, v14
	v_add_u32_e32 v14, v14, v16
	v_cndmask_b32_e32 v9, v9, v11, vcc
	v_cndmask_b32_e32 v8, v8, v13, vcc
	v_lshlrev_b64 v[18:19], 2, v[14:15]
	global_load_dword v8, v[8:9], off
	v_mov_b32_e32 v9, s12
	v_add_co_u32_e32 v11, vcc, s11, v18
	v_addc_co_u32_e32 v9, vcc, v9, v19, vcc
	v_cmp_gt_u32_e32 vcc, s15, v14
	v_subrev_u32_e32 v14, s15, v14
	v_lshlrev_b64 v[14:15], 2, v[14:15]
	v_mov_b32_e32 v13, s9
	v_add_co_u32_e64 v14, s[0:1], s8, v14
	v_addc_co_u32_e64 v13, s[0:1], v13, v15, s[0:1]
	v_cndmask_b32_e32 v15, v13, v9, vcc
	v_cndmask_b32_e32 v14, v14, v11, vcc
	global_load_dword v9, v[14:15], off
	s_add_i32 s17, s7, s15
	s_load_dwordx2 s[20:21], s[4:5], 0x10
	s_cbranch_execz .LBB980_4
	s_branch .LBB980_19
.LBB980_3:
                                        ; implicit-def: $vgpr2_vgpr3_vgpr4_vgpr5_vgpr6_vgpr7_vgpr8_vgpr9
                                        ; implicit-def: $sgpr17
	s_load_dwordx2 s[20:21], s[4:5], 0x10
.LBB980_4:
	s_add_i32 s17, s7, s15
	v_cmp_gt_u32_e32 vcc, s17, v0
                                        ; implicit-def: $vgpr2_vgpr3_vgpr4_vgpr5_vgpr6_vgpr7_vgpr8_vgpr9
	s_and_saveexec_b64 s[0:1], vcc
	s_cbranch_execnz .LBB980_44
; %bb.5:
	s_or_b64 exec, exec, s[0:1]
	v_cmp_gt_u32_e32 vcc, s17, v12
	s_and_saveexec_b64 s[2:3], vcc
	s_cbranch_execnz .LBB980_45
.LBB980_6:
	s_or_b64 exec, exec, s[2:3]
	v_cmp_gt_u32_e32 vcc, s17, v10
	s_and_saveexec_b64 s[0:1], vcc
	s_cbranch_execz .LBB980_8
.LBB980_7:
	v_mov_b32_e32 v11, 0
	v_lshlrev_b64 v[12:13], 2, v[10:11]
	s_waitcnt vmcnt(5)
	v_mov_b32_e32 v4, s12
	v_add_co_u32_e32 v14, vcc, s11, v12
	v_addc_co_u32_e32 v4, vcc, v4, v13, vcc
	v_subrev_u32_e32 v12, s15, v10
	v_mov_b32_e32 v13, v11
	v_lshlrev_b64 v[12:13], 2, v[12:13]
	v_mov_b32_e32 v11, s9
	v_add_co_u32_e32 v12, vcc, s8, v12
	v_addc_co_u32_e32 v11, vcc, v11, v13, vcc
	v_cmp_gt_u32_e32 vcc, s15, v10
	v_cndmask_b32_e32 v13, v11, v4, vcc
	v_cndmask_b32_e32 v12, v12, v14, vcc
	global_load_dword v4, v[12:13], off
.LBB980_8:
	s_or_b64 exec, exec, s[0:1]
	v_add_u32_e32 v10, v10, v16
	v_cmp_gt_u32_e32 vcc, s17, v10
	s_and_saveexec_b64 s[0:1], vcc
	s_cbranch_execz .LBB980_10
; %bb.9:
	v_mov_b32_e32 v11, 0
	v_lshlrev_b64 v[12:13], 2, v[10:11]
	s_waitcnt vmcnt(4)
	v_mov_b32_e32 v5, s12
	v_add_co_u32_e32 v14, vcc, s11, v12
	v_addc_co_u32_e32 v5, vcc, v5, v13, vcc
	v_subrev_u32_e32 v12, s15, v10
	v_mov_b32_e32 v13, v11
	v_lshlrev_b64 v[12:13], 2, v[12:13]
	v_mov_b32_e32 v11, s9
	v_add_co_u32_e32 v12, vcc, s8, v12
	v_addc_co_u32_e32 v11, vcc, v11, v13, vcc
	v_cmp_gt_u32_e32 vcc, s15, v10
	v_cndmask_b32_e32 v13, v11, v5, vcc
	v_cndmask_b32_e32 v12, v12, v14, vcc
	global_load_dword v5, v[12:13], off
.LBB980_10:
	s_or_b64 exec, exec, s[0:1]
	v_add_u32_e32 v10, v10, v16
	v_cmp_gt_u32_e32 vcc, s17, v10
	s_and_saveexec_b64 s[0:1], vcc
	s_cbranch_execz .LBB980_12
; %bb.11:
	v_mov_b32_e32 v11, 0
	v_lshlrev_b64 v[12:13], 2, v[10:11]
	s_waitcnt vmcnt(3)
	v_mov_b32_e32 v6, s12
	v_add_co_u32_e32 v14, vcc, s11, v12
	v_addc_co_u32_e32 v6, vcc, v6, v13, vcc
	v_subrev_u32_e32 v12, s15, v10
	v_mov_b32_e32 v13, v11
	v_lshlrev_b64 v[12:13], 2, v[12:13]
	v_mov_b32_e32 v11, s9
	v_add_co_u32_e32 v12, vcc, s8, v12
	v_addc_co_u32_e32 v11, vcc, v11, v13, vcc
	v_cmp_gt_u32_e32 vcc, s15, v10
	v_cndmask_b32_e32 v13, v11, v6, vcc
	v_cndmask_b32_e32 v12, v12, v14, vcc
	global_load_dword v6, v[12:13], off
.LBB980_12:
	;; [unrolled: 23-line block ×4, first 2 shown]
	s_or_b64 exec, exec, s[0:1]
	v_add_u32_e32 v10, v10, v16
	v_cmp_gt_u32_e32 vcc, s17, v10
	s_and_saveexec_b64 s[2:3], vcc
	s_cbranch_execz .LBB980_18
; %bb.17:
	v_mov_b32_e32 v11, 0
	v_lshlrev_b64 v[12:13], 2, v[10:11]
	s_waitcnt vmcnt(0)
	v_mov_b32_e32 v9, s12
	v_add_co_u32_e32 v12, vcc, s11, v12
	v_addc_co_u32_e32 v9, vcc, v9, v13, vcc
	v_cmp_gt_u32_e32 vcc, s15, v10
	v_subrev_u32_e32 v10, s15, v10
	v_lshlrev_b64 v[10:11], 2, v[10:11]
	v_mov_b32_e32 v13, s9
	v_add_co_u32_e64 v10, s[0:1], s8, v10
	v_addc_co_u32_e64 v11, s[0:1], v13, v11, s[0:1]
	v_cndmask_b32_e32 v11, v11, v9, vcc
	v_cndmask_b32_e32 v10, v10, v12, vcc
	global_load_dword v9, v[10:11], off
.LBB980_18:
	s_or_b64 exec, exec, s[2:3]
.LBB980_19:
	v_lshlrev_b32_e32 v10, 3, v0
	v_min_u32_e32 v12, s17, v10
	v_sub_u32_e64 v11, v12, s7 clamp
	v_min_u32_e32 v13, s15, v12
	v_cmp_lt_u32_e32 vcc, v11, v13
	s_waitcnt vmcnt(0)
	ds_write2st64_b32 v1, v2, v3 offset1:2
	ds_write2st64_b32 v1, v4, v5 offset0:4 offset1:6
	ds_write2st64_b32 v1, v6, v7 offset0:8 offset1:10
	;; [unrolled: 1-line block ×3, first 2 shown]
	s_waitcnt lgkmcnt(0)
	s_barrier
	s_and_saveexec_b64 s[0:1], vcc
	s_cbranch_execz .LBB980_23
; %bb.20:
	v_lshlrev_b32_e32 v14, 2, v12
	v_lshl_add_u32 v14, s15, 2, v14
	s_mov_b64 s[2:3], 0
.LBB980_21:                             ; =>This Inner Loop Header: Depth=1
	v_add_u32_e32 v15, v13, v11
	v_lshrrev_b32_e32 v15, 1, v15
	v_not_b32_e32 v16, v15
	v_lshlrev_b32_e32 v17, 2, v15
	v_lshl_add_u32 v16, v16, 2, v14
	ds_read_b32 v17, v17
	ds_read_b32 v16, v16
	v_add_u32_e32 v18, 1, v15
	s_waitcnt lgkmcnt(0)
	v_cmp_gt_u32_e32 vcc, v17, v16
	v_cndmask_b32_e32 v13, v13, v15, vcc
	v_cndmask_b32_e32 v11, v18, v11, vcc
	v_cmp_ge_u32_e32 vcc, v11, v13
	s_or_b64 s[2:3], vcc, s[2:3]
	s_andn2_b64 exec, exec, s[2:3]
	s_cbranch_execnz .LBB980_21
; %bb.22:
	s_or_b64 exec, exec, s[2:3]
.LBB980_23:
	s_or_b64 exec, exec, s[0:1]
	v_sub_u32_e32 v12, v12, v11
	v_add_u32_e32 v12, s15, v12
	v_cmp_ge_u32_e32 vcc, s15, v11
	v_cmp_ge_u32_e64 s[0:1], s17, v12
	s_or_b64 s[0:1], vcc, s[0:1]
	s_and_saveexec_b64 s[22:23], s[0:1]
	s_cbranch_execz .LBB980_29
; %bb.24:
	v_cmp_gt_u32_e32 vcc, s15, v11
                                        ; implicit-def: $vgpr2
	s_and_saveexec_b64 s[0:1], vcc
	s_cbranch_execz .LBB980_26
; %bb.25:
	v_lshlrev_b32_e32 v2, 2, v11
	ds_read_b32 v2, v2
.LBB980_26:
	s_or_b64 exec, exec, s[0:1]
	v_cmp_le_u32_e64 s[0:1], s17, v12
	v_cmp_gt_u32_e64 s[2:3], s17, v12
                                        ; implicit-def: $vgpr3
	s_and_saveexec_b64 s[4:5], s[2:3]
	s_cbranch_execz .LBB980_28
; %bb.27:
	v_lshlrev_b32_e32 v3, 2, v12
	ds_read_b32 v3, v3
.LBB980_28:
	s_or_b64 exec, exec, s[4:5]
	s_waitcnt lgkmcnt(0)
	v_cmp_le_u32_e64 s[2:3], v2, v3
	s_and_b64 s[2:3], vcc, s[2:3]
	s_or_b64 vcc, s[0:1], s[2:3]
	v_mov_b32_e32 v5, s17
	v_mov_b32_e32 v6, s15
	v_cndmask_b32_e32 v4, v12, v11, vcc
	v_cndmask_b32_e32 v7, v5, v6, vcc
	v_add_u32_e32 v4, 1, v4
	v_add_u32_e32 v7, -1, v7
	v_min_u32_e32 v7, v4, v7
	v_lshlrev_b32_e32 v7, 2, v7
	ds_read_b32 v7, v7
	v_cndmask_b32_e32 v9, v4, v12, vcc
	v_cndmask_b32_e32 v4, v11, v4, vcc
	v_cmp_gt_u32_e64 s[2:3], s15, v4
	v_cmp_le_u32_e64 s[0:1], s17, v9
	s_waitcnt lgkmcnt(0)
	v_cndmask_b32_e32 v8, v7, v3, vcc
	v_cndmask_b32_e32 v7, v2, v7, vcc
	v_cmp_le_u32_e64 s[4:5], v7, v8
	s_and_b64 s[2:3], s[2:3], s[4:5]
	s_or_b64 s[0:1], s[0:1], s[2:3]
	v_cndmask_b32_e64 v11, v9, v4, s[0:1]
	v_cndmask_b32_e64 v12, v5, v6, s[0:1]
	v_add_u32_e32 v11, 1, v11
	v_add_u32_e32 v12, -1, v12
	v_min_u32_e32 v12, v11, v12
	v_lshlrev_b32_e32 v12, 2, v12
	ds_read_b32 v12, v12
	v_cndmask_b32_e64 v4, v4, v11, s[0:1]
	v_cndmask_b32_e64 v9, v11, v9, s[0:1]
	v_cmp_gt_u32_e64 s[4:5], s15, v4
	v_cmp_le_u32_e64 s[2:3], s17, v9
	s_waitcnt lgkmcnt(0)
	v_cndmask_b32_e64 v13, v12, v8, s[0:1]
	v_cndmask_b32_e64 v12, v7, v12, s[0:1]
	v_cmp_le_u32_e64 s[6:7], v12, v13
	s_and_b64 s[4:5], s[4:5], s[6:7]
	s_or_b64 s[2:3], s[2:3], s[4:5]
	v_cndmask_b32_e64 v11, v9, v4, s[2:3]
	v_cndmask_b32_e64 v14, v5, v6, s[2:3]
	v_add_u32_e32 v11, 1, v11
	v_add_u32_e32 v14, -1, v14
	v_min_u32_e32 v14, v11, v14
	v_lshlrev_b32_e32 v14, 2, v14
	ds_read_b32 v14, v14
	v_cndmask_b32_e64 v4, v4, v11, s[2:3]
	v_cndmask_b32_e64 v9, v11, v9, s[2:3]
	v_cmp_gt_u32_e64 s[6:7], s15, v4
	v_cmp_le_u32_e64 s[4:5], s17, v9
	s_waitcnt lgkmcnt(0)
	v_cndmask_b32_e64 v15, v14, v13, s[2:3]
	v_cndmask_b32_e64 v14, v12, v14, s[2:3]
	v_cmp_le_u32_e64 s[8:9], v14, v15
	s_and_b64 s[6:7], s[6:7], s[8:9]
	s_or_b64 s[4:5], s[4:5], s[6:7]
	v_cndmask_b32_e64 v11, v9, v4, s[4:5]
	v_cndmask_b32_e64 v16, v5, v6, s[4:5]
	v_add_u32_e32 v11, 1, v11
	v_add_u32_e32 v16, -1, v16
	v_min_u32_e32 v16, v11, v16
	v_lshlrev_b32_e32 v16, 2, v16
	ds_read_b32 v16, v16
	v_cndmask_b32_e64 v4, v4, v11, s[4:5]
	v_cndmask_b32_e64 v9, v11, v9, s[4:5]
	v_cmp_gt_u32_e64 s[8:9], s15, v4
	v_cmp_le_u32_e64 s[6:7], s17, v9
	s_waitcnt lgkmcnt(0)
	v_cndmask_b32_e64 v17, v16, v15, s[4:5]
	v_cndmask_b32_e64 v16, v14, v16, s[4:5]
	v_cmp_le_u32_e64 s[10:11], v16, v17
	s_and_b64 s[8:9], s[8:9], s[10:11]
	s_or_b64 s[6:7], s[6:7], s[8:9]
	v_cndmask_b32_e64 v11, v9, v4, s[6:7]
	v_cndmask_b32_e64 v18, v5, v6, s[6:7]
	v_add_u32_e32 v11, 1, v11
	v_add_u32_e32 v18, -1, v18
	v_min_u32_e32 v18, v11, v18
	v_lshlrev_b32_e32 v18, 2, v18
	ds_read_b32 v18, v18
	v_cndmask_b32_e64 v9, v11, v9, s[6:7]
	v_cndmask_b32_e64 v11, v4, v11, s[6:7]
	v_cmp_gt_u32_e64 s[10:11], s15, v11
	v_cmp_le_u32_e64 s[8:9], s17, v9
	s_waitcnt lgkmcnt(0)
	v_cndmask_b32_e64 v19, v18, v17, s[6:7]
	v_cndmask_b32_e64 v18, v16, v18, s[6:7]
	v_cmp_le_u32_e64 s[12:13], v18, v19
	s_and_b64 s[10:11], s[10:11], s[12:13]
	s_or_b64 s[8:9], s[8:9], s[10:11]
	v_cndmask_b32_e64 v4, v9, v11, s[8:9]
	v_cndmask_b32_e64 v20, v5, v6, s[8:9]
	v_add_u32_e32 v21, 1, v4
	v_add_u32_e32 v4, -1, v20
	v_min_u32_e32 v4, v21, v4
	v_lshlrev_b32_e32 v4, 2, v4
	ds_read_b32 v20, v4
	v_cndmask_b32_e64 v4, v13, v12, s[2:3]
	v_cndmask_b32_e64 v11, v11, v21, s[8:9]
	v_cndmask_b32_e32 v2, v3, v2, vcc
	v_cndmask_b32_e64 v3, v8, v7, s[0:1]
	s_waitcnt lgkmcnt(0)
	v_cndmask_b32_e64 v12, v20, v19, s[8:9]
	v_cndmask_b32_e64 v13, v18, v20, s[8:9]
	;; [unrolled: 1-line block ×3, first 2 shown]
	v_cmp_gt_u32_e64 s[0:1], s15, v11
	v_cmp_le_u32_e64 s[2:3], v13, v12
	v_cmp_le_u32_e32 vcc, s17, v9
	s_and_b64 s[0:1], s[0:1], s[2:3]
	s_or_b64 vcc, vcc, s[0:1]
	v_cndmask_b32_e32 v7, v9, v11, vcc
	v_cndmask_b32_e32 v5, v5, v6, vcc
	v_add_u32_e32 v20, 1, v7
	v_add_u32_e32 v5, -1, v5
	v_min_u32_e32 v5, v20, v5
	v_lshlrev_b32_e32 v5, 2, v5
	ds_read_b32 v21, v5
	v_cndmask_b32_e32 v8, v12, v13, vcc
	v_cndmask_b32_e32 v11, v11, v20, vcc
	;; [unrolled: 1-line block ×3, first 2 shown]
	v_cmp_gt_u32_e64 s[0:1], s15, v11
	s_waitcnt lgkmcnt(0)
	v_cndmask_b32_e32 v12, v21, v12, vcc
	v_cndmask_b32_e32 v13, v13, v21, vcc
	v_cmp_le_u32_e64 s[2:3], v13, v12
	v_cmp_le_u32_e32 vcc, s17, v9
	s_and_b64 s[0:1], s[0:1], s[2:3]
	s_or_b64 vcc, vcc, s[0:1]
	v_cndmask_b32_e64 v5, v15, v14, s[4:5]
	v_cndmask_b32_e64 v6, v17, v16, s[6:7]
	;; [unrolled: 1-line block ×3, first 2 shown]
	v_cndmask_b32_e32 v9, v12, v13, vcc
.LBB980_29:
	s_or_b64 exec, exec, s[22:23]
	v_and_b32_e32 v11, 0x7c, v0
	v_lshl_add_u32 v10, v10, 2, v11
	s_barrier
	s_barrier
	ds_write2_b32 v10, v2, v3 offset1:1
	ds_write2_b32 v10, v4, v5 offset0:2 offset1:3
	ds_write2_b32 v10, v6, v7 offset0:4 offset1:5
	;; [unrolled: 1-line block ×3, first 2 shown]
	v_lshrrev_b32_e32 v2, 3, v0
	v_and_b32_e32 v2, 12, v2
	v_or_b32_e32 v10, 0x80, v0
	v_add_u32_e32 v11, v1, v2
	v_lshrrev_b32_e32 v2, 3, v10
	v_and_b32_e32 v2, 28, v2
	v_or_b32_e32 v9, 0x100, v0
	v_add_u32_e32 v12, v1, v2
	;; [unrolled: 4-line block ×5, first 2 shown]
	v_lshrrev_b32_e32 v2, 3, v6
	v_and_b32_e32 v2, 0x5c, v2
	v_or_b32_e32 v5, 0x300, v0
	s_mov_b32 s17, 0
	v_add_u32_e32 v16, v1, v2
	v_lshrrev_b32_e32 v2, 3, v5
	s_lshl_b64 s[0:1], s[16:17], 2
	v_and_b32_e32 v2, 0x6c, v2
	v_or_b32_e32 v4, 0x380, v0
	s_add_u32 s0, s20, s0
	v_add_u32_e32 v17, v1, v2
	v_lshrrev_b32_e32 v2, 3, v4
	s_addc_u32 s1, s21, s1
	v_and_b32_e32 v2, 0x7c, v2
	v_add_u32_e32 v18, v1, v2
	v_mov_b32_e32 v3, s1
	v_add_co_u32_e32 v2, vcc, s0, v1
	v_addc_co_u32_e32 v3, vcc, 0, v3, vcc
	s_and_b64 vcc, exec, s[18:19]
	s_waitcnt lgkmcnt(0)
	s_cbranch_vccz .LBB980_31
; %bb.30:
	s_barrier
	ds_read_b32 v19, v11
	ds_read_b32 v20, v12 offset:512
	ds_read_b32 v21, v13 offset:1024
	;; [unrolled: 1-line block ×7, first 2 shown]
	s_waitcnt lgkmcnt(7)
	global_store_dword v[2:3], v19, off
	s_waitcnt lgkmcnt(6)
	global_store_dword v[2:3], v20, off offset:512
	s_waitcnt lgkmcnt(5)
	global_store_dword v[2:3], v21, off offset:1024
	;; [unrolled: 2-line block ×6, first 2 shown]
	s_mov_b64 s[0:1], -1
	s_cbranch_execz .LBB980_32
	s_branch .LBB980_41
.LBB980_31:
	s_mov_b64 s[0:1], 0
                                        ; implicit-def: $vgpr1
.LBB980_32:
	s_barrier
	s_waitcnt lgkmcnt(0)
	ds_read_b32 v21, v12 offset:512
	ds_read_b32 v20, v13 offset:1024
	;; [unrolled: 1-line block ×7, first 2 shown]
	s_sub_i32 s2, s14, s16
	v_cmp_gt_u32_e32 vcc, s2, v0
	s_and_saveexec_b64 s[0:1], vcc
	s_cbranch_execnz .LBB980_46
; %bb.33:
	s_or_b64 exec, exec, s[0:1]
	v_cmp_gt_u32_e32 vcc, s2, v10
	s_and_saveexec_b64 s[0:1], vcc
	s_cbranch_execnz .LBB980_47
.LBB980_34:
	s_or_b64 exec, exec, s[0:1]
	v_cmp_gt_u32_e32 vcc, s2, v9
	s_and_saveexec_b64 s[0:1], vcc
	s_cbranch_execnz .LBB980_48
.LBB980_35:
	s_or_b64 exec, exec, s[0:1]
	v_cmp_gt_u32_e32 vcc, s2, v8
	s_and_saveexec_b64 s[0:1], vcc
	s_cbranch_execnz .LBB980_49
.LBB980_36:
	s_or_b64 exec, exec, s[0:1]
	v_cmp_gt_u32_e32 vcc, s2, v7
	s_and_saveexec_b64 s[0:1], vcc
	s_cbranch_execnz .LBB980_50
.LBB980_37:
	s_or_b64 exec, exec, s[0:1]
	v_cmp_gt_u32_e32 vcc, s2, v6
	s_and_saveexec_b64 s[0:1], vcc
	s_cbranch_execnz .LBB980_51
.LBB980_38:
	s_or_b64 exec, exec, s[0:1]
	v_cmp_gt_u32_e32 vcc, s2, v5
	s_and_saveexec_b64 s[0:1], vcc
	s_cbranch_execz .LBB980_40
.LBB980_39:
	s_waitcnt lgkmcnt(1)
	global_store_dword v[2:3], v12, off offset:3072
.LBB980_40:
	s_or_b64 exec, exec, s[0:1]
	v_cmp_gt_u32_e64 s[0:1], s2, v4
.LBB980_41:
	s_and_saveexec_b64 s[2:3], s[0:1]
	s_cbranch_execz .LBB980_43
; %bb.42:
	s_waitcnt lgkmcnt(0)
	global_store_dword v[2:3], v1, off offset:3584
.LBB980_43:
	s_endpgm
.LBB980_44:
	s_waitcnt vmcnt(7)
	v_mov_b32_e32 v2, s12
	s_waitcnt vmcnt(5)
	v_add_co_u32_e32 v4, vcc, s11, v1
	v_mov_b32_e32 v3, 0
	s_waitcnt vmcnt(4)
	v_addc_co_u32_e32 v5, vcc, 0, v2, vcc
	v_subrev_u32_e32 v2, s15, v0
	v_lshlrev_b64 v[2:3], 2, v[2:3]
	s_waitcnt vmcnt(3)
	v_mov_b32_e32 v6, s9
	v_add_co_u32_e32 v2, vcc, s8, v2
	v_addc_co_u32_e32 v3, vcc, v6, v3, vcc
	v_cmp_gt_u32_e32 vcc, s15, v0
	v_cndmask_b32_e32 v3, v3, v5, vcc
	v_cndmask_b32_e32 v2, v2, v4, vcc
	global_load_dword v2, v[2:3], off
	s_or_b64 exec, exec, s[0:1]
	v_cmp_gt_u32_e32 vcc, s17, v12
	s_and_saveexec_b64 s[2:3], vcc
	s_cbranch_execz .LBB980_6
.LBB980_45:
	v_mov_b32_e32 v13, 0
	v_lshlrev_b64 v[14:15], 2, v[12:13]
	s_waitcnt vmcnt(6)
	v_mov_b32_e32 v3, s12
	v_add_co_u32_e32 v11, vcc, s11, v14
	v_addc_co_u32_e32 v3, vcc, v3, v15, vcc
	v_cmp_gt_u32_e32 vcc, s15, v12
	v_subrev_u32_e32 v12, s15, v12
	v_lshlrev_b64 v[12:13], 2, v[12:13]
	v_mov_b32_e32 v14, s9
	v_add_co_u32_e64 v12, s[0:1], s8, v12
	v_addc_co_u32_e64 v13, s[0:1], v14, v13, s[0:1]
	v_cndmask_b32_e32 v13, v13, v3, vcc
	v_cndmask_b32_e32 v12, v12, v11, vcc
	global_load_dword v3, v[12:13], off
	s_or_b64 exec, exec, s[2:3]
	v_cmp_gt_u32_e32 vcc, s17, v10
	s_and_saveexec_b64 s[0:1], vcc
	s_cbranch_execnz .LBB980_7
	s_branch .LBB980_8
.LBB980_46:
	ds_read_b32 v0, v11
	s_waitcnt lgkmcnt(0)
	global_store_dword v[2:3], v0, off
	s_or_b64 exec, exec, s[0:1]
	v_cmp_gt_u32_e32 vcc, s2, v10
	s_and_saveexec_b64 s[0:1], vcc
	s_cbranch_execz .LBB980_34
.LBB980_47:
	s_waitcnt lgkmcnt(6)
	global_store_dword v[2:3], v21, off offset:512
	s_or_b64 exec, exec, s[0:1]
	v_cmp_gt_u32_e32 vcc, s2, v9
	s_and_saveexec_b64 s[0:1], vcc
	s_cbranch_execz .LBB980_35
.LBB980_48:
	s_waitcnt lgkmcnt(5)
	global_store_dword v[2:3], v20, off offset:1024
	s_or_b64 exec, exec, s[0:1]
	v_cmp_gt_u32_e32 vcc, s2, v8
	s_and_saveexec_b64 s[0:1], vcc
	s_cbranch_execz .LBB980_36
.LBB980_49:
	s_waitcnt lgkmcnt(4)
	global_store_dword v[2:3], v19, off offset:1536
	s_or_b64 exec, exec, s[0:1]
	v_cmp_gt_u32_e32 vcc, s2, v7
	s_and_saveexec_b64 s[0:1], vcc
	s_cbranch_execz .LBB980_37
.LBB980_50:
	s_waitcnt lgkmcnt(3)
	global_store_dword v[2:3], v14, off offset:2048
	s_or_b64 exec, exec, s[0:1]
	v_cmp_gt_u32_e32 vcc, s2, v6
	s_and_saveexec_b64 s[0:1], vcc
	s_cbranch_execz .LBB980_38
.LBB980_51:
	s_waitcnt lgkmcnt(2)
	global_store_dword v[2:3], v13, off offset:2560
	s_or_b64 exec, exec, s[0:1]
	v_cmp_gt_u32_e32 vcc, s2, v5
	s_and_saveexec_b64 s[0:1], vcc
	s_cbranch_execnz .LBB980_39
	s_branch .LBB980_40
	.section	.rodata,"a",@progbits
	.p2align	6, 0x0
	.amdhsa_kernel _ZN7rocprim17ROCPRIM_400000_NS6detail17trampoline_kernelINS0_14default_configENS1_38merge_sort_block_merge_config_selectorIjNS0_10empty_typeEEEZZNS1_27merge_sort_block_merge_implIS3_N6thrust23THRUST_200600_302600_NS6detail15normal_iteratorINS9_10device_ptrIjEEEEPS5_jNS1_19radix_merge_compareILb0ELb0EjNS0_19identity_decomposerEEEEE10hipError_tT0_T1_T2_jT3_P12ihipStream_tbPNSt15iterator_traitsISK_E10value_typeEPNSQ_ISL_E10value_typeEPSM_NS1_7vsmem_tEENKUlT_SK_SL_SM_E_clIPjSE_SF_SF_EESJ_SZ_SK_SL_SM_EUlSZ_E0_NS1_11comp_targetILNS1_3genE4ELNS1_11target_archE910ELNS1_3gpuE8ELNS1_3repE0EEENS1_38merge_mergepath_config_static_selectorELNS0_4arch9wavefront6targetE1EEEvSL_
		.amdhsa_group_segment_fixed_size 4224
		.amdhsa_private_segment_fixed_size 0
		.amdhsa_kernarg_size 320
		.amdhsa_user_sgpr_count 6
		.amdhsa_user_sgpr_private_segment_buffer 1
		.amdhsa_user_sgpr_dispatch_ptr 0
		.amdhsa_user_sgpr_queue_ptr 0
		.amdhsa_user_sgpr_kernarg_segment_ptr 1
		.amdhsa_user_sgpr_dispatch_id 0
		.amdhsa_user_sgpr_flat_scratch_init 0
		.amdhsa_user_sgpr_kernarg_preload_length 0
		.amdhsa_user_sgpr_kernarg_preload_offset 0
		.amdhsa_user_sgpr_private_segment_size 0
		.amdhsa_uses_dynamic_stack 0
		.amdhsa_system_sgpr_private_segment_wavefront_offset 0
		.amdhsa_system_sgpr_workgroup_id_x 1
		.amdhsa_system_sgpr_workgroup_id_y 1
		.amdhsa_system_sgpr_workgroup_id_z 1
		.amdhsa_system_sgpr_workgroup_info 0
		.amdhsa_system_vgpr_workitem_id 0
		.amdhsa_next_free_vgpr 26
		.amdhsa_next_free_sgpr 24
		.amdhsa_accum_offset 28
		.amdhsa_reserve_vcc 1
		.amdhsa_reserve_flat_scratch 0
		.amdhsa_float_round_mode_32 0
		.amdhsa_float_round_mode_16_64 0
		.amdhsa_float_denorm_mode_32 3
		.amdhsa_float_denorm_mode_16_64 3
		.amdhsa_dx10_clamp 1
		.amdhsa_ieee_mode 1
		.amdhsa_fp16_overflow 0
		.amdhsa_tg_split 0
		.amdhsa_exception_fp_ieee_invalid_op 0
		.amdhsa_exception_fp_denorm_src 0
		.amdhsa_exception_fp_ieee_div_zero 0
		.amdhsa_exception_fp_ieee_overflow 0
		.amdhsa_exception_fp_ieee_underflow 0
		.amdhsa_exception_fp_ieee_inexact 0
		.amdhsa_exception_int_div_zero 0
	.end_amdhsa_kernel
	.section	.text._ZN7rocprim17ROCPRIM_400000_NS6detail17trampoline_kernelINS0_14default_configENS1_38merge_sort_block_merge_config_selectorIjNS0_10empty_typeEEEZZNS1_27merge_sort_block_merge_implIS3_N6thrust23THRUST_200600_302600_NS6detail15normal_iteratorINS9_10device_ptrIjEEEEPS5_jNS1_19radix_merge_compareILb0ELb0EjNS0_19identity_decomposerEEEEE10hipError_tT0_T1_T2_jT3_P12ihipStream_tbPNSt15iterator_traitsISK_E10value_typeEPNSQ_ISL_E10value_typeEPSM_NS1_7vsmem_tEENKUlT_SK_SL_SM_E_clIPjSE_SF_SF_EESJ_SZ_SK_SL_SM_EUlSZ_E0_NS1_11comp_targetILNS1_3genE4ELNS1_11target_archE910ELNS1_3gpuE8ELNS1_3repE0EEENS1_38merge_mergepath_config_static_selectorELNS0_4arch9wavefront6targetE1EEEvSL_,"axG",@progbits,_ZN7rocprim17ROCPRIM_400000_NS6detail17trampoline_kernelINS0_14default_configENS1_38merge_sort_block_merge_config_selectorIjNS0_10empty_typeEEEZZNS1_27merge_sort_block_merge_implIS3_N6thrust23THRUST_200600_302600_NS6detail15normal_iteratorINS9_10device_ptrIjEEEEPS5_jNS1_19radix_merge_compareILb0ELb0EjNS0_19identity_decomposerEEEEE10hipError_tT0_T1_T2_jT3_P12ihipStream_tbPNSt15iterator_traitsISK_E10value_typeEPNSQ_ISL_E10value_typeEPSM_NS1_7vsmem_tEENKUlT_SK_SL_SM_E_clIPjSE_SF_SF_EESJ_SZ_SK_SL_SM_EUlSZ_E0_NS1_11comp_targetILNS1_3genE4ELNS1_11target_archE910ELNS1_3gpuE8ELNS1_3repE0EEENS1_38merge_mergepath_config_static_selectorELNS0_4arch9wavefront6targetE1EEEvSL_,comdat
.Lfunc_end980:
	.size	_ZN7rocprim17ROCPRIM_400000_NS6detail17trampoline_kernelINS0_14default_configENS1_38merge_sort_block_merge_config_selectorIjNS0_10empty_typeEEEZZNS1_27merge_sort_block_merge_implIS3_N6thrust23THRUST_200600_302600_NS6detail15normal_iteratorINS9_10device_ptrIjEEEEPS5_jNS1_19radix_merge_compareILb0ELb0EjNS0_19identity_decomposerEEEEE10hipError_tT0_T1_T2_jT3_P12ihipStream_tbPNSt15iterator_traitsISK_E10value_typeEPNSQ_ISL_E10value_typeEPSM_NS1_7vsmem_tEENKUlT_SK_SL_SM_E_clIPjSE_SF_SF_EESJ_SZ_SK_SL_SM_EUlSZ_E0_NS1_11comp_targetILNS1_3genE4ELNS1_11target_archE910ELNS1_3gpuE8ELNS1_3repE0EEENS1_38merge_mergepath_config_static_selectorELNS0_4arch9wavefront6targetE1EEEvSL_, .Lfunc_end980-_ZN7rocprim17ROCPRIM_400000_NS6detail17trampoline_kernelINS0_14default_configENS1_38merge_sort_block_merge_config_selectorIjNS0_10empty_typeEEEZZNS1_27merge_sort_block_merge_implIS3_N6thrust23THRUST_200600_302600_NS6detail15normal_iteratorINS9_10device_ptrIjEEEEPS5_jNS1_19radix_merge_compareILb0ELb0EjNS0_19identity_decomposerEEEEE10hipError_tT0_T1_T2_jT3_P12ihipStream_tbPNSt15iterator_traitsISK_E10value_typeEPNSQ_ISL_E10value_typeEPSM_NS1_7vsmem_tEENKUlT_SK_SL_SM_E_clIPjSE_SF_SF_EESJ_SZ_SK_SL_SM_EUlSZ_E0_NS1_11comp_targetILNS1_3genE4ELNS1_11target_archE910ELNS1_3gpuE8ELNS1_3repE0EEENS1_38merge_mergepath_config_static_selectorELNS0_4arch9wavefront6targetE1EEEvSL_
                                        ; -- End function
	.section	.AMDGPU.csdata,"",@progbits
; Kernel info:
; codeLenInByte = 3628
; NumSgprs: 28
; NumVgprs: 26
; NumAgprs: 0
; TotalNumVgprs: 26
; ScratchSize: 0
; MemoryBound: 0
; FloatMode: 240
; IeeeMode: 1
; LDSByteSize: 4224 bytes/workgroup (compile time only)
; SGPRBlocks: 3
; VGPRBlocks: 3
; NumSGPRsForWavesPerEU: 28
; NumVGPRsForWavesPerEU: 26
; AccumOffset: 28
; Occupancy: 8
; WaveLimiterHint : 1
; COMPUTE_PGM_RSRC2:SCRATCH_EN: 0
; COMPUTE_PGM_RSRC2:USER_SGPR: 6
; COMPUTE_PGM_RSRC2:TRAP_HANDLER: 0
; COMPUTE_PGM_RSRC2:TGID_X_EN: 1
; COMPUTE_PGM_RSRC2:TGID_Y_EN: 1
; COMPUTE_PGM_RSRC2:TGID_Z_EN: 1
; COMPUTE_PGM_RSRC2:TIDIG_COMP_CNT: 0
; COMPUTE_PGM_RSRC3_GFX90A:ACCUM_OFFSET: 6
; COMPUTE_PGM_RSRC3_GFX90A:TG_SPLIT: 0
	.section	.text._ZN7rocprim17ROCPRIM_400000_NS6detail17trampoline_kernelINS0_14default_configENS1_38merge_sort_block_merge_config_selectorIjNS0_10empty_typeEEEZZNS1_27merge_sort_block_merge_implIS3_N6thrust23THRUST_200600_302600_NS6detail15normal_iteratorINS9_10device_ptrIjEEEEPS5_jNS1_19radix_merge_compareILb0ELb0EjNS0_19identity_decomposerEEEEE10hipError_tT0_T1_T2_jT3_P12ihipStream_tbPNSt15iterator_traitsISK_E10value_typeEPNSQ_ISL_E10value_typeEPSM_NS1_7vsmem_tEENKUlT_SK_SL_SM_E_clIPjSE_SF_SF_EESJ_SZ_SK_SL_SM_EUlSZ_E0_NS1_11comp_targetILNS1_3genE3ELNS1_11target_archE908ELNS1_3gpuE7ELNS1_3repE0EEENS1_38merge_mergepath_config_static_selectorELNS0_4arch9wavefront6targetE1EEEvSL_,"axG",@progbits,_ZN7rocprim17ROCPRIM_400000_NS6detail17trampoline_kernelINS0_14default_configENS1_38merge_sort_block_merge_config_selectorIjNS0_10empty_typeEEEZZNS1_27merge_sort_block_merge_implIS3_N6thrust23THRUST_200600_302600_NS6detail15normal_iteratorINS9_10device_ptrIjEEEEPS5_jNS1_19radix_merge_compareILb0ELb0EjNS0_19identity_decomposerEEEEE10hipError_tT0_T1_T2_jT3_P12ihipStream_tbPNSt15iterator_traitsISK_E10value_typeEPNSQ_ISL_E10value_typeEPSM_NS1_7vsmem_tEENKUlT_SK_SL_SM_E_clIPjSE_SF_SF_EESJ_SZ_SK_SL_SM_EUlSZ_E0_NS1_11comp_targetILNS1_3genE3ELNS1_11target_archE908ELNS1_3gpuE7ELNS1_3repE0EEENS1_38merge_mergepath_config_static_selectorELNS0_4arch9wavefront6targetE1EEEvSL_,comdat
	.protected	_ZN7rocprim17ROCPRIM_400000_NS6detail17trampoline_kernelINS0_14default_configENS1_38merge_sort_block_merge_config_selectorIjNS0_10empty_typeEEEZZNS1_27merge_sort_block_merge_implIS3_N6thrust23THRUST_200600_302600_NS6detail15normal_iteratorINS9_10device_ptrIjEEEEPS5_jNS1_19radix_merge_compareILb0ELb0EjNS0_19identity_decomposerEEEEE10hipError_tT0_T1_T2_jT3_P12ihipStream_tbPNSt15iterator_traitsISK_E10value_typeEPNSQ_ISL_E10value_typeEPSM_NS1_7vsmem_tEENKUlT_SK_SL_SM_E_clIPjSE_SF_SF_EESJ_SZ_SK_SL_SM_EUlSZ_E0_NS1_11comp_targetILNS1_3genE3ELNS1_11target_archE908ELNS1_3gpuE7ELNS1_3repE0EEENS1_38merge_mergepath_config_static_selectorELNS0_4arch9wavefront6targetE1EEEvSL_ ; -- Begin function _ZN7rocprim17ROCPRIM_400000_NS6detail17trampoline_kernelINS0_14default_configENS1_38merge_sort_block_merge_config_selectorIjNS0_10empty_typeEEEZZNS1_27merge_sort_block_merge_implIS3_N6thrust23THRUST_200600_302600_NS6detail15normal_iteratorINS9_10device_ptrIjEEEEPS5_jNS1_19radix_merge_compareILb0ELb0EjNS0_19identity_decomposerEEEEE10hipError_tT0_T1_T2_jT3_P12ihipStream_tbPNSt15iterator_traitsISK_E10value_typeEPNSQ_ISL_E10value_typeEPSM_NS1_7vsmem_tEENKUlT_SK_SL_SM_E_clIPjSE_SF_SF_EESJ_SZ_SK_SL_SM_EUlSZ_E0_NS1_11comp_targetILNS1_3genE3ELNS1_11target_archE908ELNS1_3gpuE7ELNS1_3repE0EEENS1_38merge_mergepath_config_static_selectorELNS0_4arch9wavefront6targetE1EEEvSL_
	.globl	_ZN7rocprim17ROCPRIM_400000_NS6detail17trampoline_kernelINS0_14default_configENS1_38merge_sort_block_merge_config_selectorIjNS0_10empty_typeEEEZZNS1_27merge_sort_block_merge_implIS3_N6thrust23THRUST_200600_302600_NS6detail15normal_iteratorINS9_10device_ptrIjEEEEPS5_jNS1_19radix_merge_compareILb0ELb0EjNS0_19identity_decomposerEEEEE10hipError_tT0_T1_T2_jT3_P12ihipStream_tbPNSt15iterator_traitsISK_E10value_typeEPNSQ_ISL_E10value_typeEPSM_NS1_7vsmem_tEENKUlT_SK_SL_SM_E_clIPjSE_SF_SF_EESJ_SZ_SK_SL_SM_EUlSZ_E0_NS1_11comp_targetILNS1_3genE3ELNS1_11target_archE908ELNS1_3gpuE7ELNS1_3repE0EEENS1_38merge_mergepath_config_static_selectorELNS0_4arch9wavefront6targetE1EEEvSL_
	.p2align	8
	.type	_ZN7rocprim17ROCPRIM_400000_NS6detail17trampoline_kernelINS0_14default_configENS1_38merge_sort_block_merge_config_selectorIjNS0_10empty_typeEEEZZNS1_27merge_sort_block_merge_implIS3_N6thrust23THRUST_200600_302600_NS6detail15normal_iteratorINS9_10device_ptrIjEEEEPS5_jNS1_19radix_merge_compareILb0ELb0EjNS0_19identity_decomposerEEEEE10hipError_tT0_T1_T2_jT3_P12ihipStream_tbPNSt15iterator_traitsISK_E10value_typeEPNSQ_ISL_E10value_typeEPSM_NS1_7vsmem_tEENKUlT_SK_SL_SM_E_clIPjSE_SF_SF_EESJ_SZ_SK_SL_SM_EUlSZ_E0_NS1_11comp_targetILNS1_3genE3ELNS1_11target_archE908ELNS1_3gpuE7ELNS1_3repE0EEENS1_38merge_mergepath_config_static_selectorELNS0_4arch9wavefront6targetE1EEEvSL_,@function
_ZN7rocprim17ROCPRIM_400000_NS6detail17trampoline_kernelINS0_14default_configENS1_38merge_sort_block_merge_config_selectorIjNS0_10empty_typeEEEZZNS1_27merge_sort_block_merge_implIS3_N6thrust23THRUST_200600_302600_NS6detail15normal_iteratorINS9_10device_ptrIjEEEEPS5_jNS1_19radix_merge_compareILb0ELb0EjNS0_19identity_decomposerEEEEE10hipError_tT0_T1_T2_jT3_P12ihipStream_tbPNSt15iterator_traitsISK_E10value_typeEPNSQ_ISL_E10value_typeEPSM_NS1_7vsmem_tEENKUlT_SK_SL_SM_E_clIPjSE_SF_SF_EESJ_SZ_SK_SL_SM_EUlSZ_E0_NS1_11comp_targetILNS1_3genE3ELNS1_11target_archE908ELNS1_3gpuE7ELNS1_3repE0EEENS1_38merge_mergepath_config_static_selectorELNS0_4arch9wavefront6targetE1EEEvSL_: ; @_ZN7rocprim17ROCPRIM_400000_NS6detail17trampoline_kernelINS0_14default_configENS1_38merge_sort_block_merge_config_selectorIjNS0_10empty_typeEEEZZNS1_27merge_sort_block_merge_implIS3_N6thrust23THRUST_200600_302600_NS6detail15normal_iteratorINS9_10device_ptrIjEEEEPS5_jNS1_19radix_merge_compareILb0ELb0EjNS0_19identity_decomposerEEEEE10hipError_tT0_T1_T2_jT3_P12ihipStream_tbPNSt15iterator_traitsISK_E10value_typeEPNSQ_ISL_E10value_typeEPSM_NS1_7vsmem_tEENKUlT_SK_SL_SM_E_clIPjSE_SF_SF_EESJ_SZ_SK_SL_SM_EUlSZ_E0_NS1_11comp_targetILNS1_3genE3ELNS1_11target_archE908ELNS1_3gpuE7ELNS1_3repE0EEENS1_38merge_mergepath_config_static_selectorELNS0_4arch9wavefront6targetE1EEEvSL_
; %bb.0:
	.section	.rodata,"a",@progbits
	.p2align	6, 0x0
	.amdhsa_kernel _ZN7rocprim17ROCPRIM_400000_NS6detail17trampoline_kernelINS0_14default_configENS1_38merge_sort_block_merge_config_selectorIjNS0_10empty_typeEEEZZNS1_27merge_sort_block_merge_implIS3_N6thrust23THRUST_200600_302600_NS6detail15normal_iteratorINS9_10device_ptrIjEEEEPS5_jNS1_19radix_merge_compareILb0ELb0EjNS0_19identity_decomposerEEEEE10hipError_tT0_T1_T2_jT3_P12ihipStream_tbPNSt15iterator_traitsISK_E10value_typeEPNSQ_ISL_E10value_typeEPSM_NS1_7vsmem_tEENKUlT_SK_SL_SM_E_clIPjSE_SF_SF_EESJ_SZ_SK_SL_SM_EUlSZ_E0_NS1_11comp_targetILNS1_3genE3ELNS1_11target_archE908ELNS1_3gpuE7ELNS1_3repE0EEENS1_38merge_mergepath_config_static_selectorELNS0_4arch9wavefront6targetE1EEEvSL_
		.amdhsa_group_segment_fixed_size 0
		.amdhsa_private_segment_fixed_size 0
		.amdhsa_kernarg_size 64
		.amdhsa_user_sgpr_count 6
		.amdhsa_user_sgpr_private_segment_buffer 1
		.amdhsa_user_sgpr_dispatch_ptr 0
		.amdhsa_user_sgpr_queue_ptr 0
		.amdhsa_user_sgpr_kernarg_segment_ptr 1
		.amdhsa_user_sgpr_dispatch_id 0
		.amdhsa_user_sgpr_flat_scratch_init 0
		.amdhsa_user_sgpr_kernarg_preload_length 0
		.amdhsa_user_sgpr_kernarg_preload_offset 0
		.amdhsa_user_sgpr_private_segment_size 0
		.amdhsa_uses_dynamic_stack 0
		.amdhsa_system_sgpr_private_segment_wavefront_offset 0
		.amdhsa_system_sgpr_workgroup_id_x 1
		.amdhsa_system_sgpr_workgroup_id_y 0
		.amdhsa_system_sgpr_workgroup_id_z 0
		.amdhsa_system_sgpr_workgroup_info 0
		.amdhsa_system_vgpr_workitem_id 0
		.amdhsa_next_free_vgpr 1
		.amdhsa_next_free_sgpr 0
		.amdhsa_accum_offset 4
		.amdhsa_reserve_vcc 0
		.amdhsa_reserve_flat_scratch 0
		.amdhsa_float_round_mode_32 0
		.amdhsa_float_round_mode_16_64 0
		.amdhsa_float_denorm_mode_32 3
		.amdhsa_float_denorm_mode_16_64 3
		.amdhsa_dx10_clamp 1
		.amdhsa_ieee_mode 1
		.amdhsa_fp16_overflow 0
		.amdhsa_tg_split 0
		.amdhsa_exception_fp_ieee_invalid_op 0
		.amdhsa_exception_fp_denorm_src 0
		.amdhsa_exception_fp_ieee_div_zero 0
		.amdhsa_exception_fp_ieee_overflow 0
		.amdhsa_exception_fp_ieee_underflow 0
		.amdhsa_exception_fp_ieee_inexact 0
		.amdhsa_exception_int_div_zero 0
	.end_amdhsa_kernel
	.section	.text._ZN7rocprim17ROCPRIM_400000_NS6detail17trampoline_kernelINS0_14default_configENS1_38merge_sort_block_merge_config_selectorIjNS0_10empty_typeEEEZZNS1_27merge_sort_block_merge_implIS3_N6thrust23THRUST_200600_302600_NS6detail15normal_iteratorINS9_10device_ptrIjEEEEPS5_jNS1_19radix_merge_compareILb0ELb0EjNS0_19identity_decomposerEEEEE10hipError_tT0_T1_T2_jT3_P12ihipStream_tbPNSt15iterator_traitsISK_E10value_typeEPNSQ_ISL_E10value_typeEPSM_NS1_7vsmem_tEENKUlT_SK_SL_SM_E_clIPjSE_SF_SF_EESJ_SZ_SK_SL_SM_EUlSZ_E0_NS1_11comp_targetILNS1_3genE3ELNS1_11target_archE908ELNS1_3gpuE7ELNS1_3repE0EEENS1_38merge_mergepath_config_static_selectorELNS0_4arch9wavefront6targetE1EEEvSL_,"axG",@progbits,_ZN7rocprim17ROCPRIM_400000_NS6detail17trampoline_kernelINS0_14default_configENS1_38merge_sort_block_merge_config_selectorIjNS0_10empty_typeEEEZZNS1_27merge_sort_block_merge_implIS3_N6thrust23THRUST_200600_302600_NS6detail15normal_iteratorINS9_10device_ptrIjEEEEPS5_jNS1_19radix_merge_compareILb0ELb0EjNS0_19identity_decomposerEEEEE10hipError_tT0_T1_T2_jT3_P12ihipStream_tbPNSt15iterator_traitsISK_E10value_typeEPNSQ_ISL_E10value_typeEPSM_NS1_7vsmem_tEENKUlT_SK_SL_SM_E_clIPjSE_SF_SF_EESJ_SZ_SK_SL_SM_EUlSZ_E0_NS1_11comp_targetILNS1_3genE3ELNS1_11target_archE908ELNS1_3gpuE7ELNS1_3repE0EEENS1_38merge_mergepath_config_static_selectorELNS0_4arch9wavefront6targetE1EEEvSL_,comdat
.Lfunc_end981:
	.size	_ZN7rocprim17ROCPRIM_400000_NS6detail17trampoline_kernelINS0_14default_configENS1_38merge_sort_block_merge_config_selectorIjNS0_10empty_typeEEEZZNS1_27merge_sort_block_merge_implIS3_N6thrust23THRUST_200600_302600_NS6detail15normal_iteratorINS9_10device_ptrIjEEEEPS5_jNS1_19radix_merge_compareILb0ELb0EjNS0_19identity_decomposerEEEEE10hipError_tT0_T1_T2_jT3_P12ihipStream_tbPNSt15iterator_traitsISK_E10value_typeEPNSQ_ISL_E10value_typeEPSM_NS1_7vsmem_tEENKUlT_SK_SL_SM_E_clIPjSE_SF_SF_EESJ_SZ_SK_SL_SM_EUlSZ_E0_NS1_11comp_targetILNS1_3genE3ELNS1_11target_archE908ELNS1_3gpuE7ELNS1_3repE0EEENS1_38merge_mergepath_config_static_selectorELNS0_4arch9wavefront6targetE1EEEvSL_, .Lfunc_end981-_ZN7rocprim17ROCPRIM_400000_NS6detail17trampoline_kernelINS0_14default_configENS1_38merge_sort_block_merge_config_selectorIjNS0_10empty_typeEEEZZNS1_27merge_sort_block_merge_implIS3_N6thrust23THRUST_200600_302600_NS6detail15normal_iteratorINS9_10device_ptrIjEEEEPS5_jNS1_19radix_merge_compareILb0ELb0EjNS0_19identity_decomposerEEEEE10hipError_tT0_T1_T2_jT3_P12ihipStream_tbPNSt15iterator_traitsISK_E10value_typeEPNSQ_ISL_E10value_typeEPSM_NS1_7vsmem_tEENKUlT_SK_SL_SM_E_clIPjSE_SF_SF_EESJ_SZ_SK_SL_SM_EUlSZ_E0_NS1_11comp_targetILNS1_3genE3ELNS1_11target_archE908ELNS1_3gpuE7ELNS1_3repE0EEENS1_38merge_mergepath_config_static_selectorELNS0_4arch9wavefront6targetE1EEEvSL_
                                        ; -- End function
	.section	.AMDGPU.csdata,"",@progbits
; Kernel info:
; codeLenInByte = 0
; NumSgprs: 4
; NumVgprs: 0
; NumAgprs: 0
; TotalNumVgprs: 0
; ScratchSize: 0
; MemoryBound: 0
; FloatMode: 240
; IeeeMode: 1
; LDSByteSize: 0 bytes/workgroup (compile time only)
; SGPRBlocks: 0
; VGPRBlocks: 0
; NumSGPRsForWavesPerEU: 4
; NumVGPRsForWavesPerEU: 1
; AccumOffset: 4
; Occupancy: 8
; WaveLimiterHint : 0
; COMPUTE_PGM_RSRC2:SCRATCH_EN: 0
; COMPUTE_PGM_RSRC2:USER_SGPR: 6
; COMPUTE_PGM_RSRC2:TRAP_HANDLER: 0
; COMPUTE_PGM_RSRC2:TGID_X_EN: 1
; COMPUTE_PGM_RSRC2:TGID_Y_EN: 0
; COMPUTE_PGM_RSRC2:TGID_Z_EN: 0
; COMPUTE_PGM_RSRC2:TIDIG_COMP_CNT: 0
; COMPUTE_PGM_RSRC3_GFX90A:ACCUM_OFFSET: 0
; COMPUTE_PGM_RSRC3_GFX90A:TG_SPLIT: 0
	.section	.text._ZN7rocprim17ROCPRIM_400000_NS6detail17trampoline_kernelINS0_14default_configENS1_38merge_sort_block_merge_config_selectorIjNS0_10empty_typeEEEZZNS1_27merge_sort_block_merge_implIS3_N6thrust23THRUST_200600_302600_NS6detail15normal_iteratorINS9_10device_ptrIjEEEEPS5_jNS1_19radix_merge_compareILb0ELb0EjNS0_19identity_decomposerEEEEE10hipError_tT0_T1_T2_jT3_P12ihipStream_tbPNSt15iterator_traitsISK_E10value_typeEPNSQ_ISL_E10value_typeEPSM_NS1_7vsmem_tEENKUlT_SK_SL_SM_E_clIPjSE_SF_SF_EESJ_SZ_SK_SL_SM_EUlSZ_E0_NS1_11comp_targetILNS1_3genE2ELNS1_11target_archE906ELNS1_3gpuE6ELNS1_3repE0EEENS1_38merge_mergepath_config_static_selectorELNS0_4arch9wavefront6targetE1EEEvSL_,"axG",@progbits,_ZN7rocprim17ROCPRIM_400000_NS6detail17trampoline_kernelINS0_14default_configENS1_38merge_sort_block_merge_config_selectorIjNS0_10empty_typeEEEZZNS1_27merge_sort_block_merge_implIS3_N6thrust23THRUST_200600_302600_NS6detail15normal_iteratorINS9_10device_ptrIjEEEEPS5_jNS1_19radix_merge_compareILb0ELb0EjNS0_19identity_decomposerEEEEE10hipError_tT0_T1_T2_jT3_P12ihipStream_tbPNSt15iterator_traitsISK_E10value_typeEPNSQ_ISL_E10value_typeEPSM_NS1_7vsmem_tEENKUlT_SK_SL_SM_E_clIPjSE_SF_SF_EESJ_SZ_SK_SL_SM_EUlSZ_E0_NS1_11comp_targetILNS1_3genE2ELNS1_11target_archE906ELNS1_3gpuE6ELNS1_3repE0EEENS1_38merge_mergepath_config_static_selectorELNS0_4arch9wavefront6targetE1EEEvSL_,comdat
	.protected	_ZN7rocprim17ROCPRIM_400000_NS6detail17trampoline_kernelINS0_14default_configENS1_38merge_sort_block_merge_config_selectorIjNS0_10empty_typeEEEZZNS1_27merge_sort_block_merge_implIS3_N6thrust23THRUST_200600_302600_NS6detail15normal_iteratorINS9_10device_ptrIjEEEEPS5_jNS1_19radix_merge_compareILb0ELb0EjNS0_19identity_decomposerEEEEE10hipError_tT0_T1_T2_jT3_P12ihipStream_tbPNSt15iterator_traitsISK_E10value_typeEPNSQ_ISL_E10value_typeEPSM_NS1_7vsmem_tEENKUlT_SK_SL_SM_E_clIPjSE_SF_SF_EESJ_SZ_SK_SL_SM_EUlSZ_E0_NS1_11comp_targetILNS1_3genE2ELNS1_11target_archE906ELNS1_3gpuE6ELNS1_3repE0EEENS1_38merge_mergepath_config_static_selectorELNS0_4arch9wavefront6targetE1EEEvSL_ ; -- Begin function _ZN7rocprim17ROCPRIM_400000_NS6detail17trampoline_kernelINS0_14default_configENS1_38merge_sort_block_merge_config_selectorIjNS0_10empty_typeEEEZZNS1_27merge_sort_block_merge_implIS3_N6thrust23THRUST_200600_302600_NS6detail15normal_iteratorINS9_10device_ptrIjEEEEPS5_jNS1_19radix_merge_compareILb0ELb0EjNS0_19identity_decomposerEEEEE10hipError_tT0_T1_T2_jT3_P12ihipStream_tbPNSt15iterator_traitsISK_E10value_typeEPNSQ_ISL_E10value_typeEPSM_NS1_7vsmem_tEENKUlT_SK_SL_SM_E_clIPjSE_SF_SF_EESJ_SZ_SK_SL_SM_EUlSZ_E0_NS1_11comp_targetILNS1_3genE2ELNS1_11target_archE906ELNS1_3gpuE6ELNS1_3repE0EEENS1_38merge_mergepath_config_static_selectorELNS0_4arch9wavefront6targetE1EEEvSL_
	.globl	_ZN7rocprim17ROCPRIM_400000_NS6detail17trampoline_kernelINS0_14default_configENS1_38merge_sort_block_merge_config_selectorIjNS0_10empty_typeEEEZZNS1_27merge_sort_block_merge_implIS3_N6thrust23THRUST_200600_302600_NS6detail15normal_iteratorINS9_10device_ptrIjEEEEPS5_jNS1_19radix_merge_compareILb0ELb0EjNS0_19identity_decomposerEEEEE10hipError_tT0_T1_T2_jT3_P12ihipStream_tbPNSt15iterator_traitsISK_E10value_typeEPNSQ_ISL_E10value_typeEPSM_NS1_7vsmem_tEENKUlT_SK_SL_SM_E_clIPjSE_SF_SF_EESJ_SZ_SK_SL_SM_EUlSZ_E0_NS1_11comp_targetILNS1_3genE2ELNS1_11target_archE906ELNS1_3gpuE6ELNS1_3repE0EEENS1_38merge_mergepath_config_static_selectorELNS0_4arch9wavefront6targetE1EEEvSL_
	.p2align	8
	.type	_ZN7rocprim17ROCPRIM_400000_NS6detail17trampoline_kernelINS0_14default_configENS1_38merge_sort_block_merge_config_selectorIjNS0_10empty_typeEEEZZNS1_27merge_sort_block_merge_implIS3_N6thrust23THRUST_200600_302600_NS6detail15normal_iteratorINS9_10device_ptrIjEEEEPS5_jNS1_19radix_merge_compareILb0ELb0EjNS0_19identity_decomposerEEEEE10hipError_tT0_T1_T2_jT3_P12ihipStream_tbPNSt15iterator_traitsISK_E10value_typeEPNSQ_ISL_E10value_typeEPSM_NS1_7vsmem_tEENKUlT_SK_SL_SM_E_clIPjSE_SF_SF_EESJ_SZ_SK_SL_SM_EUlSZ_E0_NS1_11comp_targetILNS1_3genE2ELNS1_11target_archE906ELNS1_3gpuE6ELNS1_3repE0EEENS1_38merge_mergepath_config_static_selectorELNS0_4arch9wavefront6targetE1EEEvSL_,@function
_ZN7rocprim17ROCPRIM_400000_NS6detail17trampoline_kernelINS0_14default_configENS1_38merge_sort_block_merge_config_selectorIjNS0_10empty_typeEEEZZNS1_27merge_sort_block_merge_implIS3_N6thrust23THRUST_200600_302600_NS6detail15normal_iteratorINS9_10device_ptrIjEEEEPS5_jNS1_19radix_merge_compareILb0ELb0EjNS0_19identity_decomposerEEEEE10hipError_tT0_T1_T2_jT3_P12ihipStream_tbPNSt15iterator_traitsISK_E10value_typeEPNSQ_ISL_E10value_typeEPSM_NS1_7vsmem_tEENKUlT_SK_SL_SM_E_clIPjSE_SF_SF_EESJ_SZ_SK_SL_SM_EUlSZ_E0_NS1_11comp_targetILNS1_3genE2ELNS1_11target_archE906ELNS1_3gpuE6ELNS1_3repE0EEENS1_38merge_mergepath_config_static_selectorELNS0_4arch9wavefront6targetE1EEEvSL_: ; @_ZN7rocprim17ROCPRIM_400000_NS6detail17trampoline_kernelINS0_14default_configENS1_38merge_sort_block_merge_config_selectorIjNS0_10empty_typeEEEZZNS1_27merge_sort_block_merge_implIS3_N6thrust23THRUST_200600_302600_NS6detail15normal_iteratorINS9_10device_ptrIjEEEEPS5_jNS1_19radix_merge_compareILb0ELb0EjNS0_19identity_decomposerEEEEE10hipError_tT0_T1_T2_jT3_P12ihipStream_tbPNSt15iterator_traitsISK_E10value_typeEPNSQ_ISL_E10value_typeEPSM_NS1_7vsmem_tEENKUlT_SK_SL_SM_E_clIPjSE_SF_SF_EESJ_SZ_SK_SL_SM_EUlSZ_E0_NS1_11comp_targetILNS1_3genE2ELNS1_11target_archE906ELNS1_3gpuE6ELNS1_3repE0EEENS1_38merge_mergepath_config_static_selectorELNS0_4arch9wavefront6targetE1EEEvSL_
; %bb.0:
	.section	.rodata,"a",@progbits
	.p2align	6, 0x0
	.amdhsa_kernel _ZN7rocprim17ROCPRIM_400000_NS6detail17trampoline_kernelINS0_14default_configENS1_38merge_sort_block_merge_config_selectorIjNS0_10empty_typeEEEZZNS1_27merge_sort_block_merge_implIS3_N6thrust23THRUST_200600_302600_NS6detail15normal_iteratorINS9_10device_ptrIjEEEEPS5_jNS1_19radix_merge_compareILb0ELb0EjNS0_19identity_decomposerEEEEE10hipError_tT0_T1_T2_jT3_P12ihipStream_tbPNSt15iterator_traitsISK_E10value_typeEPNSQ_ISL_E10value_typeEPSM_NS1_7vsmem_tEENKUlT_SK_SL_SM_E_clIPjSE_SF_SF_EESJ_SZ_SK_SL_SM_EUlSZ_E0_NS1_11comp_targetILNS1_3genE2ELNS1_11target_archE906ELNS1_3gpuE6ELNS1_3repE0EEENS1_38merge_mergepath_config_static_selectorELNS0_4arch9wavefront6targetE1EEEvSL_
		.amdhsa_group_segment_fixed_size 0
		.amdhsa_private_segment_fixed_size 0
		.amdhsa_kernarg_size 64
		.amdhsa_user_sgpr_count 6
		.amdhsa_user_sgpr_private_segment_buffer 1
		.amdhsa_user_sgpr_dispatch_ptr 0
		.amdhsa_user_sgpr_queue_ptr 0
		.amdhsa_user_sgpr_kernarg_segment_ptr 1
		.amdhsa_user_sgpr_dispatch_id 0
		.amdhsa_user_sgpr_flat_scratch_init 0
		.amdhsa_user_sgpr_kernarg_preload_length 0
		.amdhsa_user_sgpr_kernarg_preload_offset 0
		.amdhsa_user_sgpr_private_segment_size 0
		.amdhsa_uses_dynamic_stack 0
		.amdhsa_system_sgpr_private_segment_wavefront_offset 0
		.amdhsa_system_sgpr_workgroup_id_x 1
		.amdhsa_system_sgpr_workgroup_id_y 0
		.amdhsa_system_sgpr_workgroup_id_z 0
		.amdhsa_system_sgpr_workgroup_info 0
		.amdhsa_system_vgpr_workitem_id 0
		.amdhsa_next_free_vgpr 1
		.amdhsa_next_free_sgpr 0
		.amdhsa_accum_offset 4
		.amdhsa_reserve_vcc 0
		.amdhsa_reserve_flat_scratch 0
		.amdhsa_float_round_mode_32 0
		.amdhsa_float_round_mode_16_64 0
		.amdhsa_float_denorm_mode_32 3
		.amdhsa_float_denorm_mode_16_64 3
		.amdhsa_dx10_clamp 1
		.amdhsa_ieee_mode 1
		.amdhsa_fp16_overflow 0
		.amdhsa_tg_split 0
		.amdhsa_exception_fp_ieee_invalid_op 0
		.amdhsa_exception_fp_denorm_src 0
		.amdhsa_exception_fp_ieee_div_zero 0
		.amdhsa_exception_fp_ieee_overflow 0
		.amdhsa_exception_fp_ieee_underflow 0
		.amdhsa_exception_fp_ieee_inexact 0
		.amdhsa_exception_int_div_zero 0
	.end_amdhsa_kernel
	.section	.text._ZN7rocprim17ROCPRIM_400000_NS6detail17trampoline_kernelINS0_14default_configENS1_38merge_sort_block_merge_config_selectorIjNS0_10empty_typeEEEZZNS1_27merge_sort_block_merge_implIS3_N6thrust23THRUST_200600_302600_NS6detail15normal_iteratorINS9_10device_ptrIjEEEEPS5_jNS1_19radix_merge_compareILb0ELb0EjNS0_19identity_decomposerEEEEE10hipError_tT0_T1_T2_jT3_P12ihipStream_tbPNSt15iterator_traitsISK_E10value_typeEPNSQ_ISL_E10value_typeEPSM_NS1_7vsmem_tEENKUlT_SK_SL_SM_E_clIPjSE_SF_SF_EESJ_SZ_SK_SL_SM_EUlSZ_E0_NS1_11comp_targetILNS1_3genE2ELNS1_11target_archE906ELNS1_3gpuE6ELNS1_3repE0EEENS1_38merge_mergepath_config_static_selectorELNS0_4arch9wavefront6targetE1EEEvSL_,"axG",@progbits,_ZN7rocprim17ROCPRIM_400000_NS6detail17trampoline_kernelINS0_14default_configENS1_38merge_sort_block_merge_config_selectorIjNS0_10empty_typeEEEZZNS1_27merge_sort_block_merge_implIS3_N6thrust23THRUST_200600_302600_NS6detail15normal_iteratorINS9_10device_ptrIjEEEEPS5_jNS1_19radix_merge_compareILb0ELb0EjNS0_19identity_decomposerEEEEE10hipError_tT0_T1_T2_jT3_P12ihipStream_tbPNSt15iterator_traitsISK_E10value_typeEPNSQ_ISL_E10value_typeEPSM_NS1_7vsmem_tEENKUlT_SK_SL_SM_E_clIPjSE_SF_SF_EESJ_SZ_SK_SL_SM_EUlSZ_E0_NS1_11comp_targetILNS1_3genE2ELNS1_11target_archE906ELNS1_3gpuE6ELNS1_3repE0EEENS1_38merge_mergepath_config_static_selectorELNS0_4arch9wavefront6targetE1EEEvSL_,comdat
.Lfunc_end982:
	.size	_ZN7rocprim17ROCPRIM_400000_NS6detail17trampoline_kernelINS0_14default_configENS1_38merge_sort_block_merge_config_selectorIjNS0_10empty_typeEEEZZNS1_27merge_sort_block_merge_implIS3_N6thrust23THRUST_200600_302600_NS6detail15normal_iteratorINS9_10device_ptrIjEEEEPS5_jNS1_19radix_merge_compareILb0ELb0EjNS0_19identity_decomposerEEEEE10hipError_tT0_T1_T2_jT3_P12ihipStream_tbPNSt15iterator_traitsISK_E10value_typeEPNSQ_ISL_E10value_typeEPSM_NS1_7vsmem_tEENKUlT_SK_SL_SM_E_clIPjSE_SF_SF_EESJ_SZ_SK_SL_SM_EUlSZ_E0_NS1_11comp_targetILNS1_3genE2ELNS1_11target_archE906ELNS1_3gpuE6ELNS1_3repE0EEENS1_38merge_mergepath_config_static_selectorELNS0_4arch9wavefront6targetE1EEEvSL_, .Lfunc_end982-_ZN7rocprim17ROCPRIM_400000_NS6detail17trampoline_kernelINS0_14default_configENS1_38merge_sort_block_merge_config_selectorIjNS0_10empty_typeEEEZZNS1_27merge_sort_block_merge_implIS3_N6thrust23THRUST_200600_302600_NS6detail15normal_iteratorINS9_10device_ptrIjEEEEPS5_jNS1_19radix_merge_compareILb0ELb0EjNS0_19identity_decomposerEEEEE10hipError_tT0_T1_T2_jT3_P12ihipStream_tbPNSt15iterator_traitsISK_E10value_typeEPNSQ_ISL_E10value_typeEPSM_NS1_7vsmem_tEENKUlT_SK_SL_SM_E_clIPjSE_SF_SF_EESJ_SZ_SK_SL_SM_EUlSZ_E0_NS1_11comp_targetILNS1_3genE2ELNS1_11target_archE906ELNS1_3gpuE6ELNS1_3repE0EEENS1_38merge_mergepath_config_static_selectorELNS0_4arch9wavefront6targetE1EEEvSL_
                                        ; -- End function
	.section	.AMDGPU.csdata,"",@progbits
; Kernel info:
; codeLenInByte = 0
; NumSgprs: 4
; NumVgprs: 0
; NumAgprs: 0
; TotalNumVgprs: 0
; ScratchSize: 0
; MemoryBound: 0
; FloatMode: 240
; IeeeMode: 1
; LDSByteSize: 0 bytes/workgroup (compile time only)
; SGPRBlocks: 0
; VGPRBlocks: 0
; NumSGPRsForWavesPerEU: 4
; NumVGPRsForWavesPerEU: 1
; AccumOffset: 4
; Occupancy: 8
; WaveLimiterHint : 0
; COMPUTE_PGM_RSRC2:SCRATCH_EN: 0
; COMPUTE_PGM_RSRC2:USER_SGPR: 6
; COMPUTE_PGM_RSRC2:TRAP_HANDLER: 0
; COMPUTE_PGM_RSRC2:TGID_X_EN: 1
; COMPUTE_PGM_RSRC2:TGID_Y_EN: 0
; COMPUTE_PGM_RSRC2:TGID_Z_EN: 0
; COMPUTE_PGM_RSRC2:TIDIG_COMP_CNT: 0
; COMPUTE_PGM_RSRC3_GFX90A:ACCUM_OFFSET: 0
; COMPUTE_PGM_RSRC3_GFX90A:TG_SPLIT: 0
	.section	.text._ZN7rocprim17ROCPRIM_400000_NS6detail17trampoline_kernelINS0_14default_configENS1_38merge_sort_block_merge_config_selectorIjNS0_10empty_typeEEEZZNS1_27merge_sort_block_merge_implIS3_N6thrust23THRUST_200600_302600_NS6detail15normal_iteratorINS9_10device_ptrIjEEEEPS5_jNS1_19radix_merge_compareILb0ELb0EjNS0_19identity_decomposerEEEEE10hipError_tT0_T1_T2_jT3_P12ihipStream_tbPNSt15iterator_traitsISK_E10value_typeEPNSQ_ISL_E10value_typeEPSM_NS1_7vsmem_tEENKUlT_SK_SL_SM_E_clIPjSE_SF_SF_EESJ_SZ_SK_SL_SM_EUlSZ_E0_NS1_11comp_targetILNS1_3genE9ELNS1_11target_archE1100ELNS1_3gpuE3ELNS1_3repE0EEENS1_38merge_mergepath_config_static_selectorELNS0_4arch9wavefront6targetE1EEEvSL_,"axG",@progbits,_ZN7rocprim17ROCPRIM_400000_NS6detail17trampoline_kernelINS0_14default_configENS1_38merge_sort_block_merge_config_selectorIjNS0_10empty_typeEEEZZNS1_27merge_sort_block_merge_implIS3_N6thrust23THRUST_200600_302600_NS6detail15normal_iteratorINS9_10device_ptrIjEEEEPS5_jNS1_19radix_merge_compareILb0ELb0EjNS0_19identity_decomposerEEEEE10hipError_tT0_T1_T2_jT3_P12ihipStream_tbPNSt15iterator_traitsISK_E10value_typeEPNSQ_ISL_E10value_typeEPSM_NS1_7vsmem_tEENKUlT_SK_SL_SM_E_clIPjSE_SF_SF_EESJ_SZ_SK_SL_SM_EUlSZ_E0_NS1_11comp_targetILNS1_3genE9ELNS1_11target_archE1100ELNS1_3gpuE3ELNS1_3repE0EEENS1_38merge_mergepath_config_static_selectorELNS0_4arch9wavefront6targetE1EEEvSL_,comdat
	.protected	_ZN7rocprim17ROCPRIM_400000_NS6detail17trampoline_kernelINS0_14default_configENS1_38merge_sort_block_merge_config_selectorIjNS0_10empty_typeEEEZZNS1_27merge_sort_block_merge_implIS3_N6thrust23THRUST_200600_302600_NS6detail15normal_iteratorINS9_10device_ptrIjEEEEPS5_jNS1_19radix_merge_compareILb0ELb0EjNS0_19identity_decomposerEEEEE10hipError_tT0_T1_T2_jT3_P12ihipStream_tbPNSt15iterator_traitsISK_E10value_typeEPNSQ_ISL_E10value_typeEPSM_NS1_7vsmem_tEENKUlT_SK_SL_SM_E_clIPjSE_SF_SF_EESJ_SZ_SK_SL_SM_EUlSZ_E0_NS1_11comp_targetILNS1_3genE9ELNS1_11target_archE1100ELNS1_3gpuE3ELNS1_3repE0EEENS1_38merge_mergepath_config_static_selectorELNS0_4arch9wavefront6targetE1EEEvSL_ ; -- Begin function _ZN7rocprim17ROCPRIM_400000_NS6detail17trampoline_kernelINS0_14default_configENS1_38merge_sort_block_merge_config_selectorIjNS0_10empty_typeEEEZZNS1_27merge_sort_block_merge_implIS3_N6thrust23THRUST_200600_302600_NS6detail15normal_iteratorINS9_10device_ptrIjEEEEPS5_jNS1_19radix_merge_compareILb0ELb0EjNS0_19identity_decomposerEEEEE10hipError_tT0_T1_T2_jT3_P12ihipStream_tbPNSt15iterator_traitsISK_E10value_typeEPNSQ_ISL_E10value_typeEPSM_NS1_7vsmem_tEENKUlT_SK_SL_SM_E_clIPjSE_SF_SF_EESJ_SZ_SK_SL_SM_EUlSZ_E0_NS1_11comp_targetILNS1_3genE9ELNS1_11target_archE1100ELNS1_3gpuE3ELNS1_3repE0EEENS1_38merge_mergepath_config_static_selectorELNS0_4arch9wavefront6targetE1EEEvSL_
	.globl	_ZN7rocprim17ROCPRIM_400000_NS6detail17trampoline_kernelINS0_14default_configENS1_38merge_sort_block_merge_config_selectorIjNS0_10empty_typeEEEZZNS1_27merge_sort_block_merge_implIS3_N6thrust23THRUST_200600_302600_NS6detail15normal_iteratorINS9_10device_ptrIjEEEEPS5_jNS1_19radix_merge_compareILb0ELb0EjNS0_19identity_decomposerEEEEE10hipError_tT0_T1_T2_jT3_P12ihipStream_tbPNSt15iterator_traitsISK_E10value_typeEPNSQ_ISL_E10value_typeEPSM_NS1_7vsmem_tEENKUlT_SK_SL_SM_E_clIPjSE_SF_SF_EESJ_SZ_SK_SL_SM_EUlSZ_E0_NS1_11comp_targetILNS1_3genE9ELNS1_11target_archE1100ELNS1_3gpuE3ELNS1_3repE0EEENS1_38merge_mergepath_config_static_selectorELNS0_4arch9wavefront6targetE1EEEvSL_
	.p2align	8
	.type	_ZN7rocprim17ROCPRIM_400000_NS6detail17trampoline_kernelINS0_14default_configENS1_38merge_sort_block_merge_config_selectorIjNS0_10empty_typeEEEZZNS1_27merge_sort_block_merge_implIS3_N6thrust23THRUST_200600_302600_NS6detail15normal_iteratorINS9_10device_ptrIjEEEEPS5_jNS1_19radix_merge_compareILb0ELb0EjNS0_19identity_decomposerEEEEE10hipError_tT0_T1_T2_jT3_P12ihipStream_tbPNSt15iterator_traitsISK_E10value_typeEPNSQ_ISL_E10value_typeEPSM_NS1_7vsmem_tEENKUlT_SK_SL_SM_E_clIPjSE_SF_SF_EESJ_SZ_SK_SL_SM_EUlSZ_E0_NS1_11comp_targetILNS1_3genE9ELNS1_11target_archE1100ELNS1_3gpuE3ELNS1_3repE0EEENS1_38merge_mergepath_config_static_selectorELNS0_4arch9wavefront6targetE1EEEvSL_,@function
_ZN7rocprim17ROCPRIM_400000_NS6detail17trampoline_kernelINS0_14default_configENS1_38merge_sort_block_merge_config_selectorIjNS0_10empty_typeEEEZZNS1_27merge_sort_block_merge_implIS3_N6thrust23THRUST_200600_302600_NS6detail15normal_iteratorINS9_10device_ptrIjEEEEPS5_jNS1_19radix_merge_compareILb0ELb0EjNS0_19identity_decomposerEEEEE10hipError_tT0_T1_T2_jT3_P12ihipStream_tbPNSt15iterator_traitsISK_E10value_typeEPNSQ_ISL_E10value_typeEPSM_NS1_7vsmem_tEENKUlT_SK_SL_SM_E_clIPjSE_SF_SF_EESJ_SZ_SK_SL_SM_EUlSZ_E0_NS1_11comp_targetILNS1_3genE9ELNS1_11target_archE1100ELNS1_3gpuE3ELNS1_3repE0EEENS1_38merge_mergepath_config_static_selectorELNS0_4arch9wavefront6targetE1EEEvSL_: ; @_ZN7rocprim17ROCPRIM_400000_NS6detail17trampoline_kernelINS0_14default_configENS1_38merge_sort_block_merge_config_selectorIjNS0_10empty_typeEEEZZNS1_27merge_sort_block_merge_implIS3_N6thrust23THRUST_200600_302600_NS6detail15normal_iteratorINS9_10device_ptrIjEEEEPS5_jNS1_19radix_merge_compareILb0ELb0EjNS0_19identity_decomposerEEEEE10hipError_tT0_T1_T2_jT3_P12ihipStream_tbPNSt15iterator_traitsISK_E10value_typeEPNSQ_ISL_E10value_typeEPSM_NS1_7vsmem_tEENKUlT_SK_SL_SM_E_clIPjSE_SF_SF_EESJ_SZ_SK_SL_SM_EUlSZ_E0_NS1_11comp_targetILNS1_3genE9ELNS1_11target_archE1100ELNS1_3gpuE3ELNS1_3repE0EEENS1_38merge_mergepath_config_static_selectorELNS0_4arch9wavefront6targetE1EEEvSL_
; %bb.0:
	.section	.rodata,"a",@progbits
	.p2align	6, 0x0
	.amdhsa_kernel _ZN7rocprim17ROCPRIM_400000_NS6detail17trampoline_kernelINS0_14default_configENS1_38merge_sort_block_merge_config_selectorIjNS0_10empty_typeEEEZZNS1_27merge_sort_block_merge_implIS3_N6thrust23THRUST_200600_302600_NS6detail15normal_iteratorINS9_10device_ptrIjEEEEPS5_jNS1_19radix_merge_compareILb0ELb0EjNS0_19identity_decomposerEEEEE10hipError_tT0_T1_T2_jT3_P12ihipStream_tbPNSt15iterator_traitsISK_E10value_typeEPNSQ_ISL_E10value_typeEPSM_NS1_7vsmem_tEENKUlT_SK_SL_SM_E_clIPjSE_SF_SF_EESJ_SZ_SK_SL_SM_EUlSZ_E0_NS1_11comp_targetILNS1_3genE9ELNS1_11target_archE1100ELNS1_3gpuE3ELNS1_3repE0EEENS1_38merge_mergepath_config_static_selectorELNS0_4arch9wavefront6targetE1EEEvSL_
		.amdhsa_group_segment_fixed_size 0
		.amdhsa_private_segment_fixed_size 0
		.amdhsa_kernarg_size 64
		.amdhsa_user_sgpr_count 6
		.amdhsa_user_sgpr_private_segment_buffer 1
		.amdhsa_user_sgpr_dispatch_ptr 0
		.amdhsa_user_sgpr_queue_ptr 0
		.amdhsa_user_sgpr_kernarg_segment_ptr 1
		.amdhsa_user_sgpr_dispatch_id 0
		.amdhsa_user_sgpr_flat_scratch_init 0
		.amdhsa_user_sgpr_kernarg_preload_length 0
		.amdhsa_user_sgpr_kernarg_preload_offset 0
		.amdhsa_user_sgpr_private_segment_size 0
		.amdhsa_uses_dynamic_stack 0
		.amdhsa_system_sgpr_private_segment_wavefront_offset 0
		.amdhsa_system_sgpr_workgroup_id_x 1
		.amdhsa_system_sgpr_workgroup_id_y 0
		.amdhsa_system_sgpr_workgroup_id_z 0
		.amdhsa_system_sgpr_workgroup_info 0
		.amdhsa_system_vgpr_workitem_id 0
		.amdhsa_next_free_vgpr 1
		.amdhsa_next_free_sgpr 0
		.amdhsa_accum_offset 4
		.amdhsa_reserve_vcc 0
		.amdhsa_reserve_flat_scratch 0
		.amdhsa_float_round_mode_32 0
		.amdhsa_float_round_mode_16_64 0
		.amdhsa_float_denorm_mode_32 3
		.amdhsa_float_denorm_mode_16_64 3
		.amdhsa_dx10_clamp 1
		.amdhsa_ieee_mode 1
		.amdhsa_fp16_overflow 0
		.amdhsa_tg_split 0
		.amdhsa_exception_fp_ieee_invalid_op 0
		.amdhsa_exception_fp_denorm_src 0
		.amdhsa_exception_fp_ieee_div_zero 0
		.amdhsa_exception_fp_ieee_overflow 0
		.amdhsa_exception_fp_ieee_underflow 0
		.amdhsa_exception_fp_ieee_inexact 0
		.amdhsa_exception_int_div_zero 0
	.end_amdhsa_kernel
	.section	.text._ZN7rocprim17ROCPRIM_400000_NS6detail17trampoline_kernelINS0_14default_configENS1_38merge_sort_block_merge_config_selectorIjNS0_10empty_typeEEEZZNS1_27merge_sort_block_merge_implIS3_N6thrust23THRUST_200600_302600_NS6detail15normal_iteratorINS9_10device_ptrIjEEEEPS5_jNS1_19radix_merge_compareILb0ELb0EjNS0_19identity_decomposerEEEEE10hipError_tT0_T1_T2_jT3_P12ihipStream_tbPNSt15iterator_traitsISK_E10value_typeEPNSQ_ISL_E10value_typeEPSM_NS1_7vsmem_tEENKUlT_SK_SL_SM_E_clIPjSE_SF_SF_EESJ_SZ_SK_SL_SM_EUlSZ_E0_NS1_11comp_targetILNS1_3genE9ELNS1_11target_archE1100ELNS1_3gpuE3ELNS1_3repE0EEENS1_38merge_mergepath_config_static_selectorELNS0_4arch9wavefront6targetE1EEEvSL_,"axG",@progbits,_ZN7rocprim17ROCPRIM_400000_NS6detail17trampoline_kernelINS0_14default_configENS1_38merge_sort_block_merge_config_selectorIjNS0_10empty_typeEEEZZNS1_27merge_sort_block_merge_implIS3_N6thrust23THRUST_200600_302600_NS6detail15normal_iteratorINS9_10device_ptrIjEEEEPS5_jNS1_19radix_merge_compareILb0ELb0EjNS0_19identity_decomposerEEEEE10hipError_tT0_T1_T2_jT3_P12ihipStream_tbPNSt15iterator_traitsISK_E10value_typeEPNSQ_ISL_E10value_typeEPSM_NS1_7vsmem_tEENKUlT_SK_SL_SM_E_clIPjSE_SF_SF_EESJ_SZ_SK_SL_SM_EUlSZ_E0_NS1_11comp_targetILNS1_3genE9ELNS1_11target_archE1100ELNS1_3gpuE3ELNS1_3repE0EEENS1_38merge_mergepath_config_static_selectorELNS0_4arch9wavefront6targetE1EEEvSL_,comdat
.Lfunc_end983:
	.size	_ZN7rocprim17ROCPRIM_400000_NS6detail17trampoline_kernelINS0_14default_configENS1_38merge_sort_block_merge_config_selectorIjNS0_10empty_typeEEEZZNS1_27merge_sort_block_merge_implIS3_N6thrust23THRUST_200600_302600_NS6detail15normal_iteratorINS9_10device_ptrIjEEEEPS5_jNS1_19radix_merge_compareILb0ELb0EjNS0_19identity_decomposerEEEEE10hipError_tT0_T1_T2_jT3_P12ihipStream_tbPNSt15iterator_traitsISK_E10value_typeEPNSQ_ISL_E10value_typeEPSM_NS1_7vsmem_tEENKUlT_SK_SL_SM_E_clIPjSE_SF_SF_EESJ_SZ_SK_SL_SM_EUlSZ_E0_NS1_11comp_targetILNS1_3genE9ELNS1_11target_archE1100ELNS1_3gpuE3ELNS1_3repE0EEENS1_38merge_mergepath_config_static_selectorELNS0_4arch9wavefront6targetE1EEEvSL_, .Lfunc_end983-_ZN7rocprim17ROCPRIM_400000_NS6detail17trampoline_kernelINS0_14default_configENS1_38merge_sort_block_merge_config_selectorIjNS0_10empty_typeEEEZZNS1_27merge_sort_block_merge_implIS3_N6thrust23THRUST_200600_302600_NS6detail15normal_iteratorINS9_10device_ptrIjEEEEPS5_jNS1_19radix_merge_compareILb0ELb0EjNS0_19identity_decomposerEEEEE10hipError_tT0_T1_T2_jT3_P12ihipStream_tbPNSt15iterator_traitsISK_E10value_typeEPNSQ_ISL_E10value_typeEPSM_NS1_7vsmem_tEENKUlT_SK_SL_SM_E_clIPjSE_SF_SF_EESJ_SZ_SK_SL_SM_EUlSZ_E0_NS1_11comp_targetILNS1_3genE9ELNS1_11target_archE1100ELNS1_3gpuE3ELNS1_3repE0EEENS1_38merge_mergepath_config_static_selectorELNS0_4arch9wavefront6targetE1EEEvSL_
                                        ; -- End function
	.section	.AMDGPU.csdata,"",@progbits
; Kernel info:
; codeLenInByte = 0
; NumSgprs: 4
; NumVgprs: 0
; NumAgprs: 0
; TotalNumVgprs: 0
; ScratchSize: 0
; MemoryBound: 0
; FloatMode: 240
; IeeeMode: 1
; LDSByteSize: 0 bytes/workgroup (compile time only)
; SGPRBlocks: 0
; VGPRBlocks: 0
; NumSGPRsForWavesPerEU: 4
; NumVGPRsForWavesPerEU: 1
; AccumOffset: 4
; Occupancy: 8
; WaveLimiterHint : 0
; COMPUTE_PGM_RSRC2:SCRATCH_EN: 0
; COMPUTE_PGM_RSRC2:USER_SGPR: 6
; COMPUTE_PGM_RSRC2:TRAP_HANDLER: 0
; COMPUTE_PGM_RSRC2:TGID_X_EN: 1
; COMPUTE_PGM_RSRC2:TGID_Y_EN: 0
; COMPUTE_PGM_RSRC2:TGID_Z_EN: 0
; COMPUTE_PGM_RSRC2:TIDIG_COMP_CNT: 0
; COMPUTE_PGM_RSRC3_GFX90A:ACCUM_OFFSET: 0
; COMPUTE_PGM_RSRC3_GFX90A:TG_SPLIT: 0
	.section	.text._ZN7rocprim17ROCPRIM_400000_NS6detail17trampoline_kernelINS0_14default_configENS1_38merge_sort_block_merge_config_selectorIjNS0_10empty_typeEEEZZNS1_27merge_sort_block_merge_implIS3_N6thrust23THRUST_200600_302600_NS6detail15normal_iteratorINS9_10device_ptrIjEEEEPS5_jNS1_19radix_merge_compareILb0ELb0EjNS0_19identity_decomposerEEEEE10hipError_tT0_T1_T2_jT3_P12ihipStream_tbPNSt15iterator_traitsISK_E10value_typeEPNSQ_ISL_E10value_typeEPSM_NS1_7vsmem_tEENKUlT_SK_SL_SM_E_clIPjSE_SF_SF_EESJ_SZ_SK_SL_SM_EUlSZ_E0_NS1_11comp_targetILNS1_3genE8ELNS1_11target_archE1030ELNS1_3gpuE2ELNS1_3repE0EEENS1_38merge_mergepath_config_static_selectorELNS0_4arch9wavefront6targetE1EEEvSL_,"axG",@progbits,_ZN7rocprim17ROCPRIM_400000_NS6detail17trampoline_kernelINS0_14default_configENS1_38merge_sort_block_merge_config_selectorIjNS0_10empty_typeEEEZZNS1_27merge_sort_block_merge_implIS3_N6thrust23THRUST_200600_302600_NS6detail15normal_iteratorINS9_10device_ptrIjEEEEPS5_jNS1_19radix_merge_compareILb0ELb0EjNS0_19identity_decomposerEEEEE10hipError_tT0_T1_T2_jT3_P12ihipStream_tbPNSt15iterator_traitsISK_E10value_typeEPNSQ_ISL_E10value_typeEPSM_NS1_7vsmem_tEENKUlT_SK_SL_SM_E_clIPjSE_SF_SF_EESJ_SZ_SK_SL_SM_EUlSZ_E0_NS1_11comp_targetILNS1_3genE8ELNS1_11target_archE1030ELNS1_3gpuE2ELNS1_3repE0EEENS1_38merge_mergepath_config_static_selectorELNS0_4arch9wavefront6targetE1EEEvSL_,comdat
	.protected	_ZN7rocprim17ROCPRIM_400000_NS6detail17trampoline_kernelINS0_14default_configENS1_38merge_sort_block_merge_config_selectorIjNS0_10empty_typeEEEZZNS1_27merge_sort_block_merge_implIS3_N6thrust23THRUST_200600_302600_NS6detail15normal_iteratorINS9_10device_ptrIjEEEEPS5_jNS1_19radix_merge_compareILb0ELb0EjNS0_19identity_decomposerEEEEE10hipError_tT0_T1_T2_jT3_P12ihipStream_tbPNSt15iterator_traitsISK_E10value_typeEPNSQ_ISL_E10value_typeEPSM_NS1_7vsmem_tEENKUlT_SK_SL_SM_E_clIPjSE_SF_SF_EESJ_SZ_SK_SL_SM_EUlSZ_E0_NS1_11comp_targetILNS1_3genE8ELNS1_11target_archE1030ELNS1_3gpuE2ELNS1_3repE0EEENS1_38merge_mergepath_config_static_selectorELNS0_4arch9wavefront6targetE1EEEvSL_ ; -- Begin function _ZN7rocprim17ROCPRIM_400000_NS6detail17trampoline_kernelINS0_14default_configENS1_38merge_sort_block_merge_config_selectorIjNS0_10empty_typeEEEZZNS1_27merge_sort_block_merge_implIS3_N6thrust23THRUST_200600_302600_NS6detail15normal_iteratorINS9_10device_ptrIjEEEEPS5_jNS1_19radix_merge_compareILb0ELb0EjNS0_19identity_decomposerEEEEE10hipError_tT0_T1_T2_jT3_P12ihipStream_tbPNSt15iterator_traitsISK_E10value_typeEPNSQ_ISL_E10value_typeEPSM_NS1_7vsmem_tEENKUlT_SK_SL_SM_E_clIPjSE_SF_SF_EESJ_SZ_SK_SL_SM_EUlSZ_E0_NS1_11comp_targetILNS1_3genE8ELNS1_11target_archE1030ELNS1_3gpuE2ELNS1_3repE0EEENS1_38merge_mergepath_config_static_selectorELNS0_4arch9wavefront6targetE1EEEvSL_
	.globl	_ZN7rocprim17ROCPRIM_400000_NS6detail17trampoline_kernelINS0_14default_configENS1_38merge_sort_block_merge_config_selectorIjNS0_10empty_typeEEEZZNS1_27merge_sort_block_merge_implIS3_N6thrust23THRUST_200600_302600_NS6detail15normal_iteratorINS9_10device_ptrIjEEEEPS5_jNS1_19radix_merge_compareILb0ELb0EjNS0_19identity_decomposerEEEEE10hipError_tT0_T1_T2_jT3_P12ihipStream_tbPNSt15iterator_traitsISK_E10value_typeEPNSQ_ISL_E10value_typeEPSM_NS1_7vsmem_tEENKUlT_SK_SL_SM_E_clIPjSE_SF_SF_EESJ_SZ_SK_SL_SM_EUlSZ_E0_NS1_11comp_targetILNS1_3genE8ELNS1_11target_archE1030ELNS1_3gpuE2ELNS1_3repE0EEENS1_38merge_mergepath_config_static_selectorELNS0_4arch9wavefront6targetE1EEEvSL_
	.p2align	8
	.type	_ZN7rocprim17ROCPRIM_400000_NS6detail17trampoline_kernelINS0_14default_configENS1_38merge_sort_block_merge_config_selectorIjNS0_10empty_typeEEEZZNS1_27merge_sort_block_merge_implIS3_N6thrust23THRUST_200600_302600_NS6detail15normal_iteratorINS9_10device_ptrIjEEEEPS5_jNS1_19radix_merge_compareILb0ELb0EjNS0_19identity_decomposerEEEEE10hipError_tT0_T1_T2_jT3_P12ihipStream_tbPNSt15iterator_traitsISK_E10value_typeEPNSQ_ISL_E10value_typeEPSM_NS1_7vsmem_tEENKUlT_SK_SL_SM_E_clIPjSE_SF_SF_EESJ_SZ_SK_SL_SM_EUlSZ_E0_NS1_11comp_targetILNS1_3genE8ELNS1_11target_archE1030ELNS1_3gpuE2ELNS1_3repE0EEENS1_38merge_mergepath_config_static_selectorELNS0_4arch9wavefront6targetE1EEEvSL_,@function
_ZN7rocprim17ROCPRIM_400000_NS6detail17trampoline_kernelINS0_14default_configENS1_38merge_sort_block_merge_config_selectorIjNS0_10empty_typeEEEZZNS1_27merge_sort_block_merge_implIS3_N6thrust23THRUST_200600_302600_NS6detail15normal_iteratorINS9_10device_ptrIjEEEEPS5_jNS1_19radix_merge_compareILb0ELb0EjNS0_19identity_decomposerEEEEE10hipError_tT0_T1_T2_jT3_P12ihipStream_tbPNSt15iterator_traitsISK_E10value_typeEPNSQ_ISL_E10value_typeEPSM_NS1_7vsmem_tEENKUlT_SK_SL_SM_E_clIPjSE_SF_SF_EESJ_SZ_SK_SL_SM_EUlSZ_E0_NS1_11comp_targetILNS1_3genE8ELNS1_11target_archE1030ELNS1_3gpuE2ELNS1_3repE0EEENS1_38merge_mergepath_config_static_selectorELNS0_4arch9wavefront6targetE1EEEvSL_: ; @_ZN7rocprim17ROCPRIM_400000_NS6detail17trampoline_kernelINS0_14default_configENS1_38merge_sort_block_merge_config_selectorIjNS0_10empty_typeEEEZZNS1_27merge_sort_block_merge_implIS3_N6thrust23THRUST_200600_302600_NS6detail15normal_iteratorINS9_10device_ptrIjEEEEPS5_jNS1_19radix_merge_compareILb0ELb0EjNS0_19identity_decomposerEEEEE10hipError_tT0_T1_T2_jT3_P12ihipStream_tbPNSt15iterator_traitsISK_E10value_typeEPNSQ_ISL_E10value_typeEPSM_NS1_7vsmem_tEENKUlT_SK_SL_SM_E_clIPjSE_SF_SF_EESJ_SZ_SK_SL_SM_EUlSZ_E0_NS1_11comp_targetILNS1_3genE8ELNS1_11target_archE1030ELNS1_3gpuE2ELNS1_3repE0EEENS1_38merge_mergepath_config_static_selectorELNS0_4arch9wavefront6targetE1EEEvSL_
; %bb.0:
	.section	.rodata,"a",@progbits
	.p2align	6, 0x0
	.amdhsa_kernel _ZN7rocprim17ROCPRIM_400000_NS6detail17trampoline_kernelINS0_14default_configENS1_38merge_sort_block_merge_config_selectorIjNS0_10empty_typeEEEZZNS1_27merge_sort_block_merge_implIS3_N6thrust23THRUST_200600_302600_NS6detail15normal_iteratorINS9_10device_ptrIjEEEEPS5_jNS1_19radix_merge_compareILb0ELb0EjNS0_19identity_decomposerEEEEE10hipError_tT0_T1_T2_jT3_P12ihipStream_tbPNSt15iterator_traitsISK_E10value_typeEPNSQ_ISL_E10value_typeEPSM_NS1_7vsmem_tEENKUlT_SK_SL_SM_E_clIPjSE_SF_SF_EESJ_SZ_SK_SL_SM_EUlSZ_E0_NS1_11comp_targetILNS1_3genE8ELNS1_11target_archE1030ELNS1_3gpuE2ELNS1_3repE0EEENS1_38merge_mergepath_config_static_selectorELNS0_4arch9wavefront6targetE1EEEvSL_
		.amdhsa_group_segment_fixed_size 0
		.amdhsa_private_segment_fixed_size 0
		.amdhsa_kernarg_size 64
		.amdhsa_user_sgpr_count 6
		.amdhsa_user_sgpr_private_segment_buffer 1
		.amdhsa_user_sgpr_dispatch_ptr 0
		.amdhsa_user_sgpr_queue_ptr 0
		.amdhsa_user_sgpr_kernarg_segment_ptr 1
		.amdhsa_user_sgpr_dispatch_id 0
		.amdhsa_user_sgpr_flat_scratch_init 0
		.amdhsa_user_sgpr_kernarg_preload_length 0
		.amdhsa_user_sgpr_kernarg_preload_offset 0
		.amdhsa_user_sgpr_private_segment_size 0
		.amdhsa_uses_dynamic_stack 0
		.amdhsa_system_sgpr_private_segment_wavefront_offset 0
		.amdhsa_system_sgpr_workgroup_id_x 1
		.amdhsa_system_sgpr_workgroup_id_y 0
		.amdhsa_system_sgpr_workgroup_id_z 0
		.amdhsa_system_sgpr_workgroup_info 0
		.amdhsa_system_vgpr_workitem_id 0
		.amdhsa_next_free_vgpr 1
		.amdhsa_next_free_sgpr 0
		.amdhsa_accum_offset 4
		.amdhsa_reserve_vcc 0
		.amdhsa_reserve_flat_scratch 0
		.amdhsa_float_round_mode_32 0
		.amdhsa_float_round_mode_16_64 0
		.amdhsa_float_denorm_mode_32 3
		.amdhsa_float_denorm_mode_16_64 3
		.amdhsa_dx10_clamp 1
		.amdhsa_ieee_mode 1
		.amdhsa_fp16_overflow 0
		.amdhsa_tg_split 0
		.amdhsa_exception_fp_ieee_invalid_op 0
		.amdhsa_exception_fp_denorm_src 0
		.amdhsa_exception_fp_ieee_div_zero 0
		.amdhsa_exception_fp_ieee_overflow 0
		.amdhsa_exception_fp_ieee_underflow 0
		.amdhsa_exception_fp_ieee_inexact 0
		.amdhsa_exception_int_div_zero 0
	.end_amdhsa_kernel
	.section	.text._ZN7rocprim17ROCPRIM_400000_NS6detail17trampoline_kernelINS0_14default_configENS1_38merge_sort_block_merge_config_selectorIjNS0_10empty_typeEEEZZNS1_27merge_sort_block_merge_implIS3_N6thrust23THRUST_200600_302600_NS6detail15normal_iteratorINS9_10device_ptrIjEEEEPS5_jNS1_19radix_merge_compareILb0ELb0EjNS0_19identity_decomposerEEEEE10hipError_tT0_T1_T2_jT3_P12ihipStream_tbPNSt15iterator_traitsISK_E10value_typeEPNSQ_ISL_E10value_typeEPSM_NS1_7vsmem_tEENKUlT_SK_SL_SM_E_clIPjSE_SF_SF_EESJ_SZ_SK_SL_SM_EUlSZ_E0_NS1_11comp_targetILNS1_3genE8ELNS1_11target_archE1030ELNS1_3gpuE2ELNS1_3repE0EEENS1_38merge_mergepath_config_static_selectorELNS0_4arch9wavefront6targetE1EEEvSL_,"axG",@progbits,_ZN7rocprim17ROCPRIM_400000_NS6detail17trampoline_kernelINS0_14default_configENS1_38merge_sort_block_merge_config_selectorIjNS0_10empty_typeEEEZZNS1_27merge_sort_block_merge_implIS3_N6thrust23THRUST_200600_302600_NS6detail15normal_iteratorINS9_10device_ptrIjEEEEPS5_jNS1_19radix_merge_compareILb0ELb0EjNS0_19identity_decomposerEEEEE10hipError_tT0_T1_T2_jT3_P12ihipStream_tbPNSt15iterator_traitsISK_E10value_typeEPNSQ_ISL_E10value_typeEPSM_NS1_7vsmem_tEENKUlT_SK_SL_SM_E_clIPjSE_SF_SF_EESJ_SZ_SK_SL_SM_EUlSZ_E0_NS1_11comp_targetILNS1_3genE8ELNS1_11target_archE1030ELNS1_3gpuE2ELNS1_3repE0EEENS1_38merge_mergepath_config_static_selectorELNS0_4arch9wavefront6targetE1EEEvSL_,comdat
.Lfunc_end984:
	.size	_ZN7rocprim17ROCPRIM_400000_NS6detail17trampoline_kernelINS0_14default_configENS1_38merge_sort_block_merge_config_selectorIjNS0_10empty_typeEEEZZNS1_27merge_sort_block_merge_implIS3_N6thrust23THRUST_200600_302600_NS6detail15normal_iteratorINS9_10device_ptrIjEEEEPS5_jNS1_19radix_merge_compareILb0ELb0EjNS0_19identity_decomposerEEEEE10hipError_tT0_T1_T2_jT3_P12ihipStream_tbPNSt15iterator_traitsISK_E10value_typeEPNSQ_ISL_E10value_typeEPSM_NS1_7vsmem_tEENKUlT_SK_SL_SM_E_clIPjSE_SF_SF_EESJ_SZ_SK_SL_SM_EUlSZ_E0_NS1_11comp_targetILNS1_3genE8ELNS1_11target_archE1030ELNS1_3gpuE2ELNS1_3repE0EEENS1_38merge_mergepath_config_static_selectorELNS0_4arch9wavefront6targetE1EEEvSL_, .Lfunc_end984-_ZN7rocprim17ROCPRIM_400000_NS6detail17trampoline_kernelINS0_14default_configENS1_38merge_sort_block_merge_config_selectorIjNS0_10empty_typeEEEZZNS1_27merge_sort_block_merge_implIS3_N6thrust23THRUST_200600_302600_NS6detail15normal_iteratorINS9_10device_ptrIjEEEEPS5_jNS1_19radix_merge_compareILb0ELb0EjNS0_19identity_decomposerEEEEE10hipError_tT0_T1_T2_jT3_P12ihipStream_tbPNSt15iterator_traitsISK_E10value_typeEPNSQ_ISL_E10value_typeEPSM_NS1_7vsmem_tEENKUlT_SK_SL_SM_E_clIPjSE_SF_SF_EESJ_SZ_SK_SL_SM_EUlSZ_E0_NS1_11comp_targetILNS1_3genE8ELNS1_11target_archE1030ELNS1_3gpuE2ELNS1_3repE0EEENS1_38merge_mergepath_config_static_selectorELNS0_4arch9wavefront6targetE1EEEvSL_
                                        ; -- End function
	.section	.AMDGPU.csdata,"",@progbits
; Kernel info:
; codeLenInByte = 0
; NumSgprs: 4
; NumVgprs: 0
; NumAgprs: 0
; TotalNumVgprs: 0
; ScratchSize: 0
; MemoryBound: 0
; FloatMode: 240
; IeeeMode: 1
; LDSByteSize: 0 bytes/workgroup (compile time only)
; SGPRBlocks: 0
; VGPRBlocks: 0
; NumSGPRsForWavesPerEU: 4
; NumVGPRsForWavesPerEU: 1
; AccumOffset: 4
; Occupancy: 8
; WaveLimiterHint : 0
; COMPUTE_PGM_RSRC2:SCRATCH_EN: 0
; COMPUTE_PGM_RSRC2:USER_SGPR: 6
; COMPUTE_PGM_RSRC2:TRAP_HANDLER: 0
; COMPUTE_PGM_RSRC2:TGID_X_EN: 1
; COMPUTE_PGM_RSRC2:TGID_Y_EN: 0
; COMPUTE_PGM_RSRC2:TGID_Z_EN: 0
; COMPUTE_PGM_RSRC2:TIDIG_COMP_CNT: 0
; COMPUTE_PGM_RSRC3_GFX90A:ACCUM_OFFSET: 0
; COMPUTE_PGM_RSRC3_GFX90A:TG_SPLIT: 0
	.section	.text._ZN7rocprim17ROCPRIM_400000_NS6detail17trampoline_kernelINS0_14default_configENS1_38merge_sort_block_merge_config_selectorIjNS0_10empty_typeEEEZZNS1_27merge_sort_block_merge_implIS3_N6thrust23THRUST_200600_302600_NS6detail15normal_iteratorINS9_10device_ptrIjEEEEPS5_jNS1_19radix_merge_compareILb0ELb0EjNS0_19identity_decomposerEEEEE10hipError_tT0_T1_T2_jT3_P12ihipStream_tbPNSt15iterator_traitsISK_E10value_typeEPNSQ_ISL_E10value_typeEPSM_NS1_7vsmem_tEENKUlT_SK_SL_SM_E_clIPjSE_SF_SF_EESJ_SZ_SK_SL_SM_EUlSZ_E1_NS1_11comp_targetILNS1_3genE0ELNS1_11target_archE4294967295ELNS1_3gpuE0ELNS1_3repE0EEENS1_36merge_oddeven_config_static_selectorELNS0_4arch9wavefront6targetE1EEEvSL_,"axG",@progbits,_ZN7rocprim17ROCPRIM_400000_NS6detail17trampoline_kernelINS0_14default_configENS1_38merge_sort_block_merge_config_selectorIjNS0_10empty_typeEEEZZNS1_27merge_sort_block_merge_implIS3_N6thrust23THRUST_200600_302600_NS6detail15normal_iteratorINS9_10device_ptrIjEEEEPS5_jNS1_19radix_merge_compareILb0ELb0EjNS0_19identity_decomposerEEEEE10hipError_tT0_T1_T2_jT3_P12ihipStream_tbPNSt15iterator_traitsISK_E10value_typeEPNSQ_ISL_E10value_typeEPSM_NS1_7vsmem_tEENKUlT_SK_SL_SM_E_clIPjSE_SF_SF_EESJ_SZ_SK_SL_SM_EUlSZ_E1_NS1_11comp_targetILNS1_3genE0ELNS1_11target_archE4294967295ELNS1_3gpuE0ELNS1_3repE0EEENS1_36merge_oddeven_config_static_selectorELNS0_4arch9wavefront6targetE1EEEvSL_,comdat
	.protected	_ZN7rocprim17ROCPRIM_400000_NS6detail17trampoline_kernelINS0_14default_configENS1_38merge_sort_block_merge_config_selectorIjNS0_10empty_typeEEEZZNS1_27merge_sort_block_merge_implIS3_N6thrust23THRUST_200600_302600_NS6detail15normal_iteratorINS9_10device_ptrIjEEEEPS5_jNS1_19radix_merge_compareILb0ELb0EjNS0_19identity_decomposerEEEEE10hipError_tT0_T1_T2_jT3_P12ihipStream_tbPNSt15iterator_traitsISK_E10value_typeEPNSQ_ISL_E10value_typeEPSM_NS1_7vsmem_tEENKUlT_SK_SL_SM_E_clIPjSE_SF_SF_EESJ_SZ_SK_SL_SM_EUlSZ_E1_NS1_11comp_targetILNS1_3genE0ELNS1_11target_archE4294967295ELNS1_3gpuE0ELNS1_3repE0EEENS1_36merge_oddeven_config_static_selectorELNS0_4arch9wavefront6targetE1EEEvSL_ ; -- Begin function _ZN7rocprim17ROCPRIM_400000_NS6detail17trampoline_kernelINS0_14default_configENS1_38merge_sort_block_merge_config_selectorIjNS0_10empty_typeEEEZZNS1_27merge_sort_block_merge_implIS3_N6thrust23THRUST_200600_302600_NS6detail15normal_iteratorINS9_10device_ptrIjEEEEPS5_jNS1_19radix_merge_compareILb0ELb0EjNS0_19identity_decomposerEEEEE10hipError_tT0_T1_T2_jT3_P12ihipStream_tbPNSt15iterator_traitsISK_E10value_typeEPNSQ_ISL_E10value_typeEPSM_NS1_7vsmem_tEENKUlT_SK_SL_SM_E_clIPjSE_SF_SF_EESJ_SZ_SK_SL_SM_EUlSZ_E1_NS1_11comp_targetILNS1_3genE0ELNS1_11target_archE4294967295ELNS1_3gpuE0ELNS1_3repE0EEENS1_36merge_oddeven_config_static_selectorELNS0_4arch9wavefront6targetE1EEEvSL_
	.globl	_ZN7rocprim17ROCPRIM_400000_NS6detail17trampoline_kernelINS0_14default_configENS1_38merge_sort_block_merge_config_selectorIjNS0_10empty_typeEEEZZNS1_27merge_sort_block_merge_implIS3_N6thrust23THRUST_200600_302600_NS6detail15normal_iteratorINS9_10device_ptrIjEEEEPS5_jNS1_19radix_merge_compareILb0ELb0EjNS0_19identity_decomposerEEEEE10hipError_tT0_T1_T2_jT3_P12ihipStream_tbPNSt15iterator_traitsISK_E10value_typeEPNSQ_ISL_E10value_typeEPSM_NS1_7vsmem_tEENKUlT_SK_SL_SM_E_clIPjSE_SF_SF_EESJ_SZ_SK_SL_SM_EUlSZ_E1_NS1_11comp_targetILNS1_3genE0ELNS1_11target_archE4294967295ELNS1_3gpuE0ELNS1_3repE0EEENS1_36merge_oddeven_config_static_selectorELNS0_4arch9wavefront6targetE1EEEvSL_
	.p2align	8
	.type	_ZN7rocprim17ROCPRIM_400000_NS6detail17trampoline_kernelINS0_14default_configENS1_38merge_sort_block_merge_config_selectorIjNS0_10empty_typeEEEZZNS1_27merge_sort_block_merge_implIS3_N6thrust23THRUST_200600_302600_NS6detail15normal_iteratorINS9_10device_ptrIjEEEEPS5_jNS1_19radix_merge_compareILb0ELb0EjNS0_19identity_decomposerEEEEE10hipError_tT0_T1_T2_jT3_P12ihipStream_tbPNSt15iterator_traitsISK_E10value_typeEPNSQ_ISL_E10value_typeEPSM_NS1_7vsmem_tEENKUlT_SK_SL_SM_E_clIPjSE_SF_SF_EESJ_SZ_SK_SL_SM_EUlSZ_E1_NS1_11comp_targetILNS1_3genE0ELNS1_11target_archE4294967295ELNS1_3gpuE0ELNS1_3repE0EEENS1_36merge_oddeven_config_static_selectorELNS0_4arch9wavefront6targetE1EEEvSL_,@function
_ZN7rocprim17ROCPRIM_400000_NS6detail17trampoline_kernelINS0_14default_configENS1_38merge_sort_block_merge_config_selectorIjNS0_10empty_typeEEEZZNS1_27merge_sort_block_merge_implIS3_N6thrust23THRUST_200600_302600_NS6detail15normal_iteratorINS9_10device_ptrIjEEEEPS5_jNS1_19radix_merge_compareILb0ELb0EjNS0_19identity_decomposerEEEEE10hipError_tT0_T1_T2_jT3_P12ihipStream_tbPNSt15iterator_traitsISK_E10value_typeEPNSQ_ISL_E10value_typeEPSM_NS1_7vsmem_tEENKUlT_SK_SL_SM_E_clIPjSE_SF_SF_EESJ_SZ_SK_SL_SM_EUlSZ_E1_NS1_11comp_targetILNS1_3genE0ELNS1_11target_archE4294967295ELNS1_3gpuE0ELNS1_3repE0EEENS1_36merge_oddeven_config_static_selectorELNS0_4arch9wavefront6targetE1EEEvSL_: ; @_ZN7rocprim17ROCPRIM_400000_NS6detail17trampoline_kernelINS0_14default_configENS1_38merge_sort_block_merge_config_selectorIjNS0_10empty_typeEEEZZNS1_27merge_sort_block_merge_implIS3_N6thrust23THRUST_200600_302600_NS6detail15normal_iteratorINS9_10device_ptrIjEEEEPS5_jNS1_19radix_merge_compareILb0ELb0EjNS0_19identity_decomposerEEEEE10hipError_tT0_T1_T2_jT3_P12ihipStream_tbPNSt15iterator_traitsISK_E10value_typeEPNSQ_ISL_E10value_typeEPSM_NS1_7vsmem_tEENKUlT_SK_SL_SM_E_clIPjSE_SF_SF_EESJ_SZ_SK_SL_SM_EUlSZ_E1_NS1_11comp_targetILNS1_3genE0ELNS1_11target_archE4294967295ELNS1_3gpuE0ELNS1_3repE0EEENS1_36merge_oddeven_config_static_selectorELNS0_4arch9wavefront6targetE1EEEvSL_
; %bb.0:
	.section	.rodata,"a",@progbits
	.p2align	6, 0x0
	.amdhsa_kernel _ZN7rocprim17ROCPRIM_400000_NS6detail17trampoline_kernelINS0_14default_configENS1_38merge_sort_block_merge_config_selectorIjNS0_10empty_typeEEEZZNS1_27merge_sort_block_merge_implIS3_N6thrust23THRUST_200600_302600_NS6detail15normal_iteratorINS9_10device_ptrIjEEEEPS5_jNS1_19radix_merge_compareILb0ELb0EjNS0_19identity_decomposerEEEEE10hipError_tT0_T1_T2_jT3_P12ihipStream_tbPNSt15iterator_traitsISK_E10value_typeEPNSQ_ISL_E10value_typeEPSM_NS1_7vsmem_tEENKUlT_SK_SL_SM_E_clIPjSE_SF_SF_EESJ_SZ_SK_SL_SM_EUlSZ_E1_NS1_11comp_targetILNS1_3genE0ELNS1_11target_archE4294967295ELNS1_3gpuE0ELNS1_3repE0EEENS1_36merge_oddeven_config_static_selectorELNS0_4arch9wavefront6targetE1EEEvSL_
		.amdhsa_group_segment_fixed_size 0
		.amdhsa_private_segment_fixed_size 0
		.amdhsa_kernarg_size 48
		.amdhsa_user_sgpr_count 6
		.amdhsa_user_sgpr_private_segment_buffer 1
		.amdhsa_user_sgpr_dispatch_ptr 0
		.amdhsa_user_sgpr_queue_ptr 0
		.amdhsa_user_sgpr_kernarg_segment_ptr 1
		.amdhsa_user_sgpr_dispatch_id 0
		.amdhsa_user_sgpr_flat_scratch_init 0
		.amdhsa_user_sgpr_kernarg_preload_length 0
		.amdhsa_user_sgpr_kernarg_preload_offset 0
		.amdhsa_user_sgpr_private_segment_size 0
		.amdhsa_uses_dynamic_stack 0
		.amdhsa_system_sgpr_private_segment_wavefront_offset 0
		.amdhsa_system_sgpr_workgroup_id_x 1
		.amdhsa_system_sgpr_workgroup_id_y 0
		.amdhsa_system_sgpr_workgroup_id_z 0
		.amdhsa_system_sgpr_workgroup_info 0
		.amdhsa_system_vgpr_workitem_id 0
		.amdhsa_next_free_vgpr 1
		.amdhsa_next_free_sgpr 0
		.amdhsa_accum_offset 4
		.amdhsa_reserve_vcc 0
		.amdhsa_reserve_flat_scratch 0
		.amdhsa_float_round_mode_32 0
		.amdhsa_float_round_mode_16_64 0
		.amdhsa_float_denorm_mode_32 3
		.amdhsa_float_denorm_mode_16_64 3
		.amdhsa_dx10_clamp 1
		.amdhsa_ieee_mode 1
		.amdhsa_fp16_overflow 0
		.amdhsa_tg_split 0
		.amdhsa_exception_fp_ieee_invalid_op 0
		.amdhsa_exception_fp_denorm_src 0
		.amdhsa_exception_fp_ieee_div_zero 0
		.amdhsa_exception_fp_ieee_overflow 0
		.amdhsa_exception_fp_ieee_underflow 0
		.amdhsa_exception_fp_ieee_inexact 0
		.amdhsa_exception_int_div_zero 0
	.end_amdhsa_kernel
	.section	.text._ZN7rocprim17ROCPRIM_400000_NS6detail17trampoline_kernelINS0_14default_configENS1_38merge_sort_block_merge_config_selectorIjNS0_10empty_typeEEEZZNS1_27merge_sort_block_merge_implIS3_N6thrust23THRUST_200600_302600_NS6detail15normal_iteratorINS9_10device_ptrIjEEEEPS5_jNS1_19radix_merge_compareILb0ELb0EjNS0_19identity_decomposerEEEEE10hipError_tT0_T1_T2_jT3_P12ihipStream_tbPNSt15iterator_traitsISK_E10value_typeEPNSQ_ISL_E10value_typeEPSM_NS1_7vsmem_tEENKUlT_SK_SL_SM_E_clIPjSE_SF_SF_EESJ_SZ_SK_SL_SM_EUlSZ_E1_NS1_11comp_targetILNS1_3genE0ELNS1_11target_archE4294967295ELNS1_3gpuE0ELNS1_3repE0EEENS1_36merge_oddeven_config_static_selectorELNS0_4arch9wavefront6targetE1EEEvSL_,"axG",@progbits,_ZN7rocprim17ROCPRIM_400000_NS6detail17trampoline_kernelINS0_14default_configENS1_38merge_sort_block_merge_config_selectorIjNS0_10empty_typeEEEZZNS1_27merge_sort_block_merge_implIS3_N6thrust23THRUST_200600_302600_NS6detail15normal_iteratorINS9_10device_ptrIjEEEEPS5_jNS1_19radix_merge_compareILb0ELb0EjNS0_19identity_decomposerEEEEE10hipError_tT0_T1_T2_jT3_P12ihipStream_tbPNSt15iterator_traitsISK_E10value_typeEPNSQ_ISL_E10value_typeEPSM_NS1_7vsmem_tEENKUlT_SK_SL_SM_E_clIPjSE_SF_SF_EESJ_SZ_SK_SL_SM_EUlSZ_E1_NS1_11comp_targetILNS1_3genE0ELNS1_11target_archE4294967295ELNS1_3gpuE0ELNS1_3repE0EEENS1_36merge_oddeven_config_static_selectorELNS0_4arch9wavefront6targetE1EEEvSL_,comdat
.Lfunc_end985:
	.size	_ZN7rocprim17ROCPRIM_400000_NS6detail17trampoline_kernelINS0_14default_configENS1_38merge_sort_block_merge_config_selectorIjNS0_10empty_typeEEEZZNS1_27merge_sort_block_merge_implIS3_N6thrust23THRUST_200600_302600_NS6detail15normal_iteratorINS9_10device_ptrIjEEEEPS5_jNS1_19radix_merge_compareILb0ELb0EjNS0_19identity_decomposerEEEEE10hipError_tT0_T1_T2_jT3_P12ihipStream_tbPNSt15iterator_traitsISK_E10value_typeEPNSQ_ISL_E10value_typeEPSM_NS1_7vsmem_tEENKUlT_SK_SL_SM_E_clIPjSE_SF_SF_EESJ_SZ_SK_SL_SM_EUlSZ_E1_NS1_11comp_targetILNS1_3genE0ELNS1_11target_archE4294967295ELNS1_3gpuE0ELNS1_3repE0EEENS1_36merge_oddeven_config_static_selectorELNS0_4arch9wavefront6targetE1EEEvSL_, .Lfunc_end985-_ZN7rocprim17ROCPRIM_400000_NS6detail17trampoline_kernelINS0_14default_configENS1_38merge_sort_block_merge_config_selectorIjNS0_10empty_typeEEEZZNS1_27merge_sort_block_merge_implIS3_N6thrust23THRUST_200600_302600_NS6detail15normal_iteratorINS9_10device_ptrIjEEEEPS5_jNS1_19radix_merge_compareILb0ELb0EjNS0_19identity_decomposerEEEEE10hipError_tT0_T1_T2_jT3_P12ihipStream_tbPNSt15iterator_traitsISK_E10value_typeEPNSQ_ISL_E10value_typeEPSM_NS1_7vsmem_tEENKUlT_SK_SL_SM_E_clIPjSE_SF_SF_EESJ_SZ_SK_SL_SM_EUlSZ_E1_NS1_11comp_targetILNS1_3genE0ELNS1_11target_archE4294967295ELNS1_3gpuE0ELNS1_3repE0EEENS1_36merge_oddeven_config_static_selectorELNS0_4arch9wavefront6targetE1EEEvSL_
                                        ; -- End function
	.section	.AMDGPU.csdata,"",@progbits
; Kernel info:
; codeLenInByte = 0
; NumSgprs: 4
; NumVgprs: 0
; NumAgprs: 0
; TotalNumVgprs: 0
; ScratchSize: 0
; MemoryBound: 0
; FloatMode: 240
; IeeeMode: 1
; LDSByteSize: 0 bytes/workgroup (compile time only)
; SGPRBlocks: 0
; VGPRBlocks: 0
; NumSGPRsForWavesPerEU: 4
; NumVGPRsForWavesPerEU: 1
; AccumOffset: 4
; Occupancy: 8
; WaveLimiterHint : 0
; COMPUTE_PGM_RSRC2:SCRATCH_EN: 0
; COMPUTE_PGM_RSRC2:USER_SGPR: 6
; COMPUTE_PGM_RSRC2:TRAP_HANDLER: 0
; COMPUTE_PGM_RSRC2:TGID_X_EN: 1
; COMPUTE_PGM_RSRC2:TGID_Y_EN: 0
; COMPUTE_PGM_RSRC2:TGID_Z_EN: 0
; COMPUTE_PGM_RSRC2:TIDIG_COMP_CNT: 0
; COMPUTE_PGM_RSRC3_GFX90A:ACCUM_OFFSET: 0
; COMPUTE_PGM_RSRC3_GFX90A:TG_SPLIT: 0
	.section	.text._ZN7rocprim17ROCPRIM_400000_NS6detail17trampoline_kernelINS0_14default_configENS1_38merge_sort_block_merge_config_selectorIjNS0_10empty_typeEEEZZNS1_27merge_sort_block_merge_implIS3_N6thrust23THRUST_200600_302600_NS6detail15normal_iteratorINS9_10device_ptrIjEEEEPS5_jNS1_19radix_merge_compareILb0ELb0EjNS0_19identity_decomposerEEEEE10hipError_tT0_T1_T2_jT3_P12ihipStream_tbPNSt15iterator_traitsISK_E10value_typeEPNSQ_ISL_E10value_typeEPSM_NS1_7vsmem_tEENKUlT_SK_SL_SM_E_clIPjSE_SF_SF_EESJ_SZ_SK_SL_SM_EUlSZ_E1_NS1_11comp_targetILNS1_3genE10ELNS1_11target_archE1201ELNS1_3gpuE5ELNS1_3repE0EEENS1_36merge_oddeven_config_static_selectorELNS0_4arch9wavefront6targetE1EEEvSL_,"axG",@progbits,_ZN7rocprim17ROCPRIM_400000_NS6detail17trampoline_kernelINS0_14default_configENS1_38merge_sort_block_merge_config_selectorIjNS0_10empty_typeEEEZZNS1_27merge_sort_block_merge_implIS3_N6thrust23THRUST_200600_302600_NS6detail15normal_iteratorINS9_10device_ptrIjEEEEPS5_jNS1_19radix_merge_compareILb0ELb0EjNS0_19identity_decomposerEEEEE10hipError_tT0_T1_T2_jT3_P12ihipStream_tbPNSt15iterator_traitsISK_E10value_typeEPNSQ_ISL_E10value_typeEPSM_NS1_7vsmem_tEENKUlT_SK_SL_SM_E_clIPjSE_SF_SF_EESJ_SZ_SK_SL_SM_EUlSZ_E1_NS1_11comp_targetILNS1_3genE10ELNS1_11target_archE1201ELNS1_3gpuE5ELNS1_3repE0EEENS1_36merge_oddeven_config_static_selectorELNS0_4arch9wavefront6targetE1EEEvSL_,comdat
	.protected	_ZN7rocprim17ROCPRIM_400000_NS6detail17trampoline_kernelINS0_14default_configENS1_38merge_sort_block_merge_config_selectorIjNS0_10empty_typeEEEZZNS1_27merge_sort_block_merge_implIS3_N6thrust23THRUST_200600_302600_NS6detail15normal_iteratorINS9_10device_ptrIjEEEEPS5_jNS1_19radix_merge_compareILb0ELb0EjNS0_19identity_decomposerEEEEE10hipError_tT0_T1_T2_jT3_P12ihipStream_tbPNSt15iterator_traitsISK_E10value_typeEPNSQ_ISL_E10value_typeEPSM_NS1_7vsmem_tEENKUlT_SK_SL_SM_E_clIPjSE_SF_SF_EESJ_SZ_SK_SL_SM_EUlSZ_E1_NS1_11comp_targetILNS1_3genE10ELNS1_11target_archE1201ELNS1_3gpuE5ELNS1_3repE0EEENS1_36merge_oddeven_config_static_selectorELNS0_4arch9wavefront6targetE1EEEvSL_ ; -- Begin function _ZN7rocprim17ROCPRIM_400000_NS6detail17trampoline_kernelINS0_14default_configENS1_38merge_sort_block_merge_config_selectorIjNS0_10empty_typeEEEZZNS1_27merge_sort_block_merge_implIS3_N6thrust23THRUST_200600_302600_NS6detail15normal_iteratorINS9_10device_ptrIjEEEEPS5_jNS1_19radix_merge_compareILb0ELb0EjNS0_19identity_decomposerEEEEE10hipError_tT0_T1_T2_jT3_P12ihipStream_tbPNSt15iterator_traitsISK_E10value_typeEPNSQ_ISL_E10value_typeEPSM_NS1_7vsmem_tEENKUlT_SK_SL_SM_E_clIPjSE_SF_SF_EESJ_SZ_SK_SL_SM_EUlSZ_E1_NS1_11comp_targetILNS1_3genE10ELNS1_11target_archE1201ELNS1_3gpuE5ELNS1_3repE0EEENS1_36merge_oddeven_config_static_selectorELNS0_4arch9wavefront6targetE1EEEvSL_
	.globl	_ZN7rocprim17ROCPRIM_400000_NS6detail17trampoline_kernelINS0_14default_configENS1_38merge_sort_block_merge_config_selectorIjNS0_10empty_typeEEEZZNS1_27merge_sort_block_merge_implIS3_N6thrust23THRUST_200600_302600_NS6detail15normal_iteratorINS9_10device_ptrIjEEEEPS5_jNS1_19radix_merge_compareILb0ELb0EjNS0_19identity_decomposerEEEEE10hipError_tT0_T1_T2_jT3_P12ihipStream_tbPNSt15iterator_traitsISK_E10value_typeEPNSQ_ISL_E10value_typeEPSM_NS1_7vsmem_tEENKUlT_SK_SL_SM_E_clIPjSE_SF_SF_EESJ_SZ_SK_SL_SM_EUlSZ_E1_NS1_11comp_targetILNS1_3genE10ELNS1_11target_archE1201ELNS1_3gpuE5ELNS1_3repE0EEENS1_36merge_oddeven_config_static_selectorELNS0_4arch9wavefront6targetE1EEEvSL_
	.p2align	8
	.type	_ZN7rocprim17ROCPRIM_400000_NS6detail17trampoline_kernelINS0_14default_configENS1_38merge_sort_block_merge_config_selectorIjNS0_10empty_typeEEEZZNS1_27merge_sort_block_merge_implIS3_N6thrust23THRUST_200600_302600_NS6detail15normal_iteratorINS9_10device_ptrIjEEEEPS5_jNS1_19radix_merge_compareILb0ELb0EjNS0_19identity_decomposerEEEEE10hipError_tT0_T1_T2_jT3_P12ihipStream_tbPNSt15iterator_traitsISK_E10value_typeEPNSQ_ISL_E10value_typeEPSM_NS1_7vsmem_tEENKUlT_SK_SL_SM_E_clIPjSE_SF_SF_EESJ_SZ_SK_SL_SM_EUlSZ_E1_NS1_11comp_targetILNS1_3genE10ELNS1_11target_archE1201ELNS1_3gpuE5ELNS1_3repE0EEENS1_36merge_oddeven_config_static_selectorELNS0_4arch9wavefront6targetE1EEEvSL_,@function
_ZN7rocprim17ROCPRIM_400000_NS6detail17trampoline_kernelINS0_14default_configENS1_38merge_sort_block_merge_config_selectorIjNS0_10empty_typeEEEZZNS1_27merge_sort_block_merge_implIS3_N6thrust23THRUST_200600_302600_NS6detail15normal_iteratorINS9_10device_ptrIjEEEEPS5_jNS1_19radix_merge_compareILb0ELb0EjNS0_19identity_decomposerEEEEE10hipError_tT0_T1_T2_jT3_P12ihipStream_tbPNSt15iterator_traitsISK_E10value_typeEPNSQ_ISL_E10value_typeEPSM_NS1_7vsmem_tEENKUlT_SK_SL_SM_E_clIPjSE_SF_SF_EESJ_SZ_SK_SL_SM_EUlSZ_E1_NS1_11comp_targetILNS1_3genE10ELNS1_11target_archE1201ELNS1_3gpuE5ELNS1_3repE0EEENS1_36merge_oddeven_config_static_selectorELNS0_4arch9wavefront6targetE1EEEvSL_: ; @_ZN7rocprim17ROCPRIM_400000_NS6detail17trampoline_kernelINS0_14default_configENS1_38merge_sort_block_merge_config_selectorIjNS0_10empty_typeEEEZZNS1_27merge_sort_block_merge_implIS3_N6thrust23THRUST_200600_302600_NS6detail15normal_iteratorINS9_10device_ptrIjEEEEPS5_jNS1_19radix_merge_compareILb0ELb0EjNS0_19identity_decomposerEEEEE10hipError_tT0_T1_T2_jT3_P12ihipStream_tbPNSt15iterator_traitsISK_E10value_typeEPNSQ_ISL_E10value_typeEPSM_NS1_7vsmem_tEENKUlT_SK_SL_SM_E_clIPjSE_SF_SF_EESJ_SZ_SK_SL_SM_EUlSZ_E1_NS1_11comp_targetILNS1_3genE10ELNS1_11target_archE1201ELNS1_3gpuE5ELNS1_3repE0EEENS1_36merge_oddeven_config_static_selectorELNS0_4arch9wavefront6targetE1EEEvSL_
; %bb.0:
	.section	.rodata,"a",@progbits
	.p2align	6, 0x0
	.amdhsa_kernel _ZN7rocprim17ROCPRIM_400000_NS6detail17trampoline_kernelINS0_14default_configENS1_38merge_sort_block_merge_config_selectorIjNS0_10empty_typeEEEZZNS1_27merge_sort_block_merge_implIS3_N6thrust23THRUST_200600_302600_NS6detail15normal_iteratorINS9_10device_ptrIjEEEEPS5_jNS1_19radix_merge_compareILb0ELb0EjNS0_19identity_decomposerEEEEE10hipError_tT0_T1_T2_jT3_P12ihipStream_tbPNSt15iterator_traitsISK_E10value_typeEPNSQ_ISL_E10value_typeEPSM_NS1_7vsmem_tEENKUlT_SK_SL_SM_E_clIPjSE_SF_SF_EESJ_SZ_SK_SL_SM_EUlSZ_E1_NS1_11comp_targetILNS1_3genE10ELNS1_11target_archE1201ELNS1_3gpuE5ELNS1_3repE0EEENS1_36merge_oddeven_config_static_selectorELNS0_4arch9wavefront6targetE1EEEvSL_
		.amdhsa_group_segment_fixed_size 0
		.amdhsa_private_segment_fixed_size 0
		.amdhsa_kernarg_size 48
		.amdhsa_user_sgpr_count 6
		.amdhsa_user_sgpr_private_segment_buffer 1
		.amdhsa_user_sgpr_dispatch_ptr 0
		.amdhsa_user_sgpr_queue_ptr 0
		.amdhsa_user_sgpr_kernarg_segment_ptr 1
		.amdhsa_user_sgpr_dispatch_id 0
		.amdhsa_user_sgpr_flat_scratch_init 0
		.amdhsa_user_sgpr_kernarg_preload_length 0
		.amdhsa_user_sgpr_kernarg_preload_offset 0
		.amdhsa_user_sgpr_private_segment_size 0
		.amdhsa_uses_dynamic_stack 0
		.amdhsa_system_sgpr_private_segment_wavefront_offset 0
		.amdhsa_system_sgpr_workgroup_id_x 1
		.amdhsa_system_sgpr_workgroup_id_y 0
		.amdhsa_system_sgpr_workgroup_id_z 0
		.amdhsa_system_sgpr_workgroup_info 0
		.amdhsa_system_vgpr_workitem_id 0
		.amdhsa_next_free_vgpr 1
		.amdhsa_next_free_sgpr 0
		.amdhsa_accum_offset 4
		.amdhsa_reserve_vcc 0
		.amdhsa_reserve_flat_scratch 0
		.amdhsa_float_round_mode_32 0
		.amdhsa_float_round_mode_16_64 0
		.amdhsa_float_denorm_mode_32 3
		.amdhsa_float_denorm_mode_16_64 3
		.amdhsa_dx10_clamp 1
		.amdhsa_ieee_mode 1
		.amdhsa_fp16_overflow 0
		.amdhsa_tg_split 0
		.amdhsa_exception_fp_ieee_invalid_op 0
		.amdhsa_exception_fp_denorm_src 0
		.amdhsa_exception_fp_ieee_div_zero 0
		.amdhsa_exception_fp_ieee_overflow 0
		.amdhsa_exception_fp_ieee_underflow 0
		.amdhsa_exception_fp_ieee_inexact 0
		.amdhsa_exception_int_div_zero 0
	.end_amdhsa_kernel
	.section	.text._ZN7rocprim17ROCPRIM_400000_NS6detail17trampoline_kernelINS0_14default_configENS1_38merge_sort_block_merge_config_selectorIjNS0_10empty_typeEEEZZNS1_27merge_sort_block_merge_implIS3_N6thrust23THRUST_200600_302600_NS6detail15normal_iteratorINS9_10device_ptrIjEEEEPS5_jNS1_19radix_merge_compareILb0ELb0EjNS0_19identity_decomposerEEEEE10hipError_tT0_T1_T2_jT3_P12ihipStream_tbPNSt15iterator_traitsISK_E10value_typeEPNSQ_ISL_E10value_typeEPSM_NS1_7vsmem_tEENKUlT_SK_SL_SM_E_clIPjSE_SF_SF_EESJ_SZ_SK_SL_SM_EUlSZ_E1_NS1_11comp_targetILNS1_3genE10ELNS1_11target_archE1201ELNS1_3gpuE5ELNS1_3repE0EEENS1_36merge_oddeven_config_static_selectorELNS0_4arch9wavefront6targetE1EEEvSL_,"axG",@progbits,_ZN7rocprim17ROCPRIM_400000_NS6detail17trampoline_kernelINS0_14default_configENS1_38merge_sort_block_merge_config_selectorIjNS0_10empty_typeEEEZZNS1_27merge_sort_block_merge_implIS3_N6thrust23THRUST_200600_302600_NS6detail15normal_iteratorINS9_10device_ptrIjEEEEPS5_jNS1_19radix_merge_compareILb0ELb0EjNS0_19identity_decomposerEEEEE10hipError_tT0_T1_T2_jT3_P12ihipStream_tbPNSt15iterator_traitsISK_E10value_typeEPNSQ_ISL_E10value_typeEPSM_NS1_7vsmem_tEENKUlT_SK_SL_SM_E_clIPjSE_SF_SF_EESJ_SZ_SK_SL_SM_EUlSZ_E1_NS1_11comp_targetILNS1_3genE10ELNS1_11target_archE1201ELNS1_3gpuE5ELNS1_3repE0EEENS1_36merge_oddeven_config_static_selectorELNS0_4arch9wavefront6targetE1EEEvSL_,comdat
.Lfunc_end986:
	.size	_ZN7rocprim17ROCPRIM_400000_NS6detail17trampoline_kernelINS0_14default_configENS1_38merge_sort_block_merge_config_selectorIjNS0_10empty_typeEEEZZNS1_27merge_sort_block_merge_implIS3_N6thrust23THRUST_200600_302600_NS6detail15normal_iteratorINS9_10device_ptrIjEEEEPS5_jNS1_19radix_merge_compareILb0ELb0EjNS0_19identity_decomposerEEEEE10hipError_tT0_T1_T2_jT3_P12ihipStream_tbPNSt15iterator_traitsISK_E10value_typeEPNSQ_ISL_E10value_typeEPSM_NS1_7vsmem_tEENKUlT_SK_SL_SM_E_clIPjSE_SF_SF_EESJ_SZ_SK_SL_SM_EUlSZ_E1_NS1_11comp_targetILNS1_3genE10ELNS1_11target_archE1201ELNS1_3gpuE5ELNS1_3repE0EEENS1_36merge_oddeven_config_static_selectorELNS0_4arch9wavefront6targetE1EEEvSL_, .Lfunc_end986-_ZN7rocprim17ROCPRIM_400000_NS6detail17trampoline_kernelINS0_14default_configENS1_38merge_sort_block_merge_config_selectorIjNS0_10empty_typeEEEZZNS1_27merge_sort_block_merge_implIS3_N6thrust23THRUST_200600_302600_NS6detail15normal_iteratorINS9_10device_ptrIjEEEEPS5_jNS1_19radix_merge_compareILb0ELb0EjNS0_19identity_decomposerEEEEE10hipError_tT0_T1_T2_jT3_P12ihipStream_tbPNSt15iterator_traitsISK_E10value_typeEPNSQ_ISL_E10value_typeEPSM_NS1_7vsmem_tEENKUlT_SK_SL_SM_E_clIPjSE_SF_SF_EESJ_SZ_SK_SL_SM_EUlSZ_E1_NS1_11comp_targetILNS1_3genE10ELNS1_11target_archE1201ELNS1_3gpuE5ELNS1_3repE0EEENS1_36merge_oddeven_config_static_selectorELNS0_4arch9wavefront6targetE1EEEvSL_
                                        ; -- End function
	.section	.AMDGPU.csdata,"",@progbits
; Kernel info:
; codeLenInByte = 0
; NumSgprs: 4
; NumVgprs: 0
; NumAgprs: 0
; TotalNumVgprs: 0
; ScratchSize: 0
; MemoryBound: 0
; FloatMode: 240
; IeeeMode: 1
; LDSByteSize: 0 bytes/workgroup (compile time only)
; SGPRBlocks: 0
; VGPRBlocks: 0
; NumSGPRsForWavesPerEU: 4
; NumVGPRsForWavesPerEU: 1
; AccumOffset: 4
; Occupancy: 8
; WaveLimiterHint : 0
; COMPUTE_PGM_RSRC2:SCRATCH_EN: 0
; COMPUTE_PGM_RSRC2:USER_SGPR: 6
; COMPUTE_PGM_RSRC2:TRAP_HANDLER: 0
; COMPUTE_PGM_RSRC2:TGID_X_EN: 1
; COMPUTE_PGM_RSRC2:TGID_Y_EN: 0
; COMPUTE_PGM_RSRC2:TGID_Z_EN: 0
; COMPUTE_PGM_RSRC2:TIDIG_COMP_CNT: 0
; COMPUTE_PGM_RSRC3_GFX90A:ACCUM_OFFSET: 0
; COMPUTE_PGM_RSRC3_GFX90A:TG_SPLIT: 0
	.section	.text._ZN7rocprim17ROCPRIM_400000_NS6detail17trampoline_kernelINS0_14default_configENS1_38merge_sort_block_merge_config_selectorIjNS0_10empty_typeEEEZZNS1_27merge_sort_block_merge_implIS3_N6thrust23THRUST_200600_302600_NS6detail15normal_iteratorINS9_10device_ptrIjEEEEPS5_jNS1_19radix_merge_compareILb0ELb0EjNS0_19identity_decomposerEEEEE10hipError_tT0_T1_T2_jT3_P12ihipStream_tbPNSt15iterator_traitsISK_E10value_typeEPNSQ_ISL_E10value_typeEPSM_NS1_7vsmem_tEENKUlT_SK_SL_SM_E_clIPjSE_SF_SF_EESJ_SZ_SK_SL_SM_EUlSZ_E1_NS1_11comp_targetILNS1_3genE5ELNS1_11target_archE942ELNS1_3gpuE9ELNS1_3repE0EEENS1_36merge_oddeven_config_static_selectorELNS0_4arch9wavefront6targetE1EEEvSL_,"axG",@progbits,_ZN7rocprim17ROCPRIM_400000_NS6detail17trampoline_kernelINS0_14default_configENS1_38merge_sort_block_merge_config_selectorIjNS0_10empty_typeEEEZZNS1_27merge_sort_block_merge_implIS3_N6thrust23THRUST_200600_302600_NS6detail15normal_iteratorINS9_10device_ptrIjEEEEPS5_jNS1_19radix_merge_compareILb0ELb0EjNS0_19identity_decomposerEEEEE10hipError_tT0_T1_T2_jT3_P12ihipStream_tbPNSt15iterator_traitsISK_E10value_typeEPNSQ_ISL_E10value_typeEPSM_NS1_7vsmem_tEENKUlT_SK_SL_SM_E_clIPjSE_SF_SF_EESJ_SZ_SK_SL_SM_EUlSZ_E1_NS1_11comp_targetILNS1_3genE5ELNS1_11target_archE942ELNS1_3gpuE9ELNS1_3repE0EEENS1_36merge_oddeven_config_static_selectorELNS0_4arch9wavefront6targetE1EEEvSL_,comdat
	.protected	_ZN7rocprim17ROCPRIM_400000_NS6detail17trampoline_kernelINS0_14default_configENS1_38merge_sort_block_merge_config_selectorIjNS0_10empty_typeEEEZZNS1_27merge_sort_block_merge_implIS3_N6thrust23THRUST_200600_302600_NS6detail15normal_iteratorINS9_10device_ptrIjEEEEPS5_jNS1_19radix_merge_compareILb0ELb0EjNS0_19identity_decomposerEEEEE10hipError_tT0_T1_T2_jT3_P12ihipStream_tbPNSt15iterator_traitsISK_E10value_typeEPNSQ_ISL_E10value_typeEPSM_NS1_7vsmem_tEENKUlT_SK_SL_SM_E_clIPjSE_SF_SF_EESJ_SZ_SK_SL_SM_EUlSZ_E1_NS1_11comp_targetILNS1_3genE5ELNS1_11target_archE942ELNS1_3gpuE9ELNS1_3repE0EEENS1_36merge_oddeven_config_static_selectorELNS0_4arch9wavefront6targetE1EEEvSL_ ; -- Begin function _ZN7rocprim17ROCPRIM_400000_NS6detail17trampoline_kernelINS0_14default_configENS1_38merge_sort_block_merge_config_selectorIjNS0_10empty_typeEEEZZNS1_27merge_sort_block_merge_implIS3_N6thrust23THRUST_200600_302600_NS6detail15normal_iteratorINS9_10device_ptrIjEEEEPS5_jNS1_19radix_merge_compareILb0ELb0EjNS0_19identity_decomposerEEEEE10hipError_tT0_T1_T2_jT3_P12ihipStream_tbPNSt15iterator_traitsISK_E10value_typeEPNSQ_ISL_E10value_typeEPSM_NS1_7vsmem_tEENKUlT_SK_SL_SM_E_clIPjSE_SF_SF_EESJ_SZ_SK_SL_SM_EUlSZ_E1_NS1_11comp_targetILNS1_3genE5ELNS1_11target_archE942ELNS1_3gpuE9ELNS1_3repE0EEENS1_36merge_oddeven_config_static_selectorELNS0_4arch9wavefront6targetE1EEEvSL_
	.globl	_ZN7rocprim17ROCPRIM_400000_NS6detail17trampoline_kernelINS0_14default_configENS1_38merge_sort_block_merge_config_selectorIjNS0_10empty_typeEEEZZNS1_27merge_sort_block_merge_implIS3_N6thrust23THRUST_200600_302600_NS6detail15normal_iteratorINS9_10device_ptrIjEEEEPS5_jNS1_19radix_merge_compareILb0ELb0EjNS0_19identity_decomposerEEEEE10hipError_tT0_T1_T2_jT3_P12ihipStream_tbPNSt15iterator_traitsISK_E10value_typeEPNSQ_ISL_E10value_typeEPSM_NS1_7vsmem_tEENKUlT_SK_SL_SM_E_clIPjSE_SF_SF_EESJ_SZ_SK_SL_SM_EUlSZ_E1_NS1_11comp_targetILNS1_3genE5ELNS1_11target_archE942ELNS1_3gpuE9ELNS1_3repE0EEENS1_36merge_oddeven_config_static_selectorELNS0_4arch9wavefront6targetE1EEEvSL_
	.p2align	8
	.type	_ZN7rocprim17ROCPRIM_400000_NS6detail17trampoline_kernelINS0_14default_configENS1_38merge_sort_block_merge_config_selectorIjNS0_10empty_typeEEEZZNS1_27merge_sort_block_merge_implIS3_N6thrust23THRUST_200600_302600_NS6detail15normal_iteratorINS9_10device_ptrIjEEEEPS5_jNS1_19radix_merge_compareILb0ELb0EjNS0_19identity_decomposerEEEEE10hipError_tT0_T1_T2_jT3_P12ihipStream_tbPNSt15iterator_traitsISK_E10value_typeEPNSQ_ISL_E10value_typeEPSM_NS1_7vsmem_tEENKUlT_SK_SL_SM_E_clIPjSE_SF_SF_EESJ_SZ_SK_SL_SM_EUlSZ_E1_NS1_11comp_targetILNS1_3genE5ELNS1_11target_archE942ELNS1_3gpuE9ELNS1_3repE0EEENS1_36merge_oddeven_config_static_selectorELNS0_4arch9wavefront6targetE1EEEvSL_,@function
_ZN7rocprim17ROCPRIM_400000_NS6detail17trampoline_kernelINS0_14default_configENS1_38merge_sort_block_merge_config_selectorIjNS0_10empty_typeEEEZZNS1_27merge_sort_block_merge_implIS3_N6thrust23THRUST_200600_302600_NS6detail15normal_iteratorINS9_10device_ptrIjEEEEPS5_jNS1_19radix_merge_compareILb0ELb0EjNS0_19identity_decomposerEEEEE10hipError_tT0_T1_T2_jT3_P12ihipStream_tbPNSt15iterator_traitsISK_E10value_typeEPNSQ_ISL_E10value_typeEPSM_NS1_7vsmem_tEENKUlT_SK_SL_SM_E_clIPjSE_SF_SF_EESJ_SZ_SK_SL_SM_EUlSZ_E1_NS1_11comp_targetILNS1_3genE5ELNS1_11target_archE942ELNS1_3gpuE9ELNS1_3repE0EEENS1_36merge_oddeven_config_static_selectorELNS0_4arch9wavefront6targetE1EEEvSL_: ; @_ZN7rocprim17ROCPRIM_400000_NS6detail17trampoline_kernelINS0_14default_configENS1_38merge_sort_block_merge_config_selectorIjNS0_10empty_typeEEEZZNS1_27merge_sort_block_merge_implIS3_N6thrust23THRUST_200600_302600_NS6detail15normal_iteratorINS9_10device_ptrIjEEEEPS5_jNS1_19radix_merge_compareILb0ELb0EjNS0_19identity_decomposerEEEEE10hipError_tT0_T1_T2_jT3_P12ihipStream_tbPNSt15iterator_traitsISK_E10value_typeEPNSQ_ISL_E10value_typeEPSM_NS1_7vsmem_tEENKUlT_SK_SL_SM_E_clIPjSE_SF_SF_EESJ_SZ_SK_SL_SM_EUlSZ_E1_NS1_11comp_targetILNS1_3genE5ELNS1_11target_archE942ELNS1_3gpuE9ELNS1_3repE0EEENS1_36merge_oddeven_config_static_selectorELNS0_4arch9wavefront6targetE1EEEvSL_
; %bb.0:
	.section	.rodata,"a",@progbits
	.p2align	6, 0x0
	.amdhsa_kernel _ZN7rocprim17ROCPRIM_400000_NS6detail17trampoline_kernelINS0_14default_configENS1_38merge_sort_block_merge_config_selectorIjNS0_10empty_typeEEEZZNS1_27merge_sort_block_merge_implIS3_N6thrust23THRUST_200600_302600_NS6detail15normal_iteratorINS9_10device_ptrIjEEEEPS5_jNS1_19radix_merge_compareILb0ELb0EjNS0_19identity_decomposerEEEEE10hipError_tT0_T1_T2_jT3_P12ihipStream_tbPNSt15iterator_traitsISK_E10value_typeEPNSQ_ISL_E10value_typeEPSM_NS1_7vsmem_tEENKUlT_SK_SL_SM_E_clIPjSE_SF_SF_EESJ_SZ_SK_SL_SM_EUlSZ_E1_NS1_11comp_targetILNS1_3genE5ELNS1_11target_archE942ELNS1_3gpuE9ELNS1_3repE0EEENS1_36merge_oddeven_config_static_selectorELNS0_4arch9wavefront6targetE1EEEvSL_
		.amdhsa_group_segment_fixed_size 0
		.amdhsa_private_segment_fixed_size 0
		.amdhsa_kernarg_size 48
		.amdhsa_user_sgpr_count 6
		.amdhsa_user_sgpr_private_segment_buffer 1
		.amdhsa_user_sgpr_dispatch_ptr 0
		.amdhsa_user_sgpr_queue_ptr 0
		.amdhsa_user_sgpr_kernarg_segment_ptr 1
		.amdhsa_user_sgpr_dispatch_id 0
		.amdhsa_user_sgpr_flat_scratch_init 0
		.amdhsa_user_sgpr_kernarg_preload_length 0
		.amdhsa_user_sgpr_kernarg_preload_offset 0
		.amdhsa_user_sgpr_private_segment_size 0
		.amdhsa_uses_dynamic_stack 0
		.amdhsa_system_sgpr_private_segment_wavefront_offset 0
		.amdhsa_system_sgpr_workgroup_id_x 1
		.amdhsa_system_sgpr_workgroup_id_y 0
		.amdhsa_system_sgpr_workgroup_id_z 0
		.amdhsa_system_sgpr_workgroup_info 0
		.amdhsa_system_vgpr_workitem_id 0
		.amdhsa_next_free_vgpr 1
		.amdhsa_next_free_sgpr 0
		.amdhsa_accum_offset 4
		.amdhsa_reserve_vcc 0
		.amdhsa_reserve_flat_scratch 0
		.amdhsa_float_round_mode_32 0
		.amdhsa_float_round_mode_16_64 0
		.amdhsa_float_denorm_mode_32 3
		.amdhsa_float_denorm_mode_16_64 3
		.amdhsa_dx10_clamp 1
		.amdhsa_ieee_mode 1
		.amdhsa_fp16_overflow 0
		.amdhsa_tg_split 0
		.amdhsa_exception_fp_ieee_invalid_op 0
		.amdhsa_exception_fp_denorm_src 0
		.amdhsa_exception_fp_ieee_div_zero 0
		.amdhsa_exception_fp_ieee_overflow 0
		.amdhsa_exception_fp_ieee_underflow 0
		.amdhsa_exception_fp_ieee_inexact 0
		.amdhsa_exception_int_div_zero 0
	.end_amdhsa_kernel
	.section	.text._ZN7rocprim17ROCPRIM_400000_NS6detail17trampoline_kernelINS0_14default_configENS1_38merge_sort_block_merge_config_selectorIjNS0_10empty_typeEEEZZNS1_27merge_sort_block_merge_implIS3_N6thrust23THRUST_200600_302600_NS6detail15normal_iteratorINS9_10device_ptrIjEEEEPS5_jNS1_19radix_merge_compareILb0ELb0EjNS0_19identity_decomposerEEEEE10hipError_tT0_T1_T2_jT3_P12ihipStream_tbPNSt15iterator_traitsISK_E10value_typeEPNSQ_ISL_E10value_typeEPSM_NS1_7vsmem_tEENKUlT_SK_SL_SM_E_clIPjSE_SF_SF_EESJ_SZ_SK_SL_SM_EUlSZ_E1_NS1_11comp_targetILNS1_3genE5ELNS1_11target_archE942ELNS1_3gpuE9ELNS1_3repE0EEENS1_36merge_oddeven_config_static_selectorELNS0_4arch9wavefront6targetE1EEEvSL_,"axG",@progbits,_ZN7rocprim17ROCPRIM_400000_NS6detail17trampoline_kernelINS0_14default_configENS1_38merge_sort_block_merge_config_selectorIjNS0_10empty_typeEEEZZNS1_27merge_sort_block_merge_implIS3_N6thrust23THRUST_200600_302600_NS6detail15normal_iteratorINS9_10device_ptrIjEEEEPS5_jNS1_19radix_merge_compareILb0ELb0EjNS0_19identity_decomposerEEEEE10hipError_tT0_T1_T2_jT3_P12ihipStream_tbPNSt15iterator_traitsISK_E10value_typeEPNSQ_ISL_E10value_typeEPSM_NS1_7vsmem_tEENKUlT_SK_SL_SM_E_clIPjSE_SF_SF_EESJ_SZ_SK_SL_SM_EUlSZ_E1_NS1_11comp_targetILNS1_3genE5ELNS1_11target_archE942ELNS1_3gpuE9ELNS1_3repE0EEENS1_36merge_oddeven_config_static_selectorELNS0_4arch9wavefront6targetE1EEEvSL_,comdat
.Lfunc_end987:
	.size	_ZN7rocprim17ROCPRIM_400000_NS6detail17trampoline_kernelINS0_14default_configENS1_38merge_sort_block_merge_config_selectorIjNS0_10empty_typeEEEZZNS1_27merge_sort_block_merge_implIS3_N6thrust23THRUST_200600_302600_NS6detail15normal_iteratorINS9_10device_ptrIjEEEEPS5_jNS1_19radix_merge_compareILb0ELb0EjNS0_19identity_decomposerEEEEE10hipError_tT0_T1_T2_jT3_P12ihipStream_tbPNSt15iterator_traitsISK_E10value_typeEPNSQ_ISL_E10value_typeEPSM_NS1_7vsmem_tEENKUlT_SK_SL_SM_E_clIPjSE_SF_SF_EESJ_SZ_SK_SL_SM_EUlSZ_E1_NS1_11comp_targetILNS1_3genE5ELNS1_11target_archE942ELNS1_3gpuE9ELNS1_3repE0EEENS1_36merge_oddeven_config_static_selectorELNS0_4arch9wavefront6targetE1EEEvSL_, .Lfunc_end987-_ZN7rocprim17ROCPRIM_400000_NS6detail17trampoline_kernelINS0_14default_configENS1_38merge_sort_block_merge_config_selectorIjNS0_10empty_typeEEEZZNS1_27merge_sort_block_merge_implIS3_N6thrust23THRUST_200600_302600_NS6detail15normal_iteratorINS9_10device_ptrIjEEEEPS5_jNS1_19radix_merge_compareILb0ELb0EjNS0_19identity_decomposerEEEEE10hipError_tT0_T1_T2_jT3_P12ihipStream_tbPNSt15iterator_traitsISK_E10value_typeEPNSQ_ISL_E10value_typeEPSM_NS1_7vsmem_tEENKUlT_SK_SL_SM_E_clIPjSE_SF_SF_EESJ_SZ_SK_SL_SM_EUlSZ_E1_NS1_11comp_targetILNS1_3genE5ELNS1_11target_archE942ELNS1_3gpuE9ELNS1_3repE0EEENS1_36merge_oddeven_config_static_selectorELNS0_4arch9wavefront6targetE1EEEvSL_
                                        ; -- End function
	.section	.AMDGPU.csdata,"",@progbits
; Kernel info:
; codeLenInByte = 0
; NumSgprs: 4
; NumVgprs: 0
; NumAgprs: 0
; TotalNumVgprs: 0
; ScratchSize: 0
; MemoryBound: 0
; FloatMode: 240
; IeeeMode: 1
; LDSByteSize: 0 bytes/workgroup (compile time only)
; SGPRBlocks: 0
; VGPRBlocks: 0
; NumSGPRsForWavesPerEU: 4
; NumVGPRsForWavesPerEU: 1
; AccumOffset: 4
; Occupancy: 8
; WaveLimiterHint : 0
; COMPUTE_PGM_RSRC2:SCRATCH_EN: 0
; COMPUTE_PGM_RSRC2:USER_SGPR: 6
; COMPUTE_PGM_RSRC2:TRAP_HANDLER: 0
; COMPUTE_PGM_RSRC2:TGID_X_EN: 1
; COMPUTE_PGM_RSRC2:TGID_Y_EN: 0
; COMPUTE_PGM_RSRC2:TGID_Z_EN: 0
; COMPUTE_PGM_RSRC2:TIDIG_COMP_CNT: 0
; COMPUTE_PGM_RSRC3_GFX90A:ACCUM_OFFSET: 0
; COMPUTE_PGM_RSRC3_GFX90A:TG_SPLIT: 0
	.section	.text._ZN7rocprim17ROCPRIM_400000_NS6detail17trampoline_kernelINS0_14default_configENS1_38merge_sort_block_merge_config_selectorIjNS0_10empty_typeEEEZZNS1_27merge_sort_block_merge_implIS3_N6thrust23THRUST_200600_302600_NS6detail15normal_iteratorINS9_10device_ptrIjEEEEPS5_jNS1_19radix_merge_compareILb0ELb0EjNS0_19identity_decomposerEEEEE10hipError_tT0_T1_T2_jT3_P12ihipStream_tbPNSt15iterator_traitsISK_E10value_typeEPNSQ_ISL_E10value_typeEPSM_NS1_7vsmem_tEENKUlT_SK_SL_SM_E_clIPjSE_SF_SF_EESJ_SZ_SK_SL_SM_EUlSZ_E1_NS1_11comp_targetILNS1_3genE4ELNS1_11target_archE910ELNS1_3gpuE8ELNS1_3repE0EEENS1_36merge_oddeven_config_static_selectorELNS0_4arch9wavefront6targetE1EEEvSL_,"axG",@progbits,_ZN7rocprim17ROCPRIM_400000_NS6detail17trampoline_kernelINS0_14default_configENS1_38merge_sort_block_merge_config_selectorIjNS0_10empty_typeEEEZZNS1_27merge_sort_block_merge_implIS3_N6thrust23THRUST_200600_302600_NS6detail15normal_iteratorINS9_10device_ptrIjEEEEPS5_jNS1_19radix_merge_compareILb0ELb0EjNS0_19identity_decomposerEEEEE10hipError_tT0_T1_T2_jT3_P12ihipStream_tbPNSt15iterator_traitsISK_E10value_typeEPNSQ_ISL_E10value_typeEPSM_NS1_7vsmem_tEENKUlT_SK_SL_SM_E_clIPjSE_SF_SF_EESJ_SZ_SK_SL_SM_EUlSZ_E1_NS1_11comp_targetILNS1_3genE4ELNS1_11target_archE910ELNS1_3gpuE8ELNS1_3repE0EEENS1_36merge_oddeven_config_static_selectorELNS0_4arch9wavefront6targetE1EEEvSL_,comdat
	.protected	_ZN7rocprim17ROCPRIM_400000_NS6detail17trampoline_kernelINS0_14default_configENS1_38merge_sort_block_merge_config_selectorIjNS0_10empty_typeEEEZZNS1_27merge_sort_block_merge_implIS3_N6thrust23THRUST_200600_302600_NS6detail15normal_iteratorINS9_10device_ptrIjEEEEPS5_jNS1_19radix_merge_compareILb0ELb0EjNS0_19identity_decomposerEEEEE10hipError_tT0_T1_T2_jT3_P12ihipStream_tbPNSt15iterator_traitsISK_E10value_typeEPNSQ_ISL_E10value_typeEPSM_NS1_7vsmem_tEENKUlT_SK_SL_SM_E_clIPjSE_SF_SF_EESJ_SZ_SK_SL_SM_EUlSZ_E1_NS1_11comp_targetILNS1_3genE4ELNS1_11target_archE910ELNS1_3gpuE8ELNS1_3repE0EEENS1_36merge_oddeven_config_static_selectorELNS0_4arch9wavefront6targetE1EEEvSL_ ; -- Begin function _ZN7rocprim17ROCPRIM_400000_NS6detail17trampoline_kernelINS0_14default_configENS1_38merge_sort_block_merge_config_selectorIjNS0_10empty_typeEEEZZNS1_27merge_sort_block_merge_implIS3_N6thrust23THRUST_200600_302600_NS6detail15normal_iteratorINS9_10device_ptrIjEEEEPS5_jNS1_19radix_merge_compareILb0ELb0EjNS0_19identity_decomposerEEEEE10hipError_tT0_T1_T2_jT3_P12ihipStream_tbPNSt15iterator_traitsISK_E10value_typeEPNSQ_ISL_E10value_typeEPSM_NS1_7vsmem_tEENKUlT_SK_SL_SM_E_clIPjSE_SF_SF_EESJ_SZ_SK_SL_SM_EUlSZ_E1_NS1_11comp_targetILNS1_3genE4ELNS1_11target_archE910ELNS1_3gpuE8ELNS1_3repE0EEENS1_36merge_oddeven_config_static_selectorELNS0_4arch9wavefront6targetE1EEEvSL_
	.globl	_ZN7rocprim17ROCPRIM_400000_NS6detail17trampoline_kernelINS0_14default_configENS1_38merge_sort_block_merge_config_selectorIjNS0_10empty_typeEEEZZNS1_27merge_sort_block_merge_implIS3_N6thrust23THRUST_200600_302600_NS6detail15normal_iteratorINS9_10device_ptrIjEEEEPS5_jNS1_19radix_merge_compareILb0ELb0EjNS0_19identity_decomposerEEEEE10hipError_tT0_T1_T2_jT3_P12ihipStream_tbPNSt15iterator_traitsISK_E10value_typeEPNSQ_ISL_E10value_typeEPSM_NS1_7vsmem_tEENKUlT_SK_SL_SM_E_clIPjSE_SF_SF_EESJ_SZ_SK_SL_SM_EUlSZ_E1_NS1_11comp_targetILNS1_3genE4ELNS1_11target_archE910ELNS1_3gpuE8ELNS1_3repE0EEENS1_36merge_oddeven_config_static_selectorELNS0_4arch9wavefront6targetE1EEEvSL_
	.p2align	8
	.type	_ZN7rocprim17ROCPRIM_400000_NS6detail17trampoline_kernelINS0_14default_configENS1_38merge_sort_block_merge_config_selectorIjNS0_10empty_typeEEEZZNS1_27merge_sort_block_merge_implIS3_N6thrust23THRUST_200600_302600_NS6detail15normal_iteratorINS9_10device_ptrIjEEEEPS5_jNS1_19radix_merge_compareILb0ELb0EjNS0_19identity_decomposerEEEEE10hipError_tT0_T1_T2_jT3_P12ihipStream_tbPNSt15iterator_traitsISK_E10value_typeEPNSQ_ISL_E10value_typeEPSM_NS1_7vsmem_tEENKUlT_SK_SL_SM_E_clIPjSE_SF_SF_EESJ_SZ_SK_SL_SM_EUlSZ_E1_NS1_11comp_targetILNS1_3genE4ELNS1_11target_archE910ELNS1_3gpuE8ELNS1_3repE0EEENS1_36merge_oddeven_config_static_selectorELNS0_4arch9wavefront6targetE1EEEvSL_,@function
_ZN7rocprim17ROCPRIM_400000_NS6detail17trampoline_kernelINS0_14default_configENS1_38merge_sort_block_merge_config_selectorIjNS0_10empty_typeEEEZZNS1_27merge_sort_block_merge_implIS3_N6thrust23THRUST_200600_302600_NS6detail15normal_iteratorINS9_10device_ptrIjEEEEPS5_jNS1_19radix_merge_compareILb0ELb0EjNS0_19identity_decomposerEEEEE10hipError_tT0_T1_T2_jT3_P12ihipStream_tbPNSt15iterator_traitsISK_E10value_typeEPNSQ_ISL_E10value_typeEPSM_NS1_7vsmem_tEENKUlT_SK_SL_SM_E_clIPjSE_SF_SF_EESJ_SZ_SK_SL_SM_EUlSZ_E1_NS1_11comp_targetILNS1_3genE4ELNS1_11target_archE910ELNS1_3gpuE8ELNS1_3repE0EEENS1_36merge_oddeven_config_static_selectorELNS0_4arch9wavefront6targetE1EEEvSL_: ; @_ZN7rocprim17ROCPRIM_400000_NS6detail17trampoline_kernelINS0_14default_configENS1_38merge_sort_block_merge_config_selectorIjNS0_10empty_typeEEEZZNS1_27merge_sort_block_merge_implIS3_N6thrust23THRUST_200600_302600_NS6detail15normal_iteratorINS9_10device_ptrIjEEEEPS5_jNS1_19radix_merge_compareILb0ELb0EjNS0_19identity_decomposerEEEEE10hipError_tT0_T1_T2_jT3_P12ihipStream_tbPNSt15iterator_traitsISK_E10value_typeEPNSQ_ISL_E10value_typeEPSM_NS1_7vsmem_tEENKUlT_SK_SL_SM_E_clIPjSE_SF_SF_EESJ_SZ_SK_SL_SM_EUlSZ_E1_NS1_11comp_targetILNS1_3genE4ELNS1_11target_archE910ELNS1_3gpuE8ELNS1_3repE0EEENS1_36merge_oddeven_config_static_selectorELNS0_4arch9wavefront6targetE1EEEvSL_
; %bb.0:
	s_load_dword s18, s[4:5], 0x20
	s_waitcnt lgkmcnt(0)
	s_lshr_b32 s0, s18, 8
	s_cmp_lg_u32 s6, s0
	s_cselect_b64 s[14:15], -1, 0
	s_cmp_eq_u32 s6, s0
	s_cselect_b64 s[12:13], -1, 0
	s_lshl_b32 s16, s6, 8
	s_sub_i32 s0, s18, s16
	v_cmp_gt_u32_e64 s[2:3], s0, v0
	s_or_b64 s[0:1], s[14:15], s[2:3]
	s_and_saveexec_b64 s[8:9], s[0:1]
	s_cbranch_execz .LBB988_20
; %bb.1:
	s_load_dwordx4 s[8:11], s[4:5], 0x0
	s_load_dword s19, s[4:5], 0x24
	s_mov_b32 s17, 0
	s_lshl_b64 s[0:1], s[16:17], 2
	v_lshlrev_b32_e32 v1, 2, v0
	s_waitcnt lgkmcnt(0)
	s_add_u32 s0, s8, s0
	s_addc_u32 s1, s9, s1
	global_load_dword v2, v1, s[0:1]
	s_lshr_b32 s0, s19, 8
	s_sub_i32 s1, 0, s0
	s_and_b32 s1, s6, s1
	s_and_b32 s0, s1, s0
	s_lshl_b32 s20, s1, 8
	s_sub_i32 s6, 0, s19
	s_cmp_eq_u32 s0, 0
	s_cselect_b64 s[0:1], -1, 0
	s_and_b64 s[4:5], s[0:1], exec
	s_cselect_b32 s17, s19, s6
	s_add_i32 s17, s17, s20
	s_cmp_lt_u32 s17, s18
	v_add_u32_e32 v0, s16, v0
	s_cbranch_scc1 .LBB988_3
; %bb.2:
	v_cmp_gt_u32_e32 vcc, s18, v0
	s_or_b64 s[4:5], vcc, s[14:15]
	s_and_b64 s[4:5], s[4:5], exec
	s_cbranch_execz .LBB988_4
	s_branch .LBB988_18
.LBB988_3:
	s_mov_b64 s[4:5], 0
.LBB988_4:
	s_min_u32 s14, s17, s18
	s_add_i32 s6, s14, s19
	s_min_u32 s15, s6, s18
	s_min_u32 s6, s20, s14
	s_add_i32 s20, s20, s14
	v_subrev_u32_e32 v0, s20, v0
	v_add_u32_e32 v3, s6, v0
	s_and_b64 vcc, exec, s[12:13]
	s_cbranch_vccz .LBB988_12
; %bb.5:
                                        ; implicit-def: $vgpr0
	s_and_saveexec_b64 s[6:7], s[2:3]
	s_cbranch_execz .LBB988_11
; %bb.6:
	s_cmp_ge_u32 s17, s15
	v_mov_b32_e32 v4, s14
	s_cbranch_scc1 .LBB988_10
; %bb.7:
	s_mov_b64 s[2:3], 0
	v_mov_b32_e32 v5, s15
	v_mov_b32_e32 v4, s14
	;; [unrolled: 1-line block ×4, first 2 shown]
.LBB988_8:                              ; =>This Inner Loop Header: Depth=1
	v_add_u32_e32 v0, v4, v5
	v_lshrrev_b32_e32 v0, 1, v0
	v_lshlrev_b64 v[8:9], 2, v[0:1]
	v_add_co_u32_e32 v8, vcc, s8, v8
	v_addc_co_u32_e32 v9, vcc, v6, v9, vcc
	global_load_dword v7, v[8:9], off
	v_add_u32_e32 v8, 1, v0
	s_waitcnt vmcnt(0)
	v_cmp_gt_u32_e32 vcc, v2, v7
	v_cndmask_b32_e64 v9, 0, 1, vcc
	v_cmp_le_u32_e32 vcc, v7, v2
	v_cndmask_b32_e64 v7, 0, 1, vcc
	v_cndmask_b32_e64 v7, v7, v9, s[0:1]
	v_and_b32_e32 v7, 1, v7
	v_cmp_eq_u32_e32 vcc, 1, v7
	v_cndmask_b32_e32 v5, v0, v5, vcc
	v_cndmask_b32_e32 v4, v4, v8, vcc
	v_cmp_ge_u32_e32 vcc, v4, v5
	s_or_b64 s[2:3], vcc, s[2:3]
	s_andn2_b64 exec, exec, s[2:3]
	s_cbranch_execnz .LBB988_8
; %bb.9:
	s_or_b64 exec, exec, s[2:3]
.LBB988_10:
	v_add_u32_e32 v0, v4, v3
	s_or_b64 s[4:5], s[4:5], exec
.LBB988_11:
	s_or_b64 exec, exec, s[6:7]
	s_branch .LBB988_18
.LBB988_12:
                                        ; implicit-def: $vgpr0
	s_cbranch_execz .LBB988_18
; %bb.13:
	s_cmp_ge_u32 s17, s15
	v_mov_b32_e32 v4, s14
	s_cbranch_scc1 .LBB988_17
; %bb.14:
	s_mov_b64 s[2:3], 0
	v_mov_b32_e32 v5, s15
	v_mov_b32_e32 v4, s14
	;; [unrolled: 1-line block ×4, first 2 shown]
.LBB988_15:                             ; =>This Inner Loop Header: Depth=1
	v_add_u32_e32 v0, v4, v5
	v_lshrrev_b32_e32 v0, 1, v0
	v_lshlrev_b64 v[8:9], 2, v[0:1]
	v_add_co_u32_e32 v8, vcc, s8, v8
	v_addc_co_u32_e32 v9, vcc, v6, v9, vcc
	global_load_dword v7, v[8:9], off
	v_add_u32_e32 v8, 1, v0
	s_waitcnt vmcnt(0)
	v_cmp_gt_u32_e32 vcc, v2, v7
	v_cndmask_b32_e64 v9, 0, 1, vcc
	v_cmp_le_u32_e32 vcc, v7, v2
	v_cndmask_b32_e64 v7, 0, 1, vcc
	v_cndmask_b32_e64 v7, v7, v9, s[0:1]
	v_and_b32_e32 v7, 1, v7
	v_cmp_eq_u32_e32 vcc, 1, v7
	v_cndmask_b32_e32 v5, v0, v5, vcc
	v_cndmask_b32_e32 v4, v4, v8, vcc
	v_cmp_ge_u32_e32 vcc, v4, v5
	s_or_b64 s[2:3], vcc, s[2:3]
	s_andn2_b64 exec, exec, s[2:3]
	s_cbranch_execnz .LBB988_15
; %bb.16:
	s_or_b64 exec, exec, s[2:3]
.LBB988_17:
	v_add_u32_e32 v0, v4, v3
	s_mov_b64 s[4:5], -1
.LBB988_18:
	s_and_b64 exec, exec, s[4:5]
	s_cbranch_execz .LBB988_20
; %bb.19:
	v_mov_b32_e32 v1, 0
	v_lshlrev_b64 v[0:1], 2, v[0:1]
	v_mov_b32_e32 v3, s11
	v_add_co_u32_e32 v0, vcc, s10, v0
	v_addc_co_u32_e32 v1, vcc, v3, v1, vcc
	s_waitcnt vmcnt(0)
	global_store_dword v[0:1], v2, off
.LBB988_20:
	s_endpgm
	.section	.rodata,"a",@progbits
	.p2align	6, 0x0
	.amdhsa_kernel _ZN7rocprim17ROCPRIM_400000_NS6detail17trampoline_kernelINS0_14default_configENS1_38merge_sort_block_merge_config_selectorIjNS0_10empty_typeEEEZZNS1_27merge_sort_block_merge_implIS3_N6thrust23THRUST_200600_302600_NS6detail15normal_iteratorINS9_10device_ptrIjEEEEPS5_jNS1_19radix_merge_compareILb0ELb0EjNS0_19identity_decomposerEEEEE10hipError_tT0_T1_T2_jT3_P12ihipStream_tbPNSt15iterator_traitsISK_E10value_typeEPNSQ_ISL_E10value_typeEPSM_NS1_7vsmem_tEENKUlT_SK_SL_SM_E_clIPjSE_SF_SF_EESJ_SZ_SK_SL_SM_EUlSZ_E1_NS1_11comp_targetILNS1_3genE4ELNS1_11target_archE910ELNS1_3gpuE8ELNS1_3repE0EEENS1_36merge_oddeven_config_static_selectorELNS0_4arch9wavefront6targetE1EEEvSL_
		.amdhsa_group_segment_fixed_size 0
		.amdhsa_private_segment_fixed_size 0
		.amdhsa_kernarg_size 48
		.amdhsa_user_sgpr_count 6
		.amdhsa_user_sgpr_private_segment_buffer 1
		.amdhsa_user_sgpr_dispatch_ptr 0
		.amdhsa_user_sgpr_queue_ptr 0
		.amdhsa_user_sgpr_kernarg_segment_ptr 1
		.amdhsa_user_sgpr_dispatch_id 0
		.amdhsa_user_sgpr_flat_scratch_init 0
		.amdhsa_user_sgpr_kernarg_preload_length 0
		.amdhsa_user_sgpr_kernarg_preload_offset 0
		.amdhsa_user_sgpr_private_segment_size 0
		.amdhsa_uses_dynamic_stack 0
		.amdhsa_system_sgpr_private_segment_wavefront_offset 0
		.amdhsa_system_sgpr_workgroup_id_x 1
		.amdhsa_system_sgpr_workgroup_id_y 0
		.amdhsa_system_sgpr_workgroup_id_z 0
		.amdhsa_system_sgpr_workgroup_info 0
		.amdhsa_system_vgpr_workitem_id 0
		.amdhsa_next_free_vgpr 10
		.amdhsa_next_free_sgpr 21
		.amdhsa_accum_offset 12
		.amdhsa_reserve_vcc 1
		.amdhsa_reserve_flat_scratch 0
		.amdhsa_float_round_mode_32 0
		.amdhsa_float_round_mode_16_64 0
		.amdhsa_float_denorm_mode_32 3
		.amdhsa_float_denorm_mode_16_64 3
		.amdhsa_dx10_clamp 1
		.amdhsa_ieee_mode 1
		.amdhsa_fp16_overflow 0
		.amdhsa_tg_split 0
		.amdhsa_exception_fp_ieee_invalid_op 0
		.amdhsa_exception_fp_denorm_src 0
		.amdhsa_exception_fp_ieee_div_zero 0
		.amdhsa_exception_fp_ieee_overflow 0
		.amdhsa_exception_fp_ieee_underflow 0
		.amdhsa_exception_fp_ieee_inexact 0
		.amdhsa_exception_int_div_zero 0
	.end_amdhsa_kernel
	.section	.text._ZN7rocprim17ROCPRIM_400000_NS6detail17trampoline_kernelINS0_14default_configENS1_38merge_sort_block_merge_config_selectorIjNS0_10empty_typeEEEZZNS1_27merge_sort_block_merge_implIS3_N6thrust23THRUST_200600_302600_NS6detail15normal_iteratorINS9_10device_ptrIjEEEEPS5_jNS1_19radix_merge_compareILb0ELb0EjNS0_19identity_decomposerEEEEE10hipError_tT0_T1_T2_jT3_P12ihipStream_tbPNSt15iterator_traitsISK_E10value_typeEPNSQ_ISL_E10value_typeEPSM_NS1_7vsmem_tEENKUlT_SK_SL_SM_E_clIPjSE_SF_SF_EESJ_SZ_SK_SL_SM_EUlSZ_E1_NS1_11comp_targetILNS1_3genE4ELNS1_11target_archE910ELNS1_3gpuE8ELNS1_3repE0EEENS1_36merge_oddeven_config_static_selectorELNS0_4arch9wavefront6targetE1EEEvSL_,"axG",@progbits,_ZN7rocprim17ROCPRIM_400000_NS6detail17trampoline_kernelINS0_14default_configENS1_38merge_sort_block_merge_config_selectorIjNS0_10empty_typeEEEZZNS1_27merge_sort_block_merge_implIS3_N6thrust23THRUST_200600_302600_NS6detail15normal_iteratorINS9_10device_ptrIjEEEEPS5_jNS1_19radix_merge_compareILb0ELb0EjNS0_19identity_decomposerEEEEE10hipError_tT0_T1_T2_jT3_P12ihipStream_tbPNSt15iterator_traitsISK_E10value_typeEPNSQ_ISL_E10value_typeEPSM_NS1_7vsmem_tEENKUlT_SK_SL_SM_E_clIPjSE_SF_SF_EESJ_SZ_SK_SL_SM_EUlSZ_E1_NS1_11comp_targetILNS1_3genE4ELNS1_11target_archE910ELNS1_3gpuE8ELNS1_3repE0EEENS1_36merge_oddeven_config_static_selectorELNS0_4arch9wavefront6targetE1EEEvSL_,comdat
.Lfunc_end988:
	.size	_ZN7rocprim17ROCPRIM_400000_NS6detail17trampoline_kernelINS0_14default_configENS1_38merge_sort_block_merge_config_selectorIjNS0_10empty_typeEEEZZNS1_27merge_sort_block_merge_implIS3_N6thrust23THRUST_200600_302600_NS6detail15normal_iteratorINS9_10device_ptrIjEEEEPS5_jNS1_19radix_merge_compareILb0ELb0EjNS0_19identity_decomposerEEEEE10hipError_tT0_T1_T2_jT3_P12ihipStream_tbPNSt15iterator_traitsISK_E10value_typeEPNSQ_ISL_E10value_typeEPSM_NS1_7vsmem_tEENKUlT_SK_SL_SM_E_clIPjSE_SF_SF_EESJ_SZ_SK_SL_SM_EUlSZ_E1_NS1_11comp_targetILNS1_3genE4ELNS1_11target_archE910ELNS1_3gpuE8ELNS1_3repE0EEENS1_36merge_oddeven_config_static_selectorELNS0_4arch9wavefront6targetE1EEEvSL_, .Lfunc_end988-_ZN7rocprim17ROCPRIM_400000_NS6detail17trampoline_kernelINS0_14default_configENS1_38merge_sort_block_merge_config_selectorIjNS0_10empty_typeEEEZZNS1_27merge_sort_block_merge_implIS3_N6thrust23THRUST_200600_302600_NS6detail15normal_iteratorINS9_10device_ptrIjEEEEPS5_jNS1_19radix_merge_compareILb0ELb0EjNS0_19identity_decomposerEEEEE10hipError_tT0_T1_T2_jT3_P12ihipStream_tbPNSt15iterator_traitsISK_E10value_typeEPNSQ_ISL_E10value_typeEPSM_NS1_7vsmem_tEENKUlT_SK_SL_SM_E_clIPjSE_SF_SF_EESJ_SZ_SK_SL_SM_EUlSZ_E1_NS1_11comp_targetILNS1_3genE4ELNS1_11target_archE910ELNS1_3gpuE8ELNS1_3repE0EEENS1_36merge_oddeven_config_static_selectorELNS0_4arch9wavefront6targetE1EEEvSL_
                                        ; -- End function
	.section	.AMDGPU.csdata,"",@progbits
; Kernel info:
; codeLenInByte = 588
; NumSgprs: 25
; NumVgprs: 10
; NumAgprs: 0
; TotalNumVgprs: 10
; ScratchSize: 0
; MemoryBound: 0
; FloatMode: 240
; IeeeMode: 1
; LDSByteSize: 0 bytes/workgroup (compile time only)
; SGPRBlocks: 3
; VGPRBlocks: 1
; NumSGPRsForWavesPerEU: 25
; NumVGPRsForWavesPerEU: 10
; AccumOffset: 12
; Occupancy: 8
; WaveLimiterHint : 0
; COMPUTE_PGM_RSRC2:SCRATCH_EN: 0
; COMPUTE_PGM_RSRC2:USER_SGPR: 6
; COMPUTE_PGM_RSRC2:TRAP_HANDLER: 0
; COMPUTE_PGM_RSRC2:TGID_X_EN: 1
; COMPUTE_PGM_RSRC2:TGID_Y_EN: 0
; COMPUTE_PGM_RSRC2:TGID_Z_EN: 0
; COMPUTE_PGM_RSRC2:TIDIG_COMP_CNT: 0
; COMPUTE_PGM_RSRC3_GFX90A:ACCUM_OFFSET: 2
; COMPUTE_PGM_RSRC3_GFX90A:TG_SPLIT: 0
	.section	.text._ZN7rocprim17ROCPRIM_400000_NS6detail17trampoline_kernelINS0_14default_configENS1_38merge_sort_block_merge_config_selectorIjNS0_10empty_typeEEEZZNS1_27merge_sort_block_merge_implIS3_N6thrust23THRUST_200600_302600_NS6detail15normal_iteratorINS9_10device_ptrIjEEEEPS5_jNS1_19radix_merge_compareILb0ELb0EjNS0_19identity_decomposerEEEEE10hipError_tT0_T1_T2_jT3_P12ihipStream_tbPNSt15iterator_traitsISK_E10value_typeEPNSQ_ISL_E10value_typeEPSM_NS1_7vsmem_tEENKUlT_SK_SL_SM_E_clIPjSE_SF_SF_EESJ_SZ_SK_SL_SM_EUlSZ_E1_NS1_11comp_targetILNS1_3genE3ELNS1_11target_archE908ELNS1_3gpuE7ELNS1_3repE0EEENS1_36merge_oddeven_config_static_selectorELNS0_4arch9wavefront6targetE1EEEvSL_,"axG",@progbits,_ZN7rocprim17ROCPRIM_400000_NS6detail17trampoline_kernelINS0_14default_configENS1_38merge_sort_block_merge_config_selectorIjNS0_10empty_typeEEEZZNS1_27merge_sort_block_merge_implIS3_N6thrust23THRUST_200600_302600_NS6detail15normal_iteratorINS9_10device_ptrIjEEEEPS5_jNS1_19radix_merge_compareILb0ELb0EjNS0_19identity_decomposerEEEEE10hipError_tT0_T1_T2_jT3_P12ihipStream_tbPNSt15iterator_traitsISK_E10value_typeEPNSQ_ISL_E10value_typeEPSM_NS1_7vsmem_tEENKUlT_SK_SL_SM_E_clIPjSE_SF_SF_EESJ_SZ_SK_SL_SM_EUlSZ_E1_NS1_11comp_targetILNS1_3genE3ELNS1_11target_archE908ELNS1_3gpuE7ELNS1_3repE0EEENS1_36merge_oddeven_config_static_selectorELNS0_4arch9wavefront6targetE1EEEvSL_,comdat
	.protected	_ZN7rocprim17ROCPRIM_400000_NS6detail17trampoline_kernelINS0_14default_configENS1_38merge_sort_block_merge_config_selectorIjNS0_10empty_typeEEEZZNS1_27merge_sort_block_merge_implIS3_N6thrust23THRUST_200600_302600_NS6detail15normal_iteratorINS9_10device_ptrIjEEEEPS5_jNS1_19radix_merge_compareILb0ELb0EjNS0_19identity_decomposerEEEEE10hipError_tT0_T1_T2_jT3_P12ihipStream_tbPNSt15iterator_traitsISK_E10value_typeEPNSQ_ISL_E10value_typeEPSM_NS1_7vsmem_tEENKUlT_SK_SL_SM_E_clIPjSE_SF_SF_EESJ_SZ_SK_SL_SM_EUlSZ_E1_NS1_11comp_targetILNS1_3genE3ELNS1_11target_archE908ELNS1_3gpuE7ELNS1_3repE0EEENS1_36merge_oddeven_config_static_selectorELNS0_4arch9wavefront6targetE1EEEvSL_ ; -- Begin function _ZN7rocprim17ROCPRIM_400000_NS6detail17trampoline_kernelINS0_14default_configENS1_38merge_sort_block_merge_config_selectorIjNS0_10empty_typeEEEZZNS1_27merge_sort_block_merge_implIS3_N6thrust23THRUST_200600_302600_NS6detail15normal_iteratorINS9_10device_ptrIjEEEEPS5_jNS1_19radix_merge_compareILb0ELb0EjNS0_19identity_decomposerEEEEE10hipError_tT0_T1_T2_jT3_P12ihipStream_tbPNSt15iterator_traitsISK_E10value_typeEPNSQ_ISL_E10value_typeEPSM_NS1_7vsmem_tEENKUlT_SK_SL_SM_E_clIPjSE_SF_SF_EESJ_SZ_SK_SL_SM_EUlSZ_E1_NS1_11comp_targetILNS1_3genE3ELNS1_11target_archE908ELNS1_3gpuE7ELNS1_3repE0EEENS1_36merge_oddeven_config_static_selectorELNS0_4arch9wavefront6targetE1EEEvSL_
	.globl	_ZN7rocprim17ROCPRIM_400000_NS6detail17trampoline_kernelINS0_14default_configENS1_38merge_sort_block_merge_config_selectorIjNS0_10empty_typeEEEZZNS1_27merge_sort_block_merge_implIS3_N6thrust23THRUST_200600_302600_NS6detail15normal_iteratorINS9_10device_ptrIjEEEEPS5_jNS1_19radix_merge_compareILb0ELb0EjNS0_19identity_decomposerEEEEE10hipError_tT0_T1_T2_jT3_P12ihipStream_tbPNSt15iterator_traitsISK_E10value_typeEPNSQ_ISL_E10value_typeEPSM_NS1_7vsmem_tEENKUlT_SK_SL_SM_E_clIPjSE_SF_SF_EESJ_SZ_SK_SL_SM_EUlSZ_E1_NS1_11comp_targetILNS1_3genE3ELNS1_11target_archE908ELNS1_3gpuE7ELNS1_3repE0EEENS1_36merge_oddeven_config_static_selectorELNS0_4arch9wavefront6targetE1EEEvSL_
	.p2align	8
	.type	_ZN7rocprim17ROCPRIM_400000_NS6detail17trampoline_kernelINS0_14default_configENS1_38merge_sort_block_merge_config_selectorIjNS0_10empty_typeEEEZZNS1_27merge_sort_block_merge_implIS3_N6thrust23THRUST_200600_302600_NS6detail15normal_iteratorINS9_10device_ptrIjEEEEPS5_jNS1_19radix_merge_compareILb0ELb0EjNS0_19identity_decomposerEEEEE10hipError_tT0_T1_T2_jT3_P12ihipStream_tbPNSt15iterator_traitsISK_E10value_typeEPNSQ_ISL_E10value_typeEPSM_NS1_7vsmem_tEENKUlT_SK_SL_SM_E_clIPjSE_SF_SF_EESJ_SZ_SK_SL_SM_EUlSZ_E1_NS1_11comp_targetILNS1_3genE3ELNS1_11target_archE908ELNS1_3gpuE7ELNS1_3repE0EEENS1_36merge_oddeven_config_static_selectorELNS0_4arch9wavefront6targetE1EEEvSL_,@function
_ZN7rocprim17ROCPRIM_400000_NS6detail17trampoline_kernelINS0_14default_configENS1_38merge_sort_block_merge_config_selectorIjNS0_10empty_typeEEEZZNS1_27merge_sort_block_merge_implIS3_N6thrust23THRUST_200600_302600_NS6detail15normal_iteratorINS9_10device_ptrIjEEEEPS5_jNS1_19radix_merge_compareILb0ELb0EjNS0_19identity_decomposerEEEEE10hipError_tT0_T1_T2_jT3_P12ihipStream_tbPNSt15iterator_traitsISK_E10value_typeEPNSQ_ISL_E10value_typeEPSM_NS1_7vsmem_tEENKUlT_SK_SL_SM_E_clIPjSE_SF_SF_EESJ_SZ_SK_SL_SM_EUlSZ_E1_NS1_11comp_targetILNS1_3genE3ELNS1_11target_archE908ELNS1_3gpuE7ELNS1_3repE0EEENS1_36merge_oddeven_config_static_selectorELNS0_4arch9wavefront6targetE1EEEvSL_: ; @_ZN7rocprim17ROCPRIM_400000_NS6detail17trampoline_kernelINS0_14default_configENS1_38merge_sort_block_merge_config_selectorIjNS0_10empty_typeEEEZZNS1_27merge_sort_block_merge_implIS3_N6thrust23THRUST_200600_302600_NS6detail15normal_iteratorINS9_10device_ptrIjEEEEPS5_jNS1_19radix_merge_compareILb0ELb0EjNS0_19identity_decomposerEEEEE10hipError_tT0_T1_T2_jT3_P12ihipStream_tbPNSt15iterator_traitsISK_E10value_typeEPNSQ_ISL_E10value_typeEPSM_NS1_7vsmem_tEENKUlT_SK_SL_SM_E_clIPjSE_SF_SF_EESJ_SZ_SK_SL_SM_EUlSZ_E1_NS1_11comp_targetILNS1_3genE3ELNS1_11target_archE908ELNS1_3gpuE7ELNS1_3repE0EEENS1_36merge_oddeven_config_static_selectorELNS0_4arch9wavefront6targetE1EEEvSL_
; %bb.0:
	.section	.rodata,"a",@progbits
	.p2align	6, 0x0
	.amdhsa_kernel _ZN7rocprim17ROCPRIM_400000_NS6detail17trampoline_kernelINS0_14default_configENS1_38merge_sort_block_merge_config_selectorIjNS0_10empty_typeEEEZZNS1_27merge_sort_block_merge_implIS3_N6thrust23THRUST_200600_302600_NS6detail15normal_iteratorINS9_10device_ptrIjEEEEPS5_jNS1_19radix_merge_compareILb0ELb0EjNS0_19identity_decomposerEEEEE10hipError_tT0_T1_T2_jT3_P12ihipStream_tbPNSt15iterator_traitsISK_E10value_typeEPNSQ_ISL_E10value_typeEPSM_NS1_7vsmem_tEENKUlT_SK_SL_SM_E_clIPjSE_SF_SF_EESJ_SZ_SK_SL_SM_EUlSZ_E1_NS1_11comp_targetILNS1_3genE3ELNS1_11target_archE908ELNS1_3gpuE7ELNS1_3repE0EEENS1_36merge_oddeven_config_static_selectorELNS0_4arch9wavefront6targetE1EEEvSL_
		.amdhsa_group_segment_fixed_size 0
		.amdhsa_private_segment_fixed_size 0
		.amdhsa_kernarg_size 48
		.amdhsa_user_sgpr_count 6
		.amdhsa_user_sgpr_private_segment_buffer 1
		.amdhsa_user_sgpr_dispatch_ptr 0
		.amdhsa_user_sgpr_queue_ptr 0
		.amdhsa_user_sgpr_kernarg_segment_ptr 1
		.amdhsa_user_sgpr_dispatch_id 0
		.amdhsa_user_sgpr_flat_scratch_init 0
		.amdhsa_user_sgpr_kernarg_preload_length 0
		.amdhsa_user_sgpr_kernarg_preload_offset 0
		.amdhsa_user_sgpr_private_segment_size 0
		.amdhsa_uses_dynamic_stack 0
		.amdhsa_system_sgpr_private_segment_wavefront_offset 0
		.amdhsa_system_sgpr_workgroup_id_x 1
		.amdhsa_system_sgpr_workgroup_id_y 0
		.amdhsa_system_sgpr_workgroup_id_z 0
		.amdhsa_system_sgpr_workgroup_info 0
		.amdhsa_system_vgpr_workitem_id 0
		.amdhsa_next_free_vgpr 1
		.amdhsa_next_free_sgpr 0
		.amdhsa_accum_offset 4
		.amdhsa_reserve_vcc 0
		.amdhsa_reserve_flat_scratch 0
		.amdhsa_float_round_mode_32 0
		.amdhsa_float_round_mode_16_64 0
		.amdhsa_float_denorm_mode_32 3
		.amdhsa_float_denorm_mode_16_64 3
		.amdhsa_dx10_clamp 1
		.amdhsa_ieee_mode 1
		.amdhsa_fp16_overflow 0
		.amdhsa_tg_split 0
		.amdhsa_exception_fp_ieee_invalid_op 0
		.amdhsa_exception_fp_denorm_src 0
		.amdhsa_exception_fp_ieee_div_zero 0
		.amdhsa_exception_fp_ieee_overflow 0
		.amdhsa_exception_fp_ieee_underflow 0
		.amdhsa_exception_fp_ieee_inexact 0
		.amdhsa_exception_int_div_zero 0
	.end_amdhsa_kernel
	.section	.text._ZN7rocprim17ROCPRIM_400000_NS6detail17trampoline_kernelINS0_14default_configENS1_38merge_sort_block_merge_config_selectorIjNS0_10empty_typeEEEZZNS1_27merge_sort_block_merge_implIS3_N6thrust23THRUST_200600_302600_NS6detail15normal_iteratorINS9_10device_ptrIjEEEEPS5_jNS1_19radix_merge_compareILb0ELb0EjNS0_19identity_decomposerEEEEE10hipError_tT0_T1_T2_jT3_P12ihipStream_tbPNSt15iterator_traitsISK_E10value_typeEPNSQ_ISL_E10value_typeEPSM_NS1_7vsmem_tEENKUlT_SK_SL_SM_E_clIPjSE_SF_SF_EESJ_SZ_SK_SL_SM_EUlSZ_E1_NS1_11comp_targetILNS1_3genE3ELNS1_11target_archE908ELNS1_3gpuE7ELNS1_3repE0EEENS1_36merge_oddeven_config_static_selectorELNS0_4arch9wavefront6targetE1EEEvSL_,"axG",@progbits,_ZN7rocprim17ROCPRIM_400000_NS6detail17trampoline_kernelINS0_14default_configENS1_38merge_sort_block_merge_config_selectorIjNS0_10empty_typeEEEZZNS1_27merge_sort_block_merge_implIS3_N6thrust23THRUST_200600_302600_NS6detail15normal_iteratorINS9_10device_ptrIjEEEEPS5_jNS1_19radix_merge_compareILb0ELb0EjNS0_19identity_decomposerEEEEE10hipError_tT0_T1_T2_jT3_P12ihipStream_tbPNSt15iterator_traitsISK_E10value_typeEPNSQ_ISL_E10value_typeEPSM_NS1_7vsmem_tEENKUlT_SK_SL_SM_E_clIPjSE_SF_SF_EESJ_SZ_SK_SL_SM_EUlSZ_E1_NS1_11comp_targetILNS1_3genE3ELNS1_11target_archE908ELNS1_3gpuE7ELNS1_3repE0EEENS1_36merge_oddeven_config_static_selectorELNS0_4arch9wavefront6targetE1EEEvSL_,comdat
.Lfunc_end989:
	.size	_ZN7rocprim17ROCPRIM_400000_NS6detail17trampoline_kernelINS0_14default_configENS1_38merge_sort_block_merge_config_selectorIjNS0_10empty_typeEEEZZNS1_27merge_sort_block_merge_implIS3_N6thrust23THRUST_200600_302600_NS6detail15normal_iteratorINS9_10device_ptrIjEEEEPS5_jNS1_19radix_merge_compareILb0ELb0EjNS0_19identity_decomposerEEEEE10hipError_tT0_T1_T2_jT3_P12ihipStream_tbPNSt15iterator_traitsISK_E10value_typeEPNSQ_ISL_E10value_typeEPSM_NS1_7vsmem_tEENKUlT_SK_SL_SM_E_clIPjSE_SF_SF_EESJ_SZ_SK_SL_SM_EUlSZ_E1_NS1_11comp_targetILNS1_3genE3ELNS1_11target_archE908ELNS1_3gpuE7ELNS1_3repE0EEENS1_36merge_oddeven_config_static_selectorELNS0_4arch9wavefront6targetE1EEEvSL_, .Lfunc_end989-_ZN7rocprim17ROCPRIM_400000_NS6detail17trampoline_kernelINS0_14default_configENS1_38merge_sort_block_merge_config_selectorIjNS0_10empty_typeEEEZZNS1_27merge_sort_block_merge_implIS3_N6thrust23THRUST_200600_302600_NS6detail15normal_iteratorINS9_10device_ptrIjEEEEPS5_jNS1_19radix_merge_compareILb0ELb0EjNS0_19identity_decomposerEEEEE10hipError_tT0_T1_T2_jT3_P12ihipStream_tbPNSt15iterator_traitsISK_E10value_typeEPNSQ_ISL_E10value_typeEPSM_NS1_7vsmem_tEENKUlT_SK_SL_SM_E_clIPjSE_SF_SF_EESJ_SZ_SK_SL_SM_EUlSZ_E1_NS1_11comp_targetILNS1_3genE3ELNS1_11target_archE908ELNS1_3gpuE7ELNS1_3repE0EEENS1_36merge_oddeven_config_static_selectorELNS0_4arch9wavefront6targetE1EEEvSL_
                                        ; -- End function
	.section	.AMDGPU.csdata,"",@progbits
; Kernel info:
; codeLenInByte = 0
; NumSgprs: 4
; NumVgprs: 0
; NumAgprs: 0
; TotalNumVgprs: 0
; ScratchSize: 0
; MemoryBound: 0
; FloatMode: 240
; IeeeMode: 1
; LDSByteSize: 0 bytes/workgroup (compile time only)
; SGPRBlocks: 0
; VGPRBlocks: 0
; NumSGPRsForWavesPerEU: 4
; NumVGPRsForWavesPerEU: 1
; AccumOffset: 4
; Occupancy: 8
; WaveLimiterHint : 0
; COMPUTE_PGM_RSRC2:SCRATCH_EN: 0
; COMPUTE_PGM_RSRC2:USER_SGPR: 6
; COMPUTE_PGM_RSRC2:TRAP_HANDLER: 0
; COMPUTE_PGM_RSRC2:TGID_X_EN: 1
; COMPUTE_PGM_RSRC2:TGID_Y_EN: 0
; COMPUTE_PGM_RSRC2:TGID_Z_EN: 0
; COMPUTE_PGM_RSRC2:TIDIG_COMP_CNT: 0
; COMPUTE_PGM_RSRC3_GFX90A:ACCUM_OFFSET: 0
; COMPUTE_PGM_RSRC3_GFX90A:TG_SPLIT: 0
	.section	.text._ZN7rocprim17ROCPRIM_400000_NS6detail17trampoline_kernelINS0_14default_configENS1_38merge_sort_block_merge_config_selectorIjNS0_10empty_typeEEEZZNS1_27merge_sort_block_merge_implIS3_N6thrust23THRUST_200600_302600_NS6detail15normal_iteratorINS9_10device_ptrIjEEEEPS5_jNS1_19radix_merge_compareILb0ELb0EjNS0_19identity_decomposerEEEEE10hipError_tT0_T1_T2_jT3_P12ihipStream_tbPNSt15iterator_traitsISK_E10value_typeEPNSQ_ISL_E10value_typeEPSM_NS1_7vsmem_tEENKUlT_SK_SL_SM_E_clIPjSE_SF_SF_EESJ_SZ_SK_SL_SM_EUlSZ_E1_NS1_11comp_targetILNS1_3genE2ELNS1_11target_archE906ELNS1_3gpuE6ELNS1_3repE0EEENS1_36merge_oddeven_config_static_selectorELNS0_4arch9wavefront6targetE1EEEvSL_,"axG",@progbits,_ZN7rocprim17ROCPRIM_400000_NS6detail17trampoline_kernelINS0_14default_configENS1_38merge_sort_block_merge_config_selectorIjNS0_10empty_typeEEEZZNS1_27merge_sort_block_merge_implIS3_N6thrust23THRUST_200600_302600_NS6detail15normal_iteratorINS9_10device_ptrIjEEEEPS5_jNS1_19radix_merge_compareILb0ELb0EjNS0_19identity_decomposerEEEEE10hipError_tT0_T1_T2_jT3_P12ihipStream_tbPNSt15iterator_traitsISK_E10value_typeEPNSQ_ISL_E10value_typeEPSM_NS1_7vsmem_tEENKUlT_SK_SL_SM_E_clIPjSE_SF_SF_EESJ_SZ_SK_SL_SM_EUlSZ_E1_NS1_11comp_targetILNS1_3genE2ELNS1_11target_archE906ELNS1_3gpuE6ELNS1_3repE0EEENS1_36merge_oddeven_config_static_selectorELNS0_4arch9wavefront6targetE1EEEvSL_,comdat
	.protected	_ZN7rocprim17ROCPRIM_400000_NS6detail17trampoline_kernelINS0_14default_configENS1_38merge_sort_block_merge_config_selectorIjNS0_10empty_typeEEEZZNS1_27merge_sort_block_merge_implIS3_N6thrust23THRUST_200600_302600_NS6detail15normal_iteratorINS9_10device_ptrIjEEEEPS5_jNS1_19radix_merge_compareILb0ELb0EjNS0_19identity_decomposerEEEEE10hipError_tT0_T1_T2_jT3_P12ihipStream_tbPNSt15iterator_traitsISK_E10value_typeEPNSQ_ISL_E10value_typeEPSM_NS1_7vsmem_tEENKUlT_SK_SL_SM_E_clIPjSE_SF_SF_EESJ_SZ_SK_SL_SM_EUlSZ_E1_NS1_11comp_targetILNS1_3genE2ELNS1_11target_archE906ELNS1_3gpuE6ELNS1_3repE0EEENS1_36merge_oddeven_config_static_selectorELNS0_4arch9wavefront6targetE1EEEvSL_ ; -- Begin function _ZN7rocprim17ROCPRIM_400000_NS6detail17trampoline_kernelINS0_14default_configENS1_38merge_sort_block_merge_config_selectorIjNS0_10empty_typeEEEZZNS1_27merge_sort_block_merge_implIS3_N6thrust23THRUST_200600_302600_NS6detail15normal_iteratorINS9_10device_ptrIjEEEEPS5_jNS1_19radix_merge_compareILb0ELb0EjNS0_19identity_decomposerEEEEE10hipError_tT0_T1_T2_jT3_P12ihipStream_tbPNSt15iterator_traitsISK_E10value_typeEPNSQ_ISL_E10value_typeEPSM_NS1_7vsmem_tEENKUlT_SK_SL_SM_E_clIPjSE_SF_SF_EESJ_SZ_SK_SL_SM_EUlSZ_E1_NS1_11comp_targetILNS1_3genE2ELNS1_11target_archE906ELNS1_3gpuE6ELNS1_3repE0EEENS1_36merge_oddeven_config_static_selectorELNS0_4arch9wavefront6targetE1EEEvSL_
	.globl	_ZN7rocprim17ROCPRIM_400000_NS6detail17trampoline_kernelINS0_14default_configENS1_38merge_sort_block_merge_config_selectorIjNS0_10empty_typeEEEZZNS1_27merge_sort_block_merge_implIS3_N6thrust23THRUST_200600_302600_NS6detail15normal_iteratorINS9_10device_ptrIjEEEEPS5_jNS1_19radix_merge_compareILb0ELb0EjNS0_19identity_decomposerEEEEE10hipError_tT0_T1_T2_jT3_P12ihipStream_tbPNSt15iterator_traitsISK_E10value_typeEPNSQ_ISL_E10value_typeEPSM_NS1_7vsmem_tEENKUlT_SK_SL_SM_E_clIPjSE_SF_SF_EESJ_SZ_SK_SL_SM_EUlSZ_E1_NS1_11comp_targetILNS1_3genE2ELNS1_11target_archE906ELNS1_3gpuE6ELNS1_3repE0EEENS1_36merge_oddeven_config_static_selectorELNS0_4arch9wavefront6targetE1EEEvSL_
	.p2align	8
	.type	_ZN7rocprim17ROCPRIM_400000_NS6detail17trampoline_kernelINS0_14default_configENS1_38merge_sort_block_merge_config_selectorIjNS0_10empty_typeEEEZZNS1_27merge_sort_block_merge_implIS3_N6thrust23THRUST_200600_302600_NS6detail15normal_iteratorINS9_10device_ptrIjEEEEPS5_jNS1_19radix_merge_compareILb0ELb0EjNS0_19identity_decomposerEEEEE10hipError_tT0_T1_T2_jT3_P12ihipStream_tbPNSt15iterator_traitsISK_E10value_typeEPNSQ_ISL_E10value_typeEPSM_NS1_7vsmem_tEENKUlT_SK_SL_SM_E_clIPjSE_SF_SF_EESJ_SZ_SK_SL_SM_EUlSZ_E1_NS1_11comp_targetILNS1_3genE2ELNS1_11target_archE906ELNS1_3gpuE6ELNS1_3repE0EEENS1_36merge_oddeven_config_static_selectorELNS0_4arch9wavefront6targetE1EEEvSL_,@function
_ZN7rocprim17ROCPRIM_400000_NS6detail17trampoline_kernelINS0_14default_configENS1_38merge_sort_block_merge_config_selectorIjNS0_10empty_typeEEEZZNS1_27merge_sort_block_merge_implIS3_N6thrust23THRUST_200600_302600_NS6detail15normal_iteratorINS9_10device_ptrIjEEEEPS5_jNS1_19radix_merge_compareILb0ELb0EjNS0_19identity_decomposerEEEEE10hipError_tT0_T1_T2_jT3_P12ihipStream_tbPNSt15iterator_traitsISK_E10value_typeEPNSQ_ISL_E10value_typeEPSM_NS1_7vsmem_tEENKUlT_SK_SL_SM_E_clIPjSE_SF_SF_EESJ_SZ_SK_SL_SM_EUlSZ_E1_NS1_11comp_targetILNS1_3genE2ELNS1_11target_archE906ELNS1_3gpuE6ELNS1_3repE0EEENS1_36merge_oddeven_config_static_selectorELNS0_4arch9wavefront6targetE1EEEvSL_: ; @_ZN7rocprim17ROCPRIM_400000_NS6detail17trampoline_kernelINS0_14default_configENS1_38merge_sort_block_merge_config_selectorIjNS0_10empty_typeEEEZZNS1_27merge_sort_block_merge_implIS3_N6thrust23THRUST_200600_302600_NS6detail15normal_iteratorINS9_10device_ptrIjEEEEPS5_jNS1_19radix_merge_compareILb0ELb0EjNS0_19identity_decomposerEEEEE10hipError_tT0_T1_T2_jT3_P12ihipStream_tbPNSt15iterator_traitsISK_E10value_typeEPNSQ_ISL_E10value_typeEPSM_NS1_7vsmem_tEENKUlT_SK_SL_SM_E_clIPjSE_SF_SF_EESJ_SZ_SK_SL_SM_EUlSZ_E1_NS1_11comp_targetILNS1_3genE2ELNS1_11target_archE906ELNS1_3gpuE6ELNS1_3repE0EEENS1_36merge_oddeven_config_static_selectorELNS0_4arch9wavefront6targetE1EEEvSL_
; %bb.0:
	.section	.rodata,"a",@progbits
	.p2align	6, 0x0
	.amdhsa_kernel _ZN7rocprim17ROCPRIM_400000_NS6detail17trampoline_kernelINS0_14default_configENS1_38merge_sort_block_merge_config_selectorIjNS0_10empty_typeEEEZZNS1_27merge_sort_block_merge_implIS3_N6thrust23THRUST_200600_302600_NS6detail15normal_iteratorINS9_10device_ptrIjEEEEPS5_jNS1_19radix_merge_compareILb0ELb0EjNS0_19identity_decomposerEEEEE10hipError_tT0_T1_T2_jT3_P12ihipStream_tbPNSt15iterator_traitsISK_E10value_typeEPNSQ_ISL_E10value_typeEPSM_NS1_7vsmem_tEENKUlT_SK_SL_SM_E_clIPjSE_SF_SF_EESJ_SZ_SK_SL_SM_EUlSZ_E1_NS1_11comp_targetILNS1_3genE2ELNS1_11target_archE906ELNS1_3gpuE6ELNS1_3repE0EEENS1_36merge_oddeven_config_static_selectorELNS0_4arch9wavefront6targetE1EEEvSL_
		.amdhsa_group_segment_fixed_size 0
		.amdhsa_private_segment_fixed_size 0
		.amdhsa_kernarg_size 48
		.amdhsa_user_sgpr_count 6
		.amdhsa_user_sgpr_private_segment_buffer 1
		.amdhsa_user_sgpr_dispatch_ptr 0
		.amdhsa_user_sgpr_queue_ptr 0
		.amdhsa_user_sgpr_kernarg_segment_ptr 1
		.amdhsa_user_sgpr_dispatch_id 0
		.amdhsa_user_sgpr_flat_scratch_init 0
		.amdhsa_user_sgpr_kernarg_preload_length 0
		.amdhsa_user_sgpr_kernarg_preload_offset 0
		.amdhsa_user_sgpr_private_segment_size 0
		.amdhsa_uses_dynamic_stack 0
		.amdhsa_system_sgpr_private_segment_wavefront_offset 0
		.amdhsa_system_sgpr_workgroup_id_x 1
		.amdhsa_system_sgpr_workgroup_id_y 0
		.amdhsa_system_sgpr_workgroup_id_z 0
		.amdhsa_system_sgpr_workgroup_info 0
		.amdhsa_system_vgpr_workitem_id 0
		.amdhsa_next_free_vgpr 1
		.amdhsa_next_free_sgpr 0
		.amdhsa_accum_offset 4
		.amdhsa_reserve_vcc 0
		.amdhsa_reserve_flat_scratch 0
		.amdhsa_float_round_mode_32 0
		.amdhsa_float_round_mode_16_64 0
		.amdhsa_float_denorm_mode_32 3
		.amdhsa_float_denorm_mode_16_64 3
		.amdhsa_dx10_clamp 1
		.amdhsa_ieee_mode 1
		.amdhsa_fp16_overflow 0
		.amdhsa_tg_split 0
		.amdhsa_exception_fp_ieee_invalid_op 0
		.amdhsa_exception_fp_denorm_src 0
		.amdhsa_exception_fp_ieee_div_zero 0
		.amdhsa_exception_fp_ieee_overflow 0
		.amdhsa_exception_fp_ieee_underflow 0
		.amdhsa_exception_fp_ieee_inexact 0
		.amdhsa_exception_int_div_zero 0
	.end_amdhsa_kernel
	.section	.text._ZN7rocprim17ROCPRIM_400000_NS6detail17trampoline_kernelINS0_14default_configENS1_38merge_sort_block_merge_config_selectorIjNS0_10empty_typeEEEZZNS1_27merge_sort_block_merge_implIS3_N6thrust23THRUST_200600_302600_NS6detail15normal_iteratorINS9_10device_ptrIjEEEEPS5_jNS1_19radix_merge_compareILb0ELb0EjNS0_19identity_decomposerEEEEE10hipError_tT0_T1_T2_jT3_P12ihipStream_tbPNSt15iterator_traitsISK_E10value_typeEPNSQ_ISL_E10value_typeEPSM_NS1_7vsmem_tEENKUlT_SK_SL_SM_E_clIPjSE_SF_SF_EESJ_SZ_SK_SL_SM_EUlSZ_E1_NS1_11comp_targetILNS1_3genE2ELNS1_11target_archE906ELNS1_3gpuE6ELNS1_3repE0EEENS1_36merge_oddeven_config_static_selectorELNS0_4arch9wavefront6targetE1EEEvSL_,"axG",@progbits,_ZN7rocprim17ROCPRIM_400000_NS6detail17trampoline_kernelINS0_14default_configENS1_38merge_sort_block_merge_config_selectorIjNS0_10empty_typeEEEZZNS1_27merge_sort_block_merge_implIS3_N6thrust23THRUST_200600_302600_NS6detail15normal_iteratorINS9_10device_ptrIjEEEEPS5_jNS1_19radix_merge_compareILb0ELb0EjNS0_19identity_decomposerEEEEE10hipError_tT0_T1_T2_jT3_P12ihipStream_tbPNSt15iterator_traitsISK_E10value_typeEPNSQ_ISL_E10value_typeEPSM_NS1_7vsmem_tEENKUlT_SK_SL_SM_E_clIPjSE_SF_SF_EESJ_SZ_SK_SL_SM_EUlSZ_E1_NS1_11comp_targetILNS1_3genE2ELNS1_11target_archE906ELNS1_3gpuE6ELNS1_3repE0EEENS1_36merge_oddeven_config_static_selectorELNS0_4arch9wavefront6targetE1EEEvSL_,comdat
.Lfunc_end990:
	.size	_ZN7rocprim17ROCPRIM_400000_NS6detail17trampoline_kernelINS0_14default_configENS1_38merge_sort_block_merge_config_selectorIjNS0_10empty_typeEEEZZNS1_27merge_sort_block_merge_implIS3_N6thrust23THRUST_200600_302600_NS6detail15normal_iteratorINS9_10device_ptrIjEEEEPS5_jNS1_19radix_merge_compareILb0ELb0EjNS0_19identity_decomposerEEEEE10hipError_tT0_T1_T2_jT3_P12ihipStream_tbPNSt15iterator_traitsISK_E10value_typeEPNSQ_ISL_E10value_typeEPSM_NS1_7vsmem_tEENKUlT_SK_SL_SM_E_clIPjSE_SF_SF_EESJ_SZ_SK_SL_SM_EUlSZ_E1_NS1_11comp_targetILNS1_3genE2ELNS1_11target_archE906ELNS1_3gpuE6ELNS1_3repE0EEENS1_36merge_oddeven_config_static_selectorELNS0_4arch9wavefront6targetE1EEEvSL_, .Lfunc_end990-_ZN7rocprim17ROCPRIM_400000_NS6detail17trampoline_kernelINS0_14default_configENS1_38merge_sort_block_merge_config_selectorIjNS0_10empty_typeEEEZZNS1_27merge_sort_block_merge_implIS3_N6thrust23THRUST_200600_302600_NS6detail15normal_iteratorINS9_10device_ptrIjEEEEPS5_jNS1_19radix_merge_compareILb0ELb0EjNS0_19identity_decomposerEEEEE10hipError_tT0_T1_T2_jT3_P12ihipStream_tbPNSt15iterator_traitsISK_E10value_typeEPNSQ_ISL_E10value_typeEPSM_NS1_7vsmem_tEENKUlT_SK_SL_SM_E_clIPjSE_SF_SF_EESJ_SZ_SK_SL_SM_EUlSZ_E1_NS1_11comp_targetILNS1_3genE2ELNS1_11target_archE906ELNS1_3gpuE6ELNS1_3repE0EEENS1_36merge_oddeven_config_static_selectorELNS0_4arch9wavefront6targetE1EEEvSL_
                                        ; -- End function
	.section	.AMDGPU.csdata,"",@progbits
; Kernel info:
; codeLenInByte = 0
; NumSgprs: 4
; NumVgprs: 0
; NumAgprs: 0
; TotalNumVgprs: 0
; ScratchSize: 0
; MemoryBound: 0
; FloatMode: 240
; IeeeMode: 1
; LDSByteSize: 0 bytes/workgroup (compile time only)
; SGPRBlocks: 0
; VGPRBlocks: 0
; NumSGPRsForWavesPerEU: 4
; NumVGPRsForWavesPerEU: 1
; AccumOffset: 4
; Occupancy: 8
; WaveLimiterHint : 0
; COMPUTE_PGM_RSRC2:SCRATCH_EN: 0
; COMPUTE_PGM_RSRC2:USER_SGPR: 6
; COMPUTE_PGM_RSRC2:TRAP_HANDLER: 0
; COMPUTE_PGM_RSRC2:TGID_X_EN: 1
; COMPUTE_PGM_RSRC2:TGID_Y_EN: 0
; COMPUTE_PGM_RSRC2:TGID_Z_EN: 0
; COMPUTE_PGM_RSRC2:TIDIG_COMP_CNT: 0
; COMPUTE_PGM_RSRC3_GFX90A:ACCUM_OFFSET: 0
; COMPUTE_PGM_RSRC3_GFX90A:TG_SPLIT: 0
	.section	.text._ZN7rocprim17ROCPRIM_400000_NS6detail17trampoline_kernelINS0_14default_configENS1_38merge_sort_block_merge_config_selectorIjNS0_10empty_typeEEEZZNS1_27merge_sort_block_merge_implIS3_N6thrust23THRUST_200600_302600_NS6detail15normal_iteratorINS9_10device_ptrIjEEEEPS5_jNS1_19radix_merge_compareILb0ELb0EjNS0_19identity_decomposerEEEEE10hipError_tT0_T1_T2_jT3_P12ihipStream_tbPNSt15iterator_traitsISK_E10value_typeEPNSQ_ISL_E10value_typeEPSM_NS1_7vsmem_tEENKUlT_SK_SL_SM_E_clIPjSE_SF_SF_EESJ_SZ_SK_SL_SM_EUlSZ_E1_NS1_11comp_targetILNS1_3genE9ELNS1_11target_archE1100ELNS1_3gpuE3ELNS1_3repE0EEENS1_36merge_oddeven_config_static_selectorELNS0_4arch9wavefront6targetE1EEEvSL_,"axG",@progbits,_ZN7rocprim17ROCPRIM_400000_NS6detail17trampoline_kernelINS0_14default_configENS1_38merge_sort_block_merge_config_selectorIjNS0_10empty_typeEEEZZNS1_27merge_sort_block_merge_implIS3_N6thrust23THRUST_200600_302600_NS6detail15normal_iteratorINS9_10device_ptrIjEEEEPS5_jNS1_19radix_merge_compareILb0ELb0EjNS0_19identity_decomposerEEEEE10hipError_tT0_T1_T2_jT3_P12ihipStream_tbPNSt15iterator_traitsISK_E10value_typeEPNSQ_ISL_E10value_typeEPSM_NS1_7vsmem_tEENKUlT_SK_SL_SM_E_clIPjSE_SF_SF_EESJ_SZ_SK_SL_SM_EUlSZ_E1_NS1_11comp_targetILNS1_3genE9ELNS1_11target_archE1100ELNS1_3gpuE3ELNS1_3repE0EEENS1_36merge_oddeven_config_static_selectorELNS0_4arch9wavefront6targetE1EEEvSL_,comdat
	.protected	_ZN7rocprim17ROCPRIM_400000_NS6detail17trampoline_kernelINS0_14default_configENS1_38merge_sort_block_merge_config_selectorIjNS0_10empty_typeEEEZZNS1_27merge_sort_block_merge_implIS3_N6thrust23THRUST_200600_302600_NS6detail15normal_iteratorINS9_10device_ptrIjEEEEPS5_jNS1_19radix_merge_compareILb0ELb0EjNS0_19identity_decomposerEEEEE10hipError_tT0_T1_T2_jT3_P12ihipStream_tbPNSt15iterator_traitsISK_E10value_typeEPNSQ_ISL_E10value_typeEPSM_NS1_7vsmem_tEENKUlT_SK_SL_SM_E_clIPjSE_SF_SF_EESJ_SZ_SK_SL_SM_EUlSZ_E1_NS1_11comp_targetILNS1_3genE9ELNS1_11target_archE1100ELNS1_3gpuE3ELNS1_3repE0EEENS1_36merge_oddeven_config_static_selectorELNS0_4arch9wavefront6targetE1EEEvSL_ ; -- Begin function _ZN7rocprim17ROCPRIM_400000_NS6detail17trampoline_kernelINS0_14default_configENS1_38merge_sort_block_merge_config_selectorIjNS0_10empty_typeEEEZZNS1_27merge_sort_block_merge_implIS3_N6thrust23THRUST_200600_302600_NS6detail15normal_iteratorINS9_10device_ptrIjEEEEPS5_jNS1_19radix_merge_compareILb0ELb0EjNS0_19identity_decomposerEEEEE10hipError_tT0_T1_T2_jT3_P12ihipStream_tbPNSt15iterator_traitsISK_E10value_typeEPNSQ_ISL_E10value_typeEPSM_NS1_7vsmem_tEENKUlT_SK_SL_SM_E_clIPjSE_SF_SF_EESJ_SZ_SK_SL_SM_EUlSZ_E1_NS1_11comp_targetILNS1_3genE9ELNS1_11target_archE1100ELNS1_3gpuE3ELNS1_3repE0EEENS1_36merge_oddeven_config_static_selectorELNS0_4arch9wavefront6targetE1EEEvSL_
	.globl	_ZN7rocprim17ROCPRIM_400000_NS6detail17trampoline_kernelINS0_14default_configENS1_38merge_sort_block_merge_config_selectorIjNS0_10empty_typeEEEZZNS1_27merge_sort_block_merge_implIS3_N6thrust23THRUST_200600_302600_NS6detail15normal_iteratorINS9_10device_ptrIjEEEEPS5_jNS1_19radix_merge_compareILb0ELb0EjNS0_19identity_decomposerEEEEE10hipError_tT0_T1_T2_jT3_P12ihipStream_tbPNSt15iterator_traitsISK_E10value_typeEPNSQ_ISL_E10value_typeEPSM_NS1_7vsmem_tEENKUlT_SK_SL_SM_E_clIPjSE_SF_SF_EESJ_SZ_SK_SL_SM_EUlSZ_E1_NS1_11comp_targetILNS1_3genE9ELNS1_11target_archE1100ELNS1_3gpuE3ELNS1_3repE0EEENS1_36merge_oddeven_config_static_selectorELNS0_4arch9wavefront6targetE1EEEvSL_
	.p2align	8
	.type	_ZN7rocprim17ROCPRIM_400000_NS6detail17trampoline_kernelINS0_14default_configENS1_38merge_sort_block_merge_config_selectorIjNS0_10empty_typeEEEZZNS1_27merge_sort_block_merge_implIS3_N6thrust23THRUST_200600_302600_NS6detail15normal_iteratorINS9_10device_ptrIjEEEEPS5_jNS1_19radix_merge_compareILb0ELb0EjNS0_19identity_decomposerEEEEE10hipError_tT0_T1_T2_jT3_P12ihipStream_tbPNSt15iterator_traitsISK_E10value_typeEPNSQ_ISL_E10value_typeEPSM_NS1_7vsmem_tEENKUlT_SK_SL_SM_E_clIPjSE_SF_SF_EESJ_SZ_SK_SL_SM_EUlSZ_E1_NS1_11comp_targetILNS1_3genE9ELNS1_11target_archE1100ELNS1_3gpuE3ELNS1_3repE0EEENS1_36merge_oddeven_config_static_selectorELNS0_4arch9wavefront6targetE1EEEvSL_,@function
_ZN7rocprim17ROCPRIM_400000_NS6detail17trampoline_kernelINS0_14default_configENS1_38merge_sort_block_merge_config_selectorIjNS0_10empty_typeEEEZZNS1_27merge_sort_block_merge_implIS3_N6thrust23THRUST_200600_302600_NS6detail15normal_iteratorINS9_10device_ptrIjEEEEPS5_jNS1_19radix_merge_compareILb0ELb0EjNS0_19identity_decomposerEEEEE10hipError_tT0_T1_T2_jT3_P12ihipStream_tbPNSt15iterator_traitsISK_E10value_typeEPNSQ_ISL_E10value_typeEPSM_NS1_7vsmem_tEENKUlT_SK_SL_SM_E_clIPjSE_SF_SF_EESJ_SZ_SK_SL_SM_EUlSZ_E1_NS1_11comp_targetILNS1_3genE9ELNS1_11target_archE1100ELNS1_3gpuE3ELNS1_3repE0EEENS1_36merge_oddeven_config_static_selectorELNS0_4arch9wavefront6targetE1EEEvSL_: ; @_ZN7rocprim17ROCPRIM_400000_NS6detail17trampoline_kernelINS0_14default_configENS1_38merge_sort_block_merge_config_selectorIjNS0_10empty_typeEEEZZNS1_27merge_sort_block_merge_implIS3_N6thrust23THRUST_200600_302600_NS6detail15normal_iteratorINS9_10device_ptrIjEEEEPS5_jNS1_19radix_merge_compareILb0ELb0EjNS0_19identity_decomposerEEEEE10hipError_tT0_T1_T2_jT3_P12ihipStream_tbPNSt15iterator_traitsISK_E10value_typeEPNSQ_ISL_E10value_typeEPSM_NS1_7vsmem_tEENKUlT_SK_SL_SM_E_clIPjSE_SF_SF_EESJ_SZ_SK_SL_SM_EUlSZ_E1_NS1_11comp_targetILNS1_3genE9ELNS1_11target_archE1100ELNS1_3gpuE3ELNS1_3repE0EEENS1_36merge_oddeven_config_static_selectorELNS0_4arch9wavefront6targetE1EEEvSL_
; %bb.0:
	.section	.rodata,"a",@progbits
	.p2align	6, 0x0
	.amdhsa_kernel _ZN7rocprim17ROCPRIM_400000_NS6detail17trampoline_kernelINS0_14default_configENS1_38merge_sort_block_merge_config_selectorIjNS0_10empty_typeEEEZZNS1_27merge_sort_block_merge_implIS3_N6thrust23THRUST_200600_302600_NS6detail15normal_iteratorINS9_10device_ptrIjEEEEPS5_jNS1_19radix_merge_compareILb0ELb0EjNS0_19identity_decomposerEEEEE10hipError_tT0_T1_T2_jT3_P12ihipStream_tbPNSt15iterator_traitsISK_E10value_typeEPNSQ_ISL_E10value_typeEPSM_NS1_7vsmem_tEENKUlT_SK_SL_SM_E_clIPjSE_SF_SF_EESJ_SZ_SK_SL_SM_EUlSZ_E1_NS1_11comp_targetILNS1_3genE9ELNS1_11target_archE1100ELNS1_3gpuE3ELNS1_3repE0EEENS1_36merge_oddeven_config_static_selectorELNS0_4arch9wavefront6targetE1EEEvSL_
		.amdhsa_group_segment_fixed_size 0
		.amdhsa_private_segment_fixed_size 0
		.amdhsa_kernarg_size 48
		.amdhsa_user_sgpr_count 6
		.amdhsa_user_sgpr_private_segment_buffer 1
		.amdhsa_user_sgpr_dispatch_ptr 0
		.amdhsa_user_sgpr_queue_ptr 0
		.amdhsa_user_sgpr_kernarg_segment_ptr 1
		.amdhsa_user_sgpr_dispatch_id 0
		.amdhsa_user_sgpr_flat_scratch_init 0
		.amdhsa_user_sgpr_kernarg_preload_length 0
		.amdhsa_user_sgpr_kernarg_preload_offset 0
		.amdhsa_user_sgpr_private_segment_size 0
		.amdhsa_uses_dynamic_stack 0
		.amdhsa_system_sgpr_private_segment_wavefront_offset 0
		.amdhsa_system_sgpr_workgroup_id_x 1
		.amdhsa_system_sgpr_workgroup_id_y 0
		.amdhsa_system_sgpr_workgroup_id_z 0
		.amdhsa_system_sgpr_workgroup_info 0
		.amdhsa_system_vgpr_workitem_id 0
		.amdhsa_next_free_vgpr 1
		.amdhsa_next_free_sgpr 0
		.amdhsa_accum_offset 4
		.amdhsa_reserve_vcc 0
		.amdhsa_reserve_flat_scratch 0
		.amdhsa_float_round_mode_32 0
		.amdhsa_float_round_mode_16_64 0
		.amdhsa_float_denorm_mode_32 3
		.amdhsa_float_denorm_mode_16_64 3
		.amdhsa_dx10_clamp 1
		.amdhsa_ieee_mode 1
		.amdhsa_fp16_overflow 0
		.amdhsa_tg_split 0
		.amdhsa_exception_fp_ieee_invalid_op 0
		.amdhsa_exception_fp_denorm_src 0
		.amdhsa_exception_fp_ieee_div_zero 0
		.amdhsa_exception_fp_ieee_overflow 0
		.amdhsa_exception_fp_ieee_underflow 0
		.amdhsa_exception_fp_ieee_inexact 0
		.amdhsa_exception_int_div_zero 0
	.end_amdhsa_kernel
	.section	.text._ZN7rocprim17ROCPRIM_400000_NS6detail17trampoline_kernelINS0_14default_configENS1_38merge_sort_block_merge_config_selectorIjNS0_10empty_typeEEEZZNS1_27merge_sort_block_merge_implIS3_N6thrust23THRUST_200600_302600_NS6detail15normal_iteratorINS9_10device_ptrIjEEEEPS5_jNS1_19radix_merge_compareILb0ELb0EjNS0_19identity_decomposerEEEEE10hipError_tT0_T1_T2_jT3_P12ihipStream_tbPNSt15iterator_traitsISK_E10value_typeEPNSQ_ISL_E10value_typeEPSM_NS1_7vsmem_tEENKUlT_SK_SL_SM_E_clIPjSE_SF_SF_EESJ_SZ_SK_SL_SM_EUlSZ_E1_NS1_11comp_targetILNS1_3genE9ELNS1_11target_archE1100ELNS1_3gpuE3ELNS1_3repE0EEENS1_36merge_oddeven_config_static_selectorELNS0_4arch9wavefront6targetE1EEEvSL_,"axG",@progbits,_ZN7rocprim17ROCPRIM_400000_NS6detail17trampoline_kernelINS0_14default_configENS1_38merge_sort_block_merge_config_selectorIjNS0_10empty_typeEEEZZNS1_27merge_sort_block_merge_implIS3_N6thrust23THRUST_200600_302600_NS6detail15normal_iteratorINS9_10device_ptrIjEEEEPS5_jNS1_19radix_merge_compareILb0ELb0EjNS0_19identity_decomposerEEEEE10hipError_tT0_T1_T2_jT3_P12ihipStream_tbPNSt15iterator_traitsISK_E10value_typeEPNSQ_ISL_E10value_typeEPSM_NS1_7vsmem_tEENKUlT_SK_SL_SM_E_clIPjSE_SF_SF_EESJ_SZ_SK_SL_SM_EUlSZ_E1_NS1_11comp_targetILNS1_3genE9ELNS1_11target_archE1100ELNS1_3gpuE3ELNS1_3repE0EEENS1_36merge_oddeven_config_static_selectorELNS0_4arch9wavefront6targetE1EEEvSL_,comdat
.Lfunc_end991:
	.size	_ZN7rocprim17ROCPRIM_400000_NS6detail17trampoline_kernelINS0_14default_configENS1_38merge_sort_block_merge_config_selectorIjNS0_10empty_typeEEEZZNS1_27merge_sort_block_merge_implIS3_N6thrust23THRUST_200600_302600_NS6detail15normal_iteratorINS9_10device_ptrIjEEEEPS5_jNS1_19radix_merge_compareILb0ELb0EjNS0_19identity_decomposerEEEEE10hipError_tT0_T1_T2_jT3_P12ihipStream_tbPNSt15iterator_traitsISK_E10value_typeEPNSQ_ISL_E10value_typeEPSM_NS1_7vsmem_tEENKUlT_SK_SL_SM_E_clIPjSE_SF_SF_EESJ_SZ_SK_SL_SM_EUlSZ_E1_NS1_11comp_targetILNS1_3genE9ELNS1_11target_archE1100ELNS1_3gpuE3ELNS1_3repE0EEENS1_36merge_oddeven_config_static_selectorELNS0_4arch9wavefront6targetE1EEEvSL_, .Lfunc_end991-_ZN7rocprim17ROCPRIM_400000_NS6detail17trampoline_kernelINS0_14default_configENS1_38merge_sort_block_merge_config_selectorIjNS0_10empty_typeEEEZZNS1_27merge_sort_block_merge_implIS3_N6thrust23THRUST_200600_302600_NS6detail15normal_iteratorINS9_10device_ptrIjEEEEPS5_jNS1_19radix_merge_compareILb0ELb0EjNS0_19identity_decomposerEEEEE10hipError_tT0_T1_T2_jT3_P12ihipStream_tbPNSt15iterator_traitsISK_E10value_typeEPNSQ_ISL_E10value_typeEPSM_NS1_7vsmem_tEENKUlT_SK_SL_SM_E_clIPjSE_SF_SF_EESJ_SZ_SK_SL_SM_EUlSZ_E1_NS1_11comp_targetILNS1_3genE9ELNS1_11target_archE1100ELNS1_3gpuE3ELNS1_3repE0EEENS1_36merge_oddeven_config_static_selectorELNS0_4arch9wavefront6targetE1EEEvSL_
                                        ; -- End function
	.section	.AMDGPU.csdata,"",@progbits
; Kernel info:
; codeLenInByte = 0
; NumSgprs: 4
; NumVgprs: 0
; NumAgprs: 0
; TotalNumVgprs: 0
; ScratchSize: 0
; MemoryBound: 0
; FloatMode: 240
; IeeeMode: 1
; LDSByteSize: 0 bytes/workgroup (compile time only)
; SGPRBlocks: 0
; VGPRBlocks: 0
; NumSGPRsForWavesPerEU: 4
; NumVGPRsForWavesPerEU: 1
; AccumOffset: 4
; Occupancy: 8
; WaveLimiterHint : 0
; COMPUTE_PGM_RSRC2:SCRATCH_EN: 0
; COMPUTE_PGM_RSRC2:USER_SGPR: 6
; COMPUTE_PGM_RSRC2:TRAP_HANDLER: 0
; COMPUTE_PGM_RSRC2:TGID_X_EN: 1
; COMPUTE_PGM_RSRC2:TGID_Y_EN: 0
; COMPUTE_PGM_RSRC2:TGID_Z_EN: 0
; COMPUTE_PGM_RSRC2:TIDIG_COMP_CNT: 0
; COMPUTE_PGM_RSRC3_GFX90A:ACCUM_OFFSET: 0
; COMPUTE_PGM_RSRC3_GFX90A:TG_SPLIT: 0
	.section	.text._ZN7rocprim17ROCPRIM_400000_NS6detail17trampoline_kernelINS0_14default_configENS1_38merge_sort_block_merge_config_selectorIjNS0_10empty_typeEEEZZNS1_27merge_sort_block_merge_implIS3_N6thrust23THRUST_200600_302600_NS6detail15normal_iteratorINS9_10device_ptrIjEEEEPS5_jNS1_19radix_merge_compareILb0ELb0EjNS0_19identity_decomposerEEEEE10hipError_tT0_T1_T2_jT3_P12ihipStream_tbPNSt15iterator_traitsISK_E10value_typeEPNSQ_ISL_E10value_typeEPSM_NS1_7vsmem_tEENKUlT_SK_SL_SM_E_clIPjSE_SF_SF_EESJ_SZ_SK_SL_SM_EUlSZ_E1_NS1_11comp_targetILNS1_3genE8ELNS1_11target_archE1030ELNS1_3gpuE2ELNS1_3repE0EEENS1_36merge_oddeven_config_static_selectorELNS0_4arch9wavefront6targetE1EEEvSL_,"axG",@progbits,_ZN7rocprim17ROCPRIM_400000_NS6detail17trampoline_kernelINS0_14default_configENS1_38merge_sort_block_merge_config_selectorIjNS0_10empty_typeEEEZZNS1_27merge_sort_block_merge_implIS3_N6thrust23THRUST_200600_302600_NS6detail15normal_iteratorINS9_10device_ptrIjEEEEPS5_jNS1_19radix_merge_compareILb0ELb0EjNS0_19identity_decomposerEEEEE10hipError_tT0_T1_T2_jT3_P12ihipStream_tbPNSt15iterator_traitsISK_E10value_typeEPNSQ_ISL_E10value_typeEPSM_NS1_7vsmem_tEENKUlT_SK_SL_SM_E_clIPjSE_SF_SF_EESJ_SZ_SK_SL_SM_EUlSZ_E1_NS1_11comp_targetILNS1_3genE8ELNS1_11target_archE1030ELNS1_3gpuE2ELNS1_3repE0EEENS1_36merge_oddeven_config_static_selectorELNS0_4arch9wavefront6targetE1EEEvSL_,comdat
	.protected	_ZN7rocprim17ROCPRIM_400000_NS6detail17trampoline_kernelINS0_14default_configENS1_38merge_sort_block_merge_config_selectorIjNS0_10empty_typeEEEZZNS1_27merge_sort_block_merge_implIS3_N6thrust23THRUST_200600_302600_NS6detail15normal_iteratorINS9_10device_ptrIjEEEEPS5_jNS1_19radix_merge_compareILb0ELb0EjNS0_19identity_decomposerEEEEE10hipError_tT0_T1_T2_jT3_P12ihipStream_tbPNSt15iterator_traitsISK_E10value_typeEPNSQ_ISL_E10value_typeEPSM_NS1_7vsmem_tEENKUlT_SK_SL_SM_E_clIPjSE_SF_SF_EESJ_SZ_SK_SL_SM_EUlSZ_E1_NS1_11comp_targetILNS1_3genE8ELNS1_11target_archE1030ELNS1_3gpuE2ELNS1_3repE0EEENS1_36merge_oddeven_config_static_selectorELNS0_4arch9wavefront6targetE1EEEvSL_ ; -- Begin function _ZN7rocprim17ROCPRIM_400000_NS6detail17trampoline_kernelINS0_14default_configENS1_38merge_sort_block_merge_config_selectorIjNS0_10empty_typeEEEZZNS1_27merge_sort_block_merge_implIS3_N6thrust23THRUST_200600_302600_NS6detail15normal_iteratorINS9_10device_ptrIjEEEEPS5_jNS1_19radix_merge_compareILb0ELb0EjNS0_19identity_decomposerEEEEE10hipError_tT0_T1_T2_jT3_P12ihipStream_tbPNSt15iterator_traitsISK_E10value_typeEPNSQ_ISL_E10value_typeEPSM_NS1_7vsmem_tEENKUlT_SK_SL_SM_E_clIPjSE_SF_SF_EESJ_SZ_SK_SL_SM_EUlSZ_E1_NS1_11comp_targetILNS1_3genE8ELNS1_11target_archE1030ELNS1_3gpuE2ELNS1_3repE0EEENS1_36merge_oddeven_config_static_selectorELNS0_4arch9wavefront6targetE1EEEvSL_
	.globl	_ZN7rocprim17ROCPRIM_400000_NS6detail17trampoline_kernelINS0_14default_configENS1_38merge_sort_block_merge_config_selectorIjNS0_10empty_typeEEEZZNS1_27merge_sort_block_merge_implIS3_N6thrust23THRUST_200600_302600_NS6detail15normal_iteratorINS9_10device_ptrIjEEEEPS5_jNS1_19radix_merge_compareILb0ELb0EjNS0_19identity_decomposerEEEEE10hipError_tT0_T1_T2_jT3_P12ihipStream_tbPNSt15iterator_traitsISK_E10value_typeEPNSQ_ISL_E10value_typeEPSM_NS1_7vsmem_tEENKUlT_SK_SL_SM_E_clIPjSE_SF_SF_EESJ_SZ_SK_SL_SM_EUlSZ_E1_NS1_11comp_targetILNS1_3genE8ELNS1_11target_archE1030ELNS1_3gpuE2ELNS1_3repE0EEENS1_36merge_oddeven_config_static_selectorELNS0_4arch9wavefront6targetE1EEEvSL_
	.p2align	8
	.type	_ZN7rocprim17ROCPRIM_400000_NS6detail17trampoline_kernelINS0_14default_configENS1_38merge_sort_block_merge_config_selectorIjNS0_10empty_typeEEEZZNS1_27merge_sort_block_merge_implIS3_N6thrust23THRUST_200600_302600_NS6detail15normal_iteratorINS9_10device_ptrIjEEEEPS5_jNS1_19radix_merge_compareILb0ELb0EjNS0_19identity_decomposerEEEEE10hipError_tT0_T1_T2_jT3_P12ihipStream_tbPNSt15iterator_traitsISK_E10value_typeEPNSQ_ISL_E10value_typeEPSM_NS1_7vsmem_tEENKUlT_SK_SL_SM_E_clIPjSE_SF_SF_EESJ_SZ_SK_SL_SM_EUlSZ_E1_NS1_11comp_targetILNS1_3genE8ELNS1_11target_archE1030ELNS1_3gpuE2ELNS1_3repE0EEENS1_36merge_oddeven_config_static_selectorELNS0_4arch9wavefront6targetE1EEEvSL_,@function
_ZN7rocprim17ROCPRIM_400000_NS6detail17trampoline_kernelINS0_14default_configENS1_38merge_sort_block_merge_config_selectorIjNS0_10empty_typeEEEZZNS1_27merge_sort_block_merge_implIS3_N6thrust23THRUST_200600_302600_NS6detail15normal_iteratorINS9_10device_ptrIjEEEEPS5_jNS1_19radix_merge_compareILb0ELb0EjNS0_19identity_decomposerEEEEE10hipError_tT0_T1_T2_jT3_P12ihipStream_tbPNSt15iterator_traitsISK_E10value_typeEPNSQ_ISL_E10value_typeEPSM_NS1_7vsmem_tEENKUlT_SK_SL_SM_E_clIPjSE_SF_SF_EESJ_SZ_SK_SL_SM_EUlSZ_E1_NS1_11comp_targetILNS1_3genE8ELNS1_11target_archE1030ELNS1_3gpuE2ELNS1_3repE0EEENS1_36merge_oddeven_config_static_selectorELNS0_4arch9wavefront6targetE1EEEvSL_: ; @_ZN7rocprim17ROCPRIM_400000_NS6detail17trampoline_kernelINS0_14default_configENS1_38merge_sort_block_merge_config_selectorIjNS0_10empty_typeEEEZZNS1_27merge_sort_block_merge_implIS3_N6thrust23THRUST_200600_302600_NS6detail15normal_iteratorINS9_10device_ptrIjEEEEPS5_jNS1_19radix_merge_compareILb0ELb0EjNS0_19identity_decomposerEEEEE10hipError_tT0_T1_T2_jT3_P12ihipStream_tbPNSt15iterator_traitsISK_E10value_typeEPNSQ_ISL_E10value_typeEPSM_NS1_7vsmem_tEENKUlT_SK_SL_SM_E_clIPjSE_SF_SF_EESJ_SZ_SK_SL_SM_EUlSZ_E1_NS1_11comp_targetILNS1_3genE8ELNS1_11target_archE1030ELNS1_3gpuE2ELNS1_3repE0EEENS1_36merge_oddeven_config_static_selectorELNS0_4arch9wavefront6targetE1EEEvSL_
; %bb.0:
	.section	.rodata,"a",@progbits
	.p2align	6, 0x0
	.amdhsa_kernel _ZN7rocprim17ROCPRIM_400000_NS6detail17trampoline_kernelINS0_14default_configENS1_38merge_sort_block_merge_config_selectorIjNS0_10empty_typeEEEZZNS1_27merge_sort_block_merge_implIS3_N6thrust23THRUST_200600_302600_NS6detail15normal_iteratorINS9_10device_ptrIjEEEEPS5_jNS1_19radix_merge_compareILb0ELb0EjNS0_19identity_decomposerEEEEE10hipError_tT0_T1_T2_jT3_P12ihipStream_tbPNSt15iterator_traitsISK_E10value_typeEPNSQ_ISL_E10value_typeEPSM_NS1_7vsmem_tEENKUlT_SK_SL_SM_E_clIPjSE_SF_SF_EESJ_SZ_SK_SL_SM_EUlSZ_E1_NS1_11comp_targetILNS1_3genE8ELNS1_11target_archE1030ELNS1_3gpuE2ELNS1_3repE0EEENS1_36merge_oddeven_config_static_selectorELNS0_4arch9wavefront6targetE1EEEvSL_
		.amdhsa_group_segment_fixed_size 0
		.amdhsa_private_segment_fixed_size 0
		.amdhsa_kernarg_size 48
		.amdhsa_user_sgpr_count 6
		.amdhsa_user_sgpr_private_segment_buffer 1
		.amdhsa_user_sgpr_dispatch_ptr 0
		.amdhsa_user_sgpr_queue_ptr 0
		.amdhsa_user_sgpr_kernarg_segment_ptr 1
		.amdhsa_user_sgpr_dispatch_id 0
		.amdhsa_user_sgpr_flat_scratch_init 0
		.amdhsa_user_sgpr_kernarg_preload_length 0
		.amdhsa_user_sgpr_kernarg_preload_offset 0
		.amdhsa_user_sgpr_private_segment_size 0
		.amdhsa_uses_dynamic_stack 0
		.amdhsa_system_sgpr_private_segment_wavefront_offset 0
		.amdhsa_system_sgpr_workgroup_id_x 1
		.amdhsa_system_sgpr_workgroup_id_y 0
		.amdhsa_system_sgpr_workgroup_id_z 0
		.amdhsa_system_sgpr_workgroup_info 0
		.amdhsa_system_vgpr_workitem_id 0
		.amdhsa_next_free_vgpr 1
		.amdhsa_next_free_sgpr 0
		.amdhsa_accum_offset 4
		.amdhsa_reserve_vcc 0
		.amdhsa_reserve_flat_scratch 0
		.amdhsa_float_round_mode_32 0
		.amdhsa_float_round_mode_16_64 0
		.amdhsa_float_denorm_mode_32 3
		.amdhsa_float_denorm_mode_16_64 3
		.amdhsa_dx10_clamp 1
		.amdhsa_ieee_mode 1
		.amdhsa_fp16_overflow 0
		.amdhsa_tg_split 0
		.amdhsa_exception_fp_ieee_invalid_op 0
		.amdhsa_exception_fp_denorm_src 0
		.amdhsa_exception_fp_ieee_div_zero 0
		.amdhsa_exception_fp_ieee_overflow 0
		.amdhsa_exception_fp_ieee_underflow 0
		.amdhsa_exception_fp_ieee_inexact 0
		.amdhsa_exception_int_div_zero 0
	.end_amdhsa_kernel
	.section	.text._ZN7rocprim17ROCPRIM_400000_NS6detail17trampoline_kernelINS0_14default_configENS1_38merge_sort_block_merge_config_selectorIjNS0_10empty_typeEEEZZNS1_27merge_sort_block_merge_implIS3_N6thrust23THRUST_200600_302600_NS6detail15normal_iteratorINS9_10device_ptrIjEEEEPS5_jNS1_19radix_merge_compareILb0ELb0EjNS0_19identity_decomposerEEEEE10hipError_tT0_T1_T2_jT3_P12ihipStream_tbPNSt15iterator_traitsISK_E10value_typeEPNSQ_ISL_E10value_typeEPSM_NS1_7vsmem_tEENKUlT_SK_SL_SM_E_clIPjSE_SF_SF_EESJ_SZ_SK_SL_SM_EUlSZ_E1_NS1_11comp_targetILNS1_3genE8ELNS1_11target_archE1030ELNS1_3gpuE2ELNS1_3repE0EEENS1_36merge_oddeven_config_static_selectorELNS0_4arch9wavefront6targetE1EEEvSL_,"axG",@progbits,_ZN7rocprim17ROCPRIM_400000_NS6detail17trampoline_kernelINS0_14default_configENS1_38merge_sort_block_merge_config_selectorIjNS0_10empty_typeEEEZZNS1_27merge_sort_block_merge_implIS3_N6thrust23THRUST_200600_302600_NS6detail15normal_iteratorINS9_10device_ptrIjEEEEPS5_jNS1_19radix_merge_compareILb0ELb0EjNS0_19identity_decomposerEEEEE10hipError_tT0_T1_T2_jT3_P12ihipStream_tbPNSt15iterator_traitsISK_E10value_typeEPNSQ_ISL_E10value_typeEPSM_NS1_7vsmem_tEENKUlT_SK_SL_SM_E_clIPjSE_SF_SF_EESJ_SZ_SK_SL_SM_EUlSZ_E1_NS1_11comp_targetILNS1_3genE8ELNS1_11target_archE1030ELNS1_3gpuE2ELNS1_3repE0EEENS1_36merge_oddeven_config_static_selectorELNS0_4arch9wavefront6targetE1EEEvSL_,comdat
.Lfunc_end992:
	.size	_ZN7rocprim17ROCPRIM_400000_NS6detail17trampoline_kernelINS0_14default_configENS1_38merge_sort_block_merge_config_selectorIjNS0_10empty_typeEEEZZNS1_27merge_sort_block_merge_implIS3_N6thrust23THRUST_200600_302600_NS6detail15normal_iteratorINS9_10device_ptrIjEEEEPS5_jNS1_19radix_merge_compareILb0ELb0EjNS0_19identity_decomposerEEEEE10hipError_tT0_T1_T2_jT3_P12ihipStream_tbPNSt15iterator_traitsISK_E10value_typeEPNSQ_ISL_E10value_typeEPSM_NS1_7vsmem_tEENKUlT_SK_SL_SM_E_clIPjSE_SF_SF_EESJ_SZ_SK_SL_SM_EUlSZ_E1_NS1_11comp_targetILNS1_3genE8ELNS1_11target_archE1030ELNS1_3gpuE2ELNS1_3repE0EEENS1_36merge_oddeven_config_static_selectorELNS0_4arch9wavefront6targetE1EEEvSL_, .Lfunc_end992-_ZN7rocprim17ROCPRIM_400000_NS6detail17trampoline_kernelINS0_14default_configENS1_38merge_sort_block_merge_config_selectorIjNS0_10empty_typeEEEZZNS1_27merge_sort_block_merge_implIS3_N6thrust23THRUST_200600_302600_NS6detail15normal_iteratorINS9_10device_ptrIjEEEEPS5_jNS1_19radix_merge_compareILb0ELb0EjNS0_19identity_decomposerEEEEE10hipError_tT0_T1_T2_jT3_P12ihipStream_tbPNSt15iterator_traitsISK_E10value_typeEPNSQ_ISL_E10value_typeEPSM_NS1_7vsmem_tEENKUlT_SK_SL_SM_E_clIPjSE_SF_SF_EESJ_SZ_SK_SL_SM_EUlSZ_E1_NS1_11comp_targetILNS1_3genE8ELNS1_11target_archE1030ELNS1_3gpuE2ELNS1_3repE0EEENS1_36merge_oddeven_config_static_selectorELNS0_4arch9wavefront6targetE1EEEvSL_
                                        ; -- End function
	.section	.AMDGPU.csdata,"",@progbits
; Kernel info:
; codeLenInByte = 0
; NumSgprs: 4
; NumVgprs: 0
; NumAgprs: 0
; TotalNumVgprs: 0
; ScratchSize: 0
; MemoryBound: 0
; FloatMode: 240
; IeeeMode: 1
; LDSByteSize: 0 bytes/workgroup (compile time only)
; SGPRBlocks: 0
; VGPRBlocks: 0
; NumSGPRsForWavesPerEU: 4
; NumVGPRsForWavesPerEU: 1
; AccumOffset: 4
; Occupancy: 8
; WaveLimiterHint : 0
; COMPUTE_PGM_RSRC2:SCRATCH_EN: 0
; COMPUTE_PGM_RSRC2:USER_SGPR: 6
; COMPUTE_PGM_RSRC2:TRAP_HANDLER: 0
; COMPUTE_PGM_RSRC2:TGID_X_EN: 1
; COMPUTE_PGM_RSRC2:TGID_Y_EN: 0
; COMPUTE_PGM_RSRC2:TGID_Z_EN: 0
; COMPUTE_PGM_RSRC2:TIDIG_COMP_CNT: 0
; COMPUTE_PGM_RSRC3_GFX90A:ACCUM_OFFSET: 0
; COMPUTE_PGM_RSRC3_GFX90A:TG_SPLIT: 0
	.section	.text._ZN7rocprim17ROCPRIM_400000_NS6detail17trampoline_kernelINS0_14default_configENS1_38merge_sort_block_merge_config_selectorIjNS0_10empty_typeEEEZZNS1_27merge_sort_block_merge_implIS3_N6thrust23THRUST_200600_302600_NS6detail15normal_iteratorINS9_10device_ptrIjEEEEPS5_jNS1_19radix_merge_compareILb0ELb0EjNS0_19identity_decomposerEEEEE10hipError_tT0_T1_T2_jT3_P12ihipStream_tbPNSt15iterator_traitsISK_E10value_typeEPNSQ_ISL_E10value_typeEPSM_NS1_7vsmem_tEENKUlT_SK_SL_SM_E_clISE_PjSF_SF_EESJ_SZ_SK_SL_SM_EUlSZ_E_NS1_11comp_targetILNS1_3genE0ELNS1_11target_archE4294967295ELNS1_3gpuE0ELNS1_3repE0EEENS1_48merge_mergepath_partition_config_static_selectorELNS0_4arch9wavefront6targetE1EEEvSL_,"axG",@progbits,_ZN7rocprim17ROCPRIM_400000_NS6detail17trampoline_kernelINS0_14default_configENS1_38merge_sort_block_merge_config_selectorIjNS0_10empty_typeEEEZZNS1_27merge_sort_block_merge_implIS3_N6thrust23THRUST_200600_302600_NS6detail15normal_iteratorINS9_10device_ptrIjEEEEPS5_jNS1_19radix_merge_compareILb0ELb0EjNS0_19identity_decomposerEEEEE10hipError_tT0_T1_T2_jT3_P12ihipStream_tbPNSt15iterator_traitsISK_E10value_typeEPNSQ_ISL_E10value_typeEPSM_NS1_7vsmem_tEENKUlT_SK_SL_SM_E_clISE_PjSF_SF_EESJ_SZ_SK_SL_SM_EUlSZ_E_NS1_11comp_targetILNS1_3genE0ELNS1_11target_archE4294967295ELNS1_3gpuE0ELNS1_3repE0EEENS1_48merge_mergepath_partition_config_static_selectorELNS0_4arch9wavefront6targetE1EEEvSL_,comdat
	.protected	_ZN7rocprim17ROCPRIM_400000_NS6detail17trampoline_kernelINS0_14default_configENS1_38merge_sort_block_merge_config_selectorIjNS0_10empty_typeEEEZZNS1_27merge_sort_block_merge_implIS3_N6thrust23THRUST_200600_302600_NS6detail15normal_iteratorINS9_10device_ptrIjEEEEPS5_jNS1_19radix_merge_compareILb0ELb0EjNS0_19identity_decomposerEEEEE10hipError_tT0_T1_T2_jT3_P12ihipStream_tbPNSt15iterator_traitsISK_E10value_typeEPNSQ_ISL_E10value_typeEPSM_NS1_7vsmem_tEENKUlT_SK_SL_SM_E_clISE_PjSF_SF_EESJ_SZ_SK_SL_SM_EUlSZ_E_NS1_11comp_targetILNS1_3genE0ELNS1_11target_archE4294967295ELNS1_3gpuE0ELNS1_3repE0EEENS1_48merge_mergepath_partition_config_static_selectorELNS0_4arch9wavefront6targetE1EEEvSL_ ; -- Begin function _ZN7rocprim17ROCPRIM_400000_NS6detail17trampoline_kernelINS0_14default_configENS1_38merge_sort_block_merge_config_selectorIjNS0_10empty_typeEEEZZNS1_27merge_sort_block_merge_implIS3_N6thrust23THRUST_200600_302600_NS6detail15normal_iteratorINS9_10device_ptrIjEEEEPS5_jNS1_19radix_merge_compareILb0ELb0EjNS0_19identity_decomposerEEEEE10hipError_tT0_T1_T2_jT3_P12ihipStream_tbPNSt15iterator_traitsISK_E10value_typeEPNSQ_ISL_E10value_typeEPSM_NS1_7vsmem_tEENKUlT_SK_SL_SM_E_clISE_PjSF_SF_EESJ_SZ_SK_SL_SM_EUlSZ_E_NS1_11comp_targetILNS1_3genE0ELNS1_11target_archE4294967295ELNS1_3gpuE0ELNS1_3repE0EEENS1_48merge_mergepath_partition_config_static_selectorELNS0_4arch9wavefront6targetE1EEEvSL_
	.globl	_ZN7rocprim17ROCPRIM_400000_NS6detail17trampoline_kernelINS0_14default_configENS1_38merge_sort_block_merge_config_selectorIjNS0_10empty_typeEEEZZNS1_27merge_sort_block_merge_implIS3_N6thrust23THRUST_200600_302600_NS6detail15normal_iteratorINS9_10device_ptrIjEEEEPS5_jNS1_19radix_merge_compareILb0ELb0EjNS0_19identity_decomposerEEEEE10hipError_tT0_T1_T2_jT3_P12ihipStream_tbPNSt15iterator_traitsISK_E10value_typeEPNSQ_ISL_E10value_typeEPSM_NS1_7vsmem_tEENKUlT_SK_SL_SM_E_clISE_PjSF_SF_EESJ_SZ_SK_SL_SM_EUlSZ_E_NS1_11comp_targetILNS1_3genE0ELNS1_11target_archE4294967295ELNS1_3gpuE0ELNS1_3repE0EEENS1_48merge_mergepath_partition_config_static_selectorELNS0_4arch9wavefront6targetE1EEEvSL_
	.p2align	8
	.type	_ZN7rocprim17ROCPRIM_400000_NS6detail17trampoline_kernelINS0_14default_configENS1_38merge_sort_block_merge_config_selectorIjNS0_10empty_typeEEEZZNS1_27merge_sort_block_merge_implIS3_N6thrust23THRUST_200600_302600_NS6detail15normal_iteratorINS9_10device_ptrIjEEEEPS5_jNS1_19radix_merge_compareILb0ELb0EjNS0_19identity_decomposerEEEEE10hipError_tT0_T1_T2_jT3_P12ihipStream_tbPNSt15iterator_traitsISK_E10value_typeEPNSQ_ISL_E10value_typeEPSM_NS1_7vsmem_tEENKUlT_SK_SL_SM_E_clISE_PjSF_SF_EESJ_SZ_SK_SL_SM_EUlSZ_E_NS1_11comp_targetILNS1_3genE0ELNS1_11target_archE4294967295ELNS1_3gpuE0ELNS1_3repE0EEENS1_48merge_mergepath_partition_config_static_selectorELNS0_4arch9wavefront6targetE1EEEvSL_,@function
_ZN7rocprim17ROCPRIM_400000_NS6detail17trampoline_kernelINS0_14default_configENS1_38merge_sort_block_merge_config_selectorIjNS0_10empty_typeEEEZZNS1_27merge_sort_block_merge_implIS3_N6thrust23THRUST_200600_302600_NS6detail15normal_iteratorINS9_10device_ptrIjEEEEPS5_jNS1_19radix_merge_compareILb0ELb0EjNS0_19identity_decomposerEEEEE10hipError_tT0_T1_T2_jT3_P12ihipStream_tbPNSt15iterator_traitsISK_E10value_typeEPNSQ_ISL_E10value_typeEPSM_NS1_7vsmem_tEENKUlT_SK_SL_SM_E_clISE_PjSF_SF_EESJ_SZ_SK_SL_SM_EUlSZ_E_NS1_11comp_targetILNS1_3genE0ELNS1_11target_archE4294967295ELNS1_3gpuE0ELNS1_3repE0EEENS1_48merge_mergepath_partition_config_static_selectorELNS0_4arch9wavefront6targetE1EEEvSL_: ; @_ZN7rocprim17ROCPRIM_400000_NS6detail17trampoline_kernelINS0_14default_configENS1_38merge_sort_block_merge_config_selectorIjNS0_10empty_typeEEEZZNS1_27merge_sort_block_merge_implIS3_N6thrust23THRUST_200600_302600_NS6detail15normal_iteratorINS9_10device_ptrIjEEEEPS5_jNS1_19radix_merge_compareILb0ELb0EjNS0_19identity_decomposerEEEEE10hipError_tT0_T1_T2_jT3_P12ihipStream_tbPNSt15iterator_traitsISK_E10value_typeEPNSQ_ISL_E10value_typeEPSM_NS1_7vsmem_tEENKUlT_SK_SL_SM_E_clISE_PjSF_SF_EESJ_SZ_SK_SL_SM_EUlSZ_E_NS1_11comp_targetILNS1_3genE0ELNS1_11target_archE4294967295ELNS1_3gpuE0ELNS1_3repE0EEENS1_48merge_mergepath_partition_config_static_selectorELNS0_4arch9wavefront6targetE1EEEvSL_
; %bb.0:
	.section	.rodata,"a",@progbits
	.p2align	6, 0x0
	.amdhsa_kernel _ZN7rocprim17ROCPRIM_400000_NS6detail17trampoline_kernelINS0_14default_configENS1_38merge_sort_block_merge_config_selectorIjNS0_10empty_typeEEEZZNS1_27merge_sort_block_merge_implIS3_N6thrust23THRUST_200600_302600_NS6detail15normal_iteratorINS9_10device_ptrIjEEEEPS5_jNS1_19radix_merge_compareILb0ELb0EjNS0_19identity_decomposerEEEEE10hipError_tT0_T1_T2_jT3_P12ihipStream_tbPNSt15iterator_traitsISK_E10value_typeEPNSQ_ISL_E10value_typeEPSM_NS1_7vsmem_tEENKUlT_SK_SL_SM_E_clISE_PjSF_SF_EESJ_SZ_SK_SL_SM_EUlSZ_E_NS1_11comp_targetILNS1_3genE0ELNS1_11target_archE4294967295ELNS1_3gpuE0ELNS1_3repE0EEENS1_48merge_mergepath_partition_config_static_selectorELNS0_4arch9wavefront6targetE1EEEvSL_
		.amdhsa_group_segment_fixed_size 0
		.amdhsa_private_segment_fixed_size 0
		.amdhsa_kernarg_size 40
		.amdhsa_user_sgpr_count 6
		.amdhsa_user_sgpr_private_segment_buffer 1
		.amdhsa_user_sgpr_dispatch_ptr 0
		.amdhsa_user_sgpr_queue_ptr 0
		.amdhsa_user_sgpr_kernarg_segment_ptr 1
		.amdhsa_user_sgpr_dispatch_id 0
		.amdhsa_user_sgpr_flat_scratch_init 0
		.amdhsa_user_sgpr_kernarg_preload_length 0
		.amdhsa_user_sgpr_kernarg_preload_offset 0
		.amdhsa_user_sgpr_private_segment_size 0
		.amdhsa_uses_dynamic_stack 0
		.amdhsa_system_sgpr_private_segment_wavefront_offset 0
		.amdhsa_system_sgpr_workgroup_id_x 1
		.amdhsa_system_sgpr_workgroup_id_y 0
		.amdhsa_system_sgpr_workgroup_id_z 0
		.amdhsa_system_sgpr_workgroup_info 0
		.amdhsa_system_vgpr_workitem_id 0
		.amdhsa_next_free_vgpr 1
		.amdhsa_next_free_sgpr 0
		.amdhsa_accum_offset 4
		.amdhsa_reserve_vcc 0
		.amdhsa_reserve_flat_scratch 0
		.amdhsa_float_round_mode_32 0
		.amdhsa_float_round_mode_16_64 0
		.amdhsa_float_denorm_mode_32 3
		.amdhsa_float_denorm_mode_16_64 3
		.amdhsa_dx10_clamp 1
		.amdhsa_ieee_mode 1
		.amdhsa_fp16_overflow 0
		.amdhsa_tg_split 0
		.amdhsa_exception_fp_ieee_invalid_op 0
		.amdhsa_exception_fp_denorm_src 0
		.amdhsa_exception_fp_ieee_div_zero 0
		.amdhsa_exception_fp_ieee_overflow 0
		.amdhsa_exception_fp_ieee_underflow 0
		.amdhsa_exception_fp_ieee_inexact 0
		.amdhsa_exception_int_div_zero 0
	.end_amdhsa_kernel
	.section	.text._ZN7rocprim17ROCPRIM_400000_NS6detail17trampoline_kernelINS0_14default_configENS1_38merge_sort_block_merge_config_selectorIjNS0_10empty_typeEEEZZNS1_27merge_sort_block_merge_implIS3_N6thrust23THRUST_200600_302600_NS6detail15normal_iteratorINS9_10device_ptrIjEEEEPS5_jNS1_19radix_merge_compareILb0ELb0EjNS0_19identity_decomposerEEEEE10hipError_tT0_T1_T2_jT3_P12ihipStream_tbPNSt15iterator_traitsISK_E10value_typeEPNSQ_ISL_E10value_typeEPSM_NS1_7vsmem_tEENKUlT_SK_SL_SM_E_clISE_PjSF_SF_EESJ_SZ_SK_SL_SM_EUlSZ_E_NS1_11comp_targetILNS1_3genE0ELNS1_11target_archE4294967295ELNS1_3gpuE0ELNS1_3repE0EEENS1_48merge_mergepath_partition_config_static_selectorELNS0_4arch9wavefront6targetE1EEEvSL_,"axG",@progbits,_ZN7rocprim17ROCPRIM_400000_NS6detail17trampoline_kernelINS0_14default_configENS1_38merge_sort_block_merge_config_selectorIjNS0_10empty_typeEEEZZNS1_27merge_sort_block_merge_implIS3_N6thrust23THRUST_200600_302600_NS6detail15normal_iteratorINS9_10device_ptrIjEEEEPS5_jNS1_19radix_merge_compareILb0ELb0EjNS0_19identity_decomposerEEEEE10hipError_tT0_T1_T2_jT3_P12ihipStream_tbPNSt15iterator_traitsISK_E10value_typeEPNSQ_ISL_E10value_typeEPSM_NS1_7vsmem_tEENKUlT_SK_SL_SM_E_clISE_PjSF_SF_EESJ_SZ_SK_SL_SM_EUlSZ_E_NS1_11comp_targetILNS1_3genE0ELNS1_11target_archE4294967295ELNS1_3gpuE0ELNS1_3repE0EEENS1_48merge_mergepath_partition_config_static_selectorELNS0_4arch9wavefront6targetE1EEEvSL_,comdat
.Lfunc_end993:
	.size	_ZN7rocprim17ROCPRIM_400000_NS6detail17trampoline_kernelINS0_14default_configENS1_38merge_sort_block_merge_config_selectorIjNS0_10empty_typeEEEZZNS1_27merge_sort_block_merge_implIS3_N6thrust23THRUST_200600_302600_NS6detail15normal_iteratorINS9_10device_ptrIjEEEEPS5_jNS1_19radix_merge_compareILb0ELb0EjNS0_19identity_decomposerEEEEE10hipError_tT0_T1_T2_jT3_P12ihipStream_tbPNSt15iterator_traitsISK_E10value_typeEPNSQ_ISL_E10value_typeEPSM_NS1_7vsmem_tEENKUlT_SK_SL_SM_E_clISE_PjSF_SF_EESJ_SZ_SK_SL_SM_EUlSZ_E_NS1_11comp_targetILNS1_3genE0ELNS1_11target_archE4294967295ELNS1_3gpuE0ELNS1_3repE0EEENS1_48merge_mergepath_partition_config_static_selectorELNS0_4arch9wavefront6targetE1EEEvSL_, .Lfunc_end993-_ZN7rocprim17ROCPRIM_400000_NS6detail17trampoline_kernelINS0_14default_configENS1_38merge_sort_block_merge_config_selectorIjNS0_10empty_typeEEEZZNS1_27merge_sort_block_merge_implIS3_N6thrust23THRUST_200600_302600_NS6detail15normal_iteratorINS9_10device_ptrIjEEEEPS5_jNS1_19radix_merge_compareILb0ELb0EjNS0_19identity_decomposerEEEEE10hipError_tT0_T1_T2_jT3_P12ihipStream_tbPNSt15iterator_traitsISK_E10value_typeEPNSQ_ISL_E10value_typeEPSM_NS1_7vsmem_tEENKUlT_SK_SL_SM_E_clISE_PjSF_SF_EESJ_SZ_SK_SL_SM_EUlSZ_E_NS1_11comp_targetILNS1_3genE0ELNS1_11target_archE4294967295ELNS1_3gpuE0ELNS1_3repE0EEENS1_48merge_mergepath_partition_config_static_selectorELNS0_4arch9wavefront6targetE1EEEvSL_
                                        ; -- End function
	.section	.AMDGPU.csdata,"",@progbits
; Kernel info:
; codeLenInByte = 0
; NumSgprs: 4
; NumVgprs: 0
; NumAgprs: 0
; TotalNumVgprs: 0
; ScratchSize: 0
; MemoryBound: 0
; FloatMode: 240
; IeeeMode: 1
; LDSByteSize: 0 bytes/workgroup (compile time only)
; SGPRBlocks: 0
; VGPRBlocks: 0
; NumSGPRsForWavesPerEU: 4
; NumVGPRsForWavesPerEU: 1
; AccumOffset: 4
; Occupancy: 8
; WaveLimiterHint : 0
; COMPUTE_PGM_RSRC2:SCRATCH_EN: 0
; COMPUTE_PGM_RSRC2:USER_SGPR: 6
; COMPUTE_PGM_RSRC2:TRAP_HANDLER: 0
; COMPUTE_PGM_RSRC2:TGID_X_EN: 1
; COMPUTE_PGM_RSRC2:TGID_Y_EN: 0
; COMPUTE_PGM_RSRC2:TGID_Z_EN: 0
; COMPUTE_PGM_RSRC2:TIDIG_COMP_CNT: 0
; COMPUTE_PGM_RSRC3_GFX90A:ACCUM_OFFSET: 0
; COMPUTE_PGM_RSRC3_GFX90A:TG_SPLIT: 0
	.section	.text._ZN7rocprim17ROCPRIM_400000_NS6detail17trampoline_kernelINS0_14default_configENS1_38merge_sort_block_merge_config_selectorIjNS0_10empty_typeEEEZZNS1_27merge_sort_block_merge_implIS3_N6thrust23THRUST_200600_302600_NS6detail15normal_iteratorINS9_10device_ptrIjEEEEPS5_jNS1_19radix_merge_compareILb0ELb0EjNS0_19identity_decomposerEEEEE10hipError_tT0_T1_T2_jT3_P12ihipStream_tbPNSt15iterator_traitsISK_E10value_typeEPNSQ_ISL_E10value_typeEPSM_NS1_7vsmem_tEENKUlT_SK_SL_SM_E_clISE_PjSF_SF_EESJ_SZ_SK_SL_SM_EUlSZ_E_NS1_11comp_targetILNS1_3genE10ELNS1_11target_archE1201ELNS1_3gpuE5ELNS1_3repE0EEENS1_48merge_mergepath_partition_config_static_selectorELNS0_4arch9wavefront6targetE1EEEvSL_,"axG",@progbits,_ZN7rocprim17ROCPRIM_400000_NS6detail17trampoline_kernelINS0_14default_configENS1_38merge_sort_block_merge_config_selectorIjNS0_10empty_typeEEEZZNS1_27merge_sort_block_merge_implIS3_N6thrust23THRUST_200600_302600_NS6detail15normal_iteratorINS9_10device_ptrIjEEEEPS5_jNS1_19radix_merge_compareILb0ELb0EjNS0_19identity_decomposerEEEEE10hipError_tT0_T1_T2_jT3_P12ihipStream_tbPNSt15iterator_traitsISK_E10value_typeEPNSQ_ISL_E10value_typeEPSM_NS1_7vsmem_tEENKUlT_SK_SL_SM_E_clISE_PjSF_SF_EESJ_SZ_SK_SL_SM_EUlSZ_E_NS1_11comp_targetILNS1_3genE10ELNS1_11target_archE1201ELNS1_3gpuE5ELNS1_3repE0EEENS1_48merge_mergepath_partition_config_static_selectorELNS0_4arch9wavefront6targetE1EEEvSL_,comdat
	.protected	_ZN7rocprim17ROCPRIM_400000_NS6detail17trampoline_kernelINS0_14default_configENS1_38merge_sort_block_merge_config_selectorIjNS0_10empty_typeEEEZZNS1_27merge_sort_block_merge_implIS3_N6thrust23THRUST_200600_302600_NS6detail15normal_iteratorINS9_10device_ptrIjEEEEPS5_jNS1_19radix_merge_compareILb0ELb0EjNS0_19identity_decomposerEEEEE10hipError_tT0_T1_T2_jT3_P12ihipStream_tbPNSt15iterator_traitsISK_E10value_typeEPNSQ_ISL_E10value_typeEPSM_NS1_7vsmem_tEENKUlT_SK_SL_SM_E_clISE_PjSF_SF_EESJ_SZ_SK_SL_SM_EUlSZ_E_NS1_11comp_targetILNS1_3genE10ELNS1_11target_archE1201ELNS1_3gpuE5ELNS1_3repE0EEENS1_48merge_mergepath_partition_config_static_selectorELNS0_4arch9wavefront6targetE1EEEvSL_ ; -- Begin function _ZN7rocprim17ROCPRIM_400000_NS6detail17trampoline_kernelINS0_14default_configENS1_38merge_sort_block_merge_config_selectorIjNS0_10empty_typeEEEZZNS1_27merge_sort_block_merge_implIS3_N6thrust23THRUST_200600_302600_NS6detail15normal_iteratorINS9_10device_ptrIjEEEEPS5_jNS1_19radix_merge_compareILb0ELb0EjNS0_19identity_decomposerEEEEE10hipError_tT0_T1_T2_jT3_P12ihipStream_tbPNSt15iterator_traitsISK_E10value_typeEPNSQ_ISL_E10value_typeEPSM_NS1_7vsmem_tEENKUlT_SK_SL_SM_E_clISE_PjSF_SF_EESJ_SZ_SK_SL_SM_EUlSZ_E_NS1_11comp_targetILNS1_3genE10ELNS1_11target_archE1201ELNS1_3gpuE5ELNS1_3repE0EEENS1_48merge_mergepath_partition_config_static_selectorELNS0_4arch9wavefront6targetE1EEEvSL_
	.globl	_ZN7rocprim17ROCPRIM_400000_NS6detail17trampoline_kernelINS0_14default_configENS1_38merge_sort_block_merge_config_selectorIjNS0_10empty_typeEEEZZNS1_27merge_sort_block_merge_implIS3_N6thrust23THRUST_200600_302600_NS6detail15normal_iteratorINS9_10device_ptrIjEEEEPS5_jNS1_19radix_merge_compareILb0ELb0EjNS0_19identity_decomposerEEEEE10hipError_tT0_T1_T2_jT3_P12ihipStream_tbPNSt15iterator_traitsISK_E10value_typeEPNSQ_ISL_E10value_typeEPSM_NS1_7vsmem_tEENKUlT_SK_SL_SM_E_clISE_PjSF_SF_EESJ_SZ_SK_SL_SM_EUlSZ_E_NS1_11comp_targetILNS1_3genE10ELNS1_11target_archE1201ELNS1_3gpuE5ELNS1_3repE0EEENS1_48merge_mergepath_partition_config_static_selectorELNS0_4arch9wavefront6targetE1EEEvSL_
	.p2align	8
	.type	_ZN7rocprim17ROCPRIM_400000_NS6detail17trampoline_kernelINS0_14default_configENS1_38merge_sort_block_merge_config_selectorIjNS0_10empty_typeEEEZZNS1_27merge_sort_block_merge_implIS3_N6thrust23THRUST_200600_302600_NS6detail15normal_iteratorINS9_10device_ptrIjEEEEPS5_jNS1_19radix_merge_compareILb0ELb0EjNS0_19identity_decomposerEEEEE10hipError_tT0_T1_T2_jT3_P12ihipStream_tbPNSt15iterator_traitsISK_E10value_typeEPNSQ_ISL_E10value_typeEPSM_NS1_7vsmem_tEENKUlT_SK_SL_SM_E_clISE_PjSF_SF_EESJ_SZ_SK_SL_SM_EUlSZ_E_NS1_11comp_targetILNS1_3genE10ELNS1_11target_archE1201ELNS1_3gpuE5ELNS1_3repE0EEENS1_48merge_mergepath_partition_config_static_selectorELNS0_4arch9wavefront6targetE1EEEvSL_,@function
_ZN7rocprim17ROCPRIM_400000_NS6detail17trampoline_kernelINS0_14default_configENS1_38merge_sort_block_merge_config_selectorIjNS0_10empty_typeEEEZZNS1_27merge_sort_block_merge_implIS3_N6thrust23THRUST_200600_302600_NS6detail15normal_iteratorINS9_10device_ptrIjEEEEPS5_jNS1_19radix_merge_compareILb0ELb0EjNS0_19identity_decomposerEEEEE10hipError_tT0_T1_T2_jT3_P12ihipStream_tbPNSt15iterator_traitsISK_E10value_typeEPNSQ_ISL_E10value_typeEPSM_NS1_7vsmem_tEENKUlT_SK_SL_SM_E_clISE_PjSF_SF_EESJ_SZ_SK_SL_SM_EUlSZ_E_NS1_11comp_targetILNS1_3genE10ELNS1_11target_archE1201ELNS1_3gpuE5ELNS1_3repE0EEENS1_48merge_mergepath_partition_config_static_selectorELNS0_4arch9wavefront6targetE1EEEvSL_: ; @_ZN7rocprim17ROCPRIM_400000_NS6detail17trampoline_kernelINS0_14default_configENS1_38merge_sort_block_merge_config_selectorIjNS0_10empty_typeEEEZZNS1_27merge_sort_block_merge_implIS3_N6thrust23THRUST_200600_302600_NS6detail15normal_iteratorINS9_10device_ptrIjEEEEPS5_jNS1_19radix_merge_compareILb0ELb0EjNS0_19identity_decomposerEEEEE10hipError_tT0_T1_T2_jT3_P12ihipStream_tbPNSt15iterator_traitsISK_E10value_typeEPNSQ_ISL_E10value_typeEPSM_NS1_7vsmem_tEENKUlT_SK_SL_SM_E_clISE_PjSF_SF_EESJ_SZ_SK_SL_SM_EUlSZ_E_NS1_11comp_targetILNS1_3genE10ELNS1_11target_archE1201ELNS1_3gpuE5ELNS1_3repE0EEENS1_48merge_mergepath_partition_config_static_selectorELNS0_4arch9wavefront6targetE1EEEvSL_
; %bb.0:
	.section	.rodata,"a",@progbits
	.p2align	6, 0x0
	.amdhsa_kernel _ZN7rocprim17ROCPRIM_400000_NS6detail17trampoline_kernelINS0_14default_configENS1_38merge_sort_block_merge_config_selectorIjNS0_10empty_typeEEEZZNS1_27merge_sort_block_merge_implIS3_N6thrust23THRUST_200600_302600_NS6detail15normal_iteratorINS9_10device_ptrIjEEEEPS5_jNS1_19radix_merge_compareILb0ELb0EjNS0_19identity_decomposerEEEEE10hipError_tT0_T1_T2_jT3_P12ihipStream_tbPNSt15iterator_traitsISK_E10value_typeEPNSQ_ISL_E10value_typeEPSM_NS1_7vsmem_tEENKUlT_SK_SL_SM_E_clISE_PjSF_SF_EESJ_SZ_SK_SL_SM_EUlSZ_E_NS1_11comp_targetILNS1_3genE10ELNS1_11target_archE1201ELNS1_3gpuE5ELNS1_3repE0EEENS1_48merge_mergepath_partition_config_static_selectorELNS0_4arch9wavefront6targetE1EEEvSL_
		.amdhsa_group_segment_fixed_size 0
		.amdhsa_private_segment_fixed_size 0
		.amdhsa_kernarg_size 40
		.amdhsa_user_sgpr_count 6
		.amdhsa_user_sgpr_private_segment_buffer 1
		.amdhsa_user_sgpr_dispatch_ptr 0
		.amdhsa_user_sgpr_queue_ptr 0
		.amdhsa_user_sgpr_kernarg_segment_ptr 1
		.amdhsa_user_sgpr_dispatch_id 0
		.amdhsa_user_sgpr_flat_scratch_init 0
		.amdhsa_user_sgpr_kernarg_preload_length 0
		.amdhsa_user_sgpr_kernarg_preload_offset 0
		.amdhsa_user_sgpr_private_segment_size 0
		.amdhsa_uses_dynamic_stack 0
		.amdhsa_system_sgpr_private_segment_wavefront_offset 0
		.amdhsa_system_sgpr_workgroup_id_x 1
		.amdhsa_system_sgpr_workgroup_id_y 0
		.amdhsa_system_sgpr_workgroup_id_z 0
		.amdhsa_system_sgpr_workgroup_info 0
		.amdhsa_system_vgpr_workitem_id 0
		.amdhsa_next_free_vgpr 1
		.amdhsa_next_free_sgpr 0
		.amdhsa_accum_offset 4
		.amdhsa_reserve_vcc 0
		.amdhsa_reserve_flat_scratch 0
		.amdhsa_float_round_mode_32 0
		.amdhsa_float_round_mode_16_64 0
		.amdhsa_float_denorm_mode_32 3
		.amdhsa_float_denorm_mode_16_64 3
		.amdhsa_dx10_clamp 1
		.amdhsa_ieee_mode 1
		.amdhsa_fp16_overflow 0
		.amdhsa_tg_split 0
		.amdhsa_exception_fp_ieee_invalid_op 0
		.amdhsa_exception_fp_denorm_src 0
		.amdhsa_exception_fp_ieee_div_zero 0
		.amdhsa_exception_fp_ieee_overflow 0
		.amdhsa_exception_fp_ieee_underflow 0
		.amdhsa_exception_fp_ieee_inexact 0
		.amdhsa_exception_int_div_zero 0
	.end_amdhsa_kernel
	.section	.text._ZN7rocprim17ROCPRIM_400000_NS6detail17trampoline_kernelINS0_14default_configENS1_38merge_sort_block_merge_config_selectorIjNS0_10empty_typeEEEZZNS1_27merge_sort_block_merge_implIS3_N6thrust23THRUST_200600_302600_NS6detail15normal_iteratorINS9_10device_ptrIjEEEEPS5_jNS1_19radix_merge_compareILb0ELb0EjNS0_19identity_decomposerEEEEE10hipError_tT0_T1_T2_jT3_P12ihipStream_tbPNSt15iterator_traitsISK_E10value_typeEPNSQ_ISL_E10value_typeEPSM_NS1_7vsmem_tEENKUlT_SK_SL_SM_E_clISE_PjSF_SF_EESJ_SZ_SK_SL_SM_EUlSZ_E_NS1_11comp_targetILNS1_3genE10ELNS1_11target_archE1201ELNS1_3gpuE5ELNS1_3repE0EEENS1_48merge_mergepath_partition_config_static_selectorELNS0_4arch9wavefront6targetE1EEEvSL_,"axG",@progbits,_ZN7rocprim17ROCPRIM_400000_NS6detail17trampoline_kernelINS0_14default_configENS1_38merge_sort_block_merge_config_selectorIjNS0_10empty_typeEEEZZNS1_27merge_sort_block_merge_implIS3_N6thrust23THRUST_200600_302600_NS6detail15normal_iteratorINS9_10device_ptrIjEEEEPS5_jNS1_19radix_merge_compareILb0ELb0EjNS0_19identity_decomposerEEEEE10hipError_tT0_T1_T2_jT3_P12ihipStream_tbPNSt15iterator_traitsISK_E10value_typeEPNSQ_ISL_E10value_typeEPSM_NS1_7vsmem_tEENKUlT_SK_SL_SM_E_clISE_PjSF_SF_EESJ_SZ_SK_SL_SM_EUlSZ_E_NS1_11comp_targetILNS1_3genE10ELNS1_11target_archE1201ELNS1_3gpuE5ELNS1_3repE0EEENS1_48merge_mergepath_partition_config_static_selectorELNS0_4arch9wavefront6targetE1EEEvSL_,comdat
.Lfunc_end994:
	.size	_ZN7rocprim17ROCPRIM_400000_NS6detail17trampoline_kernelINS0_14default_configENS1_38merge_sort_block_merge_config_selectorIjNS0_10empty_typeEEEZZNS1_27merge_sort_block_merge_implIS3_N6thrust23THRUST_200600_302600_NS6detail15normal_iteratorINS9_10device_ptrIjEEEEPS5_jNS1_19radix_merge_compareILb0ELb0EjNS0_19identity_decomposerEEEEE10hipError_tT0_T1_T2_jT3_P12ihipStream_tbPNSt15iterator_traitsISK_E10value_typeEPNSQ_ISL_E10value_typeEPSM_NS1_7vsmem_tEENKUlT_SK_SL_SM_E_clISE_PjSF_SF_EESJ_SZ_SK_SL_SM_EUlSZ_E_NS1_11comp_targetILNS1_3genE10ELNS1_11target_archE1201ELNS1_3gpuE5ELNS1_3repE0EEENS1_48merge_mergepath_partition_config_static_selectorELNS0_4arch9wavefront6targetE1EEEvSL_, .Lfunc_end994-_ZN7rocprim17ROCPRIM_400000_NS6detail17trampoline_kernelINS0_14default_configENS1_38merge_sort_block_merge_config_selectorIjNS0_10empty_typeEEEZZNS1_27merge_sort_block_merge_implIS3_N6thrust23THRUST_200600_302600_NS6detail15normal_iteratorINS9_10device_ptrIjEEEEPS5_jNS1_19radix_merge_compareILb0ELb0EjNS0_19identity_decomposerEEEEE10hipError_tT0_T1_T2_jT3_P12ihipStream_tbPNSt15iterator_traitsISK_E10value_typeEPNSQ_ISL_E10value_typeEPSM_NS1_7vsmem_tEENKUlT_SK_SL_SM_E_clISE_PjSF_SF_EESJ_SZ_SK_SL_SM_EUlSZ_E_NS1_11comp_targetILNS1_3genE10ELNS1_11target_archE1201ELNS1_3gpuE5ELNS1_3repE0EEENS1_48merge_mergepath_partition_config_static_selectorELNS0_4arch9wavefront6targetE1EEEvSL_
                                        ; -- End function
	.section	.AMDGPU.csdata,"",@progbits
; Kernel info:
; codeLenInByte = 0
; NumSgprs: 4
; NumVgprs: 0
; NumAgprs: 0
; TotalNumVgprs: 0
; ScratchSize: 0
; MemoryBound: 0
; FloatMode: 240
; IeeeMode: 1
; LDSByteSize: 0 bytes/workgroup (compile time only)
; SGPRBlocks: 0
; VGPRBlocks: 0
; NumSGPRsForWavesPerEU: 4
; NumVGPRsForWavesPerEU: 1
; AccumOffset: 4
; Occupancy: 8
; WaveLimiterHint : 0
; COMPUTE_PGM_RSRC2:SCRATCH_EN: 0
; COMPUTE_PGM_RSRC2:USER_SGPR: 6
; COMPUTE_PGM_RSRC2:TRAP_HANDLER: 0
; COMPUTE_PGM_RSRC2:TGID_X_EN: 1
; COMPUTE_PGM_RSRC2:TGID_Y_EN: 0
; COMPUTE_PGM_RSRC2:TGID_Z_EN: 0
; COMPUTE_PGM_RSRC2:TIDIG_COMP_CNT: 0
; COMPUTE_PGM_RSRC3_GFX90A:ACCUM_OFFSET: 0
; COMPUTE_PGM_RSRC3_GFX90A:TG_SPLIT: 0
	.section	.text._ZN7rocprim17ROCPRIM_400000_NS6detail17trampoline_kernelINS0_14default_configENS1_38merge_sort_block_merge_config_selectorIjNS0_10empty_typeEEEZZNS1_27merge_sort_block_merge_implIS3_N6thrust23THRUST_200600_302600_NS6detail15normal_iteratorINS9_10device_ptrIjEEEEPS5_jNS1_19radix_merge_compareILb0ELb0EjNS0_19identity_decomposerEEEEE10hipError_tT0_T1_T2_jT3_P12ihipStream_tbPNSt15iterator_traitsISK_E10value_typeEPNSQ_ISL_E10value_typeEPSM_NS1_7vsmem_tEENKUlT_SK_SL_SM_E_clISE_PjSF_SF_EESJ_SZ_SK_SL_SM_EUlSZ_E_NS1_11comp_targetILNS1_3genE5ELNS1_11target_archE942ELNS1_3gpuE9ELNS1_3repE0EEENS1_48merge_mergepath_partition_config_static_selectorELNS0_4arch9wavefront6targetE1EEEvSL_,"axG",@progbits,_ZN7rocprim17ROCPRIM_400000_NS6detail17trampoline_kernelINS0_14default_configENS1_38merge_sort_block_merge_config_selectorIjNS0_10empty_typeEEEZZNS1_27merge_sort_block_merge_implIS3_N6thrust23THRUST_200600_302600_NS6detail15normal_iteratorINS9_10device_ptrIjEEEEPS5_jNS1_19radix_merge_compareILb0ELb0EjNS0_19identity_decomposerEEEEE10hipError_tT0_T1_T2_jT3_P12ihipStream_tbPNSt15iterator_traitsISK_E10value_typeEPNSQ_ISL_E10value_typeEPSM_NS1_7vsmem_tEENKUlT_SK_SL_SM_E_clISE_PjSF_SF_EESJ_SZ_SK_SL_SM_EUlSZ_E_NS1_11comp_targetILNS1_3genE5ELNS1_11target_archE942ELNS1_3gpuE9ELNS1_3repE0EEENS1_48merge_mergepath_partition_config_static_selectorELNS0_4arch9wavefront6targetE1EEEvSL_,comdat
	.protected	_ZN7rocprim17ROCPRIM_400000_NS6detail17trampoline_kernelINS0_14default_configENS1_38merge_sort_block_merge_config_selectorIjNS0_10empty_typeEEEZZNS1_27merge_sort_block_merge_implIS3_N6thrust23THRUST_200600_302600_NS6detail15normal_iteratorINS9_10device_ptrIjEEEEPS5_jNS1_19radix_merge_compareILb0ELb0EjNS0_19identity_decomposerEEEEE10hipError_tT0_T1_T2_jT3_P12ihipStream_tbPNSt15iterator_traitsISK_E10value_typeEPNSQ_ISL_E10value_typeEPSM_NS1_7vsmem_tEENKUlT_SK_SL_SM_E_clISE_PjSF_SF_EESJ_SZ_SK_SL_SM_EUlSZ_E_NS1_11comp_targetILNS1_3genE5ELNS1_11target_archE942ELNS1_3gpuE9ELNS1_3repE0EEENS1_48merge_mergepath_partition_config_static_selectorELNS0_4arch9wavefront6targetE1EEEvSL_ ; -- Begin function _ZN7rocprim17ROCPRIM_400000_NS6detail17trampoline_kernelINS0_14default_configENS1_38merge_sort_block_merge_config_selectorIjNS0_10empty_typeEEEZZNS1_27merge_sort_block_merge_implIS3_N6thrust23THRUST_200600_302600_NS6detail15normal_iteratorINS9_10device_ptrIjEEEEPS5_jNS1_19radix_merge_compareILb0ELb0EjNS0_19identity_decomposerEEEEE10hipError_tT0_T1_T2_jT3_P12ihipStream_tbPNSt15iterator_traitsISK_E10value_typeEPNSQ_ISL_E10value_typeEPSM_NS1_7vsmem_tEENKUlT_SK_SL_SM_E_clISE_PjSF_SF_EESJ_SZ_SK_SL_SM_EUlSZ_E_NS1_11comp_targetILNS1_3genE5ELNS1_11target_archE942ELNS1_3gpuE9ELNS1_3repE0EEENS1_48merge_mergepath_partition_config_static_selectorELNS0_4arch9wavefront6targetE1EEEvSL_
	.globl	_ZN7rocprim17ROCPRIM_400000_NS6detail17trampoline_kernelINS0_14default_configENS1_38merge_sort_block_merge_config_selectorIjNS0_10empty_typeEEEZZNS1_27merge_sort_block_merge_implIS3_N6thrust23THRUST_200600_302600_NS6detail15normal_iteratorINS9_10device_ptrIjEEEEPS5_jNS1_19radix_merge_compareILb0ELb0EjNS0_19identity_decomposerEEEEE10hipError_tT0_T1_T2_jT3_P12ihipStream_tbPNSt15iterator_traitsISK_E10value_typeEPNSQ_ISL_E10value_typeEPSM_NS1_7vsmem_tEENKUlT_SK_SL_SM_E_clISE_PjSF_SF_EESJ_SZ_SK_SL_SM_EUlSZ_E_NS1_11comp_targetILNS1_3genE5ELNS1_11target_archE942ELNS1_3gpuE9ELNS1_3repE0EEENS1_48merge_mergepath_partition_config_static_selectorELNS0_4arch9wavefront6targetE1EEEvSL_
	.p2align	8
	.type	_ZN7rocprim17ROCPRIM_400000_NS6detail17trampoline_kernelINS0_14default_configENS1_38merge_sort_block_merge_config_selectorIjNS0_10empty_typeEEEZZNS1_27merge_sort_block_merge_implIS3_N6thrust23THRUST_200600_302600_NS6detail15normal_iteratorINS9_10device_ptrIjEEEEPS5_jNS1_19radix_merge_compareILb0ELb0EjNS0_19identity_decomposerEEEEE10hipError_tT0_T1_T2_jT3_P12ihipStream_tbPNSt15iterator_traitsISK_E10value_typeEPNSQ_ISL_E10value_typeEPSM_NS1_7vsmem_tEENKUlT_SK_SL_SM_E_clISE_PjSF_SF_EESJ_SZ_SK_SL_SM_EUlSZ_E_NS1_11comp_targetILNS1_3genE5ELNS1_11target_archE942ELNS1_3gpuE9ELNS1_3repE0EEENS1_48merge_mergepath_partition_config_static_selectorELNS0_4arch9wavefront6targetE1EEEvSL_,@function
_ZN7rocprim17ROCPRIM_400000_NS6detail17trampoline_kernelINS0_14default_configENS1_38merge_sort_block_merge_config_selectorIjNS0_10empty_typeEEEZZNS1_27merge_sort_block_merge_implIS3_N6thrust23THRUST_200600_302600_NS6detail15normal_iteratorINS9_10device_ptrIjEEEEPS5_jNS1_19radix_merge_compareILb0ELb0EjNS0_19identity_decomposerEEEEE10hipError_tT0_T1_T2_jT3_P12ihipStream_tbPNSt15iterator_traitsISK_E10value_typeEPNSQ_ISL_E10value_typeEPSM_NS1_7vsmem_tEENKUlT_SK_SL_SM_E_clISE_PjSF_SF_EESJ_SZ_SK_SL_SM_EUlSZ_E_NS1_11comp_targetILNS1_3genE5ELNS1_11target_archE942ELNS1_3gpuE9ELNS1_3repE0EEENS1_48merge_mergepath_partition_config_static_selectorELNS0_4arch9wavefront6targetE1EEEvSL_: ; @_ZN7rocprim17ROCPRIM_400000_NS6detail17trampoline_kernelINS0_14default_configENS1_38merge_sort_block_merge_config_selectorIjNS0_10empty_typeEEEZZNS1_27merge_sort_block_merge_implIS3_N6thrust23THRUST_200600_302600_NS6detail15normal_iteratorINS9_10device_ptrIjEEEEPS5_jNS1_19radix_merge_compareILb0ELb0EjNS0_19identity_decomposerEEEEE10hipError_tT0_T1_T2_jT3_P12ihipStream_tbPNSt15iterator_traitsISK_E10value_typeEPNSQ_ISL_E10value_typeEPSM_NS1_7vsmem_tEENKUlT_SK_SL_SM_E_clISE_PjSF_SF_EESJ_SZ_SK_SL_SM_EUlSZ_E_NS1_11comp_targetILNS1_3genE5ELNS1_11target_archE942ELNS1_3gpuE9ELNS1_3repE0EEENS1_48merge_mergepath_partition_config_static_selectorELNS0_4arch9wavefront6targetE1EEEvSL_
; %bb.0:
	.section	.rodata,"a",@progbits
	.p2align	6, 0x0
	.amdhsa_kernel _ZN7rocprim17ROCPRIM_400000_NS6detail17trampoline_kernelINS0_14default_configENS1_38merge_sort_block_merge_config_selectorIjNS0_10empty_typeEEEZZNS1_27merge_sort_block_merge_implIS3_N6thrust23THRUST_200600_302600_NS6detail15normal_iteratorINS9_10device_ptrIjEEEEPS5_jNS1_19radix_merge_compareILb0ELb0EjNS0_19identity_decomposerEEEEE10hipError_tT0_T1_T2_jT3_P12ihipStream_tbPNSt15iterator_traitsISK_E10value_typeEPNSQ_ISL_E10value_typeEPSM_NS1_7vsmem_tEENKUlT_SK_SL_SM_E_clISE_PjSF_SF_EESJ_SZ_SK_SL_SM_EUlSZ_E_NS1_11comp_targetILNS1_3genE5ELNS1_11target_archE942ELNS1_3gpuE9ELNS1_3repE0EEENS1_48merge_mergepath_partition_config_static_selectorELNS0_4arch9wavefront6targetE1EEEvSL_
		.amdhsa_group_segment_fixed_size 0
		.amdhsa_private_segment_fixed_size 0
		.amdhsa_kernarg_size 40
		.amdhsa_user_sgpr_count 6
		.amdhsa_user_sgpr_private_segment_buffer 1
		.amdhsa_user_sgpr_dispatch_ptr 0
		.amdhsa_user_sgpr_queue_ptr 0
		.amdhsa_user_sgpr_kernarg_segment_ptr 1
		.amdhsa_user_sgpr_dispatch_id 0
		.amdhsa_user_sgpr_flat_scratch_init 0
		.amdhsa_user_sgpr_kernarg_preload_length 0
		.amdhsa_user_sgpr_kernarg_preload_offset 0
		.amdhsa_user_sgpr_private_segment_size 0
		.amdhsa_uses_dynamic_stack 0
		.amdhsa_system_sgpr_private_segment_wavefront_offset 0
		.amdhsa_system_sgpr_workgroup_id_x 1
		.amdhsa_system_sgpr_workgroup_id_y 0
		.amdhsa_system_sgpr_workgroup_id_z 0
		.amdhsa_system_sgpr_workgroup_info 0
		.amdhsa_system_vgpr_workitem_id 0
		.amdhsa_next_free_vgpr 1
		.amdhsa_next_free_sgpr 0
		.amdhsa_accum_offset 4
		.amdhsa_reserve_vcc 0
		.amdhsa_reserve_flat_scratch 0
		.amdhsa_float_round_mode_32 0
		.amdhsa_float_round_mode_16_64 0
		.amdhsa_float_denorm_mode_32 3
		.amdhsa_float_denorm_mode_16_64 3
		.amdhsa_dx10_clamp 1
		.amdhsa_ieee_mode 1
		.amdhsa_fp16_overflow 0
		.amdhsa_tg_split 0
		.amdhsa_exception_fp_ieee_invalid_op 0
		.amdhsa_exception_fp_denorm_src 0
		.amdhsa_exception_fp_ieee_div_zero 0
		.amdhsa_exception_fp_ieee_overflow 0
		.amdhsa_exception_fp_ieee_underflow 0
		.amdhsa_exception_fp_ieee_inexact 0
		.amdhsa_exception_int_div_zero 0
	.end_amdhsa_kernel
	.section	.text._ZN7rocprim17ROCPRIM_400000_NS6detail17trampoline_kernelINS0_14default_configENS1_38merge_sort_block_merge_config_selectorIjNS0_10empty_typeEEEZZNS1_27merge_sort_block_merge_implIS3_N6thrust23THRUST_200600_302600_NS6detail15normal_iteratorINS9_10device_ptrIjEEEEPS5_jNS1_19radix_merge_compareILb0ELb0EjNS0_19identity_decomposerEEEEE10hipError_tT0_T1_T2_jT3_P12ihipStream_tbPNSt15iterator_traitsISK_E10value_typeEPNSQ_ISL_E10value_typeEPSM_NS1_7vsmem_tEENKUlT_SK_SL_SM_E_clISE_PjSF_SF_EESJ_SZ_SK_SL_SM_EUlSZ_E_NS1_11comp_targetILNS1_3genE5ELNS1_11target_archE942ELNS1_3gpuE9ELNS1_3repE0EEENS1_48merge_mergepath_partition_config_static_selectorELNS0_4arch9wavefront6targetE1EEEvSL_,"axG",@progbits,_ZN7rocprim17ROCPRIM_400000_NS6detail17trampoline_kernelINS0_14default_configENS1_38merge_sort_block_merge_config_selectorIjNS0_10empty_typeEEEZZNS1_27merge_sort_block_merge_implIS3_N6thrust23THRUST_200600_302600_NS6detail15normal_iteratorINS9_10device_ptrIjEEEEPS5_jNS1_19radix_merge_compareILb0ELb0EjNS0_19identity_decomposerEEEEE10hipError_tT0_T1_T2_jT3_P12ihipStream_tbPNSt15iterator_traitsISK_E10value_typeEPNSQ_ISL_E10value_typeEPSM_NS1_7vsmem_tEENKUlT_SK_SL_SM_E_clISE_PjSF_SF_EESJ_SZ_SK_SL_SM_EUlSZ_E_NS1_11comp_targetILNS1_3genE5ELNS1_11target_archE942ELNS1_3gpuE9ELNS1_3repE0EEENS1_48merge_mergepath_partition_config_static_selectorELNS0_4arch9wavefront6targetE1EEEvSL_,comdat
.Lfunc_end995:
	.size	_ZN7rocprim17ROCPRIM_400000_NS6detail17trampoline_kernelINS0_14default_configENS1_38merge_sort_block_merge_config_selectorIjNS0_10empty_typeEEEZZNS1_27merge_sort_block_merge_implIS3_N6thrust23THRUST_200600_302600_NS6detail15normal_iteratorINS9_10device_ptrIjEEEEPS5_jNS1_19radix_merge_compareILb0ELb0EjNS0_19identity_decomposerEEEEE10hipError_tT0_T1_T2_jT3_P12ihipStream_tbPNSt15iterator_traitsISK_E10value_typeEPNSQ_ISL_E10value_typeEPSM_NS1_7vsmem_tEENKUlT_SK_SL_SM_E_clISE_PjSF_SF_EESJ_SZ_SK_SL_SM_EUlSZ_E_NS1_11comp_targetILNS1_3genE5ELNS1_11target_archE942ELNS1_3gpuE9ELNS1_3repE0EEENS1_48merge_mergepath_partition_config_static_selectorELNS0_4arch9wavefront6targetE1EEEvSL_, .Lfunc_end995-_ZN7rocprim17ROCPRIM_400000_NS6detail17trampoline_kernelINS0_14default_configENS1_38merge_sort_block_merge_config_selectorIjNS0_10empty_typeEEEZZNS1_27merge_sort_block_merge_implIS3_N6thrust23THRUST_200600_302600_NS6detail15normal_iteratorINS9_10device_ptrIjEEEEPS5_jNS1_19radix_merge_compareILb0ELb0EjNS0_19identity_decomposerEEEEE10hipError_tT0_T1_T2_jT3_P12ihipStream_tbPNSt15iterator_traitsISK_E10value_typeEPNSQ_ISL_E10value_typeEPSM_NS1_7vsmem_tEENKUlT_SK_SL_SM_E_clISE_PjSF_SF_EESJ_SZ_SK_SL_SM_EUlSZ_E_NS1_11comp_targetILNS1_3genE5ELNS1_11target_archE942ELNS1_3gpuE9ELNS1_3repE0EEENS1_48merge_mergepath_partition_config_static_selectorELNS0_4arch9wavefront6targetE1EEEvSL_
                                        ; -- End function
	.section	.AMDGPU.csdata,"",@progbits
; Kernel info:
; codeLenInByte = 0
; NumSgprs: 4
; NumVgprs: 0
; NumAgprs: 0
; TotalNumVgprs: 0
; ScratchSize: 0
; MemoryBound: 0
; FloatMode: 240
; IeeeMode: 1
; LDSByteSize: 0 bytes/workgroup (compile time only)
; SGPRBlocks: 0
; VGPRBlocks: 0
; NumSGPRsForWavesPerEU: 4
; NumVGPRsForWavesPerEU: 1
; AccumOffset: 4
; Occupancy: 8
; WaveLimiterHint : 0
; COMPUTE_PGM_RSRC2:SCRATCH_EN: 0
; COMPUTE_PGM_RSRC2:USER_SGPR: 6
; COMPUTE_PGM_RSRC2:TRAP_HANDLER: 0
; COMPUTE_PGM_RSRC2:TGID_X_EN: 1
; COMPUTE_PGM_RSRC2:TGID_Y_EN: 0
; COMPUTE_PGM_RSRC2:TGID_Z_EN: 0
; COMPUTE_PGM_RSRC2:TIDIG_COMP_CNT: 0
; COMPUTE_PGM_RSRC3_GFX90A:ACCUM_OFFSET: 0
; COMPUTE_PGM_RSRC3_GFX90A:TG_SPLIT: 0
	.section	.text._ZN7rocprim17ROCPRIM_400000_NS6detail17trampoline_kernelINS0_14default_configENS1_38merge_sort_block_merge_config_selectorIjNS0_10empty_typeEEEZZNS1_27merge_sort_block_merge_implIS3_N6thrust23THRUST_200600_302600_NS6detail15normal_iteratorINS9_10device_ptrIjEEEEPS5_jNS1_19radix_merge_compareILb0ELb0EjNS0_19identity_decomposerEEEEE10hipError_tT0_T1_T2_jT3_P12ihipStream_tbPNSt15iterator_traitsISK_E10value_typeEPNSQ_ISL_E10value_typeEPSM_NS1_7vsmem_tEENKUlT_SK_SL_SM_E_clISE_PjSF_SF_EESJ_SZ_SK_SL_SM_EUlSZ_E_NS1_11comp_targetILNS1_3genE4ELNS1_11target_archE910ELNS1_3gpuE8ELNS1_3repE0EEENS1_48merge_mergepath_partition_config_static_selectorELNS0_4arch9wavefront6targetE1EEEvSL_,"axG",@progbits,_ZN7rocprim17ROCPRIM_400000_NS6detail17trampoline_kernelINS0_14default_configENS1_38merge_sort_block_merge_config_selectorIjNS0_10empty_typeEEEZZNS1_27merge_sort_block_merge_implIS3_N6thrust23THRUST_200600_302600_NS6detail15normal_iteratorINS9_10device_ptrIjEEEEPS5_jNS1_19radix_merge_compareILb0ELb0EjNS0_19identity_decomposerEEEEE10hipError_tT0_T1_T2_jT3_P12ihipStream_tbPNSt15iterator_traitsISK_E10value_typeEPNSQ_ISL_E10value_typeEPSM_NS1_7vsmem_tEENKUlT_SK_SL_SM_E_clISE_PjSF_SF_EESJ_SZ_SK_SL_SM_EUlSZ_E_NS1_11comp_targetILNS1_3genE4ELNS1_11target_archE910ELNS1_3gpuE8ELNS1_3repE0EEENS1_48merge_mergepath_partition_config_static_selectorELNS0_4arch9wavefront6targetE1EEEvSL_,comdat
	.protected	_ZN7rocprim17ROCPRIM_400000_NS6detail17trampoline_kernelINS0_14default_configENS1_38merge_sort_block_merge_config_selectorIjNS0_10empty_typeEEEZZNS1_27merge_sort_block_merge_implIS3_N6thrust23THRUST_200600_302600_NS6detail15normal_iteratorINS9_10device_ptrIjEEEEPS5_jNS1_19radix_merge_compareILb0ELb0EjNS0_19identity_decomposerEEEEE10hipError_tT0_T1_T2_jT3_P12ihipStream_tbPNSt15iterator_traitsISK_E10value_typeEPNSQ_ISL_E10value_typeEPSM_NS1_7vsmem_tEENKUlT_SK_SL_SM_E_clISE_PjSF_SF_EESJ_SZ_SK_SL_SM_EUlSZ_E_NS1_11comp_targetILNS1_3genE4ELNS1_11target_archE910ELNS1_3gpuE8ELNS1_3repE0EEENS1_48merge_mergepath_partition_config_static_selectorELNS0_4arch9wavefront6targetE1EEEvSL_ ; -- Begin function _ZN7rocprim17ROCPRIM_400000_NS6detail17trampoline_kernelINS0_14default_configENS1_38merge_sort_block_merge_config_selectorIjNS0_10empty_typeEEEZZNS1_27merge_sort_block_merge_implIS3_N6thrust23THRUST_200600_302600_NS6detail15normal_iteratorINS9_10device_ptrIjEEEEPS5_jNS1_19radix_merge_compareILb0ELb0EjNS0_19identity_decomposerEEEEE10hipError_tT0_T1_T2_jT3_P12ihipStream_tbPNSt15iterator_traitsISK_E10value_typeEPNSQ_ISL_E10value_typeEPSM_NS1_7vsmem_tEENKUlT_SK_SL_SM_E_clISE_PjSF_SF_EESJ_SZ_SK_SL_SM_EUlSZ_E_NS1_11comp_targetILNS1_3genE4ELNS1_11target_archE910ELNS1_3gpuE8ELNS1_3repE0EEENS1_48merge_mergepath_partition_config_static_selectorELNS0_4arch9wavefront6targetE1EEEvSL_
	.globl	_ZN7rocprim17ROCPRIM_400000_NS6detail17trampoline_kernelINS0_14default_configENS1_38merge_sort_block_merge_config_selectorIjNS0_10empty_typeEEEZZNS1_27merge_sort_block_merge_implIS3_N6thrust23THRUST_200600_302600_NS6detail15normal_iteratorINS9_10device_ptrIjEEEEPS5_jNS1_19radix_merge_compareILb0ELb0EjNS0_19identity_decomposerEEEEE10hipError_tT0_T1_T2_jT3_P12ihipStream_tbPNSt15iterator_traitsISK_E10value_typeEPNSQ_ISL_E10value_typeEPSM_NS1_7vsmem_tEENKUlT_SK_SL_SM_E_clISE_PjSF_SF_EESJ_SZ_SK_SL_SM_EUlSZ_E_NS1_11comp_targetILNS1_3genE4ELNS1_11target_archE910ELNS1_3gpuE8ELNS1_3repE0EEENS1_48merge_mergepath_partition_config_static_selectorELNS0_4arch9wavefront6targetE1EEEvSL_
	.p2align	8
	.type	_ZN7rocprim17ROCPRIM_400000_NS6detail17trampoline_kernelINS0_14default_configENS1_38merge_sort_block_merge_config_selectorIjNS0_10empty_typeEEEZZNS1_27merge_sort_block_merge_implIS3_N6thrust23THRUST_200600_302600_NS6detail15normal_iteratorINS9_10device_ptrIjEEEEPS5_jNS1_19radix_merge_compareILb0ELb0EjNS0_19identity_decomposerEEEEE10hipError_tT0_T1_T2_jT3_P12ihipStream_tbPNSt15iterator_traitsISK_E10value_typeEPNSQ_ISL_E10value_typeEPSM_NS1_7vsmem_tEENKUlT_SK_SL_SM_E_clISE_PjSF_SF_EESJ_SZ_SK_SL_SM_EUlSZ_E_NS1_11comp_targetILNS1_3genE4ELNS1_11target_archE910ELNS1_3gpuE8ELNS1_3repE0EEENS1_48merge_mergepath_partition_config_static_selectorELNS0_4arch9wavefront6targetE1EEEvSL_,@function
_ZN7rocprim17ROCPRIM_400000_NS6detail17trampoline_kernelINS0_14default_configENS1_38merge_sort_block_merge_config_selectorIjNS0_10empty_typeEEEZZNS1_27merge_sort_block_merge_implIS3_N6thrust23THRUST_200600_302600_NS6detail15normal_iteratorINS9_10device_ptrIjEEEEPS5_jNS1_19radix_merge_compareILb0ELb0EjNS0_19identity_decomposerEEEEE10hipError_tT0_T1_T2_jT3_P12ihipStream_tbPNSt15iterator_traitsISK_E10value_typeEPNSQ_ISL_E10value_typeEPSM_NS1_7vsmem_tEENKUlT_SK_SL_SM_E_clISE_PjSF_SF_EESJ_SZ_SK_SL_SM_EUlSZ_E_NS1_11comp_targetILNS1_3genE4ELNS1_11target_archE910ELNS1_3gpuE8ELNS1_3repE0EEENS1_48merge_mergepath_partition_config_static_selectorELNS0_4arch9wavefront6targetE1EEEvSL_: ; @_ZN7rocprim17ROCPRIM_400000_NS6detail17trampoline_kernelINS0_14default_configENS1_38merge_sort_block_merge_config_selectorIjNS0_10empty_typeEEEZZNS1_27merge_sort_block_merge_implIS3_N6thrust23THRUST_200600_302600_NS6detail15normal_iteratorINS9_10device_ptrIjEEEEPS5_jNS1_19radix_merge_compareILb0ELb0EjNS0_19identity_decomposerEEEEE10hipError_tT0_T1_T2_jT3_P12ihipStream_tbPNSt15iterator_traitsISK_E10value_typeEPNSQ_ISL_E10value_typeEPSM_NS1_7vsmem_tEENKUlT_SK_SL_SM_E_clISE_PjSF_SF_EESJ_SZ_SK_SL_SM_EUlSZ_E_NS1_11comp_targetILNS1_3genE4ELNS1_11target_archE910ELNS1_3gpuE8ELNS1_3repE0EEENS1_48merge_mergepath_partition_config_static_selectorELNS0_4arch9wavefront6targetE1EEEvSL_
; %bb.0:
	s_load_dword s0, s[4:5], 0x0
	v_lshl_or_b32 v0, s6, 7, v0
	s_waitcnt lgkmcnt(0)
	v_cmp_gt_u32_e32 vcc, s0, v0
	s_and_saveexec_b64 s[0:1], vcc
	s_cbranch_execz .LBB996_6
; %bb.1:
	s_load_dwordx2 s[2:3], s[4:5], 0x4
	s_load_dwordx2 s[0:1], s[4:5], 0x20
	s_waitcnt lgkmcnt(0)
	s_lshr_b32 s6, s2, 9
	s_and_b32 s6, s6, 0x7ffffe
	s_add_i32 s7, s6, -1
	s_sub_i32 s6, 0, s6
	v_and_b32_e32 v1, s6, v0
	v_lshlrev_b32_e32 v1, 10, v1
	v_min_u32_e32 v2, s3, v1
	v_add_u32_e32 v1, s2, v1
	v_min_u32_e32 v4, s3, v1
	v_add_u32_e32 v1, s2, v4
	v_and_b32_e32 v3, s7, v0
	v_min_u32_e32 v1, s3, v1
	v_sub_u32_e32 v5, v1, v2
	v_lshlrev_b32_e32 v3, 10, v3
	v_min_u32_e32 v6, v5, v3
	v_sub_u32_e32 v3, v4, v2
	v_sub_u32_e32 v1, v1, v4
	v_sub_u32_e64 v1, v6, v1 clamp
	v_min_u32_e32 v7, v6, v3
	v_cmp_lt_u32_e32 vcc, v1, v7
	s_and_saveexec_b64 s[2:3], vcc
	s_cbranch_execz .LBB996_5
; %bb.2:
	s_load_dwordx2 s[4:5], s[4:5], 0x10
	v_mov_b32_e32 v5, 0
	v_mov_b32_e32 v3, v5
	v_lshlrev_b64 v[8:9], 2, v[2:3]
	v_lshlrev_b64 v[10:11], 2, v[4:5]
	s_waitcnt lgkmcnt(0)
	v_mov_b32_e32 v12, s5
	v_add_co_u32_e32 v3, vcc, s4, v8
	v_addc_co_u32_e32 v8, vcc, v12, v9, vcc
	v_add_co_u32_e32 v9, vcc, s4, v10
	v_addc_co_u32_e32 v10, vcc, v12, v11, vcc
	s_mov_b64 s[4:5], 0
.LBB996_3:                              ; =>This Inner Loop Header: Depth=1
	v_add_u32_e32 v4, v7, v1
	v_lshrrev_b32_e32 v4, 1, v4
	v_lshlrev_b64 v[14:15], 2, v[4:5]
	v_mov_b32_e32 v13, v5
	v_xad_u32 v12, v4, -1, v6
	v_add_co_u32_e32 v14, vcc, v3, v14
	v_addc_co_u32_e32 v15, vcc, v8, v15, vcc
	v_lshlrev_b64 v[12:13], 2, v[12:13]
	v_add_co_u32_e32 v12, vcc, v9, v12
	v_addc_co_u32_e32 v13, vcc, v10, v13, vcc
	flat_load_dword v11, v[14:15]
	flat_load_dword v16, v[12:13]
	v_add_u32_e32 v12, 1, v4
	s_waitcnt vmcnt(0) lgkmcnt(0)
	v_cmp_gt_u32_e32 vcc, v11, v16
	v_cndmask_b32_e32 v7, v7, v4, vcc
	v_cndmask_b32_e32 v1, v12, v1, vcc
	v_cmp_ge_u32_e32 vcc, v1, v7
	s_or_b64 s[4:5], vcc, s[4:5]
	s_andn2_b64 exec, exec, s[4:5]
	s_cbranch_execnz .LBB996_3
; %bb.4:
	s_or_b64 exec, exec, s[4:5]
.LBB996_5:
	s_or_b64 exec, exec, s[2:3]
	v_add_u32_e32 v2, v1, v2
	v_mov_b32_e32 v1, 0
	v_lshlrev_b64 v[0:1], 2, v[0:1]
	v_mov_b32_e32 v3, s1
	v_add_co_u32_e32 v0, vcc, s0, v0
	v_addc_co_u32_e32 v1, vcc, v3, v1, vcc
	global_store_dword v[0:1], v2, off
.LBB996_6:
	s_endpgm
	.section	.rodata,"a",@progbits
	.p2align	6, 0x0
	.amdhsa_kernel _ZN7rocprim17ROCPRIM_400000_NS6detail17trampoline_kernelINS0_14default_configENS1_38merge_sort_block_merge_config_selectorIjNS0_10empty_typeEEEZZNS1_27merge_sort_block_merge_implIS3_N6thrust23THRUST_200600_302600_NS6detail15normal_iteratorINS9_10device_ptrIjEEEEPS5_jNS1_19radix_merge_compareILb0ELb0EjNS0_19identity_decomposerEEEEE10hipError_tT0_T1_T2_jT3_P12ihipStream_tbPNSt15iterator_traitsISK_E10value_typeEPNSQ_ISL_E10value_typeEPSM_NS1_7vsmem_tEENKUlT_SK_SL_SM_E_clISE_PjSF_SF_EESJ_SZ_SK_SL_SM_EUlSZ_E_NS1_11comp_targetILNS1_3genE4ELNS1_11target_archE910ELNS1_3gpuE8ELNS1_3repE0EEENS1_48merge_mergepath_partition_config_static_selectorELNS0_4arch9wavefront6targetE1EEEvSL_
		.amdhsa_group_segment_fixed_size 0
		.amdhsa_private_segment_fixed_size 0
		.amdhsa_kernarg_size 40
		.amdhsa_user_sgpr_count 6
		.amdhsa_user_sgpr_private_segment_buffer 1
		.amdhsa_user_sgpr_dispatch_ptr 0
		.amdhsa_user_sgpr_queue_ptr 0
		.amdhsa_user_sgpr_kernarg_segment_ptr 1
		.amdhsa_user_sgpr_dispatch_id 0
		.amdhsa_user_sgpr_flat_scratch_init 0
		.amdhsa_user_sgpr_kernarg_preload_length 0
		.amdhsa_user_sgpr_kernarg_preload_offset 0
		.amdhsa_user_sgpr_private_segment_size 0
		.amdhsa_uses_dynamic_stack 0
		.amdhsa_system_sgpr_private_segment_wavefront_offset 0
		.amdhsa_system_sgpr_workgroup_id_x 1
		.amdhsa_system_sgpr_workgroup_id_y 0
		.amdhsa_system_sgpr_workgroup_id_z 0
		.amdhsa_system_sgpr_workgroup_info 0
		.amdhsa_system_vgpr_workitem_id 0
		.amdhsa_next_free_vgpr 17
		.amdhsa_next_free_sgpr 8
		.amdhsa_accum_offset 20
		.amdhsa_reserve_vcc 1
		.amdhsa_reserve_flat_scratch 0
		.amdhsa_float_round_mode_32 0
		.amdhsa_float_round_mode_16_64 0
		.amdhsa_float_denorm_mode_32 3
		.amdhsa_float_denorm_mode_16_64 3
		.amdhsa_dx10_clamp 1
		.amdhsa_ieee_mode 1
		.amdhsa_fp16_overflow 0
		.amdhsa_tg_split 0
		.amdhsa_exception_fp_ieee_invalid_op 0
		.amdhsa_exception_fp_denorm_src 0
		.amdhsa_exception_fp_ieee_div_zero 0
		.amdhsa_exception_fp_ieee_overflow 0
		.amdhsa_exception_fp_ieee_underflow 0
		.amdhsa_exception_fp_ieee_inexact 0
		.amdhsa_exception_int_div_zero 0
	.end_amdhsa_kernel
	.section	.text._ZN7rocprim17ROCPRIM_400000_NS6detail17trampoline_kernelINS0_14default_configENS1_38merge_sort_block_merge_config_selectorIjNS0_10empty_typeEEEZZNS1_27merge_sort_block_merge_implIS3_N6thrust23THRUST_200600_302600_NS6detail15normal_iteratorINS9_10device_ptrIjEEEEPS5_jNS1_19radix_merge_compareILb0ELb0EjNS0_19identity_decomposerEEEEE10hipError_tT0_T1_T2_jT3_P12ihipStream_tbPNSt15iterator_traitsISK_E10value_typeEPNSQ_ISL_E10value_typeEPSM_NS1_7vsmem_tEENKUlT_SK_SL_SM_E_clISE_PjSF_SF_EESJ_SZ_SK_SL_SM_EUlSZ_E_NS1_11comp_targetILNS1_3genE4ELNS1_11target_archE910ELNS1_3gpuE8ELNS1_3repE0EEENS1_48merge_mergepath_partition_config_static_selectorELNS0_4arch9wavefront6targetE1EEEvSL_,"axG",@progbits,_ZN7rocprim17ROCPRIM_400000_NS6detail17trampoline_kernelINS0_14default_configENS1_38merge_sort_block_merge_config_selectorIjNS0_10empty_typeEEEZZNS1_27merge_sort_block_merge_implIS3_N6thrust23THRUST_200600_302600_NS6detail15normal_iteratorINS9_10device_ptrIjEEEEPS5_jNS1_19radix_merge_compareILb0ELb0EjNS0_19identity_decomposerEEEEE10hipError_tT0_T1_T2_jT3_P12ihipStream_tbPNSt15iterator_traitsISK_E10value_typeEPNSQ_ISL_E10value_typeEPSM_NS1_7vsmem_tEENKUlT_SK_SL_SM_E_clISE_PjSF_SF_EESJ_SZ_SK_SL_SM_EUlSZ_E_NS1_11comp_targetILNS1_3genE4ELNS1_11target_archE910ELNS1_3gpuE8ELNS1_3repE0EEENS1_48merge_mergepath_partition_config_static_selectorELNS0_4arch9wavefront6targetE1EEEvSL_,comdat
.Lfunc_end996:
	.size	_ZN7rocprim17ROCPRIM_400000_NS6detail17trampoline_kernelINS0_14default_configENS1_38merge_sort_block_merge_config_selectorIjNS0_10empty_typeEEEZZNS1_27merge_sort_block_merge_implIS3_N6thrust23THRUST_200600_302600_NS6detail15normal_iteratorINS9_10device_ptrIjEEEEPS5_jNS1_19radix_merge_compareILb0ELb0EjNS0_19identity_decomposerEEEEE10hipError_tT0_T1_T2_jT3_P12ihipStream_tbPNSt15iterator_traitsISK_E10value_typeEPNSQ_ISL_E10value_typeEPSM_NS1_7vsmem_tEENKUlT_SK_SL_SM_E_clISE_PjSF_SF_EESJ_SZ_SK_SL_SM_EUlSZ_E_NS1_11comp_targetILNS1_3genE4ELNS1_11target_archE910ELNS1_3gpuE8ELNS1_3repE0EEENS1_48merge_mergepath_partition_config_static_selectorELNS0_4arch9wavefront6targetE1EEEvSL_, .Lfunc_end996-_ZN7rocprim17ROCPRIM_400000_NS6detail17trampoline_kernelINS0_14default_configENS1_38merge_sort_block_merge_config_selectorIjNS0_10empty_typeEEEZZNS1_27merge_sort_block_merge_implIS3_N6thrust23THRUST_200600_302600_NS6detail15normal_iteratorINS9_10device_ptrIjEEEEPS5_jNS1_19radix_merge_compareILb0ELb0EjNS0_19identity_decomposerEEEEE10hipError_tT0_T1_T2_jT3_P12ihipStream_tbPNSt15iterator_traitsISK_E10value_typeEPNSQ_ISL_E10value_typeEPSM_NS1_7vsmem_tEENKUlT_SK_SL_SM_E_clISE_PjSF_SF_EESJ_SZ_SK_SL_SM_EUlSZ_E_NS1_11comp_targetILNS1_3genE4ELNS1_11target_archE910ELNS1_3gpuE8ELNS1_3repE0EEENS1_48merge_mergepath_partition_config_static_selectorELNS0_4arch9wavefront6targetE1EEEvSL_
                                        ; -- End function
	.section	.AMDGPU.csdata,"",@progbits
; Kernel info:
; codeLenInByte = 360
; NumSgprs: 12
; NumVgprs: 17
; NumAgprs: 0
; TotalNumVgprs: 17
; ScratchSize: 0
; MemoryBound: 0
; FloatMode: 240
; IeeeMode: 1
; LDSByteSize: 0 bytes/workgroup (compile time only)
; SGPRBlocks: 1
; VGPRBlocks: 2
; NumSGPRsForWavesPerEU: 12
; NumVGPRsForWavesPerEU: 17
; AccumOffset: 20
; Occupancy: 8
; WaveLimiterHint : 0
; COMPUTE_PGM_RSRC2:SCRATCH_EN: 0
; COMPUTE_PGM_RSRC2:USER_SGPR: 6
; COMPUTE_PGM_RSRC2:TRAP_HANDLER: 0
; COMPUTE_PGM_RSRC2:TGID_X_EN: 1
; COMPUTE_PGM_RSRC2:TGID_Y_EN: 0
; COMPUTE_PGM_RSRC2:TGID_Z_EN: 0
; COMPUTE_PGM_RSRC2:TIDIG_COMP_CNT: 0
; COMPUTE_PGM_RSRC3_GFX90A:ACCUM_OFFSET: 4
; COMPUTE_PGM_RSRC3_GFX90A:TG_SPLIT: 0
	.section	.text._ZN7rocprim17ROCPRIM_400000_NS6detail17trampoline_kernelINS0_14default_configENS1_38merge_sort_block_merge_config_selectorIjNS0_10empty_typeEEEZZNS1_27merge_sort_block_merge_implIS3_N6thrust23THRUST_200600_302600_NS6detail15normal_iteratorINS9_10device_ptrIjEEEEPS5_jNS1_19radix_merge_compareILb0ELb0EjNS0_19identity_decomposerEEEEE10hipError_tT0_T1_T2_jT3_P12ihipStream_tbPNSt15iterator_traitsISK_E10value_typeEPNSQ_ISL_E10value_typeEPSM_NS1_7vsmem_tEENKUlT_SK_SL_SM_E_clISE_PjSF_SF_EESJ_SZ_SK_SL_SM_EUlSZ_E_NS1_11comp_targetILNS1_3genE3ELNS1_11target_archE908ELNS1_3gpuE7ELNS1_3repE0EEENS1_48merge_mergepath_partition_config_static_selectorELNS0_4arch9wavefront6targetE1EEEvSL_,"axG",@progbits,_ZN7rocprim17ROCPRIM_400000_NS6detail17trampoline_kernelINS0_14default_configENS1_38merge_sort_block_merge_config_selectorIjNS0_10empty_typeEEEZZNS1_27merge_sort_block_merge_implIS3_N6thrust23THRUST_200600_302600_NS6detail15normal_iteratorINS9_10device_ptrIjEEEEPS5_jNS1_19radix_merge_compareILb0ELb0EjNS0_19identity_decomposerEEEEE10hipError_tT0_T1_T2_jT3_P12ihipStream_tbPNSt15iterator_traitsISK_E10value_typeEPNSQ_ISL_E10value_typeEPSM_NS1_7vsmem_tEENKUlT_SK_SL_SM_E_clISE_PjSF_SF_EESJ_SZ_SK_SL_SM_EUlSZ_E_NS1_11comp_targetILNS1_3genE3ELNS1_11target_archE908ELNS1_3gpuE7ELNS1_3repE0EEENS1_48merge_mergepath_partition_config_static_selectorELNS0_4arch9wavefront6targetE1EEEvSL_,comdat
	.protected	_ZN7rocprim17ROCPRIM_400000_NS6detail17trampoline_kernelINS0_14default_configENS1_38merge_sort_block_merge_config_selectorIjNS0_10empty_typeEEEZZNS1_27merge_sort_block_merge_implIS3_N6thrust23THRUST_200600_302600_NS6detail15normal_iteratorINS9_10device_ptrIjEEEEPS5_jNS1_19radix_merge_compareILb0ELb0EjNS0_19identity_decomposerEEEEE10hipError_tT0_T1_T2_jT3_P12ihipStream_tbPNSt15iterator_traitsISK_E10value_typeEPNSQ_ISL_E10value_typeEPSM_NS1_7vsmem_tEENKUlT_SK_SL_SM_E_clISE_PjSF_SF_EESJ_SZ_SK_SL_SM_EUlSZ_E_NS1_11comp_targetILNS1_3genE3ELNS1_11target_archE908ELNS1_3gpuE7ELNS1_3repE0EEENS1_48merge_mergepath_partition_config_static_selectorELNS0_4arch9wavefront6targetE1EEEvSL_ ; -- Begin function _ZN7rocprim17ROCPRIM_400000_NS6detail17trampoline_kernelINS0_14default_configENS1_38merge_sort_block_merge_config_selectorIjNS0_10empty_typeEEEZZNS1_27merge_sort_block_merge_implIS3_N6thrust23THRUST_200600_302600_NS6detail15normal_iteratorINS9_10device_ptrIjEEEEPS5_jNS1_19radix_merge_compareILb0ELb0EjNS0_19identity_decomposerEEEEE10hipError_tT0_T1_T2_jT3_P12ihipStream_tbPNSt15iterator_traitsISK_E10value_typeEPNSQ_ISL_E10value_typeEPSM_NS1_7vsmem_tEENKUlT_SK_SL_SM_E_clISE_PjSF_SF_EESJ_SZ_SK_SL_SM_EUlSZ_E_NS1_11comp_targetILNS1_3genE3ELNS1_11target_archE908ELNS1_3gpuE7ELNS1_3repE0EEENS1_48merge_mergepath_partition_config_static_selectorELNS0_4arch9wavefront6targetE1EEEvSL_
	.globl	_ZN7rocprim17ROCPRIM_400000_NS6detail17trampoline_kernelINS0_14default_configENS1_38merge_sort_block_merge_config_selectorIjNS0_10empty_typeEEEZZNS1_27merge_sort_block_merge_implIS3_N6thrust23THRUST_200600_302600_NS6detail15normal_iteratorINS9_10device_ptrIjEEEEPS5_jNS1_19radix_merge_compareILb0ELb0EjNS0_19identity_decomposerEEEEE10hipError_tT0_T1_T2_jT3_P12ihipStream_tbPNSt15iterator_traitsISK_E10value_typeEPNSQ_ISL_E10value_typeEPSM_NS1_7vsmem_tEENKUlT_SK_SL_SM_E_clISE_PjSF_SF_EESJ_SZ_SK_SL_SM_EUlSZ_E_NS1_11comp_targetILNS1_3genE3ELNS1_11target_archE908ELNS1_3gpuE7ELNS1_3repE0EEENS1_48merge_mergepath_partition_config_static_selectorELNS0_4arch9wavefront6targetE1EEEvSL_
	.p2align	8
	.type	_ZN7rocprim17ROCPRIM_400000_NS6detail17trampoline_kernelINS0_14default_configENS1_38merge_sort_block_merge_config_selectorIjNS0_10empty_typeEEEZZNS1_27merge_sort_block_merge_implIS3_N6thrust23THRUST_200600_302600_NS6detail15normal_iteratorINS9_10device_ptrIjEEEEPS5_jNS1_19radix_merge_compareILb0ELb0EjNS0_19identity_decomposerEEEEE10hipError_tT0_T1_T2_jT3_P12ihipStream_tbPNSt15iterator_traitsISK_E10value_typeEPNSQ_ISL_E10value_typeEPSM_NS1_7vsmem_tEENKUlT_SK_SL_SM_E_clISE_PjSF_SF_EESJ_SZ_SK_SL_SM_EUlSZ_E_NS1_11comp_targetILNS1_3genE3ELNS1_11target_archE908ELNS1_3gpuE7ELNS1_3repE0EEENS1_48merge_mergepath_partition_config_static_selectorELNS0_4arch9wavefront6targetE1EEEvSL_,@function
_ZN7rocprim17ROCPRIM_400000_NS6detail17trampoline_kernelINS0_14default_configENS1_38merge_sort_block_merge_config_selectorIjNS0_10empty_typeEEEZZNS1_27merge_sort_block_merge_implIS3_N6thrust23THRUST_200600_302600_NS6detail15normal_iteratorINS9_10device_ptrIjEEEEPS5_jNS1_19radix_merge_compareILb0ELb0EjNS0_19identity_decomposerEEEEE10hipError_tT0_T1_T2_jT3_P12ihipStream_tbPNSt15iterator_traitsISK_E10value_typeEPNSQ_ISL_E10value_typeEPSM_NS1_7vsmem_tEENKUlT_SK_SL_SM_E_clISE_PjSF_SF_EESJ_SZ_SK_SL_SM_EUlSZ_E_NS1_11comp_targetILNS1_3genE3ELNS1_11target_archE908ELNS1_3gpuE7ELNS1_3repE0EEENS1_48merge_mergepath_partition_config_static_selectorELNS0_4arch9wavefront6targetE1EEEvSL_: ; @_ZN7rocprim17ROCPRIM_400000_NS6detail17trampoline_kernelINS0_14default_configENS1_38merge_sort_block_merge_config_selectorIjNS0_10empty_typeEEEZZNS1_27merge_sort_block_merge_implIS3_N6thrust23THRUST_200600_302600_NS6detail15normal_iteratorINS9_10device_ptrIjEEEEPS5_jNS1_19radix_merge_compareILb0ELb0EjNS0_19identity_decomposerEEEEE10hipError_tT0_T1_T2_jT3_P12ihipStream_tbPNSt15iterator_traitsISK_E10value_typeEPNSQ_ISL_E10value_typeEPSM_NS1_7vsmem_tEENKUlT_SK_SL_SM_E_clISE_PjSF_SF_EESJ_SZ_SK_SL_SM_EUlSZ_E_NS1_11comp_targetILNS1_3genE3ELNS1_11target_archE908ELNS1_3gpuE7ELNS1_3repE0EEENS1_48merge_mergepath_partition_config_static_selectorELNS0_4arch9wavefront6targetE1EEEvSL_
; %bb.0:
	.section	.rodata,"a",@progbits
	.p2align	6, 0x0
	.amdhsa_kernel _ZN7rocprim17ROCPRIM_400000_NS6detail17trampoline_kernelINS0_14default_configENS1_38merge_sort_block_merge_config_selectorIjNS0_10empty_typeEEEZZNS1_27merge_sort_block_merge_implIS3_N6thrust23THRUST_200600_302600_NS6detail15normal_iteratorINS9_10device_ptrIjEEEEPS5_jNS1_19radix_merge_compareILb0ELb0EjNS0_19identity_decomposerEEEEE10hipError_tT0_T1_T2_jT3_P12ihipStream_tbPNSt15iterator_traitsISK_E10value_typeEPNSQ_ISL_E10value_typeEPSM_NS1_7vsmem_tEENKUlT_SK_SL_SM_E_clISE_PjSF_SF_EESJ_SZ_SK_SL_SM_EUlSZ_E_NS1_11comp_targetILNS1_3genE3ELNS1_11target_archE908ELNS1_3gpuE7ELNS1_3repE0EEENS1_48merge_mergepath_partition_config_static_selectorELNS0_4arch9wavefront6targetE1EEEvSL_
		.amdhsa_group_segment_fixed_size 0
		.amdhsa_private_segment_fixed_size 0
		.amdhsa_kernarg_size 40
		.amdhsa_user_sgpr_count 6
		.amdhsa_user_sgpr_private_segment_buffer 1
		.amdhsa_user_sgpr_dispatch_ptr 0
		.amdhsa_user_sgpr_queue_ptr 0
		.amdhsa_user_sgpr_kernarg_segment_ptr 1
		.amdhsa_user_sgpr_dispatch_id 0
		.amdhsa_user_sgpr_flat_scratch_init 0
		.amdhsa_user_sgpr_kernarg_preload_length 0
		.amdhsa_user_sgpr_kernarg_preload_offset 0
		.amdhsa_user_sgpr_private_segment_size 0
		.amdhsa_uses_dynamic_stack 0
		.amdhsa_system_sgpr_private_segment_wavefront_offset 0
		.amdhsa_system_sgpr_workgroup_id_x 1
		.amdhsa_system_sgpr_workgroup_id_y 0
		.amdhsa_system_sgpr_workgroup_id_z 0
		.amdhsa_system_sgpr_workgroup_info 0
		.amdhsa_system_vgpr_workitem_id 0
		.amdhsa_next_free_vgpr 1
		.amdhsa_next_free_sgpr 0
		.amdhsa_accum_offset 4
		.amdhsa_reserve_vcc 0
		.amdhsa_reserve_flat_scratch 0
		.amdhsa_float_round_mode_32 0
		.amdhsa_float_round_mode_16_64 0
		.amdhsa_float_denorm_mode_32 3
		.amdhsa_float_denorm_mode_16_64 3
		.amdhsa_dx10_clamp 1
		.amdhsa_ieee_mode 1
		.amdhsa_fp16_overflow 0
		.amdhsa_tg_split 0
		.amdhsa_exception_fp_ieee_invalid_op 0
		.amdhsa_exception_fp_denorm_src 0
		.amdhsa_exception_fp_ieee_div_zero 0
		.amdhsa_exception_fp_ieee_overflow 0
		.amdhsa_exception_fp_ieee_underflow 0
		.amdhsa_exception_fp_ieee_inexact 0
		.amdhsa_exception_int_div_zero 0
	.end_amdhsa_kernel
	.section	.text._ZN7rocprim17ROCPRIM_400000_NS6detail17trampoline_kernelINS0_14default_configENS1_38merge_sort_block_merge_config_selectorIjNS0_10empty_typeEEEZZNS1_27merge_sort_block_merge_implIS3_N6thrust23THRUST_200600_302600_NS6detail15normal_iteratorINS9_10device_ptrIjEEEEPS5_jNS1_19radix_merge_compareILb0ELb0EjNS0_19identity_decomposerEEEEE10hipError_tT0_T1_T2_jT3_P12ihipStream_tbPNSt15iterator_traitsISK_E10value_typeEPNSQ_ISL_E10value_typeEPSM_NS1_7vsmem_tEENKUlT_SK_SL_SM_E_clISE_PjSF_SF_EESJ_SZ_SK_SL_SM_EUlSZ_E_NS1_11comp_targetILNS1_3genE3ELNS1_11target_archE908ELNS1_3gpuE7ELNS1_3repE0EEENS1_48merge_mergepath_partition_config_static_selectorELNS0_4arch9wavefront6targetE1EEEvSL_,"axG",@progbits,_ZN7rocprim17ROCPRIM_400000_NS6detail17trampoline_kernelINS0_14default_configENS1_38merge_sort_block_merge_config_selectorIjNS0_10empty_typeEEEZZNS1_27merge_sort_block_merge_implIS3_N6thrust23THRUST_200600_302600_NS6detail15normal_iteratorINS9_10device_ptrIjEEEEPS5_jNS1_19radix_merge_compareILb0ELb0EjNS0_19identity_decomposerEEEEE10hipError_tT0_T1_T2_jT3_P12ihipStream_tbPNSt15iterator_traitsISK_E10value_typeEPNSQ_ISL_E10value_typeEPSM_NS1_7vsmem_tEENKUlT_SK_SL_SM_E_clISE_PjSF_SF_EESJ_SZ_SK_SL_SM_EUlSZ_E_NS1_11comp_targetILNS1_3genE3ELNS1_11target_archE908ELNS1_3gpuE7ELNS1_3repE0EEENS1_48merge_mergepath_partition_config_static_selectorELNS0_4arch9wavefront6targetE1EEEvSL_,comdat
.Lfunc_end997:
	.size	_ZN7rocprim17ROCPRIM_400000_NS6detail17trampoline_kernelINS0_14default_configENS1_38merge_sort_block_merge_config_selectorIjNS0_10empty_typeEEEZZNS1_27merge_sort_block_merge_implIS3_N6thrust23THRUST_200600_302600_NS6detail15normal_iteratorINS9_10device_ptrIjEEEEPS5_jNS1_19radix_merge_compareILb0ELb0EjNS0_19identity_decomposerEEEEE10hipError_tT0_T1_T2_jT3_P12ihipStream_tbPNSt15iterator_traitsISK_E10value_typeEPNSQ_ISL_E10value_typeEPSM_NS1_7vsmem_tEENKUlT_SK_SL_SM_E_clISE_PjSF_SF_EESJ_SZ_SK_SL_SM_EUlSZ_E_NS1_11comp_targetILNS1_3genE3ELNS1_11target_archE908ELNS1_3gpuE7ELNS1_3repE0EEENS1_48merge_mergepath_partition_config_static_selectorELNS0_4arch9wavefront6targetE1EEEvSL_, .Lfunc_end997-_ZN7rocprim17ROCPRIM_400000_NS6detail17trampoline_kernelINS0_14default_configENS1_38merge_sort_block_merge_config_selectorIjNS0_10empty_typeEEEZZNS1_27merge_sort_block_merge_implIS3_N6thrust23THRUST_200600_302600_NS6detail15normal_iteratorINS9_10device_ptrIjEEEEPS5_jNS1_19radix_merge_compareILb0ELb0EjNS0_19identity_decomposerEEEEE10hipError_tT0_T1_T2_jT3_P12ihipStream_tbPNSt15iterator_traitsISK_E10value_typeEPNSQ_ISL_E10value_typeEPSM_NS1_7vsmem_tEENKUlT_SK_SL_SM_E_clISE_PjSF_SF_EESJ_SZ_SK_SL_SM_EUlSZ_E_NS1_11comp_targetILNS1_3genE3ELNS1_11target_archE908ELNS1_3gpuE7ELNS1_3repE0EEENS1_48merge_mergepath_partition_config_static_selectorELNS0_4arch9wavefront6targetE1EEEvSL_
                                        ; -- End function
	.section	.AMDGPU.csdata,"",@progbits
; Kernel info:
; codeLenInByte = 0
; NumSgprs: 4
; NumVgprs: 0
; NumAgprs: 0
; TotalNumVgprs: 0
; ScratchSize: 0
; MemoryBound: 0
; FloatMode: 240
; IeeeMode: 1
; LDSByteSize: 0 bytes/workgroup (compile time only)
; SGPRBlocks: 0
; VGPRBlocks: 0
; NumSGPRsForWavesPerEU: 4
; NumVGPRsForWavesPerEU: 1
; AccumOffset: 4
; Occupancy: 8
; WaveLimiterHint : 0
; COMPUTE_PGM_RSRC2:SCRATCH_EN: 0
; COMPUTE_PGM_RSRC2:USER_SGPR: 6
; COMPUTE_PGM_RSRC2:TRAP_HANDLER: 0
; COMPUTE_PGM_RSRC2:TGID_X_EN: 1
; COMPUTE_PGM_RSRC2:TGID_Y_EN: 0
; COMPUTE_PGM_RSRC2:TGID_Z_EN: 0
; COMPUTE_PGM_RSRC2:TIDIG_COMP_CNT: 0
; COMPUTE_PGM_RSRC3_GFX90A:ACCUM_OFFSET: 0
; COMPUTE_PGM_RSRC3_GFX90A:TG_SPLIT: 0
	.section	.text._ZN7rocprim17ROCPRIM_400000_NS6detail17trampoline_kernelINS0_14default_configENS1_38merge_sort_block_merge_config_selectorIjNS0_10empty_typeEEEZZNS1_27merge_sort_block_merge_implIS3_N6thrust23THRUST_200600_302600_NS6detail15normal_iteratorINS9_10device_ptrIjEEEEPS5_jNS1_19radix_merge_compareILb0ELb0EjNS0_19identity_decomposerEEEEE10hipError_tT0_T1_T2_jT3_P12ihipStream_tbPNSt15iterator_traitsISK_E10value_typeEPNSQ_ISL_E10value_typeEPSM_NS1_7vsmem_tEENKUlT_SK_SL_SM_E_clISE_PjSF_SF_EESJ_SZ_SK_SL_SM_EUlSZ_E_NS1_11comp_targetILNS1_3genE2ELNS1_11target_archE906ELNS1_3gpuE6ELNS1_3repE0EEENS1_48merge_mergepath_partition_config_static_selectorELNS0_4arch9wavefront6targetE1EEEvSL_,"axG",@progbits,_ZN7rocprim17ROCPRIM_400000_NS6detail17trampoline_kernelINS0_14default_configENS1_38merge_sort_block_merge_config_selectorIjNS0_10empty_typeEEEZZNS1_27merge_sort_block_merge_implIS3_N6thrust23THRUST_200600_302600_NS6detail15normal_iteratorINS9_10device_ptrIjEEEEPS5_jNS1_19radix_merge_compareILb0ELb0EjNS0_19identity_decomposerEEEEE10hipError_tT0_T1_T2_jT3_P12ihipStream_tbPNSt15iterator_traitsISK_E10value_typeEPNSQ_ISL_E10value_typeEPSM_NS1_7vsmem_tEENKUlT_SK_SL_SM_E_clISE_PjSF_SF_EESJ_SZ_SK_SL_SM_EUlSZ_E_NS1_11comp_targetILNS1_3genE2ELNS1_11target_archE906ELNS1_3gpuE6ELNS1_3repE0EEENS1_48merge_mergepath_partition_config_static_selectorELNS0_4arch9wavefront6targetE1EEEvSL_,comdat
	.protected	_ZN7rocprim17ROCPRIM_400000_NS6detail17trampoline_kernelINS0_14default_configENS1_38merge_sort_block_merge_config_selectorIjNS0_10empty_typeEEEZZNS1_27merge_sort_block_merge_implIS3_N6thrust23THRUST_200600_302600_NS6detail15normal_iteratorINS9_10device_ptrIjEEEEPS5_jNS1_19radix_merge_compareILb0ELb0EjNS0_19identity_decomposerEEEEE10hipError_tT0_T1_T2_jT3_P12ihipStream_tbPNSt15iterator_traitsISK_E10value_typeEPNSQ_ISL_E10value_typeEPSM_NS1_7vsmem_tEENKUlT_SK_SL_SM_E_clISE_PjSF_SF_EESJ_SZ_SK_SL_SM_EUlSZ_E_NS1_11comp_targetILNS1_3genE2ELNS1_11target_archE906ELNS1_3gpuE6ELNS1_3repE0EEENS1_48merge_mergepath_partition_config_static_selectorELNS0_4arch9wavefront6targetE1EEEvSL_ ; -- Begin function _ZN7rocprim17ROCPRIM_400000_NS6detail17trampoline_kernelINS0_14default_configENS1_38merge_sort_block_merge_config_selectorIjNS0_10empty_typeEEEZZNS1_27merge_sort_block_merge_implIS3_N6thrust23THRUST_200600_302600_NS6detail15normal_iteratorINS9_10device_ptrIjEEEEPS5_jNS1_19radix_merge_compareILb0ELb0EjNS0_19identity_decomposerEEEEE10hipError_tT0_T1_T2_jT3_P12ihipStream_tbPNSt15iterator_traitsISK_E10value_typeEPNSQ_ISL_E10value_typeEPSM_NS1_7vsmem_tEENKUlT_SK_SL_SM_E_clISE_PjSF_SF_EESJ_SZ_SK_SL_SM_EUlSZ_E_NS1_11comp_targetILNS1_3genE2ELNS1_11target_archE906ELNS1_3gpuE6ELNS1_3repE0EEENS1_48merge_mergepath_partition_config_static_selectorELNS0_4arch9wavefront6targetE1EEEvSL_
	.globl	_ZN7rocprim17ROCPRIM_400000_NS6detail17trampoline_kernelINS0_14default_configENS1_38merge_sort_block_merge_config_selectorIjNS0_10empty_typeEEEZZNS1_27merge_sort_block_merge_implIS3_N6thrust23THRUST_200600_302600_NS6detail15normal_iteratorINS9_10device_ptrIjEEEEPS5_jNS1_19radix_merge_compareILb0ELb0EjNS0_19identity_decomposerEEEEE10hipError_tT0_T1_T2_jT3_P12ihipStream_tbPNSt15iterator_traitsISK_E10value_typeEPNSQ_ISL_E10value_typeEPSM_NS1_7vsmem_tEENKUlT_SK_SL_SM_E_clISE_PjSF_SF_EESJ_SZ_SK_SL_SM_EUlSZ_E_NS1_11comp_targetILNS1_3genE2ELNS1_11target_archE906ELNS1_3gpuE6ELNS1_3repE0EEENS1_48merge_mergepath_partition_config_static_selectorELNS0_4arch9wavefront6targetE1EEEvSL_
	.p2align	8
	.type	_ZN7rocprim17ROCPRIM_400000_NS6detail17trampoline_kernelINS0_14default_configENS1_38merge_sort_block_merge_config_selectorIjNS0_10empty_typeEEEZZNS1_27merge_sort_block_merge_implIS3_N6thrust23THRUST_200600_302600_NS6detail15normal_iteratorINS9_10device_ptrIjEEEEPS5_jNS1_19radix_merge_compareILb0ELb0EjNS0_19identity_decomposerEEEEE10hipError_tT0_T1_T2_jT3_P12ihipStream_tbPNSt15iterator_traitsISK_E10value_typeEPNSQ_ISL_E10value_typeEPSM_NS1_7vsmem_tEENKUlT_SK_SL_SM_E_clISE_PjSF_SF_EESJ_SZ_SK_SL_SM_EUlSZ_E_NS1_11comp_targetILNS1_3genE2ELNS1_11target_archE906ELNS1_3gpuE6ELNS1_3repE0EEENS1_48merge_mergepath_partition_config_static_selectorELNS0_4arch9wavefront6targetE1EEEvSL_,@function
_ZN7rocprim17ROCPRIM_400000_NS6detail17trampoline_kernelINS0_14default_configENS1_38merge_sort_block_merge_config_selectorIjNS0_10empty_typeEEEZZNS1_27merge_sort_block_merge_implIS3_N6thrust23THRUST_200600_302600_NS6detail15normal_iteratorINS9_10device_ptrIjEEEEPS5_jNS1_19radix_merge_compareILb0ELb0EjNS0_19identity_decomposerEEEEE10hipError_tT0_T1_T2_jT3_P12ihipStream_tbPNSt15iterator_traitsISK_E10value_typeEPNSQ_ISL_E10value_typeEPSM_NS1_7vsmem_tEENKUlT_SK_SL_SM_E_clISE_PjSF_SF_EESJ_SZ_SK_SL_SM_EUlSZ_E_NS1_11comp_targetILNS1_3genE2ELNS1_11target_archE906ELNS1_3gpuE6ELNS1_3repE0EEENS1_48merge_mergepath_partition_config_static_selectorELNS0_4arch9wavefront6targetE1EEEvSL_: ; @_ZN7rocprim17ROCPRIM_400000_NS6detail17trampoline_kernelINS0_14default_configENS1_38merge_sort_block_merge_config_selectorIjNS0_10empty_typeEEEZZNS1_27merge_sort_block_merge_implIS3_N6thrust23THRUST_200600_302600_NS6detail15normal_iteratorINS9_10device_ptrIjEEEEPS5_jNS1_19radix_merge_compareILb0ELb0EjNS0_19identity_decomposerEEEEE10hipError_tT0_T1_T2_jT3_P12ihipStream_tbPNSt15iterator_traitsISK_E10value_typeEPNSQ_ISL_E10value_typeEPSM_NS1_7vsmem_tEENKUlT_SK_SL_SM_E_clISE_PjSF_SF_EESJ_SZ_SK_SL_SM_EUlSZ_E_NS1_11comp_targetILNS1_3genE2ELNS1_11target_archE906ELNS1_3gpuE6ELNS1_3repE0EEENS1_48merge_mergepath_partition_config_static_selectorELNS0_4arch9wavefront6targetE1EEEvSL_
; %bb.0:
	.section	.rodata,"a",@progbits
	.p2align	6, 0x0
	.amdhsa_kernel _ZN7rocprim17ROCPRIM_400000_NS6detail17trampoline_kernelINS0_14default_configENS1_38merge_sort_block_merge_config_selectorIjNS0_10empty_typeEEEZZNS1_27merge_sort_block_merge_implIS3_N6thrust23THRUST_200600_302600_NS6detail15normal_iteratorINS9_10device_ptrIjEEEEPS5_jNS1_19radix_merge_compareILb0ELb0EjNS0_19identity_decomposerEEEEE10hipError_tT0_T1_T2_jT3_P12ihipStream_tbPNSt15iterator_traitsISK_E10value_typeEPNSQ_ISL_E10value_typeEPSM_NS1_7vsmem_tEENKUlT_SK_SL_SM_E_clISE_PjSF_SF_EESJ_SZ_SK_SL_SM_EUlSZ_E_NS1_11comp_targetILNS1_3genE2ELNS1_11target_archE906ELNS1_3gpuE6ELNS1_3repE0EEENS1_48merge_mergepath_partition_config_static_selectorELNS0_4arch9wavefront6targetE1EEEvSL_
		.amdhsa_group_segment_fixed_size 0
		.amdhsa_private_segment_fixed_size 0
		.amdhsa_kernarg_size 40
		.amdhsa_user_sgpr_count 6
		.amdhsa_user_sgpr_private_segment_buffer 1
		.amdhsa_user_sgpr_dispatch_ptr 0
		.amdhsa_user_sgpr_queue_ptr 0
		.amdhsa_user_sgpr_kernarg_segment_ptr 1
		.amdhsa_user_sgpr_dispatch_id 0
		.amdhsa_user_sgpr_flat_scratch_init 0
		.amdhsa_user_sgpr_kernarg_preload_length 0
		.amdhsa_user_sgpr_kernarg_preload_offset 0
		.amdhsa_user_sgpr_private_segment_size 0
		.amdhsa_uses_dynamic_stack 0
		.amdhsa_system_sgpr_private_segment_wavefront_offset 0
		.amdhsa_system_sgpr_workgroup_id_x 1
		.amdhsa_system_sgpr_workgroup_id_y 0
		.amdhsa_system_sgpr_workgroup_id_z 0
		.amdhsa_system_sgpr_workgroup_info 0
		.amdhsa_system_vgpr_workitem_id 0
		.amdhsa_next_free_vgpr 1
		.amdhsa_next_free_sgpr 0
		.amdhsa_accum_offset 4
		.amdhsa_reserve_vcc 0
		.amdhsa_reserve_flat_scratch 0
		.amdhsa_float_round_mode_32 0
		.amdhsa_float_round_mode_16_64 0
		.amdhsa_float_denorm_mode_32 3
		.amdhsa_float_denorm_mode_16_64 3
		.amdhsa_dx10_clamp 1
		.amdhsa_ieee_mode 1
		.amdhsa_fp16_overflow 0
		.amdhsa_tg_split 0
		.amdhsa_exception_fp_ieee_invalid_op 0
		.amdhsa_exception_fp_denorm_src 0
		.amdhsa_exception_fp_ieee_div_zero 0
		.amdhsa_exception_fp_ieee_overflow 0
		.amdhsa_exception_fp_ieee_underflow 0
		.amdhsa_exception_fp_ieee_inexact 0
		.amdhsa_exception_int_div_zero 0
	.end_amdhsa_kernel
	.section	.text._ZN7rocprim17ROCPRIM_400000_NS6detail17trampoline_kernelINS0_14default_configENS1_38merge_sort_block_merge_config_selectorIjNS0_10empty_typeEEEZZNS1_27merge_sort_block_merge_implIS3_N6thrust23THRUST_200600_302600_NS6detail15normal_iteratorINS9_10device_ptrIjEEEEPS5_jNS1_19radix_merge_compareILb0ELb0EjNS0_19identity_decomposerEEEEE10hipError_tT0_T1_T2_jT3_P12ihipStream_tbPNSt15iterator_traitsISK_E10value_typeEPNSQ_ISL_E10value_typeEPSM_NS1_7vsmem_tEENKUlT_SK_SL_SM_E_clISE_PjSF_SF_EESJ_SZ_SK_SL_SM_EUlSZ_E_NS1_11comp_targetILNS1_3genE2ELNS1_11target_archE906ELNS1_3gpuE6ELNS1_3repE0EEENS1_48merge_mergepath_partition_config_static_selectorELNS0_4arch9wavefront6targetE1EEEvSL_,"axG",@progbits,_ZN7rocprim17ROCPRIM_400000_NS6detail17trampoline_kernelINS0_14default_configENS1_38merge_sort_block_merge_config_selectorIjNS0_10empty_typeEEEZZNS1_27merge_sort_block_merge_implIS3_N6thrust23THRUST_200600_302600_NS6detail15normal_iteratorINS9_10device_ptrIjEEEEPS5_jNS1_19radix_merge_compareILb0ELb0EjNS0_19identity_decomposerEEEEE10hipError_tT0_T1_T2_jT3_P12ihipStream_tbPNSt15iterator_traitsISK_E10value_typeEPNSQ_ISL_E10value_typeEPSM_NS1_7vsmem_tEENKUlT_SK_SL_SM_E_clISE_PjSF_SF_EESJ_SZ_SK_SL_SM_EUlSZ_E_NS1_11comp_targetILNS1_3genE2ELNS1_11target_archE906ELNS1_3gpuE6ELNS1_3repE0EEENS1_48merge_mergepath_partition_config_static_selectorELNS0_4arch9wavefront6targetE1EEEvSL_,comdat
.Lfunc_end998:
	.size	_ZN7rocprim17ROCPRIM_400000_NS6detail17trampoline_kernelINS0_14default_configENS1_38merge_sort_block_merge_config_selectorIjNS0_10empty_typeEEEZZNS1_27merge_sort_block_merge_implIS3_N6thrust23THRUST_200600_302600_NS6detail15normal_iteratorINS9_10device_ptrIjEEEEPS5_jNS1_19radix_merge_compareILb0ELb0EjNS0_19identity_decomposerEEEEE10hipError_tT0_T1_T2_jT3_P12ihipStream_tbPNSt15iterator_traitsISK_E10value_typeEPNSQ_ISL_E10value_typeEPSM_NS1_7vsmem_tEENKUlT_SK_SL_SM_E_clISE_PjSF_SF_EESJ_SZ_SK_SL_SM_EUlSZ_E_NS1_11comp_targetILNS1_3genE2ELNS1_11target_archE906ELNS1_3gpuE6ELNS1_3repE0EEENS1_48merge_mergepath_partition_config_static_selectorELNS0_4arch9wavefront6targetE1EEEvSL_, .Lfunc_end998-_ZN7rocprim17ROCPRIM_400000_NS6detail17trampoline_kernelINS0_14default_configENS1_38merge_sort_block_merge_config_selectorIjNS0_10empty_typeEEEZZNS1_27merge_sort_block_merge_implIS3_N6thrust23THRUST_200600_302600_NS6detail15normal_iteratorINS9_10device_ptrIjEEEEPS5_jNS1_19radix_merge_compareILb0ELb0EjNS0_19identity_decomposerEEEEE10hipError_tT0_T1_T2_jT3_P12ihipStream_tbPNSt15iterator_traitsISK_E10value_typeEPNSQ_ISL_E10value_typeEPSM_NS1_7vsmem_tEENKUlT_SK_SL_SM_E_clISE_PjSF_SF_EESJ_SZ_SK_SL_SM_EUlSZ_E_NS1_11comp_targetILNS1_3genE2ELNS1_11target_archE906ELNS1_3gpuE6ELNS1_3repE0EEENS1_48merge_mergepath_partition_config_static_selectorELNS0_4arch9wavefront6targetE1EEEvSL_
                                        ; -- End function
	.section	.AMDGPU.csdata,"",@progbits
; Kernel info:
; codeLenInByte = 0
; NumSgprs: 4
; NumVgprs: 0
; NumAgprs: 0
; TotalNumVgprs: 0
; ScratchSize: 0
; MemoryBound: 0
; FloatMode: 240
; IeeeMode: 1
; LDSByteSize: 0 bytes/workgroup (compile time only)
; SGPRBlocks: 0
; VGPRBlocks: 0
; NumSGPRsForWavesPerEU: 4
; NumVGPRsForWavesPerEU: 1
; AccumOffset: 4
; Occupancy: 8
; WaveLimiterHint : 0
; COMPUTE_PGM_RSRC2:SCRATCH_EN: 0
; COMPUTE_PGM_RSRC2:USER_SGPR: 6
; COMPUTE_PGM_RSRC2:TRAP_HANDLER: 0
; COMPUTE_PGM_RSRC2:TGID_X_EN: 1
; COMPUTE_PGM_RSRC2:TGID_Y_EN: 0
; COMPUTE_PGM_RSRC2:TGID_Z_EN: 0
; COMPUTE_PGM_RSRC2:TIDIG_COMP_CNT: 0
; COMPUTE_PGM_RSRC3_GFX90A:ACCUM_OFFSET: 0
; COMPUTE_PGM_RSRC3_GFX90A:TG_SPLIT: 0
	.section	.text._ZN7rocprim17ROCPRIM_400000_NS6detail17trampoline_kernelINS0_14default_configENS1_38merge_sort_block_merge_config_selectorIjNS0_10empty_typeEEEZZNS1_27merge_sort_block_merge_implIS3_N6thrust23THRUST_200600_302600_NS6detail15normal_iteratorINS9_10device_ptrIjEEEEPS5_jNS1_19radix_merge_compareILb0ELb0EjNS0_19identity_decomposerEEEEE10hipError_tT0_T1_T2_jT3_P12ihipStream_tbPNSt15iterator_traitsISK_E10value_typeEPNSQ_ISL_E10value_typeEPSM_NS1_7vsmem_tEENKUlT_SK_SL_SM_E_clISE_PjSF_SF_EESJ_SZ_SK_SL_SM_EUlSZ_E_NS1_11comp_targetILNS1_3genE9ELNS1_11target_archE1100ELNS1_3gpuE3ELNS1_3repE0EEENS1_48merge_mergepath_partition_config_static_selectorELNS0_4arch9wavefront6targetE1EEEvSL_,"axG",@progbits,_ZN7rocprim17ROCPRIM_400000_NS6detail17trampoline_kernelINS0_14default_configENS1_38merge_sort_block_merge_config_selectorIjNS0_10empty_typeEEEZZNS1_27merge_sort_block_merge_implIS3_N6thrust23THRUST_200600_302600_NS6detail15normal_iteratorINS9_10device_ptrIjEEEEPS5_jNS1_19radix_merge_compareILb0ELb0EjNS0_19identity_decomposerEEEEE10hipError_tT0_T1_T2_jT3_P12ihipStream_tbPNSt15iterator_traitsISK_E10value_typeEPNSQ_ISL_E10value_typeEPSM_NS1_7vsmem_tEENKUlT_SK_SL_SM_E_clISE_PjSF_SF_EESJ_SZ_SK_SL_SM_EUlSZ_E_NS1_11comp_targetILNS1_3genE9ELNS1_11target_archE1100ELNS1_3gpuE3ELNS1_3repE0EEENS1_48merge_mergepath_partition_config_static_selectorELNS0_4arch9wavefront6targetE1EEEvSL_,comdat
	.protected	_ZN7rocprim17ROCPRIM_400000_NS6detail17trampoline_kernelINS0_14default_configENS1_38merge_sort_block_merge_config_selectorIjNS0_10empty_typeEEEZZNS1_27merge_sort_block_merge_implIS3_N6thrust23THRUST_200600_302600_NS6detail15normal_iteratorINS9_10device_ptrIjEEEEPS5_jNS1_19radix_merge_compareILb0ELb0EjNS0_19identity_decomposerEEEEE10hipError_tT0_T1_T2_jT3_P12ihipStream_tbPNSt15iterator_traitsISK_E10value_typeEPNSQ_ISL_E10value_typeEPSM_NS1_7vsmem_tEENKUlT_SK_SL_SM_E_clISE_PjSF_SF_EESJ_SZ_SK_SL_SM_EUlSZ_E_NS1_11comp_targetILNS1_3genE9ELNS1_11target_archE1100ELNS1_3gpuE3ELNS1_3repE0EEENS1_48merge_mergepath_partition_config_static_selectorELNS0_4arch9wavefront6targetE1EEEvSL_ ; -- Begin function _ZN7rocprim17ROCPRIM_400000_NS6detail17trampoline_kernelINS0_14default_configENS1_38merge_sort_block_merge_config_selectorIjNS0_10empty_typeEEEZZNS1_27merge_sort_block_merge_implIS3_N6thrust23THRUST_200600_302600_NS6detail15normal_iteratorINS9_10device_ptrIjEEEEPS5_jNS1_19radix_merge_compareILb0ELb0EjNS0_19identity_decomposerEEEEE10hipError_tT0_T1_T2_jT3_P12ihipStream_tbPNSt15iterator_traitsISK_E10value_typeEPNSQ_ISL_E10value_typeEPSM_NS1_7vsmem_tEENKUlT_SK_SL_SM_E_clISE_PjSF_SF_EESJ_SZ_SK_SL_SM_EUlSZ_E_NS1_11comp_targetILNS1_3genE9ELNS1_11target_archE1100ELNS1_3gpuE3ELNS1_3repE0EEENS1_48merge_mergepath_partition_config_static_selectorELNS0_4arch9wavefront6targetE1EEEvSL_
	.globl	_ZN7rocprim17ROCPRIM_400000_NS6detail17trampoline_kernelINS0_14default_configENS1_38merge_sort_block_merge_config_selectorIjNS0_10empty_typeEEEZZNS1_27merge_sort_block_merge_implIS3_N6thrust23THRUST_200600_302600_NS6detail15normal_iteratorINS9_10device_ptrIjEEEEPS5_jNS1_19radix_merge_compareILb0ELb0EjNS0_19identity_decomposerEEEEE10hipError_tT0_T1_T2_jT3_P12ihipStream_tbPNSt15iterator_traitsISK_E10value_typeEPNSQ_ISL_E10value_typeEPSM_NS1_7vsmem_tEENKUlT_SK_SL_SM_E_clISE_PjSF_SF_EESJ_SZ_SK_SL_SM_EUlSZ_E_NS1_11comp_targetILNS1_3genE9ELNS1_11target_archE1100ELNS1_3gpuE3ELNS1_3repE0EEENS1_48merge_mergepath_partition_config_static_selectorELNS0_4arch9wavefront6targetE1EEEvSL_
	.p2align	8
	.type	_ZN7rocprim17ROCPRIM_400000_NS6detail17trampoline_kernelINS0_14default_configENS1_38merge_sort_block_merge_config_selectorIjNS0_10empty_typeEEEZZNS1_27merge_sort_block_merge_implIS3_N6thrust23THRUST_200600_302600_NS6detail15normal_iteratorINS9_10device_ptrIjEEEEPS5_jNS1_19radix_merge_compareILb0ELb0EjNS0_19identity_decomposerEEEEE10hipError_tT0_T1_T2_jT3_P12ihipStream_tbPNSt15iterator_traitsISK_E10value_typeEPNSQ_ISL_E10value_typeEPSM_NS1_7vsmem_tEENKUlT_SK_SL_SM_E_clISE_PjSF_SF_EESJ_SZ_SK_SL_SM_EUlSZ_E_NS1_11comp_targetILNS1_3genE9ELNS1_11target_archE1100ELNS1_3gpuE3ELNS1_3repE0EEENS1_48merge_mergepath_partition_config_static_selectorELNS0_4arch9wavefront6targetE1EEEvSL_,@function
_ZN7rocprim17ROCPRIM_400000_NS6detail17trampoline_kernelINS0_14default_configENS1_38merge_sort_block_merge_config_selectorIjNS0_10empty_typeEEEZZNS1_27merge_sort_block_merge_implIS3_N6thrust23THRUST_200600_302600_NS6detail15normal_iteratorINS9_10device_ptrIjEEEEPS5_jNS1_19radix_merge_compareILb0ELb0EjNS0_19identity_decomposerEEEEE10hipError_tT0_T1_T2_jT3_P12ihipStream_tbPNSt15iterator_traitsISK_E10value_typeEPNSQ_ISL_E10value_typeEPSM_NS1_7vsmem_tEENKUlT_SK_SL_SM_E_clISE_PjSF_SF_EESJ_SZ_SK_SL_SM_EUlSZ_E_NS1_11comp_targetILNS1_3genE9ELNS1_11target_archE1100ELNS1_3gpuE3ELNS1_3repE0EEENS1_48merge_mergepath_partition_config_static_selectorELNS0_4arch9wavefront6targetE1EEEvSL_: ; @_ZN7rocprim17ROCPRIM_400000_NS6detail17trampoline_kernelINS0_14default_configENS1_38merge_sort_block_merge_config_selectorIjNS0_10empty_typeEEEZZNS1_27merge_sort_block_merge_implIS3_N6thrust23THRUST_200600_302600_NS6detail15normal_iteratorINS9_10device_ptrIjEEEEPS5_jNS1_19radix_merge_compareILb0ELb0EjNS0_19identity_decomposerEEEEE10hipError_tT0_T1_T2_jT3_P12ihipStream_tbPNSt15iterator_traitsISK_E10value_typeEPNSQ_ISL_E10value_typeEPSM_NS1_7vsmem_tEENKUlT_SK_SL_SM_E_clISE_PjSF_SF_EESJ_SZ_SK_SL_SM_EUlSZ_E_NS1_11comp_targetILNS1_3genE9ELNS1_11target_archE1100ELNS1_3gpuE3ELNS1_3repE0EEENS1_48merge_mergepath_partition_config_static_selectorELNS0_4arch9wavefront6targetE1EEEvSL_
; %bb.0:
	.section	.rodata,"a",@progbits
	.p2align	6, 0x0
	.amdhsa_kernel _ZN7rocprim17ROCPRIM_400000_NS6detail17trampoline_kernelINS0_14default_configENS1_38merge_sort_block_merge_config_selectorIjNS0_10empty_typeEEEZZNS1_27merge_sort_block_merge_implIS3_N6thrust23THRUST_200600_302600_NS6detail15normal_iteratorINS9_10device_ptrIjEEEEPS5_jNS1_19radix_merge_compareILb0ELb0EjNS0_19identity_decomposerEEEEE10hipError_tT0_T1_T2_jT3_P12ihipStream_tbPNSt15iterator_traitsISK_E10value_typeEPNSQ_ISL_E10value_typeEPSM_NS1_7vsmem_tEENKUlT_SK_SL_SM_E_clISE_PjSF_SF_EESJ_SZ_SK_SL_SM_EUlSZ_E_NS1_11comp_targetILNS1_3genE9ELNS1_11target_archE1100ELNS1_3gpuE3ELNS1_3repE0EEENS1_48merge_mergepath_partition_config_static_selectorELNS0_4arch9wavefront6targetE1EEEvSL_
		.amdhsa_group_segment_fixed_size 0
		.amdhsa_private_segment_fixed_size 0
		.amdhsa_kernarg_size 40
		.amdhsa_user_sgpr_count 6
		.amdhsa_user_sgpr_private_segment_buffer 1
		.amdhsa_user_sgpr_dispatch_ptr 0
		.amdhsa_user_sgpr_queue_ptr 0
		.amdhsa_user_sgpr_kernarg_segment_ptr 1
		.amdhsa_user_sgpr_dispatch_id 0
		.amdhsa_user_sgpr_flat_scratch_init 0
		.amdhsa_user_sgpr_kernarg_preload_length 0
		.amdhsa_user_sgpr_kernarg_preload_offset 0
		.amdhsa_user_sgpr_private_segment_size 0
		.amdhsa_uses_dynamic_stack 0
		.amdhsa_system_sgpr_private_segment_wavefront_offset 0
		.amdhsa_system_sgpr_workgroup_id_x 1
		.amdhsa_system_sgpr_workgroup_id_y 0
		.amdhsa_system_sgpr_workgroup_id_z 0
		.amdhsa_system_sgpr_workgroup_info 0
		.amdhsa_system_vgpr_workitem_id 0
		.amdhsa_next_free_vgpr 1
		.amdhsa_next_free_sgpr 0
		.amdhsa_accum_offset 4
		.amdhsa_reserve_vcc 0
		.amdhsa_reserve_flat_scratch 0
		.amdhsa_float_round_mode_32 0
		.amdhsa_float_round_mode_16_64 0
		.amdhsa_float_denorm_mode_32 3
		.amdhsa_float_denorm_mode_16_64 3
		.amdhsa_dx10_clamp 1
		.amdhsa_ieee_mode 1
		.amdhsa_fp16_overflow 0
		.amdhsa_tg_split 0
		.amdhsa_exception_fp_ieee_invalid_op 0
		.amdhsa_exception_fp_denorm_src 0
		.amdhsa_exception_fp_ieee_div_zero 0
		.amdhsa_exception_fp_ieee_overflow 0
		.amdhsa_exception_fp_ieee_underflow 0
		.amdhsa_exception_fp_ieee_inexact 0
		.amdhsa_exception_int_div_zero 0
	.end_amdhsa_kernel
	.section	.text._ZN7rocprim17ROCPRIM_400000_NS6detail17trampoline_kernelINS0_14default_configENS1_38merge_sort_block_merge_config_selectorIjNS0_10empty_typeEEEZZNS1_27merge_sort_block_merge_implIS3_N6thrust23THRUST_200600_302600_NS6detail15normal_iteratorINS9_10device_ptrIjEEEEPS5_jNS1_19radix_merge_compareILb0ELb0EjNS0_19identity_decomposerEEEEE10hipError_tT0_T1_T2_jT3_P12ihipStream_tbPNSt15iterator_traitsISK_E10value_typeEPNSQ_ISL_E10value_typeEPSM_NS1_7vsmem_tEENKUlT_SK_SL_SM_E_clISE_PjSF_SF_EESJ_SZ_SK_SL_SM_EUlSZ_E_NS1_11comp_targetILNS1_3genE9ELNS1_11target_archE1100ELNS1_3gpuE3ELNS1_3repE0EEENS1_48merge_mergepath_partition_config_static_selectorELNS0_4arch9wavefront6targetE1EEEvSL_,"axG",@progbits,_ZN7rocprim17ROCPRIM_400000_NS6detail17trampoline_kernelINS0_14default_configENS1_38merge_sort_block_merge_config_selectorIjNS0_10empty_typeEEEZZNS1_27merge_sort_block_merge_implIS3_N6thrust23THRUST_200600_302600_NS6detail15normal_iteratorINS9_10device_ptrIjEEEEPS5_jNS1_19radix_merge_compareILb0ELb0EjNS0_19identity_decomposerEEEEE10hipError_tT0_T1_T2_jT3_P12ihipStream_tbPNSt15iterator_traitsISK_E10value_typeEPNSQ_ISL_E10value_typeEPSM_NS1_7vsmem_tEENKUlT_SK_SL_SM_E_clISE_PjSF_SF_EESJ_SZ_SK_SL_SM_EUlSZ_E_NS1_11comp_targetILNS1_3genE9ELNS1_11target_archE1100ELNS1_3gpuE3ELNS1_3repE0EEENS1_48merge_mergepath_partition_config_static_selectorELNS0_4arch9wavefront6targetE1EEEvSL_,comdat
.Lfunc_end999:
	.size	_ZN7rocprim17ROCPRIM_400000_NS6detail17trampoline_kernelINS0_14default_configENS1_38merge_sort_block_merge_config_selectorIjNS0_10empty_typeEEEZZNS1_27merge_sort_block_merge_implIS3_N6thrust23THRUST_200600_302600_NS6detail15normal_iteratorINS9_10device_ptrIjEEEEPS5_jNS1_19radix_merge_compareILb0ELb0EjNS0_19identity_decomposerEEEEE10hipError_tT0_T1_T2_jT3_P12ihipStream_tbPNSt15iterator_traitsISK_E10value_typeEPNSQ_ISL_E10value_typeEPSM_NS1_7vsmem_tEENKUlT_SK_SL_SM_E_clISE_PjSF_SF_EESJ_SZ_SK_SL_SM_EUlSZ_E_NS1_11comp_targetILNS1_3genE9ELNS1_11target_archE1100ELNS1_3gpuE3ELNS1_3repE0EEENS1_48merge_mergepath_partition_config_static_selectorELNS0_4arch9wavefront6targetE1EEEvSL_, .Lfunc_end999-_ZN7rocprim17ROCPRIM_400000_NS6detail17trampoline_kernelINS0_14default_configENS1_38merge_sort_block_merge_config_selectorIjNS0_10empty_typeEEEZZNS1_27merge_sort_block_merge_implIS3_N6thrust23THRUST_200600_302600_NS6detail15normal_iteratorINS9_10device_ptrIjEEEEPS5_jNS1_19radix_merge_compareILb0ELb0EjNS0_19identity_decomposerEEEEE10hipError_tT0_T1_T2_jT3_P12ihipStream_tbPNSt15iterator_traitsISK_E10value_typeEPNSQ_ISL_E10value_typeEPSM_NS1_7vsmem_tEENKUlT_SK_SL_SM_E_clISE_PjSF_SF_EESJ_SZ_SK_SL_SM_EUlSZ_E_NS1_11comp_targetILNS1_3genE9ELNS1_11target_archE1100ELNS1_3gpuE3ELNS1_3repE0EEENS1_48merge_mergepath_partition_config_static_selectorELNS0_4arch9wavefront6targetE1EEEvSL_
                                        ; -- End function
	.section	.AMDGPU.csdata,"",@progbits
; Kernel info:
; codeLenInByte = 0
; NumSgprs: 4
; NumVgprs: 0
; NumAgprs: 0
; TotalNumVgprs: 0
; ScratchSize: 0
; MemoryBound: 0
; FloatMode: 240
; IeeeMode: 1
; LDSByteSize: 0 bytes/workgroup (compile time only)
; SGPRBlocks: 0
; VGPRBlocks: 0
; NumSGPRsForWavesPerEU: 4
; NumVGPRsForWavesPerEU: 1
; AccumOffset: 4
; Occupancy: 8
; WaveLimiterHint : 0
; COMPUTE_PGM_RSRC2:SCRATCH_EN: 0
; COMPUTE_PGM_RSRC2:USER_SGPR: 6
; COMPUTE_PGM_RSRC2:TRAP_HANDLER: 0
; COMPUTE_PGM_RSRC2:TGID_X_EN: 1
; COMPUTE_PGM_RSRC2:TGID_Y_EN: 0
; COMPUTE_PGM_RSRC2:TGID_Z_EN: 0
; COMPUTE_PGM_RSRC2:TIDIG_COMP_CNT: 0
; COMPUTE_PGM_RSRC3_GFX90A:ACCUM_OFFSET: 0
; COMPUTE_PGM_RSRC3_GFX90A:TG_SPLIT: 0
	.section	.text._ZN7rocprim17ROCPRIM_400000_NS6detail17trampoline_kernelINS0_14default_configENS1_38merge_sort_block_merge_config_selectorIjNS0_10empty_typeEEEZZNS1_27merge_sort_block_merge_implIS3_N6thrust23THRUST_200600_302600_NS6detail15normal_iteratorINS9_10device_ptrIjEEEEPS5_jNS1_19radix_merge_compareILb0ELb0EjNS0_19identity_decomposerEEEEE10hipError_tT0_T1_T2_jT3_P12ihipStream_tbPNSt15iterator_traitsISK_E10value_typeEPNSQ_ISL_E10value_typeEPSM_NS1_7vsmem_tEENKUlT_SK_SL_SM_E_clISE_PjSF_SF_EESJ_SZ_SK_SL_SM_EUlSZ_E_NS1_11comp_targetILNS1_3genE8ELNS1_11target_archE1030ELNS1_3gpuE2ELNS1_3repE0EEENS1_48merge_mergepath_partition_config_static_selectorELNS0_4arch9wavefront6targetE1EEEvSL_,"axG",@progbits,_ZN7rocprim17ROCPRIM_400000_NS6detail17trampoline_kernelINS0_14default_configENS1_38merge_sort_block_merge_config_selectorIjNS0_10empty_typeEEEZZNS1_27merge_sort_block_merge_implIS3_N6thrust23THRUST_200600_302600_NS6detail15normal_iteratorINS9_10device_ptrIjEEEEPS5_jNS1_19radix_merge_compareILb0ELb0EjNS0_19identity_decomposerEEEEE10hipError_tT0_T1_T2_jT3_P12ihipStream_tbPNSt15iterator_traitsISK_E10value_typeEPNSQ_ISL_E10value_typeEPSM_NS1_7vsmem_tEENKUlT_SK_SL_SM_E_clISE_PjSF_SF_EESJ_SZ_SK_SL_SM_EUlSZ_E_NS1_11comp_targetILNS1_3genE8ELNS1_11target_archE1030ELNS1_3gpuE2ELNS1_3repE0EEENS1_48merge_mergepath_partition_config_static_selectorELNS0_4arch9wavefront6targetE1EEEvSL_,comdat
	.protected	_ZN7rocprim17ROCPRIM_400000_NS6detail17trampoline_kernelINS0_14default_configENS1_38merge_sort_block_merge_config_selectorIjNS0_10empty_typeEEEZZNS1_27merge_sort_block_merge_implIS3_N6thrust23THRUST_200600_302600_NS6detail15normal_iteratorINS9_10device_ptrIjEEEEPS5_jNS1_19radix_merge_compareILb0ELb0EjNS0_19identity_decomposerEEEEE10hipError_tT0_T1_T2_jT3_P12ihipStream_tbPNSt15iterator_traitsISK_E10value_typeEPNSQ_ISL_E10value_typeEPSM_NS1_7vsmem_tEENKUlT_SK_SL_SM_E_clISE_PjSF_SF_EESJ_SZ_SK_SL_SM_EUlSZ_E_NS1_11comp_targetILNS1_3genE8ELNS1_11target_archE1030ELNS1_3gpuE2ELNS1_3repE0EEENS1_48merge_mergepath_partition_config_static_selectorELNS0_4arch9wavefront6targetE1EEEvSL_ ; -- Begin function _ZN7rocprim17ROCPRIM_400000_NS6detail17trampoline_kernelINS0_14default_configENS1_38merge_sort_block_merge_config_selectorIjNS0_10empty_typeEEEZZNS1_27merge_sort_block_merge_implIS3_N6thrust23THRUST_200600_302600_NS6detail15normal_iteratorINS9_10device_ptrIjEEEEPS5_jNS1_19radix_merge_compareILb0ELb0EjNS0_19identity_decomposerEEEEE10hipError_tT0_T1_T2_jT3_P12ihipStream_tbPNSt15iterator_traitsISK_E10value_typeEPNSQ_ISL_E10value_typeEPSM_NS1_7vsmem_tEENKUlT_SK_SL_SM_E_clISE_PjSF_SF_EESJ_SZ_SK_SL_SM_EUlSZ_E_NS1_11comp_targetILNS1_3genE8ELNS1_11target_archE1030ELNS1_3gpuE2ELNS1_3repE0EEENS1_48merge_mergepath_partition_config_static_selectorELNS0_4arch9wavefront6targetE1EEEvSL_
	.globl	_ZN7rocprim17ROCPRIM_400000_NS6detail17trampoline_kernelINS0_14default_configENS1_38merge_sort_block_merge_config_selectorIjNS0_10empty_typeEEEZZNS1_27merge_sort_block_merge_implIS3_N6thrust23THRUST_200600_302600_NS6detail15normal_iteratorINS9_10device_ptrIjEEEEPS5_jNS1_19radix_merge_compareILb0ELb0EjNS0_19identity_decomposerEEEEE10hipError_tT0_T1_T2_jT3_P12ihipStream_tbPNSt15iterator_traitsISK_E10value_typeEPNSQ_ISL_E10value_typeEPSM_NS1_7vsmem_tEENKUlT_SK_SL_SM_E_clISE_PjSF_SF_EESJ_SZ_SK_SL_SM_EUlSZ_E_NS1_11comp_targetILNS1_3genE8ELNS1_11target_archE1030ELNS1_3gpuE2ELNS1_3repE0EEENS1_48merge_mergepath_partition_config_static_selectorELNS0_4arch9wavefront6targetE1EEEvSL_
	.p2align	8
	.type	_ZN7rocprim17ROCPRIM_400000_NS6detail17trampoline_kernelINS0_14default_configENS1_38merge_sort_block_merge_config_selectorIjNS0_10empty_typeEEEZZNS1_27merge_sort_block_merge_implIS3_N6thrust23THRUST_200600_302600_NS6detail15normal_iteratorINS9_10device_ptrIjEEEEPS5_jNS1_19radix_merge_compareILb0ELb0EjNS0_19identity_decomposerEEEEE10hipError_tT0_T1_T2_jT3_P12ihipStream_tbPNSt15iterator_traitsISK_E10value_typeEPNSQ_ISL_E10value_typeEPSM_NS1_7vsmem_tEENKUlT_SK_SL_SM_E_clISE_PjSF_SF_EESJ_SZ_SK_SL_SM_EUlSZ_E_NS1_11comp_targetILNS1_3genE8ELNS1_11target_archE1030ELNS1_3gpuE2ELNS1_3repE0EEENS1_48merge_mergepath_partition_config_static_selectorELNS0_4arch9wavefront6targetE1EEEvSL_,@function
_ZN7rocprim17ROCPRIM_400000_NS6detail17trampoline_kernelINS0_14default_configENS1_38merge_sort_block_merge_config_selectorIjNS0_10empty_typeEEEZZNS1_27merge_sort_block_merge_implIS3_N6thrust23THRUST_200600_302600_NS6detail15normal_iteratorINS9_10device_ptrIjEEEEPS5_jNS1_19radix_merge_compareILb0ELb0EjNS0_19identity_decomposerEEEEE10hipError_tT0_T1_T2_jT3_P12ihipStream_tbPNSt15iterator_traitsISK_E10value_typeEPNSQ_ISL_E10value_typeEPSM_NS1_7vsmem_tEENKUlT_SK_SL_SM_E_clISE_PjSF_SF_EESJ_SZ_SK_SL_SM_EUlSZ_E_NS1_11comp_targetILNS1_3genE8ELNS1_11target_archE1030ELNS1_3gpuE2ELNS1_3repE0EEENS1_48merge_mergepath_partition_config_static_selectorELNS0_4arch9wavefront6targetE1EEEvSL_: ; @_ZN7rocprim17ROCPRIM_400000_NS6detail17trampoline_kernelINS0_14default_configENS1_38merge_sort_block_merge_config_selectorIjNS0_10empty_typeEEEZZNS1_27merge_sort_block_merge_implIS3_N6thrust23THRUST_200600_302600_NS6detail15normal_iteratorINS9_10device_ptrIjEEEEPS5_jNS1_19radix_merge_compareILb0ELb0EjNS0_19identity_decomposerEEEEE10hipError_tT0_T1_T2_jT3_P12ihipStream_tbPNSt15iterator_traitsISK_E10value_typeEPNSQ_ISL_E10value_typeEPSM_NS1_7vsmem_tEENKUlT_SK_SL_SM_E_clISE_PjSF_SF_EESJ_SZ_SK_SL_SM_EUlSZ_E_NS1_11comp_targetILNS1_3genE8ELNS1_11target_archE1030ELNS1_3gpuE2ELNS1_3repE0EEENS1_48merge_mergepath_partition_config_static_selectorELNS0_4arch9wavefront6targetE1EEEvSL_
; %bb.0:
	.section	.rodata,"a",@progbits
	.p2align	6, 0x0
	.amdhsa_kernel _ZN7rocprim17ROCPRIM_400000_NS6detail17trampoline_kernelINS0_14default_configENS1_38merge_sort_block_merge_config_selectorIjNS0_10empty_typeEEEZZNS1_27merge_sort_block_merge_implIS3_N6thrust23THRUST_200600_302600_NS6detail15normal_iteratorINS9_10device_ptrIjEEEEPS5_jNS1_19radix_merge_compareILb0ELb0EjNS0_19identity_decomposerEEEEE10hipError_tT0_T1_T2_jT3_P12ihipStream_tbPNSt15iterator_traitsISK_E10value_typeEPNSQ_ISL_E10value_typeEPSM_NS1_7vsmem_tEENKUlT_SK_SL_SM_E_clISE_PjSF_SF_EESJ_SZ_SK_SL_SM_EUlSZ_E_NS1_11comp_targetILNS1_3genE8ELNS1_11target_archE1030ELNS1_3gpuE2ELNS1_3repE0EEENS1_48merge_mergepath_partition_config_static_selectorELNS0_4arch9wavefront6targetE1EEEvSL_
		.amdhsa_group_segment_fixed_size 0
		.amdhsa_private_segment_fixed_size 0
		.amdhsa_kernarg_size 40
		.amdhsa_user_sgpr_count 6
		.amdhsa_user_sgpr_private_segment_buffer 1
		.amdhsa_user_sgpr_dispatch_ptr 0
		.amdhsa_user_sgpr_queue_ptr 0
		.amdhsa_user_sgpr_kernarg_segment_ptr 1
		.amdhsa_user_sgpr_dispatch_id 0
		.amdhsa_user_sgpr_flat_scratch_init 0
		.amdhsa_user_sgpr_kernarg_preload_length 0
		.amdhsa_user_sgpr_kernarg_preload_offset 0
		.amdhsa_user_sgpr_private_segment_size 0
		.amdhsa_uses_dynamic_stack 0
		.amdhsa_system_sgpr_private_segment_wavefront_offset 0
		.amdhsa_system_sgpr_workgroup_id_x 1
		.amdhsa_system_sgpr_workgroup_id_y 0
		.amdhsa_system_sgpr_workgroup_id_z 0
		.amdhsa_system_sgpr_workgroup_info 0
		.amdhsa_system_vgpr_workitem_id 0
		.amdhsa_next_free_vgpr 1
		.amdhsa_next_free_sgpr 0
		.amdhsa_accum_offset 4
		.amdhsa_reserve_vcc 0
		.amdhsa_reserve_flat_scratch 0
		.amdhsa_float_round_mode_32 0
		.amdhsa_float_round_mode_16_64 0
		.amdhsa_float_denorm_mode_32 3
		.amdhsa_float_denorm_mode_16_64 3
		.amdhsa_dx10_clamp 1
		.amdhsa_ieee_mode 1
		.amdhsa_fp16_overflow 0
		.amdhsa_tg_split 0
		.amdhsa_exception_fp_ieee_invalid_op 0
		.amdhsa_exception_fp_denorm_src 0
		.amdhsa_exception_fp_ieee_div_zero 0
		.amdhsa_exception_fp_ieee_overflow 0
		.amdhsa_exception_fp_ieee_underflow 0
		.amdhsa_exception_fp_ieee_inexact 0
		.amdhsa_exception_int_div_zero 0
	.end_amdhsa_kernel
	.section	.text._ZN7rocprim17ROCPRIM_400000_NS6detail17trampoline_kernelINS0_14default_configENS1_38merge_sort_block_merge_config_selectorIjNS0_10empty_typeEEEZZNS1_27merge_sort_block_merge_implIS3_N6thrust23THRUST_200600_302600_NS6detail15normal_iteratorINS9_10device_ptrIjEEEEPS5_jNS1_19radix_merge_compareILb0ELb0EjNS0_19identity_decomposerEEEEE10hipError_tT0_T1_T2_jT3_P12ihipStream_tbPNSt15iterator_traitsISK_E10value_typeEPNSQ_ISL_E10value_typeEPSM_NS1_7vsmem_tEENKUlT_SK_SL_SM_E_clISE_PjSF_SF_EESJ_SZ_SK_SL_SM_EUlSZ_E_NS1_11comp_targetILNS1_3genE8ELNS1_11target_archE1030ELNS1_3gpuE2ELNS1_3repE0EEENS1_48merge_mergepath_partition_config_static_selectorELNS0_4arch9wavefront6targetE1EEEvSL_,"axG",@progbits,_ZN7rocprim17ROCPRIM_400000_NS6detail17trampoline_kernelINS0_14default_configENS1_38merge_sort_block_merge_config_selectorIjNS0_10empty_typeEEEZZNS1_27merge_sort_block_merge_implIS3_N6thrust23THRUST_200600_302600_NS6detail15normal_iteratorINS9_10device_ptrIjEEEEPS5_jNS1_19radix_merge_compareILb0ELb0EjNS0_19identity_decomposerEEEEE10hipError_tT0_T1_T2_jT3_P12ihipStream_tbPNSt15iterator_traitsISK_E10value_typeEPNSQ_ISL_E10value_typeEPSM_NS1_7vsmem_tEENKUlT_SK_SL_SM_E_clISE_PjSF_SF_EESJ_SZ_SK_SL_SM_EUlSZ_E_NS1_11comp_targetILNS1_3genE8ELNS1_11target_archE1030ELNS1_3gpuE2ELNS1_3repE0EEENS1_48merge_mergepath_partition_config_static_selectorELNS0_4arch9wavefront6targetE1EEEvSL_,comdat
.Lfunc_end1000:
	.size	_ZN7rocprim17ROCPRIM_400000_NS6detail17trampoline_kernelINS0_14default_configENS1_38merge_sort_block_merge_config_selectorIjNS0_10empty_typeEEEZZNS1_27merge_sort_block_merge_implIS3_N6thrust23THRUST_200600_302600_NS6detail15normal_iteratorINS9_10device_ptrIjEEEEPS5_jNS1_19radix_merge_compareILb0ELb0EjNS0_19identity_decomposerEEEEE10hipError_tT0_T1_T2_jT3_P12ihipStream_tbPNSt15iterator_traitsISK_E10value_typeEPNSQ_ISL_E10value_typeEPSM_NS1_7vsmem_tEENKUlT_SK_SL_SM_E_clISE_PjSF_SF_EESJ_SZ_SK_SL_SM_EUlSZ_E_NS1_11comp_targetILNS1_3genE8ELNS1_11target_archE1030ELNS1_3gpuE2ELNS1_3repE0EEENS1_48merge_mergepath_partition_config_static_selectorELNS0_4arch9wavefront6targetE1EEEvSL_, .Lfunc_end1000-_ZN7rocprim17ROCPRIM_400000_NS6detail17trampoline_kernelINS0_14default_configENS1_38merge_sort_block_merge_config_selectorIjNS0_10empty_typeEEEZZNS1_27merge_sort_block_merge_implIS3_N6thrust23THRUST_200600_302600_NS6detail15normal_iteratorINS9_10device_ptrIjEEEEPS5_jNS1_19radix_merge_compareILb0ELb0EjNS0_19identity_decomposerEEEEE10hipError_tT0_T1_T2_jT3_P12ihipStream_tbPNSt15iterator_traitsISK_E10value_typeEPNSQ_ISL_E10value_typeEPSM_NS1_7vsmem_tEENKUlT_SK_SL_SM_E_clISE_PjSF_SF_EESJ_SZ_SK_SL_SM_EUlSZ_E_NS1_11comp_targetILNS1_3genE8ELNS1_11target_archE1030ELNS1_3gpuE2ELNS1_3repE0EEENS1_48merge_mergepath_partition_config_static_selectorELNS0_4arch9wavefront6targetE1EEEvSL_
                                        ; -- End function
	.section	.AMDGPU.csdata,"",@progbits
; Kernel info:
; codeLenInByte = 0
; NumSgprs: 4
; NumVgprs: 0
; NumAgprs: 0
; TotalNumVgprs: 0
; ScratchSize: 0
; MemoryBound: 0
; FloatMode: 240
; IeeeMode: 1
; LDSByteSize: 0 bytes/workgroup (compile time only)
; SGPRBlocks: 0
; VGPRBlocks: 0
; NumSGPRsForWavesPerEU: 4
; NumVGPRsForWavesPerEU: 1
; AccumOffset: 4
; Occupancy: 8
; WaveLimiterHint : 0
; COMPUTE_PGM_RSRC2:SCRATCH_EN: 0
; COMPUTE_PGM_RSRC2:USER_SGPR: 6
; COMPUTE_PGM_RSRC2:TRAP_HANDLER: 0
; COMPUTE_PGM_RSRC2:TGID_X_EN: 1
; COMPUTE_PGM_RSRC2:TGID_Y_EN: 0
; COMPUTE_PGM_RSRC2:TGID_Z_EN: 0
; COMPUTE_PGM_RSRC2:TIDIG_COMP_CNT: 0
; COMPUTE_PGM_RSRC3_GFX90A:ACCUM_OFFSET: 0
; COMPUTE_PGM_RSRC3_GFX90A:TG_SPLIT: 0
	.section	.text._ZN7rocprim17ROCPRIM_400000_NS6detail17trampoline_kernelINS0_14default_configENS1_38merge_sort_block_merge_config_selectorIjNS0_10empty_typeEEEZZNS1_27merge_sort_block_merge_implIS3_N6thrust23THRUST_200600_302600_NS6detail15normal_iteratorINS9_10device_ptrIjEEEEPS5_jNS1_19radix_merge_compareILb0ELb0EjNS0_19identity_decomposerEEEEE10hipError_tT0_T1_T2_jT3_P12ihipStream_tbPNSt15iterator_traitsISK_E10value_typeEPNSQ_ISL_E10value_typeEPSM_NS1_7vsmem_tEENKUlT_SK_SL_SM_E_clISE_PjSF_SF_EESJ_SZ_SK_SL_SM_EUlSZ_E0_NS1_11comp_targetILNS1_3genE0ELNS1_11target_archE4294967295ELNS1_3gpuE0ELNS1_3repE0EEENS1_38merge_mergepath_config_static_selectorELNS0_4arch9wavefront6targetE1EEEvSL_,"axG",@progbits,_ZN7rocprim17ROCPRIM_400000_NS6detail17trampoline_kernelINS0_14default_configENS1_38merge_sort_block_merge_config_selectorIjNS0_10empty_typeEEEZZNS1_27merge_sort_block_merge_implIS3_N6thrust23THRUST_200600_302600_NS6detail15normal_iteratorINS9_10device_ptrIjEEEEPS5_jNS1_19radix_merge_compareILb0ELb0EjNS0_19identity_decomposerEEEEE10hipError_tT0_T1_T2_jT3_P12ihipStream_tbPNSt15iterator_traitsISK_E10value_typeEPNSQ_ISL_E10value_typeEPSM_NS1_7vsmem_tEENKUlT_SK_SL_SM_E_clISE_PjSF_SF_EESJ_SZ_SK_SL_SM_EUlSZ_E0_NS1_11comp_targetILNS1_3genE0ELNS1_11target_archE4294967295ELNS1_3gpuE0ELNS1_3repE0EEENS1_38merge_mergepath_config_static_selectorELNS0_4arch9wavefront6targetE1EEEvSL_,comdat
	.protected	_ZN7rocprim17ROCPRIM_400000_NS6detail17trampoline_kernelINS0_14default_configENS1_38merge_sort_block_merge_config_selectorIjNS0_10empty_typeEEEZZNS1_27merge_sort_block_merge_implIS3_N6thrust23THRUST_200600_302600_NS6detail15normal_iteratorINS9_10device_ptrIjEEEEPS5_jNS1_19radix_merge_compareILb0ELb0EjNS0_19identity_decomposerEEEEE10hipError_tT0_T1_T2_jT3_P12ihipStream_tbPNSt15iterator_traitsISK_E10value_typeEPNSQ_ISL_E10value_typeEPSM_NS1_7vsmem_tEENKUlT_SK_SL_SM_E_clISE_PjSF_SF_EESJ_SZ_SK_SL_SM_EUlSZ_E0_NS1_11comp_targetILNS1_3genE0ELNS1_11target_archE4294967295ELNS1_3gpuE0ELNS1_3repE0EEENS1_38merge_mergepath_config_static_selectorELNS0_4arch9wavefront6targetE1EEEvSL_ ; -- Begin function _ZN7rocprim17ROCPRIM_400000_NS6detail17trampoline_kernelINS0_14default_configENS1_38merge_sort_block_merge_config_selectorIjNS0_10empty_typeEEEZZNS1_27merge_sort_block_merge_implIS3_N6thrust23THRUST_200600_302600_NS6detail15normal_iteratorINS9_10device_ptrIjEEEEPS5_jNS1_19radix_merge_compareILb0ELb0EjNS0_19identity_decomposerEEEEE10hipError_tT0_T1_T2_jT3_P12ihipStream_tbPNSt15iterator_traitsISK_E10value_typeEPNSQ_ISL_E10value_typeEPSM_NS1_7vsmem_tEENKUlT_SK_SL_SM_E_clISE_PjSF_SF_EESJ_SZ_SK_SL_SM_EUlSZ_E0_NS1_11comp_targetILNS1_3genE0ELNS1_11target_archE4294967295ELNS1_3gpuE0ELNS1_3repE0EEENS1_38merge_mergepath_config_static_selectorELNS0_4arch9wavefront6targetE1EEEvSL_
	.globl	_ZN7rocprim17ROCPRIM_400000_NS6detail17trampoline_kernelINS0_14default_configENS1_38merge_sort_block_merge_config_selectorIjNS0_10empty_typeEEEZZNS1_27merge_sort_block_merge_implIS3_N6thrust23THRUST_200600_302600_NS6detail15normal_iteratorINS9_10device_ptrIjEEEEPS5_jNS1_19radix_merge_compareILb0ELb0EjNS0_19identity_decomposerEEEEE10hipError_tT0_T1_T2_jT3_P12ihipStream_tbPNSt15iterator_traitsISK_E10value_typeEPNSQ_ISL_E10value_typeEPSM_NS1_7vsmem_tEENKUlT_SK_SL_SM_E_clISE_PjSF_SF_EESJ_SZ_SK_SL_SM_EUlSZ_E0_NS1_11comp_targetILNS1_3genE0ELNS1_11target_archE4294967295ELNS1_3gpuE0ELNS1_3repE0EEENS1_38merge_mergepath_config_static_selectorELNS0_4arch9wavefront6targetE1EEEvSL_
	.p2align	8
	.type	_ZN7rocprim17ROCPRIM_400000_NS6detail17trampoline_kernelINS0_14default_configENS1_38merge_sort_block_merge_config_selectorIjNS0_10empty_typeEEEZZNS1_27merge_sort_block_merge_implIS3_N6thrust23THRUST_200600_302600_NS6detail15normal_iteratorINS9_10device_ptrIjEEEEPS5_jNS1_19radix_merge_compareILb0ELb0EjNS0_19identity_decomposerEEEEE10hipError_tT0_T1_T2_jT3_P12ihipStream_tbPNSt15iterator_traitsISK_E10value_typeEPNSQ_ISL_E10value_typeEPSM_NS1_7vsmem_tEENKUlT_SK_SL_SM_E_clISE_PjSF_SF_EESJ_SZ_SK_SL_SM_EUlSZ_E0_NS1_11comp_targetILNS1_3genE0ELNS1_11target_archE4294967295ELNS1_3gpuE0ELNS1_3repE0EEENS1_38merge_mergepath_config_static_selectorELNS0_4arch9wavefront6targetE1EEEvSL_,@function
_ZN7rocprim17ROCPRIM_400000_NS6detail17trampoline_kernelINS0_14default_configENS1_38merge_sort_block_merge_config_selectorIjNS0_10empty_typeEEEZZNS1_27merge_sort_block_merge_implIS3_N6thrust23THRUST_200600_302600_NS6detail15normal_iteratorINS9_10device_ptrIjEEEEPS5_jNS1_19radix_merge_compareILb0ELb0EjNS0_19identity_decomposerEEEEE10hipError_tT0_T1_T2_jT3_P12ihipStream_tbPNSt15iterator_traitsISK_E10value_typeEPNSQ_ISL_E10value_typeEPSM_NS1_7vsmem_tEENKUlT_SK_SL_SM_E_clISE_PjSF_SF_EESJ_SZ_SK_SL_SM_EUlSZ_E0_NS1_11comp_targetILNS1_3genE0ELNS1_11target_archE4294967295ELNS1_3gpuE0ELNS1_3repE0EEENS1_38merge_mergepath_config_static_selectorELNS0_4arch9wavefront6targetE1EEEvSL_: ; @_ZN7rocprim17ROCPRIM_400000_NS6detail17trampoline_kernelINS0_14default_configENS1_38merge_sort_block_merge_config_selectorIjNS0_10empty_typeEEEZZNS1_27merge_sort_block_merge_implIS3_N6thrust23THRUST_200600_302600_NS6detail15normal_iteratorINS9_10device_ptrIjEEEEPS5_jNS1_19radix_merge_compareILb0ELb0EjNS0_19identity_decomposerEEEEE10hipError_tT0_T1_T2_jT3_P12ihipStream_tbPNSt15iterator_traitsISK_E10value_typeEPNSQ_ISL_E10value_typeEPSM_NS1_7vsmem_tEENKUlT_SK_SL_SM_E_clISE_PjSF_SF_EESJ_SZ_SK_SL_SM_EUlSZ_E0_NS1_11comp_targetILNS1_3genE0ELNS1_11target_archE4294967295ELNS1_3gpuE0ELNS1_3repE0EEENS1_38merge_mergepath_config_static_selectorELNS0_4arch9wavefront6targetE1EEEvSL_
; %bb.0:
	.section	.rodata,"a",@progbits
	.p2align	6, 0x0
	.amdhsa_kernel _ZN7rocprim17ROCPRIM_400000_NS6detail17trampoline_kernelINS0_14default_configENS1_38merge_sort_block_merge_config_selectorIjNS0_10empty_typeEEEZZNS1_27merge_sort_block_merge_implIS3_N6thrust23THRUST_200600_302600_NS6detail15normal_iteratorINS9_10device_ptrIjEEEEPS5_jNS1_19radix_merge_compareILb0ELb0EjNS0_19identity_decomposerEEEEE10hipError_tT0_T1_T2_jT3_P12ihipStream_tbPNSt15iterator_traitsISK_E10value_typeEPNSQ_ISL_E10value_typeEPSM_NS1_7vsmem_tEENKUlT_SK_SL_SM_E_clISE_PjSF_SF_EESJ_SZ_SK_SL_SM_EUlSZ_E0_NS1_11comp_targetILNS1_3genE0ELNS1_11target_archE4294967295ELNS1_3gpuE0ELNS1_3repE0EEENS1_38merge_mergepath_config_static_selectorELNS0_4arch9wavefront6targetE1EEEvSL_
		.amdhsa_group_segment_fixed_size 0
		.amdhsa_private_segment_fixed_size 0
		.amdhsa_kernarg_size 64
		.amdhsa_user_sgpr_count 6
		.amdhsa_user_sgpr_private_segment_buffer 1
		.amdhsa_user_sgpr_dispatch_ptr 0
		.amdhsa_user_sgpr_queue_ptr 0
		.amdhsa_user_sgpr_kernarg_segment_ptr 1
		.amdhsa_user_sgpr_dispatch_id 0
		.amdhsa_user_sgpr_flat_scratch_init 0
		.amdhsa_user_sgpr_kernarg_preload_length 0
		.amdhsa_user_sgpr_kernarg_preload_offset 0
		.amdhsa_user_sgpr_private_segment_size 0
		.amdhsa_uses_dynamic_stack 0
		.amdhsa_system_sgpr_private_segment_wavefront_offset 0
		.amdhsa_system_sgpr_workgroup_id_x 1
		.amdhsa_system_sgpr_workgroup_id_y 0
		.amdhsa_system_sgpr_workgroup_id_z 0
		.amdhsa_system_sgpr_workgroup_info 0
		.amdhsa_system_vgpr_workitem_id 0
		.amdhsa_next_free_vgpr 1
		.amdhsa_next_free_sgpr 0
		.amdhsa_accum_offset 4
		.amdhsa_reserve_vcc 0
		.amdhsa_reserve_flat_scratch 0
		.amdhsa_float_round_mode_32 0
		.amdhsa_float_round_mode_16_64 0
		.amdhsa_float_denorm_mode_32 3
		.amdhsa_float_denorm_mode_16_64 3
		.amdhsa_dx10_clamp 1
		.amdhsa_ieee_mode 1
		.amdhsa_fp16_overflow 0
		.amdhsa_tg_split 0
		.amdhsa_exception_fp_ieee_invalid_op 0
		.amdhsa_exception_fp_denorm_src 0
		.amdhsa_exception_fp_ieee_div_zero 0
		.amdhsa_exception_fp_ieee_overflow 0
		.amdhsa_exception_fp_ieee_underflow 0
		.amdhsa_exception_fp_ieee_inexact 0
		.amdhsa_exception_int_div_zero 0
	.end_amdhsa_kernel
	.section	.text._ZN7rocprim17ROCPRIM_400000_NS6detail17trampoline_kernelINS0_14default_configENS1_38merge_sort_block_merge_config_selectorIjNS0_10empty_typeEEEZZNS1_27merge_sort_block_merge_implIS3_N6thrust23THRUST_200600_302600_NS6detail15normal_iteratorINS9_10device_ptrIjEEEEPS5_jNS1_19radix_merge_compareILb0ELb0EjNS0_19identity_decomposerEEEEE10hipError_tT0_T1_T2_jT3_P12ihipStream_tbPNSt15iterator_traitsISK_E10value_typeEPNSQ_ISL_E10value_typeEPSM_NS1_7vsmem_tEENKUlT_SK_SL_SM_E_clISE_PjSF_SF_EESJ_SZ_SK_SL_SM_EUlSZ_E0_NS1_11comp_targetILNS1_3genE0ELNS1_11target_archE4294967295ELNS1_3gpuE0ELNS1_3repE0EEENS1_38merge_mergepath_config_static_selectorELNS0_4arch9wavefront6targetE1EEEvSL_,"axG",@progbits,_ZN7rocprim17ROCPRIM_400000_NS6detail17trampoline_kernelINS0_14default_configENS1_38merge_sort_block_merge_config_selectorIjNS0_10empty_typeEEEZZNS1_27merge_sort_block_merge_implIS3_N6thrust23THRUST_200600_302600_NS6detail15normal_iteratorINS9_10device_ptrIjEEEEPS5_jNS1_19radix_merge_compareILb0ELb0EjNS0_19identity_decomposerEEEEE10hipError_tT0_T1_T2_jT3_P12ihipStream_tbPNSt15iterator_traitsISK_E10value_typeEPNSQ_ISL_E10value_typeEPSM_NS1_7vsmem_tEENKUlT_SK_SL_SM_E_clISE_PjSF_SF_EESJ_SZ_SK_SL_SM_EUlSZ_E0_NS1_11comp_targetILNS1_3genE0ELNS1_11target_archE4294967295ELNS1_3gpuE0ELNS1_3repE0EEENS1_38merge_mergepath_config_static_selectorELNS0_4arch9wavefront6targetE1EEEvSL_,comdat
.Lfunc_end1001:
	.size	_ZN7rocprim17ROCPRIM_400000_NS6detail17trampoline_kernelINS0_14default_configENS1_38merge_sort_block_merge_config_selectorIjNS0_10empty_typeEEEZZNS1_27merge_sort_block_merge_implIS3_N6thrust23THRUST_200600_302600_NS6detail15normal_iteratorINS9_10device_ptrIjEEEEPS5_jNS1_19radix_merge_compareILb0ELb0EjNS0_19identity_decomposerEEEEE10hipError_tT0_T1_T2_jT3_P12ihipStream_tbPNSt15iterator_traitsISK_E10value_typeEPNSQ_ISL_E10value_typeEPSM_NS1_7vsmem_tEENKUlT_SK_SL_SM_E_clISE_PjSF_SF_EESJ_SZ_SK_SL_SM_EUlSZ_E0_NS1_11comp_targetILNS1_3genE0ELNS1_11target_archE4294967295ELNS1_3gpuE0ELNS1_3repE0EEENS1_38merge_mergepath_config_static_selectorELNS0_4arch9wavefront6targetE1EEEvSL_, .Lfunc_end1001-_ZN7rocprim17ROCPRIM_400000_NS6detail17trampoline_kernelINS0_14default_configENS1_38merge_sort_block_merge_config_selectorIjNS0_10empty_typeEEEZZNS1_27merge_sort_block_merge_implIS3_N6thrust23THRUST_200600_302600_NS6detail15normal_iteratorINS9_10device_ptrIjEEEEPS5_jNS1_19radix_merge_compareILb0ELb0EjNS0_19identity_decomposerEEEEE10hipError_tT0_T1_T2_jT3_P12ihipStream_tbPNSt15iterator_traitsISK_E10value_typeEPNSQ_ISL_E10value_typeEPSM_NS1_7vsmem_tEENKUlT_SK_SL_SM_E_clISE_PjSF_SF_EESJ_SZ_SK_SL_SM_EUlSZ_E0_NS1_11comp_targetILNS1_3genE0ELNS1_11target_archE4294967295ELNS1_3gpuE0ELNS1_3repE0EEENS1_38merge_mergepath_config_static_selectorELNS0_4arch9wavefront6targetE1EEEvSL_
                                        ; -- End function
	.section	.AMDGPU.csdata,"",@progbits
; Kernel info:
; codeLenInByte = 0
; NumSgprs: 4
; NumVgprs: 0
; NumAgprs: 0
; TotalNumVgprs: 0
; ScratchSize: 0
; MemoryBound: 0
; FloatMode: 240
; IeeeMode: 1
; LDSByteSize: 0 bytes/workgroup (compile time only)
; SGPRBlocks: 0
; VGPRBlocks: 0
; NumSGPRsForWavesPerEU: 4
; NumVGPRsForWavesPerEU: 1
; AccumOffset: 4
; Occupancy: 8
; WaveLimiterHint : 0
; COMPUTE_PGM_RSRC2:SCRATCH_EN: 0
; COMPUTE_PGM_RSRC2:USER_SGPR: 6
; COMPUTE_PGM_RSRC2:TRAP_HANDLER: 0
; COMPUTE_PGM_RSRC2:TGID_X_EN: 1
; COMPUTE_PGM_RSRC2:TGID_Y_EN: 0
; COMPUTE_PGM_RSRC2:TGID_Z_EN: 0
; COMPUTE_PGM_RSRC2:TIDIG_COMP_CNT: 0
; COMPUTE_PGM_RSRC3_GFX90A:ACCUM_OFFSET: 0
; COMPUTE_PGM_RSRC3_GFX90A:TG_SPLIT: 0
	.section	.text._ZN7rocprim17ROCPRIM_400000_NS6detail17trampoline_kernelINS0_14default_configENS1_38merge_sort_block_merge_config_selectorIjNS0_10empty_typeEEEZZNS1_27merge_sort_block_merge_implIS3_N6thrust23THRUST_200600_302600_NS6detail15normal_iteratorINS9_10device_ptrIjEEEEPS5_jNS1_19radix_merge_compareILb0ELb0EjNS0_19identity_decomposerEEEEE10hipError_tT0_T1_T2_jT3_P12ihipStream_tbPNSt15iterator_traitsISK_E10value_typeEPNSQ_ISL_E10value_typeEPSM_NS1_7vsmem_tEENKUlT_SK_SL_SM_E_clISE_PjSF_SF_EESJ_SZ_SK_SL_SM_EUlSZ_E0_NS1_11comp_targetILNS1_3genE10ELNS1_11target_archE1201ELNS1_3gpuE5ELNS1_3repE0EEENS1_38merge_mergepath_config_static_selectorELNS0_4arch9wavefront6targetE1EEEvSL_,"axG",@progbits,_ZN7rocprim17ROCPRIM_400000_NS6detail17trampoline_kernelINS0_14default_configENS1_38merge_sort_block_merge_config_selectorIjNS0_10empty_typeEEEZZNS1_27merge_sort_block_merge_implIS3_N6thrust23THRUST_200600_302600_NS6detail15normal_iteratorINS9_10device_ptrIjEEEEPS5_jNS1_19radix_merge_compareILb0ELb0EjNS0_19identity_decomposerEEEEE10hipError_tT0_T1_T2_jT3_P12ihipStream_tbPNSt15iterator_traitsISK_E10value_typeEPNSQ_ISL_E10value_typeEPSM_NS1_7vsmem_tEENKUlT_SK_SL_SM_E_clISE_PjSF_SF_EESJ_SZ_SK_SL_SM_EUlSZ_E0_NS1_11comp_targetILNS1_3genE10ELNS1_11target_archE1201ELNS1_3gpuE5ELNS1_3repE0EEENS1_38merge_mergepath_config_static_selectorELNS0_4arch9wavefront6targetE1EEEvSL_,comdat
	.protected	_ZN7rocprim17ROCPRIM_400000_NS6detail17trampoline_kernelINS0_14default_configENS1_38merge_sort_block_merge_config_selectorIjNS0_10empty_typeEEEZZNS1_27merge_sort_block_merge_implIS3_N6thrust23THRUST_200600_302600_NS6detail15normal_iteratorINS9_10device_ptrIjEEEEPS5_jNS1_19radix_merge_compareILb0ELb0EjNS0_19identity_decomposerEEEEE10hipError_tT0_T1_T2_jT3_P12ihipStream_tbPNSt15iterator_traitsISK_E10value_typeEPNSQ_ISL_E10value_typeEPSM_NS1_7vsmem_tEENKUlT_SK_SL_SM_E_clISE_PjSF_SF_EESJ_SZ_SK_SL_SM_EUlSZ_E0_NS1_11comp_targetILNS1_3genE10ELNS1_11target_archE1201ELNS1_3gpuE5ELNS1_3repE0EEENS1_38merge_mergepath_config_static_selectorELNS0_4arch9wavefront6targetE1EEEvSL_ ; -- Begin function _ZN7rocprim17ROCPRIM_400000_NS6detail17trampoline_kernelINS0_14default_configENS1_38merge_sort_block_merge_config_selectorIjNS0_10empty_typeEEEZZNS1_27merge_sort_block_merge_implIS3_N6thrust23THRUST_200600_302600_NS6detail15normal_iteratorINS9_10device_ptrIjEEEEPS5_jNS1_19radix_merge_compareILb0ELb0EjNS0_19identity_decomposerEEEEE10hipError_tT0_T1_T2_jT3_P12ihipStream_tbPNSt15iterator_traitsISK_E10value_typeEPNSQ_ISL_E10value_typeEPSM_NS1_7vsmem_tEENKUlT_SK_SL_SM_E_clISE_PjSF_SF_EESJ_SZ_SK_SL_SM_EUlSZ_E0_NS1_11comp_targetILNS1_3genE10ELNS1_11target_archE1201ELNS1_3gpuE5ELNS1_3repE0EEENS1_38merge_mergepath_config_static_selectorELNS0_4arch9wavefront6targetE1EEEvSL_
	.globl	_ZN7rocprim17ROCPRIM_400000_NS6detail17trampoline_kernelINS0_14default_configENS1_38merge_sort_block_merge_config_selectorIjNS0_10empty_typeEEEZZNS1_27merge_sort_block_merge_implIS3_N6thrust23THRUST_200600_302600_NS6detail15normal_iteratorINS9_10device_ptrIjEEEEPS5_jNS1_19radix_merge_compareILb0ELb0EjNS0_19identity_decomposerEEEEE10hipError_tT0_T1_T2_jT3_P12ihipStream_tbPNSt15iterator_traitsISK_E10value_typeEPNSQ_ISL_E10value_typeEPSM_NS1_7vsmem_tEENKUlT_SK_SL_SM_E_clISE_PjSF_SF_EESJ_SZ_SK_SL_SM_EUlSZ_E0_NS1_11comp_targetILNS1_3genE10ELNS1_11target_archE1201ELNS1_3gpuE5ELNS1_3repE0EEENS1_38merge_mergepath_config_static_selectorELNS0_4arch9wavefront6targetE1EEEvSL_
	.p2align	8
	.type	_ZN7rocprim17ROCPRIM_400000_NS6detail17trampoline_kernelINS0_14default_configENS1_38merge_sort_block_merge_config_selectorIjNS0_10empty_typeEEEZZNS1_27merge_sort_block_merge_implIS3_N6thrust23THRUST_200600_302600_NS6detail15normal_iteratorINS9_10device_ptrIjEEEEPS5_jNS1_19radix_merge_compareILb0ELb0EjNS0_19identity_decomposerEEEEE10hipError_tT0_T1_T2_jT3_P12ihipStream_tbPNSt15iterator_traitsISK_E10value_typeEPNSQ_ISL_E10value_typeEPSM_NS1_7vsmem_tEENKUlT_SK_SL_SM_E_clISE_PjSF_SF_EESJ_SZ_SK_SL_SM_EUlSZ_E0_NS1_11comp_targetILNS1_3genE10ELNS1_11target_archE1201ELNS1_3gpuE5ELNS1_3repE0EEENS1_38merge_mergepath_config_static_selectorELNS0_4arch9wavefront6targetE1EEEvSL_,@function
_ZN7rocprim17ROCPRIM_400000_NS6detail17trampoline_kernelINS0_14default_configENS1_38merge_sort_block_merge_config_selectorIjNS0_10empty_typeEEEZZNS1_27merge_sort_block_merge_implIS3_N6thrust23THRUST_200600_302600_NS6detail15normal_iteratorINS9_10device_ptrIjEEEEPS5_jNS1_19radix_merge_compareILb0ELb0EjNS0_19identity_decomposerEEEEE10hipError_tT0_T1_T2_jT3_P12ihipStream_tbPNSt15iterator_traitsISK_E10value_typeEPNSQ_ISL_E10value_typeEPSM_NS1_7vsmem_tEENKUlT_SK_SL_SM_E_clISE_PjSF_SF_EESJ_SZ_SK_SL_SM_EUlSZ_E0_NS1_11comp_targetILNS1_3genE10ELNS1_11target_archE1201ELNS1_3gpuE5ELNS1_3repE0EEENS1_38merge_mergepath_config_static_selectorELNS0_4arch9wavefront6targetE1EEEvSL_: ; @_ZN7rocprim17ROCPRIM_400000_NS6detail17trampoline_kernelINS0_14default_configENS1_38merge_sort_block_merge_config_selectorIjNS0_10empty_typeEEEZZNS1_27merge_sort_block_merge_implIS3_N6thrust23THRUST_200600_302600_NS6detail15normal_iteratorINS9_10device_ptrIjEEEEPS5_jNS1_19radix_merge_compareILb0ELb0EjNS0_19identity_decomposerEEEEE10hipError_tT0_T1_T2_jT3_P12ihipStream_tbPNSt15iterator_traitsISK_E10value_typeEPNSQ_ISL_E10value_typeEPSM_NS1_7vsmem_tEENKUlT_SK_SL_SM_E_clISE_PjSF_SF_EESJ_SZ_SK_SL_SM_EUlSZ_E0_NS1_11comp_targetILNS1_3genE10ELNS1_11target_archE1201ELNS1_3gpuE5ELNS1_3repE0EEENS1_38merge_mergepath_config_static_selectorELNS0_4arch9wavefront6targetE1EEEvSL_
; %bb.0:
	.section	.rodata,"a",@progbits
	.p2align	6, 0x0
	.amdhsa_kernel _ZN7rocprim17ROCPRIM_400000_NS6detail17trampoline_kernelINS0_14default_configENS1_38merge_sort_block_merge_config_selectorIjNS0_10empty_typeEEEZZNS1_27merge_sort_block_merge_implIS3_N6thrust23THRUST_200600_302600_NS6detail15normal_iteratorINS9_10device_ptrIjEEEEPS5_jNS1_19radix_merge_compareILb0ELb0EjNS0_19identity_decomposerEEEEE10hipError_tT0_T1_T2_jT3_P12ihipStream_tbPNSt15iterator_traitsISK_E10value_typeEPNSQ_ISL_E10value_typeEPSM_NS1_7vsmem_tEENKUlT_SK_SL_SM_E_clISE_PjSF_SF_EESJ_SZ_SK_SL_SM_EUlSZ_E0_NS1_11comp_targetILNS1_3genE10ELNS1_11target_archE1201ELNS1_3gpuE5ELNS1_3repE0EEENS1_38merge_mergepath_config_static_selectorELNS0_4arch9wavefront6targetE1EEEvSL_
		.amdhsa_group_segment_fixed_size 0
		.amdhsa_private_segment_fixed_size 0
		.amdhsa_kernarg_size 64
		.amdhsa_user_sgpr_count 6
		.amdhsa_user_sgpr_private_segment_buffer 1
		.amdhsa_user_sgpr_dispatch_ptr 0
		.amdhsa_user_sgpr_queue_ptr 0
		.amdhsa_user_sgpr_kernarg_segment_ptr 1
		.amdhsa_user_sgpr_dispatch_id 0
		.amdhsa_user_sgpr_flat_scratch_init 0
		.amdhsa_user_sgpr_kernarg_preload_length 0
		.amdhsa_user_sgpr_kernarg_preload_offset 0
		.amdhsa_user_sgpr_private_segment_size 0
		.amdhsa_uses_dynamic_stack 0
		.amdhsa_system_sgpr_private_segment_wavefront_offset 0
		.amdhsa_system_sgpr_workgroup_id_x 1
		.amdhsa_system_sgpr_workgroup_id_y 0
		.amdhsa_system_sgpr_workgroup_id_z 0
		.amdhsa_system_sgpr_workgroup_info 0
		.amdhsa_system_vgpr_workitem_id 0
		.amdhsa_next_free_vgpr 1
		.amdhsa_next_free_sgpr 0
		.amdhsa_accum_offset 4
		.amdhsa_reserve_vcc 0
		.amdhsa_reserve_flat_scratch 0
		.amdhsa_float_round_mode_32 0
		.amdhsa_float_round_mode_16_64 0
		.amdhsa_float_denorm_mode_32 3
		.amdhsa_float_denorm_mode_16_64 3
		.amdhsa_dx10_clamp 1
		.amdhsa_ieee_mode 1
		.amdhsa_fp16_overflow 0
		.amdhsa_tg_split 0
		.amdhsa_exception_fp_ieee_invalid_op 0
		.amdhsa_exception_fp_denorm_src 0
		.amdhsa_exception_fp_ieee_div_zero 0
		.amdhsa_exception_fp_ieee_overflow 0
		.amdhsa_exception_fp_ieee_underflow 0
		.amdhsa_exception_fp_ieee_inexact 0
		.amdhsa_exception_int_div_zero 0
	.end_amdhsa_kernel
	.section	.text._ZN7rocprim17ROCPRIM_400000_NS6detail17trampoline_kernelINS0_14default_configENS1_38merge_sort_block_merge_config_selectorIjNS0_10empty_typeEEEZZNS1_27merge_sort_block_merge_implIS3_N6thrust23THRUST_200600_302600_NS6detail15normal_iteratorINS9_10device_ptrIjEEEEPS5_jNS1_19radix_merge_compareILb0ELb0EjNS0_19identity_decomposerEEEEE10hipError_tT0_T1_T2_jT3_P12ihipStream_tbPNSt15iterator_traitsISK_E10value_typeEPNSQ_ISL_E10value_typeEPSM_NS1_7vsmem_tEENKUlT_SK_SL_SM_E_clISE_PjSF_SF_EESJ_SZ_SK_SL_SM_EUlSZ_E0_NS1_11comp_targetILNS1_3genE10ELNS1_11target_archE1201ELNS1_3gpuE5ELNS1_3repE0EEENS1_38merge_mergepath_config_static_selectorELNS0_4arch9wavefront6targetE1EEEvSL_,"axG",@progbits,_ZN7rocprim17ROCPRIM_400000_NS6detail17trampoline_kernelINS0_14default_configENS1_38merge_sort_block_merge_config_selectorIjNS0_10empty_typeEEEZZNS1_27merge_sort_block_merge_implIS3_N6thrust23THRUST_200600_302600_NS6detail15normal_iteratorINS9_10device_ptrIjEEEEPS5_jNS1_19radix_merge_compareILb0ELb0EjNS0_19identity_decomposerEEEEE10hipError_tT0_T1_T2_jT3_P12ihipStream_tbPNSt15iterator_traitsISK_E10value_typeEPNSQ_ISL_E10value_typeEPSM_NS1_7vsmem_tEENKUlT_SK_SL_SM_E_clISE_PjSF_SF_EESJ_SZ_SK_SL_SM_EUlSZ_E0_NS1_11comp_targetILNS1_3genE10ELNS1_11target_archE1201ELNS1_3gpuE5ELNS1_3repE0EEENS1_38merge_mergepath_config_static_selectorELNS0_4arch9wavefront6targetE1EEEvSL_,comdat
.Lfunc_end1002:
	.size	_ZN7rocprim17ROCPRIM_400000_NS6detail17trampoline_kernelINS0_14default_configENS1_38merge_sort_block_merge_config_selectorIjNS0_10empty_typeEEEZZNS1_27merge_sort_block_merge_implIS3_N6thrust23THRUST_200600_302600_NS6detail15normal_iteratorINS9_10device_ptrIjEEEEPS5_jNS1_19radix_merge_compareILb0ELb0EjNS0_19identity_decomposerEEEEE10hipError_tT0_T1_T2_jT3_P12ihipStream_tbPNSt15iterator_traitsISK_E10value_typeEPNSQ_ISL_E10value_typeEPSM_NS1_7vsmem_tEENKUlT_SK_SL_SM_E_clISE_PjSF_SF_EESJ_SZ_SK_SL_SM_EUlSZ_E0_NS1_11comp_targetILNS1_3genE10ELNS1_11target_archE1201ELNS1_3gpuE5ELNS1_3repE0EEENS1_38merge_mergepath_config_static_selectorELNS0_4arch9wavefront6targetE1EEEvSL_, .Lfunc_end1002-_ZN7rocprim17ROCPRIM_400000_NS6detail17trampoline_kernelINS0_14default_configENS1_38merge_sort_block_merge_config_selectorIjNS0_10empty_typeEEEZZNS1_27merge_sort_block_merge_implIS3_N6thrust23THRUST_200600_302600_NS6detail15normal_iteratorINS9_10device_ptrIjEEEEPS5_jNS1_19radix_merge_compareILb0ELb0EjNS0_19identity_decomposerEEEEE10hipError_tT0_T1_T2_jT3_P12ihipStream_tbPNSt15iterator_traitsISK_E10value_typeEPNSQ_ISL_E10value_typeEPSM_NS1_7vsmem_tEENKUlT_SK_SL_SM_E_clISE_PjSF_SF_EESJ_SZ_SK_SL_SM_EUlSZ_E0_NS1_11comp_targetILNS1_3genE10ELNS1_11target_archE1201ELNS1_3gpuE5ELNS1_3repE0EEENS1_38merge_mergepath_config_static_selectorELNS0_4arch9wavefront6targetE1EEEvSL_
                                        ; -- End function
	.section	.AMDGPU.csdata,"",@progbits
; Kernel info:
; codeLenInByte = 0
; NumSgprs: 4
; NumVgprs: 0
; NumAgprs: 0
; TotalNumVgprs: 0
; ScratchSize: 0
; MemoryBound: 0
; FloatMode: 240
; IeeeMode: 1
; LDSByteSize: 0 bytes/workgroup (compile time only)
; SGPRBlocks: 0
; VGPRBlocks: 0
; NumSGPRsForWavesPerEU: 4
; NumVGPRsForWavesPerEU: 1
; AccumOffset: 4
; Occupancy: 8
; WaveLimiterHint : 0
; COMPUTE_PGM_RSRC2:SCRATCH_EN: 0
; COMPUTE_PGM_RSRC2:USER_SGPR: 6
; COMPUTE_PGM_RSRC2:TRAP_HANDLER: 0
; COMPUTE_PGM_RSRC2:TGID_X_EN: 1
; COMPUTE_PGM_RSRC2:TGID_Y_EN: 0
; COMPUTE_PGM_RSRC2:TGID_Z_EN: 0
; COMPUTE_PGM_RSRC2:TIDIG_COMP_CNT: 0
; COMPUTE_PGM_RSRC3_GFX90A:ACCUM_OFFSET: 0
; COMPUTE_PGM_RSRC3_GFX90A:TG_SPLIT: 0
	.section	.text._ZN7rocprim17ROCPRIM_400000_NS6detail17trampoline_kernelINS0_14default_configENS1_38merge_sort_block_merge_config_selectorIjNS0_10empty_typeEEEZZNS1_27merge_sort_block_merge_implIS3_N6thrust23THRUST_200600_302600_NS6detail15normal_iteratorINS9_10device_ptrIjEEEEPS5_jNS1_19radix_merge_compareILb0ELb0EjNS0_19identity_decomposerEEEEE10hipError_tT0_T1_T2_jT3_P12ihipStream_tbPNSt15iterator_traitsISK_E10value_typeEPNSQ_ISL_E10value_typeEPSM_NS1_7vsmem_tEENKUlT_SK_SL_SM_E_clISE_PjSF_SF_EESJ_SZ_SK_SL_SM_EUlSZ_E0_NS1_11comp_targetILNS1_3genE5ELNS1_11target_archE942ELNS1_3gpuE9ELNS1_3repE0EEENS1_38merge_mergepath_config_static_selectorELNS0_4arch9wavefront6targetE1EEEvSL_,"axG",@progbits,_ZN7rocprim17ROCPRIM_400000_NS6detail17trampoline_kernelINS0_14default_configENS1_38merge_sort_block_merge_config_selectorIjNS0_10empty_typeEEEZZNS1_27merge_sort_block_merge_implIS3_N6thrust23THRUST_200600_302600_NS6detail15normal_iteratorINS9_10device_ptrIjEEEEPS5_jNS1_19radix_merge_compareILb0ELb0EjNS0_19identity_decomposerEEEEE10hipError_tT0_T1_T2_jT3_P12ihipStream_tbPNSt15iterator_traitsISK_E10value_typeEPNSQ_ISL_E10value_typeEPSM_NS1_7vsmem_tEENKUlT_SK_SL_SM_E_clISE_PjSF_SF_EESJ_SZ_SK_SL_SM_EUlSZ_E0_NS1_11comp_targetILNS1_3genE5ELNS1_11target_archE942ELNS1_3gpuE9ELNS1_3repE0EEENS1_38merge_mergepath_config_static_selectorELNS0_4arch9wavefront6targetE1EEEvSL_,comdat
	.protected	_ZN7rocprim17ROCPRIM_400000_NS6detail17trampoline_kernelINS0_14default_configENS1_38merge_sort_block_merge_config_selectorIjNS0_10empty_typeEEEZZNS1_27merge_sort_block_merge_implIS3_N6thrust23THRUST_200600_302600_NS6detail15normal_iteratorINS9_10device_ptrIjEEEEPS5_jNS1_19radix_merge_compareILb0ELb0EjNS0_19identity_decomposerEEEEE10hipError_tT0_T1_T2_jT3_P12ihipStream_tbPNSt15iterator_traitsISK_E10value_typeEPNSQ_ISL_E10value_typeEPSM_NS1_7vsmem_tEENKUlT_SK_SL_SM_E_clISE_PjSF_SF_EESJ_SZ_SK_SL_SM_EUlSZ_E0_NS1_11comp_targetILNS1_3genE5ELNS1_11target_archE942ELNS1_3gpuE9ELNS1_3repE0EEENS1_38merge_mergepath_config_static_selectorELNS0_4arch9wavefront6targetE1EEEvSL_ ; -- Begin function _ZN7rocprim17ROCPRIM_400000_NS6detail17trampoline_kernelINS0_14default_configENS1_38merge_sort_block_merge_config_selectorIjNS0_10empty_typeEEEZZNS1_27merge_sort_block_merge_implIS3_N6thrust23THRUST_200600_302600_NS6detail15normal_iteratorINS9_10device_ptrIjEEEEPS5_jNS1_19radix_merge_compareILb0ELb0EjNS0_19identity_decomposerEEEEE10hipError_tT0_T1_T2_jT3_P12ihipStream_tbPNSt15iterator_traitsISK_E10value_typeEPNSQ_ISL_E10value_typeEPSM_NS1_7vsmem_tEENKUlT_SK_SL_SM_E_clISE_PjSF_SF_EESJ_SZ_SK_SL_SM_EUlSZ_E0_NS1_11comp_targetILNS1_3genE5ELNS1_11target_archE942ELNS1_3gpuE9ELNS1_3repE0EEENS1_38merge_mergepath_config_static_selectorELNS0_4arch9wavefront6targetE1EEEvSL_
	.globl	_ZN7rocprim17ROCPRIM_400000_NS6detail17trampoline_kernelINS0_14default_configENS1_38merge_sort_block_merge_config_selectorIjNS0_10empty_typeEEEZZNS1_27merge_sort_block_merge_implIS3_N6thrust23THRUST_200600_302600_NS6detail15normal_iteratorINS9_10device_ptrIjEEEEPS5_jNS1_19radix_merge_compareILb0ELb0EjNS0_19identity_decomposerEEEEE10hipError_tT0_T1_T2_jT3_P12ihipStream_tbPNSt15iterator_traitsISK_E10value_typeEPNSQ_ISL_E10value_typeEPSM_NS1_7vsmem_tEENKUlT_SK_SL_SM_E_clISE_PjSF_SF_EESJ_SZ_SK_SL_SM_EUlSZ_E0_NS1_11comp_targetILNS1_3genE5ELNS1_11target_archE942ELNS1_3gpuE9ELNS1_3repE0EEENS1_38merge_mergepath_config_static_selectorELNS0_4arch9wavefront6targetE1EEEvSL_
	.p2align	8
	.type	_ZN7rocprim17ROCPRIM_400000_NS6detail17trampoline_kernelINS0_14default_configENS1_38merge_sort_block_merge_config_selectorIjNS0_10empty_typeEEEZZNS1_27merge_sort_block_merge_implIS3_N6thrust23THRUST_200600_302600_NS6detail15normal_iteratorINS9_10device_ptrIjEEEEPS5_jNS1_19radix_merge_compareILb0ELb0EjNS0_19identity_decomposerEEEEE10hipError_tT0_T1_T2_jT3_P12ihipStream_tbPNSt15iterator_traitsISK_E10value_typeEPNSQ_ISL_E10value_typeEPSM_NS1_7vsmem_tEENKUlT_SK_SL_SM_E_clISE_PjSF_SF_EESJ_SZ_SK_SL_SM_EUlSZ_E0_NS1_11comp_targetILNS1_3genE5ELNS1_11target_archE942ELNS1_3gpuE9ELNS1_3repE0EEENS1_38merge_mergepath_config_static_selectorELNS0_4arch9wavefront6targetE1EEEvSL_,@function
_ZN7rocprim17ROCPRIM_400000_NS6detail17trampoline_kernelINS0_14default_configENS1_38merge_sort_block_merge_config_selectorIjNS0_10empty_typeEEEZZNS1_27merge_sort_block_merge_implIS3_N6thrust23THRUST_200600_302600_NS6detail15normal_iteratorINS9_10device_ptrIjEEEEPS5_jNS1_19radix_merge_compareILb0ELb0EjNS0_19identity_decomposerEEEEE10hipError_tT0_T1_T2_jT3_P12ihipStream_tbPNSt15iterator_traitsISK_E10value_typeEPNSQ_ISL_E10value_typeEPSM_NS1_7vsmem_tEENKUlT_SK_SL_SM_E_clISE_PjSF_SF_EESJ_SZ_SK_SL_SM_EUlSZ_E0_NS1_11comp_targetILNS1_3genE5ELNS1_11target_archE942ELNS1_3gpuE9ELNS1_3repE0EEENS1_38merge_mergepath_config_static_selectorELNS0_4arch9wavefront6targetE1EEEvSL_: ; @_ZN7rocprim17ROCPRIM_400000_NS6detail17trampoline_kernelINS0_14default_configENS1_38merge_sort_block_merge_config_selectorIjNS0_10empty_typeEEEZZNS1_27merge_sort_block_merge_implIS3_N6thrust23THRUST_200600_302600_NS6detail15normal_iteratorINS9_10device_ptrIjEEEEPS5_jNS1_19radix_merge_compareILb0ELb0EjNS0_19identity_decomposerEEEEE10hipError_tT0_T1_T2_jT3_P12ihipStream_tbPNSt15iterator_traitsISK_E10value_typeEPNSQ_ISL_E10value_typeEPSM_NS1_7vsmem_tEENKUlT_SK_SL_SM_E_clISE_PjSF_SF_EESJ_SZ_SK_SL_SM_EUlSZ_E0_NS1_11comp_targetILNS1_3genE5ELNS1_11target_archE942ELNS1_3gpuE9ELNS1_3repE0EEENS1_38merge_mergepath_config_static_selectorELNS0_4arch9wavefront6targetE1EEEvSL_
; %bb.0:
	.section	.rodata,"a",@progbits
	.p2align	6, 0x0
	.amdhsa_kernel _ZN7rocprim17ROCPRIM_400000_NS6detail17trampoline_kernelINS0_14default_configENS1_38merge_sort_block_merge_config_selectorIjNS0_10empty_typeEEEZZNS1_27merge_sort_block_merge_implIS3_N6thrust23THRUST_200600_302600_NS6detail15normal_iteratorINS9_10device_ptrIjEEEEPS5_jNS1_19radix_merge_compareILb0ELb0EjNS0_19identity_decomposerEEEEE10hipError_tT0_T1_T2_jT3_P12ihipStream_tbPNSt15iterator_traitsISK_E10value_typeEPNSQ_ISL_E10value_typeEPSM_NS1_7vsmem_tEENKUlT_SK_SL_SM_E_clISE_PjSF_SF_EESJ_SZ_SK_SL_SM_EUlSZ_E0_NS1_11comp_targetILNS1_3genE5ELNS1_11target_archE942ELNS1_3gpuE9ELNS1_3repE0EEENS1_38merge_mergepath_config_static_selectorELNS0_4arch9wavefront6targetE1EEEvSL_
		.amdhsa_group_segment_fixed_size 0
		.amdhsa_private_segment_fixed_size 0
		.amdhsa_kernarg_size 64
		.amdhsa_user_sgpr_count 6
		.amdhsa_user_sgpr_private_segment_buffer 1
		.amdhsa_user_sgpr_dispatch_ptr 0
		.amdhsa_user_sgpr_queue_ptr 0
		.amdhsa_user_sgpr_kernarg_segment_ptr 1
		.amdhsa_user_sgpr_dispatch_id 0
		.amdhsa_user_sgpr_flat_scratch_init 0
		.amdhsa_user_sgpr_kernarg_preload_length 0
		.amdhsa_user_sgpr_kernarg_preload_offset 0
		.amdhsa_user_sgpr_private_segment_size 0
		.amdhsa_uses_dynamic_stack 0
		.amdhsa_system_sgpr_private_segment_wavefront_offset 0
		.amdhsa_system_sgpr_workgroup_id_x 1
		.amdhsa_system_sgpr_workgroup_id_y 0
		.amdhsa_system_sgpr_workgroup_id_z 0
		.amdhsa_system_sgpr_workgroup_info 0
		.amdhsa_system_vgpr_workitem_id 0
		.amdhsa_next_free_vgpr 1
		.amdhsa_next_free_sgpr 0
		.amdhsa_accum_offset 4
		.amdhsa_reserve_vcc 0
		.amdhsa_reserve_flat_scratch 0
		.amdhsa_float_round_mode_32 0
		.amdhsa_float_round_mode_16_64 0
		.amdhsa_float_denorm_mode_32 3
		.amdhsa_float_denorm_mode_16_64 3
		.amdhsa_dx10_clamp 1
		.amdhsa_ieee_mode 1
		.amdhsa_fp16_overflow 0
		.amdhsa_tg_split 0
		.amdhsa_exception_fp_ieee_invalid_op 0
		.amdhsa_exception_fp_denorm_src 0
		.amdhsa_exception_fp_ieee_div_zero 0
		.amdhsa_exception_fp_ieee_overflow 0
		.amdhsa_exception_fp_ieee_underflow 0
		.amdhsa_exception_fp_ieee_inexact 0
		.amdhsa_exception_int_div_zero 0
	.end_amdhsa_kernel
	.section	.text._ZN7rocprim17ROCPRIM_400000_NS6detail17trampoline_kernelINS0_14default_configENS1_38merge_sort_block_merge_config_selectorIjNS0_10empty_typeEEEZZNS1_27merge_sort_block_merge_implIS3_N6thrust23THRUST_200600_302600_NS6detail15normal_iteratorINS9_10device_ptrIjEEEEPS5_jNS1_19radix_merge_compareILb0ELb0EjNS0_19identity_decomposerEEEEE10hipError_tT0_T1_T2_jT3_P12ihipStream_tbPNSt15iterator_traitsISK_E10value_typeEPNSQ_ISL_E10value_typeEPSM_NS1_7vsmem_tEENKUlT_SK_SL_SM_E_clISE_PjSF_SF_EESJ_SZ_SK_SL_SM_EUlSZ_E0_NS1_11comp_targetILNS1_3genE5ELNS1_11target_archE942ELNS1_3gpuE9ELNS1_3repE0EEENS1_38merge_mergepath_config_static_selectorELNS0_4arch9wavefront6targetE1EEEvSL_,"axG",@progbits,_ZN7rocprim17ROCPRIM_400000_NS6detail17trampoline_kernelINS0_14default_configENS1_38merge_sort_block_merge_config_selectorIjNS0_10empty_typeEEEZZNS1_27merge_sort_block_merge_implIS3_N6thrust23THRUST_200600_302600_NS6detail15normal_iteratorINS9_10device_ptrIjEEEEPS5_jNS1_19radix_merge_compareILb0ELb0EjNS0_19identity_decomposerEEEEE10hipError_tT0_T1_T2_jT3_P12ihipStream_tbPNSt15iterator_traitsISK_E10value_typeEPNSQ_ISL_E10value_typeEPSM_NS1_7vsmem_tEENKUlT_SK_SL_SM_E_clISE_PjSF_SF_EESJ_SZ_SK_SL_SM_EUlSZ_E0_NS1_11comp_targetILNS1_3genE5ELNS1_11target_archE942ELNS1_3gpuE9ELNS1_3repE0EEENS1_38merge_mergepath_config_static_selectorELNS0_4arch9wavefront6targetE1EEEvSL_,comdat
.Lfunc_end1003:
	.size	_ZN7rocprim17ROCPRIM_400000_NS6detail17trampoline_kernelINS0_14default_configENS1_38merge_sort_block_merge_config_selectorIjNS0_10empty_typeEEEZZNS1_27merge_sort_block_merge_implIS3_N6thrust23THRUST_200600_302600_NS6detail15normal_iteratorINS9_10device_ptrIjEEEEPS5_jNS1_19radix_merge_compareILb0ELb0EjNS0_19identity_decomposerEEEEE10hipError_tT0_T1_T2_jT3_P12ihipStream_tbPNSt15iterator_traitsISK_E10value_typeEPNSQ_ISL_E10value_typeEPSM_NS1_7vsmem_tEENKUlT_SK_SL_SM_E_clISE_PjSF_SF_EESJ_SZ_SK_SL_SM_EUlSZ_E0_NS1_11comp_targetILNS1_3genE5ELNS1_11target_archE942ELNS1_3gpuE9ELNS1_3repE0EEENS1_38merge_mergepath_config_static_selectorELNS0_4arch9wavefront6targetE1EEEvSL_, .Lfunc_end1003-_ZN7rocprim17ROCPRIM_400000_NS6detail17trampoline_kernelINS0_14default_configENS1_38merge_sort_block_merge_config_selectorIjNS0_10empty_typeEEEZZNS1_27merge_sort_block_merge_implIS3_N6thrust23THRUST_200600_302600_NS6detail15normal_iteratorINS9_10device_ptrIjEEEEPS5_jNS1_19radix_merge_compareILb0ELb0EjNS0_19identity_decomposerEEEEE10hipError_tT0_T1_T2_jT3_P12ihipStream_tbPNSt15iterator_traitsISK_E10value_typeEPNSQ_ISL_E10value_typeEPSM_NS1_7vsmem_tEENKUlT_SK_SL_SM_E_clISE_PjSF_SF_EESJ_SZ_SK_SL_SM_EUlSZ_E0_NS1_11comp_targetILNS1_3genE5ELNS1_11target_archE942ELNS1_3gpuE9ELNS1_3repE0EEENS1_38merge_mergepath_config_static_selectorELNS0_4arch9wavefront6targetE1EEEvSL_
                                        ; -- End function
	.section	.AMDGPU.csdata,"",@progbits
; Kernel info:
; codeLenInByte = 0
; NumSgprs: 4
; NumVgprs: 0
; NumAgprs: 0
; TotalNumVgprs: 0
; ScratchSize: 0
; MemoryBound: 0
; FloatMode: 240
; IeeeMode: 1
; LDSByteSize: 0 bytes/workgroup (compile time only)
; SGPRBlocks: 0
; VGPRBlocks: 0
; NumSGPRsForWavesPerEU: 4
; NumVGPRsForWavesPerEU: 1
; AccumOffset: 4
; Occupancy: 8
; WaveLimiterHint : 0
; COMPUTE_PGM_RSRC2:SCRATCH_EN: 0
; COMPUTE_PGM_RSRC2:USER_SGPR: 6
; COMPUTE_PGM_RSRC2:TRAP_HANDLER: 0
; COMPUTE_PGM_RSRC2:TGID_X_EN: 1
; COMPUTE_PGM_RSRC2:TGID_Y_EN: 0
; COMPUTE_PGM_RSRC2:TGID_Z_EN: 0
; COMPUTE_PGM_RSRC2:TIDIG_COMP_CNT: 0
; COMPUTE_PGM_RSRC3_GFX90A:ACCUM_OFFSET: 0
; COMPUTE_PGM_RSRC3_GFX90A:TG_SPLIT: 0
	.section	.text._ZN7rocprim17ROCPRIM_400000_NS6detail17trampoline_kernelINS0_14default_configENS1_38merge_sort_block_merge_config_selectorIjNS0_10empty_typeEEEZZNS1_27merge_sort_block_merge_implIS3_N6thrust23THRUST_200600_302600_NS6detail15normal_iteratorINS9_10device_ptrIjEEEEPS5_jNS1_19radix_merge_compareILb0ELb0EjNS0_19identity_decomposerEEEEE10hipError_tT0_T1_T2_jT3_P12ihipStream_tbPNSt15iterator_traitsISK_E10value_typeEPNSQ_ISL_E10value_typeEPSM_NS1_7vsmem_tEENKUlT_SK_SL_SM_E_clISE_PjSF_SF_EESJ_SZ_SK_SL_SM_EUlSZ_E0_NS1_11comp_targetILNS1_3genE4ELNS1_11target_archE910ELNS1_3gpuE8ELNS1_3repE0EEENS1_38merge_mergepath_config_static_selectorELNS0_4arch9wavefront6targetE1EEEvSL_,"axG",@progbits,_ZN7rocprim17ROCPRIM_400000_NS6detail17trampoline_kernelINS0_14default_configENS1_38merge_sort_block_merge_config_selectorIjNS0_10empty_typeEEEZZNS1_27merge_sort_block_merge_implIS3_N6thrust23THRUST_200600_302600_NS6detail15normal_iteratorINS9_10device_ptrIjEEEEPS5_jNS1_19radix_merge_compareILb0ELb0EjNS0_19identity_decomposerEEEEE10hipError_tT0_T1_T2_jT3_P12ihipStream_tbPNSt15iterator_traitsISK_E10value_typeEPNSQ_ISL_E10value_typeEPSM_NS1_7vsmem_tEENKUlT_SK_SL_SM_E_clISE_PjSF_SF_EESJ_SZ_SK_SL_SM_EUlSZ_E0_NS1_11comp_targetILNS1_3genE4ELNS1_11target_archE910ELNS1_3gpuE8ELNS1_3repE0EEENS1_38merge_mergepath_config_static_selectorELNS0_4arch9wavefront6targetE1EEEvSL_,comdat
	.protected	_ZN7rocprim17ROCPRIM_400000_NS6detail17trampoline_kernelINS0_14default_configENS1_38merge_sort_block_merge_config_selectorIjNS0_10empty_typeEEEZZNS1_27merge_sort_block_merge_implIS3_N6thrust23THRUST_200600_302600_NS6detail15normal_iteratorINS9_10device_ptrIjEEEEPS5_jNS1_19radix_merge_compareILb0ELb0EjNS0_19identity_decomposerEEEEE10hipError_tT0_T1_T2_jT3_P12ihipStream_tbPNSt15iterator_traitsISK_E10value_typeEPNSQ_ISL_E10value_typeEPSM_NS1_7vsmem_tEENKUlT_SK_SL_SM_E_clISE_PjSF_SF_EESJ_SZ_SK_SL_SM_EUlSZ_E0_NS1_11comp_targetILNS1_3genE4ELNS1_11target_archE910ELNS1_3gpuE8ELNS1_3repE0EEENS1_38merge_mergepath_config_static_selectorELNS0_4arch9wavefront6targetE1EEEvSL_ ; -- Begin function _ZN7rocprim17ROCPRIM_400000_NS6detail17trampoline_kernelINS0_14default_configENS1_38merge_sort_block_merge_config_selectorIjNS0_10empty_typeEEEZZNS1_27merge_sort_block_merge_implIS3_N6thrust23THRUST_200600_302600_NS6detail15normal_iteratorINS9_10device_ptrIjEEEEPS5_jNS1_19radix_merge_compareILb0ELb0EjNS0_19identity_decomposerEEEEE10hipError_tT0_T1_T2_jT3_P12ihipStream_tbPNSt15iterator_traitsISK_E10value_typeEPNSQ_ISL_E10value_typeEPSM_NS1_7vsmem_tEENKUlT_SK_SL_SM_E_clISE_PjSF_SF_EESJ_SZ_SK_SL_SM_EUlSZ_E0_NS1_11comp_targetILNS1_3genE4ELNS1_11target_archE910ELNS1_3gpuE8ELNS1_3repE0EEENS1_38merge_mergepath_config_static_selectorELNS0_4arch9wavefront6targetE1EEEvSL_
	.globl	_ZN7rocprim17ROCPRIM_400000_NS6detail17trampoline_kernelINS0_14default_configENS1_38merge_sort_block_merge_config_selectorIjNS0_10empty_typeEEEZZNS1_27merge_sort_block_merge_implIS3_N6thrust23THRUST_200600_302600_NS6detail15normal_iteratorINS9_10device_ptrIjEEEEPS5_jNS1_19radix_merge_compareILb0ELb0EjNS0_19identity_decomposerEEEEE10hipError_tT0_T1_T2_jT3_P12ihipStream_tbPNSt15iterator_traitsISK_E10value_typeEPNSQ_ISL_E10value_typeEPSM_NS1_7vsmem_tEENKUlT_SK_SL_SM_E_clISE_PjSF_SF_EESJ_SZ_SK_SL_SM_EUlSZ_E0_NS1_11comp_targetILNS1_3genE4ELNS1_11target_archE910ELNS1_3gpuE8ELNS1_3repE0EEENS1_38merge_mergepath_config_static_selectorELNS0_4arch9wavefront6targetE1EEEvSL_
	.p2align	8
	.type	_ZN7rocprim17ROCPRIM_400000_NS6detail17trampoline_kernelINS0_14default_configENS1_38merge_sort_block_merge_config_selectorIjNS0_10empty_typeEEEZZNS1_27merge_sort_block_merge_implIS3_N6thrust23THRUST_200600_302600_NS6detail15normal_iteratorINS9_10device_ptrIjEEEEPS5_jNS1_19radix_merge_compareILb0ELb0EjNS0_19identity_decomposerEEEEE10hipError_tT0_T1_T2_jT3_P12ihipStream_tbPNSt15iterator_traitsISK_E10value_typeEPNSQ_ISL_E10value_typeEPSM_NS1_7vsmem_tEENKUlT_SK_SL_SM_E_clISE_PjSF_SF_EESJ_SZ_SK_SL_SM_EUlSZ_E0_NS1_11comp_targetILNS1_3genE4ELNS1_11target_archE910ELNS1_3gpuE8ELNS1_3repE0EEENS1_38merge_mergepath_config_static_selectorELNS0_4arch9wavefront6targetE1EEEvSL_,@function
_ZN7rocprim17ROCPRIM_400000_NS6detail17trampoline_kernelINS0_14default_configENS1_38merge_sort_block_merge_config_selectorIjNS0_10empty_typeEEEZZNS1_27merge_sort_block_merge_implIS3_N6thrust23THRUST_200600_302600_NS6detail15normal_iteratorINS9_10device_ptrIjEEEEPS5_jNS1_19radix_merge_compareILb0ELb0EjNS0_19identity_decomposerEEEEE10hipError_tT0_T1_T2_jT3_P12ihipStream_tbPNSt15iterator_traitsISK_E10value_typeEPNSQ_ISL_E10value_typeEPSM_NS1_7vsmem_tEENKUlT_SK_SL_SM_E_clISE_PjSF_SF_EESJ_SZ_SK_SL_SM_EUlSZ_E0_NS1_11comp_targetILNS1_3genE4ELNS1_11target_archE910ELNS1_3gpuE8ELNS1_3repE0EEENS1_38merge_mergepath_config_static_selectorELNS0_4arch9wavefront6targetE1EEEvSL_: ; @_ZN7rocprim17ROCPRIM_400000_NS6detail17trampoline_kernelINS0_14default_configENS1_38merge_sort_block_merge_config_selectorIjNS0_10empty_typeEEEZZNS1_27merge_sort_block_merge_implIS3_N6thrust23THRUST_200600_302600_NS6detail15normal_iteratorINS9_10device_ptrIjEEEEPS5_jNS1_19radix_merge_compareILb0ELb0EjNS0_19identity_decomposerEEEEE10hipError_tT0_T1_T2_jT3_P12ihipStream_tbPNSt15iterator_traitsISK_E10value_typeEPNSQ_ISL_E10value_typeEPSM_NS1_7vsmem_tEENKUlT_SK_SL_SM_E_clISE_PjSF_SF_EESJ_SZ_SK_SL_SM_EUlSZ_E0_NS1_11comp_targetILNS1_3genE4ELNS1_11target_archE910ELNS1_3gpuE8ELNS1_3repE0EEENS1_38merge_mergepath_config_static_selectorELNS0_4arch9wavefront6targetE1EEEvSL_
; %bb.0:
	s_load_dwordx2 s[10:11], s[4:5], 0x40
	s_load_dword s3, s[4:5], 0x30
	s_add_u32 s0, s4, 64
	s_addc_u32 s1, s5, 0
	s_waitcnt lgkmcnt(0)
	s_mul_i32 s2, s11, s8
	s_add_i32 s2, s2, s7
	s_mul_i32 s2, s2, s10
	s_add_i32 s2, s2, s6
	s_cmp_ge_u32 s2, s3
	s_cbranch_scc1 .LBB1004_43
; %bb.1:
	s_load_dwordx2 s[14:15], s[4:5], 0x28
	s_load_dwordx2 s[8:9], s[4:5], 0x38
	;; [unrolled: 1-line block ×3, first 2 shown]
	s_mov_b32 s3, 0
	v_mov_b32_e32 v9, 0
	s_waitcnt lgkmcnt(0)
	s_lshr_b32 s22, s14, 10
	s_cmp_lg_u32 s2, s22
	s_cselect_b64 s[18:19], -1, 0
	s_lshl_b64 s[16:17], s[2:3], 2
	s_add_u32 s8, s8, s16
	s_addc_u32 s9, s9, s17
	s_lshr_b32 s7, s15, 9
	s_and_b32 s7, s7, 0x7ffffe
	s_load_dwordx2 s[8:9], s[8:9], 0x0
	s_sub_i32 s7, 0, s7
	s_and_b32 s11, s2, s7
	s_lshl_b32 s17, s11, 10
	s_lshl_b32 s16, s2, 10
	;; [unrolled: 1-line block ×3, first 2 shown]
	s_sub_i32 s20, s16, s17
	s_add_i32 s11, s11, s15
	s_add_i32 s21, s11, s20
	s_waitcnt lgkmcnt(0)
	s_sub_i32 s20, s21, s8
	s_sub_i32 s21, s21, s9
	;; [unrolled: 1-line block ×3, first 2 shown]
	s_min_u32 s20, s14, s20
	s_addk_i32 s21, 0x400
	s_or_b32 s7, s2, s7
	s_min_u32 s17, s14, s11
	s_add_i32 s11, s11, s15
	s_cmp_eq_u32 s7, -1
	s_cselect_b32 s7, s11, s21
	s_cselect_b32 s9, s17, s9
	s_min_u32 s7, s7, s14
	s_sub_i32 s15, s9, s8
	s_mov_b32 s9, s3
	s_sub_i32 s7, s7, s20
	s_lshl_b64 s[8:9], s[8:9], 2
	s_add_u32 s8, s12, s8
	s_mov_b32 s21, s3
	s_addc_u32 s9, s13, s9
	s_lshl_b64 s[20:21], s[20:21], 2
	s_add_u32 s11, s12, s20
	s_addc_u32 s12, s13, s21
	s_cmp_lt_u32 s6, s10
	s_cselect_b32 s3, 12, 18
	global_load_dword v1, v9, s[0:1] offset:14
	s_add_u32 s0, s0, s3
	s_addc_u32 s1, s1, 0
	global_load_ushort v2, v9, s[0:1]
	s_cmp_eq_u32 s2, s22
	s_waitcnt vmcnt(1)
	v_lshrrev_b32_e32 v3, 16, v1
	v_and_b32_e32 v1, 0xffff, v1
	v_mul_lo_u32 v1, v1, v3
	s_waitcnt vmcnt(0)
	v_mul_lo_u32 v15, v1, v2
	v_add_u32_e32 v12, v15, v0
	v_lshlrev_b32_e32 v1, 2, v0
	v_add_u32_e32 v10, v12, v15
	s_cbranch_scc1 .LBB1004_3
; %bb.2:
	v_subrev_u32_e32 v8, s15, v0
	v_lshlrev_b64 v[2:3], 2, v[8:9]
	v_mov_b32_e32 v4, s12
	v_add_co_u32_e32 v2, vcc, s11, v2
	v_addc_co_u32_e32 v3, vcc, v4, v3, vcc
	v_mov_b32_e32 v4, s9
	v_add_co_u32_e32 v5, vcc, s8, v1
	v_addc_co_u32_e32 v4, vcc, 0, v4, vcc
	v_cmp_gt_u32_e32 vcc, s15, v0
	v_subrev_u32_e32 v8, s15, v12
	v_cndmask_b32_e32 v3, v3, v4, vcc
	v_cndmask_b32_e32 v2, v2, v5, vcc
	v_lshlrev_b64 v[4:5], 2, v[8:9]
	global_load_dword v2, v[2:3], off
	v_mov_b32_e32 v3, s12
	v_add_co_u32_e32 v6, vcc, s11, v4
	v_mov_b32_e32 v13, v9
	v_addc_co_u32_e32 v3, vcc, v3, v5, vcc
	v_lshlrev_b64 v[4:5], 2, v[12:13]
	v_mov_b32_e32 v7, s9
	v_add_co_u32_e32 v4, vcc, s8, v4
	v_addc_co_u32_e32 v5, vcc, v7, v5, vcc
	v_cmp_gt_u32_e32 vcc, s15, v12
	v_cndmask_b32_e32 v5, v3, v5, vcc
	v_cndmask_b32_e32 v4, v6, v4, vcc
	v_subrev_u32_e32 v8, s15, v10
	global_load_dword v3, v[4:5], off
	v_lshlrev_b64 v[4:5], 2, v[8:9]
	v_mov_b32_e32 v6, s12
	v_add_co_u32_e32 v7, vcc, s11, v4
	v_mov_b32_e32 v11, v9
	v_addc_co_u32_e32 v6, vcc, v6, v5, vcc
	v_lshlrev_b64 v[4:5], 2, v[10:11]
	v_mov_b32_e32 v8, s9
	v_add_co_u32_e32 v4, vcc, s8, v4
	v_addc_co_u32_e32 v5, vcc, v8, v5, vcc
	v_cmp_gt_u32_e32 vcc, s15, v10
	v_cndmask_b32_e32 v5, v6, v5, vcc
	v_add_u32_e32 v6, v10, v15
	v_subrev_u32_e32 v8, s15, v6
	v_cndmask_b32_e32 v4, v7, v4, vcc
	v_lshlrev_b64 v[16:17], 2, v[8:9]
	global_load_dword v4, v[4:5], off
	v_mov_b32_e32 v5, s12
	v_add_co_u32_e32 v8, vcc, s11, v16
	v_mov_b32_e32 v7, v9
	v_addc_co_u32_e32 v5, vcc, v5, v17, vcc
	v_lshlrev_b64 v[16:17], 2, v[6:7]
	v_mov_b32_e32 v7, s9
	v_add_co_u32_e32 v11, vcc, s8, v16
	v_addc_co_u32_e32 v7, vcc, v7, v17, vcc
	v_cmp_gt_u32_e32 vcc, s15, v6
	v_cndmask_b32_e32 v17, v5, v7, vcc
	v_cndmask_b32_e32 v16, v8, v11, vcc
	global_load_dword v5, v[16:17], off
	v_add_u32_e32 v16, v6, v15
	v_subrev_u32_e32 v8, s15, v16
	v_lshlrev_b64 v[6:7], 2, v[8:9]
	v_mov_b32_e32 v8, s12
	v_add_co_u32_e32 v11, vcc, s11, v6
	v_mov_b32_e32 v17, v9
	v_addc_co_u32_e32 v8, vcc, v8, v7, vcc
	v_lshlrev_b64 v[6:7], 2, v[16:17]
	v_mov_b32_e32 v13, s9
	v_add_co_u32_e32 v6, vcc, s8, v6
	v_addc_co_u32_e32 v7, vcc, v13, v7, vcc
	v_cmp_gt_u32_e32 vcc, s15, v16
	v_add_u32_e32 v16, v16, v15
	v_cndmask_b32_e32 v7, v8, v7, vcc
	v_subrev_u32_e32 v8, s15, v16
	v_cndmask_b32_e32 v6, v11, v6, vcc
	v_lshlrev_b64 v[18:19], 2, v[8:9]
	global_load_dword v6, v[6:7], off
	v_mov_b32_e32 v7, s12
	v_add_co_u32_e32 v8, vcc, s11, v18
	v_addc_co_u32_e32 v7, vcc, v7, v19, vcc
	v_lshlrev_b64 v[18:19], 2, v[16:17]
	v_mov_b32_e32 v11, s9
	v_add_co_u32_e32 v13, vcc, s8, v18
	v_addc_co_u32_e32 v11, vcc, v11, v19, vcc
	v_cmp_gt_u32_e32 vcc, s15, v16
	v_add_u32_e32 v16, v16, v15
	v_cndmask_b32_e32 v19, v7, v11, vcc
	v_cndmask_b32_e32 v18, v8, v13, vcc
	v_subrev_u32_e32 v8, s15, v16
	global_load_dword v7, v[18:19], off
	v_lshlrev_b64 v[18:19], 2, v[8:9]
	v_mov_b32_e32 v8, s12
	v_add_co_u32_e32 v11, vcc, s11, v18
	v_addc_co_u32_e32 v13, vcc, v8, v19, vcc
	v_lshlrev_b64 v[8:9], 2, v[16:17]
	v_mov_b32_e32 v14, s9
	v_add_co_u32_e32 v8, vcc, s8, v8
	v_addc_co_u32_e32 v9, vcc, v14, v9, vcc
	v_cmp_gt_u32_e32 vcc, s15, v16
	v_cndmask_b32_e32 v9, v13, v9, vcc
	v_cndmask_b32_e32 v8, v11, v8, vcc
	global_load_dword v8, v[8:9], off
	v_add_u32_e32 v14, v16, v15
	s_add_i32 s6, s7, s15
	s_mov_b64 s[0:1], -1
	s_cbranch_execz .LBB1004_4
	s_branch .LBB1004_17
.LBB1004_3:
	s_mov_b64 s[0:1], 0
                                        ; implicit-def: $vgpr14
                                        ; implicit-def: $vgpr2_vgpr3_vgpr4_vgpr5_vgpr6_vgpr7_vgpr8_vgpr9
                                        ; implicit-def: $sgpr6
.LBB1004_4:
	s_add_i32 s6, s7, s15
	v_cmp_gt_u32_e32 vcc, s6, v0
                                        ; implicit-def: $vgpr2_vgpr3_vgpr4_vgpr5_vgpr6_vgpr7_vgpr8_vgpr9
	s_and_saveexec_b64 s[0:1], vcc
	s_cbranch_execnz .LBB1004_44
; %bb.5:
	s_or_b64 exec, exec, s[0:1]
	v_cmp_gt_u32_e32 vcc, s6, v12
	s_and_saveexec_b64 s[2:3], vcc
	s_cbranch_execnz .LBB1004_45
.LBB1004_6:
	s_or_b64 exec, exec, s[2:3]
	v_cmp_gt_u32_e32 vcc, s6, v10
	s_and_saveexec_b64 s[0:1], vcc
	s_cbranch_execz .LBB1004_8
.LBB1004_7:
	v_mov_b32_e32 v11, 0
	v_lshlrev_b64 v[12:13], 2, v[10:11]
	s_waitcnt vmcnt(4)
	v_mov_b32_e32 v4, s9
	v_add_co_u32_e32 v14, vcc, s8, v12
	v_addc_co_u32_e32 v4, vcc, v4, v13, vcc
	v_subrev_u32_e32 v12, s15, v10
	v_mov_b32_e32 v13, v11
	v_lshlrev_b64 v[12:13], 2, v[12:13]
	v_mov_b32_e32 v11, s12
	v_add_co_u32_e32 v12, vcc, s11, v12
	v_addc_co_u32_e32 v11, vcc, v11, v13, vcc
	v_cmp_gt_u32_e32 vcc, s15, v10
	v_cndmask_b32_e32 v13, v11, v4, vcc
	v_cndmask_b32_e32 v12, v12, v14, vcc
	global_load_dword v4, v[12:13], off
.LBB1004_8:
	s_or_b64 exec, exec, s[0:1]
	v_add_u32_e32 v10, v10, v15
	v_cmp_gt_u32_e32 vcc, s6, v10
	s_and_saveexec_b64 s[0:1], vcc
	s_cbranch_execz .LBB1004_10
; %bb.9:
	v_mov_b32_e32 v11, 0
	v_lshlrev_b64 v[12:13], 2, v[10:11]
	s_waitcnt vmcnt(3)
	v_mov_b32_e32 v5, s9
	v_add_co_u32_e32 v14, vcc, s8, v12
	v_addc_co_u32_e32 v5, vcc, v5, v13, vcc
	v_subrev_u32_e32 v12, s15, v10
	v_mov_b32_e32 v13, v11
	v_lshlrev_b64 v[12:13], 2, v[12:13]
	v_mov_b32_e32 v11, s12
	v_add_co_u32_e32 v12, vcc, s11, v12
	v_addc_co_u32_e32 v11, vcc, v11, v13, vcc
	v_cmp_gt_u32_e32 vcc, s15, v10
	v_cndmask_b32_e32 v13, v11, v5, vcc
	v_cndmask_b32_e32 v12, v12, v14, vcc
	global_load_dword v5, v[12:13], off
.LBB1004_10:
	s_or_b64 exec, exec, s[0:1]
	v_add_u32_e32 v10, v10, v15
	v_cmp_gt_u32_e32 vcc, s6, v10
	s_and_saveexec_b64 s[0:1], vcc
	s_cbranch_execz .LBB1004_12
; %bb.11:
	v_mov_b32_e32 v11, 0
	v_lshlrev_b64 v[12:13], 2, v[10:11]
	s_waitcnt vmcnt(2)
	v_mov_b32_e32 v6, s9
	v_add_co_u32_e32 v14, vcc, s8, v12
	v_addc_co_u32_e32 v6, vcc, v6, v13, vcc
	v_subrev_u32_e32 v12, s15, v10
	v_mov_b32_e32 v13, v11
	v_lshlrev_b64 v[12:13], 2, v[12:13]
	v_mov_b32_e32 v11, s12
	v_add_co_u32_e32 v12, vcc, s11, v12
	v_addc_co_u32_e32 v11, vcc, v11, v13, vcc
	v_cmp_gt_u32_e32 vcc, s15, v10
	v_cndmask_b32_e32 v13, v11, v6, vcc
	v_cndmask_b32_e32 v12, v12, v14, vcc
	global_load_dword v6, v[12:13], off
.LBB1004_12:
	;; [unrolled: 23-line block ×4, first 2 shown]
	s_or_b64 exec, exec, s[0:1]
	v_add_u32_e32 v14, v10, v15
	v_cmp_gt_u32_e64 s[0:1], s6, v14
.LBB1004_17:
	v_mov_b32_e32 v11, s6
	s_and_saveexec_b64 s[2:3], s[0:1]
	s_cbranch_execz .LBB1004_19
; %bb.18:
	v_subrev_u32_e32 v10, s15, v14
	v_mov_b32_e32 v11, 0
	v_lshlrev_b64 v[12:13], 2, v[10:11]
	v_mov_b32_e32 v9, s12
	v_add_co_u32_e32 v12, vcc, s11, v12
	v_mov_b32_e32 v15, v11
	v_addc_co_u32_e32 v9, vcc, v9, v13, vcc
	v_lshlrev_b64 v[10:11], 2, v[14:15]
	v_mov_b32_e32 v13, s9
	v_add_co_u32_e32 v10, vcc, s8, v10
	v_addc_co_u32_e32 v11, vcc, v13, v11, vcc
	v_cmp_gt_u32_e32 vcc, s15, v14
	v_cndmask_b32_e32 v11, v9, v11, vcc
	v_cndmask_b32_e32 v10, v12, v10, vcc
	global_load_dword v9, v[10:11], off
	v_mov_b32_e32 v11, s6
.LBB1004_19:
	s_or_b64 exec, exec, s[2:3]
	s_load_dwordx2 s[20:21], s[4:5], 0x10
	v_lshlrev_b32_e32 v10, 3, v0
	v_min_u32_e32 v13, v11, v10
	v_sub_u32_e64 v12, v13, s7 clamp
	v_min_u32_e32 v14, s15, v13
	v_cmp_lt_u32_e32 vcc, v12, v14
	s_waitcnt vmcnt(0)
	ds_write2st64_b32 v1, v2, v3 offset1:2
	ds_write2st64_b32 v1, v4, v5 offset0:4 offset1:6
	ds_write2st64_b32 v1, v6, v7 offset0:8 offset1:10
	ds_write2st64_b32 v1, v8, v9 offset0:12 offset1:14
	s_waitcnt lgkmcnt(0)
	s_barrier
	s_and_saveexec_b64 s[0:1], vcc
	s_cbranch_execz .LBB1004_23
; %bb.20:
	v_lshlrev_b32_e32 v15, 2, v13
	v_lshl_add_u32 v15, s15, 2, v15
	s_mov_b64 s[2:3], 0
.LBB1004_21:                            ; =>This Inner Loop Header: Depth=1
	v_add_u32_e32 v16, v14, v12
	v_lshrrev_b32_e32 v16, 1, v16
	v_not_b32_e32 v17, v16
	v_lshlrev_b32_e32 v18, 2, v16
	v_lshl_add_u32 v17, v17, 2, v15
	ds_read_b32 v18, v18
	ds_read_b32 v17, v17
	v_add_u32_e32 v19, 1, v16
	s_waitcnt lgkmcnt(0)
	v_cmp_gt_u32_e32 vcc, v18, v17
	v_cndmask_b32_e32 v14, v14, v16, vcc
	v_cndmask_b32_e32 v12, v19, v12, vcc
	v_cmp_ge_u32_e32 vcc, v12, v14
	s_or_b64 s[2:3], vcc, s[2:3]
	s_andn2_b64 exec, exec, s[2:3]
	s_cbranch_execnz .LBB1004_21
; %bb.22:
	s_or_b64 exec, exec, s[2:3]
.LBB1004_23:
	s_or_b64 exec, exec, s[0:1]
	v_sub_u32_e32 v13, v13, v12
	v_add_u32_e32 v13, s15, v13
	v_cmp_ge_u32_e32 vcc, s15, v12
	v_cmp_le_u32_e64 s[0:1], v13, v11
	s_or_b64 s[0:1], vcc, s[0:1]
	s_and_saveexec_b64 s[22:23], s[0:1]
	s_cbranch_execz .LBB1004_29
; %bb.24:
	v_cmp_gt_u32_e32 vcc, s15, v12
                                        ; implicit-def: $vgpr2
	s_and_saveexec_b64 s[0:1], vcc
	s_cbranch_execz .LBB1004_26
; %bb.25:
	v_lshlrev_b32_e32 v2, 2, v12
	ds_read_b32 v2, v2
.LBB1004_26:
	s_or_b64 exec, exec, s[0:1]
	v_cmp_ge_u32_e64 s[0:1], v13, v11
	v_cmp_lt_u32_e64 s[2:3], v13, v11
                                        ; implicit-def: $vgpr3
	s_and_saveexec_b64 s[4:5], s[2:3]
	s_cbranch_execz .LBB1004_28
; %bb.27:
	v_lshlrev_b32_e32 v3, 2, v13
	ds_read_b32 v3, v3
.LBB1004_28:
	s_or_b64 exec, exec, s[4:5]
	s_waitcnt lgkmcnt(0)
	v_cmp_le_u32_e64 s[2:3], v2, v3
	s_and_b64 s[2:3], vcc, s[2:3]
	s_or_b64 vcc, s[0:1], s[2:3]
	v_mov_b32_e32 v5, s15
	v_cndmask_b32_e32 v4, v13, v12, vcc
	v_cndmask_b32_e32 v6, v11, v5, vcc
	v_add_u32_e32 v4, 1, v4
	v_add_u32_e32 v6, -1, v6
	v_min_u32_e32 v6, v4, v6
	v_lshlrev_b32_e32 v6, 2, v6
	ds_read_b32 v6, v6
	v_cndmask_b32_e32 v8, v4, v13, vcc
	v_cndmask_b32_e32 v4, v12, v4, vcc
	v_cmp_gt_u32_e64 s[2:3], s15, v4
	v_cmp_ge_u32_e64 s[0:1], v8, v11
	s_waitcnt lgkmcnt(0)
	v_cndmask_b32_e32 v7, v6, v3, vcc
	v_cndmask_b32_e32 v6, v2, v6, vcc
	v_cmp_le_u32_e64 s[4:5], v6, v7
	s_and_b64 s[2:3], s[2:3], s[4:5]
	s_or_b64 s[0:1], s[0:1], s[2:3]
	v_cndmask_b32_e64 v9, v8, v4, s[0:1]
	v_cndmask_b32_e64 v12, v11, v5, s[0:1]
	v_add_u32_e32 v9, 1, v9
	v_add_u32_e32 v12, -1, v12
	v_min_u32_e32 v12, v9, v12
	v_lshlrev_b32_e32 v12, 2, v12
	ds_read_b32 v12, v12
	v_cndmask_b32_e64 v4, v4, v9, s[0:1]
	v_cndmask_b32_e64 v8, v9, v8, s[0:1]
	v_cmp_gt_u32_e64 s[4:5], s15, v4
	v_cmp_ge_u32_e64 s[2:3], v8, v11
	s_waitcnt lgkmcnt(0)
	v_cndmask_b32_e64 v13, v12, v7, s[0:1]
	v_cndmask_b32_e64 v12, v6, v12, s[0:1]
	v_cmp_le_u32_e64 s[6:7], v12, v13
	s_and_b64 s[4:5], s[4:5], s[6:7]
	s_or_b64 s[2:3], s[2:3], s[4:5]
	v_cndmask_b32_e64 v9, v8, v4, s[2:3]
	v_cndmask_b32_e64 v14, v11, v5, s[2:3]
	v_add_u32_e32 v9, 1, v9
	v_add_u32_e32 v14, -1, v14
	v_min_u32_e32 v14, v9, v14
	v_lshlrev_b32_e32 v14, 2, v14
	ds_read_b32 v14, v14
	v_cndmask_b32_e64 v4, v4, v9, s[2:3]
	v_cndmask_b32_e64 v8, v9, v8, s[2:3]
	v_cmp_gt_u32_e64 s[6:7], s15, v4
	v_cmp_ge_u32_e64 s[4:5], v8, v11
	s_waitcnt lgkmcnt(0)
	v_cndmask_b32_e64 v15, v14, v13, s[2:3]
	v_cndmask_b32_e64 v14, v12, v14, s[2:3]
	;; [unrolled: 17-line block ×4, first 2 shown]
	v_cmp_le_u32_e64 s[12:13], v18, v19
	s_and_b64 s[10:11], s[10:11], s[12:13]
	s_or_b64 s[8:9], s[8:9], s[10:11]
	v_cndmask_b32_e64 v4, v8, v9, s[8:9]
	v_cndmask_b32_e64 v20, v11, v5, s[8:9]
	v_add_u32_e32 v21, 1, v4
	v_add_u32_e32 v4, -1, v20
	v_min_u32_e32 v4, v21, v4
	v_lshlrev_b32_e32 v4, 2, v4
	ds_read_b32 v20, v4
	v_cndmask_b32_e64 v4, v13, v12, s[2:3]
	v_cndmask_b32_e64 v9, v9, v21, s[8:9]
	v_cndmask_b32_e32 v2, v3, v2, vcc
	v_cndmask_b32_e64 v3, v7, v6, s[0:1]
	s_waitcnt lgkmcnt(0)
	v_cndmask_b32_e64 v12, v20, v19, s[8:9]
	v_cndmask_b32_e64 v13, v18, v20, s[8:9]
	;; [unrolled: 1-line block ×3, first 2 shown]
	v_cmp_gt_u32_e64 s[0:1], s15, v9
	v_cmp_le_u32_e64 s[2:3], v13, v12
	v_cmp_ge_u32_e32 vcc, v20, v11
	s_and_b64 s[0:1], s[0:1], s[2:3]
	s_or_b64 vcc, vcc, s[0:1]
	v_cndmask_b32_e32 v6, v20, v9, vcc
	v_cndmask_b32_e32 v5, v11, v5, vcc
	v_add_u32_e32 v21, 1, v6
	v_add_u32_e32 v5, -1, v5
	v_min_u32_e32 v5, v21, v5
	v_lshlrev_b32_e32 v5, 2, v5
	ds_read_b32 v22, v5
	v_cndmask_b32_e32 v8, v12, v13, vcc
	v_cndmask_b32_e32 v9, v9, v21, vcc
	v_cndmask_b32_e64 v5, v15, v14, s[4:5]
	v_cndmask_b32_e32 v14, v21, v20, vcc
	s_waitcnt lgkmcnt(0)
	v_cndmask_b32_e32 v12, v22, v12, vcc
	v_cndmask_b32_e32 v13, v13, v22, vcc
	v_cmp_gt_u32_e64 s[0:1], s15, v9
	v_cmp_le_u32_e64 s[2:3], v13, v12
	v_cmp_ge_u32_e32 vcc, v14, v11
	s_and_b64 s[0:1], s[0:1], s[2:3]
	s_or_b64 vcc, vcc, s[0:1]
	v_cndmask_b32_e64 v6, v17, v16, s[6:7]
	v_cndmask_b32_e64 v7, v19, v18, s[8:9]
	v_cndmask_b32_e32 v9, v12, v13, vcc
.LBB1004_29:
	s_or_b64 exec, exec, s[22:23]
	v_and_b32_e32 v11, 0x7c, v0
	v_lshl_add_u32 v10, v10, 2, v11
	s_barrier
	s_barrier
	ds_write2_b32 v10, v2, v3 offset1:1
	ds_write2_b32 v10, v4, v5 offset0:2 offset1:3
	ds_write2_b32 v10, v6, v7 offset0:4 offset1:5
	;; [unrolled: 1-line block ×3, first 2 shown]
	v_lshrrev_b32_e32 v2, 3, v0
	v_and_b32_e32 v2, 12, v2
	v_or_b32_e32 v10, 0x80, v0
	v_add_u32_e32 v11, v1, v2
	v_lshrrev_b32_e32 v2, 3, v10
	v_and_b32_e32 v2, 28, v2
	v_or_b32_e32 v9, 0x100, v0
	v_add_u32_e32 v12, v1, v2
	;; [unrolled: 4-line block ×5, first 2 shown]
	v_lshrrev_b32_e32 v2, 3, v6
	v_and_b32_e32 v2, 0x5c, v2
	v_or_b32_e32 v5, 0x300, v0
	s_mov_b32 s17, 0
	v_add_u32_e32 v16, v1, v2
	v_lshrrev_b32_e32 v2, 3, v5
	s_lshl_b64 s[0:1], s[16:17], 2
	v_and_b32_e32 v2, 0x6c, v2
	v_or_b32_e32 v4, 0x380, v0
	s_add_u32 s0, s20, s0
	v_add_u32_e32 v17, v1, v2
	v_lshrrev_b32_e32 v2, 3, v4
	s_addc_u32 s1, s21, s1
	v_and_b32_e32 v2, 0x7c, v2
	v_add_u32_e32 v18, v1, v2
	v_mov_b32_e32 v3, s1
	v_add_co_u32_e32 v2, vcc, s0, v1
	v_addc_co_u32_e32 v3, vcc, 0, v3, vcc
	s_and_b64 vcc, exec, s[18:19]
	s_waitcnt lgkmcnt(0)
	s_cbranch_vccz .LBB1004_31
; %bb.30:
	s_barrier
	ds_read_b32 v19, v11
	ds_read_b32 v20, v12 offset:512
	ds_read_b32 v21, v13 offset:1024
	ds_read_b32 v22, v14 offset:1536
	ds_read_b32 v23, v15 offset:2048
	ds_read_b32 v24, v16 offset:2560
	ds_read_b32 v25, v17 offset:3072
	ds_read_b32 v1, v18 offset:3584
	s_waitcnt lgkmcnt(7)
	global_store_dword v[2:3], v19, off
	s_waitcnt lgkmcnt(6)
	global_store_dword v[2:3], v20, off offset:512
	s_waitcnt lgkmcnt(5)
	global_store_dword v[2:3], v21, off offset:1024
	;; [unrolled: 2-line block ×6, first 2 shown]
	s_mov_b64 s[0:1], -1
	s_cbranch_execz .LBB1004_32
	s_branch .LBB1004_41
.LBB1004_31:
	s_mov_b64 s[0:1], 0
                                        ; implicit-def: $vgpr1
.LBB1004_32:
	s_barrier
	s_waitcnt lgkmcnt(0)
	ds_read_b32 v21, v12 offset:512
	ds_read_b32 v20, v13 offset:1024
	;; [unrolled: 1-line block ×7, first 2 shown]
	s_sub_i32 s2, s14, s16
	v_cmp_gt_u32_e32 vcc, s2, v0
	s_and_saveexec_b64 s[0:1], vcc
	s_cbranch_execnz .LBB1004_46
; %bb.33:
	s_or_b64 exec, exec, s[0:1]
	v_cmp_gt_u32_e32 vcc, s2, v10
	s_and_saveexec_b64 s[0:1], vcc
	s_cbranch_execnz .LBB1004_47
.LBB1004_34:
	s_or_b64 exec, exec, s[0:1]
	v_cmp_gt_u32_e32 vcc, s2, v9
	s_and_saveexec_b64 s[0:1], vcc
	s_cbranch_execnz .LBB1004_48
.LBB1004_35:
	s_or_b64 exec, exec, s[0:1]
	v_cmp_gt_u32_e32 vcc, s2, v8
	s_and_saveexec_b64 s[0:1], vcc
	s_cbranch_execnz .LBB1004_49
.LBB1004_36:
	s_or_b64 exec, exec, s[0:1]
	v_cmp_gt_u32_e32 vcc, s2, v7
	s_and_saveexec_b64 s[0:1], vcc
	s_cbranch_execnz .LBB1004_50
.LBB1004_37:
	s_or_b64 exec, exec, s[0:1]
	v_cmp_gt_u32_e32 vcc, s2, v6
	s_and_saveexec_b64 s[0:1], vcc
	s_cbranch_execnz .LBB1004_51
.LBB1004_38:
	s_or_b64 exec, exec, s[0:1]
	v_cmp_gt_u32_e32 vcc, s2, v5
	s_and_saveexec_b64 s[0:1], vcc
	s_cbranch_execz .LBB1004_40
.LBB1004_39:
	s_waitcnt lgkmcnt(1)
	global_store_dword v[2:3], v12, off offset:3072
.LBB1004_40:
	s_or_b64 exec, exec, s[0:1]
	v_cmp_gt_u32_e64 s[0:1], s2, v4
.LBB1004_41:
	s_and_saveexec_b64 s[2:3], s[0:1]
	s_cbranch_execz .LBB1004_43
; %bb.42:
	s_waitcnt lgkmcnt(0)
	global_store_dword v[2:3], v1, off offset:3584
.LBB1004_43:
	s_endpgm
.LBB1004_44:
	s_waitcnt vmcnt(6)
	v_mov_b32_e32 v2, s9
	s_waitcnt vmcnt(4)
	v_add_co_u32_e32 v4, vcc, s8, v1
	v_mov_b32_e32 v3, 0
	s_waitcnt vmcnt(3)
	v_addc_co_u32_e32 v5, vcc, 0, v2, vcc
	v_subrev_u32_e32 v2, s15, v0
	v_lshlrev_b64 v[2:3], 2, v[2:3]
	s_waitcnt vmcnt(2)
	v_mov_b32_e32 v6, s12
	v_add_co_u32_e32 v2, vcc, s11, v2
	v_addc_co_u32_e32 v3, vcc, v6, v3, vcc
	v_cmp_gt_u32_e32 vcc, s15, v0
	v_cndmask_b32_e32 v3, v3, v5, vcc
	v_cndmask_b32_e32 v2, v2, v4, vcc
	global_load_dword v2, v[2:3], off
	s_or_b64 exec, exec, s[0:1]
	v_cmp_gt_u32_e32 vcc, s6, v12
	s_and_saveexec_b64 s[2:3], vcc
	s_cbranch_execz .LBB1004_6
.LBB1004_45:
	v_mov_b32_e32 v13, 0
	v_lshlrev_b64 v[16:17], 2, v[12:13]
	s_waitcnt vmcnt(5)
	v_mov_b32_e32 v3, s9
	v_add_co_u32_e32 v11, vcc, s8, v16
	v_addc_co_u32_e32 v3, vcc, v3, v17, vcc
	v_cmp_gt_u32_e32 vcc, s15, v12
	v_subrev_u32_e32 v12, s15, v12
	v_lshlrev_b64 v[12:13], 2, v[12:13]
	v_mov_b32_e32 v14, s12
	v_add_co_u32_e64 v12, s[0:1], s11, v12
	v_addc_co_u32_e64 v13, s[0:1], v14, v13, s[0:1]
	v_cndmask_b32_e32 v13, v13, v3, vcc
	v_cndmask_b32_e32 v12, v12, v11, vcc
	global_load_dword v3, v[12:13], off
	s_or_b64 exec, exec, s[2:3]
	v_cmp_gt_u32_e32 vcc, s6, v10
	s_and_saveexec_b64 s[0:1], vcc
	s_cbranch_execnz .LBB1004_7
	s_branch .LBB1004_8
.LBB1004_46:
	ds_read_b32 v0, v11
	s_waitcnt lgkmcnt(0)
	global_store_dword v[2:3], v0, off
	s_or_b64 exec, exec, s[0:1]
	v_cmp_gt_u32_e32 vcc, s2, v10
	s_and_saveexec_b64 s[0:1], vcc
	s_cbranch_execz .LBB1004_34
.LBB1004_47:
	s_waitcnt lgkmcnt(6)
	global_store_dword v[2:3], v21, off offset:512
	s_or_b64 exec, exec, s[0:1]
	v_cmp_gt_u32_e32 vcc, s2, v9
	s_and_saveexec_b64 s[0:1], vcc
	s_cbranch_execz .LBB1004_35
.LBB1004_48:
	s_waitcnt lgkmcnt(5)
	global_store_dword v[2:3], v20, off offset:1024
	s_or_b64 exec, exec, s[0:1]
	v_cmp_gt_u32_e32 vcc, s2, v8
	s_and_saveexec_b64 s[0:1], vcc
	s_cbranch_execz .LBB1004_36
.LBB1004_49:
	s_waitcnt lgkmcnt(4)
	global_store_dword v[2:3], v19, off offset:1536
	s_or_b64 exec, exec, s[0:1]
	v_cmp_gt_u32_e32 vcc, s2, v7
	s_and_saveexec_b64 s[0:1], vcc
	s_cbranch_execz .LBB1004_37
.LBB1004_50:
	s_waitcnt lgkmcnt(3)
	global_store_dword v[2:3], v14, off offset:2048
	s_or_b64 exec, exec, s[0:1]
	v_cmp_gt_u32_e32 vcc, s2, v6
	s_and_saveexec_b64 s[0:1], vcc
	s_cbranch_execz .LBB1004_38
.LBB1004_51:
	s_waitcnt lgkmcnt(2)
	global_store_dword v[2:3], v13, off offset:2560
	s_or_b64 exec, exec, s[0:1]
	v_cmp_gt_u32_e32 vcc, s2, v5
	s_and_saveexec_b64 s[0:1], vcc
	s_cbranch_execnz .LBB1004_39
	s_branch .LBB1004_40
	.section	.rodata,"a",@progbits
	.p2align	6, 0x0
	.amdhsa_kernel _ZN7rocprim17ROCPRIM_400000_NS6detail17trampoline_kernelINS0_14default_configENS1_38merge_sort_block_merge_config_selectorIjNS0_10empty_typeEEEZZNS1_27merge_sort_block_merge_implIS3_N6thrust23THRUST_200600_302600_NS6detail15normal_iteratorINS9_10device_ptrIjEEEEPS5_jNS1_19radix_merge_compareILb0ELb0EjNS0_19identity_decomposerEEEEE10hipError_tT0_T1_T2_jT3_P12ihipStream_tbPNSt15iterator_traitsISK_E10value_typeEPNSQ_ISL_E10value_typeEPSM_NS1_7vsmem_tEENKUlT_SK_SL_SM_E_clISE_PjSF_SF_EESJ_SZ_SK_SL_SM_EUlSZ_E0_NS1_11comp_targetILNS1_3genE4ELNS1_11target_archE910ELNS1_3gpuE8ELNS1_3repE0EEENS1_38merge_mergepath_config_static_selectorELNS0_4arch9wavefront6targetE1EEEvSL_
		.amdhsa_group_segment_fixed_size 4224
		.amdhsa_private_segment_fixed_size 0
		.amdhsa_kernarg_size 320
		.amdhsa_user_sgpr_count 6
		.amdhsa_user_sgpr_private_segment_buffer 1
		.amdhsa_user_sgpr_dispatch_ptr 0
		.amdhsa_user_sgpr_queue_ptr 0
		.amdhsa_user_sgpr_kernarg_segment_ptr 1
		.amdhsa_user_sgpr_dispatch_id 0
		.amdhsa_user_sgpr_flat_scratch_init 0
		.amdhsa_user_sgpr_kernarg_preload_length 0
		.amdhsa_user_sgpr_kernarg_preload_offset 0
		.amdhsa_user_sgpr_private_segment_size 0
		.amdhsa_uses_dynamic_stack 0
		.amdhsa_system_sgpr_private_segment_wavefront_offset 0
		.amdhsa_system_sgpr_workgroup_id_x 1
		.amdhsa_system_sgpr_workgroup_id_y 1
		.amdhsa_system_sgpr_workgroup_id_z 1
		.amdhsa_system_sgpr_workgroup_info 0
		.amdhsa_system_vgpr_workitem_id 0
		.amdhsa_next_free_vgpr 26
		.amdhsa_next_free_sgpr 24
		.amdhsa_accum_offset 28
		.amdhsa_reserve_vcc 1
		.amdhsa_reserve_flat_scratch 0
		.amdhsa_float_round_mode_32 0
		.amdhsa_float_round_mode_16_64 0
		.amdhsa_float_denorm_mode_32 3
		.amdhsa_float_denorm_mode_16_64 3
		.amdhsa_dx10_clamp 1
		.amdhsa_ieee_mode 1
		.amdhsa_fp16_overflow 0
		.amdhsa_tg_split 0
		.amdhsa_exception_fp_ieee_invalid_op 0
		.amdhsa_exception_fp_denorm_src 0
		.amdhsa_exception_fp_ieee_div_zero 0
		.amdhsa_exception_fp_ieee_overflow 0
		.amdhsa_exception_fp_ieee_underflow 0
		.amdhsa_exception_fp_ieee_inexact 0
		.amdhsa_exception_int_div_zero 0
	.end_amdhsa_kernel
	.section	.text._ZN7rocprim17ROCPRIM_400000_NS6detail17trampoline_kernelINS0_14default_configENS1_38merge_sort_block_merge_config_selectorIjNS0_10empty_typeEEEZZNS1_27merge_sort_block_merge_implIS3_N6thrust23THRUST_200600_302600_NS6detail15normal_iteratorINS9_10device_ptrIjEEEEPS5_jNS1_19radix_merge_compareILb0ELb0EjNS0_19identity_decomposerEEEEE10hipError_tT0_T1_T2_jT3_P12ihipStream_tbPNSt15iterator_traitsISK_E10value_typeEPNSQ_ISL_E10value_typeEPSM_NS1_7vsmem_tEENKUlT_SK_SL_SM_E_clISE_PjSF_SF_EESJ_SZ_SK_SL_SM_EUlSZ_E0_NS1_11comp_targetILNS1_3genE4ELNS1_11target_archE910ELNS1_3gpuE8ELNS1_3repE0EEENS1_38merge_mergepath_config_static_selectorELNS0_4arch9wavefront6targetE1EEEvSL_,"axG",@progbits,_ZN7rocprim17ROCPRIM_400000_NS6detail17trampoline_kernelINS0_14default_configENS1_38merge_sort_block_merge_config_selectorIjNS0_10empty_typeEEEZZNS1_27merge_sort_block_merge_implIS3_N6thrust23THRUST_200600_302600_NS6detail15normal_iteratorINS9_10device_ptrIjEEEEPS5_jNS1_19radix_merge_compareILb0ELb0EjNS0_19identity_decomposerEEEEE10hipError_tT0_T1_T2_jT3_P12ihipStream_tbPNSt15iterator_traitsISK_E10value_typeEPNSQ_ISL_E10value_typeEPSM_NS1_7vsmem_tEENKUlT_SK_SL_SM_E_clISE_PjSF_SF_EESJ_SZ_SK_SL_SM_EUlSZ_E0_NS1_11comp_targetILNS1_3genE4ELNS1_11target_archE910ELNS1_3gpuE8ELNS1_3repE0EEENS1_38merge_mergepath_config_static_selectorELNS0_4arch9wavefront6targetE1EEEvSL_,comdat
.Lfunc_end1004:
	.size	_ZN7rocprim17ROCPRIM_400000_NS6detail17trampoline_kernelINS0_14default_configENS1_38merge_sort_block_merge_config_selectorIjNS0_10empty_typeEEEZZNS1_27merge_sort_block_merge_implIS3_N6thrust23THRUST_200600_302600_NS6detail15normal_iteratorINS9_10device_ptrIjEEEEPS5_jNS1_19radix_merge_compareILb0ELb0EjNS0_19identity_decomposerEEEEE10hipError_tT0_T1_T2_jT3_P12ihipStream_tbPNSt15iterator_traitsISK_E10value_typeEPNSQ_ISL_E10value_typeEPSM_NS1_7vsmem_tEENKUlT_SK_SL_SM_E_clISE_PjSF_SF_EESJ_SZ_SK_SL_SM_EUlSZ_E0_NS1_11comp_targetILNS1_3genE4ELNS1_11target_archE910ELNS1_3gpuE8ELNS1_3repE0EEENS1_38merge_mergepath_config_static_selectorELNS0_4arch9wavefront6targetE1EEEvSL_, .Lfunc_end1004-_ZN7rocprim17ROCPRIM_400000_NS6detail17trampoline_kernelINS0_14default_configENS1_38merge_sort_block_merge_config_selectorIjNS0_10empty_typeEEEZZNS1_27merge_sort_block_merge_implIS3_N6thrust23THRUST_200600_302600_NS6detail15normal_iteratorINS9_10device_ptrIjEEEEPS5_jNS1_19radix_merge_compareILb0ELb0EjNS0_19identity_decomposerEEEEE10hipError_tT0_T1_T2_jT3_P12ihipStream_tbPNSt15iterator_traitsISK_E10value_typeEPNSQ_ISL_E10value_typeEPSM_NS1_7vsmem_tEENKUlT_SK_SL_SM_E_clISE_PjSF_SF_EESJ_SZ_SK_SL_SM_EUlSZ_E0_NS1_11comp_targetILNS1_3genE4ELNS1_11target_archE910ELNS1_3gpuE8ELNS1_3repE0EEENS1_38merge_mergepath_config_static_selectorELNS0_4arch9wavefront6targetE1EEEvSL_
                                        ; -- End function
	.section	.AMDGPU.csdata,"",@progbits
; Kernel info:
; codeLenInByte = 3548
; NumSgprs: 28
; NumVgprs: 26
; NumAgprs: 0
; TotalNumVgprs: 26
; ScratchSize: 0
; MemoryBound: 0
; FloatMode: 240
; IeeeMode: 1
; LDSByteSize: 4224 bytes/workgroup (compile time only)
; SGPRBlocks: 3
; VGPRBlocks: 3
; NumSGPRsForWavesPerEU: 28
; NumVGPRsForWavesPerEU: 26
; AccumOffset: 28
; Occupancy: 8
; WaveLimiterHint : 1
; COMPUTE_PGM_RSRC2:SCRATCH_EN: 0
; COMPUTE_PGM_RSRC2:USER_SGPR: 6
; COMPUTE_PGM_RSRC2:TRAP_HANDLER: 0
; COMPUTE_PGM_RSRC2:TGID_X_EN: 1
; COMPUTE_PGM_RSRC2:TGID_Y_EN: 1
; COMPUTE_PGM_RSRC2:TGID_Z_EN: 1
; COMPUTE_PGM_RSRC2:TIDIG_COMP_CNT: 0
; COMPUTE_PGM_RSRC3_GFX90A:ACCUM_OFFSET: 6
; COMPUTE_PGM_RSRC3_GFX90A:TG_SPLIT: 0
	.section	.text._ZN7rocprim17ROCPRIM_400000_NS6detail17trampoline_kernelINS0_14default_configENS1_38merge_sort_block_merge_config_selectorIjNS0_10empty_typeEEEZZNS1_27merge_sort_block_merge_implIS3_N6thrust23THRUST_200600_302600_NS6detail15normal_iteratorINS9_10device_ptrIjEEEEPS5_jNS1_19radix_merge_compareILb0ELb0EjNS0_19identity_decomposerEEEEE10hipError_tT0_T1_T2_jT3_P12ihipStream_tbPNSt15iterator_traitsISK_E10value_typeEPNSQ_ISL_E10value_typeEPSM_NS1_7vsmem_tEENKUlT_SK_SL_SM_E_clISE_PjSF_SF_EESJ_SZ_SK_SL_SM_EUlSZ_E0_NS1_11comp_targetILNS1_3genE3ELNS1_11target_archE908ELNS1_3gpuE7ELNS1_3repE0EEENS1_38merge_mergepath_config_static_selectorELNS0_4arch9wavefront6targetE1EEEvSL_,"axG",@progbits,_ZN7rocprim17ROCPRIM_400000_NS6detail17trampoline_kernelINS0_14default_configENS1_38merge_sort_block_merge_config_selectorIjNS0_10empty_typeEEEZZNS1_27merge_sort_block_merge_implIS3_N6thrust23THRUST_200600_302600_NS6detail15normal_iteratorINS9_10device_ptrIjEEEEPS5_jNS1_19radix_merge_compareILb0ELb0EjNS0_19identity_decomposerEEEEE10hipError_tT0_T1_T2_jT3_P12ihipStream_tbPNSt15iterator_traitsISK_E10value_typeEPNSQ_ISL_E10value_typeEPSM_NS1_7vsmem_tEENKUlT_SK_SL_SM_E_clISE_PjSF_SF_EESJ_SZ_SK_SL_SM_EUlSZ_E0_NS1_11comp_targetILNS1_3genE3ELNS1_11target_archE908ELNS1_3gpuE7ELNS1_3repE0EEENS1_38merge_mergepath_config_static_selectorELNS0_4arch9wavefront6targetE1EEEvSL_,comdat
	.protected	_ZN7rocprim17ROCPRIM_400000_NS6detail17trampoline_kernelINS0_14default_configENS1_38merge_sort_block_merge_config_selectorIjNS0_10empty_typeEEEZZNS1_27merge_sort_block_merge_implIS3_N6thrust23THRUST_200600_302600_NS6detail15normal_iteratorINS9_10device_ptrIjEEEEPS5_jNS1_19radix_merge_compareILb0ELb0EjNS0_19identity_decomposerEEEEE10hipError_tT0_T1_T2_jT3_P12ihipStream_tbPNSt15iterator_traitsISK_E10value_typeEPNSQ_ISL_E10value_typeEPSM_NS1_7vsmem_tEENKUlT_SK_SL_SM_E_clISE_PjSF_SF_EESJ_SZ_SK_SL_SM_EUlSZ_E0_NS1_11comp_targetILNS1_3genE3ELNS1_11target_archE908ELNS1_3gpuE7ELNS1_3repE0EEENS1_38merge_mergepath_config_static_selectorELNS0_4arch9wavefront6targetE1EEEvSL_ ; -- Begin function _ZN7rocprim17ROCPRIM_400000_NS6detail17trampoline_kernelINS0_14default_configENS1_38merge_sort_block_merge_config_selectorIjNS0_10empty_typeEEEZZNS1_27merge_sort_block_merge_implIS3_N6thrust23THRUST_200600_302600_NS6detail15normal_iteratorINS9_10device_ptrIjEEEEPS5_jNS1_19radix_merge_compareILb0ELb0EjNS0_19identity_decomposerEEEEE10hipError_tT0_T1_T2_jT3_P12ihipStream_tbPNSt15iterator_traitsISK_E10value_typeEPNSQ_ISL_E10value_typeEPSM_NS1_7vsmem_tEENKUlT_SK_SL_SM_E_clISE_PjSF_SF_EESJ_SZ_SK_SL_SM_EUlSZ_E0_NS1_11comp_targetILNS1_3genE3ELNS1_11target_archE908ELNS1_3gpuE7ELNS1_3repE0EEENS1_38merge_mergepath_config_static_selectorELNS0_4arch9wavefront6targetE1EEEvSL_
	.globl	_ZN7rocprim17ROCPRIM_400000_NS6detail17trampoline_kernelINS0_14default_configENS1_38merge_sort_block_merge_config_selectorIjNS0_10empty_typeEEEZZNS1_27merge_sort_block_merge_implIS3_N6thrust23THRUST_200600_302600_NS6detail15normal_iteratorINS9_10device_ptrIjEEEEPS5_jNS1_19radix_merge_compareILb0ELb0EjNS0_19identity_decomposerEEEEE10hipError_tT0_T1_T2_jT3_P12ihipStream_tbPNSt15iterator_traitsISK_E10value_typeEPNSQ_ISL_E10value_typeEPSM_NS1_7vsmem_tEENKUlT_SK_SL_SM_E_clISE_PjSF_SF_EESJ_SZ_SK_SL_SM_EUlSZ_E0_NS1_11comp_targetILNS1_3genE3ELNS1_11target_archE908ELNS1_3gpuE7ELNS1_3repE0EEENS1_38merge_mergepath_config_static_selectorELNS0_4arch9wavefront6targetE1EEEvSL_
	.p2align	8
	.type	_ZN7rocprim17ROCPRIM_400000_NS6detail17trampoline_kernelINS0_14default_configENS1_38merge_sort_block_merge_config_selectorIjNS0_10empty_typeEEEZZNS1_27merge_sort_block_merge_implIS3_N6thrust23THRUST_200600_302600_NS6detail15normal_iteratorINS9_10device_ptrIjEEEEPS5_jNS1_19radix_merge_compareILb0ELb0EjNS0_19identity_decomposerEEEEE10hipError_tT0_T1_T2_jT3_P12ihipStream_tbPNSt15iterator_traitsISK_E10value_typeEPNSQ_ISL_E10value_typeEPSM_NS1_7vsmem_tEENKUlT_SK_SL_SM_E_clISE_PjSF_SF_EESJ_SZ_SK_SL_SM_EUlSZ_E0_NS1_11comp_targetILNS1_3genE3ELNS1_11target_archE908ELNS1_3gpuE7ELNS1_3repE0EEENS1_38merge_mergepath_config_static_selectorELNS0_4arch9wavefront6targetE1EEEvSL_,@function
_ZN7rocprim17ROCPRIM_400000_NS6detail17trampoline_kernelINS0_14default_configENS1_38merge_sort_block_merge_config_selectorIjNS0_10empty_typeEEEZZNS1_27merge_sort_block_merge_implIS3_N6thrust23THRUST_200600_302600_NS6detail15normal_iteratorINS9_10device_ptrIjEEEEPS5_jNS1_19radix_merge_compareILb0ELb0EjNS0_19identity_decomposerEEEEE10hipError_tT0_T1_T2_jT3_P12ihipStream_tbPNSt15iterator_traitsISK_E10value_typeEPNSQ_ISL_E10value_typeEPSM_NS1_7vsmem_tEENKUlT_SK_SL_SM_E_clISE_PjSF_SF_EESJ_SZ_SK_SL_SM_EUlSZ_E0_NS1_11comp_targetILNS1_3genE3ELNS1_11target_archE908ELNS1_3gpuE7ELNS1_3repE0EEENS1_38merge_mergepath_config_static_selectorELNS0_4arch9wavefront6targetE1EEEvSL_: ; @_ZN7rocprim17ROCPRIM_400000_NS6detail17trampoline_kernelINS0_14default_configENS1_38merge_sort_block_merge_config_selectorIjNS0_10empty_typeEEEZZNS1_27merge_sort_block_merge_implIS3_N6thrust23THRUST_200600_302600_NS6detail15normal_iteratorINS9_10device_ptrIjEEEEPS5_jNS1_19radix_merge_compareILb0ELb0EjNS0_19identity_decomposerEEEEE10hipError_tT0_T1_T2_jT3_P12ihipStream_tbPNSt15iterator_traitsISK_E10value_typeEPNSQ_ISL_E10value_typeEPSM_NS1_7vsmem_tEENKUlT_SK_SL_SM_E_clISE_PjSF_SF_EESJ_SZ_SK_SL_SM_EUlSZ_E0_NS1_11comp_targetILNS1_3genE3ELNS1_11target_archE908ELNS1_3gpuE7ELNS1_3repE0EEENS1_38merge_mergepath_config_static_selectorELNS0_4arch9wavefront6targetE1EEEvSL_
; %bb.0:
	.section	.rodata,"a",@progbits
	.p2align	6, 0x0
	.amdhsa_kernel _ZN7rocprim17ROCPRIM_400000_NS6detail17trampoline_kernelINS0_14default_configENS1_38merge_sort_block_merge_config_selectorIjNS0_10empty_typeEEEZZNS1_27merge_sort_block_merge_implIS3_N6thrust23THRUST_200600_302600_NS6detail15normal_iteratorINS9_10device_ptrIjEEEEPS5_jNS1_19radix_merge_compareILb0ELb0EjNS0_19identity_decomposerEEEEE10hipError_tT0_T1_T2_jT3_P12ihipStream_tbPNSt15iterator_traitsISK_E10value_typeEPNSQ_ISL_E10value_typeEPSM_NS1_7vsmem_tEENKUlT_SK_SL_SM_E_clISE_PjSF_SF_EESJ_SZ_SK_SL_SM_EUlSZ_E0_NS1_11comp_targetILNS1_3genE3ELNS1_11target_archE908ELNS1_3gpuE7ELNS1_3repE0EEENS1_38merge_mergepath_config_static_selectorELNS0_4arch9wavefront6targetE1EEEvSL_
		.amdhsa_group_segment_fixed_size 0
		.amdhsa_private_segment_fixed_size 0
		.amdhsa_kernarg_size 64
		.amdhsa_user_sgpr_count 6
		.amdhsa_user_sgpr_private_segment_buffer 1
		.amdhsa_user_sgpr_dispatch_ptr 0
		.amdhsa_user_sgpr_queue_ptr 0
		.amdhsa_user_sgpr_kernarg_segment_ptr 1
		.amdhsa_user_sgpr_dispatch_id 0
		.amdhsa_user_sgpr_flat_scratch_init 0
		.amdhsa_user_sgpr_kernarg_preload_length 0
		.amdhsa_user_sgpr_kernarg_preload_offset 0
		.amdhsa_user_sgpr_private_segment_size 0
		.amdhsa_uses_dynamic_stack 0
		.amdhsa_system_sgpr_private_segment_wavefront_offset 0
		.amdhsa_system_sgpr_workgroup_id_x 1
		.amdhsa_system_sgpr_workgroup_id_y 0
		.amdhsa_system_sgpr_workgroup_id_z 0
		.amdhsa_system_sgpr_workgroup_info 0
		.amdhsa_system_vgpr_workitem_id 0
		.amdhsa_next_free_vgpr 1
		.amdhsa_next_free_sgpr 0
		.amdhsa_accum_offset 4
		.amdhsa_reserve_vcc 0
		.amdhsa_reserve_flat_scratch 0
		.amdhsa_float_round_mode_32 0
		.amdhsa_float_round_mode_16_64 0
		.amdhsa_float_denorm_mode_32 3
		.amdhsa_float_denorm_mode_16_64 3
		.amdhsa_dx10_clamp 1
		.amdhsa_ieee_mode 1
		.amdhsa_fp16_overflow 0
		.amdhsa_tg_split 0
		.amdhsa_exception_fp_ieee_invalid_op 0
		.amdhsa_exception_fp_denorm_src 0
		.amdhsa_exception_fp_ieee_div_zero 0
		.amdhsa_exception_fp_ieee_overflow 0
		.amdhsa_exception_fp_ieee_underflow 0
		.amdhsa_exception_fp_ieee_inexact 0
		.amdhsa_exception_int_div_zero 0
	.end_amdhsa_kernel
	.section	.text._ZN7rocprim17ROCPRIM_400000_NS6detail17trampoline_kernelINS0_14default_configENS1_38merge_sort_block_merge_config_selectorIjNS0_10empty_typeEEEZZNS1_27merge_sort_block_merge_implIS3_N6thrust23THRUST_200600_302600_NS6detail15normal_iteratorINS9_10device_ptrIjEEEEPS5_jNS1_19radix_merge_compareILb0ELb0EjNS0_19identity_decomposerEEEEE10hipError_tT0_T1_T2_jT3_P12ihipStream_tbPNSt15iterator_traitsISK_E10value_typeEPNSQ_ISL_E10value_typeEPSM_NS1_7vsmem_tEENKUlT_SK_SL_SM_E_clISE_PjSF_SF_EESJ_SZ_SK_SL_SM_EUlSZ_E0_NS1_11comp_targetILNS1_3genE3ELNS1_11target_archE908ELNS1_3gpuE7ELNS1_3repE0EEENS1_38merge_mergepath_config_static_selectorELNS0_4arch9wavefront6targetE1EEEvSL_,"axG",@progbits,_ZN7rocprim17ROCPRIM_400000_NS6detail17trampoline_kernelINS0_14default_configENS1_38merge_sort_block_merge_config_selectorIjNS0_10empty_typeEEEZZNS1_27merge_sort_block_merge_implIS3_N6thrust23THRUST_200600_302600_NS6detail15normal_iteratorINS9_10device_ptrIjEEEEPS5_jNS1_19radix_merge_compareILb0ELb0EjNS0_19identity_decomposerEEEEE10hipError_tT0_T1_T2_jT3_P12ihipStream_tbPNSt15iterator_traitsISK_E10value_typeEPNSQ_ISL_E10value_typeEPSM_NS1_7vsmem_tEENKUlT_SK_SL_SM_E_clISE_PjSF_SF_EESJ_SZ_SK_SL_SM_EUlSZ_E0_NS1_11comp_targetILNS1_3genE3ELNS1_11target_archE908ELNS1_3gpuE7ELNS1_3repE0EEENS1_38merge_mergepath_config_static_selectorELNS0_4arch9wavefront6targetE1EEEvSL_,comdat
.Lfunc_end1005:
	.size	_ZN7rocprim17ROCPRIM_400000_NS6detail17trampoline_kernelINS0_14default_configENS1_38merge_sort_block_merge_config_selectorIjNS0_10empty_typeEEEZZNS1_27merge_sort_block_merge_implIS3_N6thrust23THRUST_200600_302600_NS6detail15normal_iteratorINS9_10device_ptrIjEEEEPS5_jNS1_19radix_merge_compareILb0ELb0EjNS0_19identity_decomposerEEEEE10hipError_tT0_T1_T2_jT3_P12ihipStream_tbPNSt15iterator_traitsISK_E10value_typeEPNSQ_ISL_E10value_typeEPSM_NS1_7vsmem_tEENKUlT_SK_SL_SM_E_clISE_PjSF_SF_EESJ_SZ_SK_SL_SM_EUlSZ_E0_NS1_11comp_targetILNS1_3genE3ELNS1_11target_archE908ELNS1_3gpuE7ELNS1_3repE0EEENS1_38merge_mergepath_config_static_selectorELNS0_4arch9wavefront6targetE1EEEvSL_, .Lfunc_end1005-_ZN7rocprim17ROCPRIM_400000_NS6detail17trampoline_kernelINS0_14default_configENS1_38merge_sort_block_merge_config_selectorIjNS0_10empty_typeEEEZZNS1_27merge_sort_block_merge_implIS3_N6thrust23THRUST_200600_302600_NS6detail15normal_iteratorINS9_10device_ptrIjEEEEPS5_jNS1_19radix_merge_compareILb0ELb0EjNS0_19identity_decomposerEEEEE10hipError_tT0_T1_T2_jT3_P12ihipStream_tbPNSt15iterator_traitsISK_E10value_typeEPNSQ_ISL_E10value_typeEPSM_NS1_7vsmem_tEENKUlT_SK_SL_SM_E_clISE_PjSF_SF_EESJ_SZ_SK_SL_SM_EUlSZ_E0_NS1_11comp_targetILNS1_3genE3ELNS1_11target_archE908ELNS1_3gpuE7ELNS1_3repE0EEENS1_38merge_mergepath_config_static_selectorELNS0_4arch9wavefront6targetE1EEEvSL_
                                        ; -- End function
	.section	.AMDGPU.csdata,"",@progbits
; Kernel info:
; codeLenInByte = 0
; NumSgprs: 4
; NumVgprs: 0
; NumAgprs: 0
; TotalNumVgprs: 0
; ScratchSize: 0
; MemoryBound: 0
; FloatMode: 240
; IeeeMode: 1
; LDSByteSize: 0 bytes/workgroup (compile time only)
; SGPRBlocks: 0
; VGPRBlocks: 0
; NumSGPRsForWavesPerEU: 4
; NumVGPRsForWavesPerEU: 1
; AccumOffset: 4
; Occupancy: 8
; WaveLimiterHint : 0
; COMPUTE_PGM_RSRC2:SCRATCH_EN: 0
; COMPUTE_PGM_RSRC2:USER_SGPR: 6
; COMPUTE_PGM_RSRC2:TRAP_HANDLER: 0
; COMPUTE_PGM_RSRC2:TGID_X_EN: 1
; COMPUTE_PGM_RSRC2:TGID_Y_EN: 0
; COMPUTE_PGM_RSRC2:TGID_Z_EN: 0
; COMPUTE_PGM_RSRC2:TIDIG_COMP_CNT: 0
; COMPUTE_PGM_RSRC3_GFX90A:ACCUM_OFFSET: 0
; COMPUTE_PGM_RSRC3_GFX90A:TG_SPLIT: 0
	.section	.text._ZN7rocprim17ROCPRIM_400000_NS6detail17trampoline_kernelINS0_14default_configENS1_38merge_sort_block_merge_config_selectorIjNS0_10empty_typeEEEZZNS1_27merge_sort_block_merge_implIS3_N6thrust23THRUST_200600_302600_NS6detail15normal_iteratorINS9_10device_ptrIjEEEEPS5_jNS1_19radix_merge_compareILb0ELb0EjNS0_19identity_decomposerEEEEE10hipError_tT0_T1_T2_jT3_P12ihipStream_tbPNSt15iterator_traitsISK_E10value_typeEPNSQ_ISL_E10value_typeEPSM_NS1_7vsmem_tEENKUlT_SK_SL_SM_E_clISE_PjSF_SF_EESJ_SZ_SK_SL_SM_EUlSZ_E0_NS1_11comp_targetILNS1_3genE2ELNS1_11target_archE906ELNS1_3gpuE6ELNS1_3repE0EEENS1_38merge_mergepath_config_static_selectorELNS0_4arch9wavefront6targetE1EEEvSL_,"axG",@progbits,_ZN7rocprim17ROCPRIM_400000_NS6detail17trampoline_kernelINS0_14default_configENS1_38merge_sort_block_merge_config_selectorIjNS0_10empty_typeEEEZZNS1_27merge_sort_block_merge_implIS3_N6thrust23THRUST_200600_302600_NS6detail15normal_iteratorINS9_10device_ptrIjEEEEPS5_jNS1_19radix_merge_compareILb0ELb0EjNS0_19identity_decomposerEEEEE10hipError_tT0_T1_T2_jT3_P12ihipStream_tbPNSt15iterator_traitsISK_E10value_typeEPNSQ_ISL_E10value_typeEPSM_NS1_7vsmem_tEENKUlT_SK_SL_SM_E_clISE_PjSF_SF_EESJ_SZ_SK_SL_SM_EUlSZ_E0_NS1_11comp_targetILNS1_3genE2ELNS1_11target_archE906ELNS1_3gpuE6ELNS1_3repE0EEENS1_38merge_mergepath_config_static_selectorELNS0_4arch9wavefront6targetE1EEEvSL_,comdat
	.protected	_ZN7rocprim17ROCPRIM_400000_NS6detail17trampoline_kernelINS0_14default_configENS1_38merge_sort_block_merge_config_selectorIjNS0_10empty_typeEEEZZNS1_27merge_sort_block_merge_implIS3_N6thrust23THRUST_200600_302600_NS6detail15normal_iteratorINS9_10device_ptrIjEEEEPS5_jNS1_19radix_merge_compareILb0ELb0EjNS0_19identity_decomposerEEEEE10hipError_tT0_T1_T2_jT3_P12ihipStream_tbPNSt15iterator_traitsISK_E10value_typeEPNSQ_ISL_E10value_typeEPSM_NS1_7vsmem_tEENKUlT_SK_SL_SM_E_clISE_PjSF_SF_EESJ_SZ_SK_SL_SM_EUlSZ_E0_NS1_11comp_targetILNS1_3genE2ELNS1_11target_archE906ELNS1_3gpuE6ELNS1_3repE0EEENS1_38merge_mergepath_config_static_selectorELNS0_4arch9wavefront6targetE1EEEvSL_ ; -- Begin function _ZN7rocprim17ROCPRIM_400000_NS6detail17trampoline_kernelINS0_14default_configENS1_38merge_sort_block_merge_config_selectorIjNS0_10empty_typeEEEZZNS1_27merge_sort_block_merge_implIS3_N6thrust23THRUST_200600_302600_NS6detail15normal_iteratorINS9_10device_ptrIjEEEEPS5_jNS1_19radix_merge_compareILb0ELb0EjNS0_19identity_decomposerEEEEE10hipError_tT0_T1_T2_jT3_P12ihipStream_tbPNSt15iterator_traitsISK_E10value_typeEPNSQ_ISL_E10value_typeEPSM_NS1_7vsmem_tEENKUlT_SK_SL_SM_E_clISE_PjSF_SF_EESJ_SZ_SK_SL_SM_EUlSZ_E0_NS1_11comp_targetILNS1_3genE2ELNS1_11target_archE906ELNS1_3gpuE6ELNS1_3repE0EEENS1_38merge_mergepath_config_static_selectorELNS0_4arch9wavefront6targetE1EEEvSL_
	.globl	_ZN7rocprim17ROCPRIM_400000_NS6detail17trampoline_kernelINS0_14default_configENS1_38merge_sort_block_merge_config_selectorIjNS0_10empty_typeEEEZZNS1_27merge_sort_block_merge_implIS3_N6thrust23THRUST_200600_302600_NS6detail15normal_iteratorINS9_10device_ptrIjEEEEPS5_jNS1_19radix_merge_compareILb0ELb0EjNS0_19identity_decomposerEEEEE10hipError_tT0_T1_T2_jT3_P12ihipStream_tbPNSt15iterator_traitsISK_E10value_typeEPNSQ_ISL_E10value_typeEPSM_NS1_7vsmem_tEENKUlT_SK_SL_SM_E_clISE_PjSF_SF_EESJ_SZ_SK_SL_SM_EUlSZ_E0_NS1_11comp_targetILNS1_3genE2ELNS1_11target_archE906ELNS1_3gpuE6ELNS1_3repE0EEENS1_38merge_mergepath_config_static_selectorELNS0_4arch9wavefront6targetE1EEEvSL_
	.p2align	8
	.type	_ZN7rocprim17ROCPRIM_400000_NS6detail17trampoline_kernelINS0_14default_configENS1_38merge_sort_block_merge_config_selectorIjNS0_10empty_typeEEEZZNS1_27merge_sort_block_merge_implIS3_N6thrust23THRUST_200600_302600_NS6detail15normal_iteratorINS9_10device_ptrIjEEEEPS5_jNS1_19radix_merge_compareILb0ELb0EjNS0_19identity_decomposerEEEEE10hipError_tT0_T1_T2_jT3_P12ihipStream_tbPNSt15iterator_traitsISK_E10value_typeEPNSQ_ISL_E10value_typeEPSM_NS1_7vsmem_tEENKUlT_SK_SL_SM_E_clISE_PjSF_SF_EESJ_SZ_SK_SL_SM_EUlSZ_E0_NS1_11comp_targetILNS1_3genE2ELNS1_11target_archE906ELNS1_3gpuE6ELNS1_3repE0EEENS1_38merge_mergepath_config_static_selectorELNS0_4arch9wavefront6targetE1EEEvSL_,@function
_ZN7rocprim17ROCPRIM_400000_NS6detail17trampoline_kernelINS0_14default_configENS1_38merge_sort_block_merge_config_selectorIjNS0_10empty_typeEEEZZNS1_27merge_sort_block_merge_implIS3_N6thrust23THRUST_200600_302600_NS6detail15normal_iteratorINS9_10device_ptrIjEEEEPS5_jNS1_19radix_merge_compareILb0ELb0EjNS0_19identity_decomposerEEEEE10hipError_tT0_T1_T2_jT3_P12ihipStream_tbPNSt15iterator_traitsISK_E10value_typeEPNSQ_ISL_E10value_typeEPSM_NS1_7vsmem_tEENKUlT_SK_SL_SM_E_clISE_PjSF_SF_EESJ_SZ_SK_SL_SM_EUlSZ_E0_NS1_11comp_targetILNS1_3genE2ELNS1_11target_archE906ELNS1_3gpuE6ELNS1_3repE0EEENS1_38merge_mergepath_config_static_selectorELNS0_4arch9wavefront6targetE1EEEvSL_: ; @_ZN7rocprim17ROCPRIM_400000_NS6detail17trampoline_kernelINS0_14default_configENS1_38merge_sort_block_merge_config_selectorIjNS0_10empty_typeEEEZZNS1_27merge_sort_block_merge_implIS3_N6thrust23THRUST_200600_302600_NS6detail15normal_iteratorINS9_10device_ptrIjEEEEPS5_jNS1_19radix_merge_compareILb0ELb0EjNS0_19identity_decomposerEEEEE10hipError_tT0_T1_T2_jT3_P12ihipStream_tbPNSt15iterator_traitsISK_E10value_typeEPNSQ_ISL_E10value_typeEPSM_NS1_7vsmem_tEENKUlT_SK_SL_SM_E_clISE_PjSF_SF_EESJ_SZ_SK_SL_SM_EUlSZ_E0_NS1_11comp_targetILNS1_3genE2ELNS1_11target_archE906ELNS1_3gpuE6ELNS1_3repE0EEENS1_38merge_mergepath_config_static_selectorELNS0_4arch9wavefront6targetE1EEEvSL_
; %bb.0:
	.section	.rodata,"a",@progbits
	.p2align	6, 0x0
	.amdhsa_kernel _ZN7rocprim17ROCPRIM_400000_NS6detail17trampoline_kernelINS0_14default_configENS1_38merge_sort_block_merge_config_selectorIjNS0_10empty_typeEEEZZNS1_27merge_sort_block_merge_implIS3_N6thrust23THRUST_200600_302600_NS6detail15normal_iteratorINS9_10device_ptrIjEEEEPS5_jNS1_19radix_merge_compareILb0ELb0EjNS0_19identity_decomposerEEEEE10hipError_tT0_T1_T2_jT3_P12ihipStream_tbPNSt15iterator_traitsISK_E10value_typeEPNSQ_ISL_E10value_typeEPSM_NS1_7vsmem_tEENKUlT_SK_SL_SM_E_clISE_PjSF_SF_EESJ_SZ_SK_SL_SM_EUlSZ_E0_NS1_11comp_targetILNS1_3genE2ELNS1_11target_archE906ELNS1_3gpuE6ELNS1_3repE0EEENS1_38merge_mergepath_config_static_selectorELNS0_4arch9wavefront6targetE1EEEvSL_
		.amdhsa_group_segment_fixed_size 0
		.amdhsa_private_segment_fixed_size 0
		.amdhsa_kernarg_size 64
		.amdhsa_user_sgpr_count 6
		.amdhsa_user_sgpr_private_segment_buffer 1
		.amdhsa_user_sgpr_dispatch_ptr 0
		.amdhsa_user_sgpr_queue_ptr 0
		.amdhsa_user_sgpr_kernarg_segment_ptr 1
		.amdhsa_user_sgpr_dispatch_id 0
		.amdhsa_user_sgpr_flat_scratch_init 0
		.amdhsa_user_sgpr_kernarg_preload_length 0
		.amdhsa_user_sgpr_kernarg_preload_offset 0
		.amdhsa_user_sgpr_private_segment_size 0
		.amdhsa_uses_dynamic_stack 0
		.amdhsa_system_sgpr_private_segment_wavefront_offset 0
		.amdhsa_system_sgpr_workgroup_id_x 1
		.amdhsa_system_sgpr_workgroup_id_y 0
		.amdhsa_system_sgpr_workgroup_id_z 0
		.amdhsa_system_sgpr_workgroup_info 0
		.amdhsa_system_vgpr_workitem_id 0
		.amdhsa_next_free_vgpr 1
		.amdhsa_next_free_sgpr 0
		.amdhsa_accum_offset 4
		.amdhsa_reserve_vcc 0
		.amdhsa_reserve_flat_scratch 0
		.amdhsa_float_round_mode_32 0
		.amdhsa_float_round_mode_16_64 0
		.amdhsa_float_denorm_mode_32 3
		.amdhsa_float_denorm_mode_16_64 3
		.amdhsa_dx10_clamp 1
		.amdhsa_ieee_mode 1
		.amdhsa_fp16_overflow 0
		.amdhsa_tg_split 0
		.amdhsa_exception_fp_ieee_invalid_op 0
		.amdhsa_exception_fp_denorm_src 0
		.amdhsa_exception_fp_ieee_div_zero 0
		.amdhsa_exception_fp_ieee_overflow 0
		.amdhsa_exception_fp_ieee_underflow 0
		.amdhsa_exception_fp_ieee_inexact 0
		.amdhsa_exception_int_div_zero 0
	.end_amdhsa_kernel
	.section	.text._ZN7rocprim17ROCPRIM_400000_NS6detail17trampoline_kernelINS0_14default_configENS1_38merge_sort_block_merge_config_selectorIjNS0_10empty_typeEEEZZNS1_27merge_sort_block_merge_implIS3_N6thrust23THRUST_200600_302600_NS6detail15normal_iteratorINS9_10device_ptrIjEEEEPS5_jNS1_19radix_merge_compareILb0ELb0EjNS0_19identity_decomposerEEEEE10hipError_tT0_T1_T2_jT3_P12ihipStream_tbPNSt15iterator_traitsISK_E10value_typeEPNSQ_ISL_E10value_typeEPSM_NS1_7vsmem_tEENKUlT_SK_SL_SM_E_clISE_PjSF_SF_EESJ_SZ_SK_SL_SM_EUlSZ_E0_NS1_11comp_targetILNS1_3genE2ELNS1_11target_archE906ELNS1_3gpuE6ELNS1_3repE0EEENS1_38merge_mergepath_config_static_selectorELNS0_4arch9wavefront6targetE1EEEvSL_,"axG",@progbits,_ZN7rocprim17ROCPRIM_400000_NS6detail17trampoline_kernelINS0_14default_configENS1_38merge_sort_block_merge_config_selectorIjNS0_10empty_typeEEEZZNS1_27merge_sort_block_merge_implIS3_N6thrust23THRUST_200600_302600_NS6detail15normal_iteratorINS9_10device_ptrIjEEEEPS5_jNS1_19radix_merge_compareILb0ELb0EjNS0_19identity_decomposerEEEEE10hipError_tT0_T1_T2_jT3_P12ihipStream_tbPNSt15iterator_traitsISK_E10value_typeEPNSQ_ISL_E10value_typeEPSM_NS1_7vsmem_tEENKUlT_SK_SL_SM_E_clISE_PjSF_SF_EESJ_SZ_SK_SL_SM_EUlSZ_E0_NS1_11comp_targetILNS1_3genE2ELNS1_11target_archE906ELNS1_3gpuE6ELNS1_3repE0EEENS1_38merge_mergepath_config_static_selectorELNS0_4arch9wavefront6targetE1EEEvSL_,comdat
.Lfunc_end1006:
	.size	_ZN7rocprim17ROCPRIM_400000_NS6detail17trampoline_kernelINS0_14default_configENS1_38merge_sort_block_merge_config_selectorIjNS0_10empty_typeEEEZZNS1_27merge_sort_block_merge_implIS3_N6thrust23THRUST_200600_302600_NS6detail15normal_iteratorINS9_10device_ptrIjEEEEPS5_jNS1_19radix_merge_compareILb0ELb0EjNS0_19identity_decomposerEEEEE10hipError_tT0_T1_T2_jT3_P12ihipStream_tbPNSt15iterator_traitsISK_E10value_typeEPNSQ_ISL_E10value_typeEPSM_NS1_7vsmem_tEENKUlT_SK_SL_SM_E_clISE_PjSF_SF_EESJ_SZ_SK_SL_SM_EUlSZ_E0_NS1_11comp_targetILNS1_3genE2ELNS1_11target_archE906ELNS1_3gpuE6ELNS1_3repE0EEENS1_38merge_mergepath_config_static_selectorELNS0_4arch9wavefront6targetE1EEEvSL_, .Lfunc_end1006-_ZN7rocprim17ROCPRIM_400000_NS6detail17trampoline_kernelINS0_14default_configENS1_38merge_sort_block_merge_config_selectorIjNS0_10empty_typeEEEZZNS1_27merge_sort_block_merge_implIS3_N6thrust23THRUST_200600_302600_NS6detail15normal_iteratorINS9_10device_ptrIjEEEEPS5_jNS1_19radix_merge_compareILb0ELb0EjNS0_19identity_decomposerEEEEE10hipError_tT0_T1_T2_jT3_P12ihipStream_tbPNSt15iterator_traitsISK_E10value_typeEPNSQ_ISL_E10value_typeEPSM_NS1_7vsmem_tEENKUlT_SK_SL_SM_E_clISE_PjSF_SF_EESJ_SZ_SK_SL_SM_EUlSZ_E0_NS1_11comp_targetILNS1_3genE2ELNS1_11target_archE906ELNS1_3gpuE6ELNS1_3repE0EEENS1_38merge_mergepath_config_static_selectorELNS0_4arch9wavefront6targetE1EEEvSL_
                                        ; -- End function
	.section	.AMDGPU.csdata,"",@progbits
; Kernel info:
; codeLenInByte = 0
; NumSgprs: 4
; NumVgprs: 0
; NumAgprs: 0
; TotalNumVgprs: 0
; ScratchSize: 0
; MemoryBound: 0
; FloatMode: 240
; IeeeMode: 1
; LDSByteSize: 0 bytes/workgroup (compile time only)
; SGPRBlocks: 0
; VGPRBlocks: 0
; NumSGPRsForWavesPerEU: 4
; NumVGPRsForWavesPerEU: 1
; AccumOffset: 4
; Occupancy: 8
; WaveLimiterHint : 0
; COMPUTE_PGM_RSRC2:SCRATCH_EN: 0
; COMPUTE_PGM_RSRC2:USER_SGPR: 6
; COMPUTE_PGM_RSRC2:TRAP_HANDLER: 0
; COMPUTE_PGM_RSRC2:TGID_X_EN: 1
; COMPUTE_PGM_RSRC2:TGID_Y_EN: 0
; COMPUTE_PGM_RSRC2:TGID_Z_EN: 0
; COMPUTE_PGM_RSRC2:TIDIG_COMP_CNT: 0
; COMPUTE_PGM_RSRC3_GFX90A:ACCUM_OFFSET: 0
; COMPUTE_PGM_RSRC3_GFX90A:TG_SPLIT: 0
	.section	.text._ZN7rocprim17ROCPRIM_400000_NS6detail17trampoline_kernelINS0_14default_configENS1_38merge_sort_block_merge_config_selectorIjNS0_10empty_typeEEEZZNS1_27merge_sort_block_merge_implIS3_N6thrust23THRUST_200600_302600_NS6detail15normal_iteratorINS9_10device_ptrIjEEEEPS5_jNS1_19radix_merge_compareILb0ELb0EjNS0_19identity_decomposerEEEEE10hipError_tT0_T1_T2_jT3_P12ihipStream_tbPNSt15iterator_traitsISK_E10value_typeEPNSQ_ISL_E10value_typeEPSM_NS1_7vsmem_tEENKUlT_SK_SL_SM_E_clISE_PjSF_SF_EESJ_SZ_SK_SL_SM_EUlSZ_E0_NS1_11comp_targetILNS1_3genE9ELNS1_11target_archE1100ELNS1_3gpuE3ELNS1_3repE0EEENS1_38merge_mergepath_config_static_selectorELNS0_4arch9wavefront6targetE1EEEvSL_,"axG",@progbits,_ZN7rocprim17ROCPRIM_400000_NS6detail17trampoline_kernelINS0_14default_configENS1_38merge_sort_block_merge_config_selectorIjNS0_10empty_typeEEEZZNS1_27merge_sort_block_merge_implIS3_N6thrust23THRUST_200600_302600_NS6detail15normal_iteratorINS9_10device_ptrIjEEEEPS5_jNS1_19radix_merge_compareILb0ELb0EjNS0_19identity_decomposerEEEEE10hipError_tT0_T1_T2_jT3_P12ihipStream_tbPNSt15iterator_traitsISK_E10value_typeEPNSQ_ISL_E10value_typeEPSM_NS1_7vsmem_tEENKUlT_SK_SL_SM_E_clISE_PjSF_SF_EESJ_SZ_SK_SL_SM_EUlSZ_E0_NS1_11comp_targetILNS1_3genE9ELNS1_11target_archE1100ELNS1_3gpuE3ELNS1_3repE0EEENS1_38merge_mergepath_config_static_selectorELNS0_4arch9wavefront6targetE1EEEvSL_,comdat
	.protected	_ZN7rocprim17ROCPRIM_400000_NS6detail17trampoline_kernelINS0_14default_configENS1_38merge_sort_block_merge_config_selectorIjNS0_10empty_typeEEEZZNS1_27merge_sort_block_merge_implIS3_N6thrust23THRUST_200600_302600_NS6detail15normal_iteratorINS9_10device_ptrIjEEEEPS5_jNS1_19radix_merge_compareILb0ELb0EjNS0_19identity_decomposerEEEEE10hipError_tT0_T1_T2_jT3_P12ihipStream_tbPNSt15iterator_traitsISK_E10value_typeEPNSQ_ISL_E10value_typeEPSM_NS1_7vsmem_tEENKUlT_SK_SL_SM_E_clISE_PjSF_SF_EESJ_SZ_SK_SL_SM_EUlSZ_E0_NS1_11comp_targetILNS1_3genE9ELNS1_11target_archE1100ELNS1_3gpuE3ELNS1_3repE0EEENS1_38merge_mergepath_config_static_selectorELNS0_4arch9wavefront6targetE1EEEvSL_ ; -- Begin function _ZN7rocprim17ROCPRIM_400000_NS6detail17trampoline_kernelINS0_14default_configENS1_38merge_sort_block_merge_config_selectorIjNS0_10empty_typeEEEZZNS1_27merge_sort_block_merge_implIS3_N6thrust23THRUST_200600_302600_NS6detail15normal_iteratorINS9_10device_ptrIjEEEEPS5_jNS1_19radix_merge_compareILb0ELb0EjNS0_19identity_decomposerEEEEE10hipError_tT0_T1_T2_jT3_P12ihipStream_tbPNSt15iterator_traitsISK_E10value_typeEPNSQ_ISL_E10value_typeEPSM_NS1_7vsmem_tEENKUlT_SK_SL_SM_E_clISE_PjSF_SF_EESJ_SZ_SK_SL_SM_EUlSZ_E0_NS1_11comp_targetILNS1_3genE9ELNS1_11target_archE1100ELNS1_3gpuE3ELNS1_3repE0EEENS1_38merge_mergepath_config_static_selectorELNS0_4arch9wavefront6targetE1EEEvSL_
	.globl	_ZN7rocprim17ROCPRIM_400000_NS6detail17trampoline_kernelINS0_14default_configENS1_38merge_sort_block_merge_config_selectorIjNS0_10empty_typeEEEZZNS1_27merge_sort_block_merge_implIS3_N6thrust23THRUST_200600_302600_NS6detail15normal_iteratorINS9_10device_ptrIjEEEEPS5_jNS1_19radix_merge_compareILb0ELb0EjNS0_19identity_decomposerEEEEE10hipError_tT0_T1_T2_jT3_P12ihipStream_tbPNSt15iterator_traitsISK_E10value_typeEPNSQ_ISL_E10value_typeEPSM_NS1_7vsmem_tEENKUlT_SK_SL_SM_E_clISE_PjSF_SF_EESJ_SZ_SK_SL_SM_EUlSZ_E0_NS1_11comp_targetILNS1_3genE9ELNS1_11target_archE1100ELNS1_3gpuE3ELNS1_3repE0EEENS1_38merge_mergepath_config_static_selectorELNS0_4arch9wavefront6targetE1EEEvSL_
	.p2align	8
	.type	_ZN7rocprim17ROCPRIM_400000_NS6detail17trampoline_kernelINS0_14default_configENS1_38merge_sort_block_merge_config_selectorIjNS0_10empty_typeEEEZZNS1_27merge_sort_block_merge_implIS3_N6thrust23THRUST_200600_302600_NS6detail15normal_iteratorINS9_10device_ptrIjEEEEPS5_jNS1_19radix_merge_compareILb0ELb0EjNS0_19identity_decomposerEEEEE10hipError_tT0_T1_T2_jT3_P12ihipStream_tbPNSt15iterator_traitsISK_E10value_typeEPNSQ_ISL_E10value_typeEPSM_NS1_7vsmem_tEENKUlT_SK_SL_SM_E_clISE_PjSF_SF_EESJ_SZ_SK_SL_SM_EUlSZ_E0_NS1_11comp_targetILNS1_3genE9ELNS1_11target_archE1100ELNS1_3gpuE3ELNS1_3repE0EEENS1_38merge_mergepath_config_static_selectorELNS0_4arch9wavefront6targetE1EEEvSL_,@function
_ZN7rocprim17ROCPRIM_400000_NS6detail17trampoline_kernelINS0_14default_configENS1_38merge_sort_block_merge_config_selectorIjNS0_10empty_typeEEEZZNS1_27merge_sort_block_merge_implIS3_N6thrust23THRUST_200600_302600_NS6detail15normal_iteratorINS9_10device_ptrIjEEEEPS5_jNS1_19radix_merge_compareILb0ELb0EjNS0_19identity_decomposerEEEEE10hipError_tT0_T1_T2_jT3_P12ihipStream_tbPNSt15iterator_traitsISK_E10value_typeEPNSQ_ISL_E10value_typeEPSM_NS1_7vsmem_tEENKUlT_SK_SL_SM_E_clISE_PjSF_SF_EESJ_SZ_SK_SL_SM_EUlSZ_E0_NS1_11comp_targetILNS1_3genE9ELNS1_11target_archE1100ELNS1_3gpuE3ELNS1_3repE0EEENS1_38merge_mergepath_config_static_selectorELNS0_4arch9wavefront6targetE1EEEvSL_: ; @_ZN7rocprim17ROCPRIM_400000_NS6detail17trampoline_kernelINS0_14default_configENS1_38merge_sort_block_merge_config_selectorIjNS0_10empty_typeEEEZZNS1_27merge_sort_block_merge_implIS3_N6thrust23THRUST_200600_302600_NS6detail15normal_iteratorINS9_10device_ptrIjEEEEPS5_jNS1_19radix_merge_compareILb0ELb0EjNS0_19identity_decomposerEEEEE10hipError_tT0_T1_T2_jT3_P12ihipStream_tbPNSt15iterator_traitsISK_E10value_typeEPNSQ_ISL_E10value_typeEPSM_NS1_7vsmem_tEENKUlT_SK_SL_SM_E_clISE_PjSF_SF_EESJ_SZ_SK_SL_SM_EUlSZ_E0_NS1_11comp_targetILNS1_3genE9ELNS1_11target_archE1100ELNS1_3gpuE3ELNS1_3repE0EEENS1_38merge_mergepath_config_static_selectorELNS0_4arch9wavefront6targetE1EEEvSL_
; %bb.0:
	.section	.rodata,"a",@progbits
	.p2align	6, 0x0
	.amdhsa_kernel _ZN7rocprim17ROCPRIM_400000_NS6detail17trampoline_kernelINS0_14default_configENS1_38merge_sort_block_merge_config_selectorIjNS0_10empty_typeEEEZZNS1_27merge_sort_block_merge_implIS3_N6thrust23THRUST_200600_302600_NS6detail15normal_iteratorINS9_10device_ptrIjEEEEPS5_jNS1_19radix_merge_compareILb0ELb0EjNS0_19identity_decomposerEEEEE10hipError_tT0_T1_T2_jT3_P12ihipStream_tbPNSt15iterator_traitsISK_E10value_typeEPNSQ_ISL_E10value_typeEPSM_NS1_7vsmem_tEENKUlT_SK_SL_SM_E_clISE_PjSF_SF_EESJ_SZ_SK_SL_SM_EUlSZ_E0_NS1_11comp_targetILNS1_3genE9ELNS1_11target_archE1100ELNS1_3gpuE3ELNS1_3repE0EEENS1_38merge_mergepath_config_static_selectorELNS0_4arch9wavefront6targetE1EEEvSL_
		.amdhsa_group_segment_fixed_size 0
		.amdhsa_private_segment_fixed_size 0
		.amdhsa_kernarg_size 64
		.amdhsa_user_sgpr_count 6
		.amdhsa_user_sgpr_private_segment_buffer 1
		.amdhsa_user_sgpr_dispatch_ptr 0
		.amdhsa_user_sgpr_queue_ptr 0
		.amdhsa_user_sgpr_kernarg_segment_ptr 1
		.amdhsa_user_sgpr_dispatch_id 0
		.amdhsa_user_sgpr_flat_scratch_init 0
		.amdhsa_user_sgpr_kernarg_preload_length 0
		.amdhsa_user_sgpr_kernarg_preload_offset 0
		.amdhsa_user_sgpr_private_segment_size 0
		.amdhsa_uses_dynamic_stack 0
		.amdhsa_system_sgpr_private_segment_wavefront_offset 0
		.amdhsa_system_sgpr_workgroup_id_x 1
		.amdhsa_system_sgpr_workgroup_id_y 0
		.amdhsa_system_sgpr_workgroup_id_z 0
		.amdhsa_system_sgpr_workgroup_info 0
		.amdhsa_system_vgpr_workitem_id 0
		.amdhsa_next_free_vgpr 1
		.amdhsa_next_free_sgpr 0
		.amdhsa_accum_offset 4
		.amdhsa_reserve_vcc 0
		.amdhsa_reserve_flat_scratch 0
		.amdhsa_float_round_mode_32 0
		.amdhsa_float_round_mode_16_64 0
		.amdhsa_float_denorm_mode_32 3
		.amdhsa_float_denorm_mode_16_64 3
		.amdhsa_dx10_clamp 1
		.amdhsa_ieee_mode 1
		.amdhsa_fp16_overflow 0
		.amdhsa_tg_split 0
		.amdhsa_exception_fp_ieee_invalid_op 0
		.amdhsa_exception_fp_denorm_src 0
		.amdhsa_exception_fp_ieee_div_zero 0
		.amdhsa_exception_fp_ieee_overflow 0
		.amdhsa_exception_fp_ieee_underflow 0
		.amdhsa_exception_fp_ieee_inexact 0
		.amdhsa_exception_int_div_zero 0
	.end_amdhsa_kernel
	.section	.text._ZN7rocprim17ROCPRIM_400000_NS6detail17trampoline_kernelINS0_14default_configENS1_38merge_sort_block_merge_config_selectorIjNS0_10empty_typeEEEZZNS1_27merge_sort_block_merge_implIS3_N6thrust23THRUST_200600_302600_NS6detail15normal_iteratorINS9_10device_ptrIjEEEEPS5_jNS1_19radix_merge_compareILb0ELb0EjNS0_19identity_decomposerEEEEE10hipError_tT0_T1_T2_jT3_P12ihipStream_tbPNSt15iterator_traitsISK_E10value_typeEPNSQ_ISL_E10value_typeEPSM_NS1_7vsmem_tEENKUlT_SK_SL_SM_E_clISE_PjSF_SF_EESJ_SZ_SK_SL_SM_EUlSZ_E0_NS1_11comp_targetILNS1_3genE9ELNS1_11target_archE1100ELNS1_3gpuE3ELNS1_3repE0EEENS1_38merge_mergepath_config_static_selectorELNS0_4arch9wavefront6targetE1EEEvSL_,"axG",@progbits,_ZN7rocprim17ROCPRIM_400000_NS6detail17trampoline_kernelINS0_14default_configENS1_38merge_sort_block_merge_config_selectorIjNS0_10empty_typeEEEZZNS1_27merge_sort_block_merge_implIS3_N6thrust23THRUST_200600_302600_NS6detail15normal_iteratorINS9_10device_ptrIjEEEEPS5_jNS1_19radix_merge_compareILb0ELb0EjNS0_19identity_decomposerEEEEE10hipError_tT0_T1_T2_jT3_P12ihipStream_tbPNSt15iterator_traitsISK_E10value_typeEPNSQ_ISL_E10value_typeEPSM_NS1_7vsmem_tEENKUlT_SK_SL_SM_E_clISE_PjSF_SF_EESJ_SZ_SK_SL_SM_EUlSZ_E0_NS1_11comp_targetILNS1_3genE9ELNS1_11target_archE1100ELNS1_3gpuE3ELNS1_3repE0EEENS1_38merge_mergepath_config_static_selectorELNS0_4arch9wavefront6targetE1EEEvSL_,comdat
.Lfunc_end1007:
	.size	_ZN7rocprim17ROCPRIM_400000_NS6detail17trampoline_kernelINS0_14default_configENS1_38merge_sort_block_merge_config_selectorIjNS0_10empty_typeEEEZZNS1_27merge_sort_block_merge_implIS3_N6thrust23THRUST_200600_302600_NS6detail15normal_iteratorINS9_10device_ptrIjEEEEPS5_jNS1_19radix_merge_compareILb0ELb0EjNS0_19identity_decomposerEEEEE10hipError_tT0_T1_T2_jT3_P12ihipStream_tbPNSt15iterator_traitsISK_E10value_typeEPNSQ_ISL_E10value_typeEPSM_NS1_7vsmem_tEENKUlT_SK_SL_SM_E_clISE_PjSF_SF_EESJ_SZ_SK_SL_SM_EUlSZ_E0_NS1_11comp_targetILNS1_3genE9ELNS1_11target_archE1100ELNS1_3gpuE3ELNS1_3repE0EEENS1_38merge_mergepath_config_static_selectorELNS0_4arch9wavefront6targetE1EEEvSL_, .Lfunc_end1007-_ZN7rocprim17ROCPRIM_400000_NS6detail17trampoline_kernelINS0_14default_configENS1_38merge_sort_block_merge_config_selectorIjNS0_10empty_typeEEEZZNS1_27merge_sort_block_merge_implIS3_N6thrust23THRUST_200600_302600_NS6detail15normal_iteratorINS9_10device_ptrIjEEEEPS5_jNS1_19radix_merge_compareILb0ELb0EjNS0_19identity_decomposerEEEEE10hipError_tT0_T1_T2_jT3_P12ihipStream_tbPNSt15iterator_traitsISK_E10value_typeEPNSQ_ISL_E10value_typeEPSM_NS1_7vsmem_tEENKUlT_SK_SL_SM_E_clISE_PjSF_SF_EESJ_SZ_SK_SL_SM_EUlSZ_E0_NS1_11comp_targetILNS1_3genE9ELNS1_11target_archE1100ELNS1_3gpuE3ELNS1_3repE0EEENS1_38merge_mergepath_config_static_selectorELNS0_4arch9wavefront6targetE1EEEvSL_
                                        ; -- End function
	.section	.AMDGPU.csdata,"",@progbits
; Kernel info:
; codeLenInByte = 0
; NumSgprs: 4
; NumVgprs: 0
; NumAgprs: 0
; TotalNumVgprs: 0
; ScratchSize: 0
; MemoryBound: 0
; FloatMode: 240
; IeeeMode: 1
; LDSByteSize: 0 bytes/workgroup (compile time only)
; SGPRBlocks: 0
; VGPRBlocks: 0
; NumSGPRsForWavesPerEU: 4
; NumVGPRsForWavesPerEU: 1
; AccumOffset: 4
; Occupancy: 8
; WaveLimiterHint : 0
; COMPUTE_PGM_RSRC2:SCRATCH_EN: 0
; COMPUTE_PGM_RSRC2:USER_SGPR: 6
; COMPUTE_PGM_RSRC2:TRAP_HANDLER: 0
; COMPUTE_PGM_RSRC2:TGID_X_EN: 1
; COMPUTE_PGM_RSRC2:TGID_Y_EN: 0
; COMPUTE_PGM_RSRC2:TGID_Z_EN: 0
; COMPUTE_PGM_RSRC2:TIDIG_COMP_CNT: 0
; COMPUTE_PGM_RSRC3_GFX90A:ACCUM_OFFSET: 0
; COMPUTE_PGM_RSRC3_GFX90A:TG_SPLIT: 0
	.section	.text._ZN7rocprim17ROCPRIM_400000_NS6detail17trampoline_kernelINS0_14default_configENS1_38merge_sort_block_merge_config_selectorIjNS0_10empty_typeEEEZZNS1_27merge_sort_block_merge_implIS3_N6thrust23THRUST_200600_302600_NS6detail15normal_iteratorINS9_10device_ptrIjEEEEPS5_jNS1_19radix_merge_compareILb0ELb0EjNS0_19identity_decomposerEEEEE10hipError_tT0_T1_T2_jT3_P12ihipStream_tbPNSt15iterator_traitsISK_E10value_typeEPNSQ_ISL_E10value_typeEPSM_NS1_7vsmem_tEENKUlT_SK_SL_SM_E_clISE_PjSF_SF_EESJ_SZ_SK_SL_SM_EUlSZ_E0_NS1_11comp_targetILNS1_3genE8ELNS1_11target_archE1030ELNS1_3gpuE2ELNS1_3repE0EEENS1_38merge_mergepath_config_static_selectorELNS0_4arch9wavefront6targetE1EEEvSL_,"axG",@progbits,_ZN7rocprim17ROCPRIM_400000_NS6detail17trampoline_kernelINS0_14default_configENS1_38merge_sort_block_merge_config_selectorIjNS0_10empty_typeEEEZZNS1_27merge_sort_block_merge_implIS3_N6thrust23THRUST_200600_302600_NS6detail15normal_iteratorINS9_10device_ptrIjEEEEPS5_jNS1_19radix_merge_compareILb0ELb0EjNS0_19identity_decomposerEEEEE10hipError_tT0_T1_T2_jT3_P12ihipStream_tbPNSt15iterator_traitsISK_E10value_typeEPNSQ_ISL_E10value_typeEPSM_NS1_7vsmem_tEENKUlT_SK_SL_SM_E_clISE_PjSF_SF_EESJ_SZ_SK_SL_SM_EUlSZ_E0_NS1_11comp_targetILNS1_3genE8ELNS1_11target_archE1030ELNS1_3gpuE2ELNS1_3repE0EEENS1_38merge_mergepath_config_static_selectorELNS0_4arch9wavefront6targetE1EEEvSL_,comdat
	.protected	_ZN7rocprim17ROCPRIM_400000_NS6detail17trampoline_kernelINS0_14default_configENS1_38merge_sort_block_merge_config_selectorIjNS0_10empty_typeEEEZZNS1_27merge_sort_block_merge_implIS3_N6thrust23THRUST_200600_302600_NS6detail15normal_iteratorINS9_10device_ptrIjEEEEPS5_jNS1_19radix_merge_compareILb0ELb0EjNS0_19identity_decomposerEEEEE10hipError_tT0_T1_T2_jT3_P12ihipStream_tbPNSt15iterator_traitsISK_E10value_typeEPNSQ_ISL_E10value_typeEPSM_NS1_7vsmem_tEENKUlT_SK_SL_SM_E_clISE_PjSF_SF_EESJ_SZ_SK_SL_SM_EUlSZ_E0_NS1_11comp_targetILNS1_3genE8ELNS1_11target_archE1030ELNS1_3gpuE2ELNS1_3repE0EEENS1_38merge_mergepath_config_static_selectorELNS0_4arch9wavefront6targetE1EEEvSL_ ; -- Begin function _ZN7rocprim17ROCPRIM_400000_NS6detail17trampoline_kernelINS0_14default_configENS1_38merge_sort_block_merge_config_selectorIjNS0_10empty_typeEEEZZNS1_27merge_sort_block_merge_implIS3_N6thrust23THRUST_200600_302600_NS6detail15normal_iteratorINS9_10device_ptrIjEEEEPS5_jNS1_19radix_merge_compareILb0ELb0EjNS0_19identity_decomposerEEEEE10hipError_tT0_T1_T2_jT3_P12ihipStream_tbPNSt15iterator_traitsISK_E10value_typeEPNSQ_ISL_E10value_typeEPSM_NS1_7vsmem_tEENKUlT_SK_SL_SM_E_clISE_PjSF_SF_EESJ_SZ_SK_SL_SM_EUlSZ_E0_NS1_11comp_targetILNS1_3genE8ELNS1_11target_archE1030ELNS1_3gpuE2ELNS1_3repE0EEENS1_38merge_mergepath_config_static_selectorELNS0_4arch9wavefront6targetE1EEEvSL_
	.globl	_ZN7rocprim17ROCPRIM_400000_NS6detail17trampoline_kernelINS0_14default_configENS1_38merge_sort_block_merge_config_selectorIjNS0_10empty_typeEEEZZNS1_27merge_sort_block_merge_implIS3_N6thrust23THRUST_200600_302600_NS6detail15normal_iteratorINS9_10device_ptrIjEEEEPS5_jNS1_19radix_merge_compareILb0ELb0EjNS0_19identity_decomposerEEEEE10hipError_tT0_T1_T2_jT3_P12ihipStream_tbPNSt15iterator_traitsISK_E10value_typeEPNSQ_ISL_E10value_typeEPSM_NS1_7vsmem_tEENKUlT_SK_SL_SM_E_clISE_PjSF_SF_EESJ_SZ_SK_SL_SM_EUlSZ_E0_NS1_11comp_targetILNS1_3genE8ELNS1_11target_archE1030ELNS1_3gpuE2ELNS1_3repE0EEENS1_38merge_mergepath_config_static_selectorELNS0_4arch9wavefront6targetE1EEEvSL_
	.p2align	8
	.type	_ZN7rocprim17ROCPRIM_400000_NS6detail17trampoline_kernelINS0_14default_configENS1_38merge_sort_block_merge_config_selectorIjNS0_10empty_typeEEEZZNS1_27merge_sort_block_merge_implIS3_N6thrust23THRUST_200600_302600_NS6detail15normal_iteratorINS9_10device_ptrIjEEEEPS5_jNS1_19radix_merge_compareILb0ELb0EjNS0_19identity_decomposerEEEEE10hipError_tT0_T1_T2_jT3_P12ihipStream_tbPNSt15iterator_traitsISK_E10value_typeEPNSQ_ISL_E10value_typeEPSM_NS1_7vsmem_tEENKUlT_SK_SL_SM_E_clISE_PjSF_SF_EESJ_SZ_SK_SL_SM_EUlSZ_E0_NS1_11comp_targetILNS1_3genE8ELNS1_11target_archE1030ELNS1_3gpuE2ELNS1_3repE0EEENS1_38merge_mergepath_config_static_selectorELNS0_4arch9wavefront6targetE1EEEvSL_,@function
_ZN7rocprim17ROCPRIM_400000_NS6detail17trampoline_kernelINS0_14default_configENS1_38merge_sort_block_merge_config_selectorIjNS0_10empty_typeEEEZZNS1_27merge_sort_block_merge_implIS3_N6thrust23THRUST_200600_302600_NS6detail15normal_iteratorINS9_10device_ptrIjEEEEPS5_jNS1_19radix_merge_compareILb0ELb0EjNS0_19identity_decomposerEEEEE10hipError_tT0_T1_T2_jT3_P12ihipStream_tbPNSt15iterator_traitsISK_E10value_typeEPNSQ_ISL_E10value_typeEPSM_NS1_7vsmem_tEENKUlT_SK_SL_SM_E_clISE_PjSF_SF_EESJ_SZ_SK_SL_SM_EUlSZ_E0_NS1_11comp_targetILNS1_3genE8ELNS1_11target_archE1030ELNS1_3gpuE2ELNS1_3repE0EEENS1_38merge_mergepath_config_static_selectorELNS0_4arch9wavefront6targetE1EEEvSL_: ; @_ZN7rocprim17ROCPRIM_400000_NS6detail17trampoline_kernelINS0_14default_configENS1_38merge_sort_block_merge_config_selectorIjNS0_10empty_typeEEEZZNS1_27merge_sort_block_merge_implIS3_N6thrust23THRUST_200600_302600_NS6detail15normal_iteratorINS9_10device_ptrIjEEEEPS5_jNS1_19radix_merge_compareILb0ELb0EjNS0_19identity_decomposerEEEEE10hipError_tT0_T1_T2_jT3_P12ihipStream_tbPNSt15iterator_traitsISK_E10value_typeEPNSQ_ISL_E10value_typeEPSM_NS1_7vsmem_tEENKUlT_SK_SL_SM_E_clISE_PjSF_SF_EESJ_SZ_SK_SL_SM_EUlSZ_E0_NS1_11comp_targetILNS1_3genE8ELNS1_11target_archE1030ELNS1_3gpuE2ELNS1_3repE0EEENS1_38merge_mergepath_config_static_selectorELNS0_4arch9wavefront6targetE1EEEvSL_
; %bb.0:
	.section	.rodata,"a",@progbits
	.p2align	6, 0x0
	.amdhsa_kernel _ZN7rocprim17ROCPRIM_400000_NS6detail17trampoline_kernelINS0_14default_configENS1_38merge_sort_block_merge_config_selectorIjNS0_10empty_typeEEEZZNS1_27merge_sort_block_merge_implIS3_N6thrust23THRUST_200600_302600_NS6detail15normal_iteratorINS9_10device_ptrIjEEEEPS5_jNS1_19radix_merge_compareILb0ELb0EjNS0_19identity_decomposerEEEEE10hipError_tT0_T1_T2_jT3_P12ihipStream_tbPNSt15iterator_traitsISK_E10value_typeEPNSQ_ISL_E10value_typeEPSM_NS1_7vsmem_tEENKUlT_SK_SL_SM_E_clISE_PjSF_SF_EESJ_SZ_SK_SL_SM_EUlSZ_E0_NS1_11comp_targetILNS1_3genE8ELNS1_11target_archE1030ELNS1_3gpuE2ELNS1_3repE0EEENS1_38merge_mergepath_config_static_selectorELNS0_4arch9wavefront6targetE1EEEvSL_
		.amdhsa_group_segment_fixed_size 0
		.amdhsa_private_segment_fixed_size 0
		.amdhsa_kernarg_size 64
		.amdhsa_user_sgpr_count 6
		.amdhsa_user_sgpr_private_segment_buffer 1
		.amdhsa_user_sgpr_dispatch_ptr 0
		.amdhsa_user_sgpr_queue_ptr 0
		.amdhsa_user_sgpr_kernarg_segment_ptr 1
		.amdhsa_user_sgpr_dispatch_id 0
		.amdhsa_user_sgpr_flat_scratch_init 0
		.amdhsa_user_sgpr_kernarg_preload_length 0
		.amdhsa_user_sgpr_kernarg_preload_offset 0
		.amdhsa_user_sgpr_private_segment_size 0
		.amdhsa_uses_dynamic_stack 0
		.amdhsa_system_sgpr_private_segment_wavefront_offset 0
		.amdhsa_system_sgpr_workgroup_id_x 1
		.amdhsa_system_sgpr_workgroup_id_y 0
		.amdhsa_system_sgpr_workgroup_id_z 0
		.amdhsa_system_sgpr_workgroup_info 0
		.amdhsa_system_vgpr_workitem_id 0
		.amdhsa_next_free_vgpr 1
		.amdhsa_next_free_sgpr 0
		.amdhsa_accum_offset 4
		.amdhsa_reserve_vcc 0
		.amdhsa_reserve_flat_scratch 0
		.amdhsa_float_round_mode_32 0
		.amdhsa_float_round_mode_16_64 0
		.amdhsa_float_denorm_mode_32 3
		.amdhsa_float_denorm_mode_16_64 3
		.amdhsa_dx10_clamp 1
		.amdhsa_ieee_mode 1
		.amdhsa_fp16_overflow 0
		.amdhsa_tg_split 0
		.amdhsa_exception_fp_ieee_invalid_op 0
		.amdhsa_exception_fp_denorm_src 0
		.amdhsa_exception_fp_ieee_div_zero 0
		.amdhsa_exception_fp_ieee_overflow 0
		.amdhsa_exception_fp_ieee_underflow 0
		.amdhsa_exception_fp_ieee_inexact 0
		.amdhsa_exception_int_div_zero 0
	.end_amdhsa_kernel
	.section	.text._ZN7rocprim17ROCPRIM_400000_NS6detail17trampoline_kernelINS0_14default_configENS1_38merge_sort_block_merge_config_selectorIjNS0_10empty_typeEEEZZNS1_27merge_sort_block_merge_implIS3_N6thrust23THRUST_200600_302600_NS6detail15normal_iteratorINS9_10device_ptrIjEEEEPS5_jNS1_19radix_merge_compareILb0ELb0EjNS0_19identity_decomposerEEEEE10hipError_tT0_T1_T2_jT3_P12ihipStream_tbPNSt15iterator_traitsISK_E10value_typeEPNSQ_ISL_E10value_typeEPSM_NS1_7vsmem_tEENKUlT_SK_SL_SM_E_clISE_PjSF_SF_EESJ_SZ_SK_SL_SM_EUlSZ_E0_NS1_11comp_targetILNS1_3genE8ELNS1_11target_archE1030ELNS1_3gpuE2ELNS1_3repE0EEENS1_38merge_mergepath_config_static_selectorELNS0_4arch9wavefront6targetE1EEEvSL_,"axG",@progbits,_ZN7rocprim17ROCPRIM_400000_NS6detail17trampoline_kernelINS0_14default_configENS1_38merge_sort_block_merge_config_selectorIjNS0_10empty_typeEEEZZNS1_27merge_sort_block_merge_implIS3_N6thrust23THRUST_200600_302600_NS6detail15normal_iteratorINS9_10device_ptrIjEEEEPS5_jNS1_19radix_merge_compareILb0ELb0EjNS0_19identity_decomposerEEEEE10hipError_tT0_T1_T2_jT3_P12ihipStream_tbPNSt15iterator_traitsISK_E10value_typeEPNSQ_ISL_E10value_typeEPSM_NS1_7vsmem_tEENKUlT_SK_SL_SM_E_clISE_PjSF_SF_EESJ_SZ_SK_SL_SM_EUlSZ_E0_NS1_11comp_targetILNS1_3genE8ELNS1_11target_archE1030ELNS1_3gpuE2ELNS1_3repE0EEENS1_38merge_mergepath_config_static_selectorELNS0_4arch9wavefront6targetE1EEEvSL_,comdat
.Lfunc_end1008:
	.size	_ZN7rocprim17ROCPRIM_400000_NS6detail17trampoline_kernelINS0_14default_configENS1_38merge_sort_block_merge_config_selectorIjNS0_10empty_typeEEEZZNS1_27merge_sort_block_merge_implIS3_N6thrust23THRUST_200600_302600_NS6detail15normal_iteratorINS9_10device_ptrIjEEEEPS5_jNS1_19radix_merge_compareILb0ELb0EjNS0_19identity_decomposerEEEEE10hipError_tT0_T1_T2_jT3_P12ihipStream_tbPNSt15iterator_traitsISK_E10value_typeEPNSQ_ISL_E10value_typeEPSM_NS1_7vsmem_tEENKUlT_SK_SL_SM_E_clISE_PjSF_SF_EESJ_SZ_SK_SL_SM_EUlSZ_E0_NS1_11comp_targetILNS1_3genE8ELNS1_11target_archE1030ELNS1_3gpuE2ELNS1_3repE0EEENS1_38merge_mergepath_config_static_selectorELNS0_4arch9wavefront6targetE1EEEvSL_, .Lfunc_end1008-_ZN7rocprim17ROCPRIM_400000_NS6detail17trampoline_kernelINS0_14default_configENS1_38merge_sort_block_merge_config_selectorIjNS0_10empty_typeEEEZZNS1_27merge_sort_block_merge_implIS3_N6thrust23THRUST_200600_302600_NS6detail15normal_iteratorINS9_10device_ptrIjEEEEPS5_jNS1_19radix_merge_compareILb0ELb0EjNS0_19identity_decomposerEEEEE10hipError_tT0_T1_T2_jT3_P12ihipStream_tbPNSt15iterator_traitsISK_E10value_typeEPNSQ_ISL_E10value_typeEPSM_NS1_7vsmem_tEENKUlT_SK_SL_SM_E_clISE_PjSF_SF_EESJ_SZ_SK_SL_SM_EUlSZ_E0_NS1_11comp_targetILNS1_3genE8ELNS1_11target_archE1030ELNS1_3gpuE2ELNS1_3repE0EEENS1_38merge_mergepath_config_static_selectorELNS0_4arch9wavefront6targetE1EEEvSL_
                                        ; -- End function
	.section	.AMDGPU.csdata,"",@progbits
; Kernel info:
; codeLenInByte = 0
; NumSgprs: 4
; NumVgprs: 0
; NumAgprs: 0
; TotalNumVgprs: 0
; ScratchSize: 0
; MemoryBound: 0
; FloatMode: 240
; IeeeMode: 1
; LDSByteSize: 0 bytes/workgroup (compile time only)
; SGPRBlocks: 0
; VGPRBlocks: 0
; NumSGPRsForWavesPerEU: 4
; NumVGPRsForWavesPerEU: 1
; AccumOffset: 4
; Occupancy: 8
; WaveLimiterHint : 0
; COMPUTE_PGM_RSRC2:SCRATCH_EN: 0
; COMPUTE_PGM_RSRC2:USER_SGPR: 6
; COMPUTE_PGM_RSRC2:TRAP_HANDLER: 0
; COMPUTE_PGM_RSRC2:TGID_X_EN: 1
; COMPUTE_PGM_RSRC2:TGID_Y_EN: 0
; COMPUTE_PGM_RSRC2:TGID_Z_EN: 0
; COMPUTE_PGM_RSRC2:TIDIG_COMP_CNT: 0
; COMPUTE_PGM_RSRC3_GFX90A:ACCUM_OFFSET: 0
; COMPUTE_PGM_RSRC3_GFX90A:TG_SPLIT: 0
	.section	.text._ZN7rocprim17ROCPRIM_400000_NS6detail17trampoline_kernelINS0_14default_configENS1_38merge_sort_block_merge_config_selectorIjNS0_10empty_typeEEEZZNS1_27merge_sort_block_merge_implIS3_N6thrust23THRUST_200600_302600_NS6detail15normal_iteratorINS9_10device_ptrIjEEEEPS5_jNS1_19radix_merge_compareILb0ELb0EjNS0_19identity_decomposerEEEEE10hipError_tT0_T1_T2_jT3_P12ihipStream_tbPNSt15iterator_traitsISK_E10value_typeEPNSQ_ISL_E10value_typeEPSM_NS1_7vsmem_tEENKUlT_SK_SL_SM_E_clISE_PjSF_SF_EESJ_SZ_SK_SL_SM_EUlSZ_E1_NS1_11comp_targetILNS1_3genE0ELNS1_11target_archE4294967295ELNS1_3gpuE0ELNS1_3repE0EEENS1_36merge_oddeven_config_static_selectorELNS0_4arch9wavefront6targetE1EEEvSL_,"axG",@progbits,_ZN7rocprim17ROCPRIM_400000_NS6detail17trampoline_kernelINS0_14default_configENS1_38merge_sort_block_merge_config_selectorIjNS0_10empty_typeEEEZZNS1_27merge_sort_block_merge_implIS3_N6thrust23THRUST_200600_302600_NS6detail15normal_iteratorINS9_10device_ptrIjEEEEPS5_jNS1_19radix_merge_compareILb0ELb0EjNS0_19identity_decomposerEEEEE10hipError_tT0_T1_T2_jT3_P12ihipStream_tbPNSt15iterator_traitsISK_E10value_typeEPNSQ_ISL_E10value_typeEPSM_NS1_7vsmem_tEENKUlT_SK_SL_SM_E_clISE_PjSF_SF_EESJ_SZ_SK_SL_SM_EUlSZ_E1_NS1_11comp_targetILNS1_3genE0ELNS1_11target_archE4294967295ELNS1_3gpuE0ELNS1_3repE0EEENS1_36merge_oddeven_config_static_selectorELNS0_4arch9wavefront6targetE1EEEvSL_,comdat
	.protected	_ZN7rocprim17ROCPRIM_400000_NS6detail17trampoline_kernelINS0_14default_configENS1_38merge_sort_block_merge_config_selectorIjNS0_10empty_typeEEEZZNS1_27merge_sort_block_merge_implIS3_N6thrust23THRUST_200600_302600_NS6detail15normal_iteratorINS9_10device_ptrIjEEEEPS5_jNS1_19radix_merge_compareILb0ELb0EjNS0_19identity_decomposerEEEEE10hipError_tT0_T1_T2_jT3_P12ihipStream_tbPNSt15iterator_traitsISK_E10value_typeEPNSQ_ISL_E10value_typeEPSM_NS1_7vsmem_tEENKUlT_SK_SL_SM_E_clISE_PjSF_SF_EESJ_SZ_SK_SL_SM_EUlSZ_E1_NS1_11comp_targetILNS1_3genE0ELNS1_11target_archE4294967295ELNS1_3gpuE0ELNS1_3repE0EEENS1_36merge_oddeven_config_static_selectorELNS0_4arch9wavefront6targetE1EEEvSL_ ; -- Begin function _ZN7rocprim17ROCPRIM_400000_NS6detail17trampoline_kernelINS0_14default_configENS1_38merge_sort_block_merge_config_selectorIjNS0_10empty_typeEEEZZNS1_27merge_sort_block_merge_implIS3_N6thrust23THRUST_200600_302600_NS6detail15normal_iteratorINS9_10device_ptrIjEEEEPS5_jNS1_19radix_merge_compareILb0ELb0EjNS0_19identity_decomposerEEEEE10hipError_tT0_T1_T2_jT3_P12ihipStream_tbPNSt15iterator_traitsISK_E10value_typeEPNSQ_ISL_E10value_typeEPSM_NS1_7vsmem_tEENKUlT_SK_SL_SM_E_clISE_PjSF_SF_EESJ_SZ_SK_SL_SM_EUlSZ_E1_NS1_11comp_targetILNS1_3genE0ELNS1_11target_archE4294967295ELNS1_3gpuE0ELNS1_3repE0EEENS1_36merge_oddeven_config_static_selectorELNS0_4arch9wavefront6targetE1EEEvSL_
	.globl	_ZN7rocprim17ROCPRIM_400000_NS6detail17trampoline_kernelINS0_14default_configENS1_38merge_sort_block_merge_config_selectorIjNS0_10empty_typeEEEZZNS1_27merge_sort_block_merge_implIS3_N6thrust23THRUST_200600_302600_NS6detail15normal_iteratorINS9_10device_ptrIjEEEEPS5_jNS1_19radix_merge_compareILb0ELb0EjNS0_19identity_decomposerEEEEE10hipError_tT0_T1_T2_jT3_P12ihipStream_tbPNSt15iterator_traitsISK_E10value_typeEPNSQ_ISL_E10value_typeEPSM_NS1_7vsmem_tEENKUlT_SK_SL_SM_E_clISE_PjSF_SF_EESJ_SZ_SK_SL_SM_EUlSZ_E1_NS1_11comp_targetILNS1_3genE0ELNS1_11target_archE4294967295ELNS1_3gpuE0ELNS1_3repE0EEENS1_36merge_oddeven_config_static_selectorELNS0_4arch9wavefront6targetE1EEEvSL_
	.p2align	8
	.type	_ZN7rocprim17ROCPRIM_400000_NS6detail17trampoline_kernelINS0_14default_configENS1_38merge_sort_block_merge_config_selectorIjNS0_10empty_typeEEEZZNS1_27merge_sort_block_merge_implIS3_N6thrust23THRUST_200600_302600_NS6detail15normal_iteratorINS9_10device_ptrIjEEEEPS5_jNS1_19radix_merge_compareILb0ELb0EjNS0_19identity_decomposerEEEEE10hipError_tT0_T1_T2_jT3_P12ihipStream_tbPNSt15iterator_traitsISK_E10value_typeEPNSQ_ISL_E10value_typeEPSM_NS1_7vsmem_tEENKUlT_SK_SL_SM_E_clISE_PjSF_SF_EESJ_SZ_SK_SL_SM_EUlSZ_E1_NS1_11comp_targetILNS1_3genE0ELNS1_11target_archE4294967295ELNS1_3gpuE0ELNS1_3repE0EEENS1_36merge_oddeven_config_static_selectorELNS0_4arch9wavefront6targetE1EEEvSL_,@function
_ZN7rocprim17ROCPRIM_400000_NS6detail17trampoline_kernelINS0_14default_configENS1_38merge_sort_block_merge_config_selectorIjNS0_10empty_typeEEEZZNS1_27merge_sort_block_merge_implIS3_N6thrust23THRUST_200600_302600_NS6detail15normal_iteratorINS9_10device_ptrIjEEEEPS5_jNS1_19radix_merge_compareILb0ELb0EjNS0_19identity_decomposerEEEEE10hipError_tT0_T1_T2_jT3_P12ihipStream_tbPNSt15iterator_traitsISK_E10value_typeEPNSQ_ISL_E10value_typeEPSM_NS1_7vsmem_tEENKUlT_SK_SL_SM_E_clISE_PjSF_SF_EESJ_SZ_SK_SL_SM_EUlSZ_E1_NS1_11comp_targetILNS1_3genE0ELNS1_11target_archE4294967295ELNS1_3gpuE0ELNS1_3repE0EEENS1_36merge_oddeven_config_static_selectorELNS0_4arch9wavefront6targetE1EEEvSL_: ; @_ZN7rocprim17ROCPRIM_400000_NS6detail17trampoline_kernelINS0_14default_configENS1_38merge_sort_block_merge_config_selectorIjNS0_10empty_typeEEEZZNS1_27merge_sort_block_merge_implIS3_N6thrust23THRUST_200600_302600_NS6detail15normal_iteratorINS9_10device_ptrIjEEEEPS5_jNS1_19radix_merge_compareILb0ELb0EjNS0_19identity_decomposerEEEEE10hipError_tT0_T1_T2_jT3_P12ihipStream_tbPNSt15iterator_traitsISK_E10value_typeEPNSQ_ISL_E10value_typeEPSM_NS1_7vsmem_tEENKUlT_SK_SL_SM_E_clISE_PjSF_SF_EESJ_SZ_SK_SL_SM_EUlSZ_E1_NS1_11comp_targetILNS1_3genE0ELNS1_11target_archE4294967295ELNS1_3gpuE0ELNS1_3repE0EEENS1_36merge_oddeven_config_static_selectorELNS0_4arch9wavefront6targetE1EEEvSL_
; %bb.0:
	.section	.rodata,"a",@progbits
	.p2align	6, 0x0
	.amdhsa_kernel _ZN7rocprim17ROCPRIM_400000_NS6detail17trampoline_kernelINS0_14default_configENS1_38merge_sort_block_merge_config_selectorIjNS0_10empty_typeEEEZZNS1_27merge_sort_block_merge_implIS3_N6thrust23THRUST_200600_302600_NS6detail15normal_iteratorINS9_10device_ptrIjEEEEPS5_jNS1_19radix_merge_compareILb0ELb0EjNS0_19identity_decomposerEEEEE10hipError_tT0_T1_T2_jT3_P12ihipStream_tbPNSt15iterator_traitsISK_E10value_typeEPNSQ_ISL_E10value_typeEPSM_NS1_7vsmem_tEENKUlT_SK_SL_SM_E_clISE_PjSF_SF_EESJ_SZ_SK_SL_SM_EUlSZ_E1_NS1_11comp_targetILNS1_3genE0ELNS1_11target_archE4294967295ELNS1_3gpuE0ELNS1_3repE0EEENS1_36merge_oddeven_config_static_selectorELNS0_4arch9wavefront6targetE1EEEvSL_
		.amdhsa_group_segment_fixed_size 0
		.amdhsa_private_segment_fixed_size 0
		.amdhsa_kernarg_size 48
		.amdhsa_user_sgpr_count 6
		.amdhsa_user_sgpr_private_segment_buffer 1
		.amdhsa_user_sgpr_dispatch_ptr 0
		.amdhsa_user_sgpr_queue_ptr 0
		.amdhsa_user_sgpr_kernarg_segment_ptr 1
		.amdhsa_user_sgpr_dispatch_id 0
		.amdhsa_user_sgpr_flat_scratch_init 0
		.amdhsa_user_sgpr_kernarg_preload_length 0
		.amdhsa_user_sgpr_kernarg_preload_offset 0
		.amdhsa_user_sgpr_private_segment_size 0
		.amdhsa_uses_dynamic_stack 0
		.amdhsa_system_sgpr_private_segment_wavefront_offset 0
		.amdhsa_system_sgpr_workgroup_id_x 1
		.amdhsa_system_sgpr_workgroup_id_y 0
		.amdhsa_system_sgpr_workgroup_id_z 0
		.amdhsa_system_sgpr_workgroup_info 0
		.amdhsa_system_vgpr_workitem_id 0
		.amdhsa_next_free_vgpr 1
		.amdhsa_next_free_sgpr 0
		.amdhsa_accum_offset 4
		.amdhsa_reserve_vcc 0
		.amdhsa_reserve_flat_scratch 0
		.amdhsa_float_round_mode_32 0
		.amdhsa_float_round_mode_16_64 0
		.amdhsa_float_denorm_mode_32 3
		.amdhsa_float_denorm_mode_16_64 3
		.amdhsa_dx10_clamp 1
		.amdhsa_ieee_mode 1
		.amdhsa_fp16_overflow 0
		.amdhsa_tg_split 0
		.amdhsa_exception_fp_ieee_invalid_op 0
		.amdhsa_exception_fp_denorm_src 0
		.amdhsa_exception_fp_ieee_div_zero 0
		.amdhsa_exception_fp_ieee_overflow 0
		.amdhsa_exception_fp_ieee_underflow 0
		.amdhsa_exception_fp_ieee_inexact 0
		.amdhsa_exception_int_div_zero 0
	.end_amdhsa_kernel
	.section	.text._ZN7rocprim17ROCPRIM_400000_NS6detail17trampoline_kernelINS0_14default_configENS1_38merge_sort_block_merge_config_selectorIjNS0_10empty_typeEEEZZNS1_27merge_sort_block_merge_implIS3_N6thrust23THRUST_200600_302600_NS6detail15normal_iteratorINS9_10device_ptrIjEEEEPS5_jNS1_19radix_merge_compareILb0ELb0EjNS0_19identity_decomposerEEEEE10hipError_tT0_T1_T2_jT3_P12ihipStream_tbPNSt15iterator_traitsISK_E10value_typeEPNSQ_ISL_E10value_typeEPSM_NS1_7vsmem_tEENKUlT_SK_SL_SM_E_clISE_PjSF_SF_EESJ_SZ_SK_SL_SM_EUlSZ_E1_NS1_11comp_targetILNS1_3genE0ELNS1_11target_archE4294967295ELNS1_3gpuE0ELNS1_3repE0EEENS1_36merge_oddeven_config_static_selectorELNS0_4arch9wavefront6targetE1EEEvSL_,"axG",@progbits,_ZN7rocprim17ROCPRIM_400000_NS6detail17trampoline_kernelINS0_14default_configENS1_38merge_sort_block_merge_config_selectorIjNS0_10empty_typeEEEZZNS1_27merge_sort_block_merge_implIS3_N6thrust23THRUST_200600_302600_NS6detail15normal_iteratorINS9_10device_ptrIjEEEEPS5_jNS1_19radix_merge_compareILb0ELb0EjNS0_19identity_decomposerEEEEE10hipError_tT0_T1_T2_jT3_P12ihipStream_tbPNSt15iterator_traitsISK_E10value_typeEPNSQ_ISL_E10value_typeEPSM_NS1_7vsmem_tEENKUlT_SK_SL_SM_E_clISE_PjSF_SF_EESJ_SZ_SK_SL_SM_EUlSZ_E1_NS1_11comp_targetILNS1_3genE0ELNS1_11target_archE4294967295ELNS1_3gpuE0ELNS1_3repE0EEENS1_36merge_oddeven_config_static_selectorELNS0_4arch9wavefront6targetE1EEEvSL_,comdat
.Lfunc_end1009:
	.size	_ZN7rocprim17ROCPRIM_400000_NS6detail17trampoline_kernelINS0_14default_configENS1_38merge_sort_block_merge_config_selectorIjNS0_10empty_typeEEEZZNS1_27merge_sort_block_merge_implIS3_N6thrust23THRUST_200600_302600_NS6detail15normal_iteratorINS9_10device_ptrIjEEEEPS5_jNS1_19radix_merge_compareILb0ELb0EjNS0_19identity_decomposerEEEEE10hipError_tT0_T1_T2_jT3_P12ihipStream_tbPNSt15iterator_traitsISK_E10value_typeEPNSQ_ISL_E10value_typeEPSM_NS1_7vsmem_tEENKUlT_SK_SL_SM_E_clISE_PjSF_SF_EESJ_SZ_SK_SL_SM_EUlSZ_E1_NS1_11comp_targetILNS1_3genE0ELNS1_11target_archE4294967295ELNS1_3gpuE0ELNS1_3repE0EEENS1_36merge_oddeven_config_static_selectorELNS0_4arch9wavefront6targetE1EEEvSL_, .Lfunc_end1009-_ZN7rocprim17ROCPRIM_400000_NS6detail17trampoline_kernelINS0_14default_configENS1_38merge_sort_block_merge_config_selectorIjNS0_10empty_typeEEEZZNS1_27merge_sort_block_merge_implIS3_N6thrust23THRUST_200600_302600_NS6detail15normal_iteratorINS9_10device_ptrIjEEEEPS5_jNS1_19radix_merge_compareILb0ELb0EjNS0_19identity_decomposerEEEEE10hipError_tT0_T1_T2_jT3_P12ihipStream_tbPNSt15iterator_traitsISK_E10value_typeEPNSQ_ISL_E10value_typeEPSM_NS1_7vsmem_tEENKUlT_SK_SL_SM_E_clISE_PjSF_SF_EESJ_SZ_SK_SL_SM_EUlSZ_E1_NS1_11comp_targetILNS1_3genE0ELNS1_11target_archE4294967295ELNS1_3gpuE0ELNS1_3repE0EEENS1_36merge_oddeven_config_static_selectorELNS0_4arch9wavefront6targetE1EEEvSL_
                                        ; -- End function
	.section	.AMDGPU.csdata,"",@progbits
; Kernel info:
; codeLenInByte = 0
; NumSgprs: 4
; NumVgprs: 0
; NumAgprs: 0
; TotalNumVgprs: 0
; ScratchSize: 0
; MemoryBound: 0
; FloatMode: 240
; IeeeMode: 1
; LDSByteSize: 0 bytes/workgroup (compile time only)
; SGPRBlocks: 0
; VGPRBlocks: 0
; NumSGPRsForWavesPerEU: 4
; NumVGPRsForWavesPerEU: 1
; AccumOffset: 4
; Occupancy: 8
; WaveLimiterHint : 0
; COMPUTE_PGM_RSRC2:SCRATCH_EN: 0
; COMPUTE_PGM_RSRC2:USER_SGPR: 6
; COMPUTE_PGM_RSRC2:TRAP_HANDLER: 0
; COMPUTE_PGM_RSRC2:TGID_X_EN: 1
; COMPUTE_PGM_RSRC2:TGID_Y_EN: 0
; COMPUTE_PGM_RSRC2:TGID_Z_EN: 0
; COMPUTE_PGM_RSRC2:TIDIG_COMP_CNT: 0
; COMPUTE_PGM_RSRC3_GFX90A:ACCUM_OFFSET: 0
; COMPUTE_PGM_RSRC3_GFX90A:TG_SPLIT: 0
	.section	.text._ZN7rocprim17ROCPRIM_400000_NS6detail17trampoline_kernelINS0_14default_configENS1_38merge_sort_block_merge_config_selectorIjNS0_10empty_typeEEEZZNS1_27merge_sort_block_merge_implIS3_N6thrust23THRUST_200600_302600_NS6detail15normal_iteratorINS9_10device_ptrIjEEEEPS5_jNS1_19radix_merge_compareILb0ELb0EjNS0_19identity_decomposerEEEEE10hipError_tT0_T1_T2_jT3_P12ihipStream_tbPNSt15iterator_traitsISK_E10value_typeEPNSQ_ISL_E10value_typeEPSM_NS1_7vsmem_tEENKUlT_SK_SL_SM_E_clISE_PjSF_SF_EESJ_SZ_SK_SL_SM_EUlSZ_E1_NS1_11comp_targetILNS1_3genE10ELNS1_11target_archE1201ELNS1_3gpuE5ELNS1_3repE0EEENS1_36merge_oddeven_config_static_selectorELNS0_4arch9wavefront6targetE1EEEvSL_,"axG",@progbits,_ZN7rocprim17ROCPRIM_400000_NS6detail17trampoline_kernelINS0_14default_configENS1_38merge_sort_block_merge_config_selectorIjNS0_10empty_typeEEEZZNS1_27merge_sort_block_merge_implIS3_N6thrust23THRUST_200600_302600_NS6detail15normal_iteratorINS9_10device_ptrIjEEEEPS5_jNS1_19radix_merge_compareILb0ELb0EjNS0_19identity_decomposerEEEEE10hipError_tT0_T1_T2_jT3_P12ihipStream_tbPNSt15iterator_traitsISK_E10value_typeEPNSQ_ISL_E10value_typeEPSM_NS1_7vsmem_tEENKUlT_SK_SL_SM_E_clISE_PjSF_SF_EESJ_SZ_SK_SL_SM_EUlSZ_E1_NS1_11comp_targetILNS1_3genE10ELNS1_11target_archE1201ELNS1_3gpuE5ELNS1_3repE0EEENS1_36merge_oddeven_config_static_selectorELNS0_4arch9wavefront6targetE1EEEvSL_,comdat
	.protected	_ZN7rocprim17ROCPRIM_400000_NS6detail17trampoline_kernelINS0_14default_configENS1_38merge_sort_block_merge_config_selectorIjNS0_10empty_typeEEEZZNS1_27merge_sort_block_merge_implIS3_N6thrust23THRUST_200600_302600_NS6detail15normal_iteratorINS9_10device_ptrIjEEEEPS5_jNS1_19radix_merge_compareILb0ELb0EjNS0_19identity_decomposerEEEEE10hipError_tT0_T1_T2_jT3_P12ihipStream_tbPNSt15iterator_traitsISK_E10value_typeEPNSQ_ISL_E10value_typeEPSM_NS1_7vsmem_tEENKUlT_SK_SL_SM_E_clISE_PjSF_SF_EESJ_SZ_SK_SL_SM_EUlSZ_E1_NS1_11comp_targetILNS1_3genE10ELNS1_11target_archE1201ELNS1_3gpuE5ELNS1_3repE0EEENS1_36merge_oddeven_config_static_selectorELNS0_4arch9wavefront6targetE1EEEvSL_ ; -- Begin function _ZN7rocprim17ROCPRIM_400000_NS6detail17trampoline_kernelINS0_14default_configENS1_38merge_sort_block_merge_config_selectorIjNS0_10empty_typeEEEZZNS1_27merge_sort_block_merge_implIS3_N6thrust23THRUST_200600_302600_NS6detail15normal_iteratorINS9_10device_ptrIjEEEEPS5_jNS1_19radix_merge_compareILb0ELb0EjNS0_19identity_decomposerEEEEE10hipError_tT0_T1_T2_jT3_P12ihipStream_tbPNSt15iterator_traitsISK_E10value_typeEPNSQ_ISL_E10value_typeEPSM_NS1_7vsmem_tEENKUlT_SK_SL_SM_E_clISE_PjSF_SF_EESJ_SZ_SK_SL_SM_EUlSZ_E1_NS1_11comp_targetILNS1_3genE10ELNS1_11target_archE1201ELNS1_3gpuE5ELNS1_3repE0EEENS1_36merge_oddeven_config_static_selectorELNS0_4arch9wavefront6targetE1EEEvSL_
	.globl	_ZN7rocprim17ROCPRIM_400000_NS6detail17trampoline_kernelINS0_14default_configENS1_38merge_sort_block_merge_config_selectorIjNS0_10empty_typeEEEZZNS1_27merge_sort_block_merge_implIS3_N6thrust23THRUST_200600_302600_NS6detail15normal_iteratorINS9_10device_ptrIjEEEEPS5_jNS1_19radix_merge_compareILb0ELb0EjNS0_19identity_decomposerEEEEE10hipError_tT0_T1_T2_jT3_P12ihipStream_tbPNSt15iterator_traitsISK_E10value_typeEPNSQ_ISL_E10value_typeEPSM_NS1_7vsmem_tEENKUlT_SK_SL_SM_E_clISE_PjSF_SF_EESJ_SZ_SK_SL_SM_EUlSZ_E1_NS1_11comp_targetILNS1_3genE10ELNS1_11target_archE1201ELNS1_3gpuE5ELNS1_3repE0EEENS1_36merge_oddeven_config_static_selectorELNS0_4arch9wavefront6targetE1EEEvSL_
	.p2align	8
	.type	_ZN7rocprim17ROCPRIM_400000_NS6detail17trampoline_kernelINS0_14default_configENS1_38merge_sort_block_merge_config_selectorIjNS0_10empty_typeEEEZZNS1_27merge_sort_block_merge_implIS3_N6thrust23THRUST_200600_302600_NS6detail15normal_iteratorINS9_10device_ptrIjEEEEPS5_jNS1_19radix_merge_compareILb0ELb0EjNS0_19identity_decomposerEEEEE10hipError_tT0_T1_T2_jT3_P12ihipStream_tbPNSt15iterator_traitsISK_E10value_typeEPNSQ_ISL_E10value_typeEPSM_NS1_7vsmem_tEENKUlT_SK_SL_SM_E_clISE_PjSF_SF_EESJ_SZ_SK_SL_SM_EUlSZ_E1_NS1_11comp_targetILNS1_3genE10ELNS1_11target_archE1201ELNS1_3gpuE5ELNS1_3repE0EEENS1_36merge_oddeven_config_static_selectorELNS0_4arch9wavefront6targetE1EEEvSL_,@function
_ZN7rocprim17ROCPRIM_400000_NS6detail17trampoline_kernelINS0_14default_configENS1_38merge_sort_block_merge_config_selectorIjNS0_10empty_typeEEEZZNS1_27merge_sort_block_merge_implIS3_N6thrust23THRUST_200600_302600_NS6detail15normal_iteratorINS9_10device_ptrIjEEEEPS5_jNS1_19radix_merge_compareILb0ELb0EjNS0_19identity_decomposerEEEEE10hipError_tT0_T1_T2_jT3_P12ihipStream_tbPNSt15iterator_traitsISK_E10value_typeEPNSQ_ISL_E10value_typeEPSM_NS1_7vsmem_tEENKUlT_SK_SL_SM_E_clISE_PjSF_SF_EESJ_SZ_SK_SL_SM_EUlSZ_E1_NS1_11comp_targetILNS1_3genE10ELNS1_11target_archE1201ELNS1_3gpuE5ELNS1_3repE0EEENS1_36merge_oddeven_config_static_selectorELNS0_4arch9wavefront6targetE1EEEvSL_: ; @_ZN7rocprim17ROCPRIM_400000_NS6detail17trampoline_kernelINS0_14default_configENS1_38merge_sort_block_merge_config_selectorIjNS0_10empty_typeEEEZZNS1_27merge_sort_block_merge_implIS3_N6thrust23THRUST_200600_302600_NS6detail15normal_iteratorINS9_10device_ptrIjEEEEPS5_jNS1_19radix_merge_compareILb0ELb0EjNS0_19identity_decomposerEEEEE10hipError_tT0_T1_T2_jT3_P12ihipStream_tbPNSt15iterator_traitsISK_E10value_typeEPNSQ_ISL_E10value_typeEPSM_NS1_7vsmem_tEENKUlT_SK_SL_SM_E_clISE_PjSF_SF_EESJ_SZ_SK_SL_SM_EUlSZ_E1_NS1_11comp_targetILNS1_3genE10ELNS1_11target_archE1201ELNS1_3gpuE5ELNS1_3repE0EEENS1_36merge_oddeven_config_static_selectorELNS0_4arch9wavefront6targetE1EEEvSL_
; %bb.0:
	.section	.rodata,"a",@progbits
	.p2align	6, 0x0
	.amdhsa_kernel _ZN7rocprim17ROCPRIM_400000_NS6detail17trampoline_kernelINS0_14default_configENS1_38merge_sort_block_merge_config_selectorIjNS0_10empty_typeEEEZZNS1_27merge_sort_block_merge_implIS3_N6thrust23THRUST_200600_302600_NS6detail15normal_iteratorINS9_10device_ptrIjEEEEPS5_jNS1_19radix_merge_compareILb0ELb0EjNS0_19identity_decomposerEEEEE10hipError_tT0_T1_T2_jT3_P12ihipStream_tbPNSt15iterator_traitsISK_E10value_typeEPNSQ_ISL_E10value_typeEPSM_NS1_7vsmem_tEENKUlT_SK_SL_SM_E_clISE_PjSF_SF_EESJ_SZ_SK_SL_SM_EUlSZ_E1_NS1_11comp_targetILNS1_3genE10ELNS1_11target_archE1201ELNS1_3gpuE5ELNS1_3repE0EEENS1_36merge_oddeven_config_static_selectorELNS0_4arch9wavefront6targetE1EEEvSL_
		.amdhsa_group_segment_fixed_size 0
		.amdhsa_private_segment_fixed_size 0
		.amdhsa_kernarg_size 48
		.amdhsa_user_sgpr_count 6
		.amdhsa_user_sgpr_private_segment_buffer 1
		.amdhsa_user_sgpr_dispatch_ptr 0
		.amdhsa_user_sgpr_queue_ptr 0
		.amdhsa_user_sgpr_kernarg_segment_ptr 1
		.amdhsa_user_sgpr_dispatch_id 0
		.amdhsa_user_sgpr_flat_scratch_init 0
		.amdhsa_user_sgpr_kernarg_preload_length 0
		.amdhsa_user_sgpr_kernarg_preload_offset 0
		.amdhsa_user_sgpr_private_segment_size 0
		.amdhsa_uses_dynamic_stack 0
		.amdhsa_system_sgpr_private_segment_wavefront_offset 0
		.amdhsa_system_sgpr_workgroup_id_x 1
		.amdhsa_system_sgpr_workgroup_id_y 0
		.amdhsa_system_sgpr_workgroup_id_z 0
		.amdhsa_system_sgpr_workgroup_info 0
		.amdhsa_system_vgpr_workitem_id 0
		.amdhsa_next_free_vgpr 1
		.amdhsa_next_free_sgpr 0
		.amdhsa_accum_offset 4
		.amdhsa_reserve_vcc 0
		.amdhsa_reserve_flat_scratch 0
		.amdhsa_float_round_mode_32 0
		.amdhsa_float_round_mode_16_64 0
		.amdhsa_float_denorm_mode_32 3
		.amdhsa_float_denorm_mode_16_64 3
		.amdhsa_dx10_clamp 1
		.amdhsa_ieee_mode 1
		.amdhsa_fp16_overflow 0
		.amdhsa_tg_split 0
		.amdhsa_exception_fp_ieee_invalid_op 0
		.amdhsa_exception_fp_denorm_src 0
		.amdhsa_exception_fp_ieee_div_zero 0
		.amdhsa_exception_fp_ieee_overflow 0
		.amdhsa_exception_fp_ieee_underflow 0
		.amdhsa_exception_fp_ieee_inexact 0
		.amdhsa_exception_int_div_zero 0
	.end_amdhsa_kernel
	.section	.text._ZN7rocprim17ROCPRIM_400000_NS6detail17trampoline_kernelINS0_14default_configENS1_38merge_sort_block_merge_config_selectorIjNS0_10empty_typeEEEZZNS1_27merge_sort_block_merge_implIS3_N6thrust23THRUST_200600_302600_NS6detail15normal_iteratorINS9_10device_ptrIjEEEEPS5_jNS1_19radix_merge_compareILb0ELb0EjNS0_19identity_decomposerEEEEE10hipError_tT0_T1_T2_jT3_P12ihipStream_tbPNSt15iterator_traitsISK_E10value_typeEPNSQ_ISL_E10value_typeEPSM_NS1_7vsmem_tEENKUlT_SK_SL_SM_E_clISE_PjSF_SF_EESJ_SZ_SK_SL_SM_EUlSZ_E1_NS1_11comp_targetILNS1_3genE10ELNS1_11target_archE1201ELNS1_3gpuE5ELNS1_3repE0EEENS1_36merge_oddeven_config_static_selectorELNS0_4arch9wavefront6targetE1EEEvSL_,"axG",@progbits,_ZN7rocprim17ROCPRIM_400000_NS6detail17trampoline_kernelINS0_14default_configENS1_38merge_sort_block_merge_config_selectorIjNS0_10empty_typeEEEZZNS1_27merge_sort_block_merge_implIS3_N6thrust23THRUST_200600_302600_NS6detail15normal_iteratorINS9_10device_ptrIjEEEEPS5_jNS1_19radix_merge_compareILb0ELb0EjNS0_19identity_decomposerEEEEE10hipError_tT0_T1_T2_jT3_P12ihipStream_tbPNSt15iterator_traitsISK_E10value_typeEPNSQ_ISL_E10value_typeEPSM_NS1_7vsmem_tEENKUlT_SK_SL_SM_E_clISE_PjSF_SF_EESJ_SZ_SK_SL_SM_EUlSZ_E1_NS1_11comp_targetILNS1_3genE10ELNS1_11target_archE1201ELNS1_3gpuE5ELNS1_3repE0EEENS1_36merge_oddeven_config_static_selectorELNS0_4arch9wavefront6targetE1EEEvSL_,comdat
.Lfunc_end1010:
	.size	_ZN7rocprim17ROCPRIM_400000_NS6detail17trampoline_kernelINS0_14default_configENS1_38merge_sort_block_merge_config_selectorIjNS0_10empty_typeEEEZZNS1_27merge_sort_block_merge_implIS3_N6thrust23THRUST_200600_302600_NS6detail15normal_iteratorINS9_10device_ptrIjEEEEPS5_jNS1_19radix_merge_compareILb0ELb0EjNS0_19identity_decomposerEEEEE10hipError_tT0_T1_T2_jT3_P12ihipStream_tbPNSt15iterator_traitsISK_E10value_typeEPNSQ_ISL_E10value_typeEPSM_NS1_7vsmem_tEENKUlT_SK_SL_SM_E_clISE_PjSF_SF_EESJ_SZ_SK_SL_SM_EUlSZ_E1_NS1_11comp_targetILNS1_3genE10ELNS1_11target_archE1201ELNS1_3gpuE5ELNS1_3repE0EEENS1_36merge_oddeven_config_static_selectorELNS0_4arch9wavefront6targetE1EEEvSL_, .Lfunc_end1010-_ZN7rocprim17ROCPRIM_400000_NS6detail17trampoline_kernelINS0_14default_configENS1_38merge_sort_block_merge_config_selectorIjNS0_10empty_typeEEEZZNS1_27merge_sort_block_merge_implIS3_N6thrust23THRUST_200600_302600_NS6detail15normal_iteratorINS9_10device_ptrIjEEEEPS5_jNS1_19radix_merge_compareILb0ELb0EjNS0_19identity_decomposerEEEEE10hipError_tT0_T1_T2_jT3_P12ihipStream_tbPNSt15iterator_traitsISK_E10value_typeEPNSQ_ISL_E10value_typeEPSM_NS1_7vsmem_tEENKUlT_SK_SL_SM_E_clISE_PjSF_SF_EESJ_SZ_SK_SL_SM_EUlSZ_E1_NS1_11comp_targetILNS1_3genE10ELNS1_11target_archE1201ELNS1_3gpuE5ELNS1_3repE0EEENS1_36merge_oddeven_config_static_selectorELNS0_4arch9wavefront6targetE1EEEvSL_
                                        ; -- End function
	.section	.AMDGPU.csdata,"",@progbits
; Kernel info:
; codeLenInByte = 0
; NumSgprs: 4
; NumVgprs: 0
; NumAgprs: 0
; TotalNumVgprs: 0
; ScratchSize: 0
; MemoryBound: 0
; FloatMode: 240
; IeeeMode: 1
; LDSByteSize: 0 bytes/workgroup (compile time only)
; SGPRBlocks: 0
; VGPRBlocks: 0
; NumSGPRsForWavesPerEU: 4
; NumVGPRsForWavesPerEU: 1
; AccumOffset: 4
; Occupancy: 8
; WaveLimiterHint : 0
; COMPUTE_PGM_RSRC2:SCRATCH_EN: 0
; COMPUTE_PGM_RSRC2:USER_SGPR: 6
; COMPUTE_PGM_RSRC2:TRAP_HANDLER: 0
; COMPUTE_PGM_RSRC2:TGID_X_EN: 1
; COMPUTE_PGM_RSRC2:TGID_Y_EN: 0
; COMPUTE_PGM_RSRC2:TGID_Z_EN: 0
; COMPUTE_PGM_RSRC2:TIDIG_COMP_CNT: 0
; COMPUTE_PGM_RSRC3_GFX90A:ACCUM_OFFSET: 0
; COMPUTE_PGM_RSRC3_GFX90A:TG_SPLIT: 0
	.section	.text._ZN7rocprim17ROCPRIM_400000_NS6detail17trampoline_kernelINS0_14default_configENS1_38merge_sort_block_merge_config_selectorIjNS0_10empty_typeEEEZZNS1_27merge_sort_block_merge_implIS3_N6thrust23THRUST_200600_302600_NS6detail15normal_iteratorINS9_10device_ptrIjEEEEPS5_jNS1_19radix_merge_compareILb0ELb0EjNS0_19identity_decomposerEEEEE10hipError_tT0_T1_T2_jT3_P12ihipStream_tbPNSt15iterator_traitsISK_E10value_typeEPNSQ_ISL_E10value_typeEPSM_NS1_7vsmem_tEENKUlT_SK_SL_SM_E_clISE_PjSF_SF_EESJ_SZ_SK_SL_SM_EUlSZ_E1_NS1_11comp_targetILNS1_3genE5ELNS1_11target_archE942ELNS1_3gpuE9ELNS1_3repE0EEENS1_36merge_oddeven_config_static_selectorELNS0_4arch9wavefront6targetE1EEEvSL_,"axG",@progbits,_ZN7rocprim17ROCPRIM_400000_NS6detail17trampoline_kernelINS0_14default_configENS1_38merge_sort_block_merge_config_selectorIjNS0_10empty_typeEEEZZNS1_27merge_sort_block_merge_implIS3_N6thrust23THRUST_200600_302600_NS6detail15normal_iteratorINS9_10device_ptrIjEEEEPS5_jNS1_19radix_merge_compareILb0ELb0EjNS0_19identity_decomposerEEEEE10hipError_tT0_T1_T2_jT3_P12ihipStream_tbPNSt15iterator_traitsISK_E10value_typeEPNSQ_ISL_E10value_typeEPSM_NS1_7vsmem_tEENKUlT_SK_SL_SM_E_clISE_PjSF_SF_EESJ_SZ_SK_SL_SM_EUlSZ_E1_NS1_11comp_targetILNS1_3genE5ELNS1_11target_archE942ELNS1_3gpuE9ELNS1_3repE0EEENS1_36merge_oddeven_config_static_selectorELNS0_4arch9wavefront6targetE1EEEvSL_,comdat
	.protected	_ZN7rocprim17ROCPRIM_400000_NS6detail17trampoline_kernelINS0_14default_configENS1_38merge_sort_block_merge_config_selectorIjNS0_10empty_typeEEEZZNS1_27merge_sort_block_merge_implIS3_N6thrust23THRUST_200600_302600_NS6detail15normal_iteratorINS9_10device_ptrIjEEEEPS5_jNS1_19radix_merge_compareILb0ELb0EjNS0_19identity_decomposerEEEEE10hipError_tT0_T1_T2_jT3_P12ihipStream_tbPNSt15iterator_traitsISK_E10value_typeEPNSQ_ISL_E10value_typeEPSM_NS1_7vsmem_tEENKUlT_SK_SL_SM_E_clISE_PjSF_SF_EESJ_SZ_SK_SL_SM_EUlSZ_E1_NS1_11comp_targetILNS1_3genE5ELNS1_11target_archE942ELNS1_3gpuE9ELNS1_3repE0EEENS1_36merge_oddeven_config_static_selectorELNS0_4arch9wavefront6targetE1EEEvSL_ ; -- Begin function _ZN7rocprim17ROCPRIM_400000_NS6detail17trampoline_kernelINS0_14default_configENS1_38merge_sort_block_merge_config_selectorIjNS0_10empty_typeEEEZZNS1_27merge_sort_block_merge_implIS3_N6thrust23THRUST_200600_302600_NS6detail15normal_iteratorINS9_10device_ptrIjEEEEPS5_jNS1_19radix_merge_compareILb0ELb0EjNS0_19identity_decomposerEEEEE10hipError_tT0_T1_T2_jT3_P12ihipStream_tbPNSt15iterator_traitsISK_E10value_typeEPNSQ_ISL_E10value_typeEPSM_NS1_7vsmem_tEENKUlT_SK_SL_SM_E_clISE_PjSF_SF_EESJ_SZ_SK_SL_SM_EUlSZ_E1_NS1_11comp_targetILNS1_3genE5ELNS1_11target_archE942ELNS1_3gpuE9ELNS1_3repE0EEENS1_36merge_oddeven_config_static_selectorELNS0_4arch9wavefront6targetE1EEEvSL_
	.globl	_ZN7rocprim17ROCPRIM_400000_NS6detail17trampoline_kernelINS0_14default_configENS1_38merge_sort_block_merge_config_selectorIjNS0_10empty_typeEEEZZNS1_27merge_sort_block_merge_implIS3_N6thrust23THRUST_200600_302600_NS6detail15normal_iteratorINS9_10device_ptrIjEEEEPS5_jNS1_19radix_merge_compareILb0ELb0EjNS0_19identity_decomposerEEEEE10hipError_tT0_T1_T2_jT3_P12ihipStream_tbPNSt15iterator_traitsISK_E10value_typeEPNSQ_ISL_E10value_typeEPSM_NS1_7vsmem_tEENKUlT_SK_SL_SM_E_clISE_PjSF_SF_EESJ_SZ_SK_SL_SM_EUlSZ_E1_NS1_11comp_targetILNS1_3genE5ELNS1_11target_archE942ELNS1_3gpuE9ELNS1_3repE0EEENS1_36merge_oddeven_config_static_selectorELNS0_4arch9wavefront6targetE1EEEvSL_
	.p2align	8
	.type	_ZN7rocprim17ROCPRIM_400000_NS6detail17trampoline_kernelINS0_14default_configENS1_38merge_sort_block_merge_config_selectorIjNS0_10empty_typeEEEZZNS1_27merge_sort_block_merge_implIS3_N6thrust23THRUST_200600_302600_NS6detail15normal_iteratorINS9_10device_ptrIjEEEEPS5_jNS1_19radix_merge_compareILb0ELb0EjNS0_19identity_decomposerEEEEE10hipError_tT0_T1_T2_jT3_P12ihipStream_tbPNSt15iterator_traitsISK_E10value_typeEPNSQ_ISL_E10value_typeEPSM_NS1_7vsmem_tEENKUlT_SK_SL_SM_E_clISE_PjSF_SF_EESJ_SZ_SK_SL_SM_EUlSZ_E1_NS1_11comp_targetILNS1_3genE5ELNS1_11target_archE942ELNS1_3gpuE9ELNS1_3repE0EEENS1_36merge_oddeven_config_static_selectorELNS0_4arch9wavefront6targetE1EEEvSL_,@function
_ZN7rocprim17ROCPRIM_400000_NS6detail17trampoline_kernelINS0_14default_configENS1_38merge_sort_block_merge_config_selectorIjNS0_10empty_typeEEEZZNS1_27merge_sort_block_merge_implIS3_N6thrust23THRUST_200600_302600_NS6detail15normal_iteratorINS9_10device_ptrIjEEEEPS5_jNS1_19radix_merge_compareILb0ELb0EjNS0_19identity_decomposerEEEEE10hipError_tT0_T1_T2_jT3_P12ihipStream_tbPNSt15iterator_traitsISK_E10value_typeEPNSQ_ISL_E10value_typeEPSM_NS1_7vsmem_tEENKUlT_SK_SL_SM_E_clISE_PjSF_SF_EESJ_SZ_SK_SL_SM_EUlSZ_E1_NS1_11comp_targetILNS1_3genE5ELNS1_11target_archE942ELNS1_3gpuE9ELNS1_3repE0EEENS1_36merge_oddeven_config_static_selectorELNS0_4arch9wavefront6targetE1EEEvSL_: ; @_ZN7rocprim17ROCPRIM_400000_NS6detail17trampoline_kernelINS0_14default_configENS1_38merge_sort_block_merge_config_selectorIjNS0_10empty_typeEEEZZNS1_27merge_sort_block_merge_implIS3_N6thrust23THRUST_200600_302600_NS6detail15normal_iteratorINS9_10device_ptrIjEEEEPS5_jNS1_19radix_merge_compareILb0ELb0EjNS0_19identity_decomposerEEEEE10hipError_tT0_T1_T2_jT3_P12ihipStream_tbPNSt15iterator_traitsISK_E10value_typeEPNSQ_ISL_E10value_typeEPSM_NS1_7vsmem_tEENKUlT_SK_SL_SM_E_clISE_PjSF_SF_EESJ_SZ_SK_SL_SM_EUlSZ_E1_NS1_11comp_targetILNS1_3genE5ELNS1_11target_archE942ELNS1_3gpuE9ELNS1_3repE0EEENS1_36merge_oddeven_config_static_selectorELNS0_4arch9wavefront6targetE1EEEvSL_
; %bb.0:
	.section	.rodata,"a",@progbits
	.p2align	6, 0x0
	.amdhsa_kernel _ZN7rocprim17ROCPRIM_400000_NS6detail17trampoline_kernelINS0_14default_configENS1_38merge_sort_block_merge_config_selectorIjNS0_10empty_typeEEEZZNS1_27merge_sort_block_merge_implIS3_N6thrust23THRUST_200600_302600_NS6detail15normal_iteratorINS9_10device_ptrIjEEEEPS5_jNS1_19radix_merge_compareILb0ELb0EjNS0_19identity_decomposerEEEEE10hipError_tT0_T1_T2_jT3_P12ihipStream_tbPNSt15iterator_traitsISK_E10value_typeEPNSQ_ISL_E10value_typeEPSM_NS1_7vsmem_tEENKUlT_SK_SL_SM_E_clISE_PjSF_SF_EESJ_SZ_SK_SL_SM_EUlSZ_E1_NS1_11comp_targetILNS1_3genE5ELNS1_11target_archE942ELNS1_3gpuE9ELNS1_3repE0EEENS1_36merge_oddeven_config_static_selectorELNS0_4arch9wavefront6targetE1EEEvSL_
		.amdhsa_group_segment_fixed_size 0
		.amdhsa_private_segment_fixed_size 0
		.amdhsa_kernarg_size 48
		.amdhsa_user_sgpr_count 6
		.amdhsa_user_sgpr_private_segment_buffer 1
		.amdhsa_user_sgpr_dispatch_ptr 0
		.amdhsa_user_sgpr_queue_ptr 0
		.amdhsa_user_sgpr_kernarg_segment_ptr 1
		.amdhsa_user_sgpr_dispatch_id 0
		.amdhsa_user_sgpr_flat_scratch_init 0
		.amdhsa_user_sgpr_kernarg_preload_length 0
		.amdhsa_user_sgpr_kernarg_preload_offset 0
		.amdhsa_user_sgpr_private_segment_size 0
		.amdhsa_uses_dynamic_stack 0
		.amdhsa_system_sgpr_private_segment_wavefront_offset 0
		.amdhsa_system_sgpr_workgroup_id_x 1
		.amdhsa_system_sgpr_workgroup_id_y 0
		.amdhsa_system_sgpr_workgroup_id_z 0
		.amdhsa_system_sgpr_workgroup_info 0
		.amdhsa_system_vgpr_workitem_id 0
		.amdhsa_next_free_vgpr 1
		.amdhsa_next_free_sgpr 0
		.amdhsa_accum_offset 4
		.amdhsa_reserve_vcc 0
		.amdhsa_reserve_flat_scratch 0
		.amdhsa_float_round_mode_32 0
		.amdhsa_float_round_mode_16_64 0
		.amdhsa_float_denorm_mode_32 3
		.amdhsa_float_denorm_mode_16_64 3
		.amdhsa_dx10_clamp 1
		.amdhsa_ieee_mode 1
		.amdhsa_fp16_overflow 0
		.amdhsa_tg_split 0
		.amdhsa_exception_fp_ieee_invalid_op 0
		.amdhsa_exception_fp_denorm_src 0
		.amdhsa_exception_fp_ieee_div_zero 0
		.amdhsa_exception_fp_ieee_overflow 0
		.amdhsa_exception_fp_ieee_underflow 0
		.amdhsa_exception_fp_ieee_inexact 0
		.amdhsa_exception_int_div_zero 0
	.end_amdhsa_kernel
	.section	.text._ZN7rocprim17ROCPRIM_400000_NS6detail17trampoline_kernelINS0_14default_configENS1_38merge_sort_block_merge_config_selectorIjNS0_10empty_typeEEEZZNS1_27merge_sort_block_merge_implIS3_N6thrust23THRUST_200600_302600_NS6detail15normal_iteratorINS9_10device_ptrIjEEEEPS5_jNS1_19radix_merge_compareILb0ELb0EjNS0_19identity_decomposerEEEEE10hipError_tT0_T1_T2_jT3_P12ihipStream_tbPNSt15iterator_traitsISK_E10value_typeEPNSQ_ISL_E10value_typeEPSM_NS1_7vsmem_tEENKUlT_SK_SL_SM_E_clISE_PjSF_SF_EESJ_SZ_SK_SL_SM_EUlSZ_E1_NS1_11comp_targetILNS1_3genE5ELNS1_11target_archE942ELNS1_3gpuE9ELNS1_3repE0EEENS1_36merge_oddeven_config_static_selectorELNS0_4arch9wavefront6targetE1EEEvSL_,"axG",@progbits,_ZN7rocprim17ROCPRIM_400000_NS6detail17trampoline_kernelINS0_14default_configENS1_38merge_sort_block_merge_config_selectorIjNS0_10empty_typeEEEZZNS1_27merge_sort_block_merge_implIS3_N6thrust23THRUST_200600_302600_NS6detail15normal_iteratorINS9_10device_ptrIjEEEEPS5_jNS1_19radix_merge_compareILb0ELb0EjNS0_19identity_decomposerEEEEE10hipError_tT0_T1_T2_jT3_P12ihipStream_tbPNSt15iterator_traitsISK_E10value_typeEPNSQ_ISL_E10value_typeEPSM_NS1_7vsmem_tEENKUlT_SK_SL_SM_E_clISE_PjSF_SF_EESJ_SZ_SK_SL_SM_EUlSZ_E1_NS1_11comp_targetILNS1_3genE5ELNS1_11target_archE942ELNS1_3gpuE9ELNS1_3repE0EEENS1_36merge_oddeven_config_static_selectorELNS0_4arch9wavefront6targetE1EEEvSL_,comdat
.Lfunc_end1011:
	.size	_ZN7rocprim17ROCPRIM_400000_NS6detail17trampoline_kernelINS0_14default_configENS1_38merge_sort_block_merge_config_selectorIjNS0_10empty_typeEEEZZNS1_27merge_sort_block_merge_implIS3_N6thrust23THRUST_200600_302600_NS6detail15normal_iteratorINS9_10device_ptrIjEEEEPS5_jNS1_19radix_merge_compareILb0ELb0EjNS0_19identity_decomposerEEEEE10hipError_tT0_T1_T2_jT3_P12ihipStream_tbPNSt15iterator_traitsISK_E10value_typeEPNSQ_ISL_E10value_typeEPSM_NS1_7vsmem_tEENKUlT_SK_SL_SM_E_clISE_PjSF_SF_EESJ_SZ_SK_SL_SM_EUlSZ_E1_NS1_11comp_targetILNS1_3genE5ELNS1_11target_archE942ELNS1_3gpuE9ELNS1_3repE0EEENS1_36merge_oddeven_config_static_selectorELNS0_4arch9wavefront6targetE1EEEvSL_, .Lfunc_end1011-_ZN7rocprim17ROCPRIM_400000_NS6detail17trampoline_kernelINS0_14default_configENS1_38merge_sort_block_merge_config_selectorIjNS0_10empty_typeEEEZZNS1_27merge_sort_block_merge_implIS3_N6thrust23THRUST_200600_302600_NS6detail15normal_iteratorINS9_10device_ptrIjEEEEPS5_jNS1_19radix_merge_compareILb0ELb0EjNS0_19identity_decomposerEEEEE10hipError_tT0_T1_T2_jT3_P12ihipStream_tbPNSt15iterator_traitsISK_E10value_typeEPNSQ_ISL_E10value_typeEPSM_NS1_7vsmem_tEENKUlT_SK_SL_SM_E_clISE_PjSF_SF_EESJ_SZ_SK_SL_SM_EUlSZ_E1_NS1_11comp_targetILNS1_3genE5ELNS1_11target_archE942ELNS1_3gpuE9ELNS1_3repE0EEENS1_36merge_oddeven_config_static_selectorELNS0_4arch9wavefront6targetE1EEEvSL_
                                        ; -- End function
	.section	.AMDGPU.csdata,"",@progbits
; Kernel info:
; codeLenInByte = 0
; NumSgprs: 4
; NumVgprs: 0
; NumAgprs: 0
; TotalNumVgprs: 0
; ScratchSize: 0
; MemoryBound: 0
; FloatMode: 240
; IeeeMode: 1
; LDSByteSize: 0 bytes/workgroup (compile time only)
; SGPRBlocks: 0
; VGPRBlocks: 0
; NumSGPRsForWavesPerEU: 4
; NumVGPRsForWavesPerEU: 1
; AccumOffset: 4
; Occupancy: 8
; WaveLimiterHint : 0
; COMPUTE_PGM_RSRC2:SCRATCH_EN: 0
; COMPUTE_PGM_RSRC2:USER_SGPR: 6
; COMPUTE_PGM_RSRC2:TRAP_HANDLER: 0
; COMPUTE_PGM_RSRC2:TGID_X_EN: 1
; COMPUTE_PGM_RSRC2:TGID_Y_EN: 0
; COMPUTE_PGM_RSRC2:TGID_Z_EN: 0
; COMPUTE_PGM_RSRC2:TIDIG_COMP_CNT: 0
; COMPUTE_PGM_RSRC3_GFX90A:ACCUM_OFFSET: 0
; COMPUTE_PGM_RSRC3_GFX90A:TG_SPLIT: 0
	.section	.text._ZN7rocprim17ROCPRIM_400000_NS6detail17trampoline_kernelINS0_14default_configENS1_38merge_sort_block_merge_config_selectorIjNS0_10empty_typeEEEZZNS1_27merge_sort_block_merge_implIS3_N6thrust23THRUST_200600_302600_NS6detail15normal_iteratorINS9_10device_ptrIjEEEEPS5_jNS1_19radix_merge_compareILb0ELb0EjNS0_19identity_decomposerEEEEE10hipError_tT0_T1_T2_jT3_P12ihipStream_tbPNSt15iterator_traitsISK_E10value_typeEPNSQ_ISL_E10value_typeEPSM_NS1_7vsmem_tEENKUlT_SK_SL_SM_E_clISE_PjSF_SF_EESJ_SZ_SK_SL_SM_EUlSZ_E1_NS1_11comp_targetILNS1_3genE4ELNS1_11target_archE910ELNS1_3gpuE8ELNS1_3repE0EEENS1_36merge_oddeven_config_static_selectorELNS0_4arch9wavefront6targetE1EEEvSL_,"axG",@progbits,_ZN7rocprim17ROCPRIM_400000_NS6detail17trampoline_kernelINS0_14default_configENS1_38merge_sort_block_merge_config_selectorIjNS0_10empty_typeEEEZZNS1_27merge_sort_block_merge_implIS3_N6thrust23THRUST_200600_302600_NS6detail15normal_iteratorINS9_10device_ptrIjEEEEPS5_jNS1_19radix_merge_compareILb0ELb0EjNS0_19identity_decomposerEEEEE10hipError_tT0_T1_T2_jT3_P12ihipStream_tbPNSt15iterator_traitsISK_E10value_typeEPNSQ_ISL_E10value_typeEPSM_NS1_7vsmem_tEENKUlT_SK_SL_SM_E_clISE_PjSF_SF_EESJ_SZ_SK_SL_SM_EUlSZ_E1_NS1_11comp_targetILNS1_3genE4ELNS1_11target_archE910ELNS1_3gpuE8ELNS1_3repE0EEENS1_36merge_oddeven_config_static_selectorELNS0_4arch9wavefront6targetE1EEEvSL_,comdat
	.protected	_ZN7rocprim17ROCPRIM_400000_NS6detail17trampoline_kernelINS0_14default_configENS1_38merge_sort_block_merge_config_selectorIjNS0_10empty_typeEEEZZNS1_27merge_sort_block_merge_implIS3_N6thrust23THRUST_200600_302600_NS6detail15normal_iteratorINS9_10device_ptrIjEEEEPS5_jNS1_19radix_merge_compareILb0ELb0EjNS0_19identity_decomposerEEEEE10hipError_tT0_T1_T2_jT3_P12ihipStream_tbPNSt15iterator_traitsISK_E10value_typeEPNSQ_ISL_E10value_typeEPSM_NS1_7vsmem_tEENKUlT_SK_SL_SM_E_clISE_PjSF_SF_EESJ_SZ_SK_SL_SM_EUlSZ_E1_NS1_11comp_targetILNS1_3genE4ELNS1_11target_archE910ELNS1_3gpuE8ELNS1_3repE0EEENS1_36merge_oddeven_config_static_selectorELNS0_4arch9wavefront6targetE1EEEvSL_ ; -- Begin function _ZN7rocprim17ROCPRIM_400000_NS6detail17trampoline_kernelINS0_14default_configENS1_38merge_sort_block_merge_config_selectorIjNS0_10empty_typeEEEZZNS1_27merge_sort_block_merge_implIS3_N6thrust23THRUST_200600_302600_NS6detail15normal_iteratorINS9_10device_ptrIjEEEEPS5_jNS1_19radix_merge_compareILb0ELb0EjNS0_19identity_decomposerEEEEE10hipError_tT0_T1_T2_jT3_P12ihipStream_tbPNSt15iterator_traitsISK_E10value_typeEPNSQ_ISL_E10value_typeEPSM_NS1_7vsmem_tEENKUlT_SK_SL_SM_E_clISE_PjSF_SF_EESJ_SZ_SK_SL_SM_EUlSZ_E1_NS1_11comp_targetILNS1_3genE4ELNS1_11target_archE910ELNS1_3gpuE8ELNS1_3repE0EEENS1_36merge_oddeven_config_static_selectorELNS0_4arch9wavefront6targetE1EEEvSL_
	.globl	_ZN7rocprim17ROCPRIM_400000_NS6detail17trampoline_kernelINS0_14default_configENS1_38merge_sort_block_merge_config_selectorIjNS0_10empty_typeEEEZZNS1_27merge_sort_block_merge_implIS3_N6thrust23THRUST_200600_302600_NS6detail15normal_iteratorINS9_10device_ptrIjEEEEPS5_jNS1_19radix_merge_compareILb0ELb0EjNS0_19identity_decomposerEEEEE10hipError_tT0_T1_T2_jT3_P12ihipStream_tbPNSt15iterator_traitsISK_E10value_typeEPNSQ_ISL_E10value_typeEPSM_NS1_7vsmem_tEENKUlT_SK_SL_SM_E_clISE_PjSF_SF_EESJ_SZ_SK_SL_SM_EUlSZ_E1_NS1_11comp_targetILNS1_3genE4ELNS1_11target_archE910ELNS1_3gpuE8ELNS1_3repE0EEENS1_36merge_oddeven_config_static_selectorELNS0_4arch9wavefront6targetE1EEEvSL_
	.p2align	8
	.type	_ZN7rocprim17ROCPRIM_400000_NS6detail17trampoline_kernelINS0_14default_configENS1_38merge_sort_block_merge_config_selectorIjNS0_10empty_typeEEEZZNS1_27merge_sort_block_merge_implIS3_N6thrust23THRUST_200600_302600_NS6detail15normal_iteratorINS9_10device_ptrIjEEEEPS5_jNS1_19radix_merge_compareILb0ELb0EjNS0_19identity_decomposerEEEEE10hipError_tT0_T1_T2_jT3_P12ihipStream_tbPNSt15iterator_traitsISK_E10value_typeEPNSQ_ISL_E10value_typeEPSM_NS1_7vsmem_tEENKUlT_SK_SL_SM_E_clISE_PjSF_SF_EESJ_SZ_SK_SL_SM_EUlSZ_E1_NS1_11comp_targetILNS1_3genE4ELNS1_11target_archE910ELNS1_3gpuE8ELNS1_3repE0EEENS1_36merge_oddeven_config_static_selectorELNS0_4arch9wavefront6targetE1EEEvSL_,@function
_ZN7rocprim17ROCPRIM_400000_NS6detail17trampoline_kernelINS0_14default_configENS1_38merge_sort_block_merge_config_selectorIjNS0_10empty_typeEEEZZNS1_27merge_sort_block_merge_implIS3_N6thrust23THRUST_200600_302600_NS6detail15normal_iteratorINS9_10device_ptrIjEEEEPS5_jNS1_19radix_merge_compareILb0ELb0EjNS0_19identity_decomposerEEEEE10hipError_tT0_T1_T2_jT3_P12ihipStream_tbPNSt15iterator_traitsISK_E10value_typeEPNSQ_ISL_E10value_typeEPSM_NS1_7vsmem_tEENKUlT_SK_SL_SM_E_clISE_PjSF_SF_EESJ_SZ_SK_SL_SM_EUlSZ_E1_NS1_11comp_targetILNS1_3genE4ELNS1_11target_archE910ELNS1_3gpuE8ELNS1_3repE0EEENS1_36merge_oddeven_config_static_selectorELNS0_4arch9wavefront6targetE1EEEvSL_: ; @_ZN7rocprim17ROCPRIM_400000_NS6detail17trampoline_kernelINS0_14default_configENS1_38merge_sort_block_merge_config_selectorIjNS0_10empty_typeEEEZZNS1_27merge_sort_block_merge_implIS3_N6thrust23THRUST_200600_302600_NS6detail15normal_iteratorINS9_10device_ptrIjEEEEPS5_jNS1_19radix_merge_compareILb0ELb0EjNS0_19identity_decomposerEEEEE10hipError_tT0_T1_T2_jT3_P12ihipStream_tbPNSt15iterator_traitsISK_E10value_typeEPNSQ_ISL_E10value_typeEPSM_NS1_7vsmem_tEENKUlT_SK_SL_SM_E_clISE_PjSF_SF_EESJ_SZ_SK_SL_SM_EUlSZ_E1_NS1_11comp_targetILNS1_3genE4ELNS1_11target_archE910ELNS1_3gpuE8ELNS1_3repE0EEENS1_36merge_oddeven_config_static_selectorELNS0_4arch9wavefront6targetE1EEEvSL_
; %bb.0:
	s_load_dword s18, s[4:5], 0x20
	s_waitcnt lgkmcnt(0)
	s_lshr_b32 s0, s18, 8
	s_cmp_lg_u32 s6, s0
	s_cselect_b64 s[14:15], -1, 0
	s_cmp_eq_u32 s6, s0
	s_cselect_b64 s[12:13], -1, 0
	s_lshl_b32 s16, s6, 8
	s_sub_i32 s0, s18, s16
	v_cmp_gt_u32_e64 s[2:3], s0, v0
	s_or_b64 s[0:1], s[14:15], s[2:3]
	s_and_saveexec_b64 s[8:9], s[0:1]
	s_cbranch_execz .LBB1012_20
; %bb.1:
	s_load_dwordx4 s[8:11], s[4:5], 0x0
	s_load_dword s19, s[4:5], 0x24
	s_mov_b32 s17, 0
	s_lshl_b64 s[0:1], s[16:17], 2
	v_lshlrev_b32_e32 v1, 2, v0
	s_waitcnt lgkmcnt(0)
	s_add_u32 s0, s8, s0
	s_addc_u32 s1, s9, s1
	global_load_dword v2, v1, s[0:1]
	s_lshr_b32 s0, s19, 8
	s_sub_i32 s1, 0, s0
	s_and_b32 s1, s6, s1
	s_and_b32 s0, s1, s0
	s_lshl_b32 s20, s1, 8
	s_sub_i32 s6, 0, s19
	s_cmp_eq_u32 s0, 0
	s_cselect_b64 s[0:1], -1, 0
	s_and_b64 s[4:5], s[0:1], exec
	s_cselect_b32 s17, s19, s6
	s_add_i32 s17, s17, s20
	s_cmp_lt_u32 s17, s18
	v_add_u32_e32 v0, s16, v0
	s_cbranch_scc1 .LBB1012_3
; %bb.2:
	v_cmp_gt_u32_e32 vcc, s18, v0
	s_or_b64 s[4:5], vcc, s[14:15]
	s_and_b64 s[4:5], s[4:5], exec
	s_cbranch_execz .LBB1012_4
	s_branch .LBB1012_18
.LBB1012_3:
	s_mov_b64 s[4:5], 0
.LBB1012_4:
	s_min_u32 s14, s17, s18
	s_add_i32 s6, s14, s19
	s_min_u32 s15, s6, s18
	s_min_u32 s6, s20, s14
	s_add_i32 s20, s20, s14
	v_subrev_u32_e32 v0, s20, v0
	v_add_u32_e32 v3, s6, v0
	s_and_b64 vcc, exec, s[12:13]
	s_cbranch_vccz .LBB1012_12
; %bb.5:
                                        ; implicit-def: $vgpr0
	s_and_saveexec_b64 s[6:7], s[2:3]
	s_cbranch_execz .LBB1012_11
; %bb.6:
	s_cmp_ge_u32 s17, s15
	v_mov_b32_e32 v4, s14
	s_cbranch_scc1 .LBB1012_10
; %bb.7:
	s_mov_b64 s[2:3], 0
	v_mov_b32_e32 v5, s15
	v_mov_b32_e32 v4, s14
	;; [unrolled: 1-line block ×4, first 2 shown]
.LBB1012_8:                             ; =>This Inner Loop Header: Depth=1
	v_add_u32_e32 v0, v4, v5
	v_lshrrev_b32_e32 v0, 1, v0
	v_lshlrev_b64 v[8:9], 2, v[0:1]
	v_add_co_u32_e32 v8, vcc, s8, v8
	v_addc_co_u32_e32 v9, vcc, v6, v9, vcc
	global_load_dword v7, v[8:9], off
	v_add_u32_e32 v8, 1, v0
	s_waitcnt vmcnt(0)
	v_cmp_gt_u32_e32 vcc, v2, v7
	v_cndmask_b32_e64 v9, 0, 1, vcc
	v_cmp_le_u32_e32 vcc, v7, v2
	v_cndmask_b32_e64 v7, 0, 1, vcc
	v_cndmask_b32_e64 v7, v7, v9, s[0:1]
	v_and_b32_e32 v7, 1, v7
	v_cmp_eq_u32_e32 vcc, 1, v7
	v_cndmask_b32_e32 v5, v0, v5, vcc
	v_cndmask_b32_e32 v4, v4, v8, vcc
	v_cmp_ge_u32_e32 vcc, v4, v5
	s_or_b64 s[2:3], vcc, s[2:3]
	s_andn2_b64 exec, exec, s[2:3]
	s_cbranch_execnz .LBB1012_8
; %bb.9:
	s_or_b64 exec, exec, s[2:3]
.LBB1012_10:
	v_add_u32_e32 v0, v4, v3
	s_or_b64 s[4:5], s[4:5], exec
.LBB1012_11:
	s_or_b64 exec, exec, s[6:7]
	s_branch .LBB1012_18
.LBB1012_12:
                                        ; implicit-def: $vgpr0
	s_cbranch_execz .LBB1012_18
; %bb.13:
	s_cmp_ge_u32 s17, s15
	v_mov_b32_e32 v4, s14
	s_cbranch_scc1 .LBB1012_17
; %bb.14:
	s_mov_b64 s[2:3], 0
	v_mov_b32_e32 v5, s15
	v_mov_b32_e32 v4, s14
	v_mov_b32_e32 v1, 0
	v_mov_b32_e32 v6, s9
.LBB1012_15:                            ; =>This Inner Loop Header: Depth=1
	v_add_u32_e32 v0, v4, v5
	v_lshrrev_b32_e32 v0, 1, v0
	v_lshlrev_b64 v[8:9], 2, v[0:1]
	v_add_co_u32_e32 v8, vcc, s8, v8
	v_addc_co_u32_e32 v9, vcc, v6, v9, vcc
	global_load_dword v7, v[8:9], off
	v_add_u32_e32 v8, 1, v0
	s_waitcnt vmcnt(0)
	v_cmp_gt_u32_e32 vcc, v2, v7
	v_cndmask_b32_e64 v9, 0, 1, vcc
	v_cmp_le_u32_e32 vcc, v7, v2
	v_cndmask_b32_e64 v7, 0, 1, vcc
	v_cndmask_b32_e64 v7, v7, v9, s[0:1]
	v_and_b32_e32 v7, 1, v7
	v_cmp_eq_u32_e32 vcc, 1, v7
	v_cndmask_b32_e32 v5, v0, v5, vcc
	v_cndmask_b32_e32 v4, v4, v8, vcc
	v_cmp_ge_u32_e32 vcc, v4, v5
	s_or_b64 s[2:3], vcc, s[2:3]
	s_andn2_b64 exec, exec, s[2:3]
	s_cbranch_execnz .LBB1012_15
; %bb.16:
	s_or_b64 exec, exec, s[2:3]
.LBB1012_17:
	v_add_u32_e32 v0, v4, v3
	s_mov_b64 s[4:5], -1
.LBB1012_18:
	s_and_b64 exec, exec, s[4:5]
	s_cbranch_execz .LBB1012_20
; %bb.19:
	v_mov_b32_e32 v1, 0
	v_lshlrev_b64 v[0:1], 2, v[0:1]
	v_mov_b32_e32 v3, s11
	v_add_co_u32_e32 v0, vcc, s10, v0
	v_addc_co_u32_e32 v1, vcc, v3, v1, vcc
	s_waitcnt vmcnt(0)
	global_store_dword v[0:1], v2, off
.LBB1012_20:
	s_endpgm
	.section	.rodata,"a",@progbits
	.p2align	6, 0x0
	.amdhsa_kernel _ZN7rocprim17ROCPRIM_400000_NS6detail17trampoline_kernelINS0_14default_configENS1_38merge_sort_block_merge_config_selectorIjNS0_10empty_typeEEEZZNS1_27merge_sort_block_merge_implIS3_N6thrust23THRUST_200600_302600_NS6detail15normal_iteratorINS9_10device_ptrIjEEEEPS5_jNS1_19radix_merge_compareILb0ELb0EjNS0_19identity_decomposerEEEEE10hipError_tT0_T1_T2_jT3_P12ihipStream_tbPNSt15iterator_traitsISK_E10value_typeEPNSQ_ISL_E10value_typeEPSM_NS1_7vsmem_tEENKUlT_SK_SL_SM_E_clISE_PjSF_SF_EESJ_SZ_SK_SL_SM_EUlSZ_E1_NS1_11comp_targetILNS1_3genE4ELNS1_11target_archE910ELNS1_3gpuE8ELNS1_3repE0EEENS1_36merge_oddeven_config_static_selectorELNS0_4arch9wavefront6targetE1EEEvSL_
		.amdhsa_group_segment_fixed_size 0
		.amdhsa_private_segment_fixed_size 0
		.amdhsa_kernarg_size 48
		.amdhsa_user_sgpr_count 6
		.amdhsa_user_sgpr_private_segment_buffer 1
		.amdhsa_user_sgpr_dispatch_ptr 0
		.amdhsa_user_sgpr_queue_ptr 0
		.amdhsa_user_sgpr_kernarg_segment_ptr 1
		.amdhsa_user_sgpr_dispatch_id 0
		.amdhsa_user_sgpr_flat_scratch_init 0
		.amdhsa_user_sgpr_kernarg_preload_length 0
		.amdhsa_user_sgpr_kernarg_preload_offset 0
		.amdhsa_user_sgpr_private_segment_size 0
		.amdhsa_uses_dynamic_stack 0
		.amdhsa_system_sgpr_private_segment_wavefront_offset 0
		.amdhsa_system_sgpr_workgroup_id_x 1
		.amdhsa_system_sgpr_workgroup_id_y 0
		.amdhsa_system_sgpr_workgroup_id_z 0
		.amdhsa_system_sgpr_workgroup_info 0
		.amdhsa_system_vgpr_workitem_id 0
		.amdhsa_next_free_vgpr 10
		.amdhsa_next_free_sgpr 21
		.amdhsa_accum_offset 12
		.amdhsa_reserve_vcc 1
		.amdhsa_reserve_flat_scratch 0
		.amdhsa_float_round_mode_32 0
		.amdhsa_float_round_mode_16_64 0
		.amdhsa_float_denorm_mode_32 3
		.amdhsa_float_denorm_mode_16_64 3
		.amdhsa_dx10_clamp 1
		.amdhsa_ieee_mode 1
		.amdhsa_fp16_overflow 0
		.amdhsa_tg_split 0
		.amdhsa_exception_fp_ieee_invalid_op 0
		.amdhsa_exception_fp_denorm_src 0
		.amdhsa_exception_fp_ieee_div_zero 0
		.amdhsa_exception_fp_ieee_overflow 0
		.amdhsa_exception_fp_ieee_underflow 0
		.amdhsa_exception_fp_ieee_inexact 0
		.amdhsa_exception_int_div_zero 0
	.end_amdhsa_kernel
	.section	.text._ZN7rocprim17ROCPRIM_400000_NS6detail17trampoline_kernelINS0_14default_configENS1_38merge_sort_block_merge_config_selectorIjNS0_10empty_typeEEEZZNS1_27merge_sort_block_merge_implIS3_N6thrust23THRUST_200600_302600_NS6detail15normal_iteratorINS9_10device_ptrIjEEEEPS5_jNS1_19radix_merge_compareILb0ELb0EjNS0_19identity_decomposerEEEEE10hipError_tT0_T1_T2_jT3_P12ihipStream_tbPNSt15iterator_traitsISK_E10value_typeEPNSQ_ISL_E10value_typeEPSM_NS1_7vsmem_tEENKUlT_SK_SL_SM_E_clISE_PjSF_SF_EESJ_SZ_SK_SL_SM_EUlSZ_E1_NS1_11comp_targetILNS1_3genE4ELNS1_11target_archE910ELNS1_3gpuE8ELNS1_3repE0EEENS1_36merge_oddeven_config_static_selectorELNS0_4arch9wavefront6targetE1EEEvSL_,"axG",@progbits,_ZN7rocprim17ROCPRIM_400000_NS6detail17trampoline_kernelINS0_14default_configENS1_38merge_sort_block_merge_config_selectorIjNS0_10empty_typeEEEZZNS1_27merge_sort_block_merge_implIS3_N6thrust23THRUST_200600_302600_NS6detail15normal_iteratorINS9_10device_ptrIjEEEEPS5_jNS1_19radix_merge_compareILb0ELb0EjNS0_19identity_decomposerEEEEE10hipError_tT0_T1_T2_jT3_P12ihipStream_tbPNSt15iterator_traitsISK_E10value_typeEPNSQ_ISL_E10value_typeEPSM_NS1_7vsmem_tEENKUlT_SK_SL_SM_E_clISE_PjSF_SF_EESJ_SZ_SK_SL_SM_EUlSZ_E1_NS1_11comp_targetILNS1_3genE4ELNS1_11target_archE910ELNS1_3gpuE8ELNS1_3repE0EEENS1_36merge_oddeven_config_static_selectorELNS0_4arch9wavefront6targetE1EEEvSL_,comdat
.Lfunc_end1012:
	.size	_ZN7rocprim17ROCPRIM_400000_NS6detail17trampoline_kernelINS0_14default_configENS1_38merge_sort_block_merge_config_selectorIjNS0_10empty_typeEEEZZNS1_27merge_sort_block_merge_implIS3_N6thrust23THRUST_200600_302600_NS6detail15normal_iteratorINS9_10device_ptrIjEEEEPS5_jNS1_19radix_merge_compareILb0ELb0EjNS0_19identity_decomposerEEEEE10hipError_tT0_T1_T2_jT3_P12ihipStream_tbPNSt15iterator_traitsISK_E10value_typeEPNSQ_ISL_E10value_typeEPSM_NS1_7vsmem_tEENKUlT_SK_SL_SM_E_clISE_PjSF_SF_EESJ_SZ_SK_SL_SM_EUlSZ_E1_NS1_11comp_targetILNS1_3genE4ELNS1_11target_archE910ELNS1_3gpuE8ELNS1_3repE0EEENS1_36merge_oddeven_config_static_selectorELNS0_4arch9wavefront6targetE1EEEvSL_, .Lfunc_end1012-_ZN7rocprim17ROCPRIM_400000_NS6detail17trampoline_kernelINS0_14default_configENS1_38merge_sort_block_merge_config_selectorIjNS0_10empty_typeEEEZZNS1_27merge_sort_block_merge_implIS3_N6thrust23THRUST_200600_302600_NS6detail15normal_iteratorINS9_10device_ptrIjEEEEPS5_jNS1_19radix_merge_compareILb0ELb0EjNS0_19identity_decomposerEEEEE10hipError_tT0_T1_T2_jT3_P12ihipStream_tbPNSt15iterator_traitsISK_E10value_typeEPNSQ_ISL_E10value_typeEPSM_NS1_7vsmem_tEENKUlT_SK_SL_SM_E_clISE_PjSF_SF_EESJ_SZ_SK_SL_SM_EUlSZ_E1_NS1_11comp_targetILNS1_3genE4ELNS1_11target_archE910ELNS1_3gpuE8ELNS1_3repE0EEENS1_36merge_oddeven_config_static_selectorELNS0_4arch9wavefront6targetE1EEEvSL_
                                        ; -- End function
	.section	.AMDGPU.csdata,"",@progbits
; Kernel info:
; codeLenInByte = 588
; NumSgprs: 25
; NumVgprs: 10
; NumAgprs: 0
; TotalNumVgprs: 10
; ScratchSize: 0
; MemoryBound: 0
; FloatMode: 240
; IeeeMode: 1
; LDSByteSize: 0 bytes/workgroup (compile time only)
; SGPRBlocks: 3
; VGPRBlocks: 1
; NumSGPRsForWavesPerEU: 25
; NumVGPRsForWavesPerEU: 10
; AccumOffset: 12
; Occupancy: 8
; WaveLimiterHint : 0
; COMPUTE_PGM_RSRC2:SCRATCH_EN: 0
; COMPUTE_PGM_RSRC2:USER_SGPR: 6
; COMPUTE_PGM_RSRC2:TRAP_HANDLER: 0
; COMPUTE_PGM_RSRC2:TGID_X_EN: 1
; COMPUTE_PGM_RSRC2:TGID_Y_EN: 0
; COMPUTE_PGM_RSRC2:TGID_Z_EN: 0
; COMPUTE_PGM_RSRC2:TIDIG_COMP_CNT: 0
; COMPUTE_PGM_RSRC3_GFX90A:ACCUM_OFFSET: 2
; COMPUTE_PGM_RSRC3_GFX90A:TG_SPLIT: 0
	.section	.text._ZN7rocprim17ROCPRIM_400000_NS6detail17trampoline_kernelINS0_14default_configENS1_38merge_sort_block_merge_config_selectorIjNS0_10empty_typeEEEZZNS1_27merge_sort_block_merge_implIS3_N6thrust23THRUST_200600_302600_NS6detail15normal_iteratorINS9_10device_ptrIjEEEEPS5_jNS1_19radix_merge_compareILb0ELb0EjNS0_19identity_decomposerEEEEE10hipError_tT0_T1_T2_jT3_P12ihipStream_tbPNSt15iterator_traitsISK_E10value_typeEPNSQ_ISL_E10value_typeEPSM_NS1_7vsmem_tEENKUlT_SK_SL_SM_E_clISE_PjSF_SF_EESJ_SZ_SK_SL_SM_EUlSZ_E1_NS1_11comp_targetILNS1_3genE3ELNS1_11target_archE908ELNS1_3gpuE7ELNS1_3repE0EEENS1_36merge_oddeven_config_static_selectorELNS0_4arch9wavefront6targetE1EEEvSL_,"axG",@progbits,_ZN7rocprim17ROCPRIM_400000_NS6detail17trampoline_kernelINS0_14default_configENS1_38merge_sort_block_merge_config_selectorIjNS0_10empty_typeEEEZZNS1_27merge_sort_block_merge_implIS3_N6thrust23THRUST_200600_302600_NS6detail15normal_iteratorINS9_10device_ptrIjEEEEPS5_jNS1_19radix_merge_compareILb0ELb0EjNS0_19identity_decomposerEEEEE10hipError_tT0_T1_T2_jT3_P12ihipStream_tbPNSt15iterator_traitsISK_E10value_typeEPNSQ_ISL_E10value_typeEPSM_NS1_7vsmem_tEENKUlT_SK_SL_SM_E_clISE_PjSF_SF_EESJ_SZ_SK_SL_SM_EUlSZ_E1_NS1_11comp_targetILNS1_3genE3ELNS1_11target_archE908ELNS1_3gpuE7ELNS1_3repE0EEENS1_36merge_oddeven_config_static_selectorELNS0_4arch9wavefront6targetE1EEEvSL_,comdat
	.protected	_ZN7rocprim17ROCPRIM_400000_NS6detail17trampoline_kernelINS0_14default_configENS1_38merge_sort_block_merge_config_selectorIjNS0_10empty_typeEEEZZNS1_27merge_sort_block_merge_implIS3_N6thrust23THRUST_200600_302600_NS6detail15normal_iteratorINS9_10device_ptrIjEEEEPS5_jNS1_19radix_merge_compareILb0ELb0EjNS0_19identity_decomposerEEEEE10hipError_tT0_T1_T2_jT3_P12ihipStream_tbPNSt15iterator_traitsISK_E10value_typeEPNSQ_ISL_E10value_typeEPSM_NS1_7vsmem_tEENKUlT_SK_SL_SM_E_clISE_PjSF_SF_EESJ_SZ_SK_SL_SM_EUlSZ_E1_NS1_11comp_targetILNS1_3genE3ELNS1_11target_archE908ELNS1_3gpuE7ELNS1_3repE0EEENS1_36merge_oddeven_config_static_selectorELNS0_4arch9wavefront6targetE1EEEvSL_ ; -- Begin function _ZN7rocprim17ROCPRIM_400000_NS6detail17trampoline_kernelINS0_14default_configENS1_38merge_sort_block_merge_config_selectorIjNS0_10empty_typeEEEZZNS1_27merge_sort_block_merge_implIS3_N6thrust23THRUST_200600_302600_NS6detail15normal_iteratorINS9_10device_ptrIjEEEEPS5_jNS1_19radix_merge_compareILb0ELb0EjNS0_19identity_decomposerEEEEE10hipError_tT0_T1_T2_jT3_P12ihipStream_tbPNSt15iterator_traitsISK_E10value_typeEPNSQ_ISL_E10value_typeEPSM_NS1_7vsmem_tEENKUlT_SK_SL_SM_E_clISE_PjSF_SF_EESJ_SZ_SK_SL_SM_EUlSZ_E1_NS1_11comp_targetILNS1_3genE3ELNS1_11target_archE908ELNS1_3gpuE7ELNS1_3repE0EEENS1_36merge_oddeven_config_static_selectorELNS0_4arch9wavefront6targetE1EEEvSL_
	.globl	_ZN7rocprim17ROCPRIM_400000_NS6detail17trampoline_kernelINS0_14default_configENS1_38merge_sort_block_merge_config_selectorIjNS0_10empty_typeEEEZZNS1_27merge_sort_block_merge_implIS3_N6thrust23THRUST_200600_302600_NS6detail15normal_iteratorINS9_10device_ptrIjEEEEPS5_jNS1_19radix_merge_compareILb0ELb0EjNS0_19identity_decomposerEEEEE10hipError_tT0_T1_T2_jT3_P12ihipStream_tbPNSt15iterator_traitsISK_E10value_typeEPNSQ_ISL_E10value_typeEPSM_NS1_7vsmem_tEENKUlT_SK_SL_SM_E_clISE_PjSF_SF_EESJ_SZ_SK_SL_SM_EUlSZ_E1_NS1_11comp_targetILNS1_3genE3ELNS1_11target_archE908ELNS1_3gpuE7ELNS1_3repE0EEENS1_36merge_oddeven_config_static_selectorELNS0_4arch9wavefront6targetE1EEEvSL_
	.p2align	8
	.type	_ZN7rocprim17ROCPRIM_400000_NS6detail17trampoline_kernelINS0_14default_configENS1_38merge_sort_block_merge_config_selectorIjNS0_10empty_typeEEEZZNS1_27merge_sort_block_merge_implIS3_N6thrust23THRUST_200600_302600_NS6detail15normal_iteratorINS9_10device_ptrIjEEEEPS5_jNS1_19radix_merge_compareILb0ELb0EjNS0_19identity_decomposerEEEEE10hipError_tT0_T1_T2_jT3_P12ihipStream_tbPNSt15iterator_traitsISK_E10value_typeEPNSQ_ISL_E10value_typeEPSM_NS1_7vsmem_tEENKUlT_SK_SL_SM_E_clISE_PjSF_SF_EESJ_SZ_SK_SL_SM_EUlSZ_E1_NS1_11comp_targetILNS1_3genE3ELNS1_11target_archE908ELNS1_3gpuE7ELNS1_3repE0EEENS1_36merge_oddeven_config_static_selectorELNS0_4arch9wavefront6targetE1EEEvSL_,@function
_ZN7rocprim17ROCPRIM_400000_NS6detail17trampoline_kernelINS0_14default_configENS1_38merge_sort_block_merge_config_selectorIjNS0_10empty_typeEEEZZNS1_27merge_sort_block_merge_implIS3_N6thrust23THRUST_200600_302600_NS6detail15normal_iteratorINS9_10device_ptrIjEEEEPS5_jNS1_19radix_merge_compareILb0ELb0EjNS0_19identity_decomposerEEEEE10hipError_tT0_T1_T2_jT3_P12ihipStream_tbPNSt15iterator_traitsISK_E10value_typeEPNSQ_ISL_E10value_typeEPSM_NS1_7vsmem_tEENKUlT_SK_SL_SM_E_clISE_PjSF_SF_EESJ_SZ_SK_SL_SM_EUlSZ_E1_NS1_11comp_targetILNS1_3genE3ELNS1_11target_archE908ELNS1_3gpuE7ELNS1_3repE0EEENS1_36merge_oddeven_config_static_selectorELNS0_4arch9wavefront6targetE1EEEvSL_: ; @_ZN7rocprim17ROCPRIM_400000_NS6detail17trampoline_kernelINS0_14default_configENS1_38merge_sort_block_merge_config_selectorIjNS0_10empty_typeEEEZZNS1_27merge_sort_block_merge_implIS3_N6thrust23THRUST_200600_302600_NS6detail15normal_iteratorINS9_10device_ptrIjEEEEPS5_jNS1_19radix_merge_compareILb0ELb0EjNS0_19identity_decomposerEEEEE10hipError_tT0_T1_T2_jT3_P12ihipStream_tbPNSt15iterator_traitsISK_E10value_typeEPNSQ_ISL_E10value_typeEPSM_NS1_7vsmem_tEENKUlT_SK_SL_SM_E_clISE_PjSF_SF_EESJ_SZ_SK_SL_SM_EUlSZ_E1_NS1_11comp_targetILNS1_3genE3ELNS1_11target_archE908ELNS1_3gpuE7ELNS1_3repE0EEENS1_36merge_oddeven_config_static_selectorELNS0_4arch9wavefront6targetE1EEEvSL_
; %bb.0:
	.section	.rodata,"a",@progbits
	.p2align	6, 0x0
	.amdhsa_kernel _ZN7rocprim17ROCPRIM_400000_NS6detail17trampoline_kernelINS0_14default_configENS1_38merge_sort_block_merge_config_selectorIjNS0_10empty_typeEEEZZNS1_27merge_sort_block_merge_implIS3_N6thrust23THRUST_200600_302600_NS6detail15normal_iteratorINS9_10device_ptrIjEEEEPS5_jNS1_19radix_merge_compareILb0ELb0EjNS0_19identity_decomposerEEEEE10hipError_tT0_T1_T2_jT3_P12ihipStream_tbPNSt15iterator_traitsISK_E10value_typeEPNSQ_ISL_E10value_typeEPSM_NS1_7vsmem_tEENKUlT_SK_SL_SM_E_clISE_PjSF_SF_EESJ_SZ_SK_SL_SM_EUlSZ_E1_NS1_11comp_targetILNS1_3genE3ELNS1_11target_archE908ELNS1_3gpuE7ELNS1_3repE0EEENS1_36merge_oddeven_config_static_selectorELNS0_4arch9wavefront6targetE1EEEvSL_
		.amdhsa_group_segment_fixed_size 0
		.amdhsa_private_segment_fixed_size 0
		.amdhsa_kernarg_size 48
		.amdhsa_user_sgpr_count 6
		.amdhsa_user_sgpr_private_segment_buffer 1
		.amdhsa_user_sgpr_dispatch_ptr 0
		.amdhsa_user_sgpr_queue_ptr 0
		.amdhsa_user_sgpr_kernarg_segment_ptr 1
		.amdhsa_user_sgpr_dispatch_id 0
		.amdhsa_user_sgpr_flat_scratch_init 0
		.amdhsa_user_sgpr_kernarg_preload_length 0
		.amdhsa_user_sgpr_kernarg_preload_offset 0
		.amdhsa_user_sgpr_private_segment_size 0
		.amdhsa_uses_dynamic_stack 0
		.amdhsa_system_sgpr_private_segment_wavefront_offset 0
		.amdhsa_system_sgpr_workgroup_id_x 1
		.amdhsa_system_sgpr_workgroup_id_y 0
		.amdhsa_system_sgpr_workgroup_id_z 0
		.amdhsa_system_sgpr_workgroup_info 0
		.amdhsa_system_vgpr_workitem_id 0
		.amdhsa_next_free_vgpr 1
		.amdhsa_next_free_sgpr 0
		.amdhsa_accum_offset 4
		.amdhsa_reserve_vcc 0
		.amdhsa_reserve_flat_scratch 0
		.amdhsa_float_round_mode_32 0
		.amdhsa_float_round_mode_16_64 0
		.amdhsa_float_denorm_mode_32 3
		.amdhsa_float_denorm_mode_16_64 3
		.amdhsa_dx10_clamp 1
		.amdhsa_ieee_mode 1
		.amdhsa_fp16_overflow 0
		.amdhsa_tg_split 0
		.amdhsa_exception_fp_ieee_invalid_op 0
		.amdhsa_exception_fp_denorm_src 0
		.amdhsa_exception_fp_ieee_div_zero 0
		.amdhsa_exception_fp_ieee_overflow 0
		.amdhsa_exception_fp_ieee_underflow 0
		.amdhsa_exception_fp_ieee_inexact 0
		.amdhsa_exception_int_div_zero 0
	.end_amdhsa_kernel
	.section	.text._ZN7rocprim17ROCPRIM_400000_NS6detail17trampoline_kernelINS0_14default_configENS1_38merge_sort_block_merge_config_selectorIjNS0_10empty_typeEEEZZNS1_27merge_sort_block_merge_implIS3_N6thrust23THRUST_200600_302600_NS6detail15normal_iteratorINS9_10device_ptrIjEEEEPS5_jNS1_19radix_merge_compareILb0ELb0EjNS0_19identity_decomposerEEEEE10hipError_tT0_T1_T2_jT3_P12ihipStream_tbPNSt15iterator_traitsISK_E10value_typeEPNSQ_ISL_E10value_typeEPSM_NS1_7vsmem_tEENKUlT_SK_SL_SM_E_clISE_PjSF_SF_EESJ_SZ_SK_SL_SM_EUlSZ_E1_NS1_11comp_targetILNS1_3genE3ELNS1_11target_archE908ELNS1_3gpuE7ELNS1_3repE0EEENS1_36merge_oddeven_config_static_selectorELNS0_4arch9wavefront6targetE1EEEvSL_,"axG",@progbits,_ZN7rocprim17ROCPRIM_400000_NS6detail17trampoline_kernelINS0_14default_configENS1_38merge_sort_block_merge_config_selectorIjNS0_10empty_typeEEEZZNS1_27merge_sort_block_merge_implIS3_N6thrust23THRUST_200600_302600_NS6detail15normal_iteratorINS9_10device_ptrIjEEEEPS5_jNS1_19radix_merge_compareILb0ELb0EjNS0_19identity_decomposerEEEEE10hipError_tT0_T1_T2_jT3_P12ihipStream_tbPNSt15iterator_traitsISK_E10value_typeEPNSQ_ISL_E10value_typeEPSM_NS1_7vsmem_tEENKUlT_SK_SL_SM_E_clISE_PjSF_SF_EESJ_SZ_SK_SL_SM_EUlSZ_E1_NS1_11comp_targetILNS1_3genE3ELNS1_11target_archE908ELNS1_3gpuE7ELNS1_3repE0EEENS1_36merge_oddeven_config_static_selectorELNS0_4arch9wavefront6targetE1EEEvSL_,comdat
.Lfunc_end1013:
	.size	_ZN7rocprim17ROCPRIM_400000_NS6detail17trampoline_kernelINS0_14default_configENS1_38merge_sort_block_merge_config_selectorIjNS0_10empty_typeEEEZZNS1_27merge_sort_block_merge_implIS3_N6thrust23THRUST_200600_302600_NS6detail15normal_iteratorINS9_10device_ptrIjEEEEPS5_jNS1_19radix_merge_compareILb0ELb0EjNS0_19identity_decomposerEEEEE10hipError_tT0_T1_T2_jT3_P12ihipStream_tbPNSt15iterator_traitsISK_E10value_typeEPNSQ_ISL_E10value_typeEPSM_NS1_7vsmem_tEENKUlT_SK_SL_SM_E_clISE_PjSF_SF_EESJ_SZ_SK_SL_SM_EUlSZ_E1_NS1_11comp_targetILNS1_3genE3ELNS1_11target_archE908ELNS1_3gpuE7ELNS1_3repE0EEENS1_36merge_oddeven_config_static_selectorELNS0_4arch9wavefront6targetE1EEEvSL_, .Lfunc_end1013-_ZN7rocprim17ROCPRIM_400000_NS6detail17trampoline_kernelINS0_14default_configENS1_38merge_sort_block_merge_config_selectorIjNS0_10empty_typeEEEZZNS1_27merge_sort_block_merge_implIS3_N6thrust23THRUST_200600_302600_NS6detail15normal_iteratorINS9_10device_ptrIjEEEEPS5_jNS1_19radix_merge_compareILb0ELb0EjNS0_19identity_decomposerEEEEE10hipError_tT0_T1_T2_jT3_P12ihipStream_tbPNSt15iterator_traitsISK_E10value_typeEPNSQ_ISL_E10value_typeEPSM_NS1_7vsmem_tEENKUlT_SK_SL_SM_E_clISE_PjSF_SF_EESJ_SZ_SK_SL_SM_EUlSZ_E1_NS1_11comp_targetILNS1_3genE3ELNS1_11target_archE908ELNS1_3gpuE7ELNS1_3repE0EEENS1_36merge_oddeven_config_static_selectorELNS0_4arch9wavefront6targetE1EEEvSL_
                                        ; -- End function
	.section	.AMDGPU.csdata,"",@progbits
; Kernel info:
; codeLenInByte = 0
; NumSgprs: 4
; NumVgprs: 0
; NumAgprs: 0
; TotalNumVgprs: 0
; ScratchSize: 0
; MemoryBound: 0
; FloatMode: 240
; IeeeMode: 1
; LDSByteSize: 0 bytes/workgroup (compile time only)
; SGPRBlocks: 0
; VGPRBlocks: 0
; NumSGPRsForWavesPerEU: 4
; NumVGPRsForWavesPerEU: 1
; AccumOffset: 4
; Occupancy: 8
; WaveLimiterHint : 0
; COMPUTE_PGM_RSRC2:SCRATCH_EN: 0
; COMPUTE_PGM_RSRC2:USER_SGPR: 6
; COMPUTE_PGM_RSRC2:TRAP_HANDLER: 0
; COMPUTE_PGM_RSRC2:TGID_X_EN: 1
; COMPUTE_PGM_RSRC2:TGID_Y_EN: 0
; COMPUTE_PGM_RSRC2:TGID_Z_EN: 0
; COMPUTE_PGM_RSRC2:TIDIG_COMP_CNT: 0
; COMPUTE_PGM_RSRC3_GFX90A:ACCUM_OFFSET: 0
; COMPUTE_PGM_RSRC3_GFX90A:TG_SPLIT: 0
	.section	.text._ZN7rocprim17ROCPRIM_400000_NS6detail17trampoline_kernelINS0_14default_configENS1_38merge_sort_block_merge_config_selectorIjNS0_10empty_typeEEEZZNS1_27merge_sort_block_merge_implIS3_N6thrust23THRUST_200600_302600_NS6detail15normal_iteratorINS9_10device_ptrIjEEEEPS5_jNS1_19radix_merge_compareILb0ELb0EjNS0_19identity_decomposerEEEEE10hipError_tT0_T1_T2_jT3_P12ihipStream_tbPNSt15iterator_traitsISK_E10value_typeEPNSQ_ISL_E10value_typeEPSM_NS1_7vsmem_tEENKUlT_SK_SL_SM_E_clISE_PjSF_SF_EESJ_SZ_SK_SL_SM_EUlSZ_E1_NS1_11comp_targetILNS1_3genE2ELNS1_11target_archE906ELNS1_3gpuE6ELNS1_3repE0EEENS1_36merge_oddeven_config_static_selectorELNS0_4arch9wavefront6targetE1EEEvSL_,"axG",@progbits,_ZN7rocprim17ROCPRIM_400000_NS6detail17trampoline_kernelINS0_14default_configENS1_38merge_sort_block_merge_config_selectorIjNS0_10empty_typeEEEZZNS1_27merge_sort_block_merge_implIS3_N6thrust23THRUST_200600_302600_NS6detail15normal_iteratorINS9_10device_ptrIjEEEEPS5_jNS1_19radix_merge_compareILb0ELb0EjNS0_19identity_decomposerEEEEE10hipError_tT0_T1_T2_jT3_P12ihipStream_tbPNSt15iterator_traitsISK_E10value_typeEPNSQ_ISL_E10value_typeEPSM_NS1_7vsmem_tEENKUlT_SK_SL_SM_E_clISE_PjSF_SF_EESJ_SZ_SK_SL_SM_EUlSZ_E1_NS1_11comp_targetILNS1_3genE2ELNS1_11target_archE906ELNS1_3gpuE6ELNS1_3repE0EEENS1_36merge_oddeven_config_static_selectorELNS0_4arch9wavefront6targetE1EEEvSL_,comdat
	.protected	_ZN7rocprim17ROCPRIM_400000_NS6detail17trampoline_kernelINS0_14default_configENS1_38merge_sort_block_merge_config_selectorIjNS0_10empty_typeEEEZZNS1_27merge_sort_block_merge_implIS3_N6thrust23THRUST_200600_302600_NS6detail15normal_iteratorINS9_10device_ptrIjEEEEPS5_jNS1_19radix_merge_compareILb0ELb0EjNS0_19identity_decomposerEEEEE10hipError_tT0_T1_T2_jT3_P12ihipStream_tbPNSt15iterator_traitsISK_E10value_typeEPNSQ_ISL_E10value_typeEPSM_NS1_7vsmem_tEENKUlT_SK_SL_SM_E_clISE_PjSF_SF_EESJ_SZ_SK_SL_SM_EUlSZ_E1_NS1_11comp_targetILNS1_3genE2ELNS1_11target_archE906ELNS1_3gpuE6ELNS1_3repE0EEENS1_36merge_oddeven_config_static_selectorELNS0_4arch9wavefront6targetE1EEEvSL_ ; -- Begin function _ZN7rocprim17ROCPRIM_400000_NS6detail17trampoline_kernelINS0_14default_configENS1_38merge_sort_block_merge_config_selectorIjNS0_10empty_typeEEEZZNS1_27merge_sort_block_merge_implIS3_N6thrust23THRUST_200600_302600_NS6detail15normal_iteratorINS9_10device_ptrIjEEEEPS5_jNS1_19radix_merge_compareILb0ELb0EjNS0_19identity_decomposerEEEEE10hipError_tT0_T1_T2_jT3_P12ihipStream_tbPNSt15iterator_traitsISK_E10value_typeEPNSQ_ISL_E10value_typeEPSM_NS1_7vsmem_tEENKUlT_SK_SL_SM_E_clISE_PjSF_SF_EESJ_SZ_SK_SL_SM_EUlSZ_E1_NS1_11comp_targetILNS1_3genE2ELNS1_11target_archE906ELNS1_3gpuE6ELNS1_3repE0EEENS1_36merge_oddeven_config_static_selectorELNS0_4arch9wavefront6targetE1EEEvSL_
	.globl	_ZN7rocprim17ROCPRIM_400000_NS6detail17trampoline_kernelINS0_14default_configENS1_38merge_sort_block_merge_config_selectorIjNS0_10empty_typeEEEZZNS1_27merge_sort_block_merge_implIS3_N6thrust23THRUST_200600_302600_NS6detail15normal_iteratorINS9_10device_ptrIjEEEEPS5_jNS1_19radix_merge_compareILb0ELb0EjNS0_19identity_decomposerEEEEE10hipError_tT0_T1_T2_jT3_P12ihipStream_tbPNSt15iterator_traitsISK_E10value_typeEPNSQ_ISL_E10value_typeEPSM_NS1_7vsmem_tEENKUlT_SK_SL_SM_E_clISE_PjSF_SF_EESJ_SZ_SK_SL_SM_EUlSZ_E1_NS1_11comp_targetILNS1_3genE2ELNS1_11target_archE906ELNS1_3gpuE6ELNS1_3repE0EEENS1_36merge_oddeven_config_static_selectorELNS0_4arch9wavefront6targetE1EEEvSL_
	.p2align	8
	.type	_ZN7rocprim17ROCPRIM_400000_NS6detail17trampoline_kernelINS0_14default_configENS1_38merge_sort_block_merge_config_selectorIjNS0_10empty_typeEEEZZNS1_27merge_sort_block_merge_implIS3_N6thrust23THRUST_200600_302600_NS6detail15normal_iteratorINS9_10device_ptrIjEEEEPS5_jNS1_19radix_merge_compareILb0ELb0EjNS0_19identity_decomposerEEEEE10hipError_tT0_T1_T2_jT3_P12ihipStream_tbPNSt15iterator_traitsISK_E10value_typeEPNSQ_ISL_E10value_typeEPSM_NS1_7vsmem_tEENKUlT_SK_SL_SM_E_clISE_PjSF_SF_EESJ_SZ_SK_SL_SM_EUlSZ_E1_NS1_11comp_targetILNS1_3genE2ELNS1_11target_archE906ELNS1_3gpuE6ELNS1_3repE0EEENS1_36merge_oddeven_config_static_selectorELNS0_4arch9wavefront6targetE1EEEvSL_,@function
_ZN7rocprim17ROCPRIM_400000_NS6detail17trampoline_kernelINS0_14default_configENS1_38merge_sort_block_merge_config_selectorIjNS0_10empty_typeEEEZZNS1_27merge_sort_block_merge_implIS3_N6thrust23THRUST_200600_302600_NS6detail15normal_iteratorINS9_10device_ptrIjEEEEPS5_jNS1_19radix_merge_compareILb0ELb0EjNS0_19identity_decomposerEEEEE10hipError_tT0_T1_T2_jT3_P12ihipStream_tbPNSt15iterator_traitsISK_E10value_typeEPNSQ_ISL_E10value_typeEPSM_NS1_7vsmem_tEENKUlT_SK_SL_SM_E_clISE_PjSF_SF_EESJ_SZ_SK_SL_SM_EUlSZ_E1_NS1_11comp_targetILNS1_3genE2ELNS1_11target_archE906ELNS1_3gpuE6ELNS1_3repE0EEENS1_36merge_oddeven_config_static_selectorELNS0_4arch9wavefront6targetE1EEEvSL_: ; @_ZN7rocprim17ROCPRIM_400000_NS6detail17trampoline_kernelINS0_14default_configENS1_38merge_sort_block_merge_config_selectorIjNS0_10empty_typeEEEZZNS1_27merge_sort_block_merge_implIS3_N6thrust23THRUST_200600_302600_NS6detail15normal_iteratorINS9_10device_ptrIjEEEEPS5_jNS1_19radix_merge_compareILb0ELb0EjNS0_19identity_decomposerEEEEE10hipError_tT0_T1_T2_jT3_P12ihipStream_tbPNSt15iterator_traitsISK_E10value_typeEPNSQ_ISL_E10value_typeEPSM_NS1_7vsmem_tEENKUlT_SK_SL_SM_E_clISE_PjSF_SF_EESJ_SZ_SK_SL_SM_EUlSZ_E1_NS1_11comp_targetILNS1_3genE2ELNS1_11target_archE906ELNS1_3gpuE6ELNS1_3repE0EEENS1_36merge_oddeven_config_static_selectorELNS0_4arch9wavefront6targetE1EEEvSL_
; %bb.0:
	.section	.rodata,"a",@progbits
	.p2align	6, 0x0
	.amdhsa_kernel _ZN7rocprim17ROCPRIM_400000_NS6detail17trampoline_kernelINS0_14default_configENS1_38merge_sort_block_merge_config_selectorIjNS0_10empty_typeEEEZZNS1_27merge_sort_block_merge_implIS3_N6thrust23THRUST_200600_302600_NS6detail15normal_iteratorINS9_10device_ptrIjEEEEPS5_jNS1_19radix_merge_compareILb0ELb0EjNS0_19identity_decomposerEEEEE10hipError_tT0_T1_T2_jT3_P12ihipStream_tbPNSt15iterator_traitsISK_E10value_typeEPNSQ_ISL_E10value_typeEPSM_NS1_7vsmem_tEENKUlT_SK_SL_SM_E_clISE_PjSF_SF_EESJ_SZ_SK_SL_SM_EUlSZ_E1_NS1_11comp_targetILNS1_3genE2ELNS1_11target_archE906ELNS1_3gpuE6ELNS1_3repE0EEENS1_36merge_oddeven_config_static_selectorELNS0_4arch9wavefront6targetE1EEEvSL_
		.amdhsa_group_segment_fixed_size 0
		.amdhsa_private_segment_fixed_size 0
		.amdhsa_kernarg_size 48
		.amdhsa_user_sgpr_count 6
		.amdhsa_user_sgpr_private_segment_buffer 1
		.amdhsa_user_sgpr_dispatch_ptr 0
		.amdhsa_user_sgpr_queue_ptr 0
		.amdhsa_user_sgpr_kernarg_segment_ptr 1
		.amdhsa_user_sgpr_dispatch_id 0
		.amdhsa_user_sgpr_flat_scratch_init 0
		.amdhsa_user_sgpr_kernarg_preload_length 0
		.amdhsa_user_sgpr_kernarg_preload_offset 0
		.amdhsa_user_sgpr_private_segment_size 0
		.amdhsa_uses_dynamic_stack 0
		.amdhsa_system_sgpr_private_segment_wavefront_offset 0
		.amdhsa_system_sgpr_workgroup_id_x 1
		.amdhsa_system_sgpr_workgroup_id_y 0
		.amdhsa_system_sgpr_workgroup_id_z 0
		.amdhsa_system_sgpr_workgroup_info 0
		.amdhsa_system_vgpr_workitem_id 0
		.amdhsa_next_free_vgpr 1
		.amdhsa_next_free_sgpr 0
		.amdhsa_accum_offset 4
		.amdhsa_reserve_vcc 0
		.amdhsa_reserve_flat_scratch 0
		.amdhsa_float_round_mode_32 0
		.amdhsa_float_round_mode_16_64 0
		.amdhsa_float_denorm_mode_32 3
		.amdhsa_float_denorm_mode_16_64 3
		.amdhsa_dx10_clamp 1
		.amdhsa_ieee_mode 1
		.amdhsa_fp16_overflow 0
		.amdhsa_tg_split 0
		.amdhsa_exception_fp_ieee_invalid_op 0
		.amdhsa_exception_fp_denorm_src 0
		.amdhsa_exception_fp_ieee_div_zero 0
		.amdhsa_exception_fp_ieee_overflow 0
		.amdhsa_exception_fp_ieee_underflow 0
		.amdhsa_exception_fp_ieee_inexact 0
		.amdhsa_exception_int_div_zero 0
	.end_amdhsa_kernel
	.section	.text._ZN7rocprim17ROCPRIM_400000_NS6detail17trampoline_kernelINS0_14default_configENS1_38merge_sort_block_merge_config_selectorIjNS0_10empty_typeEEEZZNS1_27merge_sort_block_merge_implIS3_N6thrust23THRUST_200600_302600_NS6detail15normal_iteratorINS9_10device_ptrIjEEEEPS5_jNS1_19radix_merge_compareILb0ELb0EjNS0_19identity_decomposerEEEEE10hipError_tT0_T1_T2_jT3_P12ihipStream_tbPNSt15iterator_traitsISK_E10value_typeEPNSQ_ISL_E10value_typeEPSM_NS1_7vsmem_tEENKUlT_SK_SL_SM_E_clISE_PjSF_SF_EESJ_SZ_SK_SL_SM_EUlSZ_E1_NS1_11comp_targetILNS1_3genE2ELNS1_11target_archE906ELNS1_3gpuE6ELNS1_3repE0EEENS1_36merge_oddeven_config_static_selectorELNS0_4arch9wavefront6targetE1EEEvSL_,"axG",@progbits,_ZN7rocprim17ROCPRIM_400000_NS6detail17trampoline_kernelINS0_14default_configENS1_38merge_sort_block_merge_config_selectorIjNS0_10empty_typeEEEZZNS1_27merge_sort_block_merge_implIS3_N6thrust23THRUST_200600_302600_NS6detail15normal_iteratorINS9_10device_ptrIjEEEEPS5_jNS1_19radix_merge_compareILb0ELb0EjNS0_19identity_decomposerEEEEE10hipError_tT0_T1_T2_jT3_P12ihipStream_tbPNSt15iterator_traitsISK_E10value_typeEPNSQ_ISL_E10value_typeEPSM_NS1_7vsmem_tEENKUlT_SK_SL_SM_E_clISE_PjSF_SF_EESJ_SZ_SK_SL_SM_EUlSZ_E1_NS1_11comp_targetILNS1_3genE2ELNS1_11target_archE906ELNS1_3gpuE6ELNS1_3repE0EEENS1_36merge_oddeven_config_static_selectorELNS0_4arch9wavefront6targetE1EEEvSL_,comdat
.Lfunc_end1014:
	.size	_ZN7rocprim17ROCPRIM_400000_NS6detail17trampoline_kernelINS0_14default_configENS1_38merge_sort_block_merge_config_selectorIjNS0_10empty_typeEEEZZNS1_27merge_sort_block_merge_implIS3_N6thrust23THRUST_200600_302600_NS6detail15normal_iteratorINS9_10device_ptrIjEEEEPS5_jNS1_19radix_merge_compareILb0ELb0EjNS0_19identity_decomposerEEEEE10hipError_tT0_T1_T2_jT3_P12ihipStream_tbPNSt15iterator_traitsISK_E10value_typeEPNSQ_ISL_E10value_typeEPSM_NS1_7vsmem_tEENKUlT_SK_SL_SM_E_clISE_PjSF_SF_EESJ_SZ_SK_SL_SM_EUlSZ_E1_NS1_11comp_targetILNS1_3genE2ELNS1_11target_archE906ELNS1_3gpuE6ELNS1_3repE0EEENS1_36merge_oddeven_config_static_selectorELNS0_4arch9wavefront6targetE1EEEvSL_, .Lfunc_end1014-_ZN7rocprim17ROCPRIM_400000_NS6detail17trampoline_kernelINS0_14default_configENS1_38merge_sort_block_merge_config_selectorIjNS0_10empty_typeEEEZZNS1_27merge_sort_block_merge_implIS3_N6thrust23THRUST_200600_302600_NS6detail15normal_iteratorINS9_10device_ptrIjEEEEPS5_jNS1_19radix_merge_compareILb0ELb0EjNS0_19identity_decomposerEEEEE10hipError_tT0_T1_T2_jT3_P12ihipStream_tbPNSt15iterator_traitsISK_E10value_typeEPNSQ_ISL_E10value_typeEPSM_NS1_7vsmem_tEENKUlT_SK_SL_SM_E_clISE_PjSF_SF_EESJ_SZ_SK_SL_SM_EUlSZ_E1_NS1_11comp_targetILNS1_3genE2ELNS1_11target_archE906ELNS1_3gpuE6ELNS1_3repE0EEENS1_36merge_oddeven_config_static_selectorELNS0_4arch9wavefront6targetE1EEEvSL_
                                        ; -- End function
	.section	.AMDGPU.csdata,"",@progbits
; Kernel info:
; codeLenInByte = 0
; NumSgprs: 4
; NumVgprs: 0
; NumAgprs: 0
; TotalNumVgprs: 0
; ScratchSize: 0
; MemoryBound: 0
; FloatMode: 240
; IeeeMode: 1
; LDSByteSize: 0 bytes/workgroup (compile time only)
; SGPRBlocks: 0
; VGPRBlocks: 0
; NumSGPRsForWavesPerEU: 4
; NumVGPRsForWavesPerEU: 1
; AccumOffset: 4
; Occupancy: 8
; WaveLimiterHint : 0
; COMPUTE_PGM_RSRC2:SCRATCH_EN: 0
; COMPUTE_PGM_RSRC2:USER_SGPR: 6
; COMPUTE_PGM_RSRC2:TRAP_HANDLER: 0
; COMPUTE_PGM_RSRC2:TGID_X_EN: 1
; COMPUTE_PGM_RSRC2:TGID_Y_EN: 0
; COMPUTE_PGM_RSRC2:TGID_Z_EN: 0
; COMPUTE_PGM_RSRC2:TIDIG_COMP_CNT: 0
; COMPUTE_PGM_RSRC3_GFX90A:ACCUM_OFFSET: 0
; COMPUTE_PGM_RSRC3_GFX90A:TG_SPLIT: 0
	.section	.text._ZN7rocprim17ROCPRIM_400000_NS6detail17trampoline_kernelINS0_14default_configENS1_38merge_sort_block_merge_config_selectorIjNS0_10empty_typeEEEZZNS1_27merge_sort_block_merge_implIS3_N6thrust23THRUST_200600_302600_NS6detail15normal_iteratorINS9_10device_ptrIjEEEEPS5_jNS1_19radix_merge_compareILb0ELb0EjNS0_19identity_decomposerEEEEE10hipError_tT0_T1_T2_jT3_P12ihipStream_tbPNSt15iterator_traitsISK_E10value_typeEPNSQ_ISL_E10value_typeEPSM_NS1_7vsmem_tEENKUlT_SK_SL_SM_E_clISE_PjSF_SF_EESJ_SZ_SK_SL_SM_EUlSZ_E1_NS1_11comp_targetILNS1_3genE9ELNS1_11target_archE1100ELNS1_3gpuE3ELNS1_3repE0EEENS1_36merge_oddeven_config_static_selectorELNS0_4arch9wavefront6targetE1EEEvSL_,"axG",@progbits,_ZN7rocprim17ROCPRIM_400000_NS6detail17trampoline_kernelINS0_14default_configENS1_38merge_sort_block_merge_config_selectorIjNS0_10empty_typeEEEZZNS1_27merge_sort_block_merge_implIS3_N6thrust23THRUST_200600_302600_NS6detail15normal_iteratorINS9_10device_ptrIjEEEEPS5_jNS1_19radix_merge_compareILb0ELb0EjNS0_19identity_decomposerEEEEE10hipError_tT0_T1_T2_jT3_P12ihipStream_tbPNSt15iterator_traitsISK_E10value_typeEPNSQ_ISL_E10value_typeEPSM_NS1_7vsmem_tEENKUlT_SK_SL_SM_E_clISE_PjSF_SF_EESJ_SZ_SK_SL_SM_EUlSZ_E1_NS1_11comp_targetILNS1_3genE9ELNS1_11target_archE1100ELNS1_3gpuE3ELNS1_3repE0EEENS1_36merge_oddeven_config_static_selectorELNS0_4arch9wavefront6targetE1EEEvSL_,comdat
	.protected	_ZN7rocprim17ROCPRIM_400000_NS6detail17trampoline_kernelINS0_14default_configENS1_38merge_sort_block_merge_config_selectorIjNS0_10empty_typeEEEZZNS1_27merge_sort_block_merge_implIS3_N6thrust23THRUST_200600_302600_NS6detail15normal_iteratorINS9_10device_ptrIjEEEEPS5_jNS1_19radix_merge_compareILb0ELb0EjNS0_19identity_decomposerEEEEE10hipError_tT0_T1_T2_jT3_P12ihipStream_tbPNSt15iterator_traitsISK_E10value_typeEPNSQ_ISL_E10value_typeEPSM_NS1_7vsmem_tEENKUlT_SK_SL_SM_E_clISE_PjSF_SF_EESJ_SZ_SK_SL_SM_EUlSZ_E1_NS1_11comp_targetILNS1_3genE9ELNS1_11target_archE1100ELNS1_3gpuE3ELNS1_3repE0EEENS1_36merge_oddeven_config_static_selectorELNS0_4arch9wavefront6targetE1EEEvSL_ ; -- Begin function _ZN7rocprim17ROCPRIM_400000_NS6detail17trampoline_kernelINS0_14default_configENS1_38merge_sort_block_merge_config_selectorIjNS0_10empty_typeEEEZZNS1_27merge_sort_block_merge_implIS3_N6thrust23THRUST_200600_302600_NS6detail15normal_iteratorINS9_10device_ptrIjEEEEPS5_jNS1_19radix_merge_compareILb0ELb0EjNS0_19identity_decomposerEEEEE10hipError_tT0_T1_T2_jT3_P12ihipStream_tbPNSt15iterator_traitsISK_E10value_typeEPNSQ_ISL_E10value_typeEPSM_NS1_7vsmem_tEENKUlT_SK_SL_SM_E_clISE_PjSF_SF_EESJ_SZ_SK_SL_SM_EUlSZ_E1_NS1_11comp_targetILNS1_3genE9ELNS1_11target_archE1100ELNS1_3gpuE3ELNS1_3repE0EEENS1_36merge_oddeven_config_static_selectorELNS0_4arch9wavefront6targetE1EEEvSL_
	.globl	_ZN7rocprim17ROCPRIM_400000_NS6detail17trampoline_kernelINS0_14default_configENS1_38merge_sort_block_merge_config_selectorIjNS0_10empty_typeEEEZZNS1_27merge_sort_block_merge_implIS3_N6thrust23THRUST_200600_302600_NS6detail15normal_iteratorINS9_10device_ptrIjEEEEPS5_jNS1_19radix_merge_compareILb0ELb0EjNS0_19identity_decomposerEEEEE10hipError_tT0_T1_T2_jT3_P12ihipStream_tbPNSt15iterator_traitsISK_E10value_typeEPNSQ_ISL_E10value_typeEPSM_NS1_7vsmem_tEENKUlT_SK_SL_SM_E_clISE_PjSF_SF_EESJ_SZ_SK_SL_SM_EUlSZ_E1_NS1_11comp_targetILNS1_3genE9ELNS1_11target_archE1100ELNS1_3gpuE3ELNS1_3repE0EEENS1_36merge_oddeven_config_static_selectorELNS0_4arch9wavefront6targetE1EEEvSL_
	.p2align	8
	.type	_ZN7rocprim17ROCPRIM_400000_NS6detail17trampoline_kernelINS0_14default_configENS1_38merge_sort_block_merge_config_selectorIjNS0_10empty_typeEEEZZNS1_27merge_sort_block_merge_implIS3_N6thrust23THRUST_200600_302600_NS6detail15normal_iteratorINS9_10device_ptrIjEEEEPS5_jNS1_19radix_merge_compareILb0ELb0EjNS0_19identity_decomposerEEEEE10hipError_tT0_T1_T2_jT3_P12ihipStream_tbPNSt15iterator_traitsISK_E10value_typeEPNSQ_ISL_E10value_typeEPSM_NS1_7vsmem_tEENKUlT_SK_SL_SM_E_clISE_PjSF_SF_EESJ_SZ_SK_SL_SM_EUlSZ_E1_NS1_11comp_targetILNS1_3genE9ELNS1_11target_archE1100ELNS1_3gpuE3ELNS1_3repE0EEENS1_36merge_oddeven_config_static_selectorELNS0_4arch9wavefront6targetE1EEEvSL_,@function
_ZN7rocprim17ROCPRIM_400000_NS6detail17trampoline_kernelINS0_14default_configENS1_38merge_sort_block_merge_config_selectorIjNS0_10empty_typeEEEZZNS1_27merge_sort_block_merge_implIS3_N6thrust23THRUST_200600_302600_NS6detail15normal_iteratorINS9_10device_ptrIjEEEEPS5_jNS1_19radix_merge_compareILb0ELb0EjNS0_19identity_decomposerEEEEE10hipError_tT0_T1_T2_jT3_P12ihipStream_tbPNSt15iterator_traitsISK_E10value_typeEPNSQ_ISL_E10value_typeEPSM_NS1_7vsmem_tEENKUlT_SK_SL_SM_E_clISE_PjSF_SF_EESJ_SZ_SK_SL_SM_EUlSZ_E1_NS1_11comp_targetILNS1_3genE9ELNS1_11target_archE1100ELNS1_3gpuE3ELNS1_3repE0EEENS1_36merge_oddeven_config_static_selectorELNS0_4arch9wavefront6targetE1EEEvSL_: ; @_ZN7rocprim17ROCPRIM_400000_NS6detail17trampoline_kernelINS0_14default_configENS1_38merge_sort_block_merge_config_selectorIjNS0_10empty_typeEEEZZNS1_27merge_sort_block_merge_implIS3_N6thrust23THRUST_200600_302600_NS6detail15normal_iteratorINS9_10device_ptrIjEEEEPS5_jNS1_19radix_merge_compareILb0ELb0EjNS0_19identity_decomposerEEEEE10hipError_tT0_T1_T2_jT3_P12ihipStream_tbPNSt15iterator_traitsISK_E10value_typeEPNSQ_ISL_E10value_typeEPSM_NS1_7vsmem_tEENKUlT_SK_SL_SM_E_clISE_PjSF_SF_EESJ_SZ_SK_SL_SM_EUlSZ_E1_NS1_11comp_targetILNS1_3genE9ELNS1_11target_archE1100ELNS1_3gpuE3ELNS1_3repE0EEENS1_36merge_oddeven_config_static_selectorELNS0_4arch9wavefront6targetE1EEEvSL_
; %bb.0:
	.section	.rodata,"a",@progbits
	.p2align	6, 0x0
	.amdhsa_kernel _ZN7rocprim17ROCPRIM_400000_NS6detail17trampoline_kernelINS0_14default_configENS1_38merge_sort_block_merge_config_selectorIjNS0_10empty_typeEEEZZNS1_27merge_sort_block_merge_implIS3_N6thrust23THRUST_200600_302600_NS6detail15normal_iteratorINS9_10device_ptrIjEEEEPS5_jNS1_19radix_merge_compareILb0ELb0EjNS0_19identity_decomposerEEEEE10hipError_tT0_T1_T2_jT3_P12ihipStream_tbPNSt15iterator_traitsISK_E10value_typeEPNSQ_ISL_E10value_typeEPSM_NS1_7vsmem_tEENKUlT_SK_SL_SM_E_clISE_PjSF_SF_EESJ_SZ_SK_SL_SM_EUlSZ_E1_NS1_11comp_targetILNS1_3genE9ELNS1_11target_archE1100ELNS1_3gpuE3ELNS1_3repE0EEENS1_36merge_oddeven_config_static_selectorELNS0_4arch9wavefront6targetE1EEEvSL_
		.amdhsa_group_segment_fixed_size 0
		.amdhsa_private_segment_fixed_size 0
		.amdhsa_kernarg_size 48
		.amdhsa_user_sgpr_count 6
		.amdhsa_user_sgpr_private_segment_buffer 1
		.amdhsa_user_sgpr_dispatch_ptr 0
		.amdhsa_user_sgpr_queue_ptr 0
		.amdhsa_user_sgpr_kernarg_segment_ptr 1
		.amdhsa_user_sgpr_dispatch_id 0
		.amdhsa_user_sgpr_flat_scratch_init 0
		.amdhsa_user_sgpr_kernarg_preload_length 0
		.amdhsa_user_sgpr_kernarg_preload_offset 0
		.amdhsa_user_sgpr_private_segment_size 0
		.amdhsa_uses_dynamic_stack 0
		.amdhsa_system_sgpr_private_segment_wavefront_offset 0
		.amdhsa_system_sgpr_workgroup_id_x 1
		.amdhsa_system_sgpr_workgroup_id_y 0
		.amdhsa_system_sgpr_workgroup_id_z 0
		.amdhsa_system_sgpr_workgroup_info 0
		.amdhsa_system_vgpr_workitem_id 0
		.amdhsa_next_free_vgpr 1
		.amdhsa_next_free_sgpr 0
		.amdhsa_accum_offset 4
		.amdhsa_reserve_vcc 0
		.amdhsa_reserve_flat_scratch 0
		.amdhsa_float_round_mode_32 0
		.amdhsa_float_round_mode_16_64 0
		.amdhsa_float_denorm_mode_32 3
		.amdhsa_float_denorm_mode_16_64 3
		.amdhsa_dx10_clamp 1
		.amdhsa_ieee_mode 1
		.amdhsa_fp16_overflow 0
		.amdhsa_tg_split 0
		.amdhsa_exception_fp_ieee_invalid_op 0
		.amdhsa_exception_fp_denorm_src 0
		.amdhsa_exception_fp_ieee_div_zero 0
		.amdhsa_exception_fp_ieee_overflow 0
		.amdhsa_exception_fp_ieee_underflow 0
		.amdhsa_exception_fp_ieee_inexact 0
		.amdhsa_exception_int_div_zero 0
	.end_amdhsa_kernel
	.section	.text._ZN7rocprim17ROCPRIM_400000_NS6detail17trampoline_kernelINS0_14default_configENS1_38merge_sort_block_merge_config_selectorIjNS0_10empty_typeEEEZZNS1_27merge_sort_block_merge_implIS3_N6thrust23THRUST_200600_302600_NS6detail15normal_iteratorINS9_10device_ptrIjEEEEPS5_jNS1_19radix_merge_compareILb0ELb0EjNS0_19identity_decomposerEEEEE10hipError_tT0_T1_T2_jT3_P12ihipStream_tbPNSt15iterator_traitsISK_E10value_typeEPNSQ_ISL_E10value_typeEPSM_NS1_7vsmem_tEENKUlT_SK_SL_SM_E_clISE_PjSF_SF_EESJ_SZ_SK_SL_SM_EUlSZ_E1_NS1_11comp_targetILNS1_3genE9ELNS1_11target_archE1100ELNS1_3gpuE3ELNS1_3repE0EEENS1_36merge_oddeven_config_static_selectorELNS0_4arch9wavefront6targetE1EEEvSL_,"axG",@progbits,_ZN7rocprim17ROCPRIM_400000_NS6detail17trampoline_kernelINS0_14default_configENS1_38merge_sort_block_merge_config_selectorIjNS0_10empty_typeEEEZZNS1_27merge_sort_block_merge_implIS3_N6thrust23THRUST_200600_302600_NS6detail15normal_iteratorINS9_10device_ptrIjEEEEPS5_jNS1_19radix_merge_compareILb0ELb0EjNS0_19identity_decomposerEEEEE10hipError_tT0_T1_T2_jT3_P12ihipStream_tbPNSt15iterator_traitsISK_E10value_typeEPNSQ_ISL_E10value_typeEPSM_NS1_7vsmem_tEENKUlT_SK_SL_SM_E_clISE_PjSF_SF_EESJ_SZ_SK_SL_SM_EUlSZ_E1_NS1_11comp_targetILNS1_3genE9ELNS1_11target_archE1100ELNS1_3gpuE3ELNS1_3repE0EEENS1_36merge_oddeven_config_static_selectorELNS0_4arch9wavefront6targetE1EEEvSL_,comdat
.Lfunc_end1015:
	.size	_ZN7rocprim17ROCPRIM_400000_NS6detail17trampoline_kernelINS0_14default_configENS1_38merge_sort_block_merge_config_selectorIjNS0_10empty_typeEEEZZNS1_27merge_sort_block_merge_implIS3_N6thrust23THRUST_200600_302600_NS6detail15normal_iteratorINS9_10device_ptrIjEEEEPS5_jNS1_19radix_merge_compareILb0ELb0EjNS0_19identity_decomposerEEEEE10hipError_tT0_T1_T2_jT3_P12ihipStream_tbPNSt15iterator_traitsISK_E10value_typeEPNSQ_ISL_E10value_typeEPSM_NS1_7vsmem_tEENKUlT_SK_SL_SM_E_clISE_PjSF_SF_EESJ_SZ_SK_SL_SM_EUlSZ_E1_NS1_11comp_targetILNS1_3genE9ELNS1_11target_archE1100ELNS1_3gpuE3ELNS1_3repE0EEENS1_36merge_oddeven_config_static_selectorELNS0_4arch9wavefront6targetE1EEEvSL_, .Lfunc_end1015-_ZN7rocprim17ROCPRIM_400000_NS6detail17trampoline_kernelINS0_14default_configENS1_38merge_sort_block_merge_config_selectorIjNS0_10empty_typeEEEZZNS1_27merge_sort_block_merge_implIS3_N6thrust23THRUST_200600_302600_NS6detail15normal_iteratorINS9_10device_ptrIjEEEEPS5_jNS1_19radix_merge_compareILb0ELb0EjNS0_19identity_decomposerEEEEE10hipError_tT0_T1_T2_jT3_P12ihipStream_tbPNSt15iterator_traitsISK_E10value_typeEPNSQ_ISL_E10value_typeEPSM_NS1_7vsmem_tEENKUlT_SK_SL_SM_E_clISE_PjSF_SF_EESJ_SZ_SK_SL_SM_EUlSZ_E1_NS1_11comp_targetILNS1_3genE9ELNS1_11target_archE1100ELNS1_3gpuE3ELNS1_3repE0EEENS1_36merge_oddeven_config_static_selectorELNS0_4arch9wavefront6targetE1EEEvSL_
                                        ; -- End function
	.section	.AMDGPU.csdata,"",@progbits
; Kernel info:
; codeLenInByte = 0
; NumSgprs: 4
; NumVgprs: 0
; NumAgprs: 0
; TotalNumVgprs: 0
; ScratchSize: 0
; MemoryBound: 0
; FloatMode: 240
; IeeeMode: 1
; LDSByteSize: 0 bytes/workgroup (compile time only)
; SGPRBlocks: 0
; VGPRBlocks: 0
; NumSGPRsForWavesPerEU: 4
; NumVGPRsForWavesPerEU: 1
; AccumOffset: 4
; Occupancy: 8
; WaveLimiterHint : 0
; COMPUTE_PGM_RSRC2:SCRATCH_EN: 0
; COMPUTE_PGM_RSRC2:USER_SGPR: 6
; COMPUTE_PGM_RSRC2:TRAP_HANDLER: 0
; COMPUTE_PGM_RSRC2:TGID_X_EN: 1
; COMPUTE_PGM_RSRC2:TGID_Y_EN: 0
; COMPUTE_PGM_RSRC2:TGID_Z_EN: 0
; COMPUTE_PGM_RSRC2:TIDIG_COMP_CNT: 0
; COMPUTE_PGM_RSRC3_GFX90A:ACCUM_OFFSET: 0
; COMPUTE_PGM_RSRC3_GFX90A:TG_SPLIT: 0
	.section	.text._ZN7rocprim17ROCPRIM_400000_NS6detail17trampoline_kernelINS0_14default_configENS1_38merge_sort_block_merge_config_selectorIjNS0_10empty_typeEEEZZNS1_27merge_sort_block_merge_implIS3_N6thrust23THRUST_200600_302600_NS6detail15normal_iteratorINS9_10device_ptrIjEEEEPS5_jNS1_19radix_merge_compareILb0ELb0EjNS0_19identity_decomposerEEEEE10hipError_tT0_T1_T2_jT3_P12ihipStream_tbPNSt15iterator_traitsISK_E10value_typeEPNSQ_ISL_E10value_typeEPSM_NS1_7vsmem_tEENKUlT_SK_SL_SM_E_clISE_PjSF_SF_EESJ_SZ_SK_SL_SM_EUlSZ_E1_NS1_11comp_targetILNS1_3genE8ELNS1_11target_archE1030ELNS1_3gpuE2ELNS1_3repE0EEENS1_36merge_oddeven_config_static_selectorELNS0_4arch9wavefront6targetE1EEEvSL_,"axG",@progbits,_ZN7rocprim17ROCPRIM_400000_NS6detail17trampoline_kernelINS0_14default_configENS1_38merge_sort_block_merge_config_selectorIjNS0_10empty_typeEEEZZNS1_27merge_sort_block_merge_implIS3_N6thrust23THRUST_200600_302600_NS6detail15normal_iteratorINS9_10device_ptrIjEEEEPS5_jNS1_19radix_merge_compareILb0ELb0EjNS0_19identity_decomposerEEEEE10hipError_tT0_T1_T2_jT3_P12ihipStream_tbPNSt15iterator_traitsISK_E10value_typeEPNSQ_ISL_E10value_typeEPSM_NS1_7vsmem_tEENKUlT_SK_SL_SM_E_clISE_PjSF_SF_EESJ_SZ_SK_SL_SM_EUlSZ_E1_NS1_11comp_targetILNS1_3genE8ELNS1_11target_archE1030ELNS1_3gpuE2ELNS1_3repE0EEENS1_36merge_oddeven_config_static_selectorELNS0_4arch9wavefront6targetE1EEEvSL_,comdat
	.protected	_ZN7rocprim17ROCPRIM_400000_NS6detail17trampoline_kernelINS0_14default_configENS1_38merge_sort_block_merge_config_selectorIjNS0_10empty_typeEEEZZNS1_27merge_sort_block_merge_implIS3_N6thrust23THRUST_200600_302600_NS6detail15normal_iteratorINS9_10device_ptrIjEEEEPS5_jNS1_19radix_merge_compareILb0ELb0EjNS0_19identity_decomposerEEEEE10hipError_tT0_T1_T2_jT3_P12ihipStream_tbPNSt15iterator_traitsISK_E10value_typeEPNSQ_ISL_E10value_typeEPSM_NS1_7vsmem_tEENKUlT_SK_SL_SM_E_clISE_PjSF_SF_EESJ_SZ_SK_SL_SM_EUlSZ_E1_NS1_11comp_targetILNS1_3genE8ELNS1_11target_archE1030ELNS1_3gpuE2ELNS1_3repE0EEENS1_36merge_oddeven_config_static_selectorELNS0_4arch9wavefront6targetE1EEEvSL_ ; -- Begin function _ZN7rocprim17ROCPRIM_400000_NS6detail17trampoline_kernelINS0_14default_configENS1_38merge_sort_block_merge_config_selectorIjNS0_10empty_typeEEEZZNS1_27merge_sort_block_merge_implIS3_N6thrust23THRUST_200600_302600_NS6detail15normal_iteratorINS9_10device_ptrIjEEEEPS5_jNS1_19radix_merge_compareILb0ELb0EjNS0_19identity_decomposerEEEEE10hipError_tT0_T1_T2_jT3_P12ihipStream_tbPNSt15iterator_traitsISK_E10value_typeEPNSQ_ISL_E10value_typeEPSM_NS1_7vsmem_tEENKUlT_SK_SL_SM_E_clISE_PjSF_SF_EESJ_SZ_SK_SL_SM_EUlSZ_E1_NS1_11comp_targetILNS1_3genE8ELNS1_11target_archE1030ELNS1_3gpuE2ELNS1_3repE0EEENS1_36merge_oddeven_config_static_selectorELNS0_4arch9wavefront6targetE1EEEvSL_
	.globl	_ZN7rocprim17ROCPRIM_400000_NS6detail17trampoline_kernelINS0_14default_configENS1_38merge_sort_block_merge_config_selectorIjNS0_10empty_typeEEEZZNS1_27merge_sort_block_merge_implIS3_N6thrust23THRUST_200600_302600_NS6detail15normal_iteratorINS9_10device_ptrIjEEEEPS5_jNS1_19radix_merge_compareILb0ELb0EjNS0_19identity_decomposerEEEEE10hipError_tT0_T1_T2_jT3_P12ihipStream_tbPNSt15iterator_traitsISK_E10value_typeEPNSQ_ISL_E10value_typeEPSM_NS1_7vsmem_tEENKUlT_SK_SL_SM_E_clISE_PjSF_SF_EESJ_SZ_SK_SL_SM_EUlSZ_E1_NS1_11comp_targetILNS1_3genE8ELNS1_11target_archE1030ELNS1_3gpuE2ELNS1_3repE0EEENS1_36merge_oddeven_config_static_selectorELNS0_4arch9wavefront6targetE1EEEvSL_
	.p2align	8
	.type	_ZN7rocprim17ROCPRIM_400000_NS6detail17trampoline_kernelINS0_14default_configENS1_38merge_sort_block_merge_config_selectorIjNS0_10empty_typeEEEZZNS1_27merge_sort_block_merge_implIS3_N6thrust23THRUST_200600_302600_NS6detail15normal_iteratorINS9_10device_ptrIjEEEEPS5_jNS1_19radix_merge_compareILb0ELb0EjNS0_19identity_decomposerEEEEE10hipError_tT0_T1_T2_jT3_P12ihipStream_tbPNSt15iterator_traitsISK_E10value_typeEPNSQ_ISL_E10value_typeEPSM_NS1_7vsmem_tEENKUlT_SK_SL_SM_E_clISE_PjSF_SF_EESJ_SZ_SK_SL_SM_EUlSZ_E1_NS1_11comp_targetILNS1_3genE8ELNS1_11target_archE1030ELNS1_3gpuE2ELNS1_3repE0EEENS1_36merge_oddeven_config_static_selectorELNS0_4arch9wavefront6targetE1EEEvSL_,@function
_ZN7rocprim17ROCPRIM_400000_NS6detail17trampoline_kernelINS0_14default_configENS1_38merge_sort_block_merge_config_selectorIjNS0_10empty_typeEEEZZNS1_27merge_sort_block_merge_implIS3_N6thrust23THRUST_200600_302600_NS6detail15normal_iteratorINS9_10device_ptrIjEEEEPS5_jNS1_19radix_merge_compareILb0ELb0EjNS0_19identity_decomposerEEEEE10hipError_tT0_T1_T2_jT3_P12ihipStream_tbPNSt15iterator_traitsISK_E10value_typeEPNSQ_ISL_E10value_typeEPSM_NS1_7vsmem_tEENKUlT_SK_SL_SM_E_clISE_PjSF_SF_EESJ_SZ_SK_SL_SM_EUlSZ_E1_NS1_11comp_targetILNS1_3genE8ELNS1_11target_archE1030ELNS1_3gpuE2ELNS1_3repE0EEENS1_36merge_oddeven_config_static_selectorELNS0_4arch9wavefront6targetE1EEEvSL_: ; @_ZN7rocprim17ROCPRIM_400000_NS6detail17trampoline_kernelINS0_14default_configENS1_38merge_sort_block_merge_config_selectorIjNS0_10empty_typeEEEZZNS1_27merge_sort_block_merge_implIS3_N6thrust23THRUST_200600_302600_NS6detail15normal_iteratorINS9_10device_ptrIjEEEEPS5_jNS1_19radix_merge_compareILb0ELb0EjNS0_19identity_decomposerEEEEE10hipError_tT0_T1_T2_jT3_P12ihipStream_tbPNSt15iterator_traitsISK_E10value_typeEPNSQ_ISL_E10value_typeEPSM_NS1_7vsmem_tEENKUlT_SK_SL_SM_E_clISE_PjSF_SF_EESJ_SZ_SK_SL_SM_EUlSZ_E1_NS1_11comp_targetILNS1_3genE8ELNS1_11target_archE1030ELNS1_3gpuE2ELNS1_3repE0EEENS1_36merge_oddeven_config_static_selectorELNS0_4arch9wavefront6targetE1EEEvSL_
; %bb.0:
	.section	.rodata,"a",@progbits
	.p2align	6, 0x0
	.amdhsa_kernel _ZN7rocprim17ROCPRIM_400000_NS6detail17trampoline_kernelINS0_14default_configENS1_38merge_sort_block_merge_config_selectorIjNS0_10empty_typeEEEZZNS1_27merge_sort_block_merge_implIS3_N6thrust23THRUST_200600_302600_NS6detail15normal_iteratorINS9_10device_ptrIjEEEEPS5_jNS1_19radix_merge_compareILb0ELb0EjNS0_19identity_decomposerEEEEE10hipError_tT0_T1_T2_jT3_P12ihipStream_tbPNSt15iterator_traitsISK_E10value_typeEPNSQ_ISL_E10value_typeEPSM_NS1_7vsmem_tEENKUlT_SK_SL_SM_E_clISE_PjSF_SF_EESJ_SZ_SK_SL_SM_EUlSZ_E1_NS1_11comp_targetILNS1_3genE8ELNS1_11target_archE1030ELNS1_3gpuE2ELNS1_3repE0EEENS1_36merge_oddeven_config_static_selectorELNS0_4arch9wavefront6targetE1EEEvSL_
		.amdhsa_group_segment_fixed_size 0
		.amdhsa_private_segment_fixed_size 0
		.amdhsa_kernarg_size 48
		.amdhsa_user_sgpr_count 6
		.amdhsa_user_sgpr_private_segment_buffer 1
		.amdhsa_user_sgpr_dispatch_ptr 0
		.amdhsa_user_sgpr_queue_ptr 0
		.amdhsa_user_sgpr_kernarg_segment_ptr 1
		.amdhsa_user_sgpr_dispatch_id 0
		.amdhsa_user_sgpr_flat_scratch_init 0
		.amdhsa_user_sgpr_kernarg_preload_length 0
		.amdhsa_user_sgpr_kernarg_preload_offset 0
		.amdhsa_user_sgpr_private_segment_size 0
		.amdhsa_uses_dynamic_stack 0
		.amdhsa_system_sgpr_private_segment_wavefront_offset 0
		.amdhsa_system_sgpr_workgroup_id_x 1
		.amdhsa_system_sgpr_workgroup_id_y 0
		.amdhsa_system_sgpr_workgroup_id_z 0
		.amdhsa_system_sgpr_workgroup_info 0
		.amdhsa_system_vgpr_workitem_id 0
		.amdhsa_next_free_vgpr 1
		.amdhsa_next_free_sgpr 0
		.amdhsa_accum_offset 4
		.amdhsa_reserve_vcc 0
		.amdhsa_reserve_flat_scratch 0
		.amdhsa_float_round_mode_32 0
		.amdhsa_float_round_mode_16_64 0
		.amdhsa_float_denorm_mode_32 3
		.amdhsa_float_denorm_mode_16_64 3
		.amdhsa_dx10_clamp 1
		.amdhsa_ieee_mode 1
		.amdhsa_fp16_overflow 0
		.amdhsa_tg_split 0
		.amdhsa_exception_fp_ieee_invalid_op 0
		.amdhsa_exception_fp_denorm_src 0
		.amdhsa_exception_fp_ieee_div_zero 0
		.amdhsa_exception_fp_ieee_overflow 0
		.amdhsa_exception_fp_ieee_underflow 0
		.amdhsa_exception_fp_ieee_inexact 0
		.amdhsa_exception_int_div_zero 0
	.end_amdhsa_kernel
	.section	.text._ZN7rocprim17ROCPRIM_400000_NS6detail17trampoline_kernelINS0_14default_configENS1_38merge_sort_block_merge_config_selectorIjNS0_10empty_typeEEEZZNS1_27merge_sort_block_merge_implIS3_N6thrust23THRUST_200600_302600_NS6detail15normal_iteratorINS9_10device_ptrIjEEEEPS5_jNS1_19radix_merge_compareILb0ELb0EjNS0_19identity_decomposerEEEEE10hipError_tT0_T1_T2_jT3_P12ihipStream_tbPNSt15iterator_traitsISK_E10value_typeEPNSQ_ISL_E10value_typeEPSM_NS1_7vsmem_tEENKUlT_SK_SL_SM_E_clISE_PjSF_SF_EESJ_SZ_SK_SL_SM_EUlSZ_E1_NS1_11comp_targetILNS1_3genE8ELNS1_11target_archE1030ELNS1_3gpuE2ELNS1_3repE0EEENS1_36merge_oddeven_config_static_selectorELNS0_4arch9wavefront6targetE1EEEvSL_,"axG",@progbits,_ZN7rocprim17ROCPRIM_400000_NS6detail17trampoline_kernelINS0_14default_configENS1_38merge_sort_block_merge_config_selectorIjNS0_10empty_typeEEEZZNS1_27merge_sort_block_merge_implIS3_N6thrust23THRUST_200600_302600_NS6detail15normal_iteratorINS9_10device_ptrIjEEEEPS5_jNS1_19radix_merge_compareILb0ELb0EjNS0_19identity_decomposerEEEEE10hipError_tT0_T1_T2_jT3_P12ihipStream_tbPNSt15iterator_traitsISK_E10value_typeEPNSQ_ISL_E10value_typeEPSM_NS1_7vsmem_tEENKUlT_SK_SL_SM_E_clISE_PjSF_SF_EESJ_SZ_SK_SL_SM_EUlSZ_E1_NS1_11comp_targetILNS1_3genE8ELNS1_11target_archE1030ELNS1_3gpuE2ELNS1_3repE0EEENS1_36merge_oddeven_config_static_selectorELNS0_4arch9wavefront6targetE1EEEvSL_,comdat
.Lfunc_end1016:
	.size	_ZN7rocprim17ROCPRIM_400000_NS6detail17trampoline_kernelINS0_14default_configENS1_38merge_sort_block_merge_config_selectorIjNS0_10empty_typeEEEZZNS1_27merge_sort_block_merge_implIS3_N6thrust23THRUST_200600_302600_NS6detail15normal_iteratorINS9_10device_ptrIjEEEEPS5_jNS1_19radix_merge_compareILb0ELb0EjNS0_19identity_decomposerEEEEE10hipError_tT0_T1_T2_jT3_P12ihipStream_tbPNSt15iterator_traitsISK_E10value_typeEPNSQ_ISL_E10value_typeEPSM_NS1_7vsmem_tEENKUlT_SK_SL_SM_E_clISE_PjSF_SF_EESJ_SZ_SK_SL_SM_EUlSZ_E1_NS1_11comp_targetILNS1_3genE8ELNS1_11target_archE1030ELNS1_3gpuE2ELNS1_3repE0EEENS1_36merge_oddeven_config_static_selectorELNS0_4arch9wavefront6targetE1EEEvSL_, .Lfunc_end1016-_ZN7rocprim17ROCPRIM_400000_NS6detail17trampoline_kernelINS0_14default_configENS1_38merge_sort_block_merge_config_selectorIjNS0_10empty_typeEEEZZNS1_27merge_sort_block_merge_implIS3_N6thrust23THRUST_200600_302600_NS6detail15normal_iteratorINS9_10device_ptrIjEEEEPS5_jNS1_19radix_merge_compareILb0ELb0EjNS0_19identity_decomposerEEEEE10hipError_tT0_T1_T2_jT3_P12ihipStream_tbPNSt15iterator_traitsISK_E10value_typeEPNSQ_ISL_E10value_typeEPSM_NS1_7vsmem_tEENKUlT_SK_SL_SM_E_clISE_PjSF_SF_EESJ_SZ_SK_SL_SM_EUlSZ_E1_NS1_11comp_targetILNS1_3genE8ELNS1_11target_archE1030ELNS1_3gpuE2ELNS1_3repE0EEENS1_36merge_oddeven_config_static_selectorELNS0_4arch9wavefront6targetE1EEEvSL_
                                        ; -- End function
	.section	.AMDGPU.csdata,"",@progbits
; Kernel info:
; codeLenInByte = 0
; NumSgprs: 4
; NumVgprs: 0
; NumAgprs: 0
; TotalNumVgprs: 0
; ScratchSize: 0
; MemoryBound: 0
; FloatMode: 240
; IeeeMode: 1
; LDSByteSize: 0 bytes/workgroup (compile time only)
; SGPRBlocks: 0
; VGPRBlocks: 0
; NumSGPRsForWavesPerEU: 4
; NumVGPRsForWavesPerEU: 1
; AccumOffset: 4
; Occupancy: 8
; WaveLimiterHint : 0
; COMPUTE_PGM_RSRC2:SCRATCH_EN: 0
; COMPUTE_PGM_RSRC2:USER_SGPR: 6
; COMPUTE_PGM_RSRC2:TRAP_HANDLER: 0
; COMPUTE_PGM_RSRC2:TGID_X_EN: 1
; COMPUTE_PGM_RSRC2:TGID_Y_EN: 0
; COMPUTE_PGM_RSRC2:TGID_Z_EN: 0
; COMPUTE_PGM_RSRC2:TIDIG_COMP_CNT: 0
; COMPUTE_PGM_RSRC3_GFX90A:ACCUM_OFFSET: 0
; COMPUTE_PGM_RSRC3_GFX90A:TG_SPLIT: 0
	.section	.text._ZN7rocprim17ROCPRIM_400000_NS6detail17trampoline_kernelINS0_14default_configENS1_25transform_config_selectorIjLb0EEEZNS1_14transform_implILb0ES3_S5_PjN6thrust23THRUST_200600_302600_NS6detail15normal_iteratorINS9_10device_ptrIjEEEENS0_8identityIjEEEE10hipError_tT2_T3_mT4_P12ihipStream_tbEUlT_E_NS1_11comp_targetILNS1_3genE0ELNS1_11target_archE4294967295ELNS1_3gpuE0ELNS1_3repE0EEENS1_30default_config_static_selectorELNS0_4arch9wavefront6targetE1EEEvT1_,"axG",@progbits,_ZN7rocprim17ROCPRIM_400000_NS6detail17trampoline_kernelINS0_14default_configENS1_25transform_config_selectorIjLb0EEEZNS1_14transform_implILb0ES3_S5_PjN6thrust23THRUST_200600_302600_NS6detail15normal_iteratorINS9_10device_ptrIjEEEENS0_8identityIjEEEE10hipError_tT2_T3_mT4_P12ihipStream_tbEUlT_E_NS1_11comp_targetILNS1_3genE0ELNS1_11target_archE4294967295ELNS1_3gpuE0ELNS1_3repE0EEENS1_30default_config_static_selectorELNS0_4arch9wavefront6targetE1EEEvT1_,comdat
	.protected	_ZN7rocprim17ROCPRIM_400000_NS6detail17trampoline_kernelINS0_14default_configENS1_25transform_config_selectorIjLb0EEEZNS1_14transform_implILb0ES3_S5_PjN6thrust23THRUST_200600_302600_NS6detail15normal_iteratorINS9_10device_ptrIjEEEENS0_8identityIjEEEE10hipError_tT2_T3_mT4_P12ihipStream_tbEUlT_E_NS1_11comp_targetILNS1_3genE0ELNS1_11target_archE4294967295ELNS1_3gpuE0ELNS1_3repE0EEENS1_30default_config_static_selectorELNS0_4arch9wavefront6targetE1EEEvT1_ ; -- Begin function _ZN7rocprim17ROCPRIM_400000_NS6detail17trampoline_kernelINS0_14default_configENS1_25transform_config_selectorIjLb0EEEZNS1_14transform_implILb0ES3_S5_PjN6thrust23THRUST_200600_302600_NS6detail15normal_iteratorINS9_10device_ptrIjEEEENS0_8identityIjEEEE10hipError_tT2_T3_mT4_P12ihipStream_tbEUlT_E_NS1_11comp_targetILNS1_3genE0ELNS1_11target_archE4294967295ELNS1_3gpuE0ELNS1_3repE0EEENS1_30default_config_static_selectorELNS0_4arch9wavefront6targetE1EEEvT1_
	.globl	_ZN7rocprim17ROCPRIM_400000_NS6detail17trampoline_kernelINS0_14default_configENS1_25transform_config_selectorIjLb0EEEZNS1_14transform_implILb0ES3_S5_PjN6thrust23THRUST_200600_302600_NS6detail15normal_iteratorINS9_10device_ptrIjEEEENS0_8identityIjEEEE10hipError_tT2_T3_mT4_P12ihipStream_tbEUlT_E_NS1_11comp_targetILNS1_3genE0ELNS1_11target_archE4294967295ELNS1_3gpuE0ELNS1_3repE0EEENS1_30default_config_static_selectorELNS0_4arch9wavefront6targetE1EEEvT1_
	.p2align	8
	.type	_ZN7rocprim17ROCPRIM_400000_NS6detail17trampoline_kernelINS0_14default_configENS1_25transform_config_selectorIjLb0EEEZNS1_14transform_implILb0ES3_S5_PjN6thrust23THRUST_200600_302600_NS6detail15normal_iteratorINS9_10device_ptrIjEEEENS0_8identityIjEEEE10hipError_tT2_T3_mT4_P12ihipStream_tbEUlT_E_NS1_11comp_targetILNS1_3genE0ELNS1_11target_archE4294967295ELNS1_3gpuE0ELNS1_3repE0EEENS1_30default_config_static_selectorELNS0_4arch9wavefront6targetE1EEEvT1_,@function
_ZN7rocprim17ROCPRIM_400000_NS6detail17trampoline_kernelINS0_14default_configENS1_25transform_config_selectorIjLb0EEEZNS1_14transform_implILb0ES3_S5_PjN6thrust23THRUST_200600_302600_NS6detail15normal_iteratorINS9_10device_ptrIjEEEENS0_8identityIjEEEE10hipError_tT2_T3_mT4_P12ihipStream_tbEUlT_E_NS1_11comp_targetILNS1_3genE0ELNS1_11target_archE4294967295ELNS1_3gpuE0ELNS1_3repE0EEENS1_30default_config_static_selectorELNS0_4arch9wavefront6targetE1EEEvT1_: ; @_ZN7rocprim17ROCPRIM_400000_NS6detail17trampoline_kernelINS0_14default_configENS1_25transform_config_selectorIjLb0EEEZNS1_14transform_implILb0ES3_S5_PjN6thrust23THRUST_200600_302600_NS6detail15normal_iteratorINS9_10device_ptrIjEEEENS0_8identityIjEEEE10hipError_tT2_T3_mT4_P12ihipStream_tbEUlT_E_NS1_11comp_targetILNS1_3genE0ELNS1_11target_archE4294967295ELNS1_3gpuE0ELNS1_3repE0EEENS1_30default_config_static_selectorELNS0_4arch9wavefront6targetE1EEEvT1_
; %bb.0:
	.section	.rodata,"a",@progbits
	.p2align	6, 0x0
	.amdhsa_kernel _ZN7rocprim17ROCPRIM_400000_NS6detail17trampoline_kernelINS0_14default_configENS1_25transform_config_selectorIjLb0EEEZNS1_14transform_implILb0ES3_S5_PjN6thrust23THRUST_200600_302600_NS6detail15normal_iteratorINS9_10device_ptrIjEEEENS0_8identityIjEEEE10hipError_tT2_T3_mT4_P12ihipStream_tbEUlT_E_NS1_11comp_targetILNS1_3genE0ELNS1_11target_archE4294967295ELNS1_3gpuE0ELNS1_3repE0EEENS1_30default_config_static_selectorELNS0_4arch9wavefront6targetE1EEEvT1_
		.amdhsa_group_segment_fixed_size 0
		.amdhsa_private_segment_fixed_size 0
		.amdhsa_kernarg_size 40
		.amdhsa_user_sgpr_count 6
		.amdhsa_user_sgpr_private_segment_buffer 1
		.amdhsa_user_sgpr_dispatch_ptr 0
		.amdhsa_user_sgpr_queue_ptr 0
		.amdhsa_user_sgpr_kernarg_segment_ptr 1
		.amdhsa_user_sgpr_dispatch_id 0
		.amdhsa_user_sgpr_flat_scratch_init 0
		.amdhsa_user_sgpr_kernarg_preload_length 0
		.amdhsa_user_sgpr_kernarg_preload_offset 0
		.amdhsa_user_sgpr_private_segment_size 0
		.amdhsa_uses_dynamic_stack 0
		.amdhsa_system_sgpr_private_segment_wavefront_offset 0
		.amdhsa_system_sgpr_workgroup_id_x 1
		.amdhsa_system_sgpr_workgroup_id_y 0
		.amdhsa_system_sgpr_workgroup_id_z 0
		.amdhsa_system_sgpr_workgroup_info 0
		.amdhsa_system_vgpr_workitem_id 0
		.amdhsa_next_free_vgpr 1
		.amdhsa_next_free_sgpr 0
		.amdhsa_accum_offset 4
		.amdhsa_reserve_vcc 0
		.amdhsa_reserve_flat_scratch 0
		.amdhsa_float_round_mode_32 0
		.amdhsa_float_round_mode_16_64 0
		.amdhsa_float_denorm_mode_32 3
		.amdhsa_float_denorm_mode_16_64 3
		.amdhsa_dx10_clamp 1
		.amdhsa_ieee_mode 1
		.amdhsa_fp16_overflow 0
		.amdhsa_tg_split 0
		.amdhsa_exception_fp_ieee_invalid_op 0
		.amdhsa_exception_fp_denorm_src 0
		.amdhsa_exception_fp_ieee_div_zero 0
		.amdhsa_exception_fp_ieee_overflow 0
		.amdhsa_exception_fp_ieee_underflow 0
		.amdhsa_exception_fp_ieee_inexact 0
		.amdhsa_exception_int_div_zero 0
	.end_amdhsa_kernel
	.section	.text._ZN7rocprim17ROCPRIM_400000_NS6detail17trampoline_kernelINS0_14default_configENS1_25transform_config_selectorIjLb0EEEZNS1_14transform_implILb0ES3_S5_PjN6thrust23THRUST_200600_302600_NS6detail15normal_iteratorINS9_10device_ptrIjEEEENS0_8identityIjEEEE10hipError_tT2_T3_mT4_P12ihipStream_tbEUlT_E_NS1_11comp_targetILNS1_3genE0ELNS1_11target_archE4294967295ELNS1_3gpuE0ELNS1_3repE0EEENS1_30default_config_static_selectorELNS0_4arch9wavefront6targetE1EEEvT1_,"axG",@progbits,_ZN7rocprim17ROCPRIM_400000_NS6detail17trampoline_kernelINS0_14default_configENS1_25transform_config_selectorIjLb0EEEZNS1_14transform_implILb0ES3_S5_PjN6thrust23THRUST_200600_302600_NS6detail15normal_iteratorINS9_10device_ptrIjEEEENS0_8identityIjEEEE10hipError_tT2_T3_mT4_P12ihipStream_tbEUlT_E_NS1_11comp_targetILNS1_3genE0ELNS1_11target_archE4294967295ELNS1_3gpuE0ELNS1_3repE0EEENS1_30default_config_static_selectorELNS0_4arch9wavefront6targetE1EEEvT1_,comdat
.Lfunc_end1017:
	.size	_ZN7rocprim17ROCPRIM_400000_NS6detail17trampoline_kernelINS0_14default_configENS1_25transform_config_selectorIjLb0EEEZNS1_14transform_implILb0ES3_S5_PjN6thrust23THRUST_200600_302600_NS6detail15normal_iteratorINS9_10device_ptrIjEEEENS0_8identityIjEEEE10hipError_tT2_T3_mT4_P12ihipStream_tbEUlT_E_NS1_11comp_targetILNS1_3genE0ELNS1_11target_archE4294967295ELNS1_3gpuE0ELNS1_3repE0EEENS1_30default_config_static_selectorELNS0_4arch9wavefront6targetE1EEEvT1_, .Lfunc_end1017-_ZN7rocprim17ROCPRIM_400000_NS6detail17trampoline_kernelINS0_14default_configENS1_25transform_config_selectorIjLb0EEEZNS1_14transform_implILb0ES3_S5_PjN6thrust23THRUST_200600_302600_NS6detail15normal_iteratorINS9_10device_ptrIjEEEENS0_8identityIjEEEE10hipError_tT2_T3_mT4_P12ihipStream_tbEUlT_E_NS1_11comp_targetILNS1_3genE0ELNS1_11target_archE4294967295ELNS1_3gpuE0ELNS1_3repE0EEENS1_30default_config_static_selectorELNS0_4arch9wavefront6targetE1EEEvT1_
                                        ; -- End function
	.section	.AMDGPU.csdata,"",@progbits
; Kernel info:
; codeLenInByte = 0
; NumSgprs: 4
; NumVgprs: 0
; NumAgprs: 0
; TotalNumVgprs: 0
; ScratchSize: 0
; MemoryBound: 0
; FloatMode: 240
; IeeeMode: 1
; LDSByteSize: 0 bytes/workgroup (compile time only)
; SGPRBlocks: 0
; VGPRBlocks: 0
; NumSGPRsForWavesPerEU: 4
; NumVGPRsForWavesPerEU: 1
; AccumOffset: 4
; Occupancy: 8
; WaveLimiterHint : 0
; COMPUTE_PGM_RSRC2:SCRATCH_EN: 0
; COMPUTE_PGM_RSRC2:USER_SGPR: 6
; COMPUTE_PGM_RSRC2:TRAP_HANDLER: 0
; COMPUTE_PGM_RSRC2:TGID_X_EN: 1
; COMPUTE_PGM_RSRC2:TGID_Y_EN: 0
; COMPUTE_PGM_RSRC2:TGID_Z_EN: 0
; COMPUTE_PGM_RSRC2:TIDIG_COMP_CNT: 0
; COMPUTE_PGM_RSRC3_GFX90A:ACCUM_OFFSET: 0
; COMPUTE_PGM_RSRC3_GFX90A:TG_SPLIT: 0
	.section	.text._ZN7rocprim17ROCPRIM_400000_NS6detail17trampoline_kernelINS0_14default_configENS1_25transform_config_selectorIjLb0EEEZNS1_14transform_implILb0ES3_S5_PjN6thrust23THRUST_200600_302600_NS6detail15normal_iteratorINS9_10device_ptrIjEEEENS0_8identityIjEEEE10hipError_tT2_T3_mT4_P12ihipStream_tbEUlT_E_NS1_11comp_targetILNS1_3genE5ELNS1_11target_archE942ELNS1_3gpuE9ELNS1_3repE0EEENS1_30default_config_static_selectorELNS0_4arch9wavefront6targetE1EEEvT1_,"axG",@progbits,_ZN7rocprim17ROCPRIM_400000_NS6detail17trampoline_kernelINS0_14default_configENS1_25transform_config_selectorIjLb0EEEZNS1_14transform_implILb0ES3_S5_PjN6thrust23THRUST_200600_302600_NS6detail15normal_iteratorINS9_10device_ptrIjEEEENS0_8identityIjEEEE10hipError_tT2_T3_mT4_P12ihipStream_tbEUlT_E_NS1_11comp_targetILNS1_3genE5ELNS1_11target_archE942ELNS1_3gpuE9ELNS1_3repE0EEENS1_30default_config_static_selectorELNS0_4arch9wavefront6targetE1EEEvT1_,comdat
	.protected	_ZN7rocprim17ROCPRIM_400000_NS6detail17trampoline_kernelINS0_14default_configENS1_25transform_config_selectorIjLb0EEEZNS1_14transform_implILb0ES3_S5_PjN6thrust23THRUST_200600_302600_NS6detail15normal_iteratorINS9_10device_ptrIjEEEENS0_8identityIjEEEE10hipError_tT2_T3_mT4_P12ihipStream_tbEUlT_E_NS1_11comp_targetILNS1_3genE5ELNS1_11target_archE942ELNS1_3gpuE9ELNS1_3repE0EEENS1_30default_config_static_selectorELNS0_4arch9wavefront6targetE1EEEvT1_ ; -- Begin function _ZN7rocprim17ROCPRIM_400000_NS6detail17trampoline_kernelINS0_14default_configENS1_25transform_config_selectorIjLb0EEEZNS1_14transform_implILb0ES3_S5_PjN6thrust23THRUST_200600_302600_NS6detail15normal_iteratorINS9_10device_ptrIjEEEENS0_8identityIjEEEE10hipError_tT2_T3_mT4_P12ihipStream_tbEUlT_E_NS1_11comp_targetILNS1_3genE5ELNS1_11target_archE942ELNS1_3gpuE9ELNS1_3repE0EEENS1_30default_config_static_selectorELNS0_4arch9wavefront6targetE1EEEvT1_
	.globl	_ZN7rocprim17ROCPRIM_400000_NS6detail17trampoline_kernelINS0_14default_configENS1_25transform_config_selectorIjLb0EEEZNS1_14transform_implILb0ES3_S5_PjN6thrust23THRUST_200600_302600_NS6detail15normal_iteratorINS9_10device_ptrIjEEEENS0_8identityIjEEEE10hipError_tT2_T3_mT4_P12ihipStream_tbEUlT_E_NS1_11comp_targetILNS1_3genE5ELNS1_11target_archE942ELNS1_3gpuE9ELNS1_3repE0EEENS1_30default_config_static_selectorELNS0_4arch9wavefront6targetE1EEEvT1_
	.p2align	8
	.type	_ZN7rocprim17ROCPRIM_400000_NS6detail17trampoline_kernelINS0_14default_configENS1_25transform_config_selectorIjLb0EEEZNS1_14transform_implILb0ES3_S5_PjN6thrust23THRUST_200600_302600_NS6detail15normal_iteratorINS9_10device_ptrIjEEEENS0_8identityIjEEEE10hipError_tT2_T3_mT4_P12ihipStream_tbEUlT_E_NS1_11comp_targetILNS1_3genE5ELNS1_11target_archE942ELNS1_3gpuE9ELNS1_3repE0EEENS1_30default_config_static_selectorELNS0_4arch9wavefront6targetE1EEEvT1_,@function
_ZN7rocprim17ROCPRIM_400000_NS6detail17trampoline_kernelINS0_14default_configENS1_25transform_config_selectorIjLb0EEEZNS1_14transform_implILb0ES3_S5_PjN6thrust23THRUST_200600_302600_NS6detail15normal_iteratorINS9_10device_ptrIjEEEENS0_8identityIjEEEE10hipError_tT2_T3_mT4_P12ihipStream_tbEUlT_E_NS1_11comp_targetILNS1_3genE5ELNS1_11target_archE942ELNS1_3gpuE9ELNS1_3repE0EEENS1_30default_config_static_selectorELNS0_4arch9wavefront6targetE1EEEvT1_: ; @_ZN7rocprim17ROCPRIM_400000_NS6detail17trampoline_kernelINS0_14default_configENS1_25transform_config_selectorIjLb0EEEZNS1_14transform_implILb0ES3_S5_PjN6thrust23THRUST_200600_302600_NS6detail15normal_iteratorINS9_10device_ptrIjEEEENS0_8identityIjEEEE10hipError_tT2_T3_mT4_P12ihipStream_tbEUlT_E_NS1_11comp_targetILNS1_3genE5ELNS1_11target_archE942ELNS1_3gpuE9ELNS1_3repE0EEENS1_30default_config_static_selectorELNS0_4arch9wavefront6targetE1EEEvT1_
; %bb.0:
	.section	.rodata,"a",@progbits
	.p2align	6, 0x0
	.amdhsa_kernel _ZN7rocprim17ROCPRIM_400000_NS6detail17trampoline_kernelINS0_14default_configENS1_25transform_config_selectorIjLb0EEEZNS1_14transform_implILb0ES3_S5_PjN6thrust23THRUST_200600_302600_NS6detail15normal_iteratorINS9_10device_ptrIjEEEENS0_8identityIjEEEE10hipError_tT2_T3_mT4_P12ihipStream_tbEUlT_E_NS1_11comp_targetILNS1_3genE5ELNS1_11target_archE942ELNS1_3gpuE9ELNS1_3repE0EEENS1_30default_config_static_selectorELNS0_4arch9wavefront6targetE1EEEvT1_
		.amdhsa_group_segment_fixed_size 0
		.amdhsa_private_segment_fixed_size 0
		.amdhsa_kernarg_size 40
		.amdhsa_user_sgpr_count 6
		.amdhsa_user_sgpr_private_segment_buffer 1
		.amdhsa_user_sgpr_dispatch_ptr 0
		.amdhsa_user_sgpr_queue_ptr 0
		.amdhsa_user_sgpr_kernarg_segment_ptr 1
		.amdhsa_user_sgpr_dispatch_id 0
		.amdhsa_user_sgpr_flat_scratch_init 0
		.amdhsa_user_sgpr_kernarg_preload_length 0
		.amdhsa_user_sgpr_kernarg_preload_offset 0
		.amdhsa_user_sgpr_private_segment_size 0
		.amdhsa_uses_dynamic_stack 0
		.amdhsa_system_sgpr_private_segment_wavefront_offset 0
		.amdhsa_system_sgpr_workgroup_id_x 1
		.amdhsa_system_sgpr_workgroup_id_y 0
		.amdhsa_system_sgpr_workgroup_id_z 0
		.amdhsa_system_sgpr_workgroup_info 0
		.amdhsa_system_vgpr_workitem_id 0
		.amdhsa_next_free_vgpr 1
		.amdhsa_next_free_sgpr 0
		.amdhsa_accum_offset 4
		.amdhsa_reserve_vcc 0
		.amdhsa_reserve_flat_scratch 0
		.amdhsa_float_round_mode_32 0
		.amdhsa_float_round_mode_16_64 0
		.amdhsa_float_denorm_mode_32 3
		.amdhsa_float_denorm_mode_16_64 3
		.amdhsa_dx10_clamp 1
		.amdhsa_ieee_mode 1
		.amdhsa_fp16_overflow 0
		.amdhsa_tg_split 0
		.amdhsa_exception_fp_ieee_invalid_op 0
		.amdhsa_exception_fp_denorm_src 0
		.amdhsa_exception_fp_ieee_div_zero 0
		.amdhsa_exception_fp_ieee_overflow 0
		.amdhsa_exception_fp_ieee_underflow 0
		.amdhsa_exception_fp_ieee_inexact 0
		.amdhsa_exception_int_div_zero 0
	.end_amdhsa_kernel
	.section	.text._ZN7rocprim17ROCPRIM_400000_NS6detail17trampoline_kernelINS0_14default_configENS1_25transform_config_selectorIjLb0EEEZNS1_14transform_implILb0ES3_S5_PjN6thrust23THRUST_200600_302600_NS6detail15normal_iteratorINS9_10device_ptrIjEEEENS0_8identityIjEEEE10hipError_tT2_T3_mT4_P12ihipStream_tbEUlT_E_NS1_11comp_targetILNS1_3genE5ELNS1_11target_archE942ELNS1_3gpuE9ELNS1_3repE0EEENS1_30default_config_static_selectorELNS0_4arch9wavefront6targetE1EEEvT1_,"axG",@progbits,_ZN7rocprim17ROCPRIM_400000_NS6detail17trampoline_kernelINS0_14default_configENS1_25transform_config_selectorIjLb0EEEZNS1_14transform_implILb0ES3_S5_PjN6thrust23THRUST_200600_302600_NS6detail15normal_iteratorINS9_10device_ptrIjEEEENS0_8identityIjEEEE10hipError_tT2_T3_mT4_P12ihipStream_tbEUlT_E_NS1_11comp_targetILNS1_3genE5ELNS1_11target_archE942ELNS1_3gpuE9ELNS1_3repE0EEENS1_30default_config_static_selectorELNS0_4arch9wavefront6targetE1EEEvT1_,comdat
.Lfunc_end1018:
	.size	_ZN7rocprim17ROCPRIM_400000_NS6detail17trampoline_kernelINS0_14default_configENS1_25transform_config_selectorIjLb0EEEZNS1_14transform_implILb0ES3_S5_PjN6thrust23THRUST_200600_302600_NS6detail15normal_iteratorINS9_10device_ptrIjEEEENS0_8identityIjEEEE10hipError_tT2_T3_mT4_P12ihipStream_tbEUlT_E_NS1_11comp_targetILNS1_3genE5ELNS1_11target_archE942ELNS1_3gpuE9ELNS1_3repE0EEENS1_30default_config_static_selectorELNS0_4arch9wavefront6targetE1EEEvT1_, .Lfunc_end1018-_ZN7rocprim17ROCPRIM_400000_NS6detail17trampoline_kernelINS0_14default_configENS1_25transform_config_selectorIjLb0EEEZNS1_14transform_implILb0ES3_S5_PjN6thrust23THRUST_200600_302600_NS6detail15normal_iteratorINS9_10device_ptrIjEEEENS0_8identityIjEEEE10hipError_tT2_T3_mT4_P12ihipStream_tbEUlT_E_NS1_11comp_targetILNS1_3genE5ELNS1_11target_archE942ELNS1_3gpuE9ELNS1_3repE0EEENS1_30default_config_static_selectorELNS0_4arch9wavefront6targetE1EEEvT1_
                                        ; -- End function
	.section	.AMDGPU.csdata,"",@progbits
; Kernel info:
; codeLenInByte = 0
; NumSgprs: 4
; NumVgprs: 0
; NumAgprs: 0
; TotalNumVgprs: 0
; ScratchSize: 0
; MemoryBound: 0
; FloatMode: 240
; IeeeMode: 1
; LDSByteSize: 0 bytes/workgroup (compile time only)
; SGPRBlocks: 0
; VGPRBlocks: 0
; NumSGPRsForWavesPerEU: 4
; NumVGPRsForWavesPerEU: 1
; AccumOffset: 4
; Occupancy: 8
; WaveLimiterHint : 0
; COMPUTE_PGM_RSRC2:SCRATCH_EN: 0
; COMPUTE_PGM_RSRC2:USER_SGPR: 6
; COMPUTE_PGM_RSRC2:TRAP_HANDLER: 0
; COMPUTE_PGM_RSRC2:TGID_X_EN: 1
; COMPUTE_PGM_RSRC2:TGID_Y_EN: 0
; COMPUTE_PGM_RSRC2:TGID_Z_EN: 0
; COMPUTE_PGM_RSRC2:TIDIG_COMP_CNT: 0
; COMPUTE_PGM_RSRC3_GFX90A:ACCUM_OFFSET: 0
; COMPUTE_PGM_RSRC3_GFX90A:TG_SPLIT: 0
	.section	.text._ZN7rocprim17ROCPRIM_400000_NS6detail17trampoline_kernelINS0_14default_configENS1_25transform_config_selectorIjLb0EEEZNS1_14transform_implILb0ES3_S5_PjN6thrust23THRUST_200600_302600_NS6detail15normal_iteratorINS9_10device_ptrIjEEEENS0_8identityIjEEEE10hipError_tT2_T3_mT4_P12ihipStream_tbEUlT_E_NS1_11comp_targetILNS1_3genE4ELNS1_11target_archE910ELNS1_3gpuE8ELNS1_3repE0EEENS1_30default_config_static_selectorELNS0_4arch9wavefront6targetE1EEEvT1_,"axG",@progbits,_ZN7rocprim17ROCPRIM_400000_NS6detail17trampoline_kernelINS0_14default_configENS1_25transform_config_selectorIjLb0EEEZNS1_14transform_implILb0ES3_S5_PjN6thrust23THRUST_200600_302600_NS6detail15normal_iteratorINS9_10device_ptrIjEEEENS0_8identityIjEEEE10hipError_tT2_T3_mT4_P12ihipStream_tbEUlT_E_NS1_11comp_targetILNS1_3genE4ELNS1_11target_archE910ELNS1_3gpuE8ELNS1_3repE0EEENS1_30default_config_static_selectorELNS0_4arch9wavefront6targetE1EEEvT1_,comdat
	.protected	_ZN7rocprim17ROCPRIM_400000_NS6detail17trampoline_kernelINS0_14default_configENS1_25transform_config_selectorIjLb0EEEZNS1_14transform_implILb0ES3_S5_PjN6thrust23THRUST_200600_302600_NS6detail15normal_iteratorINS9_10device_ptrIjEEEENS0_8identityIjEEEE10hipError_tT2_T3_mT4_P12ihipStream_tbEUlT_E_NS1_11comp_targetILNS1_3genE4ELNS1_11target_archE910ELNS1_3gpuE8ELNS1_3repE0EEENS1_30default_config_static_selectorELNS0_4arch9wavefront6targetE1EEEvT1_ ; -- Begin function _ZN7rocprim17ROCPRIM_400000_NS6detail17trampoline_kernelINS0_14default_configENS1_25transform_config_selectorIjLb0EEEZNS1_14transform_implILb0ES3_S5_PjN6thrust23THRUST_200600_302600_NS6detail15normal_iteratorINS9_10device_ptrIjEEEENS0_8identityIjEEEE10hipError_tT2_T3_mT4_P12ihipStream_tbEUlT_E_NS1_11comp_targetILNS1_3genE4ELNS1_11target_archE910ELNS1_3gpuE8ELNS1_3repE0EEENS1_30default_config_static_selectorELNS0_4arch9wavefront6targetE1EEEvT1_
	.globl	_ZN7rocprim17ROCPRIM_400000_NS6detail17trampoline_kernelINS0_14default_configENS1_25transform_config_selectorIjLb0EEEZNS1_14transform_implILb0ES3_S5_PjN6thrust23THRUST_200600_302600_NS6detail15normal_iteratorINS9_10device_ptrIjEEEENS0_8identityIjEEEE10hipError_tT2_T3_mT4_P12ihipStream_tbEUlT_E_NS1_11comp_targetILNS1_3genE4ELNS1_11target_archE910ELNS1_3gpuE8ELNS1_3repE0EEENS1_30default_config_static_selectorELNS0_4arch9wavefront6targetE1EEEvT1_
	.p2align	8
	.type	_ZN7rocprim17ROCPRIM_400000_NS6detail17trampoline_kernelINS0_14default_configENS1_25transform_config_selectorIjLb0EEEZNS1_14transform_implILb0ES3_S5_PjN6thrust23THRUST_200600_302600_NS6detail15normal_iteratorINS9_10device_ptrIjEEEENS0_8identityIjEEEE10hipError_tT2_T3_mT4_P12ihipStream_tbEUlT_E_NS1_11comp_targetILNS1_3genE4ELNS1_11target_archE910ELNS1_3gpuE8ELNS1_3repE0EEENS1_30default_config_static_selectorELNS0_4arch9wavefront6targetE1EEEvT1_,@function
_ZN7rocprim17ROCPRIM_400000_NS6detail17trampoline_kernelINS0_14default_configENS1_25transform_config_selectorIjLb0EEEZNS1_14transform_implILb0ES3_S5_PjN6thrust23THRUST_200600_302600_NS6detail15normal_iteratorINS9_10device_ptrIjEEEENS0_8identityIjEEEE10hipError_tT2_T3_mT4_P12ihipStream_tbEUlT_E_NS1_11comp_targetILNS1_3genE4ELNS1_11target_archE910ELNS1_3gpuE8ELNS1_3repE0EEENS1_30default_config_static_selectorELNS0_4arch9wavefront6targetE1EEEvT1_: ; @_ZN7rocprim17ROCPRIM_400000_NS6detail17trampoline_kernelINS0_14default_configENS1_25transform_config_selectorIjLb0EEEZNS1_14transform_implILb0ES3_S5_PjN6thrust23THRUST_200600_302600_NS6detail15normal_iteratorINS9_10device_ptrIjEEEENS0_8identityIjEEEE10hipError_tT2_T3_mT4_P12ihipStream_tbEUlT_E_NS1_11comp_targetILNS1_3genE4ELNS1_11target_archE910ELNS1_3gpuE8ELNS1_3repE0EEENS1_30default_config_static_selectorELNS0_4arch9wavefront6targetE1EEEvT1_
; %bb.0:
	s_load_dwordx8 s[8:15], s[4:5], 0x0
	s_load_dword s2, s[4:5], 0x28
	v_lshlrev_b32_e32 v1, 2, v0
	s_waitcnt lgkmcnt(0)
	s_lshl_b64 s[0:1], s[10:11], 2
	s_add_u32 s4, s8, s0
	s_addc_u32 s5, s9, s1
	s_add_u32 s10, s14, s0
	s_addc_u32 s11, s15, s1
	s_lshl_b32 s0, s6, 11
	s_mov_b32 s1, 0
	s_add_i32 s7, s2, -1
	s_lshl_b64 s[2:3], s[0:1], 2
	s_add_u32 s8, s4, s2
	s_addc_u32 s9, s5, s3
	s_cmp_lg_u32 s6, s7
	s_cbranch_scc0 .LBB1019_2
; %bb.1:
	v_mov_b32_e32 v2, s9
	v_add_co_u32_e32 v3, vcc, s8, v1
	v_addc_co_u32_e32 v4, vcc, 0, v2, vcc
	v_add_co_u32_e32 v2, vcc, 0x1000, v3
	global_load_dword v6, v1, s[8:9]
	v_addc_co_u32_e32 v3, vcc, 0, v4, vcc
	global_load_dword v3, v[2:3], off
	s_add_u32 s1, s10, s2
	s_addc_u32 s4, s11, s3
	v_mov_b32_e32 v2, s4
	v_add_co_u32_e32 v4, vcc, s1, v1
	v_addc_co_u32_e32 v5, vcc, 0, v2, vcc
	s_mov_b64 s[4:5], -1
	s_waitcnt vmcnt(1)
	flat_store_dword v[4:5], v6
	s_cbranch_execz .LBB1019_3
	s_branch .LBB1019_12
.LBB1019_2:
	s_mov_b64 s[4:5], 0
                                        ; implicit-def: $vgpr3
                                        ; implicit-def: $vgpr4_vgpr5
.LBB1019_3:
	s_sub_i32 s6, s12, s0
	v_cmp_gt_u32_e32 vcc, s6, v0
                                        ; implicit-def: $vgpr2_vgpr3
	s_and_saveexec_b64 s[0:1], vcc
	s_cbranch_execz .LBB1019_5
; %bb.4:
	global_load_dword v2, v1, s[8:9]
.LBB1019_5:
	s_or_b64 exec, exec, s[0:1]
	v_or_b32_e32 v0, 0x400, v0
	v_cmp_gt_u32_e64 s[0:1], s6, v0
	s_and_saveexec_b64 s[6:7], s[0:1]
	s_cbranch_execz .LBB1019_7
; %bb.6:
	v_lshlrev_b32_e32 v0, 2, v0
	global_load_dword v3, v0, s[8:9]
.LBB1019_7:
	s_or_b64 exec, exec, s[6:7]
	s_add_u32 s2, s10, s2
	s_addc_u32 s3, s11, s3
	v_mov_b32_e32 v0, s3
	v_add_co_u32_e64 v4, s[2:3], s2, v1
	v_addc_co_u32_e64 v5, s[2:3], 0, v0, s[2:3]
	s_and_saveexec_b64 s[2:3], vcc
	s_cbranch_execz .LBB1019_9
; %bb.8:
	s_waitcnt vmcnt(0)
	flat_store_dword v[4:5], v2
.LBB1019_9:
	s_or_b64 exec, exec, s[2:3]
	s_and_saveexec_b64 s[2:3], s[0:1]
; %bb.10:
	s_or_b64 s[4:5], s[4:5], exec
; %bb.11:
	s_or_b64 exec, exec, s[2:3]
.LBB1019_12:
	s_and_saveexec_b64 s[0:1], s[4:5]
	s_cbranch_execnz .LBB1019_14
; %bb.13:
	s_endpgm
.LBB1019_14:
	v_add_co_u32_e32 v0, vcc, 0x1000, v4
	v_addc_co_u32_e32 v1, vcc, 0, v5, vcc
	s_waitcnt vmcnt(0)
	flat_store_dword v[0:1], v3
	s_endpgm
	.section	.rodata,"a",@progbits
	.p2align	6, 0x0
	.amdhsa_kernel _ZN7rocprim17ROCPRIM_400000_NS6detail17trampoline_kernelINS0_14default_configENS1_25transform_config_selectorIjLb0EEEZNS1_14transform_implILb0ES3_S5_PjN6thrust23THRUST_200600_302600_NS6detail15normal_iteratorINS9_10device_ptrIjEEEENS0_8identityIjEEEE10hipError_tT2_T3_mT4_P12ihipStream_tbEUlT_E_NS1_11comp_targetILNS1_3genE4ELNS1_11target_archE910ELNS1_3gpuE8ELNS1_3repE0EEENS1_30default_config_static_selectorELNS0_4arch9wavefront6targetE1EEEvT1_
		.amdhsa_group_segment_fixed_size 0
		.amdhsa_private_segment_fixed_size 0
		.amdhsa_kernarg_size 296
		.amdhsa_user_sgpr_count 6
		.amdhsa_user_sgpr_private_segment_buffer 1
		.amdhsa_user_sgpr_dispatch_ptr 0
		.amdhsa_user_sgpr_queue_ptr 0
		.amdhsa_user_sgpr_kernarg_segment_ptr 1
		.amdhsa_user_sgpr_dispatch_id 0
		.amdhsa_user_sgpr_flat_scratch_init 0
		.amdhsa_user_sgpr_kernarg_preload_length 0
		.amdhsa_user_sgpr_kernarg_preload_offset 0
		.amdhsa_user_sgpr_private_segment_size 0
		.amdhsa_uses_dynamic_stack 0
		.amdhsa_system_sgpr_private_segment_wavefront_offset 0
		.amdhsa_system_sgpr_workgroup_id_x 1
		.amdhsa_system_sgpr_workgroup_id_y 0
		.amdhsa_system_sgpr_workgroup_id_z 0
		.amdhsa_system_sgpr_workgroup_info 0
		.amdhsa_system_vgpr_workitem_id 0
		.amdhsa_next_free_vgpr 7
		.amdhsa_next_free_sgpr 16
		.amdhsa_accum_offset 8
		.amdhsa_reserve_vcc 1
		.amdhsa_reserve_flat_scratch 0
		.amdhsa_float_round_mode_32 0
		.amdhsa_float_round_mode_16_64 0
		.amdhsa_float_denorm_mode_32 3
		.amdhsa_float_denorm_mode_16_64 3
		.amdhsa_dx10_clamp 1
		.amdhsa_ieee_mode 1
		.amdhsa_fp16_overflow 0
		.amdhsa_tg_split 0
		.amdhsa_exception_fp_ieee_invalid_op 0
		.amdhsa_exception_fp_denorm_src 0
		.amdhsa_exception_fp_ieee_div_zero 0
		.amdhsa_exception_fp_ieee_overflow 0
		.amdhsa_exception_fp_ieee_underflow 0
		.amdhsa_exception_fp_ieee_inexact 0
		.amdhsa_exception_int_div_zero 0
	.end_amdhsa_kernel
	.section	.text._ZN7rocprim17ROCPRIM_400000_NS6detail17trampoline_kernelINS0_14default_configENS1_25transform_config_selectorIjLb0EEEZNS1_14transform_implILb0ES3_S5_PjN6thrust23THRUST_200600_302600_NS6detail15normal_iteratorINS9_10device_ptrIjEEEENS0_8identityIjEEEE10hipError_tT2_T3_mT4_P12ihipStream_tbEUlT_E_NS1_11comp_targetILNS1_3genE4ELNS1_11target_archE910ELNS1_3gpuE8ELNS1_3repE0EEENS1_30default_config_static_selectorELNS0_4arch9wavefront6targetE1EEEvT1_,"axG",@progbits,_ZN7rocprim17ROCPRIM_400000_NS6detail17trampoline_kernelINS0_14default_configENS1_25transform_config_selectorIjLb0EEEZNS1_14transform_implILb0ES3_S5_PjN6thrust23THRUST_200600_302600_NS6detail15normal_iteratorINS9_10device_ptrIjEEEENS0_8identityIjEEEE10hipError_tT2_T3_mT4_P12ihipStream_tbEUlT_E_NS1_11comp_targetILNS1_3genE4ELNS1_11target_archE910ELNS1_3gpuE8ELNS1_3repE0EEENS1_30default_config_static_selectorELNS0_4arch9wavefront6targetE1EEEvT1_,comdat
.Lfunc_end1019:
	.size	_ZN7rocprim17ROCPRIM_400000_NS6detail17trampoline_kernelINS0_14default_configENS1_25transform_config_selectorIjLb0EEEZNS1_14transform_implILb0ES3_S5_PjN6thrust23THRUST_200600_302600_NS6detail15normal_iteratorINS9_10device_ptrIjEEEENS0_8identityIjEEEE10hipError_tT2_T3_mT4_P12ihipStream_tbEUlT_E_NS1_11comp_targetILNS1_3genE4ELNS1_11target_archE910ELNS1_3gpuE8ELNS1_3repE0EEENS1_30default_config_static_selectorELNS0_4arch9wavefront6targetE1EEEvT1_, .Lfunc_end1019-_ZN7rocprim17ROCPRIM_400000_NS6detail17trampoline_kernelINS0_14default_configENS1_25transform_config_selectorIjLb0EEEZNS1_14transform_implILb0ES3_S5_PjN6thrust23THRUST_200600_302600_NS6detail15normal_iteratorINS9_10device_ptrIjEEEENS0_8identityIjEEEE10hipError_tT2_T3_mT4_P12ihipStream_tbEUlT_E_NS1_11comp_targetILNS1_3genE4ELNS1_11target_archE910ELNS1_3gpuE8ELNS1_3repE0EEENS1_30default_config_static_selectorELNS0_4arch9wavefront6targetE1EEEvT1_
                                        ; -- End function
	.section	.AMDGPU.csdata,"",@progbits
; Kernel info:
; codeLenInByte = 336
; NumSgprs: 20
; NumVgprs: 7
; NumAgprs: 0
; TotalNumVgprs: 7
; ScratchSize: 0
; MemoryBound: 0
; FloatMode: 240
; IeeeMode: 1
; LDSByteSize: 0 bytes/workgroup (compile time only)
; SGPRBlocks: 2
; VGPRBlocks: 0
; NumSGPRsForWavesPerEU: 20
; NumVGPRsForWavesPerEU: 7
; AccumOffset: 8
; Occupancy: 8
; WaveLimiterHint : 1
; COMPUTE_PGM_RSRC2:SCRATCH_EN: 0
; COMPUTE_PGM_RSRC2:USER_SGPR: 6
; COMPUTE_PGM_RSRC2:TRAP_HANDLER: 0
; COMPUTE_PGM_RSRC2:TGID_X_EN: 1
; COMPUTE_PGM_RSRC2:TGID_Y_EN: 0
; COMPUTE_PGM_RSRC2:TGID_Z_EN: 0
; COMPUTE_PGM_RSRC2:TIDIG_COMP_CNT: 0
; COMPUTE_PGM_RSRC3_GFX90A:ACCUM_OFFSET: 1
; COMPUTE_PGM_RSRC3_GFX90A:TG_SPLIT: 0
	.section	.text._ZN7rocprim17ROCPRIM_400000_NS6detail17trampoline_kernelINS0_14default_configENS1_25transform_config_selectorIjLb0EEEZNS1_14transform_implILb0ES3_S5_PjN6thrust23THRUST_200600_302600_NS6detail15normal_iteratorINS9_10device_ptrIjEEEENS0_8identityIjEEEE10hipError_tT2_T3_mT4_P12ihipStream_tbEUlT_E_NS1_11comp_targetILNS1_3genE3ELNS1_11target_archE908ELNS1_3gpuE7ELNS1_3repE0EEENS1_30default_config_static_selectorELNS0_4arch9wavefront6targetE1EEEvT1_,"axG",@progbits,_ZN7rocprim17ROCPRIM_400000_NS6detail17trampoline_kernelINS0_14default_configENS1_25transform_config_selectorIjLb0EEEZNS1_14transform_implILb0ES3_S5_PjN6thrust23THRUST_200600_302600_NS6detail15normal_iteratorINS9_10device_ptrIjEEEENS0_8identityIjEEEE10hipError_tT2_T3_mT4_P12ihipStream_tbEUlT_E_NS1_11comp_targetILNS1_3genE3ELNS1_11target_archE908ELNS1_3gpuE7ELNS1_3repE0EEENS1_30default_config_static_selectorELNS0_4arch9wavefront6targetE1EEEvT1_,comdat
	.protected	_ZN7rocprim17ROCPRIM_400000_NS6detail17trampoline_kernelINS0_14default_configENS1_25transform_config_selectorIjLb0EEEZNS1_14transform_implILb0ES3_S5_PjN6thrust23THRUST_200600_302600_NS6detail15normal_iteratorINS9_10device_ptrIjEEEENS0_8identityIjEEEE10hipError_tT2_T3_mT4_P12ihipStream_tbEUlT_E_NS1_11comp_targetILNS1_3genE3ELNS1_11target_archE908ELNS1_3gpuE7ELNS1_3repE0EEENS1_30default_config_static_selectorELNS0_4arch9wavefront6targetE1EEEvT1_ ; -- Begin function _ZN7rocprim17ROCPRIM_400000_NS6detail17trampoline_kernelINS0_14default_configENS1_25transform_config_selectorIjLb0EEEZNS1_14transform_implILb0ES3_S5_PjN6thrust23THRUST_200600_302600_NS6detail15normal_iteratorINS9_10device_ptrIjEEEENS0_8identityIjEEEE10hipError_tT2_T3_mT4_P12ihipStream_tbEUlT_E_NS1_11comp_targetILNS1_3genE3ELNS1_11target_archE908ELNS1_3gpuE7ELNS1_3repE0EEENS1_30default_config_static_selectorELNS0_4arch9wavefront6targetE1EEEvT1_
	.globl	_ZN7rocprim17ROCPRIM_400000_NS6detail17trampoline_kernelINS0_14default_configENS1_25transform_config_selectorIjLb0EEEZNS1_14transform_implILb0ES3_S5_PjN6thrust23THRUST_200600_302600_NS6detail15normal_iteratorINS9_10device_ptrIjEEEENS0_8identityIjEEEE10hipError_tT2_T3_mT4_P12ihipStream_tbEUlT_E_NS1_11comp_targetILNS1_3genE3ELNS1_11target_archE908ELNS1_3gpuE7ELNS1_3repE0EEENS1_30default_config_static_selectorELNS0_4arch9wavefront6targetE1EEEvT1_
	.p2align	8
	.type	_ZN7rocprim17ROCPRIM_400000_NS6detail17trampoline_kernelINS0_14default_configENS1_25transform_config_selectorIjLb0EEEZNS1_14transform_implILb0ES3_S5_PjN6thrust23THRUST_200600_302600_NS6detail15normal_iteratorINS9_10device_ptrIjEEEENS0_8identityIjEEEE10hipError_tT2_T3_mT4_P12ihipStream_tbEUlT_E_NS1_11comp_targetILNS1_3genE3ELNS1_11target_archE908ELNS1_3gpuE7ELNS1_3repE0EEENS1_30default_config_static_selectorELNS0_4arch9wavefront6targetE1EEEvT1_,@function
_ZN7rocprim17ROCPRIM_400000_NS6detail17trampoline_kernelINS0_14default_configENS1_25transform_config_selectorIjLb0EEEZNS1_14transform_implILb0ES3_S5_PjN6thrust23THRUST_200600_302600_NS6detail15normal_iteratorINS9_10device_ptrIjEEEENS0_8identityIjEEEE10hipError_tT2_T3_mT4_P12ihipStream_tbEUlT_E_NS1_11comp_targetILNS1_3genE3ELNS1_11target_archE908ELNS1_3gpuE7ELNS1_3repE0EEENS1_30default_config_static_selectorELNS0_4arch9wavefront6targetE1EEEvT1_: ; @_ZN7rocprim17ROCPRIM_400000_NS6detail17trampoline_kernelINS0_14default_configENS1_25transform_config_selectorIjLb0EEEZNS1_14transform_implILb0ES3_S5_PjN6thrust23THRUST_200600_302600_NS6detail15normal_iteratorINS9_10device_ptrIjEEEENS0_8identityIjEEEE10hipError_tT2_T3_mT4_P12ihipStream_tbEUlT_E_NS1_11comp_targetILNS1_3genE3ELNS1_11target_archE908ELNS1_3gpuE7ELNS1_3repE0EEENS1_30default_config_static_selectorELNS0_4arch9wavefront6targetE1EEEvT1_
; %bb.0:
	.section	.rodata,"a",@progbits
	.p2align	6, 0x0
	.amdhsa_kernel _ZN7rocprim17ROCPRIM_400000_NS6detail17trampoline_kernelINS0_14default_configENS1_25transform_config_selectorIjLb0EEEZNS1_14transform_implILb0ES3_S5_PjN6thrust23THRUST_200600_302600_NS6detail15normal_iteratorINS9_10device_ptrIjEEEENS0_8identityIjEEEE10hipError_tT2_T3_mT4_P12ihipStream_tbEUlT_E_NS1_11comp_targetILNS1_3genE3ELNS1_11target_archE908ELNS1_3gpuE7ELNS1_3repE0EEENS1_30default_config_static_selectorELNS0_4arch9wavefront6targetE1EEEvT1_
		.amdhsa_group_segment_fixed_size 0
		.amdhsa_private_segment_fixed_size 0
		.amdhsa_kernarg_size 40
		.amdhsa_user_sgpr_count 6
		.amdhsa_user_sgpr_private_segment_buffer 1
		.amdhsa_user_sgpr_dispatch_ptr 0
		.amdhsa_user_sgpr_queue_ptr 0
		.amdhsa_user_sgpr_kernarg_segment_ptr 1
		.amdhsa_user_sgpr_dispatch_id 0
		.amdhsa_user_sgpr_flat_scratch_init 0
		.amdhsa_user_sgpr_kernarg_preload_length 0
		.amdhsa_user_sgpr_kernarg_preload_offset 0
		.amdhsa_user_sgpr_private_segment_size 0
		.amdhsa_uses_dynamic_stack 0
		.amdhsa_system_sgpr_private_segment_wavefront_offset 0
		.amdhsa_system_sgpr_workgroup_id_x 1
		.amdhsa_system_sgpr_workgroup_id_y 0
		.amdhsa_system_sgpr_workgroup_id_z 0
		.amdhsa_system_sgpr_workgroup_info 0
		.amdhsa_system_vgpr_workitem_id 0
		.amdhsa_next_free_vgpr 1
		.amdhsa_next_free_sgpr 0
		.amdhsa_accum_offset 4
		.amdhsa_reserve_vcc 0
		.amdhsa_reserve_flat_scratch 0
		.amdhsa_float_round_mode_32 0
		.amdhsa_float_round_mode_16_64 0
		.amdhsa_float_denorm_mode_32 3
		.amdhsa_float_denorm_mode_16_64 3
		.amdhsa_dx10_clamp 1
		.amdhsa_ieee_mode 1
		.amdhsa_fp16_overflow 0
		.amdhsa_tg_split 0
		.amdhsa_exception_fp_ieee_invalid_op 0
		.amdhsa_exception_fp_denorm_src 0
		.amdhsa_exception_fp_ieee_div_zero 0
		.amdhsa_exception_fp_ieee_overflow 0
		.amdhsa_exception_fp_ieee_underflow 0
		.amdhsa_exception_fp_ieee_inexact 0
		.amdhsa_exception_int_div_zero 0
	.end_amdhsa_kernel
	.section	.text._ZN7rocprim17ROCPRIM_400000_NS6detail17trampoline_kernelINS0_14default_configENS1_25transform_config_selectorIjLb0EEEZNS1_14transform_implILb0ES3_S5_PjN6thrust23THRUST_200600_302600_NS6detail15normal_iteratorINS9_10device_ptrIjEEEENS0_8identityIjEEEE10hipError_tT2_T3_mT4_P12ihipStream_tbEUlT_E_NS1_11comp_targetILNS1_3genE3ELNS1_11target_archE908ELNS1_3gpuE7ELNS1_3repE0EEENS1_30default_config_static_selectorELNS0_4arch9wavefront6targetE1EEEvT1_,"axG",@progbits,_ZN7rocprim17ROCPRIM_400000_NS6detail17trampoline_kernelINS0_14default_configENS1_25transform_config_selectorIjLb0EEEZNS1_14transform_implILb0ES3_S5_PjN6thrust23THRUST_200600_302600_NS6detail15normal_iteratorINS9_10device_ptrIjEEEENS0_8identityIjEEEE10hipError_tT2_T3_mT4_P12ihipStream_tbEUlT_E_NS1_11comp_targetILNS1_3genE3ELNS1_11target_archE908ELNS1_3gpuE7ELNS1_3repE0EEENS1_30default_config_static_selectorELNS0_4arch9wavefront6targetE1EEEvT1_,comdat
.Lfunc_end1020:
	.size	_ZN7rocprim17ROCPRIM_400000_NS6detail17trampoline_kernelINS0_14default_configENS1_25transform_config_selectorIjLb0EEEZNS1_14transform_implILb0ES3_S5_PjN6thrust23THRUST_200600_302600_NS6detail15normal_iteratorINS9_10device_ptrIjEEEENS0_8identityIjEEEE10hipError_tT2_T3_mT4_P12ihipStream_tbEUlT_E_NS1_11comp_targetILNS1_3genE3ELNS1_11target_archE908ELNS1_3gpuE7ELNS1_3repE0EEENS1_30default_config_static_selectorELNS0_4arch9wavefront6targetE1EEEvT1_, .Lfunc_end1020-_ZN7rocprim17ROCPRIM_400000_NS6detail17trampoline_kernelINS0_14default_configENS1_25transform_config_selectorIjLb0EEEZNS1_14transform_implILb0ES3_S5_PjN6thrust23THRUST_200600_302600_NS6detail15normal_iteratorINS9_10device_ptrIjEEEENS0_8identityIjEEEE10hipError_tT2_T3_mT4_P12ihipStream_tbEUlT_E_NS1_11comp_targetILNS1_3genE3ELNS1_11target_archE908ELNS1_3gpuE7ELNS1_3repE0EEENS1_30default_config_static_selectorELNS0_4arch9wavefront6targetE1EEEvT1_
                                        ; -- End function
	.section	.AMDGPU.csdata,"",@progbits
; Kernel info:
; codeLenInByte = 0
; NumSgprs: 4
; NumVgprs: 0
; NumAgprs: 0
; TotalNumVgprs: 0
; ScratchSize: 0
; MemoryBound: 0
; FloatMode: 240
; IeeeMode: 1
; LDSByteSize: 0 bytes/workgroup (compile time only)
; SGPRBlocks: 0
; VGPRBlocks: 0
; NumSGPRsForWavesPerEU: 4
; NumVGPRsForWavesPerEU: 1
; AccumOffset: 4
; Occupancy: 8
; WaveLimiterHint : 0
; COMPUTE_PGM_RSRC2:SCRATCH_EN: 0
; COMPUTE_PGM_RSRC2:USER_SGPR: 6
; COMPUTE_PGM_RSRC2:TRAP_HANDLER: 0
; COMPUTE_PGM_RSRC2:TGID_X_EN: 1
; COMPUTE_PGM_RSRC2:TGID_Y_EN: 0
; COMPUTE_PGM_RSRC2:TGID_Z_EN: 0
; COMPUTE_PGM_RSRC2:TIDIG_COMP_CNT: 0
; COMPUTE_PGM_RSRC3_GFX90A:ACCUM_OFFSET: 0
; COMPUTE_PGM_RSRC3_GFX90A:TG_SPLIT: 0
	.section	.text._ZN7rocprim17ROCPRIM_400000_NS6detail17trampoline_kernelINS0_14default_configENS1_25transform_config_selectorIjLb0EEEZNS1_14transform_implILb0ES3_S5_PjN6thrust23THRUST_200600_302600_NS6detail15normal_iteratorINS9_10device_ptrIjEEEENS0_8identityIjEEEE10hipError_tT2_T3_mT4_P12ihipStream_tbEUlT_E_NS1_11comp_targetILNS1_3genE2ELNS1_11target_archE906ELNS1_3gpuE6ELNS1_3repE0EEENS1_30default_config_static_selectorELNS0_4arch9wavefront6targetE1EEEvT1_,"axG",@progbits,_ZN7rocprim17ROCPRIM_400000_NS6detail17trampoline_kernelINS0_14default_configENS1_25transform_config_selectorIjLb0EEEZNS1_14transform_implILb0ES3_S5_PjN6thrust23THRUST_200600_302600_NS6detail15normal_iteratorINS9_10device_ptrIjEEEENS0_8identityIjEEEE10hipError_tT2_T3_mT4_P12ihipStream_tbEUlT_E_NS1_11comp_targetILNS1_3genE2ELNS1_11target_archE906ELNS1_3gpuE6ELNS1_3repE0EEENS1_30default_config_static_selectorELNS0_4arch9wavefront6targetE1EEEvT1_,comdat
	.protected	_ZN7rocprim17ROCPRIM_400000_NS6detail17trampoline_kernelINS0_14default_configENS1_25transform_config_selectorIjLb0EEEZNS1_14transform_implILb0ES3_S5_PjN6thrust23THRUST_200600_302600_NS6detail15normal_iteratorINS9_10device_ptrIjEEEENS0_8identityIjEEEE10hipError_tT2_T3_mT4_P12ihipStream_tbEUlT_E_NS1_11comp_targetILNS1_3genE2ELNS1_11target_archE906ELNS1_3gpuE6ELNS1_3repE0EEENS1_30default_config_static_selectorELNS0_4arch9wavefront6targetE1EEEvT1_ ; -- Begin function _ZN7rocprim17ROCPRIM_400000_NS6detail17trampoline_kernelINS0_14default_configENS1_25transform_config_selectorIjLb0EEEZNS1_14transform_implILb0ES3_S5_PjN6thrust23THRUST_200600_302600_NS6detail15normal_iteratorINS9_10device_ptrIjEEEENS0_8identityIjEEEE10hipError_tT2_T3_mT4_P12ihipStream_tbEUlT_E_NS1_11comp_targetILNS1_3genE2ELNS1_11target_archE906ELNS1_3gpuE6ELNS1_3repE0EEENS1_30default_config_static_selectorELNS0_4arch9wavefront6targetE1EEEvT1_
	.globl	_ZN7rocprim17ROCPRIM_400000_NS6detail17trampoline_kernelINS0_14default_configENS1_25transform_config_selectorIjLb0EEEZNS1_14transform_implILb0ES3_S5_PjN6thrust23THRUST_200600_302600_NS6detail15normal_iteratorINS9_10device_ptrIjEEEENS0_8identityIjEEEE10hipError_tT2_T3_mT4_P12ihipStream_tbEUlT_E_NS1_11comp_targetILNS1_3genE2ELNS1_11target_archE906ELNS1_3gpuE6ELNS1_3repE0EEENS1_30default_config_static_selectorELNS0_4arch9wavefront6targetE1EEEvT1_
	.p2align	8
	.type	_ZN7rocprim17ROCPRIM_400000_NS6detail17trampoline_kernelINS0_14default_configENS1_25transform_config_selectorIjLb0EEEZNS1_14transform_implILb0ES3_S5_PjN6thrust23THRUST_200600_302600_NS6detail15normal_iteratorINS9_10device_ptrIjEEEENS0_8identityIjEEEE10hipError_tT2_T3_mT4_P12ihipStream_tbEUlT_E_NS1_11comp_targetILNS1_3genE2ELNS1_11target_archE906ELNS1_3gpuE6ELNS1_3repE0EEENS1_30default_config_static_selectorELNS0_4arch9wavefront6targetE1EEEvT1_,@function
_ZN7rocprim17ROCPRIM_400000_NS6detail17trampoline_kernelINS0_14default_configENS1_25transform_config_selectorIjLb0EEEZNS1_14transform_implILb0ES3_S5_PjN6thrust23THRUST_200600_302600_NS6detail15normal_iteratorINS9_10device_ptrIjEEEENS0_8identityIjEEEE10hipError_tT2_T3_mT4_P12ihipStream_tbEUlT_E_NS1_11comp_targetILNS1_3genE2ELNS1_11target_archE906ELNS1_3gpuE6ELNS1_3repE0EEENS1_30default_config_static_selectorELNS0_4arch9wavefront6targetE1EEEvT1_: ; @_ZN7rocprim17ROCPRIM_400000_NS6detail17trampoline_kernelINS0_14default_configENS1_25transform_config_selectorIjLb0EEEZNS1_14transform_implILb0ES3_S5_PjN6thrust23THRUST_200600_302600_NS6detail15normal_iteratorINS9_10device_ptrIjEEEENS0_8identityIjEEEE10hipError_tT2_T3_mT4_P12ihipStream_tbEUlT_E_NS1_11comp_targetILNS1_3genE2ELNS1_11target_archE906ELNS1_3gpuE6ELNS1_3repE0EEENS1_30default_config_static_selectorELNS0_4arch9wavefront6targetE1EEEvT1_
; %bb.0:
	.section	.rodata,"a",@progbits
	.p2align	6, 0x0
	.amdhsa_kernel _ZN7rocprim17ROCPRIM_400000_NS6detail17trampoline_kernelINS0_14default_configENS1_25transform_config_selectorIjLb0EEEZNS1_14transform_implILb0ES3_S5_PjN6thrust23THRUST_200600_302600_NS6detail15normal_iteratorINS9_10device_ptrIjEEEENS0_8identityIjEEEE10hipError_tT2_T3_mT4_P12ihipStream_tbEUlT_E_NS1_11comp_targetILNS1_3genE2ELNS1_11target_archE906ELNS1_3gpuE6ELNS1_3repE0EEENS1_30default_config_static_selectorELNS0_4arch9wavefront6targetE1EEEvT1_
		.amdhsa_group_segment_fixed_size 0
		.amdhsa_private_segment_fixed_size 0
		.amdhsa_kernarg_size 40
		.amdhsa_user_sgpr_count 6
		.amdhsa_user_sgpr_private_segment_buffer 1
		.amdhsa_user_sgpr_dispatch_ptr 0
		.amdhsa_user_sgpr_queue_ptr 0
		.amdhsa_user_sgpr_kernarg_segment_ptr 1
		.amdhsa_user_sgpr_dispatch_id 0
		.amdhsa_user_sgpr_flat_scratch_init 0
		.amdhsa_user_sgpr_kernarg_preload_length 0
		.amdhsa_user_sgpr_kernarg_preload_offset 0
		.amdhsa_user_sgpr_private_segment_size 0
		.amdhsa_uses_dynamic_stack 0
		.amdhsa_system_sgpr_private_segment_wavefront_offset 0
		.amdhsa_system_sgpr_workgroup_id_x 1
		.amdhsa_system_sgpr_workgroup_id_y 0
		.amdhsa_system_sgpr_workgroup_id_z 0
		.amdhsa_system_sgpr_workgroup_info 0
		.amdhsa_system_vgpr_workitem_id 0
		.amdhsa_next_free_vgpr 1
		.amdhsa_next_free_sgpr 0
		.amdhsa_accum_offset 4
		.amdhsa_reserve_vcc 0
		.amdhsa_reserve_flat_scratch 0
		.amdhsa_float_round_mode_32 0
		.amdhsa_float_round_mode_16_64 0
		.amdhsa_float_denorm_mode_32 3
		.amdhsa_float_denorm_mode_16_64 3
		.amdhsa_dx10_clamp 1
		.amdhsa_ieee_mode 1
		.amdhsa_fp16_overflow 0
		.amdhsa_tg_split 0
		.amdhsa_exception_fp_ieee_invalid_op 0
		.amdhsa_exception_fp_denorm_src 0
		.amdhsa_exception_fp_ieee_div_zero 0
		.amdhsa_exception_fp_ieee_overflow 0
		.amdhsa_exception_fp_ieee_underflow 0
		.amdhsa_exception_fp_ieee_inexact 0
		.amdhsa_exception_int_div_zero 0
	.end_amdhsa_kernel
	.section	.text._ZN7rocprim17ROCPRIM_400000_NS6detail17trampoline_kernelINS0_14default_configENS1_25transform_config_selectorIjLb0EEEZNS1_14transform_implILb0ES3_S5_PjN6thrust23THRUST_200600_302600_NS6detail15normal_iteratorINS9_10device_ptrIjEEEENS0_8identityIjEEEE10hipError_tT2_T3_mT4_P12ihipStream_tbEUlT_E_NS1_11comp_targetILNS1_3genE2ELNS1_11target_archE906ELNS1_3gpuE6ELNS1_3repE0EEENS1_30default_config_static_selectorELNS0_4arch9wavefront6targetE1EEEvT1_,"axG",@progbits,_ZN7rocprim17ROCPRIM_400000_NS6detail17trampoline_kernelINS0_14default_configENS1_25transform_config_selectorIjLb0EEEZNS1_14transform_implILb0ES3_S5_PjN6thrust23THRUST_200600_302600_NS6detail15normal_iteratorINS9_10device_ptrIjEEEENS0_8identityIjEEEE10hipError_tT2_T3_mT4_P12ihipStream_tbEUlT_E_NS1_11comp_targetILNS1_3genE2ELNS1_11target_archE906ELNS1_3gpuE6ELNS1_3repE0EEENS1_30default_config_static_selectorELNS0_4arch9wavefront6targetE1EEEvT1_,comdat
.Lfunc_end1021:
	.size	_ZN7rocprim17ROCPRIM_400000_NS6detail17trampoline_kernelINS0_14default_configENS1_25transform_config_selectorIjLb0EEEZNS1_14transform_implILb0ES3_S5_PjN6thrust23THRUST_200600_302600_NS6detail15normal_iteratorINS9_10device_ptrIjEEEENS0_8identityIjEEEE10hipError_tT2_T3_mT4_P12ihipStream_tbEUlT_E_NS1_11comp_targetILNS1_3genE2ELNS1_11target_archE906ELNS1_3gpuE6ELNS1_3repE0EEENS1_30default_config_static_selectorELNS0_4arch9wavefront6targetE1EEEvT1_, .Lfunc_end1021-_ZN7rocprim17ROCPRIM_400000_NS6detail17trampoline_kernelINS0_14default_configENS1_25transform_config_selectorIjLb0EEEZNS1_14transform_implILb0ES3_S5_PjN6thrust23THRUST_200600_302600_NS6detail15normal_iteratorINS9_10device_ptrIjEEEENS0_8identityIjEEEE10hipError_tT2_T3_mT4_P12ihipStream_tbEUlT_E_NS1_11comp_targetILNS1_3genE2ELNS1_11target_archE906ELNS1_3gpuE6ELNS1_3repE0EEENS1_30default_config_static_selectorELNS0_4arch9wavefront6targetE1EEEvT1_
                                        ; -- End function
	.section	.AMDGPU.csdata,"",@progbits
; Kernel info:
; codeLenInByte = 0
; NumSgprs: 4
; NumVgprs: 0
; NumAgprs: 0
; TotalNumVgprs: 0
; ScratchSize: 0
; MemoryBound: 0
; FloatMode: 240
; IeeeMode: 1
; LDSByteSize: 0 bytes/workgroup (compile time only)
; SGPRBlocks: 0
; VGPRBlocks: 0
; NumSGPRsForWavesPerEU: 4
; NumVGPRsForWavesPerEU: 1
; AccumOffset: 4
; Occupancy: 8
; WaveLimiterHint : 0
; COMPUTE_PGM_RSRC2:SCRATCH_EN: 0
; COMPUTE_PGM_RSRC2:USER_SGPR: 6
; COMPUTE_PGM_RSRC2:TRAP_HANDLER: 0
; COMPUTE_PGM_RSRC2:TGID_X_EN: 1
; COMPUTE_PGM_RSRC2:TGID_Y_EN: 0
; COMPUTE_PGM_RSRC2:TGID_Z_EN: 0
; COMPUTE_PGM_RSRC2:TIDIG_COMP_CNT: 0
; COMPUTE_PGM_RSRC3_GFX90A:ACCUM_OFFSET: 0
; COMPUTE_PGM_RSRC3_GFX90A:TG_SPLIT: 0
	.section	.text._ZN7rocprim17ROCPRIM_400000_NS6detail17trampoline_kernelINS0_14default_configENS1_25transform_config_selectorIjLb0EEEZNS1_14transform_implILb0ES3_S5_PjN6thrust23THRUST_200600_302600_NS6detail15normal_iteratorINS9_10device_ptrIjEEEENS0_8identityIjEEEE10hipError_tT2_T3_mT4_P12ihipStream_tbEUlT_E_NS1_11comp_targetILNS1_3genE10ELNS1_11target_archE1201ELNS1_3gpuE5ELNS1_3repE0EEENS1_30default_config_static_selectorELNS0_4arch9wavefront6targetE1EEEvT1_,"axG",@progbits,_ZN7rocprim17ROCPRIM_400000_NS6detail17trampoline_kernelINS0_14default_configENS1_25transform_config_selectorIjLb0EEEZNS1_14transform_implILb0ES3_S5_PjN6thrust23THRUST_200600_302600_NS6detail15normal_iteratorINS9_10device_ptrIjEEEENS0_8identityIjEEEE10hipError_tT2_T3_mT4_P12ihipStream_tbEUlT_E_NS1_11comp_targetILNS1_3genE10ELNS1_11target_archE1201ELNS1_3gpuE5ELNS1_3repE0EEENS1_30default_config_static_selectorELNS0_4arch9wavefront6targetE1EEEvT1_,comdat
	.protected	_ZN7rocprim17ROCPRIM_400000_NS6detail17trampoline_kernelINS0_14default_configENS1_25transform_config_selectorIjLb0EEEZNS1_14transform_implILb0ES3_S5_PjN6thrust23THRUST_200600_302600_NS6detail15normal_iteratorINS9_10device_ptrIjEEEENS0_8identityIjEEEE10hipError_tT2_T3_mT4_P12ihipStream_tbEUlT_E_NS1_11comp_targetILNS1_3genE10ELNS1_11target_archE1201ELNS1_3gpuE5ELNS1_3repE0EEENS1_30default_config_static_selectorELNS0_4arch9wavefront6targetE1EEEvT1_ ; -- Begin function _ZN7rocprim17ROCPRIM_400000_NS6detail17trampoline_kernelINS0_14default_configENS1_25transform_config_selectorIjLb0EEEZNS1_14transform_implILb0ES3_S5_PjN6thrust23THRUST_200600_302600_NS6detail15normal_iteratorINS9_10device_ptrIjEEEENS0_8identityIjEEEE10hipError_tT2_T3_mT4_P12ihipStream_tbEUlT_E_NS1_11comp_targetILNS1_3genE10ELNS1_11target_archE1201ELNS1_3gpuE5ELNS1_3repE0EEENS1_30default_config_static_selectorELNS0_4arch9wavefront6targetE1EEEvT1_
	.globl	_ZN7rocprim17ROCPRIM_400000_NS6detail17trampoline_kernelINS0_14default_configENS1_25transform_config_selectorIjLb0EEEZNS1_14transform_implILb0ES3_S5_PjN6thrust23THRUST_200600_302600_NS6detail15normal_iteratorINS9_10device_ptrIjEEEENS0_8identityIjEEEE10hipError_tT2_T3_mT4_P12ihipStream_tbEUlT_E_NS1_11comp_targetILNS1_3genE10ELNS1_11target_archE1201ELNS1_3gpuE5ELNS1_3repE0EEENS1_30default_config_static_selectorELNS0_4arch9wavefront6targetE1EEEvT1_
	.p2align	8
	.type	_ZN7rocprim17ROCPRIM_400000_NS6detail17trampoline_kernelINS0_14default_configENS1_25transform_config_selectorIjLb0EEEZNS1_14transform_implILb0ES3_S5_PjN6thrust23THRUST_200600_302600_NS6detail15normal_iteratorINS9_10device_ptrIjEEEENS0_8identityIjEEEE10hipError_tT2_T3_mT4_P12ihipStream_tbEUlT_E_NS1_11comp_targetILNS1_3genE10ELNS1_11target_archE1201ELNS1_3gpuE5ELNS1_3repE0EEENS1_30default_config_static_selectorELNS0_4arch9wavefront6targetE1EEEvT1_,@function
_ZN7rocprim17ROCPRIM_400000_NS6detail17trampoline_kernelINS0_14default_configENS1_25transform_config_selectorIjLb0EEEZNS1_14transform_implILb0ES3_S5_PjN6thrust23THRUST_200600_302600_NS6detail15normal_iteratorINS9_10device_ptrIjEEEENS0_8identityIjEEEE10hipError_tT2_T3_mT4_P12ihipStream_tbEUlT_E_NS1_11comp_targetILNS1_3genE10ELNS1_11target_archE1201ELNS1_3gpuE5ELNS1_3repE0EEENS1_30default_config_static_selectorELNS0_4arch9wavefront6targetE1EEEvT1_: ; @_ZN7rocprim17ROCPRIM_400000_NS6detail17trampoline_kernelINS0_14default_configENS1_25transform_config_selectorIjLb0EEEZNS1_14transform_implILb0ES3_S5_PjN6thrust23THRUST_200600_302600_NS6detail15normal_iteratorINS9_10device_ptrIjEEEENS0_8identityIjEEEE10hipError_tT2_T3_mT4_P12ihipStream_tbEUlT_E_NS1_11comp_targetILNS1_3genE10ELNS1_11target_archE1201ELNS1_3gpuE5ELNS1_3repE0EEENS1_30default_config_static_selectorELNS0_4arch9wavefront6targetE1EEEvT1_
; %bb.0:
	.section	.rodata,"a",@progbits
	.p2align	6, 0x0
	.amdhsa_kernel _ZN7rocprim17ROCPRIM_400000_NS6detail17trampoline_kernelINS0_14default_configENS1_25transform_config_selectorIjLb0EEEZNS1_14transform_implILb0ES3_S5_PjN6thrust23THRUST_200600_302600_NS6detail15normal_iteratorINS9_10device_ptrIjEEEENS0_8identityIjEEEE10hipError_tT2_T3_mT4_P12ihipStream_tbEUlT_E_NS1_11comp_targetILNS1_3genE10ELNS1_11target_archE1201ELNS1_3gpuE5ELNS1_3repE0EEENS1_30default_config_static_selectorELNS0_4arch9wavefront6targetE1EEEvT1_
		.amdhsa_group_segment_fixed_size 0
		.amdhsa_private_segment_fixed_size 0
		.amdhsa_kernarg_size 40
		.amdhsa_user_sgpr_count 6
		.amdhsa_user_sgpr_private_segment_buffer 1
		.amdhsa_user_sgpr_dispatch_ptr 0
		.amdhsa_user_sgpr_queue_ptr 0
		.amdhsa_user_sgpr_kernarg_segment_ptr 1
		.amdhsa_user_sgpr_dispatch_id 0
		.amdhsa_user_sgpr_flat_scratch_init 0
		.amdhsa_user_sgpr_kernarg_preload_length 0
		.amdhsa_user_sgpr_kernarg_preload_offset 0
		.amdhsa_user_sgpr_private_segment_size 0
		.amdhsa_uses_dynamic_stack 0
		.amdhsa_system_sgpr_private_segment_wavefront_offset 0
		.amdhsa_system_sgpr_workgroup_id_x 1
		.amdhsa_system_sgpr_workgroup_id_y 0
		.amdhsa_system_sgpr_workgroup_id_z 0
		.amdhsa_system_sgpr_workgroup_info 0
		.amdhsa_system_vgpr_workitem_id 0
		.amdhsa_next_free_vgpr 1
		.amdhsa_next_free_sgpr 0
		.amdhsa_accum_offset 4
		.amdhsa_reserve_vcc 0
		.amdhsa_reserve_flat_scratch 0
		.amdhsa_float_round_mode_32 0
		.amdhsa_float_round_mode_16_64 0
		.amdhsa_float_denorm_mode_32 3
		.amdhsa_float_denorm_mode_16_64 3
		.amdhsa_dx10_clamp 1
		.amdhsa_ieee_mode 1
		.amdhsa_fp16_overflow 0
		.amdhsa_tg_split 0
		.amdhsa_exception_fp_ieee_invalid_op 0
		.amdhsa_exception_fp_denorm_src 0
		.amdhsa_exception_fp_ieee_div_zero 0
		.amdhsa_exception_fp_ieee_overflow 0
		.amdhsa_exception_fp_ieee_underflow 0
		.amdhsa_exception_fp_ieee_inexact 0
		.amdhsa_exception_int_div_zero 0
	.end_amdhsa_kernel
	.section	.text._ZN7rocprim17ROCPRIM_400000_NS6detail17trampoline_kernelINS0_14default_configENS1_25transform_config_selectorIjLb0EEEZNS1_14transform_implILb0ES3_S5_PjN6thrust23THRUST_200600_302600_NS6detail15normal_iteratorINS9_10device_ptrIjEEEENS0_8identityIjEEEE10hipError_tT2_T3_mT4_P12ihipStream_tbEUlT_E_NS1_11comp_targetILNS1_3genE10ELNS1_11target_archE1201ELNS1_3gpuE5ELNS1_3repE0EEENS1_30default_config_static_selectorELNS0_4arch9wavefront6targetE1EEEvT1_,"axG",@progbits,_ZN7rocprim17ROCPRIM_400000_NS6detail17trampoline_kernelINS0_14default_configENS1_25transform_config_selectorIjLb0EEEZNS1_14transform_implILb0ES3_S5_PjN6thrust23THRUST_200600_302600_NS6detail15normal_iteratorINS9_10device_ptrIjEEEENS0_8identityIjEEEE10hipError_tT2_T3_mT4_P12ihipStream_tbEUlT_E_NS1_11comp_targetILNS1_3genE10ELNS1_11target_archE1201ELNS1_3gpuE5ELNS1_3repE0EEENS1_30default_config_static_selectorELNS0_4arch9wavefront6targetE1EEEvT1_,comdat
.Lfunc_end1022:
	.size	_ZN7rocprim17ROCPRIM_400000_NS6detail17trampoline_kernelINS0_14default_configENS1_25transform_config_selectorIjLb0EEEZNS1_14transform_implILb0ES3_S5_PjN6thrust23THRUST_200600_302600_NS6detail15normal_iteratorINS9_10device_ptrIjEEEENS0_8identityIjEEEE10hipError_tT2_T3_mT4_P12ihipStream_tbEUlT_E_NS1_11comp_targetILNS1_3genE10ELNS1_11target_archE1201ELNS1_3gpuE5ELNS1_3repE0EEENS1_30default_config_static_selectorELNS0_4arch9wavefront6targetE1EEEvT1_, .Lfunc_end1022-_ZN7rocprim17ROCPRIM_400000_NS6detail17trampoline_kernelINS0_14default_configENS1_25transform_config_selectorIjLb0EEEZNS1_14transform_implILb0ES3_S5_PjN6thrust23THRUST_200600_302600_NS6detail15normal_iteratorINS9_10device_ptrIjEEEENS0_8identityIjEEEE10hipError_tT2_T3_mT4_P12ihipStream_tbEUlT_E_NS1_11comp_targetILNS1_3genE10ELNS1_11target_archE1201ELNS1_3gpuE5ELNS1_3repE0EEENS1_30default_config_static_selectorELNS0_4arch9wavefront6targetE1EEEvT1_
                                        ; -- End function
	.section	.AMDGPU.csdata,"",@progbits
; Kernel info:
; codeLenInByte = 0
; NumSgprs: 4
; NumVgprs: 0
; NumAgprs: 0
; TotalNumVgprs: 0
; ScratchSize: 0
; MemoryBound: 0
; FloatMode: 240
; IeeeMode: 1
; LDSByteSize: 0 bytes/workgroup (compile time only)
; SGPRBlocks: 0
; VGPRBlocks: 0
; NumSGPRsForWavesPerEU: 4
; NumVGPRsForWavesPerEU: 1
; AccumOffset: 4
; Occupancy: 8
; WaveLimiterHint : 0
; COMPUTE_PGM_RSRC2:SCRATCH_EN: 0
; COMPUTE_PGM_RSRC2:USER_SGPR: 6
; COMPUTE_PGM_RSRC2:TRAP_HANDLER: 0
; COMPUTE_PGM_RSRC2:TGID_X_EN: 1
; COMPUTE_PGM_RSRC2:TGID_Y_EN: 0
; COMPUTE_PGM_RSRC2:TGID_Z_EN: 0
; COMPUTE_PGM_RSRC2:TIDIG_COMP_CNT: 0
; COMPUTE_PGM_RSRC3_GFX90A:ACCUM_OFFSET: 0
; COMPUTE_PGM_RSRC3_GFX90A:TG_SPLIT: 0
	.section	.text._ZN7rocprim17ROCPRIM_400000_NS6detail17trampoline_kernelINS0_14default_configENS1_25transform_config_selectorIjLb0EEEZNS1_14transform_implILb0ES3_S5_PjN6thrust23THRUST_200600_302600_NS6detail15normal_iteratorINS9_10device_ptrIjEEEENS0_8identityIjEEEE10hipError_tT2_T3_mT4_P12ihipStream_tbEUlT_E_NS1_11comp_targetILNS1_3genE10ELNS1_11target_archE1200ELNS1_3gpuE4ELNS1_3repE0EEENS1_30default_config_static_selectorELNS0_4arch9wavefront6targetE1EEEvT1_,"axG",@progbits,_ZN7rocprim17ROCPRIM_400000_NS6detail17trampoline_kernelINS0_14default_configENS1_25transform_config_selectorIjLb0EEEZNS1_14transform_implILb0ES3_S5_PjN6thrust23THRUST_200600_302600_NS6detail15normal_iteratorINS9_10device_ptrIjEEEENS0_8identityIjEEEE10hipError_tT2_T3_mT4_P12ihipStream_tbEUlT_E_NS1_11comp_targetILNS1_3genE10ELNS1_11target_archE1200ELNS1_3gpuE4ELNS1_3repE0EEENS1_30default_config_static_selectorELNS0_4arch9wavefront6targetE1EEEvT1_,comdat
	.protected	_ZN7rocprim17ROCPRIM_400000_NS6detail17trampoline_kernelINS0_14default_configENS1_25transform_config_selectorIjLb0EEEZNS1_14transform_implILb0ES3_S5_PjN6thrust23THRUST_200600_302600_NS6detail15normal_iteratorINS9_10device_ptrIjEEEENS0_8identityIjEEEE10hipError_tT2_T3_mT4_P12ihipStream_tbEUlT_E_NS1_11comp_targetILNS1_3genE10ELNS1_11target_archE1200ELNS1_3gpuE4ELNS1_3repE0EEENS1_30default_config_static_selectorELNS0_4arch9wavefront6targetE1EEEvT1_ ; -- Begin function _ZN7rocprim17ROCPRIM_400000_NS6detail17trampoline_kernelINS0_14default_configENS1_25transform_config_selectorIjLb0EEEZNS1_14transform_implILb0ES3_S5_PjN6thrust23THRUST_200600_302600_NS6detail15normal_iteratorINS9_10device_ptrIjEEEENS0_8identityIjEEEE10hipError_tT2_T3_mT4_P12ihipStream_tbEUlT_E_NS1_11comp_targetILNS1_3genE10ELNS1_11target_archE1200ELNS1_3gpuE4ELNS1_3repE0EEENS1_30default_config_static_selectorELNS0_4arch9wavefront6targetE1EEEvT1_
	.globl	_ZN7rocprim17ROCPRIM_400000_NS6detail17trampoline_kernelINS0_14default_configENS1_25transform_config_selectorIjLb0EEEZNS1_14transform_implILb0ES3_S5_PjN6thrust23THRUST_200600_302600_NS6detail15normal_iteratorINS9_10device_ptrIjEEEENS0_8identityIjEEEE10hipError_tT2_T3_mT4_P12ihipStream_tbEUlT_E_NS1_11comp_targetILNS1_3genE10ELNS1_11target_archE1200ELNS1_3gpuE4ELNS1_3repE0EEENS1_30default_config_static_selectorELNS0_4arch9wavefront6targetE1EEEvT1_
	.p2align	8
	.type	_ZN7rocprim17ROCPRIM_400000_NS6detail17trampoline_kernelINS0_14default_configENS1_25transform_config_selectorIjLb0EEEZNS1_14transform_implILb0ES3_S5_PjN6thrust23THRUST_200600_302600_NS6detail15normal_iteratorINS9_10device_ptrIjEEEENS0_8identityIjEEEE10hipError_tT2_T3_mT4_P12ihipStream_tbEUlT_E_NS1_11comp_targetILNS1_3genE10ELNS1_11target_archE1200ELNS1_3gpuE4ELNS1_3repE0EEENS1_30default_config_static_selectorELNS0_4arch9wavefront6targetE1EEEvT1_,@function
_ZN7rocprim17ROCPRIM_400000_NS6detail17trampoline_kernelINS0_14default_configENS1_25transform_config_selectorIjLb0EEEZNS1_14transform_implILb0ES3_S5_PjN6thrust23THRUST_200600_302600_NS6detail15normal_iteratorINS9_10device_ptrIjEEEENS0_8identityIjEEEE10hipError_tT2_T3_mT4_P12ihipStream_tbEUlT_E_NS1_11comp_targetILNS1_3genE10ELNS1_11target_archE1200ELNS1_3gpuE4ELNS1_3repE0EEENS1_30default_config_static_selectorELNS0_4arch9wavefront6targetE1EEEvT1_: ; @_ZN7rocprim17ROCPRIM_400000_NS6detail17trampoline_kernelINS0_14default_configENS1_25transform_config_selectorIjLb0EEEZNS1_14transform_implILb0ES3_S5_PjN6thrust23THRUST_200600_302600_NS6detail15normal_iteratorINS9_10device_ptrIjEEEENS0_8identityIjEEEE10hipError_tT2_T3_mT4_P12ihipStream_tbEUlT_E_NS1_11comp_targetILNS1_3genE10ELNS1_11target_archE1200ELNS1_3gpuE4ELNS1_3repE0EEENS1_30default_config_static_selectorELNS0_4arch9wavefront6targetE1EEEvT1_
; %bb.0:
	.section	.rodata,"a",@progbits
	.p2align	6, 0x0
	.amdhsa_kernel _ZN7rocprim17ROCPRIM_400000_NS6detail17trampoline_kernelINS0_14default_configENS1_25transform_config_selectorIjLb0EEEZNS1_14transform_implILb0ES3_S5_PjN6thrust23THRUST_200600_302600_NS6detail15normal_iteratorINS9_10device_ptrIjEEEENS0_8identityIjEEEE10hipError_tT2_T3_mT4_P12ihipStream_tbEUlT_E_NS1_11comp_targetILNS1_3genE10ELNS1_11target_archE1200ELNS1_3gpuE4ELNS1_3repE0EEENS1_30default_config_static_selectorELNS0_4arch9wavefront6targetE1EEEvT1_
		.amdhsa_group_segment_fixed_size 0
		.amdhsa_private_segment_fixed_size 0
		.amdhsa_kernarg_size 40
		.amdhsa_user_sgpr_count 6
		.amdhsa_user_sgpr_private_segment_buffer 1
		.amdhsa_user_sgpr_dispatch_ptr 0
		.amdhsa_user_sgpr_queue_ptr 0
		.amdhsa_user_sgpr_kernarg_segment_ptr 1
		.amdhsa_user_sgpr_dispatch_id 0
		.amdhsa_user_sgpr_flat_scratch_init 0
		.amdhsa_user_sgpr_kernarg_preload_length 0
		.amdhsa_user_sgpr_kernarg_preload_offset 0
		.amdhsa_user_sgpr_private_segment_size 0
		.amdhsa_uses_dynamic_stack 0
		.amdhsa_system_sgpr_private_segment_wavefront_offset 0
		.amdhsa_system_sgpr_workgroup_id_x 1
		.amdhsa_system_sgpr_workgroup_id_y 0
		.amdhsa_system_sgpr_workgroup_id_z 0
		.amdhsa_system_sgpr_workgroup_info 0
		.amdhsa_system_vgpr_workitem_id 0
		.amdhsa_next_free_vgpr 1
		.amdhsa_next_free_sgpr 0
		.amdhsa_accum_offset 4
		.amdhsa_reserve_vcc 0
		.amdhsa_reserve_flat_scratch 0
		.amdhsa_float_round_mode_32 0
		.amdhsa_float_round_mode_16_64 0
		.amdhsa_float_denorm_mode_32 3
		.amdhsa_float_denorm_mode_16_64 3
		.amdhsa_dx10_clamp 1
		.amdhsa_ieee_mode 1
		.amdhsa_fp16_overflow 0
		.amdhsa_tg_split 0
		.amdhsa_exception_fp_ieee_invalid_op 0
		.amdhsa_exception_fp_denorm_src 0
		.amdhsa_exception_fp_ieee_div_zero 0
		.amdhsa_exception_fp_ieee_overflow 0
		.amdhsa_exception_fp_ieee_underflow 0
		.amdhsa_exception_fp_ieee_inexact 0
		.amdhsa_exception_int_div_zero 0
	.end_amdhsa_kernel
	.section	.text._ZN7rocprim17ROCPRIM_400000_NS6detail17trampoline_kernelINS0_14default_configENS1_25transform_config_selectorIjLb0EEEZNS1_14transform_implILb0ES3_S5_PjN6thrust23THRUST_200600_302600_NS6detail15normal_iteratorINS9_10device_ptrIjEEEENS0_8identityIjEEEE10hipError_tT2_T3_mT4_P12ihipStream_tbEUlT_E_NS1_11comp_targetILNS1_3genE10ELNS1_11target_archE1200ELNS1_3gpuE4ELNS1_3repE0EEENS1_30default_config_static_selectorELNS0_4arch9wavefront6targetE1EEEvT1_,"axG",@progbits,_ZN7rocprim17ROCPRIM_400000_NS6detail17trampoline_kernelINS0_14default_configENS1_25transform_config_selectorIjLb0EEEZNS1_14transform_implILb0ES3_S5_PjN6thrust23THRUST_200600_302600_NS6detail15normal_iteratorINS9_10device_ptrIjEEEENS0_8identityIjEEEE10hipError_tT2_T3_mT4_P12ihipStream_tbEUlT_E_NS1_11comp_targetILNS1_3genE10ELNS1_11target_archE1200ELNS1_3gpuE4ELNS1_3repE0EEENS1_30default_config_static_selectorELNS0_4arch9wavefront6targetE1EEEvT1_,comdat
.Lfunc_end1023:
	.size	_ZN7rocprim17ROCPRIM_400000_NS6detail17trampoline_kernelINS0_14default_configENS1_25transform_config_selectorIjLb0EEEZNS1_14transform_implILb0ES3_S5_PjN6thrust23THRUST_200600_302600_NS6detail15normal_iteratorINS9_10device_ptrIjEEEENS0_8identityIjEEEE10hipError_tT2_T3_mT4_P12ihipStream_tbEUlT_E_NS1_11comp_targetILNS1_3genE10ELNS1_11target_archE1200ELNS1_3gpuE4ELNS1_3repE0EEENS1_30default_config_static_selectorELNS0_4arch9wavefront6targetE1EEEvT1_, .Lfunc_end1023-_ZN7rocprim17ROCPRIM_400000_NS6detail17trampoline_kernelINS0_14default_configENS1_25transform_config_selectorIjLb0EEEZNS1_14transform_implILb0ES3_S5_PjN6thrust23THRUST_200600_302600_NS6detail15normal_iteratorINS9_10device_ptrIjEEEENS0_8identityIjEEEE10hipError_tT2_T3_mT4_P12ihipStream_tbEUlT_E_NS1_11comp_targetILNS1_3genE10ELNS1_11target_archE1200ELNS1_3gpuE4ELNS1_3repE0EEENS1_30default_config_static_selectorELNS0_4arch9wavefront6targetE1EEEvT1_
                                        ; -- End function
	.section	.AMDGPU.csdata,"",@progbits
; Kernel info:
; codeLenInByte = 0
; NumSgprs: 4
; NumVgprs: 0
; NumAgprs: 0
; TotalNumVgprs: 0
; ScratchSize: 0
; MemoryBound: 0
; FloatMode: 240
; IeeeMode: 1
; LDSByteSize: 0 bytes/workgroup (compile time only)
; SGPRBlocks: 0
; VGPRBlocks: 0
; NumSGPRsForWavesPerEU: 4
; NumVGPRsForWavesPerEU: 1
; AccumOffset: 4
; Occupancy: 8
; WaveLimiterHint : 0
; COMPUTE_PGM_RSRC2:SCRATCH_EN: 0
; COMPUTE_PGM_RSRC2:USER_SGPR: 6
; COMPUTE_PGM_RSRC2:TRAP_HANDLER: 0
; COMPUTE_PGM_RSRC2:TGID_X_EN: 1
; COMPUTE_PGM_RSRC2:TGID_Y_EN: 0
; COMPUTE_PGM_RSRC2:TGID_Z_EN: 0
; COMPUTE_PGM_RSRC2:TIDIG_COMP_CNT: 0
; COMPUTE_PGM_RSRC3_GFX90A:ACCUM_OFFSET: 0
; COMPUTE_PGM_RSRC3_GFX90A:TG_SPLIT: 0
	.section	.text._ZN7rocprim17ROCPRIM_400000_NS6detail17trampoline_kernelINS0_14default_configENS1_25transform_config_selectorIjLb0EEEZNS1_14transform_implILb0ES3_S5_PjN6thrust23THRUST_200600_302600_NS6detail15normal_iteratorINS9_10device_ptrIjEEEENS0_8identityIjEEEE10hipError_tT2_T3_mT4_P12ihipStream_tbEUlT_E_NS1_11comp_targetILNS1_3genE9ELNS1_11target_archE1100ELNS1_3gpuE3ELNS1_3repE0EEENS1_30default_config_static_selectorELNS0_4arch9wavefront6targetE1EEEvT1_,"axG",@progbits,_ZN7rocprim17ROCPRIM_400000_NS6detail17trampoline_kernelINS0_14default_configENS1_25transform_config_selectorIjLb0EEEZNS1_14transform_implILb0ES3_S5_PjN6thrust23THRUST_200600_302600_NS6detail15normal_iteratorINS9_10device_ptrIjEEEENS0_8identityIjEEEE10hipError_tT2_T3_mT4_P12ihipStream_tbEUlT_E_NS1_11comp_targetILNS1_3genE9ELNS1_11target_archE1100ELNS1_3gpuE3ELNS1_3repE0EEENS1_30default_config_static_selectorELNS0_4arch9wavefront6targetE1EEEvT1_,comdat
	.protected	_ZN7rocprim17ROCPRIM_400000_NS6detail17trampoline_kernelINS0_14default_configENS1_25transform_config_selectorIjLb0EEEZNS1_14transform_implILb0ES3_S5_PjN6thrust23THRUST_200600_302600_NS6detail15normal_iteratorINS9_10device_ptrIjEEEENS0_8identityIjEEEE10hipError_tT2_T3_mT4_P12ihipStream_tbEUlT_E_NS1_11comp_targetILNS1_3genE9ELNS1_11target_archE1100ELNS1_3gpuE3ELNS1_3repE0EEENS1_30default_config_static_selectorELNS0_4arch9wavefront6targetE1EEEvT1_ ; -- Begin function _ZN7rocprim17ROCPRIM_400000_NS6detail17trampoline_kernelINS0_14default_configENS1_25transform_config_selectorIjLb0EEEZNS1_14transform_implILb0ES3_S5_PjN6thrust23THRUST_200600_302600_NS6detail15normal_iteratorINS9_10device_ptrIjEEEENS0_8identityIjEEEE10hipError_tT2_T3_mT4_P12ihipStream_tbEUlT_E_NS1_11comp_targetILNS1_3genE9ELNS1_11target_archE1100ELNS1_3gpuE3ELNS1_3repE0EEENS1_30default_config_static_selectorELNS0_4arch9wavefront6targetE1EEEvT1_
	.globl	_ZN7rocprim17ROCPRIM_400000_NS6detail17trampoline_kernelINS0_14default_configENS1_25transform_config_selectorIjLb0EEEZNS1_14transform_implILb0ES3_S5_PjN6thrust23THRUST_200600_302600_NS6detail15normal_iteratorINS9_10device_ptrIjEEEENS0_8identityIjEEEE10hipError_tT2_T3_mT4_P12ihipStream_tbEUlT_E_NS1_11comp_targetILNS1_3genE9ELNS1_11target_archE1100ELNS1_3gpuE3ELNS1_3repE0EEENS1_30default_config_static_selectorELNS0_4arch9wavefront6targetE1EEEvT1_
	.p2align	8
	.type	_ZN7rocprim17ROCPRIM_400000_NS6detail17trampoline_kernelINS0_14default_configENS1_25transform_config_selectorIjLb0EEEZNS1_14transform_implILb0ES3_S5_PjN6thrust23THRUST_200600_302600_NS6detail15normal_iteratorINS9_10device_ptrIjEEEENS0_8identityIjEEEE10hipError_tT2_T3_mT4_P12ihipStream_tbEUlT_E_NS1_11comp_targetILNS1_3genE9ELNS1_11target_archE1100ELNS1_3gpuE3ELNS1_3repE0EEENS1_30default_config_static_selectorELNS0_4arch9wavefront6targetE1EEEvT1_,@function
_ZN7rocprim17ROCPRIM_400000_NS6detail17trampoline_kernelINS0_14default_configENS1_25transform_config_selectorIjLb0EEEZNS1_14transform_implILb0ES3_S5_PjN6thrust23THRUST_200600_302600_NS6detail15normal_iteratorINS9_10device_ptrIjEEEENS0_8identityIjEEEE10hipError_tT2_T3_mT4_P12ihipStream_tbEUlT_E_NS1_11comp_targetILNS1_3genE9ELNS1_11target_archE1100ELNS1_3gpuE3ELNS1_3repE0EEENS1_30default_config_static_selectorELNS0_4arch9wavefront6targetE1EEEvT1_: ; @_ZN7rocprim17ROCPRIM_400000_NS6detail17trampoline_kernelINS0_14default_configENS1_25transform_config_selectorIjLb0EEEZNS1_14transform_implILb0ES3_S5_PjN6thrust23THRUST_200600_302600_NS6detail15normal_iteratorINS9_10device_ptrIjEEEENS0_8identityIjEEEE10hipError_tT2_T3_mT4_P12ihipStream_tbEUlT_E_NS1_11comp_targetILNS1_3genE9ELNS1_11target_archE1100ELNS1_3gpuE3ELNS1_3repE0EEENS1_30default_config_static_selectorELNS0_4arch9wavefront6targetE1EEEvT1_
; %bb.0:
	.section	.rodata,"a",@progbits
	.p2align	6, 0x0
	.amdhsa_kernel _ZN7rocprim17ROCPRIM_400000_NS6detail17trampoline_kernelINS0_14default_configENS1_25transform_config_selectorIjLb0EEEZNS1_14transform_implILb0ES3_S5_PjN6thrust23THRUST_200600_302600_NS6detail15normal_iteratorINS9_10device_ptrIjEEEENS0_8identityIjEEEE10hipError_tT2_T3_mT4_P12ihipStream_tbEUlT_E_NS1_11comp_targetILNS1_3genE9ELNS1_11target_archE1100ELNS1_3gpuE3ELNS1_3repE0EEENS1_30default_config_static_selectorELNS0_4arch9wavefront6targetE1EEEvT1_
		.amdhsa_group_segment_fixed_size 0
		.amdhsa_private_segment_fixed_size 0
		.amdhsa_kernarg_size 40
		.amdhsa_user_sgpr_count 6
		.amdhsa_user_sgpr_private_segment_buffer 1
		.amdhsa_user_sgpr_dispatch_ptr 0
		.amdhsa_user_sgpr_queue_ptr 0
		.amdhsa_user_sgpr_kernarg_segment_ptr 1
		.amdhsa_user_sgpr_dispatch_id 0
		.amdhsa_user_sgpr_flat_scratch_init 0
		.amdhsa_user_sgpr_kernarg_preload_length 0
		.amdhsa_user_sgpr_kernarg_preload_offset 0
		.amdhsa_user_sgpr_private_segment_size 0
		.amdhsa_uses_dynamic_stack 0
		.amdhsa_system_sgpr_private_segment_wavefront_offset 0
		.amdhsa_system_sgpr_workgroup_id_x 1
		.amdhsa_system_sgpr_workgroup_id_y 0
		.amdhsa_system_sgpr_workgroup_id_z 0
		.amdhsa_system_sgpr_workgroup_info 0
		.amdhsa_system_vgpr_workitem_id 0
		.amdhsa_next_free_vgpr 1
		.amdhsa_next_free_sgpr 0
		.amdhsa_accum_offset 4
		.amdhsa_reserve_vcc 0
		.amdhsa_reserve_flat_scratch 0
		.amdhsa_float_round_mode_32 0
		.amdhsa_float_round_mode_16_64 0
		.amdhsa_float_denorm_mode_32 3
		.amdhsa_float_denorm_mode_16_64 3
		.amdhsa_dx10_clamp 1
		.amdhsa_ieee_mode 1
		.amdhsa_fp16_overflow 0
		.amdhsa_tg_split 0
		.amdhsa_exception_fp_ieee_invalid_op 0
		.amdhsa_exception_fp_denorm_src 0
		.amdhsa_exception_fp_ieee_div_zero 0
		.amdhsa_exception_fp_ieee_overflow 0
		.amdhsa_exception_fp_ieee_underflow 0
		.amdhsa_exception_fp_ieee_inexact 0
		.amdhsa_exception_int_div_zero 0
	.end_amdhsa_kernel
	.section	.text._ZN7rocprim17ROCPRIM_400000_NS6detail17trampoline_kernelINS0_14default_configENS1_25transform_config_selectorIjLb0EEEZNS1_14transform_implILb0ES3_S5_PjN6thrust23THRUST_200600_302600_NS6detail15normal_iteratorINS9_10device_ptrIjEEEENS0_8identityIjEEEE10hipError_tT2_T3_mT4_P12ihipStream_tbEUlT_E_NS1_11comp_targetILNS1_3genE9ELNS1_11target_archE1100ELNS1_3gpuE3ELNS1_3repE0EEENS1_30default_config_static_selectorELNS0_4arch9wavefront6targetE1EEEvT1_,"axG",@progbits,_ZN7rocprim17ROCPRIM_400000_NS6detail17trampoline_kernelINS0_14default_configENS1_25transform_config_selectorIjLb0EEEZNS1_14transform_implILb0ES3_S5_PjN6thrust23THRUST_200600_302600_NS6detail15normal_iteratorINS9_10device_ptrIjEEEENS0_8identityIjEEEE10hipError_tT2_T3_mT4_P12ihipStream_tbEUlT_E_NS1_11comp_targetILNS1_3genE9ELNS1_11target_archE1100ELNS1_3gpuE3ELNS1_3repE0EEENS1_30default_config_static_selectorELNS0_4arch9wavefront6targetE1EEEvT1_,comdat
.Lfunc_end1024:
	.size	_ZN7rocprim17ROCPRIM_400000_NS6detail17trampoline_kernelINS0_14default_configENS1_25transform_config_selectorIjLb0EEEZNS1_14transform_implILb0ES3_S5_PjN6thrust23THRUST_200600_302600_NS6detail15normal_iteratorINS9_10device_ptrIjEEEENS0_8identityIjEEEE10hipError_tT2_T3_mT4_P12ihipStream_tbEUlT_E_NS1_11comp_targetILNS1_3genE9ELNS1_11target_archE1100ELNS1_3gpuE3ELNS1_3repE0EEENS1_30default_config_static_selectorELNS0_4arch9wavefront6targetE1EEEvT1_, .Lfunc_end1024-_ZN7rocprim17ROCPRIM_400000_NS6detail17trampoline_kernelINS0_14default_configENS1_25transform_config_selectorIjLb0EEEZNS1_14transform_implILb0ES3_S5_PjN6thrust23THRUST_200600_302600_NS6detail15normal_iteratorINS9_10device_ptrIjEEEENS0_8identityIjEEEE10hipError_tT2_T3_mT4_P12ihipStream_tbEUlT_E_NS1_11comp_targetILNS1_3genE9ELNS1_11target_archE1100ELNS1_3gpuE3ELNS1_3repE0EEENS1_30default_config_static_selectorELNS0_4arch9wavefront6targetE1EEEvT1_
                                        ; -- End function
	.section	.AMDGPU.csdata,"",@progbits
; Kernel info:
; codeLenInByte = 0
; NumSgprs: 4
; NumVgprs: 0
; NumAgprs: 0
; TotalNumVgprs: 0
; ScratchSize: 0
; MemoryBound: 0
; FloatMode: 240
; IeeeMode: 1
; LDSByteSize: 0 bytes/workgroup (compile time only)
; SGPRBlocks: 0
; VGPRBlocks: 0
; NumSGPRsForWavesPerEU: 4
; NumVGPRsForWavesPerEU: 1
; AccumOffset: 4
; Occupancy: 8
; WaveLimiterHint : 0
; COMPUTE_PGM_RSRC2:SCRATCH_EN: 0
; COMPUTE_PGM_RSRC2:USER_SGPR: 6
; COMPUTE_PGM_RSRC2:TRAP_HANDLER: 0
; COMPUTE_PGM_RSRC2:TGID_X_EN: 1
; COMPUTE_PGM_RSRC2:TGID_Y_EN: 0
; COMPUTE_PGM_RSRC2:TGID_Z_EN: 0
; COMPUTE_PGM_RSRC2:TIDIG_COMP_CNT: 0
; COMPUTE_PGM_RSRC3_GFX90A:ACCUM_OFFSET: 0
; COMPUTE_PGM_RSRC3_GFX90A:TG_SPLIT: 0
	.section	.text._ZN7rocprim17ROCPRIM_400000_NS6detail17trampoline_kernelINS0_14default_configENS1_25transform_config_selectorIjLb0EEEZNS1_14transform_implILb0ES3_S5_PjN6thrust23THRUST_200600_302600_NS6detail15normal_iteratorINS9_10device_ptrIjEEEENS0_8identityIjEEEE10hipError_tT2_T3_mT4_P12ihipStream_tbEUlT_E_NS1_11comp_targetILNS1_3genE8ELNS1_11target_archE1030ELNS1_3gpuE2ELNS1_3repE0EEENS1_30default_config_static_selectorELNS0_4arch9wavefront6targetE1EEEvT1_,"axG",@progbits,_ZN7rocprim17ROCPRIM_400000_NS6detail17trampoline_kernelINS0_14default_configENS1_25transform_config_selectorIjLb0EEEZNS1_14transform_implILb0ES3_S5_PjN6thrust23THRUST_200600_302600_NS6detail15normal_iteratorINS9_10device_ptrIjEEEENS0_8identityIjEEEE10hipError_tT2_T3_mT4_P12ihipStream_tbEUlT_E_NS1_11comp_targetILNS1_3genE8ELNS1_11target_archE1030ELNS1_3gpuE2ELNS1_3repE0EEENS1_30default_config_static_selectorELNS0_4arch9wavefront6targetE1EEEvT1_,comdat
	.protected	_ZN7rocprim17ROCPRIM_400000_NS6detail17trampoline_kernelINS0_14default_configENS1_25transform_config_selectorIjLb0EEEZNS1_14transform_implILb0ES3_S5_PjN6thrust23THRUST_200600_302600_NS6detail15normal_iteratorINS9_10device_ptrIjEEEENS0_8identityIjEEEE10hipError_tT2_T3_mT4_P12ihipStream_tbEUlT_E_NS1_11comp_targetILNS1_3genE8ELNS1_11target_archE1030ELNS1_3gpuE2ELNS1_3repE0EEENS1_30default_config_static_selectorELNS0_4arch9wavefront6targetE1EEEvT1_ ; -- Begin function _ZN7rocprim17ROCPRIM_400000_NS6detail17trampoline_kernelINS0_14default_configENS1_25transform_config_selectorIjLb0EEEZNS1_14transform_implILb0ES3_S5_PjN6thrust23THRUST_200600_302600_NS6detail15normal_iteratorINS9_10device_ptrIjEEEENS0_8identityIjEEEE10hipError_tT2_T3_mT4_P12ihipStream_tbEUlT_E_NS1_11comp_targetILNS1_3genE8ELNS1_11target_archE1030ELNS1_3gpuE2ELNS1_3repE0EEENS1_30default_config_static_selectorELNS0_4arch9wavefront6targetE1EEEvT1_
	.globl	_ZN7rocprim17ROCPRIM_400000_NS6detail17trampoline_kernelINS0_14default_configENS1_25transform_config_selectorIjLb0EEEZNS1_14transform_implILb0ES3_S5_PjN6thrust23THRUST_200600_302600_NS6detail15normal_iteratorINS9_10device_ptrIjEEEENS0_8identityIjEEEE10hipError_tT2_T3_mT4_P12ihipStream_tbEUlT_E_NS1_11comp_targetILNS1_3genE8ELNS1_11target_archE1030ELNS1_3gpuE2ELNS1_3repE0EEENS1_30default_config_static_selectorELNS0_4arch9wavefront6targetE1EEEvT1_
	.p2align	8
	.type	_ZN7rocprim17ROCPRIM_400000_NS6detail17trampoline_kernelINS0_14default_configENS1_25transform_config_selectorIjLb0EEEZNS1_14transform_implILb0ES3_S5_PjN6thrust23THRUST_200600_302600_NS6detail15normal_iteratorINS9_10device_ptrIjEEEENS0_8identityIjEEEE10hipError_tT2_T3_mT4_P12ihipStream_tbEUlT_E_NS1_11comp_targetILNS1_3genE8ELNS1_11target_archE1030ELNS1_3gpuE2ELNS1_3repE0EEENS1_30default_config_static_selectorELNS0_4arch9wavefront6targetE1EEEvT1_,@function
_ZN7rocprim17ROCPRIM_400000_NS6detail17trampoline_kernelINS0_14default_configENS1_25transform_config_selectorIjLb0EEEZNS1_14transform_implILb0ES3_S5_PjN6thrust23THRUST_200600_302600_NS6detail15normal_iteratorINS9_10device_ptrIjEEEENS0_8identityIjEEEE10hipError_tT2_T3_mT4_P12ihipStream_tbEUlT_E_NS1_11comp_targetILNS1_3genE8ELNS1_11target_archE1030ELNS1_3gpuE2ELNS1_3repE0EEENS1_30default_config_static_selectorELNS0_4arch9wavefront6targetE1EEEvT1_: ; @_ZN7rocprim17ROCPRIM_400000_NS6detail17trampoline_kernelINS0_14default_configENS1_25transform_config_selectorIjLb0EEEZNS1_14transform_implILb0ES3_S5_PjN6thrust23THRUST_200600_302600_NS6detail15normal_iteratorINS9_10device_ptrIjEEEENS0_8identityIjEEEE10hipError_tT2_T3_mT4_P12ihipStream_tbEUlT_E_NS1_11comp_targetILNS1_3genE8ELNS1_11target_archE1030ELNS1_3gpuE2ELNS1_3repE0EEENS1_30default_config_static_selectorELNS0_4arch9wavefront6targetE1EEEvT1_
; %bb.0:
	.section	.rodata,"a",@progbits
	.p2align	6, 0x0
	.amdhsa_kernel _ZN7rocprim17ROCPRIM_400000_NS6detail17trampoline_kernelINS0_14default_configENS1_25transform_config_selectorIjLb0EEEZNS1_14transform_implILb0ES3_S5_PjN6thrust23THRUST_200600_302600_NS6detail15normal_iteratorINS9_10device_ptrIjEEEENS0_8identityIjEEEE10hipError_tT2_T3_mT4_P12ihipStream_tbEUlT_E_NS1_11comp_targetILNS1_3genE8ELNS1_11target_archE1030ELNS1_3gpuE2ELNS1_3repE0EEENS1_30default_config_static_selectorELNS0_4arch9wavefront6targetE1EEEvT1_
		.amdhsa_group_segment_fixed_size 0
		.amdhsa_private_segment_fixed_size 0
		.amdhsa_kernarg_size 40
		.amdhsa_user_sgpr_count 6
		.amdhsa_user_sgpr_private_segment_buffer 1
		.amdhsa_user_sgpr_dispatch_ptr 0
		.amdhsa_user_sgpr_queue_ptr 0
		.amdhsa_user_sgpr_kernarg_segment_ptr 1
		.amdhsa_user_sgpr_dispatch_id 0
		.amdhsa_user_sgpr_flat_scratch_init 0
		.amdhsa_user_sgpr_kernarg_preload_length 0
		.amdhsa_user_sgpr_kernarg_preload_offset 0
		.amdhsa_user_sgpr_private_segment_size 0
		.amdhsa_uses_dynamic_stack 0
		.amdhsa_system_sgpr_private_segment_wavefront_offset 0
		.amdhsa_system_sgpr_workgroup_id_x 1
		.amdhsa_system_sgpr_workgroup_id_y 0
		.amdhsa_system_sgpr_workgroup_id_z 0
		.amdhsa_system_sgpr_workgroup_info 0
		.amdhsa_system_vgpr_workitem_id 0
		.amdhsa_next_free_vgpr 1
		.amdhsa_next_free_sgpr 0
		.amdhsa_accum_offset 4
		.amdhsa_reserve_vcc 0
		.amdhsa_reserve_flat_scratch 0
		.amdhsa_float_round_mode_32 0
		.amdhsa_float_round_mode_16_64 0
		.amdhsa_float_denorm_mode_32 3
		.amdhsa_float_denorm_mode_16_64 3
		.amdhsa_dx10_clamp 1
		.amdhsa_ieee_mode 1
		.amdhsa_fp16_overflow 0
		.amdhsa_tg_split 0
		.amdhsa_exception_fp_ieee_invalid_op 0
		.amdhsa_exception_fp_denorm_src 0
		.amdhsa_exception_fp_ieee_div_zero 0
		.amdhsa_exception_fp_ieee_overflow 0
		.amdhsa_exception_fp_ieee_underflow 0
		.amdhsa_exception_fp_ieee_inexact 0
		.amdhsa_exception_int_div_zero 0
	.end_amdhsa_kernel
	.section	.text._ZN7rocprim17ROCPRIM_400000_NS6detail17trampoline_kernelINS0_14default_configENS1_25transform_config_selectorIjLb0EEEZNS1_14transform_implILb0ES3_S5_PjN6thrust23THRUST_200600_302600_NS6detail15normal_iteratorINS9_10device_ptrIjEEEENS0_8identityIjEEEE10hipError_tT2_T3_mT4_P12ihipStream_tbEUlT_E_NS1_11comp_targetILNS1_3genE8ELNS1_11target_archE1030ELNS1_3gpuE2ELNS1_3repE0EEENS1_30default_config_static_selectorELNS0_4arch9wavefront6targetE1EEEvT1_,"axG",@progbits,_ZN7rocprim17ROCPRIM_400000_NS6detail17trampoline_kernelINS0_14default_configENS1_25transform_config_selectorIjLb0EEEZNS1_14transform_implILb0ES3_S5_PjN6thrust23THRUST_200600_302600_NS6detail15normal_iteratorINS9_10device_ptrIjEEEENS0_8identityIjEEEE10hipError_tT2_T3_mT4_P12ihipStream_tbEUlT_E_NS1_11comp_targetILNS1_3genE8ELNS1_11target_archE1030ELNS1_3gpuE2ELNS1_3repE0EEENS1_30default_config_static_selectorELNS0_4arch9wavefront6targetE1EEEvT1_,comdat
.Lfunc_end1025:
	.size	_ZN7rocprim17ROCPRIM_400000_NS6detail17trampoline_kernelINS0_14default_configENS1_25transform_config_selectorIjLb0EEEZNS1_14transform_implILb0ES3_S5_PjN6thrust23THRUST_200600_302600_NS6detail15normal_iteratorINS9_10device_ptrIjEEEENS0_8identityIjEEEE10hipError_tT2_T3_mT4_P12ihipStream_tbEUlT_E_NS1_11comp_targetILNS1_3genE8ELNS1_11target_archE1030ELNS1_3gpuE2ELNS1_3repE0EEENS1_30default_config_static_selectorELNS0_4arch9wavefront6targetE1EEEvT1_, .Lfunc_end1025-_ZN7rocprim17ROCPRIM_400000_NS6detail17trampoline_kernelINS0_14default_configENS1_25transform_config_selectorIjLb0EEEZNS1_14transform_implILb0ES3_S5_PjN6thrust23THRUST_200600_302600_NS6detail15normal_iteratorINS9_10device_ptrIjEEEENS0_8identityIjEEEE10hipError_tT2_T3_mT4_P12ihipStream_tbEUlT_E_NS1_11comp_targetILNS1_3genE8ELNS1_11target_archE1030ELNS1_3gpuE2ELNS1_3repE0EEENS1_30default_config_static_selectorELNS0_4arch9wavefront6targetE1EEEvT1_
                                        ; -- End function
	.section	.AMDGPU.csdata,"",@progbits
; Kernel info:
; codeLenInByte = 0
; NumSgprs: 4
; NumVgprs: 0
; NumAgprs: 0
; TotalNumVgprs: 0
; ScratchSize: 0
; MemoryBound: 0
; FloatMode: 240
; IeeeMode: 1
; LDSByteSize: 0 bytes/workgroup (compile time only)
; SGPRBlocks: 0
; VGPRBlocks: 0
; NumSGPRsForWavesPerEU: 4
; NumVGPRsForWavesPerEU: 1
; AccumOffset: 4
; Occupancy: 8
; WaveLimiterHint : 0
; COMPUTE_PGM_RSRC2:SCRATCH_EN: 0
; COMPUTE_PGM_RSRC2:USER_SGPR: 6
; COMPUTE_PGM_RSRC2:TRAP_HANDLER: 0
; COMPUTE_PGM_RSRC2:TGID_X_EN: 1
; COMPUTE_PGM_RSRC2:TGID_Y_EN: 0
; COMPUTE_PGM_RSRC2:TGID_Z_EN: 0
; COMPUTE_PGM_RSRC2:TIDIG_COMP_CNT: 0
; COMPUTE_PGM_RSRC3_GFX90A:ACCUM_OFFSET: 0
; COMPUTE_PGM_RSRC3_GFX90A:TG_SPLIT: 0
	.section	.text._ZN7rocprim17ROCPRIM_400000_NS6detail17trampoline_kernelINS0_14default_configENS1_38merge_sort_block_merge_config_selectorIjNS0_10empty_typeEEEZZNS1_27merge_sort_block_merge_implIS3_N6thrust23THRUST_200600_302600_NS6detail15normal_iteratorINS9_10device_ptrIjEEEEPS5_jNS1_19radix_merge_compareILb0ELb1EjNS0_19identity_decomposerEEEEE10hipError_tT0_T1_T2_jT3_P12ihipStream_tbPNSt15iterator_traitsISK_E10value_typeEPNSQ_ISL_E10value_typeEPSM_NS1_7vsmem_tEENKUlT_SK_SL_SM_E_clIPjSE_SF_SF_EESJ_SZ_SK_SL_SM_EUlSZ_E_NS1_11comp_targetILNS1_3genE0ELNS1_11target_archE4294967295ELNS1_3gpuE0ELNS1_3repE0EEENS1_48merge_mergepath_partition_config_static_selectorELNS0_4arch9wavefront6targetE1EEEvSL_,"axG",@progbits,_ZN7rocprim17ROCPRIM_400000_NS6detail17trampoline_kernelINS0_14default_configENS1_38merge_sort_block_merge_config_selectorIjNS0_10empty_typeEEEZZNS1_27merge_sort_block_merge_implIS3_N6thrust23THRUST_200600_302600_NS6detail15normal_iteratorINS9_10device_ptrIjEEEEPS5_jNS1_19radix_merge_compareILb0ELb1EjNS0_19identity_decomposerEEEEE10hipError_tT0_T1_T2_jT3_P12ihipStream_tbPNSt15iterator_traitsISK_E10value_typeEPNSQ_ISL_E10value_typeEPSM_NS1_7vsmem_tEENKUlT_SK_SL_SM_E_clIPjSE_SF_SF_EESJ_SZ_SK_SL_SM_EUlSZ_E_NS1_11comp_targetILNS1_3genE0ELNS1_11target_archE4294967295ELNS1_3gpuE0ELNS1_3repE0EEENS1_48merge_mergepath_partition_config_static_selectorELNS0_4arch9wavefront6targetE1EEEvSL_,comdat
	.protected	_ZN7rocprim17ROCPRIM_400000_NS6detail17trampoline_kernelINS0_14default_configENS1_38merge_sort_block_merge_config_selectorIjNS0_10empty_typeEEEZZNS1_27merge_sort_block_merge_implIS3_N6thrust23THRUST_200600_302600_NS6detail15normal_iteratorINS9_10device_ptrIjEEEEPS5_jNS1_19radix_merge_compareILb0ELb1EjNS0_19identity_decomposerEEEEE10hipError_tT0_T1_T2_jT3_P12ihipStream_tbPNSt15iterator_traitsISK_E10value_typeEPNSQ_ISL_E10value_typeEPSM_NS1_7vsmem_tEENKUlT_SK_SL_SM_E_clIPjSE_SF_SF_EESJ_SZ_SK_SL_SM_EUlSZ_E_NS1_11comp_targetILNS1_3genE0ELNS1_11target_archE4294967295ELNS1_3gpuE0ELNS1_3repE0EEENS1_48merge_mergepath_partition_config_static_selectorELNS0_4arch9wavefront6targetE1EEEvSL_ ; -- Begin function _ZN7rocprim17ROCPRIM_400000_NS6detail17trampoline_kernelINS0_14default_configENS1_38merge_sort_block_merge_config_selectorIjNS0_10empty_typeEEEZZNS1_27merge_sort_block_merge_implIS3_N6thrust23THRUST_200600_302600_NS6detail15normal_iteratorINS9_10device_ptrIjEEEEPS5_jNS1_19radix_merge_compareILb0ELb1EjNS0_19identity_decomposerEEEEE10hipError_tT0_T1_T2_jT3_P12ihipStream_tbPNSt15iterator_traitsISK_E10value_typeEPNSQ_ISL_E10value_typeEPSM_NS1_7vsmem_tEENKUlT_SK_SL_SM_E_clIPjSE_SF_SF_EESJ_SZ_SK_SL_SM_EUlSZ_E_NS1_11comp_targetILNS1_3genE0ELNS1_11target_archE4294967295ELNS1_3gpuE0ELNS1_3repE0EEENS1_48merge_mergepath_partition_config_static_selectorELNS0_4arch9wavefront6targetE1EEEvSL_
	.globl	_ZN7rocprim17ROCPRIM_400000_NS6detail17trampoline_kernelINS0_14default_configENS1_38merge_sort_block_merge_config_selectorIjNS0_10empty_typeEEEZZNS1_27merge_sort_block_merge_implIS3_N6thrust23THRUST_200600_302600_NS6detail15normal_iteratorINS9_10device_ptrIjEEEEPS5_jNS1_19radix_merge_compareILb0ELb1EjNS0_19identity_decomposerEEEEE10hipError_tT0_T1_T2_jT3_P12ihipStream_tbPNSt15iterator_traitsISK_E10value_typeEPNSQ_ISL_E10value_typeEPSM_NS1_7vsmem_tEENKUlT_SK_SL_SM_E_clIPjSE_SF_SF_EESJ_SZ_SK_SL_SM_EUlSZ_E_NS1_11comp_targetILNS1_3genE0ELNS1_11target_archE4294967295ELNS1_3gpuE0ELNS1_3repE0EEENS1_48merge_mergepath_partition_config_static_selectorELNS0_4arch9wavefront6targetE1EEEvSL_
	.p2align	8
	.type	_ZN7rocprim17ROCPRIM_400000_NS6detail17trampoline_kernelINS0_14default_configENS1_38merge_sort_block_merge_config_selectorIjNS0_10empty_typeEEEZZNS1_27merge_sort_block_merge_implIS3_N6thrust23THRUST_200600_302600_NS6detail15normal_iteratorINS9_10device_ptrIjEEEEPS5_jNS1_19radix_merge_compareILb0ELb1EjNS0_19identity_decomposerEEEEE10hipError_tT0_T1_T2_jT3_P12ihipStream_tbPNSt15iterator_traitsISK_E10value_typeEPNSQ_ISL_E10value_typeEPSM_NS1_7vsmem_tEENKUlT_SK_SL_SM_E_clIPjSE_SF_SF_EESJ_SZ_SK_SL_SM_EUlSZ_E_NS1_11comp_targetILNS1_3genE0ELNS1_11target_archE4294967295ELNS1_3gpuE0ELNS1_3repE0EEENS1_48merge_mergepath_partition_config_static_selectorELNS0_4arch9wavefront6targetE1EEEvSL_,@function
_ZN7rocprim17ROCPRIM_400000_NS6detail17trampoline_kernelINS0_14default_configENS1_38merge_sort_block_merge_config_selectorIjNS0_10empty_typeEEEZZNS1_27merge_sort_block_merge_implIS3_N6thrust23THRUST_200600_302600_NS6detail15normal_iteratorINS9_10device_ptrIjEEEEPS5_jNS1_19radix_merge_compareILb0ELb1EjNS0_19identity_decomposerEEEEE10hipError_tT0_T1_T2_jT3_P12ihipStream_tbPNSt15iterator_traitsISK_E10value_typeEPNSQ_ISL_E10value_typeEPSM_NS1_7vsmem_tEENKUlT_SK_SL_SM_E_clIPjSE_SF_SF_EESJ_SZ_SK_SL_SM_EUlSZ_E_NS1_11comp_targetILNS1_3genE0ELNS1_11target_archE4294967295ELNS1_3gpuE0ELNS1_3repE0EEENS1_48merge_mergepath_partition_config_static_selectorELNS0_4arch9wavefront6targetE1EEEvSL_: ; @_ZN7rocprim17ROCPRIM_400000_NS6detail17trampoline_kernelINS0_14default_configENS1_38merge_sort_block_merge_config_selectorIjNS0_10empty_typeEEEZZNS1_27merge_sort_block_merge_implIS3_N6thrust23THRUST_200600_302600_NS6detail15normal_iteratorINS9_10device_ptrIjEEEEPS5_jNS1_19radix_merge_compareILb0ELb1EjNS0_19identity_decomposerEEEEE10hipError_tT0_T1_T2_jT3_P12ihipStream_tbPNSt15iterator_traitsISK_E10value_typeEPNSQ_ISL_E10value_typeEPSM_NS1_7vsmem_tEENKUlT_SK_SL_SM_E_clIPjSE_SF_SF_EESJ_SZ_SK_SL_SM_EUlSZ_E_NS1_11comp_targetILNS1_3genE0ELNS1_11target_archE4294967295ELNS1_3gpuE0ELNS1_3repE0EEENS1_48merge_mergepath_partition_config_static_selectorELNS0_4arch9wavefront6targetE1EEEvSL_
; %bb.0:
	.section	.rodata,"a",@progbits
	.p2align	6, 0x0
	.amdhsa_kernel _ZN7rocprim17ROCPRIM_400000_NS6detail17trampoline_kernelINS0_14default_configENS1_38merge_sort_block_merge_config_selectorIjNS0_10empty_typeEEEZZNS1_27merge_sort_block_merge_implIS3_N6thrust23THRUST_200600_302600_NS6detail15normal_iteratorINS9_10device_ptrIjEEEEPS5_jNS1_19radix_merge_compareILb0ELb1EjNS0_19identity_decomposerEEEEE10hipError_tT0_T1_T2_jT3_P12ihipStream_tbPNSt15iterator_traitsISK_E10value_typeEPNSQ_ISL_E10value_typeEPSM_NS1_7vsmem_tEENKUlT_SK_SL_SM_E_clIPjSE_SF_SF_EESJ_SZ_SK_SL_SM_EUlSZ_E_NS1_11comp_targetILNS1_3genE0ELNS1_11target_archE4294967295ELNS1_3gpuE0ELNS1_3repE0EEENS1_48merge_mergepath_partition_config_static_selectorELNS0_4arch9wavefront6targetE1EEEvSL_
		.amdhsa_group_segment_fixed_size 0
		.amdhsa_private_segment_fixed_size 0
		.amdhsa_kernarg_size 40
		.amdhsa_user_sgpr_count 6
		.amdhsa_user_sgpr_private_segment_buffer 1
		.amdhsa_user_sgpr_dispatch_ptr 0
		.amdhsa_user_sgpr_queue_ptr 0
		.amdhsa_user_sgpr_kernarg_segment_ptr 1
		.amdhsa_user_sgpr_dispatch_id 0
		.amdhsa_user_sgpr_flat_scratch_init 0
		.amdhsa_user_sgpr_kernarg_preload_length 0
		.amdhsa_user_sgpr_kernarg_preload_offset 0
		.amdhsa_user_sgpr_private_segment_size 0
		.amdhsa_uses_dynamic_stack 0
		.amdhsa_system_sgpr_private_segment_wavefront_offset 0
		.amdhsa_system_sgpr_workgroup_id_x 1
		.amdhsa_system_sgpr_workgroup_id_y 0
		.amdhsa_system_sgpr_workgroup_id_z 0
		.amdhsa_system_sgpr_workgroup_info 0
		.amdhsa_system_vgpr_workitem_id 0
		.amdhsa_next_free_vgpr 1
		.amdhsa_next_free_sgpr 0
		.amdhsa_accum_offset 4
		.amdhsa_reserve_vcc 0
		.amdhsa_reserve_flat_scratch 0
		.amdhsa_float_round_mode_32 0
		.amdhsa_float_round_mode_16_64 0
		.amdhsa_float_denorm_mode_32 3
		.amdhsa_float_denorm_mode_16_64 3
		.amdhsa_dx10_clamp 1
		.amdhsa_ieee_mode 1
		.amdhsa_fp16_overflow 0
		.amdhsa_tg_split 0
		.amdhsa_exception_fp_ieee_invalid_op 0
		.amdhsa_exception_fp_denorm_src 0
		.amdhsa_exception_fp_ieee_div_zero 0
		.amdhsa_exception_fp_ieee_overflow 0
		.amdhsa_exception_fp_ieee_underflow 0
		.amdhsa_exception_fp_ieee_inexact 0
		.amdhsa_exception_int_div_zero 0
	.end_amdhsa_kernel
	.section	.text._ZN7rocprim17ROCPRIM_400000_NS6detail17trampoline_kernelINS0_14default_configENS1_38merge_sort_block_merge_config_selectorIjNS0_10empty_typeEEEZZNS1_27merge_sort_block_merge_implIS3_N6thrust23THRUST_200600_302600_NS6detail15normal_iteratorINS9_10device_ptrIjEEEEPS5_jNS1_19radix_merge_compareILb0ELb1EjNS0_19identity_decomposerEEEEE10hipError_tT0_T1_T2_jT3_P12ihipStream_tbPNSt15iterator_traitsISK_E10value_typeEPNSQ_ISL_E10value_typeEPSM_NS1_7vsmem_tEENKUlT_SK_SL_SM_E_clIPjSE_SF_SF_EESJ_SZ_SK_SL_SM_EUlSZ_E_NS1_11comp_targetILNS1_3genE0ELNS1_11target_archE4294967295ELNS1_3gpuE0ELNS1_3repE0EEENS1_48merge_mergepath_partition_config_static_selectorELNS0_4arch9wavefront6targetE1EEEvSL_,"axG",@progbits,_ZN7rocprim17ROCPRIM_400000_NS6detail17trampoline_kernelINS0_14default_configENS1_38merge_sort_block_merge_config_selectorIjNS0_10empty_typeEEEZZNS1_27merge_sort_block_merge_implIS3_N6thrust23THRUST_200600_302600_NS6detail15normal_iteratorINS9_10device_ptrIjEEEEPS5_jNS1_19radix_merge_compareILb0ELb1EjNS0_19identity_decomposerEEEEE10hipError_tT0_T1_T2_jT3_P12ihipStream_tbPNSt15iterator_traitsISK_E10value_typeEPNSQ_ISL_E10value_typeEPSM_NS1_7vsmem_tEENKUlT_SK_SL_SM_E_clIPjSE_SF_SF_EESJ_SZ_SK_SL_SM_EUlSZ_E_NS1_11comp_targetILNS1_3genE0ELNS1_11target_archE4294967295ELNS1_3gpuE0ELNS1_3repE0EEENS1_48merge_mergepath_partition_config_static_selectorELNS0_4arch9wavefront6targetE1EEEvSL_,comdat
.Lfunc_end1026:
	.size	_ZN7rocprim17ROCPRIM_400000_NS6detail17trampoline_kernelINS0_14default_configENS1_38merge_sort_block_merge_config_selectorIjNS0_10empty_typeEEEZZNS1_27merge_sort_block_merge_implIS3_N6thrust23THRUST_200600_302600_NS6detail15normal_iteratorINS9_10device_ptrIjEEEEPS5_jNS1_19radix_merge_compareILb0ELb1EjNS0_19identity_decomposerEEEEE10hipError_tT0_T1_T2_jT3_P12ihipStream_tbPNSt15iterator_traitsISK_E10value_typeEPNSQ_ISL_E10value_typeEPSM_NS1_7vsmem_tEENKUlT_SK_SL_SM_E_clIPjSE_SF_SF_EESJ_SZ_SK_SL_SM_EUlSZ_E_NS1_11comp_targetILNS1_3genE0ELNS1_11target_archE4294967295ELNS1_3gpuE0ELNS1_3repE0EEENS1_48merge_mergepath_partition_config_static_selectorELNS0_4arch9wavefront6targetE1EEEvSL_, .Lfunc_end1026-_ZN7rocprim17ROCPRIM_400000_NS6detail17trampoline_kernelINS0_14default_configENS1_38merge_sort_block_merge_config_selectorIjNS0_10empty_typeEEEZZNS1_27merge_sort_block_merge_implIS3_N6thrust23THRUST_200600_302600_NS6detail15normal_iteratorINS9_10device_ptrIjEEEEPS5_jNS1_19radix_merge_compareILb0ELb1EjNS0_19identity_decomposerEEEEE10hipError_tT0_T1_T2_jT3_P12ihipStream_tbPNSt15iterator_traitsISK_E10value_typeEPNSQ_ISL_E10value_typeEPSM_NS1_7vsmem_tEENKUlT_SK_SL_SM_E_clIPjSE_SF_SF_EESJ_SZ_SK_SL_SM_EUlSZ_E_NS1_11comp_targetILNS1_3genE0ELNS1_11target_archE4294967295ELNS1_3gpuE0ELNS1_3repE0EEENS1_48merge_mergepath_partition_config_static_selectorELNS0_4arch9wavefront6targetE1EEEvSL_
                                        ; -- End function
	.section	.AMDGPU.csdata,"",@progbits
; Kernel info:
; codeLenInByte = 0
; NumSgprs: 4
; NumVgprs: 0
; NumAgprs: 0
; TotalNumVgprs: 0
; ScratchSize: 0
; MemoryBound: 0
; FloatMode: 240
; IeeeMode: 1
; LDSByteSize: 0 bytes/workgroup (compile time only)
; SGPRBlocks: 0
; VGPRBlocks: 0
; NumSGPRsForWavesPerEU: 4
; NumVGPRsForWavesPerEU: 1
; AccumOffset: 4
; Occupancy: 8
; WaveLimiterHint : 0
; COMPUTE_PGM_RSRC2:SCRATCH_EN: 0
; COMPUTE_PGM_RSRC2:USER_SGPR: 6
; COMPUTE_PGM_RSRC2:TRAP_HANDLER: 0
; COMPUTE_PGM_RSRC2:TGID_X_EN: 1
; COMPUTE_PGM_RSRC2:TGID_Y_EN: 0
; COMPUTE_PGM_RSRC2:TGID_Z_EN: 0
; COMPUTE_PGM_RSRC2:TIDIG_COMP_CNT: 0
; COMPUTE_PGM_RSRC3_GFX90A:ACCUM_OFFSET: 0
; COMPUTE_PGM_RSRC3_GFX90A:TG_SPLIT: 0
	.section	.text._ZN7rocprim17ROCPRIM_400000_NS6detail17trampoline_kernelINS0_14default_configENS1_38merge_sort_block_merge_config_selectorIjNS0_10empty_typeEEEZZNS1_27merge_sort_block_merge_implIS3_N6thrust23THRUST_200600_302600_NS6detail15normal_iteratorINS9_10device_ptrIjEEEEPS5_jNS1_19radix_merge_compareILb0ELb1EjNS0_19identity_decomposerEEEEE10hipError_tT0_T1_T2_jT3_P12ihipStream_tbPNSt15iterator_traitsISK_E10value_typeEPNSQ_ISL_E10value_typeEPSM_NS1_7vsmem_tEENKUlT_SK_SL_SM_E_clIPjSE_SF_SF_EESJ_SZ_SK_SL_SM_EUlSZ_E_NS1_11comp_targetILNS1_3genE10ELNS1_11target_archE1201ELNS1_3gpuE5ELNS1_3repE0EEENS1_48merge_mergepath_partition_config_static_selectorELNS0_4arch9wavefront6targetE1EEEvSL_,"axG",@progbits,_ZN7rocprim17ROCPRIM_400000_NS6detail17trampoline_kernelINS0_14default_configENS1_38merge_sort_block_merge_config_selectorIjNS0_10empty_typeEEEZZNS1_27merge_sort_block_merge_implIS3_N6thrust23THRUST_200600_302600_NS6detail15normal_iteratorINS9_10device_ptrIjEEEEPS5_jNS1_19radix_merge_compareILb0ELb1EjNS0_19identity_decomposerEEEEE10hipError_tT0_T1_T2_jT3_P12ihipStream_tbPNSt15iterator_traitsISK_E10value_typeEPNSQ_ISL_E10value_typeEPSM_NS1_7vsmem_tEENKUlT_SK_SL_SM_E_clIPjSE_SF_SF_EESJ_SZ_SK_SL_SM_EUlSZ_E_NS1_11comp_targetILNS1_3genE10ELNS1_11target_archE1201ELNS1_3gpuE5ELNS1_3repE0EEENS1_48merge_mergepath_partition_config_static_selectorELNS0_4arch9wavefront6targetE1EEEvSL_,comdat
	.protected	_ZN7rocprim17ROCPRIM_400000_NS6detail17trampoline_kernelINS0_14default_configENS1_38merge_sort_block_merge_config_selectorIjNS0_10empty_typeEEEZZNS1_27merge_sort_block_merge_implIS3_N6thrust23THRUST_200600_302600_NS6detail15normal_iteratorINS9_10device_ptrIjEEEEPS5_jNS1_19radix_merge_compareILb0ELb1EjNS0_19identity_decomposerEEEEE10hipError_tT0_T1_T2_jT3_P12ihipStream_tbPNSt15iterator_traitsISK_E10value_typeEPNSQ_ISL_E10value_typeEPSM_NS1_7vsmem_tEENKUlT_SK_SL_SM_E_clIPjSE_SF_SF_EESJ_SZ_SK_SL_SM_EUlSZ_E_NS1_11comp_targetILNS1_3genE10ELNS1_11target_archE1201ELNS1_3gpuE5ELNS1_3repE0EEENS1_48merge_mergepath_partition_config_static_selectorELNS0_4arch9wavefront6targetE1EEEvSL_ ; -- Begin function _ZN7rocprim17ROCPRIM_400000_NS6detail17trampoline_kernelINS0_14default_configENS1_38merge_sort_block_merge_config_selectorIjNS0_10empty_typeEEEZZNS1_27merge_sort_block_merge_implIS3_N6thrust23THRUST_200600_302600_NS6detail15normal_iteratorINS9_10device_ptrIjEEEEPS5_jNS1_19radix_merge_compareILb0ELb1EjNS0_19identity_decomposerEEEEE10hipError_tT0_T1_T2_jT3_P12ihipStream_tbPNSt15iterator_traitsISK_E10value_typeEPNSQ_ISL_E10value_typeEPSM_NS1_7vsmem_tEENKUlT_SK_SL_SM_E_clIPjSE_SF_SF_EESJ_SZ_SK_SL_SM_EUlSZ_E_NS1_11comp_targetILNS1_3genE10ELNS1_11target_archE1201ELNS1_3gpuE5ELNS1_3repE0EEENS1_48merge_mergepath_partition_config_static_selectorELNS0_4arch9wavefront6targetE1EEEvSL_
	.globl	_ZN7rocprim17ROCPRIM_400000_NS6detail17trampoline_kernelINS0_14default_configENS1_38merge_sort_block_merge_config_selectorIjNS0_10empty_typeEEEZZNS1_27merge_sort_block_merge_implIS3_N6thrust23THRUST_200600_302600_NS6detail15normal_iteratorINS9_10device_ptrIjEEEEPS5_jNS1_19radix_merge_compareILb0ELb1EjNS0_19identity_decomposerEEEEE10hipError_tT0_T1_T2_jT3_P12ihipStream_tbPNSt15iterator_traitsISK_E10value_typeEPNSQ_ISL_E10value_typeEPSM_NS1_7vsmem_tEENKUlT_SK_SL_SM_E_clIPjSE_SF_SF_EESJ_SZ_SK_SL_SM_EUlSZ_E_NS1_11comp_targetILNS1_3genE10ELNS1_11target_archE1201ELNS1_3gpuE5ELNS1_3repE0EEENS1_48merge_mergepath_partition_config_static_selectorELNS0_4arch9wavefront6targetE1EEEvSL_
	.p2align	8
	.type	_ZN7rocprim17ROCPRIM_400000_NS6detail17trampoline_kernelINS0_14default_configENS1_38merge_sort_block_merge_config_selectorIjNS0_10empty_typeEEEZZNS1_27merge_sort_block_merge_implIS3_N6thrust23THRUST_200600_302600_NS6detail15normal_iteratorINS9_10device_ptrIjEEEEPS5_jNS1_19radix_merge_compareILb0ELb1EjNS0_19identity_decomposerEEEEE10hipError_tT0_T1_T2_jT3_P12ihipStream_tbPNSt15iterator_traitsISK_E10value_typeEPNSQ_ISL_E10value_typeEPSM_NS1_7vsmem_tEENKUlT_SK_SL_SM_E_clIPjSE_SF_SF_EESJ_SZ_SK_SL_SM_EUlSZ_E_NS1_11comp_targetILNS1_3genE10ELNS1_11target_archE1201ELNS1_3gpuE5ELNS1_3repE0EEENS1_48merge_mergepath_partition_config_static_selectorELNS0_4arch9wavefront6targetE1EEEvSL_,@function
_ZN7rocprim17ROCPRIM_400000_NS6detail17trampoline_kernelINS0_14default_configENS1_38merge_sort_block_merge_config_selectorIjNS0_10empty_typeEEEZZNS1_27merge_sort_block_merge_implIS3_N6thrust23THRUST_200600_302600_NS6detail15normal_iteratorINS9_10device_ptrIjEEEEPS5_jNS1_19radix_merge_compareILb0ELb1EjNS0_19identity_decomposerEEEEE10hipError_tT0_T1_T2_jT3_P12ihipStream_tbPNSt15iterator_traitsISK_E10value_typeEPNSQ_ISL_E10value_typeEPSM_NS1_7vsmem_tEENKUlT_SK_SL_SM_E_clIPjSE_SF_SF_EESJ_SZ_SK_SL_SM_EUlSZ_E_NS1_11comp_targetILNS1_3genE10ELNS1_11target_archE1201ELNS1_3gpuE5ELNS1_3repE0EEENS1_48merge_mergepath_partition_config_static_selectorELNS0_4arch9wavefront6targetE1EEEvSL_: ; @_ZN7rocprim17ROCPRIM_400000_NS6detail17trampoline_kernelINS0_14default_configENS1_38merge_sort_block_merge_config_selectorIjNS0_10empty_typeEEEZZNS1_27merge_sort_block_merge_implIS3_N6thrust23THRUST_200600_302600_NS6detail15normal_iteratorINS9_10device_ptrIjEEEEPS5_jNS1_19radix_merge_compareILb0ELb1EjNS0_19identity_decomposerEEEEE10hipError_tT0_T1_T2_jT3_P12ihipStream_tbPNSt15iterator_traitsISK_E10value_typeEPNSQ_ISL_E10value_typeEPSM_NS1_7vsmem_tEENKUlT_SK_SL_SM_E_clIPjSE_SF_SF_EESJ_SZ_SK_SL_SM_EUlSZ_E_NS1_11comp_targetILNS1_3genE10ELNS1_11target_archE1201ELNS1_3gpuE5ELNS1_3repE0EEENS1_48merge_mergepath_partition_config_static_selectorELNS0_4arch9wavefront6targetE1EEEvSL_
; %bb.0:
	.section	.rodata,"a",@progbits
	.p2align	6, 0x0
	.amdhsa_kernel _ZN7rocprim17ROCPRIM_400000_NS6detail17trampoline_kernelINS0_14default_configENS1_38merge_sort_block_merge_config_selectorIjNS0_10empty_typeEEEZZNS1_27merge_sort_block_merge_implIS3_N6thrust23THRUST_200600_302600_NS6detail15normal_iteratorINS9_10device_ptrIjEEEEPS5_jNS1_19radix_merge_compareILb0ELb1EjNS0_19identity_decomposerEEEEE10hipError_tT0_T1_T2_jT3_P12ihipStream_tbPNSt15iterator_traitsISK_E10value_typeEPNSQ_ISL_E10value_typeEPSM_NS1_7vsmem_tEENKUlT_SK_SL_SM_E_clIPjSE_SF_SF_EESJ_SZ_SK_SL_SM_EUlSZ_E_NS1_11comp_targetILNS1_3genE10ELNS1_11target_archE1201ELNS1_3gpuE5ELNS1_3repE0EEENS1_48merge_mergepath_partition_config_static_selectorELNS0_4arch9wavefront6targetE1EEEvSL_
		.amdhsa_group_segment_fixed_size 0
		.amdhsa_private_segment_fixed_size 0
		.amdhsa_kernarg_size 40
		.amdhsa_user_sgpr_count 6
		.amdhsa_user_sgpr_private_segment_buffer 1
		.amdhsa_user_sgpr_dispatch_ptr 0
		.amdhsa_user_sgpr_queue_ptr 0
		.amdhsa_user_sgpr_kernarg_segment_ptr 1
		.amdhsa_user_sgpr_dispatch_id 0
		.amdhsa_user_sgpr_flat_scratch_init 0
		.amdhsa_user_sgpr_kernarg_preload_length 0
		.amdhsa_user_sgpr_kernarg_preload_offset 0
		.amdhsa_user_sgpr_private_segment_size 0
		.amdhsa_uses_dynamic_stack 0
		.amdhsa_system_sgpr_private_segment_wavefront_offset 0
		.amdhsa_system_sgpr_workgroup_id_x 1
		.amdhsa_system_sgpr_workgroup_id_y 0
		.amdhsa_system_sgpr_workgroup_id_z 0
		.amdhsa_system_sgpr_workgroup_info 0
		.amdhsa_system_vgpr_workitem_id 0
		.amdhsa_next_free_vgpr 1
		.amdhsa_next_free_sgpr 0
		.amdhsa_accum_offset 4
		.amdhsa_reserve_vcc 0
		.amdhsa_reserve_flat_scratch 0
		.amdhsa_float_round_mode_32 0
		.amdhsa_float_round_mode_16_64 0
		.amdhsa_float_denorm_mode_32 3
		.amdhsa_float_denorm_mode_16_64 3
		.amdhsa_dx10_clamp 1
		.amdhsa_ieee_mode 1
		.amdhsa_fp16_overflow 0
		.amdhsa_tg_split 0
		.amdhsa_exception_fp_ieee_invalid_op 0
		.amdhsa_exception_fp_denorm_src 0
		.amdhsa_exception_fp_ieee_div_zero 0
		.amdhsa_exception_fp_ieee_overflow 0
		.amdhsa_exception_fp_ieee_underflow 0
		.amdhsa_exception_fp_ieee_inexact 0
		.amdhsa_exception_int_div_zero 0
	.end_amdhsa_kernel
	.section	.text._ZN7rocprim17ROCPRIM_400000_NS6detail17trampoline_kernelINS0_14default_configENS1_38merge_sort_block_merge_config_selectorIjNS0_10empty_typeEEEZZNS1_27merge_sort_block_merge_implIS3_N6thrust23THRUST_200600_302600_NS6detail15normal_iteratorINS9_10device_ptrIjEEEEPS5_jNS1_19radix_merge_compareILb0ELb1EjNS0_19identity_decomposerEEEEE10hipError_tT0_T1_T2_jT3_P12ihipStream_tbPNSt15iterator_traitsISK_E10value_typeEPNSQ_ISL_E10value_typeEPSM_NS1_7vsmem_tEENKUlT_SK_SL_SM_E_clIPjSE_SF_SF_EESJ_SZ_SK_SL_SM_EUlSZ_E_NS1_11comp_targetILNS1_3genE10ELNS1_11target_archE1201ELNS1_3gpuE5ELNS1_3repE0EEENS1_48merge_mergepath_partition_config_static_selectorELNS0_4arch9wavefront6targetE1EEEvSL_,"axG",@progbits,_ZN7rocprim17ROCPRIM_400000_NS6detail17trampoline_kernelINS0_14default_configENS1_38merge_sort_block_merge_config_selectorIjNS0_10empty_typeEEEZZNS1_27merge_sort_block_merge_implIS3_N6thrust23THRUST_200600_302600_NS6detail15normal_iteratorINS9_10device_ptrIjEEEEPS5_jNS1_19radix_merge_compareILb0ELb1EjNS0_19identity_decomposerEEEEE10hipError_tT0_T1_T2_jT3_P12ihipStream_tbPNSt15iterator_traitsISK_E10value_typeEPNSQ_ISL_E10value_typeEPSM_NS1_7vsmem_tEENKUlT_SK_SL_SM_E_clIPjSE_SF_SF_EESJ_SZ_SK_SL_SM_EUlSZ_E_NS1_11comp_targetILNS1_3genE10ELNS1_11target_archE1201ELNS1_3gpuE5ELNS1_3repE0EEENS1_48merge_mergepath_partition_config_static_selectorELNS0_4arch9wavefront6targetE1EEEvSL_,comdat
.Lfunc_end1027:
	.size	_ZN7rocprim17ROCPRIM_400000_NS6detail17trampoline_kernelINS0_14default_configENS1_38merge_sort_block_merge_config_selectorIjNS0_10empty_typeEEEZZNS1_27merge_sort_block_merge_implIS3_N6thrust23THRUST_200600_302600_NS6detail15normal_iteratorINS9_10device_ptrIjEEEEPS5_jNS1_19radix_merge_compareILb0ELb1EjNS0_19identity_decomposerEEEEE10hipError_tT0_T1_T2_jT3_P12ihipStream_tbPNSt15iterator_traitsISK_E10value_typeEPNSQ_ISL_E10value_typeEPSM_NS1_7vsmem_tEENKUlT_SK_SL_SM_E_clIPjSE_SF_SF_EESJ_SZ_SK_SL_SM_EUlSZ_E_NS1_11comp_targetILNS1_3genE10ELNS1_11target_archE1201ELNS1_3gpuE5ELNS1_3repE0EEENS1_48merge_mergepath_partition_config_static_selectorELNS0_4arch9wavefront6targetE1EEEvSL_, .Lfunc_end1027-_ZN7rocprim17ROCPRIM_400000_NS6detail17trampoline_kernelINS0_14default_configENS1_38merge_sort_block_merge_config_selectorIjNS0_10empty_typeEEEZZNS1_27merge_sort_block_merge_implIS3_N6thrust23THRUST_200600_302600_NS6detail15normal_iteratorINS9_10device_ptrIjEEEEPS5_jNS1_19radix_merge_compareILb0ELb1EjNS0_19identity_decomposerEEEEE10hipError_tT0_T1_T2_jT3_P12ihipStream_tbPNSt15iterator_traitsISK_E10value_typeEPNSQ_ISL_E10value_typeEPSM_NS1_7vsmem_tEENKUlT_SK_SL_SM_E_clIPjSE_SF_SF_EESJ_SZ_SK_SL_SM_EUlSZ_E_NS1_11comp_targetILNS1_3genE10ELNS1_11target_archE1201ELNS1_3gpuE5ELNS1_3repE0EEENS1_48merge_mergepath_partition_config_static_selectorELNS0_4arch9wavefront6targetE1EEEvSL_
                                        ; -- End function
	.section	.AMDGPU.csdata,"",@progbits
; Kernel info:
; codeLenInByte = 0
; NumSgprs: 4
; NumVgprs: 0
; NumAgprs: 0
; TotalNumVgprs: 0
; ScratchSize: 0
; MemoryBound: 0
; FloatMode: 240
; IeeeMode: 1
; LDSByteSize: 0 bytes/workgroup (compile time only)
; SGPRBlocks: 0
; VGPRBlocks: 0
; NumSGPRsForWavesPerEU: 4
; NumVGPRsForWavesPerEU: 1
; AccumOffset: 4
; Occupancy: 8
; WaveLimiterHint : 0
; COMPUTE_PGM_RSRC2:SCRATCH_EN: 0
; COMPUTE_PGM_RSRC2:USER_SGPR: 6
; COMPUTE_PGM_RSRC2:TRAP_HANDLER: 0
; COMPUTE_PGM_RSRC2:TGID_X_EN: 1
; COMPUTE_PGM_RSRC2:TGID_Y_EN: 0
; COMPUTE_PGM_RSRC2:TGID_Z_EN: 0
; COMPUTE_PGM_RSRC2:TIDIG_COMP_CNT: 0
; COMPUTE_PGM_RSRC3_GFX90A:ACCUM_OFFSET: 0
; COMPUTE_PGM_RSRC3_GFX90A:TG_SPLIT: 0
	.section	.text._ZN7rocprim17ROCPRIM_400000_NS6detail17trampoline_kernelINS0_14default_configENS1_38merge_sort_block_merge_config_selectorIjNS0_10empty_typeEEEZZNS1_27merge_sort_block_merge_implIS3_N6thrust23THRUST_200600_302600_NS6detail15normal_iteratorINS9_10device_ptrIjEEEEPS5_jNS1_19radix_merge_compareILb0ELb1EjNS0_19identity_decomposerEEEEE10hipError_tT0_T1_T2_jT3_P12ihipStream_tbPNSt15iterator_traitsISK_E10value_typeEPNSQ_ISL_E10value_typeEPSM_NS1_7vsmem_tEENKUlT_SK_SL_SM_E_clIPjSE_SF_SF_EESJ_SZ_SK_SL_SM_EUlSZ_E_NS1_11comp_targetILNS1_3genE5ELNS1_11target_archE942ELNS1_3gpuE9ELNS1_3repE0EEENS1_48merge_mergepath_partition_config_static_selectorELNS0_4arch9wavefront6targetE1EEEvSL_,"axG",@progbits,_ZN7rocprim17ROCPRIM_400000_NS6detail17trampoline_kernelINS0_14default_configENS1_38merge_sort_block_merge_config_selectorIjNS0_10empty_typeEEEZZNS1_27merge_sort_block_merge_implIS3_N6thrust23THRUST_200600_302600_NS6detail15normal_iteratorINS9_10device_ptrIjEEEEPS5_jNS1_19radix_merge_compareILb0ELb1EjNS0_19identity_decomposerEEEEE10hipError_tT0_T1_T2_jT3_P12ihipStream_tbPNSt15iterator_traitsISK_E10value_typeEPNSQ_ISL_E10value_typeEPSM_NS1_7vsmem_tEENKUlT_SK_SL_SM_E_clIPjSE_SF_SF_EESJ_SZ_SK_SL_SM_EUlSZ_E_NS1_11comp_targetILNS1_3genE5ELNS1_11target_archE942ELNS1_3gpuE9ELNS1_3repE0EEENS1_48merge_mergepath_partition_config_static_selectorELNS0_4arch9wavefront6targetE1EEEvSL_,comdat
	.protected	_ZN7rocprim17ROCPRIM_400000_NS6detail17trampoline_kernelINS0_14default_configENS1_38merge_sort_block_merge_config_selectorIjNS0_10empty_typeEEEZZNS1_27merge_sort_block_merge_implIS3_N6thrust23THRUST_200600_302600_NS6detail15normal_iteratorINS9_10device_ptrIjEEEEPS5_jNS1_19radix_merge_compareILb0ELb1EjNS0_19identity_decomposerEEEEE10hipError_tT0_T1_T2_jT3_P12ihipStream_tbPNSt15iterator_traitsISK_E10value_typeEPNSQ_ISL_E10value_typeEPSM_NS1_7vsmem_tEENKUlT_SK_SL_SM_E_clIPjSE_SF_SF_EESJ_SZ_SK_SL_SM_EUlSZ_E_NS1_11comp_targetILNS1_3genE5ELNS1_11target_archE942ELNS1_3gpuE9ELNS1_3repE0EEENS1_48merge_mergepath_partition_config_static_selectorELNS0_4arch9wavefront6targetE1EEEvSL_ ; -- Begin function _ZN7rocprim17ROCPRIM_400000_NS6detail17trampoline_kernelINS0_14default_configENS1_38merge_sort_block_merge_config_selectorIjNS0_10empty_typeEEEZZNS1_27merge_sort_block_merge_implIS3_N6thrust23THRUST_200600_302600_NS6detail15normal_iteratorINS9_10device_ptrIjEEEEPS5_jNS1_19radix_merge_compareILb0ELb1EjNS0_19identity_decomposerEEEEE10hipError_tT0_T1_T2_jT3_P12ihipStream_tbPNSt15iterator_traitsISK_E10value_typeEPNSQ_ISL_E10value_typeEPSM_NS1_7vsmem_tEENKUlT_SK_SL_SM_E_clIPjSE_SF_SF_EESJ_SZ_SK_SL_SM_EUlSZ_E_NS1_11comp_targetILNS1_3genE5ELNS1_11target_archE942ELNS1_3gpuE9ELNS1_3repE0EEENS1_48merge_mergepath_partition_config_static_selectorELNS0_4arch9wavefront6targetE1EEEvSL_
	.globl	_ZN7rocprim17ROCPRIM_400000_NS6detail17trampoline_kernelINS0_14default_configENS1_38merge_sort_block_merge_config_selectorIjNS0_10empty_typeEEEZZNS1_27merge_sort_block_merge_implIS3_N6thrust23THRUST_200600_302600_NS6detail15normal_iteratorINS9_10device_ptrIjEEEEPS5_jNS1_19radix_merge_compareILb0ELb1EjNS0_19identity_decomposerEEEEE10hipError_tT0_T1_T2_jT3_P12ihipStream_tbPNSt15iterator_traitsISK_E10value_typeEPNSQ_ISL_E10value_typeEPSM_NS1_7vsmem_tEENKUlT_SK_SL_SM_E_clIPjSE_SF_SF_EESJ_SZ_SK_SL_SM_EUlSZ_E_NS1_11comp_targetILNS1_3genE5ELNS1_11target_archE942ELNS1_3gpuE9ELNS1_3repE0EEENS1_48merge_mergepath_partition_config_static_selectorELNS0_4arch9wavefront6targetE1EEEvSL_
	.p2align	8
	.type	_ZN7rocprim17ROCPRIM_400000_NS6detail17trampoline_kernelINS0_14default_configENS1_38merge_sort_block_merge_config_selectorIjNS0_10empty_typeEEEZZNS1_27merge_sort_block_merge_implIS3_N6thrust23THRUST_200600_302600_NS6detail15normal_iteratorINS9_10device_ptrIjEEEEPS5_jNS1_19radix_merge_compareILb0ELb1EjNS0_19identity_decomposerEEEEE10hipError_tT0_T1_T2_jT3_P12ihipStream_tbPNSt15iterator_traitsISK_E10value_typeEPNSQ_ISL_E10value_typeEPSM_NS1_7vsmem_tEENKUlT_SK_SL_SM_E_clIPjSE_SF_SF_EESJ_SZ_SK_SL_SM_EUlSZ_E_NS1_11comp_targetILNS1_3genE5ELNS1_11target_archE942ELNS1_3gpuE9ELNS1_3repE0EEENS1_48merge_mergepath_partition_config_static_selectorELNS0_4arch9wavefront6targetE1EEEvSL_,@function
_ZN7rocprim17ROCPRIM_400000_NS6detail17trampoline_kernelINS0_14default_configENS1_38merge_sort_block_merge_config_selectorIjNS0_10empty_typeEEEZZNS1_27merge_sort_block_merge_implIS3_N6thrust23THRUST_200600_302600_NS6detail15normal_iteratorINS9_10device_ptrIjEEEEPS5_jNS1_19radix_merge_compareILb0ELb1EjNS0_19identity_decomposerEEEEE10hipError_tT0_T1_T2_jT3_P12ihipStream_tbPNSt15iterator_traitsISK_E10value_typeEPNSQ_ISL_E10value_typeEPSM_NS1_7vsmem_tEENKUlT_SK_SL_SM_E_clIPjSE_SF_SF_EESJ_SZ_SK_SL_SM_EUlSZ_E_NS1_11comp_targetILNS1_3genE5ELNS1_11target_archE942ELNS1_3gpuE9ELNS1_3repE0EEENS1_48merge_mergepath_partition_config_static_selectorELNS0_4arch9wavefront6targetE1EEEvSL_: ; @_ZN7rocprim17ROCPRIM_400000_NS6detail17trampoline_kernelINS0_14default_configENS1_38merge_sort_block_merge_config_selectorIjNS0_10empty_typeEEEZZNS1_27merge_sort_block_merge_implIS3_N6thrust23THRUST_200600_302600_NS6detail15normal_iteratorINS9_10device_ptrIjEEEEPS5_jNS1_19radix_merge_compareILb0ELb1EjNS0_19identity_decomposerEEEEE10hipError_tT0_T1_T2_jT3_P12ihipStream_tbPNSt15iterator_traitsISK_E10value_typeEPNSQ_ISL_E10value_typeEPSM_NS1_7vsmem_tEENKUlT_SK_SL_SM_E_clIPjSE_SF_SF_EESJ_SZ_SK_SL_SM_EUlSZ_E_NS1_11comp_targetILNS1_3genE5ELNS1_11target_archE942ELNS1_3gpuE9ELNS1_3repE0EEENS1_48merge_mergepath_partition_config_static_selectorELNS0_4arch9wavefront6targetE1EEEvSL_
; %bb.0:
	.section	.rodata,"a",@progbits
	.p2align	6, 0x0
	.amdhsa_kernel _ZN7rocprim17ROCPRIM_400000_NS6detail17trampoline_kernelINS0_14default_configENS1_38merge_sort_block_merge_config_selectorIjNS0_10empty_typeEEEZZNS1_27merge_sort_block_merge_implIS3_N6thrust23THRUST_200600_302600_NS6detail15normal_iteratorINS9_10device_ptrIjEEEEPS5_jNS1_19radix_merge_compareILb0ELb1EjNS0_19identity_decomposerEEEEE10hipError_tT0_T1_T2_jT3_P12ihipStream_tbPNSt15iterator_traitsISK_E10value_typeEPNSQ_ISL_E10value_typeEPSM_NS1_7vsmem_tEENKUlT_SK_SL_SM_E_clIPjSE_SF_SF_EESJ_SZ_SK_SL_SM_EUlSZ_E_NS1_11comp_targetILNS1_3genE5ELNS1_11target_archE942ELNS1_3gpuE9ELNS1_3repE0EEENS1_48merge_mergepath_partition_config_static_selectorELNS0_4arch9wavefront6targetE1EEEvSL_
		.amdhsa_group_segment_fixed_size 0
		.amdhsa_private_segment_fixed_size 0
		.amdhsa_kernarg_size 40
		.amdhsa_user_sgpr_count 6
		.amdhsa_user_sgpr_private_segment_buffer 1
		.amdhsa_user_sgpr_dispatch_ptr 0
		.amdhsa_user_sgpr_queue_ptr 0
		.amdhsa_user_sgpr_kernarg_segment_ptr 1
		.amdhsa_user_sgpr_dispatch_id 0
		.amdhsa_user_sgpr_flat_scratch_init 0
		.amdhsa_user_sgpr_kernarg_preload_length 0
		.amdhsa_user_sgpr_kernarg_preload_offset 0
		.amdhsa_user_sgpr_private_segment_size 0
		.amdhsa_uses_dynamic_stack 0
		.amdhsa_system_sgpr_private_segment_wavefront_offset 0
		.amdhsa_system_sgpr_workgroup_id_x 1
		.amdhsa_system_sgpr_workgroup_id_y 0
		.amdhsa_system_sgpr_workgroup_id_z 0
		.amdhsa_system_sgpr_workgroup_info 0
		.amdhsa_system_vgpr_workitem_id 0
		.amdhsa_next_free_vgpr 1
		.amdhsa_next_free_sgpr 0
		.amdhsa_accum_offset 4
		.amdhsa_reserve_vcc 0
		.amdhsa_reserve_flat_scratch 0
		.amdhsa_float_round_mode_32 0
		.amdhsa_float_round_mode_16_64 0
		.amdhsa_float_denorm_mode_32 3
		.amdhsa_float_denorm_mode_16_64 3
		.amdhsa_dx10_clamp 1
		.amdhsa_ieee_mode 1
		.amdhsa_fp16_overflow 0
		.amdhsa_tg_split 0
		.amdhsa_exception_fp_ieee_invalid_op 0
		.amdhsa_exception_fp_denorm_src 0
		.amdhsa_exception_fp_ieee_div_zero 0
		.amdhsa_exception_fp_ieee_overflow 0
		.amdhsa_exception_fp_ieee_underflow 0
		.amdhsa_exception_fp_ieee_inexact 0
		.amdhsa_exception_int_div_zero 0
	.end_amdhsa_kernel
	.section	.text._ZN7rocprim17ROCPRIM_400000_NS6detail17trampoline_kernelINS0_14default_configENS1_38merge_sort_block_merge_config_selectorIjNS0_10empty_typeEEEZZNS1_27merge_sort_block_merge_implIS3_N6thrust23THRUST_200600_302600_NS6detail15normal_iteratorINS9_10device_ptrIjEEEEPS5_jNS1_19radix_merge_compareILb0ELb1EjNS0_19identity_decomposerEEEEE10hipError_tT0_T1_T2_jT3_P12ihipStream_tbPNSt15iterator_traitsISK_E10value_typeEPNSQ_ISL_E10value_typeEPSM_NS1_7vsmem_tEENKUlT_SK_SL_SM_E_clIPjSE_SF_SF_EESJ_SZ_SK_SL_SM_EUlSZ_E_NS1_11comp_targetILNS1_3genE5ELNS1_11target_archE942ELNS1_3gpuE9ELNS1_3repE0EEENS1_48merge_mergepath_partition_config_static_selectorELNS0_4arch9wavefront6targetE1EEEvSL_,"axG",@progbits,_ZN7rocprim17ROCPRIM_400000_NS6detail17trampoline_kernelINS0_14default_configENS1_38merge_sort_block_merge_config_selectorIjNS0_10empty_typeEEEZZNS1_27merge_sort_block_merge_implIS3_N6thrust23THRUST_200600_302600_NS6detail15normal_iteratorINS9_10device_ptrIjEEEEPS5_jNS1_19radix_merge_compareILb0ELb1EjNS0_19identity_decomposerEEEEE10hipError_tT0_T1_T2_jT3_P12ihipStream_tbPNSt15iterator_traitsISK_E10value_typeEPNSQ_ISL_E10value_typeEPSM_NS1_7vsmem_tEENKUlT_SK_SL_SM_E_clIPjSE_SF_SF_EESJ_SZ_SK_SL_SM_EUlSZ_E_NS1_11comp_targetILNS1_3genE5ELNS1_11target_archE942ELNS1_3gpuE9ELNS1_3repE0EEENS1_48merge_mergepath_partition_config_static_selectorELNS0_4arch9wavefront6targetE1EEEvSL_,comdat
.Lfunc_end1028:
	.size	_ZN7rocprim17ROCPRIM_400000_NS6detail17trampoline_kernelINS0_14default_configENS1_38merge_sort_block_merge_config_selectorIjNS0_10empty_typeEEEZZNS1_27merge_sort_block_merge_implIS3_N6thrust23THRUST_200600_302600_NS6detail15normal_iteratorINS9_10device_ptrIjEEEEPS5_jNS1_19radix_merge_compareILb0ELb1EjNS0_19identity_decomposerEEEEE10hipError_tT0_T1_T2_jT3_P12ihipStream_tbPNSt15iterator_traitsISK_E10value_typeEPNSQ_ISL_E10value_typeEPSM_NS1_7vsmem_tEENKUlT_SK_SL_SM_E_clIPjSE_SF_SF_EESJ_SZ_SK_SL_SM_EUlSZ_E_NS1_11comp_targetILNS1_3genE5ELNS1_11target_archE942ELNS1_3gpuE9ELNS1_3repE0EEENS1_48merge_mergepath_partition_config_static_selectorELNS0_4arch9wavefront6targetE1EEEvSL_, .Lfunc_end1028-_ZN7rocprim17ROCPRIM_400000_NS6detail17trampoline_kernelINS0_14default_configENS1_38merge_sort_block_merge_config_selectorIjNS0_10empty_typeEEEZZNS1_27merge_sort_block_merge_implIS3_N6thrust23THRUST_200600_302600_NS6detail15normal_iteratorINS9_10device_ptrIjEEEEPS5_jNS1_19radix_merge_compareILb0ELb1EjNS0_19identity_decomposerEEEEE10hipError_tT0_T1_T2_jT3_P12ihipStream_tbPNSt15iterator_traitsISK_E10value_typeEPNSQ_ISL_E10value_typeEPSM_NS1_7vsmem_tEENKUlT_SK_SL_SM_E_clIPjSE_SF_SF_EESJ_SZ_SK_SL_SM_EUlSZ_E_NS1_11comp_targetILNS1_3genE5ELNS1_11target_archE942ELNS1_3gpuE9ELNS1_3repE0EEENS1_48merge_mergepath_partition_config_static_selectorELNS0_4arch9wavefront6targetE1EEEvSL_
                                        ; -- End function
	.section	.AMDGPU.csdata,"",@progbits
; Kernel info:
; codeLenInByte = 0
; NumSgprs: 4
; NumVgprs: 0
; NumAgprs: 0
; TotalNumVgprs: 0
; ScratchSize: 0
; MemoryBound: 0
; FloatMode: 240
; IeeeMode: 1
; LDSByteSize: 0 bytes/workgroup (compile time only)
; SGPRBlocks: 0
; VGPRBlocks: 0
; NumSGPRsForWavesPerEU: 4
; NumVGPRsForWavesPerEU: 1
; AccumOffset: 4
; Occupancy: 8
; WaveLimiterHint : 0
; COMPUTE_PGM_RSRC2:SCRATCH_EN: 0
; COMPUTE_PGM_RSRC2:USER_SGPR: 6
; COMPUTE_PGM_RSRC2:TRAP_HANDLER: 0
; COMPUTE_PGM_RSRC2:TGID_X_EN: 1
; COMPUTE_PGM_RSRC2:TGID_Y_EN: 0
; COMPUTE_PGM_RSRC2:TGID_Z_EN: 0
; COMPUTE_PGM_RSRC2:TIDIG_COMP_CNT: 0
; COMPUTE_PGM_RSRC3_GFX90A:ACCUM_OFFSET: 0
; COMPUTE_PGM_RSRC3_GFX90A:TG_SPLIT: 0
	.section	.text._ZN7rocprim17ROCPRIM_400000_NS6detail17trampoline_kernelINS0_14default_configENS1_38merge_sort_block_merge_config_selectorIjNS0_10empty_typeEEEZZNS1_27merge_sort_block_merge_implIS3_N6thrust23THRUST_200600_302600_NS6detail15normal_iteratorINS9_10device_ptrIjEEEEPS5_jNS1_19radix_merge_compareILb0ELb1EjNS0_19identity_decomposerEEEEE10hipError_tT0_T1_T2_jT3_P12ihipStream_tbPNSt15iterator_traitsISK_E10value_typeEPNSQ_ISL_E10value_typeEPSM_NS1_7vsmem_tEENKUlT_SK_SL_SM_E_clIPjSE_SF_SF_EESJ_SZ_SK_SL_SM_EUlSZ_E_NS1_11comp_targetILNS1_3genE4ELNS1_11target_archE910ELNS1_3gpuE8ELNS1_3repE0EEENS1_48merge_mergepath_partition_config_static_selectorELNS0_4arch9wavefront6targetE1EEEvSL_,"axG",@progbits,_ZN7rocprim17ROCPRIM_400000_NS6detail17trampoline_kernelINS0_14default_configENS1_38merge_sort_block_merge_config_selectorIjNS0_10empty_typeEEEZZNS1_27merge_sort_block_merge_implIS3_N6thrust23THRUST_200600_302600_NS6detail15normal_iteratorINS9_10device_ptrIjEEEEPS5_jNS1_19radix_merge_compareILb0ELb1EjNS0_19identity_decomposerEEEEE10hipError_tT0_T1_T2_jT3_P12ihipStream_tbPNSt15iterator_traitsISK_E10value_typeEPNSQ_ISL_E10value_typeEPSM_NS1_7vsmem_tEENKUlT_SK_SL_SM_E_clIPjSE_SF_SF_EESJ_SZ_SK_SL_SM_EUlSZ_E_NS1_11comp_targetILNS1_3genE4ELNS1_11target_archE910ELNS1_3gpuE8ELNS1_3repE0EEENS1_48merge_mergepath_partition_config_static_selectorELNS0_4arch9wavefront6targetE1EEEvSL_,comdat
	.protected	_ZN7rocprim17ROCPRIM_400000_NS6detail17trampoline_kernelINS0_14default_configENS1_38merge_sort_block_merge_config_selectorIjNS0_10empty_typeEEEZZNS1_27merge_sort_block_merge_implIS3_N6thrust23THRUST_200600_302600_NS6detail15normal_iteratorINS9_10device_ptrIjEEEEPS5_jNS1_19radix_merge_compareILb0ELb1EjNS0_19identity_decomposerEEEEE10hipError_tT0_T1_T2_jT3_P12ihipStream_tbPNSt15iterator_traitsISK_E10value_typeEPNSQ_ISL_E10value_typeEPSM_NS1_7vsmem_tEENKUlT_SK_SL_SM_E_clIPjSE_SF_SF_EESJ_SZ_SK_SL_SM_EUlSZ_E_NS1_11comp_targetILNS1_3genE4ELNS1_11target_archE910ELNS1_3gpuE8ELNS1_3repE0EEENS1_48merge_mergepath_partition_config_static_selectorELNS0_4arch9wavefront6targetE1EEEvSL_ ; -- Begin function _ZN7rocprim17ROCPRIM_400000_NS6detail17trampoline_kernelINS0_14default_configENS1_38merge_sort_block_merge_config_selectorIjNS0_10empty_typeEEEZZNS1_27merge_sort_block_merge_implIS3_N6thrust23THRUST_200600_302600_NS6detail15normal_iteratorINS9_10device_ptrIjEEEEPS5_jNS1_19radix_merge_compareILb0ELb1EjNS0_19identity_decomposerEEEEE10hipError_tT0_T1_T2_jT3_P12ihipStream_tbPNSt15iterator_traitsISK_E10value_typeEPNSQ_ISL_E10value_typeEPSM_NS1_7vsmem_tEENKUlT_SK_SL_SM_E_clIPjSE_SF_SF_EESJ_SZ_SK_SL_SM_EUlSZ_E_NS1_11comp_targetILNS1_3genE4ELNS1_11target_archE910ELNS1_3gpuE8ELNS1_3repE0EEENS1_48merge_mergepath_partition_config_static_selectorELNS0_4arch9wavefront6targetE1EEEvSL_
	.globl	_ZN7rocprim17ROCPRIM_400000_NS6detail17trampoline_kernelINS0_14default_configENS1_38merge_sort_block_merge_config_selectorIjNS0_10empty_typeEEEZZNS1_27merge_sort_block_merge_implIS3_N6thrust23THRUST_200600_302600_NS6detail15normal_iteratorINS9_10device_ptrIjEEEEPS5_jNS1_19radix_merge_compareILb0ELb1EjNS0_19identity_decomposerEEEEE10hipError_tT0_T1_T2_jT3_P12ihipStream_tbPNSt15iterator_traitsISK_E10value_typeEPNSQ_ISL_E10value_typeEPSM_NS1_7vsmem_tEENKUlT_SK_SL_SM_E_clIPjSE_SF_SF_EESJ_SZ_SK_SL_SM_EUlSZ_E_NS1_11comp_targetILNS1_3genE4ELNS1_11target_archE910ELNS1_3gpuE8ELNS1_3repE0EEENS1_48merge_mergepath_partition_config_static_selectorELNS0_4arch9wavefront6targetE1EEEvSL_
	.p2align	8
	.type	_ZN7rocprim17ROCPRIM_400000_NS6detail17trampoline_kernelINS0_14default_configENS1_38merge_sort_block_merge_config_selectorIjNS0_10empty_typeEEEZZNS1_27merge_sort_block_merge_implIS3_N6thrust23THRUST_200600_302600_NS6detail15normal_iteratorINS9_10device_ptrIjEEEEPS5_jNS1_19radix_merge_compareILb0ELb1EjNS0_19identity_decomposerEEEEE10hipError_tT0_T1_T2_jT3_P12ihipStream_tbPNSt15iterator_traitsISK_E10value_typeEPNSQ_ISL_E10value_typeEPSM_NS1_7vsmem_tEENKUlT_SK_SL_SM_E_clIPjSE_SF_SF_EESJ_SZ_SK_SL_SM_EUlSZ_E_NS1_11comp_targetILNS1_3genE4ELNS1_11target_archE910ELNS1_3gpuE8ELNS1_3repE0EEENS1_48merge_mergepath_partition_config_static_selectorELNS0_4arch9wavefront6targetE1EEEvSL_,@function
_ZN7rocprim17ROCPRIM_400000_NS6detail17trampoline_kernelINS0_14default_configENS1_38merge_sort_block_merge_config_selectorIjNS0_10empty_typeEEEZZNS1_27merge_sort_block_merge_implIS3_N6thrust23THRUST_200600_302600_NS6detail15normal_iteratorINS9_10device_ptrIjEEEEPS5_jNS1_19radix_merge_compareILb0ELb1EjNS0_19identity_decomposerEEEEE10hipError_tT0_T1_T2_jT3_P12ihipStream_tbPNSt15iterator_traitsISK_E10value_typeEPNSQ_ISL_E10value_typeEPSM_NS1_7vsmem_tEENKUlT_SK_SL_SM_E_clIPjSE_SF_SF_EESJ_SZ_SK_SL_SM_EUlSZ_E_NS1_11comp_targetILNS1_3genE4ELNS1_11target_archE910ELNS1_3gpuE8ELNS1_3repE0EEENS1_48merge_mergepath_partition_config_static_selectorELNS0_4arch9wavefront6targetE1EEEvSL_: ; @_ZN7rocprim17ROCPRIM_400000_NS6detail17trampoline_kernelINS0_14default_configENS1_38merge_sort_block_merge_config_selectorIjNS0_10empty_typeEEEZZNS1_27merge_sort_block_merge_implIS3_N6thrust23THRUST_200600_302600_NS6detail15normal_iteratorINS9_10device_ptrIjEEEEPS5_jNS1_19radix_merge_compareILb0ELb1EjNS0_19identity_decomposerEEEEE10hipError_tT0_T1_T2_jT3_P12ihipStream_tbPNSt15iterator_traitsISK_E10value_typeEPNSQ_ISL_E10value_typeEPSM_NS1_7vsmem_tEENKUlT_SK_SL_SM_E_clIPjSE_SF_SF_EESJ_SZ_SK_SL_SM_EUlSZ_E_NS1_11comp_targetILNS1_3genE4ELNS1_11target_archE910ELNS1_3gpuE8ELNS1_3repE0EEENS1_48merge_mergepath_partition_config_static_selectorELNS0_4arch9wavefront6targetE1EEEvSL_
; %bb.0:
	s_load_dword s0, s[4:5], 0x0
	v_lshl_or_b32 v0, s6, 7, v0
	s_waitcnt lgkmcnt(0)
	v_cmp_gt_u32_e32 vcc, s0, v0
	s_and_saveexec_b64 s[0:1], vcc
	s_cbranch_execz .LBB1029_6
; %bb.1:
	s_load_dwordx2 s[2:3], s[4:5], 0x4
	s_load_dwordx2 s[0:1], s[4:5], 0x20
	s_waitcnt lgkmcnt(0)
	s_lshr_b32 s6, s2, 9
	s_and_b32 s6, s6, 0x7ffffe
	s_add_i32 s7, s6, -1
	s_sub_i32 s6, 0, s6
	v_and_b32_e32 v1, s6, v0
	v_lshlrev_b32_e32 v1, 10, v1
	v_min_u32_e32 v2, s3, v1
	v_add_u32_e32 v1, s2, v1
	v_min_u32_e32 v4, s3, v1
	v_add_u32_e32 v1, s2, v4
	v_and_b32_e32 v3, s7, v0
	v_min_u32_e32 v1, s3, v1
	v_sub_u32_e32 v5, v1, v2
	v_lshlrev_b32_e32 v3, 10, v3
	v_min_u32_e32 v6, v5, v3
	v_sub_u32_e32 v3, v4, v2
	v_sub_u32_e32 v1, v1, v4
	v_sub_u32_e64 v1, v6, v1 clamp
	v_min_u32_e32 v7, v6, v3
	v_cmp_lt_u32_e32 vcc, v1, v7
	s_and_saveexec_b64 s[2:3], vcc
	s_cbranch_execz .LBB1029_5
; %bb.2:
	s_load_dwordx2 s[8:9], s[4:5], 0x10
	s_load_dword s6, s[4:5], 0x18
	v_mov_b32_e32 v5, 0
	v_mov_b32_e32 v3, v5
	v_lshlrev_b64 v[8:9], 2, v[2:3]
	s_waitcnt lgkmcnt(0)
	v_mov_b32_e32 v12, s9
	v_add_co_u32_e32 v3, vcc, s8, v8
	v_addc_co_u32_e32 v8, vcc, v12, v9, vcc
	v_lshlrev_b64 v[10:11], 2, v[4:5]
	v_add_co_u32_e32 v9, vcc, s8, v10
	v_addc_co_u32_e32 v10, vcc, v12, v11, vcc
	s_mov_b64 s[4:5], 0
.LBB1029_3:                             ; =>This Inner Loop Header: Depth=1
	v_add_u32_e32 v4, v7, v1
	v_lshrrev_b32_e32 v4, 1, v4
	v_lshlrev_b64 v[14:15], 2, v[4:5]
	v_mov_b32_e32 v13, v5
	v_xad_u32 v12, v4, -1, v6
	v_add_co_u32_e32 v14, vcc, v3, v14
	v_addc_co_u32_e32 v15, vcc, v8, v15, vcc
	v_lshlrev_b64 v[12:13], 2, v[12:13]
	v_add_co_u32_e32 v12, vcc, v9, v12
	v_addc_co_u32_e32 v13, vcc, v10, v13, vcc
	global_load_dword v11, v[14:15], off
	global_load_dword v16, v[12:13], off
	v_add_u32_e32 v12, 1, v4
	s_waitcnt vmcnt(1)
	v_and_b32_e32 v11, s6, v11
	s_waitcnt vmcnt(0)
	v_and_b32_e32 v13, s6, v16
	v_cmp_gt_u32_e32 vcc, v11, v13
	v_cndmask_b32_e32 v7, v7, v4, vcc
	v_cndmask_b32_e32 v1, v12, v1, vcc
	v_cmp_ge_u32_e32 vcc, v1, v7
	s_or_b64 s[4:5], vcc, s[4:5]
	s_andn2_b64 exec, exec, s[4:5]
	s_cbranch_execnz .LBB1029_3
; %bb.4:
	s_or_b64 exec, exec, s[4:5]
.LBB1029_5:
	s_or_b64 exec, exec, s[2:3]
	v_add_u32_e32 v2, v1, v2
	v_mov_b32_e32 v1, 0
	v_lshlrev_b64 v[0:1], 2, v[0:1]
	v_mov_b32_e32 v3, s1
	v_add_co_u32_e32 v0, vcc, s0, v0
	v_addc_co_u32_e32 v1, vcc, v3, v1, vcc
	global_store_dword v[0:1], v2, off
.LBB1029_6:
	s_endpgm
	.section	.rodata,"a",@progbits
	.p2align	6, 0x0
	.amdhsa_kernel _ZN7rocprim17ROCPRIM_400000_NS6detail17trampoline_kernelINS0_14default_configENS1_38merge_sort_block_merge_config_selectorIjNS0_10empty_typeEEEZZNS1_27merge_sort_block_merge_implIS3_N6thrust23THRUST_200600_302600_NS6detail15normal_iteratorINS9_10device_ptrIjEEEEPS5_jNS1_19radix_merge_compareILb0ELb1EjNS0_19identity_decomposerEEEEE10hipError_tT0_T1_T2_jT3_P12ihipStream_tbPNSt15iterator_traitsISK_E10value_typeEPNSQ_ISL_E10value_typeEPSM_NS1_7vsmem_tEENKUlT_SK_SL_SM_E_clIPjSE_SF_SF_EESJ_SZ_SK_SL_SM_EUlSZ_E_NS1_11comp_targetILNS1_3genE4ELNS1_11target_archE910ELNS1_3gpuE8ELNS1_3repE0EEENS1_48merge_mergepath_partition_config_static_selectorELNS0_4arch9wavefront6targetE1EEEvSL_
		.amdhsa_group_segment_fixed_size 0
		.amdhsa_private_segment_fixed_size 0
		.amdhsa_kernarg_size 40
		.amdhsa_user_sgpr_count 6
		.amdhsa_user_sgpr_private_segment_buffer 1
		.amdhsa_user_sgpr_dispatch_ptr 0
		.amdhsa_user_sgpr_queue_ptr 0
		.amdhsa_user_sgpr_kernarg_segment_ptr 1
		.amdhsa_user_sgpr_dispatch_id 0
		.amdhsa_user_sgpr_flat_scratch_init 0
		.amdhsa_user_sgpr_kernarg_preload_length 0
		.amdhsa_user_sgpr_kernarg_preload_offset 0
		.amdhsa_user_sgpr_private_segment_size 0
		.amdhsa_uses_dynamic_stack 0
		.amdhsa_system_sgpr_private_segment_wavefront_offset 0
		.amdhsa_system_sgpr_workgroup_id_x 1
		.amdhsa_system_sgpr_workgroup_id_y 0
		.amdhsa_system_sgpr_workgroup_id_z 0
		.amdhsa_system_sgpr_workgroup_info 0
		.amdhsa_system_vgpr_workitem_id 0
		.amdhsa_next_free_vgpr 17
		.amdhsa_next_free_sgpr 10
		.amdhsa_accum_offset 20
		.amdhsa_reserve_vcc 1
		.amdhsa_reserve_flat_scratch 0
		.amdhsa_float_round_mode_32 0
		.amdhsa_float_round_mode_16_64 0
		.amdhsa_float_denorm_mode_32 3
		.amdhsa_float_denorm_mode_16_64 3
		.amdhsa_dx10_clamp 1
		.amdhsa_ieee_mode 1
		.amdhsa_fp16_overflow 0
		.amdhsa_tg_split 0
		.amdhsa_exception_fp_ieee_invalid_op 0
		.amdhsa_exception_fp_denorm_src 0
		.amdhsa_exception_fp_ieee_div_zero 0
		.amdhsa_exception_fp_ieee_overflow 0
		.amdhsa_exception_fp_ieee_underflow 0
		.amdhsa_exception_fp_ieee_inexact 0
		.amdhsa_exception_int_div_zero 0
	.end_amdhsa_kernel
	.section	.text._ZN7rocprim17ROCPRIM_400000_NS6detail17trampoline_kernelINS0_14default_configENS1_38merge_sort_block_merge_config_selectorIjNS0_10empty_typeEEEZZNS1_27merge_sort_block_merge_implIS3_N6thrust23THRUST_200600_302600_NS6detail15normal_iteratorINS9_10device_ptrIjEEEEPS5_jNS1_19radix_merge_compareILb0ELb1EjNS0_19identity_decomposerEEEEE10hipError_tT0_T1_T2_jT3_P12ihipStream_tbPNSt15iterator_traitsISK_E10value_typeEPNSQ_ISL_E10value_typeEPSM_NS1_7vsmem_tEENKUlT_SK_SL_SM_E_clIPjSE_SF_SF_EESJ_SZ_SK_SL_SM_EUlSZ_E_NS1_11comp_targetILNS1_3genE4ELNS1_11target_archE910ELNS1_3gpuE8ELNS1_3repE0EEENS1_48merge_mergepath_partition_config_static_selectorELNS0_4arch9wavefront6targetE1EEEvSL_,"axG",@progbits,_ZN7rocprim17ROCPRIM_400000_NS6detail17trampoline_kernelINS0_14default_configENS1_38merge_sort_block_merge_config_selectorIjNS0_10empty_typeEEEZZNS1_27merge_sort_block_merge_implIS3_N6thrust23THRUST_200600_302600_NS6detail15normal_iteratorINS9_10device_ptrIjEEEEPS5_jNS1_19radix_merge_compareILb0ELb1EjNS0_19identity_decomposerEEEEE10hipError_tT0_T1_T2_jT3_P12ihipStream_tbPNSt15iterator_traitsISK_E10value_typeEPNSQ_ISL_E10value_typeEPSM_NS1_7vsmem_tEENKUlT_SK_SL_SM_E_clIPjSE_SF_SF_EESJ_SZ_SK_SL_SM_EUlSZ_E_NS1_11comp_targetILNS1_3genE4ELNS1_11target_archE910ELNS1_3gpuE8ELNS1_3repE0EEENS1_48merge_mergepath_partition_config_static_selectorELNS0_4arch9wavefront6targetE1EEEvSL_,comdat
.Lfunc_end1029:
	.size	_ZN7rocprim17ROCPRIM_400000_NS6detail17trampoline_kernelINS0_14default_configENS1_38merge_sort_block_merge_config_selectorIjNS0_10empty_typeEEEZZNS1_27merge_sort_block_merge_implIS3_N6thrust23THRUST_200600_302600_NS6detail15normal_iteratorINS9_10device_ptrIjEEEEPS5_jNS1_19radix_merge_compareILb0ELb1EjNS0_19identity_decomposerEEEEE10hipError_tT0_T1_T2_jT3_P12ihipStream_tbPNSt15iterator_traitsISK_E10value_typeEPNSQ_ISL_E10value_typeEPSM_NS1_7vsmem_tEENKUlT_SK_SL_SM_E_clIPjSE_SF_SF_EESJ_SZ_SK_SL_SM_EUlSZ_E_NS1_11comp_targetILNS1_3genE4ELNS1_11target_archE910ELNS1_3gpuE8ELNS1_3repE0EEENS1_48merge_mergepath_partition_config_static_selectorELNS0_4arch9wavefront6targetE1EEEvSL_, .Lfunc_end1029-_ZN7rocprim17ROCPRIM_400000_NS6detail17trampoline_kernelINS0_14default_configENS1_38merge_sort_block_merge_config_selectorIjNS0_10empty_typeEEEZZNS1_27merge_sort_block_merge_implIS3_N6thrust23THRUST_200600_302600_NS6detail15normal_iteratorINS9_10device_ptrIjEEEEPS5_jNS1_19radix_merge_compareILb0ELb1EjNS0_19identity_decomposerEEEEE10hipError_tT0_T1_T2_jT3_P12ihipStream_tbPNSt15iterator_traitsISK_E10value_typeEPNSQ_ISL_E10value_typeEPSM_NS1_7vsmem_tEENKUlT_SK_SL_SM_E_clIPjSE_SF_SF_EESJ_SZ_SK_SL_SM_EUlSZ_E_NS1_11comp_targetILNS1_3genE4ELNS1_11target_archE910ELNS1_3gpuE8ELNS1_3repE0EEENS1_48merge_mergepath_partition_config_static_selectorELNS0_4arch9wavefront6targetE1EEEvSL_
                                        ; -- End function
	.section	.AMDGPU.csdata,"",@progbits
; Kernel info:
; codeLenInByte = 380
; NumSgprs: 14
; NumVgprs: 17
; NumAgprs: 0
; TotalNumVgprs: 17
; ScratchSize: 0
; MemoryBound: 0
; FloatMode: 240
; IeeeMode: 1
; LDSByteSize: 0 bytes/workgroup (compile time only)
; SGPRBlocks: 1
; VGPRBlocks: 2
; NumSGPRsForWavesPerEU: 14
; NumVGPRsForWavesPerEU: 17
; AccumOffset: 20
; Occupancy: 8
; WaveLimiterHint : 0
; COMPUTE_PGM_RSRC2:SCRATCH_EN: 0
; COMPUTE_PGM_RSRC2:USER_SGPR: 6
; COMPUTE_PGM_RSRC2:TRAP_HANDLER: 0
; COMPUTE_PGM_RSRC2:TGID_X_EN: 1
; COMPUTE_PGM_RSRC2:TGID_Y_EN: 0
; COMPUTE_PGM_RSRC2:TGID_Z_EN: 0
; COMPUTE_PGM_RSRC2:TIDIG_COMP_CNT: 0
; COMPUTE_PGM_RSRC3_GFX90A:ACCUM_OFFSET: 4
; COMPUTE_PGM_RSRC3_GFX90A:TG_SPLIT: 0
	.section	.text._ZN7rocprim17ROCPRIM_400000_NS6detail17trampoline_kernelINS0_14default_configENS1_38merge_sort_block_merge_config_selectorIjNS0_10empty_typeEEEZZNS1_27merge_sort_block_merge_implIS3_N6thrust23THRUST_200600_302600_NS6detail15normal_iteratorINS9_10device_ptrIjEEEEPS5_jNS1_19radix_merge_compareILb0ELb1EjNS0_19identity_decomposerEEEEE10hipError_tT0_T1_T2_jT3_P12ihipStream_tbPNSt15iterator_traitsISK_E10value_typeEPNSQ_ISL_E10value_typeEPSM_NS1_7vsmem_tEENKUlT_SK_SL_SM_E_clIPjSE_SF_SF_EESJ_SZ_SK_SL_SM_EUlSZ_E_NS1_11comp_targetILNS1_3genE3ELNS1_11target_archE908ELNS1_3gpuE7ELNS1_3repE0EEENS1_48merge_mergepath_partition_config_static_selectorELNS0_4arch9wavefront6targetE1EEEvSL_,"axG",@progbits,_ZN7rocprim17ROCPRIM_400000_NS6detail17trampoline_kernelINS0_14default_configENS1_38merge_sort_block_merge_config_selectorIjNS0_10empty_typeEEEZZNS1_27merge_sort_block_merge_implIS3_N6thrust23THRUST_200600_302600_NS6detail15normal_iteratorINS9_10device_ptrIjEEEEPS5_jNS1_19radix_merge_compareILb0ELb1EjNS0_19identity_decomposerEEEEE10hipError_tT0_T1_T2_jT3_P12ihipStream_tbPNSt15iterator_traitsISK_E10value_typeEPNSQ_ISL_E10value_typeEPSM_NS1_7vsmem_tEENKUlT_SK_SL_SM_E_clIPjSE_SF_SF_EESJ_SZ_SK_SL_SM_EUlSZ_E_NS1_11comp_targetILNS1_3genE3ELNS1_11target_archE908ELNS1_3gpuE7ELNS1_3repE0EEENS1_48merge_mergepath_partition_config_static_selectorELNS0_4arch9wavefront6targetE1EEEvSL_,comdat
	.protected	_ZN7rocprim17ROCPRIM_400000_NS6detail17trampoline_kernelINS0_14default_configENS1_38merge_sort_block_merge_config_selectorIjNS0_10empty_typeEEEZZNS1_27merge_sort_block_merge_implIS3_N6thrust23THRUST_200600_302600_NS6detail15normal_iteratorINS9_10device_ptrIjEEEEPS5_jNS1_19radix_merge_compareILb0ELb1EjNS0_19identity_decomposerEEEEE10hipError_tT0_T1_T2_jT3_P12ihipStream_tbPNSt15iterator_traitsISK_E10value_typeEPNSQ_ISL_E10value_typeEPSM_NS1_7vsmem_tEENKUlT_SK_SL_SM_E_clIPjSE_SF_SF_EESJ_SZ_SK_SL_SM_EUlSZ_E_NS1_11comp_targetILNS1_3genE3ELNS1_11target_archE908ELNS1_3gpuE7ELNS1_3repE0EEENS1_48merge_mergepath_partition_config_static_selectorELNS0_4arch9wavefront6targetE1EEEvSL_ ; -- Begin function _ZN7rocprim17ROCPRIM_400000_NS6detail17trampoline_kernelINS0_14default_configENS1_38merge_sort_block_merge_config_selectorIjNS0_10empty_typeEEEZZNS1_27merge_sort_block_merge_implIS3_N6thrust23THRUST_200600_302600_NS6detail15normal_iteratorINS9_10device_ptrIjEEEEPS5_jNS1_19radix_merge_compareILb0ELb1EjNS0_19identity_decomposerEEEEE10hipError_tT0_T1_T2_jT3_P12ihipStream_tbPNSt15iterator_traitsISK_E10value_typeEPNSQ_ISL_E10value_typeEPSM_NS1_7vsmem_tEENKUlT_SK_SL_SM_E_clIPjSE_SF_SF_EESJ_SZ_SK_SL_SM_EUlSZ_E_NS1_11comp_targetILNS1_3genE3ELNS1_11target_archE908ELNS1_3gpuE7ELNS1_3repE0EEENS1_48merge_mergepath_partition_config_static_selectorELNS0_4arch9wavefront6targetE1EEEvSL_
	.globl	_ZN7rocprim17ROCPRIM_400000_NS6detail17trampoline_kernelINS0_14default_configENS1_38merge_sort_block_merge_config_selectorIjNS0_10empty_typeEEEZZNS1_27merge_sort_block_merge_implIS3_N6thrust23THRUST_200600_302600_NS6detail15normal_iteratorINS9_10device_ptrIjEEEEPS5_jNS1_19radix_merge_compareILb0ELb1EjNS0_19identity_decomposerEEEEE10hipError_tT0_T1_T2_jT3_P12ihipStream_tbPNSt15iterator_traitsISK_E10value_typeEPNSQ_ISL_E10value_typeEPSM_NS1_7vsmem_tEENKUlT_SK_SL_SM_E_clIPjSE_SF_SF_EESJ_SZ_SK_SL_SM_EUlSZ_E_NS1_11comp_targetILNS1_3genE3ELNS1_11target_archE908ELNS1_3gpuE7ELNS1_3repE0EEENS1_48merge_mergepath_partition_config_static_selectorELNS0_4arch9wavefront6targetE1EEEvSL_
	.p2align	8
	.type	_ZN7rocprim17ROCPRIM_400000_NS6detail17trampoline_kernelINS0_14default_configENS1_38merge_sort_block_merge_config_selectorIjNS0_10empty_typeEEEZZNS1_27merge_sort_block_merge_implIS3_N6thrust23THRUST_200600_302600_NS6detail15normal_iteratorINS9_10device_ptrIjEEEEPS5_jNS1_19radix_merge_compareILb0ELb1EjNS0_19identity_decomposerEEEEE10hipError_tT0_T1_T2_jT3_P12ihipStream_tbPNSt15iterator_traitsISK_E10value_typeEPNSQ_ISL_E10value_typeEPSM_NS1_7vsmem_tEENKUlT_SK_SL_SM_E_clIPjSE_SF_SF_EESJ_SZ_SK_SL_SM_EUlSZ_E_NS1_11comp_targetILNS1_3genE3ELNS1_11target_archE908ELNS1_3gpuE7ELNS1_3repE0EEENS1_48merge_mergepath_partition_config_static_selectorELNS0_4arch9wavefront6targetE1EEEvSL_,@function
_ZN7rocprim17ROCPRIM_400000_NS6detail17trampoline_kernelINS0_14default_configENS1_38merge_sort_block_merge_config_selectorIjNS0_10empty_typeEEEZZNS1_27merge_sort_block_merge_implIS3_N6thrust23THRUST_200600_302600_NS6detail15normal_iteratorINS9_10device_ptrIjEEEEPS5_jNS1_19radix_merge_compareILb0ELb1EjNS0_19identity_decomposerEEEEE10hipError_tT0_T1_T2_jT3_P12ihipStream_tbPNSt15iterator_traitsISK_E10value_typeEPNSQ_ISL_E10value_typeEPSM_NS1_7vsmem_tEENKUlT_SK_SL_SM_E_clIPjSE_SF_SF_EESJ_SZ_SK_SL_SM_EUlSZ_E_NS1_11comp_targetILNS1_3genE3ELNS1_11target_archE908ELNS1_3gpuE7ELNS1_3repE0EEENS1_48merge_mergepath_partition_config_static_selectorELNS0_4arch9wavefront6targetE1EEEvSL_: ; @_ZN7rocprim17ROCPRIM_400000_NS6detail17trampoline_kernelINS0_14default_configENS1_38merge_sort_block_merge_config_selectorIjNS0_10empty_typeEEEZZNS1_27merge_sort_block_merge_implIS3_N6thrust23THRUST_200600_302600_NS6detail15normal_iteratorINS9_10device_ptrIjEEEEPS5_jNS1_19radix_merge_compareILb0ELb1EjNS0_19identity_decomposerEEEEE10hipError_tT0_T1_T2_jT3_P12ihipStream_tbPNSt15iterator_traitsISK_E10value_typeEPNSQ_ISL_E10value_typeEPSM_NS1_7vsmem_tEENKUlT_SK_SL_SM_E_clIPjSE_SF_SF_EESJ_SZ_SK_SL_SM_EUlSZ_E_NS1_11comp_targetILNS1_3genE3ELNS1_11target_archE908ELNS1_3gpuE7ELNS1_3repE0EEENS1_48merge_mergepath_partition_config_static_selectorELNS0_4arch9wavefront6targetE1EEEvSL_
; %bb.0:
	.section	.rodata,"a",@progbits
	.p2align	6, 0x0
	.amdhsa_kernel _ZN7rocprim17ROCPRIM_400000_NS6detail17trampoline_kernelINS0_14default_configENS1_38merge_sort_block_merge_config_selectorIjNS0_10empty_typeEEEZZNS1_27merge_sort_block_merge_implIS3_N6thrust23THRUST_200600_302600_NS6detail15normal_iteratorINS9_10device_ptrIjEEEEPS5_jNS1_19radix_merge_compareILb0ELb1EjNS0_19identity_decomposerEEEEE10hipError_tT0_T1_T2_jT3_P12ihipStream_tbPNSt15iterator_traitsISK_E10value_typeEPNSQ_ISL_E10value_typeEPSM_NS1_7vsmem_tEENKUlT_SK_SL_SM_E_clIPjSE_SF_SF_EESJ_SZ_SK_SL_SM_EUlSZ_E_NS1_11comp_targetILNS1_3genE3ELNS1_11target_archE908ELNS1_3gpuE7ELNS1_3repE0EEENS1_48merge_mergepath_partition_config_static_selectorELNS0_4arch9wavefront6targetE1EEEvSL_
		.amdhsa_group_segment_fixed_size 0
		.amdhsa_private_segment_fixed_size 0
		.amdhsa_kernarg_size 40
		.amdhsa_user_sgpr_count 6
		.amdhsa_user_sgpr_private_segment_buffer 1
		.amdhsa_user_sgpr_dispatch_ptr 0
		.amdhsa_user_sgpr_queue_ptr 0
		.amdhsa_user_sgpr_kernarg_segment_ptr 1
		.amdhsa_user_sgpr_dispatch_id 0
		.amdhsa_user_sgpr_flat_scratch_init 0
		.amdhsa_user_sgpr_kernarg_preload_length 0
		.amdhsa_user_sgpr_kernarg_preload_offset 0
		.amdhsa_user_sgpr_private_segment_size 0
		.amdhsa_uses_dynamic_stack 0
		.amdhsa_system_sgpr_private_segment_wavefront_offset 0
		.amdhsa_system_sgpr_workgroup_id_x 1
		.amdhsa_system_sgpr_workgroup_id_y 0
		.amdhsa_system_sgpr_workgroup_id_z 0
		.amdhsa_system_sgpr_workgroup_info 0
		.amdhsa_system_vgpr_workitem_id 0
		.amdhsa_next_free_vgpr 1
		.amdhsa_next_free_sgpr 0
		.amdhsa_accum_offset 4
		.amdhsa_reserve_vcc 0
		.amdhsa_reserve_flat_scratch 0
		.amdhsa_float_round_mode_32 0
		.amdhsa_float_round_mode_16_64 0
		.amdhsa_float_denorm_mode_32 3
		.amdhsa_float_denorm_mode_16_64 3
		.amdhsa_dx10_clamp 1
		.amdhsa_ieee_mode 1
		.amdhsa_fp16_overflow 0
		.amdhsa_tg_split 0
		.amdhsa_exception_fp_ieee_invalid_op 0
		.amdhsa_exception_fp_denorm_src 0
		.amdhsa_exception_fp_ieee_div_zero 0
		.amdhsa_exception_fp_ieee_overflow 0
		.amdhsa_exception_fp_ieee_underflow 0
		.amdhsa_exception_fp_ieee_inexact 0
		.amdhsa_exception_int_div_zero 0
	.end_amdhsa_kernel
	.section	.text._ZN7rocprim17ROCPRIM_400000_NS6detail17trampoline_kernelINS0_14default_configENS1_38merge_sort_block_merge_config_selectorIjNS0_10empty_typeEEEZZNS1_27merge_sort_block_merge_implIS3_N6thrust23THRUST_200600_302600_NS6detail15normal_iteratorINS9_10device_ptrIjEEEEPS5_jNS1_19radix_merge_compareILb0ELb1EjNS0_19identity_decomposerEEEEE10hipError_tT0_T1_T2_jT3_P12ihipStream_tbPNSt15iterator_traitsISK_E10value_typeEPNSQ_ISL_E10value_typeEPSM_NS1_7vsmem_tEENKUlT_SK_SL_SM_E_clIPjSE_SF_SF_EESJ_SZ_SK_SL_SM_EUlSZ_E_NS1_11comp_targetILNS1_3genE3ELNS1_11target_archE908ELNS1_3gpuE7ELNS1_3repE0EEENS1_48merge_mergepath_partition_config_static_selectorELNS0_4arch9wavefront6targetE1EEEvSL_,"axG",@progbits,_ZN7rocprim17ROCPRIM_400000_NS6detail17trampoline_kernelINS0_14default_configENS1_38merge_sort_block_merge_config_selectorIjNS0_10empty_typeEEEZZNS1_27merge_sort_block_merge_implIS3_N6thrust23THRUST_200600_302600_NS6detail15normal_iteratorINS9_10device_ptrIjEEEEPS5_jNS1_19radix_merge_compareILb0ELb1EjNS0_19identity_decomposerEEEEE10hipError_tT0_T1_T2_jT3_P12ihipStream_tbPNSt15iterator_traitsISK_E10value_typeEPNSQ_ISL_E10value_typeEPSM_NS1_7vsmem_tEENKUlT_SK_SL_SM_E_clIPjSE_SF_SF_EESJ_SZ_SK_SL_SM_EUlSZ_E_NS1_11comp_targetILNS1_3genE3ELNS1_11target_archE908ELNS1_3gpuE7ELNS1_3repE0EEENS1_48merge_mergepath_partition_config_static_selectorELNS0_4arch9wavefront6targetE1EEEvSL_,comdat
.Lfunc_end1030:
	.size	_ZN7rocprim17ROCPRIM_400000_NS6detail17trampoline_kernelINS0_14default_configENS1_38merge_sort_block_merge_config_selectorIjNS0_10empty_typeEEEZZNS1_27merge_sort_block_merge_implIS3_N6thrust23THRUST_200600_302600_NS6detail15normal_iteratorINS9_10device_ptrIjEEEEPS5_jNS1_19radix_merge_compareILb0ELb1EjNS0_19identity_decomposerEEEEE10hipError_tT0_T1_T2_jT3_P12ihipStream_tbPNSt15iterator_traitsISK_E10value_typeEPNSQ_ISL_E10value_typeEPSM_NS1_7vsmem_tEENKUlT_SK_SL_SM_E_clIPjSE_SF_SF_EESJ_SZ_SK_SL_SM_EUlSZ_E_NS1_11comp_targetILNS1_3genE3ELNS1_11target_archE908ELNS1_3gpuE7ELNS1_3repE0EEENS1_48merge_mergepath_partition_config_static_selectorELNS0_4arch9wavefront6targetE1EEEvSL_, .Lfunc_end1030-_ZN7rocprim17ROCPRIM_400000_NS6detail17trampoline_kernelINS0_14default_configENS1_38merge_sort_block_merge_config_selectorIjNS0_10empty_typeEEEZZNS1_27merge_sort_block_merge_implIS3_N6thrust23THRUST_200600_302600_NS6detail15normal_iteratorINS9_10device_ptrIjEEEEPS5_jNS1_19radix_merge_compareILb0ELb1EjNS0_19identity_decomposerEEEEE10hipError_tT0_T1_T2_jT3_P12ihipStream_tbPNSt15iterator_traitsISK_E10value_typeEPNSQ_ISL_E10value_typeEPSM_NS1_7vsmem_tEENKUlT_SK_SL_SM_E_clIPjSE_SF_SF_EESJ_SZ_SK_SL_SM_EUlSZ_E_NS1_11comp_targetILNS1_3genE3ELNS1_11target_archE908ELNS1_3gpuE7ELNS1_3repE0EEENS1_48merge_mergepath_partition_config_static_selectorELNS0_4arch9wavefront6targetE1EEEvSL_
                                        ; -- End function
	.section	.AMDGPU.csdata,"",@progbits
; Kernel info:
; codeLenInByte = 0
; NumSgprs: 4
; NumVgprs: 0
; NumAgprs: 0
; TotalNumVgprs: 0
; ScratchSize: 0
; MemoryBound: 0
; FloatMode: 240
; IeeeMode: 1
; LDSByteSize: 0 bytes/workgroup (compile time only)
; SGPRBlocks: 0
; VGPRBlocks: 0
; NumSGPRsForWavesPerEU: 4
; NumVGPRsForWavesPerEU: 1
; AccumOffset: 4
; Occupancy: 8
; WaveLimiterHint : 0
; COMPUTE_PGM_RSRC2:SCRATCH_EN: 0
; COMPUTE_PGM_RSRC2:USER_SGPR: 6
; COMPUTE_PGM_RSRC2:TRAP_HANDLER: 0
; COMPUTE_PGM_RSRC2:TGID_X_EN: 1
; COMPUTE_PGM_RSRC2:TGID_Y_EN: 0
; COMPUTE_PGM_RSRC2:TGID_Z_EN: 0
; COMPUTE_PGM_RSRC2:TIDIG_COMP_CNT: 0
; COMPUTE_PGM_RSRC3_GFX90A:ACCUM_OFFSET: 0
; COMPUTE_PGM_RSRC3_GFX90A:TG_SPLIT: 0
	.section	.text._ZN7rocprim17ROCPRIM_400000_NS6detail17trampoline_kernelINS0_14default_configENS1_38merge_sort_block_merge_config_selectorIjNS0_10empty_typeEEEZZNS1_27merge_sort_block_merge_implIS3_N6thrust23THRUST_200600_302600_NS6detail15normal_iteratorINS9_10device_ptrIjEEEEPS5_jNS1_19radix_merge_compareILb0ELb1EjNS0_19identity_decomposerEEEEE10hipError_tT0_T1_T2_jT3_P12ihipStream_tbPNSt15iterator_traitsISK_E10value_typeEPNSQ_ISL_E10value_typeEPSM_NS1_7vsmem_tEENKUlT_SK_SL_SM_E_clIPjSE_SF_SF_EESJ_SZ_SK_SL_SM_EUlSZ_E_NS1_11comp_targetILNS1_3genE2ELNS1_11target_archE906ELNS1_3gpuE6ELNS1_3repE0EEENS1_48merge_mergepath_partition_config_static_selectorELNS0_4arch9wavefront6targetE1EEEvSL_,"axG",@progbits,_ZN7rocprim17ROCPRIM_400000_NS6detail17trampoline_kernelINS0_14default_configENS1_38merge_sort_block_merge_config_selectorIjNS0_10empty_typeEEEZZNS1_27merge_sort_block_merge_implIS3_N6thrust23THRUST_200600_302600_NS6detail15normal_iteratorINS9_10device_ptrIjEEEEPS5_jNS1_19radix_merge_compareILb0ELb1EjNS0_19identity_decomposerEEEEE10hipError_tT0_T1_T2_jT3_P12ihipStream_tbPNSt15iterator_traitsISK_E10value_typeEPNSQ_ISL_E10value_typeEPSM_NS1_7vsmem_tEENKUlT_SK_SL_SM_E_clIPjSE_SF_SF_EESJ_SZ_SK_SL_SM_EUlSZ_E_NS1_11comp_targetILNS1_3genE2ELNS1_11target_archE906ELNS1_3gpuE6ELNS1_3repE0EEENS1_48merge_mergepath_partition_config_static_selectorELNS0_4arch9wavefront6targetE1EEEvSL_,comdat
	.protected	_ZN7rocprim17ROCPRIM_400000_NS6detail17trampoline_kernelINS0_14default_configENS1_38merge_sort_block_merge_config_selectorIjNS0_10empty_typeEEEZZNS1_27merge_sort_block_merge_implIS3_N6thrust23THRUST_200600_302600_NS6detail15normal_iteratorINS9_10device_ptrIjEEEEPS5_jNS1_19radix_merge_compareILb0ELb1EjNS0_19identity_decomposerEEEEE10hipError_tT0_T1_T2_jT3_P12ihipStream_tbPNSt15iterator_traitsISK_E10value_typeEPNSQ_ISL_E10value_typeEPSM_NS1_7vsmem_tEENKUlT_SK_SL_SM_E_clIPjSE_SF_SF_EESJ_SZ_SK_SL_SM_EUlSZ_E_NS1_11comp_targetILNS1_3genE2ELNS1_11target_archE906ELNS1_3gpuE6ELNS1_3repE0EEENS1_48merge_mergepath_partition_config_static_selectorELNS0_4arch9wavefront6targetE1EEEvSL_ ; -- Begin function _ZN7rocprim17ROCPRIM_400000_NS6detail17trampoline_kernelINS0_14default_configENS1_38merge_sort_block_merge_config_selectorIjNS0_10empty_typeEEEZZNS1_27merge_sort_block_merge_implIS3_N6thrust23THRUST_200600_302600_NS6detail15normal_iteratorINS9_10device_ptrIjEEEEPS5_jNS1_19radix_merge_compareILb0ELb1EjNS0_19identity_decomposerEEEEE10hipError_tT0_T1_T2_jT3_P12ihipStream_tbPNSt15iterator_traitsISK_E10value_typeEPNSQ_ISL_E10value_typeEPSM_NS1_7vsmem_tEENKUlT_SK_SL_SM_E_clIPjSE_SF_SF_EESJ_SZ_SK_SL_SM_EUlSZ_E_NS1_11comp_targetILNS1_3genE2ELNS1_11target_archE906ELNS1_3gpuE6ELNS1_3repE0EEENS1_48merge_mergepath_partition_config_static_selectorELNS0_4arch9wavefront6targetE1EEEvSL_
	.globl	_ZN7rocprim17ROCPRIM_400000_NS6detail17trampoline_kernelINS0_14default_configENS1_38merge_sort_block_merge_config_selectorIjNS0_10empty_typeEEEZZNS1_27merge_sort_block_merge_implIS3_N6thrust23THRUST_200600_302600_NS6detail15normal_iteratorINS9_10device_ptrIjEEEEPS5_jNS1_19radix_merge_compareILb0ELb1EjNS0_19identity_decomposerEEEEE10hipError_tT0_T1_T2_jT3_P12ihipStream_tbPNSt15iterator_traitsISK_E10value_typeEPNSQ_ISL_E10value_typeEPSM_NS1_7vsmem_tEENKUlT_SK_SL_SM_E_clIPjSE_SF_SF_EESJ_SZ_SK_SL_SM_EUlSZ_E_NS1_11comp_targetILNS1_3genE2ELNS1_11target_archE906ELNS1_3gpuE6ELNS1_3repE0EEENS1_48merge_mergepath_partition_config_static_selectorELNS0_4arch9wavefront6targetE1EEEvSL_
	.p2align	8
	.type	_ZN7rocprim17ROCPRIM_400000_NS6detail17trampoline_kernelINS0_14default_configENS1_38merge_sort_block_merge_config_selectorIjNS0_10empty_typeEEEZZNS1_27merge_sort_block_merge_implIS3_N6thrust23THRUST_200600_302600_NS6detail15normal_iteratorINS9_10device_ptrIjEEEEPS5_jNS1_19radix_merge_compareILb0ELb1EjNS0_19identity_decomposerEEEEE10hipError_tT0_T1_T2_jT3_P12ihipStream_tbPNSt15iterator_traitsISK_E10value_typeEPNSQ_ISL_E10value_typeEPSM_NS1_7vsmem_tEENKUlT_SK_SL_SM_E_clIPjSE_SF_SF_EESJ_SZ_SK_SL_SM_EUlSZ_E_NS1_11comp_targetILNS1_3genE2ELNS1_11target_archE906ELNS1_3gpuE6ELNS1_3repE0EEENS1_48merge_mergepath_partition_config_static_selectorELNS0_4arch9wavefront6targetE1EEEvSL_,@function
_ZN7rocprim17ROCPRIM_400000_NS6detail17trampoline_kernelINS0_14default_configENS1_38merge_sort_block_merge_config_selectorIjNS0_10empty_typeEEEZZNS1_27merge_sort_block_merge_implIS3_N6thrust23THRUST_200600_302600_NS6detail15normal_iteratorINS9_10device_ptrIjEEEEPS5_jNS1_19radix_merge_compareILb0ELb1EjNS0_19identity_decomposerEEEEE10hipError_tT0_T1_T2_jT3_P12ihipStream_tbPNSt15iterator_traitsISK_E10value_typeEPNSQ_ISL_E10value_typeEPSM_NS1_7vsmem_tEENKUlT_SK_SL_SM_E_clIPjSE_SF_SF_EESJ_SZ_SK_SL_SM_EUlSZ_E_NS1_11comp_targetILNS1_3genE2ELNS1_11target_archE906ELNS1_3gpuE6ELNS1_3repE0EEENS1_48merge_mergepath_partition_config_static_selectorELNS0_4arch9wavefront6targetE1EEEvSL_: ; @_ZN7rocprim17ROCPRIM_400000_NS6detail17trampoline_kernelINS0_14default_configENS1_38merge_sort_block_merge_config_selectorIjNS0_10empty_typeEEEZZNS1_27merge_sort_block_merge_implIS3_N6thrust23THRUST_200600_302600_NS6detail15normal_iteratorINS9_10device_ptrIjEEEEPS5_jNS1_19radix_merge_compareILb0ELb1EjNS0_19identity_decomposerEEEEE10hipError_tT0_T1_T2_jT3_P12ihipStream_tbPNSt15iterator_traitsISK_E10value_typeEPNSQ_ISL_E10value_typeEPSM_NS1_7vsmem_tEENKUlT_SK_SL_SM_E_clIPjSE_SF_SF_EESJ_SZ_SK_SL_SM_EUlSZ_E_NS1_11comp_targetILNS1_3genE2ELNS1_11target_archE906ELNS1_3gpuE6ELNS1_3repE0EEENS1_48merge_mergepath_partition_config_static_selectorELNS0_4arch9wavefront6targetE1EEEvSL_
; %bb.0:
	.section	.rodata,"a",@progbits
	.p2align	6, 0x0
	.amdhsa_kernel _ZN7rocprim17ROCPRIM_400000_NS6detail17trampoline_kernelINS0_14default_configENS1_38merge_sort_block_merge_config_selectorIjNS0_10empty_typeEEEZZNS1_27merge_sort_block_merge_implIS3_N6thrust23THRUST_200600_302600_NS6detail15normal_iteratorINS9_10device_ptrIjEEEEPS5_jNS1_19radix_merge_compareILb0ELb1EjNS0_19identity_decomposerEEEEE10hipError_tT0_T1_T2_jT3_P12ihipStream_tbPNSt15iterator_traitsISK_E10value_typeEPNSQ_ISL_E10value_typeEPSM_NS1_7vsmem_tEENKUlT_SK_SL_SM_E_clIPjSE_SF_SF_EESJ_SZ_SK_SL_SM_EUlSZ_E_NS1_11comp_targetILNS1_3genE2ELNS1_11target_archE906ELNS1_3gpuE6ELNS1_3repE0EEENS1_48merge_mergepath_partition_config_static_selectorELNS0_4arch9wavefront6targetE1EEEvSL_
		.amdhsa_group_segment_fixed_size 0
		.amdhsa_private_segment_fixed_size 0
		.amdhsa_kernarg_size 40
		.amdhsa_user_sgpr_count 6
		.amdhsa_user_sgpr_private_segment_buffer 1
		.amdhsa_user_sgpr_dispatch_ptr 0
		.amdhsa_user_sgpr_queue_ptr 0
		.amdhsa_user_sgpr_kernarg_segment_ptr 1
		.amdhsa_user_sgpr_dispatch_id 0
		.amdhsa_user_sgpr_flat_scratch_init 0
		.amdhsa_user_sgpr_kernarg_preload_length 0
		.amdhsa_user_sgpr_kernarg_preload_offset 0
		.amdhsa_user_sgpr_private_segment_size 0
		.amdhsa_uses_dynamic_stack 0
		.amdhsa_system_sgpr_private_segment_wavefront_offset 0
		.amdhsa_system_sgpr_workgroup_id_x 1
		.amdhsa_system_sgpr_workgroup_id_y 0
		.amdhsa_system_sgpr_workgroup_id_z 0
		.amdhsa_system_sgpr_workgroup_info 0
		.amdhsa_system_vgpr_workitem_id 0
		.amdhsa_next_free_vgpr 1
		.amdhsa_next_free_sgpr 0
		.amdhsa_accum_offset 4
		.amdhsa_reserve_vcc 0
		.amdhsa_reserve_flat_scratch 0
		.amdhsa_float_round_mode_32 0
		.amdhsa_float_round_mode_16_64 0
		.amdhsa_float_denorm_mode_32 3
		.amdhsa_float_denorm_mode_16_64 3
		.amdhsa_dx10_clamp 1
		.amdhsa_ieee_mode 1
		.amdhsa_fp16_overflow 0
		.amdhsa_tg_split 0
		.amdhsa_exception_fp_ieee_invalid_op 0
		.amdhsa_exception_fp_denorm_src 0
		.amdhsa_exception_fp_ieee_div_zero 0
		.amdhsa_exception_fp_ieee_overflow 0
		.amdhsa_exception_fp_ieee_underflow 0
		.amdhsa_exception_fp_ieee_inexact 0
		.amdhsa_exception_int_div_zero 0
	.end_amdhsa_kernel
	.section	.text._ZN7rocprim17ROCPRIM_400000_NS6detail17trampoline_kernelINS0_14default_configENS1_38merge_sort_block_merge_config_selectorIjNS0_10empty_typeEEEZZNS1_27merge_sort_block_merge_implIS3_N6thrust23THRUST_200600_302600_NS6detail15normal_iteratorINS9_10device_ptrIjEEEEPS5_jNS1_19radix_merge_compareILb0ELb1EjNS0_19identity_decomposerEEEEE10hipError_tT0_T1_T2_jT3_P12ihipStream_tbPNSt15iterator_traitsISK_E10value_typeEPNSQ_ISL_E10value_typeEPSM_NS1_7vsmem_tEENKUlT_SK_SL_SM_E_clIPjSE_SF_SF_EESJ_SZ_SK_SL_SM_EUlSZ_E_NS1_11comp_targetILNS1_3genE2ELNS1_11target_archE906ELNS1_3gpuE6ELNS1_3repE0EEENS1_48merge_mergepath_partition_config_static_selectorELNS0_4arch9wavefront6targetE1EEEvSL_,"axG",@progbits,_ZN7rocprim17ROCPRIM_400000_NS6detail17trampoline_kernelINS0_14default_configENS1_38merge_sort_block_merge_config_selectorIjNS0_10empty_typeEEEZZNS1_27merge_sort_block_merge_implIS3_N6thrust23THRUST_200600_302600_NS6detail15normal_iteratorINS9_10device_ptrIjEEEEPS5_jNS1_19radix_merge_compareILb0ELb1EjNS0_19identity_decomposerEEEEE10hipError_tT0_T1_T2_jT3_P12ihipStream_tbPNSt15iterator_traitsISK_E10value_typeEPNSQ_ISL_E10value_typeEPSM_NS1_7vsmem_tEENKUlT_SK_SL_SM_E_clIPjSE_SF_SF_EESJ_SZ_SK_SL_SM_EUlSZ_E_NS1_11comp_targetILNS1_3genE2ELNS1_11target_archE906ELNS1_3gpuE6ELNS1_3repE0EEENS1_48merge_mergepath_partition_config_static_selectorELNS0_4arch9wavefront6targetE1EEEvSL_,comdat
.Lfunc_end1031:
	.size	_ZN7rocprim17ROCPRIM_400000_NS6detail17trampoline_kernelINS0_14default_configENS1_38merge_sort_block_merge_config_selectorIjNS0_10empty_typeEEEZZNS1_27merge_sort_block_merge_implIS3_N6thrust23THRUST_200600_302600_NS6detail15normal_iteratorINS9_10device_ptrIjEEEEPS5_jNS1_19radix_merge_compareILb0ELb1EjNS0_19identity_decomposerEEEEE10hipError_tT0_T1_T2_jT3_P12ihipStream_tbPNSt15iterator_traitsISK_E10value_typeEPNSQ_ISL_E10value_typeEPSM_NS1_7vsmem_tEENKUlT_SK_SL_SM_E_clIPjSE_SF_SF_EESJ_SZ_SK_SL_SM_EUlSZ_E_NS1_11comp_targetILNS1_3genE2ELNS1_11target_archE906ELNS1_3gpuE6ELNS1_3repE0EEENS1_48merge_mergepath_partition_config_static_selectorELNS0_4arch9wavefront6targetE1EEEvSL_, .Lfunc_end1031-_ZN7rocprim17ROCPRIM_400000_NS6detail17trampoline_kernelINS0_14default_configENS1_38merge_sort_block_merge_config_selectorIjNS0_10empty_typeEEEZZNS1_27merge_sort_block_merge_implIS3_N6thrust23THRUST_200600_302600_NS6detail15normal_iteratorINS9_10device_ptrIjEEEEPS5_jNS1_19radix_merge_compareILb0ELb1EjNS0_19identity_decomposerEEEEE10hipError_tT0_T1_T2_jT3_P12ihipStream_tbPNSt15iterator_traitsISK_E10value_typeEPNSQ_ISL_E10value_typeEPSM_NS1_7vsmem_tEENKUlT_SK_SL_SM_E_clIPjSE_SF_SF_EESJ_SZ_SK_SL_SM_EUlSZ_E_NS1_11comp_targetILNS1_3genE2ELNS1_11target_archE906ELNS1_3gpuE6ELNS1_3repE0EEENS1_48merge_mergepath_partition_config_static_selectorELNS0_4arch9wavefront6targetE1EEEvSL_
                                        ; -- End function
	.section	.AMDGPU.csdata,"",@progbits
; Kernel info:
; codeLenInByte = 0
; NumSgprs: 4
; NumVgprs: 0
; NumAgprs: 0
; TotalNumVgprs: 0
; ScratchSize: 0
; MemoryBound: 0
; FloatMode: 240
; IeeeMode: 1
; LDSByteSize: 0 bytes/workgroup (compile time only)
; SGPRBlocks: 0
; VGPRBlocks: 0
; NumSGPRsForWavesPerEU: 4
; NumVGPRsForWavesPerEU: 1
; AccumOffset: 4
; Occupancy: 8
; WaveLimiterHint : 0
; COMPUTE_PGM_RSRC2:SCRATCH_EN: 0
; COMPUTE_PGM_RSRC2:USER_SGPR: 6
; COMPUTE_PGM_RSRC2:TRAP_HANDLER: 0
; COMPUTE_PGM_RSRC2:TGID_X_EN: 1
; COMPUTE_PGM_RSRC2:TGID_Y_EN: 0
; COMPUTE_PGM_RSRC2:TGID_Z_EN: 0
; COMPUTE_PGM_RSRC2:TIDIG_COMP_CNT: 0
; COMPUTE_PGM_RSRC3_GFX90A:ACCUM_OFFSET: 0
; COMPUTE_PGM_RSRC3_GFX90A:TG_SPLIT: 0
	.section	.text._ZN7rocprim17ROCPRIM_400000_NS6detail17trampoline_kernelINS0_14default_configENS1_38merge_sort_block_merge_config_selectorIjNS0_10empty_typeEEEZZNS1_27merge_sort_block_merge_implIS3_N6thrust23THRUST_200600_302600_NS6detail15normal_iteratorINS9_10device_ptrIjEEEEPS5_jNS1_19radix_merge_compareILb0ELb1EjNS0_19identity_decomposerEEEEE10hipError_tT0_T1_T2_jT3_P12ihipStream_tbPNSt15iterator_traitsISK_E10value_typeEPNSQ_ISL_E10value_typeEPSM_NS1_7vsmem_tEENKUlT_SK_SL_SM_E_clIPjSE_SF_SF_EESJ_SZ_SK_SL_SM_EUlSZ_E_NS1_11comp_targetILNS1_3genE9ELNS1_11target_archE1100ELNS1_3gpuE3ELNS1_3repE0EEENS1_48merge_mergepath_partition_config_static_selectorELNS0_4arch9wavefront6targetE1EEEvSL_,"axG",@progbits,_ZN7rocprim17ROCPRIM_400000_NS6detail17trampoline_kernelINS0_14default_configENS1_38merge_sort_block_merge_config_selectorIjNS0_10empty_typeEEEZZNS1_27merge_sort_block_merge_implIS3_N6thrust23THRUST_200600_302600_NS6detail15normal_iteratorINS9_10device_ptrIjEEEEPS5_jNS1_19radix_merge_compareILb0ELb1EjNS0_19identity_decomposerEEEEE10hipError_tT0_T1_T2_jT3_P12ihipStream_tbPNSt15iterator_traitsISK_E10value_typeEPNSQ_ISL_E10value_typeEPSM_NS1_7vsmem_tEENKUlT_SK_SL_SM_E_clIPjSE_SF_SF_EESJ_SZ_SK_SL_SM_EUlSZ_E_NS1_11comp_targetILNS1_3genE9ELNS1_11target_archE1100ELNS1_3gpuE3ELNS1_3repE0EEENS1_48merge_mergepath_partition_config_static_selectorELNS0_4arch9wavefront6targetE1EEEvSL_,comdat
	.protected	_ZN7rocprim17ROCPRIM_400000_NS6detail17trampoline_kernelINS0_14default_configENS1_38merge_sort_block_merge_config_selectorIjNS0_10empty_typeEEEZZNS1_27merge_sort_block_merge_implIS3_N6thrust23THRUST_200600_302600_NS6detail15normal_iteratorINS9_10device_ptrIjEEEEPS5_jNS1_19radix_merge_compareILb0ELb1EjNS0_19identity_decomposerEEEEE10hipError_tT0_T1_T2_jT3_P12ihipStream_tbPNSt15iterator_traitsISK_E10value_typeEPNSQ_ISL_E10value_typeEPSM_NS1_7vsmem_tEENKUlT_SK_SL_SM_E_clIPjSE_SF_SF_EESJ_SZ_SK_SL_SM_EUlSZ_E_NS1_11comp_targetILNS1_3genE9ELNS1_11target_archE1100ELNS1_3gpuE3ELNS1_3repE0EEENS1_48merge_mergepath_partition_config_static_selectorELNS0_4arch9wavefront6targetE1EEEvSL_ ; -- Begin function _ZN7rocprim17ROCPRIM_400000_NS6detail17trampoline_kernelINS0_14default_configENS1_38merge_sort_block_merge_config_selectorIjNS0_10empty_typeEEEZZNS1_27merge_sort_block_merge_implIS3_N6thrust23THRUST_200600_302600_NS6detail15normal_iteratorINS9_10device_ptrIjEEEEPS5_jNS1_19radix_merge_compareILb0ELb1EjNS0_19identity_decomposerEEEEE10hipError_tT0_T1_T2_jT3_P12ihipStream_tbPNSt15iterator_traitsISK_E10value_typeEPNSQ_ISL_E10value_typeEPSM_NS1_7vsmem_tEENKUlT_SK_SL_SM_E_clIPjSE_SF_SF_EESJ_SZ_SK_SL_SM_EUlSZ_E_NS1_11comp_targetILNS1_3genE9ELNS1_11target_archE1100ELNS1_3gpuE3ELNS1_3repE0EEENS1_48merge_mergepath_partition_config_static_selectorELNS0_4arch9wavefront6targetE1EEEvSL_
	.globl	_ZN7rocprim17ROCPRIM_400000_NS6detail17trampoline_kernelINS0_14default_configENS1_38merge_sort_block_merge_config_selectorIjNS0_10empty_typeEEEZZNS1_27merge_sort_block_merge_implIS3_N6thrust23THRUST_200600_302600_NS6detail15normal_iteratorINS9_10device_ptrIjEEEEPS5_jNS1_19radix_merge_compareILb0ELb1EjNS0_19identity_decomposerEEEEE10hipError_tT0_T1_T2_jT3_P12ihipStream_tbPNSt15iterator_traitsISK_E10value_typeEPNSQ_ISL_E10value_typeEPSM_NS1_7vsmem_tEENKUlT_SK_SL_SM_E_clIPjSE_SF_SF_EESJ_SZ_SK_SL_SM_EUlSZ_E_NS1_11comp_targetILNS1_3genE9ELNS1_11target_archE1100ELNS1_3gpuE3ELNS1_3repE0EEENS1_48merge_mergepath_partition_config_static_selectorELNS0_4arch9wavefront6targetE1EEEvSL_
	.p2align	8
	.type	_ZN7rocprim17ROCPRIM_400000_NS6detail17trampoline_kernelINS0_14default_configENS1_38merge_sort_block_merge_config_selectorIjNS0_10empty_typeEEEZZNS1_27merge_sort_block_merge_implIS3_N6thrust23THRUST_200600_302600_NS6detail15normal_iteratorINS9_10device_ptrIjEEEEPS5_jNS1_19radix_merge_compareILb0ELb1EjNS0_19identity_decomposerEEEEE10hipError_tT0_T1_T2_jT3_P12ihipStream_tbPNSt15iterator_traitsISK_E10value_typeEPNSQ_ISL_E10value_typeEPSM_NS1_7vsmem_tEENKUlT_SK_SL_SM_E_clIPjSE_SF_SF_EESJ_SZ_SK_SL_SM_EUlSZ_E_NS1_11comp_targetILNS1_3genE9ELNS1_11target_archE1100ELNS1_3gpuE3ELNS1_3repE0EEENS1_48merge_mergepath_partition_config_static_selectorELNS0_4arch9wavefront6targetE1EEEvSL_,@function
_ZN7rocprim17ROCPRIM_400000_NS6detail17trampoline_kernelINS0_14default_configENS1_38merge_sort_block_merge_config_selectorIjNS0_10empty_typeEEEZZNS1_27merge_sort_block_merge_implIS3_N6thrust23THRUST_200600_302600_NS6detail15normal_iteratorINS9_10device_ptrIjEEEEPS5_jNS1_19radix_merge_compareILb0ELb1EjNS0_19identity_decomposerEEEEE10hipError_tT0_T1_T2_jT3_P12ihipStream_tbPNSt15iterator_traitsISK_E10value_typeEPNSQ_ISL_E10value_typeEPSM_NS1_7vsmem_tEENKUlT_SK_SL_SM_E_clIPjSE_SF_SF_EESJ_SZ_SK_SL_SM_EUlSZ_E_NS1_11comp_targetILNS1_3genE9ELNS1_11target_archE1100ELNS1_3gpuE3ELNS1_3repE0EEENS1_48merge_mergepath_partition_config_static_selectorELNS0_4arch9wavefront6targetE1EEEvSL_: ; @_ZN7rocprim17ROCPRIM_400000_NS6detail17trampoline_kernelINS0_14default_configENS1_38merge_sort_block_merge_config_selectorIjNS0_10empty_typeEEEZZNS1_27merge_sort_block_merge_implIS3_N6thrust23THRUST_200600_302600_NS6detail15normal_iteratorINS9_10device_ptrIjEEEEPS5_jNS1_19radix_merge_compareILb0ELb1EjNS0_19identity_decomposerEEEEE10hipError_tT0_T1_T2_jT3_P12ihipStream_tbPNSt15iterator_traitsISK_E10value_typeEPNSQ_ISL_E10value_typeEPSM_NS1_7vsmem_tEENKUlT_SK_SL_SM_E_clIPjSE_SF_SF_EESJ_SZ_SK_SL_SM_EUlSZ_E_NS1_11comp_targetILNS1_3genE9ELNS1_11target_archE1100ELNS1_3gpuE3ELNS1_3repE0EEENS1_48merge_mergepath_partition_config_static_selectorELNS0_4arch9wavefront6targetE1EEEvSL_
; %bb.0:
	.section	.rodata,"a",@progbits
	.p2align	6, 0x0
	.amdhsa_kernel _ZN7rocprim17ROCPRIM_400000_NS6detail17trampoline_kernelINS0_14default_configENS1_38merge_sort_block_merge_config_selectorIjNS0_10empty_typeEEEZZNS1_27merge_sort_block_merge_implIS3_N6thrust23THRUST_200600_302600_NS6detail15normal_iteratorINS9_10device_ptrIjEEEEPS5_jNS1_19radix_merge_compareILb0ELb1EjNS0_19identity_decomposerEEEEE10hipError_tT0_T1_T2_jT3_P12ihipStream_tbPNSt15iterator_traitsISK_E10value_typeEPNSQ_ISL_E10value_typeEPSM_NS1_7vsmem_tEENKUlT_SK_SL_SM_E_clIPjSE_SF_SF_EESJ_SZ_SK_SL_SM_EUlSZ_E_NS1_11comp_targetILNS1_3genE9ELNS1_11target_archE1100ELNS1_3gpuE3ELNS1_3repE0EEENS1_48merge_mergepath_partition_config_static_selectorELNS0_4arch9wavefront6targetE1EEEvSL_
		.amdhsa_group_segment_fixed_size 0
		.amdhsa_private_segment_fixed_size 0
		.amdhsa_kernarg_size 40
		.amdhsa_user_sgpr_count 6
		.amdhsa_user_sgpr_private_segment_buffer 1
		.amdhsa_user_sgpr_dispatch_ptr 0
		.amdhsa_user_sgpr_queue_ptr 0
		.amdhsa_user_sgpr_kernarg_segment_ptr 1
		.amdhsa_user_sgpr_dispatch_id 0
		.amdhsa_user_sgpr_flat_scratch_init 0
		.amdhsa_user_sgpr_kernarg_preload_length 0
		.amdhsa_user_sgpr_kernarg_preload_offset 0
		.amdhsa_user_sgpr_private_segment_size 0
		.amdhsa_uses_dynamic_stack 0
		.amdhsa_system_sgpr_private_segment_wavefront_offset 0
		.amdhsa_system_sgpr_workgroup_id_x 1
		.amdhsa_system_sgpr_workgroup_id_y 0
		.amdhsa_system_sgpr_workgroup_id_z 0
		.amdhsa_system_sgpr_workgroup_info 0
		.amdhsa_system_vgpr_workitem_id 0
		.amdhsa_next_free_vgpr 1
		.amdhsa_next_free_sgpr 0
		.amdhsa_accum_offset 4
		.amdhsa_reserve_vcc 0
		.amdhsa_reserve_flat_scratch 0
		.amdhsa_float_round_mode_32 0
		.amdhsa_float_round_mode_16_64 0
		.amdhsa_float_denorm_mode_32 3
		.amdhsa_float_denorm_mode_16_64 3
		.amdhsa_dx10_clamp 1
		.amdhsa_ieee_mode 1
		.amdhsa_fp16_overflow 0
		.amdhsa_tg_split 0
		.amdhsa_exception_fp_ieee_invalid_op 0
		.amdhsa_exception_fp_denorm_src 0
		.amdhsa_exception_fp_ieee_div_zero 0
		.amdhsa_exception_fp_ieee_overflow 0
		.amdhsa_exception_fp_ieee_underflow 0
		.amdhsa_exception_fp_ieee_inexact 0
		.amdhsa_exception_int_div_zero 0
	.end_amdhsa_kernel
	.section	.text._ZN7rocprim17ROCPRIM_400000_NS6detail17trampoline_kernelINS0_14default_configENS1_38merge_sort_block_merge_config_selectorIjNS0_10empty_typeEEEZZNS1_27merge_sort_block_merge_implIS3_N6thrust23THRUST_200600_302600_NS6detail15normal_iteratorINS9_10device_ptrIjEEEEPS5_jNS1_19radix_merge_compareILb0ELb1EjNS0_19identity_decomposerEEEEE10hipError_tT0_T1_T2_jT3_P12ihipStream_tbPNSt15iterator_traitsISK_E10value_typeEPNSQ_ISL_E10value_typeEPSM_NS1_7vsmem_tEENKUlT_SK_SL_SM_E_clIPjSE_SF_SF_EESJ_SZ_SK_SL_SM_EUlSZ_E_NS1_11comp_targetILNS1_3genE9ELNS1_11target_archE1100ELNS1_3gpuE3ELNS1_3repE0EEENS1_48merge_mergepath_partition_config_static_selectorELNS0_4arch9wavefront6targetE1EEEvSL_,"axG",@progbits,_ZN7rocprim17ROCPRIM_400000_NS6detail17trampoline_kernelINS0_14default_configENS1_38merge_sort_block_merge_config_selectorIjNS0_10empty_typeEEEZZNS1_27merge_sort_block_merge_implIS3_N6thrust23THRUST_200600_302600_NS6detail15normal_iteratorINS9_10device_ptrIjEEEEPS5_jNS1_19radix_merge_compareILb0ELb1EjNS0_19identity_decomposerEEEEE10hipError_tT0_T1_T2_jT3_P12ihipStream_tbPNSt15iterator_traitsISK_E10value_typeEPNSQ_ISL_E10value_typeEPSM_NS1_7vsmem_tEENKUlT_SK_SL_SM_E_clIPjSE_SF_SF_EESJ_SZ_SK_SL_SM_EUlSZ_E_NS1_11comp_targetILNS1_3genE9ELNS1_11target_archE1100ELNS1_3gpuE3ELNS1_3repE0EEENS1_48merge_mergepath_partition_config_static_selectorELNS0_4arch9wavefront6targetE1EEEvSL_,comdat
.Lfunc_end1032:
	.size	_ZN7rocprim17ROCPRIM_400000_NS6detail17trampoline_kernelINS0_14default_configENS1_38merge_sort_block_merge_config_selectorIjNS0_10empty_typeEEEZZNS1_27merge_sort_block_merge_implIS3_N6thrust23THRUST_200600_302600_NS6detail15normal_iteratorINS9_10device_ptrIjEEEEPS5_jNS1_19radix_merge_compareILb0ELb1EjNS0_19identity_decomposerEEEEE10hipError_tT0_T1_T2_jT3_P12ihipStream_tbPNSt15iterator_traitsISK_E10value_typeEPNSQ_ISL_E10value_typeEPSM_NS1_7vsmem_tEENKUlT_SK_SL_SM_E_clIPjSE_SF_SF_EESJ_SZ_SK_SL_SM_EUlSZ_E_NS1_11comp_targetILNS1_3genE9ELNS1_11target_archE1100ELNS1_3gpuE3ELNS1_3repE0EEENS1_48merge_mergepath_partition_config_static_selectorELNS0_4arch9wavefront6targetE1EEEvSL_, .Lfunc_end1032-_ZN7rocprim17ROCPRIM_400000_NS6detail17trampoline_kernelINS0_14default_configENS1_38merge_sort_block_merge_config_selectorIjNS0_10empty_typeEEEZZNS1_27merge_sort_block_merge_implIS3_N6thrust23THRUST_200600_302600_NS6detail15normal_iteratorINS9_10device_ptrIjEEEEPS5_jNS1_19radix_merge_compareILb0ELb1EjNS0_19identity_decomposerEEEEE10hipError_tT0_T1_T2_jT3_P12ihipStream_tbPNSt15iterator_traitsISK_E10value_typeEPNSQ_ISL_E10value_typeEPSM_NS1_7vsmem_tEENKUlT_SK_SL_SM_E_clIPjSE_SF_SF_EESJ_SZ_SK_SL_SM_EUlSZ_E_NS1_11comp_targetILNS1_3genE9ELNS1_11target_archE1100ELNS1_3gpuE3ELNS1_3repE0EEENS1_48merge_mergepath_partition_config_static_selectorELNS0_4arch9wavefront6targetE1EEEvSL_
                                        ; -- End function
	.section	.AMDGPU.csdata,"",@progbits
; Kernel info:
; codeLenInByte = 0
; NumSgprs: 4
; NumVgprs: 0
; NumAgprs: 0
; TotalNumVgprs: 0
; ScratchSize: 0
; MemoryBound: 0
; FloatMode: 240
; IeeeMode: 1
; LDSByteSize: 0 bytes/workgroup (compile time only)
; SGPRBlocks: 0
; VGPRBlocks: 0
; NumSGPRsForWavesPerEU: 4
; NumVGPRsForWavesPerEU: 1
; AccumOffset: 4
; Occupancy: 8
; WaveLimiterHint : 0
; COMPUTE_PGM_RSRC2:SCRATCH_EN: 0
; COMPUTE_PGM_RSRC2:USER_SGPR: 6
; COMPUTE_PGM_RSRC2:TRAP_HANDLER: 0
; COMPUTE_PGM_RSRC2:TGID_X_EN: 1
; COMPUTE_PGM_RSRC2:TGID_Y_EN: 0
; COMPUTE_PGM_RSRC2:TGID_Z_EN: 0
; COMPUTE_PGM_RSRC2:TIDIG_COMP_CNT: 0
; COMPUTE_PGM_RSRC3_GFX90A:ACCUM_OFFSET: 0
; COMPUTE_PGM_RSRC3_GFX90A:TG_SPLIT: 0
	.section	.text._ZN7rocprim17ROCPRIM_400000_NS6detail17trampoline_kernelINS0_14default_configENS1_38merge_sort_block_merge_config_selectorIjNS0_10empty_typeEEEZZNS1_27merge_sort_block_merge_implIS3_N6thrust23THRUST_200600_302600_NS6detail15normal_iteratorINS9_10device_ptrIjEEEEPS5_jNS1_19radix_merge_compareILb0ELb1EjNS0_19identity_decomposerEEEEE10hipError_tT0_T1_T2_jT3_P12ihipStream_tbPNSt15iterator_traitsISK_E10value_typeEPNSQ_ISL_E10value_typeEPSM_NS1_7vsmem_tEENKUlT_SK_SL_SM_E_clIPjSE_SF_SF_EESJ_SZ_SK_SL_SM_EUlSZ_E_NS1_11comp_targetILNS1_3genE8ELNS1_11target_archE1030ELNS1_3gpuE2ELNS1_3repE0EEENS1_48merge_mergepath_partition_config_static_selectorELNS0_4arch9wavefront6targetE1EEEvSL_,"axG",@progbits,_ZN7rocprim17ROCPRIM_400000_NS6detail17trampoline_kernelINS0_14default_configENS1_38merge_sort_block_merge_config_selectorIjNS0_10empty_typeEEEZZNS1_27merge_sort_block_merge_implIS3_N6thrust23THRUST_200600_302600_NS6detail15normal_iteratorINS9_10device_ptrIjEEEEPS5_jNS1_19radix_merge_compareILb0ELb1EjNS0_19identity_decomposerEEEEE10hipError_tT0_T1_T2_jT3_P12ihipStream_tbPNSt15iterator_traitsISK_E10value_typeEPNSQ_ISL_E10value_typeEPSM_NS1_7vsmem_tEENKUlT_SK_SL_SM_E_clIPjSE_SF_SF_EESJ_SZ_SK_SL_SM_EUlSZ_E_NS1_11comp_targetILNS1_3genE8ELNS1_11target_archE1030ELNS1_3gpuE2ELNS1_3repE0EEENS1_48merge_mergepath_partition_config_static_selectorELNS0_4arch9wavefront6targetE1EEEvSL_,comdat
	.protected	_ZN7rocprim17ROCPRIM_400000_NS6detail17trampoline_kernelINS0_14default_configENS1_38merge_sort_block_merge_config_selectorIjNS0_10empty_typeEEEZZNS1_27merge_sort_block_merge_implIS3_N6thrust23THRUST_200600_302600_NS6detail15normal_iteratorINS9_10device_ptrIjEEEEPS5_jNS1_19radix_merge_compareILb0ELb1EjNS0_19identity_decomposerEEEEE10hipError_tT0_T1_T2_jT3_P12ihipStream_tbPNSt15iterator_traitsISK_E10value_typeEPNSQ_ISL_E10value_typeEPSM_NS1_7vsmem_tEENKUlT_SK_SL_SM_E_clIPjSE_SF_SF_EESJ_SZ_SK_SL_SM_EUlSZ_E_NS1_11comp_targetILNS1_3genE8ELNS1_11target_archE1030ELNS1_3gpuE2ELNS1_3repE0EEENS1_48merge_mergepath_partition_config_static_selectorELNS0_4arch9wavefront6targetE1EEEvSL_ ; -- Begin function _ZN7rocprim17ROCPRIM_400000_NS6detail17trampoline_kernelINS0_14default_configENS1_38merge_sort_block_merge_config_selectorIjNS0_10empty_typeEEEZZNS1_27merge_sort_block_merge_implIS3_N6thrust23THRUST_200600_302600_NS6detail15normal_iteratorINS9_10device_ptrIjEEEEPS5_jNS1_19radix_merge_compareILb0ELb1EjNS0_19identity_decomposerEEEEE10hipError_tT0_T1_T2_jT3_P12ihipStream_tbPNSt15iterator_traitsISK_E10value_typeEPNSQ_ISL_E10value_typeEPSM_NS1_7vsmem_tEENKUlT_SK_SL_SM_E_clIPjSE_SF_SF_EESJ_SZ_SK_SL_SM_EUlSZ_E_NS1_11comp_targetILNS1_3genE8ELNS1_11target_archE1030ELNS1_3gpuE2ELNS1_3repE0EEENS1_48merge_mergepath_partition_config_static_selectorELNS0_4arch9wavefront6targetE1EEEvSL_
	.globl	_ZN7rocprim17ROCPRIM_400000_NS6detail17trampoline_kernelINS0_14default_configENS1_38merge_sort_block_merge_config_selectorIjNS0_10empty_typeEEEZZNS1_27merge_sort_block_merge_implIS3_N6thrust23THRUST_200600_302600_NS6detail15normal_iteratorINS9_10device_ptrIjEEEEPS5_jNS1_19radix_merge_compareILb0ELb1EjNS0_19identity_decomposerEEEEE10hipError_tT0_T1_T2_jT3_P12ihipStream_tbPNSt15iterator_traitsISK_E10value_typeEPNSQ_ISL_E10value_typeEPSM_NS1_7vsmem_tEENKUlT_SK_SL_SM_E_clIPjSE_SF_SF_EESJ_SZ_SK_SL_SM_EUlSZ_E_NS1_11comp_targetILNS1_3genE8ELNS1_11target_archE1030ELNS1_3gpuE2ELNS1_3repE0EEENS1_48merge_mergepath_partition_config_static_selectorELNS0_4arch9wavefront6targetE1EEEvSL_
	.p2align	8
	.type	_ZN7rocprim17ROCPRIM_400000_NS6detail17trampoline_kernelINS0_14default_configENS1_38merge_sort_block_merge_config_selectorIjNS0_10empty_typeEEEZZNS1_27merge_sort_block_merge_implIS3_N6thrust23THRUST_200600_302600_NS6detail15normal_iteratorINS9_10device_ptrIjEEEEPS5_jNS1_19radix_merge_compareILb0ELb1EjNS0_19identity_decomposerEEEEE10hipError_tT0_T1_T2_jT3_P12ihipStream_tbPNSt15iterator_traitsISK_E10value_typeEPNSQ_ISL_E10value_typeEPSM_NS1_7vsmem_tEENKUlT_SK_SL_SM_E_clIPjSE_SF_SF_EESJ_SZ_SK_SL_SM_EUlSZ_E_NS1_11comp_targetILNS1_3genE8ELNS1_11target_archE1030ELNS1_3gpuE2ELNS1_3repE0EEENS1_48merge_mergepath_partition_config_static_selectorELNS0_4arch9wavefront6targetE1EEEvSL_,@function
_ZN7rocprim17ROCPRIM_400000_NS6detail17trampoline_kernelINS0_14default_configENS1_38merge_sort_block_merge_config_selectorIjNS0_10empty_typeEEEZZNS1_27merge_sort_block_merge_implIS3_N6thrust23THRUST_200600_302600_NS6detail15normal_iteratorINS9_10device_ptrIjEEEEPS5_jNS1_19radix_merge_compareILb0ELb1EjNS0_19identity_decomposerEEEEE10hipError_tT0_T1_T2_jT3_P12ihipStream_tbPNSt15iterator_traitsISK_E10value_typeEPNSQ_ISL_E10value_typeEPSM_NS1_7vsmem_tEENKUlT_SK_SL_SM_E_clIPjSE_SF_SF_EESJ_SZ_SK_SL_SM_EUlSZ_E_NS1_11comp_targetILNS1_3genE8ELNS1_11target_archE1030ELNS1_3gpuE2ELNS1_3repE0EEENS1_48merge_mergepath_partition_config_static_selectorELNS0_4arch9wavefront6targetE1EEEvSL_: ; @_ZN7rocprim17ROCPRIM_400000_NS6detail17trampoline_kernelINS0_14default_configENS1_38merge_sort_block_merge_config_selectorIjNS0_10empty_typeEEEZZNS1_27merge_sort_block_merge_implIS3_N6thrust23THRUST_200600_302600_NS6detail15normal_iteratorINS9_10device_ptrIjEEEEPS5_jNS1_19radix_merge_compareILb0ELb1EjNS0_19identity_decomposerEEEEE10hipError_tT0_T1_T2_jT3_P12ihipStream_tbPNSt15iterator_traitsISK_E10value_typeEPNSQ_ISL_E10value_typeEPSM_NS1_7vsmem_tEENKUlT_SK_SL_SM_E_clIPjSE_SF_SF_EESJ_SZ_SK_SL_SM_EUlSZ_E_NS1_11comp_targetILNS1_3genE8ELNS1_11target_archE1030ELNS1_3gpuE2ELNS1_3repE0EEENS1_48merge_mergepath_partition_config_static_selectorELNS0_4arch9wavefront6targetE1EEEvSL_
; %bb.0:
	.section	.rodata,"a",@progbits
	.p2align	6, 0x0
	.amdhsa_kernel _ZN7rocprim17ROCPRIM_400000_NS6detail17trampoline_kernelINS0_14default_configENS1_38merge_sort_block_merge_config_selectorIjNS0_10empty_typeEEEZZNS1_27merge_sort_block_merge_implIS3_N6thrust23THRUST_200600_302600_NS6detail15normal_iteratorINS9_10device_ptrIjEEEEPS5_jNS1_19radix_merge_compareILb0ELb1EjNS0_19identity_decomposerEEEEE10hipError_tT0_T1_T2_jT3_P12ihipStream_tbPNSt15iterator_traitsISK_E10value_typeEPNSQ_ISL_E10value_typeEPSM_NS1_7vsmem_tEENKUlT_SK_SL_SM_E_clIPjSE_SF_SF_EESJ_SZ_SK_SL_SM_EUlSZ_E_NS1_11comp_targetILNS1_3genE8ELNS1_11target_archE1030ELNS1_3gpuE2ELNS1_3repE0EEENS1_48merge_mergepath_partition_config_static_selectorELNS0_4arch9wavefront6targetE1EEEvSL_
		.amdhsa_group_segment_fixed_size 0
		.amdhsa_private_segment_fixed_size 0
		.amdhsa_kernarg_size 40
		.amdhsa_user_sgpr_count 6
		.amdhsa_user_sgpr_private_segment_buffer 1
		.amdhsa_user_sgpr_dispatch_ptr 0
		.amdhsa_user_sgpr_queue_ptr 0
		.amdhsa_user_sgpr_kernarg_segment_ptr 1
		.amdhsa_user_sgpr_dispatch_id 0
		.amdhsa_user_sgpr_flat_scratch_init 0
		.amdhsa_user_sgpr_kernarg_preload_length 0
		.amdhsa_user_sgpr_kernarg_preload_offset 0
		.amdhsa_user_sgpr_private_segment_size 0
		.amdhsa_uses_dynamic_stack 0
		.amdhsa_system_sgpr_private_segment_wavefront_offset 0
		.amdhsa_system_sgpr_workgroup_id_x 1
		.amdhsa_system_sgpr_workgroup_id_y 0
		.amdhsa_system_sgpr_workgroup_id_z 0
		.amdhsa_system_sgpr_workgroup_info 0
		.amdhsa_system_vgpr_workitem_id 0
		.amdhsa_next_free_vgpr 1
		.amdhsa_next_free_sgpr 0
		.amdhsa_accum_offset 4
		.amdhsa_reserve_vcc 0
		.amdhsa_reserve_flat_scratch 0
		.amdhsa_float_round_mode_32 0
		.amdhsa_float_round_mode_16_64 0
		.amdhsa_float_denorm_mode_32 3
		.amdhsa_float_denorm_mode_16_64 3
		.amdhsa_dx10_clamp 1
		.amdhsa_ieee_mode 1
		.amdhsa_fp16_overflow 0
		.amdhsa_tg_split 0
		.amdhsa_exception_fp_ieee_invalid_op 0
		.amdhsa_exception_fp_denorm_src 0
		.amdhsa_exception_fp_ieee_div_zero 0
		.amdhsa_exception_fp_ieee_overflow 0
		.amdhsa_exception_fp_ieee_underflow 0
		.amdhsa_exception_fp_ieee_inexact 0
		.amdhsa_exception_int_div_zero 0
	.end_amdhsa_kernel
	.section	.text._ZN7rocprim17ROCPRIM_400000_NS6detail17trampoline_kernelINS0_14default_configENS1_38merge_sort_block_merge_config_selectorIjNS0_10empty_typeEEEZZNS1_27merge_sort_block_merge_implIS3_N6thrust23THRUST_200600_302600_NS6detail15normal_iteratorINS9_10device_ptrIjEEEEPS5_jNS1_19radix_merge_compareILb0ELb1EjNS0_19identity_decomposerEEEEE10hipError_tT0_T1_T2_jT3_P12ihipStream_tbPNSt15iterator_traitsISK_E10value_typeEPNSQ_ISL_E10value_typeEPSM_NS1_7vsmem_tEENKUlT_SK_SL_SM_E_clIPjSE_SF_SF_EESJ_SZ_SK_SL_SM_EUlSZ_E_NS1_11comp_targetILNS1_3genE8ELNS1_11target_archE1030ELNS1_3gpuE2ELNS1_3repE0EEENS1_48merge_mergepath_partition_config_static_selectorELNS0_4arch9wavefront6targetE1EEEvSL_,"axG",@progbits,_ZN7rocprim17ROCPRIM_400000_NS6detail17trampoline_kernelINS0_14default_configENS1_38merge_sort_block_merge_config_selectorIjNS0_10empty_typeEEEZZNS1_27merge_sort_block_merge_implIS3_N6thrust23THRUST_200600_302600_NS6detail15normal_iteratorINS9_10device_ptrIjEEEEPS5_jNS1_19radix_merge_compareILb0ELb1EjNS0_19identity_decomposerEEEEE10hipError_tT0_T1_T2_jT3_P12ihipStream_tbPNSt15iterator_traitsISK_E10value_typeEPNSQ_ISL_E10value_typeEPSM_NS1_7vsmem_tEENKUlT_SK_SL_SM_E_clIPjSE_SF_SF_EESJ_SZ_SK_SL_SM_EUlSZ_E_NS1_11comp_targetILNS1_3genE8ELNS1_11target_archE1030ELNS1_3gpuE2ELNS1_3repE0EEENS1_48merge_mergepath_partition_config_static_selectorELNS0_4arch9wavefront6targetE1EEEvSL_,comdat
.Lfunc_end1033:
	.size	_ZN7rocprim17ROCPRIM_400000_NS6detail17trampoline_kernelINS0_14default_configENS1_38merge_sort_block_merge_config_selectorIjNS0_10empty_typeEEEZZNS1_27merge_sort_block_merge_implIS3_N6thrust23THRUST_200600_302600_NS6detail15normal_iteratorINS9_10device_ptrIjEEEEPS5_jNS1_19radix_merge_compareILb0ELb1EjNS0_19identity_decomposerEEEEE10hipError_tT0_T1_T2_jT3_P12ihipStream_tbPNSt15iterator_traitsISK_E10value_typeEPNSQ_ISL_E10value_typeEPSM_NS1_7vsmem_tEENKUlT_SK_SL_SM_E_clIPjSE_SF_SF_EESJ_SZ_SK_SL_SM_EUlSZ_E_NS1_11comp_targetILNS1_3genE8ELNS1_11target_archE1030ELNS1_3gpuE2ELNS1_3repE0EEENS1_48merge_mergepath_partition_config_static_selectorELNS0_4arch9wavefront6targetE1EEEvSL_, .Lfunc_end1033-_ZN7rocprim17ROCPRIM_400000_NS6detail17trampoline_kernelINS0_14default_configENS1_38merge_sort_block_merge_config_selectorIjNS0_10empty_typeEEEZZNS1_27merge_sort_block_merge_implIS3_N6thrust23THRUST_200600_302600_NS6detail15normal_iteratorINS9_10device_ptrIjEEEEPS5_jNS1_19radix_merge_compareILb0ELb1EjNS0_19identity_decomposerEEEEE10hipError_tT0_T1_T2_jT3_P12ihipStream_tbPNSt15iterator_traitsISK_E10value_typeEPNSQ_ISL_E10value_typeEPSM_NS1_7vsmem_tEENKUlT_SK_SL_SM_E_clIPjSE_SF_SF_EESJ_SZ_SK_SL_SM_EUlSZ_E_NS1_11comp_targetILNS1_3genE8ELNS1_11target_archE1030ELNS1_3gpuE2ELNS1_3repE0EEENS1_48merge_mergepath_partition_config_static_selectorELNS0_4arch9wavefront6targetE1EEEvSL_
                                        ; -- End function
	.section	.AMDGPU.csdata,"",@progbits
; Kernel info:
; codeLenInByte = 0
; NumSgprs: 4
; NumVgprs: 0
; NumAgprs: 0
; TotalNumVgprs: 0
; ScratchSize: 0
; MemoryBound: 0
; FloatMode: 240
; IeeeMode: 1
; LDSByteSize: 0 bytes/workgroup (compile time only)
; SGPRBlocks: 0
; VGPRBlocks: 0
; NumSGPRsForWavesPerEU: 4
; NumVGPRsForWavesPerEU: 1
; AccumOffset: 4
; Occupancy: 8
; WaveLimiterHint : 0
; COMPUTE_PGM_RSRC2:SCRATCH_EN: 0
; COMPUTE_PGM_RSRC2:USER_SGPR: 6
; COMPUTE_PGM_RSRC2:TRAP_HANDLER: 0
; COMPUTE_PGM_RSRC2:TGID_X_EN: 1
; COMPUTE_PGM_RSRC2:TGID_Y_EN: 0
; COMPUTE_PGM_RSRC2:TGID_Z_EN: 0
; COMPUTE_PGM_RSRC2:TIDIG_COMP_CNT: 0
; COMPUTE_PGM_RSRC3_GFX90A:ACCUM_OFFSET: 0
; COMPUTE_PGM_RSRC3_GFX90A:TG_SPLIT: 0
	.section	.text._ZN7rocprim17ROCPRIM_400000_NS6detail17trampoline_kernelINS0_14default_configENS1_38merge_sort_block_merge_config_selectorIjNS0_10empty_typeEEEZZNS1_27merge_sort_block_merge_implIS3_N6thrust23THRUST_200600_302600_NS6detail15normal_iteratorINS9_10device_ptrIjEEEEPS5_jNS1_19radix_merge_compareILb0ELb1EjNS0_19identity_decomposerEEEEE10hipError_tT0_T1_T2_jT3_P12ihipStream_tbPNSt15iterator_traitsISK_E10value_typeEPNSQ_ISL_E10value_typeEPSM_NS1_7vsmem_tEENKUlT_SK_SL_SM_E_clIPjSE_SF_SF_EESJ_SZ_SK_SL_SM_EUlSZ_E0_NS1_11comp_targetILNS1_3genE0ELNS1_11target_archE4294967295ELNS1_3gpuE0ELNS1_3repE0EEENS1_38merge_mergepath_config_static_selectorELNS0_4arch9wavefront6targetE1EEEvSL_,"axG",@progbits,_ZN7rocprim17ROCPRIM_400000_NS6detail17trampoline_kernelINS0_14default_configENS1_38merge_sort_block_merge_config_selectorIjNS0_10empty_typeEEEZZNS1_27merge_sort_block_merge_implIS3_N6thrust23THRUST_200600_302600_NS6detail15normal_iteratorINS9_10device_ptrIjEEEEPS5_jNS1_19radix_merge_compareILb0ELb1EjNS0_19identity_decomposerEEEEE10hipError_tT0_T1_T2_jT3_P12ihipStream_tbPNSt15iterator_traitsISK_E10value_typeEPNSQ_ISL_E10value_typeEPSM_NS1_7vsmem_tEENKUlT_SK_SL_SM_E_clIPjSE_SF_SF_EESJ_SZ_SK_SL_SM_EUlSZ_E0_NS1_11comp_targetILNS1_3genE0ELNS1_11target_archE4294967295ELNS1_3gpuE0ELNS1_3repE0EEENS1_38merge_mergepath_config_static_selectorELNS0_4arch9wavefront6targetE1EEEvSL_,comdat
	.protected	_ZN7rocprim17ROCPRIM_400000_NS6detail17trampoline_kernelINS0_14default_configENS1_38merge_sort_block_merge_config_selectorIjNS0_10empty_typeEEEZZNS1_27merge_sort_block_merge_implIS3_N6thrust23THRUST_200600_302600_NS6detail15normal_iteratorINS9_10device_ptrIjEEEEPS5_jNS1_19radix_merge_compareILb0ELb1EjNS0_19identity_decomposerEEEEE10hipError_tT0_T1_T2_jT3_P12ihipStream_tbPNSt15iterator_traitsISK_E10value_typeEPNSQ_ISL_E10value_typeEPSM_NS1_7vsmem_tEENKUlT_SK_SL_SM_E_clIPjSE_SF_SF_EESJ_SZ_SK_SL_SM_EUlSZ_E0_NS1_11comp_targetILNS1_3genE0ELNS1_11target_archE4294967295ELNS1_3gpuE0ELNS1_3repE0EEENS1_38merge_mergepath_config_static_selectorELNS0_4arch9wavefront6targetE1EEEvSL_ ; -- Begin function _ZN7rocprim17ROCPRIM_400000_NS6detail17trampoline_kernelINS0_14default_configENS1_38merge_sort_block_merge_config_selectorIjNS0_10empty_typeEEEZZNS1_27merge_sort_block_merge_implIS3_N6thrust23THRUST_200600_302600_NS6detail15normal_iteratorINS9_10device_ptrIjEEEEPS5_jNS1_19radix_merge_compareILb0ELb1EjNS0_19identity_decomposerEEEEE10hipError_tT0_T1_T2_jT3_P12ihipStream_tbPNSt15iterator_traitsISK_E10value_typeEPNSQ_ISL_E10value_typeEPSM_NS1_7vsmem_tEENKUlT_SK_SL_SM_E_clIPjSE_SF_SF_EESJ_SZ_SK_SL_SM_EUlSZ_E0_NS1_11comp_targetILNS1_3genE0ELNS1_11target_archE4294967295ELNS1_3gpuE0ELNS1_3repE0EEENS1_38merge_mergepath_config_static_selectorELNS0_4arch9wavefront6targetE1EEEvSL_
	.globl	_ZN7rocprim17ROCPRIM_400000_NS6detail17trampoline_kernelINS0_14default_configENS1_38merge_sort_block_merge_config_selectorIjNS0_10empty_typeEEEZZNS1_27merge_sort_block_merge_implIS3_N6thrust23THRUST_200600_302600_NS6detail15normal_iteratorINS9_10device_ptrIjEEEEPS5_jNS1_19radix_merge_compareILb0ELb1EjNS0_19identity_decomposerEEEEE10hipError_tT0_T1_T2_jT3_P12ihipStream_tbPNSt15iterator_traitsISK_E10value_typeEPNSQ_ISL_E10value_typeEPSM_NS1_7vsmem_tEENKUlT_SK_SL_SM_E_clIPjSE_SF_SF_EESJ_SZ_SK_SL_SM_EUlSZ_E0_NS1_11comp_targetILNS1_3genE0ELNS1_11target_archE4294967295ELNS1_3gpuE0ELNS1_3repE0EEENS1_38merge_mergepath_config_static_selectorELNS0_4arch9wavefront6targetE1EEEvSL_
	.p2align	8
	.type	_ZN7rocprim17ROCPRIM_400000_NS6detail17trampoline_kernelINS0_14default_configENS1_38merge_sort_block_merge_config_selectorIjNS0_10empty_typeEEEZZNS1_27merge_sort_block_merge_implIS3_N6thrust23THRUST_200600_302600_NS6detail15normal_iteratorINS9_10device_ptrIjEEEEPS5_jNS1_19radix_merge_compareILb0ELb1EjNS0_19identity_decomposerEEEEE10hipError_tT0_T1_T2_jT3_P12ihipStream_tbPNSt15iterator_traitsISK_E10value_typeEPNSQ_ISL_E10value_typeEPSM_NS1_7vsmem_tEENKUlT_SK_SL_SM_E_clIPjSE_SF_SF_EESJ_SZ_SK_SL_SM_EUlSZ_E0_NS1_11comp_targetILNS1_3genE0ELNS1_11target_archE4294967295ELNS1_3gpuE0ELNS1_3repE0EEENS1_38merge_mergepath_config_static_selectorELNS0_4arch9wavefront6targetE1EEEvSL_,@function
_ZN7rocprim17ROCPRIM_400000_NS6detail17trampoline_kernelINS0_14default_configENS1_38merge_sort_block_merge_config_selectorIjNS0_10empty_typeEEEZZNS1_27merge_sort_block_merge_implIS3_N6thrust23THRUST_200600_302600_NS6detail15normal_iteratorINS9_10device_ptrIjEEEEPS5_jNS1_19radix_merge_compareILb0ELb1EjNS0_19identity_decomposerEEEEE10hipError_tT0_T1_T2_jT3_P12ihipStream_tbPNSt15iterator_traitsISK_E10value_typeEPNSQ_ISL_E10value_typeEPSM_NS1_7vsmem_tEENKUlT_SK_SL_SM_E_clIPjSE_SF_SF_EESJ_SZ_SK_SL_SM_EUlSZ_E0_NS1_11comp_targetILNS1_3genE0ELNS1_11target_archE4294967295ELNS1_3gpuE0ELNS1_3repE0EEENS1_38merge_mergepath_config_static_selectorELNS0_4arch9wavefront6targetE1EEEvSL_: ; @_ZN7rocprim17ROCPRIM_400000_NS6detail17trampoline_kernelINS0_14default_configENS1_38merge_sort_block_merge_config_selectorIjNS0_10empty_typeEEEZZNS1_27merge_sort_block_merge_implIS3_N6thrust23THRUST_200600_302600_NS6detail15normal_iteratorINS9_10device_ptrIjEEEEPS5_jNS1_19radix_merge_compareILb0ELb1EjNS0_19identity_decomposerEEEEE10hipError_tT0_T1_T2_jT3_P12ihipStream_tbPNSt15iterator_traitsISK_E10value_typeEPNSQ_ISL_E10value_typeEPSM_NS1_7vsmem_tEENKUlT_SK_SL_SM_E_clIPjSE_SF_SF_EESJ_SZ_SK_SL_SM_EUlSZ_E0_NS1_11comp_targetILNS1_3genE0ELNS1_11target_archE4294967295ELNS1_3gpuE0ELNS1_3repE0EEENS1_38merge_mergepath_config_static_selectorELNS0_4arch9wavefront6targetE1EEEvSL_
; %bb.0:
	.section	.rodata,"a",@progbits
	.p2align	6, 0x0
	.amdhsa_kernel _ZN7rocprim17ROCPRIM_400000_NS6detail17trampoline_kernelINS0_14default_configENS1_38merge_sort_block_merge_config_selectorIjNS0_10empty_typeEEEZZNS1_27merge_sort_block_merge_implIS3_N6thrust23THRUST_200600_302600_NS6detail15normal_iteratorINS9_10device_ptrIjEEEEPS5_jNS1_19radix_merge_compareILb0ELb1EjNS0_19identity_decomposerEEEEE10hipError_tT0_T1_T2_jT3_P12ihipStream_tbPNSt15iterator_traitsISK_E10value_typeEPNSQ_ISL_E10value_typeEPSM_NS1_7vsmem_tEENKUlT_SK_SL_SM_E_clIPjSE_SF_SF_EESJ_SZ_SK_SL_SM_EUlSZ_E0_NS1_11comp_targetILNS1_3genE0ELNS1_11target_archE4294967295ELNS1_3gpuE0ELNS1_3repE0EEENS1_38merge_mergepath_config_static_selectorELNS0_4arch9wavefront6targetE1EEEvSL_
		.amdhsa_group_segment_fixed_size 0
		.amdhsa_private_segment_fixed_size 0
		.amdhsa_kernarg_size 64
		.amdhsa_user_sgpr_count 6
		.amdhsa_user_sgpr_private_segment_buffer 1
		.amdhsa_user_sgpr_dispatch_ptr 0
		.amdhsa_user_sgpr_queue_ptr 0
		.amdhsa_user_sgpr_kernarg_segment_ptr 1
		.amdhsa_user_sgpr_dispatch_id 0
		.amdhsa_user_sgpr_flat_scratch_init 0
		.amdhsa_user_sgpr_kernarg_preload_length 0
		.amdhsa_user_sgpr_kernarg_preload_offset 0
		.amdhsa_user_sgpr_private_segment_size 0
		.amdhsa_uses_dynamic_stack 0
		.amdhsa_system_sgpr_private_segment_wavefront_offset 0
		.amdhsa_system_sgpr_workgroup_id_x 1
		.amdhsa_system_sgpr_workgroup_id_y 0
		.amdhsa_system_sgpr_workgroup_id_z 0
		.amdhsa_system_sgpr_workgroup_info 0
		.amdhsa_system_vgpr_workitem_id 0
		.amdhsa_next_free_vgpr 1
		.amdhsa_next_free_sgpr 0
		.amdhsa_accum_offset 4
		.amdhsa_reserve_vcc 0
		.amdhsa_reserve_flat_scratch 0
		.amdhsa_float_round_mode_32 0
		.amdhsa_float_round_mode_16_64 0
		.amdhsa_float_denorm_mode_32 3
		.amdhsa_float_denorm_mode_16_64 3
		.amdhsa_dx10_clamp 1
		.amdhsa_ieee_mode 1
		.amdhsa_fp16_overflow 0
		.amdhsa_tg_split 0
		.amdhsa_exception_fp_ieee_invalid_op 0
		.amdhsa_exception_fp_denorm_src 0
		.amdhsa_exception_fp_ieee_div_zero 0
		.amdhsa_exception_fp_ieee_overflow 0
		.amdhsa_exception_fp_ieee_underflow 0
		.amdhsa_exception_fp_ieee_inexact 0
		.amdhsa_exception_int_div_zero 0
	.end_amdhsa_kernel
	.section	.text._ZN7rocprim17ROCPRIM_400000_NS6detail17trampoline_kernelINS0_14default_configENS1_38merge_sort_block_merge_config_selectorIjNS0_10empty_typeEEEZZNS1_27merge_sort_block_merge_implIS3_N6thrust23THRUST_200600_302600_NS6detail15normal_iteratorINS9_10device_ptrIjEEEEPS5_jNS1_19radix_merge_compareILb0ELb1EjNS0_19identity_decomposerEEEEE10hipError_tT0_T1_T2_jT3_P12ihipStream_tbPNSt15iterator_traitsISK_E10value_typeEPNSQ_ISL_E10value_typeEPSM_NS1_7vsmem_tEENKUlT_SK_SL_SM_E_clIPjSE_SF_SF_EESJ_SZ_SK_SL_SM_EUlSZ_E0_NS1_11comp_targetILNS1_3genE0ELNS1_11target_archE4294967295ELNS1_3gpuE0ELNS1_3repE0EEENS1_38merge_mergepath_config_static_selectorELNS0_4arch9wavefront6targetE1EEEvSL_,"axG",@progbits,_ZN7rocprim17ROCPRIM_400000_NS6detail17trampoline_kernelINS0_14default_configENS1_38merge_sort_block_merge_config_selectorIjNS0_10empty_typeEEEZZNS1_27merge_sort_block_merge_implIS3_N6thrust23THRUST_200600_302600_NS6detail15normal_iteratorINS9_10device_ptrIjEEEEPS5_jNS1_19radix_merge_compareILb0ELb1EjNS0_19identity_decomposerEEEEE10hipError_tT0_T1_T2_jT3_P12ihipStream_tbPNSt15iterator_traitsISK_E10value_typeEPNSQ_ISL_E10value_typeEPSM_NS1_7vsmem_tEENKUlT_SK_SL_SM_E_clIPjSE_SF_SF_EESJ_SZ_SK_SL_SM_EUlSZ_E0_NS1_11comp_targetILNS1_3genE0ELNS1_11target_archE4294967295ELNS1_3gpuE0ELNS1_3repE0EEENS1_38merge_mergepath_config_static_selectorELNS0_4arch9wavefront6targetE1EEEvSL_,comdat
.Lfunc_end1034:
	.size	_ZN7rocprim17ROCPRIM_400000_NS6detail17trampoline_kernelINS0_14default_configENS1_38merge_sort_block_merge_config_selectorIjNS0_10empty_typeEEEZZNS1_27merge_sort_block_merge_implIS3_N6thrust23THRUST_200600_302600_NS6detail15normal_iteratorINS9_10device_ptrIjEEEEPS5_jNS1_19radix_merge_compareILb0ELb1EjNS0_19identity_decomposerEEEEE10hipError_tT0_T1_T2_jT3_P12ihipStream_tbPNSt15iterator_traitsISK_E10value_typeEPNSQ_ISL_E10value_typeEPSM_NS1_7vsmem_tEENKUlT_SK_SL_SM_E_clIPjSE_SF_SF_EESJ_SZ_SK_SL_SM_EUlSZ_E0_NS1_11comp_targetILNS1_3genE0ELNS1_11target_archE4294967295ELNS1_3gpuE0ELNS1_3repE0EEENS1_38merge_mergepath_config_static_selectorELNS0_4arch9wavefront6targetE1EEEvSL_, .Lfunc_end1034-_ZN7rocprim17ROCPRIM_400000_NS6detail17trampoline_kernelINS0_14default_configENS1_38merge_sort_block_merge_config_selectorIjNS0_10empty_typeEEEZZNS1_27merge_sort_block_merge_implIS3_N6thrust23THRUST_200600_302600_NS6detail15normal_iteratorINS9_10device_ptrIjEEEEPS5_jNS1_19radix_merge_compareILb0ELb1EjNS0_19identity_decomposerEEEEE10hipError_tT0_T1_T2_jT3_P12ihipStream_tbPNSt15iterator_traitsISK_E10value_typeEPNSQ_ISL_E10value_typeEPSM_NS1_7vsmem_tEENKUlT_SK_SL_SM_E_clIPjSE_SF_SF_EESJ_SZ_SK_SL_SM_EUlSZ_E0_NS1_11comp_targetILNS1_3genE0ELNS1_11target_archE4294967295ELNS1_3gpuE0ELNS1_3repE0EEENS1_38merge_mergepath_config_static_selectorELNS0_4arch9wavefront6targetE1EEEvSL_
                                        ; -- End function
	.section	.AMDGPU.csdata,"",@progbits
; Kernel info:
; codeLenInByte = 0
; NumSgprs: 4
; NumVgprs: 0
; NumAgprs: 0
; TotalNumVgprs: 0
; ScratchSize: 0
; MemoryBound: 0
; FloatMode: 240
; IeeeMode: 1
; LDSByteSize: 0 bytes/workgroup (compile time only)
; SGPRBlocks: 0
; VGPRBlocks: 0
; NumSGPRsForWavesPerEU: 4
; NumVGPRsForWavesPerEU: 1
; AccumOffset: 4
; Occupancy: 8
; WaveLimiterHint : 0
; COMPUTE_PGM_RSRC2:SCRATCH_EN: 0
; COMPUTE_PGM_RSRC2:USER_SGPR: 6
; COMPUTE_PGM_RSRC2:TRAP_HANDLER: 0
; COMPUTE_PGM_RSRC2:TGID_X_EN: 1
; COMPUTE_PGM_RSRC2:TGID_Y_EN: 0
; COMPUTE_PGM_RSRC2:TGID_Z_EN: 0
; COMPUTE_PGM_RSRC2:TIDIG_COMP_CNT: 0
; COMPUTE_PGM_RSRC3_GFX90A:ACCUM_OFFSET: 0
; COMPUTE_PGM_RSRC3_GFX90A:TG_SPLIT: 0
	.section	.text._ZN7rocprim17ROCPRIM_400000_NS6detail17trampoline_kernelINS0_14default_configENS1_38merge_sort_block_merge_config_selectorIjNS0_10empty_typeEEEZZNS1_27merge_sort_block_merge_implIS3_N6thrust23THRUST_200600_302600_NS6detail15normal_iteratorINS9_10device_ptrIjEEEEPS5_jNS1_19radix_merge_compareILb0ELb1EjNS0_19identity_decomposerEEEEE10hipError_tT0_T1_T2_jT3_P12ihipStream_tbPNSt15iterator_traitsISK_E10value_typeEPNSQ_ISL_E10value_typeEPSM_NS1_7vsmem_tEENKUlT_SK_SL_SM_E_clIPjSE_SF_SF_EESJ_SZ_SK_SL_SM_EUlSZ_E0_NS1_11comp_targetILNS1_3genE10ELNS1_11target_archE1201ELNS1_3gpuE5ELNS1_3repE0EEENS1_38merge_mergepath_config_static_selectorELNS0_4arch9wavefront6targetE1EEEvSL_,"axG",@progbits,_ZN7rocprim17ROCPRIM_400000_NS6detail17trampoline_kernelINS0_14default_configENS1_38merge_sort_block_merge_config_selectorIjNS0_10empty_typeEEEZZNS1_27merge_sort_block_merge_implIS3_N6thrust23THRUST_200600_302600_NS6detail15normal_iteratorINS9_10device_ptrIjEEEEPS5_jNS1_19radix_merge_compareILb0ELb1EjNS0_19identity_decomposerEEEEE10hipError_tT0_T1_T2_jT3_P12ihipStream_tbPNSt15iterator_traitsISK_E10value_typeEPNSQ_ISL_E10value_typeEPSM_NS1_7vsmem_tEENKUlT_SK_SL_SM_E_clIPjSE_SF_SF_EESJ_SZ_SK_SL_SM_EUlSZ_E0_NS1_11comp_targetILNS1_3genE10ELNS1_11target_archE1201ELNS1_3gpuE5ELNS1_3repE0EEENS1_38merge_mergepath_config_static_selectorELNS0_4arch9wavefront6targetE1EEEvSL_,comdat
	.protected	_ZN7rocprim17ROCPRIM_400000_NS6detail17trampoline_kernelINS0_14default_configENS1_38merge_sort_block_merge_config_selectorIjNS0_10empty_typeEEEZZNS1_27merge_sort_block_merge_implIS3_N6thrust23THRUST_200600_302600_NS6detail15normal_iteratorINS9_10device_ptrIjEEEEPS5_jNS1_19radix_merge_compareILb0ELb1EjNS0_19identity_decomposerEEEEE10hipError_tT0_T1_T2_jT3_P12ihipStream_tbPNSt15iterator_traitsISK_E10value_typeEPNSQ_ISL_E10value_typeEPSM_NS1_7vsmem_tEENKUlT_SK_SL_SM_E_clIPjSE_SF_SF_EESJ_SZ_SK_SL_SM_EUlSZ_E0_NS1_11comp_targetILNS1_3genE10ELNS1_11target_archE1201ELNS1_3gpuE5ELNS1_3repE0EEENS1_38merge_mergepath_config_static_selectorELNS0_4arch9wavefront6targetE1EEEvSL_ ; -- Begin function _ZN7rocprim17ROCPRIM_400000_NS6detail17trampoline_kernelINS0_14default_configENS1_38merge_sort_block_merge_config_selectorIjNS0_10empty_typeEEEZZNS1_27merge_sort_block_merge_implIS3_N6thrust23THRUST_200600_302600_NS6detail15normal_iteratorINS9_10device_ptrIjEEEEPS5_jNS1_19radix_merge_compareILb0ELb1EjNS0_19identity_decomposerEEEEE10hipError_tT0_T1_T2_jT3_P12ihipStream_tbPNSt15iterator_traitsISK_E10value_typeEPNSQ_ISL_E10value_typeEPSM_NS1_7vsmem_tEENKUlT_SK_SL_SM_E_clIPjSE_SF_SF_EESJ_SZ_SK_SL_SM_EUlSZ_E0_NS1_11comp_targetILNS1_3genE10ELNS1_11target_archE1201ELNS1_3gpuE5ELNS1_3repE0EEENS1_38merge_mergepath_config_static_selectorELNS0_4arch9wavefront6targetE1EEEvSL_
	.globl	_ZN7rocprim17ROCPRIM_400000_NS6detail17trampoline_kernelINS0_14default_configENS1_38merge_sort_block_merge_config_selectorIjNS0_10empty_typeEEEZZNS1_27merge_sort_block_merge_implIS3_N6thrust23THRUST_200600_302600_NS6detail15normal_iteratorINS9_10device_ptrIjEEEEPS5_jNS1_19radix_merge_compareILb0ELb1EjNS0_19identity_decomposerEEEEE10hipError_tT0_T1_T2_jT3_P12ihipStream_tbPNSt15iterator_traitsISK_E10value_typeEPNSQ_ISL_E10value_typeEPSM_NS1_7vsmem_tEENKUlT_SK_SL_SM_E_clIPjSE_SF_SF_EESJ_SZ_SK_SL_SM_EUlSZ_E0_NS1_11comp_targetILNS1_3genE10ELNS1_11target_archE1201ELNS1_3gpuE5ELNS1_3repE0EEENS1_38merge_mergepath_config_static_selectorELNS0_4arch9wavefront6targetE1EEEvSL_
	.p2align	8
	.type	_ZN7rocprim17ROCPRIM_400000_NS6detail17trampoline_kernelINS0_14default_configENS1_38merge_sort_block_merge_config_selectorIjNS0_10empty_typeEEEZZNS1_27merge_sort_block_merge_implIS3_N6thrust23THRUST_200600_302600_NS6detail15normal_iteratorINS9_10device_ptrIjEEEEPS5_jNS1_19radix_merge_compareILb0ELb1EjNS0_19identity_decomposerEEEEE10hipError_tT0_T1_T2_jT3_P12ihipStream_tbPNSt15iterator_traitsISK_E10value_typeEPNSQ_ISL_E10value_typeEPSM_NS1_7vsmem_tEENKUlT_SK_SL_SM_E_clIPjSE_SF_SF_EESJ_SZ_SK_SL_SM_EUlSZ_E0_NS1_11comp_targetILNS1_3genE10ELNS1_11target_archE1201ELNS1_3gpuE5ELNS1_3repE0EEENS1_38merge_mergepath_config_static_selectorELNS0_4arch9wavefront6targetE1EEEvSL_,@function
_ZN7rocprim17ROCPRIM_400000_NS6detail17trampoline_kernelINS0_14default_configENS1_38merge_sort_block_merge_config_selectorIjNS0_10empty_typeEEEZZNS1_27merge_sort_block_merge_implIS3_N6thrust23THRUST_200600_302600_NS6detail15normal_iteratorINS9_10device_ptrIjEEEEPS5_jNS1_19radix_merge_compareILb0ELb1EjNS0_19identity_decomposerEEEEE10hipError_tT0_T1_T2_jT3_P12ihipStream_tbPNSt15iterator_traitsISK_E10value_typeEPNSQ_ISL_E10value_typeEPSM_NS1_7vsmem_tEENKUlT_SK_SL_SM_E_clIPjSE_SF_SF_EESJ_SZ_SK_SL_SM_EUlSZ_E0_NS1_11comp_targetILNS1_3genE10ELNS1_11target_archE1201ELNS1_3gpuE5ELNS1_3repE0EEENS1_38merge_mergepath_config_static_selectorELNS0_4arch9wavefront6targetE1EEEvSL_: ; @_ZN7rocprim17ROCPRIM_400000_NS6detail17trampoline_kernelINS0_14default_configENS1_38merge_sort_block_merge_config_selectorIjNS0_10empty_typeEEEZZNS1_27merge_sort_block_merge_implIS3_N6thrust23THRUST_200600_302600_NS6detail15normal_iteratorINS9_10device_ptrIjEEEEPS5_jNS1_19radix_merge_compareILb0ELb1EjNS0_19identity_decomposerEEEEE10hipError_tT0_T1_T2_jT3_P12ihipStream_tbPNSt15iterator_traitsISK_E10value_typeEPNSQ_ISL_E10value_typeEPSM_NS1_7vsmem_tEENKUlT_SK_SL_SM_E_clIPjSE_SF_SF_EESJ_SZ_SK_SL_SM_EUlSZ_E0_NS1_11comp_targetILNS1_3genE10ELNS1_11target_archE1201ELNS1_3gpuE5ELNS1_3repE0EEENS1_38merge_mergepath_config_static_selectorELNS0_4arch9wavefront6targetE1EEEvSL_
; %bb.0:
	.section	.rodata,"a",@progbits
	.p2align	6, 0x0
	.amdhsa_kernel _ZN7rocprim17ROCPRIM_400000_NS6detail17trampoline_kernelINS0_14default_configENS1_38merge_sort_block_merge_config_selectorIjNS0_10empty_typeEEEZZNS1_27merge_sort_block_merge_implIS3_N6thrust23THRUST_200600_302600_NS6detail15normal_iteratorINS9_10device_ptrIjEEEEPS5_jNS1_19radix_merge_compareILb0ELb1EjNS0_19identity_decomposerEEEEE10hipError_tT0_T1_T2_jT3_P12ihipStream_tbPNSt15iterator_traitsISK_E10value_typeEPNSQ_ISL_E10value_typeEPSM_NS1_7vsmem_tEENKUlT_SK_SL_SM_E_clIPjSE_SF_SF_EESJ_SZ_SK_SL_SM_EUlSZ_E0_NS1_11comp_targetILNS1_3genE10ELNS1_11target_archE1201ELNS1_3gpuE5ELNS1_3repE0EEENS1_38merge_mergepath_config_static_selectorELNS0_4arch9wavefront6targetE1EEEvSL_
		.amdhsa_group_segment_fixed_size 0
		.amdhsa_private_segment_fixed_size 0
		.amdhsa_kernarg_size 64
		.amdhsa_user_sgpr_count 6
		.amdhsa_user_sgpr_private_segment_buffer 1
		.amdhsa_user_sgpr_dispatch_ptr 0
		.amdhsa_user_sgpr_queue_ptr 0
		.amdhsa_user_sgpr_kernarg_segment_ptr 1
		.amdhsa_user_sgpr_dispatch_id 0
		.amdhsa_user_sgpr_flat_scratch_init 0
		.amdhsa_user_sgpr_kernarg_preload_length 0
		.amdhsa_user_sgpr_kernarg_preload_offset 0
		.amdhsa_user_sgpr_private_segment_size 0
		.amdhsa_uses_dynamic_stack 0
		.amdhsa_system_sgpr_private_segment_wavefront_offset 0
		.amdhsa_system_sgpr_workgroup_id_x 1
		.amdhsa_system_sgpr_workgroup_id_y 0
		.amdhsa_system_sgpr_workgroup_id_z 0
		.amdhsa_system_sgpr_workgroup_info 0
		.amdhsa_system_vgpr_workitem_id 0
		.amdhsa_next_free_vgpr 1
		.amdhsa_next_free_sgpr 0
		.amdhsa_accum_offset 4
		.amdhsa_reserve_vcc 0
		.amdhsa_reserve_flat_scratch 0
		.amdhsa_float_round_mode_32 0
		.amdhsa_float_round_mode_16_64 0
		.amdhsa_float_denorm_mode_32 3
		.amdhsa_float_denorm_mode_16_64 3
		.amdhsa_dx10_clamp 1
		.amdhsa_ieee_mode 1
		.amdhsa_fp16_overflow 0
		.amdhsa_tg_split 0
		.amdhsa_exception_fp_ieee_invalid_op 0
		.amdhsa_exception_fp_denorm_src 0
		.amdhsa_exception_fp_ieee_div_zero 0
		.amdhsa_exception_fp_ieee_overflow 0
		.amdhsa_exception_fp_ieee_underflow 0
		.amdhsa_exception_fp_ieee_inexact 0
		.amdhsa_exception_int_div_zero 0
	.end_amdhsa_kernel
	.section	.text._ZN7rocprim17ROCPRIM_400000_NS6detail17trampoline_kernelINS0_14default_configENS1_38merge_sort_block_merge_config_selectorIjNS0_10empty_typeEEEZZNS1_27merge_sort_block_merge_implIS3_N6thrust23THRUST_200600_302600_NS6detail15normal_iteratorINS9_10device_ptrIjEEEEPS5_jNS1_19radix_merge_compareILb0ELb1EjNS0_19identity_decomposerEEEEE10hipError_tT0_T1_T2_jT3_P12ihipStream_tbPNSt15iterator_traitsISK_E10value_typeEPNSQ_ISL_E10value_typeEPSM_NS1_7vsmem_tEENKUlT_SK_SL_SM_E_clIPjSE_SF_SF_EESJ_SZ_SK_SL_SM_EUlSZ_E0_NS1_11comp_targetILNS1_3genE10ELNS1_11target_archE1201ELNS1_3gpuE5ELNS1_3repE0EEENS1_38merge_mergepath_config_static_selectorELNS0_4arch9wavefront6targetE1EEEvSL_,"axG",@progbits,_ZN7rocprim17ROCPRIM_400000_NS6detail17trampoline_kernelINS0_14default_configENS1_38merge_sort_block_merge_config_selectorIjNS0_10empty_typeEEEZZNS1_27merge_sort_block_merge_implIS3_N6thrust23THRUST_200600_302600_NS6detail15normal_iteratorINS9_10device_ptrIjEEEEPS5_jNS1_19radix_merge_compareILb0ELb1EjNS0_19identity_decomposerEEEEE10hipError_tT0_T1_T2_jT3_P12ihipStream_tbPNSt15iterator_traitsISK_E10value_typeEPNSQ_ISL_E10value_typeEPSM_NS1_7vsmem_tEENKUlT_SK_SL_SM_E_clIPjSE_SF_SF_EESJ_SZ_SK_SL_SM_EUlSZ_E0_NS1_11comp_targetILNS1_3genE10ELNS1_11target_archE1201ELNS1_3gpuE5ELNS1_3repE0EEENS1_38merge_mergepath_config_static_selectorELNS0_4arch9wavefront6targetE1EEEvSL_,comdat
.Lfunc_end1035:
	.size	_ZN7rocprim17ROCPRIM_400000_NS6detail17trampoline_kernelINS0_14default_configENS1_38merge_sort_block_merge_config_selectorIjNS0_10empty_typeEEEZZNS1_27merge_sort_block_merge_implIS3_N6thrust23THRUST_200600_302600_NS6detail15normal_iteratorINS9_10device_ptrIjEEEEPS5_jNS1_19radix_merge_compareILb0ELb1EjNS0_19identity_decomposerEEEEE10hipError_tT0_T1_T2_jT3_P12ihipStream_tbPNSt15iterator_traitsISK_E10value_typeEPNSQ_ISL_E10value_typeEPSM_NS1_7vsmem_tEENKUlT_SK_SL_SM_E_clIPjSE_SF_SF_EESJ_SZ_SK_SL_SM_EUlSZ_E0_NS1_11comp_targetILNS1_3genE10ELNS1_11target_archE1201ELNS1_3gpuE5ELNS1_3repE0EEENS1_38merge_mergepath_config_static_selectorELNS0_4arch9wavefront6targetE1EEEvSL_, .Lfunc_end1035-_ZN7rocprim17ROCPRIM_400000_NS6detail17trampoline_kernelINS0_14default_configENS1_38merge_sort_block_merge_config_selectorIjNS0_10empty_typeEEEZZNS1_27merge_sort_block_merge_implIS3_N6thrust23THRUST_200600_302600_NS6detail15normal_iteratorINS9_10device_ptrIjEEEEPS5_jNS1_19radix_merge_compareILb0ELb1EjNS0_19identity_decomposerEEEEE10hipError_tT0_T1_T2_jT3_P12ihipStream_tbPNSt15iterator_traitsISK_E10value_typeEPNSQ_ISL_E10value_typeEPSM_NS1_7vsmem_tEENKUlT_SK_SL_SM_E_clIPjSE_SF_SF_EESJ_SZ_SK_SL_SM_EUlSZ_E0_NS1_11comp_targetILNS1_3genE10ELNS1_11target_archE1201ELNS1_3gpuE5ELNS1_3repE0EEENS1_38merge_mergepath_config_static_selectorELNS0_4arch9wavefront6targetE1EEEvSL_
                                        ; -- End function
	.section	.AMDGPU.csdata,"",@progbits
; Kernel info:
; codeLenInByte = 0
; NumSgprs: 4
; NumVgprs: 0
; NumAgprs: 0
; TotalNumVgprs: 0
; ScratchSize: 0
; MemoryBound: 0
; FloatMode: 240
; IeeeMode: 1
; LDSByteSize: 0 bytes/workgroup (compile time only)
; SGPRBlocks: 0
; VGPRBlocks: 0
; NumSGPRsForWavesPerEU: 4
; NumVGPRsForWavesPerEU: 1
; AccumOffset: 4
; Occupancy: 8
; WaveLimiterHint : 0
; COMPUTE_PGM_RSRC2:SCRATCH_EN: 0
; COMPUTE_PGM_RSRC2:USER_SGPR: 6
; COMPUTE_PGM_RSRC2:TRAP_HANDLER: 0
; COMPUTE_PGM_RSRC2:TGID_X_EN: 1
; COMPUTE_PGM_RSRC2:TGID_Y_EN: 0
; COMPUTE_PGM_RSRC2:TGID_Z_EN: 0
; COMPUTE_PGM_RSRC2:TIDIG_COMP_CNT: 0
; COMPUTE_PGM_RSRC3_GFX90A:ACCUM_OFFSET: 0
; COMPUTE_PGM_RSRC3_GFX90A:TG_SPLIT: 0
	.section	.text._ZN7rocprim17ROCPRIM_400000_NS6detail17trampoline_kernelINS0_14default_configENS1_38merge_sort_block_merge_config_selectorIjNS0_10empty_typeEEEZZNS1_27merge_sort_block_merge_implIS3_N6thrust23THRUST_200600_302600_NS6detail15normal_iteratorINS9_10device_ptrIjEEEEPS5_jNS1_19radix_merge_compareILb0ELb1EjNS0_19identity_decomposerEEEEE10hipError_tT0_T1_T2_jT3_P12ihipStream_tbPNSt15iterator_traitsISK_E10value_typeEPNSQ_ISL_E10value_typeEPSM_NS1_7vsmem_tEENKUlT_SK_SL_SM_E_clIPjSE_SF_SF_EESJ_SZ_SK_SL_SM_EUlSZ_E0_NS1_11comp_targetILNS1_3genE5ELNS1_11target_archE942ELNS1_3gpuE9ELNS1_3repE0EEENS1_38merge_mergepath_config_static_selectorELNS0_4arch9wavefront6targetE1EEEvSL_,"axG",@progbits,_ZN7rocprim17ROCPRIM_400000_NS6detail17trampoline_kernelINS0_14default_configENS1_38merge_sort_block_merge_config_selectorIjNS0_10empty_typeEEEZZNS1_27merge_sort_block_merge_implIS3_N6thrust23THRUST_200600_302600_NS6detail15normal_iteratorINS9_10device_ptrIjEEEEPS5_jNS1_19radix_merge_compareILb0ELb1EjNS0_19identity_decomposerEEEEE10hipError_tT0_T1_T2_jT3_P12ihipStream_tbPNSt15iterator_traitsISK_E10value_typeEPNSQ_ISL_E10value_typeEPSM_NS1_7vsmem_tEENKUlT_SK_SL_SM_E_clIPjSE_SF_SF_EESJ_SZ_SK_SL_SM_EUlSZ_E0_NS1_11comp_targetILNS1_3genE5ELNS1_11target_archE942ELNS1_3gpuE9ELNS1_3repE0EEENS1_38merge_mergepath_config_static_selectorELNS0_4arch9wavefront6targetE1EEEvSL_,comdat
	.protected	_ZN7rocprim17ROCPRIM_400000_NS6detail17trampoline_kernelINS0_14default_configENS1_38merge_sort_block_merge_config_selectorIjNS0_10empty_typeEEEZZNS1_27merge_sort_block_merge_implIS3_N6thrust23THRUST_200600_302600_NS6detail15normal_iteratorINS9_10device_ptrIjEEEEPS5_jNS1_19radix_merge_compareILb0ELb1EjNS0_19identity_decomposerEEEEE10hipError_tT0_T1_T2_jT3_P12ihipStream_tbPNSt15iterator_traitsISK_E10value_typeEPNSQ_ISL_E10value_typeEPSM_NS1_7vsmem_tEENKUlT_SK_SL_SM_E_clIPjSE_SF_SF_EESJ_SZ_SK_SL_SM_EUlSZ_E0_NS1_11comp_targetILNS1_3genE5ELNS1_11target_archE942ELNS1_3gpuE9ELNS1_3repE0EEENS1_38merge_mergepath_config_static_selectorELNS0_4arch9wavefront6targetE1EEEvSL_ ; -- Begin function _ZN7rocprim17ROCPRIM_400000_NS6detail17trampoline_kernelINS0_14default_configENS1_38merge_sort_block_merge_config_selectorIjNS0_10empty_typeEEEZZNS1_27merge_sort_block_merge_implIS3_N6thrust23THRUST_200600_302600_NS6detail15normal_iteratorINS9_10device_ptrIjEEEEPS5_jNS1_19radix_merge_compareILb0ELb1EjNS0_19identity_decomposerEEEEE10hipError_tT0_T1_T2_jT3_P12ihipStream_tbPNSt15iterator_traitsISK_E10value_typeEPNSQ_ISL_E10value_typeEPSM_NS1_7vsmem_tEENKUlT_SK_SL_SM_E_clIPjSE_SF_SF_EESJ_SZ_SK_SL_SM_EUlSZ_E0_NS1_11comp_targetILNS1_3genE5ELNS1_11target_archE942ELNS1_3gpuE9ELNS1_3repE0EEENS1_38merge_mergepath_config_static_selectorELNS0_4arch9wavefront6targetE1EEEvSL_
	.globl	_ZN7rocprim17ROCPRIM_400000_NS6detail17trampoline_kernelINS0_14default_configENS1_38merge_sort_block_merge_config_selectorIjNS0_10empty_typeEEEZZNS1_27merge_sort_block_merge_implIS3_N6thrust23THRUST_200600_302600_NS6detail15normal_iteratorINS9_10device_ptrIjEEEEPS5_jNS1_19radix_merge_compareILb0ELb1EjNS0_19identity_decomposerEEEEE10hipError_tT0_T1_T2_jT3_P12ihipStream_tbPNSt15iterator_traitsISK_E10value_typeEPNSQ_ISL_E10value_typeEPSM_NS1_7vsmem_tEENKUlT_SK_SL_SM_E_clIPjSE_SF_SF_EESJ_SZ_SK_SL_SM_EUlSZ_E0_NS1_11comp_targetILNS1_3genE5ELNS1_11target_archE942ELNS1_3gpuE9ELNS1_3repE0EEENS1_38merge_mergepath_config_static_selectorELNS0_4arch9wavefront6targetE1EEEvSL_
	.p2align	8
	.type	_ZN7rocprim17ROCPRIM_400000_NS6detail17trampoline_kernelINS0_14default_configENS1_38merge_sort_block_merge_config_selectorIjNS0_10empty_typeEEEZZNS1_27merge_sort_block_merge_implIS3_N6thrust23THRUST_200600_302600_NS6detail15normal_iteratorINS9_10device_ptrIjEEEEPS5_jNS1_19radix_merge_compareILb0ELb1EjNS0_19identity_decomposerEEEEE10hipError_tT0_T1_T2_jT3_P12ihipStream_tbPNSt15iterator_traitsISK_E10value_typeEPNSQ_ISL_E10value_typeEPSM_NS1_7vsmem_tEENKUlT_SK_SL_SM_E_clIPjSE_SF_SF_EESJ_SZ_SK_SL_SM_EUlSZ_E0_NS1_11comp_targetILNS1_3genE5ELNS1_11target_archE942ELNS1_3gpuE9ELNS1_3repE0EEENS1_38merge_mergepath_config_static_selectorELNS0_4arch9wavefront6targetE1EEEvSL_,@function
_ZN7rocprim17ROCPRIM_400000_NS6detail17trampoline_kernelINS0_14default_configENS1_38merge_sort_block_merge_config_selectorIjNS0_10empty_typeEEEZZNS1_27merge_sort_block_merge_implIS3_N6thrust23THRUST_200600_302600_NS6detail15normal_iteratorINS9_10device_ptrIjEEEEPS5_jNS1_19radix_merge_compareILb0ELb1EjNS0_19identity_decomposerEEEEE10hipError_tT0_T1_T2_jT3_P12ihipStream_tbPNSt15iterator_traitsISK_E10value_typeEPNSQ_ISL_E10value_typeEPSM_NS1_7vsmem_tEENKUlT_SK_SL_SM_E_clIPjSE_SF_SF_EESJ_SZ_SK_SL_SM_EUlSZ_E0_NS1_11comp_targetILNS1_3genE5ELNS1_11target_archE942ELNS1_3gpuE9ELNS1_3repE0EEENS1_38merge_mergepath_config_static_selectorELNS0_4arch9wavefront6targetE1EEEvSL_: ; @_ZN7rocprim17ROCPRIM_400000_NS6detail17trampoline_kernelINS0_14default_configENS1_38merge_sort_block_merge_config_selectorIjNS0_10empty_typeEEEZZNS1_27merge_sort_block_merge_implIS3_N6thrust23THRUST_200600_302600_NS6detail15normal_iteratorINS9_10device_ptrIjEEEEPS5_jNS1_19radix_merge_compareILb0ELb1EjNS0_19identity_decomposerEEEEE10hipError_tT0_T1_T2_jT3_P12ihipStream_tbPNSt15iterator_traitsISK_E10value_typeEPNSQ_ISL_E10value_typeEPSM_NS1_7vsmem_tEENKUlT_SK_SL_SM_E_clIPjSE_SF_SF_EESJ_SZ_SK_SL_SM_EUlSZ_E0_NS1_11comp_targetILNS1_3genE5ELNS1_11target_archE942ELNS1_3gpuE9ELNS1_3repE0EEENS1_38merge_mergepath_config_static_selectorELNS0_4arch9wavefront6targetE1EEEvSL_
; %bb.0:
	.section	.rodata,"a",@progbits
	.p2align	6, 0x0
	.amdhsa_kernel _ZN7rocprim17ROCPRIM_400000_NS6detail17trampoline_kernelINS0_14default_configENS1_38merge_sort_block_merge_config_selectorIjNS0_10empty_typeEEEZZNS1_27merge_sort_block_merge_implIS3_N6thrust23THRUST_200600_302600_NS6detail15normal_iteratorINS9_10device_ptrIjEEEEPS5_jNS1_19radix_merge_compareILb0ELb1EjNS0_19identity_decomposerEEEEE10hipError_tT0_T1_T2_jT3_P12ihipStream_tbPNSt15iterator_traitsISK_E10value_typeEPNSQ_ISL_E10value_typeEPSM_NS1_7vsmem_tEENKUlT_SK_SL_SM_E_clIPjSE_SF_SF_EESJ_SZ_SK_SL_SM_EUlSZ_E0_NS1_11comp_targetILNS1_3genE5ELNS1_11target_archE942ELNS1_3gpuE9ELNS1_3repE0EEENS1_38merge_mergepath_config_static_selectorELNS0_4arch9wavefront6targetE1EEEvSL_
		.amdhsa_group_segment_fixed_size 0
		.amdhsa_private_segment_fixed_size 0
		.amdhsa_kernarg_size 64
		.amdhsa_user_sgpr_count 6
		.amdhsa_user_sgpr_private_segment_buffer 1
		.amdhsa_user_sgpr_dispatch_ptr 0
		.amdhsa_user_sgpr_queue_ptr 0
		.amdhsa_user_sgpr_kernarg_segment_ptr 1
		.amdhsa_user_sgpr_dispatch_id 0
		.amdhsa_user_sgpr_flat_scratch_init 0
		.amdhsa_user_sgpr_kernarg_preload_length 0
		.amdhsa_user_sgpr_kernarg_preload_offset 0
		.amdhsa_user_sgpr_private_segment_size 0
		.amdhsa_uses_dynamic_stack 0
		.amdhsa_system_sgpr_private_segment_wavefront_offset 0
		.amdhsa_system_sgpr_workgroup_id_x 1
		.amdhsa_system_sgpr_workgroup_id_y 0
		.amdhsa_system_sgpr_workgroup_id_z 0
		.amdhsa_system_sgpr_workgroup_info 0
		.amdhsa_system_vgpr_workitem_id 0
		.amdhsa_next_free_vgpr 1
		.amdhsa_next_free_sgpr 0
		.amdhsa_accum_offset 4
		.amdhsa_reserve_vcc 0
		.amdhsa_reserve_flat_scratch 0
		.amdhsa_float_round_mode_32 0
		.amdhsa_float_round_mode_16_64 0
		.amdhsa_float_denorm_mode_32 3
		.amdhsa_float_denorm_mode_16_64 3
		.amdhsa_dx10_clamp 1
		.amdhsa_ieee_mode 1
		.amdhsa_fp16_overflow 0
		.amdhsa_tg_split 0
		.amdhsa_exception_fp_ieee_invalid_op 0
		.amdhsa_exception_fp_denorm_src 0
		.amdhsa_exception_fp_ieee_div_zero 0
		.amdhsa_exception_fp_ieee_overflow 0
		.amdhsa_exception_fp_ieee_underflow 0
		.amdhsa_exception_fp_ieee_inexact 0
		.amdhsa_exception_int_div_zero 0
	.end_amdhsa_kernel
	.section	.text._ZN7rocprim17ROCPRIM_400000_NS6detail17trampoline_kernelINS0_14default_configENS1_38merge_sort_block_merge_config_selectorIjNS0_10empty_typeEEEZZNS1_27merge_sort_block_merge_implIS3_N6thrust23THRUST_200600_302600_NS6detail15normal_iteratorINS9_10device_ptrIjEEEEPS5_jNS1_19radix_merge_compareILb0ELb1EjNS0_19identity_decomposerEEEEE10hipError_tT0_T1_T2_jT3_P12ihipStream_tbPNSt15iterator_traitsISK_E10value_typeEPNSQ_ISL_E10value_typeEPSM_NS1_7vsmem_tEENKUlT_SK_SL_SM_E_clIPjSE_SF_SF_EESJ_SZ_SK_SL_SM_EUlSZ_E0_NS1_11comp_targetILNS1_3genE5ELNS1_11target_archE942ELNS1_3gpuE9ELNS1_3repE0EEENS1_38merge_mergepath_config_static_selectorELNS0_4arch9wavefront6targetE1EEEvSL_,"axG",@progbits,_ZN7rocprim17ROCPRIM_400000_NS6detail17trampoline_kernelINS0_14default_configENS1_38merge_sort_block_merge_config_selectorIjNS0_10empty_typeEEEZZNS1_27merge_sort_block_merge_implIS3_N6thrust23THRUST_200600_302600_NS6detail15normal_iteratorINS9_10device_ptrIjEEEEPS5_jNS1_19radix_merge_compareILb0ELb1EjNS0_19identity_decomposerEEEEE10hipError_tT0_T1_T2_jT3_P12ihipStream_tbPNSt15iterator_traitsISK_E10value_typeEPNSQ_ISL_E10value_typeEPSM_NS1_7vsmem_tEENKUlT_SK_SL_SM_E_clIPjSE_SF_SF_EESJ_SZ_SK_SL_SM_EUlSZ_E0_NS1_11comp_targetILNS1_3genE5ELNS1_11target_archE942ELNS1_3gpuE9ELNS1_3repE0EEENS1_38merge_mergepath_config_static_selectorELNS0_4arch9wavefront6targetE1EEEvSL_,comdat
.Lfunc_end1036:
	.size	_ZN7rocprim17ROCPRIM_400000_NS6detail17trampoline_kernelINS0_14default_configENS1_38merge_sort_block_merge_config_selectorIjNS0_10empty_typeEEEZZNS1_27merge_sort_block_merge_implIS3_N6thrust23THRUST_200600_302600_NS6detail15normal_iteratorINS9_10device_ptrIjEEEEPS5_jNS1_19radix_merge_compareILb0ELb1EjNS0_19identity_decomposerEEEEE10hipError_tT0_T1_T2_jT3_P12ihipStream_tbPNSt15iterator_traitsISK_E10value_typeEPNSQ_ISL_E10value_typeEPSM_NS1_7vsmem_tEENKUlT_SK_SL_SM_E_clIPjSE_SF_SF_EESJ_SZ_SK_SL_SM_EUlSZ_E0_NS1_11comp_targetILNS1_3genE5ELNS1_11target_archE942ELNS1_3gpuE9ELNS1_3repE0EEENS1_38merge_mergepath_config_static_selectorELNS0_4arch9wavefront6targetE1EEEvSL_, .Lfunc_end1036-_ZN7rocprim17ROCPRIM_400000_NS6detail17trampoline_kernelINS0_14default_configENS1_38merge_sort_block_merge_config_selectorIjNS0_10empty_typeEEEZZNS1_27merge_sort_block_merge_implIS3_N6thrust23THRUST_200600_302600_NS6detail15normal_iteratorINS9_10device_ptrIjEEEEPS5_jNS1_19radix_merge_compareILb0ELb1EjNS0_19identity_decomposerEEEEE10hipError_tT0_T1_T2_jT3_P12ihipStream_tbPNSt15iterator_traitsISK_E10value_typeEPNSQ_ISL_E10value_typeEPSM_NS1_7vsmem_tEENKUlT_SK_SL_SM_E_clIPjSE_SF_SF_EESJ_SZ_SK_SL_SM_EUlSZ_E0_NS1_11comp_targetILNS1_3genE5ELNS1_11target_archE942ELNS1_3gpuE9ELNS1_3repE0EEENS1_38merge_mergepath_config_static_selectorELNS0_4arch9wavefront6targetE1EEEvSL_
                                        ; -- End function
	.section	.AMDGPU.csdata,"",@progbits
; Kernel info:
; codeLenInByte = 0
; NumSgprs: 4
; NumVgprs: 0
; NumAgprs: 0
; TotalNumVgprs: 0
; ScratchSize: 0
; MemoryBound: 0
; FloatMode: 240
; IeeeMode: 1
; LDSByteSize: 0 bytes/workgroup (compile time only)
; SGPRBlocks: 0
; VGPRBlocks: 0
; NumSGPRsForWavesPerEU: 4
; NumVGPRsForWavesPerEU: 1
; AccumOffset: 4
; Occupancy: 8
; WaveLimiterHint : 0
; COMPUTE_PGM_RSRC2:SCRATCH_EN: 0
; COMPUTE_PGM_RSRC2:USER_SGPR: 6
; COMPUTE_PGM_RSRC2:TRAP_HANDLER: 0
; COMPUTE_PGM_RSRC2:TGID_X_EN: 1
; COMPUTE_PGM_RSRC2:TGID_Y_EN: 0
; COMPUTE_PGM_RSRC2:TGID_Z_EN: 0
; COMPUTE_PGM_RSRC2:TIDIG_COMP_CNT: 0
; COMPUTE_PGM_RSRC3_GFX90A:ACCUM_OFFSET: 0
; COMPUTE_PGM_RSRC3_GFX90A:TG_SPLIT: 0
	.section	.text._ZN7rocprim17ROCPRIM_400000_NS6detail17trampoline_kernelINS0_14default_configENS1_38merge_sort_block_merge_config_selectorIjNS0_10empty_typeEEEZZNS1_27merge_sort_block_merge_implIS3_N6thrust23THRUST_200600_302600_NS6detail15normal_iteratorINS9_10device_ptrIjEEEEPS5_jNS1_19radix_merge_compareILb0ELb1EjNS0_19identity_decomposerEEEEE10hipError_tT0_T1_T2_jT3_P12ihipStream_tbPNSt15iterator_traitsISK_E10value_typeEPNSQ_ISL_E10value_typeEPSM_NS1_7vsmem_tEENKUlT_SK_SL_SM_E_clIPjSE_SF_SF_EESJ_SZ_SK_SL_SM_EUlSZ_E0_NS1_11comp_targetILNS1_3genE4ELNS1_11target_archE910ELNS1_3gpuE8ELNS1_3repE0EEENS1_38merge_mergepath_config_static_selectorELNS0_4arch9wavefront6targetE1EEEvSL_,"axG",@progbits,_ZN7rocprim17ROCPRIM_400000_NS6detail17trampoline_kernelINS0_14default_configENS1_38merge_sort_block_merge_config_selectorIjNS0_10empty_typeEEEZZNS1_27merge_sort_block_merge_implIS3_N6thrust23THRUST_200600_302600_NS6detail15normal_iteratorINS9_10device_ptrIjEEEEPS5_jNS1_19radix_merge_compareILb0ELb1EjNS0_19identity_decomposerEEEEE10hipError_tT0_T1_T2_jT3_P12ihipStream_tbPNSt15iterator_traitsISK_E10value_typeEPNSQ_ISL_E10value_typeEPSM_NS1_7vsmem_tEENKUlT_SK_SL_SM_E_clIPjSE_SF_SF_EESJ_SZ_SK_SL_SM_EUlSZ_E0_NS1_11comp_targetILNS1_3genE4ELNS1_11target_archE910ELNS1_3gpuE8ELNS1_3repE0EEENS1_38merge_mergepath_config_static_selectorELNS0_4arch9wavefront6targetE1EEEvSL_,comdat
	.protected	_ZN7rocprim17ROCPRIM_400000_NS6detail17trampoline_kernelINS0_14default_configENS1_38merge_sort_block_merge_config_selectorIjNS0_10empty_typeEEEZZNS1_27merge_sort_block_merge_implIS3_N6thrust23THRUST_200600_302600_NS6detail15normal_iteratorINS9_10device_ptrIjEEEEPS5_jNS1_19radix_merge_compareILb0ELb1EjNS0_19identity_decomposerEEEEE10hipError_tT0_T1_T2_jT3_P12ihipStream_tbPNSt15iterator_traitsISK_E10value_typeEPNSQ_ISL_E10value_typeEPSM_NS1_7vsmem_tEENKUlT_SK_SL_SM_E_clIPjSE_SF_SF_EESJ_SZ_SK_SL_SM_EUlSZ_E0_NS1_11comp_targetILNS1_3genE4ELNS1_11target_archE910ELNS1_3gpuE8ELNS1_3repE0EEENS1_38merge_mergepath_config_static_selectorELNS0_4arch9wavefront6targetE1EEEvSL_ ; -- Begin function _ZN7rocprim17ROCPRIM_400000_NS6detail17trampoline_kernelINS0_14default_configENS1_38merge_sort_block_merge_config_selectorIjNS0_10empty_typeEEEZZNS1_27merge_sort_block_merge_implIS3_N6thrust23THRUST_200600_302600_NS6detail15normal_iteratorINS9_10device_ptrIjEEEEPS5_jNS1_19radix_merge_compareILb0ELb1EjNS0_19identity_decomposerEEEEE10hipError_tT0_T1_T2_jT3_P12ihipStream_tbPNSt15iterator_traitsISK_E10value_typeEPNSQ_ISL_E10value_typeEPSM_NS1_7vsmem_tEENKUlT_SK_SL_SM_E_clIPjSE_SF_SF_EESJ_SZ_SK_SL_SM_EUlSZ_E0_NS1_11comp_targetILNS1_3genE4ELNS1_11target_archE910ELNS1_3gpuE8ELNS1_3repE0EEENS1_38merge_mergepath_config_static_selectorELNS0_4arch9wavefront6targetE1EEEvSL_
	.globl	_ZN7rocprim17ROCPRIM_400000_NS6detail17trampoline_kernelINS0_14default_configENS1_38merge_sort_block_merge_config_selectorIjNS0_10empty_typeEEEZZNS1_27merge_sort_block_merge_implIS3_N6thrust23THRUST_200600_302600_NS6detail15normal_iteratorINS9_10device_ptrIjEEEEPS5_jNS1_19radix_merge_compareILb0ELb1EjNS0_19identity_decomposerEEEEE10hipError_tT0_T1_T2_jT3_P12ihipStream_tbPNSt15iterator_traitsISK_E10value_typeEPNSQ_ISL_E10value_typeEPSM_NS1_7vsmem_tEENKUlT_SK_SL_SM_E_clIPjSE_SF_SF_EESJ_SZ_SK_SL_SM_EUlSZ_E0_NS1_11comp_targetILNS1_3genE4ELNS1_11target_archE910ELNS1_3gpuE8ELNS1_3repE0EEENS1_38merge_mergepath_config_static_selectorELNS0_4arch9wavefront6targetE1EEEvSL_
	.p2align	8
	.type	_ZN7rocprim17ROCPRIM_400000_NS6detail17trampoline_kernelINS0_14default_configENS1_38merge_sort_block_merge_config_selectorIjNS0_10empty_typeEEEZZNS1_27merge_sort_block_merge_implIS3_N6thrust23THRUST_200600_302600_NS6detail15normal_iteratorINS9_10device_ptrIjEEEEPS5_jNS1_19radix_merge_compareILb0ELb1EjNS0_19identity_decomposerEEEEE10hipError_tT0_T1_T2_jT3_P12ihipStream_tbPNSt15iterator_traitsISK_E10value_typeEPNSQ_ISL_E10value_typeEPSM_NS1_7vsmem_tEENKUlT_SK_SL_SM_E_clIPjSE_SF_SF_EESJ_SZ_SK_SL_SM_EUlSZ_E0_NS1_11comp_targetILNS1_3genE4ELNS1_11target_archE910ELNS1_3gpuE8ELNS1_3repE0EEENS1_38merge_mergepath_config_static_selectorELNS0_4arch9wavefront6targetE1EEEvSL_,@function
_ZN7rocprim17ROCPRIM_400000_NS6detail17trampoline_kernelINS0_14default_configENS1_38merge_sort_block_merge_config_selectorIjNS0_10empty_typeEEEZZNS1_27merge_sort_block_merge_implIS3_N6thrust23THRUST_200600_302600_NS6detail15normal_iteratorINS9_10device_ptrIjEEEEPS5_jNS1_19radix_merge_compareILb0ELb1EjNS0_19identity_decomposerEEEEE10hipError_tT0_T1_T2_jT3_P12ihipStream_tbPNSt15iterator_traitsISK_E10value_typeEPNSQ_ISL_E10value_typeEPSM_NS1_7vsmem_tEENKUlT_SK_SL_SM_E_clIPjSE_SF_SF_EESJ_SZ_SK_SL_SM_EUlSZ_E0_NS1_11comp_targetILNS1_3genE4ELNS1_11target_archE910ELNS1_3gpuE8ELNS1_3repE0EEENS1_38merge_mergepath_config_static_selectorELNS0_4arch9wavefront6targetE1EEEvSL_: ; @_ZN7rocprim17ROCPRIM_400000_NS6detail17trampoline_kernelINS0_14default_configENS1_38merge_sort_block_merge_config_selectorIjNS0_10empty_typeEEEZZNS1_27merge_sort_block_merge_implIS3_N6thrust23THRUST_200600_302600_NS6detail15normal_iteratorINS9_10device_ptrIjEEEEPS5_jNS1_19radix_merge_compareILb0ELb1EjNS0_19identity_decomposerEEEEE10hipError_tT0_T1_T2_jT3_P12ihipStream_tbPNSt15iterator_traitsISK_E10value_typeEPNSQ_ISL_E10value_typeEPSM_NS1_7vsmem_tEENKUlT_SK_SL_SM_E_clIPjSE_SF_SF_EESJ_SZ_SK_SL_SM_EUlSZ_E0_NS1_11comp_targetILNS1_3genE4ELNS1_11target_archE910ELNS1_3gpuE8ELNS1_3repE0EEENS1_38merge_mergepath_config_static_selectorELNS0_4arch9wavefront6targetE1EEEvSL_
; %bb.0:
	s_load_dwordx2 s[10:11], s[4:5], 0x40
	s_load_dwordx2 s[16:17], s[4:5], 0x30
	s_add_u32 s0, s4, 64
	s_addc_u32 s1, s5, 0
	s_waitcnt lgkmcnt(0)
	s_mul_i32 s2, s11, s8
	s_add_i32 s2, s2, s7
	s_mul_i32 s2, s2, s10
	s_add_i32 s2, s2, s6
	s_cmp_ge_u32 s2, s16
	s_cbranch_scc1 .LBB1037_43
; %bb.1:
	s_load_dwordx2 s[14:15], s[4:5], 0x28
	s_load_dwordx2 s[8:9], s[4:5], 0x38
	;; [unrolled: 1-line block ×3, first 2 shown]
	s_mov_b32 s3, 0
	s_mov_b32 s23, s3
	s_waitcnt lgkmcnt(0)
	s_lshr_b32 s24, s14, 10
	s_cmp_lg_u32 s2, s24
	s_cselect_b64 s[18:19], -1, 0
	s_lshl_b64 s[12:13], s[2:3], 2
	s_add_u32 s8, s8, s12
	s_addc_u32 s9, s9, s13
	s_lshr_b32 s7, s15, 9
	s_and_b32 s7, s7, 0x7ffffe
	s_load_dwordx2 s[8:9], s[8:9], 0x0
	s_sub_i32 s7, 0, s7
	s_and_b32 s11, s2, s7
	s_lshl_b32 s12, s11, 10
	s_lshl_b32 s16, s2, 10
	;; [unrolled: 1-line block ×3, first 2 shown]
	s_sub_i32 s13, s16, s12
	s_add_i32 s11, s11, s15
	s_add_i32 s13, s11, s13
	s_waitcnt lgkmcnt(0)
	s_sub_i32 s22, s13, s8
	s_sub_i32 s13, s13, s9
	s_sub_i32 s11, s11, s12
	s_min_u32 s22, s14, s22
	s_addk_i32 s13, 0x400
	s_or_b32 s7, s2, s7
	s_min_u32 s12, s14, s11
	s_add_i32 s11, s11, s15
	s_cmp_eq_u32 s7, -1
	s_cselect_b32 s7, s11, s13
	s_cselect_b32 s9, s12, s9
	s_min_u32 s7, s7, s14
	s_sub_i32 s15, s9, s8
	s_mov_b32 s9, s3
	s_sub_i32 s7, s7, s22
	s_lshl_b64 s[8:9], s[8:9], 2
	s_add_u32 s11, s20, s8
	s_addc_u32 s12, s21, s9
	s_lshl_b64 s[8:9], s[22:23], 2
	s_add_u32 s8, s20, s8
	s_addc_u32 s9, s21, s9
	s_cmp_lt_u32 s6, s10
	v_mov_b32_e32 v15, 0
	s_cselect_b32 s3, 12, 18
	global_load_dword v1, v15, s[0:1] offset:14
	s_add_u32 s0, s0, s3
	s_addc_u32 s1, s1, 0
	global_load_ushort v2, v15, s[0:1]
	s_cmp_eq_u32 s2, s24
	s_waitcnt vmcnt(1)
	v_lshrrev_b32_e32 v3, 16, v1
	v_and_b32_e32 v1, 0xffff, v1
	v_mul_lo_u32 v1, v1, v3
	s_waitcnt vmcnt(0)
	v_mul_lo_u32 v16, v1, v2
	v_add_u32_e32 v12, v16, v0
	v_lshlrev_b32_e32 v1, 2, v0
	v_add_u32_e32 v10, v12, v16
	s_cbranch_scc1 .LBB1037_3
; %bb.2:
	v_mov_b32_e32 v2, s12
	v_add_co_u32_e32 v4, vcc, s11, v1
	v_subrev_u32_e32 v14, s15, v0
	v_addc_co_u32_e32 v5, vcc, 0, v2, vcc
	v_lshlrev_b64 v[2:3], 2, v[14:15]
	v_mov_b32_e32 v6, s9
	v_add_co_u32_e32 v2, vcc, s8, v2
	v_addc_co_u32_e32 v3, vcc, v6, v3, vcc
	v_cmp_gt_u32_e32 vcc, s15, v0
	v_mov_b32_e32 v13, v15
	v_cndmask_b32_e32 v3, v3, v5, vcc
	v_cndmask_b32_e32 v2, v2, v4, vcc
	v_lshlrev_b64 v[4:5], 2, v[12:13]
	global_load_dword v2, v[2:3], off
	v_mov_b32_e32 v3, s12
	v_add_co_u32_e32 v6, vcc, s11, v4
	v_subrev_u32_e32 v14, s15, v12
	v_addc_co_u32_e32 v3, vcc, v3, v5, vcc
	v_lshlrev_b64 v[4:5], 2, v[14:15]
	v_mov_b32_e32 v7, s9
	v_add_co_u32_e32 v4, vcc, s8, v4
	v_addc_co_u32_e32 v5, vcc, v7, v5, vcc
	v_cmp_gt_u32_e32 vcc, s15, v12
	v_cndmask_b32_e32 v5, v5, v3, vcc
	v_cndmask_b32_e32 v4, v4, v6, vcc
	v_mov_b32_e32 v11, v15
	global_load_dword v3, v[4:5], off
	v_lshlrev_b64 v[4:5], 2, v[10:11]
	v_mov_b32_e32 v6, s12
	v_add_co_u32_e32 v7, vcc, s11, v4
	v_subrev_u32_e32 v14, s15, v10
	v_addc_co_u32_e32 v6, vcc, v6, v5, vcc
	v_lshlrev_b64 v[4:5], 2, v[14:15]
	v_mov_b32_e32 v8, s9
	v_add_co_u32_e32 v4, vcc, s8, v4
	v_addc_co_u32_e32 v5, vcc, v8, v5, vcc
	v_cmp_gt_u32_e32 vcc, s15, v10
	v_add_u32_e32 v14, v10, v16
	v_cndmask_b32_e32 v5, v5, v6, vcc
	v_cndmask_b32_e32 v4, v4, v7, vcc
	v_lshlrev_b64 v[6:7], 2, v[14:15]
	global_load_dword v4, v[4:5], off
	v_mov_b32_e32 v5, s12
	v_add_co_u32_e32 v8, vcc, s11, v6
	v_addc_co_u32_e32 v5, vcc, v5, v7, vcc
	v_subrev_u32_e32 v6, s15, v14
	v_mov_b32_e32 v7, v15
	v_lshlrev_b64 v[6:7], 2, v[6:7]
	v_mov_b32_e32 v9, s9
	v_add_co_u32_e32 v6, vcc, s8, v6
	v_addc_co_u32_e32 v7, vcc, v9, v7, vcc
	v_cmp_gt_u32_e32 vcc, s15, v14
	v_cndmask_b32_e32 v7, v7, v5, vcc
	v_cndmask_b32_e32 v6, v6, v8, vcc
	v_add_u32_e32 v14, v14, v16
	global_load_dword v5, v[6:7], off
	v_lshlrev_b64 v[6:7], 2, v[14:15]
	v_mov_b32_e32 v8, s12
	v_add_co_u32_e32 v9, vcc, s11, v6
	v_addc_co_u32_e32 v8, vcc, v8, v7, vcc
	v_subrev_u32_e32 v6, s15, v14
	v_mov_b32_e32 v7, v15
	v_lshlrev_b64 v[6:7], 2, v[6:7]
	v_mov_b32_e32 v11, s9
	v_add_co_u32_e32 v6, vcc, s8, v6
	v_addc_co_u32_e32 v7, vcc, v11, v7, vcc
	v_cmp_gt_u32_e32 vcc, s15, v14
	v_add_u32_e32 v14, v14, v16
	v_cndmask_b32_e32 v7, v7, v8, vcc
	v_cndmask_b32_e32 v6, v6, v9, vcc
	v_lshlrev_b64 v[8:9], 2, v[14:15]
	global_load_dword v6, v[6:7], off
	v_mov_b32_e32 v7, s12
	v_add_co_u32_e32 v11, vcc, s11, v8
	v_addc_co_u32_e32 v7, vcc, v7, v9, vcc
	v_subrev_u32_e32 v8, s15, v14
	v_mov_b32_e32 v9, v15
	v_lshlrev_b64 v[8:9], 2, v[8:9]
	v_mov_b32_e32 v13, s9
	v_add_co_u32_e32 v8, vcc, s8, v8
	v_addc_co_u32_e32 v9, vcc, v13, v9, vcc
	v_cmp_gt_u32_e32 vcc, s15, v14
	v_cndmask_b32_e32 v9, v9, v7, vcc
	v_cndmask_b32_e32 v8, v8, v11, vcc
	v_add_u32_e32 v14, v14, v16
	global_load_dword v7, v[8:9], off
	v_lshlrev_b64 v[8:9], 2, v[14:15]
	v_mov_b32_e32 v11, s12
	v_add_co_u32_e32 v13, vcc, s11, v8
	v_addc_co_u32_e32 v11, vcc, v11, v9, vcc
	v_subrev_u32_e32 v8, s15, v14
	v_mov_b32_e32 v9, v15
	v_lshlrev_b64 v[8:9], 2, v[8:9]
	v_mov_b32_e32 v17, s9
	v_add_co_u32_e32 v8, vcc, s8, v8
	v_addc_co_u32_e32 v9, vcc, v17, v9, vcc
	v_cmp_gt_u32_e32 vcc, s15, v14
	v_add_u32_e32 v14, v14, v16
	v_cndmask_b32_e32 v9, v9, v11, vcc
	v_cndmask_b32_e32 v8, v8, v13, vcc
	v_lshlrev_b64 v[18:19], 2, v[14:15]
	global_load_dword v8, v[8:9], off
	v_mov_b32_e32 v9, s12
	v_add_co_u32_e32 v11, vcc, s11, v18
	v_addc_co_u32_e32 v9, vcc, v9, v19, vcc
	v_cmp_gt_u32_e32 vcc, s15, v14
	v_subrev_u32_e32 v14, s15, v14
	v_lshlrev_b64 v[14:15], 2, v[14:15]
	v_mov_b32_e32 v13, s9
	v_add_co_u32_e64 v14, s[0:1], s8, v14
	v_addc_co_u32_e64 v13, s[0:1], v13, v15, s[0:1]
	v_cndmask_b32_e32 v15, v13, v9, vcc
	v_cndmask_b32_e32 v14, v14, v11, vcc
	global_load_dword v9, v[14:15], off
	s_add_i32 s24, s7, s15
	s_load_dwordx2 s[20:21], s[4:5], 0x10
	s_cbranch_execz .LBB1037_4
	s_branch .LBB1037_19
.LBB1037_3:
                                        ; implicit-def: $vgpr2_vgpr3_vgpr4_vgpr5_vgpr6_vgpr7_vgpr8_vgpr9
                                        ; implicit-def: $sgpr24
	s_load_dwordx2 s[20:21], s[4:5], 0x10
.LBB1037_4:
	s_add_i32 s24, s7, s15
	v_cmp_gt_u32_e32 vcc, s24, v0
                                        ; implicit-def: $vgpr2_vgpr3_vgpr4_vgpr5_vgpr6_vgpr7_vgpr8_vgpr9
	s_and_saveexec_b64 s[0:1], vcc
	s_cbranch_execnz .LBB1037_44
; %bb.5:
	s_or_b64 exec, exec, s[0:1]
	v_cmp_gt_u32_e32 vcc, s24, v12
	s_and_saveexec_b64 s[2:3], vcc
	s_cbranch_execnz .LBB1037_45
.LBB1037_6:
	s_or_b64 exec, exec, s[2:3]
	v_cmp_gt_u32_e32 vcc, s24, v10
	s_and_saveexec_b64 s[0:1], vcc
	s_cbranch_execz .LBB1037_8
.LBB1037_7:
	v_mov_b32_e32 v11, 0
	v_lshlrev_b64 v[12:13], 2, v[10:11]
	s_waitcnt vmcnt(5)
	v_mov_b32_e32 v4, s12
	v_add_co_u32_e32 v14, vcc, s11, v12
	v_addc_co_u32_e32 v4, vcc, v4, v13, vcc
	v_subrev_u32_e32 v12, s15, v10
	v_mov_b32_e32 v13, v11
	v_lshlrev_b64 v[12:13], 2, v[12:13]
	v_mov_b32_e32 v11, s9
	v_add_co_u32_e32 v12, vcc, s8, v12
	v_addc_co_u32_e32 v11, vcc, v11, v13, vcc
	v_cmp_gt_u32_e32 vcc, s15, v10
	v_cndmask_b32_e32 v13, v11, v4, vcc
	v_cndmask_b32_e32 v12, v12, v14, vcc
	global_load_dword v4, v[12:13], off
.LBB1037_8:
	s_or_b64 exec, exec, s[0:1]
	v_add_u32_e32 v10, v10, v16
	v_cmp_gt_u32_e32 vcc, s24, v10
	s_and_saveexec_b64 s[0:1], vcc
	s_cbranch_execz .LBB1037_10
; %bb.9:
	v_mov_b32_e32 v11, 0
	v_lshlrev_b64 v[12:13], 2, v[10:11]
	s_waitcnt vmcnt(4)
	v_mov_b32_e32 v5, s12
	v_add_co_u32_e32 v14, vcc, s11, v12
	v_addc_co_u32_e32 v5, vcc, v5, v13, vcc
	v_subrev_u32_e32 v12, s15, v10
	v_mov_b32_e32 v13, v11
	v_lshlrev_b64 v[12:13], 2, v[12:13]
	v_mov_b32_e32 v11, s9
	v_add_co_u32_e32 v12, vcc, s8, v12
	v_addc_co_u32_e32 v11, vcc, v11, v13, vcc
	v_cmp_gt_u32_e32 vcc, s15, v10
	v_cndmask_b32_e32 v13, v11, v5, vcc
	v_cndmask_b32_e32 v12, v12, v14, vcc
	global_load_dword v5, v[12:13], off
.LBB1037_10:
	s_or_b64 exec, exec, s[0:1]
	v_add_u32_e32 v10, v10, v16
	v_cmp_gt_u32_e32 vcc, s24, v10
	s_and_saveexec_b64 s[0:1], vcc
	s_cbranch_execz .LBB1037_12
; %bb.11:
	v_mov_b32_e32 v11, 0
	v_lshlrev_b64 v[12:13], 2, v[10:11]
	s_waitcnt vmcnt(3)
	v_mov_b32_e32 v6, s12
	v_add_co_u32_e32 v14, vcc, s11, v12
	v_addc_co_u32_e32 v6, vcc, v6, v13, vcc
	v_subrev_u32_e32 v12, s15, v10
	v_mov_b32_e32 v13, v11
	v_lshlrev_b64 v[12:13], 2, v[12:13]
	v_mov_b32_e32 v11, s9
	v_add_co_u32_e32 v12, vcc, s8, v12
	v_addc_co_u32_e32 v11, vcc, v11, v13, vcc
	v_cmp_gt_u32_e32 vcc, s15, v10
	v_cndmask_b32_e32 v13, v11, v6, vcc
	v_cndmask_b32_e32 v12, v12, v14, vcc
	global_load_dword v6, v[12:13], off
.LBB1037_12:
	;; [unrolled: 23-line block ×4, first 2 shown]
	s_or_b64 exec, exec, s[0:1]
	v_add_u32_e32 v10, v10, v16
	v_cmp_gt_u32_e32 vcc, s24, v10
	s_and_saveexec_b64 s[2:3], vcc
	s_cbranch_execz .LBB1037_18
; %bb.17:
	v_mov_b32_e32 v11, 0
	v_lshlrev_b64 v[12:13], 2, v[10:11]
	s_waitcnt vmcnt(0)
	v_mov_b32_e32 v9, s12
	v_add_co_u32_e32 v12, vcc, s11, v12
	v_addc_co_u32_e32 v9, vcc, v9, v13, vcc
	v_cmp_gt_u32_e32 vcc, s15, v10
	v_subrev_u32_e32 v10, s15, v10
	v_lshlrev_b64 v[10:11], 2, v[10:11]
	v_mov_b32_e32 v13, s9
	v_add_co_u32_e64 v10, s[0:1], s8, v10
	v_addc_co_u32_e64 v11, s[0:1], v13, v11, s[0:1]
	v_cndmask_b32_e32 v11, v11, v9, vcc
	v_cndmask_b32_e32 v10, v10, v12, vcc
	global_load_dword v9, v[10:11], off
.LBB1037_18:
	s_or_b64 exec, exec, s[2:3]
.LBB1037_19:
	v_lshlrev_b32_e32 v10, 3, v0
	v_min_u32_e32 v12, s24, v10
	v_sub_u32_e64 v11, v12, s7 clamp
	v_min_u32_e32 v13, s15, v12
	v_cmp_lt_u32_e32 vcc, v11, v13
	s_waitcnt vmcnt(0)
	ds_write2st64_b32 v1, v2, v3 offset1:2
	ds_write2st64_b32 v1, v4, v5 offset0:4 offset1:6
	ds_write2st64_b32 v1, v6, v7 offset0:8 offset1:10
	;; [unrolled: 1-line block ×3, first 2 shown]
	s_waitcnt lgkmcnt(0)
	s_barrier
	s_and_saveexec_b64 s[0:1], vcc
	s_cbranch_execz .LBB1037_23
; %bb.20:
	v_lshlrev_b32_e32 v14, 2, v12
	v_lshl_add_u32 v14, s15, 2, v14
	s_mov_b64 s[2:3], 0
.LBB1037_21:                            ; =>This Inner Loop Header: Depth=1
	v_add_u32_e32 v15, v13, v11
	v_lshrrev_b32_e32 v15, 1, v15
	v_not_b32_e32 v16, v15
	v_lshlrev_b32_e32 v17, 2, v15
	v_lshl_add_u32 v16, v16, 2, v14
	ds_read_b32 v17, v17
	ds_read_b32 v16, v16
	v_add_u32_e32 v18, 1, v15
	s_waitcnt lgkmcnt(1)
	v_and_b32_e32 v17, s17, v17
	s_waitcnt lgkmcnt(0)
	v_and_b32_e32 v16, s17, v16
	v_cmp_gt_u32_e32 vcc, v17, v16
	v_cndmask_b32_e32 v13, v13, v15, vcc
	v_cndmask_b32_e32 v11, v18, v11, vcc
	v_cmp_ge_u32_e32 vcc, v11, v13
	s_or_b64 s[2:3], vcc, s[2:3]
	s_andn2_b64 exec, exec, s[2:3]
	s_cbranch_execnz .LBB1037_21
; %bb.22:
	s_or_b64 exec, exec, s[2:3]
.LBB1037_23:
	s_or_b64 exec, exec, s[0:1]
	v_sub_u32_e32 v12, v12, v11
	v_add_u32_e32 v12, s15, v12
	v_cmp_ge_u32_e32 vcc, s15, v11
	v_cmp_ge_u32_e64 s[0:1], s24, v12
	s_or_b64 s[0:1], vcc, s[0:1]
	s_and_saveexec_b64 s[22:23], s[0:1]
	s_cbranch_execz .LBB1037_29
; %bb.24:
	v_cmp_gt_u32_e32 vcc, s15, v11
                                        ; implicit-def: $vgpr2
	s_and_saveexec_b64 s[0:1], vcc
	s_cbranch_execz .LBB1037_26
; %bb.25:
	v_lshlrev_b32_e32 v2, 2, v11
	ds_read_b32 v2, v2
.LBB1037_26:
	s_or_b64 exec, exec, s[0:1]
	v_cmp_le_u32_e64 s[0:1], s24, v12
	v_cmp_gt_u32_e64 s[2:3], s24, v12
                                        ; implicit-def: $vgpr3
	s_and_saveexec_b64 s[4:5], s[2:3]
	s_cbranch_execz .LBB1037_28
; %bb.27:
	v_lshlrev_b32_e32 v3, 2, v12
	ds_read_b32 v3, v3
.LBB1037_28:
	s_or_b64 exec, exec, s[4:5]
	s_waitcnt lgkmcnt(0)
	v_and_b32_e32 v4, s17, v3
	v_and_b32_e32 v5, s17, v2
	v_cmp_le_u32_e64 s[2:3], v5, v4
	s_and_b64 s[2:3], vcc, s[2:3]
	s_or_b64 vcc, s[0:1], s[2:3]
	v_mov_b32_e32 v5, s24
	v_mov_b32_e32 v6, s15
	v_cndmask_b32_e32 v4, v12, v11, vcc
	v_cndmask_b32_e32 v7, v5, v6, vcc
	v_add_u32_e32 v4, 1, v4
	v_add_u32_e32 v7, -1, v7
	v_min_u32_e32 v7, v4, v7
	v_lshlrev_b32_e32 v7, 2, v7
	ds_read_b32 v7, v7
	v_cndmask_b32_e32 v9, v4, v12, vcc
	v_cndmask_b32_e32 v4, v11, v4, vcc
	v_cmp_gt_u32_e64 s[2:3], s15, v4
	v_cmp_le_u32_e64 s[0:1], s24, v9
	s_waitcnt lgkmcnt(0)
	v_cndmask_b32_e32 v8, v7, v3, vcc
	v_cndmask_b32_e32 v7, v2, v7, vcc
	v_and_b32_e32 v11, s17, v8
	v_and_b32_e32 v12, s17, v7
	v_cmp_le_u32_e64 s[4:5], v12, v11
	s_and_b64 s[2:3], s[2:3], s[4:5]
	s_or_b64 s[0:1], s[0:1], s[2:3]
	v_cndmask_b32_e64 v11, v9, v4, s[0:1]
	v_cndmask_b32_e64 v12, v5, v6, s[0:1]
	v_add_u32_e32 v11, 1, v11
	v_add_u32_e32 v12, -1, v12
	v_min_u32_e32 v12, v11, v12
	v_lshlrev_b32_e32 v12, 2, v12
	ds_read_b32 v12, v12
	v_cndmask_b32_e64 v9, v11, v9, s[0:1]
	v_cndmask_b32_e64 v4, v4, v11, s[0:1]
	v_cmp_gt_u32_e64 s[4:5], s15, v4
	v_cmp_le_u32_e64 s[2:3], s24, v9
	s_waitcnt lgkmcnt(0)
	v_cndmask_b32_e64 v13, v12, v8, s[0:1]
	v_cndmask_b32_e64 v12, v7, v12, s[0:1]
	v_and_b32_e32 v11, s17, v13
	v_and_b32_e32 v14, s17, v12
	v_cmp_le_u32_e64 s[6:7], v14, v11
	s_and_b64 s[4:5], s[4:5], s[6:7]
	s_or_b64 s[2:3], s[2:3], s[4:5]
	v_cndmask_b32_e64 v11, v9, v4, s[2:3]
	v_cndmask_b32_e64 v14, v5, v6, s[2:3]
	v_add_u32_e32 v11, 1, v11
	v_add_u32_e32 v14, -1, v14
	v_min_u32_e32 v14, v11, v14
	v_lshlrev_b32_e32 v14, 2, v14
	ds_read_b32 v14, v14
	v_cndmask_b32_e64 v9, v11, v9, s[2:3]
	v_cndmask_b32_e64 v4, v4, v11, s[2:3]
	v_cmp_gt_u32_e64 s[6:7], s15, v4
	v_cmp_le_u32_e64 s[4:5], s24, v9
	s_waitcnt lgkmcnt(0)
	v_cndmask_b32_e64 v15, v14, v13, s[2:3]
	v_cndmask_b32_e64 v14, v12, v14, s[2:3]
	;; [unrolled: 19-line block ×4, first 2 shown]
	v_and_b32_e32 v4, s17, v19
	v_and_b32_e32 v20, s17, v18
	v_cmp_le_u32_e64 s[12:13], v20, v4
	s_and_b64 s[10:11], s[10:11], s[12:13]
	s_or_b64 s[8:9], s[8:9], s[10:11]
	v_cndmask_b32_e64 v4, v9, v11, s[8:9]
	v_cndmask_b32_e64 v20, v5, v6, s[8:9]
	v_add_u32_e32 v21, 1, v4
	v_add_u32_e32 v4, -1, v20
	v_min_u32_e32 v4, v21, v4
	v_lshlrev_b32_e32 v4, 2, v4
	ds_read_b32 v20, v4
	v_cndmask_b32_e64 v4, v13, v12, s[2:3]
	v_cndmask_b32_e32 v2, v3, v2, vcc
	v_cndmask_b32_e64 v3, v8, v7, s[0:1]
	v_cndmask_b32_e64 v11, v11, v21, s[8:9]
	s_waitcnt lgkmcnt(0)
	v_cndmask_b32_e64 v12, v20, v19, s[8:9]
	v_cndmask_b32_e64 v13, v18, v20, s[8:9]
	v_and_b32_e32 v7, s17, v12
	v_and_b32_e32 v8, s17, v13
	v_cndmask_b32_e64 v9, v21, v9, s[8:9]
	v_cmp_gt_u32_e64 s[0:1], s15, v11
	v_cmp_le_u32_e64 s[2:3], v8, v7
	v_cmp_le_u32_e32 vcc, s24, v9
	s_and_b64 s[0:1], s[0:1], s[2:3]
	s_or_b64 vcc, vcc, s[0:1]
	v_cndmask_b32_e32 v7, v9, v11, vcc
	v_cndmask_b32_e32 v5, v5, v6, vcc
	v_add_u32_e32 v20, 1, v7
	v_add_u32_e32 v5, -1, v5
	v_min_u32_e32 v5, v20, v5
	v_lshlrev_b32_e32 v5, 2, v5
	ds_read_b32 v21, v5
	v_cndmask_b32_e32 v8, v12, v13, vcc
	v_cndmask_b32_e32 v9, v20, v9, vcc
	;; [unrolled: 1-line block ×3, first 2 shown]
	v_cmp_gt_u32_e64 s[0:1], s15, v11
	s_waitcnt lgkmcnt(0)
	v_cndmask_b32_e32 v12, v21, v12, vcc
	v_cndmask_b32_e32 v13, v13, v21, vcc
	v_cmp_le_u32_e32 vcc, s24, v9
	v_and_b32_e32 v9, s17, v12
	v_and_b32_e32 v11, s17, v13
	v_cmp_le_u32_e64 s[2:3], v11, v9
	s_and_b64 s[0:1], s[0:1], s[2:3]
	s_or_b64 vcc, vcc, s[0:1]
	v_cndmask_b32_e64 v5, v15, v14, s[4:5]
	v_cndmask_b32_e64 v6, v17, v16, s[6:7]
	;; [unrolled: 1-line block ×3, first 2 shown]
	v_cndmask_b32_e32 v9, v12, v13, vcc
.LBB1037_29:
	s_or_b64 exec, exec, s[22:23]
	v_and_b32_e32 v11, 0x7c, v0
	v_lshl_add_u32 v10, v10, 2, v11
	s_barrier
	s_barrier
	ds_write2_b32 v10, v2, v3 offset1:1
	ds_write2_b32 v10, v4, v5 offset0:2 offset1:3
	ds_write2_b32 v10, v6, v7 offset0:4 offset1:5
	;; [unrolled: 1-line block ×3, first 2 shown]
	v_lshrrev_b32_e32 v2, 3, v0
	v_and_b32_e32 v2, 12, v2
	v_or_b32_e32 v10, 0x80, v0
	v_add_u32_e32 v11, v1, v2
	v_lshrrev_b32_e32 v2, 3, v10
	v_and_b32_e32 v2, 28, v2
	v_or_b32_e32 v9, 0x100, v0
	v_add_u32_e32 v12, v1, v2
	;; [unrolled: 4-line block ×5, first 2 shown]
	v_lshrrev_b32_e32 v2, 3, v6
	v_and_b32_e32 v2, 0x5c, v2
	v_or_b32_e32 v5, 0x300, v0
	s_mov_b32 s17, 0
	v_add_u32_e32 v16, v1, v2
	v_lshrrev_b32_e32 v2, 3, v5
	s_lshl_b64 s[0:1], s[16:17], 2
	v_and_b32_e32 v2, 0x6c, v2
	v_or_b32_e32 v4, 0x380, v0
	s_add_u32 s0, s20, s0
	v_add_u32_e32 v17, v1, v2
	v_lshrrev_b32_e32 v2, 3, v4
	s_addc_u32 s1, s21, s1
	v_and_b32_e32 v2, 0x7c, v2
	v_add_u32_e32 v18, v1, v2
	v_mov_b32_e32 v3, s1
	v_add_co_u32_e32 v2, vcc, s0, v1
	v_addc_co_u32_e32 v3, vcc, 0, v3, vcc
	s_and_b64 vcc, exec, s[18:19]
	s_waitcnt lgkmcnt(0)
	s_cbranch_vccz .LBB1037_31
; %bb.30:
	s_barrier
	ds_read_b32 v19, v11
	ds_read_b32 v20, v12 offset:512
	ds_read_b32 v21, v13 offset:1024
	;; [unrolled: 1-line block ×7, first 2 shown]
	s_waitcnt lgkmcnt(7)
	global_store_dword v[2:3], v19, off
	s_waitcnt lgkmcnt(6)
	global_store_dword v[2:3], v20, off offset:512
	s_waitcnt lgkmcnt(5)
	global_store_dword v[2:3], v21, off offset:1024
	;; [unrolled: 2-line block ×6, first 2 shown]
	s_mov_b64 s[0:1], -1
	s_cbranch_execz .LBB1037_32
	s_branch .LBB1037_41
.LBB1037_31:
	s_mov_b64 s[0:1], 0
                                        ; implicit-def: $vgpr1
.LBB1037_32:
	s_barrier
	s_waitcnt lgkmcnt(0)
	ds_read_b32 v21, v12 offset:512
	ds_read_b32 v20, v13 offset:1024
	;; [unrolled: 1-line block ×7, first 2 shown]
	s_sub_i32 s2, s14, s16
	v_cmp_gt_u32_e32 vcc, s2, v0
	s_and_saveexec_b64 s[0:1], vcc
	s_cbranch_execnz .LBB1037_46
; %bb.33:
	s_or_b64 exec, exec, s[0:1]
	v_cmp_gt_u32_e32 vcc, s2, v10
	s_and_saveexec_b64 s[0:1], vcc
	s_cbranch_execnz .LBB1037_47
.LBB1037_34:
	s_or_b64 exec, exec, s[0:1]
	v_cmp_gt_u32_e32 vcc, s2, v9
	s_and_saveexec_b64 s[0:1], vcc
	s_cbranch_execnz .LBB1037_48
.LBB1037_35:
	s_or_b64 exec, exec, s[0:1]
	v_cmp_gt_u32_e32 vcc, s2, v8
	s_and_saveexec_b64 s[0:1], vcc
	s_cbranch_execnz .LBB1037_49
.LBB1037_36:
	s_or_b64 exec, exec, s[0:1]
	v_cmp_gt_u32_e32 vcc, s2, v7
	s_and_saveexec_b64 s[0:1], vcc
	s_cbranch_execnz .LBB1037_50
.LBB1037_37:
	s_or_b64 exec, exec, s[0:1]
	v_cmp_gt_u32_e32 vcc, s2, v6
	s_and_saveexec_b64 s[0:1], vcc
	s_cbranch_execnz .LBB1037_51
.LBB1037_38:
	s_or_b64 exec, exec, s[0:1]
	v_cmp_gt_u32_e32 vcc, s2, v5
	s_and_saveexec_b64 s[0:1], vcc
	s_cbranch_execz .LBB1037_40
.LBB1037_39:
	s_waitcnt lgkmcnt(1)
	global_store_dword v[2:3], v12, off offset:3072
.LBB1037_40:
	s_or_b64 exec, exec, s[0:1]
	v_cmp_gt_u32_e64 s[0:1], s2, v4
.LBB1037_41:
	s_and_saveexec_b64 s[2:3], s[0:1]
	s_cbranch_execz .LBB1037_43
; %bb.42:
	s_waitcnt lgkmcnt(0)
	global_store_dword v[2:3], v1, off offset:3584
.LBB1037_43:
	s_endpgm
.LBB1037_44:
	s_waitcnt vmcnt(7)
	v_mov_b32_e32 v2, s12
	s_waitcnt vmcnt(5)
	v_add_co_u32_e32 v4, vcc, s11, v1
	v_mov_b32_e32 v3, 0
	s_waitcnt vmcnt(4)
	v_addc_co_u32_e32 v5, vcc, 0, v2, vcc
	v_subrev_u32_e32 v2, s15, v0
	v_lshlrev_b64 v[2:3], 2, v[2:3]
	s_waitcnt vmcnt(3)
	v_mov_b32_e32 v6, s9
	v_add_co_u32_e32 v2, vcc, s8, v2
	v_addc_co_u32_e32 v3, vcc, v6, v3, vcc
	v_cmp_gt_u32_e32 vcc, s15, v0
	v_cndmask_b32_e32 v3, v3, v5, vcc
	v_cndmask_b32_e32 v2, v2, v4, vcc
	global_load_dword v2, v[2:3], off
	s_or_b64 exec, exec, s[0:1]
	v_cmp_gt_u32_e32 vcc, s24, v12
	s_and_saveexec_b64 s[2:3], vcc
	s_cbranch_execz .LBB1037_6
.LBB1037_45:
	v_mov_b32_e32 v13, 0
	v_lshlrev_b64 v[14:15], 2, v[12:13]
	s_waitcnt vmcnt(6)
	v_mov_b32_e32 v3, s12
	v_add_co_u32_e32 v11, vcc, s11, v14
	v_addc_co_u32_e32 v3, vcc, v3, v15, vcc
	v_cmp_gt_u32_e32 vcc, s15, v12
	v_subrev_u32_e32 v12, s15, v12
	v_lshlrev_b64 v[12:13], 2, v[12:13]
	v_mov_b32_e32 v14, s9
	v_add_co_u32_e64 v12, s[0:1], s8, v12
	v_addc_co_u32_e64 v13, s[0:1], v14, v13, s[0:1]
	v_cndmask_b32_e32 v13, v13, v3, vcc
	v_cndmask_b32_e32 v12, v12, v11, vcc
	global_load_dword v3, v[12:13], off
	s_or_b64 exec, exec, s[2:3]
	v_cmp_gt_u32_e32 vcc, s24, v10
	s_and_saveexec_b64 s[0:1], vcc
	s_cbranch_execnz .LBB1037_7
	s_branch .LBB1037_8
.LBB1037_46:
	ds_read_b32 v0, v11
	s_waitcnt lgkmcnt(0)
	global_store_dword v[2:3], v0, off
	s_or_b64 exec, exec, s[0:1]
	v_cmp_gt_u32_e32 vcc, s2, v10
	s_and_saveexec_b64 s[0:1], vcc
	s_cbranch_execz .LBB1037_34
.LBB1037_47:
	s_waitcnt lgkmcnt(6)
	global_store_dword v[2:3], v21, off offset:512
	s_or_b64 exec, exec, s[0:1]
	v_cmp_gt_u32_e32 vcc, s2, v9
	s_and_saveexec_b64 s[0:1], vcc
	s_cbranch_execz .LBB1037_35
.LBB1037_48:
	s_waitcnt lgkmcnt(5)
	global_store_dword v[2:3], v20, off offset:1024
	s_or_b64 exec, exec, s[0:1]
	v_cmp_gt_u32_e32 vcc, s2, v8
	s_and_saveexec_b64 s[0:1], vcc
	s_cbranch_execz .LBB1037_36
.LBB1037_49:
	s_waitcnt lgkmcnt(4)
	global_store_dword v[2:3], v19, off offset:1536
	s_or_b64 exec, exec, s[0:1]
	v_cmp_gt_u32_e32 vcc, s2, v7
	s_and_saveexec_b64 s[0:1], vcc
	s_cbranch_execz .LBB1037_37
.LBB1037_50:
	s_waitcnt lgkmcnt(3)
	global_store_dword v[2:3], v14, off offset:2048
	s_or_b64 exec, exec, s[0:1]
	v_cmp_gt_u32_e32 vcc, s2, v6
	s_and_saveexec_b64 s[0:1], vcc
	s_cbranch_execz .LBB1037_38
.LBB1037_51:
	s_waitcnt lgkmcnt(2)
	global_store_dword v[2:3], v13, off offset:2560
	s_or_b64 exec, exec, s[0:1]
	v_cmp_gt_u32_e32 vcc, s2, v5
	s_and_saveexec_b64 s[0:1], vcc
	s_cbranch_execnz .LBB1037_39
	s_branch .LBB1037_40
	.section	.rodata,"a",@progbits
	.p2align	6, 0x0
	.amdhsa_kernel _ZN7rocprim17ROCPRIM_400000_NS6detail17trampoline_kernelINS0_14default_configENS1_38merge_sort_block_merge_config_selectorIjNS0_10empty_typeEEEZZNS1_27merge_sort_block_merge_implIS3_N6thrust23THRUST_200600_302600_NS6detail15normal_iteratorINS9_10device_ptrIjEEEEPS5_jNS1_19radix_merge_compareILb0ELb1EjNS0_19identity_decomposerEEEEE10hipError_tT0_T1_T2_jT3_P12ihipStream_tbPNSt15iterator_traitsISK_E10value_typeEPNSQ_ISL_E10value_typeEPSM_NS1_7vsmem_tEENKUlT_SK_SL_SM_E_clIPjSE_SF_SF_EESJ_SZ_SK_SL_SM_EUlSZ_E0_NS1_11comp_targetILNS1_3genE4ELNS1_11target_archE910ELNS1_3gpuE8ELNS1_3repE0EEENS1_38merge_mergepath_config_static_selectorELNS0_4arch9wavefront6targetE1EEEvSL_
		.amdhsa_group_segment_fixed_size 4224
		.amdhsa_private_segment_fixed_size 0
		.amdhsa_kernarg_size 320
		.amdhsa_user_sgpr_count 6
		.amdhsa_user_sgpr_private_segment_buffer 1
		.amdhsa_user_sgpr_dispatch_ptr 0
		.amdhsa_user_sgpr_queue_ptr 0
		.amdhsa_user_sgpr_kernarg_segment_ptr 1
		.amdhsa_user_sgpr_dispatch_id 0
		.amdhsa_user_sgpr_flat_scratch_init 0
		.amdhsa_user_sgpr_kernarg_preload_length 0
		.amdhsa_user_sgpr_kernarg_preload_offset 0
		.amdhsa_user_sgpr_private_segment_size 0
		.amdhsa_uses_dynamic_stack 0
		.amdhsa_system_sgpr_private_segment_wavefront_offset 0
		.amdhsa_system_sgpr_workgroup_id_x 1
		.amdhsa_system_sgpr_workgroup_id_y 1
		.amdhsa_system_sgpr_workgroup_id_z 1
		.amdhsa_system_sgpr_workgroup_info 0
		.amdhsa_system_vgpr_workitem_id 0
		.amdhsa_next_free_vgpr 26
		.amdhsa_next_free_sgpr 25
		.amdhsa_accum_offset 28
		.amdhsa_reserve_vcc 1
		.amdhsa_reserve_flat_scratch 0
		.amdhsa_float_round_mode_32 0
		.amdhsa_float_round_mode_16_64 0
		.amdhsa_float_denorm_mode_32 3
		.amdhsa_float_denorm_mode_16_64 3
		.amdhsa_dx10_clamp 1
		.amdhsa_ieee_mode 1
		.amdhsa_fp16_overflow 0
		.amdhsa_tg_split 0
		.amdhsa_exception_fp_ieee_invalid_op 0
		.amdhsa_exception_fp_denorm_src 0
		.amdhsa_exception_fp_ieee_div_zero 0
		.amdhsa_exception_fp_ieee_overflow 0
		.amdhsa_exception_fp_ieee_underflow 0
		.amdhsa_exception_fp_ieee_inexact 0
		.amdhsa_exception_int_div_zero 0
	.end_amdhsa_kernel
	.section	.text._ZN7rocprim17ROCPRIM_400000_NS6detail17trampoline_kernelINS0_14default_configENS1_38merge_sort_block_merge_config_selectorIjNS0_10empty_typeEEEZZNS1_27merge_sort_block_merge_implIS3_N6thrust23THRUST_200600_302600_NS6detail15normal_iteratorINS9_10device_ptrIjEEEEPS5_jNS1_19radix_merge_compareILb0ELb1EjNS0_19identity_decomposerEEEEE10hipError_tT0_T1_T2_jT3_P12ihipStream_tbPNSt15iterator_traitsISK_E10value_typeEPNSQ_ISL_E10value_typeEPSM_NS1_7vsmem_tEENKUlT_SK_SL_SM_E_clIPjSE_SF_SF_EESJ_SZ_SK_SL_SM_EUlSZ_E0_NS1_11comp_targetILNS1_3genE4ELNS1_11target_archE910ELNS1_3gpuE8ELNS1_3repE0EEENS1_38merge_mergepath_config_static_selectorELNS0_4arch9wavefront6targetE1EEEvSL_,"axG",@progbits,_ZN7rocprim17ROCPRIM_400000_NS6detail17trampoline_kernelINS0_14default_configENS1_38merge_sort_block_merge_config_selectorIjNS0_10empty_typeEEEZZNS1_27merge_sort_block_merge_implIS3_N6thrust23THRUST_200600_302600_NS6detail15normal_iteratorINS9_10device_ptrIjEEEEPS5_jNS1_19radix_merge_compareILb0ELb1EjNS0_19identity_decomposerEEEEE10hipError_tT0_T1_T2_jT3_P12ihipStream_tbPNSt15iterator_traitsISK_E10value_typeEPNSQ_ISL_E10value_typeEPSM_NS1_7vsmem_tEENKUlT_SK_SL_SM_E_clIPjSE_SF_SF_EESJ_SZ_SK_SL_SM_EUlSZ_E0_NS1_11comp_targetILNS1_3genE4ELNS1_11target_archE910ELNS1_3gpuE8ELNS1_3repE0EEENS1_38merge_mergepath_config_static_selectorELNS0_4arch9wavefront6targetE1EEEvSL_,comdat
.Lfunc_end1037:
	.size	_ZN7rocprim17ROCPRIM_400000_NS6detail17trampoline_kernelINS0_14default_configENS1_38merge_sort_block_merge_config_selectorIjNS0_10empty_typeEEEZZNS1_27merge_sort_block_merge_implIS3_N6thrust23THRUST_200600_302600_NS6detail15normal_iteratorINS9_10device_ptrIjEEEEPS5_jNS1_19radix_merge_compareILb0ELb1EjNS0_19identity_decomposerEEEEE10hipError_tT0_T1_T2_jT3_P12ihipStream_tbPNSt15iterator_traitsISK_E10value_typeEPNSQ_ISL_E10value_typeEPSM_NS1_7vsmem_tEENKUlT_SK_SL_SM_E_clIPjSE_SF_SF_EESJ_SZ_SK_SL_SM_EUlSZ_E0_NS1_11comp_targetILNS1_3genE4ELNS1_11target_archE910ELNS1_3gpuE8ELNS1_3repE0EEENS1_38merge_mergepath_config_static_selectorELNS0_4arch9wavefront6targetE1EEEvSL_, .Lfunc_end1037-_ZN7rocprim17ROCPRIM_400000_NS6detail17trampoline_kernelINS0_14default_configENS1_38merge_sort_block_merge_config_selectorIjNS0_10empty_typeEEEZZNS1_27merge_sort_block_merge_implIS3_N6thrust23THRUST_200600_302600_NS6detail15normal_iteratorINS9_10device_ptrIjEEEEPS5_jNS1_19radix_merge_compareILb0ELb1EjNS0_19identity_decomposerEEEEE10hipError_tT0_T1_T2_jT3_P12ihipStream_tbPNSt15iterator_traitsISK_E10value_typeEPNSQ_ISL_E10value_typeEPSM_NS1_7vsmem_tEENKUlT_SK_SL_SM_E_clIPjSE_SF_SF_EESJ_SZ_SK_SL_SM_EUlSZ_E0_NS1_11comp_targetILNS1_3genE4ELNS1_11target_archE910ELNS1_3gpuE8ELNS1_3repE0EEENS1_38merge_mergepath_config_static_selectorELNS0_4arch9wavefront6targetE1EEEvSL_
                                        ; -- End function
	.section	.AMDGPU.csdata,"",@progbits
; Kernel info:
; codeLenInByte = 3704
; NumSgprs: 29
; NumVgprs: 26
; NumAgprs: 0
; TotalNumVgprs: 26
; ScratchSize: 0
; MemoryBound: 0
; FloatMode: 240
; IeeeMode: 1
; LDSByteSize: 4224 bytes/workgroup (compile time only)
; SGPRBlocks: 3
; VGPRBlocks: 3
; NumSGPRsForWavesPerEU: 29
; NumVGPRsForWavesPerEU: 26
; AccumOffset: 28
; Occupancy: 8
; WaveLimiterHint : 1
; COMPUTE_PGM_RSRC2:SCRATCH_EN: 0
; COMPUTE_PGM_RSRC2:USER_SGPR: 6
; COMPUTE_PGM_RSRC2:TRAP_HANDLER: 0
; COMPUTE_PGM_RSRC2:TGID_X_EN: 1
; COMPUTE_PGM_RSRC2:TGID_Y_EN: 1
; COMPUTE_PGM_RSRC2:TGID_Z_EN: 1
; COMPUTE_PGM_RSRC2:TIDIG_COMP_CNT: 0
; COMPUTE_PGM_RSRC3_GFX90A:ACCUM_OFFSET: 6
; COMPUTE_PGM_RSRC3_GFX90A:TG_SPLIT: 0
	.section	.text._ZN7rocprim17ROCPRIM_400000_NS6detail17trampoline_kernelINS0_14default_configENS1_38merge_sort_block_merge_config_selectorIjNS0_10empty_typeEEEZZNS1_27merge_sort_block_merge_implIS3_N6thrust23THRUST_200600_302600_NS6detail15normal_iteratorINS9_10device_ptrIjEEEEPS5_jNS1_19radix_merge_compareILb0ELb1EjNS0_19identity_decomposerEEEEE10hipError_tT0_T1_T2_jT3_P12ihipStream_tbPNSt15iterator_traitsISK_E10value_typeEPNSQ_ISL_E10value_typeEPSM_NS1_7vsmem_tEENKUlT_SK_SL_SM_E_clIPjSE_SF_SF_EESJ_SZ_SK_SL_SM_EUlSZ_E0_NS1_11comp_targetILNS1_3genE3ELNS1_11target_archE908ELNS1_3gpuE7ELNS1_3repE0EEENS1_38merge_mergepath_config_static_selectorELNS0_4arch9wavefront6targetE1EEEvSL_,"axG",@progbits,_ZN7rocprim17ROCPRIM_400000_NS6detail17trampoline_kernelINS0_14default_configENS1_38merge_sort_block_merge_config_selectorIjNS0_10empty_typeEEEZZNS1_27merge_sort_block_merge_implIS3_N6thrust23THRUST_200600_302600_NS6detail15normal_iteratorINS9_10device_ptrIjEEEEPS5_jNS1_19radix_merge_compareILb0ELb1EjNS0_19identity_decomposerEEEEE10hipError_tT0_T1_T2_jT3_P12ihipStream_tbPNSt15iterator_traitsISK_E10value_typeEPNSQ_ISL_E10value_typeEPSM_NS1_7vsmem_tEENKUlT_SK_SL_SM_E_clIPjSE_SF_SF_EESJ_SZ_SK_SL_SM_EUlSZ_E0_NS1_11comp_targetILNS1_3genE3ELNS1_11target_archE908ELNS1_3gpuE7ELNS1_3repE0EEENS1_38merge_mergepath_config_static_selectorELNS0_4arch9wavefront6targetE1EEEvSL_,comdat
	.protected	_ZN7rocprim17ROCPRIM_400000_NS6detail17trampoline_kernelINS0_14default_configENS1_38merge_sort_block_merge_config_selectorIjNS0_10empty_typeEEEZZNS1_27merge_sort_block_merge_implIS3_N6thrust23THRUST_200600_302600_NS6detail15normal_iteratorINS9_10device_ptrIjEEEEPS5_jNS1_19radix_merge_compareILb0ELb1EjNS0_19identity_decomposerEEEEE10hipError_tT0_T1_T2_jT3_P12ihipStream_tbPNSt15iterator_traitsISK_E10value_typeEPNSQ_ISL_E10value_typeEPSM_NS1_7vsmem_tEENKUlT_SK_SL_SM_E_clIPjSE_SF_SF_EESJ_SZ_SK_SL_SM_EUlSZ_E0_NS1_11comp_targetILNS1_3genE3ELNS1_11target_archE908ELNS1_3gpuE7ELNS1_3repE0EEENS1_38merge_mergepath_config_static_selectorELNS0_4arch9wavefront6targetE1EEEvSL_ ; -- Begin function _ZN7rocprim17ROCPRIM_400000_NS6detail17trampoline_kernelINS0_14default_configENS1_38merge_sort_block_merge_config_selectorIjNS0_10empty_typeEEEZZNS1_27merge_sort_block_merge_implIS3_N6thrust23THRUST_200600_302600_NS6detail15normal_iteratorINS9_10device_ptrIjEEEEPS5_jNS1_19radix_merge_compareILb0ELb1EjNS0_19identity_decomposerEEEEE10hipError_tT0_T1_T2_jT3_P12ihipStream_tbPNSt15iterator_traitsISK_E10value_typeEPNSQ_ISL_E10value_typeEPSM_NS1_7vsmem_tEENKUlT_SK_SL_SM_E_clIPjSE_SF_SF_EESJ_SZ_SK_SL_SM_EUlSZ_E0_NS1_11comp_targetILNS1_3genE3ELNS1_11target_archE908ELNS1_3gpuE7ELNS1_3repE0EEENS1_38merge_mergepath_config_static_selectorELNS0_4arch9wavefront6targetE1EEEvSL_
	.globl	_ZN7rocprim17ROCPRIM_400000_NS6detail17trampoline_kernelINS0_14default_configENS1_38merge_sort_block_merge_config_selectorIjNS0_10empty_typeEEEZZNS1_27merge_sort_block_merge_implIS3_N6thrust23THRUST_200600_302600_NS6detail15normal_iteratorINS9_10device_ptrIjEEEEPS5_jNS1_19radix_merge_compareILb0ELb1EjNS0_19identity_decomposerEEEEE10hipError_tT0_T1_T2_jT3_P12ihipStream_tbPNSt15iterator_traitsISK_E10value_typeEPNSQ_ISL_E10value_typeEPSM_NS1_7vsmem_tEENKUlT_SK_SL_SM_E_clIPjSE_SF_SF_EESJ_SZ_SK_SL_SM_EUlSZ_E0_NS1_11comp_targetILNS1_3genE3ELNS1_11target_archE908ELNS1_3gpuE7ELNS1_3repE0EEENS1_38merge_mergepath_config_static_selectorELNS0_4arch9wavefront6targetE1EEEvSL_
	.p2align	8
	.type	_ZN7rocprim17ROCPRIM_400000_NS6detail17trampoline_kernelINS0_14default_configENS1_38merge_sort_block_merge_config_selectorIjNS0_10empty_typeEEEZZNS1_27merge_sort_block_merge_implIS3_N6thrust23THRUST_200600_302600_NS6detail15normal_iteratorINS9_10device_ptrIjEEEEPS5_jNS1_19radix_merge_compareILb0ELb1EjNS0_19identity_decomposerEEEEE10hipError_tT0_T1_T2_jT3_P12ihipStream_tbPNSt15iterator_traitsISK_E10value_typeEPNSQ_ISL_E10value_typeEPSM_NS1_7vsmem_tEENKUlT_SK_SL_SM_E_clIPjSE_SF_SF_EESJ_SZ_SK_SL_SM_EUlSZ_E0_NS1_11comp_targetILNS1_3genE3ELNS1_11target_archE908ELNS1_3gpuE7ELNS1_3repE0EEENS1_38merge_mergepath_config_static_selectorELNS0_4arch9wavefront6targetE1EEEvSL_,@function
_ZN7rocprim17ROCPRIM_400000_NS6detail17trampoline_kernelINS0_14default_configENS1_38merge_sort_block_merge_config_selectorIjNS0_10empty_typeEEEZZNS1_27merge_sort_block_merge_implIS3_N6thrust23THRUST_200600_302600_NS6detail15normal_iteratorINS9_10device_ptrIjEEEEPS5_jNS1_19radix_merge_compareILb0ELb1EjNS0_19identity_decomposerEEEEE10hipError_tT0_T1_T2_jT3_P12ihipStream_tbPNSt15iterator_traitsISK_E10value_typeEPNSQ_ISL_E10value_typeEPSM_NS1_7vsmem_tEENKUlT_SK_SL_SM_E_clIPjSE_SF_SF_EESJ_SZ_SK_SL_SM_EUlSZ_E0_NS1_11comp_targetILNS1_3genE3ELNS1_11target_archE908ELNS1_3gpuE7ELNS1_3repE0EEENS1_38merge_mergepath_config_static_selectorELNS0_4arch9wavefront6targetE1EEEvSL_: ; @_ZN7rocprim17ROCPRIM_400000_NS6detail17trampoline_kernelINS0_14default_configENS1_38merge_sort_block_merge_config_selectorIjNS0_10empty_typeEEEZZNS1_27merge_sort_block_merge_implIS3_N6thrust23THRUST_200600_302600_NS6detail15normal_iteratorINS9_10device_ptrIjEEEEPS5_jNS1_19radix_merge_compareILb0ELb1EjNS0_19identity_decomposerEEEEE10hipError_tT0_T1_T2_jT3_P12ihipStream_tbPNSt15iterator_traitsISK_E10value_typeEPNSQ_ISL_E10value_typeEPSM_NS1_7vsmem_tEENKUlT_SK_SL_SM_E_clIPjSE_SF_SF_EESJ_SZ_SK_SL_SM_EUlSZ_E0_NS1_11comp_targetILNS1_3genE3ELNS1_11target_archE908ELNS1_3gpuE7ELNS1_3repE0EEENS1_38merge_mergepath_config_static_selectorELNS0_4arch9wavefront6targetE1EEEvSL_
; %bb.0:
	.section	.rodata,"a",@progbits
	.p2align	6, 0x0
	.amdhsa_kernel _ZN7rocprim17ROCPRIM_400000_NS6detail17trampoline_kernelINS0_14default_configENS1_38merge_sort_block_merge_config_selectorIjNS0_10empty_typeEEEZZNS1_27merge_sort_block_merge_implIS3_N6thrust23THRUST_200600_302600_NS6detail15normal_iteratorINS9_10device_ptrIjEEEEPS5_jNS1_19radix_merge_compareILb0ELb1EjNS0_19identity_decomposerEEEEE10hipError_tT0_T1_T2_jT3_P12ihipStream_tbPNSt15iterator_traitsISK_E10value_typeEPNSQ_ISL_E10value_typeEPSM_NS1_7vsmem_tEENKUlT_SK_SL_SM_E_clIPjSE_SF_SF_EESJ_SZ_SK_SL_SM_EUlSZ_E0_NS1_11comp_targetILNS1_3genE3ELNS1_11target_archE908ELNS1_3gpuE7ELNS1_3repE0EEENS1_38merge_mergepath_config_static_selectorELNS0_4arch9wavefront6targetE1EEEvSL_
		.amdhsa_group_segment_fixed_size 0
		.amdhsa_private_segment_fixed_size 0
		.amdhsa_kernarg_size 64
		.amdhsa_user_sgpr_count 6
		.amdhsa_user_sgpr_private_segment_buffer 1
		.amdhsa_user_sgpr_dispatch_ptr 0
		.amdhsa_user_sgpr_queue_ptr 0
		.amdhsa_user_sgpr_kernarg_segment_ptr 1
		.amdhsa_user_sgpr_dispatch_id 0
		.amdhsa_user_sgpr_flat_scratch_init 0
		.amdhsa_user_sgpr_kernarg_preload_length 0
		.amdhsa_user_sgpr_kernarg_preload_offset 0
		.amdhsa_user_sgpr_private_segment_size 0
		.amdhsa_uses_dynamic_stack 0
		.amdhsa_system_sgpr_private_segment_wavefront_offset 0
		.amdhsa_system_sgpr_workgroup_id_x 1
		.amdhsa_system_sgpr_workgroup_id_y 0
		.amdhsa_system_sgpr_workgroup_id_z 0
		.amdhsa_system_sgpr_workgroup_info 0
		.amdhsa_system_vgpr_workitem_id 0
		.amdhsa_next_free_vgpr 1
		.amdhsa_next_free_sgpr 0
		.amdhsa_accum_offset 4
		.amdhsa_reserve_vcc 0
		.amdhsa_reserve_flat_scratch 0
		.amdhsa_float_round_mode_32 0
		.amdhsa_float_round_mode_16_64 0
		.amdhsa_float_denorm_mode_32 3
		.amdhsa_float_denorm_mode_16_64 3
		.amdhsa_dx10_clamp 1
		.amdhsa_ieee_mode 1
		.amdhsa_fp16_overflow 0
		.amdhsa_tg_split 0
		.amdhsa_exception_fp_ieee_invalid_op 0
		.amdhsa_exception_fp_denorm_src 0
		.amdhsa_exception_fp_ieee_div_zero 0
		.amdhsa_exception_fp_ieee_overflow 0
		.amdhsa_exception_fp_ieee_underflow 0
		.amdhsa_exception_fp_ieee_inexact 0
		.amdhsa_exception_int_div_zero 0
	.end_amdhsa_kernel
	.section	.text._ZN7rocprim17ROCPRIM_400000_NS6detail17trampoline_kernelINS0_14default_configENS1_38merge_sort_block_merge_config_selectorIjNS0_10empty_typeEEEZZNS1_27merge_sort_block_merge_implIS3_N6thrust23THRUST_200600_302600_NS6detail15normal_iteratorINS9_10device_ptrIjEEEEPS5_jNS1_19radix_merge_compareILb0ELb1EjNS0_19identity_decomposerEEEEE10hipError_tT0_T1_T2_jT3_P12ihipStream_tbPNSt15iterator_traitsISK_E10value_typeEPNSQ_ISL_E10value_typeEPSM_NS1_7vsmem_tEENKUlT_SK_SL_SM_E_clIPjSE_SF_SF_EESJ_SZ_SK_SL_SM_EUlSZ_E0_NS1_11comp_targetILNS1_3genE3ELNS1_11target_archE908ELNS1_3gpuE7ELNS1_3repE0EEENS1_38merge_mergepath_config_static_selectorELNS0_4arch9wavefront6targetE1EEEvSL_,"axG",@progbits,_ZN7rocprim17ROCPRIM_400000_NS6detail17trampoline_kernelINS0_14default_configENS1_38merge_sort_block_merge_config_selectorIjNS0_10empty_typeEEEZZNS1_27merge_sort_block_merge_implIS3_N6thrust23THRUST_200600_302600_NS6detail15normal_iteratorINS9_10device_ptrIjEEEEPS5_jNS1_19radix_merge_compareILb0ELb1EjNS0_19identity_decomposerEEEEE10hipError_tT0_T1_T2_jT3_P12ihipStream_tbPNSt15iterator_traitsISK_E10value_typeEPNSQ_ISL_E10value_typeEPSM_NS1_7vsmem_tEENKUlT_SK_SL_SM_E_clIPjSE_SF_SF_EESJ_SZ_SK_SL_SM_EUlSZ_E0_NS1_11comp_targetILNS1_3genE3ELNS1_11target_archE908ELNS1_3gpuE7ELNS1_3repE0EEENS1_38merge_mergepath_config_static_selectorELNS0_4arch9wavefront6targetE1EEEvSL_,comdat
.Lfunc_end1038:
	.size	_ZN7rocprim17ROCPRIM_400000_NS6detail17trampoline_kernelINS0_14default_configENS1_38merge_sort_block_merge_config_selectorIjNS0_10empty_typeEEEZZNS1_27merge_sort_block_merge_implIS3_N6thrust23THRUST_200600_302600_NS6detail15normal_iteratorINS9_10device_ptrIjEEEEPS5_jNS1_19radix_merge_compareILb0ELb1EjNS0_19identity_decomposerEEEEE10hipError_tT0_T1_T2_jT3_P12ihipStream_tbPNSt15iterator_traitsISK_E10value_typeEPNSQ_ISL_E10value_typeEPSM_NS1_7vsmem_tEENKUlT_SK_SL_SM_E_clIPjSE_SF_SF_EESJ_SZ_SK_SL_SM_EUlSZ_E0_NS1_11comp_targetILNS1_3genE3ELNS1_11target_archE908ELNS1_3gpuE7ELNS1_3repE0EEENS1_38merge_mergepath_config_static_selectorELNS0_4arch9wavefront6targetE1EEEvSL_, .Lfunc_end1038-_ZN7rocprim17ROCPRIM_400000_NS6detail17trampoline_kernelINS0_14default_configENS1_38merge_sort_block_merge_config_selectorIjNS0_10empty_typeEEEZZNS1_27merge_sort_block_merge_implIS3_N6thrust23THRUST_200600_302600_NS6detail15normal_iteratorINS9_10device_ptrIjEEEEPS5_jNS1_19radix_merge_compareILb0ELb1EjNS0_19identity_decomposerEEEEE10hipError_tT0_T1_T2_jT3_P12ihipStream_tbPNSt15iterator_traitsISK_E10value_typeEPNSQ_ISL_E10value_typeEPSM_NS1_7vsmem_tEENKUlT_SK_SL_SM_E_clIPjSE_SF_SF_EESJ_SZ_SK_SL_SM_EUlSZ_E0_NS1_11comp_targetILNS1_3genE3ELNS1_11target_archE908ELNS1_3gpuE7ELNS1_3repE0EEENS1_38merge_mergepath_config_static_selectorELNS0_4arch9wavefront6targetE1EEEvSL_
                                        ; -- End function
	.section	.AMDGPU.csdata,"",@progbits
; Kernel info:
; codeLenInByte = 0
; NumSgprs: 4
; NumVgprs: 0
; NumAgprs: 0
; TotalNumVgprs: 0
; ScratchSize: 0
; MemoryBound: 0
; FloatMode: 240
; IeeeMode: 1
; LDSByteSize: 0 bytes/workgroup (compile time only)
; SGPRBlocks: 0
; VGPRBlocks: 0
; NumSGPRsForWavesPerEU: 4
; NumVGPRsForWavesPerEU: 1
; AccumOffset: 4
; Occupancy: 8
; WaveLimiterHint : 0
; COMPUTE_PGM_RSRC2:SCRATCH_EN: 0
; COMPUTE_PGM_RSRC2:USER_SGPR: 6
; COMPUTE_PGM_RSRC2:TRAP_HANDLER: 0
; COMPUTE_PGM_RSRC2:TGID_X_EN: 1
; COMPUTE_PGM_RSRC2:TGID_Y_EN: 0
; COMPUTE_PGM_RSRC2:TGID_Z_EN: 0
; COMPUTE_PGM_RSRC2:TIDIG_COMP_CNT: 0
; COMPUTE_PGM_RSRC3_GFX90A:ACCUM_OFFSET: 0
; COMPUTE_PGM_RSRC3_GFX90A:TG_SPLIT: 0
	.section	.text._ZN7rocprim17ROCPRIM_400000_NS6detail17trampoline_kernelINS0_14default_configENS1_38merge_sort_block_merge_config_selectorIjNS0_10empty_typeEEEZZNS1_27merge_sort_block_merge_implIS3_N6thrust23THRUST_200600_302600_NS6detail15normal_iteratorINS9_10device_ptrIjEEEEPS5_jNS1_19radix_merge_compareILb0ELb1EjNS0_19identity_decomposerEEEEE10hipError_tT0_T1_T2_jT3_P12ihipStream_tbPNSt15iterator_traitsISK_E10value_typeEPNSQ_ISL_E10value_typeEPSM_NS1_7vsmem_tEENKUlT_SK_SL_SM_E_clIPjSE_SF_SF_EESJ_SZ_SK_SL_SM_EUlSZ_E0_NS1_11comp_targetILNS1_3genE2ELNS1_11target_archE906ELNS1_3gpuE6ELNS1_3repE0EEENS1_38merge_mergepath_config_static_selectorELNS0_4arch9wavefront6targetE1EEEvSL_,"axG",@progbits,_ZN7rocprim17ROCPRIM_400000_NS6detail17trampoline_kernelINS0_14default_configENS1_38merge_sort_block_merge_config_selectorIjNS0_10empty_typeEEEZZNS1_27merge_sort_block_merge_implIS3_N6thrust23THRUST_200600_302600_NS6detail15normal_iteratorINS9_10device_ptrIjEEEEPS5_jNS1_19radix_merge_compareILb0ELb1EjNS0_19identity_decomposerEEEEE10hipError_tT0_T1_T2_jT3_P12ihipStream_tbPNSt15iterator_traitsISK_E10value_typeEPNSQ_ISL_E10value_typeEPSM_NS1_7vsmem_tEENKUlT_SK_SL_SM_E_clIPjSE_SF_SF_EESJ_SZ_SK_SL_SM_EUlSZ_E0_NS1_11comp_targetILNS1_3genE2ELNS1_11target_archE906ELNS1_3gpuE6ELNS1_3repE0EEENS1_38merge_mergepath_config_static_selectorELNS0_4arch9wavefront6targetE1EEEvSL_,comdat
	.protected	_ZN7rocprim17ROCPRIM_400000_NS6detail17trampoline_kernelINS0_14default_configENS1_38merge_sort_block_merge_config_selectorIjNS0_10empty_typeEEEZZNS1_27merge_sort_block_merge_implIS3_N6thrust23THRUST_200600_302600_NS6detail15normal_iteratorINS9_10device_ptrIjEEEEPS5_jNS1_19radix_merge_compareILb0ELb1EjNS0_19identity_decomposerEEEEE10hipError_tT0_T1_T2_jT3_P12ihipStream_tbPNSt15iterator_traitsISK_E10value_typeEPNSQ_ISL_E10value_typeEPSM_NS1_7vsmem_tEENKUlT_SK_SL_SM_E_clIPjSE_SF_SF_EESJ_SZ_SK_SL_SM_EUlSZ_E0_NS1_11comp_targetILNS1_3genE2ELNS1_11target_archE906ELNS1_3gpuE6ELNS1_3repE0EEENS1_38merge_mergepath_config_static_selectorELNS0_4arch9wavefront6targetE1EEEvSL_ ; -- Begin function _ZN7rocprim17ROCPRIM_400000_NS6detail17trampoline_kernelINS0_14default_configENS1_38merge_sort_block_merge_config_selectorIjNS0_10empty_typeEEEZZNS1_27merge_sort_block_merge_implIS3_N6thrust23THRUST_200600_302600_NS6detail15normal_iteratorINS9_10device_ptrIjEEEEPS5_jNS1_19radix_merge_compareILb0ELb1EjNS0_19identity_decomposerEEEEE10hipError_tT0_T1_T2_jT3_P12ihipStream_tbPNSt15iterator_traitsISK_E10value_typeEPNSQ_ISL_E10value_typeEPSM_NS1_7vsmem_tEENKUlT_SK_SL_SM_E_clIPjSE_SF_SF_EESJ_SZ_SK_SL_SM_EUlSZ_E0_NS1_11comp_targetILNS1_3genE2ELNS1_11target_archE906ELNS1_3gpuE6ELNS1_3repE0EEENS1_38merge_mergepath_config_static_selectorELNS0_4arch9wavefront6targetE1EEEvSL_
	.globl	_ZN7rocprim17ROCPRIM_400000_NS6detail17trampoline_kernelINS0_14default_configENS1_38merge_sort_block_merge_config_selectorIjNS0_10empty_typeEEEZZNS1_27merge_sort_block_merge_implIS3_N6thrust23THRUST_200600_302600_NS6detail15normal_iteratorINS9_10device_ptrIjEEEEPS5_jNS1_19radix_merge_compareILb0ELb1EjNS0_19identity_decomposerEEEEE10hipError_tT0_T1_T2_jT3_P12ihipStream_tbPNSt15iterator_traitsISK_E10value_typeEPNSQ_ISL_E10value_typeEPSM_NS1_7vsmem_tEENKUlT_SK_SL_SM_E_clIPjSE_SF_SF_EESJ_SZ_SK_SL_SM_EUlSZ_E0_NS1_11comp_targetILNS1_3genE2ELNS1_11target_archE906ELNS1_3gpuE6ELNS1_3repE0EEENS1_38merge_mergepath_config_static_selectorELNS0_4arch9wavefront6targetE1EEEvSL_
	.p2align	8
	.type	_ZN7rocprim17ROCPRIM_400000_NS6detail17trampoline_kernelINS0_14default_configENS1_38merge_sort_block_merge_config_selectorIjNS0_10empty_typeEEEZZNS1_27merge_sort_block_merge_implIS3_N6thrust23THRUST_200600_302600_NS6detail15normal_iteratorINS9_10device_ptrIjEEEEPS5_jNS1_19radix_merge_compareILb0ELb1EjNS0_19identity_decomposerEEEEE10hipError_tT0_T1_T2_jT3_P12ihipStream_tbPNSt15iterator_traitsISK_E10value_typeEPNSQ_ISL_E10value_typeEPSM_NS1_7vsmem_tEENKUlT_SK_SL_SM_E_clIPjSE_SF_SF_EESJ_SZ_SK_SL_SM_EUlSZ_E0_NS1_11comp_targetILNS1_3genE2ELNS1_11target_archE906ELNS1_3gpuE6ELNS1_3repE0EEENS1_38merge_mergepath_config_static_selectorELNS0_4arch9wavefront6targetE1EEEvSL_,@function
_ZN7rocprim17ROCPRIM_400000_NS6detail17trampoline_kernelINS0_14default_configENS1_38merge_sort_block_merge_config_selectorIjNS0_10empty_typeEEEZZNS1_27merge_sort_block_merge_implIS3_N6thrust23THRUST_200600_302600_NS6detail15normal_iteratorINS9_10device_ptrIjEEEEPS5_jNS1_19radix_merge_compareILb0ELb1EjNS0_19identity_decomposerEEEEE10hipError_tT0_T1_T2_jT3_P12ihipStream_tbPNSt15iterator_traitsISK_E10value_typeEPNSQ_ISL_E10value_typeEPSM_NS1_7vsmem_tEENKUlT_SK_SL_SM_E_clIPjSE_SF_SF_EESJ_SZ_SK_SL_SM_EUlSZ_E0_NS1_11comp_targetILNS1_3genE2ELNS1_11target_archE906ELNS1_3gpuE6ELNS1_3repE0EEENS1_38merge_mergepath_config_static_selectorELNS0_4arch9wavefront6targetE1EEEvSL_: ; @_ZN7rocprim17ROCPRIM_400000_NS6detail17trampoline_kernelINS0_14default_configENS1_38merge_sort_block_merge_config_selectorIjNS0_10empty_typeEEEZZNS1_27merge_sort_block_merge_implIS3_N6thrust23THRUST_200600_302600_NS6detail15normal_iteratorINS9_10device_ptrIjEEEEPS5_jNS1_19radix_merge_compareILb0ELb1EjNS0_19identity_decomposerEEEEE10hipError_tT0_T1_T2_jT3_P12ihipStream_tbPNSt15iterator_traitsISK_E10value_typeEPNSQ_ISL_E10value_typeEPSM_NS1_7vsmem_tEENKUlT_SK_SL_SM_E_clIPjSE_SF_SF_EESJ_SZ_SK_SL_SM_EUlSZ_E0_NS1_11comp_targetILNS1_3genE2ELNS1_11target_archE906ELNS1_3gpuE6ELNS1_3repE0EEENS1_38merge_mergepath_config_static_selectorELNS0_4arch9wavefront6targetE1EEEvSL_
; %bb.0:
	.section	.rodata,"a",@progbits
	.p2align	6, 0x0
	.amdhsa_kernel _ZN7rocprim17ROCPRIM_400000_NS6detail17trampoline_kernelINS0_14default_configENS1_38merge_sort_block_merge_config_selectorIjNS0_10empty_typeEEEZZNS1_27merge_sort_block_merge_implIS3_N6thrust23THRUST_200600_302600_NS6detail15normal_iteratorINS9_10device_ptrIjEEEEPS5_jNS1_19radix_merge_compareILb0ELb1EjNS0_19identity_decomposerEEEEE10hipError_tT0_T1_T2_jT3_P12ihipStream_tbPNSt15iterator_traitsISK_E10value_typeEPNSQ_ISL_E10value_typeEPSM_NS1_7vsmem_tEENKUlT_SK_SL_SM_E_clIPjSE_SF_SF_EESJ_SZ_SK_SL_SM_EUlSZ_E0_NS1_11comp_targetILNS1_3genE2ELNS1_11target_archE906ELNS1_3gpuE6ELNS1_3repE0EEENS1_38merge_mergepath_config_static_selectorELNS0_4arch9wavefront6targetE1EEEvSL_
		.amdhsa_group_segment_fixed_size 0
		.amdhsa_private_segment_fixed_size 0
		.amdhsa_kernarg_size 64
		.amdhsa_user_sgpr_count 6
		.amdhsa_user_sgpr_private_segment_buffer 1
		.amdhsa_user_sgpr_dispatch_ptr 0
		.amdhsa_user_sgpr_queue_ptr 0
		.amdhsa_user_sgpr_kernarg_segment_ptr 1
		.amdhsa_user_sgpr_dispatch_id 0
		.amdhsa_user_sgpr_flat_scratch_init 0
		.amdhsa_user_sgpr_kernarg_preload_length 0
		.amdhsa_user_sgpr_kernarg_preload_offset 0
		.amdhsa_user_sgpr_private_segment_size 0
		.amdhsa_uses_dynamic_stack 0
		.amdhsa_system_sgpr_private_segment_wavefront_offset 0
		.amdhsa_system_sgpr_workgroup_id_x 1
		.amdhsa_system_sgpr_workgroup_id_y 0
		.amdhsa_system_sgpr_workgroup_id_z 0
		.amdhsa_system_sgpr_workgroup_info 0
		.amdhsa_system_vgpr_workitem_id 0
		.amdhsa_next_free_vgpr 1
		.amdhsa_next_free_sgpr 0
		.amdhsa_accum_offset 4
		.amdhsa_reserve_vcc 0
		.amdhsa_reserve_flat_scratch 0
		.amdhsa_float_round_mode_32 0
		.amdhsa_float_round_mode_16_64 0
		.amdhsa_float_denorm_mode_32 3
		.amdhsa_float_denorm_mode_16_64 3
		.amdhsa_dx10_clamp 1
		.amdhsa_ieee_mode 1
		.amdhsa_fp16_overflow 0
		.amdhsa_tg_split 0
		.amdhsa_exception_fp_ieee_invalid_op 0
		.amdhsa_exception_fp_denorm_src 0
		.amdhsa_exception_fp_ieee_div_zero 0
		.amdhsa_exception_fp_ieee_overflow 0
		.amdhsa_exception_fp_ieee_underflow 0
		.amdhsa_exception_fp_ieee_inexact 0
		.amdhsa_exception_int_div_zero 0
	.end_amdhsa_kernel
	.section	.text._ZN7rocprim17ROCPRIM_400000_NS6detail17trampoline_kernelINS0_14default_configENS1_38merge_sort_block_merge_config_selectorIjNS0_10empty_typeEEEZZNS1_27merge_sort_block_merge_implIS3_N6thrust23THRUST_200600_302600_NS6detail15normal_iteratorINS9_10device_ptrIjEEEEPS5_jNS1_19radix_merge_compareILb0ELb1EjNS0_19identity_decomposerEEEEE10hipError_tT0_T1_T2_jT3_P12ihipStream_tbPNSt15iterator_traitsISK_E10value_typeEPNSQ_ISL_E10value_typeEPSM_NS1_7vsmem_tEENKUlT_SK_SL_SM_E_clIPjSE_SF_SF_EESJ_SZ_SK_SL_SM_EUlSZ_E0_NS1_11comp_targetILNS1_3genE2ELNS1_11target_archE906ELNS1_3gpuE6ELNS1_3repE0EEENS1_38merge_mergepath_config_static_selectorELNS0_4arch9wavefront6targetE1EEEvSL_,"axG",@progbits,_ZN7rocprim17ROCPRIM_400000_NS6detail17trampoline_kernelINS0_14default_configENS1_38merge_sort_block_merge_config_selectorIjNS0_10empty_typeEEEZZNS1_27merge_sort_block_merge_implIS3_N6thrust23THRUST_200600_302600_NS6detail15normal_iteratorINS9_10device_ptrIjEEEEPS5_jNS1_19radix_merge_compareILb0ELb1EjNS0_19identity_decomposerEEEEE10hipError_tT0_T1_T2_jT3_P12ihipStream_tbPNSt15iterator_traitsISK_E10value_typeEPNSQ_ISL_E10value_typeEPSM_NS1_7vsmem_tEENKUlT_SK_SL_SM_E_clIPjSE_SF_SF_EESJ_SZ_SK_SL_SM_EUlSZ_E0_NS1_11comp_targetILNS1_3genE2ELNS1_11target_archE906ELNS1_3gpuE6ELNS1_3repE0EEENS1_38merge_mergepath_config_static_selectorELNS0_4arch9wavefront6targetE1EEEvSL_,comdat
.Lfunc_end1039:
	.size	_ZN7rocprim17ROCPRIM_400000_NS6detail17trampoline_kernelINS0_14default_configENS1_38merge_sort_block_merge_config_selectorIjNS0_10empty_typeEEEZZNS1_27merge_sort_block_merge_implIS3_N6thrust23THRUST_200600_302600_NS6detail15normal_iteratorINS9_10device_ptrIjEEEEPS5_jNS1_19radix_merge_compareILb0ELb1EjNS0_19identity_decomposerEEEEE10hipError_tT0_T1_T2_jT3_P12ihipStream_tbPNSt15iterator_traitsISK_E10value_typeEPNSQ_ISL_E10value_typeEPSM_NS1_7vsmem_tEENKUlT_SK_SL_SM_E_clIPjSE_SF_SF_EESJ_SZ_SK_SL_SM_EUlSZ_E0_NS1_11comp_targetILNS1_3genE2ELNS1_11target_archE906ELNS1_3gpuE6ELNS1_3repE0EEENS1_38merge_mergepath_config_static_selectorELNS0_4arch9wavefront6targetE1EEEvSL_, .Lfunc_end1039-_ZN7rocprim17ROCPRIM_400000_NS6detail17trampoline_kernelINS0_14default_configENS1_38merge_sort_block_merge_config_selectorIjNS0_10empty_typeEEEZZNS1_27merge_sort_block_merge_implIS3_N6thrust23THRUST_200600_302600_NS6detail15normal_iteratorINS9_10device_ptrIjEEEEPS5_jNS1_19radix_merge_compareILb0ELb1EjNS0_19identity_decomposerEEEEE10hipError_tT0_T1_T2_jT3_P12ihipStream_tbPNSt15iterator_traitsISK_E10value_typeEPNSQ_ISL_E10value_typeEPSM_NS1_7vsmem_tEENKUlT_SK_SL_SM_E_clIPjSE_SF_SF_EESJ_SZ_SK_SL_SM_EUlSZ_E0_NS1_11comp_targetILNS1_3genE2ELNS1_11target_archE906ELNS1_3gpuE6ELNS1_3repE0EEENS1_38merge_mergepath_config_static_selectorELNS0_4arch9wavefront6targetE1EEEvSL_
                                        ; -- End function
	.section	.AMDGPU.csdata,"",@progbits
; Kernel info:
; codeLenInByte = 0
; NumSgprs: 4
; NumVgprs: 0
; NumAgprs: 0
; TotalNumVgprs: 0
; ScratchSize: 0
; MemoryBound: 0
; FloatMode: 240
; IeeeMode: 1
; LDSByteSize: 0 bytes/workgroup (compile time only)
; SGPRBlocks: 0
; VGPRBlocks: 0
; NumSGPRsForWavesPerEU: 4
; NumVGPRsForWavesPerEU: 1
; AccumOffset: 4
; Occupancy: 8
; WaveLimiterHint : 0
; COMPUTE_PGM_RSRC2:SCRATCH_EN: 0
; COMPUTE_PGM_RSRC2:USER_SGPR: 6
; COMPUTE_PGM_RSRC2:TRAP_HANDLER: 0
; COMPUTE_PGM_RSRC2:TGID_X_EN: 1
; COMPUTE_PGM_RSRC2:TGID_Y_EN: 0
; COMPUTE_PGM_RSRC2:TGID_Z_EN: 0
; COMPUTE_PGM_RSRC2:TIDIG_COMP_CNT: 0
; COMPUTE_PGM_RSRC3_GFX90A:ACCUM_OFFSET: 0
; COMPUTE_PGM_RSRC3_GFX90A:TG_SPLIT: 0
	.section	.text._ZN7rocprim17ROCPRIM_400000_NS6detail17trampoline_kernelINS0_14default_configENS1_38merge_sort_block_merge_config_selectorIjNS0_10empty_typeEEEZZNS1_27merge_sort_block_merge_implIS3_N6thrust23THRUST_200600_302600_NS6detail15normal_iteratorINS9_10device_ptrIjEEEEPS5_jNS1_19radix_merge_compareILb0ELb1EjNS0_19identity_decomposerEEEEE10hipError_tT0_T1_T2_jT3_P12ihipStream_tbPNSt15iterator_traitsISK_E10value_typeEPNSQ_ISL_E10value_typeEPSM_NS1_7vsmem_tEENKUlT_SK_SL_SM_E_clIPjSE_SF_SF_EESJ_SZ_SK_SL_SM_EUlSZ_E0_NS1_11comp_targetILNS1_3genE9ELNS1_11target_archE1100ELNS1_3gpuE3ELNS1_3repE0EEENS1_38merge_mergepath_config_static_selectorELNS0_4arch9wavefront6targetE1EEEvSL_,"axG",@progbits,_ZN7rocprim17ROCPRIM_400000_NS6detail17trampoline_kernelINS0_14default_configENS1_38merge_sort_block_merge_config_selectorIjNS0_10empty_typeEEEZZNS1_27merge_sort_block_merge_implIS3_N6thrust23THRUST_200600_302600_NS6detail15normal_iteratorINS9_10device_ptrIjEEEEPS5_jNS1_19radix_merge_compareILb0ELb1EjNS0_19identity_decomposerEEEEE10hipError_tT0_T1_T2_jT3_P12ihipStream_tbPNSt15iterator_traitsISK_E10value_typeEPNSQ_ISL_E10value_typeEPSM_NS1_7vsmem_tEENKUlT_SK_SL_SM_E_clIPjSE_SF_SF_EESJ_SZ_SK_SL_SM_EUlSZ_E0_NS1_11comp_targetILNS1_3genE9ELNS1_11target_archE1100ELNS1_3gpuE3ELNS1_3repE0EEENS1_38merge_mergepath_config_static_selectorELNS0_4arch9wavefront6targetE1EEEvSL_,comdat
	.protected	_ZN7rocprim17ROCPRIM_400000_NS6detail17trampoline_kernelINS0_14default_configENS1_38merge_sort_block_merge_config_selectorIjNS0_10empty_typeEEEZZNS1_27merge_sort_block_merge_implIS3_N6thrust23THRUST_200600_302600_NS6detail15normal_iteratorINS9_10device_ptrIjEEEEPS5_jNS1_19radix_merge_compareILb0ELb1EjNS0_19identity_decomposerEEEEE10hipError_tT0_T1_T2_jT3_P12ihipStream_tbPNSt15iterator_traitsISK_E10value_typeEPNSQ_ISL_E10value_typeEPSM_NS1_7vsmem_tEENKUlT_SK_SL_SM_E_clIPjSE_SF_SF_EESJ_SZ_SK_SL_SM_EUlSZ_E0_NS1_11comp_targetILNS1_3genE9ELNS1_11target_archE1100ELNS1_3gpuE3ELNS1_3repE0EEENS1_38merge_mergepath_config_static_selectorELNS0_4arch9wavefront6targetE1EEEvSL_ ; -- Begin function _ZN7rocprim17ROCPRIM_400000_NS6detail17trampoline_kernelINS0_14default_configENS1_38merge_sort_block_merge_config_selectorIjNS0_10empty_typeEEEZZNS1_27merge_sort_block_merge_implIS3_N6thrust23THRUST_200600_302600_NS6detail15normal_iteratorINS9_10device_ptrIjEEEEPS5_jNS1_19radix_merge_compareILb0ELb1EjNS0_19identity_decomposerEEEEE10hipError_tT0_T1_T2_jT3_P12ihipStream_tbPNSt15iterator_traitsISK_E10value_typeEPNSQ_ISL_E10value_typeEPSM_NS1_7vsmem_tEENKUlT_SK_SL_SM_E_clIPjSE_SF_SF_EESJ_SZ_SK_SL_SM_EUlSZ_E0_NS1_11comp_targetILNS1_3genE9ELNS1_11target_archE1100ELNS1_3gpuE3ELNS1_3repE0EEENS1_38merge_mergepath_config_static_selectorELNS0_4arch9wavefront6targetE1EEEvSL_
	.globl	_ZN7rocprim17ROCPRIM_400000_NS6detail17trampoline_kernelINS0_14default_configENS1_38merge_sort_block_merge_config_selectorIjNS0_10empty_typeEEEZZNS1_27merge_sort_block_merge_implIS3_N6thrust23THRUST_200600_302600_NS6detail15normal_iteratorINS9_10device_ptrIjEEEEPS5_jNS1_19radix_merge_compareILb0ELb1EjNS0_19identity_decomposerEEEEE10hipError_tT0_T1_T2_jT3_P12ihipStream_tbPNSt15iterator_traitsISK_E10value_typeEPNSQ_ISL_E10value_typeEPSM_NS1_7vsmem_tEENKUlT_SK_SL_SM_E_clIPjSE_SF_SF_EESJ_SZ_SK_SL_SM_EUlSZ_E0_NS1_11comp_targetILNS1_3genE9ELNS1_11target_archE1100ELNS1_3gpuE3ELNS1_3repE0EEENS1_38merge_mergepath_config_static_selectorELNS0_4arch9wavefront6targetE1EEEvSL_
	.p2align	8
	.type	_ZN7rocprim17ROCPRIM_400000_NS6detail17trampoline_kernelINS0_14default_configENS1_38merge_sort_block_merge_config_selectorIjNS0_10empty_typeEEEZZNS1_27merge_sort_block_merge_implIS3_N6thrust23THRUST_200600_302600_NS6detail15normal_iteratorINS9_10device_ptrIjEEEEPS5_jNS1_19radix_merge_compareILb0ELb1EjNS0_19identity_decomposerEEEEE10hipError_tT0_T1_T2_jT3_P12ihipStream_tbPNSt15iterator_traitsISK_E10value_typeEPNSQ_ISL_E10value_typeEPSM_NS1_7vsmem_tEENKUlT_SK_SL_SM_E_clIPjSE_SF_SF_EESJ_SZ_SK_SL_SM_EUlSZ_E0_NS1_11comp_targetILNS1_3genE9ELNS1_11target_archE1100ELNS1_3gpuE3ELNS1_3repE0EEENS1_38merge_mergepath_config_static_selectorELNS0_4arch9wavefront6targetE1EEEvSL_,@function
_ZN7rocprim17ROCPRIM_400000_NS6detail17trampoline_kernelINS0_14default_configENS1_38merge_sort_block_merge_config_selectorIjNS0_10empty_typeEEEZZNS1_27merge_sort_block_merge_implIS3_N6thrust23THRUST_200600_302600_NS6detail15normal_iteratorINS9_10device_ptrIjEEEEPS5_jNS1_19radix_merge_compareILb0ELb1EjNS0_19identity_decomposerEEEEE10hipError_tT0_T1_T2_jT3_P12ihipStream_tbPNSt15iterator_traitsISK_E10value_typeEPNSQ_ISL_E10value_typeEPSM_NS1_7vsmem_tEENKUlT_SK_SL_SM_E_clIPjSE_SF_SF_EESJ_SZ_SK_SL_SM_EUlSZ_E0_NS1_11comp_targetILNS1_3genE9ELNS1_11target_archE1100ELNS1_3gpuE3ELNS1_3repE0EEENS1_38merge_mergepath_config_static_selectorELNS0_4arch9wavefront6targetE1EEEvSL_: ; @_ZN7rocprim17ROCPRIM_400000_NS6detail17trampoline_kernelINS0_14default_configENS1_38merge_sort_block_merge_config_selectorIjNS0_10empty_typeEEEZZNS1_27merge_sort_block_merge_implIS3_N6thrust23THRUST_200600_302600_NS6detail15normal_iteratorINS9_10device_ptrIjEEEEPS5_jNS1_19radix_merge_compareILb0ELb1EjNS0_19identity_decomposerEEEEE10hipError_tT0_T1_T2_jT3_P12ihipStream_tbPNSt15iterator_traitsISK_E10value_typeEPNSQ_ISL_E10value_typeEPSM_NS1_7vsmem_tEENKUlT_SK_SL_SM_E_clIPjSE_SF_SF_EESJ_SZ_SK_SL_SM_EUlSZ_E0_NS1_11comp_targetILNS1_3genE9ELNS1_11target_archE1100ELNS1_3gpuE3ELNS1_3repE0EEENS1_38merge_mergepath_config_static_selectorELNS0_4arch9wavefront6targetE1EEEvSL_
; %bb.0:
	.section	.rodata,"a",@progbits
	.p2align	6, 0x0
	.amdhsa_kernel _ZN7rocprim17ROCPRIM_400000_NS6detail17trampoline_kernelINS0_14default_configENS1_38merge_sort_block_merge_config_selectorIjNS0_10empty_typeEEEZZNS1_27merge_sort_block_merge_implIS3_N6thrust23THRUST_200600_302600_NS6detail15normal_iteratorINS9_10device_ptrIjEEEEPS5_jNS1_19radix_merge_compareILb0ELb1EjNS0_19identity_decomposerEEEEE10hipError_tT0_T1_T2_jT3_P12ihipStream_tbPNSt15iterator_traitsISK_E10value_typeEPNSQ_ISL_E10value_typeEPSM_NS1_7vsmem_tEENKUlT_SK_SL_SM_E_clIPjSE_SF_SF_EESJ_SZ_SK_SL_SM_EUlSZ_E0_NS1_11comp_targetILNS1_3genE9ELNS1_11target_archE1100ELNS1_3gpuE3ELNS1_3repE0EEENS1_38merge_mergepath_config_static_selectorELNS0_4arch9wavefront6targetE1EEEvSL_
		.amdhsa_group_segment_fixed_size 0
		.amdhsa_private_segment_fixed_size 0
		.amdhsa_kernarg_size 64
		.amdhsa_user_sgpr_count 6
		.amdhsa_user_sgpr_private_segment_buffer 1
		.amdhsa_user_sgpr_dispatch_ptr 0
		.amdhsa_user_sgpr_queue_ptr 0
		.amdhsa_user_sgpr_kernarg_segment_ptr 1
		.amdhsa_user_sgpr_dispatch_id 0
		.amdhsa_user_sgpr_flat_scratch_init 0
		.amdhsa_user_sgpr_kernarg_preload_length 0
		.amdhsa_user_sgpr_kernarg_preload_offset 0
		.amdhsa_user_sgpr_private_segment_size 0
		.amdhsa_uses_dynamic_stack 0
		.amdhsa_system_sgpr_private_segment_wavefront_offset 0
		.amdhsa_system_sgpr_workgroup_id_x 1
		.amdhsa_system_sgpr_workgroup_id_y 0
		.amdhsa_system_sgpr_workgroup_id_z 0
		.amdhsa_system_sgpr_workgroup_info 0
		.amdhsa_system_vgpr_workitem_id 0
		.amdhsa_next_free_vgpr 1
		.amdhsa_next_free_sgpr 0
		.amdhsa_accum_offset 4
		.amdhsa_reserve_vcc 0
		.amdhsa_reserve_flat_scratch 0
		.amdhsa_float_round_mode_32 0
		.amdhsa_float_round_mode_16_64 0
		.amdhsa_float_denorm_mode_32 3
		.amdhsa_float_denorm_mode_16_64 3
		.amdhsa_dx10_clamp 1
		.amdhsa_ieee_mode 1
		.amdhsa_fp16_overflow 0
		.amdhsa_tg_split 0
		.amdhsa_exception_fp_ieee_invalid_op 0
		.amdhsa_exception_fp_denorm_src 0
		.amdhsa_exception_fp_ieee_div_zero 0
		.amdhsa_exception_fp_ieee_overflow 0
		.amdhsa_exception_fp_ieee_underflow 0
		.amdhsa_exception_fp_ieee_inexact 0
		.amdhsa_exception_int_div_zero 0
	.end_amdhsa_kernel
	.section	.text._ZN7rocprim17ROCPRIM_400000_NS6detail17trampoline_kernelINS0_14default_configENS1_38merge_sort_block_merge_config_selectorIjNS0_10empty_typeEEEZZNS1_27merge_sort_block_merge_implIS3_N6thrust23THRUST_200600_302600_NS6detail15normal_iteratorINS9_10device_ptrIjEEEEPS5_jNS1_19radix_merge_compareILb0ELb1EjNS0_19identity_decomposerEEEEE10hipError_tT0_T1_T2_jT3_P12ihipStream_tbPNSt15iterator_traitsISK_E10value_typeEPNSQ_ISL_E10value_typeEPSM_NS1_7vsmem_tEENKUlT_SK_SL_SM_E_clIPjSE_SF_SF_EESJ_SZ_SK_SL_SM_EUlSZ_E0_NS1_11comp_targetILNS1_3genE9ELNS1_11target_archE1100ELNS1_3gpuE3ELNS1_3repE0EEENS1_38merge_mergepath_config_static_selectorELNS0_4arch9wavefront6targetE1EEEvSL_,"axG",@progbits,_ZN7rocprim17ROCPRIM_400000_NS6detail17trampoline_kernelINS0_14default_configENS1_38merge_sort_block_merge_config_selectorIjNS0_10empty_typeEEEZZNS1_27merge_sort_block_merge_implIS3_N6thrust23THRUST_200600_302600_NS6detail15normal_iteratorINS9_10device_ptrIjEEEEPS5_jNS1_19radix_merge_compareILb0ELb1EjNS0_19identity_decomposerEEEEE10hipError_tT0_T1_T2_jT3_P12ihipStream_tbPNSt15iterator_traitsISK_E10value_typeEPNSQ_ISL_E10value_typeEPSM_NS1_7vsmem_tEENKUlT_SK_SL_SM_E_clIPjSE_SF_SF_EESJ_SZ_SK_SL_SM_EUlSZ_E0_NS1_11comp_targetILNS1_3genE9ELNS1_11target_archE1100ELNS1_3gpuE3ELNS1_3repE0EEENS1_38merge_mergepath_config_static_selectorELNS0_4arch9wavefront6targetE1EEEvSL_,comdat
.Lfunc_end1040:
	.size	_ZN7rocprim17ROCPRIM_400000_NS6detail17trampoline_kernelINS0_14default_configENS1_38merge_sort_block_merge_config_selectorIjNS0_10empty_typeEEEZZNS1_27merge_sort_block_merge_implIS3_N6thrust23THRUST_200600_302600_NS6detail15normal_iteratorINS9_10device_ptrIjEEEEPS5_jNS1_19radix_merge_compareILb0ELb1EjNS0_19identity_decomposerEEEEE10hipError_tT0_T1_T2_jT3_P12ihipStream_tbPNSt15iterator_traitsISK_E10value_typeEPNSQ_ISL_E10value_typeEPSM_NS1_7vsmem_tEENKUlT_SK_SL_SM_E_clIPjSE_SF_SF_EESJ_SZ_SK_SL_SM_EUlSZ_E0_NS1_11comp_targetILNS1_3genE9ELNS1_11target_archE1100ELNS1_3gpuE3ELNS1_3repE0EEENS1_38merge_mergepath_config_static_selectorELNS0_4arch9wavefront6targetE1EEEvSL_, .Lfunc_end1040-_ZN7rocprim17ROCPRIM_400000_NS6detail17trampoline_kernelINS0_14default_configENS1_38merge_sort_block_merge_config_selectorIjNS0_10empty_typeEEEZZNS1_27merge_sort_block_merge_implIS3_N6thrust23THRUST_200600_302600_NS6detail15normal_iteratorINS9_10device_ptrIjEEEEPS5_jNS1_19radix_merge_compareILb0ELb1EjNS0_19identity_decomposerEEEEE10hipError_tT0_T1_T2_jT3_P12ihipStream_tbPNSt15iterator_traitsISK_E10value_typeEPNSQ_ISL_E10value_typeEPSM_NS1_7vsmem_tEENKUlT_SK_SL_SM_E_clIPjSE_SF_SF_EESJ_SZ_SK_SL_SM_EUlSZ_E0_NS1_11comp_targetILNS1_3genE9ELNS1_11target_archE1100ELNS1_3gpuE3ELNS1_3repE0EEENS1_38merge_mergepath_config_static_selectorELNS0_4arch9wavefront6targetE1EEEvSL_
                                        ; -- End function
	.section	.AMDGPU.csdata,"",@progbits
; Kernel info:
; codeLenInByte = 0
; NumSgprs: 4
; NumVgprs: 0
; NumAgprs: 0
; TotalNumVgprs: 0
; ScratchSize: 0
; MemoryBound: 0
; FloatMode: 240
; IeeeMode: 1
; LDSByteSize: 0 bytes/workgroup (compile time only)
; SGPRBlocks: 0
; VGPRBlocks: 0
; NumSGPRsForWavesPerEU: 4
; NumVGPRsForWavesPerEU: 1
; AccumOffset: 4
; Occupancy: 8
; WaveLimiterHint : 0
; COMPUTE_PGM_RSRC2:SCRATCH_EN: 0
; COMPUTE_PGM_RSRC2:USER_SGPR: 6
; COMPUTE_PGM_RSRC2:TRAP_HANDLER: 0
; COMPUTE_PGM_RSRC2:TGID_X_EN: 1
; COMPUTE_PGM_RSRC2:TGID_Y_EN: 0
; COMPUTE_PGM_RSRC2:TGID_Z_EN: 0
; COMPUTE_PGM_RSRC2:TIDIG_COMP_CNT: 0
; COMPUTE_PGM_RSRC3_GFX90A:ACCUM_OFFSET: 0
; COMPUTE_PGM_RSRC3_GFX90A:TG_SPLIT: 0
	.section	.text._ZN7rocprim17ROCPRIM_400000_NS6detail17trampoline_kernelINS0_14default_configENS1_38merge_sort_block_merge_config_selectorIjNS0_10empty_typeEEEZZNS1_27merge_sort_block_merge_implIS3_N6thrust23THRUST_200600_302600_NS6detail15normal_iteratorINS9_10device_ptrIjEEEEPS5_jNS1_19radix_merge_compareILb0ELb1EjNS0_19identity_decomposerEEEEE10hipError_tT0_T1_T2_jT3_P12ihipStream_tbPNSt15iterator_traitsISK_E10value_typeEPNSQ_ISL_E10value_typeEPSM_NS1_7vsmem_tEENKUlT_SK_SL_SM_E_clIPjSE_SF_SF_EESJ_SZ_SK_SL_SM_EUlSZ_E0_NS1_11comp_targetILNS1_3genE8ELNS1_11target_archE1030ELNS1_3gpuE2ELNS1_3repE0EEENS1_38merge_mergepath_config_static_selectorELNS0_4arch9wavefront6targetE1EEEvSL_,"axG",@progbits,_ZN7rocprim17ROCPRIM_400000_NS6detail17trampoline_kernelINS0_14default_configENS1_38merge_sort_block_merge_config_selectorIjNS0_10empty_typeEEEZZNS1_27merge_sort_block_merge_implIS3_N6thrust23THRUST_200600_302600_NS6detail15normal_iteratorINS9_10device_ptrIjEEEEPS5_jNS1_19radix_merge_compareILb0ELb1EjNS0_19identity_decomposerEEEEE10hipError_tT0_T1_T2_jT3_P12ihipStream_tbPNSt15iterator_traitsISK_E10value_typeEPNSQ_ISL_E10value_typeEPSM_NS1_7vsmem_tEENKUlT_SK_SL_SM_E_clIPjSE_SF_SF_EESJ_SZ_SK_SL_SM_EUlSZ_E0_NS1_11comp_targetILNS1_3genE8ELNS1_11target_archE1030ELNS1_3gpuE2ELNS1_3repE0EEENS1_38merge_mergepath_config_static_selectorELNS0_4arch9wavefront6targetE1EEEvSL_,comdat
	.protected	_ZN7rocprim17ROCPRIM_400000_NS6detail17trampoline_kernelINS0_14default_configENS1_38merge_sort_block_merge_config_selectorIjNS0_10empty_typeEEEZZNS1_27merge_sort_block_merge_implIS3_N6thrust23THRUST_200600_302600_NS6detail15normal_iteratorINS9_10device_ptrIjEEEEPS5_jNS1_19radix_merge_compareILb0ELb1EjNS0_19identity_decomposerEEEEE10hipError_tT0_T1_T2_jT3_P12ihipStream_tbPNSt15iterator_traitsISK_E10value_typeEPNSQ_ISL_E10value_typeEPSM_NS1_7vsmem_tEENKUlT_SK_SL_SM_E_clIPjSE_SF_SF_EESJ_SZ_SK_SL_SM_EUlSZ_E0_NS1_11comp_targetILNS1_3genE8ELNS1_11target_archE1030ELNS1_3gpuE2ELNS1_3repE0EEENS1_38merge_mergepath_config_static_selectorELNS0_4arch9wavefront6targetE1EEEvSL_ ; -- Begin function _ZN7rocprim17ROCPRIM_400000_NS6detail17trampoline_kernelINS0_14default_configENS1_38merge_sort_block_merge_config_selectorIjNS0_10empty_typeEEEZZNS1_27merge_sort_block_merge_implIS3_N6thrust23THRUST_200600_302600_NS6detail15normal_iteratorINS9_10device_ptrIjEEEEPS5_jNS1_19radix_merge_compareILb0ELb1EjNS0_19identity_decomposerEEEEE10hipError_tT0_T1_T2_jT3_P12ihipStream_tbPNSt15iterator_traitsISK_E10value_typeEPNSQ_ISL_E10value_typeEPSM_NS1_7vsmem_tEENKUlT_SK_SL_SM_E_clIPjSE_SF_SF_EESJ_SZ_SK_SL_SM_EUlSZ_E0_NS1_11comp_targetILNS1_3genE8ELNS1_11target_archE1030ELNS1_3gpuE2ELNS1_3repE0EEENS1_38merge_mergepath_config_static_selectorELNS0_4arch9wavefront6targetE1EEEvSL_
	.globl	_ZN7rocprim17ROCPRIM_400000_NS6detail17trampoline_kernelINS0_14default_configENS1_38merge_sort_block_merge_config_selectorIjNS0_10empty_typeEEEZZNS1_27merge_sort_block_merge_implIS3_N6thrust23THRUST_200600_302600_NS6detail15normal_iteratorINS9_10device_ptrIjEEEEPS5_jNS1_19radix_merge_compareILb0ELb1EjNS0_19identity_decomposerEEEEE10hipError_tT0_T1_T2_jT3_P12ihipStream_tbPNSt15iterator_traitsISK_E10value_typeEPNSQ_ISL_E10value_typeEPSM_NS1_7vsmem_tEENKUlT_SK_SL_SM_E_clIPjSE_SF_SF_EESJ_SZ_SK_SL_SM_EUlSZ_E0_NS1_11comp_targetILNS1_3genE8ELNS1_11target_archE1030ELNS1_3gpuE2ELNS1_3repE0EEENS1_38merge_mergepath_config_static_selectorELNS0_4arch9wavefront6targetE1EEEvSL_
	.p2align	8
	.type	_ZN7rocprim17ROCPRIM_400000_NS6detail17trampoline_kernelINS0_14default_configENS1_38merge_sort_block_merge_config_selectorIjNS0_10empty_typeEEEZZNS1_27merge_sort_block_merge_implIS3_N6thrust23THRUST_200600_302600_NS6detail15normal_iteratorINS9_10device_ptrIjEEEEPS5_jNS1_19radix_merge_compareILb0ELb1EjNS0_19identity_decomposerEEEEE10hipError_tT0_T1_T2_jT3_P12ihipStream_tbPNSt15iterator_traitsISK_E10value_typeEPNSQ_ISL_E10value_typeEPSM_NS1_7vsmem_tEENKUlT_SK_SL_SM_E_clIPjSE_SF_SF_EESJ_SZ_SK_SL_SM_EUlSZ_E0_NS1_11comp_targetILNS1_3genE8ELNS1_11target_archE1030ELNS1_3gpuE2ELNS1_3repE0EEENS1_38merge_mergepath_config_static_selectorELNS0_4arch9wavefront6targetE1EEEvSL_,@function
_ZN7rocprim17ROCPRIM_400000_NS6detail17trampoline_kernelINS0_14default_configENS1_38merge_sort_block_merge_config_selectorIjNS0_10empty_typeEEEZZNS1_27merge_sort_block_merge_implIS3_N6thrust23THRUST_200600_302600_NS6detail15normal_iteratorINS9_10device_ptrIjEEEEPS5_jNS1_19radix_merge_compareILb0ELb1EjNS0_19identity_decomposerEEEEE10hipError_tT0_T1_T2_jT3_P12ihipStream_tbPNSt15iterator_traitsISK_E10value_typeEPNSQ_ISL_E10value_typeEPSM_NS1_7vsmem_tEENKUlT_SK_SL_SM_E_clIPjSE_SF_SF_EESJ_SZ_SK_SL_SM_EUlSZ_E0_NS1_11comp_targetILNS1_3genE8ELNS1_11target_archE1030ELNS1_3gpuE2ELNS1_3repE0EEENS1_38merge_mergepath_config_static_selectorELNS0_4arch9wavefront6targetE1EEEvSL_: ; @_ZN7rocprim17ROCPRIM_400000_NS6detail17trampoline_kernelINS0_14default_configENS1_38merge_sort_block_merge_config_selectorIjNS0_10empty_typeEEEZZNS1_27merge_sort_block_merge_implIS3_N6thrust23THRUST_200600_302600_NS6detail15normal_iteratorINS9_10device_ptrIjEEEEPS5_jNS1_19radix_merge_compareILb0ELb1EjNS0_19identity_decomposerEEEEE10hipError_tT0_T1_T2_jT3_P12ihipStream_tbPNSt15iterator_traitsISK_E10value_typeEPNSQ_ISL_E10value_typeEPSM_NS1_7vsmem_tEENKUlT_SK_SL_SM_E_clIPjSE_SF_SF_EESJ_SZ_SK_SL_SM_EUlSZ_E0_NS1_11comp_targetILNS1_3genE8ELNS1_11target_archE1030ELNS1_3gpuE2ELNS1_3repE0EEENS1_38merge_mergepath_config_static_selectorELNS0_4arch9wavefront6targetE1EEEvSL_
; %bb.0:
	.section	.rodata,"a",@progbits
	.p2align	6, 0x0
	.amdhsa_kernel _ZN7rocprim17ROCPRIM_400000_NS6detail17trampoline_kernelINS0_14default_configENS1_38merge_sort_block_merge_config_selectorIjNS0_10empty_typeEEEZZNS1_27merge_sort_block_merge_implIS3_N6thrust23THRUST_200600_302600_NS6detail15normal_iteratorINS9_10device_ptrIjEEEEPS5_jNS1_19radix_merge_compareILb0ELb1EjNS0_19identity_decomposerEEEEE10hipError_tT0_T1_T2_jT3_P12ihipStream_tbPNSt15iterator_traitsISK_E10value_typeEPNSQ_ISL_E10value_typeEPSM_NS1_7vsmem_tEENKUlT_SK_SL_SM_E_clIPjSE_SF_SF_EESJ_SZ_SK_SL_SM_EUlSZ_E0_NS1_11comp_targetILNS1_3genE8ELNS1_11target_archE1030ELNS1_3gpuE2ELNS1_3repE0EEENS1_38merge_mergepath_config_static_selectorELNS0_4arch9wavefront6targetE1EEEvSL_
		.amdhsa_group_segment_fixed_size 0
		.amdhsa_private_segment_fixed_size 0
		.amdhsa_kernarg_size 64
		.amdhsa_user_sgpr_count 6
		.amdhsa_user_sgpr_private_segment_buffer 1
		.amdhsa_user_sgpr_dispatch_ptr 0
		.amdhsa_user_sgpr_queue_ptr 0
		.amdhsa_user_sgpr_kernarg_segment_ptr 1
		.amdhsa_user_sgpr_dispatch_id 0
		.amdhsa_user_sgpr_flat_scratch_init 0
		.amdhsa_user_sgpr_kernarg_preload_length 0
		.amdhsa_user_sgpr_kernarg_preload_offset 0
		.amdhsa_user_sgpr_private_segment_size 0
		.amdhsa_uses_dynamic_stack 0
		.amdhsa_system_sgpr_private_segment_wavefront_offset 0
		.amdhsa_system_sgpr_workgroup_id_x 1
		.amdhsa_system_sgpr_workgroup_id_y 0
		.amdhsa_system_sgpr_workgroup_id_z 0
		.amdhsa_system_sgpr_workgroup_info 0
		.amdhsa_system_vgpr_workitem_id 0
		.amdhsa_next_free_vgpr 1
		.amdhsa_next_free_sgpr 0
		.amdhsa_accum_offset 4
		.amdhsa_reserve_vcc 0
		.amdhsa_reserve_flat_scratch 0
		.amdhsa_float_round_mode_32 0
		.amdhsa_float_round_mode_16_64 0
		.amdhsa_float_denorm_mode_32 3
		.amdhsa_float_denorm_mode_16_64 3
		.amdhsa_dx10_clamp 1
		.amdhsa_ieee_mode 1
		.amdhsa_fp16_overflow 0
		.amdhsa_tg_split 0
		.amdhsa_exception_fp_ieee_invalid_op 0
		.amdhsa_exception_fp_denorm_src 0
		.amdhsa_exception_fp_ieee_div_zero 0
		.amdhsa_exception_fp_ieee_overflow 0
		.amdhsa_exception_fp_ieee_underflow 0
		.amdhsa_exception_fp_ieee_inexact 0
		.amdhsa_exception_int_div_zero 0
	.end_amdhsa_kernel
	.section	.text._ZN7rocprim17ROCPRIM_400000_NS6detail17trampoline_kernelINS0_14default_configENS1_38merge_sort_block_merge_config_selectorIjNS0_10empty_typeEEEZZNS1_27merge_sort_block_merge_implIS3_N6thrust23THRUST_200600_302600_NS6detail15normal_iteratorINS9_10device_ptrIjEEEEPS5_jNS1_19radix_merge_compareILb0ELb1EjNS0_19identity_decomposerEEEEE10hipError_tT0_T1_T2_jT3_P12ihipStream_tbPNSt15iterator_traitsISK_E10value_typeEPNSQ_ISL_E10value_typeEPSM_NS1_7vsmem_tEENKUlT_SK_SL_SM_E_clIPjSE_SF_SF_EESJ_SZ_SK_SL_SM_EUlSZ_E0_NS1_11comp_targetILNS1_3genE8ELNS1_11target_archE1030ELNS1_3gpuE2ELNS1_3repE0EEENS1_38merge_mergepath_config_static_selectorELNS0_4arch9wavefront6targetE1EEEvSL_,"axG",@progbits,_ZN7rocprim17ROCPRIM_400000_NS6detail17trampoline_kernelINS0_14default_configENS1_38merge_sort_block_merge_config_selectorIjNS0_10empty_typeEEEZZNS1_27merge_sort_block_merge_implIS3_N6thrust23THRUST_200600_302600_NS6detail15normal_iteratorINS9_10device_ptrIjEEEEPS5_jNS1_19radix_merge_compareILb0ELb1EjNS0_19identity_decomposerEEEEE10hipError_tT0_T1_T2_jT3_P12ihipStream_tbPNSt15iterator_traitsISK_E10value_typeEPNSQ_ISL_E10value_typeEPSM_NS1_7vsmem_tEENKUlT_SK_SL_SM_E_clIPjSE_SF_SF_EESJ_SZ_SK_SL_SM_EUlSZ_E0_NS1_11comp_targetILNS1_3genE8ELNS1_11target_archE1030ELNS1_3gpuE2ELNS1_3repE0EEENS1_38merge_mergepath_config_static_selectorELNS0_4arch9wavefront6targetE1EEEvSL_,comdat
.Lfunc_end1041:
	.size	_ZN7rocprim17ROCPRIM_400000_NS6detail17trampoline_kernelINS0_14default_configENS1_38merge_sort_block_merge_config_selectorIjNS0_10empty_typeEEEZZNS1_27merge_sort_block_merge_implIS3_N6thrust23THRUST_200600_302600_NS6detail15normal_iteratorINS9_10device_ptrIjEEEEPS5_jNS1_19radix_merge_compareILb0ELb1EjNS0_19identity_decomposerEEEEE10hipError_tT0_T1_T2_jT3_P12ihipStream_tbPNSt15iterator_traitsISK_E10value_typeEPNSQ_ISL_E10value_typeEPSM_NS1_7vsmem_tEENKUlT_SK_SL_SM_E_clIPjSE_SF_SF_EESJ_SZ_SK_SL_SM_EUlSZ_E0_NS1_11comp_targetILNS1_3genE8ELNS1_11target_archE1030ELNS1_3gpuE2ELNS1_3repE0EEENS1_38merge_mergepath_config_static_selectorELNS0_4arch9wavefront6targetE1EEEvSL_, .Lfunc_end1041-_ZN7rocprim17ROCPRIM_400000_NS6detail17trampoline_kernelINS0_14default_configENS1_38merge_sort_block_merge_config_selectorIjNS0_10empty_typeEEEZZNS1_27merge_sort_block_merge_implIS3_N6thrust23THRUST_200600_302600_NS6detail15normal_iteratorINS9_10device_ptrIjEEEEPS5_jNS1_19radix_merge_compareILb0ELb1EjNS0_19identity_decomposerEEEEE10hipError_tT0_T1_T2_jT3_P12ihipStream_tbPNSt15iterator_traitsISK_E10value_typeEPNSQ_ISL_E10value_typeEPSM_NS1_7vsmem_tEENKUlT_SK_SL_SM_E_clIPjSE_SF_SF_EESJ_SZ_SK_SL_SM_EUlSZ_E0_NS1_11comp_targetILNS1_3genE8ELNS1_11target_archE1030ELNS1_3gpuE2ELNS1_3repE0EEENS1_38merge_mergepath_config_static_selectorELNS0_4arch9wavefront6targetE1EEEvSL_
                                        ; -- End function
	.section	.AMDGPU.csdata,"",@progbits
; Kernel info:
; codeLenInByte = 0
; NumSgprs: 4
; NumVgprs: 0
; NumAgprs: 0
; TotalNumVgprs: 0
; ScratchSize: 0
; MemoryBound: 0
; FloatMode: 240
; IeeeMode: 1
; LDSByteSize: 0 bytes/workgroup (compile time only)
; SGPRBlocks: 0
; VGPRBlocks: 0
; NumSGPRsForWavesPerEU: 4
; NumVGPRsForWavesPerEU: 1
; AccumOffset: 4
; Occupancy: 8
; WaveLimiterHint : 0
; COMPUTE_PGM_RSRC2:SCRATCH_EN: 0
; COMPUTE_PGM_RSRC2:USER_SGPR: 6
; COMPUTE_PGM_RSRC2:TRAP_HANDLER: 0
; COMPUTE_PGM_RSRC2:TGID_X_EN: 1
; COMPUTE_PGM_RSRC2:TGID_Y_EN: 0
; COMPUTE_PGM_RSRC2:TGID_Z_EN: 0
; COMPUTE_PGM_RSRC2:TIDIG_COMP_CNT: 0
; COMPUTE_PGM_RSRC3_GFX90A:ACCUM_OFFSET: 0
; COMPUTE_PGM_RSRC3_GFX90A:TG_SPLIT: 0
	.section	.text._ZN7rocprim17ROCPRIM_400000_NS6detail17trampoline_kernelINS0_14default_configENS1_38merge_sort_block_merge_config_selectorIjNS0_10empty_typeEEEZZNS1_27merge_sort_block_merge_implIS3_N6thrust23THRUST_200600_302600_NS6detail15normal_iteratorINS9_10device_ptrIjEEEEPS5_jNS1_19radix_merge_compareILb0ELb1EjNS0_19identity_decomposerEEEEE10hipError_tT0_T1_T2_jT3_P12ihipStream_tbPNSt15iterator_traitsISK_E10value_typeEPNSQ_ISL_E10value_typeEPSM_NS1_7vsmem_tEENKUlT_SK_SL_SM_E_clIPjSE_SF_SF_EESJ_SZ_SK_SL_SM_EUlSZ_E1_NS1_11comp_targetILNS1_3genE0ELNS1_11target_archE4294967295ELNS1_3gpuE0ELNS1_3repE0EEENS1_36merge_oddeven_config_static_selectorELNS0_4arch9wavefront6targetE1EEEvSL_,"axG",@progbits,_ZN7rocprim17ROCPRIM_400000_NS6detail17trampoline_kernelINS0_14default_configENS1_38merge_sort_block_merge_config_selectorIjNS0_10empty_typeEEEZZNS1_27merge_sort_block_merge_implIS3_N6thrust23THRUST_200600_302600_NS6detail15normal_iteratorINS9_10device_ptrIjEEEEPS5_jNS1_19radix_merge_compareILb0ELb1EjNS0_19identity_decomposerEEEEE10hipError_tT0_T1_T2_jT3_P12ihipStream_tbPNSt15iterator_traitsISK_E10value_typeEPNSQ_ISL_E10value_typeEPSM_NS1_7vsmem_tEENKUlT_SK_SL_SM_E_clIPjSE_SF_SF_EESJ_SZ_SK_SL_SM_EUlSZ_E1_NS1_11comp_targetILNS1_3genE0ELNS1_11target_archE4294967295ELNS1_3gpuE0ELNS1_3repE0EEENS1_36merge_oddeven_config_static_selectorELNS0_4arch9wavefront6targetE1EEEvSL_,comdat
	.protected	_ZN7rocprim17ROCPRIM_400000_NS6detail17trampoline_kernelINS0_14default_configENS1_38merge_sort_block_merge_config_selectorIjNS0_10empty_typeEEEZZNS1_27merge_sort_block_merge_implIS3_N6thrust23THRUST_200600_302600_NS6detail15normal_iteratorINS9_10device_ptrIjEEEEPS5_jNS1_19radix_merge_compareILb0ELb1EjNS0_19identity_decomposerEEEEE10hipError_tT0_T1_T2_jT3_P12ihipStream_tbPNSt15iterator_traitsISK_E10value_typeEPNSQ_ISL_E10value_typeEPSM_NS1_7vsmem_tEENKUlT_SK_SL_SM_E_clIPjSE_SF_SF_EESJ_SZ_SK_SL_SM_EUlSZ_E1_NS1_11comp_targetILNS1_3genE0ELNS1_11target_archE4294967295ELNS1_3gpuE0ELNS1_3repE0EEENS1_36merge_oddeven_config_static_selectorELNS0_4arch9wavefront6targetE1EEEvSL_ ; -- Begin function _ZN7rocprim17ROCPRIM_400000_NS6detail17trampoline_kernelINS0_14default_configENS1_38merge_sort_block_merge_config_selectorIjNS0_10empty_typeEEEZZNS1_27merge_sort_block_merge_implIS3_N6thrust23THRUST_200600_302600_NS6detail15normal_iteratorINS9_10device_ptrIjEEEEPS5_jNS1_19radix_merge_compareILb0ELb1EjNS0_19identity_decomposerEEEEE10hipError_tT0_T1_T2_jT3_P12ihipStream_tbPNSt15iterator_traitsISK_E10value_typeEPNSQ_ISL_E10value_typeEPSM_NS1_7vsmem_tEENKUlT_SK_SL_SM_E_clIPjSE_SF_SF_EESJ_SZ_SK_SL_SM_EUlSZ_E1_NS1_11comp_targetILNS1_3genE0ELNS1_11target_archE4294967295ELNS1_3gpuE0ELNS1_3repE0EEENS1_36merge_oddeven_config_static_selectorELNS0_4arch9wavefront6targetE1EEEvSL_
	.globl	_ZN7rocprim17ROCPRIM_400000_NS6detail17trampoline_kernelINS0_14default_configENS1_38merge_sort_block_merge_config_selectorIjNS0_10empty_typeEEEZZNS1_27merge_sort_block_merge_implIS3_N6thrust23THRUST_200600_302600_NS6detail15normal_iteratorINS9_10device_ptrIjEEEEPS5_jNS1_19radix_merge_compareILb0ELb1EjNS0_19identity_decomposerEEEEE10hipError_tT0_T1_T2_jT3_P12ihipStream_tbPNSt15iterator_traitsISK_E10value_typeEPNSQ_ISL_E10value_typeEPSM_NS1_7vsmem_tEENKUlT_SK_SL_SM_E_clIPjSE_SF_SF_EESJ_SZ_SK_SL_SM_EUlSZ_E1_NS1_11comp_targetILNS1_3genE0ELNS1_11target_archE4294967295ELNS1_3gpuE0ELNS1_3repE0EEENS1_36merge_oddeven_config_static_selectorELNS0_4arch9wavefront6targetE1EEEvSL_
	.p2align	8
	.type	_ZN7rocprim17ROCPRIM_400000_NS6detail17trampoline_kernelINS0_14default_configENS1_38merge_sort_block_merge_config_selectorIjNS0_10empty_typeEEEZZNS1_27merge_sort_block_merge_implIS3_N6thrust23THRUST_200600_302600_NS6detail15normal_iteratorINS9_10device_ptrIjEEEEPS5_jNS1_19radix_merge_compareILb0ELb1EjNS0_19identity_decomposerEEEEE10hipError_tT0_T1_T2_jT3_P12ihipStream_tbPNSt15iterator_traitsISK_E10value_typeEPNSQ_ISL_E10value_typeEPSM_NS1_7vsmem_tEENKUlT_SK_SL_SM_E_clIPjSE_SF_SF_EESJ_SZ_SK_SL_SM_EUlSZ_E1_NS1_11comp_targetILNS1_3genE0ELNS1_11target_archE4294967295ELNS1_3gpuE0ELNS1_3repE0EEENS1_36merge_oddeven_config_static_selectorELNS0_4arch9wavefront6targetE1EEEvSL_,@function
_ZN7rocprim17ROCPRIM_400000_NS6detail17trampoline_kernelINS0_14default_configENS1_38merge_sort_block_merge_config_selectorIjNS0_10empty_typeEEEZZNS1_27merge_sort_block_merge_implIS3_N6thrust23THRUST_200600_302600_NS6detail15normal_iteratorINS9_10device_ptrIjEEEEPS5_jNS1_19radix_merge_compareILb0ELb1EjNS0_19identity_decomposerEEEEE10hipError_tT0_T1_T2_jT3_P12ihipStream_tbPNSt15iterator_traitsISK_E10value_typeEPNSQ_ISL_E10value_typeEPSM_NS1_7vsmem_tEENKUlT_SK_SL_SM_E_clIPjSE_SF_SF_EESJ_SZ_SK_SL_SM_EUlSZ_E1_NS1_11comp_targetILNS1_3genE0ELNS1_11target_archE4294967295ELNS1_3gpuE0ELNS1_3repE0EEENS1_36merge_oddeven_config_static_selectorELNS0_4arch9wavefront6targetE1EEEvSL_: ; @_ZN7rocprim17ROCPRIM_400000_NS6detail17trampoline_kernelINS0_14default_configENS1_38merge_sort_block_merge_config_selectorIjNS0_10empty_typeEEEZZNS1_27merge_sort_block_merge_implIS3_N6thrust23THRUST_200600_302600_NS6detail15normal_iteratorINS9_10device_ptrIjEEEEPS5_jNS1_19radix_merge_compareILb0ELb1EjNS0_19identity_decomposerEEEEE10hipError_tT0_T1_T2_jT3_P12ihipStream_tbPNSt15iterator_traitsISK_E10value_typeEPNSQ_ISL_E10value_typeEPSM_NS1_7vsmem_tEENKUlT_SK_SL_SM_E_clIPjSE_SF_SF_EESJ_SZ_SK_SL_SM_EUlSZ_E1_NS1_11comp_targetILNS1_3genE0ELNS1_11target_archE4294967295ELNS1_3gpuE0ELNS1_3repE0EEENS1_36merge_oddeven_config_static_selectorELNS0_4arch9wavefront6targetE1EEEvSL_
; %bb.0:
	.section	.rodata,"a",@progbits
	.p2align	6, 0x0
	.amdhsa_kernel _ZN7rocprim17ROCPRIM_400000_NS6detail17trampoline_kernelINS0_14default_configENS1_38merge_sort_block_merge_config_selectorIjNS0_10empty_typeEEEZZNS1_27merge_sort_block_merge_implIS3_N6thrust23THRUST_200600_302600_NS6detail15normal_iteratorINS9_10device_ptrIjEEEEPS5_jNS1_19radix_merge_compareILb0ELb1EjNS0_19identity_decomposerEEEEE10hipError_tT0_T1_T2_jT3_P12ihipStream_tbPNSt15iterator_traitsISK_E10value_typeEPNSQ_ISL_E10value_typeEPSM_NS1_7vsmem_tEENKUlT_SK_SL_SM_E_clIPjSE_SF_SF_EESJ_SZ_SK_SL_SM_EUlSZ_E1_NS1_11comp_targetILNS1_3genE0ELNS1_11target_archE4294967295ELNS1_3gpuE0ELNS1_3repE0EEENS1_36merge_oddeven_config_static_selectorELNS0_4arch9wavefront6targetE1EEEvSL_
		.amdhsa_group_segment_fixed_size 0
		.amdhsa_private_segment_fixed_size 0
		.amdhsa_kernarg_size 48
		.amdhsa_user_sgpr_count 6
		.amdhsa_user_sgpr_private_segment_buffer 1
		.amdhsa_user_sgpr_dispatch_ptr 0
		.amdhsa_user_sgpr_queue_ptr 0
		.amdhsa_user_sgpr_kernarg_segment_ptr 1
		.amdhsa_user_sgpr_dispatch_id 0
		.amdhsa_user_sgpr_flat_scratch_init 0
		.amdhsa_user_sgpr_kernarg_preload_length 0
		.amdhsa_user_sgpr_kernarg_preload_offset 0
		.amdhsa_user_sgpr_private_segment_size 0
		.amdhsa_uses_dynamic_stack 0
		.amdhsa_system_sgpr_private_segment_wavefront_offset 0
		.amdhsa_system_sgpr_workgroup_id_x 1
		.amdhsa_system_sgpr_workgroup_id_y 0
		.amdhsa_system_sgpr_workgroup_id_z 0
		.amdhsa_system_sgpr_workgroup_info 0
		.amdhsa_system_vgpr_workitem_id 0
		.amdhsa_next_free_vgpr 1
		.amdhsa_next_free_sgpr 0
		.amdhsa_accum_offset 4
		.amdhsa_reserve_vcc 0
		.amdhsa_reserve_flat_scratch 0
		.amdhsa_float_round_mode_32 0
		.amdhsa_float_round_mode_16_64 0
		.amdhsa_float_denorm_mode_32 3
		.amdhsa_float_denorm_mode_16_64 3
		.amdhsa_dx10_clamp 1
		.amdhsa_ieee_mode 1
		.amdhsa_fp16_overflow 0
		.amdhsa_tg_split 0
		.amdhsa_exception_fp_ieee_invalid_op 0
		.amdhsa_exception_fp_denorm_src 0
		.amdhsa_exception_fp_ieee_div_zero 0
		.amdhsa_exception_fp_ieee_overflow 0
		.amdhsa_exception_fp_ieee_underflow 0
		.amdhsa_exception_fp_ieee_inexact 0
		.amdhsa_exception_int_div_zero 0
	.end_amdhsa_kernel
	.section	.text._ZN7rocprim17ROCPRIM_400000_NS6detail17trampoline_kernelINS0_14default_configENS1_38merge_sort_block_merge_config_selectorIjNS0_10empty_typeEEEZZNS1_27merge_sort_block_merge_implIS3_N6thrust23THRUST_200600_302600_NS6detail15normal_iteratorINS9_10device_ptrIjEEEEPS5_jNS1_19radix_merge_compareILb0ELb1EjNS0_19identity_decomposerEEEEE10hipError_tT0_T1_T2_jT3_P12ihipStream_tbPNSt15iterator_traitsISK_E10value_typeEPNSQ_ISL_E10value_typeEPSM_NS1_7vsmem_tEENKUlT_SK_SL_SM_E_clIPjSE_SF_SF_EESJ_SZ_SK_SL_SM_EUlSZ_E1_NS1_11comp_targetILNS1_3genE0ELNS1_11target_archE4294967295ELNS1_3gpuE0ELNS1_3repE0EEENS1_36merge_oddeven_config_static_selectorELNS0_4arch9wavefront6targetE1EEEvSL_,"axG",@progbits,_ZN7rocprim17ROCPRIM_400000_NS6detail17trampoline_kernelINS0_14default_configENS1_38merge_sort_block_merge_config_selectorIjNS0_10empty_typeEEEZZNS1_27merge_sort_block_merge_implIS3_N6thrust23THRUST_200600_302600_NS6detail15normal_iteratorINS9_10device_ptrIjEEEEPS5_jNS1_19radix_merge_compareILb0ELb1EjNS0_19identity_decomposerEEEEE10hipError_tT0_T1_T2_jT3_P12ihipStream_tbPNSt15iterator_traitsISK_E10value_typeEPNSQ_ISL_E10value_typeEPSM_NS1_7vsmem_tEENKUlT_SK_SL_SM_E_clIPjSE_SF_SF_EESJ_SZ_SK_SL_SM_EUlSZ_E1_NS1_11comp_targetILNS1_3genE0ELNS1_11target_archE4294967295ELNS1_3gpuE0ELNS1_3repE0EEENS1_36merge_oddeven_config_static_selectorELNS0_4arch9wavefront6targetE1EEEvSL_,comdat
.Lfunc_end1042:
	.size	_ZN7rocprim17ROCPRIM_400000_NS6detail17trampoline_kernelINS0_14default_configENS1_38merge_sort_block_merge_config_selectorIjNS0_10empty_typeEEEZZNS1_27merge_sort_block_merge_implIS3_N6thrust23THRUST_200600_302600_NS6detail15normal_iteratorINS9_10device_ptrIjEEEEPS5_jNS1_19radix_merge_compareILb0ELb1EjNS0_19identity_decomposerEEEEE10hipError_tT0_T1_T2_jT3_P12ihipStream_tbPNSt15iterator_traitsISK_E10value_typeEPNSQ_ISL_E10value_typeEPSM_NS1_7vsmem_tEENKUlT_SK_SL_SM_E_clIPjSE_SF_SF_EESJ_SZ_SK_SL_SM_EUlSZ_E1_NS1_11comp_targetILNS1_3genE0ELNS1_11target_archE4294967295ELNS1_3gpuE0ELNS1_3repE0EEENS1_36merge_oddeven_config_static_selectorELNS0_4arch9wavefront6targetE1EEEvSL_, .Lfunc_end1042-_ZN7rocprim17ROCPRIM_400000_NS6detail17trampoline_kernelINS0_14default_configENS1_38merge_sort_block_merge_config_selectorIjNS0_10empty_typeEEEZZNS1_27merge_sort_block_merge_implIS3_N6thrust23THRUST_200600_302600_NS6detail15normal_iteratorINS9_10device_ptrIjEEEEPS5_jNS1_19radix_merge_compareILb0ELb1EjNS0_19identity_decomposerEEEEE10hipError_tT0_T1_T2_jT3_P12ihipStream_tbPNSt15iterator_traitsISK_E10value_typeEPNSQ_ISL_E10value_typeEPSM_NS1_7vsmem_tEENKUlT_SK_SL_SM_E_clIPjSE_SF_SF_EESJ_SZ_SK_SL_SM_EUlSZ_E1_NS1_11comp_targetILNS1_3genE0ELNS1_11target_archE4294967295ELNS1_3gpuE0ELNS1_3repE0EEENS1_36merge_oddeven_config_static_selectorELNS0_4arch9wavefront6targetE1EEEvSL_
                                        ; -- End function
	.section	.AMDGPU.csdata,"",@progbits
; Kernel info:
; codeLenInByte = 0
; NumSgprs: 4
; NumVgprs: 0
; NumAgprs: 0
; TotalNumVgprs: 0
; ScratchSize: 0
; MemoryBound: 0
; FloatMode: 240
; IeeeMode: 1
; LDSByteSize: 0 bytes/workgroup (compile time only)
; SGPRBlocks: 0
; VGPRBlocks: 0
; NumSGPRsForWavesPerEU: 4
; NumVGPRsForWavesPerEU: 1
; AccumOffset: 4
; Occupancy: 8
; WaveLimiterHint : 0
; COMPUTE_PGM_RSRC2:SCRATCH_EN: 0
; COMPUTE_PGM_RSRC2:USER_SGPR: 6
; COMPUTE_PGM_RSRC2:TRAP_HANDLER: 0
; COMPUTE_PGM_RSRC2:TGID_X_EN: 1
; COMPUTE_PGM_RSRC2:TGID_Y_EN: 0
; COMPUTE_PGM_RSRC2:TGID_Z_EN: 0
; COMPUTE_PGM_RSRC2:TIDIG_COMP_CNT: 0
; COMPUTE_PGM_RSRC3_GFX90A:ACCUM_OFFSET: 0
; COMPUTE_PGM_RSRC3_GFX90A:TG_SPLIT: 0
	.section	.text._ZN7rocprim17ROCPRIM_400000_NS6detail17trampoline_kernelINS0_14default_configENS1_38merge_sort_block_merge_config_selectorIjNS0_10empty_typeEEEZZNS1_27merge_sort_block_merge_implIS3_N6thrust23THRUST_200600_302600_NS6detail15normal_iteratorINS9_10device_ptrIjEEEEPS5_jNS1_19radix_merge_compareILb0ELb1EjNS0_19identity_decomposerEEEEE10hipError_tT0_T1_T2_jT3_P12ihipStream_tbPNSt15iterator_traitsISK_E10value_typeEPNSQ_ISL_E10value_typeEPSM_NS1_7vsmem_tEENKUlT_SK_SL_SM_E_clIPjSE_SF_SF_EESJ_SZ_SK_SL_SM_EUlSZ_E1_NS1_11comp_targetILNS1_3genE10ELNS1_11target_archE1201ELNS1_3gpuE5ELNS1_3repE0EEENS1_36merge_oddeven_config_static_selectorELNS0_4arch9wavefront6targetE1EEEvSL_,"axG",@progbits,_ZN7rocprim17ROCPRIM_400000_NS6detail17trampoline_kernelINS0_14default_configENS1_38merge_sort_block_merge_config_selectorIjNS0_10empty_typeEEEZZNS1_27merge_sort_block_merge_implIS3_N6thrust23THRUST_200600_302600_NS6detail15normal_iteratorINS9_10device_ptrIjEEEEPS5_jNS1_19radix_merge_compareILb0ELb1EjNS0_19identity_decomposerEEEEE10hipError_tT0_T1_T2_jT3_P12ihipStream_tbPNSt15iterator_traitsISK_E10value_typeEPNSQ_ISL_E10value_typeEPSM_NS1_7vsmem_tEENKUlT_SK_SL_SM_E_clIPjSE_SF_SF_EESJ_SZ_SK_SL_SM_EUlSZ_E1_NS1_11comp_targetILNS1_3genE10ELNS1_11target_archE1201ELNS1_3gpuE5ELNS1_3repE0EEENS1_36merge_oddeven_config_static_selectorELNS0_4arch9wavefront6targetE1EEEvSL_,comdat
	.protected	_ZN7rocprim17ROCPRIM_400000_NS6detail17trampoline_kernelINS0_14default_configENS1_38merge_sort_block_merge_config_selectorIjNS0_10empty_typeEEEZZNS1_27merge_sort_block_merge_implIS3_N6thrust23THRUST_200600_302600_NS6detail15normal_iteratorINS9_10device_ptrIjEEEEPS5_jNS1_19radix_merge_compareILb0ELb1EjNS0_19identity_decomposerEEEEE10hipError_tT0_T1_T2_jT3_P12ihipStream_tbPNSt15iterator_traitsISK_E10value_typeEPNSQ_ISL_E10value_typeEPSM_NS1_7vsmem_tEENKUlT_SK_SL_SM_E_clIPjSE_SF_SF_EESJ_SZ_SK_SL_SM_EUlSZ_E1_NS1_11comp_targetILNS1_3genE10ELNS1_11target_archE1201ELNS1_3gpuE5ELNS1_3repE0EEENS1_36merge_oddeven_config_static_selectorELNS0_4arch9wavefront6targetE1EEEvSL_ ; -- Begin function _ZN7rocprim17ROCPRIM_400000_NS6detail17trampoline_kernelINS0_14default_configENS1_38merge_sort_block_merge_config_selectorIjNS0_10empty_typeEEEZZNS1_27merge_sort_block_merge_implIS3_N6thrust23THRUST_200600_302600_NS6detail15normal_iteratorINS9_10device_ptrIjEEEEPS5_jNS1_19radix_merge_compareILb0ELb1EjNS0_19identity_decomposerEEEEE10hipError_tT0_T1_T2_jT3_P12ihipStream_tbPNSt15iterator_traitsISK_E10value_typeEPNSQ_ISL_E10value_typeEPSM_NS1_7vsmem_tEENKUlT_SK_SL_SM_E_clIPjSE_SF_SF_EESJ_SZ_SK_SL_SM_EUlSZ_E1_NS1_11comp_targetILNS1_3genE10ELNS1_11target_archE1201ELNS1_3gpuE5ELNS1_3repE0EEENS1_36merge_oddeven_config_static_selectorELNS0_4arch9wavefront6targetE1EEEvSL_
	.globl	_ZN7rocprim17ROCPRIM_400000_NS6detail17trampoline_kernelINS0_14default_configENS1_38merge_sort_block_merge_config_selectorIjNS0_10empty_typeEEEZZNS1_27merge_sort_block_merge_implIS3_N6thrust23THRUST_200600_302600_NS6detail15normal_iteratorINS9_10device_ptrIjEEEEPS5_jNS1_19radix_merge_compareILb0ELb1EjNS0_19identity_decomposerEEEEE10hipError_tT0_T1_T2_jT3_P12ihipStream_tbPNSt15iterator_traitsISK_E10value_typeEPNSQ_ISL_E10value_typeEPSM_NS1_7vsmem_tEENKUlT_SK_SL_SM_E_clIPjSE_SF_SF_EESJ_SZ_SK_SL_SM_EUlSZ_E1_NS1_11comp_targetILNS1_3genE10ELNS1_11target_archE1201ELNS1_3gpuE5ELNS1_3repE0EEENS1_36merge_oddeven_config_static_selectorELNS0_4arch9wavefront6targetE1EEEvSL_
	.p2align	8
	.type	_ZN7rocprim17ROCPRIM_400000_NS6detail17trampoline_kernelINS0_14default_configENS1_38merge_sort_block_merge_config_selectorIjNS0_10empty_typeEEEZZNS1_27merge_sort_block_merge_implIS3_N6thrust23THRUST_200600_302600_NS6detail15normal_iteratorINS9_10device_ptrIjEEEEPS5_jNS1_19radix_merge_compareILb0ELb1EjNS0_19identity_decomposerEEEEE10hipError_tT0_T1_T2_jT3_P12ihipStream_tbPNSt15iterator_traitsISK_E10value_typeEPNSQ_ISL_E10value_typeEPSM_NS1_7vsmem_tEENKUlT_SK_SL_SM_E_clIPjSE_SF_SF_EESJ_SZ_SK_SL_SM_EUlSZ_E1_NS1_11comp_targetILNS1_3genE10ELNS1_11target_archE1201ELNS1_3gpuE5ELNS1_3repE0EEENS1_36merge_oddeven_config_static_selectorELNS0_4arch9wavefront6targetE1EEEvSL_,@function
_ZN7rocprim17ROCPRIM_400000_NS6detail17trampoline_kernelINS0_14default_configENS1_38merge_sort_block_merge_config_selectorIjNS0_10empty_typeEEEZZNS1_27merge_sort_block_merge_implIS3_N6thrust23THRUST_200600_302600_NS6detail15normal_iteratorINS9_10device_ptrIjEEEEPS5_jNS1_19radix_merge_compareILb0ELb1EjNS0_19identity_decomposerEEEEE10hipError_tT0_T1_T2_jT3_P12ihipStream_tbPNSt15iterator_traitsISK_E10value_typeEPNSQ_ISL_E10value_typeEPSM_NS1_7vsmem_tEENKUlT_SK_SL_SM_E_clIPjSE_SF_SF_EESJ_SZ_SK_SL_SM_EUlSZ_E1_NS1_11comp_targetILNS1_3genE10ELNS1_11target_archE1201ELNS1_3gpuE5ELNS1_3repE0EEENS1_36merge_oddeven_config_static_selectorELNS0_4arch9wavefront6targetE1EEEvSL_: ; @_ZN7rocprim17ROCPRIM_400000_NS6detail17trampoline_kernelINS0_14default_configENS1_38merge_sort_block_merge_config_selectorIjNS0_10empty_typeEEEZZNS1_27merge_sort_block_merge_implIS3_N6thrust23THRUST_200600_302600_NS6detail15normal_iteratorINS9_10device_ptrIjEEEEPS5_jNS1_19radix_merge_compareILb0ELb1EjNS0_19identity_decomposerEEEEE10hipError_tT0_T1_T2_jT3_P12ihipStream_tbPNSt15iterator_traitsISK_E10value_typeEPNSQ_ISL_E10value_typeEPSM_NS1_7vsmem_tEENKUlT_SK_SL_SM_E_clIPjSE_SF_SF_EESJ_SZ_SK_SL_SM_EUlSZ_E1_NS1_11comp_targetILNS1_3genE10ELNS1_11target_archE1201ELNS1_3gpuE5ELNS1_3repE0EEENS1_36merge_oddeven_config_static_selectorELNS0_4arch9wavefront6targetE1EEEvSL_
; %bb.0:
	.section	.rodata,"a",@progbits
	.p2align	6, 0x0
	.amdhsa_kernel _ZN7rocprim17ROCPRIM_400000_NS6detail17trampoline_kernelINS0_14default_configENS1_38merge_sort_block_merge_config_selectorIjNS0_10empty_typeEEEZZNS1_27merge_sort_block_merge_implIS3_N6thrust23THRUST_200600_302600_NS6detail15normal_iteratorINS9_10device_ptrIjEEEEPS5_jNS1_19radix_merge_compareILb0ELb1EjNS0_19identity_decomposerEEEEE10hipError_tT0_T1_T2_jT3_P12ihipStream_tbPNSt15iterator_traitsISK_E10value_typeEPNSQ_ISL_E10value_typeEPSM_NS1_7vsmem_tEENKUlT_SK_SL_SM_E_clIPjSE_SF_SF_EESJ_SZ_SK_SL_SM_EUlSZ_E1_NS1_11comp_targetILNS1_3genE10ELNS1_11target_archE1201ELNS1_3gpuE5ELNS1_3repE0EEENS1_36merge_oddeven_config_static_selectorELNS0_4arch9wavefront6targetE1EEEvSL_
		.amdhsa_group_segment_fixed_size 0
		.amdhsa_private_segment_fixed_size 0
		.amdhsa_kernarg_size 48
		.amdhsa_user_sgpr_count 6
		.amdhsa_user_sgpr_private_segment_buffer 1
		.amdhsa_user_sgpr_dispatch_ptr 0
		.amdhsa_user_sgpr_queue_ptr 0
		.amdhsa_user_sgpr_kernarg_segment_ptr 1
		.amdhsa_user_sgpr_dispatch_id 0
		.amdhsa_user_sgpr_flat_scratch_init 0
		.amdhsa_user_sgpr_kernarg_preload_length 0
		.amdhsa_user_sgpr_kernarg_preload_offset 0
		.amdhsa_user_sgpr_private_segment_size 0
		.amdhsa_uses_dynamic_stack 0
		.amdhsa_system_sgpr_private_segment_wavefront_offset 0
		.amdhsa_system_sgpr_workgroup_id_x 1
		.amdhsa_system_sgpr_workgroup_id_y 0
		.amdhsa_system_sgpr_workgroup_id_z 0
		.amdhsa_system_sgpr_workgroup_info 0
		.amdhsa_system_vgpr_workitem_id 0
		.amdhsa_next_free_vgpr 1
		.amdhsa_next_free_sgpr 0
		.amdhsa_accum_offset 4
		.amdhsa_reserve_vcc 0
		.amdhsa_reserve_flat_scratch 0
		.amdhsa_float_round_mode_32 0
		.amdhsa_float_round_mode_16_64 0
		.amdhsa_float_denorm_mode_32 3
		.amdhsa_float_denorm_mode_16_64 3
		.amdhsa_dx10_clamp 1
		.amdhsa_ieee_mode 1
		.amdhsa_fp16_overflow 0
		.amdhsa_tg_split 0
		.amdhsa_exception_fp_ieee_invalid_op 0
		.amdhsa_exception_fp_denorm_src 0
		.amdhsa_exception_fp_ieee_div_zero 0
		.amdhsa_exception_fp_ieee_overflow 0
		.amdhsa_exception_fp_ieee_underflow 0
		.amdhsa_exception_fp_ieee_inexact 0
		.amdhsa_exception_int_div_zero 0
	.end_amdhsa_kernel
	.section	.text._ZN7rocprim17ROCPRIM_400000_NS6detail17trampoline_kernelINS0_14default_configENS1_38merge_sort_block_merge_config_selectorIjNS0_10empty_typeEEEZZNS1_27merge_sort_block_merge_implIS3_N6thrust23THRUST_200600_302600_NS6detail15normal_iteratorINS9_10device_ptrIjEEEEPS5_jNS1_19radix_merge_compareILb0ELb1EjNS0_19identity_decomposerEEEEE10hipError_tT0_T1_T2_jT3_P12ihipStream_tbPNSt15iterator_traitsISK_E10value_typeEPNSQ_ISL_E10value_typeEPSM_NS1_7vsmem_tEENKUlT_SK_SL_SM_E_clIPjSE_SF_SF_EESJ_SZ_SK_SL_SM_EUlSZ_E1_NS1_11comp_targetILNS1_3genE10ELNS1_11target_archE1201ELNS1_3gpuE5ELNS1_3repE0EEENS1_36merge_oddeven_config_static_selectorELNS0_4arch9wavefront6targetE1EEEvSL_,"axG",@progbits,_ZN7rocprim17ROCPRIM_400000_NS6detail17trampoline_kernelINS0_14default_configENS1_38merge_sort_block_merge_config_selectorIjNS0_10empty_typeEEEZZNS1_27merge_sort_block_merge_implIS3_N6thrust23THRUST_200600_302600_NS6detail15normal_iteratorINS9_10device_ptrIjEEEEPS5_jNS1_19radix_merge_compareILb0ELb1EjNS0_19identity_decomposerEEEEE10hipError_tT0_T1_T2_jT3_P12ihipStream_tbPNSt15iterator_traitsISK_E10value_typeEPNSQ_ISL_E10value_typeEPSM_NS1_7vsmem_tEENKUlT_SK_SL_SM_E_clIPjSE_SF_SF_EESJ_SZ_SK_SL_SM_EUlSZ_E1_NS1_11comp_targetILNS1_3genE10ELNS1_11target_archE1201ELNS1_3gpuE5ELNS1_3repE0EEENS1_36merge_oddeven_config_static_selectorELNS0_4arch9wavefront6targetE1EEEvSL_,comdat
.Lfunc_end1043:
	.size	_ZN7rocprim17ROCPRIM_400000_NS6detail17trampoline_kernelINS0_14default_configENS1_38merge_sort_block_merge_config_selectorIjNS0_10empty_typeEEEZZNS1_27merge_sort_block_merge_implIS3_N6thrust23THRUST_200600_302600_NS6detail15normal_iteratorINS9_10device_ptrIjEEEEPS5_jNS1_19radix_merge_compareILb0ELb1EjNS0_19identity_decomposerEEEEE10hipError_tT0_T1_T2_jT3_P12ihipStream_tbPNSt15iterator_traitsISK_E10value_typeEPNSQ_ISL_E10value_typeEPSM_NS1_7vsmem_tEENKUlT_SK_SL_SM_E_clIPjSE_SF_SF_EESJ_SZ_SK_SL_SM_EUlSZ_E1_NS1_11comp_targetILNS1_3genE10ELNS1_11target_archE1201ELNS1_3gpuE5ELNS1_3repE0EEENS1_36merge_oddeven_config_static_selectorELNS0_4arch9wavefront6targetE1EEEvSL_, .Lfunc_end1043-_ZN7rocprim17ROCPRIM_400000_NS6detail17trampoline_kernelINS0_14default_configENS1_38merge_sort_block_merge_config_selectorIjNS0_10empty_typeEEEZZNS1_27merge_sort_block_merge_implIS3_N6thrust23THRUST_200600_302600_NS6detail15normal_iteratorINS9_10device_ptrIjEEEEPS5_jNS1_19radix_merge_compareILb0ELb1EjNS0_19identity_decomposerEEEEE10hipError_tT0_T1_T2_jT3_P12ihipStream_tbPNSt15iterator_traitsISK_E10value_typeEPNSQ_ISL_E10value_typeEPSM_NS1_7vsmem_tEENKUlT_SK_SL_SM_E_clIPjSE_SF_SF_EESJ_SZ_SK_SL_SM_EUlSZ_E1_NS1_11comp_targetILNS1_3genE10ELNS1_11target_archE1201ELNS1_3gpuE5ELNS1_3repE0EEENS1_36merge_oddeven_config_static_selectorELNS0_4arch9wavefront6targetE1EEEvSL_
                                        ; -- End function
	.section	.AMDGPU.csdata,"",@progbits
; Kernel info:
; codeLenInByte = 0
; NumSgprs: 4
; NumVgprs: 0
; NumAgprs: 0
; TotalNumVgprs: 0
; ScratchSize: 0
; MemoryBound: 0
; FloatMode: 240
; IeeeMode: 1
; LDSByteSize: 0 bytes/workgroup (compile time only)
; SGPRBlocks: 0
; VGPRBlocks: 0
; NumSGPRsForWavesPerEU: 4
; NumVGPRsForWavesPerEU: 1
; AccumOffset: 4
; Occupancy: 8
; WaveLimiterHint : 0
; COMPUTE_PGM_RSRC2:SCRATCH_EN: 0
; COMPUTE_PGM_RSRC2:USER_SGPR: 6
; COMPUTE_PGM_RSRC2:TRAP_HANDLER: 0
; COMPUTE_PGM_RSRC2:TGID_X_EN: 1
; COMPUTE_PGM_RSRC2:TGID_Y_EN: 0
; COMPUTE_PGM_RSRC2:TGID_Z_EN: 0
; COMPUTE_PGM_RSRC2:TIDIG_COMP_CNT: 0
; COMPUTE_PGM_RSRC3_GFX90A:ACCUM_OFFSET: 0
; COMPUTE_PGM_RSRC3_GFX90A:TG_SPLIT: 0
	.section	.text._ZN7rocprim17ROCPRIM_400000_NS6detail17trampoline_kernelINS0_14default_configENS1_38merge_sort_block_merge_config_selectorIjNS0_10empty_typeEEEZZNS1_27merge_sort_block_merge_implIS3_N6thrust23THRUST_200600_302600_NS6detail15normal_iteratorINS9_10device_ptrIjEEEEPS5_jNS1_19radix_merge_compareILb0ELb1EjNS0_19identity_decomposerEEEEE10hipError_tT0_T1_T2_jT3_P12ihipStream_tbPNSt15iterator_traitsISK_E10value_typeEPNSQ_ISL_E10value_typeEPSM_NS1_7vsmem_tEENKUlT_SK_SL_SM_E_clIPjSE_SF_SF_EESJ_SZ_SK_SL_SM_EUlSZ_E1_NS1_11comp_targetILNS1_3genE5ELNS1_11target_archE942ELNS1_3gpuE9ELNS1_3repE0EEENS1_36merge_oddeven_config_static_selectorELNS0_4arch9wavefront6targetE1EEEvSL_,"axG",@progbits,_ZN7rocprim17ROCPRIM_400000_NS6detail17trampoline_kernelINS0_14default_configENS1_38merge_sort_block_merge_config_selectorIjNS0_10empty_typeEEEZZNS1_27merge_sort_block_merge_implIS3_N6thrust23THRUST_200600_302600_NS6detail15normal_iteratorINS9_10device_ptrIjEEEEPS5_jNS1_19radix_merge_compareILb0ELb1EjNS0_19identity_decomposerEEEEE10hipError_tT0_T1_T2_jT3_P12ihipStream_tbPNSt15iterator_traitsISK_E10value_typeEPNSQ_ISL_E10value_typeEPSM_NS1_7vsmem_tEENKUlT_SK_SL_SM_E_clIPjSE_SF_SF_EESJ_SZ_SK_SL_SM_EUlSZ_E1_NS1_11comp_targetILNS1_3genE5ELNS1_11target_archE942ELNS1_3gpuE9ELNS1_3repE0EEENS1_36merge_oddeven_config_static_selectorELNS0_4arch9wavefront6targetE1EEEvSL_,comdat
	.protected	_ZN7rocprim17ROCPRIM_400000_NS6detail17trampoline_kernelINS0_14default_configENS1_38merge_sort_block_merge_config_selectorIjNS0_10empty_typeEEEZZNS1_27merge_sort_block_merge_implIS3_N6thrust23THRUST_200600_302600_NS6detail15normal_iteratorINS9_10device_ptrIjEEEEPS5_jNS1_19radix_merge_compareILb0ELb1EjNS0_19identity_decomposerEEEEE10hipError_tT0_T1_T2_jT3_P12ihipStream_tbPNSt15iterator_traitsISK_E10value_typeEPNSQ_ISL_E10value_typeEPSM_NS1_7vsmem_tEENKUlT_SK_SL_SM_E_clIPjSE_SF_SF_EESJ_SZ_SK_SL_SM_EUlSZ_E1_NS1_11comp_targetILNS1_3genE5ELNS1_11target_archE942ELNS1_3gpuE9ELNS1_3repE0EEENS1_36merge_oddeven_config_static_selectorELNS0_4arch9wavefront6targetE1EEEvSL_ ; -- Begin function _ZN7rocprim17ROCPRIM_400000_NS6detail17trampoline_kernelINS0_14default_configENS1_38merge_sort_block_merge_config_selectorIjNS0_10empty_typeEEEZZNS1_27merge_sort_block_merge_implIS3_N6thrust23THRUST_200600_302600_NS6detail15normal_iteratorINS9_10device_ptrIjEEEEPS5_jNS1_19radix_merge_compareILb0ELb1EjNS0_19identity_decomposerEEEEE10hipError_tT0_T1_T2_jT3_P12ihipStream_tbPNSt15iterator_traitsISK_E10value_typeEPNSQ_ISL_E10value_typeEPSM_NS1_7vsmem_tEENKUlT_SK_SL_SM_E_clIPjSE_SF_SF_EESJ_SZ_SK_SL_SM_EUlSZ_E1_NS1_11comp_targetILNS1_3genE5ELNS1_11target_archE942ELNS1_3gpuE9ELNS1_3repE0EEENS1_36merge_oddeven_config_static_selectorELNS0_4arch9wavefront6targetE1EEEvSL_
	.globl	_ZN7rocprim17ROCPRIM_400000_NS6detail17trampoline_kernelINS0_14default_configENS1_38merge_sort_block_merge_config_selectorIjNS0_10empty_typeEEEZZNS1_27merge_sort_block_merge_implIS3_N6thrust23THRUST_200600_302600_NS6detail15normal_iteratorINS9_10device_ptrIjEEEEPS5_jNS1_19radix_merge_compareILb0ELb1EjNS0_19identity_decomposerEEEEE10hipError_tT0_T1_T2_jT3_P12ihipStream_tbPNSt15iterator_traitsISK_E10value_typeEPNSQ_ISL_E10value_typeEPSM_NS1_7vsmem_tEENKUlT_SK_SL_SM_E_clIPjSE_SF_SF_EESJ_SZ_SK_SL_SM_EUlSZ_E1_NS1_11comp_targetILNS1_3genE5ELNS1_11target_archE942ELNS1_3gpuE9ELNS1_3repE0EEENS1_36merge_oddeven_config_static_selectorELNS0_4arch9wavefront6targetE1EEEvSL_
	.p2align	8
	.type	_ZN7rocprim17ROCPRIM_400000_NS6detail17trampoline_kernelINS0_14default_configENS1_38merge_sort_block_merge_config_selectorIjNS0_10empty_typeEEEZZNS1_27merge_sort_block_merge_implIS3_N6thrust23THRUST_200600_302600_NS6detail15normal_iteratorINS9_10device_ptrIjEEEEPS5_jNS1_19radix_merge_compareILb0ELb1EjNS0_19identity_decomposerEEEEE10hipError_tT0_T1_T2_jT3_P12ihipStream_tbPNSt15iterator_traitsISK_E10value_typeEPNSQ_ISL_E10value_typeEPSM_NS1_7vsmem_tEENKUlT_SK_SL_SM_E_clIPjSE_SF_SF_EESJ_SZ_SK_SL_SM_EUlSZ_E1_NS1_11comp_targetILNS1_3genE5ELNS1_11target_archE942ELNS1_3gpuE9ELNS1_3repE0EEENS1_36merge_oddeven_config_static_selectorELNS0_4arch9wavefront6targetE1EEEvSL_,@function
_ZN7rocprim17ROCPRIM_400000_NS6detail17trampoline_kernelINS0_14default_configENS1_38merge_sort_block_merge_config_selectorIjNS0_10empty_typeEEEZZNS1_27merge_sort_block_merge_implIS3_N6thrust23THRUST_200600_302600_NS6detail15normal_iteratorINS9_10device_ptrIjEEEEPS5_jNS1_19radix_merge_compareILb0ELb1EjNS0_19identity_decomposerEEEEE10hipError_tT0_T1_T2_jT3_P12ihipStream_tbPNSt15iterator_traitsISK_E10value_typeEPNSQ_ISL_E10value_typeEPSM_NS1_7vsmem_tEENKUlT_SK_SL_SM_E_clIPjSE_SF_SF_EESJ_SZ_SK_SL_SM_EUlSZ_E1_NS1_11comp_targetILNS1_3genE5ELNS1_11target_archE942ELNS1_3gpuE9ELNS1_3repE0EEENS1_36merge_oddeven_config_static_selectorELNS0_4arch9wavefront6targetE1EEEvSL_: ; @_ZN7rocprim17ROCPRIM_400000_NS6detail17trampoline_kernelINS0_14default_configENS1_38merge_sort_block_merge_config_selectorIjNS0_10empty_typeEEEZZNS1_27merge_sort_block_merge_implIS3_N6thrust23THRUST_200600_302600_NS6detail15normal_iteratorINS9_10device_ptrIjEEEEPS5_jNS1_19radix_merge_compareILb0ELb1EjNS0_19identity_decomposerEEEEE10hipError_tT0_T1_T2_jT3_P12ihipStream_tbPNSt15iterator_traitsISK_E10value_typeEPNSQ_ISL_E10value_typeEPSM_NS1_7vsmem_tEENKUlT_SK_SL_SM_E_clIPjSE_SF_SF_EESJ_SZ_SK_SL_SM_EUlSZ_E1_NS1_11comp_targetILNS1_3genE5ELNS1_11target_archE942ELNS1_3gpuE9ELNS1_3repE0EEENS1_36merge_oddeven_config_static_selectorELNS0_4arch9wavefront6targetE1EEEvSL_
; %bb.0:
	.section	.rodata,"a",@progbits
	.p2align	6, 0x0
	.amdhsa_kernel _ZN7rocprim17ROCPRIM_400000_NS6detail17trampoline_kernelINS0_14default_configENS1_38merge_sort_block_merge_config_selectorIjNS0_10empty_typeEEEZZNS1_27merge_sort_block_merge_implIS3_N6thrust23THRUST_200600_302600_NS6detail15normal_iteratorINS9_10device_ptrIjEEEEPS5_jNS1_19radix_merge_compareILb0ELb1EjNS0_19identity_decomposerEEEEE10hipError_tT0_T1_T2_jT3_P12ihipStream_tbPNSt15iterator_traitsISK_E10value_typeEPNSQ_ISL_E10value_typeEPSM_NS1_7vsmem_tEENKUlT_SK_SL_SM_E_clIPjSE_SF_SF_EESJ_SZ_SK_SL_SM_EUlSZ_E1_NS1_11comp_targetILNS1_3genE5ELNS1_11target_archE942ELNS1_3gpuE9ELNS1_3repE0EEENS1_36merge_oddeven_config_static_selectorELNS0_4arch9wavefront6targetE1EEEvSL_
		.amdhsa_group_segment_fixed_size 0
		.amdhsa_private_segment_fixed_size 0
		.amdhsa_kernarg_size 48
		.amdhsa_user_sgpr_count 6
		.amdhsa_user_sgpr_private_segment_buffer 1
		.amdhsa_user_sgpr_dispatch_ptr 0
		.amdhsa_user_sgpr_queue_ptr 0
		.amdhsa_user_sgpr_kernarg_segment_ptr 1
		.amdhsa_user_sgpr_dispatch_id 0
		.amdhsa_user_sgpr_flat_scratch_init 0
		.amdhsa_user_sgpr_kernarg_preload_length 0
		.amdhsa_user_sgpr_kernarg_preload_offset 0
		.amdhsa_user_sgpr_private_segment_size 0
		.amdhsa_uses_dynamic_stack 0
		.amdhsa_system_sgpr_private_segment_wavefront_offset 0
		.amdhsa_system_sgpr_workgroup_id_x 1
		.amdhsa_system_sgpr_workgroup_id_y 0
		.amdhsa_system_sgpr_workgroup_id_z 0
		.amdhsa_system_sgpr_workgroup_info 0
		.amdhsa_system_vgpr_workitem_id 0
		.amdhsa_next_free_vgpr 1
		.amdhsa_next_free_sgpr 0
		.amdhsa_accum_offset 4
		.amdhsa_reserve_vcc 0
		.amdhsa_reserve_flat_scratch 0
		.amdhsa_float_round_mode_32 0
		.amdhsa_float_round_mode_16_64 0
		.amdhsa_float_denorm_mode_32 3
		.amdhsa_float_denorm_mode_16_64 3
		.amdhsa_dx10_clamp 1
		.amdhsa_ieee_mode 1
		.amdhsa_fp16_overflow 0
		.amdhsa_tg_split 0
		.amdhsa_exception_fp_ieee_invalid_op 0
		.amdhsa_exception_fp_denorm_src 0
		.amdhsa_exception_fp_ieee_div_zero 0
		.amdhsa_exception_fp_ieee_overflow 0
		.amdhsa_exception_fp_ieee_underflow 0
		.amdhsa_exception_fp_ieee_inexact 0
		.amdhsa_exception_int_div_zero 0
	.end_amdhsa_kernel
	.section	.text._ZN7rocprim17ROCPRIM_400000_NS6detail17trampoline_kernelINS0_14default_configENS1_38merge_sort_block_merge_config_selectorIjNS0_10empty_typeEEEZZNS1_27merge_sort_block_merge_implIS3_N6thrust23THRUST_200600_302600_NS6detail15normal_iteratorINS9_10device_ptrIjEEEEPS5_jNS1_19radix_merge_compareILb0ELb1EjNS0_19identity_decomposerEEEEE10hipError_tT0_T1_T2_jT3_P12ihipStream_tbPNSt15iterator_traitsISK_E10value_typeEPNSQ_ISL_E10value_typeEPSM_NS1_7vsmem_tEENKUlT_SK_SL_SM_E_clIPjSE_SF_SF_EESJ_SZ_SK_SL_SM_EUlSZ_E1_NS1_11comp_targetILNS1_3genE5ELNS1_11target_archE942ELNS1_3gpuE9ELNS1_3repE0EEENS1_36merge_oddeven_config_static_selectorELNS0_4arch9wavefront6targetE1EEEvSL_,"axG",@progbits,_ZN7rocprim17ROCPRIM_400000_NS6detail17trampoline_kernelINS0_14default_configENS1_38merge_sort_block_merge_config_selectorIjNS0_10empty_typeEEEZZNS1_27merge_sort_block_merge_implIS3_N6thrust23THRUST_200600_302600_NS6detail15normal_iteratorINS9_10device_ptrIjEEEEPS5_jNS1_19radix_merge_compareILb0ELb1EjNS0_19identity_decomposerEEEEE10hipError_tT0_T1_T2_jT3_P12ihipStream_tbPNSt15iterator_traitsISK_E10value_typeEPNSQ_ISL_E10value_typeEPSM_NS1_7vsmem_tEENKUlT_SK_SL_SM_E_clIPjSE_SF_SF_EESJ_SZ_SK_SL_SM_EUlSZ_E1_NS1_11comp_targetILNS1_3genE5ELNS1_11target_archE942ELNS1_3gpuE9ELNS1_3repE0EEENS1_36merge_oddeven_config_static_selectorELNS0_4arch9wavefront6targetE1EEEvSL_,comdat
.Lfunc_end1044:
	.size	_ZN7rocprim17ROCPRIM_400000_NS6detail17trampoline_kernelINS0_14default_configENS1_38merge_sort_block_merge_config_selectorIjNS0_10empty_typeEEEZZNS1_27merge_sort_block_merge_implIS3_N6thrust23THRUST_200600_302600_NS6detail15normal_iteratorINS9_10device_ptrIjEEEEPS5_jNS1_19radix_merge_compareILb0ELb1EjNS0_19identity_decomposerEEEEE10hipError_tT0_T1_T2_jT3_P12ihipStream_tbPNSt15iterator_traitsISK_E10value_typeEPNSQ_ISL_E10value_typeEPSM_NS1_7vsmem_tEENKUlT_SK_SL_SM_E_clIPjSE_SF_SF_EESJ_SZ_SK_SL_SM_EUlSZ_E1_NS1_11comp_targetILNS1_3genE5ELNS1_11target_archE942ELNS1_3gpuE9ELNS1_3repE0EEENS1_36merge_oddeven_config_static_selectorELNS0_4arch9wavefront6targetE1EEEvSL_, .Lfunc_end1044-_ZN7rocprim17ROCPRIM_400000_NS6detail17trampoline_kernelINS0_14default_configENS1_38merge_sort_block_merge_config_selectorIjNS0_10empty_typeEEEZZNS1_27merge_sort_block_merge_implIS3_N6thrust23THRUST_200600_302600_NS6detail15normal_iteratorINS9_10device_ptrIjEEEEPS5_jNS1_19radix_merge_compareILb0ELb1EjNS0_19identity_decomposerEEEEE10hipError_tT0_T1_T2_jT3_P12ihipStream_tbPNSt15iterator_traitsISK_E10value_typeEPNSQ_ISL_E10value_typeEPSM_NS1_7vsmem_tEENKUlT_SK_SL_SM_E_clIPjSE_SF_SF_EESJ_SZ_SK_SL_SM_EUlSZ_E1_NS1_11comp_targetILNS1_3genE5ELNS1_11target_archE942ELNS1_3gpuE9ELNS1_3repE0EEENS1_36merge_oddeven_config_static_selectorELNS0_4arch9wavefront6targetE1EEEvSL_
                                        ; -- End function
	.section	.AMDGPU.csdata,"",@progbits
; Kernel info:
; codeLenInByte = 0
; NumSgprs: 4
; NumVgprs: 0
; NumAgprs: 0
; TotalNumVgprs: 0
; ScratchSize: 0
; MemoryBound: 0
; FloatMode: 240
; IeeeMode: 1
; LDSByteSize: 0 bytes/workgroup (compile time only)
; SGPRBlocks: 0
; VGPRBlocks: 0
; NumSGPRsForWavesPerEU: 4
; NumVGPRsForWavesPerEU: 1
; AccumOffset: 4
; Occupancy: 8
; WaveLimiterHint : 0
; COMPUTE_PGM_RSRC2:SCRATCH_EN: 0
; COMPUTE_PGM_RSRC2:USER_SGPR: 6
; COMPUTE_PGM_RSRC2:TRAP_HANDLER: 0
; COMPUTE_PGM_RSRC2:TGID_X_EN: 1
; COMPUTE_PGM_RSRC2:TGID_Y_EN: 0
; COMPUTE_PGM_RSRC2:TGID_Z_EN: 0
; COMPUTE_PGM_RSRC2:TIDIG_COMP_CNT: 0
; COMPUTE_PGM_RSRC3_GFX90A:ACCUM_OFFSET: 0
; COMPUTE_PGM_RSRC3_GFX90A:TG_SPLIT: 0
	.section	.text._ZN7rocprim17ROCPRIM_400000_NS6detail17trampoline_kernelINS0_14default_configENS1_38merge_sort_block_merge_config_selectorIjNS0_10empty_typeEEEZZNS1_27merge_sort_block_merge_implIS3_N6thrust23THRUST_200600_302600_NS6detail15normal_iteratorINS9_10device_ptrIjEEEEPS5_jNS1_19radix_merge_compareILb0ELb1EjNS0_19identity_decomposerEEEEE10hipError_tT0_T1_T2_jT3_P12ihipStream_tbPNSt15iterator_traitsISK_E10value_typeEPNSQ_ISL_E10value_typeEPSM_NS1_7vsmem_tEENKUlT_SK_SL_SM_E_clIPjSE_SF_SF_EESJ_SZ_SK_SL_SM_EUlSZ_E1_NS1_11comp_targetILNS1_3genE4ELNS1_11target_archE910ELNS1_3gpuE8ELNS1_3repE0EEENS1_36merge_oddeven_config_static_selectorELNS0_4arch9wavefront6targetE1EEEvSL_,"axG",@progbits,_ZN7rocprim17ROCPRIM_400000_NS6detail17trampoline_kernelINS0_14default_configENS1_38merge_sort_block_merge_config_selectorIjNS0_10empty_typeEEEZZNS1_27merge_sort_block_merge_implIS3_N6thrust23THRUST_200600_302600_NS6detail15normal_iteratorINS9_10device_ptrIjEEEEPS5_jNS1_19radix_merge_compareILb0ELb1EjNS0_19identity_decomposerEEEEE10hipError_tT0_T1_T2_jT3_P12ihipStream_tbPNSt15iterator_traitsISK_E10value_typeEPNSQ_ISL_E10value_typeEPSM_NS1_7vsmem_tEENKUlT_SK_SL_SM_E_clIPjSE_SF_SF_EESJ_SZ_SK_SL_SM_EUlSZ_E1_NS1_11comp_targetILNS1_3genE4ELNS1_11target_archE910ELNS1_3gpuE8ELNS1_3repE0EEENS1_36merge_oddeven_config_static_selectorELNS0_4arch9wavefront6targetE1EEEvSL_,comdat
	.protected	_ZN7rocprim17ROCPRIM_400000_NS6detail17trampoline_kernelINS0_14default_configENS1_38merge_sort_block_merge_config_selectorIjNS0_10empty_typeEEEZZNS1_27merge_sort_block_merge_implIS3_N6thrust23THRUST_200600_302600_NS6detail15normal_iteratorINS9_10device_ptrIjEEEEPS5_jNS1_19radix_merge_compareILb0ELb1EjNS0_19identity_decomposerEEEEE10hipError_tT0_T1_T2_jT3_P12ihipStream_tbPNSt15iterator_traitsISK_E10value_typeEPNSQ_ISL_E10value_typeEPSM_NS1_7vsmem_tEENKUlT_SK_SL_SM_E_clIPjSE_SF_SF_EESJ_SZ_SK_SL_SM_EUlSZ_E1_NS1_11comp_targetILNS1_3genE4ELNS1_11target_archE910ELNS1_3gpuE8ELNS1_3repE0EEENS1_36merge_oddeven_config_static_selectorELNS0_4arch9wavefront6targetE1EEEvSL_ ; -- Begin function _ZN7rocprim17ROCPRIM_400000_NS6detail17trampoline_kernelINS0_14default_configENS1_38merge_sort_block_merge_config_selectorIjNS0_10empty_typeEEEZZNS1_27merge_sort_block_merge_implIS3_N6thrust23THRUST_200600_302600_NS6detail15normal_iteratorINS9_10device_ptrIjEEEEPS5_jNS1_19radix_merge_compareILb0ELb1EjNS0_19identity_decomposerEEEEE10hipError_tT0_T1_T2_jT3_P12ihipStream_tbPNSt15iterator_traitsISK_E10value_typeEPNSQ_ISL_E10value_typeEPSM_NS1_7vsmem_tEENKUlT_SK_SL_SM_E_clIPjSE_SF_SF_EESJ_SZ_SK_SL_SM_EUlSZ_E1_NS1_11comp_targetILNS1_3genE4ELNS1_11target_archE910ELNS1_3gpuE8ELNS1_3repE0EEENS1_36merge_oddeven_config_static_selectorELNS0_4arch9wavefront6targetE1EEEvSL_
	.globl	_ZN7rocprim17ROCPRIM_400000_NS6detail17trampoline_kernelINS0_14default_configENS1_38merge_sort_block_merge_config_selectorIjNS0_10empty_typeEEEZZNS1_27merge_sort_block_merge_implIS3_N6thrust23THRUST_200600_302600_NS6detail15normal_iteratorINS9_10device_ptrIjEEEEPS5_jNS1_19radix_merge_compareILb0ELb1EjNS0_19identity_decomposerEEEEE10hipError_tT0_T1_T2_jT3_P12ihipStream_tbPNSt15iterator_traitsISK_E10value_typeEPNSQ_ISL_E10value_typeEPSM_NS1_7vsmem_tEENKUlT_SK_SL_SM_E_clIPjSE_SF_SF_EESJ_SZ_SK_SL_SM_EUlSZ_E1_NS1_11comp_targetILNS1_3genE4ELNS1_11target_archE910ELNS1_3gpuE8ELNS1_3repE0EEENS1_36merge_oddeven_config_static_selectorELNS0_4arch9wavefront6targetE1EEEvSL_
	.p2align	8
	.type	_ZN7rocprim17ROCPRIM_400000_NS6detail17trampoline_kernelINS0_14default_configENS1_38merge_sort_block_merge_config_selectorIjNS0_10empty_typeEEEZZNS1_27merge_sort_block_merge_implIS3_N6thrust23THRUST_200600_302600_NS6detail15normal_iteratorINS9_10device_ptrIjEEEEPS5_jNS1_19radix_merge_compareILb0ELb1EjNS0_19identity_decomposerEEEEE10hipError_tT0_T1_T2_jT3_P12ihipStream_tbPNSt15iterator_traitsISK_E10value_typeEPNSQ_ISL_E10value_typeEPSM_NS1_7vsmem_tEENKUlT_SK_SL_SM_E_clIPjSE_SF_SF_EESJ_SZ_SK_SL_SM_EUlSZ_E1_NS1_11comp_targetILNS1_3genE4ELNS1_11target_archE910ELNS1_3gpuE8ELNS1_3repE0EEENS1_36merge_oddeven_config_static_selectorELNS0_4arch9wavefront6targetE1EEEvSL_,@function
_ZN7rocprim17ROCPRIM_400000_NS6detail17trampoline_kernelINS0_14default_configENS1_38merge_sort_block_merge_config_selectorIjNS0_10empty_typeEEEZZNS1_27merge_sort_block_merge_implIS3_N6thrust23THRUST_200600_302600_NS6detail15normal_iteratorINS9_10device_ptrIjEEEEPS5_jNS1_19radix_merge_compareILb0ELb1EjNS0_19identity_decomposerEEEEE10hipError_tT0_T1_T2_jT3_P12ihipStream_tbPNSt15iterator_traitsISK_E10value_typeEPNSQ_ISL_E10value_typeEPSM_NS1_7vsmem_tEENKUlT_SK_SL_SM_E_clIPjSE_SF_SF_EESJ_SZ_SK_SL_SM_EUlSZ_E1_NS1_11comp_targetILNS1_3genE4ELNS1_11target_archE910ELNS1_3gpuE8ELNS1_3repE0EEENS1_36merge_oddeven_config_static_selectorELNS0_4arch9wavefront6targetE1EEEvSL_: ; @_ZN7rocprim17ROCPRIM_400000_NS6detail17trampoline_kernelINS0_14default_configENS1_38merge_sort_block_merge_config_selectorIjNS0_10empty_typeEEEZZNS1_27merge_sort_block_merge_implIS3_N6thrust23THRUST_200600_302600_NS6detail15normal_iteratorINS9_10device_ptrIjEEEEPS5_jNS1_19radix_merge_compareILb0ELb1EjNS0_19identity_decomposerEEEEE10hipError_tT0_T1_T2_jT3_P12ihipStream_tbPNSt15iterator_traitsISK_E10value_typeEPNSQ_ISL_E10value_typeEPSM_NS1_7vsmem_tEENKUlT_SK_SL_SM_E_clIPjSE_SF_SF_EESJ_SZ_SK_SL_SM_EUlSZ_E1_NS1_11comp_targetILNS1_3genE4ELNS1_11target_archE910ELNS1_3gpuE8ELNS1_3repE0EEENS1_36merge_oddeven_config_static_selectorELNS0_4arch9wavefront6targetE1EEEvSL_
; %bb.0:
	s_load_dword s18, s[4:5], 0x20
	s_waitcnt lgkmcnt(0)
	s_lshr_b32 s0, s18, 8
	s_cmp_lg_u32 s6, s0
	s_cselect_b64 s[14:15], -1, 0
	s_cmp_eq_u32 s6, s0
	s_cselect_b64 s[12:13], -1, 0
	s_lshl_b32 s16, s6, 8
	s_sub_i32 s0, s18, s16
	v_cmp_gt_u32_e64 s[2:3], s0, v0
	s_or_b64 s[0:1], s[14:15], s[2:3]
	s_and_saveexec_b64 s[8:9], s[0:1]
	s_cbranch_execz .LBB1045_20
; %bb.1:
	s_load_dwordx4 s[8:11], s[4:5], 0x0
	s_load_dword s19, s[4:5], 0x24
	s_mov_b32 s17, 0
	s_lshl_b64 s[0:1], s[16:17], 2
	v_lshlrev_b32_e32 v1, 2, v0
	s_waitcnt lgkmcnt(0)
	s_add_u32 s0, s8, s0
	s_addc_u32 s1, s9, s1
	global_load_dword v2, v1, s[0:1]
	s_lshr_b32 s0, s19, 8
	s_sub_i32 s1, 0, s0
	s_and_b32 s1, s6, s1
	s_and_b32 s0, s1, s0
	s_lshl_b32 s20, s1, 8
	s_sub_i32 s17, 0, s19
	s_cmp_eq_u32 s0, 0
	s_cselect_b64 s[0:1], -1, 0
	s_and_b64 s[6:7], s[0:1], exec
	s_cselect_b32 s17, s19, s17
	s_add_i32 s17, s17, s20
	s_cmp_lt_u32 s17, s18
	v_add_u32_e32 v0, s16, v0
	s_cbranch_scc1 .LBB1045_3
; %bb.2:
	v_cmp_gt_u32_e32 vcc, s18, v0
	s_or_b64 s[6:7], vcc, s[14:15]
	s_and_b64 s[6:7], s[6:7], exec
	s_cbranch_execz .LBB1045_4
	s_branch .LBB1045_18
.LBB1045_3:
	s_mov_b64 s[6:7], 0
.LBB1045_4:
	s_load_dword s14, s[4:5], 0x28
	s_min_u32 s15, s17, s18
	s_add_i32 s4, s15, s19
	s_min_u32 s16, s4, s18
	s_min_u32 s4, s20, s15
	s_add_i32 s20, s20, s15
	v_subrev_u32_e32 v0, s20, v0
	v_add_u32_e32 v3, s4, v0
	s_and_b64 vcc, exec, s[12:13]
	s_cbranch_vccz .LBB1045_12
; %bb.5:
                                        ; implicit-def: $vgpr0
	s_and_saveexec_b64 s[4:5], s[2:3]
	s_cbranch_execz .LBB1045_11
; %bb.6:
	s_cmp_ge_u32 s17, s16
	v_mov_b32_e32 v4, s15
	s_cbranch_scc1 .LBB1045_10
; %bb.7:
	s_waitcnt vmcnt(0) lgkmcnt(0)
	v_and_b32_e32 v5, s14, v2
	s_mov_b64 s[2:3], 0
	v_mov_b32_e32 v6, s16
	v_mov_b32_e32 v4, s15
	;; [unrolled: 1-line block ×4, first 2 shown]
.LBB1045_8:                             ; =>This Inner Loop Header: Depth=1
	v_add_u32_e32 v0, v4, v6
	v_lshrrev_b32_e32 v0, 1, v0
	v_lshlrev_b64 v[8:9], 2, v[0:1]
	v_add_co_u32_e32 v8, vcc, s8, v8
	v_addc_co_u32_e32 v9, vcc, v7, v9, vcc
	global_load_dword v8, v[8:9], off
	v_add_u32_e32 v9, 1, v0
	s_waitcnt vmcnt(0)
	v_and_b32_e32 v8, s14, v8
	v_cmp_gt_u32_e32 vcc, v5, v8
	v_cndmask_b32_e64 v10, 0, 1, vcc
	v_cmp_le_u32_e32 vcc, v8, v5
	v_cndmask_b32_e64 v8, 0, 1, vcc
	v_cndmask_b32_e64 v8, v8, v10, s[0:1]
	v_and_b32_e32 v8, 1, v8
	v_cmp_eq_u32_e32 vcc, 1, v8
	v_cndmask_b32_e32 v6, v0, v6, vcc
	v_cndmask_b32_e32 v4, v4, v9, vcc
	v_cmp_ge_u32_e32 vcc, v4, v6
	s_or_b64 s[2:3], vcc, s[2:3]
	s_andn2_b64 exec, exec, s[2:3]
	s_cbranch_execnz .LBB1045_8
; %bb.9:
	s_or_b64 exec, exec, s[2:3]
.LBB1045_10:
	v_add_u32_e32 v0, v4, v3
	s_or_b64 s[6:7], s[6:7], exec
.LBB1045_11:
	s_or_b64 exec, exec, s[4:5]
	s_branch .LBB1045_18
.LBB1045_12:
                                        ; implicit-def: $vgpr0
	s_cbranch_execz .LBB1045_18
; %bb.13:
	s_cmp_ge_u32 s17, s16
	v_mov_b32_e32 v4, s15
	s_cbranch_scc1 .LBB1045_17
; %bb.14:
	s_waitcnt vmcnt(0) lgkmcnt(0)
	v_and_b32_e32 v5, s14, v2
	s_mov_b64 s[2:3], 0
	v_mov_b32_e32 v6, s16
	v_mov_b32_e32 v4, s15
	;; [unrolled: 1-line block ×4, first 2 shown]
.LBB1045_15:                            ; =>This Inner Loop Header: Depth=1
	v_add_u32_e32 v0, v4, v6
	v_lshrrev_b32_e32 v0, 1, v0
	v_lshlrev_b64 v[8:9], 2, v[0:1]
	v_add_co_u32_e32 v8, vcc, s8, v8
	v_addc_co_u32_e32 v9, vcc, v7, v9, vcc
	global_load_dword v8, v[8:9], off
	v_add_u32_e32 v9, 1, v0
	s_waitcnt vmcnt(0)
	v_and_b32_e32 v8, s14, v8
	v_cmp_gt_u32_e32 vcc, v5, v8
	v_cndmask_b32_e64 v10, 0, 1, vcc
	v_cmp_le_u32_e32 vcc, v8, v5
	v_cndmask_b32_e64 v8, 0, 1, vcc
	v_cndmask_b32_e64 v8, v8, v10, s[0:1]
	v_and_b32_e32 v8, 1, v8
	v_cmp_eq_u32_e32 vcc, 1, v8
	v_cndmask_b32_e32 v6, v0, v6, vcc
	v_cndmask_b32_e32 v4, v4, v9, vcc
	v_cmp_ge_u32_e32 vcc, v4, v6
	s_or_b64 s[2:3], vcc, s[2:3]
	s_andn2_b64 exec, exec, s[2:3]
	s_cbranch_execnz .LBB1045_15
; %bb.16:
	s_or_b64 exec, exec, s[2:3]
.LBB1045_17:
	v_add_u32_e32 v0, v4, v3
	s_mov_b64 s[6:7], -1
.LBB1045_18:
	s_and_b64 exec, exec, s[6:7]
	s_cbranch_execz .LBB1045_20
; %bb.19:
	v_mov_b32_e32 v1, 0
	v_lshlrev_b64 v[0:1], 2, v[0:1]
	v_mov_b32_e32 v3, s11
	v_add_co_u32_e32 v0, vcc, s10, v0
	v_addc_co_u32_e32 v1, vcc, v3, v1, vcc
	s_waitcnt vmcnt(0)
	global_store_dword v[0:1], v2, off
.LBB1045_20:
	s_endpgm
	.section	.rodata,"a",@progbits
	.p2align	6, 0x0
	.amdhsa_kernel _ZN7rocprim17ROCPRIM_400000_NS6detail17trampoline_kernelINS0_14default_configENS1_38merge_sort_block_merge_config_selectorIjNS0_10empty_typeEEEZZNS1_27merge_sort_block_merge_implIS3_N6thrust23THRUST_200600_302600_NS6detail15normal_iteratorINS9_10device_ptrIjEEEEPS5_jNS1_19radix_merge_compareILb0ELb1EjNS0_19identity_decomposerEEEEE10hipError_tT0_T1_T2_jT3_P12ihipStream_tbPNSt15iterator_traitsISK_E10value_typeEPNSQ_ISL_E10value_typeEPSM_NS1_7vsmem_tEENKUlT_SK_SL_SM_E_clIPjSE_SF_SF_EESJ_SZ_SK_SL_SM_EUlSZ_E1_NS1_11comp_targetILNS1_3genE4ELNS1_11target_archE910ELNS1_3gpuE8ELNS1_3repE0EEENS1_36merge_oddeven_config_static_selectorELNS0_4arch9wavefront6targetE1EEEvSL_
		.amdhsa_group_segment_fixed_size 0
		.amdhsa_private_segment_fixed_size 0
		.amdhsa_kernarg_size 48
		.amdhsa_user_sgpr_count 6
		.amdhsa_user_sgpr_private_segment_buffer 1
		.amdhsa_user_sgpr_dispatch_ptr 0
		.amdhsa_user_sgpr_queue_ptr 0
		.amdhsa_user_sgpr_kernarg_segment_ptr 1
		.amdhsa_user_sgpr_dispatch_id 0
		.amdhsa_user_sgpr_flat_scratch_init 0
		.amdhsa_user_sgpr_kernarg_preload_length 0
		.amdhsa_user_sgpr_kernarg_preload_offset 0
		.amdhsa_user_sgpr_private_segment_size 0
		.amdhsa_uses_dynamic_stack 0
		.amdhsa_system_sgpr_private_segment_wavefront_offset 0
		.amdhsa_system_sgpr_workgroup_id_x 1
		.amdhsa_system_sgpr_workgroup_id_y 0
		.amdhsa_system_sgpr_workgroup_id_z 0
		.amdhsa_system_sgpr_workgroup_info 0
		.amdhsa_system_vgpr_workitem_id 0
		.amdhsa_next_free_vgpr 11
		.amdhsa_next_free_sgpr 21
		.amdhsa_accum_offset 12
		.amdhsa_reserve_vcc 1
		.amdhsa_reserve_flat_scratch 0
		.amdhsa_float_round_mode_32 0
		.amdhsa_float_round_mode_16_64 0
		.amdhsa_float_denorm_mode_32 3
		.amdhsa_float_denorm_mode_16_64 3
		.amdhsa_dx10_clamp 1
		.amdhsa_ieee_mode 1
		.amdhsa_fp16_overflow 0
		.amdhsa_tg_split 0
		.amdhsa_exception_fp_ieee_invalid_op 0
		.amdhsa_exception_fp_denorm_src 0
		.amdhsa_exception_fp_ieee_div_zero 0
		.amdhsa_exception_fp_ieee_overflow 0
		.amdhsa_exception_fp_ieee_underflow 0
		.amdhsa_exception_fp_ieee_inexact 0
		.amdhsa_exception_int_div_zero 0
	.end_amdhsa_kernel
	.section	.text._ZN7rocprim17ROCPRIM_400000_NS6detail17trampoline_kernelINS0_14default_configENS1_38merge_sort_block_merge_config_selectorIjNS0_10empty_typeEEEZZNS1_27merge_sort_block_merge_implIS3_N6thrust23THRUST_200600_302600_NS6detail15normal_iteratorINS9_10device_ptrIjEEEEPS5_jNS1_19radix_merge_compareILb0ELb1EjNS0_19identity_decomposerEEEEE10hipError_tT0_T1_T2_jT3_P12ihipStream_tbPNSt15iterator_traitsISK_E10value_typeEPNSQ_ISL_E10value_typeEPSM_NS1_7vsmem_tEENKUlT_SK_SL_SM_E_clIPjSE_SF_SF_EESJ_SZ_SK_SL_SM_EUlSZ_E1_NS1_11comp_targetILNS1_3genE4ELNS1_11target_archE910ELNS1_3gpuE8ELNS1_3repE0EEENS1_36merge_oddeven_config_static_selectorELNS0_4arch9wavefront6targetE1EEEvSL_,"axG",@progbits,_ZN7rocprim17ROCPRIM_400000_NS6detail17trampoline_kernelINS0_14default_configENS1_38merge_sort_block_merge_config_selectorIjNS0_10empty_typeEEEZZNS1_27merge_sort_block_merge_implIS3_N6thrust23THRUST_200600_302600_NS6detail15normal_iteratorINS9_10device_ptrIjEEEEPS5_jNS1_19radix_merge_compareILb0ELb1EjNS0_19identity_decomposerEEEEE10hipError_tT0_T1_T2_jT3_P12ihipStream_tbPNSt15iterator_traitsISK_E10value_typeEPNSQ_ISL_E10value_typeEPSM_NS1_7vsmem_tEENKUlT_SK_SL_SM_E_clIPjSE_SF_SF_EESJ_SZ_SK_SL_SM_EUlSZ_E1_NS1_11comp_targetILNS1_3genE4ELNS1_11target_archE910ELNS1_3gpuE8ELNS1_3repE0EEENS1_36merge_oddeven_config_static_selectorELNS0_4arch9wavefront6targetE1EEEvSL_,comdat
.Lfunc_end1045:
	.size	_ZN7rocprim17ROCPRIM_400000_NS6detail17trampoline_kernelINS0_14default_configENS1_38merge_sort_block_merge_config_selectorIjNS0_10empty_typeEEEZZNS1_27merge_sort_block_merge_implIS3_N6thrust23THRUST_200600_302600_NS6detail15normal_iteratorINS9_10device_ptrIjEEEEPS5_jNS1_19radix_merge_compareILb0ELb1EjNS0_19identity_decomposerEEEEE10hipError_tT0_T1_T2_jT3_P12ihipStream_tbPNSt15iterator_traitsISK_E10value_typeEPNSQ_ISL_E10value_typeEPSM_NS1_7vsmem_tEENKUlT_SK_SL_SM_E_clIPjSE_SF_SF_EESJ_SZ_SK_SL_SM_EUlSZ_E1_NS1_11comp_targetILNS1_3genE4ELNS1_11target_archE910ELNS1_3gpuE8ELNS1_3repE0EEENS1_36merge_oddeven_config_static_selectorELNS0_4arch9wavefront6targetE1EEEvSL_, .Lfunc_end1045-_ZN7rocprim17ROCPRIM_400000_NS6detail17trampoline_kernelINS0_14default_configENS1_38merge_sort_block_merge_config_selectorIjNS0_10empty_typeEEEZZNS1_27merge_sort_block_merge_implIS3_N6thrust23THRUST_200600_302600_NS6detail15normal_iteratorINS9_10device_ptrIjEEEEPS5_jNS1_19radix_merge_compareILb0ELb1EjNS0_19identity_decomposerEEEEE10hipError_tT0_T1_T2_jT3_P12ihipStream_tbPNSt15iterator_traitsISK_E10value_typeEPNSQ_ISL_E10value_typeEPSM_NS1_7vsmem_tEENKUlT_SK_SL_SM_E_clIPjSE_SF_SF_EESJ_SZ_SK_SL_SM_EUlSZ_E1_NS1_11comp_targetILNS1_3genE4ELNS1_11target_archE910ELNS1_3gpuE8ELNS1_3repE0EEENS1_36merge_oddeven_config_static_selectorELNS0_4arch9wavefront6targetE1EEEvSL_
                                        ; -- End function
	.section	.AMDGPU.csdata,"",@progbits
; Kernel info:
; codeLenInByte = 620
; NumSgprs: 25
; NumVgprs: 11
; NumAgprs: 0
; TotalNumVgprs: 11
; ScratchSize: 0
; MemoryBound: 0
; FloatMode: 240
; IeeeMode: 1
; LDSByteSize: 0 bytes/workgroup (compile time only)
; SGPRBlocks: 3
; VGPRBlocks: 1
; NumSGPRsForWavesPerEU: 25
; NumVGPRsForWavesPerEU: 11
; AccumOffset: 12
; Occupancy: 8
; WaveLimiterHint : 0
; COMPUTE_PGM_RSRC2:SCRATCH_EN: 0
; COMPUTE_PGM_RSRC2:USER_SGPR: 6
; COMPUTE_PGM_RSRC2:TRAP_HANDLER: 0
; COMPUTE_PGM_RSRC2:TGID_X_EN: 1
; COMPUTE_PGM_RSRC2:TGID_Y_EN: 0
; COMPUTE_PGM_RSRC2:TGID_Z_EN: 0
; COMPUTE_PGM_RSRC2:TIDIG_COMP_CNT: 0
; COMPUTE_PGM_RSRC3_GFX90A:ACCUM_OFFSET: 2
; COMPUTE_PGM_RSRC3_GFX90A:TG_SPLIT: 0
	.section	.text._ZN7rocprim17ROCPRIM_400000_NS6detail17trampoline_kernelINS0_14default_configENS1_38merge_sort_block_merge_config_selectorIjNS0_10empty_typeEEEZZNS1_27merge_sort_block_merge_implIS3_N6thrust23THRUST_200600_302600_NS6detail15normal_iteratorINS9_10device_ptrIjEEEEPS5_jNS1_19radix_merge_compareILb0ELb1EjNS0_19identity_decomposerEEEEE10hipError_tT0_T1_T2_jT3_P12ihipStream_tbPNSt15iterator_traitsISK_E10value_typeEPNSQ_ISL_E10value_typeEPSM_NS1_7vsmem_tEENKUlT_SK_SL_SM_E_clIPjSE_SF_SF_EESJ_SZ_SK_SL_SM_EUlSZ_E1_NS1_11comp_targetILNS1_3genE3ELNS1_11target_archE908ELNS1_3gpuE7ELNS1_3repE0EEENS1_36merge_oddeven_config_static_selectorELNS0_4arch9wavefront6targetE1EEEvSL_,"axG",@progbits,_ZN7rocprim17ROCPRIM_400000_NS6detail17trampoline_kernelINS0_14default_configENS1_38merge_sort_block_merge_config_selectorIjNS0_10empty_typeEEEZZNS1_27merge_sort_block_merge_implIS3_N6thrust23THRUST_200600_302600_NS6detail15normal_iteratorINS9_10device_ptrIjEEEEPS5_jNS1_19radix_merge_compareILb0ELb1EjNS0_19identity_decomposerEEEEE10hipError_tT0_T1_T2_jT3_P12ihipStream_tbPNSt15iterator_traitsISK_E10value_typeEPNSQ_ISL_E10value_typeEPSM_NS1_7vsmem_tEENKUlT_SK_SL_SM_E_clIPjSE_SF_SF_EESJ_SZ_SK_SL_SM_EUlSZ_E1_NS1_11comp_targetILNS1_3genE3ELNS1_11target_archE908ELNS1_3gpuE7ELNS1_3repE0EEENS1_36merge_oddeven_config_static_selectorELNS0_4arch9wavefront6targetE1EEEvSL_,comdat
	.protected	_ZN7rocprim17ROCPRIM_400000_NS6detail17trampoline_kernelINS0_14default_configENS1_38merge_sort_block_merge_config_selectorIjNS0_10empty_typeEEEZZNS1_27merge_sort_block_merge_implIS3_N6thrust23THRUST_200600_302600_NS6detail15normal_iteratorINS9_10device_ptrIjEEEEPS5_jNS1_19radix_merge_compareILb0ELb1EjNS0_19identity_decomposerEEEEE10hipError_tT0_T1_T2_jT3_P12ihipStream_tbPNSt15iterator_traitsISK_E10value_typeEPNSQ_ISL_E10value_typeEPSM_NS1_7vsmem_tEENKUlT_SK_SL_SM_E_clIPjSE_SF_SF_EESJ_SZ_SK_SL_SM_EUlSZ_E1_NS1_11comp_targetILNS1_3genE3ELNS1_11target_archE908ELNS1_3gpuE7ELNS1_3repE0EEENS1_36merge_oddeven_config_static_selectorELNS0_4arch9wavefront6targetE1EEEvSL_ ; -- Begin function _ZN7rocprim17ROCPRIM_400000_NS6detail17trampoline_kernelINS0_14default_configENS1_38merge_sort_block_merge_config_selectorIjNS0_10empty_typeEEEZZNS1_27merge_sort_block_merge_implIS3_N6thrust23THRUST_200600_302600_NS6detail15normal_iteratorINS9_10device_ptrIjEEEEPS5_jNS1_19radix_merge_compareILb0ELb1EjNS0_19identity_decomposerEEEEE10hipError_tT0_T1_T2_jT3_P12ihipStream_tbPNSt15iterator_traitsISK_E10value_typeEPNSQ_ISL_E10value_typeEPSM_NS1_7vsmem_tEENKUlT_SK_SL_SM_E_clIPjSE_SF_SF_EESJ_SZ_SK_SL_SM_EUlSZ_E1_NS1_11comp_targetILNS1_3genE3ELNS1_11target_archE908ELNS1_3gpuE7ELNS1_3repE0EEENS1_36merge_oddeven_config_static_selectorELNS0_4arch9wavefront6targetE1EEEvSL_
	.globl	_ZN7rocprim17ROCPRIM_400000_NS6detail17trampoline_kernelINS0_14default_configENS1_38merge_sort_block_merge_config_selectorIjNS0_10empty_typeEEEZZNS1_27merge_sort_block_merge_implIS3_N6thrust23THRUST_200600_302600_NS6detail15normal_iteratorINS9_10device_ptrIjEEEEPS5_jNS1_19radix_merge_compareILb0ELb1EjNS0_19identity_decomposerEEEEE10hipError_tT0_T1_T2_jT3_P12ihipStream_tbPNSt15iterator_traitsISK_E10value_typeEPNSQ_ISL_E10value_typeEPSM_NS1_7vsmem_tEENKUlT_SK_SL_SM_E_clIPjSE_SF_SF_EESJ_SZ_SK_SL_SM_EUlSZ_E1_NS1_11comp_targetILNS1_3genE3ELNS1_11target_archE908ELNS1_3gpuE7ELNS1_3repE0EEENS1_36merge_oddeven_config_static_selectorELNS0_4arch9wavefront6targetE1EEEvSL_
	.p2align	8
	.type	_ZN7rocprim17ROCPRIM_400000_NS6detail17trampoline_kernelINS0_14default_configENS1_38merge_sort_block_merge_config_selectorIjNS0_10empty_typeEEEZZNS1_27merge_sort_block_merge_implIS3_N6thrust23THRUST_200600_302600_NS6detail15normal_iteratorINS9_10device_ptrIjEEEEPS5_jNS1_19radix_merge_compareILb0ELb1EjNS0_19identity_decomposerEEEEE10hipError_tT0_T1_T2_jT3_P12ihipStream_tbPNSt15iterator_traitsISK_E10value_typeEPNSQ_ISL_E10value_typeEPSM_NS1_7vsmem_tEENKUlT_SK_SL_SM_E_clIPjSE_SF_SF_EESJ_SZ_SK_SL_SM_EUlSZ_E1_NS1_11comp_targetILNS1_3genE3ELNS1_11target_archE908ELNS1_3gpuE7ELNS1_3repE0EEENS1_36merge_oddeven_config_static_selectorELNS0_4arch9wavefront6targetE1EEEvSL_,@function
_ZN7rocprim17ROCPRIM_400000_NS6detail17trampoline_kernelINS0_14default_configENS1_38merge_sort_block_merge_config_selectorIjNS0_10empty_typeEEEZZNS1_27merge_sort_block_merge_implIS3_N6thrust23THRUST_200600_302600_NS6detail15normal_iteratorINS9_10device_ptrIjEEEEPS5_jNS1_19radix_merge_compareILb0ELb1EjNS0_19identity_decomposerEEEEE10hipError_tT0_T1_T2_jT3_P12ihipStream_tbPNSt15iterator_traitsISK_E10value_typeEPNSQ_ISL_E10value_typeEPSM_NS1_7vsmem_tEENKUlT_SK_SL_SM_E_clIPjSE_SF_SF_EESJ_SZ_SK_SL_SM_EUlSZ_E1_NS1_11comp_targetILNS1_3genE3ELNS1_11target_archE908ELNS1_3gpuE7ELNS1_3repE0EEENS1_36merge_oddeven_config_static_selectorELNS0_4arch9wavefront6targetE1EEEvSL_: ; @_ZN7rocprim17ROCPRIM_400000_NS6detail17trampoline_kernelINS0_14default_configENS1_38merge_sort_block_merge_config_selectorIjNS0_10empty_typeEEEZZNS1_27merge_sort_block_merge_implIS3_N6thrust23THRUST_200600_302600_NS6detail15normal_iteratorINS9_10device_ptrIjEEEEPS5_jNS1_19radix_merge_compareILb0ELb1EjNS0_19identity_decomposerEEEEE10hipError_tT0_T1_T2_jT3_P12ihipStream_tbPNSt15iterator_traitsISK_E10value_typeEPNSQ_ISL_E10value_typeEPSM_NS1_7vsmem_tEENKUlT_SK_SL_SM_E_clIPjSE_SF_SF_EESJ_SZ_SK_SL_SM_EUlSZ_E1_NS1_11comp_targetILNS1_3genE3ELNS1_11target_archE908ELNS1_3gpuE7ELNS1_3repE0EEENS1_36merge_oddeven_config_static_selectorELNS0_4arch9wavefront6targetE1EEEvSL_
; %bb.0:
	.section	.rodata,"a",@progbits
	.p2align	6, 0x0
	.amdhsa_kernel _ZN7rocprim17ROCPRIM_400000_NS6detail17trampoline_kernelINS0_14default_configENS1_38merge_sort_block_merge_config_selectorIjNS0_10empty_typeEEEZZNS1_27merge_sort_block_merge_implIS3_N6thrust23THRUST_200600_302600_NS6detail15normal_iteratorINS9_10device_ptrIjEEEEPS5_jNS1_19radix_merge_compareILb0ELb1EjNS0_19identity_decomposerEEEEE10hipError_tT0_T1_T2_jT3_P12ihipStream_tbPNSt15iterator_traitsISK_E10value_typeEPNSQ_ISL_E10value_typeEPSM_NS1_7vsmem_tEENKUlT_SK_SL_SM_E_clIPjSE_SF_SF_EESJ_SZ_SK_SL_SM_EUlSZ_E1_NS1_11comp_targetILNS1_3genE3ELNS1_11target_archE908ELNS1_3gpuE7ELNS1_3repE0EEENS1_36merge_oddeven_config_static_selectorELNS0_4arch9wavefront6targetE1EEEvSL_
		.amdhsa_group_segment_fixed_size 0
		.amdhsa_private_segment_fixed_size 0
		.amdhsa_kernarg_size 48
		.amdhsa_user_sgpr_count 6
		.amdhsa_user_sgpr_private_segment_buffer 1
		.amdhsa_user_sgpr_dispatch_ptr 0
		.amdhsa_user_sgpr_queue_ptr 0
		.amdhsa_user_sgpr_kernarg_segment_ptr 1
		.amdhsa_user_sgpr_dispatch_id 0
		.amdhsa_user_sgpr_flat_scratch_init 0
		.amdhsa_user_sgpr_kernarg_preload_length 0
		.amdhsa_user_sgpr_kernarg_preload_offset 0
		.amdhsa_user_sgpr_private_segment_size 0
		.amdhsa_uses_dynamic_stack 0
		.amdhsa_system_sgpr_private_segment_wavefront_offset 0
		.amdhsa_system_sgpr_workgroup_id_x 1
		.amdhsa_system_sgpr_workgroup_id_y 0
		.amdhsa_system_sgpr_workgroup_id_z 0
		.amdhsa_system_sgpr_workgroup_info 0
		.amdhsa_system_vgpr_workitem_id 0
		.amdhsa_next_free_vgpr 1
		.amdhsa_next_free_sgpr 0
		.amdhsa_accum_offset 4
		.amdhsa_reserve_vcc 0
		.amdhsa_reserve_flat_scratch 0
		.amdhsa_float_round_mode_32 0
		.amdhsa_float_round_mode_16_64 0
		.amdhsa_float_denorm_mode_32 3
		.amdhsa_float_denorm_mode_16_64 3
		.amdhsa_dx10_clamp 1
		.amdhsa_ieee_mode 1
		.amdhsa_fp16_overflow 0
		.amdhsa_tg_split 0
		.amdhsa_exception_fp_ieee_invalid_op 0
		.amdhsa_exception_fp_denorm_src 0
		.amdhsa_exception_fp_ieee_div_zero 0
		.amdhsa_exception_fp_ieee_overflow 0
		.amdhsa_exception_fp_ieee_underflow 0
		.amdhsa_exception_fp_ieee_inexact 0
		.amdhsa_exception_int_div_zero 0
	.end_amdhsa_kernel
	.section	.text._ZN7rocprim17ROCPRIM_400000_NS6detail17trampoline_kernelINS0_14default_configENS1_38merge_sort_block_merge_config_selectorIjNS0_10empty_typeEEEZZNS1_27merge_sort_block_merge_implIS3_N6thrust23THRUST_200600_302600_NS6detail15normal_iteratorINS9_10device_ptrIjEEEEPS5_jNS1_19radix_merge_compareILb0ELb1EjNS0_19identity_decomposerEEEEE10hipError_tT0_T1_T2_jT3_P12ihipStream_tbPNSt15iterator_traitsISK_E10value_typeEPNSQ_ISL_E10value_typeEPSM_NS1_7vsmem_tEENKUlT_SK_SL_SM_E_clIPjSE_SF_SF_EESJ_SZ_SK_SL_SM_EUlSZ_E1_NS1_11comp_targetILNS1_3genE3ELNS1_11target_archE908ELNS1_3gpuE7ELNS1_3repE0EEENS1_36merge_oddeven_config_static_selectorELNS0_4arch9wavefront6targetE1EEEvSL_,"axG",@progbits,_ZN7rocprim17ROCPRIM_400000_NS6detail17trampoline_kernelINS0_14default_configENS1_38merge_sort_block_merge_config_selectorIjNS0_10empty_typeEEEZZNS1_27merge_sort_block_merge_implIS3_N6thrust23THRUST_200600_302600_NS6detail15normal_iteratorINS9_10device_ptrIjEEEEPS5_jNS1_19radix_merge_compareILb0ELb1EjNS0_19identity_decomposerEEEEE10hipError_tT0_T1_T2_jT3_P12ihipStream_tbPNSt15iterator_traitsISK_E10value_typeEPNSQ_ISL_E10value_typeEPSM_NS1_7vsmem_tEENKUlT_SK_SL_SM_E_clIPjSE_SF_SF_EESJ_SZ_SK_SL_SM_EUlSZ_E1_NS1_11comp_targetILNS1_3genE3ELNS1_11target_archE908ELNS1_3gpuE7ELNS1_3repE0EEENS1_36merge_oddeven_config_static_selectorELNS0_4arch9wavefront6targetE1EEEvSL_,comdat
.Lfunc_end1046:
	.size	_ZN7rocprim17ROCPRIM_400000_NS6detail17trampoline_kernelINS0_14default_configENS1_38merge_sort_block_merge_config_selectorIjNS0_10empty_typeEEEZZNS1_27merge_sort_block_merge_implIS3_N6thrust23THRUST_200600_302600_NS6detail15normal_iteratorINS9_10device_ptrIjEEEEPS5_jNS1_19radix_merge_compareILb0ELb1EjNS0_19identity_decomposerEEEEE10hipError_tT0_T1_T2_jT3_P12ihipStream_tbPNSt15iterator_traitsISK_E10value_typeEPNSQ_ISL_E10value_typeEPSM_NS1_7vsmem_tEENKUlT_SK_SL_SM_E_clIPjSE_SF_SF_EESJ_SZ_SK_SL_SM_EUlSZ_E1_NS1_11comp_targetILNS1_3genE3ELNS1_11target_archE908ELNS1_3gpuE7ELNS1_3repE0EEENS1_36merge_oddeven_config_static_selectorELNS0_4arch9wavefront6targetE1EEEvSL_, .Lfunc_end1046-_ZN7rocprim17ROCPRIM_400000_NS6detail17trampoline_kernelINS0_14default_configENS1_38merge_sort_block_merge_config_selectorIjNS0_10empty_typeEEEZZNS1_27merge_sort_block_merge_implIS3_N6thrust23THRUST_200600_302600_NS6detail15normal_iteratorINS9_10device_ptrIjEEEEPS5_jNS1_19radix_merge_compareILb0ELb1EjNS0_19identity_decomposerEEEEE10hipError_tT0_T1_T2_jT3_P12ihipStream_tbPNSt15iterator_traitsISK_E10value_typeEPNSQ_ISL_E10value_typeEPSM_NS1_7vsmem_tEENKUlT_SK_SL_SM_E_clIPjSE_SF_SF_EESJ_SZ_SK_SL_SM_EUlSZ_E1_NS1_11comp_targetILNS1_3genE3ELNS1_11target_archE908ELNS1_3gpuE7ELNS1_3repE0EEENS1_36merge_oddeven_config_static_selectorELNS0_4arch9wavefront6targetE1EEEvSL_
                                        ; -- End function
	.section	.AMDGPU.csdata,"",@progbits
; Kernel info:
; codeLenInByte = 0
; NumSgprs: 4
; NumVgprs: 0
; NumAgprs: 0
; TotalNumVgprs: 0
; ScratchSize: 0
; MemoryBound: 0
; FloatMode: 240
; IeeeMode: 1
; LDSByteSize: 0 bytes/workgroup (compile time only)
; SGPRBlocks: 0
; VGPRBlocks: 0
; NumSGPRsForWavesPerEU: 4
; NumVGPRsForWavesPerEU: 1
; AccumOffset: 4
; Occupancy: 8
; WaveLimiterHint : 0
; COMPUTE_PGM_RSRC2:SCRATCH_EN: 0
; COMPUTE_PGM_RSRC2:USER_SGPR: 6
; COMPUTE_PGM_RSRC2:TRAP_HANDLER: 0
; COMPUTE_PGM_RSRC2:TGID_X_EN: 1
; COMPUTE_PGM_RSRC2:TGID_Y_EN: 0
; COMPUTE_PGM_RSRC2:TGID_Z_EN: 0
; COMPUTE_PGM_RSRC2:TIDIG_COMP_CNT: 0
; COMPUTE_PGM_RSRC3_GFX90A:ACCUM_OFFSET: 0
; COMPUTE_PGM_RSRC3_GFX90A:TG_SPLIT: 0
	.section	.text._ZN7rocprim17ROCPRIM_400000_NS6detail17trampoline_kernelINS0_14default_configENS1_38merge_sort_block_merge_config_selectorIjNS0_10empty_typeEEEZZNS1_27merge_sort_block_merge_implIS3_N6thrust23THRUST_200600_302600_NS6detail15normal_iteratorINS9_10device_ptrIjEEEEPS5_jNS1_19radix_merge_compareILb0ELb1EjNS0_19identity_decomposerEEEEE10hipError_tT0_T1_T2_jT3_P12ihipStream_tbPNSt15iterator_traitsISK_E10value_typeEPNSQ_ISL_E10value_typeEPSM_NS1_7vsmem_tEENKUlT_SK_SL_SM_E_clIPjSE_SF_SF_EESJ_SZ_SK_SL_SM_EUlSZ_E1_NS1_11comp_targetILNS1_3genE2ELNS1_11target_archE906ELNS1_3gpuE6ELNS1_3repE0EEENS1_36merge_oddeven_config_static_selectorELNS0_4arch9wavefront6targetE1EEEvSL_,"axG",@progbits,_ZN7rocprim17ROCPRIM_400000_NS6detail17trampoline_kernelINS0_14default_configENS1_38merge_sort_block_merge_config_selectorIjNS0_10empty_typeEEEZZNS1_27merge_sort_block_merge_implIS3_N6thrust23THRUST_200600_302600_NS6detail15normal_iteratorINS9_10device_ptrIjEEEEPS5_jNS1_19radix_merge_compareILb0ELb1EjNS0_19identity_decomposerEEEEE10hipError_tT0_T1_T2_jT3_P12ihipStream_tbPNSt15iterator_traitsISK_E10value_typeEPNSQ_ISL_E10value_typeEPSM_NS1_7vsmem_tEENKUlT_SK_SL_SM_E_clIPjSE_SF_SF_EESJ_SZ_SK_SL_SM_EUlSZ_E1_NS1_11comp_targetILNS1_3genE2ELNS1_11target_archE906ELNS1_3gpuE6ELNS1_3repE0EEENS1_36merge_oddeven_config_static_selectorELNS0_4arch9wavefront6targetE1EEEvSL_,comdat
	.protected	_ZN7rocprim17ROCPRIM_400000_NS6detail17trampoline_kernelINS0_14default_configENS1_38merge_sort_block_merge_config_selectorIjNS0_10empty_typeEEEZZNS1_27merge_sort_block_merge_implIS3_N6thrust23THRUST_200600_302600_NS6detail15normal_iteratorINS9_10device_ptrIjEEEEPS5_jNS1_19radix_merge_compareILb0ELb1EjNS0_19identity_decomposerEEEEE10hipError_tT0_T1_T2_jT3_P12ihipStream_tbPNSt15iterator_traitsISK_E10value_typeEPNSQ_ISL_E10value_typeEPSM_NS1_7vsmem_tEENKUlT_SK_SL_SM_E_clIPjSE_SF_SF_EESJ_SZ_SK_SL_SM_EUlSZ_E1_NS1_11comp_targetILNS1_3genE2ELNS1_11target_archE906ELNS1_3gpuE6ELNS1_3repE0EEENS1_36merge_oddeven_config_static_selectorELNS0_4arch9wavefront6targetE1EEEvSL_ ; -- Begin function _ZN7rocprim17ROCPRIM_400000_NS6detail17trampoline_kernelINS0_14default_configENS1_38merge_sort_block_merge_config_selectorIjNS0_10empty_typeEEEZZNS1_27merge_sort_block_merge_implIS3_N6thrust23THRUST_200600_302600_NS6detail15normal_iteratorINS9_10device_ptrIjEEEEPS5_jNS1_19radix_merge_compareILb0ELb1EjNS0_19identity_decomposerEEEEE10hipError_tT0_T1_T2_jT3_P12ihipStream_tbPNSt15iterator_traitsISK_E10value_typeEPNSQ_ISL_E10value_typeEPSM_NS1_7vsmem_tEENKUlT_SK_SL_SM_E_clIPjSE_SF_SF_EESJ_SZ_SK_SL_SM_EUlSZ_E1_NS1_11comp_targetILNS1_3genE2ELNS1_11target_archE906ELNS1_3gpuE6ELNS1_3repE0EEENS1_36merge_oddeven_config_static_selectorELNS0_4arch9wavefront6targetE1EEEvSL_
	.globl	_ZN7rocprim17ROCPRIM_400000_NS6detail17trampoline_kernelINS0_14default_configENS1_38merge_sort_block_merge_config_selectorIjNS0_10empty_typeEEEZZNS1_27merge_sort_block_merge_implIS3_N6thrust23THRUST_200600_302600_NS6detail15normal_iteratorINS9_10device_ptrIjEEEEPS5_jNS1_19radix_merge_compareILb0ELb1EjNS0_19identity_decomposerEEEEE10hipError_tT0_T1_T2_jT3_P12ihipStream_tbPNSt15iterator_traitsISK_E10value_typeEPNSQ_ISL_E10value_typeEPSM_NS1_7vsmem_tEENKUlT_SK_SL_SM_E_clIPjSE_SF_SF_EESJ_SZ_SK_SL_SM_EUlSZ_E1_NS1_11comp_targetILNS1_3genE2ELNS1_11target_archE906ELNS1_3gpuE6ELNS1_3repE0EEENS1_36merge_oddeven_config_static_selectorELNS0_4arch9wavefront6targetE1EEEvSL_
	.p2align	8
	.type	_ZN7rocprim17ROCPRIM_400000_NS6detail17trampoline_kernelINS0_14default_configENS1_38merge_sort_block_merge_config_selectorIjNS0_10empty_typeEEEZZNS1_27merge_sort_block_merge_implIS3_N6thrust23THRUST_200600_302600_NS6detail15normal_iteratorINS9_10device_ptrIjEEEEPS5_jNS1_19radix_merge_compareILb0ELb1EjNS0_19identity_decomposerEEEEE10hipError_tT0_T1_T2_jT3_P12ihipStream_tbPNSt15iterator_traitsISK_E10value_typeEPNSQ_ISL_E10value_typeEPSM_NS1_7vsmem_tEENKUlT_SK_SL_SM_E_clIPjSE_SF_SF_EESJ_SZ_SK_SL_SM_EUlSZ_E1_NS1_11comp_targetILNS1_3genE2ELNS1_11target_archE906ELNS1_3gpuE6ELNS1_3repE0EEENS1_36merge_oddeven_config_static_selectorELNS0_4arch9wavefront6targetE1EEEvSL_,@function
_ZN7rocprim17ROCPRIM_400000_NS6detail17trampoline_kernelINS0_14default_configENS1_38merge_sort_block_merge_config_selectorIjNS0_10empty_typeEEEZZNS1_27merge_sort_block_merge_implIS3_N6thrust23THRUST_200600_302600_NS6detail15normal_iteratorINS9_10device_ptrIjEEEEPS5_jNS1_19radix_merge_compareILb0ELb1EjNS0_19identity_decomposerEEEEE10hipError_tT0_T1_T2_jT3_P12ihipStream_tbPNSt15iterator_traitsISK_E10value_typeEPNSQ_ISL_E10value_typeEPSM_NS1_7vsmem_tEENKUlT_SK_SL_SM_E_clIPjSE_SF_SF_EESJ_SZ_SK_SL_SM_EUlSZ_E1_NS1_11comp_targetILNS1_3genE2ELNS1_11target_archE906ELNS1_3gpuE6ELNS1_3repE0EEENS1_36merge_oddeven_config_static_selectorELNS0_4arch9wavefront6targetE1EEEvSL_: ; @_ZN7rocprim17ROCPRIM_400000_NS6detail17trampoline_kernelINS0_14default_configENS1_38merge_sort_block_merge_config_selectorIjNS0_10empty_typeEEEZZNS1_27merge_sort_block_merge_implIS3_N6thrust23THRUST_200600_302600_NS6detail15normal_iteratorINS9_10device_ptrIjEEEEPS5_jNS1_19radix_merge_compareILb0ELb1EjNS0_19identity_decomposerEEEEE10hipError_tT0_T1_T2_jT3_P12ihipStream_tbPNSt15iterator_traitsISK_E10value_typeEPNSQ_ISL_E10value_typeEPSM_NS1_7vsmem_tEENKUlT_SK_SL_SM_E_clIPjSE_SF_SF_EESJ_SZ_SK_SL_SM_EUlSZ_E1_NS1_11comp_targetILNS1_3genE2ELNS1_11target_archE906ELNS1_3gpuE6ELNS1_3repE0EEENS1_36merge_oddeven_config_static_selectorELNS0_4arch9wavefront6targetE1EEEvSL_
; %bb.0:
	.section	.rodata,"a",@progbits
	.p2align	6, 0x0
	.amdhsa_kernel _ZN7rocprim17ROCPRIM_400000_NS6detail17trampoline_kernelINS0_14default_configENS1_38merge_sort_block_merge_config_selectorIjNS0_10empty_typeEEEZZNS1_27merge_sort_block_merge_implIS3_N6thrust23THRUST_200600_302600_NS6detail15normal_iteratorINS9_10device_ptrIjEEEEPS5_jNS1_19radix_merge_compareILb0ELb1EjNS0_19identity_decomposerEEEEE10hipError_tT0_T1_T2_jT3_P12ihipStream_tbPNSt15iterator_traitsISK_E10value_typeEPNSQ_ISL_E10value_typeEPSM_NS1_7vsmem_tEENKUlT_SK_SL_SM_E_clIPjSE_SF_SF_EESJ_SZ_SK_SL_SM_EUlSZ_E1_NS1_11comp_targetILNS1_3genE2ELNS1_11target_archE906ELNS1_3gpuE6ELNS1_3repE0EEENS1_36merge_oddeven_config_static_selectorELNS0_4arch9wavefront6targetE1EEEvSL_
		.amdhsa_group_segment_fixed_size 0
		.amdhsa_private_segment_fixed_size 0
		.amdhsa_kernarg_size 48
		.amdhsa_user_sgpr_count 6
		.amdhsa_user_sgpr_private_segment_buffer 1
		.amdhsa_user_sgpr_dispatch_ptr 0
		.amdhsa_user_sgpr_queue_ptr 0
		.amdhsa_user_sgpr_kernarg_segment_ptr 1
		.amdhsa_user_sgpr_dispatch_id 0
		.amdhsa_user_sgpr_flat_scratch_init 0
		.amdhsa_user_sgpr_kernarg_preload_length 0
		.amdhsa_user_sgpr_kernarg_preload_offset 0
		.amdhsa_user_sgpr_private_segment_size 0
		.amdhsa_uses_dynamic_stack 0
		.amdhsa_system_sgpr_private_segment_wavefront_offset 0
		.amdhsa_system_sgpr_workgroup_id_x 1
		.amdhsa_system_sgpr_workgroup_id_y 0
		.amdhsa_system_sgpr_workgroup_id_z 0
		.amdhsa_system_sgpr_workgroup_info 0
		.amdhsa_system_vgpr_workitem_id 0
		.amdhsa_next_free_vgpr 1
		.amdhsa_next_free_sgpr 0
		.amdhsa_accum_offset 4
		.amdhsa_reserve_vcc 0
		.amdhsa_reserve_flat_scratch 0
		.amdhsa_float_round_mode_32 0
		.amdhsa_float_round_mode_16_64 0
		.amdhsa_float_denorm_mode_32 3
		.amdhsa_float_denorm_mode_16_64 3
		.amdhsa_dx10_clamp 1
		.amdhsa_ieee_mode 1
		.amdhsa_fp16_overflow 0
		.amdhsa_tg_split 0
		.amdhsa_exception_fp_ieee_invalid_op 0
		.amdhsa_exception_fp_denorm_src 0
		.amdhsa_exception_fp_ieee_div_zero 0
		.amdhsa_exception_fp_ieee_overflow 0
		.amdhsa_exception_fp_ieee_underflow 0
		.amdhsa_exception_fp_ieee_inexact 0
		.amdhsa_exception_int_div_zero 0
	.end_amdhsa_kernel
	.section	.text._ZN7rocprim17ROCPRIM_400000_NS6detail17trampoline_kernelINS0_14default_configENS1_38merge_sort_block_merge_config_selectorIjNS0_10empty_typeEEEZZNS1_27merge_sort_block_merge_implIS3_N6thrust23THRUST_200600_302600_NS6detail15normal_iteratorINS9_10device_ptrIjEEEEPS5_jNS1_19radix_merge_compareILb0ELb1EjNS0_19identity_decomposerEEEEE10hipError_tT0_T1_T2_jT3_P12ihipStream_tbPNSt15iterator_traitsISK_E10value_typeEPNSQ_ISL_E10value_typeEPSM_NS1_7vsmem_tEENKUlT_SK_SL_SM_E_clIPjSE_SF_SF_EESJ_SZ_SK_SL_SM_EUlSZ_E1_NS1_11comp_targetILNS1_3genE2ELNS1_11target_archE906ELNS1_3gpuE6ELNS1_3repE0EEENS1_36merge_oddeven_config_static_selectorELNS0_4arch9wavefront6targetE1EEEvSL_,"axG",@progbits,_ZN7rocprim17ROCPRIM_400000_NS6detail17trampoline_kernelINS0_14default_configENS1_38merge_sort_block_merge_config_selectorIjNS0_10empty_typeEEEZZNS1_27merge_sort_block_merge_implIS3_N6thrust23THRUST_200600_302600_NS6detail15normal_iteratorINS9_10device_ptrIjEEEEPS5_jNS1_19radix_merge_compareILb0ELb1EjNS0_19identity_decomposerEEEEE10hipError_tT0_T1_T2_jT3_P12ihipStream_tbPNSt15iterator_traitsISK_E10value_typeEPNSQ_ISL_E10value_typeEPSM_NS1_7vsmem_tEENKUlT_SK_SL_SM_E_clIPjSE_SF_SF_EESJ_SZ_SK_SL_SM_EUlSZ_E1_NS1_11comp_targetILNS1_3genE2ELNS1_11target_archE906ELNS1_3gpuE6ELNS1_3repE0EEENS1_36merge_oddeven_config_static_selectorELNS0_4arch9wavefront6targetE1EEEvSL_,comdat
.Lfunc_end1047:
	.size	_ZN7rocprim17ROCPRIM_400000_NS6detail17trampoline_kernelINS0_14default_configENS1_38merge_sort_block_merge_config_selectorIjNS0_10empty_typeEEEZZNS1_27merge_sort_block_merge_implIS3_N6thrust23THRUST_200600_302600_NS6detail15normal_iteratorINS9_10device_ptrIjEEEEPS5_jNS1_19radix_merge_compareILb0ELb1EjNS0_19identity_decomposerEEEEE10hipError_tT0_T1_T2_jT3_P12ihipStream_tbPNSt15iterator_traitsISK_E10value_typeEPNSQ_ISL_E10value_typeEPSM_NS1_7vsmem_tEENKUlT_SK_SL_SM_E_clIPjSE_SF_SF_EESJ_SZ_SK_SL_SM_EUlSZ_E1_NS1_11comp_targetILNS1_3genE2ELNS1_11target_archE906ELNS1_3gpuE6ELNS1_3repE0EEENS1_36merge_oddeven_config_static_selectorELNS0_4arch9wavefront6targetE1EEEvSL_, .Lfunc_end1047-_ZN7rocprim17ROCPRIM_400000_NS6detail17trampoline_kernelINS0_14default_configENS1_38merge_sort_block_merge_config_selectorIjNS0_10empty_typeEEEZZNS1_27merge_sort_block_merge_implIS3_N6thrust23THRUST_200600_302600_NS6detail15normal_iteratorINS9_10device_ptrIjEEEEPS5_jNS1_19radix_merge_compareILb0ELb1EjNS0_19identity_decomposerEEEEE10hipError_tT0_T1_T2_jT3_P12ihipStream_tbPNSt15iterator_traitsISK_E10value_typeEPNSQ_ISL_E10value_typeEPSM_NS1_7vsmem_tEENKUlT_SK_SL_SM_E_clIPjSE_SF_SF_EESJ_SZ_SK_SL_SM_EUlSZ_E1_NS1_11comp_targetILNS1_3genE2ELNS1_11target_archE906ELNS1_3gpuE6ELNS1_3repE0EEENS1_36merge_oddeven_config_static_selectorELNS0_4arch9wavefront6targetE1EEEvSL_
                                        ; -- End function
	.section	.AMDGPU.csdata,"",@progbits
; Kernel info:
; codeLenInByte = 0
; NumSgprs: 4
; NumVgprs: 0
; NumAgprs: 0
; TotalNumVgprs: 0
; ScratchSize: 0
; MemoryBound: 0
; FloatMode: 240
; IeeeMode: 1
; LDSByteSize: 0 bytes/workgroup (compile time only)
; SGPRBlocks: 0
; VGPRBlocks: 0
; NumSGPRsForWavesPerEU: 4
; NumVGPRsForWavesPerEU: 1
; AccumOffset: 4
; Occupancy: 8
; WaveLimiterHint : 0
; COMPUTE_PGM_RSRC2:SCRATCH_EN: 0
; COMPUTE_PGM_RSRC2:USER_SGPR: 6
; COMPUTE_PGM_RSRC2:TRAP_HANDLER: 0
; COMPUTE_PGM_RSRC2:TGID_X_EN: 1
; COMPUTE_PGM_RSRC2:TGID_Y_EN: 0
; COMPUTE_PGM_RSRC2:TGID_Z_EN: 0
; COMPUTE_PGM_RSRC2:TIDIG_COMP_CNT: 0
; COMPUTE_PGM_RSRC3_GFX90A:ACCUM_OFFSET: 0
; COMPUTE_PGM_RSRC3_GFX90A:TG_SPLIT: 0
	.section	.text._ZN7rocprim17ROCPRIM_400000_NS6detail17trampoline_kernelINS0_14default_configENS1_38merge_sort_block_merge_config_selectorIjNS0_10empty_typeEEEZZNS1_27merge_sort_block_merge_implIS3_N6thrust23THRUST_200600_302600_NS6detail15normal_iteratorINS9_10device_ptrIjEEEEPS5_jNS1_19radix_merge_compareILb0ELb1EjNS0_19identity_decomposerEEEEE10hipError_tT0_T1_T2_jT3_P12ihipStream_tbPNSt15iterator_traitsISK_E10value_typeEPNSQ_ISL_E10value_typeEPSM_NS1_7vsmem_tEENKUlT_SK_SL_SM_E_clIPjSE_SF_SF_EESJ_SZ_SK_SL_SM_EUlSZ_E1_NS1_11comp_targetILNS1_3genE9ELNS1_11target_archE1100ELNS1_3gpuE3ELNS1_3repE0EEENS1_36merge_oddeven_config_static_selectorELNS0_4arch9wavefront6targetE1EEEvSL_,"axG",@progbits,_ZN7rocprim17ROCPRIM_400000_NS6detail17trampoline_kernelINS0_14default_configENS1_38merge_sort_block_merge_config_selectorIjNS0_10empty_typeEEEZZNS1_27merge_sort_block_merge_implIS3_N6thrust23THRUST_200600_302600_NS6detail15normal_iteratorINS9_10device_ptrIjEEEEPS5_jNS1_19radix_merge_compareILb0ELb1EjNS0_19identity_decomposerEEEEE10hipError_tT0_T1_T2_jT3_P12ihipStream_tbPNSt15iterator_traitsISK_E10value_typeEPNSQ_ISL_E10value_typeEPSM_NS1_7vsmem_tEENKUlT_SK_SL_SM_E_clIPjSE_SF_SF_EESJ_SZ_SK_SL_SM_EUlSZ_E1_NS1_11comp_targetILNS1_3genE9ELNS1_11target_archE1100ELNS1_3gpuE3ELNS1_3repE0EEENS1_36merge_oddeven_config_static_selectorELNS0_4arch9wavefront6targetE1EEEvSL_,comdat
	.protected	_ZN7rocprim17ROCPRIM_400000_NS6detail17trampoline_kernelINS0_14default_configENS1_38merge_sort_block_merge_config_selectorIjNS0_10empty_typeEEEZZNS1_27merge_sort_block_merge_implIS3_N6thrust23THRUST_200600_302600_NS6detail15normal_iteratorINS9_10device_ptrIjEEEEPS5_jNS1_19radix_merge_compareILb0ELb1EjNS0_19identity_decomposerEEEEE10hipError_tT0_T1_T2_jT3_P12ihipStream_tbPNSt15iterator_traitsISK_E10value_typeEPNSQ_ISL_E10value_typeEPSM_NS1_7vsmem_tEENKUlT_SK_SL_SM_E_clIPjSE_SF_SF_EESJ_SZ_SK_SL_SM_EUlSZ_E1_NS1_11comp_targetILNS1_3genE9ELNS1_11target_archE1100ELNS1_3gpuE3ELNS1_3repE0EEENS1_36merge_oddeven_config_static_selectorELNS0_4arch9wavefront6targetE1EEEvSL_ ; -- Begin function _ZN7rocprim17ROCPRIM_400000_NS6detail17trampoline_kernelINS0_14default_configENS1_38merge_sort_block_merge_config_selectorIjNS0_10empty_typeEEEZZNS1_27merge_sort_block_merge_implIS3_N6thrust23THRUST_200600_302600_NS6detail15normal_iteratorINS9_10device_ptrIjEEEEPS5_jNS1_19radix_merge_compareILb0ELb1EjNS0_19identity_decomposerEEEEE10hipError_tT0_T1_T2_jT3_P12ihipStream_tbPNSt15iterator_traitsISK_E10value_typeEPNSQ_ISL_E10value_typeEPSM_NS1_7vsmem_tEENKUlT_SK_SL_SM_E_clIPjSE_SF_SF_EESJ_SZ_SK_SL_SM_EUlSZ_E1_NS1_11comp_targetILNS1_3genE9ELNS1_11target_archE1100ELNS1_3gpuE3ELNS1_3repE0EEENS1_36merge_oddeven_config_static_selectorELNS0_4arch9wavefront6targetE1EEEvSL_
	.globl	_ZN7rocprim17ROCPRIM_400000_NS6detail17trampoline_kernelINS0_14default_configENS1_38merge_sort_block_merge_config_selectorIjNS0_10empty_typeEEEZZNS1_27merge_sort_block_merge_implIS3_N6thrust23THRUST_200600_302600_NS6detail15normal_iteratorINS9_10device_ptrIjEEEEPS5_jNS1_19radix_merge_compareILb0ELb1EjNS0_19identity_decomposerEEEEE10hipError_tT0_T1_T2_jT3_P12ihipStream_tbPNSt15iterator_traitsISK_E10value_typeEPNSQ_ISL_E10value_typeEPSM_NS1_7vsmem_tEENKUlT_SK_SL_SM_E_clIPjSE_SF_SF_EESJ_SZ_SK_SL_SM_EUlSZ_E1_NS1_11comp_targetILNS1_3genE9ELNS1_11target_archE1100ELNS1_3gpuE3ELNS1_3repE0EEENS1_36merge_oddeven_config_static_selectorELNS0_4arch9wavefront6targetE1EEEvSL_
	.p2align	8
	.type	_ZN7rocprim17ROCPRIM_400000_NS6detail17trampoline_kernelINS0_14default_configENS1_38merge_sort_block_merge_config_selectorIjNS0_10empty_typeEEEZZNS1_27merge_sort_block_merge_implIS3_N6thrust23THRUST_200600_302600_NS6detail15normal_iteratorINS9_10device_ptrIjEEEEPS5_jNS1_19radix_merge_compareILb0ELb1EjNS0_19identity_decomposerEEEEE10hipError_tT0_T1_T2_jT3_P12ihipStream_tbPNSt15iterator_traitsISK_E10value_typeEPNSQ_ISL_E10value_typeEPSM_NS1_7vsmem_tEENKUlT_SK_SL_SM_E_clIPjSE_SF_SF_EESJ_SZ_SK_SL_SM_EUlSZ_E1_NS1_11comp_targetILNS1_3genE9ELNS1_11target_archE1100ELNS1_3gpuE3ELNS1_3repE0EEENS1_36merge_oddeven_config_static_selectorELNS0_4arch9wavefront6targetE1EEEvSL_,@function
_ZN7rocprim17ROCPRIM_400000_NS6detail17trampoline_kernelINS0_14default_configENS1_38merge_sort_block_merge_config_selectorIjNS0_10empty_typeEEEZZNS1_27merge_sort_block_merge_implIS3_N6thrust23THRUST_200600_302600_NS6detail15normal_iteratorINS9_10device_ptrIjEEEEPS5_jNS1_19radix_merge_compareILb0ELb1EjNS0_19identity_decomposerEEEEE10hipError_tT0_T1_T2_jT3_P12ihipStream_tbPNSt15iterator_traitsISK_E10value_typeEPNSQ_ISL_E10value_typeEPSM_NS1_7vsmem_tEENKUlT_SK_SL_SM_E_clIPjSE_SF_SF_EESJ_SZ_SK_SL_SM_EUlSZ_E1_NS1_11comp_targetILNS1_3genE9ELNS1_11target_archE1100ELNS1_3gpuE3ELNS1_3repE0EEENS1_36merge_oddeven_config_static_selectorELNS0_4arch9wavefront6targetE1EEEvSL_: ; @_ZN7rocprim17ROCPRIM_400000_NS6detail17trampoline_kernelINS0_14default_configENS1_38merge_sort_block_merge_config_selectorIjNS0_10empty_typeEEEZZNS1_27merge_sort_block_merge_implIS3_N6thrust23THRUST_200600_302600_NS6detail15normal_iteratorINS9_10device_ptrIjEEEEPS5_jNS1_19radix_merge_compareILb0ELb1EjNS0_19identity_decomposerEEEEE10hipError_tT0_T1_T2_jT3_P12ihipStream_tbPNSt15iterator_traitsISK_E10value_typeEPNSQ_ISL_E10value_typeEPSM_NS1_7vsmem_tEENKUlT_SK_SL_SM_E_clIPjSE_SF_SF_EESJ_SZ_SK_SL_SM_EUlSZ_E1_NS1_11comp_targetILNS1_3genE9ELNS1_11target_archE1100ELNS1_3gpuE3ELNS1_3repE0EEENS1_36merge_oddeven_config_static_selectorELNS0_4arch9wavefront6targetE1EEEvSL_
; %bb.0:
	.section	.rodata,"a",@progbits
	.p2align	6, 0x0
	.amdhsa_kernel _ZN7rocprim17ROCPRIM_400000_NS6detail17trampoline_kernelINS0_14default_configENS1_38merge_sort_block_merge_config_selectorIjNS0_10empty_typeEEEZZNS1_27merge_sort_block_merge_implIS3_N6thrust23THRUST_200600_302600_NS6detail15normal_iteratorINS9_10device_ptrIjEEEEPS5_jNS1_19radix_merge_compareILb0ELb1EjNS0_19identity_decomposerEEEEE10hipError_tT0_T1_T2_jT3_P12ihipStream_tbPNSt15iterator_traitsISK_E10value_typeEPNSQ_ISL_E10value_typeEPSM_NS1_7vsmem_tEENKUlT_SK_SL_SM_E_clIPjSE_SF_SF_EESJ_SZ_SK_SL_SM_EUlSZ_E1_NS1_11comp_targetILNS1_3genE9ELNS1_11target_archE1100ELNS1_3gpuE3ELNS1_3repE0EEENS1_36merge_oddeven_config_static_selectorELNS0_4arch9wavefront6targetE1EEEvSL_
		.amdhsa_group_segment_fixed_size 0
		.amdhsa_private_segment_fixed_size 0
		.amdhsa_kernarg_size 48
		.amdhsa_user_sgpr_count 6
		.amdhsa_user_sgpr_private_segment_buffer 1
		.amdhsa_user_sgpr_dispatch_ptr 0
		.amdhsa_user_sgpr_queue_ptr 0
		.amdhsa_user_sgpr_kernarg_segment_ptr 1
		.amdhsa_user_sgpr_dispatch_id 0
		.amdhsa_user_sgpr_flat_scratch_init 0
		.amdhsa_user_sgpr_kernarg_preload_length 0
		.amdhsa_user_sgpr_kernarg_preload_offset 0
		.amdhsa_user_sgpr_private_segment_size 0
		.amdhsa_uses_dynamic_stack 0
		.amdhsa_system_sgpr_private_segment_wavefront_offset 0
		.amdhsa_system_sgpr_workgroup_id_x 1
		.amdhsa_system_sgpr_workgroup_id_y 0
		.amdhsa_system_sgpr_workgroup_id_z 0
		.amdhsa_system_sgpr_workgroup_info 0
		.amdhsa_system_vgpr_workitem_id 0
		.amdhsa_next_free_vgpr 1
		.amdhsa_next_free_sgpr 0
		.amdhsa_accum_offset 4
		.amdhsa_reserve_vcc 0
		.amdhsa_reserve_flat_scratch 0
		.amdhsa_float_round_mode_32 0
		.amdhsa_float_round_mode_16_64 0
		.amdhsa_float_denorm_mode_32 3
		.amdhsa_float_denorm_mode_16_64 3
		.amdhsa_dx10_clamp 1
		.amdhsa_ieee_mode 1
		.amdhsa_fp16_overflow 0
		.amdhsa_tg_split 0
		.amdhsa_exception_fp_ieee_invalid_op 0
		.amdhsa_exception_fp_denorm_src 0
		.amdhsa_exception_fp_ieee_div_zero 0
		.amdhsa_exception_fp_ieee_overflow 0
		.amdhsa_exception_fp_ieee_underflow 0
		.amdhsa_exception_fp_ieee_inexact 0
		.amdhsa_exception_int_div_zero 0
	.end_amdhsa_kernel
	.section	.text._ZN7rocprim17ROCPRIM_400000_NS6detail17trampoline_kernelINS0_14default_configENS1_38merge_sort_block_merge_config_selectorIjNS0_10empty_typeEEEZZNS1_27merge_sort_block_merge_implIS3_N6thrust23THRUST_200600_302600_NS6detail15normal_iteratorINS9_10device_ptrIjEEEEPS5_jNS1_19radix_merge_compareILb0ELb1EjNS0_19identity_decomposerEEEEE10hipError_tT0_T1_T2_jT3_P12ihipStream_tbPNSt15iterator_traitsISK_E10value_typeEPNSQ_ISL_E10value_typeEPSM_NS1_7vsmem_tEENKUlT_SK_SL_SM_E_clIPjSE_SF_SF_EESJ_SZ_SK_SL_SM_EUlSZ_E1_NS1_11comp_targetILNS1_3genE9ELNS1_11target_archE1100ELNS1_3gpuE3ELNS1_3repE0EEENS1_36merge_oddeven_config_static_selectorELNS0_4arch9wavefront6targetE1EEEvSL_,"axG",@progbits,_ZN7rocprim17ROCPRIM_400000_NS6detail17trampoline_kernelINS0_14default_configENS1_38merge_sort_block_merge_config_selectorIjNS0_10empty_typeEEEZZNS1_27merge_sort_block_merge_implIS3_N6thrust23THRUST_200600_302600_NS6detail15normal_iteratorINS9_10device_ptrIjEEEEPS5_jNS1_19radix_merge_compareILb0ELb1EjNS0_19identity_decomposerEEEEE10hipError_tT0_T1_T2_jT3_P12ihipStream_tbPNSt15iterator_traitsISK_E10value_typeEPNSQ_ISL_E10value_typeEPSM_NS1_7vsmem_tEENKUlT_SK_SL_SM_E_clIPjSE_SF_SF_EESJ_SZ_SK_SL_SM_EUlSZ_E1_NS1_11comp_targetILNS1_3genE9ELNS1_11target_archE1100ELNS1_3gpuE3ELNS1_3repE0EEENS1_36merge_oddeven_config_static_selectorELNS0_4arch9wavefront6targetE1EEEvSL_,comdat
.Lfunc_end1048:
	.size	_ZN7rocprim17ROCPRIM_400000_NS6detail17trampoline_kernelINS0_14default_configENS1_38merge_sort_block_merge_config_selectorIjNS0_10empty_typeEEEZZNS1_27merge_sort_block_merge_implIS3_N6thrust23THRUST_200600_302600_NS6detail15normal_iteratorINS9_10device_ptrIjEEEEPS5_jNS1_19radix_merge_compareILb0ELb1EjNS0_19identity_decomposerEEEEE10hipError_tT0_T1_T2_jT3_P12ihipStream_tbPNSt15iterator_traitsISK_E10value_typeEPNSQ_ISL_E10value_typeEPSM_NS1_7vsmem_tEENKUlT_SK_SL_SM_E_clIPjSE_SF_SF_EESJ_SZ_SK_SL_SM_EUlSZ_E1_NS1_11comp_targetILNS1_3genE9ELNS1_11target_archE1100ELNS1_3gpuE3ELNS1_3repE0EEENS1_36merge_oddeven_config_static_selectorELNS0_4arch9wavefront6targetE1EEEvSL_, .Lfunc_end1048-_ZN7rocprim17ROCPRIM_400000_NS6detail17trampoline_kernelINS0_14default_configENS1_38merge_sort_block_merge_config_selectorIjNS0_10empty_typeEEEZZNS1_27merge_sort_block_merge_implIS3_N6thrust23THRUST_200600_302600_NS6detail15normal_iteratorINS9_10device_ptrIjEEEEPS5_jNS1_19radix_merge_compareILb0ELb1EjNS0_19identity_decomposerEEEEE10hipError_tT0_T1_T2_jT3_P12ihipStream_tbPNSt15iterator_traitsISK_E10value_typeEPNSQ_ISL_E10value_typeEPSM_NS1_7vsmem_tEENKUlT_SK_SL_SM_E_clIPjSE_SF_SF_EESJ_SZ_SK_SL_SM_EUlSZ_E1_NS1_11comp_targetILNS1_3genE9ELNS1_11target_archE1100ELNS1_3gpuE3ELNS1_3repE0EEENS1_36merge_oddeven_config_static_selectorELNS0_4arch9wavefront6targetE1EEEvSL_
                                        ; -- End function
	.section	.AMDGPU.csdata,"",@progbits
; Kernel info:
; codeLenInByte = 0
; NumSgprs: 4
; NumVgprs: 0
; NumAgprs: 0
; TotalNumVgprs: 0
; ScratchSize: 0
; MemoryBound: 0
; FloatMode: 240
; IeeeMode: 1
; LDSByteSize: 0 bytes/workgroup (compile time only)
; SGPRBlocks: 0
; VGPRBlocks: 0
; NumSGPRsForWavesPerEU: 4
; NumVGPRsForWavesPerEU: 1
; AccumOffset: 4
; Occupancy: 8
; WaveLimiterHint : 0
; COMPUTE_PGM_RSRC2:SCRATCH_EN: 0
; COMPUTE_PGM_RSRC2:USER_SGPR: 6
; COMPUTE_PGM_RSRC2:TRAP_HANDLER: 0
; COMPUTE_PGM_RSRC2:TGID_X_EN: 1
; COMPUTE_PGM_RSRC2:TGID_Y_EN: 0
; COMPUTE_PGM_RSRC2:TGID_Z_EN: 0
; COMPUTE_PGM_RSRC2:TIDIG_COMP_CNT: 0
; COMPUTE_PGM_RSRC3_GFX90A:ACCUM_OFFSET: 0
; COMPUTE_PGM_RSRC3_GFX90A:TG_SPLIT: 0
	.section	.text._ZN7rocprim17ROCPRIM_400000_NS6detail17trampoline_kernelINS0_14default_configENS1_38merge_sort_block_merge_config_selectorIjNS0_10empty_typeEEEZZNS1_27merge_sort_block_merge_implIS3_N6thrust23THRUST_200600_302600_NS6detail15normal_iteratorINS9_10device_ptrIjEEEEPS5_jNS1_19radix_merge_compareILb0ELb1EjNS0_19identity_decomposerEEEEE10hipError_tT0_T1_T2_jT3_P12ihipStream_tbPNSt15iterator_traitsISK_E10value_typeEPNSQ_ISL_E10value_typeEPSM_NS1_7vsmem_tEENKUlT_SK_SL_SM_E_clIPjSE_SF_SF_EESJ_SZ_SK_SL_SM_EUlSZ_E1_NS1_11comp_targetILNS1_3genE8ELNS1_11target_archE1030ELNS1_3gpuE2ELNS1_3repE0EEENS1_36merge_oddeven_config_static_selectorELNS0_4arch9wavefront6targetE1EEEvSL_,"axG",@progbits,_ZN7rocprim17ROCPRIM_400000_NS6detail17trampoline_kernelINS0_14default_configENS1_38merge_sort_block_merge_config_selectorIjNS0_10empty_typeEEEZZNS1_27merge_sort_block_merge_implIS3_N6thrust23THRUST_200600_302600_NS6detail15normal_iteratorINS9_10device_ptrIjEEEEPS5_jNS1_19radix_merge_compareILb0ELb1EjNS0_19identity_decomposerEEEEE10hipError_tT0_T1_T2_jT3_P12ihipStream_tbPNSt15iterator_traitsISK_E10value_typeEPNSQ_ISL_E10value_typeEPSM_NS1_7vsmem_tEENKUlT_SK_SL_SM_E_clIPjSE_SF_SF_EESJ_SZ_SK_SL_SM_EUlSZ_E1_NS1_11comp_targetILNS1_3genE8ELNS1_11target_archE1030ELNS1_3gpuE2ELNS1_3repE0EEENS1_36merge_oddeven_config_static_selectorELNS0_4arch9wavefront6targetE1EEEvSL_,comdat
	.protected	_ZN7rocprim17ROCPRIM_400000_NS6detail17trampoline_kernelINS0_14default_configENS1_38merge_sort_block_merge_config_selectorIjNS0_10empty_typeEEEZZNS1_27merge_sort_block_merge_implIS3_N6thrust23THRUST_200600_302600_NS6detail15normal_iteratorINS9_10device_ptrIjEEEEPS5_jNS1_19radix_merge_compareILb0ELb1EjNS0_19identity_decomposerEEEEE10hipError_tT0_T1_T2_jT3_P12ihipStream_tbPNSt15iterator_traitsISK_E10value_typeEPNSQ_ISL_E10value_typeEPSM_NS1_7vsmem_tEENKUlT_SK_SL_SM_E_clIPjSE_SF_SF_EESJ_SZ_SK_SL_SM_EUlSZ_E1_NS1_11comp_targetILNS1_3genE8ELNS1_11target_archE1030ELNS1_3gpuE2ELNS1_3repE0EEENS1_36merge_oddeven_config_static_selectorELNS0_4arch9wavefront6targetE1EEEvSL_ ; -- Begin function _ZN7rocprim17ROCPRIM_400000_NS6detail17trampoline_kernelINS0_14default_configENS1_38merge_sort_block_merge_config_selectorIjNS0_10empty_typeEEEZZNS1_27merge_sort_block_merge_implIS3_N6thrust23THRUST_200600_302600_NS6detail15normal_iteratorINS9_10device_ptrIjEEEEPS5_jNS1_19radix_merge_compareILb0ELb1EjNS0_19identity_decomposerEEEEE10hipError_tT0_T1_T2_jT3_P12ihipStream_tbPNSt15iterator_traitsISK_E10value_typeEPNSQ_ISL_E10value_typeEPSM_NS1_7vsmem_tEENKUlT_SK_SL_SM_E_clIPjSE_SF_SF_EESJ_SZ_SK_SL_SM_EUlSZ_E1_NS1_11comp_targetILNS1_3genE8ELNS1_11target_archE1030ELNS1_3gpuE2ELNS1_3repE0EEENS1_36merge_oddeven_config_static_selectorELNS0_4arch9wavefront6targetE1EEEvSL_
	.globl	_ZN7rocprim17ROCPRIM_400000_NS6detail17trampoline_kernelINS0_14default_configENS1_38merge_sort_block_merge_config_selectorIjNS0_10empty_typeEEEZZNS1_27merge_sort_block_merge_implIS3_N6thrust23THRUST_200600_302600_NS6detail15normal_iteratorINS9_10device_ptrIjEEEEPS5_jNS1_19radix_merge_compareILb0ELb1EjNS0_19identity_decomposerEEEEE10hipError_tT0_T1_T2_jT3_P12ihipStream_tbPNSt15iterator_traitsISK_E10value_typeEPNSQ_ISL_E10value_typeEPSM_NS1_7vsmem_tEENKUlT_SK_SL_SM_E_clIPjSE_SF_SF_EESJ_SZ_SK_SL_SM_EUlSZ_E1_NS1_11comp_targetILNS1_3genE8ELNS1_11target_archE1030ELNS1_3gpuE2ELNS1_3repE0EEENS1_36merge_oddeven_config_static_selectorELNS0_4arch9wavefront6targetE1EEEvSL_
	.p2align	8
	.type	_ZN7rocprim17ROCPRIM_400000_NS6detail17trampoline_kernelINS0_14default_configENS1_38merge_sort_block_merge_config_selectorIjNS0_10empty_typeEEEZZNS1_27merge_sort_block_merge_implIS3_N6thrust23THRUST_200600_302600_NS6detail15normal_iteratorINS9_10device_ptrIjEEEEPS5_jNS1_19radix_merge_compareILb0ELb1EjNS0_19identity_decomposerEEEEE10hipError_tT0_T1_T2_jT3_P12ihipStream_tbPNSt15iterator_traitsISK_E10value_typeEPNSQ_ISL_E10value_typeEPSM_NS1_7vsmem_tEENKUlT_SK_SL_SM_E_clIPjSE_SF_SF_EESJ_SZ_SK_SL_SM_EUlSZ_E1_NS1_11comp_targetILNS1_3genE8ELNS1_11target_archE1030ELNS1_3gpuE2ELNS1_3repE0EEENS1_36merge_oddeven_config_static_selectorELNS0_4arch9wavefront6targetE1EEEvSL_,@function
_ZN7rocprim17ROCPRIM_400000_NS6detail17trampoline_kernelINS0_14default_configENS1_38merge_sort_block_merge_config_selectorIjNS0_10empty_typeEEEZZNS1_27merge_sort_block_merge_implIS3_N6thrust23THRUST_200600_302600_NS6detail15normal_iteratorINS9_10device_ptrIjEEEEPS5_jNS1_19radix_merge_compareILb0ELb1EjNS0_19identity_decomposerEEEEE10hipError_tT0_T1_T2_jT3_P12ihipStream_tbPNSt15iterator_traitsISK_E10value_typeEPNSQ_ISL_E10value_typeEPSM_NS1_7vsmem_tEENKUlT_SK_SL_SM_E_clIPjSE_SF_SF_EESJ_SZ_SK_SL_SM_EUlSZ_E1_NS1_11comp_targetILNS1_3genE8ELNS1_11target_archE1030ELNS1_3gpuE2ELNS1_3repE0EEENS1_36merge_oddeven_config_static_selectorELNS0_4arch9wavefront6targetE1EEEvSL_: ; @_ZN7rocprim17ROCPRIM_400000_NS6detail17trampoline_kernelINS0_14default_configENS1_38merge_sort_block_merge_config_selectorIjNS0_10empty_typeEEEZZNS1_27merge_sort_block_merge_implIS3_N6thrust23THRUST_200600_302600_NS6detail15normal_iteratorINS9_10device_ptrIjEEEEPS5_jNS1_19radix_merge_compareILb0ELb1EjNS0_19identity_decomposerEEEEE10hipError_tT0_T1_T2_jT3_P12ihipStream_tbPNSt15iterator_traitsISK_E10value_typeEPNSQ_ISL_E10value_typeEPSM_NS1_7vsmem_tEENKUlT_SK_SL_SM_E_clIPjSE_SF_SF_EESJ_SZ_SK_SL_SM_EUlSZ_E1_NS1_11comp_targetILNS1_3genE8ELNS1_11target_archE1030ELNS1_3gpuE2ELNS1_3repE0EEENS1_36merge_oddeven_config_static_selectorELNS0_4arch9wavefront6targetE1EEEvSL_
; %bb.0:
	.section	.rodata,"a",@progbits
	.p2align	6, 0x0
	.amdhsa_kernel _ZN7rocprim17ROCPRIM_400000_NS6detail17trampoline_kernelINS0_14default_configENS1_38merge_sort_block_merge_config_selectorIjNS0_10empty_typeEEEZZNS1_27merge_sort_block_merge_implIS3_N6thrust23THRUST_200600_302600_NS6detail15normal_iteratorINS9_10device_ptrIjEEEEPS5_jNS1_19radix_merge_compareILb0ELb1EjNS0_19identity_decomposerEEEEE10hipError_tT0_T1_T2_jT3_P12ihipStream_tbPNSt15iterator_traitsISK_E10value_typeEPNSQ_ISL_E10value_typeEPSM_NS1_7vsmem_tEENKUlT_SK_SL_SM_E_clIPjSE_SF_SF_EESJ_SZ_SK_SL_SM_EUlSZ_E1_NS1_11comp_targetILNS1_3genE8ELNS1_11target_archE1030ELNS1_3gpuE2ELNS1_3repE0EEENS1_36merge_oddeven_config_static_selectorELNS0_4arch9wavefront6targetE1EEEvSL_
		.amdhsa_group_segment_fixed_size 0
		.amdhsa_private_segment_fixed_size 0
		.amdhsa_kernarg_size 48
		.amdhsa_user_sgpr_count 6
		.amdhsa_user_sgpr_private_segment_buffer 1
		.amdhsa_user_sgpr_dispatch_ptr 0
		.amdhsa_user_sgpr_queue_ptr 0
		.amdhsa_user_sgpr_kernarg_segment_ptr 1
		.amdhsa_user_sgpr_dispatch_id 0
		.amdhsa_user_sgpr_flat_scratch_init 0
		.amdhsa_user_sgpr_kernarg_preload_length 0
		.amdhsa_user_sgpr_kernarg_preload_offset 0
		.amdhsa_user_sgpr_private_segment_size 0
		.amdhsa_uses_dynamic_stack 0
		.amdhsa_system_sgpr_private_segment_wavefront_offset 0
		.amdhsa_system_sgpr_workgroup_id_x 1
		.amdhsa_system_sgpr_workgroup_id_y 0
		.amdhsa_system_sgpr_workgroup_id_z 0
		.amdhsa_system_sgpr_workgroup_info 0
		.amdhsa_system_vgpr_workitem_id 0
		.amdhsa_next_free_vgpr 1
		.amdhsa_next_free_sgpr 0
		.amdhsa_accum_offset 4
		.amdhsa_reserve_vcc 0
		.amdhsa_reserve_flat_scratch 0
		.amdhsa_float_round_mode_32 0
		.amdhsa_float_round_mode_16_64 0
		.amdhsa_float_denorm_mode_32 3
		.amdhsa_float_denorm_mode_16_64 3
		.amdhsa_dx10_clamp 1
		.amdhsa_ieee_mode 1
		.amdhsa_fp16_overflow 0
		.amdhsa_tg_split 0
		.amdhsa_exception_fp_ieee_invalid_op 0
		.amdhsa_exception_fp_denorm_src 0
		.amdhsa_exception_fp_ieee_div_zero 0
		.amdhsa_exception_fp_ieee_overflow 0
		.amdhsa_exception_fp_ieee_underflow 0
		.amdhsa_exception_fp_ieee_inexact 0
		.amdhsa_exception_int_div_zero 0
	.end_amdhsa_kernel
	.section	.text._ZN7rocprim17ROCPRIM_400000_NS6detail17trampoline_kernelINS0_14default_configENS1_38merge_sort_block_merge_config_selectorIjNS0_10empty_typeEEEZZNS1_27merge_sort_block_merge_implIS3_N6thrust23THRUST_200600_302600_NS6detail15normal_iteratorINS9_10device_ptrIjEEEEPS5_jNS1_19radix_merge_compareILb0ELb1EjNS0_19identity_decomposerEEEEE10hipError_tT0_T1_T2_jT3_P12ihipStream_tbPNSt15iterator_traitsISK_E10value_typeEPNSQ_ISL_E10value_typeEPSM_NS1_7vsmem_tEENKUlT_SK_SL_SM_E_clIPjSE_SF_SF_EESJ_SZ_SK_SL_SM_EUlSZ_E1_NS1_11comp_targetILNS1_3genE8ELNS1_11target_archE1030ELNS1_3gpuE2ELNS1_3repE0EEENS1_36merge_oddeven_config_static_selectorELNS0_4arch9wavefront6targetE1EEEvSL_,"axG",@progbits,_ZN7rocprim17ROCPRIM_400000_NS6detail17trampoline_kernelINS0_14default_configENS1_38merge_sort_block_merge_config_selectorIjNS0_10empty_typeEEEZZNS1_27merge_sort_block_merge_implIS3_N6thrust23THRUST_200600_302600_NS6detail15normal_iteratorINS9_10device_ptrIjEEEEPS5_jNS1_19radix_merge_compareILb0ELb1EjNS0_19identity_decomposerEEEEE10hipError_tT0_T1_T2_jT3_P12ihipStream_tbPNSt15iterator_traitsISK_E10value_typeEPNSQ_ISL_E10value_typeEPSM_NS1_7vsmem_tEENKUlT_SK_SL_SM_E_clIPjSE_SF_SF_EESJ_SZ_SK_SL_SM_EUlSZ_E1_NS1_11comp_targetILNS1_3genE8ELNS1_11target_archE1030ELNS1_3gpuE2ELNS1_3repE0EEENS1_36merge_oddeven_config_static_selectorELNS0_4arch9wavefront6targetE1EEEvSL_,comdat
.Lfunc_end1049:
	.size	_ZN7rocprim17ROCPRIM_400000_NS6detail17trampoline_kernelINS0_14default_configENS1_38merge_sort_block_merge_config_selectorIjNS0_10empty_typeEEEZZNS1_27merge_sort_block_merge_implIS3_N6thrust23THRUST_200600_302600_NS6detail15normal_iteratorINS9_10device_ptrIjEEEEPS5_jNS1_19radix_merge_compareILb0ELb1EjNS0_19identity_decomposerEEEEE10hipError_tT0_T1_T2_jT3_P12ihipStream_tbPNSt15iterator_traitsISK_E10value_typeEPNSQ_ISL_E10value_typeEPSM_NS1_7vsmem_tEENKUlT_SK_SL_SM_E_clIPjSE_SF_SF_EESJ_SZ_SK_SL_SM_EUlSZ_E1_NS1_11comp_targetILNS1_3genE8ELNS1_11target_archE1030ELNS1_3gpuE2ELNS1_3repE0EEENS1_36merge_oddeven_config_static_selectorELNS0_4arch9wavefront6targetE1EEEvSL_, .Lfunc_end1049-_ZN7rocprim17ROCPRIM_400000_NS6detail17trampoline_kernelINS0_14default_configENS1_38merge_sort_block_merge_config_selectorIjNS0_10empty_typeEEEZZNS1_27merge_sort_block_merge_implIS3_N6thrust23THRUST_200600_302600_NS6detail15normal_iteratorINS9_10device_ptrIjEEEEPS5_jNS1_19radix_merge_compareILb0ELb1EjNS0_19identity_decomposerEEEEE10hipError_tT0_T1_T2_jT3_P12ihipStream_tbPNSt15iterator_traitsISK_E10value_typeEPNSQ_ISL_E10value_typeEPSM_NS1_7vsmem_tEENKUlT_SK_SL_SM_E_clIPjSE_SF_SF_EESJ_SZ_SK_SL_SM_EUlSZ_E1_NS1_11comp_targetILNS1_3genE8ELNS1_11target_archE1030ELNS1_3gpuE2ELNS1_3repE0EEENS1_36merge_oddeven_config_static_selectorELNS0_4arch9wavefront6targetE1EEEvSL_
                                        ; -- End function
	.section	.AMDGPU.csdata,"",@progbits
; Kernel info:
; codeLenInByte = 0
; NumSgprs: 4
; NumVgprs: 0
; NumAgprs: 0
; TotalNumVgprs: 0
; ScratchSize: 0
; MemoryBound: 0
; FloatMode: 240
; IeeeMode: 1
; LDSByteSize: 0 bytes/workgroup (compile time only)
; SGPRBlocks: 0
; VGPRBlocks: 0
; NumSGPRsForWavesPerEU: 4
; NumVGPRsForWavesPerEU: 1
; AccumOffset: 4
; Occupancy: 8
; WaveLimiterHint : 0
; COMPUTE_PGM_RSRC2:SCRATCH_EN: 0
; COMPUTE_PGM_RSRC2:USER_SGPR: 6
; COMPUTE_PGM_RSRC2:TRAP_HANDLER: 0
; COMPUTE_PGM_RSRC2:TGID_X_EN: 1
; COMPUTE_PGM_RSRC2:TGID_Y_EN: 0
; COMPUTE_PGM_RSRC2:TGID_Z_EN: 0
; COMPUTE_PGM_RSRC2:TIDIG_COMP_CNT: 0
; COMPUTE_PGM_RSRC3_GFX90A:ACCUM_OFFSET: 0
; COMPUTE_PGM_RSRC3_GFX90A:TG_SPLIT: 0
	.section	.text._ZN7rocprim17ROCPRIM_400000_NS6detail17trampoline_kernelINS0_14default_configENS1_38merge_sort_block_merge_config_selectorIjNS0_10empty_typeEEEZZNS1_27merge_sort_block_merge_implIS3_N6thrust23THRUST_200600_302600_NS6detail15normal_iteratorINS9_10device_ptrIjEEEEPS5_jNS1_19radix_merge_compareILb0ELb1EjNS0_19identity_decomposerEEEEE10hipError_tT0_T1_T2_jT3_P12ihipStream_tbPNSt15iterator_traitsISK_E10value_typeEPNSQ_ISL_E10value_typeEPSM_NS1_7vsmem_tEENKUlT_SK_SL_SM_E_clISE_PjSF_SF_EESJ_SZ_SK_SL_SM_EUlSZ_E_NS1_11comp_targetILNS1_3genE0ELNS1_11target_archE4294967295ELNS1_3gpuE0ELNS1_3repE0EEENS1_48merge_mergepath_partition_config_static_selectorELNS0_4arch9wavefront6targetE1EEEvSL_,"axG",@progbits,_ZN7rocprim17ROCPRIM_400000_NS6detail17trampoline_kernelINS0_14default_configENS1_38merge_sort_block_merge_config_selectorIjNS0_10empty_typeEEEZZNS1_27merge_sort_block_merge_implIS3_N6thrust23THRUST_200600_302600_NS6detail15normal_iteratorINS9_10device_ptrIjEEEEPS5_jNS1_19radix_merge_compareILb0ELb1EjNS0_19identity_decomposerEEEEE10hipError_tT0_T1_T2_jT3_P12ihipStream_tbPNSt15iterator_traitsISK_E10value_typeEPNSQ_ISL_E10value_typeEPSM_NS1_7vsmem_tEENKUlT_SK_SL_SM_E_clISE_PjSF_SF_EESJ_SZ_SK_SL_SM_EUlSZ_E_NS1_11comp_targetILNS1_3genE0ELNS1_11target_archE4294967295ELNS1_3gpuE0ELNS1_3repE0EEENS1_48merge_mergepath_partition_config_static_selectorELNS0_4arch9wavefront6targetE1EEEvSL_,comdat
	.protected	_ZN7rocprim17ROCPRIM_400000_NS6detail17trampoline_kernelINS0_14default_configENS1_38merge_sort_block_merge_config_selectorIjNS0_10empty_typeEEEZZNS1_27merge_sort_block_merge_implIS3_N6thrust23THRUST_200600_302600_NS6detail15normal_iteratorINS9_10device_ptrIjEEEEPS5_jNS1_19radix_merge_compareILb0ELb1EjNS0_19identity_decomposerEEEEE10hipError_tT0_T1_T2_jT3_P12ihipStream_tbPNSt15iterator_traitsISK_E10value_typeEPNSQ_ISL_E10value_typeEPSM_NS1_7vsmem_tEENKUlT_SK_SL_SM_E_clISE_PjSF_SF_EESJ_SZ_SK_SL_SM_EUlSZ_E_NS1_11comp_targetILNS1_3genE0ELNS1_11target_archE4294967295ELNS1_3gpuE0ELNS1_3repE0EEENS1_48merge_mergepath_partition_config_static_selectorELNS0_4arch9wavefront6targetE1EEEvSL_ ; -- Begin function _ZN7rocprim17ROCPRIM_400000_NS6detail17trampoline_kernelINS0_14default_configENS1_38merge_sort_block_merge_config_selectorIjNS0_10empty_typeEEEZZNS1_27merge_sort_block_merge_implIS3_N6thrust23THRUST_200600_302600_NS6detail15normal_iteratorINS9_10device_ptrIjEEEEPS5_jNS1_19radix_merge_compareILb0ELb1EjNS0_19identity_decomposerEEEEE10hipError_tT0_T1_T2_jT3_P12ihipStream_tbPNSt15iterator_traitsISK_E10value_typeEPNSQ_ISL_E10value_typeEPSM_NS1_7vsmem_tEENKUlT_SK_SL_SM_E_clISE_PjSF_SF_EESJ_SZ_SK_SL_SM_EUlSZ_E_NS1_11comp_targetILNS1_3genE0ELNS1_11target_archE4294967295ELNS1_3gpuE0ELNS1_3repE0EEENS1_48merge_mergepath_partition_config_static_selectorELNS0_4arch9wavefront6targetE1EEEvSL_
	.globl	_ZN7rocprim17ROCPRIM_400000_NS6detail17trampoline_kernelINS0_14default_configENS1_38merge_sort_block_merge_config_selectorIjNS0_10empty_typeEEEZZNS1_27merge_sort_block_merge_implIS3_N6thrust23THRUST_200600_302600_NS6detail15normal_iteratorINS9_10device_ptrIjEEEEPS5_jNS1_19radix_merge_compareILb0ELb1EjNS0_19identity_decomposerEEEEE10hipError_tT0_T1_T2_jT3_P12ihipStream_tbPNSt15iterator_traitsISK_E10value_typeEPNSQ_ISL_E10value_typeEPSM_NS1_7vsmem_tEENKUlT_SK_SL_SM_E_clISE_PjSF_SF_EESJ_SZ_SK_SL_SM_EUlSZ_E_NS1_11comp_targetILNS1_3genE0ELNS1_11target_archE4294967295ELNS1_3gpuE0ELNS1_3repE0EEENS1_48merge_mergepath_partition_config_static_selectorELNS0_4arch9wavefront6targetE1EEEvSL_
	.p2align	8
	.type	_ZN7rocprim17ROCPRIM_400000_NS6detail17trampoline_kernelINS0_14default_configENS1_38merge_sort_block_merge_config_selectorIjNS0_10empty_typeEEEZZNS1_27merge_sort_block_merge_implIS3_N6thrust23THRUST_200600_302600_NS6detail15normal_iteratorINS9_10device_ptrIjEEEEPS5_jNS1_19radix_merge_compareILb0ELb1EjNS0_19identity_decomposerEEEEE10hipError_tT0_T1_T2_jT3_P12ihipStream_tbPNSt15iterator_traitsISK_E10value_typeEPNSQ_ISL_E10value_typeEPSM_NS1_7vsmem_tEENKUlT_SK_SL_SM_E_clISE_PjSF_SF_EESJ_SZ_SK_SL_SM_EUlSZ_E_NS1_11comp_targetILNS1_3genE0ELNS1_11target_archE4294967295ELNS1_3gpuE0ELNS1_3repE0EEENS1_48merge_mergepath_partition_config_static_selectorELNS0_4arch9wavefront6targetE1EEEvSL_,@function
_ZN7rocprim17ROCPRIM_400000_NS6detail17trampoline_kernelINS0_14default_configENS1_38merge_sort_block_merge_config_selectorIjNS0_10empty_typeEEEZZNS1_27merge_sort_block_merge_implIS3_N6thrust23THRUST_200600_302600_NS6detail15normal_iteratorINS9_10device_ptrIjEEEEPS5_jNS1_19radix_merge_compareILb0ELb1EjNS0_19identity_decomposerEEEEE10hipError_tT0_T1_T2_jT3_P12ihipStream_tbPNSt15iterator_traitsISK_E10value_typeEPNSQ_ISL_E10value_typeEPSM_NS1_7vsmem_tEENKUlT_SK_SL_SM_E_clISE_PjSF_SF_EESJ_SZ_SK_SL_SM_EUlSZ_E_NS1_11comp_targetILNS1_3genE0ELNS1_11target_archE4294967295ELNS1_3gpuE0ELNS1_3repE0EEENS1_48merge_mergepath_partition_config_static_selectorELNS0_4arch9wavefront6targetE1EEEvSL_: ; @_ZN7rocprim17ROCPRIM_400000_NS6detail17trampoline_kernelINS0_14default_configENS1_38merge_sort_block_merge_config_selectorIjNS0_10empty_typeEEEZZNS1_27merge_sort_block_merge_implIS3_N6thrust23THRUST_200600_302600_NS6detail15normal_iteratorINS9_10device_ptrIjEEEEPS5_jNS1_19radix_merge_compareILb0ELb1EjNS0_19identity_decomposerEEEEE10hipError_tT0_T1_T2_jT3_P12ihipStream_tbPNSt15iterator_traitsISK_E10value_typeEPNSQ_ISL_E10value_typeEPSM_NS1_7vsmem_tEENKUlT_SK_SL_SM_E_clISE_PjSF_SF_EESJ_SZ_SK_SL_SM_EUlSZ_E_NS1_11comp_targetILNS1_3genE0ELNS1_11target_archE4294967295ELNS1_3gpuE0ELNS1_3repE0EEENS1_48merge_mergepath_partition_config_static_selectorELNS0_4arch9wavefront6targetE1EEEvSL_
; %bb.0:
	.section	.rodata,"a",@progbits
	.p2align	6, 0x0
	.amdhsa_kernel _ZN7rocprim17ROCPRIM_400000_NS6detail17trampoline_kernelINS0_14default_configENS1_38merge_sort_block_merge_config_selectorIjNS0_10empty_typeEEEZZNS1_27merge_sort_block_merge_implIS3_N6thrust23THRUST_200600_302600_NS6detail15normal_iteratorINS9_10device_ptrIjEEEEPS5_jNS1_19radix_merge_compareILb0ELb1EjNS0_19identity_decomposerEEEEE10hipError_tT0_T1_T2_jT3_P12ihipStream_tbPNSt15iterator_traitsISK_E10value_typeEPNSQ_ISL_E10value_typeEPSM_NS1_7vsmem_tEENKUlT_SK_SL_SM_E_clISE_PjSF_SF_EESJ_SZ_SK_SL_SM_EUlSZ_E_NS1_11comp_targetILNS1_3genE0ELNS1_11target_archE4294967295ELNS1_3gpuE0ELNS1_3repE0EEENS1_48merge_mergepath_partition_config_static_selectorELNS0_4arch9wavefront6targetE1EEEvSL_
		.amdhsa_group_segment_fixed_size 0
		.amdhsa_private_segment_fixed_size 0
		.amdhsa_kernarg_size 40
		.amdhsa_user_sgpr_count 6
		.amdhsa_user_sgpr_private_segment_buffer 1
		.amdhsa_user_sgpr_dispatch_ptr 0
		.amdhsa_user_sgpr_queue_ptr 0
		.amdhsa_user_sgpr_kernarg_segment_ptr 1
		.amdhsa_user_sgpr_dispatch_id 0
		.amdhsa_user_sgpr_flat_scratch_init 0
		.amdhsa_user_sgpr_kernarg_preload_length 0
		.amdhsa_user_sgpr_kernarg_preload_offset 0
		.amdhsa_user_sgpr_private_segment_size 0
		.amdhsa_uses_dynamic_stack 0
		.amdhsa_system_sgpr_private_segment_wavefront_offset 0
		.amdhsa_system_sgpr_workgroup_id_x 1
		.amdhsa_system_sgpr_workgroup_id_y 0
		.amdhsa_system_sgpr_workgroup_id_z 0
		.amdhsa_system_sgpr_workgroup_info 0
		.amdhsa_system_vgpr_workitem_id 0
		.amdhsa_next_free_vgpr 1
		.amdhsa_next_free_sgpr 0
		.amdhsa_accum_offset 4
		.amdhsa_reserve_vcc 0
		.amdhsa_reserve_flat_scratch 0
		.amdhsa_float_round_mode_32 0
		.amdhsa_float_round_mode_16_64 0
		.amdhsa_float_denorm_mode_32 3
		.amdhsa_float_denorm_mode_16_64 3
		.amdhsa_dx10_clamp 1
		.amdhsa_ieee_mode 1
		.amdhsa_fp16_overflow 0
		.amdhsa_tg_split 0
		.amdhsa_exception_fp_ieee_invalid_op 0
		.amdhsa_exception_fp_denorm_src 0
		.amdhsa_exception_fp_ieee_div_zero 0
		.amdhsa_exception_fp_ieee_overflow 0
		.amdhsa_exception_fp_ieee_underflow 0
		.amdhsa_exception_fp_ieee_inexact 0
		.amdhsa_exception_int_div_zero 0
	.end_amdhsa_kernel
	.section	.text._ZN7rocprim17ROCPRIM_400000_NS6detail17trampoline_kernelINS0_14default_configENS1_38merge_sort_block_merge_config_selectorIjNS0_10empty_typeEEEZZNS1_27merge_sort_block_merge_implIS3_N6thrust23THRUST_200600_302600_NS6detail15normal_iteratorINS9_10device_ptrIjEEEEPS5_jNS1_19radix_merge_compareILb0ELb1EjNS0_19identity_decomposerEEEEE10hipError_tT0_T1_T2_jT3_P12ihipStream_tbPNSt15iterator_traitsISK_E10value_typeEPNSQ_ISL_E10value_typeEPSM_NS1_7vsmem_tEENKUlT_SK_SL_SM_E_clISE_PjSF_SF_EESJ_SZ_SK_SL_SM_EUlSZ_E_NS1_11comp_targetILNS1_3genE0ELNS1_11target_archE4294967295ELNS1_3gpuE0ELNS1_3repE0EEENS1_48merge_mergepath_partition_config_static_selectorELNS0_4arch9wavefront6targetE1EEEvSL_,"axG",@progbits,_ZN7rocprim17ROCPRIM_400000_NS6detail17trampoline_kernelINS0_14default_configENS1_38merge_sort_block_merge_config_selectorIjNS0_10empty_typeEEEZZNS1_27merge_sort_block_merge_implIS3_N6thrust23THRUST_200600_302600_NS6detail15normal_iteratorINS9_10device_ptrIjEEEEPS5_jNS1_19radix_merge_compareILb0ELb1EjNS0_19identity_decomposerEEEEE10hipError_tT0_T1_T2_jT3_P12ihipStream_tbPNSt15iterator_traitsISK_E10value_typeEPNSQ_ISL_E10value_typeEPSM_NS1_7vsmem_tEENKUlT_SK_SL_SM_E_clISE_PjSF_SF_EESJ_SZ_SK_SL_SM_EUlSZ_E_NS1_11comp_targetILNS1_3genE0ELNS1_11target_archE4294967295ELNS1_3gpuE0ELNS1_3repE0EEENS1_48merge_mergepath_partition_config_static_selectorELNS0_4arch9wavefront6targetE1EEEvSL_,comdat
.Lfunc_end1050:
	.size	_ZN7rocprim17ROCPRIM_400000_NS6detail17trampoline_kernelINS0_14default_configENS1_38merge_sort_block_merge_config_selectorIjNS0_10empty_typeEEEZZNS1_27merge_sort_block_merge_implIS3_N6thrust23THRUST_200600_302600_NS6detail15normal_iteratorINS9_10device_ptrIjEEEEPS5_jNS1_19radix_merge_compareILb0ELb1EjNS0_19identity_decomposerEEEEE10hipError_tT0_T1_T2_jT3_P12ihipStream_tbPNSt15iterator_traitsISK_E10value_typeEPNSQ_ISL_E10value_typeEPSM_NS1_7vsmem_tEENKUlT_SK_SL_SM_E_clISE_PjSF_SF_EESJ_SZ_SK_SL_SM_EUlSZ_E_NS1_11comp_targetILNS1_3genE0ELNS1_11target_archE4294967295ELNS1_3gpuE0ELNS1_3repE0EEENS1_48merge_mergepath_partition_config_static_selectorELNS0_4arch9wavefront6targetE1EEEvSL_, .Lfunc_end1050-_ZN7rocprim17ROCPRIM_400000_NS6detail17trampoline_kernelINS0_14default_configENS1_38merge_sort_block_merge_config_selectorIjNS0_10empty_typeEEEZZNS1_27merge_sort_block_merge_implIS3_N6thrust23THRUST_200600_302600_NS6detail15normal_iteratorINS9_10device_ptrIjEEEEPS5_jNS1_19radix_merge_compareILb0ELb1EjNS0_19identity_decomposerEEEEE10hipError_tT0_T1_T2_jT3_P12ihipStream_tbPNSt15iterator_traitsISK_E10value_typeEPNSQ_ISL_E10value_typeEPSM_NS1_7vsmem_tEENKUlT_SK_SL_SM_E_clISE_PjSF_SF_EESJ_SZ_SK_SL_SM_EUlSZ_E_NS1_11comp_targetILNS1_3genE0ELNS1_11target_archE4294967295ELNS1_3gpuE0ELNS1_3repE0EEENS1_48merge_mergepath_partition_config_static_selectorELNS0_4arch9wavefront6targetE1EEEvSL_
                                        ; -- End function
	.section	.AMDGPU.csdata,"",@progbits
; Kernel info:
; codeLenInByte = 0
; NumSgprs: 4
; NumVgprs: 0
; NumAgprs: 0
; TotalNumVgprs: 0
; ScratchSize: 0
; MemoryBound: 0
; FloatMode: 240
; IeeeMode: 1
; LDSByteSize: 0 bytes/workgroup (compile time only)
; SGPRBlocks: 0
; VGPRBlocks: 0
; NumSGPRsForWavesPerEU: 4
; NumVGPRsForWavesPerEU: 1
; AccumOffset: 4
; Occupancy: 8
; WaveLimiterHint : 0
; COMPUTE_PGM_RSRC2:SCRATCH_EN: 0
; COMPUTE_PGM_RSRC2:USER_SGPR: 6
; COMPUTE_PGM_RSRC2:TRAP_HANDLER: 0
; COMPUTE_PGM_RSRC2:TGID_X_EN: 1
; COMPUTE_PGM_RSRC2:TGID_Y_EN: 0
; COMPUTE_PGM_RSRC2:TGID_Z_EN: 0
; COMPUTE_PGM_RSRC2:TIDIG_COMP_CNT: 0
; COMPUTE_PGM_RSRC3_GFX90A:ACCUM_OFFSET: 0
; COMPUTE_PGM_RSRC3_GFX90A:TG_SPLIT: 0
	.section	.text._ZN7rocprim17ROCPRIM_400000_NS6detail17trampoline_kernelINS0_14default_configENS1_38merge_sort_block_merge_config_selectorIjNS0_10empty_typeEEEZZNS1_27merge_sort_block_merge_implIS3_N6thrust23THRUST_200600_302600_NS6detail15normal_iteratorINS9_10device_ptrIjEEEEPS5_jNS1_19radix_merge_compareILb0ELb1EjNS0_19identity_decomposerEEEEE10hipError_tT0_T1_T2_jT3_P12ihipStream_tbPNSt15iterator_traitsISK_E10value_typeEPNSQ_ISL_E10value_typeEPSM_NS1_7vsmem_tEENKUlT_SK_SL_SM_E_clISE_PjSF_SF_EESJ_SZ_SK_SL_SM_EUlSZ_E_NS1_11comp_targetILNS1_3genE10ELNS1_11target_archE1201ELNS1_3gpuE5ELNS1_3repE0EEENS1_48merge_mergepath_partition_config_static_selectorELNS0_4arch9wavefront6targetE1EEEvSL_,"axG",@progbits,_ZN7rocprim17ROCPRIM_400000_NS6detail17trampoline_kernelINS0_14default_configENS1_38merge_sort_block_merge_config_selectorIjNS0_10empty_typeEEEZZNS1_27merge_sort_block_merge_implIS3_N6thrust23THRUST_200600_302600_NS6detail15normal_iteratorINS9_10device_ptrIjEEEEPS5_jNS1_19radix_merge_compareILb0ELb1EjNS0_19identity_decomposerEEEEE10hipError_tT0_T1_T2_jT3_P12ihipStream_tbPNSt15iterator_traitsISK_E10value_typeEPNSQ_ISL_E10value_typeEPSM_NS1_7vsmem_tEENKUlT_SK_SL_SM_E_clISE_PjSF_SF_EESJ_SZ_SK_SL_SM_EUlSZ_E_NS1_11comp_targetILNS1_3genE10ELNS1_11target_archE1201ELNS1_3gpuE5ELNS1_3repE0EEENS1_48merge_mergepath_partition_config_static_selectorELNS0_4arch9wavefront6targetE1EEEvSL_,comdat
	.protected	_ZN7rocprim17ROCPRIM_400000_NS6detail17trampoline_kernelINS0_14default_configENS1_38merge_sort_block_merge_config_selectorIjNS0_10empty_typeEEEZZNS1_27merge_sort_block_merge_implIS3_N6thrust23THRUST_200600_302600_NS6detail15normal_iteratorINS9_10device_ptrIjEEEEPS5_jNS1_19radix_merge_compareILb0ELb1EjNS0_19identity_decomposerEEEEE10hipError_tT0_T1_T2_jT3_P12ihipStream_tbPNSt15iterator_traitsISK_E10value_typeEPNSQ_ISL_E10value_typeEPSM_NS1_7vsmem_tEENKUlT_SK_SL_SM_E_clISE_PjSF_SF_EESJ_SZ_SK_SL_SM_EUlSZ_E_NS1_11comp_targetILNS1_3genE10ELNS1_11target_archE1201ELNS1_3gpuE5ELNS1_3repE0EEENS1_48merge_mergepath_partition_config_static_selectorELNS0_4arch9wavefront6targetE1EEEvSL_ ; -- Begin function _ZN7rocprim17ROCPRIM_400000_NS6detail17trampoline_kernelINS0_14default_configENS1_38merge_sort_block_merge_config_selectorIjNS0_10empty_typeEEEZZNS1_27merge_sort_block_merge_implIS3_N6thrust23THRUST_200600_302600_NS6detail15normal_iteratorINS9_10device_ptrIjEEEEPS5_jNS1_19radix_merge_compareILb0ELb1EjNS0_19identity_decomposerEEEEE10hipError_tT0_T1_T2_jT3_P12ihipStream_tbPNSt15iterator_traitsISK_E10value_typeEPNSQ_ISL_E10value_typeEPSM_NS1_7vsmem_tEENKUlT_SK_SL_SM_E_clISE_PjSF_SF_EESJ_SZ_SK_SL_SM_EUlSZ_E_NS1_11comp_targetILNS1_3genE10ELNS1_11target_archE1201ELNS1_3gpuE5ELNS1_3repE0EEENS1_48merge_mergepath_partition_config_static_selectorELNS0_4arch9wavefront6targetE1EEEvSL_
	.globl	_ZN7rocprim17ROCPRIM_400000_NS6detail17trampoline_kernelINS0_14default_configENS1_38merge_sort_block_merge_config_selectorIjNS0_10empty_typeEEEZZNS1_27merge_sort_block_merge_implIS3_N6thrust23THRUST_200600_302600_NS6detail15normal_iteratorINS9_10device_ptrIjEEEEPS5_jNS1_19radix_merge_compareILb0ELb1EjNS0_19identity_decomposerEEEEE10hipError_tT0_T1_T2_jT3_P12ihipStream_tbPNSt15iterator_traitsISK_E10value_typeEPNSQ_ISL_E10value_typeEPSM_NS1_7vsmem_tEENKUlT_SK_SL_SM_E_clISE_PjSF_SF_EESJ_SZ_SK_SL_SM_EUlSZ_E_NS1_11comp_targetILNS1_3genE10ELNS1_11target_archE1201ELNS1_3gpuE5ELNS1_3repE0EEENS1_48merge_mergepath_partition_config_static_selectorELNS0_4arch9wavefront6targetE1EEEvSL_
	.p2align	8
	.type	_ZN7rocprim17ROCPRIM_400000_NS6detail17trampoline_kernelINS0_14default_configENS1_38merge_sort_block_merge_config_selectorIjNS0_10empty_typeEEEZZNS1_27merge_sort_block_merge_implIS3_N6thrust23THRUST_200600_302600_NS6detail15normal_iteratorINS9_10device_ptrIjEEEEPS5_jNS1_19radix_merge_compareILb0ELb1EjNS0_19identity_decomposerEEEEE10hipError_tT0_T1_T2_jT3_P12ihipStream_tbPNSt15iterator_traitsISK_E10value_typeEPNSQ_ISL_E10value_typeEPSM_NS1_7vsmem_tEENKUlT_SK_SL_SM_E_clISE_PjSF_SF_EESJ_SZ_SK_SL_SM_EUlSZ_E_NS1_11comp_targetILNS1_3genE10ELNS1_11target_archE1201ELNS1_3gpuE5ELNS1_3repE0EEENS1_48merge_mergepath_partition_config_static_selectorELNS0_4arch9wavefront6targetE1EEEvSL_,@function
_ZN7rocprim17ROCPRIM_400000_NS6detail17trampoline_kernelINS0_14default_configENS1_38merge_sort_block_merge_config_selectorIjNS0_10empty_typeEEEZZNS1_27merge_sort_block_merge_implIS3_N6thrust23THRUST_200600_302600_NS6detail15normal_iteratorINS9_10device_ptrIjEEEEPS5_jNS1_19radix_merge_compareILb0ELb1EjNS0_19identity_decomposerEEEEE10hipError_tT0_T1_T2_jT3_P12ihipStream_tbPNSt15iterator_traitsISK_E10value_typeEPNSQ_ISL_E10value_typeEPSM_NS1_7vsmem_tEENKUlT_SK_SL_SM_E_clISE_PjSF_SF_EESJ_SZ_SK_SL_SM_EUlSZ_E_NS1_11comp_targetILNS1_3genE10ELNS1_11target_archE1201ELNS1_3gpuE5ELNS1_3repE0EEENS1_48merge_mergepath_partition_config_static_selectorELNS0_4arch9wavefront6targetE1EEEvSL_: ; @_ZN7rocprim17ROCPRIM_400000_NS6detail17trampoline_kernelINS0_14default_configENS1_38merge_sort_block_merge_config_selectorIjNS0_10empty_typeEEEZZNS1_27merge_sort_block_merge_implIS3_N6thrust23THRUST_200600_302600_NS6detail15normal_iteratorINS9_10device_ptrIjEEEEPS5_jNS1_19radix_merge_compareILb0ELb1EjNS0_19identity_decomposerEEEEE10hipError_tT0_T1_T2_jT3_P12ihipStream_tbPNSt15iterator_traitsISK_E10value_typeEPNSQ_ISL_E10value_typeEPSM_NS1_7vsmem_tEENKUlT_SK_SL_SM_E_clISE_PjSF_SF_EESJ_SZ_SK_SL_SM_EUlSZ_E_NS1_11comp_targetILNS1_3genE10ELNS1_11target_archE1201ELNS1_3gpuE5ELNS1_3repE0EEENS1_48merge_mergepath_partition_config_static_selectorELNS0_4arch9wavefront6targetE1EEEvSL_
; %bb.0:
	.section	.rodata,"a",@progbits
	.p2align	6, 0x0
	.amdhsa_kernel _ZN7rocprim17ROCPRIM_400000_NS6detail17trampoline_kernelINS0_14default_configENS1_38merge_sort_block_merge_config_selectorIjNS0_10empty_typeEEEZZNS1_27merge_sort_block_merge_implIS3_N6thrust23THRUST_200600_302600_NS6detail15normal_iteratorINS9_10device_ptrIjEEEEPS5_jNS1_19radix_merge_compareILb0ELb1EjNS0_19identity_decomposerEEEEE10hipError_tT0_T1_T2_jT3_P12ihipStream_tbPNSt15iterator_traitsISK_E10value_typeEPNSQ_ISL_E10value_typeEPSM_NS1_7vsmem_tEENKUlT_SK_SL_SM_E_clISE_PjSF_SF_EESJ_SZ_SK_SL_SM_EUlSZ_E_NS1_11comp_targetILNS1_3genE10ELNS1_11target_archE1201ELNS1_3gpuE5ELNS1_3repE0EEENS1_48merge_mergepath_partition_config_static_selectorELNS0_4arch9wavefront6targetE1EEEvSL_
		.amdhsa_group_segment_fixed_size 0
		.amdhsa_private_segment_fixed_size 0
		.amdhsa_kernarg_size 40
		.amdhsa_user_sgpr_count 6
		.amdhsa_user_sgpr_private_segment_buffer 1
		.amdhsa_user_sgpr_dispatch_ptr 0
		.amdhsa_user_sgpr_queue_ptr 0
		.amdhsa_user_sgpr_kernarg_segment_ptr 1
		.amdhsa_user_sgpr_dispatch_id 0
		.amdhsa_user_sgpr_flat_scratch_init 0
		.amdhsa_user_sgpr_kernarg_preload_length 0
		.amdhsa_user_sgpr_kernarg_preload_offset 0
		.amdhsa_user_sgpr_private_segment_size 0
		.amdhsa_uses_dynamic_stack 0
		.amdhsa_system_sgpr_private_segment_wavefront_offset 0
		.amdhsa_system_sgpr_workgroup_id_x 1
		.amdhsa_system_sgpr_workgroup_id_y 0
		.amdhsa_system_sgpr_workgroup_id_z 0
		.amdhsa_system_sgpr_workgroup_info 0
		.amdhsa_system_vgpr_workitem_id 0
		.amdhsa_next_free_vgpr 1
		.amdhsa_next_free_sgpr 0
		.amdhsa_accum_offset 4
		.amdhsa_reserve_vcc 0
		.amdhsa_reserve_flat_scratch 0
		.amdhsa_float_round_mode_32 0
		.amdhsa_float_round_mode_16_64 0
		.amdhsa_float_denorm_mode_32 3
		.amdhsa_float_denorm_mode_16_64 3
		.amdhsa_dx10_clamp 1
		.amdhsa_ieee_mode 1
		.amdhsa_fp16_overflow 0
		.amdhsa_tg_split 0
		.amdhsa_exception_fp_ieee_invalid_op 0
		.amdhsa_exception_fp_denorm_src 0
		.amdhsa_exception_fp_ieee_div_zero 0
		.amdhsa_exception_fp_ieee_overflow 0
		.amdhsa_exception_fp_ieee_underflow 0
		.amdhsa_exception_fp_ieee_inexact 0
		.amdhsa_exception_int_div_zero 0
	.end_amdhsa_kernel
	.section	.text._ZN7rocprim17ROCPRIM_400000_NS6detail17trampoline_kernelINS0_14default_configENS1_38merge_sort_block_merge_config_selectorIjNS0_10empty_typeEEEZZNS1_27merge_sort_block_merge_implIS3_N6thrust23THRUST_200600_302600_NS6detail15normal_iteratorINS9_10device_ptrIjEEEEPS5_jNS1_19radix_merge_compareILb0ELb1EjNS0_19identity_decomposerEEEEE10hipError_tT0_T1_T2_jT3_P12ihipStream_tbPNSt15iterator_traitsISK_E10value_typeEPNSQ_ISL_E10value_typeEPSM_NS1_7vsmem_tEENKUlT_SK_SL_SM_E_clISE_PjSF_SF_EESJ_SZ_SK_SL_SM_EUlSZ_E_NS1_11comp_targetILNS1_3genE10ELNS1_11target_archE1201ELNS1_3gpuE5ELNS1_3repE0EEENS1_48merge_mergepath_partition_config_static_selectorELNS0_4arch9wavefront6targetE1EEEvSL_,"axG",@progbits,_ZN7rocprim17ROCPRIM_400000_NS6detail17trampoline_kernelINS0_14default_configENS1_38merge_sort_block_merge_config_selectorIjNS0_10empty_typeEEEZZNS1_27merge_sort_block_merge_implIS3_N6thrust23THRUST_200600_302600_NS6detail15normal_iteratorINS9_10device_ptrIjEEEEPS5_jNS1_19radix_merge_compareILb0ELb1EjNS0_19identity_decomposerEEEEE10hipError_tT0_T1_T2_jT3_P12ihipStream_tbPNSt15iterator_traitsISK_E10value_typeEPNSQ_ISL_E10value_typeEPSM_NS1_7vsmem_tEENKUlT_SK_SL_SM_E_clISE_PjSF_SF_EESJ_SZ_SK_SL_SM_EUlSZ_E_NS1_11comp_targetILNS1_3genE10ELNS1_11target_archE1201ELNS1_3gpuE5ELNS1_3repE0EEENS1_48merge_mergepath_partition_config_static_selectorELNS0_4arch9wavefront6targetE1EEEvSL_,comdat
.Lfunc_end1051:
	.size	_ZN7rocprim17ROCPRIM_400000_NS6detail17trampoline_kernelINS0_14default_configENS1_38merge_sort_block_merge_config_selectorIjNS0_10empty_typeEEEZZNS1_27merge_sort_block_merge_implIS3_N6thrust23THRUST_200600_302600_NS6detail15normal_iteratorINS9_10device_ptrIjEEEEPS5_jNS1_19radix_merge_compareILb0ELb1EjNS0_19identity_decomposerEEEEE10hipError_tT0_T1_T2_jT3_P12ihipStream_tbPNSt15iterator_traitsISK_E10value_typeEPNSQ_ISL_E10value_typeEPSM_NS1_7vsmem_tEENKUlT_SK_SL_SM_E_clISE_PjSF_SF_EESJ_SZ_SK_SL_SM_EUlSZ_E_NS1_11comp_targetILNS1_3genE10ELNS1_11target_archE1201ELNS1_3gpuE5ELNS1_3repE0EEENS1_48merge_mergepath_partition_config_static_selectorELNS0_4arch9wavefront6targetE1EEEvSL_, .Lfunc_end1051-_ZN7rocprim17ROCPRIM_400000_NS6detail17trampoline_kernelINS0_14default_configENS1_38merge_sort_block_merge_config_selectorIjNS0_10empty_typeEEEZZNS1_27merge_sort_block_merge_implIS3_N6thrust23THRUST_200600_302600_NS6detail15normal_iteratorINS9_10device_ptrIjEEEEPS5_jNS1_19radix_merge_compareILb0ELb1EjNS0_19identity_decomposerEEEEE10hipError_tT0_T1_T2_jT3_P12ihipStream_tbPNSt15iterator_traitsISK_E10value_typeEPNSQ_ISL_E10value_typeEPSM_NS1_7vsmem_tEENKUlT_SK_SL_SM_E_clISE_PjSF_SF_EESJ_SZ_SK_SL_SM_EUlSZ_E_NS1_11comp_targetILNS1_3genE10ELNS1_11target_archE1201ELNS1_3gpuE5ELNS1_3repE0EEENS1_48merge_mergepath_partition_config_static_selectorELNS0_4arch9wavefront6targetE1EEEvSL_
                                        ; -- End function
	.section	.AMDGPU.csdata,"",@progbits
; Kernel info:
; codeLenInByte = 0
; NumSgprs: 4
; NumVgprs: 0
; NumAgprs: 0
; TotalNumVgprs: 0
; ScratchSize: 0
; MemoryBound: 0
; FloatMode: 240
; IeeeMode: 1
; LDSByteSize: 0 bytes/workgroup (compile time only)
; SGPRBlocks: 0
; VGPRBlocks: 0
; NumSGPRsForWavesPerEU: 4
; NumVGPRsForWavesPerEU: 1
; AccumOffset: 4
; Occupancy: 8
; WaveLimiterHint : 0
; COMPUTE_PGM_RSRC2:SCRATCH_EN: 0
; COMPUTE_PGM_RSRC2:USER_SGPR: 6
; COMPUTE_PGM_RSRC2:TRAP_HANDLER: 0
; COMPUTE_PGM_RSRC2:TGID_X_EN: 1
; COMPUTE_PGM_RSRC2:TGID_Y_EN: 0
; COMPUTE_PGM_RSRC2:TGID_Z_EN: 0
; COMPUTE_PGM_RSRC2:TIDIG_COMP_CNT: 0
; COMPUTE_PGM_RSRC3_GFX90A:ACCUM_OFFSET: 0
; COMPUTE_PGM_RSRC3_GFX90A:TG_SPLIT: 0
	.section	.text._ZN7rocprim17ROCPRIM_400000_NS6detail17trampoline_kernelINS0_14default_configENS1_38merge_sort_block_merge_config_selectorIjNS0_10empty_typeEEEZZNS1_27merge_sort_block_merge_implIS3_N6thrust23THRUST_200600_302600_NS6detail15normal_iteratorINS9_10device_ptrIjEEEEPS5_jNS1_19radix_merge_compareILb0ELb1EjNS0_19identity_decomposerEEEEE10hipError_tT0_T1_T2_jT3_P12ihipStream_tbPNSt15iterator_traitsISK_E10value_typeEPNSQ_ISL_E10value_typeEPSM_NS1_7vsmem_tEENKUlT_SK_SL_SM_E_clISE_PjSF_SF_EESJ_SZ_SK_SL_SM_EUlSZ_E_NS1_11comp_targetILNS1_3genE5ELNS1_11target_archE942ELNS1_3gpuE9ELNS1_3repE0EEENS1_48merge_mergepath_partition_config_static_selectorELNS0_4arch9wavefront6targetE1EEEvSL_,"axG",@progbits,_ZN7rocprim17ROCPRIM_400000_NS6detail17trampoline_kernelINS0_14default_configENS1_38merge_sort_block_merge_config_selectorIjNS0_10empty_typeEEEZZNS1_27merge_sort_block_merge_implIS3_N6thrust23THRUST_200600_302600_NS6detail15normal_iteratorINS9_10device_ptrIjEEEEPS5_jNS1_19radix_merge_compareILb0ELb1EjNS0_19identity_decomposerEEEEE10hipError_tT0_T1_T2_jT3_P12ihipStream_tbPNSt15iterator_traitsISK_E10value_typeEPNSQ_ISL_E10value_typeEPSM_NS1_7vsmem_tEENKUlT_SK_SL_SM_E_clISE_PjSF_SF_EESJ_SZ_SK_SL_SM_EUlSZ_E_NS1_11comp_targetILNS1_3genE5ELNS1_11target_archE942ELNS1_3gpuE9ELNS1_3repE0EEENS1_48merge_mergepath_partition_config_static_selectorELNS0_4arch9wavefront6targetE1EEEvSL_,comdat
	.protected	_ZN7rocprim17ROCPRIM_400000_NS6detail17trampoline_kernelINS0_14default_configENS1_38merge_sort_block_merge_config_selectorIjNS0_10empty_typeEEEZZNS1_27merge_sort_block_merge_implIS3_N6thrust23THRUST_200600_302600_NS6detail15normal_iteratorINS9_10device_ptrIjEEEEPS5_jNS1_19radix_merge_compareILb0ELb1EjNS0_19identity_decomposerEEEEE10hipError_tT0_T1_T2_jT3_P12ihipStream_tbPNSt15iterator_traitsISK_E10value_typeEPNSQ_ISL_E10value_typeEPSM_NS1_7vsmem_tEENKUlT_SK_SL_SM_E_clISE_PjSF_SF_EESJ_SZ_SK_SL_SM_EUlSZ_E_NS1_11comp_targetILNS1_3genE5ELNS1_11target_archE942ELNS1_3gpuE9ELNS1_3repE0EEENS1_48merge_mergepath_partition_config_static_selectorELNS0_4arch9wavefront6targetE1EEEvSL_ ; -- Begin function _ZN7rocprim17ROCPRIM_400000_NS6detail17trampoline_kernelINS0_14default_configENS1_38merge_sort_block_merge_config_selectorIjNS0_10empty_typeEEEZZNS1_27merge_sort_block_merge_implIS3_N6thrust23THRUST_200600_302600_NS6detail15normal_iteratorINS9_10device_ptrIjEEEEPS5_jNS1_19radix_merge_compareILb0ELb1EjNS0_19identity_decomposerEEEEE10hipError_tT0_T1_T2_jT3_P12ihipStream_tbPNSt15iterator_traitsISK_E10value_typeEPNSQ_ISL_E10value_typeEPSM_NS1_7vsmem_tEENKUlT_SK_SL_SM_E_clISE_PjSF_SF_EESJ_SZ_SK_SL_SM_EUlSZ_E_NS1_11comp_targetILNS1_3genE5ELNS1_11target_archE942ELNS1_3gpuE9ELNS1_3repE0EEENS1_48merge_mergepath_partition_config_static_selectorELNS0_4arch9wavefront6targetE1EEEvSL_
	.globl	_ZN7rocprim17ROCPRIM_400000_NS6detail17trampoline_kernelINS0_14default_configENS1_38merge_sort_block_merge_config_selectorIjNS0_10empty_typeEEEZZNS1_27merge_sort_block_merge_implIS3_N6thrust23THRUST_200600_302600_NS6detail15normal_iteratorINS9_10device_ptrIjEEEEPS5_jNS1_19radix_merge_compareILb0ELb1EjNS0_19identity_decomposerEEEEE10hipError_tT0_T1_T2_jT3_P12ihipStream_tbPNSt15iterator_traitsISK_E10value_typeEPNSQ_ISL_E10value_typeEPSM_NS1_7vsmem_tEENKUlT_SK_SL_SM_E_clISE_PjSF_SF_EESJ_SZ_SK_SL_SM_EUlSZ_E_NS1_11comp_targetILNS1_3genE5ELNS1_11target_archE942ELNS1_3gpuE9ELNS1_3repE0EEENS1_48merge_mergepath_partition_config_static_selectorELNS0_4arch9wavefront6targetE1EEEvSL_
	.p2align	8
	.type	_ZN7rocprim17ROCPRIM_400000_NS6detail17trampoline_kernelINS0_14default_configENS1_38merge_sort_block_merge_config_selectorIjNS0_10empty_typeEEEZZNS1_27merge_sort_block_merge_implIS3_N6thrust23THRUST_200600_302600_NS6detail15normal_iteratorINS9_10device_ptrIjEEEEPS5_jNS1_19radix_merge_compareILb0ELb1EjNS0_19identity_decomposerEEEEE10hipError_tT0_T1_T2_jT3_P12ihipStream_tbPNSt15iterator_traitsISK_E10value_typeEPNSQ_ISL_E10value_typeEPSM_NS1_7vsmem_tEENKUlT_SK_SL_SM_E_clISE_PjSF_SF_EESJ_SZ_SK_SL_SM_EUlSZ_E_NS1_11comp_targetILNS1_3genE5ELNS1_11target_archE942ELNS1_3gpuE9ELNS1_3repE0EEENS1_48merge_mergepath_partition_config_static_selectorELNS0_4arch9wavefront6targetE1EEEvSL_,@function
_ZN7rocprim17ROCPRIM_400000_NS6detail17trampoline_kernelINS0_14default_configENS1_38merge_sort_block_merge_config_selectorIjNS0_10empty_typeEEEZZNS1_27merge_sort_block_merge_implIS3_N6thrust23THRUST_200600_302600_NS6detail15normal_iteratorINS9_10device_ptrIjEEEEPS5_jNS1_19radix_merge_compareILb0ELb1EjNS0_19identity_decomposerEEEEE10hipError_tT0_T1_T2_jT3_P12ihipStream_tbPNSt15iterator_traitsISK_E10value_typeEPNSQ_ISL_E10value_typeEPSM_NS1_7vsmem_tEENKUlT_SK_SL_SM_E_clISE_PjSF_SF_EESJ_SZ_SK_SL_SM_EUlSZ_E_NS1_11comp_targetILNS1_3genE5ELNS1_11target_archE942ELNS1_3gpuE9ELNS1_3repE0EEENS1_48merge_mergepath_partition_config_static_selectorELNS0_4arch9wavefront6targetE1EEEvSL_: ; @_ZN7rocprim17ROCPRIM_400000_NS6detail17trampoline_kernelINS0_14default_configENS1_38merge_sort_block_merge_config_selectorIjNS0_10empty_typeEEEZZNS1_27merge_sort_block_merge_implIS3_N6thrust23THRUST_200600_302600_NS6detail15normal_iteratorINS9_10device_ptrIjEEEEPS5_jNS1_19radix_merge_compareILb0ELb1EjNS0_19identity_decomposerEEEEE10hipError_tT0_T1_T2_jT3_P12ihipStream_tbPNSt15iterator_traitsISK_E10value_typeEPNSQ_ISL_E10value_typeEPSM_NS1_7vsmem_tEENKUlT_SK_SL_SM_E_clISE_PjSF_SF_EESJ_SZ_SK_SL_SM_EUlSZ_E_NS1_11comp_targetILNS1_3genE5ELNS1_11target_archE942ELNS1_3gpuE9ELNS1_3repE0EEENS1_48merge_mergepath_partition_config_static_selectorELNS0_4arch9wavefront6targetE1EEEvSL_
; %bb.0:
	.section	.rodata,"a",@progbits
	.p2align	6, 0x0
	.amdhsa_kernel _ZN7rocprim17ROCPRIM_400000_NS6detail17trampoline_kernelINS0_14default_configENS1_38merge_sort_block_merge_config_selectorIjNS0_10empty_typeEEEZZNS1_27merge_sort_block_merge_implIS3_N6thrust23THRUST_200600_302600_NS6detail15normal_iteratorINS9_10device_ptrIjEEEEPS5_jNS1_19radix_merge_compareILb0ELb1EjNS0_19identity_decomposerEEEEE10hipError_tT0_T1_T2_jT3_P12ihipStream_tbPNSt15iterator_traitsISK_E10value_typeEPNSQ_ISL_E10value_typeEPSM_NS1_7vsmem_tEENKUlT_SK_SL_SM_E_clISE_PjSF_SF_EESJ_SZ_SK_SL_SM_EUlSZ_E_NS1_11comp_targetILNS1_3genE5ELNS1_11target_archE942ELNS1_3gpuE9ELNS1_3repE0EEENS1_48merge_mergepath_partition_config_static_selectorELNS0_4arch9wavefront6targetE1EEEvSL_
		.amdhsa_group_segment_fixed_size 0
		.amdhsa_private_segment_fixed_size 0
		.amdhsa_kernarg_size 40
		.amdhsa_user_sgpr_count 6
		.amdhsa_user_sgpr_private_segment_buffer 1
		.amdhsa_user_sgpr_dispatch_ptr 0
		.amdhsa_user_sgpr_queue_ptr 0
		.amdhsa_user_sgpr_kernarg_segment_ptr 1
		.amdhsa_user_sgpr_dispatch_id 0
		.amdhsa_user_sgpr_flat_scratch_init 0
		.amdhsa_user_sgpr_kernarg_preload_length 0
		.amdhsa_user_sgpr_kernarg_preload_offset 0
		.amdhsa_user_sgpr_private_segment_size 0
		.amdhsa_uses_dynamic_stack 0
		.amdhsa_system_sgpr_private_segment_wavefront_offset 0
		.amdhsa_system_sgpr_workgroup_id_x 1
		.amdhsa_system_sgpr_workgroup_id_y 0
		.amdhsa_system_sgpr_workgroup_id_z 0
		.amdhsa_system_sgpr_workgroup_info 0
		.amdhsa_system_vgpr_workitem_id 0
		.amdhsa_next_free_vgpr 1
		.amdhsa_next_free_sgpr 0
		.amdhsa_accum_offset 4
		.amdhsa_reserve_vcc 0
		.amdhsa_reserve_flat_scratch 0
		.amdhsa_float_round_mode_32 0
		.amdhsa_float_round_mode_16_64 0
		.amdhsa_float_denorm_mode_32 3
		.amdhsa_float_denorm_mode_16_64 3
		.amdhsa_dx10_clamp 1
		.amdhsa_ieee_mode 1
		.amdhsa_fp16_overflow 0
		.amdhsa_tg_split 0
		.amdhsa_exception_fp_ieee_invalid_op 0
		.amdhsa_exception_fp_denorm_src 0
		.amdhsa_exception_fp_ieee_div_zero 0
		.amdhsa_exception_fp_ieee_overflow 0
		.amdhsa_exception_fp_ieee_underflow 0
		.amdhsa_exception_fp_ieee_inexact 0
		.amdhsa_exception_int_div_zero 0
	.end_amdhsa_kernel
	.section	.text._ZN7rocprim17ROCPRIM_400000_NS6detail17trampoline_kernelINS0_14default_configENS1_38merge_sort_block_merge_config_selectorIjNS0_10empty_typeEEEZZNS1_27merge_sort_block_merge_implIS3_N6thrust23THRUST_200600_302600_NS6detail15normal_iteratorINS9_10device_ptrIjEEEEPS5_jNS1_19radix_merge_compareILb0ELb1EjNS0_19identity_decomposerEEEEE10hipError_tT0_T1_T2_jT3_P12ihipStream_tbPNSt15iterator_traitsISK_E10value_typeEPNSQ_ISL_E10value_typeEPSM_NS1_7vsmem_tEENKUlT_SK_SL_SM_E_clISE_PjSF_SF_EESJ_SZ_SK_SL_SM_EUlSZ_E_NS1_11comp_targetILNS1_3genE5ELNS1_11target_archE942ELNS1_3gpuE9ELNS1_3repE0EEENS1_48merge_mergepath_partition_config_static_selectorELNS0_4arch9wavefront6targetE1EEEvSL_,"axG",@progbits,_ZN7rocprim17ROCPRIM_400000_NS6detail17trampoline_kernelINS0_14default_configENS1_38merge_sort_block_merge_config_selectorIjNS0_10empty_typeEEEZZNS1_27merge_sort_block_merge_implIS3_N6thrust23THRUST_200600_302600_NS6detail15normal_iteratorINS9_10device_ptrIjEEEEPS5_jNS1_19radix_merge_compareILb0ELb1EjNS0_19identity_decomposerEEEEE10hipError_tT0_T1_T2_jT3_P12ihipStream_tbPNSt15iterator_traitsISK_E10value_typeEPNSQ_ISL_E10value_typeEPSM_NS1_7vsmem_tEENKUlT_SK_SL_SM_E_clISE_PjSF_SF_EESJ_SZ_SK_SL_SM_EUlSZ_E_NS1_11comp_targetILNS1_3genE5ELNS1_11target_archE942ELNS1_3gpuE9ELNS1_3repE0EEENS1_48merge_mergepath_partition_config_static_selectorELNS0_4arch9wavefront6targetE1EEEvSL_,comdat
.Lfunc_end1052:
	.size	_ZN7rocprim17ROCPRIM_400000_NS6detail17trampoline_kernelINS0_14default_configENS1_38merge_sort_block_merge_config_selectorIjNS0_10empty_typeEEEZZNS1_27merge_sort_block_merge_implIS3_N6thrust23THRUST_200600_302600_NS6detail15normal_iteratorINS9_10device_ptrIjEEEEPS5_jNS1_19radix_merge_compareILb0ELb1EjNS0_19identity_decomposerEEEEE10hipError_tT0_T1_T2_jT3_P12ihipStream_tbPNSt15iterator_traitsISK_E10value_typeEPNSQ_ISL_E10value_typeEPSM_NS1_7vsmem_tEENKUlT_SK_SL_SM_E_clISE_PjSF_SF_EESJ_SZ_SK_SL_SM_EUlSZ_E_NS1_11comp_targetILNS1_3genE5ELNS1_11target_archE942ELNS1_3gpuE9ELNS1_3repE0EEENS1_48merge_mergepath_partition_config_static_selectorELNS0_4arch9wavefront6targetE1EEEvSL_, .Lfunc_end1052-_ZN7rocprim17ROCPRIM_400000_NS6detail17trampoline_kernelINS0_14default_configENS1_38merge_sort_block_merge_config_selectorIjNS0_10empty_typeEEEZZNS1_27merge_sort_block_merge_implIS3_N6thrust23THRUST_200600_302600_NS6detail15normal_iteratorINS9_10device_ptrIjEEEEPS5_jNS1_19radix_merge_compareILb0ELb1EjNS0_19identity_decomposerEEEEE10hipError_tT0_T1_T2_jT3_P12ihipStream_tbPNSt15iterator_traitsISK_E10value_typeEPNSQ_ISL_E10value_typeEPSM_NS1_7vsmem_tEENKUlT_SK_SL_SM_E_clISE_PjSF_SF_EESJ_SZ_SK_SL_SM_EUlSZ_E_NS1_11comp_targetILNS1_3genE5ELNS1_11target_archE942ELNS1_3gpuE9ELNS1_3repE0EEENS1_48merge_mergepath_partition_config_static_selectorELNS0_4arch9wavefront6targetE1EEEvSL_
                                        ; -- End function
	.section	.AMDGPU.csdata,"",@progbits
; Kernel info:
; codeLenInByte = 0
; NumSgprs: 4
; NumVgprs: 0
; NumAgprs: 0
; TotalNumVgprs: 0
; ScratchSize: 0
; MemoryBound: 0
; FloatMode: 240
; IeeeMode: 1
; LDSByteSize: 0 bytes/workgroup (compile time only)
; SGPRBlocks: 0
; VGPRBlocks: 0
; NumSGPRsForWavesPerEU: 4
; NumVGPRsForWavesPerEU: 1
; AccumOffset: 4
; Occupancy: 8
; WaveLimiterHint : 0
; COMPUTE_PGM_RSRC2:SCRATCH_EN: 0
; COMPUTE_PGM_RSRC2:USER_SGPR: 6
; COMPUTE_PGM_RSRC2:TRAP_HANDLER: 0
; COMPUTE_PGM_RSRC2:TGID_X_EN: 1
; COMPUTE_PGM_RSRC2:TGID_Y_EN: 0
; COMPUTE_PGM_RSRC2:TGID_Z_EN: 0
; COMPUTE_PGM_RSRC2:TIDIG_COMP_CNT: 0
; COMPUTE_PGM_RSRC3_GFX90A:ACCUM_OFFSET: 0
; COMPUTE_PGM_RSRC3_GFX90A:TG_SPLIT: 0
	.section	.text._ZN7rocprim17ROCPRIM_400000_NS6detail17trampoline_kernelINS0_14default_configENS1_38merge_sort_block_merge_config_selectorIjNS0_10empty_typeEEEZZNS1_27merge_sort_block_merge_implIS3_N6thrust23THRUST_200600_302600_NS6detail15normal_iteratorINS9_10device_ptrIjEEEEPS5_jNS1_19radix_merge_compareILb0ELb1EjNS0_19identity_decomposerEEEEE10hipError_tT0_T1_T2_jT3_P12ihipStream_tbPNSt15iterator_traitsISK_E10value_typeEPNSQ_ISL_E10value_typeEPSM_NS1_7vsmem_tEENKUlT_SK_SL_SM_E_clISE_PjSF_SF_EESJ_SZ_SK_SL_SM_EUlSZ_E_NS1_11comp_targetILNS1_3genE4ELNS1_11target_archE910ELNS1_3gpuE8ELNS1_3repE0EEENS1_48merge_mergepath_partition_config_static_selectorELNS0_4arch9wavefront6targetE1EEEvSL_,"axG",@progbits,_ZN7rocprim17ROCPRIM_400000_NS6detail17trampoline_kernelINS0_14default_configENS1_38merge_sort_block_merge_config_selectorIjNS0_10empty_typeEEEZZNS1_27merge_sort_block_merge_implIS3_N6thrust23THRUST_200600_302600_NS6detail15normal_iteratorINS9_10device_ptrIjEEEEPS5_jNS1_19radix_merge_compareILb0ELb1EjNS0_19identity_decomposerEEEEE10hipError_tT0_T1_T2_jT3_P12ihipStream_tbPNSt15iterator_traitsISK_E10value_typeEPNSQ_ISL_E10value_typeEPSM_NS1_7vsmem_tEENKUlT_SK_SL_SM_E_clISE_PjSF_SF_EESJ_SZ_SK_SL_SM_EUlSZ_E_NS1_11comp_targetILNS1_3genE4ELNS1_11target_archE910ELNS1_3gpuE8ELNS1_3repE0EEENS1_48merge_mergepath_partition_config_static_selectorELNS0_4arch9wavefront6targetE1EEEvSL_,comdat
	.protected	_ZN7rocprim17ROCPRIM_400000_NS6detail17trampoline_kernelINS0_14default_configENS1_38merge_sort_block_merge_config_selectorIjNS0_10empty_typeEEEZZNS1_27merge_sort_block_merge_implIS3_N6thrust23THRUST_200600_302600_NS6detail15normal_iteratorINS9_10device_ptrIjEEEEPS5_jNS1_19radix_merge_compareILb0ELb1EjNS0_19identity_decomposerEEEEE10hipError_tT0_T1_T2_jT3_P12ihipStream_tbPNSt15iterator_traitsISK_E10value_typeEPNSQ_ISL_E10value_typeEPSM_NS1_7vsmem_tEENKUlT_SK_SL_SM_E_clISE_PjSF_SF_EESJ_SZ_SK_SL_SM_EUlSZ_E_NS1_11comp_targetILNS1_3genE4ELNS1_11target_archE910ELNS1_3gpuE8ELNS1_3repE0EEENS1_48merge_mergepath_partition_config_static_selectorELNS0_4arch9wavefront6targetE1EEEvSL_ ; -- Begin function _ZN7rocprim17ROCPRIM_400000_NS6detail17trampoline_kernelINS0_14default_configENS1_38merge_sort_block_merge_config_selectorIjNS0_10empty_typeEEEZZNS1_27merge_sort_block_merge_implIS3_N6thrust23THRUST_200600_302600_NS6detail15normal_iteratorINS9_10device_ptrIjEEEEPS5_jNS1_19radix_merge_compareILb0ELb1EjNS0_19identity_decomposerEEEEE10hipError_tT0_T1_T2_jT3_P12ihipStream_tbPNSt15iterator_traitsISK_E10value_typeEPNSQ_ISL_E10value_typeEPSM_NS1_7vsmem_tEENKUlT_SK_SL_SM_E_clISE_PjSF_SF_EESJ_SZ_SK_SL_SM_EUlSZ_E_NS1_11comp_targetILNS1_3genE4ELNS1_11target_archE910ELNS1_3gpuE8ELNS1_3repE0EEENS1_48merge_mergepath_partition_config_static_selectorELNS0_4arch9wavefront6targetE1EEEvSL_
	.globl	_ZN7rocprim17ROCPRIM_400000_NS6detail17trampoline_kernelINS0_14default_configENS1_38merge_sort_block_merge_config_selectorIjNS0_10empty_typeEEEZZNS1_27merge_sort_block_merge_implIS3_N6thrust23THRUST_200600_302600_NS6detail15normal_iteratorINS9_10device_ptrIjEEEEPS5_jNS1_19radix_merge_compareILb0ELb1EjNS0_19identity_decomposerEEEEE10hipError_tT0_T1_T2_jT3_P12ihipStream_tbPNSt15iterator_traitsISK_E10value_typeEPNSQ_ISL_E10value_typeEPSM_NS1_7vsmem_tEENKUlT_SK_SL_SM_E_clISE_PjSF_SF_EESJ_SZ_SK_SL_SM_EUlSZ_E_NS1_11comp_targetILNS1_3genE4ELNS1_11target_archE910ELNS1_3gpuE8ELNS1_3repE0EEENS1_48merge_mergepath_partition_config_static_selectorELNS0_4arch9wavefront6targetE1EEEvSL_
	.p2align	8
	.type	_ZN7rocprim17ROCPRIM_400000_NS6detail17trampoline_kernelINS0_14default_configENS1_38merge_sort_block_merge_config_selectorIjNS0_10empty_typeEEEZZNS1_27merge_sort_block_merge_implIS3_N6thrust23THRUST_200600_302600_NS6detail15normal_iteratorINS9_10device_ptrIjEEEEPS5_jNS1_19radix_merge_compareILb0ELb1EjNS0_19identity_decomposerEEEEE10hipError_tT0_T1_T2_jT3_P12ihipStream_tbPNSt15iterator_traitsISK_E10value_typeEPNSQ_ISL_E10value_typeEPSM_NS1_7vsmem_tEENKUlT_SK_SL_SM_E_clISE_PjSF_SF_EESJ_SZ_SK_SL_SM_EUlSZ_E_NS1_11comp_targetILNS1_3genE4ELNS1_11target_archE910ELNS1_3gpuE8ELNS1_3repE0EEENS1_48merge_mergepath_partition_config_static_selectorELNS0_4arch9wavefront6targetE1EEEvSL_,@function
_ZN7rocprim17ROCPRIM_400000_NS6detail17trampoline_kernelINS0_14default_configENS1_38merge_sort_block_merge_config_selectorIjNS0_10empty_typeEEEZZNS1_27merge_sort_block_merge_implIS3_N6thrust23THRUST_200600_302600_NS6detail15normal_iteratorINS9_10device_ptrIjEEEEPS5_jNS1_19radix_merge_compareILb0ELb1EjNS0_19identity_decomposerEEEEE10hipError_tT0_T1_T2_jT3_P12ihipStream_tbPNSt15iterator_traitsISK_E10value_typeEPNSQ_ISL_E10value_typeEPSM_NS1_7vsmem_tEENKUlT_SK_SL_SM_E_clISE_PjSF_SF_EESJ_SZ_SK_SL_SM_EUlSZ_E_NS1_11comp_targetILNS1_3genE4ELNS1_11target_archE910ELNS1_3gpuE8ELNS1_3repE0EEENS1_48merge_mergepath_partition_config_static_selectorELNS0_4arch9wavefront6targetE1EEEvSL_: ; @_ZN7rocprim17ROCPRIM_400000_NS6detail17trampoline_kernelINS0_14default_configENS1_38merge_sort_block_merge_config_selectorIjNS0_10empty_typeEEEZZNS1_27merge_sort_block_merge_implIS3_N6thrust23THRUST_200600_302600_NS6detail15normal_iteratorINS9_10device_ptrIjEEEEPS5_jNS1_19radix_merge_compareILb0ELb1EjNS0_19identity_decomposerEEEEE10hipError_tT0_T1_T2_jT3_P12ihipStream_tbPNSt15iterator_traitsISK_E10value_typeEPNSQ_ISL_E10value_typeEPSM_NS1_7vsmem_tEENKUlT_SK_SL_SM_E_clISE_PjSF_SF_EESJ_SZ_SK_SL_SM_EUlSZ_E_NS1_11comp_targetILNS1_3genE4ELNS1_11target_archE910ELNS1_3gpuE8ELNS1_3repE0EEENS1_48merge_mergepath_partition_config_static_selectorELNS0_4arch9wavefront6targetE1EEEvSL_
; %bb.0:
	s_load_dword s0, s[4:5], 0x0
	v_lshl_or_b32 v0, s6, 7, v0
	s_waitcnt lgkmcnt(0)
	v_cmp_gt_u32_e32 vcc, s0, v0
	s_and_saveexec_b64 s[0:1], vcc
	s_cbranch_execz .LBB1053_6
; %bb.1:
	s_load_dwordx2 s[2:3], s[4:5], 0x4
	s_load_dwordx2 s[0:1], s[4:5], 0x20
	s_waitcnt lgkmcnt(0)
	s_lshr_b32 s6, s2, 9
	s_and_b32 s6, s6, 0x7ffffe
	s_add_i32 s7, s6, -1
	s_sub_i32 s6, 0, s6
	v_and_b32_e32 v1, s6, v0
	v_lshlrev_b32_e32 v1, 10, v1
	v_min_u32_e32 v2, s3, v1
	v_add_u32_e32 v1, s2, v1
	v_min_u32_e32 v4, s3, v1
	v_add_u32_e32 v1, s2, v4
	v_and_b32_e32 v3, s7, v0
	v_min_u32_e32 v1, s3, v1
	v_sub_u32_e32 v5, v1, v2
	v_lshlrev_b32_e32 v3, 10, v3
	v_min_u32_e32 v6, v5, v3
	v_sub_u32_e32 v3, v4, v2
	v_sub_u32_e32 v1, v1, v4
	v_sub_u32_e64 v1, v6, v1 clamp
	v_min_u32_e32 v7, v6, v3
	v_cmp_lt_u32_e32 vcc, v1, v7
	s_and_saveexec_b64 s[2:3], vcc
	s_cbranch_execz .LBB1053_5
; %bb.2:
	s_load_dwordx2 s[8:9], s[4:5], 0x10
	s_load_dword s6, s[4:5], 0x18
	v_mov_b32_e32 v5, 0
	v_mov_b32_e32 v3, v5
	v_lshlrev_b64 v[8:9], 2, v[2:3]
	s_waitcnt lgkmcnt(0)
	v_mov_b32_e32 v12, s9
	v_add_co_u32_e32 v3, vcc, s8, v8
	v_addc_co_u32_e32 v8, vcc, v12, v9, vcc
	v_lshlrev_b64 v[10:11], 2, v[4:5]
	v_add_co_u32_e32 v9, vcc, s8, v10
	v_addc_co_u32_e32 v10, vcc, v12, v11, vcc
	s_mov_b64 s[4:5], 0
.LBB1053_3:                             ; =>This Inner Loop Header: Depth=1
	v_add_u32_e32 v4, v7, v1
	v_lshrrev_b32_e32 v4, 1, v4
	v_lshlrev_b64 v[14:15], 2, v[4:5]
	v_mov_b32_e32 v13, v5
	v_xad_u32 v12, v4, -1, v6
	v_add_co_u32_e32 v14, vcc, v3, v14
	v_addc_co_u32_e32 v15, vcc, v8, v15, vcc
	v_lshlrev_b64 v[12:13], 2, v[12:13]
	v_add_co_u32_e32 v12, vcc, v9, v12
	v_addc_co_u32_e32 v13, vcc, v10, v13, vcc
	flat_load_dword v11, v[14:15]
	flat_load_dword v16, v[12:13]
	v_add_u32_e32 v12, 1, v4
	s_waitcnt vmcnt(0) lgkmcnt(0)
	v_and_b32_e32 v11, s6, v11
	v_and_b32_e32 v13, s6, v16
	v_cmp_gt_u32_e32 vcc, v11, v13
	v_cndmask_b32_e32 v7, v7, v4, vcc
	v_cndmask_b32_e32 v1, v12, v1, vcc
	v_cmp_ge_u32_e32 vcc, v1, v7
	s_or_b64 s[4:5], vcc, s[4:5]
	s_andn2_b64 exec, exec, s[4:5]
	s_cbranch_execnz .LBB1053_3
; %bb.4:
	s_or_b64 exec, exec, s[4:5]
.LBB1053_5:
	s_or_b64 exec, exec, s[2:3]
	v_add_u32_e32 v2, v1, v2
	v_mov_b32_e32 v1, 0
	v_lshlrev_b64 v[0:1], 2, v[0:1]
	v_mov_b32_e32 v3, s1
	v_add_co_u32_e32 v0, vcc, s0, v0
	v_addc_co_u32_e32 v1, vcc, v3, v1, vcc
	global_store_dword v[0:1], v2, off
.LBB1053_6:
	s_endpgm
	.section	.rodata,"a",@progbits
	.p2align	6, 0x0
	.amdhsa_kernel _ZN7rocprim17ROCPRIM_400000_NS6detail17trampoline_kernelINS0_14default_configENS1_38merge_sort_block_merge_config_selectorIjNS0_10empty_typeEEEZZNS1_27merge_sort_block_merge_implIS3_N6thrust23THRUST_200600_302600_NS6detail15normal_iteratorINS9_10device_ptrIjEEEEPS5_jNS1_19radix_merge_compareILb0ELb1EjNS0_19identity_decomposerEEEEE10hipError_tT0_T1_T2_jT3_P12ihipStream_tbPNSt15iterator_traitsISK_E10value_typeEPNSQ_ISL_E10value_typeEPSM_NS1_7vsmem_tEENKUlT_SK_SL_SM_E_clISE_PjSF_SF_EESJ_SZ_SK_SL_SM_EUlSZ_E_NS1_11comp_targetILNS1_3genE4ELNS1_11target_archE910ELNS1_3gpuE8ELNS1_3repE0EEENS1_48merge_mergepath_partition_config_static_selectorELNS0_4arch9wavefront6targetE1EEEvSL_
		.amdhsa_group_segment_fixed_size 0
		.amdhsa_private_segment_fixed_size 0
		.amdhsa_kernarg_size 40
		.amdhsa_user_sgpr_count 6
		.amdhsa_user_sgpr_private_segment_buffer 1
		.amdhsa_user_sgpr_dispatch_ptr 0
		.amdhsa_user_sgpr_queue_ptr 0
		.amdhsa_user_sgpr_kernarg_segment_ptr 1
		.amdhsa_user_sgpr_dispatch_id 0
		.amdhsa_user_sgpr_flat_scratch_init 0
		.amdhsa_user_sgpr_kernarg_preload_length 0
		.amdhsa_user_sgpr_kernarg_preload_offset 0
		.amdhsa_user_sgpr_private_segment_size 0
		.amdhsa_uses_dynamic_stack 0
		.amdhsa_system_sgpr_private_segment_wavefront_offset 0
		.amdhsa_system_sgpr_workgroup_id_x 1
		.amdhsa_system_sgpr_workgroup_id_y 0
		.amdhsa_system_sgpr_workgroup_id_z 0
		.amdhsa_system_sgpr_workgroup_info 0
		.amdhsa_system_vgpr_workitem_id 0
		.amdhsa_next_free_vgpr 17
		.amdhsa_next_free_sgpr 10
		.amdhsa_accum_offset 20
		.amdhsa_reserve_vcc 1
		.amdhsa_reserve_flat_scratch 0
		.amdhsa_float_round_mode_32 0
		.amdhsa_float_round_mode_16_64 0
		.amdhsa_float_denorm_mode_32 3
		.amdhsa_float_denorm_mode_16_64 3
		.amdhsa_dx10_clamp 1
		.amdhsa_ieee_mode 1
		.amdhsa_fp16_overflow 0
		.amdhsa_tg_split 0
		.amdhsa_exception_fp_ieee_invalid_op 0
		.amdhsa_exception_fp_denorm_src 0
		.amdhsa_exception_fp_ieee_div_zero 0
		.amdhsa_exception_fp_ieee_overflow 0
		.amdhsa_exception_fp_ieee_underflow 0
		.amdhsa_exception_fp_ieee_inexact 0
		.amdhsa_exception_int_div_zero 0
	.end_amdhsa_kernel
	.section	.text._ZN7rocprim17ROCPRIM_400000_NS6detail17trampoline_kernelINS0_14default_configENS1_38merge_sort_block_merge_config_selectorIjNS0_10empty_typeEEEZZNS1_27merge_sort_block_merge_implIS3_N6thrust23THRUST_200600_302600_NS6detail15normal_iteratorINS9_10device_ptrIjEEEEPS5_jNS1_19radix_merge_compareILb0ELb1EjNS0_19identity_decomposerEEEEE10hipError_tT0_T1_T2_jT3_P12ihipStream_tbPNSt15iterator_traitsISK_E10value_typeEPNSQ_ISL_E10value_typeEPSM_NS1_7vsmem_tEENKUlT_SK_SL_SM_E_clISE_PjSF_SF_EESJ_SZ_SK_SL_SM_EUlSZ_E_NS1_11comp_targetILNS1_3genE4ELNS1_11target_archE910ELNS1_3gpuE8ELNS1_3repE0EEENS1_48merge_mergepath_partition_config_static_selectorELNS0_4arch9wavefront6targetE1EEEvSL_,"axG",@progbits,_ZN7rocprim17ROCPRIM_400000_NS6detail17trampoline_kernelINS0_14default_configENS1_38merge_sort_block_merge_config_selectorIjNS0_10empty_typeEEEZZNS1_27merge_sort_block_merge_implIS3_N6thrust23THRUST_200600_302600_NS6detail15normal_iteratorINS9_10device_ptrIjEEEEPS5_jNS1_19radix_merge_compareILb0ELb1EjNS0_19identity_decomposerEEEEE10hipError_tT0_T1_T2_jT3_P12ihipStream_tbPNSt15iterator_traitsISK_E10value_typeEPNSQ_ISL_E10value_typeEPSM_NS1_7vsmem_tEENKUlT_SK_SL_SM_E_clISE_PjSF_SF_EESJ_SZ_SK_SL_SM_EUlSZ_E_NS1_11comp_targetILNS1_3genE4ELNS1_11target_archE910ELNS1_3gpuE8ELNS1_3repE0EEENS1_48merge_mergepath_partition_config_static_selectorELNS0_4arch9wavefront6targetE1EEEvSL_,comdat
.Lfunc_end1053:
	.size	_ZN7rocprim17ROCPRIM_400000_NS6detail17trampoline_kernelINS0_14default_configENS1_38merge_sort_block_merge_config_selectorIjNS0_10empty_typeEEEZZNS1_27merge_sort_block_merge_implIS3_N6thrust23THRUST_200600_302600_NS6detail15normal_iteratorINS9_10device_ptrIjEEEEPS5_jNS1_19radix_merge_compareILb0ELb1EjNS0_19identity_decomposerEEEEE10hipError_tT0_T1_T2_jT3_P12ihipStream_tbPNSt15iterator_traitsISK_E10value_typeEPNSQ_ISL_E10value_typeEPSM_NS1_7vsmem_tEENKUlT_SK_SL_SM_E_clISE_PjSF_SF_EESJ_SZ_SK_SL_SM_EUlSZ_E_NS1_11comp_targetILNS1_3genE4ELNS1_11target_archE910ELNS1_3gpuE8ELNS1_3repE0EEENS1_48merge_mergepath_partition_config_static_selectorELNS0_4arch9wavefront6targetE1EEEvSL_, .Lfunc_end1053-_ZN7rocprim17ROCPRIM_400000_NS6detail17trampoline_kernelINS0_14default_configENS1_38merge_sort_block_merge_config_selectorIjNS0_10empty_typeEEEZZNS1_27merge_sort_block_merge_implIS3_N6thrust23THRUST_200600_302600_NS6detail15normal_iteratorINS9_10device_ptrIjEEEEPS5_jNS1_19radix_merge_compareILb0ELb1EjNS0_19identity_decomposerEEEEE10hipError_tT0_T1_T2_jT3_P12ihipStream_tbPNSt15iterator_traitsISK_E10value_typeEPNSQ_ISL_E10value_typeEPSM_NS1_7vsmem_tEENKUlT_SK_SL_SM_E_clISE_PjSF_SF_EESJ_SZ_SK_SL_SM_EUlSZ_E_NS1_11comp_targetILNS1_3genE4ELNS1_11target_archE910ELNS1_3gpuE8ELNS1_3repE0EEENS1_48merge_mergepath_partition_config_static_selectorELNS0_4arch9wavefront6targetE1EEEvSL_
                                        ; -- End function
	.section	.AMDGPU.csdata,"",@progbits
; Kernel info:
; codeLenInByte = 376
; NumSgprs: 14
; NumVgprs: 17
; NumAgprs: 0
; TotalNumVgprs: 17
; ScratchSize: 0
; MemoryBound: 0
; FloatMode: 240
; IeeeMode: 1
; LDSByteSize: 0 bytes/workgroup (compile time only)
; SGPRBlocks: 1
; VGPRBlocks: 2
; NumSGPRsForWavesPerEU: 14
; NumVGPRsForWavesPerEU: 17
; AccumOffset: 20
; Occupancy: 8
; WaveLimiterHint : 0
; COMPUTE_PGM_RSRC2:SCRATCH_EN: 0
; COMPUTE_PGM_RSRC2:USER_SGPR: 6
; COMPUTE_PGM_RSRC2:TRAP_HANDLER: 0
; COMPUTE_PGM_RSRC2:TGID_X_EN: 1
; COMPUTE_PGM_RSRC2:TGID_Y_EN: 0
; COMPUTE_PGM_RSRC2:TGID_Z_EN: 0
; COMPUTE_PGM_RSRC2:TIDIG_COMP_CNT: 0
; COMPUTE_PGM_RSRC3_GFX90A:ACCUM_OFFSET: 4
; COMPUTE_PGM_RSRC3_GFX90A:TG_SPLIT: 0
	.section	.text._ZN7rocprim17ROCPRIM_400000_NS6detail17trampoline_kernelINS0_14default_configENS1_38merge_sort_block_merge_config_selectorIjNS0_10empty_typeEEEZZNS1_27merge_sort_block_merge_implIS3_N6thrust23THRUST_200600_302600_NS6detail15normal_iteratorINS9_10device_ptrIjEEEEPS5_jNS1_19radix_merge_compareILb0ELb1EjNS0_19identity_decomposerEEEEE10hipError_tT0_T1_T2_jT3_P12ihipStream_tbPNSt15iterator_traitsISK_E10value_typeEPNSQ_ISL_E10value_typeEPSM_NS1_7vsmem_tEENKUlT_SK_SL_SM_E_clISE_PjSF_SF_EESJ_SZ_SK_SL_SM_EUlSZ_E_NS1_11comp_targetILNS1_3genE3ELNS1_11target_archE908ELNS1_3gpuE7ELNS1_3repE0EEENS1_48merge_mergepath_partition_config_static_selectorELNS0_4arch9wavefront6targetE1EEEvSL_,"axG",@progbits,_ZN7rocprim17ROCPRIM_400000_NS6detail17trampoline_kernelINS0_14default_configENS1_38merge_sort_block_merge_config_selectorIjNS0_10empty_typeEEEZZNS1_27merge_sort_block_merge_implIS3_N6thrust23THRUST_200600_302600_NS6detail15normal_iteratorINS9_10device_ptrIjEEEEPS5_jNS1_19radix_merge_compareILb0ELb1EjNS0_19identity_decomposerEEEEE10hipError_tT0_T1_T2_jT3_P12ihipStream_tbPNSt15iterator_traitsISK_E10value_typeEPNSQ_ISL_E10value_typeEPSM_NS1_7vsmem_tEENKUlT_SK_SL_SM_E_clISE_PjSF_SF_EESJ_SZ_SK_SL_SM_EUlSZ_E_NS1_11comp_targetILNS1_3genE3ELNS1_11target_archE908ELNS1_3gpuE7ELNS1_3repE0EEENS1_48merge_mergepath_partition_config_static_selectorELNS0_4arch9wavefront6targetE1EEEvSL_,comdat
	.protected	_ZN7rocprim17ROCPRIM_400000_NS6detail17trampoline_kernelINS0_14default_configENS1_38merge_sort_block_merge_config_selectorIjNS0_10empty_typeEEEZZNS1_27merge_sort_block_merge_implIS3_N6thrust23THRUST_200600_302600_NS6detail15normal_iteratorINS9_10device_ptrIjEEEEPS5_jNS1_19radix_merge_compareILb0ELb1EjNS0_19identity_decomposerEEEEE10hipError_tT0_T1_T2_jT3_P12ihipStream_tbPNSt15iterator_traitsISK_E10value_typeEPNSQ_ISL_E10value_typeEPSM_NS1_7vsmem_tEENKUlT_SK_SL_SM_E_clISE_PjSF_SF_EESJ_SZ_SK_SL_SM_EUlSZ_E_NS1_11comp_targetILNS1_3genE3ELNS1_11target_archE908ELNS1_3gpuE7ELNS1_3repE0EEENS1_48merge_mergepath_partition_config_static_selectorELNS0_4arch9wavefront6targetE1EEEvSL_ ; -- Begin function _ZN7rocprim17ROCPRIM_400000_NS6detail17trampoline_kernelINS0_14default_configENS1_38merge_sort_block_merge_config_selectorIjNS0_10empty_typeEEEZZNS1_27merge_sort_block_merge_implIS3_N6thrust23THRUST_200600_302600_NS6detail15normal_iteratorINS9_10device_ptrIjEEEEPS5_jNS1_19radix_merge_compareILb0ELb1EjNS0_19identity_decomposerEEEEE10hipError_tT0_T1_T2_jT3_P12ihipStream_tbPNSt15iterator_traitsISK_E10value_typeEPNSQ_ISL_E10value_typeEPSM_NS1_7vsmem_tEENKUlT_SK_SL_SM_E_clISE_PjSF_SF_EESJ_SZ_SK_SL_SM_EUlSZ_E_NS1_11comp_targetILNS1_3genE3ELNS1_11target_archE908ELNS1_3gpuE7ELNS1_3repE0EEENS1_48merge_mergepath_partition_config_static_selectorELNS0_4arch9wavefront6targetE1EEEvSL_
	.globl	_ZN7rocprim17ROCPRIM_400000_NS6detail17trampoline_kernelINS0_14default_configENS1_38merge_sort_block_merge_config_selectorIjNS0_10empty_typeEEEZZNS1_27merge_sort_block_merge_implIS3_N6thrust23THRUST_200600_302600_NS6detail15normal_iteratorINS9_10device_ptrIjEEEEPS5_jNS1_19radix_merge_compareILb0ELb1EjNS0_19identity_decomposerEEEEE10hipError_tT0_T1_T2_jT3_P12ihipStream_tbPNSt15iterator_traitsISK_E10value_typeEPNSQ_ISL_E10value_typeEPSM_NS1_7vsmem_tEENKUlT_SK_SL_SM_E_clISE_PjSF_SF_EESJ_SZ_SK_SL_SM_EUlSZ_E_NS1_11comp_targetILNS1_3genE3ELNS1_11target_archE908ELNS1_3gpuE7ELNS1_3repE0EEENS1_48merge_mergepath_partition_config_static_selectorELNS0_4arch9wavefront6targetE1EEEvSL_
	.p2align	8
	.type	_ZN7rocprim17ROCPRIM_400000_NS6detail17trampoline_kernelINS0_14default_configENS1_38merge_sort_block_merge_config_selectorIjNS0_10empty_typeEEEZZNS1_27merge_sort_block_merge_implIS3_N6thrust23THRUST_200600_302600_NS6detail15normal_iteratorINS9_10device_ptrIjEEEEPS5_jNS1_19radix_merge_compareILb0ELb1EjNS0_19identity_decomposerEEEEE10hipError_tT0_T1_T2_jT3_P12ihipStream_tbPNSt15iterator_traitsISK_E10value_typeEPNSQ_ISL_E10value_typeEPSM_NS1_7vsmem_tEENKUlT_SK_SL_SM_E_clISE_PjSF_SF_EESJ_SZ_SK_SL_SM_EUlSZ_E_NS1_11comp_targetILNS1_3genE3ELNS1_11target_archE908ELNS1_3gpuE7ELNS1_3repE0EEENS1_48merge_mergepath_partition_config_static_selectorELNS0_4arch9wavefront6targetE1EEEvSL_,@function
_ZN7rocprim17ROCPRIM_400000_NS6detail17trampoline_kernelINS0_14default_configENS1_38merge_sort_block_merge_config_selectorIjNS0_10empty_typeEEEZZNS1_27merge_sort_block_merge_implIS3_N6thrust23THRUST_200600_302600_NS6detail15normal_iteratorINS9_10device_ptrIjEEEEPS5_jNS1_19radix_merge_compareILb0ELb1EjNS0_19identity_decomposerEEEEE10hipError_tT0_T1_T2_jT3_P12ihipStream_tbPNSt15iterator_traitsISK_E10value_typeEPNSQ_ISL_E10value_typeEPSM_NS1_7vsmem_tEENKUlT_SK_SL_SM_E_clISE_PjSF_SF_EESJ_SZ_SK_SL_SM_EUlSZ_E_NS1_11comp_targetILNS1_3genE3ELNS1_11target_archE908ELNS1_3gpuE7ELNS1_3repE0EEENS1_48merge_mergepath_partition_config_static_selectorELNS0_4arch9wavefront6targetE1EEEvSL_: ; @_ZN7rocprim17ROCPRIM_400000_NS6detail17trampoline_kernelINS0_14default_configENS1_38merge_sort_block_merge_config_selectorIjNS0_10empty_typeEEEZZNS1_27merge_sort_block_merge_implIS3_N6thrust23THRUST_200600_302600_NS6detail15normal_iteratorINS9_10device_ptrIjEEEEPS5_jNS1_19radix_merge_compareILb0ELb1EjNS0_19identity_decomposerEEEEE10hipError_tT0_T1_T2_jT3_P12ihipStream_tbPNSt15iterator_traitsISK_E10value_typeEPNSQ_ISL_E10value_typeEPSM_NS1_7vsmem_tEENKUlT_SK_SL_SM_E_clISE_PjSF_SF_EESJ_SZ_SK_SL_SM_EUlSZ_E_NS1_11comp_targetILNS1_3genE3ELNS1_11target_archE908ELNS1_3gpuE7ELNS1_3repE0EEENS1_48merge_mergepath_partition_config_static_selectorELNS0_4arch9wavefront6targetE1EEEvSL_
; %bb.0:
	.section	.rodata,"a",@progbits
	.p2align	6, 0x0
	.amdhsa_kernel _ZN7rocprim17ROCPRIM_400000_NS6detail17trampoline_kernelINS0_14default_configENS1_38merge_sort_block_merge_config_selectorIjNS0_10empty_typeEEEZZNS1_27merge_sort_block_merge_implIS3_N6thrust23THRUST_200600_302600_NS6detail15normal_iteratorINS9_10device_ptrIjEEEEPS5_jNS1_19radix_merge_compareILb0ELb1EjNS0_19identity_decomposerEEEEE10hipError_tT0_T1_T2_jT3_P12ihipStream_tbPNSt15iterator_traitsISK_E10value_typeEPNSQ_ISL_E10value_typeEPSM_NS1_7vsmem_tEENKUlT_SK_SL_SM_E_clISE_PjSF_SF_EESJ_SZ_SK_SL_SM_EUlSZ_E_NS1_11comp_targetILNS1_3genE3ELNS1_11target_archE908ELNS1_3gpuE7ELNS1_3repE0EEENS1_48merge_mergepath_partition_config_static_selectorELNS0_4arch9wavefront6targetE1EEEvSL_
		.amdhsa_group_segment_fixed_size 0
		.amdhsa_private_segment_fixed_size 0
		.amdhsa_kernarg_size 40
		.amdhsa_user_sgpr_count 6
		.amdhsa_user_sgpr_private_segment_buffer 1
		.amdhsa_user_sgpr_dispatch_ptr 0
		.amdhsa_user_sgpr_queue_ptr 0
		.amdhsa_user_sgpr_kernarg_segment_ptr 1
		.amdhsa_user_sgpr_dispatch_id 0
		.amdhsa_user_sgpr_flat_scratch_init 0
		.amdhsa_user_sgpr_kernarg_preload_length 0
		.amdhsa_user_sgpr_kernarg_preload_offset 0
		.amdhsa_user_sgpr_private_segment_size 0
		.amdhsa_uses_dynamic_stack 0
		.amdhsa_system_sgpr_private_segment_wavefront_offset 0
		.amdhsa_system_sgpr_workgroup_id_x 1
		.amdhsa_system_sgpr_workgroup_id_y 0
		.amdhsa_system_sgpr_workgroup_id_z 0
		.amdhsa_system_sgpr_workgroup_info 0
		.amdhsa_system_vgpr_workitem_id 0
		.amdhsa_next_free_vgpr 1
		.amdhsa_next_free_sgpr 0
		.amdhsa_accum_offset 4
		.amdhsa_reserve_vcc 0
		.amdhsa_reserve_flat_scratch 0
		.amdhsa_float_round_mode_32 0
		.amdhsa_float_round_mode_16_64 0
		.amdhsa_float_denorm_mode_32 3
		.amdhsa_float_denorm_mode_16_64 3
		.amdhsa_dx10_clamp 1
		.amdhsa_ieee_mode 1
		.amdhsa_fp16_overflow 0
		.amdhsa_tg_split 0
		.amdhsa_exception_fp_ieee_invalid_op 0
		.amdhsa_exception_fp_denorm_src 0
		.amdhsa_exception_fp_ieee_div_zero 0
		.amdhsa_exception_fp_ieee_overflow 0
		.amdhsa_exception_fp_ieee_underflow 0
		.amdhsa_exception_fp_ieee_inexact 0
		.amdhsa_exception_int_div_zero 0
	.end_amdhsa_kernel
	.section	.text._ZN7rocprim17ROCPRIM_400000_NS6detail17trampoline_kernelINS0_14default_configENS1_38merge_sort_block_merge_config_selectorIjNS0_10empty_typeEEEZZNS1_27merge_sort_block_merge_implIS3_N6thrust23THRUST_200600_302600_NS6detail15normal_iteratorINS9_10device_ptrIjEEEEPS5_jNS1_19radix_merge_compareILb0ELb1EjNS0_19identity_decomposerEEEEE10hipError_tT0_T1_T2_jT3_P12ihipStream_tbPNSt15iterator_traitsISK_E10value_typeEPNSQ_ISL_E10value_typeEPSM_NS1_7vsmem_tEENKUlT_SK_SL_SM_E_clISE_PjSF_SF_EESJ_SZ_SK_SL_SM_EUlSZ_E_NS1_11comp_targetILNS1_3genE3ELNS1_11target_archE908ELNS1_3gpuE7ELNS1_3repE0EEENS1_48merge_mergepath_partition_config_static_selectorELNS0_4arch9wavefront6targetE1EEEvSL_,"axG",@progbits,_ZN7rocprim17ROCPRIM_400000_NS6detail17trampoline_kernelINS0_14default_configENS1_38merge_sort_block_merge_config_selectorIjNS0_10empty_typeEEEZZNS1_27merge_sort_block_merge_implIS3_N6thrust23THRUST_200600_302600_NS6detail15normal_iteratorINS9_10device_ptrIjEEEEPS5_jNS1_19radix_merge_compareILb0ELb1EjNS0_19identity_decomposerEEEEE10hipError_tT0_T1_T2_jT3_P12ihipStream_tbPNSt15iterator_traitsISK_E10value_typeEPNSQ_ISL_E10value_typeEPSM_NS1_7vsmem_tEENKUlT_SK_SL_SM_E_clISE_PjSF_SF_EESJ_SZ_SK_SL_SM_EUlSZ_E_NS1_11comp_targetILNS1_3genE3ELNS1_11target_archE908ELNS1_3gpuE7ELNS1_3repE0EEENS1_48merge_mergepath_partition_config_static_selectorELNS0_4arch9wavefront6targetE1EEEvSL_,comdat
.Lfunc_end1054:
	.size	_ZN7rocprim17ROCPRIM_400000_NS6detail17trampoline_kernelINS0_14default_configENS1_38merge_sort_block_merge_config_selectorIjNS0_10empty_typeEEEZZNS1_27merge_sort_block_merge_implIS3_N6thrust23THRUST_200600_302600_NS6detail15normal_iteratorINS9_10device_ptrIjEEEEPS5_jNS1_19radix_merge_compareILb0ELb1EjNS0_19identity_decomposerEEEEE10hipError_tT0_T1_T2_jT3_P12ihipStream_tbPNSt15iterator_traitsISK_E10value_typeEPNSQ_ISL_E10value_typeEPSM_NS1_7vsmem_tEENKUlT_SK_SL_SM_E_clISE_PjSF_SF_EESJ_SZ_SK_SL_SM_EUlSZ_E_NS1_11comp_targetILNS1_3genE3ELNS1_11target_archE908ELNS1_3gpuE7ELNS1_3repE0EEENS1_48merge_mergepath_partition_config_static_selectorELNS0_4arch9wavefront6targetE1EEEvSL_, .Lfunc_end1054-_ZN7rocprim17ROCPRIM_400000_NS6detail17trampoline_kernelINS0_14default_configENS1_38merge_sort_block_merge_config_selectorIjNS0_10empty_typeEEEZZNS1_27merge_sort_block_merge_implIS3_N6thrust23THRUST_200600_302600_NS6detail15normal_iteratorINS9_10device_ptrIjEEEEPS5_jNS1_19radix_merge_compareILb0ELb1EjNS0_19identity_decomposerEEEEE10hipError_tT0_T1_T2_jT3_P12ihipStream_tbPNSt15iterator_traitsISK_E10value_typeEPNSQ_ISL_E10value_typeEPSM_NS1_7vsmem_tEENKUlT_SK_SL_SM_E_clISE_PjSF_SF_EESJ_SZ_SK_SL_SM_EUlSZ_E_NS1_11comp_targetILNS1_3genE3ELNS1_11target_archE908ELNS1_3gpuE7ELNS1_3repE0EEENS1_48merge_mergepath_partition_config_static_selectorELNS0_4arch9wavefront6targetE1EEEvSL_
                                        ; -- End function
	.section	.AMDGPU.csdata,"",@progbits
; Kernel info:
; codeLenInByte = 0
; NumSgprs: 4
; NumVgprs: 0
; NumAgprs: 0
; TotalNumVgprs: 0
; ScratchSize: 0
; MemoryBound: 0
; FloatMode: 240
; IeeeMode: 1
; LDSByteSize: 0 bytes/workgroup (compile time only)
; SGPRBlocks: 0
; VGPRBlocks: 0
; NumSGPRsForWavesPerEU: 4
; NumVGPRsForWavesPerEU: 1
; AccumOffset: 4
; Occupancy: 8
; WaveLimiterHint : 0
; COMPUTE_PGM_RSRC2:SCRATCH_EN: 0
; COMPUTE_PGM_RSRC2:USER_SGPR: 6
; COMPUTE_PGM_RSRC2:TRAP_HANDLER: 0
; COMPUTE_PGM_RSRC2:TGID_X_EN: 1
; COMPUTE_PGM_RSRC2:TGID_Y_EN: 0
; COMPUTE_PGM_RSRC2:TGID_Z_EN: 0
; COMPUTE_PGM_RSRC2:TIDIG_COMP_CNT: 0
; COMPUTE_PGM_RSRC3_GFX90A:ACCUM_OFFSET: 0
; COMPUTE_PGM_RSRC3_GFX90A:TG_SPLIT: 0
	.section	.text._ZN7rocprim17ROCPRIM_400000_NS6detail17trampoline_kernelINS0_14default_configENS1_38merge_sort_block_merge_config_selectorIjNS0_10empty_typeEEEZZNS1_27merge_sort_block_merge_implIS3_N6thrust23THRUST_200600_302600_NS6detail15normal_iteratorINS9_10device_ptrIjEEEEPS5_jNS1_19radix_merge_compareILb0ELb1EjNS0_19identity_decomposerEEEEE10hipError_tT0_T1_T2_jT3_P12ihipStream_tbPNSt15iterator_traitsISK_E10value_typeEPNSQ_ISL_E10value_typeEPSM_NS1_7vsmem_tEENKUlT_SK_SL_SM_E_clISE_PjSF_SF_EESJ_SZ_SK_SL_SM_EUlSZ_E_NS1_11comp_targetILNS1_3genE2ELNS1_11target_archE906ELNS1_3gpuE6ELNS1_3repE0EEENS1_48merge_mergepath_partition_config_static_selectorELNS0_4arch9wavefront6targetE1EEEvSL_,"axG",@progbits,_ZN7rocprim17ROCPRIM_400000_NS6detail17trampoline_kernelINS0_14default_configENS1_38merge_sort_block_merge_config_selectorIjNS0_10empty_typeEEEZZNS1_27merge_sort_block_merge_implIS3_N6thrust23THRUST_200600_302600_NS6detail15normal_iteratorINS9_10device_ptrIjEEEEPS5_jNS1_19radix_merge_compareILb0ELb1EjNS0_19identity_decomposerEEEEE10hipError_tT0_T1_T2_jT3_P12ihipStream_tbPNSt15iterator_traitsISK_E10value_typeEPNSQ_ISL_E10value_typeEPSM_NS1_7vsmem_tEENKUlT_SK_SL_SM_E_clISE_PjSF_SF_EESJ_SZ_SK_SL_SM_EUlSZ_E_NS1_11comp_targetILNS1_3genE2ELNS1_11target_archE906ELNS1_3gpuE6ELNS1_3repE0EEENS1_48merge_mergepath_partition_config_static_selectorELNS0_4arch9wavefront6targetE1EEEvSL_,comdat
	.protected	_ZN7rocprim17ROCPRIM_400000_NS6detail17trampoline_kernelINS0_14default_configENS1_38merge_sort_block_merge_config_selectorIjNS0_10empty_typeEEEZZNS1_27merge_sort_block_merge_implIS3_N6thrust23THRUST_200600_302600_NS6detail15normal_iteratorINS9_10device_ptrIjEEEEPS5_jNS1_19radix_merge_compareILb0ELb1EjNS0_19identity_decomposerEEEEE10hipError_tT0_T1_T2_jT3_P12ihipStream_tbPNSt15iterator_traitsISK_E10value_typeEPNSQ_ISL_E10value_typeEPSM_NS1_7vsmem_tEENKUlT_SK_SL_SM_E_clISE_PjSF_SF_EESJ_SZ_SK_SL_SM_EUlSZ_E_NS1_11comp_targetILNS1_3genE2ELNS1_11target_archE906ELNS1_3gpuE6ELNS1_3repE0EEENS1_48merge_mergepath_partition_config_static_selectorELNS0_4arch9wavefront6targetE1EEEvSL_ ; -- Begin function _ZN7rocprim17ROCPRIM_400000_NS6detail17trampoline_kernelINS0_14default_configENS1_38merge_sort_block_merge_config_selectorIjNS0_10empty_typeEEEZZNS1_27merge_sort_block_merge_implIS3_N6thrust23THRUST_200600_302600_NS6detail15normal_iteratorINS9_10device_ptrIjEEEEPS5_jNS1_19radix_merge_compareILb0ELb1EjNS0_19identity_decomposerEEEEE10hipError_tT0_T1_T2_jT3_P12ihipStream_tbPNSt15iterator_traitsISK_E10value_typeEPNSQ_ISL_E10value_typeEPSM_NS1_7vsmem_tEENKUlT_SK_SL_SM_E_clISE_PjSF_SF_EESJ_SZ_SK_SL_SM_EUlSZ_E_NS1_11comp_targetILNS1_3genE2ELNS1_11target_archE906ELNS1_3gpuE6ELNS1_3repE0EEENS1_48merge_mergepath_partition_config_static_selectorELNS0_4arch9wavefront6targetE1EEEvSL_
	.globl	_ZN7rocprim17ROCPRIM_400000_NS6detail17trampoline_kernelINS0_14default_configENS1_38merge_sort_block_merge_config_selectorIjNS0_10empty_typeEEEZZNS1_27merge_sort_block_merge_implIS3_N6thrust23THRUST_200600_302600_NS6detail15normal_iteratorINS9_10device_ptrIjEEEEPS5_jNS1_19radix_merge_compareILb0ELb1EjNS0_19identity_decomposerEEEEE10hipError_tT0_T1_T2_jT3_P12ihipStream_tbPNSt15iterator_traitsISK_E10value_typeEPNSQ_ISL_E10value_typeEPSM_NS1_7vsmem_tEENKUlT_SK_SL_SM_E_clISE_PjSF_SF_EESJ_SZ_SK_SL_SM_EUlSZ_E_NS1_11comp_targetILNS1_3genE2ELNS1_11target_archE906ELNS1_3gpuE6ELNS1_3repE0EEENS1_48merge_mergepath_partition_config_static_selectorELNS0_4arch9wavefront6targetE1EEEvSL_
	.p2align	8
	.type	_ZN7rocprim17ROCPRIM_400000_NS6detail17trampoline_kernelINS0_14default_configENS1_38merge_sort_block_merge_config_selectorIjNS0_10empty_typeEEEZZNS1_27merge_sort_block_merge_implIS3_N6thrust23THRUST_200600_302600_NS6detail15normal_iteratorINS9_10device_ptrIjEEEEPS5_jNS1_19radix_merge_compareILb0ELb1EjNS0_19identity_decomposerEEEEE10hipError_tT0_T1_T2_jT3_P12ihipStream_tbPNSt15iterator_traitsISK_E10value_typeEPNSQ_ISL_E10value_typeEPSM_NS1_7vsmem_tEENKUlT_SK_SL_SM_E_clISE_PjSF_SF_EESJ_SZ_SK_SL_SM_EUlSZ_E_NS1_11comp_targetILNS1_3genE2ELNS1_11target_archE906ELNS1_3gpuE6ELNS1_3repE0EEENS1_48merge_mergepath_partition_config_static_selectorELNS0_4arch9wavefront6targetE1EEEvSL_,@function
_ZN7rocprim17ROCPRIM_400000_NS6detail17trampoline_kernelINS0_14default_configENS1_38merge_sort_block_merge_config_selectorIjNS0_10empty_typeEEEZZNS1_27merge_sort_block_merge_implIS3_N6thrust23THRUST_200600_302600_NS6detail15normal_iteratorINS9_10device_ptrIjEEEEPS5_jNS1_19radix_merge_compareILb0ELb1EjNS0_19identity_decomposerEEEEE10hipError_tT0_T1_T2_jT3_P12ihipStream_tbPNSt15iterator_traitsISK_E10value_typeEPNSQ_ISL_E10value_typeEPSM_NS1_7vsmem_tEENKUlT_SK_SL_SM_E_clISE_PjSF_SF_EESJ_SZ_SK_SL_SM_EUlSZ_E_NS1_11comp_targetILNS1_3genE2ELNS1_11target_archE906ELNS1_3gpuE6ELNS1_3repE0EEENS1_48merge_mergepath_partition_config_static_selectorELNS0_4arch9wavefront6targetE1EEEvSL_: ; @_ZN7rocprim17ROCPRIM_400000_NS6detail17trampoline_kernelINS0_14default_configENS1_38merge_sort_block_merge_config_selectorIjNS0_10empty_typeEEEZZNS1_27merge_sort_block_merge_implIS3_N6thrust23THRUST_200600_302600_NS6detail15normal_iteratorINS9_10device_ptrIjEEEEPS5_jNS1_19radix_merge_compareILb0ELb1EjNS0_19identity_decomposerEEEEE10hipError_tT0_T1_T2_jT3_P12ihipStream_tbPNSt15iterator_traitsISK_E10value_typeEPNSQ_ISL_E10value_typeEPSM_NS1_7vsmem_tEENKUlT_SK_SL_SM_E_clISE_PjSF_SF_EESJ_SZ_SK_SL_SM_EUlSZ_E_NS1_11comp_targetILNS1_3genE2ELNS1_11target_archE906ELNS1_3gpuE6ELNS1_3repE0EEENS1_48merge_mergepath_partition_config_static_selectorELNS0_4arch9wavefront6targetE1EEEvSL_
; %bb.0:
	.section	.rodata,"a",@progbits
	.p2align	6, 0x0
	.amdhsa_kernel _ZN7rocprim17ROCPRIM_400000_NS6detail17trampoline_kernelINS0_14default_configENS1_38merge_sort_block_merge_config_selectorIjNS0_10empty_typeEEEZZNS1_27merge_sort_block_merge_implIS3_N6thrust23THRUST_200600_302600_NS6detail15normal_iteratorINS9_10device_ptrIjEEEEPS5_jNS1_19radix_merge_compareILb0ELb1EjNS0_19identity_decomposerEEEEE10hipError_tT0_T1_T2_jT3_P12ihipStream_tbPNSt15iterator_traitsISK_E10value_typeEPNSQ_ISL_E10value_typeEPSM_NS1_7vsmem_tEENKUlT_SK_SL_SM_E_clISE_PjSF_SF_EESJ_SZ_SK_SL_SM_EUlSZ_E_NS1_11comp_targetILNS1_3genE2ELNS1_11target_archE906ELNS1_3gpuE6ELNS1_3repE0EEENS1_48merge_mergepath_partition_config_static_selectorELNS0_4arch9wavefront6targetE1EEEvSL_
		.amdhsa_group_segment_fixed_size 0
		.amdhsa_private_segment_fixed_size 0
		.amdhsa_kernarg_size 40
		.amdhsa_user_sgpr_count 6
		.amdhsa_user_sgpr_private_segment_buffer 1
		.amdhsa_user_sgpr_dispatch_ptr 0
		.amdhsa_user_sgpr_queue_ptr 0
		.amdhsa_user_sgpr_kernarg_segment_ptr 1
		.amdhsa_user_sgpr_dispatch_id 0
		.amdhsa_user_sgpr_flat_scratch_init 0
		.amdhsa_user_sgpr_kernarg_preload_length 0
		.amdhsa_user_sgpr_kernarg_preload_offset 0
		.amdhsa_user_sgpr_private_segment_size 0
		.amdhsa_uses_dynamic_stack 0
		.amdhsa_system_sgpr_private_segment_wavefront_offset 0
		.amdhsa_system_sgpr_workgroup_id_x 1
		.amdhsa_system_sgpr_workgroup_id_y 0
		.amdhsa_system_sgpr_workgroup_id_z 0
		.amdhsa_system_sgpr_workgroup_info 0
		.amdhsa_system_vgpr_workitem_id 0
		.amdhsa_next_free_vgpr 1
		.amdhsa_next_free_sgpr 0
		.amdhsa_accum_offset 4
		.amdhsa_reserve_vcc 0
		.amdhsa_reserve_flat_scratch 0
		.amdhsa_float_round_mode_32 0
		.amdhsa_float_round_mode_16_64 0
		.amdhsa_float_denorm_mode_32 3
		.amdhsa_float_denorm_mode_16_64 3
		.amdhsa_dx10_clamp 1
		.amdhsa_ieee_mode 1
		.amdhsa_fp16_overflow 0
		.amdhsa_tg_split 0
		.amdhsa_exception_fp_ieee_invalid_op 0
		.amdhsa_exception_fp_denorm_src 0
		.amdhsa_exception_fp_ieee_div_zero 0
		.amdhsa_exception_fp_ieee_overflow 0
		.amdhsa_exception_fp_ieee_underflow 0
		.amdhsa_exception_fp_ieee_inexact 0
		.amdhsa_exception_int_div_zero 0
	.end_amdhsa_kernel
	.section	.text._ZN7rocprim17ROCPRIM_400000_NS6detail17trampoline_kernelINS0_14default_configENS1_38merge_sort_block_merge_config_selectorIjNS0_10empty_typeEEEZZNS1_27merge_sort_block_merge_implIS3_N6thrust23THRUST_200600_302600_NS6detail15normal_iteratorINS9_10device_ptrIjEEEEPS5_jNS1_19radix_merge_compareILb0ELb1EjNS0_19identity_decomposerEEEEE10hipError_tT0_T1_T2_jT3_P12ihipStream_tbPNSt15iterator_traitsISK_E10value_typeEPNSQ_ISL_E10value_typeEPSM_NS1_7vsmem_tEENKUlT_SK_SL_SM_E_clISE_PjSF_SF_EESJ_SZ_SK_SL_SM_EUlSZ_E_NS1_11comp_targetILNS1_3genE2ELNS1_11target_archE906ELNS1_3gpuE6ELNS1_3repE0EEENS1_48merge_mergepath_partition_config_static_selectorELNS0_4arch9wavefront6targetE1EEEvSL_,"axG",@progbits,_ZN7rocprim17ROCPRIM_400000_NS6detail17trampoline_kernelINS0_14default_configENS1_38merge_sort_block_merge_config_selectorIjNS0_10empty_typeEEEZZNS1_27merge_sort_block_merge_implIS3_N6thrust23THRUST_200600_302600_NS6detail15normal_iteratorINS9_10device_ptrIjEEEEPS5_jNS1_19radix_merge_compareILb0ELb1EjNS0_19identity_decomposerEEEEE10hipError_tT0_T1_T2_jT3_P12ihipStream_tbPNSt15iterator_traitsISK_E10value_typeEPNSQ_ISL_E10value_typeEPSM_NS1_7vsmem_tEENKUlT_SK_SL_SM_E_clISE_PjSF_SF_EESJ_SZ_SK_SL_SM_EUlSZ_E_NS1_11comp_targetILNS1_3genE2ELNS1_11target_archE906ELNS1_3gpuE6ELNS1_3repE0EEENS1_48merge_mergepath_partition_config_static_selectorELNS0_4arch9wavefront6targetE1EEEvSL_,comdat
.Lfunc_end1055:
	.size	_ZN7rocprim17ROCPRIM_400000_NS6detail17trampoline_kernelINS0_14default_configENS1_38merge_sort_block_merge_config_selectorIjNS0_10empty_typeEEEZZNS1_27merge_sort_block_merge_implIS3_N6thrust23THRUST_200600_302600_NS6detail15normal_iteratorINS9_10device_ptrIjEEEEPS5_jNS1_19radix_merge_compareILb0ELb1EjNS0_19identity_decomposerEEEEE10hipError_tT0_T1_T2_jT3_P12ihipStream_tbPNSt15iterator_traitsISK_E10value_typeEPNSQ_ISL_E10value_typeEPSM_NS1_7vsmem_tEENKUlT_SK_SL_SM_E_clISE_PjSF_SF_EESJ_SZ_SK_SL_SM_EUlSZ_E_NS1_11comp_targetILNS1_3genE2ELNS1_11target_archE906ELNS1_3gpuE6ELNS1_3repE0EEENS1_48merge_mergepath_partition_config_static_selectorELNS0_4arch9wavefront6targetE1EEEvSL_, .Lfunc_end1055-_ZN7rocprim17ROCPRIM_400000_NS6detail17trampoline_kernelINS0_14default_configENS1_38merge_sort_block_merge_config_selectorIjNS0_10empty_typeEEEZZNS1_27merge_sort_block_merge_implIS3_N6thrust23THRUST_200600_302600_NS6detail15normal_iteratorINS9_10device_ptrIjEEEEPS5_jNS1_19radix_merge_compareILb0ELb1EjNS0_19identity_decomposerEEEEE10hipError_tT0_T1_T2_jT3_P12ihipStream_tbPNSt15iterator_traitsISK_E10value_typeEPNSQ_ISL_E10value_typeEPSM_NS1_7vsmem_tEENKUlT_SK_SL_SM_E_clISE_PjSF_SF_EESJ_SZ_SK_SL_SM_EUlSZ_E_NS1_11comp_targetILNS1_3genE2ELNS1_11target_archE906ELNS1_3gpuE6ELNS1_3repE0EEENS1_48merge_mergepath_partition_config_static_selectorELNS0_4arch9wavefront6targetE1EEEvSL_
                                        ; -- End function
	.section	.AMDGPU.csdata,"",@progbits
; Kernel info:
; codeLenInByte = 0
; NumSgprs: 4
; NumVgprs: 0
; NumAgprs: 0
; TotalNumVgprs: 0
; ScratchSize: 0
; MemoryBound: 0
; FloatMode: 240
; IeeeMode: 1
; LDSByteSize: 0 bytes/workgroup (compile time only)
; SGPRBlocks: 0
; VGPRBlocks: 0
; NumSGPRsForWavesPerEU: 4
; NumVGPRsForWavesPerEU: 1
; AccumOffset: 4
; Occupancy: 8
; WaveLimiterHint : 0
; COMPUTE_PGM_RSRC2:SCRATCH_EN: 0
; COMPUTE_PGM_RSRC2:USER_SGPR: 6
; COMPUTE_PGM_RSRC2:TRAP_HANDLER: 0
; COMPUTE_PGM_RSRC2:TGID_X_EN: 1
; COMPUTE_PGM_RSRC2:TGID_Y_EN: 0
; COMPUTE_PGM_RSRC2:TGID_Z_EN: 0
; COMPUTE_PGM_RSRC2:TIDIG_COMP_CNT: 0
; COMPUTE_PGM_RSRC3_GFX90A:ACCUM_OFFSET: 0
; COMPUTE_PGM_RSRC3_GFX90A:TG_SPLIT: 0
	.section	.text._ZN7rocprim17ROCPRIM_400000_NS6detail17trampoline_kernelINS0_14default_configENS1_38merge_sort_block_merge_config_selectorIjNS0_10empty_typeEEEZZNS1_27merge_sort_block_merge_implIS3_N6thrust23THRUST_200600_302600_NS6detail15normal_iteratorINS9_10device_ptrIjEEEEPS5_jNS1_19radix_merge_compareILb0ELb1EjNS0_19identity_decomposerEEEEE10hipError_tT0_T1_T2_jT3_P12ihipStream_tbPNSt15iterator_traitsISK_E10value_typeEPNSQ_ISL_E10value_typeEPSM_NS1_7vsmem_tEENKUlT_SK_SL_SM_E_clISE_PjSF_SF_EESJ_SZ_SK_SL_SM_EUlSZ_E_NS1_11comp_targetILNS1_3genE9ELNS1_11target_archE1100ELNS1_3gpuE3ELNS1_3repE0EEENS1_48merge_mergepath_partition_config_static_selectorELNS0_4arch9wavefront6targetE1EEEvSL_,"axG",@progbits,_ZN7rocprim17ROCPRIM_400000_NS6detail17trampoline_kernelINS0_14default_configENS1_38merge_sort_block_merge_config_selectorIjNS0_10empty_typeEEEZZNS1_27merge_sort_block_merge_implIS3_N6thrust23THRUST_200600_302600_NS6detail15normal_iteratorINS9_10device_ptrIjEEEEPS5_jNS1_19radix_merge_compareILb0ELb1EjNS0_19identity_decomposerEEEEE10hipError_tT0_T1_T2_jT3_P12ihipStream_tbPNSt15iterator_traitsISK_E10value_typeEPNSQ_ISL_E10value_typeEPSM_NS1_7vsmem_tEENKUlT_SK_SL_SM_E_clISE_PjSF_SF_EESJ_SZ_SK_SL_SM_EUlSZ_E_NS1_11comp_targetILNS1_3genE9ELNS1_11target_archE1100ELNS1_3gpuE3ELNS1_3repE0EEENS1_48merge_mergepath_partition_config_static_selectorELNS0_4arch9wavefront6targetE1EEEvSL_,comdat
	.protected	_ZN7rocprim17ROCPRIM_400000_NS6detail17trampoline_kernelINS0_14default_configENS1_38merge_sort_block_merge_config_selectorIjNS0_10empty_typeEEEZZNS1_27merge_sort_block_merge_implIS3_N6thrust23THRUST_200600_302600_NS6detail15normal_iteratorINS9_10device_ptrIjEEEEPS5_jNS1_19radix_merge_compareILb0ELb1EjNS0_19identity_decomposerEEEEE10hipError_tT0_T1_T2_jT3_P12ihipStream_tbPNSt15iterator_traitsISK_E10value_typeEPNSQ_ISL_E10value_typeEPSM_NS1_7vsmem_tEENKUlT_SK_SL_SM_E_clISE_PjSF_SF_EESJ_SZ_SK_SL_SM_EUlSZ_E_NS1_11comp_targetILNS1_3genE9ELNS1_11target_archE1100ELNS1_3gpuE3ELNS1_3repE0EEENS1_48merge_mergepath_partition_config_static_selectorELNS0_4arch9wavefront6targetE1EEEvSL_ ; -- Begin function _ZN7rocprim17ROCPRIM_400000_NS6detail17trampoline_kernelINS0_14default_configENS1_38merge_sort_block_merge_config_selectorIjNS0_10empty_typeEEEZZNS1_27merge_sort_block_merge_implIS3_N6thrust23THRUST_200600_302600_NS6detail15normal_iteratorINS9_10device_ptrIjEEEEPS5_jNS1_19radix_merge_compareILb0ELb1EjNS0_19identity_decomposerEEEEE10hipError_tT0_T1_T2_jT3_P12ihipStream_tbPNSt15iterator_traitsISK_E10value_typeEPNSQ_ISL_E10value_typeEPSM_NS1_7vsmem_tEENKUlT_SK_SL_SM_E_clISE_PjSF_SF_EESJ_SZ_SK_SL_SM_EUlSZ_E_NS1_11comp_targetILNS1_3genE9ELNS1_11target_archE1100ELNS1_3gpuE3ELNS1_3repE0EEENS1_48merge_mergepath_partition_config_static_selectorELNS0_4arch9wavefront6targetE1EEEvSL_
	.globl	_ZN7rocprim17ROCPRIM_400000_NS6detail17trampoline_kernelINS0_14default_configENS1_38merge_sort_block_merge_config_selectorIjNS0_10empty_typeEEEZZNS1_27merge_sort_block_merge_implIS3_N6thrust23THRUST_200600_302600_NS6detail15normal_iteratorINS9_10device_ptrIjEEEEPS5_jNS1_19radix_merge_compareILb0ELb1EjNS0_19identity_decomposerEEEEE10hipError_tT0_T1_T2_jT3_P12ihipStream_tbPNSt15iterator_traitsISK_E10value_typeEPNSQ_ISL_E10value_typeEPSM_NS1_7vsmem_tEENKUlT_SK_SL_SM_E_clISE_PjSF_SF_EESJ_SZ_SK_SL_SM_EUlSZ_E_NS1_11comp_targetILNS1_3genE9ELNS1_11target_archE1100ELNS1_3gpuE3ELNS1_3repE0EEENS1_48merge_mergepath_partition_config_static_selectorELNS0_4arch9wavefront6targetE1EEEvSL_
	.p2align	8
	.type	_ZN7rocprim17ROCPRIM_400000_NS6detail17trampoline_kernelINS0_14default_configENS1_38merge_sort_block_merge_config_selectorIjNS0_10empty_typeEEEZZNS1_27merge_sort_block_merge_implIS3_N6thrust23THRUST_200600_302600_NS6detail15normal_iteratorINS9_10device_ptrIjEEEEPS5_jNS1_19radix_merge_compareILb0ELb1EjNS0_19identity_decomposerEEEEE10hipError_tT0_T1_T2_jT3_P12ihipStream_tbPNSt15iterator_traitsISK_E10value_typeEPNSQ_ISL_E10value_typeEPSM_NS1_7vsmem_tEENKUlT_SK_SL_SM_E_clISE_PjSF_SF_EESJ_SZ_SK_SL_SM_EUlSZ_E_NS1_11comp_targetILNS1_3genE9ELNS1_11target_archE1100ELNS1_3gpuE3ELNS1_3repE0EEENS1_48merge_mergepath_partition_config_static_selectorELNS0_4arch9wavefront6targetE1EEEvSL_,@function
_ZN7rocprim17ROCPRIM_400000_NS6detail17trampoline_kernelINS0_14default_configENS1_38merge_sort_block_merge_config_selectorIjNS0_10empty_typeEEEZZNS1_27merge_sort_block_merge_implIS3_N6thrust23THRUST_200600_302600_NS6detail15normal_iteratorINS9_10device_ptrIjEEEEPS5_jNS1_19radix_merge_compareILb0ELb1EjNS0_19identity_decomposerEEEEE10hipError_tT0_T1_T2_jT3_P12ihipStream_tbPNSt15iterator_traitsISK_E10value_typeEPNSQ_ISL_E10value_typeEPSM_NS1_7vsmem_tEENKUlT_SK_SL_SM_E_clISE_PjSF_SF_EESJ_SZ_SK_SL_SM_EUlSZ_E_NS1_11comp_targetILNS1_3genE9ELNS1_11target_archE1100ELNS1_3gpuE3ELNS1_3repE0EEENS1_48merge_mergepath_partition_config_static_selectorELNS0_4arch9wavefront6targetE1EEEvSL_: ; @_ZN7rocprim17ROCPRIM_400000_NS6detail17trampoline_kernelINS0_14default_configENS1_38merge_sort_block_merge_config_selectorIjNS0_10empty_typeEEEZZNS1_27merge_sort_block_merge_implIS3_N6thrust23THRUST_200600_302600_NS6detail15normal_iteratorINS9_10device_ptrIjEEEEPS5_jNS1_19radix_merge_compareILb0ELb1EjNS0_19identity_decomposerEEEEE10hipError_tT0_T1_T2_jT3_P12ihipStream_tbPNSt15iterator_traitsISK_E10value_typeEPNSQ_ISL_E10value_typeEPSM_NS1_7vsmem_tEENKUlT_SK_SL_SM_E_clISE_PjSF_SF_EESJ_SZ_SK_SL_SM_EUlSZ_E_NS1_11comp_targetILNS1_3genE9ELNS1_11target_archE1100ELNS1_3gpuE3ELNS1_3repE0EEENS1_48merge_mergepath_partition_config_static_selectorELNS0_4arch9wavefront6targetE1EEEvSL_
; %bb.0:
	.section	.rodata,"a",@progbits
	.p2align	6, 0x0
	.amdhsa_kernel _ZN7rocprim17ROCPRIM_400000_NS6detail17trampoline_kernelINS0_14default_configENS1_38merge_sort_block_merge_config_selectorIjNS0_10empty_typeEEEZZNS1_27merge_sort_block_merge_implIS3_N6thrust23THRUST_200600_302600_NS6detail15normal_iteratorINS9_10device_ptrIjEEEEPS5_jNS1_19radix_merge_compareILb0ELb1EjNS0_19identity_decomposerEEEEE10hipError_tT0_T1_T2_jT3_P12ihipStream_tbPNSt15iterator_traitsISK_E10value_typeEPNSQ_ISL_E10value_typeEPSM_NS1_7vsmem_tEENKUlT_SK_SL_SM_E_clISE_PjSF_SF_EESJ_SZ_SK_SL_SM_EUlSZ_E_NS1_11comp_targetILNS1_3genE9ELNS1_11target_archE1100ELNS1_3gpuE3ELNS1_3repE0EEENS1_48merge_mergepath_partition_config_static_selectorELNS0_4arch9wavefront6targetE1EEEvSL_
		.amdhsa_group_segment_fixed_size 0
		.amdhsa_private_segment_fixed_size 0
		.amdhsa_kernarg_size 40
		.amdhsa_user_sgpr_count 6
		.amdhsa_user_sgpr_private_segment_buffer 1
		.amdhsa_user_sgpr_dispatch_ptr 0
		.amdhsa_user_sgpr_queue_ptr 0
		.amdhsa_user_sgpr_kernarg_segment_ptr 1
		.amdhsa_user_sgpr_dispatch_id 0
		.amdhsa_user_sgpr_flat_scratch_init 0
		.amdhsa_user_sgpr_kernarg_preload_length 0
		.amdhsa_user_sgpr_kernarg_preload_offset 0
		.amdhsa_user_sgpr_private_segment_size 0
		.amdhsa_uses_dynamic_stack 0
		.amdhsa_system_sgpr_private_segment_wavefront_offset 0
		.amdhsa_system_sgpr_workgroup_id_x 1
		.amdhsa_system_sgpr_workgroup_id_y 0
		.amdhsa_system_sgpr_workgroup_id_z 0
		.amdhsa_system_sgpr_workgroup_info 0
		.amdhsa_system_vgpr_workitem_id 0
		.amdhsa_next_free_vgpr 1
		.amdhsa_next_free_sgpr 0
		.amdhsa_accum_offset 4
		.amdhsa_reserve_vcc 0
		.amdhsa_reserve_flat_scratch 0
		.amdhsa_float_round_mode_32 0
		.amdhsa_float_round_mode_16_64 0
		.amdhsa_float_denorm_mode_32 3
		.amdhsa_float_denorm_mode_16_64 3
		.amdhsa_dx10_clamp 1
		.amdhsa_ieee_mode 1
		.amdhsa_fp16_overflow 0
		.amdhsa_tg_split 0
		.amdhsa_exception_fp_ieee_invalid_op 0
		.amdhsa_exception_fp_denorm_src 0
		.amdhsa_exception_fp_ieee_div_zero 0
		.amdhsa_exception_fp_ieee_overflow 0
		.amdhsa_exception_fp_ieee_underflow 0
		.amdhsa_exception_fp_ieee_inexact 0
		.amdhsa_exception_int_div_zero 0
	.end_amdhsa_kernel
	.section	.text._ZN7rocprim17ROCPRIM_400000_NS6detail17trampoline_kernelINS0_14default_configENS1_38merge_sort_block_merge_config_selectorIjNS0_10empty_typeEEEZZNS1_27merge_sort_block_merge_implIS3_N6thrust23THRUST_200600_302600_NS6detail15normal_iteratorINS9_10device_ptrIjEEEEPS5_jNS1_19radix_merge_compareILb0ELb1EjNS0_19identity_decomposerEEEEE10hipError_tT0_T1_T2_jT3_P12ihipStream_tbPNSt15iterator_traitsISK_E10value_typeEPNSQ_ISL_E10value_typeEPSM_NS1_7vsmem_tEENKUlT_SK_SL_SM_E_clISE_PjSF_SF_EESJ_SZ_SK_SL_SM_EUlSZ_E_NS1_11comp_targetILNS1_3genE9ELNS1_11target_archE1100ELNS1_3gpuE3ELNS1_3repE0EEENS1_48merge_mergepath_partition_config_static_selectorELNS0_4arch9wavefront6targetE1EEEvSL_,"axG",@progbits,_ZN7rocprim17ROCPRIM_400000_NS6detail17trampoline_kernelINS0_14default_configENS1_38merge_sort_block_merge_config_selectorIjNS0_10empty_typeEEEZZNS1_27merge_sort_block_merge_implIS3_N6thrust23THRUST_200600_302600_NS6detail15normal_iteratorINS9_10device_ptrIjEEEEPS5_jNS1_19radix_merge_compareILb0ELb1EjNS0_19identity_decomposerEEEEE10hipError_tT0_T1_T2_jT3_P12ihipStream_tbPNSt15iterator_traitsISK_E10value_typeEPNSQ_ISL_E10value_typeEPSM_NS1_7vsmem_tEENKUlT_SK_SL_SM_E_clISE_PjSF_SF_EESJ_SZ_SK_SL_SM_EUlSZ_E_NS1_11comp_targetILNS1_3genE9ELNS1_11target_archE1100ELNS1_3gpuE3ELNS1_3repE0EEENS1_48merge_mergepath_partition_config_static_selectorELNS0_4arch9wavefront6targetE1EEEvSL_,comdat
.Lfunc_end1056:
	.size	_ZN7rocprim17ROCPRIM_400000_NS6detail17trampoline_kernelINS0_14default_configENS1_38merge_sort_block_merge_config_selectorIjNS0_10empty_typeEEEZZNS1_27merge_sort_block_merge_implIS3_N6thrust23THRUST_200600_302600_NS6detail15normal_iteratorINS9_10device_ptrIjEEEEPS5_jNS1_19radix_merge_compareILb0ELb1EjNS0_19identity_decomposerEEEEE10hipError_tT0_T1_T2_jT3_P12ihipStream_tbPNSt15iterator_traitsISK_E10value_typeEPNSQ_ISL_E10value_typeEPSM_NS1_7vsmem_tEENKUlT_SK_SL_SM_E_clISE_PjSF_SF_EESJ_SZ_SK_SL_SM_EUlSZ_E_NS1_11comp_targetILNS1_3genE9ELNS1_11target_archE1100ELNS1_3gpuE3ELNS1_3repE0EEENS1_48merge_mergepath_partition_config_static_selectorELNS0_4arch9wavefront6targetE1EEEvSL_, .Lfunc_end1056-_ZN7rocprim17ROCPRIM_400000_NS6detail17trampoline_kernelINS0_14default_configENS1_38merge_sort_block_merge_config_selectorIjNS0_10empty_typeEEEZZNS1_27merge_sort_block_merge_implIS3_N6thrust23THRUST_200600_302600_NS6detail15normal_iteratorINS9_10device_ptrIjEEEEPS5_jNS1_19radix_merge_compareILb0ELb1EjNS0_19identity_decomposerEEEEE10hipError_tT0_T1_T2_jT3_P12ihipStream_tbPNSt15iterator_traitsISK_E10value_typeEPNSQ_ISL_E10value_typeEPSM_NS1_7vsmem_tEENKUlT_SK_SL_SM_E_clISE_PjSF_SF_EESJ_SZ_SK_SL_SM_EUlSZ_E_NS1_11comp_targetILNS1_3genE9ELNS1_11target_archE1100ELNS1_3gpuE3ELNS1_3repE0EEENS1_48merge_mergepath_partition_config_static_selectorELNS0_4arch9wavefront6targetE1EEEvSL_
                                        ; -- End function
	.section	.AMDGPU.csdata,"",@progbits
; Kernel info:
; codeLenInByte = 0
; NumSgprs: 4
; NumVgprs: 0
; NumAgprs: 0
; TotalNumVgprs: 0
; ScratchSize: 0
; MemoryBound: 0
; FloatMode: 240
; IeeeMode: 1
; LDSByteSize: 0 bytes/workgroup (compile time only)
; SGPRBlocks: 0
; VGPRBlocks: 0
; NumSGPRsForWavesPerEU: 4
; NumVGPRsForWavesPerEU: 1
; AccumOffset: 4
; Occupancy: 8
; WaveLimiterHint : 0
; COMPUTE_PGM_RSRC2:SCRATCH_EN: 0
; COMPUTE_PGM_RSRC2:USER_SGPR: 6
; COMPUTE_PGM_RSRC2:TRAP_HANDLER: 0
; COMPUTE_PGM_RSRC2:TGID_X_EN: 1
; COMPUTE_PGM_RSRC2:TGID_Y_EN: 0
; COMPUTE_PGM_RSRC2:TGID_Z_EN: 0
; COMPUTE_PGM_RSRC2:TIDIG_COMP_CNT: 0
; COMPUTE_PGM_RSRC3_GFX90A:ACCUM_OFFSET: 0
; COMPUTE_PGM_RSRC3_GFX90A:TG_SPLIT: 0
	.section	.text._ZN7rocprim17ROCPRIM_400000_NS6detail17trampoline_kernelINS0_14default_configENS1_38merge_sort_block_merge_config_selectorIjNS0_10empty_typeEEEZZNS1_27merge_sort_block_merge_implIS3_N6thrust23THRUST_200600_302600_NS6detail15normal_iteratorINS9_10device_ptrIjEEEEPS5_jNS1_19radix_merge_compareILb0ELb1EjNS0_19identity_decomposerEEEEE10hipError_tT0_T1_T2_jT3_P12ihipStream_tbPNSt15iterator_traitsISK_E10value_typeEPNSQ_ISL_E10value_typeEPSM_NS1_7vsmem_tEENKUlT_SK_SL_SM_E_clISE_PjSF_SF_EESJ_SZ_SK_SL_SM_EUlSZ_E_NS1_11comp_targetILNS1_3genE8ELNS1_11target_archE1030ELNS1_3gpuE2ELNS1_3repE0EEENS1_48merge_mergepath_partition_config_static_selectorELNS0_4arch9wavefront6targetE1EEEvSL_,"axG",@progbits,_ZN7rocprim17ROCPRIM_400000_NS6detail17trampoline_kernelINS0_14default_configENS1_38merge_sort_block_merge_config_selectorIjNS0_10empty_typeEEEZZNS1_27merge_sort_block_merge_implIS3_N6thrust23THRUST_200600_302600_NS6detail15normal_iteratorINS9_10device_ptrIjEEEEPS5_jNS1_19radix_merge_compareILb0ELb1EjNS0_19identity_decomposerEEEEE10hipError_tT0_T1_T2_jT3_P12ihipStream_tbPNSt15iterator_traitsISK_E10value_typeEPNSQ_ISL_E10value_typeEPSM_NS1_7vsmem_tEENKUlT_SK_SL_SM_E_clISE_PjSF_SF_EESJ_SZ_SK_SL_SM_EUlSZ_E_NS1_11comp_targetILNS1_3genE8ELNS1_11target_archE1030ELNS1_3gpuE2ELNS1_3repE0EEENS1_48merge_mergepath_partition_config_static_selectorELNS0_4arch9wavefront6targetE1EEEvSL_,comdat
	.protected	_ZN7rocprim17ROCPRIM_400000_NS6detail17trampoline_kernelINS0_14default_configENS1_38merge_sort_block_merge_config_selectorIjNS0_10empty_typeEEEZZNS1_27merge_sort_block_merge_implIS3_N6thrust23THRUST_200600_302600_NS6detail15normal_iteratorINS9_10device_ptrIjEEEEPS5_jNS1_19radix_merge_compareILb0ELb1EjNS0_19identity_decomposerEEEEE10hipError_tT0_T1_T2_jT3_P12ihipStream_tbPNSt15iterator_traitsISK_E10value_typeEPNSQ_ISL_E10value_typeEPSM_NS1_7vsmem_tEENKUlT_SK_SL_SM_E_clISE_PjSF_SF_EESJ_SZ_SK_SL_SM_EUlSZ_E_NS1_11comp_targetILNS1_3genE8ELNS1_11target_archE1030ELNS1_3gpuE2ELNS1_3repE0EEENS1_48merge_mergepath_partition_config_static_selectorELNS0_4arch9wavefront6targetE1EEEvSL_ ; -- Begin function _ZN7rocprim17ROCPRIM_400000_NS6detail17trampoline_kernelINS0_14default_configENS1_38merge_sort_block_merge_config_selectorIjNS0_10empty_typeEEEZZNS1_27merge_sort_block_merge_implIS3_N6thrust23THRUST_200600_302600_NS6detail15normal_iteratorINS9_10device_ptrIjEEEEPS5_jNS1_19radix_merge_compareILb0ELb1EjNS0_19identity_decomposerEEEEE10hipError_tT0_T1_T2_jT3_P12ihipStream_tbPNSt15iterator_traitsISK_E10value_typeEPNSQ_ISL_E10value_typeEPSM_NS1_7vsmem_tEENKUlT_SK_SL_SM_E_clISE_PjSF_SF_EESJ_SZ_SK_SL_SM_EUlSZ_E_NS1_11comp_targetILNS1_3genE8ELNS1_11target_archE1030ELNS1_3gpuE2ELNS1_3repE0EEENS1_48merge_mergepath_partition_config_static_selectorELNS0_4arch9wavefront6targetE1EEEvSL_
	.globl	_ZN7rocprim17ROCPRIM_400000_NS6detail17trampoline_kernelINS0_14default_configENS1_38merge_sort_block_merge_config_selectorIjNS0_10empty_typeEEEZZNS1_27merge_sort_block_merge_implIS3_N6thrust23THRUST_200600_302600_NS6detail15normal_iteratorINS9_10device_ptrIjEEEEPS5_jNS1_19radix_merge_compareILb0ELb1EjNS0_19identity_decomposerEEEEE10hipError_tT0_T1_T2_jT3_P12ihipStream_tbPNSt15iterator_traitsISK_E10value_typeEPNSQ_ISL_E10value_typeEPSM_NS1_7vsmem_tEENKUlT_SK_SL_SM_E_clISE_PjSF_SF_EESJ_SZ_SK_SL_SM_EUlSZ_E_NS1_11comp_targetILNS1_3genE8ELNS1_11target_archE1030ELNS1_3gpuE2ELNS1_3repE0EEENS1_48merge_mergepath_partition_config_static_selectorELNS0_4arch9wavefront6targetE1EEEvSL_
	.p2align	8
	.type	_ZN7rocprim17ROCPRIM_400000_NS6detail17trampoline_kernelINS0_14default_configENS1_38merge_sort_block_merge_config_selectorIjNS0_10empty_typeEEEZZNS1_27merge_sort_block_merge_implIS3_N6thrust23THRUST_200600_302600_NS6detail15normal_iteratorINS9_10device_ptrIjEEEEPS5_jNS1_19radix_merge_compareILb0ELb1EjNS0_19identity_decomposerEEEEE10hipError_tT0_T1_T2_jT3_P12ihipStream_tbPNSt15iterator_traitsISK_E10value_typeEPNSQ_ISL_E10value_typeEPSM_NS1_7vsmem_tEENKUlT_SK_SL_SM_E_clISE_PjSF_SF_EESJ_SZ_SK_SL_SM_EUlSZ_E_NS1_11comp_targetILNS1_3genE8ELNS1_11target_archE1030ELNS1_3gpuE2ELNS1_3repE0EEENS1_48merge_mergepath_partition_config_static_selectorELNS0_4arch9wavefront6targetE1EEEvSL_,@function
_ZN7rocprim17ROCPRIM_400000_NS6detail17trampoline_kernelINS0_14default_configENS1_38merge_sort_block_merge_config_selectorIjNS0_10empty_typeEEEZZNS1_27merge_sort_block_merge_implIS3_N6thrust23THRUST_200600_302600_NS6detail15normal_iteratorINS9_10device_ptrIjEEEEPS5_jNS1_19radix_merge_compareILb0ELb1EjNS0_19identity_decomposerEEEEE10hipError_tT0_T1_T2_jT3_P12ihipStream_tbPNSt15iterator_traitsISK_E10value_typeEPNSQ_ISL_E10value_typeEPSM_NS1_7vsmem_tEENKUlT_SK_SL_SM_E_clISE_PjSF_SF_EESJ_SZ_SK_SL_SM_EUlSZ_E_NS1_11comp_targetILNS1_3genE8ELNS1_11target_archE1030ELNS1_3gpuE2ELNS1_3repE0EEENS1_48merge_mergepath_partition_config_static_selectorELNS0_4arch9wavefront6targetE1EEEvSL_: ; @_ZN7rocprim17ROCPRIM_400000_NS6detail17trampoline_kernelINS0_14default_configENS1_38merge_sort_block_merge_config_selectorIjNS0_10empty_typeEEEZZNS1_27merge_sort_block_merge_implIS3_N6thrust23THRUST_200600_302600_NS6detail15normal_iteratorINS9_10device_ptrIjEEEEPS5_jNS1_19radix_merge_compareILb0ELb1EjNS0_19identity_decomposerEEEEE10hipError_tT0_T1_T2_jT3_P12ihipStream_tbPNSt15iterator_traitsISK_E10value_typeEPNSQ_ISL_E10value_typeEPSM_NS1_7vsmem_tEENKUlT_SK_SL_SM_E_clISE_PjSF_SF_EESJ_SZ_SK_SL_SM_EUlSZ_E_NS1_11comp_targetILNS1_3genE8ELNS1_11target_archE1030ELNS1_3gpuE2ELNS1_3repE0EEENS1_48merge_mergepath_partition_config_static_selectorELNS0_4arch9wavefront6targetE1EEEvSL_
; %bb.0:
	.section	.rodata,"a",@progbits
	.p2align	6, 0x0
	.amdhsa_kernel _ZN7rocprim17ROCPRIM_400000_NS6detail17trampoline_kernelINS0_14default_configENS1_38merge_sort_block_merge_config_selectorIjNS0_10empty_typeEEEZZNS1_27merge_sort_block_merge_implIS3_N6thrust23THRUST_200600_302600_NS6detail15normal_iteratorINS9_10device_ptrIjEEEEPS5_jNS1_19radix_merge_compareILb0ELb1EjNS0_19identity_decomposerEEEEE10hipError_tT0_T1_T2_jT3_P12ihipStream_tbPNSt15iterator_traitsISK_E10value_typeEPNSQ_ISL_E10value_typeEPSM_NS1_7vsmem_tEENKUlT_SK_SL_SM_E_clISE_PjSF_SF_EESJ_SZ_SK_SL_SM_EUlSZ_E_NS1_11comp_targetILNS1_3genE8ELNS1_11target_archE1030ELNS1_3gpuE2ELNS1_3repE0EEENS1_48merge_mergepath_partition_config_static_selectorELNS0_4arch9wavefront6targetE1EEEvSL_
		.amdhsa_group_segment_fixed_size 0
		.amdhsa_private_segment_fixed_size 0
		.amdhsa_kernarg_size 40
		.amdhsa_user_sgpr_count 6
		.amdhsa_user_sgpr_private_segment_buffer 1
		.amdhsa_user_sgpr_dispatch_ptr 0
		.amdhsa_user_sgpr_queue_ptr 0
		.amdhsa_user_sgpr_kernarg_segment_ptr 1
		.amdhsa_user_sgpr_dispatch_id 0
		.amdhsa_user_sgpr_flat_scratch_init 0
		.amdhsa_user_sgpr_kernarg_preload_length 0
		.amdhsa_user_sgpr_kernarg_preload_offset 0
		.amdhsa_user_sgpr_private_segment_size 0
		.amdhsa_uses_dynamic_stack 0
		.amdhsa_system_sgpr_private_segment_wavefront_offset 0
		.amdhsa_system_sgpr_workgroup_id_x 1
		.amdhsa_system_sgpr_workgroup_id_y 0
		.amdhsa_system_sgpr_workgroup_id_z 0
		.amdhsa_system_sgpr_workgroup_info 0
		.amdhsa_system_vgpr_workitem_id 0
		.amdhsa_next_free_vgpr 1
		.amdhsa_next_free_sgpr 0
		.amdhsa_accum_offset 4
		.amdhsa_reserve_vcc 0
		.amdhsa_reserve_flat_scratch 0
		.amdhsa_float_round_mode_32 0
		.amdhsa_float_round_mode_16_64 0
		.amdhsa_float_denorm_mode_32 3
		.amdhsa_float_denorm_mode_16_64 3
		.amdhsa_dx10_clamp 1
		.amdhsa_ieee_mode 1
		.amdhsa_fp16_overflow 0
		.amdhsa_tg_split 0
		.amdhsa_exception_fp_ieee_invalid_op 0
		.amdhsa_exception_fp_denorm_src 0
		.amdhsa_exception_fp_ieee_div_zero 0
		.amdhsa_exception_fp_ieee_overflow 0
		.amdhsa_exception_fp_ieee_underflow 0
		.amdhsa_exception_fp_ieee_inexact 0
		.amdhsa_exception_int_div_zero 0
	.end_amdhsa_kernel
	.section	.text._ZN7rocprim17ROCPRIM_400000_NS6detail17trampoline_kernelINS0_14default_configENS1_38merge_sort_block_merge_config_selectorIjNS0_10empty_typeEEEZZNS1_27merge_sort_block_merge_implIS3_N6thrust23THRUST_200600_302600_NS6detail15normal_iteratorINS9_10device_ptrIjEEEEPS5_jNS1_19radix_merge_compareILb0ELb1EjNS0_19identity_decomposerEEEEE10hipError_tT0_T1_T2_jT3_P12ihipStream_tbPNSt15iterator_traitsISK_E10value_typeEPNSQ_ISL_E10value_typeEPSM_NS1_7vsmem_tEENKUlT_SK_SL_SM_E_clISE_PjSF_SF_EESJ_SZ_SK_SL_SM_EUlSZ_E_NS1_11comp_targetILNS1_3genE8ELNS1_11target_archE1030ELNS1_3gpuE2ELNS1_3repE0EEENS1_48merge_mergepath_partition_config_static_selectorELNS0_4arch9wavefront6targetE1EEEvSL_,"axG",@progbits,_ZN7rocprim17ROCPRIM_400000_NS6detail17trampoline_kernelINS0_14default_configENS1_38merge_sort_block_merge_config_selectorIjNS0_10empty_typeEEEZZNS1_27merge_sort_block_merge_implIS3_N6thrust23THRUST_200600_302600_NS6detail15normal_iteratorINS9_10device_ptrIjEEEEPS5_jNS1_19radix_merge_compareILb0ELb1EjNS0_19identity_decomposerEEEEE10hipError_tT0_T1_T2_jT3_P12ihipStream_tbPNSt15iterator_traitsISK_E10value_typeEPNSQ_ISL_E10value_typeEPSM_NS1_7vsmem_tEENKUlT_SK_SL_SM_E_clISE_PjSF_SF_EESJ_SZ_SK_SL_SM_EUlSZ_E_NS1_11comp_targetILNS1_3genE8ELNS1_11target_archE1030ELNS1_3gpuE2ELNS1_3repE0EEENS1_48merge_mergepath_partition_config_static_selectorELNS0_4arch9wavefront6targetE1EEEvSL_,comdat
.Lfunc_end1057:
	.size	_ZN7rocprim17ROCPRIM_400000_NS6detail17trampoline_kernelINS0_14default_configENS1_38merge_sort_block_merge_config_selectorIjNS0_10empty_typeEEEZZNS1_27merge_sort_block_merge_implIS3_N6thrust23THRUST_200600_302600_NS6detail15normal_iteratorINS9_10device_ptrIjEEEEPS5_jNS1_19radix_merge_compareILb0ELb1EjNS0_19identity_decomposerEEEEE10hipError_tT0_T1_T2_jT3_P12ihipStream_tbPNSt15iterator_traitsISK_E10value_typeEPNSQ_ISL_E10value_typeEPSM_NS1_7vsmem_tEENKUlT_SK_SL_SM_E_clISE_PjSF_SF_EESJ_SZ_SK_SL_SM_EUlSZ_E_NS1_11comp_targetILNS1_3genE8ELNS1_11target_archE1030ELNS1_3gpuE2ELNS1_3repE0EEENS1_48merge_mergepath_partition_config_static_selectorELNS0_4arch9wavefront6targetE1EEEvSL_, .Lfunc_end1057-_ZN7rocprim17ROCPRIM_400000_NS6detail17trampoline_kernelINS0_14default_configENS1_38merge_sort_block_merge_config_selectorIjNS0_10empty_typeEEEZZNS1_27merge_sort_block_merge_implIS3_N6thrust23THRUST_200600_302600_NS6detail15normal_iteratorINS9_10device_ptrIjEEEEPS5_jNS1_19radix_merge_compareILb0ELb1EjNS0_19identity_decomposerEEEEE10hipError_tT0_T1_T2_jT3_P12ihipStream_tbPNSt15iterator_traitsISK_E10value_typeEPNSQ_ISL_E10value_typeEPSM_NS1_7vsmem_tEENKUlT_SK_SL_SM_E_clISE_PjSF_SF_EESJ_SZ_SK_SL_SM_EUlSZ_E_NS1_11comp_targetILNS1_3genE8ELNS1_11target_archE1030ELNS1_3gpuE2ELNS1_3repE0EEENS1_48merge_mergepath_partition_config_static_selectorELNS0_4arch9wavefront6targetE1EEEvSL_
                                        ; -- End function
	.section	.AMDGPU.csdata,"",@progbits
; Kernel info:
; codeLenInByte = 0
; NumSgprs: 4
; NumVgprs: 0
; NumAgprs: 0
; TotalNumVgprs: 0
; ScratchSize: 0
; MemoryBound: 0
; FloatMode: 240
; IeeeMode: 1
; LDSByteSize: 0 bytes/workgroup (compile time only)
; SGPRBlocks: 0
; VGPRBlocks: 0
; NumSGPRsForWavesPerEU: 4
; NumVGPRsForWavesPerEU: 1
; AccumOffset: 4
; Occupancy: 8
; WaveLimiterHint : 0
; COMPUTE_PGM_RSRC2:SCRATCH_EN: 0
; COMPUTE_PGM_RSRC2:USER_SGPR: 6
; COMPUTE_PGM_RSRC2:TRAP_HANDLER: 0
; COMPUTE_PGM_RSRC2:TGID_X_EN: 1
; COMPUTE_PGM_RSRC2:TGID_Y_EN: 0
; COMPUTE_PGM_RSRC2:TGID_Z_EN: 0
; COMPUTE_PGM_RSRC2:TIDIG_COMP_CNT: 0
; COMPUTE_PGM_RSRC3_GFX90A:ACCUM_OFFSET: 0
; COMPUTE_PGM_RSRC3_GFX90A:TG_SPLIT: 0
	.section	.text._ZN7rocprim17ROCPRIM_400000_NS6detail17trampoline_kernelINS0_14default_configENS1_38merge_sort_block_merge_config_selectorIjNS0_10empty_typeEEEZZNS1_27merge_sort_block_merge_implIS3_N6thrust23THRUST_200600_302600_NS6detail15normal_iteratorINS9_10device_ptrIjEEEEPS5_jNS1_19radix_merge_compareILb0ELb1EjNS0_19identity_decomposerEEEEE10hipError_tT0_T1_T2_jT3_P12ihipStream_tbPNSt15iterator_traitsISK_E10value_typeEPNSQ_ISL_E10value_typeEPSM_NS1_7vsmem_tEENKUlT_SK_SL_SM_E_clISE_PjSF_SF_EESJ_SZ_SK_SL_SM_EUlSZ_E0_NS1_11comp_targetILNS1_3genE0ELNS1_11target_archE4294967295ELNS1_3gpuE0ELNS1_3repE0EEENS1_38merge_mergepath_config_static_selectorELNS0_4arch9wavefront6targetE1EEEvSL_,"axG",@progbits,_ZN7rocprim17ROCPRIM_400000_NS6detail17trampoline_kernelINS0_14default_configENS1_38merge_sort_block_merge_config_selectorIjNS0_10empty_typeEEEZZNS1_27merge_sort_block_merge_implIS3_N6thrust23THRUST_200600_302600_NS6detail15normal_iteratorINS9_10device_ptrIjEEEEPS5_jNS1_19radix_merge_compareILb0ELb1EjNS0_19identity_decomposerEEEEE10hipError_tT0_T1_T2_jT3_P12ihipStream_tbPNSt15iterator_traitsISK_E10value_typeEPNSQ_ISL_E10value_typeEPSM_NS1_7vsmem_tEENKUlT_SK_SL_SM_E_clISE_PjSF_SF_EESJ_SZ_SK_SL_SM_EUlSZ_E0_NS1_11comp_targetILNS1_3genE0ELNS1_11target_archE4294967295ELNS1_3gpuE0ELNS1_3repE0EEENS1_38merge_mergepath_config_static_selectorELNS0_4arch9wavefront6targetE1EEEvSL_,comdat
	.protected	_ZN7rocprim17ROCPRIM_400000_NS6detail17trampoline_kernelINS0_14default_configENS1_38merge_sort_block_merge_config_selectorIjNS0_10empty_typeEEEZZNS1_27merge_sort_block_merge_implIS3_N6thrust23THRUST_200600_302600_NS6detail15normal_iteratorINS9_10device_ptrIjEEEEPS5_jNS1_19radix_merge_compareILb0ELb1EjNS0_19identity_decomposerEEEEE10hipError_tT0_T1_T2_jT3_P12ihipStream_tbPNSt15iterator_traitsISK_E10value_typeEPNSQ_ISL_E10value_typeEPSM_NS1_7vsmem_tEENKUlT_SK_SL_SM_E_clISE_PjSF_SF_EESJ_SZ_SK_SL_SM_EUlSZ_E0_NS1_11comp_targetILNS1_3genE0ELNS1_11target_archE4294967295ELNS1_3gpuE0ELNS1_3repE0EEENS1_38merge_mergepath_config_static_selectorELNS0_4arch9wavefront6targetE1EEEvSL_ ; -- Begin function _ZN7rocprim17ROCPRIM_400000_NS6detail17trampoline_kernelINS0_14default_configENS1_38merge_sort_block_merge_config_selectorIjNS0_10empty_typeEEEZZNS1_27merge_sort_block_merge_implIS3_N6thrust23THRUST_200600_302600_NS6detail15normal_iteratorINS9_10device_ptrIjEEEEPS5_jNS1_19radix_merge_compareILb0ELb1EjNS0_19identity_decomposerEEEEE10hipError_tT0_T1_T2_jT3_P12ihipStream_tbPNSt15iterator_traitsISK_E10value_typeEPNSQ_ISL_E10value_typeEPSM_NS1_7vsmem_tEENKUlT_SK_SL_SM_E_clISE_PjSF_SF_EESJ_SZ_SK_SL_SM_EUlSZ_E0_NS1_11comp_targetILNS1_3genE0ELNS1_11target_archE4294967295ELNS1_3gpuE0ELNS1_3repE0EEENS1_38merge_mergepath_config_static_selectorELNS0_4arch9wavefront6targetE1EEEvSL_
	.globl	_ZN7rocprim17ROCPRIM_400000_NS6detail17trampoline_kernelINS0_14default_configENS1_38merge_sort_block_merge_config_selectorIjNS0_10empty_typeEEEZZNS1_27merge_sort_block_merge_implIS3_N6thrust23THRUST_200600_302600_NS6detail15normal_iteratorINS9_10device_ptrIjEEEEPS5_jNS1_19radix_merge_compareILb0ELb1EjNS0_19identity_decomposerEEEEE10hipError_tT0_T1_T2_jT3_P12ihipStream_tbPNSt15iterator_traitsISK_E10value_typeEPNSQ_ISL_E10value_typeEPSM_NS1_7vsmem_tEENKUlT_SK_SL_SM_E_clISE_PjSF_SF_EESJ_SZ_SK_SL_SM_EUlSZ_E0_NS1_11comp_targetILNS1_3genE0ELNS1_11target_archE4294967295ELNS1_3gpuE0ELNS1_3repE0EEENS1_38merge_mergepath_config_static_selectorELNS0_4arch9wavefront6targetE1EEEvSL_
	.p2align	8
	.type	_ZN7rocprim17ROCPRIM_400000_NS6detail17trampoline_kernelINS0_14default_configENS1_38merge_sort_block_merge_config_selectorIjNS0_10empty_typeEEEZZNS1_27merge_sort_block_merge_implIS3_N6thrust23THRUST_200600_302600_NS6detail15normal_iteratorINS9_10device_ptrIjEEEEPS5_jNS1_19radix_merge_compareILb0ELb1EjNS0_19identity_decomposerEEEEE10hipError_tT0_T1_T2_jT3_P12ihipStream_tbPNSt15iterator_traitsISK_E10value_typeEPNSQ_ISL_E10value_typeEPSM_NS1_7vsmem_tEENKUlT_SK_SL_SM_E_clISE_PjSF_SF_EESJ_SZ_SK_SL_SM_EUlSZ_E0_NS1_11comp_targetILNS1_3genE0ELNS1_11target_archE4294967295ELNS1_3gpuE0ELNS1_3repE0EEENS1_38merge_mergepath_config_static_selectorELNS0_4arch9wavefront6targetE1EEEvSL_,@function
_ZN7rocprim17ROCPRIM_400000_NS6detail17trampoline_kernelINS0_14default_configENS1_38merge_sort_block_merge_config_selectorIjNS0_10empty_typeEEEZZNS1_27merge_sort_block_merge_implIS3_N6thrust23THRUST_200600_302600_NS6detail15normal_iteratorINS9_10device_ptrIjEEEEPS5_jNS1_19radix_merge_compareILb0ELb1EjNS0_19identity_decomposerEEEEE10hipError_tT0_T1_T2_jT3_P12ihipStream_tbPNSt15iterator_traitsISK_E10value_typeEPNSQ_ISL_E10value_typeEPSM_NS1_7vsmem_tEENKUlT_SK_SL_SM_E_clISE_PjSF_SF_EESJ_SZ_SK_SL_SM_EUlSZ_E0_NS1_11comp_targetILNS1_3genE0ELNS1_11target_archE4294967295ELNS1_3gpuE0ELNS1_3repE0EEENS1_38merge_mergepath_config_static_selectorELNS0_4arch9wavefront6targetE1EEEvSL_: ; @_ZN7rocprim17ROCPRIM_400000_NS6detail17trampoline_kernelINS0_14default_configENS1_38merge_sort_block_merge_config_selectorIjNS0_10empty_typeEEEZZNS1_27merge_sort_block_merge_implIS3_N6thrust23THRUST_200600_302600_NS6detail15normal_iteratorINS9_10device_ptrIjEEEEPS5_jNS1_19radix_merge_compareILb0ELb1EjNS0_19identity_decomposerEEEEE10hipError_tT0_T1_T2_jT3_P12ihipStream_tbPNSt15iterator_traitsISK_E10value_typeEPNSQ_ISL_E10value_typeEPSM_NS1_7vsmem_tEENKUlT_SK_SL_SM_E_clISE_PjSF_SF_EESJ_SZ_SK_SL_SM_EUlSZ_E0_NS1_11comp_targetILNS1_3genE0ELNS1_11target_archE4294967295ELNS1_3gpuE0ELNS1_3repE0EEENS1_38merge_mergepath_config_static_selectorELNS0_4arch9wavefront6targetE1EEEvSL_
; %bb.0:
	.section	.rodata,"a",@progbits
	.p2align	6, 0x0
	.amdhsa_kernel _ZN7rocprim17ROCPRIM_400000_NS6detail17trampoline_kernelINS0_14default_configENS1_38merge_sort_block_merge_config_selectorIjNS0_10empty_typeEEEZZNS1_27merge_sort_block_merge_implIS3_N6thrust23THRUST_200600_302600_NS6detail15normal_iteratorINS9_10device_ptrIjEEEEPS5_jNS1_19radix_merge_compareILb0ELb1EjNS0_19identity_decomposerEEEEE10hipError_tT0_T1_T2_jT3_P12ihipStream_tbPNSt15iterator_traitsISK_E10value_typeEPNSQ_ISL_E10value_typeEPSM_NS1_7vsmem_tEENKUlT_SK_SL_SM_E_clISE_PjSF_SF_EESJ_SZ_SK_SL_SM_EUlSZ_E0_NS1_11comp_targetILNS1_3genE0ELNS1_11target_archE4294967295ELNS1_3gpuE0ELNS1_3repE0EEENS1_38merge_mergepath_config_static_selectorELNS0_4arch9wavefront6targetE1EEEvSL_
		.amdhsa_group_segment_fixed_size 0
		.amdhsa_private_segment_fixed_size 0
		.amdhsa_kernarg_size 64
		.amdhsa_user_sgpr_count 6
		.amdhsa_user_sgpr_private_segment_buffer 1
		.amdhsa_user_sgpr_dispatch_ptr 0
		.amdhsa_user_sgpr_queue_ptr 0
		.amdhsa_user_sgpr_kernarg_segment_ptr 1
		.amdhsa_user_sgpr_dispatch_id 0
		.amdhsa_user_sgpr_flat_scratch_init 0
		.amdhsa_user_sgpr_kernarg_preload_length 0
		.amdhsa_user_sgpr_kernarg_preload_offset 0
		.amdhsa_user_sgpr_private_segment_size 0
		.amdhsa_uses_dynamic_stack 0
		.amdhsa_system_sgpr_private_segment_wavefront_offset 0
		.amdhsa_system_sgpr_workgroup_id_x 1
		.amdhsa_system_sgpr_workgroup_id_y 0
		.amdhsa_system_sgpr_workgroup_id_z 0
		.amdhsa_system_sgpr_workgroup_info 0
		.amdhsa_system_vgpr_workitem_id 0
		.amdhsa_next_free_vgpr 1
		.amdhsa_next_free_sgpr 0
		.amdhsa_accum_offset 4
		.amdhsa_reserve_vcc 0
		.amdhsa_reserve_flat_scratch 0
		.amdhsa_float_round_mode_32 0
		.amdhsa_float_round_mode_16_64 0
		.amdhsa_float_denorm_mode_32 3
		.amdhsa_float_denorm_mode_16_64 3
		.amdhsa_dx10_clamp 1
		.amdhsa_ieee_mode 1
		.amdhsa_fp16_overflow 0
		.amdhsa_tg_split 0
		.amdhsa_exception_fp_ieee_invalid_op 0
		.amdhsa_exception_fp_denorm_src 0
		.amdhsa_exception_fp_ieee_div_zero 0
		.amdhsa_exception_fp_ieee_overflow 0
		.amdhsa_exception_fp_ieee_underflow 0
		.amdhsa_exception_fp_ieee_inexact 0
		.amdhsa_exception_int_div_zero 0
	.end_amdhsa_kernel
	.section	.text._ZN7rocprim17ROCPRIM_400000_NS6detail17trampoline_kernelINS0_14default_configENS1_38merge_sort_block_merge_config_selectorIjNS0_10empty_typeEEEZZNS1_27merge_sort_block_merge_implIS3_N6thrust23THRUST_200600_302600_NS6detail15normal_iteratorINS9_10device_ptrIjEEEEPS5_jNS1_19radix_merge_compareILb0ELb1EjNS0_19identity_decomposerEEEEE10hipError_tT0_T1_T2_jT3_P12ihipStream_tbPNSt15iterator_traitsISK_E10value_typeEPNSQ_ISL_E10value_typeEPSM_NS1_7vsmem_tEENKUlT_SK_SL_SM_E_clISE_PjSF_SF_EESJ_SZ_SK_SL_SM_EUlSZ_E0_NS1_11comp_targetILNS1_3genE0ELNS1_11target_archE4294967295ELNS1_3gpuE0ELNS1_3repE0EEENS1_38merge_mergepath_config_static_selectorELNS0_4arch9wavefront6targetE1EEEvSL_,"axG",@progbits,_ZN7rocprim17ROCPRIM_400000_NS6detail17trampoline_kernelINS0_14default_configENS1_38merge_sort_block_merge_config_selectorIjNS0_10empty_typeEEEZZNS1_27merge_sort_block_merge_implIS3_N6thrust23THRUST_200600_302600_NS6detail15normal_iteratorINS9_10device_ptrIjEEEEPS5_jNS1_19radix_merge_compareILb0ELb1EjNS0_19identity_decomposerEEEEE10hipError_tT0_T1_T2_jT3_P12ihipStream_tbPNSt15iterator_traitsISK_E10value_typeEPNSQ_ISL_E10value_typeEPSM_NS1_7vsmem_tEENKUlT_SK_SL_SM_E_clISE_PjSF_SF_EESJ_SZ_SK_SL_SM_EUlSZ_E0_NS1_11comp_targetILNS1_3genE0ELNS1_11target_archE4294967295ELNS1_3gpuE0ELNS1_3repE0EEENS1_38merge_mergepath_config_static_selectorELNS0_4arch9wavefront6targetE1EEEvSL_,comdat
.Lfunc_end1058:
	.size	_ZN7rocprim17ROCPRIM_400000_NS6detail17trampoline_kernelINS0_14default_configENS1_38merge_sort_block_merge_config_selectorIjNS0_10empty_typeEEEZZNS1_27merge_sort_block_merge_implIS3_N6thrust23THRUST_200600_302600_NS6detail15normal_iteratorINS9_10device_ptrIjEEEEPS5_jNS1_19radix_merge_compareILb0ELb1EjNS0_19identity_decomposerEEEEE10hipError_tT0_T1_T2_jT3_P12ihipStream_tbPNSt15iterator_traitsISK_E10value_typeEPNSQ_ISL_E10value_typeEPSM_NS1_7vsmem_tEENKUlT_SK_SL_SM_E_clISE_PjSF_SF_EESJ_SZ_SK_SL_SM_EUlSZ_E0_NS1_11comp_targetILNS1_3genE0ELNS1_11target_archE4294967295ELNS1_3gpuE0ELNS1_3repE0EEENS1_38merge_mergepath_config_static_selectorELNS0_4arch9wavefront6targetE1EEEvSL_, .Lfunc_end1058-_ZN7rocprim17ROCPRIM_400000_NS6detail17trampoline_kernelINS0_14default_configENS1_38merge_sort_block_merge_config_selectorIjNS0_10empty_typeEEEZZNS1_27merge_sort_block_merge_implIS3_N6thrust23THRUST_200600_302600_NS6detail15normal_iteratorINS9_10device_ptrIjEEEEPS5_jNS1_19radix_merge_compareILb0ELb1EjNS0_19identity_decomposerEEEEE10hipError_tT0_T1_T2_jT3_P12ihipStream_tbPNSt15iterator_traitsISK_E10value_typeEPNSQ_ISL_E10value_typeEPSM_NS1_7vsmem_tEENKUlT_SK_SL_SM_E_clISE_PjSF_SF_EESJ_SZ_SK_SL_SM_EUlSZ_E0_NS1_11comp_targetILNS1_3genE0ELNS1_11target_archE4294967295ELNS1_3gpuE0ELNS1_3repE0EEENS1_38merge_mergepath_config_static_selectorELNS0_4arch9wavefront6targetE1EEEvSL_
                                        ; -- End function
	.section	.AMDGPU.csdata,"",@progbits
; Kernel info:
; codeLenInByte = 0
; NumSgprs: 4
; NumVgprs: 0
; NumAgprs: 0
; TotalNumVgprs: 0
; ScratchSize: 0
; MemoryBound: 0
; FloatMode: 240
; IeeeMode: 1
; LDSByteSize: 0 bytes/workgroup (compile time only)
; SGPRBlocks: 0
; VGPRBlocks: 0
; NumSGPRsForWavesPerEU: 4
; NumVGPRsForWavesPerEU: 1
; AccumOffset: 4
; Occupancy: 8
; WaveLimiterHint : 0
; COMPUTE_PGM_RSRC2:SCRATCH_EN: 0
; COMPUTE_PGM_RSRC2:USER_SGPR: 6
; COMPUTE_PGM_RSRC2:TRAP_HANDLER: 0
; COMPUTE_PGM_RSRC2:TGID_X_EN: 1
; COMPUTE_PGM_RSRC2:TGID_Y_EN: 0
; COMPUTE_PGM_RSRC2:TGID_Z_EN: 0
; COMPUTE_PGM_RSRC2:TIDIG_COMP_CNT: 0
; COMPUTE_PGM_RSRC3_GFX90A:ACCUM_OFFSET: 0
; COMPUTE_PGM_RSRC3_GFX90A:TG_SPLIT: 0
	.section	.text._ZN7rocprim17ROCPRIM_400000_NS6detail17trampoline_kernelINS0_14default_configENS1_38merge_sort_block_merge_config_selectorIjNS0_10empty_typeEEEZZNS1_27merge_sort_block_merge_implIS3_N6thrust23THRUST_200600_302600_NS6detail15normal_iteratorINS9_10device_ptrIjEEEEPS5_jNS1_19radix_merge_compareILb0ELb1EjNS0_19identity_decomposerEEEEE10hipError_tT0_T1_T2_jT3_P12ihipStream_tbPNSt15iterator_traitsISK_E10value_typeEPNSQ_ISL_E10value_typeEPSM_NS1_7vsmem_tEENKUlT_SK_SL_SM_E_clISE_PjSF_SF_EESJ_SZ_SK_SL_SM_EUlSZ_E0_NS1_11comp_targetILNS1_3genE10ELNS1_11target_archE1201ELNS1_3gpuE5ELNS1_3repE0EEENS1_38merge_mergepath_config_static_selectorELNS0_4arch9wavefront6targetE1EEEvSL_,"axG",@progbits,_ZN7rocprim17ROCPRIM_400000_NS6detail17trampoline_kernelINS0_14default_configENS1_38merge_sort_block_merge_config_selectorIjNS0_10empty_typeEEEZZNS1_27merge_sort_block_merge_implIS3_N6thrust23THRUST_200600_302600_NS6detail15normal_iteratorINS9_10device_ptrIjEEEEPS5_jNS1_19radix_merge_compareILb0ELb1EjNS0_19identity_decomposerEEEEE10hipError_tT0_T1_T2_jT3_P12ihipStream_tbPNSt15iterator_traitsISK_E10value_typeEPNSQ_ISL_E10value_typeEPSM_NS1_7vsmem_tEENKUlT_SK_SL_SM_E_clISE_PjSF_SF_EESJ_SZ_SK_SL_SM_EUlSZ_E0_NS1_11comp_targetILNS1_3genE10ELNS1_11target_archE1201ELNS1_3gpuE5ELNS1_3repE0EEENS1_38merge_mergepath_config_static_selectorELNS0_4arch9wavefront6targetE1EEEvSL_,comdat
	.protected	_ZN7rocprim17ROCPRIM_400000_NS6detail17trampoline_kernelINS0_14default_configENS1_38merge_sort_block_merge_config_selectorIjNS0_10empty_typeEEEZZNS1_27merge_sort_block_merge_implIS3_N6thrust23THRUST_200600_302600_NS6detail15normal_iteratorINS9_10device_ptrIjEEEEPS5_jNS1_19radix_merge_compareILb0ELb1EjNS0_19identity_decomposerEEEEE10hipError_tT0_T1_T2_jT3_P12ihipStream_tbPNSt15iterator_traitsISK_E10value_typeEPNSQ_ISL_E10value_typeEPSM_NS1_7vsmem_tEENKUlT_SK_SL_SM_E_clISE_PjSF_SF_EESJ_SZ_SK_SL_SM_EUlSZ_E0_NS1_11comp_targetILNS1_3genE10ELNS1_11target_archE1201ELNS1_3gpuE5ELNS1_3repE0EEENS1_38merge_mergepath_config_static_selectorELNS0_4arch9wavefront6targetE1EEEvSL_ ; -- Begin function _ZN7rocprim17ROCPRIM_400000_NS6detail17trampoline_kernelINS0_14default_configENS1_38merge_sort_block_merge_config_selectorIjNS0_10empty_typeEEEZZNS1_27merge_sort_block_merge_implIS3_N6thrust23THRUST_200600_302600_NS6detail15normal_iteratorINS9_10device_ptrIjEEEEPS5_jNS1_19radix_merge_compareILb0ELb1EjNS0_19identity_decomposerEEEEE10hipError_tT0_T1_T2_jT3_P12ihipStream_tbPNSt15iterator_traitsISK_E10value_typeEPNSQ_ISL_E10value_typeEPSM_NS1_7vsmem_tEENKUlT_SK_SL_SM_E_clISE_PjSF_SF_EESJ_SZ_SK_SL_SM_EUlSZ_E0_NS1_11comp_targetILNS1_3genE10ELNS1_11target_archE1201ELNS1_3gpuE5ELNS1_3repE0EEENS1_38merge_mergepath_config_static_selectorELNS0_4arch9wavefront6targetE1EEEvSL_
	.globl	_ZN7rocprim17ROCPRIM_400000_NS6detail17trampoline_kernelINS0_14default_configENS1_38merge_sort_block_merge_config_selectorIjNS0_10empty_typeEEEZZNS1_27merge_sort_block_merge_implIS3_N6thrust23THRUST_200600_302600_NS6detail15normal_iteratorINS9_10device_ptrIjEEEEPS5_jNS1_19radix_merge_compareILb0ELb1EjNS0_19identity_decomposerEEEEE10hipError_tT0_T1_T2_jT3_P12ihipStream_tbPNSt15iterator_traitsISK_E10value_typeEPNSQ_ISL_E10value_typeEPSM_NS1_7vsmem_tEENKUlT_SK_SL_SM_E_clISE_PjSF_SF_EESJ_SZ_SK_SL_SM_EUlSZ_E0_NS1_11comp_targetILNS1_3genE10ELNS1_11target_archE1201ELNS1_3gpuE5ELNS1_3repE0EEENS1_38merge_mergepath_config_static_selectorELNS0_4arch9wavefront6targetE1EEEvSL_
	.p2align	8
	.type	_ZN7rocprim17ROCPRIM_400000_NS6detail17trampoline_kernelINS0_14default_configENS1_38merge_sort_block_merge_config_selectorIjNS0_10empty_typeEEEZZNS1_27merge_sort_block_merge_implIS3_N6thrust23THRUST_200600_302600_NS6detail15normal_iteratorINS9_10device_ptrIjEEEEPS5_jNS1_19radix_merge_compareILb0ELb1EjNS0_19identity_decomposerEEEEE10hipError_tT0_T1_T2_jT3_P12ihipStream_tbPNSt15iterator_traitsISK_E10value_typeEPNSQ_ISL_E10value_typeEPSM_NS1_7vsmem_tEENKUlT_SK_SL_SM_E_clISE_PjSF_SF_EESJ_SZ_SK_SL_SM_EUlSZ_E0_NS1_11comp_targetILNS1_3genE10ELNS1_11target_archE1201ELNS1_3gpuE5ELNS1_3repE0EEENS1_38merge_mergepath_config_static_selectorELNS0_4arch9wavefront6targetE1EEEvSL_,@function
_ZN7rocprim17ROCPRIM_400000_NS6detail17trampoline_kernelINS0_14default_configENS1_38merge_sort_block_merge_config_selectorIjNS0_10empty_typeEEEZZNS1_27merge_sort_block_merge_implIS3_N6thrust23THRUST_200600_302600_NS6detail15normal_iteratorINS9_10device_ptrIjEEEEPS5_jNS1_19radix_merge_compareILb0ELb1EjNS0_19identity_decomposerEEEEE10hipError_tT0_T1_T2_jT3_P12ihipStream_tbPNSt15iterator_traitsISK_E10value_typeEPNSQ_ISL_E10value_typeEPSM_NS1_7vsmem_tEENKUlT_SK_SL_SM_E_clISE_PjSF_SF_EESJ_SZ_SK_SL_SM_EUlSZ_E0_NS1_11comp_targetILNS1_3genE10ELNS1_11target_archE1201ELNS1_3gpuE5ELNS1_3repE0EEENS1_38merge_mergepath_config_static_selectorELNS0_4arch9wavefront6targetE1EEEvSL_: ; @_ZN7rocprim17ROCPRIM_400000_NS6detail17trampoline_kernelINS0_14default_configENS1_38merge_sort_block_merge_config_selectorIjNS0_10empty_typeEEEZZNS1_27merge_sort_block_merge_implIS3_N6thrust23THRUST_200600_302600_NS6detail15normal_iteratorINS9_10device_ptrIjEEEEPS5_jNS1_19radix_merge_compareILb0ELb1EjNS0_19identity_decomposerEEEEE10hipError_tT0_T1_T2_jT3_P12ihipStream_tbPNSt15iterator_traitsISK_E10value_typeEPNSQ_ISL_E10value_typeEPSM_NS1_7vsmem_tEENKUlT_SK_SL_SM_E_clISE_PjSF_SF_EESJ_SZ_SK_SL_SM_EUlSZ_E0_NS1_11comp_targetILNS1_3genE10ELNS1_11target_archE1201ELNS1_3gpuE5ELNS1_3repE0EEENS1_38merge_mergepath_config_static_selectorELNS0_4arch9wavefront6targetE1EEEvSL_
; %bb.0:
	.section	.rodata,"a",@progbits
	.p2align	6, 0x0
	.amdhsa_kernel _ZN7rocprim17ROCPRIM_400000_NS6detail17trampoline_kernelINS0_14default_configENS1_38merge_sort_block_merge_config_selectorIjNS0_10empty_typeEEEZZNS1_27merge_sort_block_merge_implIS3_N6thrust23THRUST_200600_302600_NS6detail15normal_iteratorINS9_10device_ptrIjEEEEPS5_jNS1_19radix_merge_compareILb0ELb1EjNS0_19identity_decomposerEEEEE10hipError_tT0_T1_T2_jT3_P12ihipStream_tbPNSt15iterator_traitsISK_E10value_typeEPNSQ_ISL_E10value_typeEPSM_NS1_7vsmem_tEENKUlT_SK_SL_SM_E_clISE_PjSF_SF_EESJ_SZ_SK_SL_SM_EUlSZ_E0_NS1_11comp_targetILNS1_3genE10ELNS1_11target_archE1201ELNS1_3gpuE5ELNS1_3repE0EEENS1_38merge_mergepath_config_static_selectorELNS0_4arch9wavefront6targetE1EEEvSL_
		.amdhsa_group_segment_fixed_size 0
		.amdhsa_private_segment_fixed_size 0
		.amdhsa_kernarg_size 64
		.amdhsa_user_sgpr_count 6
		.amdhsa_user_sgpr_private_segment_buffer 1
		.amdhsa_user_sgpr_dispatch_ptr 0
		.amdhsa_user_sgpr_queue_ptr 0
		.amdhsa_user_sgpr_kernarg_segment_ptr 1
		.amdhsa_user_sgpr_dispatch_id 0
		.amdhsa_user_sgpr_flat_scratch_init 0
		.amdhsa_user_sgpr_kernarg_preload_length 0
		.amdhsa_user_sgpr_kernarg_preload_offset 0
		.amdhsa_user_sgpr_private_segment_size 0
		.amdhsa_uses_dynamic_stack 0
		.amdhsa_system_sgpr_private_segment_wavefront_offset 0
		.amdhsa_system_sgpr_workgroup_id_x 1
		.amdhsa_system_sgpr_workgroup_id_y 0
		.amdhsa_system_sgpr_workgroup_id_z 0
		.amdhsa_system_sgpr_workgroup_info 0
		.amdhsa_system_vgpr_workitem_id 0
		.amdhsa_next_free_vgpr 1
		.amdhsa_next_free_sgpr 0
		.amdhsa_accum_offset 4
		.amdhsa_reserve_vcc 0
		.amdhsa_reserve_flat_scratch 0
		.amdhsa_float_round_mode_32 0
		.amdhsa_float_round_mode_16_64 0
		.amdhsa_float_denorm_mode_32 3
		.amdhsa_float_denorm_mode_16_64 3
		.amdhsa_dx10_clamp 1
		.amdhsa_ieee_mode 1
		.amdhsa_fp16_overflow 0
		.amdhsa_tg_split 0
		.amdhsa_exception_fp_ieee_invalid_op 0
		.amdhsa_exception_fp_denorm_src 0
		.amdhsa_exception_fp_ieee_div_zero 0
		.amdhsa_exception_fp_ieee_overflow 0
		.amdhsa_exception_fp_ieee_underflow 0
		.amdhsa_exception_fp_ieee_inexact 0
		.amdhsa_exception_int_div_zero 0
	.end_amdhsa_kernel
	.section	.text._ZN7rocprim17ROCPRIM_400000_NS6detail17trampoline_kernelINS0_14default_configENS1_38merge_sort_block_merge_config_selectorIjNS0_10empty_typeEEEZZNS1_27merge_sort_block_merge_implIS3_N6thrust23THRUST_200600_302600_NS6detail15normal_iteratorINS9_10device_ptrIjEEEEPS5_jNS1_19radix_merge_compareILb0ELb1EjNS0_19identity_decomposerEEEEE10hipError_tT0_T1_T2_jT3_P12ihipStream_tbPNSt15iterator_traitsISK_E10value_typeEPNSQ_ISL_E10value_typeEPSM_NS1_7vsmem_tEENKUlT_SK_SL_SM_E_clISE_PjSF_SF_EESJ_SZ_SK_SL_SM_EUlSZ_E0_NS1_11comp_targetILNS1_3genE10ELNS1_11target_archE1201ELNS1_3gpuE5ELNS1_3repE0EEENS1_38merge_mergepath_config_static_selectorELNS0_4arch9wavefront6targetE1EEEvSL_,"axG",@progbits,_ZN7rocprim17ROCPRIM_400000_NS6detail17trampoline_kernelINS0_14default_configENS1_38merge_sort_block_merge_config_selectorIjNS0_10empty_typeEEEZZNS1_27merge_sort_block_merge_implIS3_N6thrust23THRUST_200600_302600_NS6detail15normal_iteratorINS9_10device_ptrIjEEEEPS5_jNS1_19radix_merge_compareILb0ELb1EjNS0_19identity_decomposerEEEEE10hipError_tT0_T1_T2_jT3_P12ihipStream_tbPNSt15iterator_traitsISK_E10value_typeEPNSQ_ISL_E10value_typeEPSM_NS1_7vsmem_tEENKUlT_SK_SL_SM_E_clISE_PjSF_SF_EESJ_SZ_SK_SL_SM_EUlSZ_E0_NS1_11comp_targetILNS1_3genE10ELNS1_11target_archE1201ELNS1_3gpuE5ELNS1_3repE0EEENS1_38merge_mergepath_config_static_selectorELNS0_4arch9wavefront6targetE1EEEvSL_,comdat
.Lfunc_end1059:
	.size	_ZN7rocprim17ROCPRIM_400000_NS6detail17trampoline_kernelINS0_14default_configENS1_38merge_sort_block_merge_config_selectorIjNS0_10empty_typeEEEZZNS1_27merge_sort_block_merge_implIS3_N6thrust23THRUST_200600_302600_NS6detail15normal_iteratorINS9_10device_ptrIjEEEEPS5_jNS1_19radix_merge_compareILb0ELb1EjNS0_19identity_decomposerEEEEE10hipError_tT0_T1_T2_jT3_P12ihipStream_tbPNSt15iterator_traitsISK_E10value_typeEPNSQ_ISL_E10value_typeEPSM_NS1_7vsmem_tEENKUlT_SK_SL_SM_E_clISE_PjSF_SF_EESJ_SZ_SK_SL_SM_EUlSZ_E0_NS1_11comp_targetILNS1_3genE10ELNS1_11target_archE1201ELNS1_3gpuE5ELNS1_3repE0EEENS1_38merge_mergepath_config_static_selectorELNS0_4arch9wavefront6targetE1EEEvSL_, .Lfunc_end1059-_ZN7rocprim17ROCPRIM_400000_NS6detail17trampoline_kernelINS0_14default_configENS1_38merge_sort_block_merge_config_selectorIjNS0_10empty_typeEEEZZNS1_27merge_sort_block_merge_implIS3_N6thrust23THRUST_200600_302600_NS6detail15normal_iteratorINS9_10device_ptrIjEEEEPS5_jNS1_19radix_merge_compareILb0ELb1EjNS0_19identity_decomposerEEEEE10hipError_tT0_T1_T2_jT3_P12ihipStream_tbPNSt15iterator_traitsISK_E10value_typeEPNSQ_ISL_E10value_typeEPSM_NS1_7vsmem_tEENKUlT_SK_SL_SM_E_clISE_PjSF_SF_EESJ_SZ_SK_SL_SM_EUlSZ_E0_NS1_11comp_targetILNS1_3genE10ELNS1_11target_archE1201ELNS1_3gpuE5ELNS1_3repE0EEENS1_38merge_mergepath_config_static_selectorELNS0_4arch9wavefront6targetE1EEEvSL_
                                        ; -- End function
	.section	.AMDGPU.csdata,"",@progbits
; Kernel info:
; codeLenInByte = 0
; NumSgprs: 4
; NumVgprs: 0
; NumAgprs: 0
; TotalNumVgprs: 0
; ScratchSize: 0
; MemoryBound: 0
; FloatMode: 240
; IeeeMode: 1
; LDSByteSize: 0 bytes/workgroup (compile time only)
; SGPRBlocks: 0
; VGPRBlocks: 0
; NumSGPRsForWavesPerEU: 4
; NumVGPRsForWavesPerEU: 1
; AccumOffset: 4
; Occupancy: 8
; WaveLimiterHint : 0
; COMPUTE_PGM_RSRC2:SCRATCH_EN: 0
; COMPUTE_PGM_RSRC2:USER_SGPR: 6
; COMPUTE_PGM_RSRC2:TRAP_HANDLER: 0
; COMPUTE_PGM_RSRC2:TGID_X_EN: 1
; COMPUTE_PGM_RSRC2:TGID_Y_EN: 0
; COMPUTE_PGM_RSRC2:TGID_Z_EN: 0
; COMPUTE_PGM_RSRC2:TIDIG_COMP_CNT: 0
; COMPUTE_PGM_RSRC3_GFX90A:ACCUM_OFFSET: 0
; COMPUTE_PGM_RSRC3_GFX90A:TG_SPLIT: 0
	.section	.text._ZN7rocprim17ROCPRIM_400000_NS6detail17trampoline_kernelINS0_14default_configENS1_38merge_sort_block_merge_config_selectorIjNS0_10empty_typeEEEZZNS1_27merge_sort_block_merge_implIS3_N6thrust23THRUST_200600_302600_NS6detail15normal_iteratorINS9_10device_ptrIjEEEEPS5_jNS1_19radix_merge_compareILb0ELb1EjNS0_19identity_decomposerEEEEE10hipError_tT0_T1_T2_jT3_P12ihipStream_tbPNSt15iterator_traitsISK_E10value_typeEPNSQ_ISL_E10value_typeEPSM_NS1_7vsmem_tEENKUlT_SK_SL_SM_E_clISE_PjSF_SF_EESJ_SZ_SK_SL_SM_EUlSZ_E0_NS1_11comp_targetILNS1_3genE5ELNS1_11target_archE942ELNS1_3gpuE9ELNS1_3repE0EEENS1_38merge_mergepath_config_static_selectorELNS0_4arch9wavefront6targetE1EEEvSL_,"axG",@progbits,_ZN7rocprim17ROCPRIM_400000_NS6detail17trampoline_kernelINS0_14default_configENS1_38merge_sort_block_merge_config_selectorIjNS0_10empty_typeEEEZZNS1_27merge_sort_block_merge_implIS3_N6thrust23THRUST_200600_302600_NS6detail15normal_iteratorINS9_10device_ptrIjEEEEPS5_jNS1_19radix_merge_compareILb0ELb1EjNS0_19identity_decomposerEEEEE10hipError_tT0_T1_T2_jT3_P12ihipStream_tbPNSt15iterator_traitsISK_E10value_typeEPNSQ_ISL_E10value_typeEPSM_NS1_7vsmem_tEENKUlT_SK_SL_SM_E_clISE_PjSF_SF_EESJ_SZ_SK_SL_SM_EUlSZ_E0_NS1_11comp_targetILNS1_3genE5ELNS1_11target_archE942ELNS1_3gpuE9ELNS1_3repE0EEENS1_38merge_mergepath_config_static_selectorELNS0_4arch9wavefront6targetE1EEEvSL_,comdat
	.protected	_ZN7rocprim17ROCPRIM_400000_NS6detail17trampoline_kernelINS0_14default_configENS1_38merge_sort_block_merge_config_selectorIjNS0_10empty_typeEEEZZNS1_27merge_sort_block_merge_implIS3_N6thrust23THRUST_200600_302600_NS6detail15normal_iteratorINS9_10device_ptrIjEEEEPS5_jNS1_19radix_merge_compareILb0ELb1EjNS0_19identity_decomposerEEEEE10hipError_tT0_T1_T2_jT3_P12ihipStream_tbPNSt15iterator_traitsISK_E10value_typeEPNSQ_ISL_E10value_typeEPSM_NS1_7vsmem_tEENKUlT_SK_SL_SM_E_clISE_PjSF_SF_EESJ_SZ_SK_SL_SM_EUlSZ_E0_NS1_11comp_targetILNS1_3genE5ELNS1_11target_archE942ELNS1_3gpuE9ELNS1_3repE0EEENS1_38merge_mergepath_config_static_selectorELNS0_4arch9wavefront6targetE1EEEvSL_ ; -- Begin function _ZN7rocprim17ROCPRIM_400000_NS6detail17trampoline_kernelINS0_14default_configENS1_38merge_sort_block_merge_config_selectorIjNS0_10empty_typeEEEZZNS1_27merge_sort_block_merge_implIS3_N6thrust23THRUST_200600_302600_NS6detail15normal_iteratorINS9_10device_ptrIjEEEEPS5_jNS1_19radix_merge_compareILb0ELb1EjNS0_19identity_decomposerEEEEE10hipError_tT0_T1_T2_jT3_P12ihipStream_tbPNSt15iterator_traitsISK_E10value_typeEPNSQ_ISL_E10value_typeEPSM_NS1_7vsmem_tEENKUlT_SK_SL_SM_E_clISE_PjSF_SF_EESJ_SZ_SK_SL_SM_EUlSZ_E0_NS1_11comp_targetILNS1_3genE5ELNS1_11target_archE942ELNS1_3gpuE9ELNS1_3repE0EEENS1_38merge_mergepath_config_static_selectorELNS0_4arch9wavefront6targetE1EEEvSL_
	.globl	_ZN7rocprim17ROCPRIM_400000_NS6detail17trampoline_kernelINS0_14default_configENS1_38merge_sort_block_merge_config_selectorIjNS0_10empty_typeEEEZZNS1_27merge_sort_block_merge_implIS3_N6thrust23THRUST_200600_302600_NS6detail15normal_iteratorINS9_10device_ptrIjEEEEPS5_jNS1_19radix_merge_compareILb0ELb1EjNS0_19identity_decomposerEEEEE10hipError_tT0_T1_T2_jT3_P12ihipStream_tbPNSt15iterator_traitsISK_E10value_typeEPNSQ_ISL_E10value_typeEPSM_NS1_7vsmem_tEENKUlT_SK_SL_SM_E_clISE_PjSF_SF_EESJ_SZ_SK_SL_SM_EUlSZ_E0_NS1_11comp_targetILNS1_3genE5ELNS1_11target_archE942ELNS1_3gpuE9ELNS1_3repE0EEENS1_38merge_mergepath_config_static_selectorELNS0_4arch9wavefront6targetE1EEEvSL_
	.p2align	8
	.type	_ZN7rocprim17ROCPRIM_400000_NS6detail17trampoline_kernelINS0_14default_configENS1_38merge_sort_block_merge_config_selectorIjNS0_10empty_typeEEEZZNS1_27merge_sort_block_merge_implIS3_N6thrust23THRUST_200600_302600_NS6detail15normal_iteratorINS9_10device_ptrIjEEEEPS5_jNS1_19radix_merge_compareILb0ELb1EjNS0_19identity_decomposerEEEEE10hipError_tT0_T1_T2_jT3_P12ihipStream_tbPNSt15iterator_traitsISK_E10value_typeEPNSQ_ISL_E10value_typeEPSM_NS1_7vsmem_tEENKUlT_SK_SL_SM_E_clISE_PjSF_SF_EESJ_SZ_SK_SL_SM_EUlSZ_E0_NS1_11comp_targetILNS1_3genE5ELNS1_11target_archE942ELNS1_3gpuE9ELNS1_3repE0EEENS1_38merge_mergepath_config_static_selectorELNS0_4arch9wavefront6targetE1EEEvSL_,@function
_ZN7rocprim17ROCPRIM_400000_NS6detail17trampoline_kernelINS0_14default_configENS1_38merge_sort_block_merge_config_selectorIjNS0_10empty_typeEEEZZNS1_27merge_sort_block_merge_implIS3_N6thrust23THRUST_200600_302600_NS6detail15normal_iteratorINS9_10device_ptrIjEEEEPS5_jNS1_19radix_merge_compareILb0ELb1EjNS0_19identity_decomposerEEEEE10hipError_tT0_T1_T2_jT3_P12ihipStream_tbPNSt15iterator_traitsISK_E10value_typeEPNSQ_ISL_E10value_typeEPSM_NS1_7vsmem_tEENKUlT_SK_SL_SM_E_clISE_PjSF_SF_EESJ_SZ_SK_SL_SM_EUlSZ_E0_NS1_11comp_targetILNS1_3genE5ELNS1_11target_archE942ELNS1_3gpuE9ELNS1_3repE0EEENS1_38merge_mergepath_config_static_selectorELNS0_4arch9wavefront6targetE1EEEvSL_: ; @_ZN7rocprim17ROCPRIM_400000_NS6detail17trampoline_kernelINS0_14default_configENS1_38merge_sort_block_merge_config_selectorIjNS0_10empty_typeEEEZZNS1_27merge_sort_block_merge_implIS3_N6thrust23THRUST_200600_302600_NS6detail15normal_iteratorINS9_10device_ptrIjEEEEPS5_jNS1_19radix_merge_compareILb0ELb1EjNS0_19identity_decomposerEEEEE10hipError_tT0_T1_T2_jT3_P12ihipStream_tbPNSt15iterator_traitsISK_E10value_typeEPNSQ_ISL_E10value_typeEPSM_NS1_7vsmem_tEENKUlT_SK_SL_SM_E_clISE_PjSF_SF_EESJ_SZ_SK_SL_SM_EUlSZ_E0_NS1_11comp_targetILNS1_3genE5ELNS1_11target_archE942ELNS1_3gpuE9ELNS1_3repE0EEENS1_38merge_mergepath_config_static_selectorELNS0_4arch9wavefront6targetE1EEEvSL_
; %bb.0:
	.section	.rodata,"a",@progbits
	.p2align	6, 0x0
	.amdhsa_kernel _ZN7rocprim17ROCPRIM_400000_NS6detail17trampoline_kernelINS0_14default_configENS1_38merge_sort_block_merge_config_selectorIjNS0_10empty_typeEEEZZNS1_27merge_sort_block_merge_implIS3_N6thrust23THRUST_200600_302600_NS6detail15normal_iteratorINS9_10device_ptrIjEEEEPS5_jNS1_19radix_merge_compareILb0ELb1EjNS0_19identity_decomposerEEEEE10hipError_tT0_T1_T2_jT3_P12ihipStream_tbPNSt15iterator_traitsISK_E10value_typeEPNSQ_ISL_E10value_typeEPSM_NS1_7vsmem_tEENKUlT_SK_SL_SM_E_clISE_PjSF_SF_EESJ_SZ_SK_SL_SM_EUlSZ_E0_NS1_11comp_targetILNS1_3genE5ELNS1_11target_archE942ELNS1_3gpuE9ELNS1_3repE0EEENS1_38merge_mergepath_config_static_selectorELNS0_4arch9wavefront6targetE1EEEvSL_
		.amdhsa_group_segment_fixed_size 0
		.amdhsa_private_segment_fixed_size 0
		.amdhsa_kernarg_size 64
		.amdhsa_user_sgpr_count 6
		.amdhsa_user_sgpr_private_segment_buffer 1
		.amdhsa_user_sgpr_dispatch_ptr 0
		.amdhsa_user_sgpr_queue_ptr 0
		.amdhsa_user_sgpr_kernarg_segment_ptr 1
		.amdhsa_user_sgpr_dispatch_id 0
		.amdhsa_user_sgpr_flat_scratch_init 0
		.amdhsa_user_sgpr_kernarg_preload_length 0
		.amdhsa_user_sgpr_kernarg_preload_offset 0
		.amdhsa_user_sgpr_private_segment_size 0
		.amdhsa_uses_dynamic_stack 0
		.amdhsa_system_sgpr_private_segment_wavefront_offset 0
		.amdhsa_system_sgpr_workgroup_id_x 1
		.amdhsa_system_sgpr_workgroup_id_y 0
		.amdhsa_system_sgpr_workgroup_id_z 0
		.amdhsa_system_sgpr_workgroup_info 0
		.amdhsa_system_vgpr_workitem_id 0
		.amdhsa_next_free_vgpr 1
		.amdhsa_next_free_sgpr 0
		.amdhsa_accum_offset 4
		.amdhsa_reserve_vcc 0
		.amdhsa_reserve_flat_scratch 0
		.amdhsa_float_round_mode_32 0
		.amdhsa_float_round_mode_16_64 0
		.amdhsa_float_denorm_mode_32 3
		.amdhsa_float_denorm_mode_16_64 3
		.amdhsa_dx10_clamp 1
		.amdhsa_ieee_mode 1
		.amdhsa_fp16_overflow 0
		.amdhsa_tg_split 0
		.amdhsa_exception_fp_ieee_invalid_op 0
		.amdhsa_exception_fp_denorm_src 0
		.amdhsa_exception_fp_ieee_div_zero 0
		.amdhsa_exception_fp_ieee_overflow 0
		.amdhsa_exception_fp_ieee_underflow 0
		.amdhsa_exception_fp_ieee_inexact 0
		.amdhsa_exception_int_div_zero 0
	.end_amdhsa_kernel
	.section	.text._ZN7rocprim17ROCPRIM_400000_NS6detail17trampoline_kernelINS0_14default_configENS1_38merge_sort_block_merge_config_selectorIjNS0_10empty_typeEEEZZNS1_27merge_sort_block_merge_implIS3_N6thrust23THRUST_200600_302600_NS6detail15normal_iteratorINS9_10device_ptrIjEEEEPS5_jNS1_19radix_merge_compareILb0ELb1EjNS0_19identity_decomposerEEEEE10hipError_tT0_T1_T2_jT3_P12ihipStream_tbPNSt15iterator_traitsISK_E10value_typeEPNSQ_ISL_E10value_typeEPSM_NS1_7vsmem_tEENKUlT_SK_SL_SM_E_clISE_PjSF_SF_EESJ_SZ_SK_SL_SM_EUlSZ_E0_NS1_11comp_targetILNS1_3genE5ELNS1_11target_archE942ELNS1_3gpuE9ELNS1_3repE0EEENS1_38merge_mergepath_config_static_selectorELNS0_4arch9wavefront6targetE1EEEvSL_,"axG",@progbits,_ZN7rocprim17ROCPRIM_400000_NS6detail17trampoline_kernelINS0_14default_configENS1_38merge_sort_block_merge_config_selectorIjNS0_10empty_typeEEEZZNS1_27merge_sort_block_merge_implIS3_N6thrust23THRUST_200600_302600_NS6detail15normal_iteratorINS9_10device_ptrIjEEEEPS5_jNS1_19radix_merge_compareILb0ELb1EjNS0_19identity_decomposerEEEEE10hipError_tT0_T1_T2_jT3_P12ihipStream_tbPNSt15iterator_traitsISK_E10value_typeEPNSQ_ISL_E10value_typeEPSM_NS1_7vsmem_tEENKUlT_SK_SL_SM_E_clISE_PjSF_SF_EESJ_SZ_SK_SL_SM_EUlSZ_E0_NS1_11comp_targetILNS1_3genE5ELNS1_11target_archE942ELNS1_3gpuE9ELNS1_3repE0EEENS1_38merge_mergepath_config_static_selectorELNS0_4arch9wavefront6targetE1EEEvSL_,comdat
.Lfunc_end1060:
	.size	_ZN7rocprim17ROCPRIM_400000_NS6detail17trampoline_kernelINS0_14default_configENS1_38merge_sort_block_merge_config_selectorIjNS0_10empty_typeEEEZZNS1_27merge_sort_block_merge_implIS3_N6thrust23THRUST_200600_302600_NS6detail15normal_iteratorINS9_10device_ptrIjEEEEPS5_jNS1_19radix_merge_compareILb0ELb1EjNS0_19identity_decomposerEEEEE10hipError_tT0_T1_T2_jT3_P12ihipStream_tbPNSt15iterator_traitsISK_E10value_typeEPNSQ_ISL_E10value_typeEPSM_NS1_7vsmem_tEENKUlT_SK_SL_SM_E_clISE_PjSF_SF_EESJ_SZ_SK_SL_SM_EUlSZ_E0_NS1_11comp_targetILNS1_3genE5ELNS1_11target_archE942ELNS1_3gpuE9ELNS1_3repE0EEENS1_38merge_mergepath_config_static_selectorELNS0_4arch9wavefront6targetE1EEEvSL_, .Lfunc_end1060-_ZN7rocprim17ROCPRIM_400000_NS6detail17trampoline_kernelINS0_14default_configENS1_38merge_sort_block_merge_config_selectorIjNS0_10empty_typeEEEZZNS1_27merge_sort_block_merge_implIS3_N6thrust23THRUST_200600_302600_NS6detail15normal_iteratorINS9_10device_ptrIjEEEEPS5_jNS1_19radix_merge_compareILb0ELb1EjNS0_19identity_decomposerEEEEE10hipError_tT0_T1_T2_jT3_P12ihipStream_tbPNSt15iterator_traitsISK_E10value_typeEPNSQ_ISL_E10value_typeEPSM_NS1_7vsmem_tEENKUlT_SK_SL_SM_E_clISE_PjSF_SF_EESJ_SZ_SK_SL_SM_EUlSZ_E0_NS1_11comp_targetILNS1_3genE5ELNS1_11target_archE942ELNS1_3gpuE9ELNS1_3repE0EEENS1_38merge_mergepath_config_static_selectorELNS0_4arch9wavefront6targetE1EEEvSL_
                                        ; -- End function
	.section	.AMDGPU.csdata,"",@progbits
; Kernel info:
; codeLenInByte = 0
; NumSgprs: 4
; NumVgprs: 0
; NumAgprs: 0
; TotalNumVgprs: 0
; ScratchSize: 0
; MemoryBound: 0
; FloatMode: 240
; IeeeMode: 1
; LDSByteSize: 0 bytes/workgroup (compile time only)
; SGPRBlocks: 0
; VGPRBlocks: 0
; NumSGPRsForWavesPerEU: 4
; NumVGPRsForWavesPerEU: 1
; AccumOffset: 4
; Occupancy: 8
; WaveLimiterHint : 0
; COMPUTE_PGM_RSRC2:SCRATCH_EN: 0
; COMPUTE_PGM_RSRC2:USER_SGPR: 6
; COMPUTE_PGM_RSRC2:TRAP_HANDLER: 0
; COMPUTE_PGM_RSRC2:TGID_X_EN: 1
; COMPUTE_PGM_RSRC2:TGID_Y_EN: 0
; COMPUTE_PGM_RSRC2:TGID_Z_EN: 0
; COMPUTE_PGM_RSRC2:TIDIG_COMP_CNT: 0
; COMPUTE_PGM_RSRC3_GFX90A:ACCUM_OFFSET: 0
; COMPUTE_PGM_RSRC3_GFX90A:TG_SPLIT: 0
	.section	.text._ZN7rocprim17ROCPRIM_400000_NS6detail17trampoline_kernelINS0_14default_configENS1_38merge_sort_block_merge_config_selectorIjNS0_10empty_typeEEEZZNS1_27merge_sort_block_merge_implIS3_N6thrust23THRUST_200600_302600_NS6detail15normal_iteratorINS9_10device_ptrIjEEEEPS5_jNS1_19radix_merge_compareILb0ELb1EjNS0_19identity_decomposerEEEEE10hipError_tT0_T1_T2_jT3_P12ihipStream_tbPNSt15iterator_traitsISK_E10value_typeEPNSQ_ISL_E10value_typeEPSM_NS1_7vsmem_tEENKUlT_SK_SL_SM_E_clISE_PjSF_SF_EESJ_SZ_SK_SL_SM_EUlSZ_E0_NS1_11comp_targetILNS1_3genE4ELNS1_11target_archE910ELNS1_3gpuE8ELNS1_3repE0EEENS1_38merge_mergepath_config_static_selectorELNS0_4arch9wavefront6targetE1EEEvSL_,"axG",@progbits,_ZN7rocprim17ROCPRIM_400000_NS6detail17trampoline_kernelINS0_14default_configENS1_38merge_sort_block_merge_config_selectorIjNS0_10empty_typeEEEZZNS1_27merge_sort_block_merge_implIS3_N6thrust23THRUST_200600_302600_NS6detail15normal_iteratorINS9_10device_ptrIjEEEEPS5_jNS1_19radix_merge_compareILb0ELb1EjNS0_19identity_decomposerEEEEE10hipError_tT0_T1_T2_jT3_P12ihipStream_tbPNSt15iterator_traitsISK_E10value_typeEPNSQ_ISL_E10value_typeEPSM_NS1_7vsmem_tEENKUlT_SK_SL_SM_E_clISE_PjSF_SF_EESJ_SZ_SK_SL_SM_EUlSZ_E0_NS1_11comp_targetILNS1_3genE4ELNS1_11target_archE910ELNS1_3gpuE8ELNS1_3repE0EEENS1_38merge_mergepath_config_static_selectorELNS0_4arch9wavefront6targetE1EEEvSL_,comdat
	.protected	_ZN7rocprim17ROCPRIM_400000_NS6detail17trampoline_kernelINS0_14default_configENS1_38merge_sort_block_merge_config_selectorIjNS0_10empty_typeEEEZZNS1_27merge_sort_block_merge_implIS3_N6thrust23THRUST_200600_302600_NS6detail15normal_iteratorINS9_10device_ptrIjEEEEPS5_jNS1_19radix_merge_compareILb0ELb1EjNS0_19identity_decomposerEEEEE10hipError_tT0_T1_T2_jT3_P12ihipStream_tbPNSt15iterator_traitsISK_E10value_typeEPNSQ_ISL_E10value_typeEPSM_NS1_7vsmem_tEENKUlT_SK_SL_SM_E_clISE_PjSF_SF_EESJ_SZ_SK_SL_SM_EUlSZ_E0_NS1_11comp_targetILNS1_3genE4ELNS1_11target_archE910ELNS1_3gpuE8ELNS1_3repE0EEENS1_38merge_mergepath_config_static_selectorELNS0_4arch9wavefront6targetE1EEEvSL_ ; -- Begin function _ZN7rocprim17ROCPRIM_400000_NS6detail17trampoline_kernelINS0_14default_configENS1_38merge_sort_block_merge_config_selectorIjNS0_10empty_typeEEEZZNS1_27merge_sort_block_merge_implIS3_N6thrust23THRUST_200600_302600_NS6detail15normal_iteratorINS9_10device_ptrIjEEEEPS5_jNS1_19radix_merge_compareILb0ELb1EjNS0_19identity_decomposerEEEEE10hipError_tT0_T1_T2_jT3_P12ihipStream_tbPNSt15iterator_traitsISK_E10value_typeEPNSQ_ISL_E10value_typeEPSM_NS1_7vsmem_tEENKUlT_SK_SL_SM_E_clISE_PjSF_SF_EESJ_SZ_SK_SL_SM_EUlSZ_E0_NS1_11comp_targetILNS1_3genE4ELNS1_11target_archE910ELNS1_3gpuE8ELNS1_3repE0EEENS1_38merge_mergepath_config_static_selectorELNS0_4arch9wavefront6targetE1EEEvSL_
	.globl	_ZN7rocprim17ROCPRIM_400000_NS6detail17trampoline_kernelINS0_14default_configENS1_38merge_sort_block_merge_config_selectorIjNS0_10empty_typeEEEZZNS1_27merge_sort_block_merge_implIS3_N6thrust23THRUST_200600_302600_NS6detail15normal_iteratorINS9_10device_ptrIjEEEEPS5_jNS1_19radix_merge_compareILb0ELb1EjNS0_19identity_decomposerEEEEE10hipError_tT0_T1_T2_jT3_P12ihipStream_tbPNSt15iterator_traitsISK_E10value_typeEPNSQ_ISL_E10value_typeEPSM_NS1_7vsmem_tEENKUlT_SK_SL_SM_E_clISE_PjSF_SF_EESJ_SZ_SK_SL_SM_EUlSZ_E0_NS1_11comp_targetILNS1_3genE4ELNS1_11target_archE910ELNS1_3gpuE8ELNS1_3repE0EEENS1_38merge_mergepath_config_static_selectorELNS0_4arch9wavefront6targetE1EEEvSL_
	.p2align	8
	.type	_ZN7rocprim17ROCPRIM_400000_NS6detail17trampoline_kernelINS0_14default_configENS1_38merge_sort_block_merge_config_selectorIjNS0_10empty_typeEEEZZNS1_27merge_sort_block_merge_implIS3_N6thrust23THRUST_200600_302600_NS6detail15normal_iteratorINS9_10device_ptrIjEEEEPS5_jNS1_19radix_merge_compareILb0ELb1EjNS0_19identity_decomposerEEEEE10hipError_tT0_T1_T2_jT3_P12ihipStream_tbPNSt15iterator_traitsISK_E10value_typeEPNSQ_ISL_E10value_typeEPSM_NS1_7vsmem_tEENKUlT_SK_SL_SM_E_clISE_PjSF_SF_EESJ_SZ_SK_SL_SM_EUlSZ_E0_NS1_11comp_targetILNS1_3genE4ELNS1_11target_archE910ELNS1_3gpuE8ELNS1_3repE0EEENS1_38merge_mergepath_config_static_selectorELNS0_4arch9wavefront6targetE1EEEvSL_,@function
_ZN7rocprim17ROCPRIM_400000_NS6detail17trampoline_kernelINS0_14default_configENS1_38merge_sort_block_merge_config_selectorIjNS0_10empty_typeEEEZZNS1_27merge_sort_block_merge_implIS3_N6thrust23THRUST_200600_302600_NS6detail15normal_iteratorINS9_10device_ptrIjEEEEPS5_jNS1_19radix_merge_compareILb0ELb1EjNS0_19identity_decomposerEEEEE10hipError_tT0_T1_T2_jT3_P12ihipStream_tbPNSt15iterator_traitsISK_E10value_typeEPNSQ_ISL_E10value_typeEPSM_NS1_7vsmem_tEENKUlT_SK_SL_SM_E_clISE_PjSF_SF_EESJ_SZ_SK_SL_SM_EUlSZ_E0_NS1_11comp_targetILNS1_3genE4ELNS1_11target_archE910ELNS1_3gpuE8ELNS1_3repE0EEENS1_38merge_mergepath_config_static_selectorELNS0_4arch9wavefront6targetE1EEEvSL_: ; @_ZN7rocprim17ROCPRIM_400000_NS6detail17trampoline_kernelINS0_14default_configENS1_38merge_sort_block_merge_config_selectorIjNS0_10empty_typeEEEZZNS1_27merge_sort_block_merge_implIS3_N6thrust23THRUST_200600_302600_NS6detail15normal_iteratorINS9_10device_ptrIjEEEEPS5_jNS1_19radix_merge_compareILb0ELb1EjNS0_19identity_decomposerEEEEE10hipError_tT0_T1_T2_jT3_P12ihipStream_tbPNSt15iterator_traitsISK_E10value_typeEPNSQ_ISL_E10value_typeEPSM_NS1_7vsmem_tEENKUlT_SK_SL_SM_E_clISE_PjSF_SF_EESJ_SZ_SK_SL_SM_EUlSZ_E0_NS1_11comp_targetILNS1_3genE4ELNS1_11target_archE910ELNS1_3gpuE8ELNS1_3repE0EEENS1_38merge_mergepath_config_static_selectorELNS0_4arch9wavefront6targetE1EEEvSL_
; %bb.0:
	s_load_dwordx2 s[10:11], s[4:5], 0x40
	s_load_dwordx2 s[16:17], s[4:5], 0x30
	s_add_u32 s0, s4, 64
	s_addc_u32 s1, s5, 0
	s_waitcnt lgkmcnt(0)
	s_mul_i32 s2, s11, s8
	s_add_i32 s2, s2, s7
	s_mul_i32 s2, s2, s10
	s_add_i32 s2, s2, s6
	s_cmp_ge_u32 s2, s16
	s_cbranch_scc1 .LBB1061_43
; %bb.1:
	s_load_dwordx2 s[14:15], s[4:5], 0x28
	s_load_dwordx2 s[8:9], s[4:5], 0x38
	s_load_dwordx2 s[12:13], s[4:5], 0x8
	s_mov_b32 s3, 0
	v_mov_b32_e32 v9, 0
	s_waitcnt lgkmcnt(0)
	s_lshr_b32 s22, s14, 10
	s_cmp_lg_u32 s2, s22
	s_cselect_b64 s[18:19], -1, 0
	s_lshl_b64 s[20:21], s[2:3], 2
	s_add_u32 s8, s8, s20
	s_addc_u32 s9, s9, s21
	s_lshr_b32 s7, s15, 9
	s_and_b32 s7, s7, 0x7ffffe
	s_load_dwordx2 s[8:9], s[8:9], 0x0
	s_sub_i32 s7, 0, s7
	s_and_b32 s11, s2, s7
	s_lshl_b32 s21, s11, 10
	s_lshl_b32 s16, s2, 10
	;; [unrolled: 1-line block ×3, first 2 shown]
	s_sub_i32 s20, s16, s21
	s_add_i32 s11, s11, s15
	s_add_i32 s23, s11, s20
	s_waitcnt lgkmcnt(0)
	s_sub_i32 s20, s23, s8
	s_sub_i32 s23, s23, s9
	;; [unrolled: 1-line block ×3, first 2 shown]
	s_min_u32 s20, s14, s20
	s_addk_i32 s23, 0x400
	s_or_b32 s7, s2, s7
	s_min_u32 s21, s14, s11
	s_add_i32 s11, s11, s15
	s_cmp_eq_u32 s7, -1
	s_cselect_b32 s7, s11, s23
	s_cselect_b32 s9, s21, s9
	s_min_u32 s7, s7, s14
	s_sub_i32 s15, s9, s8
	s_mov_b32 s9, s3
	s_sub_i32 s7, s7, s20
	s_lshl_b64 s[8:9], s[8:9], 2
	s_add_u32 s8, s12, s8
	s_mov_b32 s21, s3
	s_addc_u32 s9, s13, s9
	s_lshl_b64 s[20:21], s[20:21], 2
	s_add_u32 s11, s12, s20
	s_addc_u32 s12, s13, s21
	s_cmp_lt_u32 s6, s10
	s_cselect_b32 s3, 12, 18
	global_load_dword v1, v9, s[0:1] offset:14
	s_add_u32 s0, s0, s3
	s_addc_u32 s1, s1, 0
	global_load_ushort v2, v9, s[0:1]
	s_cmp_eq_u32 s2, s22
	s_waitcnt vmcnt(1)
	v_lshrrev_b32_e32 v3, 16, v1
	v_and_b32_e32 v1, 0xffff, v1
	v_mul_lo_u32 v1, v1, v3
	s_waitcnt vmcnt(0)
	v_mul_lo_u32 v15, v1, v2
	v_add_u32_e32 v12, v15, v0
	v_lshlrev_b32_e32 v1, 2, v0
	v_add_u32_e32 v10, v12, v15
	s_cbranch_scc1 .LBB1061_3
; %bb.2:
	v_subrev_u32_e32 v8, s15, v0
	v_lshlrev_b64 v[2:3], 2, v[8:9]
	v_mov_b32_e32 v4, s12
	v_add_co_u32_e32 v2, vcc, s11, v2
	v_addc_co_u32_e32 v3, vcc, v4, v3, vcc
	v_mov_b32_e32 v4, s9
	v_add_co_u32_e32 v5, vcc, s8, v1
	v_addc_co_u32_e32 v4, vcc, 0, v4, vcc
	v_cmp_gt_u32_e32 vcc, s15, v0
	v_subrev_u32_e32 v8, s15, v12
	v_cndmask_b32_e32 v3, v3, v4, vcc
	v_cndmask_b32_e32 v2, v2, v5, vcc
	v_lshlrev_b64 v[4:5], 2, v[8:9]
	global_load_dword v2, v[2:3], off
	v_mov_b32_e32 v3, s12
	v_add_co_u32_e32 v6, vcc, s11, v4
	v_mov_b32_e32 v13, v9
	v_addc_co_u32_e32 v3, vcc, v3, v5, vcc
	v_lshlrev_b64 v[4:5], 2, v[12:13]
	v_mov_b32_e32 v7, s9
	v_add_co_u32_e32 v4, vcc, s8, v4
	v_addc_co_u32_e32 v5, vcc, v7, v5, vcc
	v_cmp_gt_u32_e32 vcc, s15, v12
	v_cndmask_b32_e32 v5, v3, v5, vcc
	v_cndmask_b32_e32 v4, v6, v4, vcc
	v_subrev_u32_e32 v8, s15, v10
	global_load_dword v3, v[4:5], off
	v_lshlrev_b64 v[4:5], 2, v[8:9]
	v_mov_b32_e32 v6, s12
	v_add_co_u32_e32 v7, vcc, s11, v4
	v_mov_b32_e32 v11, v9
	v_addc_co_u32_e32 v6, vcc, v6, v5, vcc
	v_lshlrev_b64 v[4:5], 2, v[10:11]
	v_mov_b32_e32 v8, s9
	v_add_co_u32_e32 v4, vcc, s8, v4
	v_addc_co_u32_e32 v5, vcc, v8, v5, vcc
	v_cmp_gt_u32_e32 vcc, s15, v10
	v_cndmask_b32_e32 v5, v6, v5, vcc
	v_add_u32_e32 v6, v10, v15
	v_subrev_u32_e32 v8, s15, v6
	v_cndmask_b32_e32 v4, v7, v4, vcc
	v_lshlrev_b64 v[16:17], 2, v[8:9]
	global_load_dword v4, v[4:5], off
	v_mov_b32_e32 v5, s12
	v_add_co_u32_e32 v8, vcc, s11, v16
	v_mov_b32_e32 v7, v9
	v_addc_co_u32_e32 v5, vcc, v5, v17, vcc
	v_lshlrev_b64 v[16:17], 2, v[6:7]
	v_mov_b32_e32 v7, s9
	v_add_co_u32_e32 v11, vcc, s8, v16
	v_addc_co_u32_e32 v7, vcc, v7, v17, vcc
	v_cmp_gt_u32_e32 vcc, s15, v6
	v_cndmask_b32_e32 v17, v5, v7, vcc
	v_cndmask_b32_e32 v16, v8, v11, vcc
	global_load_dword v5, v[16:17], off
	v_add_u32_e32 v16, v6, v15
	v_subrev_u32_e32 v8, s15, v16
	v_lshlrev_b64 v[6:7], 2, v[8:9]
	v_mov_b32_e32 v8, s12
	v_add_co_u32_e32 v11, vcc, s11, v6
	v_mov_b32_e32 v17, v9
	v_addc_co_u32_e32 v8, vcc, v8, v7, vcc
	v_lshlrev_b64 v[6:7], 2, v[16:17]
	v_mov_b32_e32 v13, s9
	v_add_co_u32_e32 v6, vcc, s8, v6
	v_addc_co_u32_e32 v7, vcc, v13, v7, vcc
	v_cmp_gt_u32_e32 vcc, s15, v16
	v_add_u32_e32 v16, v16, v15
	v_cndmask_b32_e32 v7, v8, v7, vcc
	v_subrev_u32_e32 v8, s15, v16
	v_cndmask_b32_e32 v6, v11, v6, vcc
	v_lshlrev_b64 v[18:19], 2, v[8:9]
	global_load_dword v6, v[6:7], off
	v_mov_b32_e32 v7, s12
	v_add_co_u32_e32 v8, vcc, s11, v18
	v_addc_co_u32_e32 v7, vcc, v7, v19, vcc
	v_lshlrev_b64 v[18:19], 2, v[16:17]
	v_mov_b32_e32 v11, s9
	v_add_co_u32_e32 v13, vcc, s8, v18
	v_addc_co_u32_e32 v11, vcc, v11, v19, vcc
	v_cmp_gt_u32_e32 vcc, s15, v16
	v_add_u32_e32 v16, v16, v15
	v_cndmask_b32_e32 v19, v7, v11, vcc
	v_cndmask_b32_e32 v18, v8, v13, vcc
	v_subrev_u32_e32 v8, s15, v16
	global_load_dword v7, v[18:19], off
	v_lshlrev_b64 v[18:19], 2, v[8:9]
	v_mov_b32_e32 v8, s12
	v_add_co_u32_e32 v11, vcc, s11, v18
	v_addc_co_u32_e32 v13, vcc, v8, v19, vcc
	v_lshlrev_b64 v[8:9], 2, v[16:17]
	v_mov_b32_e32 v14, s9
	v_add_co_u32_e32 v8, vcc, s8, v8
	v_addc_co_u32_e32 v9, vcc, v14, v9, vcc
	v_cmp_gt_u32_e32 vcc, s15, v16
	v_cndmask_b32_e32 v9, v13, v9, vcc
	v_cndmask_b32_e32 v8, v11, v8, vcc
	global_load_dword v8, v[8:9], off
	v_add_u32_e32 v14, v16, v15
	s_add_i32 s6, s7, s15
	s_mov_b64 s[0:1], -1
	s_cbranch_execz .LBB1061_4
	s_branch .LBB1061_17
.LBB1061_3:
	s_mov_b64 s[0:1], 0
                                        ; implicit-def: $vgpr14
                                        ; implicit-def: $vgpr2_vgpr3_vgpr4_vgpr5_vgpr6_vgpr7_vgpr8_vgpr9
                                        ; implicit-def: $sgpr6
.LBB1061_4:
	s_add_i32 s6, s7, s15
	v_cmp_gt_u32_e32 vcc, s6, v0
                                        ; implicit-def: $vgpr2_vgpr3_vgpr4_vgpr5_vgpr6_vgpr7_vgpr8_vgpr9
	s_and_saveexec_b64 s[0:1], vcc
	s_cbranch_execnz .LBB1061_44
; %bb.5:
	s_or_b64 exec, exec, s[0:1]
	v_cmp_gt_u32_e32 vcc, s6, v12
	s_and_saveexec_b64 s[2:3], vcc
	s_cbranch_execnz .LBB1061_45
.LBB1061_6:
	s_or_b64 exec, exec, s[2:3]
	v_cmp_gt_u32_e32 vcc, s6, v10
	s_and_saveexec_b64 s[0:1], vcc
	s_cbranch_execz .LBB1061_8
.LBB1061_7:
	v_mov_b32_e32 v11, 0
	v_lshlrev_b64 v[12:13], 2, v[10:11]
	s_waitcnt vmcnt(4)
	v_mov_b32_e32 v4, s9
	v_add_co_u32_e32 v14, vcc, s8, v12
	v_addc_co_u32_e32 v4, vcc, v4, v13, vcc
	v_subrev_u32_e32 v12, s15, v10
	v_mov_b32_e32 v13, v11
	v_lshlrev_b64 v[12:13], 2, v[12:13]
	v_mov_b32_e32 v11, s12
	v_add_co_u32_e32 v12, vcc, s11, v12
	v_addc_co_u32_e32 v11, vcc, v11, v13, vcc
	v_cmp_gt_u32_e32 vcc, s15, v10
	v_cndmask_b32_e32 v13, v11, v4, vcc
	v_cndmask_b32_e32 v12, v12, v14, vcc
	global_load_dword v4, v[12:13], off
.LBB1061_8:
	s_or_b64 exec, exec, s[0:1]
	v_add_u32_e32 v10, v10, v15
	v_cmp_gt_u32_e32 vcc, s6, v10
	s_and_saveexec_b64 s[0:1], vcc
	s_cbranch_execz .LBB1061_10
; %bb.9:
	v_mov_b32_e32 v11, 0
	v_lshlrev_b64 v[12:13], 2, v[10:11]
	s_waitcnt vmcnt(3)
	v_mov_b32_e32 v5, s9
	v_add_co_u32_e32 v14, vcc, s8, v12
	v_addc_co_u32_e32 v5, vcc, v5, v13, vcc
	v_subrev_u32_e32 v12, s15, v10
	v_mov_b32_e32 v13, v11
	v_lshlrev_b64 v[12:13], 2, v[12:13]
	v_mov_b32_e32 v11, s12
	v_add_co_u32_e32 v12, vcc, s11, v12
	v_addc_co_u32_e32 v11, vcc, v11, v13, vcc
	v_cmp_gt_u32_e32 vcc, s15, v10
	v_cndmask_b32_e32 v13, v11, v5, vcc
	v_cndmask_b32_e32 v12, v12, v14, vcc
	global_load_dword v5, v[12:13], off
.LBB1061_10:
	s_or_b64 exec, exec, s[0:1]
	v_add_u32_e32 v10, v10, v15
	v_cmp_gt_u32_e32 vcc, s6, v10
	s_and_saveexec_b64 s[0:1], vcc
	s_cbranch_execz .LBB1061_12
; %bb.11:
	v_mov_b32_e32 v11, 0
	v_lshlrev_b64 v[12:13], 2, v[10:11]
	s_waitcnt vmcnt(2)
	v_mov_b32_e32 v6, s9
	v_add_co_u32_e32 v14, vcc, s8, v12
	v_addc_co_u32_e32 v6, vcc, v6, v13, vcc
	v_subrev_u32_e32 v12, s15, v10
	v_mov_b32_e32 v13, v11
	v_lshlrev_b64 v[12:13], 2, v[12:13]
	v_mov_b32_e32 v11, s12
	v_add_co_u32_e32 v12, vcc, s11, v12
	v_addc_co_u32_e32 v11, vcc, v11, v13, vcc
	v_cmp_gt_u32_e32 vcc, s15, v10
	v_cndmask_b32_e32 v13, v11, v6, vcc
	v_cndmask_b32_e32 v12, v12, v14, vcc
	global_load_dword v6, v[12:13], off
.LBB1061_12:
	;; [unrolled: 23-line block ×4, first 2 shown]
	s_or_b64 exec, exec, s[0:1]
	v_add_u32_e32 v14, v10, v15
	v_cmp_gt_u32_e64 s[0:1], s6, v14
.LBB1061_17:
	v_mov_b32_e32 v11, s6
	s_and_saveexec_b64 s[2:3], s[0:1]
	s_cbranch_execz .LBB1061_19
; %bb.18:
	v_subrev_u32_e32 v10, s15, v14
	v_mov_b32_e32 v11, 0
	v_lshlrev_b64 v[12:13], 2, v[10:11]
	v_mov_b32_e32 v9, s12
	v_add_co_u32_e32 v12, vcc, s11, v12
	v_mov_b32_e32 v15, v11
	v_addc_co_u32_e32 v9, vcc, v9, v13, vcc
	v_lshlrev_b64 v[10:11], 2, v[14:15]
	v_mov_b32_e32 v13, s9
	v_add_co_u32_e32 v10, vcc, s8, v10
	v_addc_co_u32_e32 v11, vcc, v13, v11, vcc
	v_cmp_gt_u32_e32 vcc, s15, v14
	v_cndmask_b32_e32 v11, v9, v11, vcc
	v_cndmask_b32_e32 v10, v12, v10, vcc
	global_load_dword v9, v[10:11], off
	v_mov_b32_e32 v11, s6
.LBB1061_19:
	s_or_b64 exec, exec, s[2:3]
	s_load_dwordx2 s[20:21], s[4:5], 0x10
	v_lshlrev_b32_e32 v10, 3, v0
	v_min_u32_e32 v13, v11, v10
	v_sub_u32_e64 v12, v13, s7 clamp
	v_min_u32_e32 v14, s15, v13
	v_cmp_lt_u32_e32 vcc, v12, v14
	s_waitcnt vmcnt(0)
	ds_write2st64_b32 v1, v2, v3 offset1:2
	ds_write2st64_b32 v1, v4, v5 offset0:4 offset1:6
	ds_write2st64_b32 v1, v6, v7 offset0:8 offset1:10
	;; [unrolled: 1-line block ×3, first 2 shown]
	s_waitcnt lgkmcnt(0)
	s_barrier
	s_and_saveexec_b64 s[0:1], vcc
	s_cbranch_execz .LBB1061_23
; %bb.20:
	v_lshlrev_b32_e32 v15, 2, v13
	v_lshl_add_u32 v15, s15, 2, v15
	s_mov_b64 s[2:3], 0
.LBB1061_21:                            ; =>This Inner Loop Header: Depth=1
	v_add_u32_e32 v16, v14, v12
	v_lshrrev_b32_e32 v16, 1, v16
	v_not_b32_e32 v17, v16
	v_lshlrev_b32_e32 v18, 2, v16
	v_lshl_add_u32 v17, v17, 2, v15
	ds_read_b32 v18, v18
	ds_read_b32 v17, v17
	v_add_u32_e32 v19, 1, v16
	s_waitcnt lgkmcnt(1)
	v_and_b32_e32 v18, s17, v18
	s_waitcnt lgkmcnt(0)
	v_and_b32_e32 v17, s17, v17
	v_cmp_gt_u32_e32 vcc, v18, v17
	v_cndmask_b32_e32 v14, v14, v16, vcc
	v_cndmask_b32_e32 v12, v19, v12, vcc
	v_cmp_ge_u32_e32 vcc, v12, v14
	s_or_b64 s[2:3], vcc, s[2:3]
	s_andn2_b64 exec, exec, s[2:3]
	s_cbranch_execnz .LBB1061_21
; %bb.22:
	s_or_b64 exec, exec, s[2:3]
.LBB1061_23:
	s_or_b64 exec, exec, s[0:1]
	v_sub_u32_e32 v13, v13, v12
	v_add_u32_e32 v13, s15, v13
	v_cmp_ge_u32_e32 vcc, s15, v12
	v_cmp_le_u32_e64 s[0:1], v13, v11
	s_or_b64 s[0:1], vcc, s[0:1]
	s_and_saveexec_b64 s[22:23], s[0:1]
	s_cbranch_execz .LBB1061_29
; %bb.24:
	v_cmp_gt_u32_e32 vcc, s15, v12
                                        ; implicit-def: $vgpr2
	s_and_saveexec_b64 s[0:1], vcc
	s_cbranch_execz .LBB1061_26
; %bb.25:
	v_lshlrev_b32_e32 v2, 2, v12
	ds_read_b32 v2, v2
.LBB1061_26:
	s_or_b64 exec, exec, s[0:1]
	v_cmp_ge_u32_e64 s[0:1], v13, v11
	v_cmp_lt_u32_e64 s[2:3], v13, v11
                                        ; implicit-def: $vgpr3
	s_and_saveexec_b64 s[4:5], s[2:3]
	s_cbranch_execz .LBB1061_28
; %bb.27:
	v_lshlrev_b32_e32 v3, 2, v13
	ds_read_b32 v3, v3
.LBB1061_28:
	s_or_b64 exec, exec, s[4:5]
	s_waitcnt lgkmcnt(0)
	v_and_b32_e32 v4, s17, v3
	v_and_b32_e32 v5, s17, v2
	v_cmp_le_u32_e64 s[2:3], v5, v4
	s_and_b64 s[2:3], vcc, s[2:3]
	s_or_b64 vcc, s[0:1], s[2:3]
	v_mov_b32_e32 v5, s15
	v_cndmask_b32_e32 v4, v13, v12, vcc
	v_cndmask_b32_e32 v6, v11, v5, vcc
	v_add_u32_e32 v4, 1, v4
	v_add_u32_e32 v6, -1, v6
	v_min_u32_e32 v6, v4, v6
	v_lshlrev_b32_e32 v6, 2, v6
	ds_read_b32 v6, v6
	v_cndmask_b32_e32 v8, v4, v13, vcc
	v_cndmask_b32_e32 v4, v12, v4, vcc
	v_cmp_gt_u32_e64 s[2:3], s15, v4
	v_cmp_ge_u32_e64 s[0:1], v8, v11
	s_waitcnt lgkmcnt(0)
	v_cndmask_b32_e32 v7, v6, v3, vcc
	v_cndmask_b32_e32 v6, v2, v6, vcc
	v_and_b32_e32 v9, s17, v7
	v_and_b32_e32 v12, s17, v6
	v_cmp_le_u32_e64 s[4:5], v12, v9
	s_and_b64 s[2:3], s[2:3], s[4:5]
	s_or_b64 s[0:1], s[0:1], s[2:3]
	v_cndmask_b32_e64 v9, v8, v4, s[0:1]
	v_cndmask_b32_e64 v12, v11, v5, s[0:1]
	v_add_u32_e32 v9, 1, v9
	v_add_u32_e32 v12, -1, v12
	v_min_u32_e32 v12, v9, v12
	v_lshlrev_b32_e32 v12, 2, v12
	ds_read_b32 v12, v12
	v_cndmask_b32_e64 v8, v9, v8, s[0:1]
	v_cndmask_b32_e64 v4, v4, v9, s[0:1]
	v_cmp_gt_u32_e64 s[4:5], s15, v4
	v_cmp_ge_u32_e64 s[2:3], v8, v11
	s_waitcnt lgkmcnt(0)
	v_cndmask_b32_e64 v13, v12, v7, s[0:1]
	v_cndmask_b32_e64 v12, v6, v12, s[0:1]
	v_and_b32_e32 v9, s17, v13
	v_and_b32_e32 v14, s17, v12
	v_cmp_le_u32_e64 s[6:7], v14, v9
	s_and_b64 s[4:5], s[4:5], s[6:7]
	s_or_b64 s[2:3], s[2:3], s[4:5]
	v_cndmask_b32_e64 v9, v8, v4, s[2:3]
	v_cndmask_b32_e64 v14, v11, v5, s[2:3]
	v_add_u32_e32 v9, 1, v9
	v_add_u32_e32 v14, -1, v14
	v_min_u32_e32 v14, v9, v14
	v_lshlrev_b32_e32 v14, 2, v14
	ds_read_b32 v14, v14
	v_cndmask_b32_e64 v8, v9, v8, s[2:3]
	v_cndmask_b32_e64 v4, v4, v9, s[2:3]
	v_cmp_gt_u32_e64 s[6:7], s15, v4
	v_cmp_ge_u32_e64 s[4:5], v8, v11
	s_waitcnt lgkmcnt(0)
	v_cndmask_b32_e64 v15, v14, v13, s[2:3]
	v_cndmask_b32_e64 v14, v12, v14, s[2:3]
	;; [unrolled: 19-line block ×4, first 2 shown]
	v_and_b32_e32 v4, s17, v19
	v_and_b32_e32 v20, s17, v18
	v_cmp_le_u32_e64 s[12:13], v20, v4
	s_and_b64 s[10:11], s[10:11], s[12:13]
	s_or_b64 s[8:9], s[8:9], s[10:11]
	v_cndmask_b32_e64 v4, v8, v9, s[8:9]
	v_cndmask_b32_e64 v20, v11, v5, s[8:9]
	v_add_u32_e32 v21, 1, v4
	v_add_u32_e32 v4, -1, v20
	v_min_u32_e32 v4, v21, v4
	v_lshlrev_b32_e32 v4, 2, v4
	ds_read_b32 v20, v4
	v_cndmask_b32_e64 v4, v13, v12, s[2:3]
	v_cndmask_b32_e32 v2, v3, v2, vcc
	v_cndmask_b32_e64 v3, v7, v6, s[0:1]
	v_cndmask_b32_e64 v9, v9, v21, s[8:9]
	s_waitcnt lgkmcnt(0)
	v_cndmask_b32_e64 v12, v20, v19, s[8:9]
	v_cndmask_b32_e64 v13, v18, v20, s[8:9]
	v_and_b32_e32 v6, s17, v12
	v_and_b32_e32 v7, s17, v13
	v_cndmask_b32_e64 v20, v21, v8, s[8:9]
	v_cmp_gt_u32_e64 s[0:1], s15, v9
	v_cmp_le_u32_e64 s[2:3], v7, v6
	v_cmp_ge_u32_e32 vcc, v20, v11
	s_and_b64 s[0:1], s[0:1], s[2:3]
	s_or_b64 vcc, vcc, s[0:1]
	v_cndmask_b32_e32 v6, v20, v9, vcc
	v_cndmask_b32_e32 v5, v11, v5, vcc
	v_add_u32_e32 v21, 1, v6
	v_add_u32_e32 v5, -1, v5
	v_min_u32_e32 v5, v21, v5
	v_lshlrev_b32_e32 v5, 2, v5
	ds_read_b32 v22, v5
	v_cndmask_b32_e64 v5, v15, v14, s[4:5]
	v_cndmask_b32_e32 v8, v12, v13, vcc
	v_cndmask_b32_e32 v14, v21, v20, vcc
	;; [unrolled: 1-line block ×3, first 2 shown]
	s_waitcnt lgkmcnt(0)
	v_cndmask_b32_e32 v12, v22, v12, vcc
	v_cndmask_b32_e32 v13, v13, v22, vcc
	v_cmp_ge_u32_e32 vcc, v14, v11
	v_cmp_gt_u32_e64 s[0:1], s15, v9
	v_and_b32_e32 v9, s17, v12
	v_and_b32_e32 v11, s17, v13
	v_cmp_le_u32_e64 s[2:3], v11, v9
	s_and_b64 s[0:1], s[0:1], s[2:3]
	s_or_b64 vcc, vcc, s[0:1]
	v_cndmask_b32_e64 v6, v17, v16, s[6:7]
	v_cndmask_b32_e64 v7, v19, v18, s[8:9]
	v_cndmask_b32_e32 v9, v12, v13, vcc
.LBB1061_29:
	s_or_b64 exec, exec, s[22:23]
	v_and_b32_e32 v11, 0x7c, v0
	v_lshl_add_u32 v10, v10, 2, v11
	s_barrier
	s_barrier
	ds_write2_b32 v10, v2, v3 offset1:1
	ds_write2_b32 v10, v4, v5 offset0:2 offset1:3
	ds_write2_b32 v10, v6, v7 offset0:4 offset1:5
	;; [unrolled: 1-line block ×3, first 2 shown]
	v_lshrrev_b32_e32 v2, 3, v0
	v_and_b32_e32 v2, 12, v2
	v_or_b32_e32 v10, 0x80, v0
	v_add_u32_e32 v11, v1, v2
	v_lshrrev_b32_e32 v2, 3, v10
	v_and_b32_e32 v2, 28, v2
	v_or_b32_e32 v9, 0x100, v0
	v_add_u32_e32 v12, v1, v2
	v_lshrrev_b32_e32 v2, 3, v9
	v_and_b32_e32 v2, 44, v2
	v_or_b32_e32 v8, 0x180, v0
	v_add_u32_e32 v13, v1, v2
	v_lshrrev_b32_e32 v2, 3, v8
	v_and_b32_e32 v2, 60, v2
	v_or_b32_e32 v7, 0x200, v0
	v_add_u32_e32 v14, v1, v2
	v_lshrrev_b32_e32 v2, 3, v7
	v_and_b32_e32 v2, 0x4c, v2
	v_or_b32_e32 v6, 0x280, v0
	v_add_u32_e32 v15, v1, v2
	v_lshrrev_b32_e32 v2, 3, v6
	v_and_b32_e32 v2, 0x5c, v2
	v_or_b32_e32 v5, 0x300, v0
	s_mov_b32 s17, 0
	v_add_u32_e32 v16, v1, v2
	v_lshrrev_b32_e32 v2, 3, v5
	s_lshl_b64 s[0:1], s[16:17], 2
	v_and_b32_e32 v2, 0x6c, v2
	v_or_b32_e32 v4, 0x380, v0
	s_add_u32 s0, s20, s0
	v_add_u32_e32 v17, v1, v2
	v_lshrrev_b32_e32 v2, 3, v4
	s_addc_u32 s1, s21, s1
	v_and_b32_e32 v2, 0x7c, v2
	v_add_u32_e32 v18, v1, v2
	v_mov_b32_e32 v3, s1
	v_add_co_u32_e32 v2, vcc, s0, v1
	v_addc_co_u32_e32 v3, vcc, 0, v3, vcc
	s_and_b64 vcc, exec, s[18:19]
	s_waitcnt lgkmcnt(0)
	s_cbranch_vccz .LBB1061_31
; %bb.30:
	s_barrier
	ds_read_b32 v19, v11
	ds_read_b32 v20, v12 offset:512
	ds_read_b32 v21, v13 offset:1024
	;; [unrolled: 1-line block ×7, first 2 shown]
	s_waitcnt lgkmcnt(7)
	global_store_dword v[2:3], v19, off
	s_waitcnt lgkmcnt(6)
	global_store_dword v[2:3], v20, off offset:512
	s_waitcnt lgkmcnt(5)
	global_store_dword v[2:3], v21, off offset:1024
	;; [unrolled: 2-line block ×6, first 2 shown]
	s_mov_b64 s[0:1], -1
	s_cbranch_execz .LBB1061_32
	s_branch .LBB1061_41
.LBB1061_31:
	s_mov_b64 s[0:1], 0
                                        ; implicit-def: $vgpr1
.LBB1061_32:
	s_barrier
	s_waitcnt lgkmcnt(0)
	ds_read_b32 v21, v12 offset:512
	ds_read_b32 v20, v13 offset:1024
	;; [unrolled: 1-line block ×7, first 2 shown]
	s_sub_i32 s2, s14, s16
	v_cmp_gt_u32_e32 vcc, s2, v0
	s_and_saveexec_b64 s[0:1], vcc
	s_cbranch_execnz .LBB1061_46
; %bb.33:
	s_or_b64 exec, exec, s[0:1]
	v_cmp_gt_u32_e32 vcc, s2, v10
	s_and_saveexec_b64 s[0:1], vcc
	s_cbranch_execnz .LBB1061_47
.LBB1061_34:
	s_or_b64 exec, exec, s[0:1]
	v_cmp_gt_u32_e32 vcc, s2, v9
	s_and_saveexec_b64 s[0:1], vcc
	s_cbranch_execnz .LBB1061_48
.LBB1061_35:
	s_or_b64 exec, exec, s[0:1]
	v_cmp_gt_u32_e32 vcc, s2, v8
	s_and_saveexec_b64 s[0:1], vcc
	s_cbranch_execnz .LBB1061_49
.LBB1061_36:
	s_or_b64 exec, exec, s[0:1]
	v_cmp_gt_u32_e32 vcc, s2, v7
	s_and_saveexec_b64 s[0:1], vcc
	s_cbranch_execnz .LBB1061_50
.LBB1061_37:
	s_or_b64 exec, exec, s[0:1]
	v_cmp_gt_u32_e32 vcc, s2, v6
	s_and_saveexec_b64 s[0:1], vcc
	s_cbranch_execnz .LBB1061_51
.LBB1061_38:
	s_or_b64 exec, exec, s[0:1]
	v_cmp_gt_u32_e32 vcc, s2, v5
	s_and_saveexec_b64 s[0:1], vcc
	s_cbranch_execz .LBB1061_40
.LBB1061_39:
	s_waitcnt lgkmcnt(1)
	global_store_dword v[2:3], v12, off offset:3072
.LBB1061_40:
	s_or_b64 exec, exec, s[0:1]
	v_cmp_gt_u32_e64 s[0:1], s2, v4
.LBB1061_41:
	s_and_saveexec_b64 s[2:3], s[0:1]
	s_cbranch_execz .LBB1061_43
; %bb.42:
	s_waitcnt lgkmcnt(0)
	global_store_dword v[2:3], v1, off offset:3584
.LBB1061_43:
	s_endpgm
.LBB1061_44:
	s_waitcnt vmcnt(6)
	v_mov_b32_e32 v2, s9
	s_waitcnt vmcnt(4)
	v_add_co_u32_e32 v4, vcc, s8, v1
	v_mov_b32_e32 v3, 0
	s_waitcnt vmcnt(3)
	v_addc_co_u32_e32 v5, vcc, 0, v2, vcc
	v_subrev_u32_e32 v2, s15, v0
	v_lshlrev_b64 v[2:3], 2, v[2:3]
	s_waitcnt vmcnt(2)
	v_mov_b32_e32 v6, s12
	v_add_co_u32_e32 v2, vcc, s11, v2
	v_addc_co_u32_e32 v3, vcc, v6, v3, vcc
	v_cmp_gt_u32_e32 vcc, s15, v0
	v_cndmask_b32_e32 v3, v3, v5, vcc
	v_cndmask_b32_e32 v2, v2, v4, vcc
	global_load_dword v2, v[2:3], off
	s_or_b64 exec, exec, s[0:1]
	v_cmp_gt_u32_e32 vcc, s6, v12
	s_and_saveexec_b64 s[2:3], vcc
	s_cbranch_execz .LBB1061_6
.LBB1061_45:
	v_mov_b32_e32 v13, 0
	v_lshlrev_b64 v[16:17], 2, v[12:13]
	s_waitcnt vmcnt(5)
	v_mov_b32_e32 v3, s9
	v_add_co_u32_e32 v11, vcc, s8, v16
	v_addc_co_u32_e32 v3, vcc, v3, v17, vcc
	v_cmp_gt_u32_e32 vcc, s15, v12
	v_subrev_u32_e32 v12, s15, v12
	v_lshlrev_b64 v[12:13], 2, v[12:13]
	v_mov_b32_e32 v14, s12
	v_add_co_u32_e64 v12, s[0:1], s11, v12
	v_addc_co_u32_e64 v13, s[0:1], v14, v13, s[0:1]
	v_cndmask_b32_e32 v13, v13, v3, vcc
	v_cndmask_b32_e32 v12, v12, v11, vcc
	global_load_dword v3, v[12:13], off
	s_or_b64 exec, exec, s[2:3]
	v_cmp_gt_u32_e32 vcc, s6, v10
	s_and_saveexec_b64 s[0:1], vcc
	s_cbranch_execnz .LBB1061_7
	s_branch .LBB1061_8
.LBB1061_46:
	ds_read_b32 v0, v11
	s_waitcnt lgkmcnt(0)
	global_store_dword v[2:3], v0, off
	s_or_b64 exec, exec, s[0:1]
	v_cmp_gt_u32_e32 vcc, s2, v10
	s_and_saveexec_b64 s[0:1], vcc
	s_cbranch_execz .LBB1061_34
.LBB1061_47:
	s_waitcnt lgkmcnt(6)
	global_store_dword v[2:3], v21, off offset:512
	s_or_b64 exec, exec, s[0:1]
	v_cmp_gt_u32_e32 vcc, s2, v9
	s_and_saveexec_b64 s[0:1], vcc
	s_cbranch_execz .LBB1061_35
.LBB1061_48:
	s_waitcnt lgkmcnt(5)
	global_store_dword v[2:3], v20, off offset:1024
	s_or_b64 exec, exec, s[0:1]
	v_cmp_gt_u32_e32 vcc, s2, v8
	s_and_saveexec_b64 s[0:1], vcc
	s_cbranch_execz .LBB1061_36
.LBB1061_49:
	s_waitcnt lgkmcnt(4)
	global_store_dword v[2:3], v19, off offset:1536
	s_or_b64 exec, exec, s[0:1]
	v_cmp_gt_u32_e32 vcc, s2, v7
	s_and_saveexec_b64 s[0:1], vcc
	s_cbranch_execz .LBB1061_37
.LBB1061_50:
	s_waitcnt lgkmcnt(3)
	global_store_dword v[2:3], v14, off offset:2048
	s_or_b64 exec, exec, s[0:1]
	v_cmp_gt_u32_e32 vcc, s2, v6
	s_and_saveexec_b64 s[0:1], vcc
	s_cbranch_execz .LBB1061_38
.LBB1061_51:
	s_waitcnt lgkmcnt(2)
	global_store_dword v[2:3], v13, off offset:2560
	s_or_b64 exec, exec, s[0:1]
	v_cmp_gt_u32_e32 vcc, s2, v5
	s_and_saveexec_b64 s[0:1], vcc
	s_cbranch_execnz .LBB1061_39
	s_branch .LBB1061_40
	.section	.rodata,"a",@progbits
	.p2align	6, 0x0
	.amdhsa_kernel _ZN7rocprim17ROCPRIM_400000_NS6detail17trampoline_kernelINS0_14default_configENS1_38merge_sort_block_merge_config_selectorIjNS0_10empty_typeEEEZZNS1_27merge_sort_block_merge_implIS3_N6thrust23THRUST_200600_302600_NS6detail15normal_iteratorINS9_10device_ptrIjEEEEPS5_jNS1_19radix_merge_compareILb0ELb1EjNS0_19identity_decomposerEEEEE10hipError_tT0_T1_T2_jT3_P12ihipStream_tbPNSt15iterator_traitsISK_E10value_typeEPNSQ_ISL_E10value_typeEPSM_NS1_7vsmem_tEENKUlT_SK_SL_SM_E_clISE_PjSF_SF_EESJ_SZ_SK_SL_SM_EUlSZ_E0_NS1_11comp_targetILNS1_3genE4ELNS1_11target_archE910ELNS1_3gpuE8ELNS1_3repE0EEENS1_38merge_mergepath_config_static_selectorELNS0_4arch9wavefront6targetE1EEEvSL_
		.amdhsa_group_segment_fixed_size 4224
		.amdhsa_private_segment_fixed_size 0
		.amdhsa_kernarg_size 320
		.amdhsa_user_sgpr_count 6
		.amdhsa_user_sgpr_private_segment_buffer 1
		.amdhsa_user_sgpr_dispatch_ptr 0
		.amdhsa_user_sgpr_queue_ptr 0
		.amdhsa_user_sgpr_kernarg_segment_ptr 1
		.amdhsa_user_sgpr_dispatch_id 0
		.amdhsa_user_sgpr_flat_scratch_init 0
		.amdhsa_user_sgpr_kernarg_preload_length 0
		.amdhsa_user_sgpr_kernarg_preload_offset 0
		.amdhsa_user_sgpr_private_segment_size 0
		.amdhsa_uses_dynamic_stack 0
		.amdhsa_system_sgpr_private_segment_wavefront_offset 0
		.amdhsa_system_sgpr_workgroup_id_x 1
		.amdhsa_system_sgpr_workgroup_id_y 1
		.amdhsa_system_sgpr_workgroup_id_z 1
		.amdhsa_system_sgpr_workgroup_info 0
		.amdhsa_system_vgpr_workitem_id 0
		.amdhsa_next_free_vgpr 26
		.amdhsa_next_free_sgpr 24
		.amdhsa_accum_offset 28
		.amdhsa_reserve_vcc 1
		.amdhsa_reserve_flat_scratch 0
		.amdhsa_float_round_mode_32 0
		.amdhsa_float_round_mode_16_64 0
		.amdhsa_float_denorm_mode_32 3
		.amdhsa_float_denorm_mode_16_64 3
		.amdhsa_dx10_clamp 1
		.amdhsa_ieee_mode 1
		.amdhsa_fp16_overflow 0
		.amdhsa_tg_split 0
		.amdhsa_exception_fp_ieee_invalid_op 0
		.amdhsa_exception_fp_denorm_src 0
		.amdhsa_exception_fp_ieee_div_zero 0
		.amdhsa_exception_fp_ieee_overflow 0
		.amdhsa_exception_fp_ieee_underflow 0
		.amdhsa_exception_fp_ieee_inexact 0
		.amdhsa_exception_int_div_zero 0
	.end_amdhsa_kernel
	.section	.text._ZN7rocprim17ROCPRIM_400000_NS6detail17trampoline_kernelINS0_14default_configENS1_38merge_sort_block_merge_config_selectorIjNS0_10empty_typeEEEZZNS1_27merge_sort_block_merge_implIS3_N6thrust23THRUST_200600_302600_NS6detail15normal_iteratorINS9_10device_ptrIjEEEEPS5_jNS1_19radix_merge_compareILb0ELb1EjNS0_19identity_decomposerEEEEE10hipError_tT0_T1_T2_jT3_P12ihipStream_tbPNSt15iterator_traitsISK_E10value_typeEPNSQ_ISL_E10value_typeEPSM_NS1_7vsmem_tEENKUlT_SK_SL_SM_E_clISE_PjSF_SF_EESJ_SZ_SK_SL_SM_EUlSZ_E0_NS1_11comp_targetILNS1_3genE4ELNS1_11target_archE910ELNS1_3gpuE8ELNS1_3repE0EEENS1_38merge_mergepath_config_static_selectorELNS0_4arch9wavefront6targetE1EEEvSL_,"axG",@progbits,_ZN7rocprim17ROCPRIM_400000_NS6detail17trampoline_kernelINS0_14default_configENS1_38merge_sort_block_merge_config_selectorIjNS0_10empty_typeEEEZZNS1_27merge_sort_block_merge_implIS3_N6thrust23THRUST_200600_302600_NS6detail15normal_iteratorINS9_10device_ptrIjEEEEPS5_jNS1_19radix_merge_compareILb0ELb1EjNS0_19identity_decomposerEEEEE10hipError_tT0_T1_T2_jT3_P12ihipStream_tbPNSt15iterator_traitsISK_E10value_typeEPNSQ_ISL_E10value_typeEPSM_NS1_7vsmem_tEENKUlT_SK_SL_SM_E_clISE_PjSF_SF_EESJ_SZ_SK_SL_SM_EUlSZ_E0_NS1_11comp_targetILNS1_3genE4ELNS1_11target_archE910ELNS1_3gpuE8ELNS1_3repE0EEENS1_38merge_mergepath_config_static_selectorELNS0_4arch9wavefront6targetE1EEEvSL_,comdat
.Lfunc_end1061:
	.size	_ZN7rocprim17ROCPRIM_400000_NS6detail17trampoline_kernelINS0_14default_configENS1_38merge_sort_block_merge_config_selectorIjNS0_10empty_typeEEEZZNS1_27merge_sort_block_merge_implIS3_N6thrust23THRUST_200600_302600_NS6detail15normal_iteratorINS9_10device_ptrIjEEEEPS5_jNS1_19radix_merge_compareILb0ELb1EjNS0_19identity_decomposerEEEEE10hipError_tT0_T1_T2_jT3_P12ihipStream_tbPNSt15iterator_traitsISK_E10value_typeEPNSQ_ISL_E10value_typeEPSM_NS1_7vsmem_tEENKUlT_SK_SL_SM_E_clISE_PjSF_SF_EESJ_SZ_SK_SL_SM_EUlSZ_E0_NS1_11comp_targetILNS1_3genE4ELNS1_11target_archE910ELNS1_3gpuE8ELNS1_3repE0EEENS1_38merge_mergepath_config_static_selectorELNS0_4arch9wavefront6targetE1EEEvSL_, .Lfunc_end1061-_ZN7rocprim17ROCPRIM_400000_NS6detail17trampoline_kernelINS0_14default_configENS1_38merge_sort_block_merge_config_selectorIjNS0_10empty_typeEEEZZNS1_27merge_sort_block_merge_implIS3_N6thrust23THRUST_200600_302600_NS6detail15normal_iteratorINS9_10device_ptrIjEEEEPS5_jNS1_19radix_merge_compareILb0ELb1EjNS0_19identity_decomposerEEEEE10hipError_tT0_T1_T2_jT3_P12ihipStream_tbPNSt15iterator_traitsISK_E10value_typeEPNSQ_ISL_E10value_typeEPSM_NS1_7vsmem_tEENKUlT_SK_SL_SM_E_clISE_PjSF_SF_EESJ_SZ_SK_SL_SM_EUlSZ_E0_NS1_11comp_targetILNS1_3genE4ELNS1_11target_archE910ELNS1_3gpuE8ELNS1_3repE0EEENS1_38merge_mergepath_config_static_selectorELNS0_4arch9wavefront6targetE1EEEvSL_
                                        ; -- End function
	.section	.AMDGPU.csdata,"",@progbits
; Kernel info:
; codeLenInByte = 3624
; NumSgprs: 28
; NumVgprs: 26
; NumAgprs: 0
; TotalNumVgprs: 26
; ScratchSize: 0
; MemoryBound: 0
; FloatMode: 240
; IeeeMode: 1
; LDSByteSize: 4224 bytes/workgroup (compile time only)
; SGPRBlocks: 3
; VGPRBlocks: 3
; NumSGPRsForWavesPerEU: 28
; NumVGPRsForWavesPerEU: 26
; AccumOffset: 28
; Occupancy: 8
; WaveLimiterHint : 1
; COMPUTE_PGM_RSRC2:SCRATCH_EN: 0
; COMPUTE_PGM_RSRC2:USER_SGPR: 6
; COMPUTE_PGM_RSRC2:TRAP_HANDLER: 0
; COMPUTE_PGM_RSRC2:TGID_X_EN: 1
; COMPUTE_PGM_RSRC2:TGID_Y_EN: 1
; COMPUTE_PGM_RSRC2:TGID_Z_EN: 1
; COMPUTE_PGM_RSRC2:TIDIG_COMP_CNT: 0
; COMPUTE_PGM_RSRC3_GFX90A:ACCUM_OFFSET: 6
; COMPUTE_PGM_RSRC3_GFX90A:TG_SPLIT: 0
	.section	.text._ZN7rocprim17ROCPRIM_400000_NS6detail17trampoline_kernelINS0_14default_configENS1_38merge_sort_block_merge_config_selectorIjNS0_10empty_typeEEEZZNS1_27merge_sort_block_merge_implIS3_N6thrust23THRUST_200600_302600_NS6detail15normal_iteratorINS9_10device_ptrIjEEEEPS5_jNS1_19radix_merge_compareILb0ELb1EjNS0_19identity_decomposerEEEEE10hipError_tT0_T1_T2_jT3_P12ihipStream_tbPNSt15iterator_traitsISK_E10value_typeEPNSQ_ISL_E10value_typeEPSM_NS1_7vsmem_tEENKUlT_SK_SL_SM_E_clISE_PjSF_SF_EESJ_SZ_SK_SL_SM_EUlSZ_E0_NS1_11comp_targetILNS1_3genE3ELNS1_11target_archE908ELNS1_3gpuE7ELNS1_3repE0EEENS1_38merge_mergepath_config_static_selectorELNS0_4arch9wavefront6targetE1EEEvSL_,"axG",@progbits,_ZN7rocprim17ROCPRIM_400000_NS6detail17trampoline_kernelINS0_14default_configENS1_38merge_sort_block_merge_config_selectorIjNS0_10empty_typeEEEZZNS1_27merge_sort_block_merge_implIS3_N6thrust23THRUST_200600_302600_NS6detail15normal_iteratorINS9_10device_ptrIjEEEEPS5_jNS1_19radix_merge_compareILb0ELb1EjNS0_19identity_decomposerEEEEE10hipError_tT0_T1_T2_jT3_P12ihipStream_tbPNSt15iterator_traitsISK_E10value_typeEPNSQ_ISL_E10value_typeEPSM_NS1_7vsmem_tEENKUlT_SK_SL_SM_E_clISE_PjSF_SF_EESJ_SZ_SK_SL_SM_EUlSZ_E0_NS1_11comp_targetILNS1_3genE3ELNS1_11target_archE908ELNS1_3gpuE7ELNS1_3repE0EEENS1_38merge_mergepath_config_static_selectorELNS0_4arch9wavefront6targetE1EEEvSL_,comdat
	.protected	_ZN7rocprim17ROCPRIM_400000_NS6detail17trampoline_kernelINS0_14default_configENS1_38merge_sort_block_merge_config_selectorIjNS0_10empty_typeEEEZZNS1_27merge_sort_block_merge_implIS3_N6thrust23THRUST_200600_302600_NS6detail15normal_iteratorINS9_10device_ptrIjEEEEPS5_jNS1_19radix_merge_compareILb0ELb1EjNS0_19identity_decomposerEEEEE10hipError_tT0_T1_T2_jT3_P12ihipStream_tbPNSt15iterator_traitsISK_E10value_typeEPNSQ_ISL_E10value_typeEPSM_NS1_7vsmem_tEENKUlT_SK_SL_SM_E_clISE_PjSF_SF_EESJ_SZ_SK_SL_SM_EUlSZ_E0_NS1_11comp_targetILNS1_3genE3ELNS1_11target_archE908ELNS1_3gpuE7ELNS1_3repE0EEENS1_38merge_mergepath_config_static_selectorELNS0_4arch9wavefront6targetE1EEEvSL_ ; -- Begin function _ZN7rocprim17ROCPRIM_400000_NS6detail17trampoline_kernelINS0_14default_configENS1_38merge_sort_block_merge_config_selectorIjNS0_10empty_typeEEEZZNS1_27merge_sort_block_merge_implIS3_N6thrust23THRUST_200600_302600_NS6detail15normal_iteratorINS9_10device_ptrIjEEEEPS5_jNS1_19radix_merge_compareILb0ELb1EjNS0_19identity_decomposerEEEEE10hipError_tT0_T1_T2_jT3_P12ihipStream_tbPNSt15iterator_traitsISK_E10value_typeEPNSQ_ISL_E10value_typeEPSM_NS1_7vsmem_tEENKUlT_SK_SL_SM_E_clISE_PjSF_SF_EESJ_SZ_SK_SL_SM_EUlSZ_E0_NS1_11comp_targetILNS1_3genE3ELNS1_11target_archE908ELNS1_3gpuE7ELNS1_3repE0EEENS1_38merge_mergepath_config_static_selectorELNS0_4arch9wavefront6targetE1EEEvSL_
	.globl	_ZN7rocprim17ROCPRIM_400000_NS6detail17trampoline_kernelINS0_14default_configENS1_38merge_sort_block_merge_config_selectorIjNS0_10empty_typeEEEZZNS1_27merge_sort_block_merge_implIS3_N6thrust23THRUST_200600_302600_NS6detail15normal_iteratorINS9_10device_ptrIjEEEEPS5_jNS1_19radix_merge_compareILb0ELb1EjNS0_19identity_decomposerEEEEE10hipError_tT0_T1_T2_jT3_P12ihipStream_tbPNSt15iterator_traitsISK_E10value_typeEPNSQ_ISL_E10value_typeEPSM_NS1_7vsmem_tEENKUlT_SK_SL_SM_E_clISE_PjSF_SF_EESJ_SZ_SK_SL_SM_EUlSZ_E0_NS1_11comp_targetILNS1_3genE3ELNS1_11target_archE908ELNS1_3gpuE7ELNS1_3repE0EEENS1_38merge_mergepath_config_static_selectorELNS0_4arch9wavefront6targetE1EEEvSL_
	.p2align	8
	.type	_ZN7rocprim17ROCPRIM_400000_NS6detail17trampoline_kernelINS0_14default_configENS1_38merge_sort_block_merge_config_selectorIjNS0_10empty_typeEEEZZNS1_27merge_sort_block_merge_implIS3_N6thrust23THRUST_200600_302600_NS6detail15normal_iteratorINS9_10device_ptrIjEEEEPS5_jNS1_19radix_merge_compareILb0ELb1EjNS0_19identity_decomposerEEEEE10hipError_tT0_T1_T2_jT3_P12ihipStream_tbPNSt15iterator_traitsISK_E10value_typeEPNSQ_ISL_E10value_typeEPSM_NS1_7vsmem_tEENKUlT_SK_SL_SM_E_clISE_PjSF_SF_EESJ_SZ_SK_SL_SM_EUlSZ_E0_NS1_11comp_targetILNS1_3genE3ELNS1_11target_archE908ELNS1_3gpuE7ELNS1_3repE0EEENS1_38merge_mergepath_config_static_selectorELNS0_4arch9wavefront6targetE1EEEvSL_,@function
_ZN7rocprim17ROCPRIM_400000_NS6detail17trampoline_kernelINS0_14default_configENS1_38merge_sort_block_merge_config_selectorIjNS0_10empty_typeEEEZZNS1_27merge_sort_block_merge_implIS3_N6thrust23THRUST_200600_302600_NS6detail15normal_iteratorINS9_10device_ptrIjEEEEPS5_jNS1_19radix_merge_compareILb0ELb1EjNS0_19identity_decomposerEEEEE10hipError_tT0_T1_T2_jT3_P12ihipStream_tbPNSt15iterator_traitsISK_E10value_typeEPNSQ_ISL_E10value_typeEPSM_NS1_7vsmem_tEENKUlT_SK_SL_SM_E_clISE_PjSF_SF_EESJ_SZ_SK_SL_SM_EUlSZ_E0_NS1_11comp_targetILNS1_3genE3ELNS1_11target_archE908ELNS1_3gpuE7ELNS1_3repE0EEENS1_38merge_mergepath_config_static_selectorELNS0_4arch9wavefront6targetE1EEEvSL_: ; @_ZN7rocprim17ROCPRIM_400000_NS6detail17trampoline_kernelINS0_14default_configENS1_38merge_sort_block_merge_config_selectorIjNS0_10empty_typeEEEZZNS1_27merge_sort_block_merge_implIS3_N6thrust23THRUST_200600_302600_NS6detail15normal_iteratorINS9_10device_ptrIjEEEEPS5_jNS1_19radix_merge_compareILb0ELb1EjNS0_19identity_decomposerEEEEE10hipError_tT0_T1_T2_jT3_P12ihipStream_tbPNSt15iterator_traitsISK_E10value_typeEPNSQ_ISL_E10value_typeEPSM_NS1_7vsmem_tEENKUlT_SK_SL_SM_E_clISE_PjSF_SF_EESJ_SZ_SK_SL_SM_EUlSZ_E0_NS1_11comp_targetILNS1_3genE3ELNS1_11target_archE908ELNS1_3gpuE7ELNS1_3repE0EEENS1_38merge_mergepath_config_static_selectorELNS0_4arch9wavefront6targetE1EEEvSL_
; %bb.0:
	.section	.rodata,"a",@progbits
	.p2align	6, 0x0
	.amdhsa_kernel _ZN7rocprim17ROCPRIM_400000_NS6detail17trampoline_kernelINS0_14default_configENS1_38merge_sort_block_merge_config_selectorIjNS0_10empty_typeEEEZZNS1_27merge_sort_block_merge_implIS3_N6thrust23THRUST_200600_302600_NS6detail15normal_iteratorINS9_10device_ptrIjEEEEPS5_jNS1_19radix_merge_compareILb0ELb1EjNS0_19identity_decomposerEEEEE10hipError_tT0_T1_T2_jT3_P12ihipStream_tbPNSt15iterator_traitsISK_E10value_typeEPNSQ_ISL_E10value_typeEPSM_NS1_7vsmem_tEENKUlT_SK_SL_SM_E_clISE_PjSF_SF_EESJ_SZ_SK_SL_SM_EUlSZ_E0_NS1_11comp_targetILNS1_3genE3ELNS1_11target_archE908ELNS1_3gpuE7ELNS1_3repE0EEENS1_38merge_mergepath_config_static_selectorELNS0_4arch9wavefront6targetE1EEEvSL_
		.amdhsa_group_segment_fixed_size 0
		.amdhsa_private_segment_fixed_size 0
		.amdhsa_kernarg_size 64
		.amdhsa_user_sgpr_count 6
		.amdhsa_user_sgpr_private_segment_buffer 1
		.amdhsa_user_sgpr_dispatch_ptr 0
		.amdhsa_user_sgpr_queue_ptr 0
		.amdhsa_user_sgpr_kernarg_segment_ptr 1
		.amdhsa_user_sgpr_dispatch_id 0
		.amdhsa_user_sgpr_flat_scratch_init 0
		.amdhsa_user_sgpr_kernarg_preload_length 0
		.amdhsa_user_sgpr_kernarg_preload_offset 0
		.amdhsa_user_sgpr_private_segment_size 0
		.amdhsa_uses_dynamic_stack 0
		.amdhsa_system_sgpr_private_segment_wavefront_offset 0
		.amdhsa_system_sgpr_workgroup_id_x 1
		.amdhsa_system_sgpr_workgroup_id_y 0
		.amdhsa_system_sgpr_workgroup_id_z 0
		.amdhsa_system_sgpr_workgroup_info 0
		.amdhsa_system_vgpr_workitem_id 0
		.amdhsa_next_free_vgpr 1
		.amdhsa_next_free_sgpr 0
		.amdhsa_accum_offset 4
		.amdhsa_reserve_vcc 0
		.amdhsa_reserve_flat_scratch 0
		.amdhsa_float_round_mode_32 0
		.amdhsa_float_round_mode_16_64 0
		.amdhsa_float_denorm_mode_32 3
		.amdhsa_float_denorm_mode_16_64 3
		.amdhsa_dx10_clamp 1
		.amdhsa_ieee_mode 1
		.amdhsa_fp16_overflow 0
		.amdhsa_tg_split 0
		.amdhsa_exception_fp_ieee_invalid_op 0
		.amdhsa_exception_fp_denorm_src 0
		.amdhsa_exception_fp_ieee_div_zero 0
		.amdhsa_exception_fp_ieee_overflow 0
		.amdhsa_exception_fp_ieee_underflow 0
		.amdhsa_exception_fp_ieee_inexact 0
		.amdhsa_exception_int_div_zero 0
	.end_amdhsa_kernel
	.section	.text._ZN7rocprim17ROCPRIM_400000_NS6detail17trampoline_kernelINS0_14default_configENS1_38merge_sort_block_merge_config_selectorIjNS0_10empty_typeEEEZZNS1_27merge_sort_block_merge_implIS3_N6thrust23THRUST_200600_302600_NS6detail15normal_iteratorINS9_10device_ptrIjEEEEPS5_jNS1_19radix_merge_compareILb0ELb1EjNS0_19identity_decomposerEEEEE10hipError_tT0_T1_T2_jT3_P12ihipStream_tbPNSt15iterator_traitsISK_E10value_typeEPNSQ_ISL_E10value_typeEPSM_NS1_7vsmem_tEENKUlT_SK_SL_SM_E_clISE_PjSF_SF_EESJ_SZ_SK_SL_SM_EUlSZ_E0_NS1_11comp_targetILNS1_3genE3ELNS1_11target_archE908ELNS1_3gpuE7ELNS1_3repE0EEENS1_38merge_mergepath_config_static_selectorELNS0_4arch9wavefront6targetE1EEEvSL_,"axG",@progbits,_ZN7rocprim17ROCPRIM_400000_NS6detail17trampoline_kernelINS0_14default_configENS1_38merge_sort_block_merge_config_selectorIjNS0_10empty_typeEEEZZNS1_27merge_sort_block_merge_implIS3_N6thrust23THRUST_200600_302600_NS6detail15normal_iteratorINS9_10device_ptrIjEEEEPS5_jNS1_19radix_merge_compareILb0ELb1EjNS0_19identity_decomposerEEEEE10hipError_tT0_T1_T2_jT3_P12ihipStream_tbPNSt15iterator_traitsISK_E10value_typeEPNSQ_ISL_E10value_typeEPSM_NS1_7vsmem_tEENKUlT_SK_SL_SM_E_clISE_PjSF_SF_EESJ_SZ_SK_SL_SM_EUlSZ_E0_NS1_11comp_targetILNS1_3genE3ELNS1_11target_archE908ELNS1_3gpuE7ELNS1_3repE0EEENS1_38merge_mergepath_config_static_selectorELNS0_4arch9wavefront6targetE1EEEvSL_,comdat
.Lfunc_end1062:
	.size	_ZN7rocprim17ROCPRIM_400000_NS6detail17trampoline_kernelINS0_14default_configENS1_38merge_sort_block_merge_config_selectorIjNS0_10empty_typeEEEZZNS1_27merge_sort_block_merge_implIS3_N6thrust23THRUST_200600_302600_NS6detail15normal_iteratorINS9_10device_ptrIjEEEEPS5_jNS1_19radix_merge_compareILb0ELb1EjNS0_19identity_decomposerEEEEE10hipError_tT0_T1_T2_jT3_P12ihipStream_tbPNSt15iterator_traitsISK_E10value_typeEPNSQ_ISL_E10value_typeEPSM_NS1_7vsmem_tEENKUlT_SK_SL_SM_E_clISE_PjSF_SF_EESJ_SZ_SK_SL_SM_EUlSZ_E0_NS1_11comp_targetILNS1_3genE3ELNS1_11target_archE908ELNS1_3gpuE7ELNS1_3repE0EEENS1_38merge_mergepath_config_static_selectorELNS0_4arch9wavefront6targetE1EEEvSL_, .Lfunc_end1062-_ZN7rocprim17ROCPRIM_400000_NS6detail17trampoline_kernelINS0_14default_configENS1_38merge_sort_block_merge_config_selectorIjNS0_10empty_typeEEEZZNS1_27merge_sort_block_merge_implIS3_N6thrust23THRUST_200600_302600_NS6detail15normal_iteratorINS9_10device_ptrIjEEEEPS5_jNS1_19radix_merge_compareILb0ELb1EjNS0_19identity_decomposerEEEEE10hipError_tT0_T1_T2_jT3_P12ihipStream_tbPNSt15iterator_traitsISK_E10value_typeEPNSQ_ISL_E10value_typeEPSM_NS1_7vsmem_tEENKUlT_SK_SL_SM_E_clISE_PjSF_SF_EESJ_SZ_SK_SL_SM_EUlSZ_E0_NS1_11comp_targetILNS1_3genE3ELNS1_11target_archE908ELNS1_3gpuE7ELNS1_3repE0EEENS1_38merge_mergepath_config_static_selectorELNS0_4arch9wavefront6targetE1EEEvSL_
                                        ; -- End function
	.section	.AMDGPU.csdata,"",@progbits
; Kernel info:
; codeLenInByte = 0
; NumSgprs: 4
; NumVgprs: 0
; NumAgprs: 0
; TotalNumVgprs: 0
; ScratchSize: 0
; MemoryBound: 0
; FloatMode: 240
; IeeeMode: 1
; LDSByteSize: 0 bytes/workgroup (compile time only)
; SGPRBlocks: 0
; VGPRBlocks: 0
; NumSGPRsForWavesPerEU: 4
; NumVGPRsForWavesPerEU: 1
; AccumOffset: 4
; Occupancy: 8
; WaveLimiterHint : 0
; COMPUTE_PGM_RSRC2:SCRATCH_EN: 0
; COMPUTE_PGM_RSRC2:USER_SGPR: 6
; COMPUTE_PGM_RSRC2:TRAP_HANDLER: 0
; COMPUTE_PGM_RSRC2:TGID_X_EN: 1
; COMPUTE_PGM_RSRC2:TGID_Y_EN: 0
; COMPUTE_PGM_RSRC2:TGID_Z_EN: 0
; COMPUTE_PGM_RSRC2:TIDIG_COMP_CNT: 0
; COMPUTE_PGM_RSRC3_GFX90A:ACCUM_OFFSET: 0
; COMPUTE_PGM_RSRC3_GFX90A:TG_SPLIT: 0
	.section	.text._ZN7rocprim17ROCPRIM_400000_NS6detail17trampoline_kernelINS0_14default_configENS1_38merge_sort_block_merge_config_selectorIjNS0_10empty_typeEEEZZNS1_27merge_sort_block_merge_implIS3_N6thrust23THRUST_200600_302600_NS6detail15normal_iteratorINS9_10device_ptrIjEEEEPS5_jNS1_19radix_merge_compareILb0ELb1EjNS0_19identity_decomposerEEEEE10hipError_tT0_T1_T2_jT3_P12ihipStream_tbPNSt15iterator_traitsISK_E10value_typeEPNSQ_ISL_E10value_typeEPSM_NS1_7vsmem_tEENKUlT_SK_SL_SM_E_clISE_PjSF_SF_EESJ_SZ_SK_SL_SM_EUlSZ_E0_NS1_11comp_targetILNS1_3genE2ELNS1_11target_archE906ELNS1_3gpuE6ELNS1_3repE0EEENS1_38merge_mergepath_config_static_selectorELNS0_4arch9wavefront6targetE1EEEvSL_,"axG",@progbits,_ZN7rocprim17ROCPRIM_400000_NS6detail17trampoline_kernelINS0_14default_configENS1_38merge_sort_block_merge_config_selectorIjNS0_10empty_typeEEEZZNS1_27merge_sort_block_merge_implIS3_N6thrust23THRUST_200600_302600_NS6detail15normal_iteratorINS9_10device_ptrIjEEEEPS5_jNS1_19radix_merge_compareILb0ELb1EjNS0_19identity_decomposerEEEEE10hipError_tT0_T1_T2_jT3_P12ihipStream_tbPNSt15iterator_traitsISK_E10value_typeEPNSQ_ISL_E10value_typeEPSM_NS1_7vsmem_tEENKUlT_SK_SL_SM_E_clISE_PjSF_SF_EESJ_SZ_SK_SL_SM_EUlSZ_E0_NS1_11comp_targetILNS1_3genE2ELNS1_11target_archE906ELNS1_3gpuE6ELNS1_3repE0EEENS1_38merge_mergepath_config_static_selectorELNS0_4arch9wavefront6targetE1EEEvSL_,comdat
	.protected	_ZN7rocprim17ROCPRIM_400000_NS6detail17trampoline_kernelINS0_14default_configENS1_38merge_sort_block_merge_config_selectorIjNS0_10empty_typeEEEZZNS1_27merge_sort_block_merge_implIS3_N6thrust23THRUST_200600_302600_NS6detail15normal_iteratorINS9_10device_ptrIjEEEEPS5_jNS1_19radix_merge_compareILb0ELb1EjNS0_19identity_decomposerEEEEE10hipError_tT0_T1_T2_jT3_P12ihipStream_tbPNSt15iterator_traitsISK_E10value_typeEPNSQ_ISL_E10value_typeEPSM_NS1_7vsmem_tEENKUlT_SK_SL_SM_E_clISE_PjSF_SF_EESJ_SZ_SK_SL_SM_EUlSZ_E0_NS1_11comp_targetILNS1_3genE2ELNS1_11target_archE906ELNS1_3gpuE6ELNS1_3repE0EEENS1_38merge_mergepath_config_static_selectorELNS0_4arch9wavefront6targetE1EEEvSL_ ; -- Begin function _ZN7rocprim17ROCPRIM_400000_NS6detail17trampoline_kernelINS0_14default_configENS1_38merge_sort_block_merge_config_selectorIjNS0_10empty_typeEEEZZNS1_27merge_sort_block_merge_implIS3_N6thrust23THRUST_200600_302600_NS6detail15normal_iteratorINS9_10device_ptrIjEEEEPS5_jNS1_19radix_merge_compareILb0ELb1EjNS0_19identity_decomposerEEEEE10hipError_tT0_T1_T2_jT3_P12ihipStream_tbPNSt15iterator_traitsISK_E10value_typeEPNSQ_ISL_E10value_typeEPSM_NS1_7vsmem_tEENKUlT_SK_SL_SM_E_clISE_PjSF_SF_EESJ_SZ_SK_SL_SM_EUlSZ_E0_NS1_11comp_targetILNS1_3genE2ELNS1_11target_archE906ELNS1_3gpuE6ELNS1_3repE0EEENS1_38merge_mergepath_config_static_selectorELNS0_4arch9wavefront6targetE1EEEvSL_
	.globl	_ZN7rocprim17ROCPRIM_400000_NS6detail17trampoline_kernelINS0_14default_configENS1_38merge_sort_block_merge_config_selectorIjNS0_10empty_typeEEEZZNS1_27merge_sort_block_merge_implIS3_N6thrust23THRUST_200600_302600_NS6detail15normal_iteratorINS9_10device_ptrIjEEEEPS5_jNS1_19radix_merge_compareILb0ELb1EjNS0_19identity_decomposerEEEEE10hipError_tT0_T1_T2_jT3_P12ihipStream_tbPNSt15iterator_traitsISK_E10value_typeEPNSQ_ISL_E10value_typeEPSM_NS1_7vsmem_tEENKUlT_SK_SL_SM_E_clISE_PjSF_SF_EESJ_SZ_SK_SL_SM_EUlSZ_E0_NS1_11comp_targetILNS1_3genE2ELNS1_11target_archE906ELNS1_3gpuE6ELNS1_3repE0EEENS1_38merge_mergepath_config_static_selectorELNS0_4arch9wavefront6targetE1EEEvSL_
	.p2align	8
	.type	_ZN7rocprim17ROCPRIM_400000_NS6detail17trampoline_kernelINS0_14default_configENS1_38merge_sort_block_merge_config_selectorIjNS0_10empty_typeEEEZZNS1_27merge_sort_block_merge_implIS3_N6thrust23THRUST_200600_302600_NS6detail15normal_iteratorINS9_10device_ptrIjEEEEPS5_jNS1_19radix_merge_compareILb0ELb1EjNS0_19identity_decomposerEEEEE10hipError_tT0_T1_T2_jT3_P12ihipStream_tbPNSt15iterator_traitsISK_E10value_typeEPNSQ_ISL_E10value_typeEPSM_NS1_7vsmem_tEENKUlT_SK_SL_SM_E_clISE_PjSF_SF_EESJ_SZ_SK_SL_SM_EUlSZ_E0_NS1_11comp_targetILNS1_3genE2ELNS1_11target_archE906ELNS1_3gpuE6ELNS1_3repE0EEENS1_38merge_mergepath_config_static_selectorELNS0_4arch9wavefront6targetE1EEEvSL_,@function
_ZN7rocprim17ROCPRIM_400000_NS6detail17trampoline_kernelINS0_14default_configENS1_38merge_sort_block_merge_config_selectorIjNS0_10empty_typeEEEZZNS1_27merge_sort_block_merge_implIS3_N6thrust23THRUST_200600_302600_NS6detail15normal_iteratorINS9_10device_ptrIjEEEEPS5_jNS1_19radix_merge_compareILb0ELb1EjNS0_19identity_decomposerEEEEE10hipError_tT0_T1_T2_jT3_P12ihipStream_tbPNSt15iterator_traitsISK_E10value_typeEPNSQ_ISL_E10value_typeEPSM_NS1_7vsmem_tEENKUlT_SK_SL_SM_E_clISE_PjSF_SF_EESJ_SZ_SK_SL_SM_EUlSZ_E0_NS1_11comp_targetILNS1_3genE2ELNS1_11target_archE906ELNS1_3gpuE6ELNS1_3repE0EEENS1_38merge_mergepath_config_static_selectorELNS0_4arch9wavefront6targetE1EEEvSL_: ; @_ZN7rocprim17ROCPRIM_400000_NS6detail17trampoline_kernelINS0_14default_configENS1_38merge_sort_block_merge_config_selectorIjNS0_10empty_typeEEEZZNS1_27merge_sort_block_merge_implIS3_N6thrust23THRUST_200600_302600_NS6detail15normal_iteratorINS9_10device_ptrIjEEEEPS5_jNS1_19radix_merge_compareILb0ELb1EjNS0_19identity_decomposerEEEEE10hipError_tT0_T1_T2_jT3_P12ihipStream_tbPNSt15iterator_traitsISK_E10value_typeEPNSQ_ISL_E10value_typeEPSM_NS1_7vsmem_tEENKUlT_SK_SL_SM_E_clISE_PjSF_SF_EESJ_SZ_SK_SL_SM_EUlSZ_E0_NS1_11comp_targetILNS1_3genE2ELNS1_11target_archE906ELNS1_3gpuE6ELNS1_3repE0EEENS1_38merge_mergepath_config_static_selectorELNS0_4arch9wavefront6targetE1EEEvSL_
; %bb.0:
	.section	.rodata,"a",@progbits
	.p2align	6, 0x0
	.amdhsa_kernel _ZN7rocprim17ROCPRIM_400000_NS6detail17trampoline_kernelINS0_14default_configENS1_38merge_sort_block_merge_config_selectorIjNS0_10empty_typeEEEZZNS1_27merge_sort_block_merge_implIS3_N6thrust23THRUST_200600_302600_NS6detail15normal_iteratorINS9_10device_ptrIjEEEEPS5_jNS1_19radix_merge_compareILb0ELb1EjNS0_19identity_decomposerEEEEE10hipError_tT0_T1_T2_jT3_P12ihipStream_tbPNSt15iterator_traitsISK_E10value_typeEPNSQ_ISL_E10value_typeEPSM_NS1_7vsmem_tEENKUlT_SK_SL_SM_E_clISE_PjSF_SF_EESJ_SZ_SK_SL_SM_EUlSZ_E0_NS1_11comp_targetILNS1_3genE2ELNS1_11target_archE906ELNS1_3gpuE6ELNS1_3repE0EEENS1_38merge_mergepath_config_static_selectorELNS0_4arch9wavefront6targetE1EEEvSL_
		.amdhsa_group_segment_fixed_size 0
		.amdhsa_private_segment_fixed_size 0
		.amdhsa_kernarg_size 64
		.amdhsa_user_sgpr_count 6
		.amdhsa_user_sgpr_private_segment_buffer 1
		.amdhsa_user_sgpr_dispatch_ptr 0
		.amdhsa_user_sgpr_queue_ptr 0
		.amdhsa_user_sgpr_kernarg_segment_ptr 1
		.amdhsa_user_sgpr_dispatch_id 0
		.amdhsa_user_sgpr_flat_scratch_init 0
		.amdhsa_user_sgpr_kernarg_preload_length 0
		.amdhsa_user_sgpr_kernarg_preload_offset 0
		.amdhsa_user_sgpr_private_segment_size 0
		.amdhsa_uses_dynamic_stack 0
		.amdhsa_system_sgpr_private_segment_wavefront_offset 0
		.amdhsa_system_sgpr_workgroup_id_x 1
		.amdhsa_system_sgpr_workgroup_id_y 0
		.amdhsa_system_sgpr_workgroup_id_z 0
		.amdhsa_system_sgpr_workgroup_info 0
		.amdhsa_system_vgpr_workitem_id 0
		.amdhsa_next_free_vgpr 1
		.amdhsa_next_free_sgpr 0
		.amdhsa_accum_offset 4
		.amdhsa_reserve_vcc 0
		.amdhsa_reserve_flat_scratch 0
		.amdhsa_float_round_mode_32 0
		.amdhsa_float_round_mode_16_64 0
		.amdhsa_float_denorm_mode_32 3
		.amdhsa_float_denorm_mode_16_64 3
		.amdhsa_dx10_clamp 1
		.amdhsa_ieee_mode 1
		.amdhsa_fp16_overflow 0
		.amdhsa_tg_split 0
		.amdhsa_exception_fp_ieee_invalid_op 0
		.amdhsa_exception_fp_denorm_src 0
		.amdhsa_exception_fp_ieee_div_zero 0
		.amdhsa_exception_fp_ieee_overflow 0
		.amdhsa_exception_fp_ieee_underflow 0
		.amdhsa_exception_fp_ieee_inexact 0
		.amdhsa_exception_int_div_zero 0
	.end_amdhsa_kernel
	.section	.text._ZN7rocprim17ROCPRIM_400000_NS6detail17trampoline_kernelINS0_14default_configENS1_38merge_sort_block_merge_config_selectorIjNS0_10empty_typeEEEZZNS1_27merge_sort_block_merge_implIS3_N6thrust23THRUST_200600_302600_NS6detail15normal_iteratorINS9_10device_ptrIjEEEEPS5_jNS1_19radix_merge_compareILb0ELb1EjNS0_19identity_decomposerEEEEE10hipError_tT0_T1_T2_jT3_P12ihipStream_tbPNSt15iterator_traitsISK_E10value_typeEPNSQ_ISL_E10value_typeEPSM_NS1_7vsmem_tEENKUlT_SK_SL_SM_E_clISE_PjSF_SF_EESJ_SZ_SK_SL_SM_EUlSZ_E0_NS1_11comp_targetILNS1_3genE2ELNS1_11target_archE906ELNS1_3gpuE6ELNS1_3repE0EEENS1_38merge_mergepath_config_static_selectorELNS0_4arch9wavefront6targetE1EEEvSL_,"axG",@progbits,_ZN7rocprim17ROCPRIM_400000_NS6detail17trampoline_kernelINS0_14default_configENS1_38merge_sort_block_merge_config_selectorIjNS0_10empty_typeEEEZZNS1_27merge_sort_block_merge_implIS3_N6thrust23THRUST_200600_302600_NS6detail15normal_iteratorINS9_10device_ptrIjEEEEPS5_jNS1_19radix_merge_compareILb0ELb1EjNS0_19identity_decomposerEEEEE10hipError_tT0_T1_T2_jT3_P12ihipStream_tbPNSt15iterator_traitsISK_E10value_typeEPNSQ_ISL_E10value_typeEPSM_NS1_7vsmem_tEENKUlT_SK_SL_SM_E_clISE_PjSF_SF_EESJ_SZ_SK_SL_SM_EUlSZ_E0_NS1_11comp_targetILNS1_3genE2ELNS1_11target_archE906ELNS1_3gpuE6ELNS1_3repE0EEENS1_38merge_mergepath_config_static_selectorELNS0_4arch9wavefront6targetE1EEEvSL_,comdat
.Lfunc_end1063:
	.size	_ZN7rocprim17ROCPRIM_400000_NS6detail17trampoline_kernelINS0_14default_configENS1_38merge_sort_block_merge_config_selectorIjNS0_10empty_typeEEEZZNS1_27merge_sort_block_merge_implIS3_N6thrust23THRUST_200600_302600_NS6detail15normal_iteratorINS9_10device_ptrIjEEEEPS5_jNS1_19radix_merge_compareILb0ELb1EjNS0_19identity_decomposerEEEEE10hipError_tT0_T1_T2_jT3_P12ihipStream_tbPNSt15iterator_traitsISK_E10value_typeEPNSQ_ISL_E10value_typeEPSM_NS1_7vsmem_tEENKUlT_SK_SL_SM_E_clISE_PjSF_SF_EESJ_SZ_SK_SL_SM_EUlSZ_E0_NS1_11comp_targetILNS1_3genE2ELNS1_11target_archE906ELNS1_3gpuE6ELNS1_3repE0EEENS1_38merge_mergepath_config_static_selectorELNS0_4arch9wavefront6targetE1EEEvSL_, .Lfunc_end1063-_ZN7rocprim17ROCPRIM_400000_NS6detail17trampoline_kernelINS0_14default_configENS1_38merge_sort_block_merge_config_selectorIjNS0_10empty_typeEEEZZNS1_27merge_sort_block_merge_implIS3_N6thrust23THRUST_200600_302600_NS6detail15normal_iteratorINS9_10device_ptrIjEEEEPS5_jNS1_19radix_merge_compareILb0ELb1EjNS0_19identity_decomposerEEEEE10hipError_tT0_T1_T2_jT3_P12ihipStream_tbPNSt15iterator_traitsISK_E10value_typeEPNSQ_ISL_E10value_typeEPSM_NS1_7vsmem_tEENKUlT_SK_SL_SM_E_clISE_PjSF_SF_EESJ_SZ_SK_SL_SM_EUlSZ_E0_NS1_11comp_targetILNS1_3genE2ELNS1_11target_archE906ELNS1_3gpuE6ELNS1_3repE0EEENS1_38merge_mergepath_config_static_selectorELNS0_4arch9wavefront6targetE1EEEvSL_
                                        ; -- End function
	.section	.AMDGPU.csdata,"",@progbits
; Kernel info:
; codeLenInByte = 0
; NumSgprs: 4
; NumVgprs: 0
; NumAgprs: 0
; TotalNumVgprs: 0
; ScratchSize: 0
; MemoryBound: 0
; FloatMode: 240
; IeeeMode: 1
; LDSByteSize: 0 bytes/workgroup (compile time only)
; SGPRBlocks: 0
; VGPRBlocks: 0
; NumSGPRsForWavesPerEU: 4
; NumVGPRsForWavesPerEU: 1
; AccumOffset: 4
; Occupancy: 8
; WaveLimiterHint : 0
; COMPUTE_PGM_RSRC2:SCRATCH_EN: 0
; COMPUTE_PGM_RSRC2:USER_SGPR: 6
; COMPUTE_PGM_RSRC2:TRAP_HANDLER: 0
; COMPUTE_PGM_RSRC2:TGID_X_EN: 1
; COMPUTE_PGM_RSRC2:TGID_Y_EN: 0
; COMPUTE_PGM_RSRC2:TGID_Z_EN: 0
; COMPUTE_PGM_RSRC2:TIDIG_COMP_CNT: 0
; COMPUTE_PGM_RSRC3_GFX90A:ACCUM_OFFSET: 0
; COMPUTE_PGM_RSRC3_GFX90A:TG_SPLIT: 0
	.section	.text._ZN7rocprim17ROCPRIM_400000_NS6detail17trampoline_kernelINS0_14default_configENS1_38merge_sort_block_merge_config_selectorIjNS0_10empty_typeEEEZZNS1_27merge_sort_block_merge_implIS3_N6thrust23THRUST_200600_302600_NS6detail15normal_iteratorINS9_10device_ptrIjEEEEPS5_jNS1_19radix_merge_compareILb0ELb1EjNS0_19identity_decomposerEEEEE10hipError_tT0_T1_T2_jT3_P12ihipStream_tbPNSt15iterator_traitsISK_E10value_typeEPNSQ_ISL_E10value_typeEPSM_NS1_7vsmem_tEENKUlT_SK_SL_SM_E_clISE_PjSF_SF_EESJ_SZ_SK_SL_SM_EUlSZ_E0_NS1_11comp_targetILNS1_3genE9ELNS1_11target_archE1100ELNS1_3gpuE3ELNS1_3repE0EEENS1_38merge_mergepath_config_static_selectorELNS0_4arch9wavefront6targetE1EEEvSL_,"axG",@progbits,_ZN7rocprim17ROCPRIM_400000_NS6detail17trampoline_kernelINS0_14default_configENS1_38merge_sort_block_merge_config_selectorIjNS0_10empty_typeEEEZZNS1_27merge_sort_block_merge_implIS3_N6thrust23THRUST_200600_302600_NS6detail15normal_iteratorINS9_10device_ptrIjEEEEPS5_jNS1_19radix_merge_compareILb0ELb1EjNS0_19identity_decomposerEEEEE10hipError_tT0_T1_T2_jT3_P12ihipStream_tbPNSt15iterator_traitsISK_E10value_typeEPNSQ_ISL_E10value_typeEPSM_NS1_7vsmem_tEENKUlT_SK_SL_SM_E_clISE_PjSF_SF_EESJ_SZ_SK_SL_SM_EUlSZ_E0_NS1_11comp_targetILNS1_3genE9ELNS1_11target_archE1100ELNS1_3gpuE3ELNS1_3repE0EEENS1_38merge_mergepath_config_static_selectorELNS0_4arch9wavefront6targetE1EEEvSL_,comdat
	.protected	_ZN7rocprim17ROCPRIM_400000_NS6detail17trampoline_kernelINS0_14default_configENS1_38merge_sort_block_merge_config_selectorIjNS0_10empty_typeEEEZZNS1_27merge_sort_block_merge_implIS3_N6thrust23THRUST_200600_302600_NS6detail15normal_iteratorINS9_10device_ptrIjEEEEPS5_jNS1_19radix_merge_compareILb0ELb1EjNS0_19identity_decomposerEEEEE10hipError_tT0_T1_T2_jT3_P12ihipStream_tbPNSt15iterator_traitsISK_E10value_typeEPNSQ_ISL_E10value_typeEPSM_NS1_7vsmem_tEENKUlT_SK_SL_SM_E_clISE_PjSF_SF_EESJ_SZ_SK_SL_SM_EUlSZ_E0_NS1_11comp_targetILNS1_3genE9ELNS1_11target_archE1100ELNS1_3gpuE3ELNS1_3repE0EEENS1_38merge_mergepath_config_static_selectorELNS0_4arch9wavefront6targetE1EEEvSL_ ; -- Begin function _ZN7rocprim17ROCPRIM_400000_NS6detail17trampoline_kernelINS0_14default_configENS1_38merge_sort_block_merge_config_selectorIjNS0_10empty_typeEEEZZNS1_27merge_sort_block_merge_implIS3_N6thrust23THRUST_200600_302600_NS6detail15normal_iteratorINS9_10device_ptrIjEEEEPS5_jNS1_19radix_merge_compareILb0ELb1EjNS0_19identity_decomposerEEEEE10hipError_tT0_T1_T2_jT3_P12ihipStream_tbPNSt15iterator_traitsISK_E10value_typeEPNSQ_ISL_E10value_typeEPSM_NS1_7vsmem_tEENKUlT_SK_SL_SM_E_clISE_PjSF_SF_EESJ_SZ_SK_SL_SM_EUlSZ_E0_NS1_11comp_targetILNS1_3genE9ELNS1_11target_archE1100ELNS1_3gpuE3ELNS1_3repE0EEENS1_38merge_mergepath_config_static_selectorELNS0_4arch9wavefront6targetE1EEEvSL_
	.globl	_ZN7rocprim17ROCPRIM_400000_NS6detail17trampoline_kernelINS0_14default_configENS1_38merge_sort_block_merge_config_selectorIjNS0_10empty_typeEEEZZNS1_27merge_sort_block_merge_implIS3_N6thrust23THRUST_200600_302600_NS6detail15normal_iteratorINS9_10device_ptrIjEEEEPS5_jNS1_19radix_merge_compareILb0ELb1EjNS0_19identity_decomposerEEEEE10hipError_tT0_T1_T2_jT3_P12ihipStream_tbPNSt15iterator_traitsISK_E10value_typeEPNSQ_ISL_E10value_typeEPSM_NS1_7vsmem_tEENKUlT_SK_SL_SM_E_clISE_PjSF_SF_EESJ_SZ_SK_SL_SM_EUlSZ_E0_NS1_11comp_targetILNS1_3genE9ELNS1_11target_archE1100ELNS1_3gpuE3ELNS1_3repE0EEENS1_38merge_mergepath_config_static_selectorELNS0_4arch9wavefront6targetE1EEEvSL_
	.p2align	8
	.type	_ZN7rocprim17ROCPRIM_400000_NS6detail17trampoline_kernelINS0_14default_configENS1_38merge_sort_block_merge_config_selectorIjNS0_10empty_typeEEEZZNS1_27merge_sort_block_merge_implIS3_N6thrust23THRUST_200600_302600_NS6detail15normal_iteratorINS9_10device_ptrIjEEEEPS5_jNS1_19radix_merge_compareILb0ELb1EjNS0_19identity_decomposerEEEEE10hipError_tT0_T1_T2_jT3_P12ihipStream_tbPNSt15iterator_traitsISK_E10value_typeEPNSQ_ISL_E10value_typeEPSM_NS1_7vsmem_tEENKUlT_SK_SL_SM_E_clISE_PjSF_SF_EESJ_SZ_SK_SL_SM_EUlSZ_E0_NS1_11comp_targetILNS1_3genE9ELNS1_11target_archE1100ELNS1_3gpuE3ELNS1_3repE0EEENS1_38merge_mergepath_config_static_selectorELNS0_4arch9wavefront6targetE1EEEvSL_,@function
_ZN7rocprim17ROCPRIM_400000_NS6detail17trampoline_kernelINS0_14default_configENS1_38merge_sort_block_merge_config_selectorIjNS0_10empty_typeEEEZZNS1_27merge_sort_block_merge_implIS3_N6thrust23THRUST_200600_302600_NS6detail15normal_iteratorINS9_10device_ptrIjEEEEPS5_jNS1_19radix_merge_compareILb0ELb1EjNS0_19identity_decomposerEEEEE10hipError_tT0_T1_T2_jT3_P12ihipStream_tbPNSt15iterator_traitsISK_E10value_typeEPNSQ_ISL_E10value_typeEPSM_NS1_7vsmem_tEENKUlT_SK_SL_SM_E_clISE_PjSF_SF_EESJ_SZ_SK_SL_SM_EUlSZ_E0_NS1_11comp_targetILNS1_3genE9ELNS1_11target_archE1100ELNS1_3gpuE3ELNS1_3repE0EEENS1_38merge_mergepath_config_static_selectorELNS0_4arch9wavefront6targetE1EEEvSL_: ; @_ZN7rocprim17ROCPRIM_400000_NS6detail17trampoline_kernelINS0_14default_configENS1_38merge_sort_block_merge_config_selectorIjNS0_10empty_typeEEEZZNS1_27merge_sort_block_merge_implIS3_N6thrust23THRUST_200600_302600_NS6detail15normal_iteratorINS9_10device_ptrIjEEEEPS5_jNS1_19radix_merge_compareILb0ELb1EjNS0_19identity_decomposerEEEEE10hipError_tT0_T1_T2_jT3_P12ihipStream_tbPNSt15iterator_traitsISK_E10value_typeEPNSQ_ISL_E10value_typeEPSM_NS1_7vsmem_tEENKUlT_SK_SL_SM_E_clISE_PjSF_SF_EESJ_SZ_SK_SL_SM_EUlSZ_E0_NS1_11comp_targetILNS1_3genE9ELNS1_11target_archE1100ELNS1_3gpuE3ELNS1_3repE0EEENS1_38merge_mergepath_config_static_selectorELNS0_4arch9wavefront6targetE1EEEvSL_
; %bb.0:
	.section	.rodata,"a",@progbits
	.p2align	6, 0x0
	.amdhsa_kernel _ZN7rocprim17ROCPRIM_400000_NS6detail17trampoline_kernelINS0_14default_configENS1_38merge_sort_block_merge_config_selectorIjNS0_10empty_typeEEEZZNS1_27merge_sort_block_merge_implIS3_N6thrust23THRUST_200600_302600_NS6detail15normal_iteratorINS9_10device_ptrIjEEEEPS5_jNS1_19radix_merge_compareILb0ELb1EjNS0_19identity_decomposerEEEEE10hipError_tT0_T1_T2_jT3_P12ihipStream_tbPNSt15iterator_traitsISK_E10value_typeEPNSQ_ISL_E10value_typeEPSM_NS1_7vsmem_tEENKUlT_SK_SL_SM_E_clISE_PjSF_SF_EESJ_SZ_SK_SL_SM_EUlSZ_E0_NS1_11comp_targetILNS1_3genE9ELNS1_11target_archE1100ELNS1_3gpuE3ELNS1_3repE0EEENS1_38merge_mergepath_config_static_selectorELNS0_4arch9wavefront6targetE1EEEvSL_
		.amdhsa_group_segment_fixed_size 0
		.amdhsa_private_segment_fixed_size 0
		.amdhsa_kernarg_size 64
		.amdhsa_user_sgpr_count 6
		.amdhsa_user_sgpr_private_segment_buffer 1
		.amdhsa_user_sgpr_dispatch_ptr 0
		.amdhsa_user_sgpr_queue_ptr 0
		.amdhsa_user_sgpr_kernarg_segment_ptr 1
		.amdhsa_user_sgpr_dispatch_id 0
		.amdhsa_user_sgpr_flat_scratch_init 0
		.amdhsa_user_sgpr_kernarg_preload_length 0
		.amdhsa_user_sgpr_kernarg_preload_offset 0
		.amdhsa_user_sgpr_private_segment_size 0
		.amdhsa_uses_dynamic_stack 0
		.amdhsa_system_sgpr_private_segment_wavefront_offset 0
		.amdhsa_system_sgpr_workgroup_id_x 1
		.amdhsa_system_sgpr_workgroup_id_y 0
		.amdhsa_system_sgpr_workgroup_id_z 0
		.amdhsa_system_sgpr_workgroup_info 0
		.amdhsa_system_vgpr_workitem_id 0
		.amdhsa_next_free_vgpr 1
		.amdhsa_next_free_sgpr 0
		.amdhsa_accum_offset 4
		.amdhsa_reserve_vcc 0
		.amdhsa_reserve_flat_scratch 0
		.amdhsa_float_round_mode_32 0
		.amdhsa_float_round_mode_16_64 0
		.amdhsa_float_denorm_mode_32 3
		.amdhsa_float_denorm_mode_16_64 3
		.amdhsa_dx10_clamp 1
		.amdhsa_ieee_mode 1
		.amdhsa_fp16_overflow 0
		.amdhsa_tg_split 0
		.amdhsa_exception_fp_ieee_invalid_op 0
		.amdhsa_exception_fp_denorm_src 0
		.amdhsa_exception_fp_ieee_div_zero 0
		.amdhsa_exception_fp_ieee_overflow 0
		.amdhsa_exception_fp_ieee_underflow 0
		.amdhsa_exception_fp_ieee_inexact 0
		.amdhsa_exception_int_div_zero 0
	.end_amdhsa_kernel
	.section	.text._ZN7rocprim17ROCPRIM_400000_NS6detail17trampoline_kernelINS0_14default_configENS1_38merge_sort_block_merge_config_selectorIjNS0_10empty_typeEEEZZNS1_27merge_sort_block_merge_implIS3_N6thrust23THRUST_200600_302600_NS6detail15normal_iteratorINS9_10device_ptrIjEEEEPS5_jNS1_19radix_merge_compareILb0ELb1EjNS0_19identity_decomposerEEEEE10hipError_tT0_T1_T2_jT3_P12ihipStream_tbPNSt15iterator_traitsISK_E10value_typeEPNSQ_ISL_E10value_typeEPSM_NS1_7vsmem_tEENKUlT_SK_SL_SM_E_clISE_PjSF_SF_EESJ_SZ_SK_SL_SM_EUlSZ_E0_NS1_11comp_targetILNS1_3genE9ELNS1_11target_archE1100ELNS1_3gpuE3ELNS1_3repE0EEENS1_38merge_mergepath_config_static_selectorELNS0_4arch9wavefront6targetE1EEEvSL_,"axG",@progbits,_ZN7rocprim17ROCPRIM_400000_NS6detail17trampoline_kernelINS0_14default_configENS1_38merge_sort_block_merge_config_selectorIjNS0_10empty_typeEEEZZNS1_27merge_sort_block_merge_implIS3_N6thrust23THRUST_200600_302600_NS6detail15normal_iteratorINS9_10device_ptrIjEEEEPS5_jNS1_19radix_merge_compareILb0ELb1EjNS0_19identity_decomposerEEEEE10hipError_tT0_T1_T2_jT3_P12ihipStream_tbPNSt15iterator_traitsISK_E10value_typeEPNSQ_ISL_E10value_typeEPSM_NS1_7vsmem_tEENKUlT_SK_SL_SM_E_clISE_PjSF_SF_EESJ_SZ_SK_SL_SM_EUlSZ_E0_NS1_11comp_targetILNS1_3genE9ELNS1_11target_archE1100ELNS1_3gpuE3ELNS1_3repE0EEENS1_38merge_mergepath_config_static_selectorELNS0_4arch9wavefront6targetE1EEEvSL_,comdat
.Lfunc_end1064:
	.size	_ZN7rocprim17ROCPRIM_400000_NS6detail17trampoline_kernelINS0_14default_configENS1_38merge_sort_block_merge_config_selectorIjNS0_10empty_typeEEEZZNS1_27merge_sort_block_merge_implIS3_N6thrust23THRUST_200600_302600_NS6detail15normal_iteratorINS9_10device_ptrIjEEEEPS5_jNS1_19radix_merge_compareILb0ELb1EjNS0_19identity_decomposerEEEEE10hipError_tT0_T1_T2_jT3_P12ihipStream_tbPNSt15iterator_traitsISK_E10value_typeEPNSQ_ISL_E10value_typeEPSM_NS1_7vsmem_tEENKUlT_SK_SL_SM_E_clISE_PjSF_SF_EESJ_SZ_SK_SL_SM_EUlSZ_E0_NS1_11comp_targetILNS1_3genE9ELNS1_11target_archE1100ELNS1_3gpuE3ELNS1_3repE0EEENS1_38merge_mergepath_config_static_selectorELNS0_4arch9wavefront6targetE1EEEvSL_, .Lfunc_end1064-_ZN7rocprim17ROCPRIM_400000_NS6detail17trampoline_kernelINS0_14default_configENS1_38merge_sort_block_merge_config_selectorIjNS0_10empty_typeEEEZZNS1_27merge_sort_block_merge_implIS3_N6thrust23THRUST_200600_302600_NS6detail15normal_iteratorINS9_10device_ptrIjEEEEPS5_jNS1_19radix_merge_compareILb0ELb1EjNS0_19identity_decomposerEEEEE10hipError_tT0_T1_T2_jT3_P12ihipStream_tbPNSt15iterator_traitsISK_E10value_typeEPNSQ_ISL_E10value_typeEPSM_NS1_7vsmem_tEENKUlT_SK_SL_SM_E_clISE_PjSF_SF_EESJ_SZ_SK_SL_SM_EUlSZ_E0_NS1_11comp_targetILNS1_3genE9ELNS1_11target_archE1100ELNS1_3gpuE3ELNS1_3repE0EEENS1_38merge_mergepath_config_static_selectorELNS0_4arch9wavefront6targetE1EEEvSL_
                                        ; -- End function
	.section	.AMDGPU.csdata,"",@progbits
; Kernel info:
; codeLenInByte = 0
; NumSgprs: 4
; NumVgprs: 0
; NumAgprs: 0
; TotalNumVgprs: 0
; ScratchSize: 0
; MemoryBound: 0
; FloatMode: 240
; IeeeMode: 1
; LDSByteSize: 0 bytes/workgroup (compile time only)
; SGPRBlocks: 0
; VGPRBlocks: 0
; NumSGPRsForWavesPerEU: 4
; NumVGPRsForWavesPerEU: 1
; AccumOffset: 4
; Occupancy: 8
; WaveLimiterHint : 0
; COMPUTE_PGM_RSRC2:SCRATCH_EN: 0
; COMPUTE_PGM_RSRC2:USER_SGPR: 6
; COMPUTE_PGM_RSRC2:TRAP_HANDLER: 0
; COMPUTE_PGM_RSRC2:TGID_X_EN: 1
; COMPUTE_PGM_RSRC2:TGID_Y_EN: 0
; COMPUTE_PGM_RSRC2:TGID_Z_EN: 0
; COMPUTE_PGM_RSRC2:TIDIG_COMP_CNT: 0
; COMPUTE_PGM_RSRC3_GFX90A:ACCUM_OFFSET: 0
; COMPUTE_PGM_RSRC3_GFX90A:TG_SPLIT: 0
	.section	.text._ZN7rocprim17ROCPRIM_400000_NS6detail17trampoline_kernelINS0_14default_configENS1_38merge_sort_block_merge_config_selectorIjNS0_10empty_typeEEEZZNS1_27merge_sort_block_merge_implIS3_N6thrust23THRUST_200600_302600_NS6detail15normal_iteratorINS9_10device_ptrIjEEEEPS5_jNS1_19radix_merge_compareILb0ELb1EjNS0_19identity_decomposerEEEEE10hipError_tT0_T1_T2_jT3_P12ihipStream_tbPNSt15iterator_traitsISK_E10value_typeEPNSQ_ISL_E10value_typeEPSM_NS1_7vsmem_tEENKUlT_SK_SL_SM_E_clISE_PjSF_SF_EESJ_SZ_SK_SL_SM_EUlSZ_E0_NS1_11comp_targetILNS1_3genE8ELNS1_11target_archE1030ELNS1_3gpuE2ELNS1_3repE0EEENS1_38merge_mergepath_config_static_selectorELNS0_4arch9wavefront6targetE1EEEvSL_,"axG",@progbits,_ZN7rocprim17ROCPRIM_400000_NS6detail17trampoline_kernelINS0_14default_configENS1_38merge_sort_block_merge_config_selectorIjNS0_10empty_typeEEEZZNS1_27merge_sort_block_merge_implIS3_N6thrust23THRUST_200600_302600_NS6detail15normal_iteratorINS9_10device_ptrIjEEEEPS5_jNS1_19radix_merge_compareILb0ELb1EjNS0_19identity_decomposerEEEEE10hipError_tT0_T1_T2_jT3_P12ihipStream_tbPNSt15iterator_traitsISK_E10value_typeEPNSQ_ISL_E10value_typeEPSM_NS1_7vsmem_tEENKUlT_SK_SL_SM_E_clISE_PjSF_SF_EESJ_SZ_SK_SL_SM_EUlSZ_E0_NS1_11comp_targetILNS1_3genE8ELNS1_11target_archE1030ELNS1_3gpuE2ELNS1_3repE0EEENS1_38merge_mergepath_config_static_selectorELNS0_4arch9wavefront6targetE1EEEvSL_,comdat
	.protected	_ZN7rocprim17ROCPRIM_400000_NS6detail17trampoline_kernelINS0_14default_configENS1_38merge_sort_block_merge_config_selectorIjNS0_10empty_typeEEEZZNS1_27merge_sort_block_merge_implIS3_N6thrust23THRUST_200600_302600_NS6detail15normal_iteratorINS9_10device_ptrIjEEEEPS5_jNS1_19radix_merge_compareILb0ELb1EjNS0_19identity_decomposerEEEEE10hipError_tT0_T1_T2_jT3_P12ihipStream_tbPNSt15iterator_traitsISK_E10value_typeEPNSQ_ISL_E10value_typeEPSM_NS1_7vsmem_tEENKUlT_SK_SL_SM_E_clISE_PjSF_SF_EESJ_SZ_SK_SL_SM_EUlSZ_E0_NS1_11comp_targetILNS1_3genE8ELNS1_11target_archE1030ELNS1_3gpuE2ELNS1_3repE0EEENS1_38merge_mergepath_config_static_selectorELNS0_4arch9wavefront6targetE1EEEvSL_ ; -- Begin function _ZN7rocprim17ROCPRIM_400000_NS6detail17trampoline_kernelINS0_14default_configENS1_38merge_sort_block_merge_config_selectorIjNS0_10empty_typeEEEZZNS1_27merge_sort_block_merge_implIS3_N6thrust23THRUST_200600_302600_NS6detail15normal_iteratorINS9_10device_ptrIjEEEEPS5_jNS1_19radix_merge_compareILb0ELb1EjNS0_19identity_decomposerEEEEE10hipError_tT0_T1_T2_jT3_P12ihipStream_tbPNSt15iterator_traitsISK_E10value_typeEPNSQ_ISL_E10value_typeEPSM_NS1_7vsmem_tEENKUlT_SK_SL_SM_E_clISE_PjSF_SF_EESJ_SZ_SK_SL_SM_EUlSZ_E0_NS1_11comp_targetILNS1_3genE8ELNS1_11target_archE1030ELNS1_3gpuE2ELNS1_3repE0EEENS1_38merge_mergepath_config_static_selectorELNS0_4arch9wavefront6targetE1EEEvSL_
	.globl	_ZN7rocprim17ROCPRIM_400000_NS6detail17trampoline_kernelINS0_14default_configENS1_38merge_sort_block_merge_config_selectorIjNS0_10empty_typeEEEZZNS1_27merge_sort_block_merge_implIS3_N6thrust23THRUST_200600_302600_NS6detail15normal_iteratorINS9_10device_ptrIjEEEEPS5_jNS1_19radix_merge_compareILb0ELb1EjNS0_19identity_decomposerEEEEE10hipError_tT0_T1_T2_jT3_P12ihipStream_tbPNSt15iterator_traitsISK_E10value_typeEPNSQ_ISL_E10value_typeEPSM_NS1_7vsmem_tEENKUlT_SK_SL_SM_E_clISE_PjSF_SF_EESJ_SZ_SK_SL_SM_EUlSZ_E0_NS1_11comp_targetILNS1_3genE8ELNS1_11target_archE1030ELNS1_3gpuE2ELNS1_3repE0EEENS1_38merge_mergepath_config_static_selectorELNS0_4arch9wavefront6targetE1EEEvSL_
	.p2align	8
	.type	_ZN7rocprim17ROCPRIM_400000_NS6detail17trampoline_kernelINS0_14default_configENS1_38merge_sort_block_merge_config_selectorIjNS0_10empty_typeEEEZZNS1_27merge_sort_block_merge_implIS3_N6thrust23THRUST_200600_302600_NS6detail15normal_iteratorINS9_10device_ptrIjEEEEPS5_jNS1_19radix_merge_compareILb0ELb1EjNS0_19identity_decomposerEEEEE10hipError_tT0_T1_T2_jT3_P12ihipStream_tbPNSt15iterator_traitsISK_E10value_typeEPNSQ_ISL_E10value_typeEPSM_NS1_7vsmem_tEENKUlT_SK_SL_SM_E_clISE_PjSF_SF_EESJ_SZ_SK_SL_SM_EUlSZ_E0_NS1_11comp_targetILNS1_3genE8ELNS1_11target_archE1030ELNS1_3gpuE2ELNS1_3repE0EEENS1_38merge_mergepath_config_static_selectorELNS0_4arch9wavefront6targetE1EEEvSL_,@function
_ZN7rocprim17ROCPRIM_400000_NS6detail17trampoline_kernelINS0_14default_configENS1_38merge_sort_block_merge_config_selectorIjNS0_10empty_typeEEEZZNS1_27merge_sort_block_merge_implIS3_N6thrust23THRUST_200600_302600_NS6detail15normal_iteratorINS9_10device_ptrIjEEEEPS5_jNS1_19radix_merge_compareILb0ELb1EjNS0_19identity_decomposerEEEEE10hipError_tT0_T1_T2_jT3_P12ihipStream_tbPNSt15iterator_traitsISK_E10value_typeEPNSQ_ISL_E10value_typeEPSM_NS1_7vsmem_tEENKUlT_SK_SL_SM_E_clISE_PjSF_SF_EESJ_SZ_SK_SL_SM_EUlSZ_E0_NS1_11comp_targetILNS1_3genE8ELNS1_11target_archE1030ELNS1_3gpuE2ELNS1_3repE0EEENS1_38merge_mergepath_config_static_selectorELNS0_4arch9wavefront6targetE1EEEvSL_: ; @_ZN7rocprim17ROCPRIM_400000_NS6detail17trampoline_kernelINS0_14default_configENS1_38merge_sort_block_merge_config_selectorIjNS0_10empty_typeEEEZZNS1_27merge_sort_block_merge_implIS3_N6thrust23THRUST_200600_302600_NS6detail15normal_iteratorINS9_10device_ptrIjEEEEPS5_jNS1_19radix_merge_compareILb0ELb1EjNS0_19identity_decomposerEEEEE10hipError_tT0_T1_T2_jT3_P12ihipStream_tbPNSt15iterator_traitsISK_E10value_typeEPNSQ_ISL_E10value_typeEPSM_NS1_7vsmem_tEENKUlT_SK_SL_SM_E_clISE_PjSF_SF_EESJ_SZ_SK_SL_SM_EUlSZ_E0_NS1_11comp_targetILNS1_3genE8ELNS1_11target_archE1030ELNS1_3gpuE2ELNS1_3repE0EEENS1_38merge_mergepath_config_static_selectorELNS0_4arch9wavefront6targetE1EEEvSL_
; %bb.0:
	.section	.rodata,"a",@progbits
	.p2align	6, 0x0
	.amdhsa_kernel _ZN7rocprim17ROCPRIM_400000_NS6detail17trampoline_kernelINS0_14default_configENS1_38merge_sort_block_merge_config_selectorIjNS0_10empty_typeEEEZZNS1_27merge_sort_block_merge_implIS3_N6thrust23THRUST_200600_302600_NS6detail15normal_iteratorINS9_10device_ptrIjEEEEPS5_jNS1_19radix_merge_compareILb0ELb1EjNS0_19identity_decomposerEEEEE10hipError_tT0_T1_T2_jT3_P12ihipStream_tbPNSt15iterator_traitsISK_E10value_typeEPNSQ_ISL_E10value_typeEPSM_NS1_7vsmem_tEENKUlT_SK_SL_SM_E_clISE_PjSF_SF_EESJ_SZ_SK_SL_SM_EUlSZ_E0_NS1_11comp_targetILNS1_3genE8ELNS1_11target_archE1030ELNS1_3gpuE2ELNS1_3repE0EEENS1_38merge_mergepath_config_static_selectorELNS0_4arch9wavefront6targetE1EEEvSL_
		.amdhsa_group_segment_fixed_size 0
		.amdhsa_private_segment_fixed_size 0
		.amdhsa_kernarg_size 64
		.amdhsa_user_sgpr_count 6
		.amdhsa_user_sgpr_private_segment_buffer 1
		.amdhsa_user_sgpr_dispatch_ptr 0
		.amdhsa_user_sgpr_queue_ptr 0
		.amdhsa_user_sgpr_kernarg_segment_ptr 1
		.amdhsa_user_sgpr_dispatch_id 0
		.amdhsa_user_sgpr_flat_scratch_init 0
		.amdhsa_user_sgpr_kernarg_preload_length 0
		.amdhsa_user_sgpr_kernarg_preload_offset 0
		.amdhsa_user_sgpr_private_segment_size 0
		.amdhsa_uses_dynamic_stack 0
		.amdhsa_system_sgpr_private_segment_wavefront_offset 0
		.amdhsa_system_sgpr_workgroup_id_x 1
		.amdhsa_system_sgpr_workgroup_id_y 0
		.amdhsa_system_sgpr_workgroup_id_z 0
		.amdhsa_system_sgpr_workgroup_info 0
		.amdhsa_system_vgpr_workitem_id 0
		.amdhsa_next_free_vgpr 1
		.amdhsa_next_free_sgpr 0
		.amdhsa_accum_offset 4
		.amdhsa_reserve_vcc 0
		.amdhsa_reserve_flat_scratch 0
		.amdhsa_float_round_mode_32 0
		.amdhsa_float_round_mode_16_64 0
		.amdhsa_float_denorm_mode_32 3
		.amdhsa_float_denorm_mode_16_64 3
		.amdhsa_dx10_clamp 1
		.amdhsa_ieee_mode 1
		.amdhsa_fp16_overflow 0
		.amdhsa_tg_split 0
		.amdhsa_exception_fp_ieee_invalid_op 0
		.amdhsa_exception_fp_denorm_src 0
		.amdhsa_exception_fp_ieee_div_zero 0
		.amdhsa_exception_fp_ieee_overflow 0
		.amdhsa_exception_fp_ieee_underflow 0
		.amdhsa_exception_fp_ieee_inexact 0
		.amdhsa_exception_int_div_zero 0
	.end_amdhsa_kernel
	.section	.text._ZN7rocprim17ROCPRIM_400000_NS6detail17trampoline_kernelINS0_14default_configENS1_38merge_sort_block_merge_config_selectorIjNS0_10empty_typeEEEZZNS1_27merge_sort_block_merge_implIS3_N6thrust23THRUST_200600_302600_NS6detail15normal_iteratorINS9_10device_ptrIjEEEEPS5_jNS1_19radix_merge_compareILb0ELb1EjNS0_19identity_decomposerEEEEE10hipError_tT0_T1_T2_jT3_P12ihipStream_tbPNSt15iterator_traitsISK_E10value_typeEPNSQ_ISL_E10value_typeEPSM_NS1_7vsmem_tEENKUlT_SK_SL_SM_E_clISE_PjSF_SF_EESJ_SZ_SK_SL_SM_EUlSZ_E0_NS1_11comp_targetILNS1_3genE8ELNS1_11target_archE1030ELNS1_3gpuE2ELNS1_3repE0EEENS1_38merge_mergepath_config_static_selectorELNS0_4arch9wavefront6targetE1EEEvSL_,"axG",@progbits,_ZN7rocprim17ROCPRIM_400000_NS6detail17trampoline_kernelINS0_14default_configENS1_38merge_sort_block_merge_config_selectorIjNS0_10empty_typeEEEZZNS1_27merge_sort_block_merge_implIS3_N6thrust23THRUST_200600_302600_NS6detail15normal_iteratorINS9_10device_ptrIjEEEEPS5_jNS1_19radix_merge_compareILb0ELb1EjNS0_19identity_decomposerEEEEE10hipError_tT0_T1_T2_jT3_P12ihipStream_tbPNSt15iterator_traitsISK_E10value_typeEPNSQ_ISL_E10value_typeEPSM_NS1_7vsmem_tEENKUlT_SK_SL_SM_E_clISE_PjSF_SF_EESJ_SZ_SK_SL_SM_EUlSZ_E0_NS1_11comp_targetILNS1_3genE8ELNS1_11target_archE1030ELNS1_3gpuE2ELNS1_3repE0EEENS1_38merge_mergepath_config_static_selectorELNS0_4arch9wavefront6targetE1EEEvSL_,comdat
.Lfunc_end1065:
	.size	_ZN7rocprim17ROCPRIM_400000_NS6detail17trampoline_kernelINS0_14default_configENS1_38merge_sort_block_merge_config_selectorIjNS0_10empty_typeEEEZZNS1_27merge_sort_block_merge_implIS3_N6thrust23THRUST_200600_302600_NS6detail15normal_iteratorINS9_10device_ptrIjEEEEPS5_jNS1_19radix_merge_compareILb0ELb1EjNS0_19identity_decomposerEEEEE10hipError_tT0_T1_T2_jT3_P12ihipStream_tbPNSt15iterator_traitsISK_E10value_typeEPNSQ_ISL_E10value_typeEPSM_NS1_7vsmem_tEENKUlT_SK_SL_SM_E_clISE_PjSF_SF_EESJ_SZ_SK_SL_SM_EUlSZ_E0_NS1_11comp_targetILNS1_3genE8ELNS1_11target_archE1030ELNS1_3gpuE2ELNS1_3repE0EEENS1_38merge_mergepath_config_static_selectorELNS0_4arch9wavefront6targetE1EEEvSL_, .Lfunc_end1065-_ZN7rocprim17ROCPRIM_400000_NS6detail17trampoline_kernelINS0_14default_configENS1_38merge_sort_block_merge_config_selectorIjNS0_10empty_typeEEEZZNS1_27merge_sort_block_merge_implIS3_N6thrust23THRUST_200600_302600_NS6detail15normal_iteratorINS9_10device_ptrIjEEEEPS5_jNS1_19radix_merge_compareILb0ELb1EjNS0_19identity_decomposerEEEEE10hipError_tT0_T1_T2_jT3_P12ihipStream_tbPNSt15iterator_traitsISK_E10value_typeEPNSQ_ISL_E10value_typeEPSM_NS1_7vsmem_tEENKUlT_SK_SL_SM_E_clISE_PjSF_SF_EESJ_SZ_SK_SL_SM_EUlSZ_E0_NS1_11comp_targetILNS1_3genE8ELNS1_11target_archE1030ELNS1_3gpuE2ELNS1_3repE0EEENS1_38merge_mergepath_config_static_selectorELNS0_4arch9wavefront6targetE1EEEvSL_
                                        ; -- End function
	.section	.AMDGPU.csdata,"",@progbits
; Kernel info:
; codeLenInByte = 0
; NumSgprs: 4
; NumVgprs: 0
; NumAgprs: 0
; TotalNumVgprs: 0
; ScratchSize: 0
; MemoryBound: 0
; FloatMode: 240
; IeeeMode: 1
; LDSByteSize: 0 bytes/workgroup (compile time only)
; SGPRBlocks: 0
; VGPRBlocks: 0
; NumSGPRsForWavesPerEU: 4
; NumVGPRsForWavesPerEU: 1
; AccumOffset: 4
; Occupancy: 8
; WaveLimiterHint : 0
; COMPUTE_PGM_RSRC2:SCRATCH_EN: 0
; COMPUTE_PGM_RSRC2:USER_SGPR: 6
; COMPUTE_PGM_RSRC2:TRAP_HANDLER: 0
; COMPUTE_PGM_RSRC2:TGID_X_EN: 1
; COMPUTE_PGM_RSRC2:TGID_Y_EN: 0
; COMPUTE_PGM_RSRC2:TGID_Z_EN: 0
; COMPUTE_PGM_RSRC2:TIDIG_COMP_CNT: 0
; COMPUTE_PGM_RSRC3_GFX90A:ACCUM_OFFSET: 0
; COMPUTE_PGM_RSRC3_GFX90A:TG_SPLIT: 0
	.section	.text._ZN7rocprim17ROCPRIM_400000_NS6detail17trampoline_kernelINS0_14default_configENS1_38merge_sort_block_merge_config_selectorIjNS0_10empty_typeEEEZZNS1_27merge_sort_block_merge_implIS3_N6thrust23THRUST_200600_302600_NS6detail15normal_iteratorINS9_10device_ptrIjEEEEPS5_jNS1_19radix_merge_compareILb0ELb1EjNS0_19identity_decomposerEEEEE10hipError_tT0_T1_T2_jT3_P12ihipStream_tbPNSt15iterator_traitsISK_E10value_typeEPNSQ_ISL_E10value_typeEPSM_NS1_7vsmem_tEENKUlT_SK_SL_SM_E_clISE_PjSF_SF_EESJ_SZ_SK_SL_SM_EUlSZ_E1_NS1_11comp_targetILNS1_3genE0ELNS1_11target_archE4294967295ELNS1_3gpuE0ELNS1_3repE0EEENS1_36merge_oddeven_config_static_selectorELNS0_4arch9wavefront6targetE1EEEvSL_,"axG",@progbits,_ZN7rocprim17ROCPRIM_400000_NS6detail17trampoline_kernelINS0_14default_configENS1_38merge_sort_block_merge_config_selectorIjNS0_10empty_typeEEEZZNS1_27merge_sort_block_merge_implIS3_N6thrust23THRUST_200600_302600_NS6detail15normal_iteratorINS9_10device_ptrIjEEEEPS5_jNS1_19radix_merge_compareILb0ELb1EjNS0_19identity_decomposerEEEEE10hipError_tT0_T1_T2_jT3_P12ihipStream_tbPNSt15iterator_traitsISK_E10value_typeEPNSQ_ISL_E10value_typeEPSM_NS1_7vsmem_tEENKUlT_SK_SL_SM_E_clISE_PjSF_SF_EESJ_SZ_SK_SL_SM_EUlSZ_E1_NS1_11comp_targetILNS1_3genE0ELNS1_11target_archE4294967295ELNS1_3gpuE0ELNS1_3repE0EEENS1_36merge_oddeven_config_static_selectorELNS0_4arch9wavefront6targetE1EEEvSL_,comdat
	.protected	_ZN7rocprim17ROCPRIM_400000_NS6detail17trampoline_kernelINS0_14default_configENS1_38merge_sort_block_merge_config_selectorIjNS0_10empty_typeEEEZZNS1_27merge_sort_block_merge_implIS3_N6thrust23THRUST_200600_302600_NS6detail15normal_iteratorINS9_10device_ptrIjEEEEPS5_jNS1_19radix_merge_compareILb0ELb1EjNS0_19identity_decomposerEEEEE10hipError_tT0_T1_T2_jT3_P12ihipStream_tbPNSt15iterator_traitsISK_E10value_typeEPNSQ_ISL_E10value_typeEPSM_NS1_7vsmem_tEENKUlT_SK_SL_SM_E_clISE_PjSF_SF_EESJ_SZ_SK_SL_SM_EUlSZ_E1_NS1_11comp_targetILNS1_3genE0ELNS1_11target_archE4294967295ELNS1_3gpuE0ELNS1_3repE0EEENS1_36merge_oddeven_config_static_selectorELNS0_4arch9wavefront6targetE1EEEvSL_ ; -- Begin function _ZN7rocprim17ROCPRIM_400000_NS6detail17trampoline_kernelINS0_14default_configENS1_38merge_sort_block_merge_config_selectorIjNS0_10empty_typeEEEZZNS1_27merge_sort_block_merge_implIS3_N6thrust23THRUST_200600_302600_NS6detail15normal_iteratorINS9_10device_ptrIjEEEEPS5_jNS1_19radix_merge_compareILb0ELb1EjNS0_19identity_decomposerEEEEE10hipError_tT0_T1_T2_jT3_P12ihipStream_tbPNSt15iterator_traitsISK_E10value_typeEPNSQ_ISL_E10value_typeEPSM_NS1_7vsmem_tEENKUlT_SK_SL_SM_E_clISE_PjSF_SF_EESJ_SZ_SK_SL_SM_EUlSZ_E1_NS1_11comp_targetILNS1_3genE0ELNS1_11target_archE4294967295ELNS1_3gpuE0ELNS1_3repE0EEENS1_36merge_oddeven_config_static_selectorELNS0_4arch9wavefront6targetE1EEEvSL_
	.globl	_ZN7rocprim17ROCPRIM_400000_NS6detail17trampoline_kernelINS0_14default_configENS1_38merge_sort_block_merge_config_selectorIjNS0_10empty_typeEEEZZNS1_27merge_sort_block_merge_implIS3_N6thrust23THRUST_200600_302600_NS6detail15normal_iteratorINS9_10device_ptrIjEEEEPS5_jNS1_19radix_merge_compareILb0ELb1EjNS0_19identity_decomposerEEEEE10hipError_tT0_T1_T2_jT3_P12ihipStream_tbPNSt15iterator_traitsISK_E10value_typeEPNSQ_ISL_E10value_typeEPSM_NS1_7vsmem_tEENKUlT_SK_SL_SM_E_clISE_PjSF_SF_EESJ_SZ_SK_SL_SM_EUlSZ_E1_NS1_11comp_targetILNS1_3genE0ELNS1_11target_archE4294967295ELNS1_3gpuE0ELNS1_3repE0EEENS1_36merge_oddeven_config_static_selectorELNS0_4arch9wavefront6targetE1EEEvSL_
	.p2align	8
	.type	_ZN7rocprim17ROCPRIM_400000_NS6detail17trampoline_kernelINS0_14default_configENS1_38merge_sort_block_merge_config_selectorIjNS0_10empty_typeEEEZZNS1_27merge_sort_block_merge_implIS3_N6thrust23THRUST_200600_302600_NS6detail15normal_iteratorINS9_10device_ptrIjEEEEPS5_jNS1_19radix_merge_compareILb0ELb1EjNS0_19identity_decomposerEEEEE10hipError_tT0_T1_T2_jT3_P12ihipStream_tbPNSt15iterator_traitsISK_E10value_typeEPNSQ_ISL_E10value_typeEPSM_NS1_7vsmem_tEENKUlT_SK_SL_SM_E_clISE_PjSF_SF_EESJ_SZ_SK_SL_SM_EUlSZ_E1_NS1_11comp_targetILNS1_3genE0ELNS1_11target_archE4294967295ELNS1_3gpuE0ELNS1_3repE0EEENS1_36merge_oddeven_config_static_selectorELNS0_4arch9wavefront6targetE1EEEvSL_,@function
_ZN7rocprim17ROCPRIM_400000_NS6detail17trampoline_kernelINS0_14default_configENS1_38merge_sort_block_merge_config_selectorIjNS0_10empty_typeEEEZZNS1_27merge_sort_block_merge_implIS3_N6thrust23THRUST_200600_302600_NS6detail15normal_iteratorINS9_10device_ptrIjEEEEPS5_jNS1_19radix_merge_compareILb0ELb1EjNS0_19identity_decomposerEEEEE10hipError_tT0_T1_T2_jT3_P12ihipStream_tbPNSt15iterator_traitsISK_E10value_typeEPNSQ_ISL_E10value_typeEPSM_NS1_7vsmem_tEENKUlT_SK_SL_SM_E_clISE_PjSF_SF_EESJ_SZ_SK_SL_SM_EUlSZ_E1_NS1_11comp_targetILNS1_3genE0ELNS1_11target_archE4294967295ELNS1_3gpuE0ELNS1_3repE0EEENS1_36merge_oddeven_config_static_selectorELNS0_4arch9wavefront6targetE1EEEvSL_: ; @_ZN7rocprim17ROCPRIM_400000_NS6detail17trampoline_kernelINS0_14default_configENS1_38merge_sort_block_merge_config_selectorIjNS0_10empty_typeEEEZZNS1_27merge_sort_block_merge_implIS3_N6thrust23THRUST_200600_302600_NS6detail15normal_iteratorINS9_10device_ptrIjEEEEPS5_jNS1_19radix_merge_compareILb0ELb1EjNS0_19identity_decomposerEEEEE10hipError_tT0_T1_T2_jT3_P12ihipStream_tbPNSt15iterator_traitsISK_E10value_typeEPNSQ_ISL_E10value_typeEPSM_NS1_7vsmem_tEENKUlT_SK_SL_SM_E_clISE_PjSF_SF_EESJ_SZ_SK_SL_SM_EUlSZ_E1_NS1_11comp_targetILNS1_3genE0ELNS1_11target_archE4294967295ELNS1_3gpuE0ELNS1_3repE0EEENS1_36merge_oddeven_config_static_selectorELNS0_4arch9wavefront6targetE1EEEvSL_
; %bb.0:
	.section	.rodata,"a",@progbits
	.p2align	6, 0x0
	.amdhsa_kernel _ZN7rocprim17ROCPRIM_400000_NS6detail17trampoline_kernelINS0_14default_configENS1_38merge_sort_block_merge_config_selectorIjNS0_10empty_typeEEEZZNS1_27merge_sort_block_merge_implIS3_N6thrust23THRUST_200600_302600_NS6detail15normal_iteratorINS9_10device_ptrIjEEEEPS5_jNS1_19radix_merge_compareILb0ELb1EjNS0_19identity_decomposerEEEEE10hipError_tT0_T1_T2_jT3_P12ihipStream_tbPNSt15iterator_traitsISK_E10value_typeEPNSQ_ISL_E10value_typeEPSM_NS1_7vsmem_tEENKUlT_SK_SL_SM_E_clISE_PjSF_SF_EESJ_SZ_SK_SL_SM_EUlSZ_E1_NS1_11comp_targetILNS1_3genE0ELNS1_11target_archE4294967295ELNS1_3gpuE0ELNS1_3repE0EEENS1_36merge_oddeven_config_static_selectorELNS0_4arch9wavefront6targetE1EEEvSL_
		.amdhsa_group_segment_fixed_size 0
		.amdhsa_private_segment_fixed_size 0
		.amdhsa_kernarg_size 48
		.amdhsa_user_sgpr_count 6
		.amdhsa_user_sgpr_private_segment_buffer 1
		.amdhsa_user_sgpr_dispatch_ptr 0
		.amdhsa_user_sgpr_queue_ptr 0
		.amdhsa_user_sgpr_kernarg_segment_ptr 1
		.amdhsa_user_sgpr_dispatch_id 0
		.amdhsa_user_sgpr_flat_scratch_init 0
		.amdhsa_user_sgpr_kernarg_preload_length 0
		.amdhsa_user_sgpr_kernarg_preload_offset 0
		.amdhsa_user_sgpr_private_segment_size 0
		.amdhsa_uses_dynamic_stack 0
		.amdhsa_system_sgpr_private_segment_wavefront_offset 0
		.amdhsa_system_sgpr_workgroup_id_x 1
		.amdhsa_system_sgpr_workgroup_id_y 0
		.amdhsa_system_sgpr_workgroup_id_z 0
		.amdhsa_system_sgpr_workgroup_info 0
		.amdhsa_system_vgpr_workitem_id 0
		.amdhsa_next_free_vgpr 1
		.amdhsa_next_free_sgpr 0
		.amdhsa_accum_offset 4
		.amdhsa_reserve_vcc 0
		.amdhsa_reserve_flat_scratch 0
		.amdhsa_float_round_mode_32 0
		.amdhsa_float_round_mode_16_64 0
		.amdhsa_float_denorm_mode_32 3
		.amdhsa_float_denorm_mode_16_64 3
		.amdhsa_dx10_clamp 1
		.amdhsa_ieee_mode 1
		.amdhsa_fp16_overflow 0
		.amdhsa_tg_split 0
		.amdhsa_exception_fp_ieee_invalid_op 0
		.amdhsa_exception_fp_denorm_src 0
		.amdhsa_exception_fp_ieee_div_zero 0
		.amdhsa_exception_fp_ieee_overflow 0
		.amdhsa_exception_fp_ieee_underflow 0
		.amdhsa_exception_fp_ieee_inexact 0
		.amdhsa_exception_int_div_zero 0
	.end_amdhsa_kernel
	.section	.text._ZN7rocprim17ROCPRIM_400000_NS6detail17trampoline_kernelINS0_14default_configENS1_38merge_sort_block_merge_config_selectorIjNS0_10empty_typeEEEZZNS1_27merge_sort_block_merge_implIS3_N6thrust23THRUST_200600_302600_NS6detail15normal_iteratorINS9_10device_ptrIjEEEEPS5_jNS1_19radix_merge_compareILb0ELb1EjNS0_19identity_decomposerEEEEE10hipError_tT0_T1_T2_jT3_P12ihipStream_tbPNSt15iterator_traitsISK_E10value_typeEPNSQ_ISL_E10value_typeEPSM_NS1_7vsmem_tEENKUlT_SK_SL_SM_E_clISE_PjSF_SF_EESJ_SZ_SK_SL_SM_EUlSZ_E1_NS1_11comp_targetILNS1_3genE0ELNS1_11target_archE4294967295ELNS1_3gpuE0ELNS1_3repE0EEENS1_36merge_oddeven_config_static_selectorELNS0_4arch9wavefront6targetE1EEEvSL_,"axG",@progbits,_ZN7rocprim17ROCPRIM_400000_NS6detail17trampoline_kernelINS0_14default_configENS1_38merge_sort_block_merge_config_selectorIjNS0_10empty_typeEEEZZNS1_27merge_sort_block_merge_implIS3_N6thrust23THRUST_200600_302600_NS6detail15normal_iteratorINS9_10device_ptrIjEEEEPS5_jNS1_19radix_merge_compareILb0ELb1EjNS0_19identity_decomposerEEEEE10hipError_tT0_T1_T2_jT3_P12ihipStream_tbPNSt15iterator_traitsISK_E10value_typeEPNSQ_ISL_E10value_typeEPSM_NS1_7vsmem_tEENKUlT_SK_SL_SM_E_clISE_PjSF_SF_EESJ_SZ_SK_SL_SM_EUlSZ_E1_NS1_11comp_targetILNS1_3genE0ELNS1_11target_archE4294967295ELNS1_3gpuE0ELNS1_3repE0EEENS1_36merge_oddeven_config_static_selectorELNS0_4arch9wavefront6targetE1EEEvSL_,comdat
.Lfunc_end1066:
	.size	_ZN7rocprim17ROCPRIM_400000_NS6detail17trampoline_kernelINS0_14default_configENS1_38merge_sort_block_merge_config_selectorIjNS0_10empty_typeEEEZZNS1_27merge_sort_block_merge_implIS3_N6thrust23THRUST_200600_302600_NS6detail15normal_iteratorINS9_10device_ptrIjEEEEPS5_jNS1_19radix_merge_compareILb0ELb1EjNS0_19identity_decomposerEEEEE10hipError_tT0_T1_T2_jT3_P12ihipStream_tbPNSt15iterator_traitsISK_E10value_typeEPNSQ_ISL_E10value_typeEPSM_NS1_7vsmem_tEENKUlT_SK_SL_SM_E_clISE_PjSF_SF_EESJ_SZ_SK_SL_SM_EUlSZ_E1_NS1_11comp_targetILNS1_3genE0ELNS1_11target_archE4294967295ELNS1_3gpuE0ELNS1_3repE0EEENS1_36merge_oddeven_config_static_selectorELNS0_4arch9wavefront6targetE1EEEvSL_, .Lfunc_end1066-_ZN7rocprim17ROCPRIM_400000_NS6detail17trampoline_kernelINS0_14default_configENS1_38merge_sort_block_merge_config_selectorIjNS0_10empty_typeEEEZZNS1_27merge_sort_block_merge_implIS3_N6thrust23THRUST_200600_302600_NS6detail15normal_iteratorINS9_10device_ptrIjEEEEPS5_jNS1_19radix_merge_compareILb0ELb1EjNS0_19identity_decomposerEEEEE10hipError_tT0_T1_T2_jT3_P12ihipStream_tbPNSt15iterator_traitsISK_E10value_typeEPNSQ_ISL_E10value_typeEPSM_NS1_7vsmem_tEENKUlT_SK_SL_SM_E_clISE_PjSF_SF_EESJ_SZ_SK_SL_SM_EUlSZ_E1_NS1_11comp_targetILNS1_3genE0ELNS1_11target_archE4294967295ELNS1_3gpuE0ELNS1_3repE0EEENS1_36merge_oddeven_config_static_selectorELNS0_4arch9wavefront6targetE1EEEvSL_
                                        ; -- End function
	.section	.AMDGPU.csdata,"",@progbits
; Kernel info:
; codeLenInByte = 0
; NumSgprs: 4
; NumVgprs: 0
; NumAgprs: 0
; TotalNumVgprs: 0
; ScratchSize: 0
; MemoryBound: 0
; FloatMode: 240
; IeeeMode: 1
; LDSByteSize: 0 bytes/workgroup (compile time only)
; SGPRBlocks: 0
; VGPRBlocks: 0
; NumSGPRsForWavesPerEU: 4
; NumVGPRsForWavesPerEU: 1
; AccumOffset: 4
; Occupancy: 8
; WaveLimiterHint : 0
; COMPUTE_PGM_RSRC2:SCRATCH_EN: 0
; COMPUTE_PGM_RSRC2:USER_SGPR: 6
; COMPUTE_PGM_RSRC2:TRAP_HANDLER: 0
; COMPUTE_PGM_RSRC2:TGID_X_EN: 1
; COMPUTE_PGM_RSRC2:TGID_Y_EN: 0
; COMPUTE_PGM_RSRC2:TGID_Z_EN: 0
; COMPUTE_PGM_RSRC2:TIDIG_COMP_CNT: 0
; COMPUTE_PGM_RSRC3_GFX90A:ACCUM_OFFSET: 0
; COMPUTE_PGM_RSRC3_GFX90A:TG_SPLIT: 0
	.section	.text._ZN7rocprim17ROCPRIM_400000_NS6detail17trampoline_kernelINS0_14default_configENS1_38merge_sort_block_merge_config_selectorIjNS0_10empty_typeEEEZZNS1_27merge_sort_block_merge_implIS3_N6thrust23THRUST_200600_302600_NS6detail15normal_iteratorINS9_10device_ptrIjEEEEPS5_jNS1_19radix_merge_compareILb0ELb1EjNS0_19identity_decomposerEEEEE10hipError_tT0_T1_T2_jT3_P12ihipStream_tbPNSt15iterator_traitsISK_E10value_typeEPNSQ_ISL_E10value_typeEPSM_NS1_7vsmem_tEENKUlT_SK_SL_SM_E_clISE_PjSF_SF_EESJ_SZ_SK_SL_SM_EUlSZ_E1_NS1_11comp_targetILNS1_3genE10ELNS1_11target_archE1201ELNS1_3gpuE5ELNS1_3repE0EEENS1_36merge_oddeven_config_static_selectorELNS0_4arch9wavefront6targetE1EEEvSL_,"axG",@progbits,_ZN7rocprim17ROCPRIM_400000_NS6detail17trampoline_kernelINS0_14default_configENS1_38merge_sort_block_merge_config_selectorIjNS0_10empty_typeEEEZZNS1_27merge_sort_block_merge_implIS3_N6thrust23THRUST_200600_302600_NS6detail15normal_iteratorINS9_10device_ptrIjEEEEPS5_jNS1_19radix_merge_compareILb0ELb1EjNS0_19identity_decomposerEEEEE10hipError_tT0_T1_T2_jT3_P12ihipStream_tbPNSt15iterator_traitsISK_E10value_typeEPNSQ_ISL_E10value_typeEPSM_NS1_7vsmem_tEENKUlT_SK_SL_SM_E_clISE_PjSF_SF_EESJ_SZ_SK_SL_SM_EUlSZ_E1_NS1_11comp_targetILNS1_3genE10ELNS1_11target_archE1201ELNS1_3gpuE5ELNS1_3repE0EEENS1_36merge_oddeven_config_static_selectorELNS0_4arch9wavefront6targetE1EEEvSL_,comdat
	.protected	_ZN7rocprim17ROCPRIM_400000_NS6detail17trampoline_kernelINS0_14default_configENS1_38merge_sort_block_merge_config_selectorIjNS0_10empty_typeEEEZZNS1_27merge_sort_block_merge_implIS3_N6thrust23THRUST_200600_302600_NS6detail15normal_iteratorINS9_10device_ptrIjEEEEPS5_jNS1_19radix_merge_compareILb0ELb1EjNS0_19identity_decomposerEEEEE10hipError_tT0_T1_T2_jT3_P12ihipStream_tbPNSt15iterator_traitsISK_E10value_typeEPNSQ_ISL_E10value_typeEPSM_NS1_7vsmem_tEENKUlT_SK_SL_SM_E_clISE_PjSF_SF_EESJ_SZ_SK_SL_SM_EUlSZ_E1_NS1_11comp_targetILNS1_3genE10ELNS1_11target_archE1201ELNS1_3gpuE5ELNS1_3repE0EEENS1_36merge_oddeven_config_static_selectorELNS0_4arch9wavefront6targetE1EEEvSL_ ; -- Begin function _ZN7rocprim17ROCPRIM_400000_NS6detail17trampoline_kernelINS0_14default_configENS1_38merge_sort_block_merge_config_selectorIjNS0_10empty_typeEEEZZNS1_27merge_sort_block_merge_implIS3_N6thrust23THRUST_200600_302600_NS6detail15normal_iteratorINS9_10device_ptrIjEEEEPS5_jNS1_19radix_merge_compareILb0ELb1EjNS0_19identity_decomposerEEEEE10hipError_tT0_T1_T2_jT3_P12ihipStream_tbPNSt15iterator_traitsISK_E10value_typeEPNSQ_ISL_E10value_typeEPSM_NS1_7vsmem_tEENKUlT_SK_SL_SM_E_clISE_PjSF_SF_EESJ_SZ_SK_SL_SM_EUlSZ_E1_NS1_11comp_targetILNS1_3genE10ELNS1_11target_archE1201ELNS1_3gpuE5ELNS1_3repE0EEENS1_36merge_oddeven_config_static_selectorELNS0_4arch9wavefront6targetE1EEEvSL_
	.globl	_ZN7rocprim17ROCPRIM_400000_NS6detail17trampoline_kernelINS0_14default_configENS1_38merge_sort_block_merge_config_selectorIjNS0_10empty_typeEEEZZNS1_27merge_sort_block_merge_implIS3_N6thrust23THRUST_200600_302600_NS6detail15normal_iteratorINS9_10device_ptrIjEEEEPS5_jNS1_19radix_merge_compareILb0ELb1EjNS0_19identity_decomposerEEEEE10hipError_tT0_T1_T2_jT3_P12ihipStream_tbPNSt15iterator_traitsISK_E10value_typeEPNSQ_ISL_E10value_typeEPSM_NS1_7vsmem_tEENKUlT_SK_SL_SM_E_clISE_PjSF_SF_EESJ_SZ_SK_SL_SM_EUlSZ_E1_NS1_11comp_targetILNS1_3genE10ELNS1_11target_archE1201ELNS1_3gpuE5ELNS1_3repE0EEENS1_36merge_oddeven_config_static_selectorELNS0_4arch9wavefront6targetE1EEEvSL_
	.p2align	8
	.type	_ZN7rocprim17ROCPRIM_400000_NS6detail17trampoline_kernelINS0_14default_configENS1_38merge_sort_block_merge_config_selectorIjNS0_10empty_typeEEEZZNS1_27merge_sort_block_merge_implIS3_N6thrust23THRUST_200600_302600_NS6detail15normal_iteratorINS9_10device_ptrIjEEEEPS5_jNS1_19radix_merge_compareILb0ELb1EjNS0_19identity_decomposerEEEEE10hipError_tT0_T1_T2_jT3_P12ihipStream_tbPNSt15iterator_traitsISK_E10value_typeEPNSQ_ISL_E10value_typeEPSM_NS1_7vsmem_tEENKUlT_SK_SL_SM_E_clISE_PjSF_SF_EESJ_SZ_SK_SL_SM_EUlSZ_E1_NS1_11comp_targetILNS1_3genE10ELNS1_11target_archE1201ELNS1_3gpuE5ELNS1_3repE0EEENS1_36merge_oddeven_config_static_selectorELNS0_4arch9wavefront6targetE1EEEvSL_,@function
_ZN7rocprim17ROCPRIM_400000_NS6detail17trampoline_kernelINS0_14default_configENS1_38merge_sort_block_merge_config_selectorIjNS0_10empty_typeEEEZZNS1_27merge_sort_block_merge_implIS3_N6thrust23THRUST_200600_302600_NS6detail15normal_iteratorINS9_10device_ptrIjEEEEPS5_jNS1_19radix_merge_compareILb0ELb1EjNS0_19identity_decomposerEEEEE10hipError_tT0_T1_T2_jT3_P12ihipStream_tbPNSt15iterator_traitsISK_E10value_typeEPNSQ_ISL_E10value_typeEPSM_NS1_7vsmem_tEENKUlT_SK_SL_SM_E_clISE_PjSF_SF_EESJ_SZ_SK_SL_SM_EUlSZ_E1_NS1_11comp_targetILNS1_3genE10ELNS1_11target_archE1201ELNS1_3gpuE5ELNS1_3repE0EEENS1_36merge_oddeven_config_static_selectorELNS0_4arch9wavefront6targetE1EEEvSL_: ; @_ZN7rocprim17ROCPRIM_400000_NS6detail17trampoline_kernelINS0_14default_configENS1_38merge_sort_block_merge_config_selectorIjNS0_10empty_typeEEEZZNS1_27merge_sort_block_merge_implIS3_N6thrust23THRUST_200600_302600_NS6detail15normal_iteratorINS9_10device_ptrIjEEEEPS5_jNS1_19radix_merge_compareILb0ELb1EjNS0_19identity_decomposerEEEEE10hipError_tT0_T1_T2_jT3_P12ihipStream_tbPNSt15iterator_traitsISK_E10value_typeEPNSQ_ISL_E10value_typeEPSM_NS1_7vsmem_tEENKUlT_SK_SL_SM_E_clISE_PjSF_SF_EESJ_SZ_SK_SL_SM_EUlSZ_E1_NS1_11comp_targetILNS1_3genE10ELNS1_11target_archE1201ELNS1_3gpuE5ELNS1_3repE0EEENS1_36merge_oddeven_config_static_selectorELNS0_4arch9wavefront6targetE1EEEvSL_
; %bb.0:
	.section	.rodata,"a",@progbits
	.p2align	6, 0x0
	.amdhsa_kernel _ZN7rocprim17ROCPRIM_400000_NS6detail17trampoline_kernelINS0_14default_configENS1_38merge_sort_block_merge_config_selectorIjNS0_10empty_typeEEEZZNS1_27merge_sort_block_merge_implIS3_N6thrust23THRUST_200600_302600_NS6detail15normal_iteratorINS9_10device_ptrIjEEEEPS5_jNS1_19radix_merge_compareILb0ELb1EjNS0_19identity_decomposerEEEEE10hipError_tT0_T1_T2_jT3_P12ihipStream_tbPNSt15iterator_traitsISK_E10value_typeEPNSQ_ISL_E10value_typeEPSM_NS1_7vsmem_tEENKUlT_SK_SL_SM_E_clISE_PjSF_SF_EESJ_SZ_SK_SL_SM_EUlSZ_E1_NS1_11comp_targetILNS1_3genE10ELNS1_11target_archE1201ELNS1_3gpuE5ELNS1_3repE0EEENS1_36merge_oddeven_config_static_selectorELNS0_4arch9wavefront6targetE1EEEvSL_
		.amdhsa_group_segment_fixed_size 0
		.amdhsa_private_segment_fixed_size 0
		.amdhsa_kernarg_size 48
		.amdhsa_user_sgpr_count 6
		.amdhsa_user_sgpr_private_segment_buffer 1
		.amdhsa_user_sgpr_dispatch_ptr 0
		.amdhsa_user_sgpr_queue_ptr 0
		.amdhsa_user_sgpr_kernarg_segment_ptr 1
		.amdhsa_user_sgpr_dispatch_id 0
		.amdhsa_user_sgpr_flat_scratch_init 0
		.amdhsa_user_sgpr_kernarg_preload_length 0
		.amdhsa_user_sgpr_kernarg_preload_offset 0
		.amdhsa_user_sgpr_private_segment_size 0
		.amdhsa_uses_dynamic_stack 0
		.amdhsa_system_sgpr_private_segment_wavefront_offset 0
		.amdhsa_system_sgpr_workgroup_id_x 1
		.amdhsa_system_sgpr_workgroup_id_y 0
		.amdhsa_system_sgpr_workgroup_id_z 0
		.amdhsa_system_sgpr_workgroup_info 0
		.amdhsa_system_vgpr_workitem_id 0
		.amdhsa_next_free_vgpr 1
		.amdhsa_next_free_sgpr 0
		.amdhsa_accum_offset 4
		.amdhsa_reserve_vcc 0
		.amdhsa_reserve_flat_scratch 0
		.amdhsa_float_round_mode_32 0
		.amdhsa_float_round_mode_16_64 0
		.amdhsa_float_denorm_mode_32 3
		.amdhsa_float_denorm_mode_16_64 3
		.amdhsa_dx10_clamp 1
		.amdhsa_ieee_mode 1
		.amdhsa_fp16_overflow 0
		.amdhsa_tg_split 0
		.amdhsa_exception_fp_ieee_invalid_op 0
		.amdhsa_exception_fp_denorm_src 0
		.amdhsa_exception_fp_ieee_div_zero 0
		.amdhsa_exception_fp_ieee_overflow 0
		.amdhsa_exception_fp_ieee_underflow 0
		.amdhsa_exception_fp_ieee_inexact 0
		.amdhsa_exception_int_div_zero 0
	.end_amdhsa_kernel
	.section	.text._ZN7rocprim17ROCPRIM_400000_NS6detail17trampoline_kernelINS0_14default_configENS1_38merge_sort_block_merge_config_selectorIjNS0_10empty_typeEEEZZNS1_27merge_sort_block_merge_implIS3_N6thrust23THRUST_200600_302600_NS6detail15normal_iteratorINS9_10device_ptrIjEEEEPS5_jNS1_19radix_merge_compareILb0ELb1EjNS0_19identity_decomposerEEEEE10hipError_tT0_T1_T2_jT3_P12ihipStream_tbPNSt15iterator_traitsISK_E10value_typeEPNSQ_ISL_E10value_typeEPSM_NS1_7vsmem_tEENKUlT_SK_SL_SM_E_clISE_PjSF_SF_EESJ_SZ_SK_SL_SM_EUlSZ_E1_NS1_11comp_targetILNS1_3genE10ELNS1_11target_archE1201ELNS1_3gpuE5ELNS1_3repE0EEENS1_36merge_oddeven_config_static_selectorELNS0_4arch9wavefront6targetE1EEEvSL_,"axG",@progbits,_ZN7rocprim17ROCPRIM_400000_NS6detail17trampoline_kernelINS0_14default_configENS1_38merge_sort_block_merge_config_selectorIjNS0_10empty_typeEEEZZNS1_27merge_sort_block_merge_implIS3_N6thrust23THRUST_200600_302600_NS6detail15normal_iteratorINS9_10device_ptrIjEEEEPS5_jNS1_19radix_merge_compareILb0ELb1EjNS0_19identity_decomposerEEEEE10hipError_tT0_T1_T2_jT3_P12ihipStream_tbPNSt15iterator_traitsISK_E10value_typeEPNSQ_ISL_E10value_typeEPSM_NS1_7vsmem_tEENKUlT_SK_SL_SM_E_clISE_PjSF_SF_EESJ_SZ_SK_SL_SM_EUlSZ_E1_NS1_11comp_targetILNS1_3genE10ELNS1_11target_archE1201ELNS1_3gpuE5ELNS1_3repE0EEENS1_36merge_oddeven_config_static_selectorELNS0_4arch9wavefront6targetE1EEEvSL_,comdat
.Lfunc_end1067:
	.size	_ZN7rocprim17ROCPRIM_400000_NS6detail17trampoline_kernelINS0_14default_configENS1_38merge_sort_block_merge_config_selectorIjNS0_10empty_typeEEEZZNS1_27merge_sort_block_merge_implIS3_N6thrust23THRUST_200600_302600_NS6detail15normal_iteratorINS9_10device_ptrIjEEEEPS5_jNS1_19radix_merge_compareILb0ELb1EjNS0_19identity_decomposerEEEEE10hipError_tT0_T1_T2_jT3_P12ihipStream_tbPNSt15iterator_traitsISK_E10value_typeEPNSQ_ISL_E10value_typeEPSM_NS1_7vsmem_tEENKUlT_SK_SL_SM_E_clISE_PjSF_SF_EESJ_SZ_SK_SL_SM_EUlSZ_E1_NS1_11comp_targetILNS1_3genE10ELNS1_11target_archE1201ELNS1_3gpuE5ELNS1_3repE0EEENS1_36merge_oddeven_config_static_selectorELNS0_4arch9wavefront6targetE1EEEvSL_, .Lfunc_end1067-_ZN7rocprim17ROCPRIM_400000_NS6detail17trampoline_kernelINS0_14default_configENS1_38merge_sort_block_merge_config_selectorIjNS0_10empty_typeEEEZZNS1_27merge_sort_block_merge_implIS3_N6thrust23THRUST_200600_302600_NS6detail15normal_iteratorINS9_10device_ptrIjEEEEPS5_jNS1_19radix_merge_compareILb0ELb1EjNS0_19identity_decomposerEEEEE10hipError_tT0_T1_T2_jT3_P12ihipStream_tbPNSt15iterator_traitsISK_E10value_typeEPNSQ_ISL_E10value_typeEPSM_NS1_7vsmem_tEENKUlT_SK_SL_SM_E_clISE_PjSF_SF_EESJ_SZ_SK_SL_SM_EUlSZ_E1_NS1_11comp_targetILNS1_3genE10ELNS1_11target_archE1201ELNS1_3gpuE5ELNS1_3repE0EEENS1_36merge_oddeven_config_static_selectorELNS0_4arch9wavefront6targetE1EEEvSL_
                                        ; -- End function
	.section	.AMDGPU.csdata,"",@progbits
; Kernel info:
; codeLenInByte = 0
; NumSgprs: 4
; NumVgprs: 0
; NumAgprs: 0
; TotalNumVgprs: 0
; ScratchSize: 0
; MemoryBound: 0
; FloatMode: 240
; IeeeMode: 1
; LDSByteSize: 0 bytes/workgroup (compile time only)
; SGPRBlocks: 0
; VGPRBlocks: 0
; NumSGPRsForWavesPerEU: 4
; NumVGPRsForWavesPerEU: 1
; AccumOffset: 4
; Occupancy: 8
; WaveLimiterHint : 0
; COMPUTE_PGM_RSRC2:SCRATCH_EN: 0
; COMPUTE_PGM_RSRC2:USER_SGPR: 6
; COMPUTE_PGM_RSRC2:TRAP_HANDLER: 0
; COMPUTE_PGM_RSRC2:TGID_X_EN: 1
; COMPUTE_PGM_RSRC2:TGID_Y_EN: 0
; COMPUTE_PGM_RSRC2:TGID_Z_EN: 0
; COMPUTE_PGM_RSRC2:TIDIG_COMP_CNT: 0
; COMPUTE_PGM_RSRC3_GFX90A:ACCUM_OFFSET: 0
; COMPUTE_PGM_RSRC3_GFX90A:TG_SPLIT: 0
	.section	.text._ZN7rocprim17ROCPRIM_400000_NS6detail17trampoline_kernelINS0_14default_configENS1_38merge_sort_block_merge_config_selectorIjNS0_10empty_typeEEEZZNS1_27merge_sort_block_merge_implIS3_N6thrust23THRUST_200600_302600_NS6detail15normal_iteratorINS9_10device_ptrIjEEEEPS5_jNS1_19radix_merge_compareILb0ELb1EjNS0_19identity_decomposerEEEEE10hipError_tT0_T1_T2_jT3_P12ihipStream_tbPNSt15iterator_traitsISK_E10value_typeEPNSQ_ISL_E10value_typeEPSM_NS1_7vsmem_tEENKUlT_SK_SL_SM_E_clISE_PjSF_SF_EESJ_SZ_SK_SL_SM_EUlSZ_E1_NS1_11comp_targetILNS1_3genE5ELNS1_11target_archE942ELNS1_3gpuE9ELNS1_3repE0EEENS1_36merge_oddeven_config_static_selectorELNS0_4arch9wavefront6targetE1EEEvSL_,"axG",@progbits,_ZN7rocprim17ROCPRIM_400000_NS6detail17trampoline_kernelINS0_14default_configENS1_38merge_sort_block_merge_config_selectorIjNS0_10empty_typeEEEZZNS1_27merge_sort_block_merge_implIS3_N6thrust23THRUST_200600_302600_NS6detail15normal_iteratorINS9_10device_ptrIjEEEEPS5_jNS1_19radix_merge_compareILb0ELb1EjNS0_19identity_decomposerEEEEE10hipError_tT0_T1_T2_jT3_P12ihipStream_tbPNSt15iterator_traitsISK_E10value_typeEPNSQ_ISL_E10value_typeEPSM_NS1_7vsmem_tEENKUlT_SK_SL_SM_E_clISE_PjSF_SF_EESJ_SZ_SK_SL_SM_EUlSZ_E1_NS1_11comp_targetILNS1_3genE5ELNS1_11target_archE942ELNS1_3gpuE9ELNS1_3repE0EEENS1_36merge_oddeven_config_static_selectorELNS0_4arch9wavefront6targetE1EEEvSL_,comdat
	.protected	_ZN7rocprim17ROCPRIM_400000_NS6detail17trampoline_kernelINS0_14default_configENS1_38merge_sort_block_merge_config_selectorIjNS0_10empty_typeEEEZZNS1_27merge_sort_block_merge_implIS3_N6thrust23THRUST_200600_302600_NS6detail15normal_iteratorINS9_10device_ptrIjEEEEPS5_jNS1_19radix_merge_compareILb0ELb1EjNS0_19identity_decomposerEEEEE10hipError_tT0_T1_T2_jT3_P12ihipStream_tbPNSt15iterator_traitsISK_E10value_typeEPNSQ_ISL_E10value_typeEPSM_NS1_7vsmem_tEENKUlT_SK_SL_SM_E_clISE_PjSF_SF_EESJ_SZ_SK_SL_SM_EUlSZ_E1_NS1_11comp_targetILNS1_3genE5ELNS1_11target_archE942ELNS1_3gpuE9ELNS1_3repE0EEENS1_36merge_oddeven_config_static_selectorELNS0_4arch9wavefront6targetE1EEEvSL_ ; -- Begin function _ZN7rocprim17ROCPRIM_400000_NS6detail17trampoline_kernelINS0_14default_configENS1_38merge_sort_block_merge_config_selectorIjNS0_10empty_typeEEEZZNS1_27merge_sort_block_merge_implIS3_N6thrust23THRUST_200600_302600_NS6detail15normal_iteratorINS9_10device_ptrIjEEEEPS5_jNS1_19radix_merge_compareILb0ELb1EjNS0_19identity_decomposerEEEEE10hipError_tT0_T1_T2_jT3_P12ihipStream_tbPNSt15iterator_traitsISK_E10value_typeEPNSQ_ISL_E10value_typeEPSM_NS1_7vsmem_tEENKUlT_SK_SL_SM_E_clISE_PjSF_SF_EESJ_SZ_SK_SL_SM_EUlSZ_E1_NS1_11comp_targetILNS1_3genE5ELNS1_11target_archE942ELNS1_3gpuE9ELNS1_3repE0EEENS1_36merge_oddeven_config_static_selectorELNS0_4arch9wavefront6targetE1EEEvSL_
	.globl	_ZN7rocprim17ROCPRIM_400000_NS6detail17trampoline_kernelINS0_14default_configENS1_38merge_sort_block_merge_config_selectorIjNS0_10empty_typeEEEZZNS1_27merge_sort_block_merge_implIS3_N6thrust23THRUST_200600_302600_NS6detail15normal_iteratorINS9_10device_ptrIjEEEEPS5_jNS1_19radix_merge_compareILb0ELb1EjNS0_19identity_decomposerEEEEE10hipError_tT0_T1_T2_jT3_P12ihipStream_tbPNSt15iterator_traitsISK_E10value_typeEPNSQ_ISL_E10value_typeEPSM_NS1_7vsmem_tEENKUlT_SK_SL_SM_E_clISE_PjSF_SF_EESJ_SZ_SK_SL_SM_EUlSZ_E1_NS1_11comp_targetILNS1_3genE5ELNS1_11target_archE942ELNS1_3gpuE9ELNS1_3repE0EEENS1_36merge_oddeven_config_static_selectorELNS0_4arch9wavefront6targetE1EEEvSL_
	.p2align	8
	.type	_ZN7rocprim17ROCPRIM_400000_NS6detail17trampoline_kernelINS0_14default_configENS1_38merge_sort_block_merge_config_selectorIjNS0_10empty_typeEEEZZNS1_27merge_sort_block_merge_implIS3_N6thrust23THRUST_200600_302600_NS6detail15normal_iteratorINS9_10device_ptrIjEEEEPS5_jNS1_19radix_merge_compareILb0ELb1EjNS0_19identity_decomposerEEEEE10hipError_tT0_T1_T2_jT3_P12ihipStream_tbPNSt15iterator_traitsISK_E10value_typeEPNSQ_ISL_E10value_typeEPSM_NS1_7vsmem_tEENKUlT_SK_SL_SM_E_clISE_PjSF_SF_EESJ_SZ_SK_SL_SM_EUlSZ_E1_NS1_11comp_targetILNS1_3genE5ELNS1_11target_archE942ELNS1_3gpuE9ELNS1_3repE0EEENS1_36merge_oddeven_config_static_selectorELNS0_4arch9wavefront6targetE1EEEvSL_,@function
_ZN7rocprim17ROCPRIM_400000_NS6detail17trampoline_kernelINS0_14default_configENS1_38merge_sort_block_merge_config_selectorIjNS0_10empty_typeEEEZZNS1_27merge_sort_block_merge_implIS3_N6thrust23THRUST_200600_302600_NS6detail15normal_iteratorINS9_10device_ptrIjEEEEPS5_jNS1_19radix_merge_compareILb0ELb1EjNS0_19identity_decomposerEEEEE10hipError_tT0_T1_T2_jT3_P12ihipStream_tbPNSt15iterator_traitsISK_E10value_typeEPNSQ_ISL_E10value_typeEPSM_NS1_7vsmem_tEENKUlT_SK_SL_SM_E_clISE_PjSF_SF_EESJ_SZ_SK_SL_SM_EUlSZ_E1_NS1_11comp_targetILNS1_3genE5ELNS1_11target_archE942ELNS1_3gpuE9ELNS1_3repE0EEENS1_36merge_oddeven_config_static_selectorELNS0_4arch9wavefront6targetE1EEEvSL_: ; @_ZN7rocprim17ROCPRIM_400000_NS6detail17trampoline_kernelINS0_14default_configENS1_38merge_sort_block_merge_config_selectorIjNS0_10empty_typeEEEZZNS1_27merge_sort_block_merge_implIS3_N6thrust23THRUST_200600_302600_NS6detail15normal_iteratorINS9_10device_ptrIjEEEEPS5_jNS1_19radix_merge_compareILb0ELb1EjNS0_19identity_decomposerEEEEE10hipError_tT0_T1_T2_jT3_P12ihipStream_tbPNSt15iterator_traitsISK_E10value_typeEPNSQ_ISL_E10value_typeEPSM_NS1_7vsmem_tEENKUlT_SK_SL_SM_E_clISE_PjSF_SF_EESJ_SZ_SK_SL_SM_EUlSZ_E1_NS1_11comp_targetILNS1_3genE5ELNS1_11target_archE942ELNS1_3gpuE9ELNS1_3repE0EEENS1_36merge_oddeven_config_static_selectorELNS0_4arch9wavefront6targetE1EEEvSL_
; %bb.0:
	.section	.rodata,"a",@progbits
	.p2align	6, 0x0
	.amdhsa_kernel _ZN7rocprim17ROCPRIM_400000_NS6detail17trampoline_kernelINS0_14default_configENS1_38merge_sort_block_merge_config_selectorIjNS0_10empty_typeEEEZZNS1_27merge_sort_block_merge_implIS3_N6thrust23THRUST_200600_302600_NS6detail15normal_iteratorINS9_10device_ptrIjEEEEPS5_jNS1_19radix_merge_compareILb0ELb1EjNS0_19identity_decomposerEEEEE10hipError_tT0_T1_T2_jT3_P12ihipStream_tbPNSt15iterator_traitsISK_E10value_typeEPNSQ_ISL_E10value_typeEPSM_NS1_7vsmem_tEENKUlT_SK_SL_SM_E_clISE_PjSF_SF_EESJ_SZ_SK_SL_SM_EUlSZ_E1_NS1_11comp_targetILNS1_3genE5ELNS1_11target_archE942ELNS1_3gpuE9ELNS1_3repE0EEENS1_36merge_oddeven_config_static_selectorELNS0_4arch9wavefront6targetE1EEEvSL_
		.amdhsa_group_segment_fixed_size 0
		.amdhsa_private_segment_fixed_size 0
		.amdhsa_kernarg_size 48
		.amdhsa_user_sgpr_count 6
		.amdhsa_user_sgpr_private_segment_buffer 1
		.amdhsa_user_sgpr_dispatch_ptr 0
		.amdhsa_user_sgpr_queue_ptr 0
		.amdhsa_user_sgpr_kernarg_segment_ptr 1
		.amdhsa_user_sgpr_dispatch_id 0
		.amdhsa_user_sgpr_flat_scratch_init 0
		.amdhsa_user_sgpr_kernarg_preload_length 0
		.amdhsa_user_sgpr_kernarg_preload_offset 0
		.amdhsa_user_sgpr_private_segment_size 0
		.amdhsa_uses_dynamic_stack 0
		.amdhsa_system_sgpr_private_segment_wavefront_offset 0
		.amdhsa_system_sgpr_workgroup_id_x 1
		.amdhsa_system_sgpr_workgroup_id_y 0
		.amdhsa_system_sgpr_workgroup_id_z 0
		.amdhsa_system_sgpr_workgroup_info 0
		.amdhsa_system_vgpr_workitem_id 0
		.amdhsa_next_free_vgpr 1
		.amdhsa_next_free_sgpr 0
		.amdhsa_accum_offset 4
		.amdhsa_reserve_vcc 0
		.amdhsa_reserve_flat_scratch 0
		.amdhsa_float_round_mode_32 0
		.amdhsa_float_round_mode_16_64 0
		.amdhsa_float_denorm_mode_32 3
		.amdhsa_float_denorm_mode_16_64 3
		.amdhsa_dx10_clamp 1
		.amdhsa_ieee_mode 1
		.amdhsa_fp16_overflow 0
		.amdhsa_tg_split 0
		.amdhsa_exception_fp_ieee_invalid_op 0
		.amdhsa_exception_fp_denorm_src 0
		.amdhsa_exception_fp_ieee_div_zero 0
		.amdhsa_exception_fp_ieee_overflow 0
		.amdhsa_exception_fp_ieee_underflow 0
		.amdhsa_exception_fp_ieee_inexact 0
		.amdhsa_exception_int_div_zero 0
	.end_amdhsa_kernel
	.section	.text._ZN7rocprim17ROCPRIM_400000_NS6detail17trampoline_kernelINS0_14default_configENS1_38merge_sort_block_merge_config_selectorIjNS0_10empty_typeEEEZZNS1_27merge_sort_block_merge_implIS3_N6thrust23THRUST_200600_302600_NS6detail15normal_iteratorINS9_10device_ptrIjEEEEPS5_jNS1_19radix_merge_compareILb0ELb1EjNS0_19identity_decomposerEEEEE10hipError_tT0_T1_T2_jT3_P12ihipStream_tbPNSt15iterator_traitsISK_E10value_typeEPNSQ_ISL_E10value_typeEPSM_NS1_7vsmem_tEENKUlT_SK_SL_SM_E_clISE_PjSF_SF_EESJ_SZ_SK_SL_SM_EUlSZ_E1_NS1_11comp_targetILNS1_3genE5ELNS1_11target_archE942ELNS1_3gpuE9ELNS1_3repE0EEENS1_36merge_oddeven_config_static_selectorELNS0_4arch9wavefront6targetE1EEEvSL_,"axG",@progbits,_ZN7rocprim17ROCPRIM_400000_NS6detail17trampoline_kernelINS0_14default_configENS1_38merge_sort_block_merge_config_selectorIjNS0_10empty_typeEEEZZNS1_27merge_sort_block_merge_implIS3_N6thrust23THRUST_200600_302600_NS6detail15normal_iteratorINS9_10device_ptrIjEEEEPS5_jNS1_19radix_merge_compareILb0ELb1EjNS0_19identity_decomposerEEEEE10hipError_tT0_T1_T2_jT3_P12ihipStream_tbPNSt15iterator_traitsISK_E10value_typeEPNSQ_ISL_E10value_typeEPSM_NS1_7vsmem_tEENKUlT_SK_SL_SM_E_clISE_PjSF_SF_EESJ_SZ_SK_SL_SM_EUlSZ_E1_NS1_11comp_targetILNS1_3genE5ELNS1_11target_archE942ELNS1_3gpuE9ELNS1_3repE0EEENS1_36merge_oddeven_config_static_selectorELNS0_4arch9wavefront6targetE1EEEvSL_,comdat
.Lfunc_end1068:
	.size	_ZN7rocprim17ROCPRIM_400000_NS6detail17trampoline_kernelINS0_14default_configENS1_38merge_sort_block_merge_config_selectorIjNS0_10empty_typeEEEZZNS1_27merge_sort_block_merge_implIS3_N6thrust23THRUST_200600_302600_NS6detail15normal_iteratorINS9_10device_ptrIjEEEEPS5_jNS1_19radix_merge_compareILb0ELb1EjNS0_19identity_decomposerEEEEE10hipError_tT0_T1_T2_jT3_P12ihipStream_tbPNSt15iterator_traitsISK_E10value_typeEPNSQ_ISL_E10value_typeEPSM_NS1_7vsmem_tEENKUlT_SK_SL_SM_E_clISE_PjSF_SF_EESJ_SZ_SK_SL_SM_EUlSZ_E1_NS1_11comp_targetILNS1_3genE5ELNS1_11target_archE942ELNS1_3gpuE9ELNS1_3repE0EEENS1_36merge_oddeven_config_static_selectorELNS0_4arch9wavefront6targetE1EEEvSL_, .Lfunc_end1068-_ZN7rocprim17ROCPRIM_400000_NS6detail17trampoline_kernelINS0_14default_configENS1_38merge_sort_block_merge_config_selectorIjNS0_10empty_typeEEEZZNS1_27merge_sort_block_merge_implIS3_N6thrust23THRUST_200600_302600_NS6detail15normal_iteratorINS9_10device_ptrIjEEEEPS5_jNS1_19radix_merge_compareILb0ELb1EjNS0_19identity_decomposerEEEEE10hipError_tT0_T1_T2_jT3_P12ihipStream_tbPNSt15iterator_traitsISK_E10value_typeEPNSQ_ISL_E10value_typeEPSM_NS1_7vsmem_tEENKUlT_SK_SL_SM_E_clISE_PjSF_SF_EESJ_SZ_SK_SL_SM_EUlSZ_E1_NS1_11comp_targetILNS1_3genE5ELNS1_11target_archE942ELNS1_3gpuE9ELNS1_3repE0EEENS1_36merge_oddeven_config_static_selectorELNS0_4arch9wavefront6targetE1EEEvSL_
                                        ; -- End function
	.section	.AMDGPU.csdata,"",@progbits
; Kernel info:
; codeLenInByte = 0
; NumSgprs: 4
; NumVgprs: 0
; NumAgprs: 0
; TotalNumVgprs: 0
; ScratchSize: 0
; MemoryBound: 0
; FloatMode: 240
; IeeeMode: 1
; LDSByteSize: 0 bytes/workgroup (compile time only)
; SGPRBlocks: 0
; VGPRBlocks: 0
; NumSGPRsForWavesPerEU: 4
; NumVGPRsForWavesPerEU: 1
; AccumOffset: 4
; Occupancy: 8
; WaveLimiterHint : 0
; COMPUTE_PGM_RSRC2:SCRATCH_EN: 0
; COMPUTE_PGM_RSRC2:USER_SGPR: 6
; COMPUTE_PGM_RSRC2:TRAP_HANDLER: 0
; COMPUTE_PGM_RSRC2:TGID_X_EN: 1
; COMPUTE_PGM_RSRC2:TGID_Y_EN: 0
; COMPUTE_PGM_RSRC2:TGID_Z_EN: 0
; COMPUTE_PGM_RSRC2:TIDIG_COMP_CNT: 0
; COMPUTE_PGM_RSRC3_GFX90A:ACCUM_OFFSET: 0
; COMPUTE_PGM_RSRC3_GFX90A:TG_SPLIT: 0
	.section	.text._ZN7rocprim17ROCPRIM_400000_NS6detail17trampoline_kernelINS0_14default_configENS1_38merge_sort_block_merge_config_selectorIjNS0_10empty_typeEEEZZNS1_27merge_sort_block_merge_implIS3_N6thrust23THRUST_200600_302600_NS6detail15normal_iteratorINS9_10device_ptrIjEEEEPS5_jNS1_19radix_merge_compareILb0ELb1EjNS0_19identity_decomposerEEEEE10hipError_tT0_T1_T2_jT3_P12ihipStream_tbPNSt15iterator_traitsISK_E10value_typeEPNSQ_ISL_E10value_typeEPSM_NS1_7vsmem_tEENKUlT_SK_SL_SM_E_clISE_PjSF_SF_EESJ_SZ_SK_SL_SM_EUlSZ_E1_NS1_11comp_targetILNS1_3genE4ELNS1_11target_archE910ELNS1_3gpuE8ELNS1_3repE0EEENS1_36merge_oddeven_config_static_selectorELNS0_4arch9wavefront6targetE1EEEvSL_,"axG",@progbits,_ZN7rocprim17ROCPRIM_400000_NS6detail17trampoline_kernelINS0_14default_configENS1_38merge_sort_block_merge_config_selectorIjNS0_10empty_typeEEEZZNS1_27merge_sort_block_merge_implIS3_N6thrust23THRUST_200600_302600_NS6detail15normal_iteratorINS9_10device_ptrIjEEEEPS5_jNS1_19radix_merge_compareILb0ELb1EjNS0_19identity_decomposerEEEEE10hipError_tT0_T1_T2_jT3_P12ihipStream_tbPNSt15iterator_traitsISK_E10value_typeEPNSQ_ISL_E10value_typeEPSM_NS1_7vsmem_tEENKUlT_SK_SL_SM_E_clISE_PjSF_SF_EESJ_SZ_SK_SL_SM_EUlSZ_E1_NS1_11comp_targetILNS1_3genE4ELNS1_11target_archE910ELNS1_3gpuE8ELNS1_3repE0EEENS1_36merge_oddeven_config_static_selectorELNS0_4arch9wavefront6targetE1EEEvSL_,comdat
	.protected	_ZN7rocprim17ROCPRIM_400000_NS6detail17trampoline_kernelINS0_14default_configENS1_38merge_sort_block_merge_config_selectorIjNS0_10empty_typeEEEZZNS1_27merge_sort_block_merge_implIS3_N6thrust23THRUST_200600_302600_NS6detail15normal_iteratorINS9_10device_ptrIjEEEEPS5_jNS1_19radix_merge_compareILb0ELb1EjNS0_19identity_decomposerEEEEE10hipError_tT0_T1_T2_jT3_P12ihipStream_tbPNSt15iterator_traitsISK_E10value_typeEPNSQ_ISL_E10value_typeEPSM_NS1_7vsmem_tEENKUlT_SK_SL_SM_E_clISE_PjSF_SF_EESJ_SZ_SK_SL_SM_EUlSZ_E1_NS1_11comp_targetILNS1_3genE4ELNS1_11target_archE910ELNS1_3gpuE8ELNS1_3repE0EEENS1_36merge_oddeven_config_static_selectorELNS0_4arch9wavefront6targetE1EEEvSL_ ; -- Begin function _ZN7rocprim17ROCPRIM_400000_NS6detail17trampoline_kernelINS0_14default_configENS1_38merge_sort_block_merge_config_selectorIjNS0_10empty_typeEEEZZNS1_27merge_sort_block_merge_implIS3_N6thrust23THRUST_200600_302600_NS6detail15normal_iteratorINS9_10device_ptrIjEEEEPS5_jNS1_19radix_merge_compareILb0ELb1EjNS0_19identity_decomposerEEEEE10hipError_tT0_T1_T2_jT3_P12ihipStream_tbPNSt15iterator_traitsISK_E10value_typeEPNSQ_ISL_E10value_typeEPSM_NS1_7vsmem_tEENKUlT_SK_SL_SM_E_clISE_PjSF_SF_EESJ_SZ_SK_SL_SM_EUlSZ_E1_NS1_11comp_targetILNS1_3genE4ELNS1_11target_archE910ELNS1_3gpuE8ELNS1_3repE0EEENS1_36merge_oddeven_config_static_selectorELNS0_4arch9wavefront6targetE1EEEvSL_
	.globl	_ZN7rocprim17ROCPRIM_400000_NS6detail17trampoline_kernelINS0_14default_configENS1_38merge_sort_block_merge_config_selectorIjNS0_10empty_typeEEEZZNS1_27merge_sort_block_merge_implIS3_N6thrust23THRUST_200600_302600_NS6detail15normal_iteratorINS9_10device_ptrIjEEEEPS5_jNS1_19radix_merge_compareILb0ELb1EjNS0_19identity_decomposerEEEEE10hipError_tT0_T1_T2_jT3_P12ihipStream_tbPNSt15iterator_traitsISK_E10value_typeEPNSQ_ISL_E10value_typeEPSM_NS1_7vsmem_tEENKUlT_SK_SL_SM_E_clISE_PjSF_SF_EESJ_SZ_SK_SL_SM_EUlSZ_E1_NS1_11comp_targetILNS1_3genE4ELNS1_11target_archE910ELNS1_3gpuE8ELNS1_3repE0EEENS1_36merge_oddeven_config_static_selectorELNS0_4arch9wavefront6targetE1EEEvSL_
	.p2align	8
	.type	_ZN7rocprim17ROCPRIM_400000_NS6detail17trampoline_kernelINS0_14default_configENS1_38merge_sort_block_merge_config_selectorIjNS0_10empty_typeEEEZZNS1_27merge_sort_block_merge_implIS3_N6thrust23THRUST_200600_302600_NS6detail15normal_iteratorINS9_10device_ptrIjEEEEPS5_jNS1_19radix_merge_compareILb0ELb1EjNS0_19identity_decomposerEEEEE10hipError_tT0_T1_T2_jT3_P12ihipStream_tbPNSt15iterator_traitsISK_E10value_typeEPNSQ_ISL_E10value_typeEPSM_NS1_7vsmem_tEENKUlT_SK_SL_SM_E_clISE_PjSF_SF_EESJ_SZ_SK_SL_SM_EUlSZ_E1_NS1_11comp_targetILNS1_3genE4ELNS1_11target_archE910ELNS1_3gpuE8ELNS1_3repE0EEENS1_36merge_oddeven_config_static_selectorELNS0_4arch9wavefront6targetE1EEEvSL_,@function
_ZN7rocprim17ROCPRIM_400000_NS6detail17trampoline_kernelINS0_14default_configENS1_38merge_sort_block_merge_config_selectorIjNS0_10empty_typeEEEZZNS1_27merge_sort_block_merge_implIS3_N6thrust23THRUST_200600_302600_NS6detail15normal_iteratorINS9_10device_ptrIjEEEEPS5_jNS1_19radix_merge_compareILb0ELb1EjNS0_19identity_decomposerEEEEE10hipError_tT0_T1_T2_jT3_P12ihipStream_tbPNSt15iterator_traitsISK_E10value_typeEPNSQ_ISL_E10value_typeEPSM_NS1_7vsmem_tEENKUlT_SK_SL_SM_E_clISE_PjSF_SF_EESJ_SZ_SK_SL_SM_EUlSZ_E1_NS1_11comp_targetILNS1_3genE4ELNS1_11target_archE910ELNS1_3gpuE8ELNS1_3repE0EEENS1_36merge_oddeven_config_static_selectorELNS0_4arch9wavefront6targetE1EEEvSL_: ; @_ZN7rocprim17ROCPRIM_400000_NS6detail17trampoline_kernelINS0_14default_configENS1_38merge_sort_block_merge_config_selectorIjNS0_10empty_typeEEEZZNS1_27merge_sort_block_merge_implIS3_N6thrust23THRUST_200600_302600_NS6detail15normal_iteratorINS9_10device_ptrIjEEEEPS5_jNS1_19radix_merge_compareILb0ELb1EjNS0_19identity_decomposerEEEEE10hipError_tT0_T1_T2_jT3_P12ihipStream_tbPNSt15iterator_traitsISK_E10value_typeEPNSQ_ISL_E10value_typeEPSM_NS1_7vsmem_tEENKUlT_SK_SL_SM_E_clISE_PjSF_SF_EESJ_SZ_SK_SL_SM_EUlSZ_E1_NS1_11comp_targetILNS1_3genE4ELNS1_11target_archE910ELNS1_3gpuE8ELNS1_3repE0EEENS1_36merge_oddeven_config_static_selectorELNS0_4arch9wavefront6targetE1EEEvSL_
; %bb.0:
	s_load_dword s18, s[4:5], 0x20
	s_waitcnt lgkmcnt(0)
	s_lshr_b32 s0, s18, 8
	s_cmp_lg_u32 s6, s0
	s_cselect_b64 s[14:15], -1, 0
	s_cmp_eq_u32 s6, s0
	s_cselect_b64 s[12:13], -1, 0
	s_lshl_b32 s16, s6, 8
	s_sub_i32 s0, s18, s16
	v_cmp_gt_u32_e64 s[2:3], s0, v0
	s_or_b64 s[0:1], s[14:15], s[2:3]
	s_and_saveexec_b64 s[8:9], s[0:1]
	s_cbranch_execz .LBB1069_20
; %bb.1:
	s_load_dwordx4 s[8:11], s[4:5], 0x0
	s_load_dword s19, s[4:5], 0x24
	s_mov_b32 s17, 0
	s_lshl_b64 s[0:1], s[16:17], 2
	v_lshlrev_b32_e32 v1, 2, v0
	s_waitcnt lgkmcnt(0)
	s_add_u32 s0, s8, s0
	s_addc_u32 s1, s9, s1
	global_load_dword v2, v1, s[0:1]
	s_lshr_b32 s0, s19, 8
	s_sub_i32 s1, 0, s0
	s_and_b32 s1, s6, s1
	s_and_b32 s0, s1, s0
	s_lshl_b32 s20, s1, 8
	s_sub_i32 s17, 0, s19
	s_cmp_eq_u32 s0, 0
	s_cselect_b64 s[0:1], -1, 0
	s_and_b64 s[6:7], s[0:1], exec
	s_cselect_b32 s17, s19, s17
	s_add_i32 s17, s17, s20
	s_cmp_lt_u32 s17, s18
	v_add_u32_e32 v0, s16, v0
	s_cbranch_scc1 .LBB1069_3
; %bb.2:
	v_cmp_gt_u32_e32 vcc, s18, v0
	s_or_b64 s[6:7], vcc, s[14:15]
	s_and_b64 s[6:7], s[6:7], exec
	s_cbranch_execz .LBB1069_4
	s_branch .LBB1069_18
.LBB1069_3:
	s_mov_b64 s[6:7], 0
.LBB1069_4:
	s_load_dword s14, s[4:5], 0x28
	s_min_u32 s15, s17, s18
	s_add_i32 s4, s15, s19
	s_min_u32 s16, s4, s18
	s_min_u32 s4, s20, s15
	s_add_i32 s20, s20, s15
	v_subrev_u32_e32 v0, s20, v0
	v_add_u32_e32 v3, s4, v0
	s_and_b64 vcc, exec, s[12:13]
	s_cbranch_vccz .LBB1069_12
; %bb.5:
                                        ; implicit-def: $vgpr0
	s_and_saveexec_b64 s[4:5], s[2:3]
	s_cbranch_execz .LBB1069_11
; %bb.6:
	s_cmp_ge_u32 s17, s16
	v_mov_b32_e32 v4, s15
	s_cbranch_scc1 .LBB1069_10
; %bb.7:
	s_waitcnt vmcnt(0) lgkmcnt(0)
	v_and_b32_e32 v5, s14, v2
	s_mov_b64 s[2:3], 0
	v_mov_b32_e32 v6, s16
	v_mov_b32_e32 v4, s15
	;; [unrolled: 1-line block ×4, first 2 shown]
.LBB1069_8:                             ; =>This Inner Loop Header: Depth=1
	v_add_u32_e32 v0, v4, v6
	v_lshrrev_b32_e32 v0, 1, v0
	v_lshlrev_b64 v[8:9], 2, v[0:1]
	v_add_co_u32_e32 v8, vcc, s8, v8
	v_addc_co_u32_e32 v9, vcc, v7, v9, vcc
	global_load_dword v8, v[8:9], off
	v_add_u32_e32 v9, 1, v0
	s_waitcnt vmcnt(0)
	v_and_b32_e32 v8, s14, v8
	v_cmp_gt_u32_e32 vcc, v5, v8
	v_cndmask_b32_e64 v10, 0, 1, vcc
	v_cmp_le_u32_e32 vcc, v8, v5
	v_cndmask_b32_e64 v8, 0, 1, vcc
	v_cndmask_b32_e64 v8, v8, v10, s[0:1]
	v_and_b32_e32 v8, 1, v8
	v_cmp_eq_u32_e32 vcc, 1, v8
	v_cndmask_b32_e32 v6, v0, v6, vcc
	v_cndmask_b32_e32 v4, v4, v9, vcc
	v_cmp_ge_u32_e32 vcc, v4, v6
	s_or_b64 s[2:3], vcc, s[2:3]
	s_andn2_b64 exec, exec, s[2:3]
	s_cbranch_execnz .LBB1069_8
; %bb.9:
	s_or_b64 exec, exec, s[2:3]
.LBB1069_10:
	v_add_u32_e32 v0, v4, v3
	s_or_b64 s[6:7], s[6:7], exec
.LBB1069_11:
	s_or_b64 exec, exec, s[4:5]
	s_branch .LBB1069_18
.LBB1069_12:
                                        ; implicit-def: $vgpr0
	s_cbranch_execz .LBB1069_18
; %bb.13:
	s_cmp_ge_u32 s17, s16
	v_mov_b32_e32 v4, s15
	s_cbranch_scc1 .LBB1069_17
; %bb.14:
	s_waitcnt vmcnt(0) lgkmcnt(0)
	v_and_b32_e32 v5, s14, v2
	s_mov_b64 s[2:3], 0
	v_mov_b32_e32 v6, s16
	v_mov_b32_e32 v4, s15
	;; [unrolled: 1-line block ×4, first 2 shown]
.LBB1069_15:                            ; =>This Inner Loop Header: Depth=1
	v_add_u32_e32 v0, v4, v6
	v_lshrrev_b32_e32 v0, 1, v0
	v_lshlrev_b64 v[8:9], 2, v[0:1]
	v_add_co_u32_e32 v8, vcc, s8, v8
	v_addc_co_u32_e32 v9, vcc, v7, v9, vcc
	global_load_dword v8, v[8:9], off
	v_add_u32_e32 v9, 1, v0
	s_waitcnt vmcnt(0)
	v_and_b32_e32 v8, s14, v8
	v_cmp_gt_u32_e32 vcc, v5, v8
	v_cndmask_b32_e64 v10, 0, 1, vcc
	v_cmp_le_u32_e32 vcc, v8, v5
	v_cndmask_b32_e64 v8, 0, 1, vcc
	v_cndmask_b32_e64 v8, v8, v10, s[0:1]
	v_and_b32_e32 v8, 1, v8
	v_cmp_eq_u32_e32 vcc, 1, v8
	v_cndmask_b32_e32 v6, v0, v6, vcc
	v_cndmask_b32_e32 v4, v4, v9, vcc
	v_cmp_ge_u32_e32 vcc, v4, v6
	s_or_b64 s[2:3], vcc, s[2:3]
	s_andn2_b64 exec, exec, s[2:3]
	s_cbranch_execnz .LBB1069_15
; %bb.16:
	s_or_b64 exec, exec, s[2:3]
.LBB1069_17:
	v_add_u32_e32 v0, v4, v3
	s_mov_b64 s[6:7], -1
.LBB1069_18:
	s_and_b64 exec, exec, s[6:7]
	s_cbranch_execz .LBB1069_20
; %bb.19:
	v_mov_b32_e32 v1, 0
	v_lshlrev_b64 v[0:1], 2, v[0:1]
	v_mov_b32_e32 v3, s11
	v_add_co_u32_e32 v0, vcc, s10, v0
	v_addc_co_u32_e32 v1, vcc, v3, v1, vcc
	s_waitcnt vmcnt(0)
	global_store_dword v[0:1], v2, off
.LBB1069_20:
	s_endpgm
	.section	.rodata,"a",@progbits
	.p2align	6, 0x0
	.amdhsa_kernel _ZN7rocprim17ROCPRIM_400000_NS6detail17trampoline_kernelINS0_14default_configENS1_38merge_sort_block_merge_config_selectorIjNS0_10empty_typeEEEZZNS1_27merge_sort_block_merge_implIS3_N6thrust23THRUST_200600_302600_NS6detail15normal_iteratorINS9_10device_ptrIjEEEEPS5_jNS1_19radix_merge_compareILb0ELb1EjNS0_19identity_decomposerEEEEE10hipError_tT0_T1_T2_jT3_P12ihipStream_tbPNSt15iterator_traitsISK_E10value_typeEPNSQ_ISL_E10value_typeEPSM_NS1_7vsmem_tEENKUlT_SK_SL_SM_E_clISE_PjSF_SF_EESJ_SZ_SK_SL_SM_EUlSZ_E1_NS1_11comp_targetILNS1_3genE4ELNS1_11target_archE910ELNS1_3gpuE8ELNS1_3repE0EEENS1_36merge_oddeven_config_static_selectorELNS0_4arch9wavefront6targetE1EEEvSL_
		.amdhsa_group_segment_fixed_size 0
		.amdhsa_private_segment_fixed_size 0
		.amdhsa_kernarg_size 48
		.amdhsa_user_sgpr_count 6
		.amdhsa_user_sgpr_private_segment_buffer 1
		.amdhsa_user_sgpr_dispatch_ptr 0
		.amdhsa_user_sgpr_queue_ptr 0
		.amdhsa_user_sgpr_kernarg_segment_ptr 1
		.amdhsa_user_sgpr_dispatch_id 0
		.amdhsa_user_sgpr_flat_scratch_init 0
		.amdhsa_user_sgpr_kernarg_preload_length 0
		.amdhsa_user_sgpr_kernarg_preload_offset 0
		.amdhsa_user_sgpr_private_segment_size 0
		.amdhsa_uses_dynamic_stack 0
		.amdhsa_system_sgpr_private_segment_wavefront_offset 0
		.amdhsa_system_sgpr_workgroup_id_x 1
		.amdhsa_system_sgpr_workgroup_id_y 0
		.amdhsa_system_sgpr_workgroup_id_z 0
		.amdhsa_system_sgpr_workgroup_info 0
		.amdhsa_system_vgpr_workitem_id 0
		.amdhsa_next_free_vgpr 11
		.amdhsa_next_free_sgpr 21
		.amdhsa_accum_offset 12
		.amdhsa_reserve_vcc 1
		.amdhsa_reserve_flat_scratch 0
		.amdhsa_float_round_mode_32 0
		.amdhsa_float_round_mode_16_64 0
		.amdhsa_float_denorm_mode_32 3
		.amdhsa_float_denorm_mode_16_64 3
		.amdhsa_dx10_clamp 1
		.amdhsa_ieee_mode 1
		.amdhsa_fp16_overflow 0
		.amdhsa_tg_split 0
		.amdhsa_exception_fp_ieee_invalid_op 0
		.amdhsa_exception_fp_denorm_src 0
		.amdhsa_exception_fp_ieee_div_zero 0
		.amdhsa_exception_fp_ieee_overflow 0
		.amdhsa_exception_fp_ieee_underflow 0
		.amdhsa_exception_fp_ieee_inexact 0
		.amdhsa_exception_int_div_zero 0
	.end_amdhsa_kernel
	.section	.text._ZN7rocprim17ROCPRIM_400000_NS6detail17trampoline_kernelINS0_14default_configENS1_38merge_sort_block_merge_config_selectorIjNS0_10empty_typeEEEZZNS1_27merge_sort_block_merge_implIS3_N6thrust23THRUST_200600_302600_NS6detail15normal_iteratorINS9_10device_ptrIjEEEEPS5_jNS1_19radix_merge_compareILb0ELb1EjNS0_19identity_decomposerEEEEE10hipError_tT0_T1_T2_jT3_P12ihipStream_tbPNSt15iterator_traitsISK_E10value_typeEPNSQ_ISL_E10value_typeEPSM_NS1_7vsmem_tEENKUlT_SK_SL_SM_E_clISE_PjSF_SF_EESJ_SZ_SK_SL_SM_EUlSZ_E1_NS1_11comp_targetILNS1_3genE4ELNS1_11target_archE910ELNS1_3gpuE8ELNS1_3repE0EEENS1_36merge_oddeven_config_static_selectorELNS0_4arch9wavefront6targetE1EEEvSL_,"axG",@progbits,_ZN7rocprim17ROCPRIM_400000_NS6detail17trampoline_kernelINS0_14default_configENS1_38merge_sort_block_merge_config_selectorIjNS0_10empty_typeEEEZZNS1_27merge_sort_block_merge_implIS3_N6thrust23THRUST_200600_302600_NS6detail15normal_iteratorINS9_10device_ptrIjEEEEPS5_jNS1_19radix_merge_compareILb0ELb1EjNS0_19identity_decomposerEEEEE10hipError_tT0_T1_T2_jT3_P12ihipStream_tbPNSt15iterator_traitsISK_E10value_typeEPNSQ_ISL_E10value_typeEPSM_NS1_7vsmem_tEENKUlT_SK_SL_SM_E_clISE_PjSF_SF_EESJ_SZ_SK_SL_SM_EUlSZ_E1_NS1_11comp_targetILNS1_3genE4ELNS1_11target_archE910ELNS1_3gpuE8ELNS1_3repE0EEENS1_36merge_oddeven_config_static_selectorELNS0_4arch9wavefront6targetE1EEEvSL_,comdat
.Lfunc_end1069:
	.size	_ZN7rocprim17ROCPRIM_400000_NS6detail17trampoline_kernelINS0_14default_configENS1_38merge_sort_block_merge_config_selectorIjNS0_10empty_typeEEEZZNS1_27merge_sort_block_merge_implIS3_N6thrust23THRUST_200600_302600_NS6detail15normal_iteratorINS9_10device_ptrIjEEEEPS5_jNS1_19radix_merge_compareILb0ELb1EjNS0_19identity_decomposerEEEEE10hipError_tT0_T1_T2_jT3_P12ihipStream_tbPNSt15iterator_traitsISK_E10value_typeEPNSQ_ISL_E10value_typeEPSM_NS1_7vsmem_tEENKUlT_SK_SL_SM_E_clISE_PjSF_SF_EESJ_SZ_SK_SL_SM_EUlSZ_E1_NS1_11comp_targetILNS1_3genE4ELNS1_11target_archE910ELNS1_3gpuE8ELNS1_3repE0EEENS1_36merge_oddeven_config_static_selectorELNS0_4arch9wavefront6targetE1EEEvSL_, .Lfunc_end1069-_ZN7rocprim17ROCPRIM_400000_NS6detail17trampoline_kernelINS0_14default_configENS1_38merge_sort_block_merge_config_selectorIjNS0_10empty_typeEEEZZNS1_27merge_sort_block_merge_implIS3_N6thrust23THRUST_200600_302600_NS6detail15normal_iteratorINS9_10device_ptrIjEEEEPS5_jNS1_19radix_merge_compareILb0ELb1EjNS0_19identity_decomposerEEEEE10hipError_tT0_T1_T2_jT3_P12ihipStream_tbPNSt15iterator_traitsISK_E10value_typeEPNSQ_ISL_E10value_typeEPSM_NS1_7vsmem_tEENKUlT_SK_SL_SM_E_clISE_PjSF_SF_EESJ_SZ_SK_SL_SM_EUlSZ_E1_NS1_11comp_targetILNS1_3genE4ELNS1_11target_archE910ELNS1_3gpuE8ELNS1_3repE0EEENS1_36merge_oddeven_config_static_selectorELNS0_4arch9wavefront6targetE1EEEvSL_
                                        ; -- End function
	.section	.AMDGPU.csdata,"",@progbits
; Kernel info:
; codeLenInByte = 620
; NumSgprs: 25
; NumVgprs: 11
; NumAgprs: 0
; TotalNumVgprs: 11
; ScratchSize: 0
; MemoryBound: 0
; FloatMode: 240
; IeeeMode: 1
; LDSByteSize: 0 bytes/workgroup (compile time only)
; SGPRBlocks: 3
; VGPRBlocks: 1
; NumSGPRsForWavesPerEU: 25
; NumVGPRsForWavesPerEU: 11
; AccumOffset: 12
; Occupancy: 8
; WaveLimiterHint : 0
; COMPUTE_PGM_RSRC2:SCRATCH_EN: 0
; COMPUTE_PGM_RSRC2:USER_SGPR: 6
; COMPUTE_PGM_RSRC2:TRAP_HANDLER: 0
; COMPUTE_PGM_RSRC2:TGID_X_EN: 1
; COMPUTE_PGM_RSRC2:TGID_Y_EN: 0
; COMPUTE_PGM_RSRC2:TGID_Z_EN: 0
; COMPUTE_PGM_RSRC2:TIDIG_COMP_CNT: 0
; COMPUTE_PGM_RSRC3_GFX90A:ACCUM_OFFSET: 2
; COMPUTE_PGM_RSRC3_GFX90A:TG_SPLIT: 0
	.section	.text._ZN7rocprim17ROCPRIM_400000_NS6detail17trampoline_kernelINS0_14default_configENS1_38merge_sort_block_merge_config_selectorIjNS0_10empty_typeEEEZZNS1_27merge_sort_block_merge_implIS3_N6thrust23THRUST_200600_302600_NS6detail15normal_iteratorINS9_10device_ptrIjEEEEPS5_jNS1_19radix_merge_compareILb0ELb1EjNS0_19identity_decomposerEEEEE10hipError_tT0_T1_T2_jT3_P12ihipStream_tbPNSt15iterator_traitsISK_E10value_typeEPNSQ_ISL_E10value_typeEPSM_NS1_7vsmem_tEENKUlT_SK_SL_SM_E_clISE_PjSF_SF_EESJ_SZ_SK_SL_SM_EUlSZ_E1_NS1_11comp_targetILNS1_3genE3ELNS1_11target_archE908ELNS1_3gpuE7ELNS1_3repE0EEENS1_36merge_oddeven_config_static_selectorELNS0_4arch9wavefront6targetE1EEEvSL_,"axG",@progbits,_ZN7rocprim17ROCPRIM_400000_NS6detail17trampoline_kernelINS0_14default_configENS1_38merge_sort_block_merge_config_selectorIjNS0_10empty_typeEEEZZNS1_27merge_sort_block_merge_implIS3_N6thrust23THRUST_200600_302600_NS6detail15normal_iteratorINS9_10device_ptrIjEEEEPS5_jNS1_19radix_merge_compareILb0ELb1EjNS0_19identity_decomposerEEEEE10hipError_tT0_T1_T2_jT3_P12ihipStream_tbPNSt15iterator_traitsISK_E10value_typeEPNSQ_ISL_E10value_typeEPSM_NS1_7vsmem_tEENKUlT_SK_SL_SM_E_clISE_PjSF_SF_EESJ_SZ_SK_SL_SM_EUlSZ_E1_NS1_11comp_targetILNS1_3genE3ELNS1_11target_archE908ELNS1_3gpuE7ELNS1_3repE0EEENS1_36merge_oddeven_config_static_selectorELNS0_4arch9wavefront6targetE1EEEvSL_,comdat
	.protected	_ZN7rocprim17ROCPRIM_400000_NS6detail17trampoline_kernelINS0_14default_configENS1_38merge_sort_block_merge_config_selectorIjNS0_10empty_typeEEEZZNS1_27merge_sort_block_merge_implIS3_N6thrust23THRUST_200600_302600_NS6detail15normal_iteratorINS9_10device_ptrIjEEEEPS5_jNS1_19radix_merge_compareILb0ELb1EjNS0_19identity_decomposerEEEEE10hipError_tT0_T1_T2_jT3_P12ihipStream_tbPNSt15iterator_traitsISK_E10value_typeEPNSQ_ISL_E10value_typeEPSM_NS1_7vsmem_tEENKUlT_SK_SL_SM_E_clISE_PjSF_SF_EESJ_SZ_SK_SL_SM_EUlSZ_E1_NS1_11comp_targetILNS1_3genE3ELNS1_11target_archE908ELNS1_3gpuE7ELNS1_3repE0EEENS1_36merge_oddeven_config_static_selectorELNS0_4arch9wavefront6targetE1EEEvSL_ ; -- Begin function _ZN7rocprim17ROCPRIM_400000_NS6detail17trampoline_kernelINS0_14default_configENS1_38merge_sort_block_merge_config_selectorIjNS0_10empty_typeEEEZZNS1_27merge_sort_block_merge_implIS3_N6thrust23THRUST_200600_302600_NS6detail15normal_iteratorINS9_10device_ptrIjEEEEPS5_jNS1_19radix_merge_compareILb0ELb1EjNS0_19identity_decomposerEEEEE10hipError_tT0_T1_T2_jT3_P12ihipStream_tbPNSt15iterator_traitsISK_E10value_typeEPNSQ_ISL_E10value_typeEPSM_NS1_7vsmem_tEENKUlT_SK_SL_SM_E_clISE_PjSF_SF_EESJ_SZ_SK_SL_SM_EUlSZ_E1_NS1_11comp_targetILNS1_3genE3ELNS1_11target_archE908ELNS1_3gpuE7ELNS1_3repE0EEENS1_36merge_oddeven_config_static_selectorELNS0_4arch9wavefront6targetE1EEEvSL_
	.globl	_ZN7rocprim17ROCPRIM_400000_NS6detail17trampoline_kernelINS0_14default_configENS1_38merge_sort_block_merge_config_selectorIjNS0_10empty_typeEEEZZNS1_27merge_sort_block_merge_implIS3_N6thrust23THRUST_200600_302600_NS6detail15normal_iteratorINS9_10device_ptrIjEEEEPS5_jNS1_19radix_merge_compareILb0ELb1EjNS0_19identity_decomposerEEEEE10hipError_tT0_T1_T2_jT3_P12ihipStream_tbPNSt15iterator_traitsISK_E10value_typeEPNSQ_ISL_E10value_typeEPSM_NS1_7vsmem_tEENKUlT_SK_SL_SM_E_clISE_PjSF_SF_EESJ_SZ_SK_SL_SM_EUlSZ_E1_NS1_11comp_targetILNS1_3genE3ELNS1_11target_archE908ELNS1_3gpuE7ELNS1_3repE0EEENS1_36merge_oddeven_config_static_selectorELNS0_4arch9wavefront6targetE1EEEvSL_
	.p2align	8
	.type	_ZN7rocprim17ROCPRIM_400000_NS6detail17trampoline_kernelINS0_14default_configENS1_38merge_sort_block_merge_config_selectorIjNS0_10empty_typeEEEZZNS1_27merge_sort_block_merge_implIS3_N6thrust23THRUST_200600_302600_NS6detail15normal_iteratorINS9_10device_ptrIjEEEEPS5_jNS1_19radix_merge_compareILb0ELb1EjNS0_19identity_decomposerEEEEE10hipError_tT0_T1_T2_jT3_P12ihipStream_tbPNSt15iterator_traitsISK_E10value_typeEPNSQ_ISL_E10value_typeEPSM_NS1_7vsmem_tEENKUlT_SK_SL_SM_E_clISE_PjSF_SF_EESJ_SZ_SK_SL_SM_EUlSZ_E1_NS1_11comp_targetILNS1_3genE3ELNS1_11target_archE908ELNS1_3gpuE7ELNS1_3repE0EEENS1_36merge_oddeven_config_static_selectorELNS0_4arch9wavefront6targetE1EEEvSL_,@function
_ZN7rocprim17ROCPRIM_400000_NS6detail17trampoline_kernelINS0_14default_configENS1_38merge_sort_block_merge_config_selectorIjNS0_10empty_typeEEEZZNS1_27merge_sort_block_merge_implIS3_N6thrust23THRUST_200600_302600_NS6detail15normal_iteratorINS9_10device_ptrIjEEEEPS5_jNS1_19radix_merge_compareILb0ELb1EjNS0_19identity_decomposerEEEEE10hipError_tT0_T1_T2_jT3_P12ihipStream_tbPNSt15iterator_traitsISK_E10value_typeEPNSQ_ISL_E10value_typeEPSM_NS1_7vsmem_tEENKUlT_SK_SL_SM_E_clISE_PjSF_SF_EESJ_SZ_SK_SL_SM_EUlSZ_E1_NS1_11comp_targetILNS1_3genE3ELNS1_11target_archE908ELNS1_3gpuE7ELNS1_3repE0EEENS1_36merge_oddeven_config_static_selectorELNS0_4arch9wavefront6targetE1EEEvSL_: ; @_ZN7rocprim17ROCPRIM_400000_NS6detail17trampoline_kernelINS0_14default_configENS1_38merge_sort_block_merge_config_selectorIjNS0_10empty_typeEEEZZNS1_27merge_sort_block_merge_implIS3_N6thrust23THRUST_200600_302600_NS6detail15normal_iteratorINS9_10device_ptrIjEEEEPS5_jNS1_19radix_merge_compareILb0ELb1EjNS0_19identity_decomposerEEEEE10hipError_tT0_T1_T2_jT3_P12ihipStream_tbPNSt15iterator_traitsISK_E10value_typeEPNSQ_ISL_E10value_typeEPSM_NS1_7vsmem_tEENKUlT_SK_SL_SM_E_clISE_PjSF_SF_EESJ_SZ_SK_SL_SM_EUlSZ_E1_NS1_11comp_targetILNS1_3genE3ELNS1_11target_archE908ELNS1_3gpuE7ELNS1_3repE0EEENS1_36merge_oddeven_config_static_selectorELNS0_4arch9wavefront6targetE1EEEvSL_
; %bb.0:
	.section	.rodata,"a",@progbits
	.p2align	6, 0x0
	.amdhsa_kernel _ZN7rocprim17ROCPRIM_400000_NS6detail17trampoline_kernelINS0_14default_configENS1_38merge_sort_block_merge_config_selectorIjNS0_10empty_typeEEEZZNS1_27merge_sort_block_merge_implIS3_N6thrust23THRUST_200600_302600_NS6detail15normal_iteratorINS9_10device_ptrIjEEEEPS5_jNS1_19radix_merge_compareILb0ELb1EjNS0_19identity_decomposerEEEEE10hipError_tT0_T1_T2_jT3_P12ihipStream_tbPNSt15iterator_traitsISK_E10value_typeEPNSQ_ISL_E10value_typeEPSM_NS1_7vsmem_tEENKUlT_SK_SL_SM_E_clISE_PjSF_SF_EESJ_SZ_SK_SL_SM_EUlSZ_E1_NS1_11comp_targetILNS1_3genE3ELNS1_11target_archE908ELNS1_3gpuE7ELNS1_3repE0EEENS1_36merge_oddeven_config_static_selectorELNS0_4arch9wavefront6targetE1EEEvSL_
		.amdhsa_group_segment_fixed_size 0
		.amdhsa_private_segment_fixed_size 0
		.amdhsa_kernarg_size 48
		.amdhsa_user_sgpr_count 6
		.amdhsa_user_sgpr_private_segment_buffer 1
		.amdhsa_user_sgpr_dispatch_ptr 0
		.amdhsa_user_sgpr_queue_ptr 0
		.amdhsa_user_sgpr_kernarg_segment_ptr 1
		.amdhsa_user_sgpr_dispatch_id 0
		.amdhsa_user_sgpr_flat_scratch_init 0
		.amdhsa_user_sgpr_kernarg_preload_length 0
		.amdhsa_user_sgpr_kernarg_preload_offset 0
		.amdhsa_user_sgpr_private_segment_size 0
		.amdhsa_uses_dynamic_stack 0
		.amdhsa_system_sgpr_private_segment_wavefront_offset 0
		.amdhsa_system_sgpr_workgroup_id_x 1
		.amdhsa_system_sgpr_workgroup_id_y 0
		.amdhsa_system_sgpr_workgroup_id_z 0
		.amdhsa_system_sgpr_workgroup_info 0
		.amdhsa_system_vgpr_workitem_id 0
		.amdhsa_next_free_vgpr 1
		.amdhsa_next_free_sgpr 0
		.amdhsa_accum_offset 4
		.amdhsa_reserve_vcc 0
		.amdhsa_reserve_flat_scratch 0
		.amdhsa_float_round_mode_32 0
		.amdhsa_float_round_mode_16_64 0
		.amdhsa_float_denorm_mode_32 3
		.amdhsa_float_denorm_mode_16_64 3
		.amdhsa_dx10_clamp 1
		.amdhsa_ieee_mode 1
		.amdhsa_fp16_overflow 0
		.amdhsa_tg_split 0
		.amdhsa_exception_fp_ieee_invalid_op 0
		.amdhsa_exception_fp_denorm_src 0
		.amdhsa_exception_fp_ieee_div_zero 0
		.amdhsa_exception_fp_ieee_overflow 0
		.amdhsa_exception_fp_ieee_underflow 0
		.amdhsa_exception_fp_ieee_inexact 0
		.amdhsa_exception_int_div_zero 0
	.end_amdhsa_kernel
	.section	.text._ZN7rocprim17ROCPRIM_400000_NS6detail17trampoline_kernelINS0_14default_configENS1_38merge_sort_block_merge_config_selectorIjNS0_10empty_typeEEEZZNS1_27merge_sort_block_merge_implIS3_N6thrust23THRUST_200600_302600_NS6detail15normal_iteratorINS9_10device_ptrIjEEEEPS5_jNS1_19radix_merge_compareILb0ELb1EjNS0_19identity_decomposerEEEEE10hipError_tT0_T1_T2_jT3_P12ihipStream_tbPNSt15iterator_traitsISK_E10value_typeEPNSQ_ISL_E10value_typeEPSM_NS1_7vsmem_tEENKUlT_SK_SL_SM_E_clISE_PjSF_SF_EESJ_SZ_SK_SL_SM_EUlSZ_E1_NS1_11comp_targetILNS1_3genE3ELNS1_11target_archE908ELNS1_3gpuE7ELNS1_3repE0EEENS1_36merge_oddeven_config_static_selectorELNS0_4arch9wavefront6targetE1EEEvSL_,"axG",@progbits,_ZN7rocprim17ROCPRIM_400000_NS6detail17trampoline_kernelINS0_14default_configENS1_38merge_sort_block_merge_config_selectorIjNS0_10empty_typeEEEZZNS1_27merge_sort_block_merge_implIS3_N6thrust23THRUST_200600_302600_NS6detail15normal_iteratorINS9_10device_ptrIjEEEEPS5_jNS1_19radix_merge_compareILb0ELb1EjNS0_19identity_decomposerEEEEE10hipError_tT0_T1_T2_jT3_P12ihipStream_tbPNSt15iterator_traitsISK_E10value_typeEPNSQ_ISL_E10value_typeEPSM_NS1_7vsmem_tEENKUlT_SK_SL_SM_E_clISE_PjSF_SF_EESJ_SZ_SK_SL_SM_EUlSZ_E1_NS1_11comp_targetILNS1_3genE3ELNS1_11target_archE908ELNS1_3gpuE7ELNS1_3repE0EEENS1_36merge_oddeven_config_static_selectorELNS0_4arch9wavefront6targetE1EEEvSL_,comdat
.Lfunc_end1070:
	.size	_ZN7rocprim17ROCPRIM_400000_NS6detail17trampoline_kernelINS0_14default_configENS1_38merge_sort_block_merge_config_selectorIjNS0_10empty_typeEEEZZNS1_27merge_sort_block_merge_implIS3_N6thrust23THRUST_200600_302600_NS6detail15normal_iteratorINS9_10device_ptrIjEEEEPS5_jNS1_19radix_merge_compareILb0ELb1EjNS0_19identity_decomposerEEEEE10hipError_tT0_T1_T2_jT3_P12ihipStream_tbPNSt15iterator_traitsISK_E10value_typeEPNSQ_ISL_E10value_typeEPSM_NS1_7vsmem_tEENKUlT_SK_SL_SM_E_clISE_PjSF_SF_EESJ_SZ_SK_SL_SM_EUlSZ_E1_NS1_11comp_targetILNS1_3genE3ELNS1_11target_archE908ELNS1_3gpuE7ELNS1_3repE0EEENS1_36merge_oddeven_config_static_selectorELNS0_4arch9wavefront6targetE1EEEvSL_, .Lfunc_end1070-_ZN7rocprim17ROCPRIM_400000_NS6detail17trampoline_kernelINS0_14default_configENS1_38merge_sort_block_merge_config_selectorIjNS0_10empty_typeEEEZZNS1_27merge_sort_block_merge_implIS3_N6thrust23THRUST_200600_302600_NS6detail15normal_iteratorINS9_10device_ptrIjEEEEPS5_jNS1_19radix_merge_compareILb0ELb1EjNS0_19identity_decomposerEEEEE10hipError_tT0_T1_T2_jT3_P12ihipStream_tbPNSt15iterator_traitsISK_E10value_typeEPNSQ_ISL_E10value_typeEPSM_NS1_7vsmem_tEENKUlT_SK_SL_SM_E_clISE_PjSF_SF_EESJ_SZ_SK_SL_SM_EUlSZ_E1_NS1_11comp_targetILNS1_3genE3ELNS1_11target_archE908ELNS1_3gpuE7ELNS1_3repE0EEENS1_36merge_oddeven_config_static_selectorELNS0_4arch9wavefront6targetE1EEEvSL_
                                        ; -- End function
	.section	.AMDGPU.csdata,"",@progbits
; Kernel info:
; codeLenInByte = 0
; NumSgprs: 4
; NumVgprs: 0
; NumAgprs: 0
; TotalNumVgprs: 0
; ScratchSize: 0
; MemoryBound: 0
; FloatMode: 240
; IeeeMode: 1
; LDSByteSize: 0 bytes/workgroup (compile time only)
; SGPRBlocks: 0
; VGPRBlocks: 0
; NumSGPRsForWavesPerEU: 4
; NumVGPRsForWavesPerEU: 1
; AccumOffset: 4
; Occupancy: 8
; WaveLimiterHint : 0
; COMPUTE_PGM_RSRC2:SCRATCH_EN: 0
; COMPUTE_PGM_RSRC2:USER_SGPR: 6
; COMPUTE_PGM_RSRC2:TRAP_HANDLER: 0
; COMPUTE_PGM_RSRC2:TGID_X_EN: 1
; COMPUTE_PGM_RSRC2:TGID_Y_EN: 0
; COMPUTE_PGM_RSRC2:TGID_Z_EN: 0
; COMPUTE_PGM_RSRC2:TIDIG_COMP_CNT: 0
; COMPUTE_PGM_RSRC3_GFX90A:ACCUM_OFFSET: 0
; COMPUTE_PGM_RSRC3_GFX90A:TG_SPLIT: 0
	.section	.text._ZN7rocprim17ROCPRIM_400000_NS6detail17trampoline_kernelINS0_14default_configENS1_38merge_sort_block_merge_config_selectorIjNS0_10empty_typeEEEZZNS1_27merge_sort_block_merge_implIS3_N6thrust23THRUST_200600_302600_NS6detail15normal_iteratorINS9_10device_ptrIjEEEEPS5_jNS1_19radix_merge_compareILb0ELb1EjNS0_19identity_decomposerEEEEE10hipError_tT0_T1_T2_jT3_P12ihipStream_tbPNSt15iterator_traitsISK_E10value_typeEPNSQ_ISL_E10value_typeEPSM_NS1_7vsmem_tEENKUlT_SK_SL_SM_E_clISE_PjSF_SF_EESJ_SZ_SK_SL_SM_EUlSZ_E1_NS1_11comp_targetILNS1_3genE2ELNS1_11target_archE906ELNS1_3gpuE6ELNS1_3repE0EEENS1_36merge_oddeven_config_static_selectorELNS0_4arch9wavefront6targetE1EEEvSL_,"axG",@progbits,_ZN7rocprim17ROCPRIM_400000_NS6detail17trampoline_kernelINS0_14default_configENS1_38merge_sort_block_merge_config_selectorIjNS0_10empty_typeEEEZZNS1_27merge_sort_block_merge_implIS3_N6thrust23THRUST_200600_302600_NS6detail15normal_iteratorINS9_10device_ptrIjEEEEPS5_jNS1_19radix_merge_compareILb0ELb1EjNS0_19identity_decomposerEEEEE10hipError_tT0_T1_T2_jT3_P12ihipStream_tbPNSt15iterator_traitsISK_E10value_typeEPNSQ_ISL_E10value_typeEPSM_NS1_7vsmem_tEENKUlT_SK_SL_SM_E_clISE_PjSF_SF_EESJ_SZ_SK_SL_SM_EUlSZ_E1_NS1_11comp_targetILNS1_3genE2ELNS1_11target_archE906ELNS1_3gpuE6ELNS1_3repE0EEENS1_36merge_oddeven_config_static_selectorELNS0_4arch9wavefront6targetE1EEEvSL_,comdat
	.protected	_ZN7rocprim17ROCPRIM_400000_NS6detail17trampoline_kernelINS0_14default_configENS1_38merge_sort_block_merge_config_selectorIjNS0_10empty_typeEEEZZNS1_27merge_sort_block_merge_implIS3_N6thrust23THRUST_200600_302600_NS6detail15normal_iteratorINS9_10device_ptrIjEEEEPS5_jNS1_19radix_merge_compareILb0ELb1EjNS0_19identity_decomposerEEEEE10hipError_tT0_T1_T2_jT3_P12ihipStream_tbPNSt15iterator_traitsISK_E10value_typeEPNSQ_ISL_E10value_typeEPSM_NS1_7vsmem_tEENKUlT_SK_SL_SM_E_clISE_PjSF_SF_EESJ_SZ_SK_SL_SM_EUlSZ_E1_NS1_11comp_targetILNS1_3genE2ELNS1_11target_archE906ELNS1_3gpuE6ELNS1_3repE0EEENS1_36merge_oddeven_config_static_selectorELNS0_4arch9wavefront6targetE1EEEvSL_ ; -- Begin function _ZN7rocprim17ROCPRIM_400000_NS6detail17trampoline_kernelINS0_14default_configENS1_38merge_sort_block_merge_config_selectorIjNS0_10empty_typeEEEZZNS1_27merge_sort_block_merge_implIS3_N6thrust23THRUST_200600_302600_NS6detail15normal_iteratorINS9_10device_ptrIjEEEEPS5_jNS1_19radix_merge_compareILb0ELb1EjNS0_19identity_decomposerEEEEE10hipError_tT0_T1_T2_jT3_P12ihipStream_tbPNSt15iterator_traitsISK_E10value_typeEPNSQ_ISL_E10value_typeEPSM_NS1_7vsmem_tEENKUlT_SK_SL_SM_E_clISE_PjSF_SF_EESJ_SZ_SK_SL_SM_EUlSZ_E1_NS1_11comp_targetILNS1_3genE2ELNS1_11target_archE906ELNS1_3gpuE6ELNS1_3repE0EEENS1_36merge_oddeven_config_static_selectorELNS0_4arch9wavefront6targetE1EEEvSL_
	.globl	_ZN7rocprim17ROCPRIM_400000_NS6detail17trampoline_kernelINS0_14default_configENS1_38merge_sort_block_merge_config_selectorIjNS0_10empty_typeEEEZZNS1_27merge_sort_block_merge_implIS3_N6thrust23THRUST_200600_302600_NS6detail15normal_iteratorINS9_10device_ptrIjEEEEPS5_jNS1_19radix_merge_compareILb0ELb1EjNS0_19identity_decomposerEEEEE10hipError_tT0_T1_T2_jT3_P12ihipStream_tbPNSt15iterator_traitsISK_E10value_typeEPNSQ_ISL_E10value_typeEPSM_NS1_7vsmem_tEENKUlT_SK_SL_SM_E_clISE_PjSF_SF_EESJ_SZ_SK_SL_SM_EUlSZ_E1_NS1_11comp_targetILNS1_3genE2ELNS1_11target_archE906ELNS1_3gpuE6ELNS1_3repE0EEENS1_36merge_oddeven_config_static_selectorELNS0_4arch9wavefront6targetE1EEEvSL_
	.p2align	8
	.type	_ZN7rocprim17ROCPRIM_400000_NS6detail17trampoline_kernelINS0_14default_configENS1_38merge_sort_block_merge_config_selectorIjNS0_10empty_typeEEEZZNS1_27merge_sort_block_merge_implIS3_N6thrust23THRUST_200600_302600_NS6detail15normal_iteratorINS9_10device_ptrIjEEEEPS5_jNS1_19radix_merge_compareILb0ELb1EjNS0_19identity_decomposerEEEEE10hipError_tT0_T1_T2_jT3_P12ihipStream_tbPNSt15iterator_traitsISK_E10value_typeEPNSQ_ISL_E10value_typeEPSM_NS1_7vsmem_tEENKUlT_SK_SL_SM_E_clISE_PjSF_SF_EESJ_SZ_SK_SL_SM_EUlSZ_E1_NS1_11comp_targetILNS1_3genE2ELNS1_11target_archE906ELNS1_3gpuE6ELNS1_3repE0EEENS1_36merge_oddeven_config_static_selectorELNS0_4arch9wavefront6targetE1EEEvSL_,@function
_ZN7rocprim17ROCPRIM_400000_NS6detail17trampoline_kernelINS0_14default_configENS1_38merge_sort_block_merge_config_selectorIjNS0_10empty_typeEEEZZNS1_27merge_sort_block_merge_implIS3_N6thrust23THRUST_200600_302600_NS6detail15normal_iteratorINS9_10device_ptrIjEEEEPS5_jNS1_19radix_merge_compareILb0ELb1EjNS0_19identity_decomposerEEEEE10hipError_tT0_T1_T2_jT3_P12ihipStream_tbPNSt15iterator_traitsISK_E10value_typeEPNSQ_ISL_E10value_typeEPSM_NS1_7vsmem_tEENKUlT_SK_SL_SM_E_clISE_PjSF_SF_EESJ_SZ_SK_SL_SM_EUlSZ_E1_NS1_11comp_targetILNS1_3genE2ELNS1_11target_archE906ELNS1_3gpuE6ELNS1_3repE0EEENS1_36merge_oddeven_config_static_selectorELNS0_4arch9wavefront6targetE1EEEvSL_: ; @_ZN7rocprim17ROCPRIM_400000_NS6detail17trampoline_kernelINS0_14default_configENS1_38merge_sort_block_merge_config_selectorIjNS0_10empty_typeEEEZZNS1_27merge_sort_block_merge_implIS3_N6thrust23THRUST_200600_302600_NS6detail15normal_iteratorINS9_10device_ptrIjEEEEPS5_jNS1_19radix_merge_compareILb0ELb1EjNS0_19identity_decomposerEEEEE10hipError_tT0_T1_T2_jT3_P12ihipStream_tbPNSt15iterator_traitsISK_E10value_typeEPNSQ_ISL_E10value_typeEPSM_NS1_7vsmem_tEENKUlT_SK_SL_SM_E_clISE_PjSF_SF_EESJ_SZ_SK_SL_SM_EUlSZ_E1_NS1_11comp_targetILNS1_3genE2ELNS1_11target_archE906ELNS1_3gpuE6ELNS1_3repE0EEENS1_36merge_oddeven_config_static_selectorELNS0_4arch9wavefront6targetE1EEEvSL_
; %bb.0:
	.section	.rodata,"a",@progbits
	.p2align	6, 0x0
	.amdhsa_kernel _ZN7rocprim17ROCPRIM_400000_NS6detail17trampoline_kernelINS0_14default_configENS1_38merge_sort_block_merge_config_selectorIjNS0_10empty_typeEEEZZNS1_27merge_sort_block_merge_implIS3_N6thrust23THRUST_200600_302600_NS6detail15normal_iteratorINS9_10device_ptrIjEEEEPS5_jNS1_19radix_merge_compareILb0ELb1EjNS0_19identity_decomposerEEEEE10hipError_tT0_T1_T2_jT3_P12ihipStream_tbPNSt15iterator_traitsISK_E10value_typeEPNSQ_ISL_E10value_typeEPSM_NS1_7vsmem_tEENKUlT_SK_SL_SM_E_clISE_PjSF_SF_EESJ_SZ_SK_SL_SM_EUlSZ_E1_NS1_11comp_targetILNS1_3genE2ELNS1_11target_archE906ELNS1_3gpuE6ELNS1_3repE0EEENS1_36merge_oddeven_config_static_selectorELNS0_4arch9wavefront6targetE1EEEvSL_
		.amdhsa_group_segment_fixed_size 0
		.amdhsa_private_segment_fixed_size 0
		.amdhsa_kernarg_size 48
		.amdhsa_user_sgpr_count 6
		.amdhsa_user_sgpr_private_segment_buffer 1
		.amdhsa_user_sgpr_dispatch_ptr 0
		.amdhsa_user_sgpr_queue_ptr 0
		.amdhsa_user_sgpr_kernarg_segment_ptr 1
		.amdhsa_user_sgpr_dispatch_id 0
		.amdhsa_user_sgpr_flat_scratch_init 0
		.amdhsa_user_sgpr_kernarg_preload_length 0
		.amdhsa_user_sgpr_kernarg_preload_offset 0
		.amdhsa_user_sgpr_private_segment_size 0
		.amdhsa_uses_dynamic_stack 0
		.amdhsa_system_sgpr_private_segment_wavefront_offset 0
		.amdhsa_system_sgpr_workgroup_id_x 1
		.amdhsa_system_sgpr_workgroup_id_y 0
		.amdhsa_system_sgpr_workgroup_id_z 0
		.amdhsa_system_sgpr_workgroup_info 0
		.amdhsa_system_vgpr_workitem_id 0
		.amdhsa_next_free_vgpr 1
		.amdhsa_next_free_sgpr 0
		.amdhsa_accum_offset 4
		.amdhsa_reserve_vcc 0
		.amdhsa_reserve_flat_scratch 0
		.amdhsa_float_round_mode_32 0
		.amdhsa_float_round_mode_16_64 0
		.amdhsa_float_denorm_mode_32 3
		.amdhsa_float_denorm_mode_16_64 3
		.amdhsa_dx10_clamp 1
		.amdhsa_ieee_mode 1
		.amdhsa_fp16_overflow 0
		.amdhsa_tg_split 0
		.amdhsa_exception_fp_ieee_invalid_op 0
		.amdhsa_exception_fp_denorm_src 0
		.amdhsa_exception_fp_ieee_div_zero 0
		.amdhsa_exception_fp_ieee_overflow 0
		.amdhsa_exception_fp_ieee_underflow 0
		.amdhsa_exception_fp_ieee_inexact 0
		.amdhsa_exception_int_div_zero 0
	.end_amdhsa_kernel
	.section	.text._ZN7rocprim17ROCPRIM_400000_NS6detail17trampoline_kernelINS0_14default_configENS1_38merge_sort_block_merge_config_selectorIjNS0_10empty_typeEEEZZNS1_27merge_sort_block_merge_implIS3_N6thrust23THRUST_200600_302600_NS6detail15normal_iteratorINS9_10device_ptrIjEEEEPS5_jNS1_19radix_merge_compareILb0ELb1EjNS0_19identity_decomposerEEEEE10hipError_tT0_T1_T2_jT3_P12ihipStream_tbPNSt15iterator_traitsISK_E10value_typeEPNSQ_ISL_E10value_typeEPSM_NS1_7vsmem_tEENKUlT_SK_SL_SM_E_clISE_PjSF_SF_EESJ_SZ_SK_SL_SM_EUlSZ_E1_NS1_11comp_targetILNS1_3genE2ELNS1_11target_archE906ELNS1_3gpuE6ELNS1_3repE0EEENS1_36merge_oddeven_config_static_selectorELNS0_4arch9wavefront6targetE1EEEvSL_,"axG",@progbits,_ZN7rocprim17ROCPRIM_400000_NS6detail17trampoline_kernelINS0_14default_configENS1_38merge_sort_block_merge_config_selectorIjNS0_10empty_typeEEEZZNS1_27merge_sort_block_merge_implIS3_N6thrust23THRUST_200600_302600_NS6detail15normal_iteratorINS9_10device_ptrIjEEEEPS5_jNS1_19radix_merge_compareILb0ELb1EjNS0_19identity_decomposerEEEEE10hipError_tT0_T1_T2_jT3_P12ihipStream_tbPNSt15iterator_traitsISK_E10value_typeEPNSQ_ISL_E10value_typeEPSM_NS1_7vsmem_tEENKUlT_SK_SL_SM_E_clISE_PjSF_SF_EESJ_SZ_SK_SL_SM_EUlSZ_E1_NS1_11comp_targetILNS1_3genE2ELNS1_11target_archE906ELNS1_3gpuE6ELNS1_3repE0EEENS1_36merge_oddeven_config_static_selectorELNS0_4arch9wavefront6targetE1EEEvSL_,comdat
.Lfunc_end1071:
	.size	_ZN7rocprim17ROCPRIM_400000_NS6detail17trampoline_kernelINS0_14default_configENS1_38merge_sort_block_merge_config_selectorIjNS0_10empty_typeEEEZZNS1_27merge_sort_block_merge_implIS3_N6thrust23THRUST_200600_302600_NS6detail15normal_iteratorINS9_10device_ptrIjEEEEPS5_jNS1_19radix_merge_compareILb0ELb1EjNS0_19identity_decomposerEEEEE10hipError_tT0_T1_T2_jT3_P12ihipStream_tbPNSt15iterator_traitsISK_E10value_typeEPNSQ_ISL_E10value_typeEPSM_NS1_7vsmem_tEENKUlT_SK_SL_SM_E_clISE_PjSF_SF_EESJ_SZ_SK_SL_SM_EUlSZ_E1_NS1_11comp_targetILNS1_3genE2ELNS1_11target_archE906ELNS1_3gpuE6ELNS1_3repE0EEENS1_36merge_oddeven_config_static_selectorELNS0_4arch9wavefront6targetE1EEEvSL_, .Lfunc_end1071-_ZN7rocprim17ROCPRIM_400000_NS6detail17trampoline_kernelINS0_14default_configENS1_38merge_sort_block_merge_config_selectorIjNS0_10empty_typeEEEZZNS1_27merge_sort_block_merge_implIS3_N6thrust23THRUST_200600_302600_NS6detail15normal_iteratorINS9_10device_ptrIjEEEEPS5_jNS1_19radix_merge_compareILb0ELb1EjNS0_19identity_decomposerEEEEE10hipError_tT0_T1_T2_jT3_P12ihipStream_tbPNSt15iterator_traitsISK_E10value_typeEPNSQ_ISL_E10value_typeEPSM_NS1_7vsmem_tEENKUlT_SK_SL_SM_E_clISE_PjSF_SF_EESJ_SZ_SK_SL_SM_EUlSZ_E1_NS1_11comp_targetILNS1_3genE2ELNS1_11target_archE906ELNS1_3gpuE6ELNS1_3repE0EEENS1_36merge_oddeven_config_static_selectorELNS0_4arch9wavefront6targetE1EEEvSL_
                                        ; -- End function
	.section	.AMDGPU.csdata,"",@progbits
; Kernel info:
; codeLenInByte = 0
; NumSgprs: 4
; NumVgprs: 0
; NumAgprs: 0
; TotalNumVgprs: 0
; ScratchSize: 0
; MemoryBound: 0
; FloatMode: 240
; IeeeMode: 1
; LDSByteSize: 0 bytes/workgroup (compile time only)
; SGPRBlocks: 0
; VGPRBlocks: 0
; NumSGPRsForWavesPerEU: 4
; NumVGPRsForWavesPerEU: 1
; AccumOffset: 4
; Occupancy: 8
; WaveLimiterHint : 0
; COMPUTE_PGM_RSRC2:SCRATCH_EN: 0
; COMPUTE_PGM_RSRC2:USER_SGPR: 6
; COMPUTE_PGM_RSRC2:TRAP_HANDLER: 0
; COMPUTE_PGM_RSRC2:TGID_X_EN: 1
; COMPUTE_PGM_RSRC2:TGID_Y_EN: 0
; COMPUTE_PGM_RSRC2:TGID_Z_EN: 0
; COMPUTE_PGM_RSRC2:TIDIG_COMP_CNT: 0
; COMPUTE_PGM_RSRC3_GFX90A:ACCUM_OFFSET: 0
; COMPUTE_PGM_RSRC3_GFX90A:TG_SPLIT: 0
	.section	.text._ZN7rocprim17ROCPRIM_400000_NS6detail17trampoline_kernelINS0_14default_configENS1_38merge_sort_block_merge_config_selectorIjNS0_10empty_typeEEEZZNS1_27merge_sort_block_merge_implIS3_N6thrust23THRUST_200600_302600_NS6detail15normal_iteratorINS9_10device_ptrIjEEEEPS5_jNS1_19radix_merge_compareILb0ELb1EjNS0_19identity_decomposerEEEEE10hipError_tT0_T1_T2_jT3_P12ihipStream_tbPNSt15iterator_traitsISK_E10value_typeEPNSQ_ISL_E10value_typeEPSM_NS1_7vsmem_tEENKUlT_SK_SL_SM_E_clISE_PjSF_SF_EESJ_SZ_SK_SL_SM_EUlSZ_E1_NS1_11comp_targetILNS1_3genE9ELNS1_11target_archE1100ELNS1_3gpuE3ELNS1_3repE0EEENS1_36merge_oddeven_config_static_selectorELNS0_4arch9wavefront6targetE1EEEvSL_,"axG",@progbits,_ZN7rocprim17ROCPRIM_400000_NS6detail17trampoline_kernelINS0_14default_configENS1_38merge_sort_block_merge_config_selectorIjNS0_10empty_typeEEEZZNS1_27merge_sort_block_merge_implIS3_N6thrust23THRUST_200600_302600_NS6detail15normal_iteratorINS9_10device_ptrIjEEEEPS5_jNS1_19radix_merge_compareILb0ELb1EjNS0_19identity_decomposerEEEEE10hipError_tT0_T1_T2_jT3_P12ihipStream_tbPNSt15iterator_traitsISK_E10value_typeEPNSQ_ISL_E10value_typeEPSM_NS1_7vsmem_tEENKUlT_SK_SL_SM_E_clISE_PjSF_SF_EESJ_SZ_SK_SL_SM_EUlSZ_E1_NS1_11comp_targetILNS1_3genE9ELNS1_11target_archE1100ELNS1_3gpuE3ELNS1_3repE0EEENS1_36merge_oddeven_config_static_selectorELNS0_4arch9wavefront6targetE1EEEvSL_,comdat
	.protected	_ZN7rocprim17ROCPRIM_400000_NS6detail17trampoline_kernelINS0_14default_configENS1_38merge_sort_block_merge_config_selectorIjNS0_10empty_typeEEEZZNS1_27merge_sort_block_merge_implIS3_N6thrust23THRUST_200600_302600_NS6detail15normal_iteratorINS9_10device_ptrIjEEEEPS5_jNS1_19radix_merge_compareILb0ELb1EjNS0_19identity_decomposerEEEEE10hipError_tT0_T1_T2_jT3_P12ihipStream_tbPNSt15iterator_traitsISK_E10value_typeEPNSQ_ISL_E10value_typeEPSM_NS1_7vsmem_tEENKUlT_SK_SL_SM_E_clISE_PjSF_SF_EESJ_SZ_SK_SL_SM_EUlSZ_E1_NS1_11comp_targetILNS1_3genE9ELNS1_11target_archE1100ELNS1_3gpuE3ELNS1_3repE0EEENS1_36merge_oddeven_config_static_selectorELNS0_4arch9wavefront6targetE1EEEvSL_ ; -- Begin function _ZN7rocprim17ROCPRIM_400000_NS6detail17trampoline_kernelINS0_14default_configENS1_38merge_sort_block_merge_config_selectorIjNS0_10empty_typeEEEZZNS1_27merge_sort_block_merge_implIS3_N6thrust23THRUST_200600_302600_NS6detail15normal_iteratorINS9_10device_ptrIjEEEEPS5_jNS1_19radix_merge_compareILb0ELb1EjNS0_19identity_decomposerEEEEE10hipError_tT0_T1_T2_jT3_P12ihipStream_tbPNSt15iterator_traitsISK_E10value_typeEPNSQ_ISL_E10value_typeEPSM_NS1_7vsmem_tEENKUlT_SK_SL_SM_E_clISE_PjSF_SF_EESJ_SZ_SK_SL_SM_EUlSZ_E1_NS1_11comp_targetILNS1_3genE9ELNS1_11target_archE1100ELNS1_3gpuE3ELNS1_3repE0EEENS1_36merge_oddeven_config_static_selectorELNS0_4arch9wavefront6targetE1EEEvSL_
	.globl	_ZN7rocprim17ROCPRIM_400000_NS6detail17trampoline_kernelINS0_14default_configENS1_38merge_sort_block_merge_config_selectorIjNS0_10empty_typeEEEZZNS1_27merge_sort_block_merge_implIS3_N6thrust23THRUST_200600_302600_NS6detail15normal_iteratorINS9_10device_ptrIjEEEEPS5_jNS1_19radix_merge_compareILb0ELb1EjNS0_19identity_decomposerEEEEE10hipError_tT0_T1_T2_jT3_P12ihipStream_tbPNSt15iterator_traitsISK_E10value_typeEPNSQ_ISL_E10value_typeEPSM_NS1_7vsmem_tEENKUlT_SK_SL_SM_E_clISE_PjSF_SF_EESJ_SZ_SK_SL_SM_EUlSZ_E1_NS1_11comp_targetILNS1_3genE9ELNS1_11target_archE1100ELNS1_3gpuE3ELNS1_3repE0EEENS1_36merge_oddeven_config_static_selectorELNS0_4arch9wavefront6targetE1EEEvSL_
	.p2align	8
	.type	_ZN7rocprim17ROCPRIM_400000_NS6detail17trampoline_kernelINS0_14default_configENS1_38merge_sort_block_merge_config_selectorIjNS0_10empty_typeEEEZZNS1_27merge_sort_block_merge_implIS3_N6thrust23THRUST_200600_302600_NS6detail15normal_iteratorINS9_10device_ptrIjEEEEPS5_jNS1_19radix_merge_compareILb0ELb1EjNS0_19identity_decomposerEEEEE10hipError_tT0_T1_T2_jT3_P12ihipStream_tbPNSt15iterator_traitsISK_E10value_typeEPNSQ_ISL_E10value_typeEPSM_NS1_7vsmem_tEENKUlT_SK_SL_SM_E_clISE_PjSF_SF_EESJ_SZ_SK_SL_SM_EUlSZ_E1_NS1_11comp_targetILNS1_3genE9ELNS1_11target_archE1100ELNS1_3gpuE3ELNS1_3repE0EEENS1_36merge_oddeven_config_static_selectorELNS0_4arch9wavefront6targetE1EEEvSL_,@function
_ZN7rocprim17ROCPRIM_400000_NS6detail17trampoline_kernelINS0_14default_configENS1_38merge_sort_block_merge_config_selectorIjNS0_10empty_typeEEEZZNS1_27merge_sort_block_merge_implIS3_N6thrust23THRUST_200600_302600_NS6detail15normal_iteratorINS9_10device_ptrIjEEEEPS5_jNS1_19radix_merge_compareILb0ELb1EjNS0_19identity_decomposerEEEEE10hipError_tT0_T1_T2_jT3_P12ihipStream_tbPNSt15iterator_traitsISK_E10value_typeEPNSQ_ISL_E10value_typeEPSM_NS1_7vsmem_tEENKUlT_SK_SL_SM_E_clISE_PjSF_SF_EESJ_SZ_SK_SL_SM_EUlSZ_E1_NS1_11comp_targetILNS1_3genE9ELNS1_11target_archE1100ELNS1_3gpuE3ELNS1_3repE0EEENS1_36merge_oddeven_config_static_selectorELNS0_4arch9wavefront6targetE1EEEvSL_: ; @_ZN7rocprim17ROCPRIM_400000_NS6detail17trampoline_kernelINS0_14default_configENS1_38merge_sort_block_merge_config_selectorIjNS0_10empty_typeEEEZZNS1_27merge_sort_block_merge_implIS3_N6thrust23THRUST_200600_302600_NS6detail15normal_iteratorINS9_10device_ptrIjEEEEPS5_jNS1_19radix_merge_compareILb0ELb1EjNS0_19identity_decomposerEEEEE10hipError_tT0_T1_T2_jT3_P12ihipStream_tbPNSt15iterator_traitsISK_E10value_typeEPNSQ_ISL_E10value_typeEPSM_NS1_7vsmem_tEENKUlT_SK_SL_SM_E_clISE_PjSF_SF_EESJ_SZ_SK_SL_SM_EUlSZ_E1_NS1_11comp_targetILNS1_3genE9ELNS1_11target_archE1100ELNS1_3gpuE3ELNS1_3repE0EEENS1_36merge_oddeven_config_static_selectorELNS0_4arch9wavefront6targetE1EEEvSL_
; %bb.0:
	.section	.rodata,"a",@progbits
	.p2align	6, 0x0
	.amdhsa_kernel _ZN7rocprim17ROCPRIM_400000_NS6detail17trampoline_kernelINS0_14default_configENS1_38merge_sort_block_merge_config_selectorIjNS0_10empty_typeEEEZZNS1_27merge_sort_block_merge_implIS3_N6thrust23THRUST_200600_302600_NS6detail15normal_iteratorINS9_10device_ptrIjEEEEPS5_jNS1_19radix_merge_compareILb0ELb1EjNS0_19identity_decomposerEEEEE10hipError_tT0_T1_T2_jT3_P12ihipStream_tbPNSt15iterator_traitsISK_E10value_typeEPNSQ_ISL_E10value_typeEPSM_NS1_7vsmem_tEENKUlT_SK_SL_SM_E_clISE_PjSF_SF_EESJ_SZ_SK_SL_SM_EUlSZ_E1_NS1_11comp_targetILNS1_3genE9ELNS1_11target_archE1100ELNS1_3gpuE3ELNS1_3repE0EEENS1_36merge_oddeven_config_static_selectorELNS0_4arch9wavefront6targetE1EEEvSL_
		.amdhsa_group_segment_fixed_size 0
		.amdhsa_private_segment_fixed_size 0
		.amdhsa_kernarg_size 48
		.amdhsa_user_sgpr_count 6
		.amdhsa_user_sgpr_private_segment_buffer 1
		.amdhsa_user_sgpr_dispatch_ptr 0
		.amdhsa_user_sgpr_queue_ptr 0
		.amdhsa_user_sgpr_kernarg_segment_ptr 1
		.amdhsa_user_sgpr_dispatch_id 0
		.amdhsa_user_sgpr_flat_scratch_init 0
		.amdhsa_user_sgpr_kernarg_preload_length 0
		.amdhsa_user_sgpr_kernarg_preload_offset 0
		.amdhsa_user_sgpr_private_segment_size 0
		.amdhsa_uses_dynamic_stack 0
		.amdhsa_system_sgpr_private_segment_wavefront_offset 0
		.amdhsa_system_sgpr_workgroup_id_x 1
		.amdhsa_system_sgpr_workgroup_id_y 0
		.amdhsa_system_sgpr_workgroup_id_z 0
		.amdhsa_system_sgpr_workgroup_info 0
		.amdhsa_system_vgpr_workitem_id 0
		.amdhsa_next_free_vgpr 1
		.amdhsa_next_free_sgpr 0
		.amdhsa_accum_offset 4
		.amdhsa_reserve_vcc 0
		.amdhsa_reserve_flat_scratch 0
		.amdhsa_float_round_mode_32 0
		.amdhsa_float_round_mode_16_64 0
		.amdhsa_float_denorm_mode_32 3
		.amdhsa_float_denorm_mode_16_64 3
		.amdhsa_dx10_clamp 1
		.amdhsa_ieee_mode 1
		.amdhsa_fp16_overflow 0
		.amdhsa_tg_split 0
		.amdhsa_exception_fp_ieee_invalid_op 0
		.amdhsa_exception_fp_denorm_src 0
		.amdhsa_exception_fp_ieee_div_zero 0
		.amdhsa_exception_fp_ieee_overflow 0
		.amdhsa_exception_fp_ieee_underflow 0
		.amdhsa_exception_fp_ieee_inexact 0
		.amdhsa_exception_int_div_zero 0
	.end_amdhsa_kernel
	.section	.text._ZN7rocprim17ROCPRIM_400000_NS6detail17trampoline_kernelINS0_14default_configENS1_38merge_sort_block_merge_config_selectorIjNS0_10empty_typeEEEZZNS1_27merge_sort_block_merge_implIS3_N6thrust23THRUST_200600_302600_NS6detail15normal_iteratorINS9_10device_ptrIjEEEEPS5_jNS1_19radix_merge_compareILb0ELb1EjNS0_19identity_decomposerEEEEE10hipError_tT0_T1_T2_jT3_P12ihipStream_tbPNSt15iterator_traitsISK_E10value_typeEPNSQ_ISL_E10value_typeEPSM_NS1_7vsmem_tEENKUlT_SK_SL_SM_E_clISE_PjSF_SF_EESJ_SZ_SK_SL_SM_EUlSZ_E1_NS1_11comp_targetILNS1_3genE9ELNS1_11target_archE1100ELNS1_3gpuE3ELNS1_3repE0EEENS1_36merge_oddeven_config_static_selectorELNS0_4arch9wavefront6targetE1EEEvSL_,"axG",@progbits,_ZN7rocprim17ROCPRIM_400000_NS6detail17trampoline_kernelINS0_14default_configENS1_38merge_sort_block_merge_config_selectorIjNS0_10empty_typeEEEZZNS1_27merge_sort_block_merge_implIS3_N6thrust23THRUST_200600_302600_NS6detail15normal_iteratorINS9_10device_ptrIjEEEEPS5_jNS1_19radix_merge_compareILb0ELb1EjNS0_19identity_decomposerEEEEE10hipError_tT0_T1_T2_jT3_P12ihipStream_tbPNSt15iterator_traitsISK_E10value_typeEPNSQ_ISL_E10value_typeEPSM_NS1_7vsmem_tEENKUlT_SK_SL_SM_E_clISE_PjSF_SF_EESJ_SZ_SK_SL_SM_EUlSZ_E1_NS1_11comp_targetILNS1_3genE9ELNS1_11target_archE1100ELNS1_3gpuE3ELNS1_3repE0EEENS1_36merge_oddeven_config_static_selectorELNS0_4arch9wavefront6targetE1EEEvSL_,comdat
.Lfunc_end1072:
	.size	_ZN7rocprim17ROCPRIM_400000_NS6detail17trampoline_kernelINS0_14default_configENS1_38merge_sort_block_merge_config_selectorIjNS0_10empty_typeEEEZZNS1_27merge_sort_block_merge_implIS3_N6thrust23THRUST_200600_302600_NS6detail15normal_iteratorINS9_10device_ptrIjEEEEPS5_jNS1_19radix_merge_compareILb0ELb1EjNS0_19identity_decomposerEEEEE10hipError_tT0_T1_T2_jT3_P12ihipStream_tbPNSt15iterator_traitsISK_E10value_typeEPNSQ_ISL_E10value_typeEPSM_NS1_7vsmem_tEENKUlT_SK_SL_SM_E_clISE_PjSF_SF_EESJ_SZ_SK_SL_SM_EUlSZ_E1_NS1_11comp_targetILNS1_3genE9ELNS1_11target_archE1100ELNS1_3gpuE3ELNS1_3repE0EEENS1_36merge_oddeven_config_static_selectorELNS0_4arch9wavefront6targetE1EEEvSL_, .Lfunc_end1072-_ZN7rocprim17ROCPRIM_400000_NS6detail17trampoline_kernelINS0_14default_configENS1_38merge_sort_block_merge_config_selectorIjNS0_10empty_typeEEEZZNS1_27merge_sort_block_merge_implIS3_N6thrust23THRUST_200600_302600_NS6detail15normal_iteratorINS9_10device_ptrIjEEEEPS5_jNS1_19radix_merge_compareILb0ELb1EjNS0_19identity_decomposerEEEEE10hipError_tT0_T1_T2_jT3_P12ihipStream_tbPNSt15iterator_traitsISK_E10value_typeEPNSQ_ISL_E10value_typeEPSM_NS1_7vsmem_tEENKUlT_SK_SL_SM_E_clISE_PjSF_SF_EESJ_SZ_SK_SL_SM_EUlSZ_E1_NS1_11comp_targetILNS1_3genE9ELNS1_11target_archE1100ELNS1_3gpuE3ELNS1_3repE0EEENS1_36merge_oddeven_config_static_selectorELNS0_4arch9wavefront6targetE1EEEvSL_
                                        ; -- End function
	.section	.AMDGPU.csdata,"",@progbits
; Kernel info:
; codeLenInByte = 0
; NumSgprs: 4
; NumVgprs: 0
; NumAgprs: 0
; TotalNumVgprs: 0
; ScratchSize: 0
; MemoryBound: 0
; FloatMode: 240
; IeeeMode: 1
; LDSByteSize: 0 bytes/workgroup (compile time only)
; SGPRBlocks: 0
; VGPRBlocks: 0
; NumSGPRsForWavesPerEU: 4
; NumVGPRsForWavesPerEU: 1
; AccumOffset: 4
; Occupancy: 8
; WaveLimiterHint : 0
; COMPUTE_PGM_RSRC2:SCRATCH_EN: 0
; COMPUTE_PGM_RSRC2:USER_SGPR: 6
; COMPUTE_PGM_RSRC2:TRAP_HANDLER: 0
; COMPUTE_PGM_RSRC2:TGID_X_EN: 1
; COMPUTE_PGM_RSRC2:TGID_Y_EN: 0
; COMPUTE_PGM_RSRC2:TGID_Z_EN: 0
; COMPUTE_PGM_RSRC2:TIDIG_COMP_CNT: 0
; COMPUTE_PGM_RSRC3_GFX90A:ACCUM_OFFSET: 0
; COMPUTE_PGM_RSRC3_GFX90A:TG_SPLIT: 0
	.section	.text._ZN7rocprim17ROCPRIM_400000_NS6detail17trampoline_kernelINS0_14default_configENS1_38merge_sort_block_merge_config_selectorIjNS0_10empty_typeEEEZZNS1_27merge_sort_block_merge_implIS3_N6thrust23THRUST_200600_302600_NS6detail15normal_iteratorINS9_10device_ptrIjEEEEPS5_jNS1_19radix_merge_compareILb0ELb1EjNS0_19identity_decomposerEEEEE10hipError_tT0_T1_T2_jT3_P12ihipStream_tbPNSt15iterator_traitsISK_E10value_typeEPNSQ_ISL_E10value_typeEPSM_NS1_7vsmem_tEENKUlT_SK_SL_SM_E_clISE_PjSF_SF_EESJ_SZ_SK_SL_SM_EUlSZ_E1_NS1_11comp_targetILNS1_3genE8ELNS1_11target_archE1030ELNS1_3gpuE2ELNS1_3repE0EEENS1_36merge_oddeven_config_static_selectorELNS0_4arch9wavefront6targetE1EEEvSL_,"axG",@progbits,_ZN7rocprim17ROCPRIM_400000_NS6detail17trampoline_kernelINS0_14default_configENS1_38merge_sort_block_merge_config_selectorIjNS0_10empty_typeEEEZZNS1_27merge_sort_block_merge_implIS3_N6thrust23THRUST_200600_302600_NS6detail15normal_iteratorINS9_10device_ptrIjEEEEPS5_jNS1_19radix_merge_compareILb0ELb1EjNS0_19identity_decomposerEEEEE10hipError_tT0_T1_T2_jT3_P12ihipStream_tbPNSt15iterator_traitsISK_E10value_typeEPNSQ_ISL_E10value_typeEPSM_NS1_7vsmem_tEENKUlT_SK_SL_SM_E_clISE_PjSF_SF_EESJ_SZ_SK_SL_SM_EUlSZ_E1_NS1_11comp_targetILNS1_3genE8ELNS1_11target_archE1030ELNS1_3gpuE2ELNS1_3repE0EEENS1_36merge_oddeven_config_static_selectorELNS0_4arch9wavefront6targetE1EEEvSL_,comdat
	.protected	_ZN7rocprim17ROCPRIM_400000_NS6detail17trampoline_kernelINS0_14default_configENS1_38merge_sort_block_merge_config_selectorIjNS0_10empty_typeEEEZZNS1_27merge_sort_block_merge_implIS3_N6thrust23THRUST_200600_302600_NS6detail15normal_iteratorINS9_10device_ptrIjEEEEPS5_jNS1_19radix_merge_compareILb0ELb1EjNS0_19identity_decomposerEEEEE10hipError_tT0_T1_T2_jT3_P12ihipStream_tbPNSt15iterator_traitsISK_E10value_typeEPNSQ_ISL_E10value_typeEPSM_NS1_7vsmem_tEENKUlT_SK_SL_SM_E_clISE_PjSF_SF_EESJ_SZ_SK_SL_SM_EUlSZ_E1_NS1_11comp_targetILNS1_3genE8ELNS1_11target_archE1030ELNS1_3gpuE2ELNS1_3repE0EEENS1_36merge_oddeven_config_static_selectorELNS0_4arch9wavefront6targetE1EEEvSL_ ; -- Begin function _ZN7rocprim17ROCPRIM_400000_NS6detail17trampoline_kernelINS0_14default_configENS1_38merge_sort_block_merge_config_selectorIjNS0_10empty_typeEEEZZNS1_27merge_sort_block_merge_implIS3_N6thrust23THRUST_200600_302600_NS6detail15normal_iteratorINS9_10device_ptrIjEEEEPS5_jNS1_19radix_merge_compareILb0ELb1EjNS0_19identity_decomposerEEEEE10hipError_tT0_T1_T2_jT3_P12ihipStream_tbPNSt15iterator_traitsISK_E10value_typeEPNSQ_ISL_E10value_typeEPSM_NS1_7vsmem_tEENKUlT_SK_SL_SM_E_clISE_PjSF_SF_EESJ_SZ_SK_SL_SM_EUlSZ_E1_NS1_11comp_targetILNS1_3genE8ELNS1_11target_archE1030ELNS1_3gpuE2ELNS1_3repE0EEENS1_36merge_oddeven_config_static_selectorELNS0_4arch9wavefront6targetE1EEEvSL_
	.globl	_ZN7rocprim17ROCPRIM_400000_NS6detail17trampoline_kernelINS0_14default_configENS1_38merge_sort_block_merge_config_selectorIjNS0_10empty_typeEEEZZNS1_27merge_sort_block_merge_implIS3_N6thrust23THRUST_200600_302600_NS6detail15normal_iteratorINS9_10device_ptrIjEEEEPS5_jNS1_19radix_merge_compareILb0ELb1EjNS0_19identity_decomposerEEEEE10hipError_tT0_T1_T2_jT3_P12ihipStream_tbPNSt15iterator_traitsISK_E10value_typeEPNSQ_ISL_E10value_typeEPSM_NS1_7vsmem_tEENKUlT_SK_SL_SM_E_clISE_PjSF_SF_EESJ_SZ_SK_SL_SM_EUlSZ_E1_NS1_11comp_targetILNS1_3genE8ELNS1_11target_archE1030ELNS1_3gpuE2ELNS1_3repE0EEENS1_36merge_oddeven_config_static_selectorELNS0_4arch9wavefront6targetE1EEEvSL_
	.p2align	8
	.type	_ZN7rocprim17ROCPRIM_400000_NS6detail17trampoline_kernelINS0_14default_configENS1_38merge_sort_block_merge_config_selectorIjNS0_10empty_typeEEEZZNS1_27merge_sort_block_merge_implIS3_N6thrust23THRUST_200600_302600_NS6detail15normal_iteratorINS9_10device_ptrIjEEEEPS5_jNS1_19radix_merge_compareILb0ELb1EjNS0_19identity_decomposerEEEEE10hipError_tT0_T1_T2_jT3_P12ihipStream_tbPNSt15iterator_traitsISK_E10value_typeEPNSQ_ISL_E10value_typeEPSM_NS1_7vsmem_tEENKUlT_SK_SL_SM_E_clISE_PjSF_SF_EESJ_SZ_SK_SL_SM_EUlSZ_E1_NS1_11comp_targetILNS1_3genE8ELNS1_11target_archE1030ELNS1_3gpuE2ELNS1_3repE0EEENS1_36merge_oddeven_config_static_selectorELNS0_4arch9wavefront6targetE1EEEvSL_,@function
_ZN7rocprim17ROCPRIM_400000_NS6detail17trampoline_kernelINS0_14default_configENS1_38merge_sort_block_merge_config_selectorIjNS0_10empty_typeEEEZZNS1_27merge_sort_block_merge_implIS3_N6thrust23THRUST_200600_302600_NS6detail15normal_iteratorINS9_10device_ptrIjEEEEPS5_jNS1_19radix_merge_compareILb0ELb1EjNS0_19identity_decomposerEEEEE10hipError_tT0_T1_T2_jT3_P12ihipStream_tbPNSt15iterator_traitsISK_E10value_typeEPNSQ_ISL_E10value_typeEPSM_NS1_7vsmem_tEENKUlT_SK_SL_SM_E_clISE_PjSF_SF_EESJ_SZ_SK_SL_SM_EUlSZ_E1_NS1_11comp_targetILNS1_3genE8ELNS1_11target_archE1030ELNS1_3gpuE2ELNS1_3repE0EEENS1_36merge_oddeven_config_static_selectorELNS0_4arch9wavefront6targetE1EEEvSL_: ; @_ZN7rocprim17ROCPRIM_400000_NS6detail17trampoline_kernelINS0_14default_configENS1_38merge_sort_block_merge_config_selectorIjNS0_10empty_typeEEEZZNS1_27merge_sort_block_merge_implIS3_N6thrust23THRUST_200600_302600_NS6detail15normal_iteratorINS9_10device_ptrIjEEEEPS5_jNS1_19radix_merge_compareILb0ELb1EjNS0_19identity_decomposerEEEEE10hipError_tT0_T1_T2_jT3_P12ihipStream_tbPNSt15iterator_traitsISK_E10value_typeEPNSQ_ISL_E10value_typeEPSM_NS1_7vsmem_tEENKUlT_SK_SL_SM_E_clISE_PjSF_SF_EESJ_SZ_SK_SL_SM_EUlSZ_E1_NS1_11comp_targetILNS1_3genE8ELNS1_11target_archE1030ELNS1_3gpuE2ELNS1_3repE0EEENS1_36merge_oddeven_config_static_selectorELNS0_4arch9wavefront6targetE1EEEvSL_
; %bb.0:
	.section	.rodata,"a",@progbits
	.p2align	6, 0x0
	.amdhsa_kernel _ZN7rocprim17ROCPRIM_400000_NS6detail17trampoline_kernelINS0_14default_configENS1_38merge_sort_block_merge_config_selectorIjNS0_10empty_typeEEEZZNS1_27merge_sort_block_merge_implIS3_N6thrust23THRUST_200600_302600_NS6detail15normal_iteratorINS9_10device_ptrIjEEEEPS5_jNS1_19radix_merge_compareILb0ELb1EjNS0_19identity_decomposerEEEEE10hipError_tT0_T1_T2_jT3_P12ihipStream_tbPNSt15iterator_traitsISK_E10value_typeEPNSQ_ISL_E10value_typeEPSM_NS1_7vsmem_tEENKUlT_SK_SL_SM_E_clISE_PjSF_SF_EESJ_SZ_SK_SL_SM_EUlSZ_E1_NS1_11comp_targetILNS1_3genE8ELNS1_11target_archE1030ELNS1_3gpuE2ELNS1_3repE0EEENS1_36merge_oddeven_config_static_selectorELNS0_4arch9wavefront6targetE1EEEvSL_
		.amdhsa_group_segment_fixed_size 0
		.amdhsa_private_segment_fixed_size 0
		.amdhsa_kernarg_size 48
		.amdhsa_user_sgpr_count 6
		.amdhsa_user_sgpr_private_segment_buffer 1
		.amdhsa_user_sgpr_dispatch_ptr 0
		.amdhsa_user_sgpr_queue_ptr 0
		.amdhsa_user_sgpr_kernarg_segment_ptr 1
		.amdhsa_user_sgpr_dispatch_id 0
		.amdhsa_user_sgpr_flat_scratch_init 0
		.amdhsa_user_sgpr_kernarg_preload_length 0
		.amdhsa_user_sgpr_kernarg_preload_offset 0
		.amdhsa_user_sgpr_private_segment_size 0
		.amdhsa_uses_dynamic_stack 0
		.amdhsa_system_sgpr_private_segment_wavefront_offset 0
		.amdhsa_system_sgpr_workgroup_id_x 1
		.amdhsa_system_sgpr_workgroup_id_y 0
		.amdhsa_system_sgpr_workgroup_id_z 0
		.amdhsa_system_sgpr_workgroup_info 0
		.amdhsa_system_vgpr_workitem_id 0
		.amdhsa_next_free_vgpr 1
		.amdhsa_next_free_sgpr 0
		.amdhsa_accum_offset 4
		.amdhsa_reserve_vcc 0
		.amdhsa_reserve_flat_scratch 0
		.amdhsa_float_round_mode_32 0
		.amdhsa_float_round_mode_16_64 0
		.amdhsa_float_denorm_mode_32 3
		.amdhsa_float_denorm_mode_16_64 3
		.amdhsa_dx10_clamp 1
		.amdhsa_ieee_mode 1
		.amdhsa_fp16_overflow 0
		.amdhsa_tg_split 0
		.amdhsa_exception_fp_ieee_invalid_op 0
		.amdhsa_exception_fp_denorm_src 0
		.amdhsa_exception_fp_ieee_div_zero 0
		.amdhsa_exception_fp_ieee_overflow 0
		.amdhsa_exception_fp_ieee_underflow 0
		.amdhsa_exception_fp_ieee_inexact 0
		.amdhsa_exception_int_div_zero 0
	.end_amdhsa_kernel
	.section	.text._ZN7rocprim17ROCPRIM_400000_NS6detail17trampoline_kernelINS0_14default_configENS1_38merge_sort_block_merge_config_selectorIjNS0_10empty_typeEEEZZNS1_27merge_sort_block_merge_implIS3_N6thrust23THRUST_200600_302600_NS6detail15normal_iteratorINS9_10device_ptrIjEEEEPS5_jNS1_19radix_merge_compareILb0ELb1EjNS0_19identity_decomposerEEEEE10hipError_tT0_T1_T2_jT3_P12ihipStream_tbPNSt15iterator_traitsISK_E10value_typeEPNSQ_ISL_E10value_typeEPSM_NS1_7vsmem_tEENKUlT_SK_SL_SM_E_clISE_PjSF_SF_EESJ_SZ_SK_SL_SM_EUlSZ_E1_NS1_11comp_targetILNS1_3genE8ELNS1_11target_archE1030ELNS1_3gpuE2ELNS1_3repE0EEENS1_36merge_oddeven_config_static_selectorELNS0_4arch9wavefront6targetE1EEEvSL_,"axG",@progbits,_ZN7rocprim17ROCPRIM_400000_NS6detail17trampoline_kernelINS0_14default_configENS1_38merge_sort_block_merge_config_selectorIjNS0_10empty_typeEEEZZNS1_27merge_sort_block_merge_implIS3_N6thrust23THRUST_200600_302600_NS6detail15normal_iteratorINS9_10device_ptrIjEEEEPS5_jNS1_19radix_merge_compareILb0ELb1EjNS0_19identity_decomposerEEEEE10hipError_tT0_T1_T2_jT3_P12ihipStream_tbPNSt15iterator_traitsISK_E10value_typeEPNSQ_ISL_E10value_typeEPSM_NS1_7vsmem_tEENKUlT_SK_SL_SM_E_clISE_PjSF_SF_EESJ_SZ_SK_SL_SM_EUlSZ_E1_NS1_11comp_targetILNS1_3genE8ELNS1_11target_archE1030ELNS1_3gpuE2ELNS1_3repE0EEENS1_36merge_oddeven_config_static_selectorELNS0_4arch9wavefront6targetE1EEEvSL_,comdat
.Lfunc_end1073:
	.size	_ZN7rocprim17ROCPRIM_400000_NS6detail17trampoline_kernelINS0_14default_configENS1_38merge_sort_block_merge_config_selectorIjNS0_10empty_typeEEEZZNS1_27merge_sort_block_merge_implIS3_N6thrust23THRUST_200600_302600_NS6detail15normal_iteratorINS9_10device_ptrIjEEEEPS5_jNS1_19radix_merge_compareILb0ELb1EjNS0_19identity_decomposerEEEEE10hipError_tT0_T1_T2_jT3_P12ihipStream_tbPNSt15iterator_traitsISK_E10value_typeEPNSQ_ISL_E10value_typeEPSM_NS1_7vsmem_tEENKUlT_SK_SL_SM_E_clISE_PjSF_SF_EESJ_SZ_SK_SL_SM_EUlSZ_E1_NS1_11comp_targetILNS1_3genE8ELNS1_11target_archE1030ELNS1_3gpuE2ELNS1_3repE0EEENS1_36merge_oddeven_config_static_selectorELNS0_4arch9wavefront6targetE1EEEvSL_, .Lfunc_end1073-_ZN7rocprim17ROCPRIM_400000_NS6detail17trampoline_kernelINS0_14default_configENS1_38merge_sort_block_merge_config_selectorIjNS0_10empty_typeEEEZZNS1_27merge_sort_block_merge_implIS3_N6thrust23THRUST_200600_302600_NS6detail15normal_iteratorINS9_10device_ptrIjEEEEPS5_jNS1_19radix_merge_compareILb0ELb1EjNS0_19identity_decomposerEEEEE10hipError_tT0_T1_T2_jT3_P12ihipStream_tbPNSt15iterator_traitsISK_E10value_typeEPNSQ_ISL_E10value_typeEPSM_NS1_7vsmem_tEENKUlT_SK_SL_SM_E_clISE_PjSF_SF_EESJ_SZ_SK_SL_SM_EUlSZ_E1_NS1_11comp_targetILNS1_3genE8ELNS1_11target_archE1030ELNS1_3gpuE2ELNS1_3repE0EEENS1_36merge_oddeven_config_static_selectorELNS0_4arch9wavefront6targetE1EEEvSL_
                                        ; -- End function
	.section	.AMDGPU.csdata,"",@progbits
; Kernel info:
; codeLenInByte = 0
; NumSgprs: 4
; NumVgprs: 0
; NumAgprs: 0
; TotalNumVgprs: 0
; ScratchSize: 0
; MemoryBound: 0
; FloatMode: 240
; IeeeMode: 1
; LDSByteSize: 0 bytes/workgroup (compile time only)
; SGPRBlocks: 0
; VGPRBlocks: 0
; NumSGPRsForWavesPerEU: 4
; NumVGPRsForWavesPerEU: 1
; AccumOffset: 4
; Occupancy: 8
; WaveLimiterHint : 0
; COMPUTE_PGM_RSRC2:SCRATCH_EN: 0
; COMPUTE_PGM_RSRC2:USER_SGPR: 6
; COMPUTE_PGM_RSRC2:TRAP_HANDLER: 0
; COMPUTE_PGM_RSRC2:TGID_X_EN: 1
; COMPUTE_PGM_RSRC2:TGID_Y_EN: 0
; COMPUTE_PGM_RSRC2:TGID_Z_EN: 0
; COMPUTE_PGM_RSRC2:TIDIG_COMP_CNT: 0
; COMPUTE_PGM_RSRC3_GFX90A:ACCUM_OFFSET: 0
; COMPUTE_PGM_RSRC3_GFX90A:TG_SPLIT: 0
	.section	.text._ZN7rocprim17ROCPRIM_400000_NS6detail17trampoline_kernelINS0_14default_configENS1_35radix_sort_onesweep_config_selectorIjNS0_10empty_typeEEEZNS1_34radix_sort_onesweep_global_offsetsIS3_Lb0EN6thrust23THRUST_200600_302600_NS6detail15normal_iteratorINS9_10device_ptrIjEEEEPS5_jNS0_19identity_decomposerEEE10hipError_tT1_T2_PT3_SK_jT4_jjP12ihipStream_tbEUlT_E_NS1_11comp_targetILNS1_3genE0ELNS1_11target_archE4294967295ELNS1_3gpuE0ELNS1_3repE0EEENS1_52radix_sort_onesweep_histogram_config_static_selectorELNS0_4arch9wavefront6targetE1EEEvSI_,"axG",@progbits,_ZN7rocprim17ROCPRIM_400000_NS6detail17trampoline_kernelINS0_14default_configENS1_35radix_sort_onesweep_config_selectorIjNS0_10empty_typeEEEZNS1_34radix_sort_onesweep_global_offsetsIS3_Lb0EN6thrust23THRUST_200600_302600_NS6detail15normal_iteratorINS9_10device_ptrIjEEEEPS5_jNS0_19identity_decomposerEEE10hipError_tT1_T2_PT3_SK_jT4_jjP12ihipStream_tbEUlT_E_NS1_11comp_targetILNS1_3genE0ELNS1_11target_archE4294967295ELNS1_3gpuE0ELNS1_3repE0EEENS1_52radix_sort_onesweep_histogram_config_static_selectorELNS0_4arch9wavefront6targetE1EEEvSI_,comdat
	.protected	_ZN7rocprim17ROCPRIM_400000_NS6detail17trampoline_kernelINS0_14default_configENS1_35radix_sort_onesweep_config_selectorIjNS0_10empty_typeEEEZNS1_34radix_sort_onesweep_global_offsetsIS3_Lb0EN6thrust23THRUST_200600_302600_NS6detail15normal_iteratorINS9_10device_ptrIjEEEEPS5_jNS0_19identity_decomposerEEE10hipError_tT1_T2_PT3_SK_jT4_jjP12ihipStream_tbEUlT_E_NS1_11comp_targetILNS1_3genE0ELNS1_11target_archE4294967295ELNS1_3gpuE0ELNS1_3repE0EEENS1_52radix_sort_onesweep_histogram_config_static_selectorELNS0_4arch9wavefront6targetE1EEEvSI_ ; -- Begin function _ZN7rocprim17ROCPRIM_400000_NS6detail17trampoline_kernelINS0_14default_configENS1_35radix_sort_onesweep_config_selectorIjNS0_10empty_typeEEEZNS1_34radix_sort_onesweep_global_offsetsIS3_Lb0EN6thrust23THRUST_200600_302600_NS6detail15normal_iteratorINS9_10device_ptrIjEEEEPS5_jNS0_19identity_decomposerEEE10hipError_tT1_T2_PT3_SK_jT4_jjP12ihipStream_tbEUlT_E_NS1_11comp_targetILNS1_3genE0ELNS1_11target_archE4294967295ELNS1_3gpuE0ELNS1_3repE0EEENS1_52radix_sort_onesweep_histogram_config_static_selectorELNS0_4arch9wavefront6targetE1EEEvSI_
	.globl	_ZN7rocprim17ROCPRIM_400000_NS6detail17trampoline_kernelINS0_14default_configENS1_35radix_sort_onesweep_config_selectorIjNS0_10empty_typeEEEZNS1_34radix_sort_onesweep_global_offsetsIS3_Lb0EN6thrust23THRUST_200600_302600_NS6detail15normal_iteratorINS9_10device_ptrIjEEEEPS5_jNS0_19identity_decomposerEEE10hipError_tT1_T2_PT3_SK_jT4_jjP12ihipStream_tbEUlT_E_NS1_11comp_targetILNS1_3genE0ELNS1_11target_archE4294967295ELNS1_3gpuE0ELNS1_3repE0EEENS1_52radix_sort_onesweep_histogram_config_static_selectorELNS0_4arch9wavefront6targetE1EEEvSI_
	.p2align	8
	.type	_ZN7rocprim17ROCPRIM_400000_NS6detail17trampoline_kernelINS0_14default_configENS1_35radix_sort_onesweep_config_selectorIjNS0_10empty_typeEEEZNS1_34radix_sort_onesweep_global_offsetsIS3_Lb0EN6thrust23THRUST_200600_302600_NS6detail15normal_iteratorINS9_10device_ptrIjEEEEPS5_jNS0_19identity_decomposerEEE10hipError_tT1_T2_PT3_SK_jT4_jjP12ihipStream_tbEUlT_E_NS1_11comp_targetILNS1_3genE0ELNS1_11target_archE4294967295ELNS1_3gpuE0ELNS1_3repE0EEENS1_52radix_sort_onesweep_histogram_config_static_selectorELNS0_4arch9wavefront6targetE1EEEvSI_,@function
_ZN7rocprim17ROCPRIM_400000_NS6detail17trampoline_kernelINS0_14default_configENS1_35radix_sort_onesweep_config_selectorIjNS0_10empty_typeEEEZNS1_34radix_sort_onesweep_global_offsetsIS3_Lb0EN6thrust23THRUST_200600_302600_NS6detail15normal_iteratorINS9_10device_ptrIjEEEEPS5_jNS0_19identity_decomposerEEE10hipError_tT1_T2_PT3_SK_jT4_jjP12ihipStream_tbEUlT_E_NS1_11comp_targetILNS1_3genE0ELNS1_11target_archE4294967295ELNS1_3gpuE0ELNS1_3repE0EEENS1_52radix_sort_onesweep_histogram_config_static_selectorELNS0_4arch9wavefront6targetE1EEEvSI_: ; @_ZN7rocprim17ROCPRIM_400000_NS6detail17trampoline_kernelINS0_14default_configENS1_35radix_sort_onesweep_config_selectorIjNS0_10empty_typeEEEZNS1_34radix_sort_onesweep_global_offsetsIS3_Lb0EN6thrust23THRUST_200600_302600_NS6detail15normal_iteratorINS9_10device_ptrIjEEEEPS5_jNS0_19identity_decomposerEEE10hipError_tT1_T2_PT3_SK_jT4_jjP12ihipStream_tbEUlT_E_NS1_11comp_targetILNS1_3genE0ELNS1_11target_archE4294967295ELNS1_3gpuE0ELNS1_3repE0EEENS1_52radix_sort_onesweep_histogram_config_static_selectorELNS0_4arch9wavefront6targetE1EEEvSI_
; %bb.0:
	.section	.rodata,"a",@progbits
	.p2align	6, 0x0
	.amdhsa_kernel _ZN7rocprim17ROCPRIM_400000_NS6detail17trampoline_kernelINS0_14default_configENS1_35radix_sort_onesweep_config_selectorIjNS0_10empty_typeEEEZNS1_34radix_sort_onesweep_global_offsetsIS3_Lb0EN6thrust23THRUST_200600_302600_NS6detail15normal_iteratorINS9_10device_ptrIjEEEEPS5_jNS0_19identity_decomposerEEE10hipError_tT1_T2_PT3_SK_jT4_jjP12ihipStream_tbEUlT_E_NS1_11comp_targetILNS1_3genE0ELNS1_11target_archE4294967295ELNS1_3gpuE0ELNS1_3repE0EEENS1_52radix_sort_onesweep_histogram_config_static_selectorELNS0_4arch9wavefront6targetE1EEEvSI_
		.amdhsa_group_segment_fixed_size 0
		.amdhsa_private_segment_fixed_size 0
		.amdhsa_kernarg_size 40
		.amdhsa_user_sgpr_count 6
		.amdhsa_user_sgpr_private_segment_buffer 1
		.amdhsa_user_sgpr_dispatch_ptr 0
		.amdhsa_user_sgpr_queue_ptr 0
		.amdhsa_user_sgpr_kernarg_segment_ptr 1
		.amdhsa_user_sgpr_dispatch_id 0
		.amdhsa_user_sgpr_flat_scratch_init 0
		.amdhsa_user_sgpr_kernarg_preload_length 0
		.amdhsa_user_sgpr_kernarg_preload_offset 0
		.amdhsa_user_sgpr_private_segment_size 0
		.amdhsa_uses_dynamic_stack 0
		.amdhsa_system_sgpr_private_segment_wavefront_offset 0
		.amdhsa_system_sgpr_workgroup_id_x 1
		.amdhsa_system_sgpr_workgroup_id_y 0
		.amdhsa_system_sgpr_workgroup_id_z 0
		.amdhsa_system_sgpr_workgroup_info 0
		.amdhsa_system_vgpr_workitem_id 0
		.amdhsa_next_free_vgpr 1
		.amdhsa_next_free_sgpr 0
		.amdhsa_accum_offset 4
		.amdhsa_reserve_vcc 0
		.amdhsa_reserve_flat_scratch 0
		.amdhsa_float_round_mode_32 0
		.amdhsa_float_round_mode_16_64 0
		.amdhsa_float_denorm_mode_32 3
		.amdhsa_float_denorm_mode_16_64 3
		.amdhsa_dx10_clamp 1
		.amdhsa_ieee_mode 1
		.amdhsa_fp16_overflow 0
		.amdhsa_tg_split 0
		.amdhsa_exception_fp_ieee_invalid_op 0
		.amdhsa_exception_fp_denorm_src 0
		.amdhsa_exception_fp_ieee_div_zero 0
		.amdhsa_exception_fp_ieee_overflow 0
		.amdhsa_exception_fp_ieee_underflow 0
		.amdhsa_exception_fp_ieee_inexact 0
		.amdhsa_exception_int_div_zero 0
	.end_amdhsa_kernel
	.section	.text._ZN7rocprim17ROCPRIM_400000_NS6detail17trampoline_kernelINS0_14default_configENS1_35radix_sort_onesweep_config_selectorIjNS0_10empty_typeEEEZNS1_34radix_sort_onesweep_global_offsetsIS3_Lb0EN6thrust23THRUST_200600_302600_NS6detail15normal_iteratorINS9_10device_ptrIjEEEEPS5_jNS0_19identity_decomposerEEE10hipError_tT1_T2_PT3_SK_jT4_jjP12ihipStream_tbEUlT_E_NS1_11comp_targetILNS1_3genE0ELNS1_11target_archE4294967295ELNS1_3gpuE0ELNS1_3repE0EEENS1_52radix_sort_onesweep_histogram_config_static_selectorELNS0_4arch9wavefront6targetE1EEEvSI_,"axG",@progbits,_ZN7rocprim17ROCPRIM_400000_NS6detail17trampoline_kernelINS0_14default_configENS1_35radix_sort_onesweep_config_selectorIjNS0_10empty_typeEEEZNS1_34radix_sort_onesweep_global_offsetsIS3_Lb0EN6thrust23THRUST_200600_302600_NS6detail15normal_iteratorINS9_10device_ptrIjEEEEPS5_jNS0_19identity_decomposerEEE10hipError_tT1_T2_PT3_SK_jT4_jjP12ihipStream_tbEUlT_E_NS1_11comp_targetILNS1_3genE0ELNS1_11target_archE4294967295ELNS1_3gpuE0ELNS1_3repE0EEENS1_52radix_sort_onesweep_histogram_config_static_selectorELNS0_4arch9wavefront6targetE1EEEvSI_,comdat
.Lfunc_end1074:
	.size	_ZN7rocprim17ROCPRIM_400000_NS6detail17trampoline_kernelINS0_14default_configENS1_35radix_sort_onesweep_config_selectorIjNS0_10empty_typeEEEZNS1_34radix_sort_onesweep_global_offsetsIS3_Lb0EN6thrust23THRUST_200600_302600_NS6detail15normal_iteratorINS9_10device_ptrIjEEEEPS5_jNS0_19identity_decomposerEEE10hipError_tT1_T2_PT3_SK_jT4_jjP12ihipStream_tbEUlT_E_NS1_11comp_targetILNS1_3genE0ELNS1_11target_archE4294967295ELNS1_3gpuE0ELNS1_3repE0EEENS1_52radix_sort_onesweep_histogram_config_static_selectorELNS0_4arch9wavefront6targetE1EEEvSI_, .Lfunc_end1074-_ZN7rocprim17ROCPRIM_400000_NS6detail17trampoline_kernelINS0_14default_configENS1_35radix_sort_onesweep_config_selectorIjNS0_10empty_typeEEEZNS1_34radix_sort_onesweep_global_offsetsIS3_Lb0EN6thrust23THRUST_200600_302600_NS6detail15normal_iteratorINS9_10device_ptrIjEEEEPS5_jNS0_19identity_decomposerEEE10hipError_tT1_T2_PT3_SK_jT4_jjP12ihipStream_tbEUlT_E_NS1_11comp_targetILNS1_3genE0ELNS1_11target_archE4294967295ELNS1_3gpuE0ELNS1_3repE0EEENS1_52radix_sort_onesweep_histogram_config_static_selectorELNS0_4arch9wavefront6targetE1EEEvSI_
                                        ; -- End function
	.section	.AMDGPU.csdata,"",@progbits
; Kernel info:
; codeLenInByte = 0
; NumSgprs: 4
; NumVgprs: 0
; NumAgprs: 0
; TotalNumVgprs: 0
; ScratchSize: 0
; MemoryBound: 0
; FloatMode: 240
; IeeeMode: 1
; LDSByteSize: 0 bytes/workgroup (compile time only)
; SGPRBlocks: 0
; VGPRBlocks: 0
; NumSGPRsForWavesPerEU: 4
; NumVGPRsForWavesPerEU: 1
; AccumOffset: 4
; Occupancy: 8
; WaveLimiterHint : 0
; COMPUTE_PGM_RSRC2:SCRATCH_EN: 0
; COMPUTE_PGM_RSRC2:USER_SGPR: 6
; COMPUTE_PGM_RSRC2:TRAP_HANDLER: 0
; COMPUTE_PGM_RSRC2:TGID_X_EN: 1
; COMPUTE_PGM_RSRC2:TGID_Y_EN: 0
; COMPUTE_PGM_RSRC2:TGID_Z_EN: 0
; COMPUTE_PGM_RSRC2:TIDIG_COMP_CNT: 0
; COMPUTE_PGM_RSRC3_GFX90A:ACCUM_OFFSET: 0
; COMPUTE_PGM_RSRC3_GFX90A:TG_SPLIT: 0
	.section	.text._ZN7rocprim17ROCPRIM_400000_NS6detail17trampoline_kernelINS0_14default_configENS1_35radix_sort_onesweep_config_selectorIjNS0_10empty_typeEEEZNS1_34radix_sort_onesweep_global_offsetsIS3_Lb0EN6thrust23THRUST_200600_302600_NS6detail15normal_iteratorINS9_10device_ptrIjEEEEPS5_jNS0_19identity_decomposerEEE10hipError_tT1_T2_PT3_SK_jT4_jjP12ihipStream_tbEUlT_E_NS1_11comp_targetILNS1_3genE6ELNS1_11target_archE950ELNS1_3gpuE13ELNS1_3repE0EEENS1_52radix_sort_onesweep_histogram_config_static_selectorELNS0_4arch9wavefront6targetE1EEEvSI_,"axG",@progbits,_ZN7rocprim17ROCPRIM_400000_NS6detail17trampoline_kernelINS0_14default_configENS1_35radix_sort_onesweep_config_selectorIjNS0_10empty_typeEEEZNS1_34radix_sort_onesweep_global_offsetsIS3_Lb0EN6thrust23THRUST_200600_302600_NS6detail15normal_iteratorINS9_10device_ptrIjEEEEPS5_jNS0_19identity_decomposerEEE10hipError_tT1_T2_PT3_SK_jT4_jjP12ihipStream_tbEUlT_E_NS1_11comp_targetILNS1_3genE6ELNS1_11target_archE950ELNS1_3gpuE13ELNS1_3repE0EEENS1_52radix_sort_onesweep_histogram_config_static_selectorELNS0_4arch9wavefront6targetE1EEEvSI_,comdat
	.protected	_ZN7rocprim17ROCPRIM_400000_NS6detail17trampoline_kernelINS0_14default_configENS1_35radix_sort_onesweep_config_selectorIjNS0_10empty_typeEEEZNS1_34radix_sort_onesweep_global_offsetsIS3_Lb0EN6thrust23THRUST_200600_302600_NS6detail15normal_iteratorINS9_10device_ptrIjEEEEPS5_jNS0_19identity_decomposerEEE10hipError_tT1_T2_PT3_SK_jT4_jjP12ihipStream_tbEUlT_E_NS1_11comp_targetILNS1_3genE6ELNS1_11target_archE950ELNS1_3gpuE13ELNS1_3repE0EEENS1_52radix_sort_onesweep_histogram_config_static_selectorELNS0_4arch9wavefront6targetE1EEEvSI_ ; -- Begin function _ZN7rocprim17ROCPRIM_400000_NS6detail17trampoline_kernelINS0_14default_configENS1_35radix_sort_onesweep_config_selectorIjNS0_10empty_typeEEEZNS1_34radix_sort_onesweep_global_offsetsIS3_Lb0EN6thrust23THRUST_200600_302600_NS6detail15normal_iteratorINS9_10device_ptrIjEEEEPS5_jNS0_19identity_decomposerEEE10hipError_tT1_T2_PT3_SK_jT4_jjP12ihipStream_tbEUlT_E_NS1_11comp_targetILNS1_3genE6ELNS1_11target_archE950ELNS1_3gpuE13ELNS1_3repE0EEENS1_52radix_sort_onesweep_histogram_config_static_selectorELNS0_4arch9wavefront6targetE1EEEvSI_
	.globl	_ZN7rocprim17ROCPRIM_400000_NS6detail17trampoline_kernelINS0_14default_configENS1_35radix_sort_onesweep_config_selectorIjNS0_10empty_typeEEEZNS1_34radix_sort_onesweep_global_offsetsIS3_Lb0EN6thrust23THRUST_200600_302600_NS6detail15normal_iteratorINS9_10device_ptrIjEEEEPS5_jNS0_19identity_decomposerEEE10hipError_tT1_T2_PT3_SK_jT4_jjP12ihipStream_tbEUlT_E_NS1_11comp_targetILNS1_3genE6ELNS1_11target_archE950ELNS1_3gpuE13ELNS1_3repE0EEENS1_52radix_sort_onesweep_histogram_config_static_selectorELNS0_4arch9wavefront6targetE1EEEvSI_
	.p2align	8
	.type	_ZN7rocprim17ROCPRIM_400000_NS6detail17trampoline_kernelINS0_14default_configENS1_35radix_sort_onesweep_config_selectorIjNS0_10empty_typeEEEZNS1_34radix_sort_onesweep_global_offsetsIS3_Lb0EN6thrust23THRUST_200600_302600_NS6detail15normal_iteratorINS9_10device_ptrIjEEEEPS5_jNS0_19identity_decomposerEEE10hipError_tT1_T2_PT3_SK_jT4_jjP12ihipStream_tbEUlT_E_NS1_11comp_targetILNS1_3genE6ELNS1_11target_archE950ELNS1_3gpuE13ELNS1_3repE0EEENS1_52radix_sort_onesweep_histogram_config_static_selectorELNS0_4arch9wavefront6targetE1EEEvSI_,@function
_ZN7rocprim17ROCPRIM_400000_NS6detail17trampoline_kernelINS0_14default_configENS1_35radix_sort_onesweep_config_selectorIjNS0_10empty_typeEEEZNS1_34radix_sort_onesweep_global_offsetsIS3_Lb0EN6thrust23THRUST_200600_302600_NS6detail15normal_iteratorINS9_10device_ptrIjEEEEPS5_jNS0_19identity_decomposerEEE10hipError_tT1_T2_PT3_SK_jT4_jjP12ihipStream_tbEUlT_E_NS1_11comp_targetILNS1_3genE6ELNS1_11target_archE950ELNS1_3gpuE13ELNS1_3repE0EEENS1_52radix_sort_onesweep_histogram_config_static_selectorELNS0_4arch9wavefront6targetE1EEEvSI_: ; @_ZN7rocprim17ROCPRIM_400000_NS6detail17trampoline_kernelINS0_14default_configENS1_35radix_sort_onesweep_config_selectorIjNS0_10empty_typeEEEZNS1_34radix_sort_onesweep_global_offsetsIS3_Lb0EN6thrust23THRUST_200600_302600_NS6detail15normal_iteratorINS9_10device_ptrIjEEEEPS5_jNS0_19identity_decomposerEEE10hipError_tT1_T2_PT3_SK_jT4_jjP12ihipStream_tbEUlT_E_NS1_11comp_targetILNS1_3genE6ELNS1_11target_archE950ELNS1_3gpuE13ELNS1_3repE0EEENS1_52radix_sort_onesweep_histogram_config_static_selectorELNS0_4arch9wavefront6targetE1EEEvSI_
; %bb.0:
	.section	.rodata,"a",@progbits
	.p2align	6, 0x0
	.amdhsa_kernel _ZN7rocprim17ROCPRIM_400000_NS6detail17trampoline_kernelINS0_14default_configENS1_35radix_sort_onesweep_config_selectorIjNS0_10empty_typeEEEZNS1_34radix_sort_onesweep_global_offsetsIS3_Lb0EN6thrust23THRUST_200600_302600_NS6detail15normal_iteratorINS9_10device_ptrIjEEEEPS5_jNS0_19identity_decomposerEEE10hipError_tT1_T2_PT3_SK_jT4_jjP12ihipStream_tbEUlT_E_NS1_11comp_targetILNS1_3genE6ELNS1_11target_archE950ELNS1_3gpuE13ELNS1_3repE0EEENS1_52radix_sort_onesweep_histogram_config_static_selectorELNS0_4arch9wavefront6targetE1EEEvSI_
		.amdhsa_group_segment_fixed_size 0
		.amdhsa_private_segment_fixed_size 0
		.amdhsa_kernarg_size 40
		.amdhsa_user_sgpr_count 6
		.amdhsa_user_sgpr_private_segment_buffer 1
		.amdhsa_user_sgpr_dispatch_ptr 0
		.amdhsa_user_sgpr_queue_ptr 0
		.amdhsa_user_sgpr_kernarg_segment_ptr 1
		.amdhsa_user_sgpr_dispatch_id 0
		.amdhsa_user_sgpr_flat_scratch_init 0
		.amdhsa_user_sgpr_kernarg_preload_length 0
		.amdhsa_user_sgpr_kernarg_preload_offset 0
		.amdhsa_user_sgpr_private_segment_size 0
		.amdhsa_uses_dynamic_stack 0
		.amdhsa_system_sgpr_private_segment_wavefront_offset 0
		.amdhsa_system_sgpr_workgroup_id_x 1
		.amdhsa_system_sgpr_workgroup_id_y 0
		.amdhsa_system_sgpr_workgroup_id_z 0
		.amdhsa_system_sgpr_workgroup_info 0
		.amdhsa_system_vgpr_workitem_id 0
		.amdhsa_next_free_vgpr 1
		.amdhsa_next_free_sgpr 0
		.amdhsa_accum_offset 4
		.amdhsa_reserve_vcc 0
		.amdhsa_reserve_flat_scratch 0
		.amdhsa_float_round_mode_32 0
		.amdhsa_float_round_mode_16_64 0
		.amdhsa_float_denorm_mode_32 3
		.amdhsa_float_denorm_mode_16_64 3
		.amdhsa_dx10_clamp 1
		.amdhsa_ieee_mode 1
		.amdhsa_fp16_overflow 0
		.amdhsa_tg_split 0
		.amdhsa_exception_fp_ieee_invalid_op 0
		.amdhsa_exception_fp_denorm_src 0
		.amdhsa_exception_fp_ieee_div_zero 0
		.amdhsa_exception_fp_ieee_overflow 0
		.amdhsa_exception_fp_ieee_underflow 0
		.amdhsa_exception_fp_ieee_inexact 0
		.amdhsa_exception_int_div_zero 0
	.end_amdhsa_kernel
	.section	.text._ZN7rocprim17ROCPRIM_400000_NS6detail17trampoline_kernelINS0_14default_configENS1_35radix_sort_onesweep_config_selectorIjNS0_10empty_typeEEEZNS1_34radix_sort_onesweep_global_offsetsIS3_Lb0EN6thrust23THRUST_200600_302600_NS6detail15normal_iteratorINS9_10device_ptrIjEEEEPS5_jNS0_19identity_decomposerEEE10hipError_tT1_T2_PT3_SK_jT4_jjP12ihipStream_tbEUlT_E_NS1_11comp_targetILNS1_3genE6ELNS1_11target_archE950ELNS1_3gpuE13ELNS1_3repE0EEENS1_52radix_sort_onesweep_histogram_config_static_selectorELNS0_4arch9wavefront6targetE1EEEvSI_,"axG",@progbits,_ZN7rocprim17ROCPRIM_400000_NS6detail17trampoline_kernelINS0_14default_configENS1_35radix_sort_onesweep_config_selectorIjNS0_10empty_typeEEEZNS1_34radix_sort_onesweep_global_offsetsIS3_Lb0EN6thrust23THRUST_200600_302600_NS6detail15normal_iteratorINS9_10device_ptrIjEEEEPS5_jNS0_19identity_decomposerEEE10hipError_tT1_T2_PT3_SK_jT4_jjP12ihipStream_tbEUlT_E_NS1_11comp_targetILNS1_3genE6ELNS1_11target_archE950ELNS1_3gpuE13ELNS1_3repE0EEENS1_52radix_sort_onesweep_histogram_config_static_selectorELNS0_4arch9wavefront6targetE1EEEvSI_,comdat
.Lfunc_end1075:
	.size	_ZN7rocprim17ROCPRIM_400000_NS6detail17trampoline_kernelINS0_14default_configENS1_35radix_sort_onesweep_config_selectorIjNS0_10empty_typeEEEZNS1_34radix_sort_onesweep_global_offsetsIS3_Lb0EN6thrust23THRUST_200600_302600_NS6detail15normal_iteratorINS9_10device_ptrIjEEEEPS5_jNS0_19identity_decomposerEEE10hipError_tT1_T2_PT3_SK_jT4_jjP12ihipStream_tbEUlT_E_NS1_11comp_targetILNS1_3genE6ELNS1_11target_archE950ELNS1_3gpuE13ELNS1_3repE0EEENS1_52radix_sort_onesweep_histogram_config_static_selectorELNS0_4arch9wavefront6targetE1EEEvSI_, .Lfunc_end1075-_ZN7rocprim17ROCPRIM_400000_NS6detail17trampoline_kernelINS0_14default_configENS1_35radix_sort_onesweep_config_selectorIjNS0_10empty_typeEEEZNS1_34radix_sort_onesweep_global_offsetsIS3_Lb0EN6thrust23THRUST_200600_302600_NS6detail15normal_iteratorINS9_10device_ptrIjEEEEPS5_jNS0_19identity_decomposerEEE10hipError_tT1_T2_PT3_SK_jT4_jjP12ihipStream_tbEUlT_E_NS1_11comp_targetILNS1_3genE6ELNS1_11target_archE950ELNS1_3gpuE13ELNS1_3repE0EEENS1_52radix_sort_onesweep_histogram_config_static_selectorELNS0_4arch9wavefront6targetE1EEEvSI_
                                        ; -- End function
	.section	.AMDGPU.csdata,"",@progbits
; Kernel info:
; codeLenInByte = 0
; NumSgprs: 4
; NumVgprs: 0
; NumAgprs: 0
; TotalNumVgprs: 0
; ScratchSize: 0
; MemoryBound: 0
; FloatMode: 240
; IeeeMode: 1
; LDSByteSize: 0 bytes/workgroup (compile time only)
; SGPRBlocks: 0
; VGPRBlocks: 0
; NumSGPRsForWavesPerEU: 4
; NumVGPRsForWavesPerEU: 1
; AccumOffset: 4
; Occupancy: 8
; WaveLimiterHint : 0
; COMPUTE_PGM_RSRC2:SCRATCH_EN: 0
; COMPUTE_PGM_RSRC2:USER_SGPR: 6
; COMPUTE_PGM_RSRC2:TRAP_HANDLER: 0
; COMPUTE_PGM_RSRC2:TGID_X_EN: 1
; COMPUTE_PGM_RSRC2:TGID_Y_EN: 0
; COMPUTE_PGM_RSRC2:TGID_Z_EN: 0
; COMPUTE_PGM_RSRC2:TIDIG_COMP_CNT: 0
; COMPUTE_PGM_RSRC3_GFX90A:ACCUM_OFFSET: 0
; COMPUTE_PGM_RSRC3_GFX90A:TG_SPLIT: 0
	.section	.text._ZN7rocprim17ROCPRIM_400000_NS6detail17trampoline_kernelINS0_14default_configENS1_35radix_sort_onesweep_config_selectorIjNS0_10empty_typeEEEZNS1_34radix_sort_onesweep_global_offsetsIS3_Lb0EN6thrust23THRUST_200600_302600_NS6detail15normal_iteratorINS9_10device_ptrIjEEEEPS5_jNS0_19identity_decomposerEEE10hipError_tT1_T2_PT3_SK_jT4_jjP12ihipStream_tbEUlT_E_NS1_11comp_targetILNS1_3genE5ELNS1_11target_archE942ELNS1_3gpuE9ELNS1_3repE0EEENS1_52radix_sort_onesweep_histogram_config_static_selectorELNS0_4arch9wavefront6targetE1EEEvSI_,"axG",@progbits,_ZN7rocprim17ROCPRIM_400000_NS6detail17trampoline_kernelINS0_14default_configENS1_35radix_sort_onesweep_config_selectorIjNS0_10empty_typeEEEZNS1_34radix_sort_onesweep_global_offsetsIS3_Lb0EN6thrust23THRUST_200600_302600_NS6detail15normal_iteratorINS9_10device_ptrIjEEEEPS5_jNS0_19identity_decomposerEEE10hipError_tT1_T2_PT3_SK_jT4_jjP12ihipStream_tbEUlT_E_NS1_11comp_targetILNS1_3genE5ELNS1_11target_archE942ELNS1_3gpuE9ELNS1_3repE0EEENS1_52radix_sort_onesweep_histogram_config_static_selectorELNS0_4arch9wavefront6targetE1EEEvSI_,comdat
	.protected	_ZN7rocprim17ROCPRIM_400000_NS6detail17trampoline_kernelINS0_14default_configENS1_35radix_sort_onesweep_config_selectorIjNS0_10empty_typeEEEZNS1_34radix_sort_onesweep_global_offsetsIS3_Lb0EN6thrust23THRUST_200600_302600_NS6detail15normal_iteratorINS9_10device_ptrIjEEEEPS5_jNS0_19identity_decomposerEEE10hipError_tT1_T2_PT3_SK_jT4_jjP12ihipStream_tbEUlT_E_NS1_11comp_targetILNS1_3genE5ELNS1_11target_archE942ELNS1_3gpuE9ELNS1_3repE0EEENS1_52radix_sort_onesweep_histogram_config_static_selectorELNS0_4arch9wavefront6targetE1EEEvSI_ ; -- Begin function _ZN7rocprim17ROCPRIM_400000_NS6detail17trampoline_kernelINS0_14default_configENS1_35radix_sort_onesweep_config_selectorIjNS0_10empty_typeEEEZNS1_34radix_sort_onesweep_global_offsetsIS3_Lb0EN6thrust23THRUST_200600_302600_NS6detail15normal_iteratorINS9_10device_ptrIjEEEEPS5_jNS0_19identity_decomposerEEE10hipError_tT1_T2_PT3_SK_jT4_jjP12ihipStream_tbEUlT_E_NS1_11comp_targetILNS1_3genE5ELNS1_11target_archE942ELNS1_3gpuE9ELNS1_3repE0EEENS1_52radix_sort_onesweep_histogram_config_static_selectorELNS0_4arch9wavefront6targetE1EEEvSI_
	.globl	_ZN7rocprim17ROCPRIM_400000_NS6detail17trampoline_kernelINS0_14default_configENS1_35radix_sort_onesweep_config_selectorIjNS0_10empty_typeEEEZNS1_34radix_sort_onesweep_global_offsetsIS3_Lb0EN6thrust23THRUST_200600_302600_NS6detail15normal_iteratorINS9_10device_ptrIjEEEEPS5_jNS0_19identity_decomposerEEE10hipError_tT1_T2_PT3_SK_jT4_jjP12ihipStream_tbEUlT_E_NS1_11comp_targetILNS1_3genE5ELNS1_11target_archE942ELNS1_3gpuE9ELNS1_3repE0EEENS1_52radix_sort_onesweep_histogram_config_static_selectorELNS0_4arch9wavefront6targetE1EEEvSI_
	.p2align	8
	.type	_ZN7rocprim17ROCPRIM_400000_NS6detail17trampoline_kernelINS0_14default_configENS1_35radix_sort_onesweep_config_selectorIjNS0_10empty_typeEEEZNS1_34radix_sort_onesweep_global_offsetsIS3_Lb0EN6thrust23THRUST_200600_302600_NS6detail15normal_iteratorINS9_10device_ptrIjEEEEPS5_jNS0_19identity_decomposerEEE10hipError_tT1_T2_PT3_SK_jT4_jjP12ihipStream_tbEUlT_E_NS1_11comp_targetILNS1_3genE5ELNS1_11target_archE942ELNS1_3gpuE9ELNS1_3repE0EEENS1_52radix_sort_onesweep_histogram_config_static_selectorELNS0_4arch9wavefront6targetE1EEEvSI_,@function
_ZN7rocprim17ROCPRIM_400000_NS6detail17trampoline_kernelINS0_14default_configENS1_35radix_sort_onesweep_config_selectorIjNS0_10empty_typeEEEZNS1_34radix_sort_onesweep_global_offsetsIS3_Lb0EN6thrust23THRUST_200600_302600_NS6detail15normal_iteratorINS9_10device_ptrIjEEEEPS5_jNS0_19identity_decomposerEEE10hipError_tT1_T2_PT3_SK_jT4_jjP12ihipStream_tbEUlT_E_NS1_11comp_targetILNS1_3genE5ELNS1_11target_archE942ELNS1_3gpuE9ELNS1_3repE0EEENS1_52radix_sort_onesweep_histogram_config_static_selectorELNS0_4arch9wavefront6targetE1EEEvSI_: ; @_ZN7rocprim17ROCPRIM_400000_NS6detail17trampoline_kernelINS0_14default_configENS1_35radix_sort_onesweep_config_selectorIjNS0_10empty_typeEEEZNS1_34radix_sort_onesweep_global_offsetsIS3_Lb0EN6thrust23THRUST_200600_302600_NS6detail15normal_iteratorINS9_10device_ptrIjEEEEPS5_jNS0_19identity_decomposerEEE10hipError_tT1_T2_PT3_SK_jT4_jjP12ihipStream_tbEUlT_E_NS1_11comp_targetILNS1_3genE5ELNS1_11target_archE942ELNS1_3gpuE9ELNS1_3repE0EEENS1_52radix_sort_onesweep_histogram_config_static_selectorELNS0_4arch9wavefront6targetE1EEEvSI_
; %bb.0:
	.section	.rodata,"a",@progbits
	.p2align	6, 0x0
	.amdhsa_kernel _ZN7rocprim17ROCPRIM_400000_NS6detail17trampoline_kernelINS0_14default_configENS1_35radix_sort_onesweep_config_selectorIjNS0_10empty_typeEEEZNS1_34radix_sort_onesweep_global_offsetsIS3_Lb0EN6thrust23THRUST_200600_302600_NS6detail15normal_iteratorINS9_10device_ptrIjEEEEPS5_jNS0_19identity_decomposerEEE10hipError_tT1_T2_PT3_SK_jT4_jjP12ihipStream_tbEUlT_E_NS1_11comp_targetILNS1_3genE5ELNS1_11target_archE942ELNS1_3gpuE9ELNS1_3repE0EEENS1_52radix_sort_onesweep_histogram_config_static_selectorELNS0_4arch9wavefront6targetE1EEEvSI_
		.amdhsa_group_segment_fixed_size 0
		.amdhsa_private_segment_fixed_size 0
		.amdhsa_kernarg_size 40
		.amdhsa_user_sgpr_count 6
		.amdhsa_user_sgpr_private_segment_buffer 1
		.amdhsa_user_sgpr_dispatch_ptr 0
		.amdhsa_user_sgpr_queue_ptr 0
		.amdhsa_user_sgpr_kernarg_segment_ptr 1
		.amdhsa_user_sgpr_dispatch_id 0
		.amdhsa_user_sgpr_flat_scratch_init 0
		.amdhsa_user_sgpr_kernarg_preload_length 0
		.amdhsa_user_sgpr_kernarg_preload_offset 0
		.amdhsa_user_sgpr_private_segment_size 0
		.amdhsa_uses_dynamic_stack 0
		.amdhsa_system_sgpr_private_segment_wavefront_offset 0
		.amdhsa_system_sgpr_workgroup_id_x 1
		.amdhsa_system_sgpr_workgroup_id_y 0
		.amdhsa_system_sgpr_workgroup_id_z 0
		.amdhsa_system_sgpr_workgroup_info 0
		.amdhsa_system_vgpr_workitem_id 0
		.amdhsa_next_free_vgpr 1
		.amdhsa_next_free_sgpr 0
		.amdhsa_accum_offset 4
		.amdhsa_reserve_vcc 0
		.amdhsa_reserve_flat_scratch 0
		.amdhsa_float_round_mode_32 0
		.amdhsa_float_round_mode_16_64 0
		.amdhsa_float_denorm_mode_32 3
		.amdhsa_float_denorm_mode_16_64 3
		.amdhsa_dx10_clamp 1
		.amdhsa_ieee_mode 1
		.amdhsa_fp16_overflow 0
		.amdhsa_tg_split 0
		.amdhsa_exception_fp_ieee_invalid_op 0
		.amdhsa_exception_fp_denorm_src 0
		.amdhsa_exception_fp_ieee_div_zero 0
		.amdhsa_exception_fp_ieee_overflow 0
		.amdhsa_exception_fp_ieee_underflow 0
		.amdhsa_exception_fp_ieee_inexact 0
		.amdhsa_exception_int_div_zero 0
	.end_amdhsa_kernel
	.section	.text._ZN7rocprim17ROCPRIM_400000_NS6detail17trampoline_kernelINS0_14default_configENS1_35radix_sort_onesweep_config_selectorIjNS0_10empty_typeEEEZNS1_34radix_sort_onesweep_global_offsetsIS3_Lb0EN6thrust23THRUST_200600_302600_NS6detail15normal_iteratorINS9_10device_ptrIjEEEEPS5_jNS0_19identity_decomposerEEE10hipError_tT1_T2_PT3_SK_jT4_jjP12ihipStream_tbEUlT_E_NS1_11comp_targetILNS1_3genE5ELNS1_11target_archE942ELNS1_3gpuE9ELNS1_3repE0EEENS1_52radix_sort_onesweep_histogram_config_static_selectorELNS0_4arch9wavefront6targetE1EEEvSI_,"axG",@progbits,_ZN7rocprim17ROCPRIM_400000_NS6detail17trampoline_kernelINS0_14default_configENS1_35radix_sort_onesweep_config_selectorIjNS0_10empty_typeEEEZNS1_34radix_sort_onesweep_global_offsetsIS3_Lb0EN6thrust23THRUST_200600_302600_NS6detail15normal_iteratorINS9_10device_ptrIjEEEEPS5_jNS0_19identity_decomposerEEE10hipError_tT1_T2_PT3_SK_jT4_jjP12ihipStream_tbEUlT_E_NS1_11comp_targetILNS1_3genE5ELNS1_11target_archE942ELNS1_3gpuE9ELNS1_3repE0EEENS1_52radix_sort_onesweep_histogram_config_static_selectorELNS0_4arch9wavefront6targetE1EEEvSI_,comdat
.Lfunc_end1076:
	.size	_ZN7rocprim17ROCPRIM_400000_NS6detail17trampoline_kernelINS0_14default_configENS1_35radix_sort_onesweep_config_selectorIjNS0_10empty_typeEEEZNS1_34radix_sort_onesweep_global_offsetsIS3_Lb0EN6thrust23THRUST_200600_302600_NS6detail15normal_iteratorINS9_10device_ptrIjEEEEPS5_jNS0_19identity_decomposerEEE10hipError_tT1_T2_PT3_SK_jT4_jjP12ihipStream_tbEUlT_E_NS1_11comp_targetILNS1_3genE5ELNS1_11target_archE942ELNS1_3gpuE9ELNS1_3repE0EEENS1_52radix_sort_onesweep_histogram_config_static_selectorELNS0_4arch9wavefront6targetE1EEEvSI_, .Lfunc_end1076-_ZN7rocprim17ROCPRIM_400000_NS6detail17trampoline_kernelINS0_14default_configENS1_35radix_sort_onesweep_config_selectorIjNS0_10empty_typeEEEZNS1_34radix_sort_onesweep_global_offsetsIS3_Lb0EN6thrust23THRUST_200600_302600_NS6detail15normal_iteratorINS9_10device_ptrIjEEEEPS5_jNS0_19identity_decomposerEEE10hipError_tT1_T2_PT3_SK_jT4_jjP12ihipStream_tbEUlT_E_NS1_11comp_targetILNS1_3genE5ELNS1_11target_archE942ELNS1_3gpuE9ELNS1_3repE0EEENS1_52radix_sort_onesweep_histogram_config_static_selectorELNS0_4arch9wavefront6targetE1EEEvSI_
                                        ; -- End function
	.section	.AMDGPU.csdata,"",@progbits
; Kernel info:
; codeLenInByte = 0
; NumSgprs: 4
; NumVgprs: 0
; NumAgprs: 0
; TotalNumVgprs: 0
; ScratchSize: 0
; MemoryBound: 0
; FloatMode: 240
; IeeeMode: 1
; LDSByteSize: 0 bytes/workgroup (compile time only)
; SGPRBlocks: 0
; VGPRBlocks: 0
; NumSGPRsForWavesPerEU: 4
; NumVGPRsForWavesPerEU: 1
; AccumOffset: 4
; Occupancy: 8
; WaveLimiterHint : 0
; COMPUTE_PGM_RSRC2:SCRATCH_EN: 0
; COMPUTE_PGM_RSRC2:USER_SGPR: 6
; COMPUTE_PGM_RSRC2:TRAP_HANDLER: 0
; COMPUTE_PGM_RSRC2:TGID_X_EN: 1
; COMPUTE_PGM_RSRC2:TGID_Y_EN: 0
; COMPUTE_PGM_RSRC2:TGID_Z_EN: 0
; COMPUTE_PGM_RSRC2:TIDIG_COMP_CNT: 0
; COMPUTE_PGM_RSRC3_GFX90A:ACCUM_OFFSET: 0
; COMPUTE_PGM_RSRC3_GFX90A:TG_SPLIT: 0
	.section	.text._ZN7rocprim17ROCPRIM_400000_NS6detail17trampoline_kernelINS0_14default_configENS1_35radix_sort_onesweep_config_selectorIjNS0_10empty_typeEEEZNS1_34radix_sort_onesweep_global_offsetsIS3_Lb0EN6thrust23THRUST_200600_302600_NS6detail15normal_iteratorINS9_10device_ptrIjEEEEPS5_jNS0_19identity_decomposerEEE10hipError_tT1_T2_PT3_SK_jT4_jjP12ihipStream_tbEUlT_E_NS1_11comp_targetILNS1_3genE2ELNS1_11target_archE906ELNS1_3gpuE6ELNS1_3repE0EEENS1_52radix_sort_onesweep_histogram_config_static_selectorELNS0_4arch9wavefront6targetE1EEEvSI_,"axG",@progbits,_ZN7rocprim17ROCPRIM_400000_NS6detail17trampoline_kernelINS0_14default_configENS1_35radix_sort_onesweep_config_selectorIjNS0_10empty_typeEEEZNS1_34radix_sort_onesweep_global_offsetsIS3_Lb0EN6thrust23THRUST_200600_302600_NS6detail15normal_iteratorINS9_10device_ptrIjEEEEPS5_jNS0_19identity_decomposerEEE10hipError_tT1_T2_PT3_SK_jT4_jjP12ihipStream_tbEUlT_E_NS1_11comp_targetILNS1_3genE2ELNS1_11target_archE906ELNS1_3gpuE6ELNS1_3repE0EEENS1_52radix_sort_onesweep_histogram_config_static_selectorELNS0_4arch9wavefront6targetE1EEEvSI_,comdat
	.protected	_ZN7rocprim17ROCPRIM_400000_NS6detail17trampoline_kernelINS0_14default_configENS1_35radix_sort_onesweep_config_selectorIjNS0_10empty_typeEEEZNS1_34radix_sort_onesweep_global_offsetsIS3_Lb0EN6thrust23THRUST_200600_302600_NS6detail15normal_iteratorINS9_10device_ptrIjEEEEPS5_jNS0_19identity_decomposerEEE10hipError_tT1_T2_PT3_SK_jT4_jjP12ihipStream_tbEUlT_E_NS1_11comp_targetILNS1_3genE2ELNS1_11target_archE906ELNS1_3gpuE6ELNS1_3repE0EEENS1_52radix_sort_onesweep_histogram_config_static_selectorELNS0_4arch9wavefront6targetE1EEEvSI_ ; -- Begin function _ZN7rocprim17ROCPRIM_400000_NS6detail17trampoline_kernelINS0_14default_configENS1_35radix_sort_onesweep_config_selectorIjNS0_10empty_typeEEEZNS1_34radix_sort_onesweep_global_offsetsIS3_Lb0EN6thrust23THRUST_200600_302600_NS6detail15normal_iteratorINS9_10device_ptrIjEEEEPS5_jNS0_19identity_decomposerEEE10hipError_tT1_T2_PT3_SK_jT4_jjP12ihipStream_tbEUlT_E_NS1_11comp_targetILNS1_3genE2ELNS1_11target_archE906ELNS1_3gpuE6ELNS1_3repE0EEENS1_52radix_sort_onesweep_histogram_config_static_selectorELNS0_4arch9wavefront6targetE1EEEvSI_
	.globl	_ZN7rocprim17ROCPRIM_400000_NS6detail17trampoline_kernelINS0_14default_configENS1_35radix_sort_onesweep_config_selectorIjNS0_10empty_typeEEEZNS1_34radix_sort_onesweep_global_offsetsIS3_Lb0EN6thrust23THRUST_200600_302600_NS6detail15normal_iteratorINS9_10device_ptrIjEEEEPS5_jNS0_19identity_decomposerEEE10hipError_tT1_T2_PT3_SK_jT4_jjP12ihipStream_tbEUlT_E_NS1_11comp_targetILNS1_3genE2ELNS1_11target_archE906ELNS1_3gpuE6ELNS1_3repE0EEENS1_52radix_sort_onesweep_histogram_config_static_selectorELNS0_4arch9wavefront6targetE1EEEvSI_
	.p2align	8
	.type	_ZN7rocprim17ROCPRIM_400000_NS6detail17trampoline_kernelINS0_14default_configENS1_35radix_sort_onesweep_config_selectorIjNS0_10empty_typeEEEZNS1_34radix_sort_onesweep_global_offsetsIS3_Lb0EN6thrust23THRUST_200600_302600_NS6detail15normal_iteratorINS9_10device_ptrIjEEEEPS5_jNS0_19identity_decomposerEEE10hipError_tT1_T2_PT3_SK_jT4_jjP12ihipStream_tbEUlT_E_NS1_11comp_targetILNS1_3genE2ELNS1_11target_archE906ELNS1_3gpuE6ELNS1_3repE0EEENS1_52radix_sort_onesweep_histogram_config_static_selectorELNS0_4arch9wavefront6targetE1EEEvSI_,@function
_ZN7rocprim17ROCPRIM_400000_NS6detail17trampoline_kernelINS0_14default_configENS1_35radix_sort_onesweep_config_selectorIjNS0_10empty_typeEEEZNS1_34radix_sort_onesweep_global_offsetsIS3_Lb0EN6thrust23THRUST_200600_302600_NS6detail15normal_iteratorINS9_10device_ptrIjEEEEPS5_jNS0_19identity_decomposerEEE10hipError_tT1_T2_PT3_SK_jT4_jjP12ihipStream_tbEUlT_E_NS1_11comp_targetILNS1_3genE2ELNS1_11target_archE906ELNS1_3gpuE6ELNS1_3repE0EEENS1_52radix_sort_onesweep_histogram_config_static_selectorELNS0_4arch9wavefront6targetE1EEEvSI_: ; @_ZN7rocprim17ROCPRIM_400000_NS6detail17trampoline_kernelINS0_14default_configENS1_35radix_sort_onesweep_config_selectorIjNS0_10empty_typeEEEZNS1_34radix_sort_onesweep_global_offsetsIS3_Lb0EN6thrust23THRUST_200600_302600_NS6detail15normal_iteratorINS9_10device_ptrIjEEEEPS5_jNS0_19identity_decomposerEEE10hipError_tT1_T2_PT3_SK_jT4_jjP12ihipStream_tbEUlT_E_NS1_11comp_targetILNS1_3genE2ELNS1_11target_archE906ELNS1_3gpuE6ELNS1_3repE0EEENS1_52radix_sort_onesweep_histogram_config_static_selectorELNS0_4arch9wavefront6targetE1EEEvSI_
; %bb.0:
	.section	.rodata,"a",@progbits
	.p2align	6, 0x0
	.amdhsa_kernel _ZN7rocprim17ROCPRIM_400000_NS6detail17trampoline_kernelINS0_14default_configENS1_35radix_sort_onesweep_config_selectorIjNS0_10empty_typeEEEZNS1_34radix_sort_onesweep_global_offsetsIS3_Lb0EN6thrust23THRUST_200600_302600_NS6detail15normal_iteratorINS9_10device_ptrIjEEEEPS5_jNS0_19identity_decomposerEEE10hipError_tT1_T2_PT3_SK_jT4_jjP12ihipStream_tbEUlT_E_NS1_11comp_targetILNS1_3genE2ELNS1_11target_archE906ELNS1_3gpuE6ELNS1_3repE0EEENS1_52radix_sort_onesweep_histogram_config_static_selectorELNS0_4arch9wavefront6targetE1EEEvSI_
		.amdhsa_group_segment_fixed_size 0
		.amdhsa_private_segment_fixed_size 0
		.amdhsa_kernarg_size 40
		.amdhsa_user_sgpr_count 6
		.amdhsa_user_sgpr_private_segment_buffer 1
		.amdhsa_user_sgpr_dispatch_ptr 0
		.amdhsa_user_sgpr_queue_ptr 0
		.amdhsa_user_sgpr_kernarg_segment_ptr 1
		.amdhsa_user_sgpr_dispatch_id 0
		.amdhsa_user_sgpr_flat_scratch_init 0
		.amdhsa_user_sgpr_kernarg_preload_length 0
		.amdhsa_user_sgpr_kernarg_preload_offset 0
		.amdhsa_user_sgpr_private_segment_size 0
		.amdhsa_uses_dynamic_stack 0
		.amdhsa_system_sgpr_private_segment_wavefront_offset 0
		.amdhsa_system_sgpr_workgroup_id_x 1
		.amdhsa_system_sgpr_workgroup_id_y 0
		.amdhsa_system_sgpr_workgroup_id_z 0
		.amdhsa_system_sgpr_workgroup_info 0
		.amdhsa_system_vgpr_workitem_id 0
		.amdhsa_next_free_vgpr 1
		.amdhsa_next_free_sgpr 0
		.amdhsa_accum_offset 4
		.amdhsa_reserve_vcc 0
		.amdhsa_reserve_flat_scratch 0
		.amdhsa_float_round_mode_32 0
		.amdhsa_float_round_mode_16_64 0
		.amdhsa_float_denorm_mode_32 3
		.amdhsa_float_denorm_mode_16_64 3
		.amdhsa_dx10_clamp 1
		.amdhsa_ieee_mode 1
		.amdhsa_fp16_overflow 0
		.amdhsa_tg_split 0
		.amdhsa_exception_fp_ieee_invalid_op 0
		.amdhsa_exception_fp_denorm_src 0
		.amdhsa_exception_fp_ieee_div_zero 0
		.amdhsa_exception_fp_ieee_overflow 0
		.amdhsa_exception_fp_ieee_underflow 0
		.amdhsa_exception_fp_ieee_inexact 0
		.amdhsa_exception_int_div_zero 0
	.end_amdhsa_kernel
	.section	.text._ZN7rocprim17ROCPRIM_400000_NS6detail17trampoline_kernelINS0_14default_configENS1_35radix_sort_onesweep_config_selectorIjNS0_10empty_typeEEEZNS1_34radix_sort_onesweep_global_offsetsIS3_Lb0EN6thrust23THRUST_200600_302600_NS6detail15normal_iteratorINS9_10device_ptrIjEEEEPS5_jNS0_19identity_decomposerEEE10hipError_tT1_T2_PT3_SK_jT4_jjP12ihipStream_tbEUlT_E_NS1_11comp_targetILNS1_3genE2ELNS1_11target_archE906ELNS1_3gpuE6ELNS1_3repE0EEENS1_52radix_sort_onesweep_histogram_config_static_selectorELNS0_4arch9wavefront6targetE1EEEvSI_,"axG",@progbits,_ZN7rocprim17ROCPRIM_400000_NS6detail17trampoline_kernelINS0_14default_configENS1_35radix_sort_onesweep_config_selectorIjNS0_10empty_typeEEEZNS1_34radix_sort_onesweep_global_offsetsIS3_Lb0EN6thrust23THRUST_200600_302600_NS6detail15normal_iteratorINS9_10device_ptrIjEEEEPS5_jNS0_19identity_decomposerEEE10hipError_tT1_T2_PT3_SK_jT4_jjP12ihipStream_tbEUlT_E_NS1_11comp_targetILNS1_3genE2ELNS1_11target_archE906ELNS1_3gpuE6ELNS1_3repE0EEENS1_52radix_sort_onesweep_histogram_config_static_selectorELNS0_4arch9wavefront6targetE1EEEvSI_,comdat
.Lfunc_end1077:
	.size	_ZN7rocprim17ROCPRIM_400000_NS6detail17trampoline_kernelINS0_14default_configENS1_35radix_sort_onesweep_config_selectorIjNS0_10empty_typeEEEZNS1_34radix_sort_onesweep_global_offsetsIS3_Lb0EN6thrust23THRUST_200600_302600_NS6detail15normal_iteratorINS9_10device_ptrIjEEEEPS5_jNS0_19identity_decomposerEEE10hipError_tT1_T2_PT3_SK_jT4_jjP12ihipStream_tbEUlT_E_NS1_11comp_targetILNS1_3genE2ELNS1_11target_archE906ELNS1_3gpuE6ELNS1_3repE0EEENS1_52radix_sort_onesweep_histogram_config_static_selectorELNS0_4arch9wavefront6targetE1EEEvSI_, .Lfunc_end1077-_ZN7rocprim17ROCPRIM_400000_NS6detail17trampoline_kernelINS0_14default_configENS1_35radix_sort_onesweep_config_selectorIjNS0_10empty_typeEEEZNS1_34radix_sort_onesweep_global_offsetsIS3_Lb0EN6thrust23THRUST_200600_302600_NS6detail15normal_iteratorINS9_10device_ptrIjEEEEPS5_jNS0_19identity_decomposerEEE10hipError_tT1_T2_PT3_SK_jT4_jjP12ihipStream_tbEUlT_E_NS1_11comp_targetILNS1_3genE2ELNS1_11target_archE906ELNS1_3gpuE6ELNS1_3repE0EEENS1_52radix_sort_onesweep_histogram_config_static_selectorELNS0_4arch9wavefront6targetE1EEEvSI_
                                        ; -- End function
	.section	.AMDGPU.csdata,"",@progbits
; Kernel info:
; codeLenInByte = 0
; NumSgprs: 4
; NumVgprs: 0
; NumAgprs: 0
; TotalNumVgprs: 0
; ScratchSize: 0
; MemoryBound: 0
; FloatMode: 240
; IeeeMode: 1
; LDSByteSize: 0 bytes/workgroup (compile time only)
; SGPRBlocks: 0
; VGPRBlocks: 0
; NumSGPRsForWavesPerEU: 4
; NumVGPRsForWavesPerEU: 1
; AccumOffset: 4
; Occupancy: 8
; WaveLimiterHint : 0
; COMPUTE_PGM_RSRC2:SCRATCH_EN: 0
; COMPUTE_PGM_RSRC2:USER_SGPR: 6
; COMPUTE_PGM_RSRC2:TRAP_HANDLER: 0
; COMPUTE_PGM_RSRC2:TGID_X_EN: 1
; COMPUTE_PGM_RSRC2:TGID_Y_EN: 0
; COMPUTE_PGM_RSRC2:TGID_Z_EN: 0
; COMPUTE_PGM_RSRC2:TIDIG_COMP_CNT: 0
; COMPUTE_PGM_RSRC3_GFX90A:ACCUM_OFFSET: 0
; COMPUTE_PGM_RSRC3_GFX90A:TG_SPLIT: 0
	.section	.text._ZN7rocprim17ROCPRIM_400000_NS6detail17trampoline_kernelINS0_14default_configENS1_35radix_sort_onesweep_config_selectorIjNS0_10empty_typeEEEZNS1_34radix_sort_onesweep_global_offsetsIS3_Lb0EN6thrust23THRUST_200600_302600_NS6detail15normal_iteratorINS9_10device_ptrIjEEEEPS5_jNS0_19identity_decomposerEEE10hipError_tT1_T2_PT3_SK_jT4_jjP12ihipStream_tbEUlT_E_NS1_11comp_targetILNS1_3genE4ELNS1_11target_archE910ELNS1_3gpuE8ELNS1_3repE0EEENS1_52radix_sort_onesweep_histogram_config_static_selectorELNS0_4arch9wavefront6targetE1EEEvSI_,"axG",@progbits,_ZN7rocprim17ROCPRIM_400000_NS6detail17trampoline_kernelINS0_14default_configENS1_35radix_sort_onesweep_config_selectorIjNS0_10empty_typeEEEZNS1_34radix_sort_onesweep_global_offsetsIS3_Lb0EN6thrust23THRUST_200600_302600_NS6detail15normal_iteratorINS9_10device_ptrIjEEEEPS5_jNS0_19identity_decomposerEEE10hipError_tT1_T2_PT3_SK_jT4_jjP12ihipStream_tbEUlT_E_NS1_11comp_targetILNS1_3genE4ELNS1_11target_archE910ELNS1_3gpuE8ELNS1_3repE0EEENS1_52radix_sort_onesweep_histogram_config_static_selectorELNS0_4arch9wavefront6targetE1EEEvSI_,comdat
	.protected	_ZN7rocprim17ROCPRIM_400000_NS6detail17trampoline_kernelINS0_14default_configENS1_35radix_sort_onesweep_config_selectorIjNS0_10empty_typeEEEZNS1_34radix_sort_onesweep_global_offsetsIS3_Lb0EN6thrust23THRUST_200600_302600_NS6detail15normal_iteratorINS9_10device_ptrIjEEEEPS5_jNS0_19identity_decomposerEEE10hipError_tT1_T2_PT3_SK_jT4_jjP12ihipStream_tbEUlT_E_NS1_11comp_targetILNS1_3genE4ELNS1_11target_archE910ELNS1_3gpuE8ELNS1_3repE0EEENS1_52radix_sort_onesweep_histogram_config_static_selectorELNS0_4arch9wavefront6targetE1EEEvSI_ ; -- Begin function _ZN7rocprim17ROCPRIM_400000_NS6detail17trampoline_kernelINS0_14default_configENS1_35radix_sort_onesweep_config_selectorIjNS0_10empty_typeEEEZNS1_34radix_sort_onesweep_global_offsetsIS3_Lb0EN6thrust23THRUST_200600_302600_NS6detail15normal_iteratorINS9_10device_ptrIjEEEEPS5_jNS0_19identity_decomposerEEE10hipError_tT1_T2_PT3_SK_jT4_jjP12ihipStream_tbEUlT_E_NS1_11comp_targetILNS1_3genE4ELNS1_11target_archE910ELNS1_3gpuE8ELNS1_3repE0EEENS1_52radix_sort_onesweep_histogram_config_static_selectorELNS0_4arch9wavefront6targetE1EEEvSI_
	.globl	_ZN7rocprim17ROCPRIM_400000_NS6detail17trampoline_kernelINS0_14default_configENS1_35radix_sort_onesweep_config_selectorIjNS0_10empty_typeEEEZNS1_34radix_sort_onesweep_global_offsetsIS3_Lb0EN6thrust23THRUST_200600_302600_NS6detail15normal_iteratorINS9_10device_ptrIjEEEEPS5_jNS0_19identity_decomposerEEE10hipError_tT1_T2_PT3_SK_jT4_jjP12ihipStream_tbEUlT_E_NS1_11comp_targetILNS1_3genE4ELNS1_11target_archE910ELNS1_3gpuE8ELNS1_3repE0EEENS1_52radix_sort_onesweep_histogram_config_static_selectorELNS0_4arch9wavefront6targetE1EEEvSI_
	.p2align	8
	.type	_ZN7rocprim17ROCPRIM_400000_NS6detail17trampoline_kernelINS0_14default_configENS1_35radix_sort_onesweep_config_selectorIjNS0_10empty_typeEEEZNS1_34radix_sort_onesweep_global_offsetsIS3_Lb0EN6thrust23THRUST_200600_302600_NS6detail15normal_iteratorINS9_10device_ptrIjEEEEPS5_jNS0_19identity_decomposerEEE10hipError_tT1_T2_PT3_SK_jT4_jjP12ihipStream_tbEUlT_E_NS1_11comp_targetILNS1_3genE4ELNS1_11target_archE910ELNS1_3gpuE8ELNS1_3repE0EEENS1_52radix_sort_onesweep_histogram_config_static_selectorELNS0_4arch9wavefront6targetE1EEEvSI_,@function
_ZN7rocprim17ROCPRIM_400000_NS6detail17trampoline_kernelINS0_14default_configENS1_35radix_sort_onesweep_config_selectorIjNS0_10empty_typeEEEZNS1_34radix_sort_onesweep_global_offsetsIS3_Lb0EN6thrust23THRUST_200600_302600_NS6detail15normal_iteratorINS9_10device_ptrIjEEEEPS5_jNS0_19identity_decomposerEEE10hipError_tT1_T2_PT3_SK_jT4_jjP12ihipStream_tbEUlT_E_NS1_11comp_targetILNS1_3genE4ELNS1_11target_archE910ELNS1_3gpuE8ELNS1_3repE0EEENS1_52radix_sort_onesweep_histogram_config_static_selectorELNS0_4arch9wavefront6targetE1EEEvSI_: ; @_ZN7rocprim17ROCPRIM_400000_NS6detail17trampoline_kernelINS0_14default_configENS1_35radix_sort_onesweep_config_selectorIjNS0_10empty_typeEEEZNS1_34radix_sort_onesweep_global_offsetsIS3_Lb0EN6thrust23THRUST_200600_302600_NS6detail15normal_iteratorINS9_10device_ptrIjEEEEPS5_jNS0_19identity_decomposerEEE10hipError_tT1_T2_PT3_SK_jT4_jjP12ihipStream_tbEUlT_E_NS1_11comp_targetILNS1_3genE4ELNS1_11target_archE910ELNS1_3gpuE8ELNS1_3repE0EEENS1_52radix_sort_onesweep_histogram_config_static_selectorELNS0_4arch9wavefront6targetE1EEEvSI_
; %bb.0:
	s_load_dword s7, s[4:5], 0x14
	s_load_dwordx4 s[8:11], s[4:5], 0x0
	s_load_dwordx2 s[2:3], s[4:5], 0x1c
	s_mul_i32 s12, s6, 0x3000
	s_mov_b64 s[0:1], -1
	s_waitcnt lgkmcnt(0)
	s_cmp_ge_u32 s6, s7
	s_cbranch_scc0 .LBB1078_235
; %bb.1:
	s_load_dword s4, s[4:5], 0x10
	s_mulk_i32 s7, 0xd000
	s_mov_b32 s13, 0
	s_lshl_b64 s[0:1], s[12:13], 2
                                        ; implicit-def: $vgpr23
	s_waitcnt lgkmcnt(0)
	s_add_i32 s13, s4, s7
	s_add_u32 s0, s8, s0
	s_addc_u32 s1, s9, s1
	v_cmp_gt_u32_e32 vcc, s13, v0
	s_and_saveexec_b64 s[4:5], vcc
	s_cbranch_execz .LBB1078_3
; %bb.2:
	v_lshlrev_b32_e32 v1, 2, v0
	global_load_dword v23, v1, s[0:1]
.LBB1078_3:
	s_or_b64 exec, exec, s[4:5]
	v_or_b32_e32 v24, 0x400, v0
	v_cmp_gt_u32_e32 vcc, s13, v24
                                        ; implicit-def: $vgpr22
	s_and_saveexec_b64 s[4:5], vcc
	s_cbranch_execz .LBB1078_5
; %bb.4:
	v_lshlrev_b32_e32 v1, 2, v24
	global_load_dword v22, v1, s[0:1]
.LBB1078_5:
	s_or_b64 exec, exec, s[4:5]
	v_or_b32_e32 v21, 0x800, v0
	v_cmp_gt_u32_e32 vcc, s13, v21
                                        ; implicit-def: $vgpr20
	s_and_saveexec_b64 s[4:5], vcc
	s_cbranch_execz .LBB1078_7
; %bb.6:
	v_lshlrev_b32_e32 v1, 2, v21
	global_load_dword v20, v1, s[0:1]
.LBB1078_7:
	s_or_b64 exec, exec, s[4:5]
	v_or_b32_e32 v19, 0xc00, v0
	v_cmp_gt_u32_e32 vcc, s13, v19
                                        ; implicit-def: $vgpr18
	s_and_saveexec_b64 s[4:5], vcc
	s_cbranch_execz .LBB1078_9
; %bb.8:
	v_lshlrev_b32_e32 v1, 2, v19
	global_load_dword v18, v1, s[0:1]
.LBB1078_9:
	s_or_b64 exec, exec, s[4:5]
	v_or_b32_e32 v17, 0x1000, v0
	v_cmp_gt_u32_e32 vcc, s13, v17
                                        ; implicit-def: $vgpr16
	s_and_saveexec_b64 s[4:5], vcc
	s_cbranch_execz .LBB1078_11
; %bb.10:
	v_lshlrev_b32_e32 v1, 2, v17
	global_load_dword v16, v1, s[0:1]
.LBB1078_11:
	s_or_b64 exec, exec, s[4:5]
	v_or_b32_e32 v15, 0x1400, v0
	v_cmp_gt_u32_e32 vcc, s13, v15
                                        ; implicit-def: $vgpr14
	s_and_saveexec_b64 s[4:5], vcc
	s_cbranch_execz .LBB1078_13
; %bb.12:
	v_lshlrev_b32_e32 v1, 2, v15
	global_load_dword v14, v1, s[0:1]
.LBB1078_13:
	s_or_b64 exec, exec, s[4:5]
	v_or_b32_e32 v13, 0x1800, v0
	v_cmp_gt_u32_e32 vcc, s13, v13
                                        ; implicit-def: $vgpr12
	s_and_saveexec_b64 s[4:5], vcc
	s_cbranch_execz .LBB1078_15
; %bb.14:
	v_lshlrev_b32_e32 v1, 2, v13
	global_load_dword v12, v1, s[0:1]
.LBB1078_15:
	s_or_b64 exec, exec, s[4:5]
	v_or_b32_e32 v11, 0x1c00, v0
	v_cmp_gt_u32_e32 vcc, s13, v11
                                        ; implicit-def: $vgpr10
	s_and_saveexec_b64 s[4:5], vcc
	s_cbranch_execz .LBB1078_17
; %bb.16:
	v_lshlrev_b32_e32 v1, 2, v11
	global_load_dword v10, v1, s[0:1]
.LBB1078_17:
	s_or_b64 exec, exec, s[4:5]
	v_or_b32_e32 v9, 0x2000, v0
	v_cmp_gt_u32_e32 vcc, s13, v9
                                        ; implicit-def: $vgpr8
	s_and_saveexec_b64 s[4:5], vcc
	s_cbranch_execz .LBB1078_19
; %bb.18:
	v_lshlrev_b32_e32 v1, 2, v9
	global_load_dword v8, v1, s[0:1]
.LBB1078_19:
	s_or_b64 exec, exec, s[4:5]
	v_or_b32_e32 v7, 0x2400, v0
	v_cmp_gt_u32_e32 vcc, s13, v7
                                        ; implicit-def: $vgpr6
	s_and_saveexec_b64 s[4:5], vcc
	s_cbranch_execz .LBB1078_21
; %bb.20:
	v_lshlrev_b32_e32 v1, 2, v7
	global_load_dword v6, v1, s[0:1]
.LBB1078_21:
	s_or_b64 exec, exec, s[4:5]
	v_or_b32_e32 v5, 0x2800, v0
	v_cmp_gt_u32_e32 vcc, s13, v5
                                        ; implicit-def: $vgpr4
	s_and_saveexec_b64 s[4:5], vcc
	s_cbranch_execz .LBB1078_23
; %bb.22:
	v_lshlrev_b32_e32 v1, 2, v5
	global_load_dword v4, v1, s[0:1]
.LBB1078_23:
	s_or_b64 exec, exec, s[4:5]
	v_or_b32_e32 v3, 0x2c00, v0
	v_cmp_gt_u32_e32 vcc, s13, v3
                                        ; implicit-def: $vgpr1
	s_and_saveexec_b64 s[4:5], vcc
	s_cbranch_execz .LBB1078_25
; %bb.24:
	v_lshlrev_b32_e32 v1, 2, v3
	global_load_dword v1, v1, s[0:1]
.LBB1078_25:
	s_or_b64 exec, exec, s[4:5]
	s_cmp_le_u32 s3, s2
	s_cselect_b64 s[4:5], -1, 0
	v_cmp_le_u32_e32 vcc, s13, v0
	s_and_b64 s[0:1], s[4:5], exec
	v_lshlrev_b32_e32 v25, 2, v0
	v_mov_b32_e32 v26, 0
	s_cselect_b32 s18, 8, 10
	s_or_b64 s[0:1], s[4:5], vcc
	v_and_b32_e32 v2, 3, v0
	ds_write2st64_b32 v25, v26, v26 offset1:16
	ds_write2st64_b32 v25, v26, v26 offset0:32 offset1:48
	s_xor_b64 s[6:7], s[0:1], -1
	v_mov_b32_e32 v25, s18
	s_waitcnt lgkmcnt(0)
	s_barrier
	s_and_saveexec_b64 s[0:1], s[6:7]
	s_cbranch_execz .LBB1078_27
; %bb.26:
	s_sub_i32 s6, s3, s2
	s_min_u32 s6, s6, 8
	s_waitcnt vmcnt(0)
	v_lshrrev_b32_e32 v25, s2, v23
	v_bfe_u32 v25, v25, 0, s6
	v_lshlrev_b32_e32 v26, 2, v2
	v_lshl_or_b32 v25, v25, 4, v26
	v_mov_b32_e32 v26, 1
	ds_add_u32 v25, v26
	v_mov_b32_e32 v25, 0
.LBB1078_27:
	s_or_b64 exec, exec, s[0:1]
	v_cmp_gt_i32_e64 s[0:1], 10, v25
	s_mov_b64 s[14:15], -1
	s_and_saveexec_b64 s[6:7], s[0:1]
; %bb.28:
	v_cmp_eq_u32_e64 s[0:1], 0, v25
	s_orn2_b64 s[14:15], s[0:1], exec
; %bb.29:
	s_or_b64 exec, exec, s[6:7]
	s_and_saveexec_b64 s[6:7], s[14:15]
	s_cbranch_execz .LBB1078_42
; %bb.30:
	s_add_i32 s14, s2, 8
	s_cmp_le_u32 s3, s14
	s_cselect_b64 s[0:1], -1, 0
	s_and_b64 s[16:17], s[0:1], exec
	s_cselect_b32 s15, 8, 10
	s_or_b64 s[0:1], s[0:1], vcc
	s_xor_b64 s[16:17], s[0:1], -1
	v_mov_b32_e32 v25, s15
	s_and_saveexec_b64 s[0:1], s[16:17]
	s_cbranch_execz .LBB1078_32
; %bb.31:
	s_sub_i32 s15, s3, s14
	s_min_u32 s15, s15, 8
	s_waitcnt vmcnt(0)
	v_lshrrev_b32_e32 v25, s14, v23
	v_bfe_u32 v25, v25, 0, s15
	v_lshlrev_b32_e32 v26, 2, v2
	v_lshl_or_b32 v25, v25, 4, v26
	v_mov_b32_e32 v26, 1
	ds_add_u32 v25, v26 offset:4096
	v_mov_b32_e32 v25, 0
.LBB1078_32:
	s_or_b64 exec, exec, s[0:1]
	v_cmp_gt_i32_e64 s[0:1], 10, v25
	s_mov_b64 s[14:15], -1
	s_and_saveexec_b64 s[16:17], s[0:1]
; %bb.33:
	v_cmp_eq_u32_e64 s[0:1], 0, v25
	s_orn2_b64 s[14:15], s[0:1], exec
; %bb.34:
	s_or_b64 exec, exec, s[16:17]
	s_and_b64 exec, exec, s[14:15]
	s_cbranch_execz .LBB1078_42
; %bb.35:
	s_add_i32 s14, s2, 16
	s_cmp_le_u32 s3, s14
	s_cselect_b64 s[0:1], -1, 0
	s_and_b64 s[16:17], s[0:1], exec
	s_cselect_b32 s15, 8, 10
	s_or_b64 s[0:1], s[0:1], vcc
	s_xor_b64 s[16:17], s[0:1], -1
	v_mov_b32_e32 v25, s15
	s_and_saveexec_b64 s[0:1], s[16:17]
	s_cbranch_execz .LBB1078_37
; %bb.36:
	s_sub_i32 s15, s3, s14
	s_min_u32 s15, s15, 8
	s_waitcnt vmcnt(0)
	v_lshrrev_b32_e32 v25, s14, v23
	v_bfe_u32 v25, v25, 0, s15
	v_lshlrev_b32_e32 v26, 2, v2
	v_lshl_or_b32 v25, v25, 4, v26
	v_mov_b32_e32 v26, 1
	ds_add_u32 v25, v26 offset:8192
	v_mov_b32_e32 v25, 0
.LBB1078_37:
	s_or_b64 exec, exec, s[0:1]
	v_cmp_gt_i32_e64 s[0:1], 10, v25
	s_mov_b64 s[14:15], -1
	s_and_saveexec_b64 s[16:17], s[0:1]
; %bb.38:
	v_cmp_eq_u32_e64 s[0:1], 0, v25
	s_orn2_b64 s[14:15], s[0:1], exec
; %bb.39:
	s_or_b64 exec, exec, s[16:17]
	s_and_b64 exec, exec, s[14:15]
	s_cbranch_execz .LBB1078_42
; %bb.40:
	s_add_i32 s0, s2, 24
	s_cmp_gt_u32 s3, s0
	s_cselect_b64 s[14:15], -1, 0
	s_xor_b64 s[16:17], vcc, -1
	s_and_b64 s[14:15], s[14:15], s[16:17]
	s_and_b64 exec, exec, s[14:15]
	s_cbranch_execz .LBB1078_42
; %bb.41:
	s_sub_i32 s1, s3, s0
	s_min_u32 s1, s1, 8
	s_waitcnt vmcnt(0)
	v_lshrrev_b32_e32 v23, s0, v23
	v_bfe_u32 v23, v23, 0, s1
	v_lshlrev_b32_e32 v25, 2, v2
	v_lshl_or_b32 v23, v23, 4, v25
	v_mov_b32_e32 v25, 1
	ds_add_u32 v23, v25 offset:12288
.LBB1078_42:
	s_or_b64 exec, exec, s[6:7]
	v_cmp_le_u32_e32 vcc, s13, v24
	s_or_b64 s[0:1], s[4:5], vcc
	s_xor_b64 s[6:7], s[0:1], -1
	s_waitcnt vmcnt(0)
	v_mov_b32_e32 v23, s18
	s_and_saveexec_b64 s[0:1], s[6:7]
	s_cbranch_execz .LBB1078_44
; %bb.43:
	s_sub_i32 s6, s3, s2
	s_min_u32 s6, s6, 8
	v_lshrrev_b32_e32 v23, s2, v22
	v_bfe_u32 v23, v23, 0, s6
	v_lshlrev_b32_e32 v24, 2, v2
	v_lshl_or_b32 v23, v23, 4, v24
	v_mov_b32_e32 v24, 1
	ds_add_u32 v23, v24
	v_mov_b32_e32 v23, 0
.LBB1078_44:
	s_or_b64 exec, exec, s[0:1]
	v_cmp_gt_i32_e64 s[0:1], 10, v23
	s_mov_b64 s[14:15], -1
	s_and_saveexec_b64 s[6:7], s[0:1]
; %bb.45:
	v_cmp_eq_u32_e64 s[0:1], 0, v23
	s_orn2_b64 s[14:15], s[0:1], exec
; %bb.46:
	s_or_b64 exec, exec, s[6:7]
	s_and_saveexec_b64 s[6:7], s[14:15]
	s_cbranch_execz .LBB1078_59
; %bb.47:
	s_add_i32 s14, s2, 8
	s_cmp_le_u32 s3, s14
	s_cselect_b64 s[0:1], -1, 0
	s_and_b64 s[16:17], s[0:1], exec
	s_cselect_b32 s15, 8, 10
	s_or_b64 s[0:1], s[0:1], vcc
	s_xor_b64 s[16:17], s[0:1], -1
	v_mov_b32_e32 v23, s15
	s_and_saveexec_b64 s[0:1], s[16:17]
	s_cbranch_execz .LBB1078_49
; %bb.48:
	s_sub_i32 s15, s3, s14
	s_min_u32 s15, s15, 8
	v_lshrrev_b32_e32 v23, s14, v22
	v_bfe_u32 v23, v23, 0, s15
	v_lshlrev_b32_e32 v24, 2, v2
	v_lshl_or_b32 v23, v23, 4, v24
	v_mov_b32_e32 v24, 1
	ds_add_u32 v23, v24 offset:4096
	v_mov_b32_e32 v23, 0
.LBB1078_49:
	s_or_b64 exec, exec, s[0:1]
	v_cmp_gt_i32_e64 s[0:1], 10, v23
	s_mov_b64 s[14:15], -1
	s_and_saveexec_b64 s[16:17], s[0:1]
; %bb.50:
	v_cmp_eq_u32_e64 s[0:1], 0, v23
	s_orn2_b64 s[14:15], s[0:1], exec
; %bb.51:
	s_or_b64 exec, exec, s[16:17]
	s_and_b64 exec, exec, s[14:15]
	s_cbranch_execz .LBB1078_59
; %bb.52:
	s_add_i32 s14, s2, 16
	s_cmp_le_u32 s3, s14
	s_cselect_b64 s[0:1], -1, 0
	s_and_b64 s[16:17], s[0:1], exec
	s_cselect_b32 s15, 8, 10
	s_or_b64 s[0:1], s[0:1], vcc
	s_xor_b64 s[16:17], s[0:1], -1
	v_mov_b32_e32 v23, s15
	s_and_saveexec_b64 s[0:1], s[16:17]
	s_cbranch_execz .LBB1078_54
; %bb.53:
	s_sub_i32 s15, s3, s14
	s_min_u32 s15, s15, 8
	v_lshrrev_b32_e32 v23, s14, v22
	v_bfe_u32 v23, v23, 0, s15
	v_lshlrev_b32_e32 v24, 2, v2
	v_lshl_or_b32 v23, v23, 4, v24
	v_mov_b32_e32 v24, 1
	ds_add_u32 v23, v24 offset:8192
	v_mov_b32_e32 v23, 0
.LBB1078_54:
	s_or_b64 exec, exec, s[0:1]
	v_cmp_gt_i32_e64 s[0:1], 10, v23
	s_mov_b64 s[14:15], -1
	s_and_saveexec_b64 s[16:17], s[0:1]
; %bb.55:
	v_cmp_eq_u32_e64 s[0:1], 0, v23
	s_orn2_b64 s[14:15], s[0:1], exec
; %bb.56:
	s_or_b64 exec, exec, s[16:17]
	s_and_b64 exec, exec, s[14:15]
	s_cbranch_execz .LBB1078_59
; %bb.57:
	s_add_i32 s0, s2, 24
	s_cmp_gt_u32 s3, s0
	s_cselect_b64 s[14:15], -1, 0
	s_xor_b64 s[16:17], vcc, -1
	s_and_b64 s[14:15], s[14:15], s[16:17]
	s_and_b64 exec, exec, s[14:15]
	s_cbranch_execz .LBB1078_59
; %bb.58:
	s_sub_i32 s1, s3, s0
	s_min_u32 s1, s1, 8
	v_lshrrev_b32_e32 v22, s0, v22
	v_bfe_u32 v22, v22, 0, s1
	v_lshlrev_b32_e32 v23, 2, v2
	v_lshl_or_b32 v22, v22, 4, v23
	v_mov_b32_e32 v23, 1
	ds_add_u32 v22, v23 offset:12288
.LBB1078_59:
	s_or_b64 exec, exec, s[6:7]
	v_cmp_le_u32_e32 vcc, s13, v21
	s_or_b64 s[0:1], s[4:5], vcc
	s_xor_b64 s[6:7], s[0:1], -1
	v_mov_b32_e32 v21, s18
	s_and_saveexec_b64 s[0:1], s[6:7]
	s_cbranch_execz .LBB1078_61
; %bb.60:
	s_sub_i32 s6, s3, s2
	s_min_u32 s6, s6, 8
	v_lshrrev_b32_e32 v21, s2, v20
	v_bfe_u32 v21, v21, 0, s6
	v_lshlrev_b32_e32 v22, 2, v2
	v_lshl_or_b32 v21, v21, 4, v22
	v_mov_b32_e32 v22, 1
	ds_add_u32 v21, v22
	v_mov_b32_e32 v21, 0
.LBB1078_61:
	s_or_b64 exec, exec, s[0:1]
	v_cmp_gt_i32_e64 s[0:1], 10, v21
	s_mov_b64 s[14:15], -1
	s_and_saveexec_b64 s[6:7], s[0:1]
; %bb.62:
	v_cmp_eq_u32_e64 s[0:1], 0, v21
	s_orn2_b64 s[14:15], s[0:1], exec
; %bb.63:
	s_or_b64 exec, exec, s[6:7]
	s_and_saveexec_b64 s[6:7], s[14:15]
	s_cbranch_execz .LBB1078_76
; %bb.64:
	s_add_i32 s14, s2, 8
	s_cmp_le_u32 s3, s14
	s_cselect_b64 s[0:1], -1, 0
	s_and_b64 s[16:17], s[0:1], exec
	s_cselect_b32 s15, 8, 10
	s_or_b64 s[0:1], s[0:1], vcc
	s_xor_b64 s[16:17], s[0:1], -1
	v_mov_b32_e32 v21, s15
	s_and_saveexec_b64 s[0:1], s[16:17]
	s_cbranch_execz .LBB1078_66
; %bb.65:
	s_sub_i32 s15, s3, s14
	s_min_u32 s15, s15, 8
	v_lshrrev_b32_e32 v21, s14, v20
	v_bfe_u32 v21, v21, 0, s15
	v_lshlrev_b32_e32 v22, 2, v2
	v_lshl_or_b32 v21, v21, 4, v22
	v_mov_b32_e32 v22, 1
	ds_add_u32 v21, v22 offset:4096
	v_mov_b32_e32 v21, 0
.LBB1078_66:
	s_or_b64 exec, exec, s[0:1]
	v_cmp_gt_i32_e64 s[0:1], 10, v21
	s_mov_b64 s[14:15], -1
	s_and_saveexec_b64 s[16:17], s[0:1]
; %bb.67:
	v_cmp_eq_u32_e64 s[0:1], 0, v21
	s_orn2_b64 s[14:15], s[0:1], exec
; %bb.68:
	s_or_b64 exec, exec, s[16:17]
	s_and_b64 exec, exec, s[14:15]
	s_cbranch_execz .LBB1078_76
; %bb.69:
	s_add_i32 s14, s2, 16
	s_cmp_le_u32 s3, s14
	s_cselect_b64 s[0:1], -1, 0
	s_and_b64 s[16:17], s[0:1], exec
	s_cselect_b32 s15, 8, 10
	s_or_b64 s[0:1], s[0:1], vcc
	s_xor_b64 s[16:17], s[0:1], -1
	v_mov_b32_e32 v21, s15
	s_and_saveexec_b64 s[0:1], s[16:17]
	s_cbranch_execz .LBB1078_71
; %bb.70:
	s_sub_i32 s15, s3, s14
	s_min_u32 s15, s15, 8
	v_lshrrev_b32_e32 v21, s14, v20
	v_bfe_u32 v21, v21, 0, s15
	v_lshlrev_b32_e32 v22, 2, v2
	v_lshl_or_b32 v21, v21, 4, v22
	v_mov_b32_e32 v22, 1
	ds_add_u32 v21, v22 offset:8192
	v_mov_b32_e32 v21, 0
.LBB1078_71:
	s_or_b64 exec, exec, s[0:1]
	v_cmp_gt_i32_e64 s[0:1], 10, v21
	s_mov_b64 s[14:15], -1
	s_and_saveexec_b64 s[16:17], s[0:1]
; %bb.72:
	v_cmp_eq_u32_e64 s[0:1], 0, v21
	s_orn2_b64 s[14:15], s[0:1], exec
; %bb.73:
	s_or_b64 exec, exec, s[16:17]
	s_and_b64 exec, exec, s[14:15]
	s_cbranch_execz .LBB1078_76
; %bb.74:
	s_add_i32 s0, s2, 24
	s_cmp_gt_u32 s3, s0
	s_cselect_b64 s[14:15], -1, 0
	s_xor_b64 s[16:17], vcc, -1
	s_and_b64 s[14:15], s[14:15], s[16:17]
	s_and_b64 exec, exec, s[14:15]
	s_cbranch_execz .LBB1078_76
; %bb.75:
	s_sub_i32 s1, s3, s0
	s_min_u32 s1, s1, 8
	v_lshrrev_b32_e32 v20, s0, v20
	v_bfe_u32 v20, v20, 0, s1
	v_lshlrev_b32_e32 v21, 2, v2
	v_lshl_or_b32 v20, v20, 4, v21
	v_mov_b32_e32 v21, 1
	ds_add_u32 v20, v21 offset:12288
.LBB1078_76:
	s_or_b64 exec, exec, s[6:7]
	v_cmp_le_u32_e32 vcc, s13, v19
	s_or_b64 s[0:1], s[4:5], vcc
	s_xor_b64 s[6:7], s[0:1], -1
	v_mov_b32_e32 v19, s18
	s_and_saveexec_b64 s[0:1], s[6:7]
	s_cbranch_execz .LBB1078_78
; %bb.77:
	s_sub_i32 s6, s3, s2
	s_min_u32 s6, s6, 8
	v_lshrrev_b32_e32 v19, s2, v18
	v_bfe_u32 v19, v19, 0, s6
	v_lshlrev_b32_e32 v20, 2, v2
	v_lshl_or_b32 v19, v19, 4, v20
	v_mov_b32_e32 v20, 1
	ds_add_u32 v19, v20
	v_mov_b32_e32 v19, 0
.LBB1078_78:
	s_or_b64 exec, exec, s[0:1]
	v_cmp_gt_i32_e64 s[0:1], 10, v19
	s_mov_b64 s[14:15], -1
	s_and_saveexec_b64 s[6:7], s[0:1]
; %bb.79:
	v_cmp_eq_u32_e64 s[0:1], 0, v19
	s_orn2_b64 s[14:15], s[0:1], exec
; %bb.80:
	s_or_b64 exec, exec, s[6:7]
	s_and_saveexec_b64 s[6:7], s[14:15]
	s_cbranch_execz .LBB1078_93
; %bb.81:
	s_add_i32 s14, s2, 8
	s_cmp_le_u32 s3, s14
	s_cselect_b64 s[0:1], -1, 0
	s_and_b64 s[16:17], s[0:1], exec
	s_cselect_b32 s15, 8, 10
	s_or_b64 s[0:1], s[0:1], vcc
	s_xor_b64 s[16:17], s[0:1], -1
	v_mov_b32_e32 v19, s15
	s_and_saveexec_b64 s[0:1], s[16:17]
	s_cbranch_execz .LBB1078_83
; %bb.82:
	s_sub_i32 s15, s3, s14
	s_min_u32 s15, s15, 8
	v_lshrrev_b32_e32 v19, s14, v18
	v_bfe_u32 v19, v19, 0, s15
	v_lshlrev_b32_e32 v20, 2, v2
	v_lshl_or_b32 v19, v19, 4, v20
	v_mov_b32_e32 v20, 1
	ds_add_u32 v19, v20 offset:4096
	v_mov_b32_e32 v19, 0
.LBB1078_83:
	s_or_b64 exec, exec, s[0:1]
	v_cmp_gt_i32_e64 s[0:1], 10, v19
	s_mov_b64 s[14:15], -1
	s_and_saveexec_b64 s[16:17], s[0:1]
; %bb.84:
	v_cmp_eq_u32_e64 s[0:1], 0, v19
	s_orn2_b64 s[14:15], s[0:1], exec
; %bb.85:
	s_or_b64 exec, exec, s[16:17]
	s_and_b64 exec, exec, s[14:15]
	s_cbranch_execz .LBB1078_93
; %bb.86:
	s_add_i32 s14, s2, 16
	s_cmp_le_u32 s3, s14
	s_cselect_b64 s[0:1], -1, 0
	s_and_b64 s[16:17], s[0:1], exec
	s_cselect_b32 s15, 8, 10
	s_or_b64 s[0:1], s[0:1], vcc
	s_xor_b64 s[16:17], s[0:1], -1
	v_mov_b32_e32 v19, s15
	s_and_saveexec_b64 s[0:1], s[16:17]
	s_cbranch_execz .LBB1078_88
; %bb.87:
	s_sub_i32 s15, s3, s14
	s_min_u32 s15, s15, 8
	v_lshrrev_b32_e32 v19, s14, v18
	v_bfe_u32 v19, v19, 0, s15
	v_lshlrev_b32_e32 v20, 2, v2
	v_lshl_or_b32 v19, v19, 4, v20
	v_mov_b32_e32 v20, 1
	ds_add_u32 v19, v20 offset:8192
	v_mov_b32_e32 v19, 0
.LBB1078_88:
	s_or_b64 exec, exec, s[0:1]
	v_cmp_gt_i32_e64 s[0:1], 10, v19
	s_mov_b64 s[14:15], -1
	s_and_saveexec_b64 s[16:17], s[0:1]
; %bb.89:
	v_cmp_eq_u32_e64 s[0:1], 0, v19
	s_orn2_b64 s[14:15], s[0:1], exec
; %bb.90:
	s_or_b64 exec, exec, s[16:17]
	s_and_b64 exec, exec, s[14:15]
	s_cbranch_execz .LBB1078_93
; %bb.91:
	s_add_i32 s0, s2, 24
	s_cmp_gt_u32 s3, s0
	s_cselect_b64 s[14:15], -1, 0
	s_xor_b64 s[16:17], vcc, -1
	s_and_b64 s[14:15], s[14:15], s[16:17]
	s_and_b64 exec, exec, s[14:15]
	s_cbranch_execz .LBB1078_93
; %bb.92:
	s_sub_i32 s1, s3, s0
	s_min_u32 s1, s1, 8
	v_lshrrev_b32_e32 v18, s0, v18
	v_bfe_u32 v18, v18, 0, s1
	v_lshlrev_b32_e32 v19, 2, v2
	v_lshl_or_b32 v18, v18, 4, v19
	v_mov_b32_e32 v19, 1
	ds_add_u32 v18, v19 offset:12288
.LBB1078_93:
	s_or_b64 exec, exec, s[6:7]
	v_cmp_le_u32_e32 vcc, s13, v17
	s_or_b64 s[0:1], s[4:5], vcc
	s_xor_b64 s[6:7], s[0:1], -1
	v_mov_b32_e32 v17, s18
	s_and_saveexec_b64 s[0:1], s[6:7]
	s_cbranch_execz .LBB1078_95
; %bb.94:
	s_sub_i32 s6, s3, s2
	s_min_u32 s6, s6, 8
	v_lshrrev_b32_e32 v17, s2, v16
	v_bfe_u32 v17, v17, 0, s6
	v_lshlrev_b32_e32 v18, 2, v2
	v_lshl_or_b32 v17, v17, 4, v18
	v_mov_b32_e32 v18, 1
	ds_add_u32 v17, v18
	v_mov_b32_e32 v17, 0
.LBB1078_95:
	s_or_b64 exec, exec, s[0:1]
	v_cmp_gt_i32_e64 s[0:1], 10, v17
	s_mov_b64 s[14:15], -1
	s_and_saveexec_b64 s[6:7], s[0:1]
; %bb.96:
	v_cmp_eq_u32_e64 s[0:1], 0, v17
	s_orn2_b64 s[14:15], s[0:1], exec
; %bb.97:
	s_or_b64 exec, exec, s[6:7]
	s_and_saveexec_b64 s[6:7], s[14:15]
	s_cbranch_execz .LBB1078_110
; %bb.98:
	s_add_i32 s14, s2, 8
	s_cmp_le_u32 s3, s14
	s_cselect_b64 s[0:1], -1, 0
	s_and_b64 s[16:17], s[0:1], exec
	s_cselect_b32 s15, 8, 10
	s_or_b64 s[0:1], s[0:1], vcc
	s_xor_b64 s[16:17], s[0:1], -1
	v_mov_b32_e32 v17, s15
	s_and_saveexec_b64 s[0:1], s[16:17]
	s_cbranch_execz .LBB1078_100
; %bb.99:
	s_sub_i32 s15, s3, s14
	s_min_u32 s15, s15, 8
	v_lshrrev_b32_e32 v17, s14, v16
	v_bfe_u32 v17, v17, 0, s15
	v_lshlrev_b32_e32 v18, 2, v2
	v_lshl_or_b32 v17, v17, 4, v18
	v_mov_b32_e32 v18, 1
	ds_add_u32 v17, v18 offset:4096
	v_mov_b32_e32 v17, 0
.LBB1078_100:
	s_or_b64 exec, exec, s[0:1]
	v_cmp_gt_i32_e64 s[0:1], 10, v17
	s_mov_b64 s[14:15], -1
	s_and_saveexec_b64 s[16:17], s[0:1]
; %bb.101:
	v_cmp_eq_u32_e64 s[0:1], 0, v17
	s_orn2_b64 s[14:15], s[0:1], exec
; %bb.102:
	s_or_b64 exec, exec, s[16:17]
	s_and_b64 exec, exec, s[14:15]
	s_cbranch_execz .LBB1078_110
; %bb.103:
	s_add_i32 s14, s2, 16
	s_cmp_le_u32 s3, s14
	s_cselect_b64 s[0:1], -1, 0
	s_and_b64 s[16:17], s[0:1], exec
	s_cselect_b32 s15, 8, 10
	s_or_b64 s[0:1], s[0:1], vcc
	s_xor_b64 s[16:17], s[0:1], -1
	v_mov_b32_e32 v17, s15
	s_and_saveexec_b64 s[0:1], s[16:17]
	s_cbranch_execz .LBB1078_105
; %bb.104:
	s_sub_i32 s15, s3, s14
	s_min_u32 s15, s15, 8
	v_lshrrev_b32_e32 v17, s14, v16
	v_bfe_u32 v17, v17, 0, s15
	v_lshlrev_b32_e32 v18, 2, v2
	v_lshl_or_b32 v17, v17, 4, v18
	v_mov_b32_e32 v18, 1
	ds_add_u32 v17, v18 offset:8192
	v_mov_b32_e32 v17, 0
.LBB1078_105:
	s_or_b64 exec, exec, s[0:1]
	v_cmp_gt_i32_e64 s[0:1], 10, v17
	s_mov_b64 s[14:15], -1
	s_and_saveexec_b64 s[16:17], s[0:1]
; %bb.106:
	v_cmp_eq_u32_e64 s[0:1], 0, v17
	s_orn2_b64 s[14:15], s[0:1], exec
; %bb.107:
	s_or_b64 exec, exec, s[16:17]
	s_and_b64 exec, exec, s[14:15]
	s_cbranch_execz .LBB1078_110
; %bb.108:
	s_add_i32 s0, s2, 24
	s_cmp_gt_u32 s3, s0
	s_cselect_b64 s[14:15], -1, 0
	s_xor_b64 s[16:17], vcc, -1
	s_and_b64 s[14:15], s[14:15], s[16:17]
	s_and_b64 exec, exec, s[14:15]
	s_cbranch_execz .LBB1078_110
; %bb.109:
	s_sub_i32 s1, s3, s0
	s_min_u32 s1, s1, 8
	v_lshrrev_b32_e32 v16, s0, v16
	v_bfe_u32 v16, v16, 0, s1
	v_lshlrev_b32_e32 v17, 2, v2
	v_lshl_or_b32 v16, v16, 4, v17
	v_mov_b32_e32 v17, 1
	ds_add_u32 v16, v17 offset:12288
.LBB1078_110:
	s_or_b64 exec, exec, s[6:7]
	v_cmp_le_u32_e32 vcc, s13, v15
	s_or_b64 s[0:1], s[4:5], vcc
	s_xor_b64 s[6:7], s[0:1], -1
	v_mov_b32_e32 v15, s18
	s_and_saveexec_b64 s[0:1], s[6:7]
	s_cbranch_execz .LBB1078_112
; %bb.111:
	s_sub_i32 s6, s3, s2
	s_min_u32 s6, s6, 8
	v_lshrrev_b32_e32 v15, s2, v14
	v_bfe_u32 v15, v15, 0, s6
	v_lshlrev_b32_e32 v16, 2, v2
	v_lshl_or_b32 v15, v15, 4, v16
	v_mov_b32_e32 v16, 1
	ds_add_u32 v15, v16
	v_mov_b32_e32 v15, 0
.LBB1078_112:
	s_or_b64 exec, exec, s[0:1]
	v_cmp_gt_i32_e64 s[0:1], 10, v15
	s_mov_b64 s[14:15], -1
	s_and_saveexec_b64 s[6:7], s[0:1]
; %bb.113:
	v_cmp_eq_u32_e64 s[0:1], 0, v15
	s_orn2_b64 s[14:15], s[0:1], exec
; %bb.114:
	s_or_b64 exec, exec, s[6:7]
	s_and_saveexec_b64 s[6:7], s[14:15]
	s_cbranch_execz .LBB1078_127
; %bb.115:
	s_add_i32 s14, s2, 8
	s_cmp_le_u32 s3, s14
	s_cselect_b64 s[0:1], -1, 0
	s_and_b64 s[16:17], s[0:1], exec
	s_cselect_b32 s15, 8, 10
	s_or_b64 s[0:1], s[0:1], vcc
	s_xor_b64 s[16:17], s[0:1], -1
	v_mov_b32_e32 v15, s15
	s_and_saveexec_b64 s[0:1], s[16:17]
	s_cbranch_execz .LBB1078_117
; %bb.116:
	s_sub_i32 s15, s3, s14
	s_min_u32 s15, s15, 8
	v_lshrrev_b32_e32 v15, s14, v14
	v_bfe_u32 v15, v15, 0, s15
	v_lshlrev_b32_e32 v16, 2, v2
	v_lshl_or_b32 v15, v15, 4, v16
	v_mov_b32_e32 v16, 1
	ds_add_u32 v15, v16 offset:4096
	v_mov_b32_e32 v15, 0
.LBB1078_117:
	s_or_b64 exec, exec, s[0:1]
	v_cmp_gt_i32_e64 s[0:1], 10, v15
	s_mov_b64 s[14:15], -1
	s_and_saveexec_b64 s[16:17], s[0:1]
; %bb.118:
	v_cmp_eq_u32_e64 s[0:1], 0, v15
	s_orn2_b64 s[14:15], s[0:1], exec
; %bb.119:
	s_or_b64 exec, exec, s[16:17]
	s_and_b64 exec, exec, s[14:15]
	s_cbranch_execz .LBB1078_127
; %bb.120:
	s_add_i32 s14, s2, 16
	s_cmp_le_u32 s3, s14
	s_cselect_b64 s[0:1], -1, 0
	s_and_b64 s[16:17], s[0:1], exec
	s_cselect_b32 s15, 8, 10
	s_or_b64 s[0:1], s[0:1], vcc
	s_xor_b64 s[16:17], s[0:1], -1
	v_mov_b32_e32 v15, s15
	s_and_saveexec_b64 s[0:1], s[16:17]
	s_cbranch_execz .LBB1078_122
; %bb.121:
	s_sub_i32 s15, s3, s14
	s_min_u32 s15, s15, 8
	v_lshrrev_b32_e32 v15, s14, v14
	v_bfe_u32 v15, v15, 0, s15
	v_lshlrev_b32_e32 v16, 2, v2
	v_lshl_or_b32 v15, v15, 4, v16
	v_mov_b32_e32 v16, 1
	ds_add_u32 v15, v16 offset:8192
	v_mov_b32_e32 v15, 0
.LBB1078_122:
	s_or_b64 exec, exec, s[0:1]
	v_cmp_gt_i32_e64 s[0:1], 10, v15
	s_mov_b64 s[14:15], -1
	s_and_saveexec_b64 s[16:17], s[0:1]
; %bb.123:
	v_cmp_eq_u32_e64 s[0:1], 0, v15
	s_orn2_b64 s[14:15], s[0:1], exec
; %bb.124:
	s_or_b64 exec, exec, s[16:17]
	s_and_b64 exec, exec, s[14:15]
	s_cbranch_execz .LBB1078_127
; %bb.125:
	s_add_i32 s0, s2, 24
	s_cmp_gt_u32 s3, s0
	s_cselect_b64 s[14:15], -1, 0
	s_xor_b64 s[16:17], vcc, -1
	s_and_b64 s[14:15], s[14:15], s[16:17]
	s_and_b64 exec, exec, s[14:15]
	s_cbranch_execz .LBB1078_127
; %bb.126:
	s_sub_i32 s1, s3, s0
	s_min_u32 s1, s1, 8
	v_lshrrev_b32_e32 v14, s0, v14
	v_bfe_u32 v14, v14, 0, s1
	v_lshlrev_b32_e32 v15, 2, v2
	v_lshl_or_b32 v14, v14, 4, v15
	v_mov_b32_e32 v15, 1
	ds_add_u32 v14, v15 offset:12288
.LBB1078_127:
	s_or_b64 exec, exec, s[6:7]
	v_cmp_le_u32_e32 vcc, s13, v13
	s_or_b64 s[0:1], s[4:5], vcc
	s_xor_b64 s[6:7], s[0:1], -1
	v_mov_b32_e32 v13, s18
	s_and_saveexec_b64 s[0:1], s[6:7]
	s_cbranch_execz .LBB1078_129
; %bb.128:
	s_sub_i32 s6, s3, s2
	s_min_u32 s6, s6, 8
	v_lshrrev_b32_e32 v13, s2, v12
	v_bfe_u32 v13, v13, 0, s6
	v_lshlrev_b32_e32 v14, 2, v2
	v_lshl_or_b32 v13, v13, 4, v14
	v_mov_b32_e32 v14, 1
	ds_add_u32 v13, v14
	v_mov_b32_e32 v13, 0
.LBB1078_129:
	s_or_b64 exec, exec, s[0:1]
	v_cmp_gt_i32_e64 s[0:1], 10, v13
	s_mov_b64 s[14:15], -1
	s_and_saveexec_b64 s[6:7], s[0:1]
; %bb.130:
	v_cmp_eq_u32_e64 s[0:1], 0, v13
	s_orn2_b64 s[14:15], s[0:1], exec
; %bb.131:
	s_or_b64 exec, exec, s[6:7]
	s_and_saveexec_b64 s[6:7], s[14:15]
	s_cbranch_execz .LBB1078_144
; %bb.132:
	s_add_i32 s14, s2, 8
	s_cmp_le_u32 s3, s14
	s_cselect_b64 s[0:1], -1, 0
	s_and_b64 s[16:17], s[0:1], exec
	s_cselect_b32 s15, 8, 10
	s_or_b64 s[0:1], s[0:1], vcc
	s_xor_b64 s[16:17], s[0:1], -1
	v_mov_b32_e32 v13, s15
	s_and_saveexec_b64 s[0:1], s[16:17]
	s_cbranch_execz .LBB1078_134
; %bb.133:
	s_sub_i32 s15, s3, s14
	s_min_u32 s15, s15, 8
	v_lshrrev_b32_e32 v13, s14, v12
	v_bfe_u32 v13, v13, 0, s15
	v_lshlrev_b32_e32 v14, 2, v2
	v_lshl_or_b32 v13, v13, 4, v14
	v_mov_b32_e32 v14, 1
	ds_add_u32 v13, v14 offset:4096
	v_mov_b32_e32 v13, 0
.LBB1078_134:
	s_or_b64 exec, exec, s[0:1]
	v_cmp_gt_i32_e64 s[0:1], 10, v13
	s_mov_b64 s[14:15], -1
	s_and_saveexec_b64 s[16:17], s[0:1]
; %bb.135:
	v_cmp_eq_u32_e64 s[0:1], 0, v13
	s_orn2_b64 s[14:15], s[0:1], exec
; %bb.136:
	s_or_b64 exec, exec, s[16:17]
	s_and_b64 exec, exec, s[14:15]
	s_cbranch_execz .LBB1078_144
; %bb.137:
	s_add_i32 s14, s2, 16
	s_cmp_le_u32 s3, s14
	s_cselect_b64 s[0:1], -1, 0
	s_and_b64 s[16:17], s[0:1], exec
	s_cselect_b32 s15, 8, 10
	s_or_b64 s[0:1], s[0:1], vcc
	s_xor_b64 s[16:17], s[0:1], -1
	v_mov_b32_e32 v13, s15
	s_and_saveexec_b64 s[0:1], s[16:17]
	s_cbranch_execz .LBB1078_139
; %bb.138:
	s_sub_i32 s15, s3, s14
	s_min_u32 s15, s15, 8
	v_lshrrev_b32_e32 v13, s14, v12
	v_bfe_u32 v13, v13, 0, s15
	v_lshlrev_b32_e32 v14, 2, v2
	v_lshl_or_b32 v13, v13, 4, v14
	v_mov_b32_e32 v14, 1
	ds_add_u32 v13, v14 offset:8192
	v_mov_b32_e32 v13, 0
.LBB1078_139:
	s_or_b64 exec, exec, s[0:1]
	v_cmp_gt_i32_e64 s[0:1], 10, v13
	s_mov_b64 s[14:15], -1
	s_and_saveexec_b64 s[16:17], s[0:1]
; %bb.140:
	v_cmp_eq_u32_e64 s[0:1], 0, v13
	s_orn2_b64 s[14:15], s[0:1], exec
; %bb.141:
	s_or_b64 exec, exec, s[16:17]
	s_and_b64 exec, exec, s[14:15]
	s_cbranch_execz .LBB1078_144
; %bb.142:
	s_add_i32 s0, s2, 24
	s_cmp_gt_u32 s3, s0
	s_cselect_b64 s[14:15], -1, 0
	s_xor_b64 s[16:17], vcc, -1
	s_and_b64 s[14:15], s[14:15], s[16:17]
	s_and_b64 exec, exec, s[14:15]
	s_cbranch_execz .LBB1078_144
; %bb.143:
	s_sub_i32 s1, s3, s0
	s_min_u32 s1, s1, 8
	v_lshrrev_b32_e32 v12, s0, v12
	v_bfe_u32 v12, v12, 0, s1
	v_lshlrev_b32_e32 v13, 2, v2
	v_lshl_or_b32 v12, v12, 4, v13
	v_mov_b32_e32 v13, 1
	ds_add_u32 v12, v13 offset:12288
.LBB1078_144:
	s_or_b64 exec, exec, s[6:7]
	v_cmp_le_u32_e32 vcc, s13, v11
	s_or_b64 s[0:1], s[4:5], vcc
	s_xor_b64 s[6:7], s[0:1], -1
	v_mov_b32_e32 v11, s18
	s_and_saveexec_b64 s[0:1], s[6:7]
	s_cbranch_execz .LBB1078_146
; %bb.145:
	s_sub_i32 s6, s3, s2
	s_min_u32 s6, s6, 8
	v_lshrrev_b32_e32 v11, s2, v10
	v_bfe_u32 v11, v11, 0, s6
	v_lshlrev_b32_e32 v12, 2, v2
	v_lshl_or_b32 v11, v11, 4, v12
	v_mov_b32_e32 v12, 1
	ds_add_u32 v11, v12
	v_mov_b32_e32 v11, 0
.LBB1078_146:
	s_or_b64 exec, exec, s[0:1]
	v_cmp_gt_i32_e64 s[0:1], 10, v11
	s_mov_b64 s[14:15], -1
	s_and_saveexec_b64 s[6:7], s[0:1]
; %bb.147:
	v_cmp_eq_u32_e64 s[0:1], 0, v11
	s_orn2_b64 s[14:15], s[0:1], exec
; %bb.148:
	s_or_b64 exec, exec, s[6:7]
	s_and_saveexec_b64 s[6:7], s[14:15]
	s_cbranch_execz .LBB1078_161
; %bb.149:
	s_add_i32 s14, s2, 8
	s_cmp_le_u32 s3, s14
	s_cselect_b64 s[0:1], -1, 0
	s_and_b64 s[16:17], s[0:1], exec
	s_cselect_b32 s15, 8, 10
	s_or_b64 s[0:1], s[0:1], vcc
	s_xor_b64 s[16:17], s[0:1], -1
	v_mov_b32_e32 v11, s15
	s_and_saveexec_b64 s[0:1], s[16:17]
	s_cbranch_execz .LBB1078_151
; %bb.150:
	s_sub_i32 s15, s3, s14
	s_min_u32 s15, s15, 8
	v_lshrrev_b32_e32 v11, s14, v10
	v_bfe_u32 v11, v11, 0, s15
	v_lshlrev_b32_e32 v12, 2, v2
	v_lshl_or_b32 v11, v11, 4, v12
	v_mov_b32_e32 v12, 1
	ds_add_u32 v11, v12 offset:4096
	v_mov_b32_e32 v11, 0
.LBB1078_151:
	s_or_b64 exec, exec, s[0:1]
	v_cmp_gt_i32_e64 s[0:1], 10, v11
	s_mov_b64 s[14:15], -1
	s_and_saveexec_b64 s[16:17], s[0:1]
; %bb.152:
	v_cmp_eq_u32_e64 s[0:1], 0, v11
	s_orn2_b64 s[14:15], s[0:1], exec
; %bb.153:
	s_or_b64 exec, exec, s[16:17]
	s_and_b64 exec, exec, s[14:15]
	s_cbranch_execz .LBB1078_161
; %bb.154:
	s_add_i32 s14, s2, 16
	s_cmp_le_u32 s3, s14
	s_cselect_b64 s[0:1], -1, 0
	s_and_b64 s[16:17], s[0:1], exec
	s_cselect_b32 s15, 8, 10
	s_or_b64 s[0:1], s[0:1], vcc
	s_xor_b64 s[16:17], s[0:1], -1
	v_mov_b32_e32 v11, s15
	s_and_saveexec_b64 s[0:1], s[16:17]
	s_cbranch_execz .LBB1078_156
; %bb.155:
	s_sub_i32 s15, s3, s14
	s_min_u32 s15, s15, 8
	v_lshrrev_b32_e32 v11, s14, v10
	v_bfe_u32 v11, v11, 0, s15
	v_lshlrev_b32_e32 v12, 2, v2
	v_lshl_or_b32 v11, v11, 4, v12
	v_mov_b32_e32 v12, 1
	ds_add_u32 v11, v12 offset:8192
	v_mov_b32_e32 v11, 0
.LBB1078_156:
	s_or_b64 exec, exec, s[0:1]
	v_cmp_gt_i32_e64 s[0:1], 10, v11
	s_mov_b64 s[14:15], -1
	s_and_saveexec_b64 s[16:17], s[0:1]
; %bb.157:
	v_cmp_eq_u32_e64 s[0:1], 0, v11
	s_orn2_b64 s[14:15], s[0:1], exec
; %bb.158:
	s_or_b64 exec, exec, s[16:17]
	s_and_b64 exec, exec, s[14:15]
	s_cbranch_execz .LBB1078_161
; %bb.159:
	s_add_i32 s0, s2, 24
	s_cmp_gt_u32 s3, s0
	s_cselect_b64 s[14:15], -1, 0
	s_xor_b64 s[16:17], vcc, -1
	s_and_b64 s[14:15], s[14:15], s[16:17]
	s_and_b64 exec, exec, s[14:15]
	s_cbranch_execz .LBB1078_161
; %bb.160:
	s_sub_i32 s1, s3, s0
	s_min_u32 s1, s1, 8
	v_lshrrev_b32_e32 v10, s0, v10
	v_bfe_u32 v10, v10, 0, s1
	v_lshlrev_b32_e32 v11, 2, v2
	v_lshl_or_b32 v10, v10, 4, v11
	v_mov_b32_e32 v11, 1
	ds_add_u32 v10, v11 offset:12288
.LBB1078_161:
	s_or_b64 exec, exec, s[6:7]
	v_cmp_le_u32_e32 vcc, s13, v9
	s_or_b64 s[0:1], s[4:5], vcc
	s_xor_b64 s[6:7], s[0:1], -1
	v_mov_b32_e32 v9, s18
	s_and_saveexec_b64 s[0:1], s[6:7]
	s_cbranch_execz .LBB1078_163
; %bb.162:
	s_sub_i32 s6, s3, s2
	s_min_u32 s6, s6, 8
	v_lshrrev_b32_e32 v9, s2, v8
	v_bfe_u32 v9, v9, 0, s6
	v_lshlrev_b32_e32 v10, 2, v2
	v_lshl_or_b32 v9, v9, 4, v10
	v_mov_b32_e32 v10, 1
	ds_add_u32 v9, v10
	v_mov_b32_e32 v9, 0
.LBB1078_163:
	s_or_b64 exec, exec, s[0:1]
	v_cmp_gt_i32_e64 s[0:1], 10, v9
	s_mov_b64 s[14:15], -1
	s_and_saveexec_b64 s[6:7], s[0:1]
; %bb.164:
	v_cmp_eq_u32_e64 s[0:1], 0, v9
	s_orn2_b64 s[14:15], s[0:1], exec
; %bb.165:
	s_or_b64 exec, exec, s[6:7]
	s_and_saveexec_b64 s[6:7], s[14:15]
	s_cbranch_execz .LBB1078_178
; %bb.166:
	s_add_i32 s14, s2, 8
	s_cmp_le_u32 s3, s14
	s_cselect_b64 s[0:1], -1, 0
	s_and_b64 s[16:17], s[0:1], exec
	s_cselect_b32 s15, 8, 10
	s_or_b64 s[0:1], s[0:1], vcc
	s_xor_b64 s[16:17], s[0:1], -1
	v_mov_b32_e32 v9, s15
	s_and_saveexec_b64 s[0:1], s[16:17]
	s_cbranch_execz .LBB1078_168
; %bb.167:
	s_sub_i32 s15, s3, s14
	s_min_u32 s15, s15, 8
	v_lshrrev_b32_e32 v9, s14, v8
	v_bfe_u32 v9, v9, 0, s15
	v_lshlrev_b32_e32 v10, 2, v2
	v_lshl_or_b32 v9, v9, 4, v10
	v_mov_b32_e32 v10, 1
	ds_add_u32 v9, v10 offset:4096
	v_mov_b32_e32 v9, 0
.LBB1078_168:
	s_or_b64 exec, exec, s[0:1]
	v_cmp_gt_i32_e64 s[0:1], 10, v9
	s_mov_b64 s[14:15], -1
	s_and_saveexec_b64 s[16:17], s[0:1]
; %bb.169:
	v_cmp_eq_u32_e64 s[0:1], 0, v9
	s_orn2_b64 s[14:15], s[0:1], exec
; %bb.170:
	s_or_b64 exec, exec, s[16:17]
	s_and_b64 exec, exec, s[14:15]
	s_cbranch_execz .LBB1078_178
; %bb.171:
	s_add_i32 s14, s2, 16
	s_cmp_le_u32 s3, s14
	s_cselect_b64 s[0:1], -1, 0
	s_and_b64 s[16:17], s[0:1], exec
	s_cselect_b32 s15, 8, 10
	s_or_b64 s[0:1], s[0:1], vcc
	s_xor_b64 s[16:17], s[0:1], -1
	v_mov_b32_e32 v9, s15
	s_and_saveexec_b64 s[0:1], s[16:17]
	s_cbranch_execz .LBB1078_173
; %bb.172:
	s_sub_i32 s15, s3, s14
	s_min_u32 s15, s15, 8
	v_lshrrev_b32_e32 v9, s14, v8
	v_bfe_u32 v9, v9, 0, s15
	v_lshlrev_b32_e32 v10, 2, v2
	v_lshl_or_b32 v9, v9, 4, v10
	v_mov_b32_e32 v10, 1
	ds_add_u32 v9, v10 offset:8192
	v_mov_b32_e32 v9, 0
.LBB1078_173:
	s_or_b64 exec, exec, s[0:1]
	v_cmp_gt_i32_e64 s[0:1], 10, v9
	s_mov_b64 s[14:15], -1
	s_and_saveexec_b64 s[16:17], s[0:1]
; %bb.174:
	v_cmp_eq_u32_e64 s[0:1], 0, v9
	s_orn2_b64 s[14:15], s[0:1], exec
; %bb.175:
	s_or_b64 exec, exec, s[16:17]
	s_and_b64 exec, exec, s[14:15]
	s_cbranch_execz .LBB1078_178
; %bb.176:
	s_add_i32 s0, s2, 24
	s_cmp_gt_u32 s3, s0
	s_cselect_b64 s[14:15], -1, 0
	s_xor_b64 s[16:17], vcc, -1
	s_and_b64 s[14:15], s[14:15], s[16:17]
	s_and_b64 exec, exec, s[14:15]
	s_cbranch_execz .LBB1078_178
; %bb.177:
	s_sub_i32 s1, s3, s0
	s_min_u32 s1, s1, 8
	v_lshrrev_b32_e32 v8, s0, v8
	v_bfe_u32 v8, v8, 0, s1
	v_lshlrev_b32_e32 v9, 2, v2
	v_lshl_or_b32 v8, v8, 4, v9
	v_mov_b32_e32 v9, 1
	ds_add_u32 v8, v9 offset:12288
.LBB1078_178:
	s_or_b64 exec, exec, s[6:7]
	v_cmp_le_u32_e32 vcc, s13, v7
	s_or_b64 s[0:1], s[4:5], vcc
	s_xor_b64 s[6:7], s[0:1], -1
	v_mov_b32_e32 v7, s18
	s_and_saveexec_b64 s[0:1], s[6:7]
	s_cbranch_execz .LBB1078_180
; %bb.179:
	s_sub_i32 s6, s3, s2
	s_min_u32 s6, s6, 8
	v_lshrrev_b32_e32 v7, s2, v6
	v_bfe_u32 v7, v7, 0, s6
	v_lshlrev_b32_e32 v8, 2, v2
	v_lshl_or_b32 v7, v7, 4, v8
	v_mov_b32_e32 v8, 1
	ds_add_u32 v7, v8
	v_mov_b32_e32 v7, 0
.LBB1078_180:
	s_or_b64 exec, exec, s[0:1]
	v_cmp_gt_i32_e64 s[0:1], 10, v7
	s_mov_b64 s[14:15], -1
	s_and_saveexec_b64 s[6:7], s[0:1]
; %bb.181:
	v_cmp_eq_u32_e64 s[0:1], 0, v7
	s_orn2_b64 s[14:15], s[0:1], exec
; %bb.182:
	s_or_b64 exec, exec, s[6:7]
	s_and_saveexec_b64 s[6:7], s[14:15]
	s_cbranch_execz .LBB1078_195
; %bb.183:
	s_add_i32 s14, s2, 8
	s_cmp_le_u32 s3, s14
	s_cselect_b64 s[0:1], -1, 0
	s_and_b64 s[16:17], s[0:1], exec
	s_cselect_b32 s15, 8, 10
	s_or_b64 s[0:1], s[0:1], vcc
	s_xor_b64 s[16:17], s[0:1], -1
	v_mov_b32_e32 v7, s15
	s_and_saveexec_b64 s[0:1], s[16:17]
	s_cbranch_execz .LBB1078_185
; %bb.184:
	s_sub_i32 s15, s3, s14
	s_min_u32 s15, s15, 8
	v_lshrrev_b32_e32 v7, s14, v6
	v_bfe_u32 v7, v7, 0, s15
	v_lshlrev_b32_e32 v8, 2, v2
	v_lshl_or_b32 v7, v7, 4, v8
	v_mov_b32_e32 v8, 1
	ds_add_u32 v7, v8 offset:4096
	v_mov_b32_e32 v7, 0
.LBB1078_185:
	s_or_b64 exec, exec, s[0:1]
	v_cmp_gt_i32_e64 s[0:1], 10, v7
	s_mov_b64 s[14:15], -1
	s_and_saveexec_b64 s[16:17], s[0:1]
; %bb.186:
	v_cmp_eq_u32_e64 s[0:1], 0, v7
	s_orn2_b64 s[14:15], s[0:1], exec
; %bb.187:
	s_or_b64 exec, exec, s[16:17]
	s_and_b64 exec, exec, s[14:15]
	s_cbranch_execz .LBB1078_195
; %bb.188:
	s_add_i32 s14, s2, 16
	s_cmp_le_u32 s3, s14
	s_cselect_b64 s[0:1], -1, 0
	s_and_b64 s[16:17], s[0:1], exec
	s_cselect_b32 s15, 8, 10
	s_or_b64 s[0:1], s[0:1], vcc
	s_xor_b64 s[16:17], s[0:1], -1
	v_mov_b32_e32 v7, s15
	s_and_saveexec_b64 s[0:1], s[16:17]
	s_cbranch_execz .LBB1078_190
; %bb.189:
	s_sub_i32 s15, s3, s14
	s_min_u32 s15, s15, 8
	v_lshrrev_b32_e32 v7, s14, v6
	v_bfe_u32 v7, v7, 0, s15
	v_lshlrev_b32_e32 v8, 2, v2
	v_lshl_or_b32 v7, v7, 4, v8
	v_mov_b32_e32 v8, 1
	ds_add_u32 v7, v8 offset:8192
	v_mov_b32_e32 v7, 0
.LBB1078_190:
	s_or_b64 exec, exec, s[0:1]
	v_cmp_gt_i32_e64 s[0:1], 10, v7
	s_mov_b64 s[14:15], -1
	s_and_saveexec_b64 s[16:17], s[0:1]
; %bb.191:
	v_cmp_eq_u32_e64 s[0:1], 0, v7
	s_orn2_b64 s[14:15], s[0:1], exec
; %bb.192:
	s_or_b64 exec, exec, s[16:17]
	s_and_b64 exec, exec, s[14:15]
	s_cbranch_execz .LBB1078_195
; %bb.193:
	s_add_i32 s0, s2, 24
	s_cmp_gt_u32 s3, s0
	s_cselect_b64 s[14:15], -1, 0
	s_xor_b64 s[16:17], vcc, -1
	s_and_b64 s[14:15], s[14:15], s[16:17]
	s_and_b64 exec, exec, s[14:15]
	s_cbranch_execz .LBB1078_195
; %bb.194:
	s_sub_i32 s1, s3, s0
	s_min_u32 s1, s1, 8
	v_lshrrev_b32_e32 v6, s0, v6
	v_bfe_u32 v6, v6, 0, s1
	v_lshlrev_b32_e32 v7, 2, v2
	v_lshl_or_b32 v6, v6, 4, v7
	v_mov_b32_e32 v7, 1
	ds_add_u32 v6, v7 offset:12288
.LBB1078_195:
	s_or_b64 exec, exec, s[6:7]
	v_cmp_le_u32_e32 vcc, s13, v5
	s_or_b64 s[0:1], s[4:5], vcc
	s_xor_b64 s[6:7], s[0:1], -1
	v_mov_b32_e32 v5, s18
	s_and_saveexec_b64 s[0:1], s[6:7]
	s_cbranch_execz .LBB1078_197
; %bb.196:
	s_sub_i32 s6, s3, s2
	s_min_u32 s6, s6, 8
	v_lshrrev_b32_e32 v5, s2, v4
	v_bfe_u32 v5, v5, 0, s6
	v_lshlrev_b32_e32 v6, 2, v2
	v_lshl_or_b32 v5, v5, 4, v6
	v_mov_b32_e32 v6, 1
	ds_add_u32 v5, v6
	v_mov_b32_e32 v5, 0
.LBB1078_197:
	s_or_b64 exec, exec, s[0:1]
	v_cmp_gt_i32_e64 s[0:1], 10, v5
	s_mov_b64 s[14:15], -1
	s_and_saveexec_b64 s[6:7], s[0:1]
; %bb.198:
	v_cmp_eq_u32_e64 s[0:1], 0, v5
	s_orn2_b64 s[14:15], s[0:1], exec
; %bb.199:
	s_or_b64 exec, exec, s[6:7]
	s_and_saveexec_b64 s[6:7], s[14:15]
	s_cbranch_execz .LBB1078_212
; %bb.200:
	s_add_i32 s14, s2, 8
	s_cmp_le_u32 s3, s14
	s_cselect_b64 s[0:1], -1, 0
	s_and_b64 s[16:17], s[0:1], exec
	s_cselect_b32 s15, 8, 10
	s_or_b64 s[0:1], s[0:1], vcc
	s_xor_b64 s[16:17], s[0:1], -1
	v_mov_b32_e32 v5, s15
	s_and_saveexec_b64 s[0:1], s[16:17]
	s_cbranch_execz .LBB1078_202
; %bb.201:
	s_sub_i32 s15, s3, s14
	s_min_u32 s15, s15, 8
	v_lshrrev_b32_e32 v5, s14, v4
	v_bfe_u32 v5, v5, 0, s15
	v_lshlrev_b32_e32 v6, 2, v2
	v_lshl_or_b32 v5, v5, 4, v6
	v_mov_b32_e32 v6, 1
	ds_add_u32 v5, v6 offset:4096
	v_mov_b32_e32 v5, 0
.LBB1078_202:
	s_or_b64 exec, exec, s[0:1]
	v_cmp_gt_i32_e64 s[0:1], 10, v5
	s_mov_b64 s[14:15], -1
	s_and_saveexec_b64 s[16:17], s[0:1]
; %bb.203:
	v_cmp_eq_u32_e64 s[0:1], 0, v5
	s_orn2_b64 s[14:15], s[0:1], exec
; %bb.204:
	s_or_b64 exec, exec, s[16:17]
	s_and_b64 exec, exec, s[14:15]
	s_cbranch_execz .LBB1078_212
; %bb.205:
	s_add_i32 s14, s2, 16
	s_cmp_le_u32 s3, s14
	s_cselect_b64 s[0:1], -1, 0
	s_and_b64 s[16:17], s[0:1], exec
	s_cselect_b32 s15, 8, 10
	s_or_b64 s[0:1], s[0:1], vcc
	s_xor_b64 s[16:17], s[0:1], -1
	v_mov_b32_e32 v5, s15
	s_and_saveexec_b64 s[0:1], s[16:17]
	s_cbranch_execz .LBB1078_207
; %bb.206:
	s_sub_i32 s15, s3, s14
	s_min_u32 s15, s15, 8
	v_lshrrev_b32_e32 v5, s14, v4
	v_bfe_u32 v5, v5, 0, s15
	v_lshlrev_b32_e32 v6, 2, v2
	v_lshl_or_b32 v5, v5, 4, v6
	v_mov_b32_e32 v6, 1
	ds_add_u32 v5, v6 offset:8192
	v_mov_b32_e32 v5, 0
.LBB1078_207:
	s_or_b64 exec, exec, s[0:1]
	v_cmp_gt_i32_e64 s[0:1], 10, v5
	s_mov_b64 s[14:15], -1
	s_and_saveexec_b64 s[16:17], s[0:1]
; %bb.208:
	v_cmp_eq_u32_e64 s[0:1], 0, v5
	s_orn2_b64 s[14:15], s[0:1], exec
; %bb.209:
	s_or_b64 exec, exec, s[16:17]
	s_and_b64 exec, exec, s[14:15]
	s_cbranch_execz .LBB1078_212
; %bb.210:
	s_add_i32 s0, s2, 24
	s_cmp_gt_u32 s3, s0
	s_cselect_b64 s[14:15], -1, 0
	s_xor_b64 s[16:17], vcc, -1
	s_and_b64 s[14:15], s[14:15], s[16:17]
	s_and_b64 exec, exec, s[14:15]
	s_cbranch_execz .LBB1078_212
; %bb.211:
	s_sub_i32 s1, s3, s0
	s_min_u32 s1, s1, 8
	v_lshrrev_b32_e32 v4, s0, v4
	v_bfe_u32 v4, v4, 0, s1
	v_lshlrev_b32_e32 v5, 2, v2
	v_lshl_or_b32 v4, v4, 4, v5
	v_mov_b32_e32 v5, 1
	ds_add_u32 v4, v5 offset:12288
.LBB1078_212:
	s_or_b64 exec, exec, s[6:7]
	v_cmp_le_u32_e32 vcc, s13, v3
	s_or_b64 s[0:1], s[4:5], vcc
	s_xor_b64 s[4:5], s[0:1], -1
	v_mov_b32_e32 v3, s18
	s_and_saveexec_b64 s[0:1], s[4:5]
	s_cbranch_execz .LBB1078_214
; %bb.213:
	s_sub_i32 s4, s3, s2
	s_min_u32 s4, s4, 8
	v_lshrrev_b32_e32 v3, s2, v1
	v_bfe_u32 v3, v3, 0, s4
	v_lshlrev_b32_e32 v4, 2, v2
	v_lshl_or_b32 v3, v3, 4, v4
	v_mov_b32_e32 v4, 1
	ds_add_u32 v3, v4
	v_mov_b32_e32 v3, 0
.LBB1078_214:
	s_or_b64 exec, exec, s[0:1]
	v_cmp_gt_i32_e64 s[0:1], 10, v3
	s_mov_b64 s[6:7], -1
	s_and_saveexec_b64 s[4:5], s[0:1]
; %bb.215:
	v_cmp_eq_u32_e64 s[0:1], 0, v3
	s_orn2_b64 s[6:7], s[0:1], exec
; %bb.216:
	s_or_b64 exec, exec, s[4:5]
	s_and_saveexec_b64 s[4:5], s[6:7]
	s_cbranch_execz .LBB1078_229
; %bb.217:
	s_add_i32 s6, s2, 8
	s_cmp_le_u32 s3, s6
	s_cselect_b64 s[0:1], -1, 0
	s_and_b64 s[14:15], s[0:1], exec
	s_cselect_b32 s7, 8, 10
	s_or_b64 s[0:1], s[0:1], vcc
	s_xor_b64 s[14:15], s[0:1], -1
	v_mov_b32_e32 v3, s7
	s_and_saveexec_b64 s[0:1], s[14:15]
	s_cbranch_execz .LBB1078_219
; %bb.218:
	s_sub_i32 s7, s3, s6
	s_min_u32 s7, s7, 8
	v_lshrrev_b32_e32 v3, s6, v1
	v_bfe_u32 v3, v3, 0, s7
	v_lshlrev_b32_e32 v4, 2, v2
	v_lshl_or_b32 v3, v3, 4, v4
	v_mov_b32_e32 v4, 1
	ds_add_u32 v3, v4 offset:4096
	v_mov_b32_e32 v3, 0
.LBB1078_219:
	s_or_b64 exec, exec, s[0:1]
	v_cmp_gt_i32_e64 s[0:1], 10, v3
	s_mov_b64 s[6:7], -1
	s_and_saveexec_b64 s[14:15], s[0:1]
; %bb.220:
	v_cmp_eq_u32_e64 s[0:1], 0, v3
	s_orn2_b64 s[6:7], s[0:1], exec
; %bb.221:
	s_or_b64 exec, exec, s[14:15]
	s_and_b64 exec, exec, s[6:7]
	s_cbranch_execz .LBB1078_229
; %bb.222:
	s_add_i32 s6, s2, 16
	s_cmp_le_u32 s3, s6
	s_cselect_b64 s[0:1], -1, 0
	s_and_b64 s[14:15], s[0:1], exec
	s_cselect_b32 s7, 8, 10
	s_or_b64 s[0:1], s[0:1], vcc
	s_xor_b64 s[14:15], s[0:1], -1
	v_mov_b32_e32 v3, s7
	s_and_saveexec_b64 s[0:1], s[14:15]
	s_cbranch_execz .LBB1078_224
; %bb.223:
	s_sub_i32 s7, s3, s6
	s_min_u32 s7, s7, 8
	v_lshrrev_b32_e32 v3, s6, v1
	v_bfe_u32 v3, v3, 0, s7
	v_lshlrev_b32_e32 v4, 2, v2
	v_lshl_or_b32 v3, v3, 4, v4
	v_mov_b32_e32 v4, 1
	ds_add_u32 v3, v4 offset:8192
	v_mov_b32_e32 v3, 0
.LBB1078_224:
	s_or_b64 exec, exec, s[0:1]
	v_cmp_gt_i32_e64 s[0:1], 10, v3
	s_mov_b64 s[6:7], -1
	s_and_saveexec_b64 s[14:15], s[0:1]
; %bb.225:
	v_cmp_eq_u32_e64 s[0:1], 0, v3
	s_orn2_b64 s[6:7], s[0:1], exec
; %bb.226:
	s_or_b64 exec, exec, s[14:15]
	s_and_b64 exec, exec, s[6:7]
	s_cbranch_execz .LBB1078_229
; %bb.227:
	s_add_i32 s0, s2, 24
	s_cmp_gt_u32 s3, s0
	s_cselect_b64 s[6:7], -1, 0
	s_xor_b64 s[14:15], vcc, -1
	s_and_b64 s[6:7], s[6:7], s[14:15]
	s_and_b64 exec, exec, s[6:7]
	s_cbranch_execz .LBB1078_229
; %bb.228:
	s_sub_i32 s1, s3, s0
	s_min_u32 s1, s1, 8
	v_lshrrev_b32_e32 v1, s0, v1
	v_bfe_u32 v1, v1, 0, s1
	v_lshlrev_b32_e32 v2, 2, v2
	v_lshl_or_b32 v1, v1, 4, v2
	v_mov_b32_e32 v2, 1
	ds_add_u32 v1, v2 offset:12288
.LBB1078_229:
	s_or_b64 exec, exec, s[4:5]
	s_cmp_gt_u32 s3, s2
	s_waitcnt lgkmcnt(0)
	s_barrier
	s_cbranch_scc0 .LBB1078_234
; %bb.230:
	s_movk_i32 s0, 0x100
	v_cmp_gt_u32_e32 vcc, s0, v0
	v_lshlrev_b32_e32 v1, 4, v0
	v_mov_b32_e32 v3, 0
	v_mov_b32_e32 v2, v0
	s_mov_b32 s6, s2
	s_branch .LBB1078_232
.LBB1078_231:                           ;   in Loop: Header=BB1078_232 Depth=1
	s_or_b64 exec, exec, s[4:5]
	s_add_i32 s6, s6, 8
	v_add_u32_e32 v2, 0x100, v2
	s_cmp_lt_u32 s6, s3
	v_add_u32_e32 v1, 0x1000, v1
	s_cbranch_scc0 .LBB1078_234
.LBB1078_232:                           ; =>This Inner Loop Header: Depth=1
	s_and_saveexec_b64 s[4:5], vcc
	s_cbranch_execz .LBB1078_231
; %bb.233:                              ;   in Loop: Header=BB1078_232 Depth=1
	ds_read2_b32 v[4:5], v1 offset1:1
	ds_read2_b32 v[6:7], v1 offset0:2 offset1:3
	v_lshlrev_b64 v[8:9], 2, v[2:3]
	v_mov_b32_e32 v10, s11
	s_waitcnt lgkmcnt(1)
	v_add_u32_e32 v4, v5, v4
	s_waitcnt lgkmcnt(0)
	v_add3_u32 v6, v4, v6, v7
	v_add_co_u32_e64 v4, s[0:1], s10, v8
	v_addc_co_u32_e64 v5, s[0:1], v10, v9, s[0:1]
	global_atomic_add v[4:5], v6, off
	s_branch .LBB1078_231
.LBB1078_234:
	s_mov_b64 s[0:1], 0
.LBB1078_235:
	s_and_b64 vcc, exec, s[0:1]
	s_cbranch_vccz .LBB1078_319
; %bb.236:
	s_cmp_eq_u32 s2, 0
	s_cselect_b64 s[0:1], -1, 0
	s_cmp_eq_u32 s3, 32
	s_mov_b32 s13, 0
	s_cselect_b64 s[4:5], -1, 0
	s_and_b64 s[4:5], s[0:1], s[4:5]
	s_lshl_b64 s[0:1], s[12:13], 2
	s_add_u32 s0, s8, s0
	s_addc_u32 s1, s9, s1
	v_lshlrev_b32_e32 v1, 2, v0
	v_mov_b32_e32 v2, s1
	v_add_co_u32_e32 v20, vcc, s0, v1
	v_addc_co_u32_e32 v21, vcc, 0, v2, vcc
	s_movk_i32 s6, 0x2000
	v_add_co_u32_e32 v2, vcc, s6, v20
	v_addc_co_u32_e32 v3, vcc, 0, v21, vcc
	s_movk_i32 s6, 0x4000
	;; [unrolled: 3-line block ×3, first 2 shown]
	global_load_dword v13, v[2:3], off
	global_load_dword v12, v[4:5], off offset:-4096
	global_load_dword v11, v[4:5], off
	v_add_co_u32_e32 v4, vcc, s6, v20
	v_addc_co_u32_e32 v5, vcc, 0, v21, vcc
	s_mov_b32 s6, 0x8000
	v_add_co_u32_e32 v14, vcc, s6, v20
	v_addc_co_u32_e32 v15, vcc, 0, v21, vcc
	s_mov_b32 s6, 0x9000
	v_add_co_u32_e32 v16, vcc, s6, v20
	v_addc_co_u32_e32 v17, vcc, 0, v21, vcc
	v_add_co_u32_e32 v18, vcc, 0xa000, v20
	global_load_dword v10, v[4:5], off offset:-4096
	global_load_dword v9, v[4:5], off
	global_load_dword v8, v[14:15], off offset:-4096
	global_load_dword v7, v[14:15], off
	v_addc_co_u32_e32 v19, vcc, 0, v21, vcc
	global_load_dword v15, v1, s[0:1]
	global_load_dword v6, v[16:17], off
	global_load_dword v5, v[18:19], off
	v_add_co_u32_e32 v16, vcc, 0xb000, v20
	v_addc_co_u32_e32 v17, vcc, 0, v21, vcc
	global_load_dword v14, v[2:3], off offset:-4096
	global_load_dword v4, v[16:17], off
	s_mov_b64 s[0:1], -1
	s_and_b64 vcc, exec, s[4:5]
	s_cbranch_vccnz .LBB1078_316
; %bb.237:
	s_cmp_gt_u32 s3, s2
	s_cselect_b64 s[0:1], -1, 0
	v_mov_b32_e32 v2, 0
	s_and_b64 vcc, exec, s[0:1]
	ds_write2st64_b32 v1, v2, v2 offset1:16
	ds_write2st64_b32 v1, v2, v2 offset0:32 offset1:48
	s_waitcnt lgkmcnt(0)
	s_barrier
	s_cbranch_vccz .LBB1078_310
; %bb.238:
	s_sub_i32 s4, s3, s2
	s_min_u32 s4, s4, 8
	s_lshl_b32 s4, -1, s4
	v_and_b32_e32 v2, 3, v0
	s_not_b32 s13, s4
	s_waitcnt vmcnt(4)
	v_lshrrev_b32_e32 v3, s2, v15
	v_and_b32_e32 v16, s13, v3
	v_lshlrev_b32_e32 v3, 2, v2
	v_lshl_or_b32 v16, v16, 4, v3
	v_mov_b32_e32 v17, 1
	ds_add_u32 v16, v17
	s_add_i32 s12, s2, 8
	s_cmp_le_u32 s3, s12
	s_cselect_b64 s[4:5], -1, 0
	s_waitcnt vmcnt(1)
	v_lshrrev_b32_e32 v16, s2, v14
	s_and_b64 vcc, exec, s[4:5]
	v_and_b32_e32 v16, s13, v16
	s_cbranch_vccz .LBB1078_240
; %bb.239:
	v_lshl_or_b32 v17, v16, 2, v2
	s_mov_b64 s[6:7], -1
	s_cbranch_execz .LBB1078_241
	s_branch .LBB1078_248
.LBB1078_240:
	s_mov_b64 s[6:7], 0
                                        ; implicit-def: $vgpr17
.LBB1078_241:
	s_sub_i32 s8, s3, s12
	s_min_u32 s8, s8, 8
	s_lshl_b32 s8, -1, s8
	s_not_b32 s15, s8
	v_lshrrev_b32_e32 v17, s12, v15
	v_and_b32_e32 v17, s15, v17
	v_lshl_or_b32 v18, v17, 4, v3
	v_mov_b32_e32 v17, 1
	ds_add_u32 v18, v17 offset:4096
	s_add_i32 s14, s2, 16
	s_cmp_gt_u32 s3, s14
	s_cselect_b64 s[8:9], -1, 0
	s_cmp_le_u32 s3, s14
	s_cbranch_scc1 .LBB1078_244
; %bb.242:
	s_sub_i32 s16, s3, s14
	s_min_u32 s16, s16, 8
	v_lshrrev_b32_e32 v18, s14, v15
	v_bfe_u32 v18, v18, 0, s16
	v_lshl_or_b32 v18, v18, 4, v3
	ds_add_u32 v18, v17 offset:8192
	s_add_i32 s16, s2, 24
	s_cmp_le_u32 s3, s16
	s_cbranch_scc1 .LBB1078_244
; %bb.243:
	s_sub_i32 s17, s3, s16
	s_min_u32 s17, s17, 8
	v_lshrrev_b32_e32 v18, s16, v15
	v_bfe_u32 v18, v18, 0, s17
	v_lshl_or_b32 v18, v18, 4, v3
	v_mov_b32_e32 v19, 1
	ds_add_u32 v18, v19 offset:12288
.LBB1078_244:
	v_lshl_or_b32 v16, v16, 4, v3
	ds_add_u32 v16, v17
	v_lshrrev_b32_e32 v16, s12, v14
	v_and_b32_e32 v16, s15, v16
	v_lshl_or_b32 v16, v16, 4, v3
	ds_add_u32 v16, v17 offset:4096
	s_andn2_b64 vcc, exec, s[8:9]
	s_cbranch_vccnz .LBB1078_247
; %bb.245:
	s_sub_i32 s8, s3, s14
	s_min_u32 s8, s8, 8
	v_lshrrev_b32_e32 v16, s14, v14
	v_bfe_u32 v16, v16, 0, s8
	v_lshl_or_b32 v16, v16, 4, v3
	v_mov_b32_e32 v17, 1
	ds_add_u32 v16, v17 offset:8192
	s_add_i32 s8, s2, 24
	s_cmp_gt_u32 s3, s8
	s_cbranch_scc0 .LBB1078_247
; %bb.246:
	s_sub_i32 s6, s3, s8
	s_min_u32 s6, s6, 8
	v_lshrrev_b32_e32 v16, s8, v14
	v_bfe_u32 v16, v16, 0, s6
	v_lshl_or_b32 v16, v16, 2, v2
	v_add_u32_e32 v17, 0xc00, v16
	s_mov_b64 s[6:7], -1
	s_branch .LBB1078_248
.LBB1078_247:
                                        ; implicit-def: $vgpr17
.LBB1078_248:
	s_and_b64 vcc, exec, s[6:7]
	s_cbranch_vccz .LBB1078_250
; %bb.249:
	v_lshlrev_b32_e32 v16, 2, v17
	v_mov_b32_e32 v17, 1
	ds_add_u32 v16, v17
.LBB1078_250:
	v_lshrrev_b32_e32 v16, s2, v13
	v_and_b32_e32 v16, s13, v16
	v_lshl_or_b32 v16, v16, 4, v3
	v_mov_b32_e32 v17, 1
	ds_add_u32 v16, v17
	v_lshrrev_b32_e32 v16, s2, v12
	s_and_b64 vcc, exec, s[4:5]
	v_and_b32_e32 v16, s13, v16
	s_cbranch_vccz .LBB1078_252
; %bb.251:
	v_lshl_or_b32 v17, v16, 2, v2
	s_mov_b64 s[6:7], -1
	s_cbranch_execz .LBB1078_253
	s_branch .LBB1078_260
.LBB1078_252:
	s_mov_b64 s[6:7], 0
                                        ; implicit-def: $vgpr17
.LBB1078_253:
	s_sub_i32 s8, s3, s12
	s_min_u32 s8, s8, 8
	s_lshl_b32 s8, -1, s8
	s_not_b32 s15, s8
	v_lshrrev_b32_e32 v17, s12, v13
	v_and_b32_e32 v17, s15, v17
	v_lshl_or_b32 v18, v17, 4, v3
	v_mov_b32_e32 v17, 1
	ds_add_u32 v18, v17 offset:4096
	s_add_i32 s14, s2, 16
	s_cmp_gt_u32 s3, s14
	s_cselect_b64 s[8:9], -1, 0
	s_cmp_le_u32 s3, s14
	s_cbranch_scc1 .LBB1078_256
; %bb.254:
	s_sub_i32 s16, s3, s14
	s_min_u32 s16, s16, 8
	v_lshrrev_b32_e32 v18, s14, v13
	v_bfe_u32 v18, v18, 0, s16
	v_lshl_or_b32 v18, v18, 4, v3
	ds_add_u32 v18, v17 offset:8192
	s_add_i32 s16, s2, 24
	s_cmp_le_u32 s3, s16
	s_cbranch_scc1 .LBB1078_256
; %bb.255:
	s_sub_i32 s17, s3, s16
	s_min_u32 s17, s17, 8
	v_lshrrev_b32_e32 v18, s16, v13
	v_bfe_u32 v18, v18, 0, s17
	v_lshl_or_b32 v18, v18, 4, v3
	v_mov_b32_e32 v19, 1
	ds_add_u32 v18, v19 offset:12288
.LBB1078_256:
	v_lshl_or_b32 v16, v16, 4, v3
	ds_add_u32 v16, v17
	v_lshrrev_b32_e32 v16, s12, v12
	v_and_b32_e32 v16, s15, v16
	v_lshl_or_b32 v16, v16, 4, v3
	ds_add_u32 v16, v17 offset:4096
	s_andn2_b64 vcc, exec, s[8:9]
	s_cbranch_vccnz .LBB1078_259
; %bb.257:
	s_sub_i32 s8, s3, s14
	s_min_u32 s8, s8, 8
	v_lshrrev_b32_e32 v16, s14, v12
	v_bfe_u32 v16, v16, 0, s8
	v_lshl_or_b32 v16, v16, 4, v3
	v_mov_b32_e32 v17, 1
	ds_add_u32 v16, v17 offset:8192
	s_add_i32 s8, s2, 24
	s_cmp_gt_u32 s3, s8
	s_cbranch_scc0 .LBB1078_259
; %bb.258:
	s_sub_i32 s6, s3, s8
	s_min_u32 s6, s6, 8
	v_lshrrev_b32_e32 v16, s8, v12
	v_bfe_u32 v16, v16, 0, s6
	v_lshl_or_b32 v16, v16, 2, v2
	v_add_u32_e32 v17, 0xc00, v16
	s_mov_b64 s[6:7], -1
	s_branch .LBB1078_260
.LBB1078_259:
                                        ; implicit-def: $vgpr17
.LBB1078_260:
	s_and_b64 vcc, exec, s[6:7]
	s_cbranch_vccz .LBB1078_262
; %bb.261:
	v_lshlrev_b32_e32 v16, 2, v17
	v_mov_b32_e32 v17, 1
	ds_add_u32 v16, v17
.LBB1078_262:
	v_lshrrev_b32_e32 v16, s2, v11
	v_and_b32_e32 v16, s13, v16
	v_lshl_or_b32 v16, v16, 4, v3
	v_mov_b32_e32 v17, 1
	ds_add_u32 v16, v17
	v_lshrrev_b32_e32 v16, s2, v10
	s_and_b64 vcc, exec, s[4:5]
	v_and_b32_e32 v16, s13, v16
	s_cbranch_vccz .LBB1078_264
; %bb.263:
	v_lshl_or_b32 v17, v16, 2, v2
	s_mov_b64 s[6:7], -1
	s_cbranch_execz .LBB1078_265
	s_branch .LBB1078_272
.LBB1078_264:
	s_mov_b64 s[6:7], 0
                                        ; implicit-def: $vgpr17
.LBB1078_265:
	s_sub_i32 s8, s3, s12
	s_min_u32 s8, s8, 8
	s_lshl_b32 s8, -1, s8
	s_not_b32 s15, s8
	v_lshrrev_b32_e32 v17, s12, v11
	v_and_b32_e32 v17, s15, v17
	v_lshl_or_b32 v18, v17, 4, v3
	v_mov_b32_e32 v17, 1
	ds_add_u32 v18, v17 offset:4096
	s_add_i32 s14, s2, 16
	s_cmp_gt_u32 s3, s14
	s_cselect_b64 s[8:9], -1, 0
	s_cmp_le_u32 s3, s14
	s_cbranch_scc1 .LBB1078_268
; %bb.266:
	s_sub_i32 s16, s3, s14
	s_min_u32 s16, s16, 8
	v_lshrrev_b32_e32 v18, s14, v11
	v_bfe_u32 v18, v18, 0, s16
	v_lshl_or_b32 v18, v18, 4, v3
	ds_add_u32 v18, v17 offset:8192
	s_add_i32 s16, s2, 24
	s_cmp_le_u32 s3, s16
	s_cbranch_scc1 .LBB1078_268
; %bb.267:
	s_sub_i32 s17, s3, s16
	s_min_u32 s17, s17, 8
	v_lshrrev_b32_e32 v18, s16, v11
	v_bfe_u32 v18, v18, 0, s17
	v_lshl_or_b32 v18, v18, 4, v3
	v_mov_b32_e32 v19, 1
	ds_add_u32 v18, v19 offset:12288
.LBB1078_268:
	v_lshl_or_b32 v16, v16, 4, v3
	ds_add_u32 v16, v17
	v_lshrrev_b32_e32 v16, s12, v10
	v_and_b32_e32 v16, s15, v16
	v_lshl_or_b32 v16, v16, 4, v3
	ds_add_u32 v16, v17 offset:4096
	s_andn2_b64 vcc, exec, s[8:9]
	s_cbranch_vccnz .LBB1078_271
; %bb.269:
	s_sub_i32 s8, s3, s14
	s_min_u32 s8, s8, 8
	v_lshrrev_b32_e32 v16, s14, v10
	v_bfe_u32 v16, v16, 0, s8
	v_lshl_or_b32 v16, v16, 4, v3
	v_mov_b32_e32 v17, 1
	ds_add_u32 v16, v17 offset:8192
	s_add_i32 s8, s2, 24
	s_cmp_gt_u32 s3, s8
	s_cbranch_scc0 .LBB1078_271
; %bb.270:
	s_sub_i32 s6, s3, s8
	s_min_u32 s6, s6, 8
	v_lshrrev_b32_e32 v16, s8, v10
	v_bfe_u32 v16, v16, 0, s6
	v_lshl_or_b32 v16, v16, 2, v2
	v_add_u32_e32 v17, 0xc00, v16
	s_mov_b64 s[6:7], -1
	s_branch .LBB1078_272
.LBB1078_271:
                                        ; implicit-def: $vgpr17
.LBB1078_272:
	s_and_b64 vcc, exec, s[6:7]
	s_cbranch_vccz .LBB1078_274
; %bb.273:
	v_lshlrev_b32_e32 v16, 2, v17
	v_mov_b32_e32 v17, 1
	ds_add_u32 v16, v17
.LBB1078_274:
	v_lshrrev_b32_e32 v16, s2, v9
	v_and_b32_e32 v16, s13, v16
	v_lshl_or_b32 v16, v16, 4, v3
	v_mov_b32_e32 v17, 1
	ds_add_u32 v16, v17
	v_lshrrev_b32_e32 v16, s2, v8
	s_and_b64 vcc, exec, s[4:5]
	v_and_b32_e32 v16, s13, v16
	s_cbranch_vccz .LBB1078_276
; %bb.275:
	v_lshl_or_b32 v17, v16, 2, v2
	s_mov_b64 s[6:7], -1
	s_cbranch_execz .LBB1078_277
	s_branch .LBB1078_284
.LBB1078_276:
	s_mov_b64 s[6:7], 0
                                        ; implicit-def: $vgpr17
.LBB1078_277:
	s_sub_i32 s8, s3, s12
	s_min_u32 s8, s8, 8
	s_lshl_b32 s8, -1, s8
	s_not_b32 s15, s8
	v_lshrrev_b32_e32 v17, s12, v9
	v_and_b32_e32 v17, s15, v17
	v_lshl_or_b32 v18, v17, 4, v3
	v_mov_b32_e32 v17, 1
	ds_add_u32 v18, v17 offset:4096
	s_add_i32 s14, s2, 16
	s_cmp_gt_u32 s3, s14
	s_cselect_b64 s[8:9], -1, 0
	s_cmp_le_u32 s3, s14
	s_cbranch_scc1 .LBB1078_280
; %bb.278:
	s_sub_i32 s16, s3, s14
	s_min_u32 s16, s16, 8
	v_lshrrev_b32_e32 v18, s14, v9
	v_bfe_u32 v18, v18, 0, s16
	v_lshl_or_b32 v18, v18, 4, v3
	ds_add_u32 v18, v17 offset:8192
	s_add_i32 s16, s2, 24
	s_cmp_le_u32 s3, s16
	s_cbranch_scc1 .LBB1078_280
; %bb.279:
	s_sub_i32 s17, s3, s16
	s_min_u32 s17, s17, 8
	v_lshrrev_b32_e32 v18, s16, v9
	v_bfe_u32 v18, v18, 0, s17
	v_lshl_or_b32 v18, v18, 4, v3
	v_mov_b32_e32 v19, 1
	ds_add_u32 v18, v19 offset:12288
.LBB1078_280:
	v_lshl_or_b32 v16, v16, 4, v3
	ds_add_u32 v16, v17
	v_lshrrev_b32_e32 v16, s12, v8
	v_and_b32_e32 v16, s15, v16
	v_lshl_or_b32 v16, v16, 4, v3
	ds_add_u32 v16, v17 offset:4096
	s_andn2_b64 vcc, exec, s[8:9]
	s_cbranch_vccnz .LBB1078_283
; %bb.281:
	s_sub_i32 s8, s3, s14
	s_min_u32 s8, s8, 8
	v_lshrrev_b32_e32 v16, s14, v8
	v_bfe_u32 v16, v16, 0, s8
	v_lshl_or_b32 v16, v16, 4, v3
	v_mov_b32_e32 v17, 1
	ds_add_u32 v16, v17 offset:8192
	s_add_i32 s8, s2, 24
	s_cmp_gt_u32 s3, s8
	s_cbranch_scc0 .LBB1078_283
; %bb.282:
	s_sub_i32 s6, s3, s8
	s_min_u32 s6, s6, 8
	v_lshrrev_b32_e32 v16, s8, v8
	v_bfe_u32 v16, v16, 0, s6
	v_lshl_or_b32 v16, v16, 2, v2
	v_add_u32_e32 v17, 0xc00, v16
	s_mov_b64 s[6:7], -1
	s_branch .LBB1078_284
.LBB1078_283:
                                        ; implicit-def: $vgpr17
.LBB1078_284:
	s_and_b64 vcc, exec, s[6:7]
	s_cbranch_vccz .LBB1078_286
; %bb.285:
	v_lshlrev_b32_e32 v16, 2, v17
	v_mov_b32_e32 v17, 1
	ds_add_u32 v16, v17
.LBB1078_286:
	v_lshrrev_b32_e32 v16, s2, v7
	v_and_b32_e32 v16, s13, v16
	v_lshl_or_b32 v16, v16, 4, v3
	v_mov_b32_e32 v17, 1
	ds_add_u32 v16, v17
	v_lshrrev_b32_e32 v16, s2, v6
	s_and_b64 vcc, exec, s[4:5]
	v_and_b32_e32 v16, s13, v16
	s_cbranch_vccz .LBB1078_288
; %bb.287:
	v_lshl_or_b32 v17, v16, 2, v2
	s_mov_b64 s[6:7], -1
	s_cbranch_execz .LBB1078_289
	s_branch .LBB1078_296
.LBB1078_288:
	s_mov_b64 s[6:7], 0
                                        ; implicit-def: $vgpr17
.LBB1078_289:
	s_sub_i32 s8, s3, s12
	s_min_u32 s8, s8, 8
	s_lshl_b32 s8, -1, s8
	s_not_b32 s15, s8
	v_lshrrev_b32_e32 v17, s12, v7
	v_and_b32_e32 v17, s15, v17
	v_lshl_or_b32 v18, v17, 4, v3
	v_mov_b32_e32 v17, 1
	ds_add_u32 v18, v17 offset:4096
	s_add_i32 s14, s2, 16
	s_cmp_gt_u32 s3, s14
	s_cselect_b64 s[8:9], -1, 0
	s_cmp_le_u32 s3, s14
	s_cbranch_scc1 .LBB1078_292
; %bb.290:
	s_sub_i32 s16, s3, s14
	s_min_u32 s16, s16, 8
	v_lshrrev_b32_e32 v18, s14, v7
	v_bfe_u32 v18, v18, 0, s16
	v_lshl_or_b32 v18, v18, 4, v3
	ds_add_u32 v18, v17 offset:8192
	s_add_i32 s16, s2, 24
	s_cmp_le_u32 s3, s16
	s_cbranch_scc1 .LBB1078_292
; %bb.291:
	s_sub_i32 s17, s3, s16
	s_min_u32 s17, s17, 8
	v_lshrrev_b32_e32 v18, s16, v7
	v_bfe_u32 v18, v18, 0, s17
	v_lshl_or_b32 v18, v18, 4, v3
	v_mov_b32_e32 v19, 1
	ds_add_u32 v18, v19 offset:12288
.LBB1078_292:
	v_lshl_or_b32 v16, v16, 4, v3
	ds_add_u32 v16, v17
	v_lshrrev_b32_e32 v16, s12, v6
	v_and_b32_e32 v16, s15, v16
	v_lshl_or_b32 v16, v16, 4, v3
	ds_add_u32 v16, v17 offset:4096
	s_andn2_b64 vcc, exec, s[8:9]
	s_cbranch_vccnz .LBB1078_295
; %bb.293:
	s_sub_i32 s8, s3, s14
	s_min_u32 s8, s8, 8
	v_lshrrev_b32_e32 v16, s14, v6
	v_bfe_u32 v16, v16, 0, s8
	v_lshl_or_b32 v16, v16, 4, v3
	v_mov_b32_e32 v17, 1
	ds_add_u32 v16, v17 offset:8192
	s_add_i32 s8, s2, 24
	s_cmp_gt_u32 s3, s8
	s_cbranch_scc0 .LBB1078_295
; %bb.294:
	s_sub_i32 s6, s3, s8
	s_min_u32 s6, s6, 8
	v_lshrrev_b32_e32 v16, s8, v6
	v_bfe_u32 v16, v16, 0, s6
	v_lshl_or_b32 v16, v16, 2, v2
	v_add_u32_e32 v17, 0xc00, v16
	s_mov_b64 s[6:7], -1
	s_branch .LBB1078_296
.LBB1078_295:
                                        ; implicit-def: $vgpr17
.LBB1078_296:
	s_and_b64 vcc, exec, s[6:7]
	s_cbranch_vccz .LBB1078_298
; %bb.297:
	v_lshlrev_b32_e32 v16, 2, v17
	v_mov_b32_e32 v17, 1
	ds_add_u32 v16, v17
.LBB1078_298:
	v_lshrrev_b32_e32 v16, s2, v5
	v_and_b32_e32 v16, s13, v16
	v_lshl_or_b32 v16, v16, 4, v3
	v_mov_b32_e32 v17, 1
	ds_add_u32 v16, v17
	s_waitcnt vmcnt(0)
	v_lshrrev_b32_e32 v16, s2, v4
	s_and_b64 vcc, exec, s[4:5]
	v_and_b32_e32 v16, s13, v16
	s_cbranch_vccz .LBB1078_300
; %bb.299:
	v_lshl_or_b32 v17, v16, 2, v2
	s_mov_b64 s[4:5], -1
	s_cbranch_execz .LBB1078_301
	s_branch .LBB1078_308
.LBB1078_300:
	s_mov_b64 s[4:5], 0
                                        ; implicit-def: $vgpr17
.LBB1078_301:
	s_sub_i32 s6, s3, s12
	s_min_u32 s6, s6, 8
	s_lshl_b32 s6, -1, s6
	s_not_b32 s9, s6
	v_lshrrev_b32_e32 v17, s12, v5
	v_and_b32_e32 v17, s9, v17
	v_lshl_or_b32 v18, v17, 4, v3
	v_mov_b32_e32 v17, 1
	ds_add_u32 v18, v17 offset:4096
	s_add_i32 s8, s2, 16
	s_cmp_gt_u32 s3, s8
	s_cselect_b64 s[6:7], -1, 0
	s_cmp_le_u32 s3, s8
	s_cbranch_scc1 .LBB1078_304
; %bb.302:
	s_sub_i32 s13, s3, s8
	s_min_u32 s13, s13, 8
	v_lshrrev_b32_e32 v18, s8, v5
	v_bfe_u32 v18, v18, 0, s13
	v_lshl_or_b32 v18, v18, 4, v3
	ds_add_u32 v18, v17 offset:8192
	s_add_i32 s13, s2, 24
	s_cmp_le_u32 s3, s13
	s_cbranch_scc1 .LBB1078_304
; %bb.303:
	v_lshrrev_b32_e32 v18, s13, v5
	s_sub_i32 s13, s3, s13
	s_min_u32 s13, s13, 8
	v_bfe_u32 v18, v18, 0, s13
	v_lshl_or_b32 v18, v18, 4, v3
	v_mov_b32_e32 v19, 1
	ds_add_u32 v18, v19 offset:12288
.LBB1078_304:
	v_lshl_or_b32 v16, v16, 4, v3
	ds_add_u32 v16, v17
	v_lshrrev_b32_e32 v16, s12, v4
	v_and_b32_e32 v16, s9, v16
	v_lshl_or_b32 v16, v16, 4, v3
	ds_add_u32 v16, v17 offset:4096
	s_andn2_b64 vcc, exec, s[6:7]
	s_cbranch_vccnz .LBB1078_307
; %bb.305:
	s_sub_i32 s6, s3, s8
	s_min_u32 s6, s6, 8
	v_lshrrev_b32_e32 v16, s8, v4
	v_bfe_u32 v16, v16, 0, s6
	v_lshl_or_b32 v3, v16, 4, v3
	v_mov_b32_e32 v16, 1
	ds_add_u32 v3, v16 offset:8192
	s_add_i32 s6, s2, 24
	s_cmp_gt_u32 s3, s6
	s_cbranch_scc0 .LBB1078_307
; %bb.306:
	s_sub_i32 s4, s3, s6
	s_min_u32 s4, s4, 8
	v_lshrrev_b32_e32 v3, s6, v4
	v_bfe_u32 v3, v3, 0, s4
	v_lshl_or_b32 v2, v3, 2, v2
	v_add_u32_e32 v17, 0xc00, v2
	s_mov_b64 s[4:5], -1
	s_branch .LBB1078_308
.LBB1078_307:
                                        ; implicit-def: $vgpr17
.LBB1078_308:
	s_and_b64 vcc, exec, s[4:5]
	s_cbranch_vccz .LBB1078_310
; %bb.309:
	v_lshlrev_b32_e32 v2, 2, v17
	v_mov_b32_e32 v3, 1
	ds_add_u32 v2, v3
.LBB1078_310:
	s_and_b64 vcc, exec, s[0:1]
	s_waitcnt lgkmcnt(0)
	s_barrier
	s_cbranch_vccz .LBB1078_315
; %bb.311:
	s_movk_i32 s0, 0x100
	v_cmp_gt_u32_e32 vcc, s0, v0
	v_lshlrev_b32_e32 v16, 4, v0
	v_mov_b32_e32 v3, 0
	v_mov_b32_e32 v2, v0
	s_branch .LBB1078_313
.LBB1078_312:                           ;   in Loop: Header=BB1078_313 Depth=1
	s_or_b64 exec, exec, s[4:5]
	s_add_i32 s2, s2, 8
	v_add_u32_e32 v2, 0x100, v2
	s_cmp_ge_u32 s2, s3
	v_add_u32_e32 v16, 0x1000, v16
	s_cbranch_scc1 .LBB1078_315
.LBB1078_313:                           ; =>This Inner Loop Header: Depth=1
	s_and_saveexec_b64 s[4:5], vcc
	s_cbranch_execz .LBB1078_312
; %bb.314:                              ;   in Loop: Header=BB1078_313 Depth=1
	ds_read2_b32 v[18:19], v16 offset1:1
	ds_read2_b32 v[20:21], v16 offset0:2 offset1:3
	v_lshlrev_b64 v[22:23], 2, v[2:3]
	v_mov_b32_e32 v17, s11
	s_waitcnt lgkmcnt(1)
	v_add_u32_e32 v18, v19, v18
	s_waitcnt lgkmcnt(0)
	v_add3_u32 v20, v18, v20, v21
	v_add_co_u32_e64 v18, s[0:1], s10, v22
	v_addc_co_u32_e64 v19, s[0:1], v17, v23, s[0:1]
	global_atomic_add v[18:19], v20, off
	s_branch .LBB1078_312
.LBB1078_315:
	s_mov_b64 s[0:1], 0
.LBB1078_316:
	s_and_b64 vcc, exec, s[0:1]
	s_cbranch_vccz .LBB1078_319
; %bb.317:
	v_mov_b32_e32 v2, 0
	ds_write2st64_b32 v1, v2, v2 offset1:16
	ds_write2st64_b32 v1, v2, v2 offset0:32 offset1:48
	v_and_b32_e32 v2, 3, v0
	s_waitcnt vmcnt(4)
	v_lshlrev_b32_e32 v3, 2, v15
	s_movk_i32 s0, 0x3fc
	v_and_or_b32 v3, v3, s0, v2
	v_lshlrev_b32_e32 v3, 2, v3
	v_mov_b32_e32 v16, 1
	s_waitcnt lgkmcnt(0)
	s_barrier
	ds_add_u32 v3, v16
	v_bfe_u32 v3, v15, 8, 8
	v_lshl_or_b32 v3, v3, 2, v2
	v_lshlrev_b32_e32 v3, 2, v3
	ds_add_u32 v3, v16 offset:4096
	v_bfe_u32 v3, v15, 16, 8
	v_lshl_or_b32 v3, v3, 2, v2
	v_lshlrev_b32_e32 v3, 2, v3
	ds_add_u32 v3, v16 offset:8192
	v_lshrrev_b32_e32 v3, 24, v15
	v_lshl_or_b32 v3, v3, 2, v2
	v_lshlrev_b32_e32 v3, 2, v3
	ds_add_u32 v3, v16 offset:12288
	s_waitcnt vmcnt(1)
	v_lshlrev_b32_e32 v3, 2, v14
	v_and_or_b32 v3, v3, s0, v2
	v_lshlrev_b32_e32 v3, 2, v3
	ds_add_u32 v3, v16
	v_bfe_u32 v3, v14, 8, 8
	v_lshl_or_b32 v3, v3, 2, v2
	v_lshlrev_b32_e32 v3, 2, v3
	ds_add_u32 v3, v16 offset:4096
	v_bfe_u32 v3, v14, 16, 8
	v_lshl_or_b32 v3, v3, 2, v2
	v_lshlrev_b32_e32 v3, 2, v3
	ds_add_u32 v3, v16 offset:8192
	v_lshrrev_b32_e32 v3, 24, v14
	v_lshl_or_b32 v3, v3, 2, v2
	v_lshlrev_b32_e32 v3, 2, v3
	ds_add_u32 v3, v16 offset:12288
	v_lshlrev_b32_e32 v3, 2, v13
	v_and_or_b32 v3, v3, s0, v2
	v_lshlrev_b32_e32 v3, 2, v3
	ds_add_u32 v3, v16
	v_bfe_u32 v3, v13, 8, 8
	v_lshl_or_b32 v3, v3, 2, v2
	v_lshlrev_b32_e32 v3, 2, v3
	ds_add_u32 v3, v16 offset:4096
	v_bfe_u32 v3, v13, 16, 8
	v_lshl_or_b32 v3, v3, 2, v2
	v_lshlrev_b32_e32 v3, 2, v3
	ds_add_u32 v3, v16 offset:8192
	v_lshrrev_b32_e32 v3, 24, v13
	v_lshl_or_b32 v3, v3, 2, v2
	v_lshlrev_b32_e32 v3, 2, v3
	ds_add_u32 v3, v16 offset:12288
	;; [unrolled: 16-line block ×10, first 2 shown]
	s_waitcnt vmcnt(0)
	v_lshlrev_b32_e32 v3, 2, v4
	v_and_or_b32 v3, v3, s0, v2
	v_lshlrev_b32_e32 v3, 2, v3
	ds_add_u32 v3, v16
	v_bfe_u32 v3, v4, 8, 8
	v_lshl_or_b32 v3, v3, 2, v2
	v_lshlrev_b32_e32 v3, 2, v3
	ds_add_u32 v3, v16 offset:4096
	v_bfe_u32 v3, v4, 16, 8
	v_lshl_or_b32 v3, v3, 2, v2
	v_lshlrev_b32_e32 v3, 2, v3
	ds_add_u32 v3, v16 offset:8192
	v_lshrrev_b32_e32 v3, 24, v4
	v_lshl_or_b32 v2, v3, 2, v2
	v_lshlrev_b32_e32 v2, 2, v2
	ds_add_u32 v2, v16 offset:12288
	s_movk_i32 s0, 0x100
	v_cmp_gt_u32_e32 vcc, s0, v0
	s_waitcnt lgkmcnt(0)
	s_barrier
	s_and_saveexec_b64 s[0:1], vcc
	s_cbranch_execz .LBB1078_319
; %bb.318:
	v_lshlrev_b32_e32 v0, 4, v0
	ds_read2_b32 v[2:3], v0 offset1:1
	ds_read2_b32 v[4:5], v0 offset0:2 offset1:3
	v_add_u32_e32 v6, 0x1000, v0
	v_add_u32_e32 v7, 0x1008, v0
	s_waitcnt lgkmcnt(1)
	v_add_u32_e32 v2, v3, v2
	s_waitcnt lgkmcnt(0)
	v_add3_u32 v2, v2, v4, v5
	global_atomic_add v1, v2, s[10:11]
	ds_read2_b32 v[2:3], v6 offset1:1
	ds_read2_b32 v[4:5], v7 offset1:1
	v_add_u32_e32 v6, 0x2000, v0
	v_add_u32_e32 v7, 0x2008, v0
	s_waitcnt lgkmcnt(1)
	v_add_u32_e32 v2, v3, v2
	s_waitcnt lgkmcnt(0)
	v_add3_u32 v2, v2, v4, v5
	global_atomic_add v1, v2, s[10:11] offset:1024
	ds_read2_b32 v[2:3], v6 offset1:1
	ds_read2_b32 v[4:5], v7 offset1:1
	v_add_u32_e32 v6, 0x3000, v0
	v_add_u32_e32 v0, 0x3008, v0
	s_waitcnt lgkmcnt(1)
	v_add_u32_e32 v2, v3, v2
	s_waitcnt lgkmcnt(0)
	v_add3_u32 v2, v2, v4, v5
	global_atomic_add v1, v2, s[10:11] offset:2048
	ds_read2_b32 v[2:3], v6 offset1:1
	ds_read2_b32 v[4:5], v0 offset1:1
	s_waitcnt lgkmcnt(1)
	v_add_u32_e32 v0, v3, v2
	s_waitcnt lgkmcnt(0)
	v_add3_u32 v0, v0, v4, v5
	global_atomic_add v1, v0, s[10:11] offset:3072
.LBB1078_319:
	s_endpgm
	.section	.rodata,"a",@progbits
	.p2align	6, 0x0
	.amdhsa_kernel _ZN7rocprim17ROCPRIM_400000_NS6detail17trampoline_kernelINS0_14default_configENS1_35radix_sort_onesweep_config_selectorIjNS0_10empty_typeEEEZNS1_34radix_sort_onesweep_global_offsetsIS3_Lb0EN6thrust23THRUST_200600_302600_NS6detail15normal_iteratorINS9_10device_ptrIjEEEEPS5_jNS0_19identity_decomposerEEE10hipError_tT1_T2_PT3_SK_jT4_jjP12ihipStream_tbEUlT_E_NS1_11comp_targetILNS1_3genE4ELNS1_11target_archE910ELNS1_3gpuE8ELNS1_3repE0EEENS1_52radix_sort_onesweep_histogram_config_static_selectorELNS0_4arch9wavefront6targetE1EEEvSI_
		.amdhsa_group_segment_fixed_size 16384
		.amdhsa_private_segment_fixed_size 0
		.amdhsa_kernarg_size 40
		.amdhsa_user_sgpr_count 6
		.amdhsa_user_sgpr_private_segment_buffer 1
		.amdhsa_user_sgpr_dispatch_ptr 0
		.amdhsa_user_sgpr_queue_ptr 0
		.amdhsa_user_sgpr_kernarg_segment_ptr 1
		.amdhsa_user_sgpr_dispatch_id 0
		.amdhsa_user_sgpr_flat_scratch_init 0
		.amdhsa_user_sgpr_kernarg_preload_length 0
		.amdhsa_user_sgpr_kernarg_preload_offset 0
		.amdhsa_user_sgpr_private_segment_size 0
		.amdhsa_uses_dynamic_stack 0
		.amdhsa_system_sgpr_private_segment_wavefront_offset 0
		.amdhsa_system_sgpr_workgroup_id_x 1
		.amdhsa_system_sgpr_workgroup_id_y 0
		.amdhsa_system_sgpr_workgroup_id_z 0
		.amdhsa_system_sgpr_workgroup_info 0
		.amdhsa_system_vgpr_workitem_id 0
		.amdhsa_next_free_vgpr 27
		.amdhsa_next_free_sgpr 19
		.amdhsa_accum_offset 28
		.amdhsa_reserve_vcc 1
		.amdhsa_reserve_flat_scratch 0
		.amdhsa_float_round_mode_32 0
		.amdhsa_float_round_mode_16_64 0
		.amdhsa_float_denorm_mode_32 3
		.amdhsa_float_denorm_mode_16_64 3
		.amdhsa_dx10_clamp 1
		.amdhsa_ieee_mode 1
		.amdhsa_fp16_overflow 0
		.amdhsa_tg_split 0
		.amdhsa_exception_fp_ieee_invalid_op 0
		.amdhsa_exception_fp_denorm_src 0
		.amdhsa_exception_fp_ieee_div_zero 0
		.amdhsa_exception_fp_ieee_overflow 0
		.amdhsa_exception_fp_ieee_underflow 0
		.amdhsa_exception_fp_ieee_inexact 0
		.amdhsa_exception_int_div_zero 0
	.end_amdhsa_kernel
	.section	.text._ZN7rocprim17ROCPRIM_400000_NS6detail17trampoline_kernelINS0_14default_configENS1_35radix_sort_onesweep_config_selectorIjNS0_10empty_typeEEEZNS1_34radix_sort_onesweep_global_offsetsIS3_Lb0EN6thrust23THRUST_200600_302600_NS6detail15normal_iteratorINS9_10device_ptrIjEEEEPS5_jNS0_19identity_decomposerEEE10hipError_tT1_T2_PT3_SK_jT4_jjP12ihipStream_tbEUlT_E_NS1_11comp_targetILNS1_3genE4ELNS1_11target_archE910ELNS1_3gpuE8ELNS1_3repE0EEENS1_52radix_sort_onesweep_histogram_config_static_selectorELNS0_4arch9wavefront6targetE1EEEvSI_,"axG",@progbits,_ZN7rocprim17ROCPRIM_400000_NS6detail17trampoline_kernelINS0_14default_configENS1_35radix_sort_onesweep_config_selectorIjNS0_10empty_typeEEEZNS1_34radix_sort_onesweep_global_offsetsIS3_Lb0EN6thrust23THRUST_200600_302600_NS6detail15normal_iteratorINS9_10device_ptrIjEEEEPS5_jNS0_19identity_decomposerEEE10hipError_tT1_T2_PT3_SK_jT4_jjP12ihipStream_tbEUlT_E_NS1_11comp_targetILNS1_3genE4ELNS1_11target_archE910ELNS1_3gpuE8ELNS1_3repE0EEENS1_52radix_sort_onesweep_histogram_config_static_selectorELNS0_4arch9wavefront6targetE1EEEvSI_,comdat
.Lfunc_end1078:
	.size	_ZN7rocprim17ROCPRIM_400000_NS6detail17trampoline_kernelINS0_14default_configENS1_35radix_sort_onesweep_config_selectorIjNS0_10empty_typeEEEZNS1_34radix_sort_onesweep_global_offsetsIS3_Lb0EN6thrust23THRUST_200600_302600_NS6detail15normal_iteratorINS9_10device_ptrIjEEEEPS5_jNS0_19identity_decomposerEEE10hipError_tT1_T2_PT3_SK_jT4_jjP12ihipStream_tbEUlT_E_NS1_11comp_targetILNS1_3genE4ELNS1_11target_archE910ELNS1_3gpuE8ELNS1_3repE0EEENS1_52radix_sort_onesweep_histogram_config_static_selectorELNS0_4arch9wavefront6targetE1EEEvSI_, .Lfunc_end1078-_ZN7rocprim17ROCPRIM_400000_NS6detail17trampoline_kernelINS0_14default_configENS1_35radix_sort_onesweep_config_selectorIjNS0_10empty_typeEEEZNS1_34radix_sort_onesweep_global_offsetsIS3_Lb0EN6thrust23THRUST_200600_302600_NS6detail15normal_iteratorINS9_10device_ptrIjEEEEPS5_jNS0_19identity_decomposerEEE10hipError_tT1_T2_PT3_SK_jT4_jjP12ihipStream_tbEUlT_E_NS1_11comp_targetILNS1_3genE4ELNS1_11target_archE910ELNS1_3gpuE8ELNS1_3repE0EEENS1_52radix_sort_onesweep_histogram_config_static_selectorELNS0_4arch9wavefront6targetE1EEEvSI_
                                        ; -- End function
	.section	.AMDGPU.csdata,"",@progbits
; Kernel info:
; codeLenInByte = 10620
; NumSgprs: 23
; NumVgprs: 27
; NumAgprs: 0
; TotalNumVgprs: 27
; ScratchSize: 0
; MemoryBound: 0
; FloatMode: 240
; IeeeMode: 1
; LDSByteSize: 16384 bytes/workgroup (compile time only)
; SGPRBlocks: 2
; VGPRBlocks: 3
; NumSGPRsForWavesPerEU: 23
; NumVGPRsForWavesPerEU: 27
; AccumOffset: 28
; Occupancy: 8
; WaveLimiterHint : 1
; COMPUTE_PGM_RSRC2:SCRATCH_EN: 0
; COMPUTE_PGM_RSRC2:USER_SGPR: 6
; COMPUTE_PGM_RSRC2:TRAP_HANDLER: 0
; COMPUTE_PGM_RSRC2:TGID_X_EN: 1
; COMPUTE_PGM_RSRC2:TGID_Y_EN: 0
; COMPUTE_PGM_RSRC2:TGID_Z_EN: 0
; COMPUTE_PGM_RSRC2:TIDIG_COMP_CNT: 0
; COMPUTE_PGM_RSRC3_GFX90A:ACCUM_OFFSET: 6
; COMPUTE_PGM_RSRC3_GFX90A:TG_SPLIT: 0
	.section	.text._ZN7rocprim17ROCPRIM_400000_NS6detail17trampoline_kernelINS0_14default_configENS1_35radix_sort_onesweep_config_selectorIjNS0_10empty_typeEEEZNS1_34radix_sort_onesweep_global_offsetsIS3_Lb0EN6thrust23THRUST_200600_302600_NS6detail15normal_iteratorINS9_10device_ptrIjEEEEPS5_jNS0_19identity_decomposerEEE10hipError_tT1_T2_PT3_SK_jT4_jjP12ihipStream_tbEUlT_E_NS1_11comp_targetILNS1_3genE3ELNS1_11target_archE908ELNS1_3gpuE7ELNS1_3repE0EEENS1_52radix_sort_onesweep_histogram_config_static_selectorELNS0_4arch9wavefront6targetE1EEEvSI_,"axG",@progbits,_ZN7rocprim17ROCPRIM_400000_NS6detail17trampoline_kernelINS0_14default_configENS1_35radix_sort_onesweep_config_selectorIjNS0_10empty_typeEEEZNS1_34radix_sort_onesweep_global_offsetsIS3_Lb0EN6thrust23THRUST_200600_302600_NS6detail15normal_iteratorINS9_10device_ptrIjEEEEPS5_jNS0_19identity_decomposerEEE10hipError_tT1_T2_PT3_SK_jT4_jjP12ihipStream_tbEUlT_E_NS1_11comp_targetILNS1_3genE3ELNS1_11target_archE908ELNS1_3gpuE7ELNS1_3repE0EEENS1_52radix_sort_onesweep_histogram_config_static_selectorELNS0_4arch9wavefront6targetE1EEEvSI_,comdat
	.protected	_ZN7rocprim17ROCPRIM_400000_NS6detail17trampoline_kernelINS0_14default_configENS1_35radix_sort_onesweep_config_selectorIjNS0_10empty_typeEEEZNS1_34radix_sort_onesweep_global_offsetsIS3_Lb0EN6thrust23THRUST_200600_302600_NS6detail15normal_iteratorINS9_10device_ptrIjEEEEPS5_jNS0_19identity_decomposerEEE10hipError_tT1_T2_PT3_SK_jT4_jjP12ihipStream_tbEUlT_E_NS1_11comp_targetILNS1_3genE3ELNS1_11target_archE908ELNS1_3gpuE7ELNS1_3repE0EEENS1_52radix_sort_onesweep_histogram_config_static_selectorELNS0_4arch9wavefront6targetE1EEEvSI_ ; -- Begin function _ZN7rocprim17ROCPRIM_400000_NS6detail17trampoline_kernelINS0_14default_configENS1_35radix_sort_onesweep_config_selectorIjNS0_10empty_typeEEEZNS1_34radix_sort_onesweep_global_offsetsIS3_Lb0EN6thrust23THRUST_200600_302600_NS6detail15normal_iteratorINS9_10device_ptrIjEEEEPS5_jNS0_19identity_decomposerEEE10hipError_tT1_T2_PT3_SK_jT4_jjP12ihipStream_tbEUlT_E_NS1_11comp_targetILNS1_3genE3ELNS1_11target_archE908ELNS1_3gpuE7ELNS1_3repE0EEENS1_52radix_sort_onesweep_histogram_config_static_selectorELNS0_4arch9wavefront6targetE1EEEvSI_
	.globl	_ZN7rocprim17ROCPRIM_400000_NS6detail17trampoline_kernelINS0_14default_configENS1_35radix_sort_onesweep_config_selectorIjNS0_10empty_typeEEEZNS1_34radix_sort_onesweep_global_offsetsIS3_Lb0EN6thrust23THRUST_200600_302600_NS6detail15normal_iteratorINS9_10device_ptrIjEEEEPS5_jNS0_19identity_decomposerEEE10hipError_tT1_T2_PT3_SK_jT4_jjP12ihipStream_tbEUlT_E_NS1_11comp_targetILNS1_3genE3ELNS1_11target_archE908ELNS1_3gpuE7ELNS1_3repE0EEENS1_52radix_sort_onesweep_histogram_config_static_selectorELNS0_4arch9wavefront6targetE1EEEvSI_
	.p2align	8
	.type	_ZN7rocprim17ROCPRIM_400000_NS6detail17trampoline_kernelINS0_14default_configENS1_35radix_sort_onesweep_config_selectorIjNS0_10empty_typeEEEZNS1_34radix_sort_onesweep_global_offsetsIS3_Lb0EN6thrust23THRUST_200600_302600_NS6detail15normal_iteratorINS9_10device_ptrIjEEEEPS5_jNS0_19identity_decomposerEEE10hipError_tT1_T2_PT3_SK_jT4_jjP12ihipStream_tbEUlT_E_NS1_11comp_targetILNS1_3genE3ELNS1_11target_archE908ELNS1_3gpuE7ELNS1_3repE0EEENS1_52radix_sort_onesweep_histogram_config_static_selectorELNS0_4arch9wavefront6targetE1EEEvSI_,@function
_ZN7rocprim17ROCPRIM_400000_NS6detail17trampoline_kernelINS0_14default_configENS1_35radix_sort_onesweep_config_selectorIjNS0_10empty_typeEEEZNS1_34radix_sort_onesweep_global_offsetsIS3_Lb0EN6thrust23THRUST_200600_302600_NS6detail15normal_iteratorINS9_10device_ptrIjEEEEPS5_jNS0_19identity_decomposerEEE10hipError_tT1_T2_PT3_SK_jT4_jjP12ihipStream_tbEUlT_E_NS1_11comp_targetILNS1_3genE3ELNS1_11target_archE908ELNS1_3gpuE7ELNS1_3repE0EEENS1_52radix_sort_onesweep_histogram_config_static_selectorELNS0_4arch9wavefront6targetE1EEEvSI_: ; @_ZN7rocprim17ROCPRIM_400000_NS6detail17trampoline_kernelINS0_14default_configENS1_35radix_sort_onesweep_config_selectorIjNS0_10empty_typeEEEZNS1_34radix_sort_onesweep_global_offsetsIS3_Lb0EN6thrust23THRUST_200600_302600_NS6detail15normal_iteratorINS9_10device_ptrIjEEEEPS5_jNS0_19identity_decomposerEEE10hipError_tT1_T2_PT3_SK_jT4_jjP12ihipStream_tbEUlT_E_NS1_11comp_targetILNS1_3genE3ELNS1_11target_archE908ELNS1_3gpuE7ELNS1_3repE0EEENS1_52radix_sort_onesweep_histogram_config_static_selectorELNS0_4arch9wavefront6targetE1EEEvSI_
; %bb.0:
	.section	.rodata,"a",@progbits
	.p2align	6, 0x0
	.amdhsa_kernel _ZN7rocprim17ROCPRIM_400000_NS6detail17trampoline_kernelINS0_14default_configENS1_35radix_sort_onesweep_config_selectorIjNS0_10empty_typeEEEZNS1_34radix_sort_onesweep_global_offsetsIS3_Lb0EN6thrust23THRUST_200600_302600_NS6detail15normal_iteratorINS9_10device_ptrIjEEEEPS5_jNS0_19identity_decomposerEEE10hipError_tT1_T2_PT3_SK_jT4_jjP12ihipStream_tbEUlT_E_NS1_11comp_targetILNS1_3genE3ELNS1_11target_archE908ELNS1_3gpuE7ELNS1_3repE0EEENS1_52radix_sort_onesweep_histogram_config_static_selectorELNS0_4arch9wavefront6targetE1EEEvSI_
		.amdhsa_group_segment_fixed_size 0
		.amdhsa_private_segment_fixed_size 0
		.amdhsa_kernarg_size 40
		.amdhsa_user_sgpr_count 6
		.amdhsa_user_sgpr_private_segment_buffer 1
		.amdhsa_user_sgpr_dispatch_ptr 0
		.amdhsa_user_sgpr_queue_ptr 0
		.amdhsa_user_sgpr_kernarg_segment_ptr 1
		.amdhsa_user_sgpr_dispatch_id 0
		.amdhsa_user_sgpr_flat_scratch_init 0
		.amdhsa_user_sgpr_kernarg_preload_length 0
		.amdhsa_user_sgpr_kernarg_preload_offset 0
		.amdhsa_user_sgpr_private_segment_size 0
		.amdhsa_uses_dynamic_stack 0
		.amdhsa_system_sgpr_private_segment_wavefront_offset 0
		.amdhsa_system_sgpr_workgroup_id_x 1
		.amdhsa_system_sgpr_workgroup_id_y 0
		.amdhsa_system_sgpr_workgroup_id_z 0
		.amdhsa_system_sgpr_workgroup_info 0
		.amdhsa_system_vgpr_workitem_id 0
		.amdhsa_next_free_vgpr 1
		.amdhsa_next_free_sgpr 0
		.amdhsa_accum_offset 4
		.amdhsa_reserve_vcc 0
		.amdhsa_reserve_flat_scratch 0
		.amdhsa_float_round_mode_32 0
		.amdhsa_float_round_mode_16_64 0
		.amdhsa_float_denorm_mode_32 3
		.amdhsa_float_denorm_mode_16_64 3
		.amdhsa_dx10_clamp 1
		.amdhsa_ieee_mode 1
		.amdhsa_fp16_overflow 0
		.amdhsa_tg_split 0
		.amdhsa_exception_fp_ieee_invalid_op 0
		.amdhsa_exception_fp_denorm_src 0
		.amdhsa_exception_fp_ieee_div_zero 0
		.amdhsa_exception_fp_ieee_overflow 0
		.amdhsa_exception_fp_ieee_underflow 0
		.amdhsa_exception_fp_ieee_inexact 0
		.amdhsa_exception_int_div_zero 0
	.end_amdhsa_kernel
	.section	.text._ZN7rocprim17ROCPRIM_400000_NS6detail17trampoline_kernelINS0_14default_configENS1_35radix_sort_onesweep_config_selectorIjNS0_10empty_typeEEEZNS1_34radix_sort_onesweep_global_offsetsIS3_Lb0EN6thrust23THRUST_200600_302600_NS6detail15normal_iteratorINS9_10device_ptrIjEEEEPS5_jNS0_19identity_decomposerEEE10hipError_tT1_T2_PT3_SK_jT4_jjP12ihipStream_tbEUlT_E_NS1_11comp_targetILNS1_3genE3ELNS1_11target_archE908ELNS1_3gpuE7ELNS1_3repE0EEENS1_52radix_sort_onesweep_histogram_config_static_selectorELNS0_4arch9wavefront6targetE1EEEvSI_,"axG",@progbits,_ZN7rocprim17ROCPRIM_400000_NS6detail17trampoline_kernelINS0_14default_configENS1_35radix_sort_onesweep_config_selectorIjNS0_10empty_typeEEEZNS1_34radix_sort_onesweep_global_offsetsIS3_Lb0EN6thrust23THRUST_200600_302600_NS6detail15normal_iteratorINS9_10device_ptrIjEEEEPS5_jNS0_19identity_decomposerEEE10hipError_tT1_T2_PT3_SK_jT4_jjP12ihipStream_tbEUlT_E_NS1_11comp_targetILNS1_3genE3ELNS1_11target_archE908ELNS1_3gpuE7ELNS1_3repE0EEENS1_52radix_sort_onesweep_histogram_config_static_selectorELNS0_4arch9wavefront6targetE1EEEvSI_,comdat
.Lfunc_end1079:
	.size	_ZN7rocprim17ROCPRIM_400000_NS6detail17trampoline_kernelINS0_14default_configENS1_35radix_sort_onesweep_config_selectorIjNS0_10empty_typeEEEZNS1_34radix_sort_onesweep_global_offsetsIS3_Lb0EN6thrust23THRUST_200600_302600_NS6detail15normal_iteratorINS9_10device_ptrIjEEEEPS5_jNS0_19identity_decomposerEEE10hipError_tT1_T2_PT3_SK_jT4_jjP12ihipStream_tbEUlT_E_NS1_11comp_targetILNS1_3genE3ELNS1_11target_archE908ELNS1_3gpuE7ELNS1_3repE0EEENS1_52radix_sort_onesweep_histogram_config_static_selectorELNS0_4arch9wavefront6targetE1EEEvSI_, .Lfunc_end1079-_ZN7rocprim17ROCPRIM_400000_NS6detail17trampoline_kernelINS0_14default_configENS1_35radix_sort_onesweep_config_selectorIjNS0_10empty_typeEEEZNS1_34radix_sort_onesweep_global_offsetsIS3_Lb0EN6thrust23THRUST_200600_302600_NS6detail15normal_iteratorINS9_10device_ptrIjEEEEPS5_jNS0_19identity_decomposerEEE10hipError_tT1_T2_PT3_SK_jT4_jjP12ihipStream_tbEUlT_E_NS1_11comp_targetILNS1_3genE3ELNS1_11target_archE908ELNS1_3gpuE7ELNS1_3repE0EEENS1_52radix_sort_onesweep_histogram_config_static_selectorELNS0_4arch9wavefront6targetE1EEEvSI_
                                        ; -- End function
	.section	.AMDGPU.csdata,"",@progbits
; Kernel info:
; codeLenInByte = 0
; NumSgprs: 4
; NumVgprs: 0
; NumAgprs: 0
; TotalNumVgprs: 0
; ScratchSize: 0
; MemoryBound: 0
; FloatMode: 240
; IeeeMode: 1
; LDSByteSize: 0 bytes/workgroup (compile time only)
; SGPRBlocks: 0
; VGPRBlocks: 0
; NumSGPRsForWavesPerEU: 4
; NumVGPRsForWavesPerEU: 1
; AccumOffset: 4
; Occupancy: 8
; WaveLimiterHint : 0
; COMPUTE_PGM_RSRC2:SCRATCH_EN: 0
; COMPUTE_PGM_RSRC2:USER_SGPR: 6
; COMPUTE_PGM_RSRC2:TRAP_HANDLER: 0
; COMPUTE_PGM_RSRC2:TGID_X_EN: 1
; COMPUTE_PGM_RSRC2:TGID_Y_EN: 0
; COMPUTE_PGM_RSRC2:TGID_Z_EN: 0
; COMPUTE_PGM_RSRC2:TIDIG_COMP_CNT: 0
; COMPUTE_PGM_RSRC3_GFX90A:ACCUM_OFFSET: 0
; COMPUTE_PGM_RSRC3_GFX90A:TG_SPLIT: 0
	.section	.text._ZN7rocprim17ROCPRIM_400000_NS6detail17trampoline_kernelINS0_14default_configENS1_35radix_sort_onesweep_config_selectorIjNS0_10empty_typeEEEZNS1_34radix_sort_onesweep_global_offsetsIS3_Lb0EN6thrust23THRUST_200600_302600_NS6detail15normal_iteratorINS9_10device_ptrIjEEEEPS5_jNS0_19identity_decomposerEEE10hipError_tT1_T2_PT3_SK_jT4_jjP12ihipStream_tbEUlT_E_NS1_11comp_targetILNS1_3genE10ELNS1_11target_archE1201ELNS1_3gpuE5ELNS1_3repE0EEENS1_52radix_sort_onesweep_histogram_config_static_selectorELNS0_4arch9wavefront6targetE1EEEvSI_,"axG",@progbits,_ZN7rocprim17ROCPRIM_400000_NS6detail17trampoline_kernelINS0_14default_configENS1_35radix_sort_onesweep_config_selectorIjNS0_10empty_typeEEEZNS1_34radix_sort_onesweep_global_offsetsIS3_Lb0EN6thrust23THRUST_200600_302600_NS6detail15normal_iteratorINS9_10device_ptrIjEEEEPS5_jNS0_19identity_decomposerEEE10hipError_tT1_T2_PT3_SK_jT4_jjP12ihipStream_tbEUlT_E_NS1_11comp_targetILNS1_3genE10ELNS1_11target_archE1201ELNS1_3gpuE5ELNS1_3repE0EEENS1_52radix_sort_onesweep_histogram_config_static_selectorELNS0_4arch9wavefront6targetE1EEEvSI_,comdat
	.protected	_ZN7rocprim17ROCPRIM_400000_NS6detail17trampoline_kernelINS0_14default_configENS1_35radix_sort_onesweep_config_selectorIjNS0_10empty_typeEEEZNS1_34radix_sort_onesweep_global_offsetsIS3_Lb0EN6thrust23THRUST_200600_302600_NS6detail15normal_iteratorINS9_10device_ptrIjEEEEPS5_jNS0_19identity_decomposerEEE10hipError_tT1_T2_PT3_SK_jT4_jjP12ihipStream_tbEUlT_E_NS1_11comp_targetILNS1_3genE10ELNS1_11target_archE1201ELNS1_3gpuE5ELNS1_3repE0EEENS1_52radix_sort_onesweep_histogram_config_static_selectorELNS0_4arch9wavefront6targetE1EEEvSI_ ; -- Begin function _ZN7rocprim17ROCPRIM_400000_NS6detail17trampoline_kernelINS0_14default_configENS1_35radix_sort_onesweep_config_selectorIjNS0_10empty_typeEEEZNS1_34radix_sort_onesweep_global_offsetsIS3_Lb0EN6thrust23THRUST_200600_302600_NS6detail15normal_iteratorINS9_10device_ptrIjEEEEPS5_jNS0_19identity_decomposerEEE10hipError_tT1_T2_PT3_SK_jT4_jjP12ihipStream_tbEUlT_E_NS1_11comp_targetILNS1_3genE10ELNS1_11target_archE1201ELNS1_3gpuE5ELNS1_3repE0EEENS1_52radix_sort_onesweep_histogram_config_static_selectorELNS0_4arch9wavefront6targetE1EEEvSI_
	.globl	_ZN7rocprim17ROCPRIM_400000_NS6detail17trampoline_kernelINS0_14default_configENS1_35radix_sort_onesweep_config_selectorIjNS0_10empty_typeEEEZNS1_34radix_sort_onesweep_global_offsetsIS3_Lb0EN6thrust23THRUST_200600_302600_NS6detail15normal_iteratorINS9_10device_ptrIjEEEEPS5_jNS0_19identity_decomposerEEE10hipError_tT1_T2_PT3_SK_jT4_jjP12ihipStream_tbEUlT_E_NS1_11comp_targetILNS1_3genE10ELNS1_11target_archE1201ELNS1_3gpuE5ELNS1_3repE0EEENS1_52radix_sort_onesweep_histogram_config_static_selectorELNS0_4arch9wavefront6targetE1EEEvSI_
	.p2align	8
	.type	_ZN7rocprim17ROCPRIM_400000_NS6detail17trampoline_kernelINS0_14default_configENS1_35radix_sort_onesweep_config_selectorIjNS0_10empty_typeEEEZNS1_34radix_sort_onesweep_global_offsetsIS3_Lb0EN6thrust23THRUST_200600_302600_NS6detail15normal_iteratorINS9_10device_ptrIjEEEEPS5_jNS0_19identity_decomposerEEE10hipError_tT1_T2_PT3_SK_jT4_jjP12ihipStream_tbEUlT_E_NS1_11comp_targetILNS1_3genE10ELNS1_11target_archE1201ELNS1_3gpuE5ELNS1_3repE0EEENS1_52radix_sort_onesweep_histogram_config_static_selectorELNS0_4arch9wavefront6targetE1EEEvSI_,@function
_ZN7rocprim17ROCPRIM_400000_NS6detail17trampoline_kernelINS0_14default_configENS1_35radix_sort_onesweep_config_selectorIjNS0_10empty_typeEEEZNS1_34radix_sort_onesweep_global_offsetsIS3_Lb0EN6thrust23THRUST_200600_302600_NS6detail15normal_iteratorINS9_10device_ptrIjEEEEPS5_jNS0_19identity_decomposerEEE10hipError_tT1_T2_PT3_SK_jT4_jjP12ihipStream_tbEUlT_E_NS1_11comp_targetILNS1_3genE10ELNS1_11target_archE1201ELNS1_3gpuE5ELNS1_3repE0EEENS1_52radix_sort_onesweep_histogram_config_static_selectorELNS0_4arch9wavefront6targetE1EEEvSI_: ; @_ZN7rocprim17ROCPRIM_400000_NS6detail17trampoline_kernelINS0_14default_configENS1_35radix_sort_onesweep_config_selectorIjNS0_10empty_typeEEEZNS1_34radix_sort_onesweep_global_offsetsIS3_Lb0EN6thrust23THRUST_200600_302600_NS6detail15normal_iteratorINS9_10device_ptrIjEEEEPS5_jNS0_19identity_decomposerEEE10hipError_tT1_T2_PT3_SK_jT4_jjP12ihipStream_tbEUlT_E_NS1_11comp_targetILNS1_3genE10ELNS1_11target_archE1201ELNS1_3gpuE5ELNS1_3repE0EEENS1_52radix_sort_onesweep_histogram_config_static_selectorELNS0_4arch9wavefront6targetE1EEEvSI_
; %bb.0:
	.section	.rodata,"a",@progbits
	.p2align	6, 0x0
	.amdhsa_kernel _ZN7rocprim17ROCPRIM_400000_NS6detail17trampoline_kernelINS0_14default_configENS1_35radix_sort_onesweep_config_selectorIjNS0_10empty_typeEEEZNS1_34radix_sort_onesweep_global_offsetsIS3_Lb0EN6thrust23THRUST_200600_302600_NS6detail15normal_iteratorINS9_10device_ptrIjEEEEPS5_jNS0_19identity_decomposerEEE10hipError_tT1_T2_PT3_SK_jT4_jjP12ihipStream_tbEUlT_E_NS1_11comp_targetILNS1_3genE10ELNS1_11target_archE1201ELNS1_3gpuE5ELNS1_3repE0EEENS1_52radix_sort_onesweep_histogram_config_static_selectorELNS0_4arch9wavefront6targetE1EEEvSI_
		.amdhsa_group_segment_fixed_size 0
		.amdhsa_private_segment_fixed_size 0
		.amdhsa_kernarg_size 40
		.amdhsa_user_sgpr_count 6
		.amdhsa_user_sgpr_private_segment_buffer 1
		.amdhsa_user_sgpr_dispatch_ptr 0
		.amdhsa_user_sgpr_queue_ptr 0
		.amdhsa_user_sgpr_kernarg_segment_ptr 1
		.amdhsa_user_sgpr_dispatch_id 0
		.amdhsa_user_sgpr_flat_scratch_init 0
		.amdhsa_user_sgpr_kernarg_preload_length 0
		.amdhsa_user_sgpr_kernarg_preload_offset 0
		.amdhsa_user_sgpr_private_segment_size 0
		.amdhsa_uses_dynamic_stack 0
		.amdhsa_system_sgpr_private_segment_wavefront_offset 0
		.amdhsa_system_sgpr_workgroup_id_x 1
		.amdhsa_system_sgpr_workgroup_id_y 0
		.amdhsa_system_sgpr_workgroup_id_z 0
		.amdhsa_system_sgpr_workgroup_info 0
		.amdhsa_system_vgpr_workitem_id 0
		.amdhsa_next_free_vgpr 1
		.amdhsa_next_free_sgpr 0
		.amdhsa_accum_offset 4
		.amdhsa_reserve_vcc 0
		.amdhsa_reserve_flat_scratch 0
		.amdhsa_float_round_mode_32 0
		.amdhsa_float_round_mode_16_64 0
		.amdhsa_float_denorm_mode_32 3
		.amdhsa_float_denorm_mode_16_64 3
		.amdhsa_dx10_clamp 1
		.amdhsa_ieee_mode 1
		.amdhsa_fp16_overflow 0
		.amdhsa_tg_split 0
		.amdhsa_exception_fp_ieee_invalid_op 0
		.amdhsa_exception_fp_denorm_src 0
		.amdhsa_exception_fp_ieee_div_zero 0
		.amdhsa_exception_fp_ieee_overflow 0
		.amdhsa_exception_fp_ieee_underflow 0
		.amdhsa_exception_fp_ieee_inexact 0
		.amdhsa_exception_int_div_zero 0
	.end_amdhsa_kernel
	.section	.text._ZN7rocprim17ROCPRIM_400000_NS6detail17trampoline_kernelINS0_14default_configENS1_35radix_sort_onesweep_config_selectorIjNS0_10empty_typeEEEZNS1_34radix_sort_onesweep_global_offsetsIS3_Lb0EN6thrust23THRUST_200600_302600_NS6detail15normal_iteratorINS9_10device_ptrIjEEEEPS5_jNS0_19identity_decomposerEEE10hipError_tT1_T2_PT3_SK_jT4_jjP12ihipStream_tbEUlT_E_NS1_11comp_targetILNS1_3genE10ELNS1_11target_archE1201ELNS1_3gpuE5ELNS1_3repE0EEENS1_52radix_sort_onesweep_histogram_config_static_selectorELNS0_4arch9wavefront6targetE1EEEvSI_,"axG",@progbits,_ZN7rocprim17ROCPRIM_400000_NS6detail17trampoline_kernelINS0_14default_configENS1_35radix_sort_onesweep_config_selectorIjNS0_10empty_typeEEEZNS1_34radix_sort_onesweep_global_offsetsIS3_Lb0EN6thrust23THRUST_200600_302600_NS6detail15normal_iteratorINS9_10device_ptrIjEEEEPS5_jNS0_19identity_decomposerEEE10hipError_tT1_T2_PT3_SK_jT4_jjP12ihipStream_tbEUlT_E_NS1_11comp_targetILNS1_3genE10ELNS1_11target_archE1201ELNS1_3gpuE5ELNS1_3repE0EEENS1_52radix_sort_onesweep_histogram_config_static_selectorELNS0_4arch9wavefront6targetE1EEEvSI_,comdat
.Lfunc_end1080:
	.size	_ZN7rocprim17ROCPRIM_400000_NS6detail17trampoline_kernelINS0_14default_configENS1_35radix_sort_onesweep_config_selectorIjNS0_10empty_typeEEEZNS1_34radix_sort_onesweep_global_offsetsIS3_Lb0EN6thrust23THRUST_200600_302600_NS6detail15normal_iteratorINS9_10device_ptrIjEEEEPS5_jNS0_19identity_decomposerEEE10hipError_tT1_T2_PT3_SK_jT4_jjP12ihipStream_tbEUlT_E_NS1_11comp_targetILNS1_3genE10ELNS1_11target_archE1201ELNS1_3gpuE5ELNS1_3repE0EEENS1_52radix_sort_onesweep_histogram_config_static_selectorELNS0_4arch9wavefront6targetE1EEEvSI_, .Lfunc_end1080-_ZN7rocprim17ROCPRIM_400000_NS6detail17trampoline_kernelINS0_14default_configENS1_35radix_sort_onesweep_config_selectorIjNS0_10empty_typeEEEZNS1_34radix_sort_onesweep_global_offsetsIS3_Lb0EN6thrust23THRUST_200600_302600_NS6detail15normal_iteratorINS9_10device_ptrIjEEEEPS5_jNS0_19identity_decomposerEEE10hipError_tT1_T2_PT3_SK_jT4_jjP12ihipStream_tbEUlT_E_NS1_11comp_targetILNS1_3genE10ELNS1_11target_archE1201ELNS1_3gpuE5ELNS1_3repE0EEENS1_52radix_sort_onesweep_histogram_config_static_selectorELNS0_4arch9wavefront6targetE1EEEvSI_
                                        ; -- End function
	.section	.AMDGPU.csdata,"",@progbits
; Kernel info:
; codeLenInByte = 0
; NumSgprs: 4
; NumVgprs: 0
; NumAgprs: 0
; TotalNumVgprs: 0
; ScratchSize: 0
; MemoryBound: 0
; FloatMode: 240
; IeeeMode: 1
; LDSByteSize: 0 bytes/workgroup (compile time only)
; SGPRBlocks: 0
; VGPRBlocks: 0
; NumSGPRsForWavesPerEU: 4
; NumVGPRsForWavesPerEU: 1
; AccumOffset: 4
; Occupancy: 8
; WaveLimiterHint : 0
; COMPUTE_PGM_RSRC2:SCRATCH_EN: 0
; COMPUTE_PGM_RSRC2:USER_SGPR: 6
; COMPUTE_PGM_RSRC2:TRAP_HANDLER: 0
; COMPUTE_PGM_RSRC2:TGID_X_EN: 1
; COMPUTE_PGM_RSRC2:TGID_Y_EN: 0
; COMPUTE_PGM_RSRC2:TGID_Z_EN: 0
; COMPUTE_PGM_RSRC2:TIDIG_COMP_CNT: 0
; COMPUTE_PGM_RSRC3_GFX90A:ACCUM_OFFSET: 0
; COMPUTE_PGM_RSRC3_GFX90A:TG_SPLIT: 0
	.section	.text._ZN7rocprim17ROCPRIM_400000_NS6detail17trampoline_kernelINS0_14default_configENS1_35radix_sort_onesweep_config_selectorIjNS0_10empty_typeEEEZNS1_34radix_sort_onesweep_global_offsetsIS3_Lb0EN6thrust23THRUST_200600_302600_NS6detail15normal_iteratorINS9_10device_ptrIjEEEEPS5_jNS0_19identity_decomposerEEE10hipError_tT1_T2_PT3_SK_jT4_jjP12ihipStream_tbEUlT_E_NS1_11comp_targetILNS1_3genE9ELNS1_11target_archE1100ELNS1_3gpuE3ELNS1_3repE0EEENS1_52radix_sort_onesweep_histogram_config_static_selectorELNS0_4arch9wavefront6targetE1EEEvSI_,"axG",@progbits,_ZN7rocprim17ROCPRIM_400000_NS6detail17trampoline_kernelINS0_14default_configENS1_35radix_sort_onesweep_config_selectorIjNS0_10empty_typeEEEZNS1_34radix_sort_onesweep_global_offsetsIS3_Lb0EN6thrust23THRUST_200600_302600_NS6detail15normal_iteratorINS9_10device_ptrIjEEEEPS5_jNS0_19identity_decomposerEEE10hipError_tT1_T2_PT3_SK_jT4_jjP12ihipStream_tbEUlT_E_NS1_11comp_targetILNS1_3genE9ELNS1_11target_archE1100ELNS1_3gpuE3ELNS1_3repE0EEENS1_52radix_sort_onesweep_histogram_config_static_selectorELNS0_4arch9wavefront6targetE1EEEvSI_,comdat
	.protected	_ZN7rocprim17ROCPRIM_400000_NS6detail17trampoline_kernelINS0_14default_configENS1_35radix_sort_onesweep_config_selectorIjNS0_10empty_typeEEEZNS1_34radix_sort_onesweep_global_offsetsIS3_Lb0EN6thrust23THRUST_200600_302600_NS6detail15normal_iteratorINS9_10device_ptrIjEEEEPS5_jNS0_19identity_decomposerEEE10hipError_tT1_T2_PT3_SK_jT4_jjP12ihipStream_tbEUlT_E_NS1_11comp_targetILNS1_3genE9ELNS1_11target_archE1100ELNS1_3gpuE3ELNS1_3repE0EEENS1_52radix_sort_onesweep_histogram_config_static_selectorELNS0_4arch9wavefront6targetE1EEEvSI_ ; -- Begin function _ZN7rocprim17ROCPRIM_400000_NS6detail17trampoline_kernelINS0_14default_configENS1_35radix_sort_onesweep_config_selectorIjNS0_10empty_typeEEEZNS1_34radix_sort_onesweep_global_offsetsIS3_Lb0EN6thrust23THRUST_200600_302600_NS6detail15normal_iteratorINS9_10device_ptrIjEEEEPS5_jNS0_19identity_decomposerEEE10hipError_tT1_T2_PT3_SK_jT4_jjP12ihipStream_tbEUlT_E_NS1_11comp_targetILNS1_3genE9ELNS1_11target_archE1100ELNS1_3gpuE3ELNS1_3repE0EEENS1_52radix_sort_onesweep_histogram_config_static_selectorELNS0_4arch9wavefront6targetE1EEEvSI_
	.globl	_ZN7rocprim17ROCPRIM_400000_NS6detail17trampoline_kernelINS0_14default_configENS1_35radix_sort_onesweep_config_selectorIjNS0_10empty_typeEEEZNS1_34radix_sort_onesweep_global_offsetsIS3_Lb0EN6thrust23THRUST_200600_302600_NS6detail15normal_iteratorINS9_10device_ptrIjEEEEPS5_jNS0_19identity_decomposerEEE10hipError_tT1_T2_PT3_SK_jT4_jjP12ihipStream_tbEUlT_E_NS1_11comp_targetILNS1_3genE9ELNS1_11target_archE1100ELNS1_3gpuE3ELNS1_3repE0EEENS1_52radix_sort_onesweep_histogram_config_static_selectorELNS0_4arch9wavefront6targetE1EEEvSI_
	.p2align	8
	.type	_ZN7rocprim17ROCPRIM_400000_NS6detail17trampoline_kernelINS0_14default_configENS1_35radix_sort_onesweep_config_selectorIjNS0_10empty_typeEEEZNS1_34radix_sort_onesweep_global_offsetsIS3_Lb0EN6thrust23THRUST_200600_302600_NS6detail15normal_iteratorINS9_10device_ptrIjEEEEPS5_jNS0_19identity_decomposerEEE10hipError_tT1_T2_PT3_SK_jT4_jjP12ihipStream_tbEUlT_E_NS1_11comp_targetILNS1_3genE9ELNS1_11target_archE1100ELNS1_3gpuE3ELNS1_3repE0EEENS1_52radix_sort_onesweep_histogram_config_static_selectorELNS0_4arch9wavefront6targetE1EEEvSI_,@function
_ZN7rocprim17ROCPRIM_400000_NS6detail17trampoline_kernelINS0_14default_configENS1_35radix_sort_onesweep_config_selectorIjNS0_10empty_typeEEEZNS1_34radix_sort_onesweep_global_offsetsIS3_Lb0EN6thrust23THRUST_200600_302600_NS6detail15normal_iteratorINS9_10device_ptrIjEEEEPS5_jNS0_19identity_decomposerEEE10hipError_tT1_T2_PT3_SK_jT4_jjP12ihipStream_tbEUlT_E_NS1_11comp_targetILNS1_3genE9ELNS1_11target_archE1100ELNS1_3gpuE3ELNS1_3repE0EEENS1_52radix_sort_onesweep_histogram_config_static_selectorELNS0_4arch9wavefront6targetE1EEEvSI_: ; @_ZN7rocprim17ROCPRIM_400000_NS6detail17trampoline_kernelINS0_14default_configENS1_35radix_sort_onesweep_config_selectorIjNS0_10empty_typeEEEZNS1_34radix_sort_onesweep_global_offsetsIS3_Lb0EN6thrust23THRUST_200600_302600_NS6detail15normal_iteratorINS9_10device_ptrIjEEEEPS5_jNS0_19identity_decomposerEEE10hipError_tT1_T2_PT3_SK_jT4_jjP12ihipStream_tbEUlT_E_NS1_11comp_targetILNS1_3genE9ELNS1_11target_archE1100ELNS1_3gpuE3ELNS1_3repE0EEENS1_52radix_sort_onesweep_histogram_config_static_selectorELNS0_4arch9wavefront6targetE1EEEvSI_
; %bb.0:
	.section	.rodata,"a",@progbits
	.p2align	6, 0x0
	.amdhsa_kernel _ZN7rocprim17ROCPRIM_400000_NS6detail17trampoline_kernelINS0_14default_configENS1_35radix_sort_onesweep_config_selectorIjNS0_10empty_typeEEEZNS1_34radix_sort_onesweep_global_offsetsIS3_Lb0EN6thrust23THRUST_200600_302600_NS6detail15normal_iteratorINS9_10device_ptrIjEEEEPS5_jNS0_19identity_decomposerEEE10hipError_tT1_T2_PT3_SK_jT4_jjP12ihipStream_tbEUlT_E_NS1_11comp_targetILNS1_3genE9ELNS1_11target_archE1100ELNS1_3gpuE3ELNS1_3repE0EEENS1_52radix_sort_onesweep_histogram_config_static_selectorELNS0_4arch9wavefront6targetE1EEEvSI_
		.amdhsa_group_segment_fixed_size 0
		.amdhsa_private_segment_fixed_size 0
		.amdhsa_kernarg_size 40
		.amdhsa_user_sgpr_count 6
		.amdhsa_user_sgpr_private_segment_buffer 1
		.amdhsa_user_sgpr_dispatch_ptr 0
		.amdhsa_user_sgpr_queue_ptr 0
		.amdhsa_user_sgpr_kernarg_segment_ptr 1
		.amdhsa_user_sgpr_dispatch_id 0
		.amdhsa_user_sgpr_flat_scratch_init 0
		.amdhsa_user_sgpr_kernarg_preload_length 0
		.amdhsa_user_sgpr_kernarg_preload_offset 0
		.amdhsa_user_sgpr_private_segment_size 0
		.amdhsa_uses_dynamic_stack 0
		.amdhsa_system_sgpr_private_segment_wavefront_offset 0
		.amdhsa_system_sgpr_workgroup_id_x 1
		.amdhsa_system_sgpr_workgroup_id_y 0
		.amdhsa_system_sgpr_workgroup_id_z 0
		.amdhsa_system_sgpr_workgroup_info 0
		.amdhsa_system_vgpr_workitem_id 0
		.amdhsa_next_free_vgpr 1
		.amdhsa_next_free_sgpr 0
		.amdhsa_accum_offset 4
		.amdhsa_reserve_vcc 0
		.amdhsa_reserve_flat_scratch 0
		.amdhsa_float_round_mode_32 0
		.amdhsa_float_round_mode_16_64 0
		.amdhsa_float_denorm_mode_32 3
		.amdhsa_float_denorm_mode_16_64 3
		.amdhsa_dx10_clamp 1
		.amdhsa_ieee_mode 1
		.amdhsa_fp16_overflow 0
		.amdhsa_tg_split 0
		.amdhsa_exception_fp_ieee_invalid_op 0
		.amdhsa_exception_fp_denorm_src 0
		.amdhsa_exception_fp_ieee_div_zero 0
		.amdhsa_exception_fp_ieee_overflow 0
		.amdhsa_exception_fp_ieee_underflow 0
		.amdhsa_exception_fp_ieee_inexact 0
		.amdhsa_exception_int_div_zero 0
	.end_amdhsa_kernel
	.section	.text._ZN7rocprim17ROCPRIM_400000_NS6detail17trampoline_kernelINS0_14default_configENS1_35radix_sort_onesweep_config_selectorIjNS0_10empty_typeEEEZNS1_34radix_sort_onesweep_global_offsetsIS3_Lb0EN6thrust23THRUST_200600_302600_NS6detail15normal_iteratorINS9_10device_ptrIjEEEEPS5_jNS0_19identity_decomposerEEE10hipError_tT1_T2_PT3_SK_jT4_jjP12ihipStream_tbEUlT_E_NS1_11comp_targetILNS1_3genE9ELNS1_11target_archE1100ELNS1_3gpuE3ELNS1_3repE0EEENS1_52radix_sort_onesweep_histogram_config_static_selectorELNS0_4arch9wavefront6targetE1EEEvSI_,"axG",@progbits,_ZN7rocprim17ROCPRIM_400000_NS6detail17trampoline_kernelINS0_14default_configENS1_35radix_sort_onesweep_config_selectorIjNS0_10empty_typeEEEZNS1_34radix_sort_onesweep_global_offsetsIS3_Lb0EN6thrust23THRUST_200600_302600_NS6detail15normal_iteratorINS9_10device_ptrIjEEEEPS5_jNS0_19identity_decomposerEEE10hipError_tT1_T2_PT3_SK_jT4_jjP12ihipStream_tbEUlT_E_NS1_11comp_targetILNS1_3genE9ELNS1_11target_archE1100ELNS1_3gpuE3ELNS1_3repE0EEENS1_52radix_sort_onesweep_histogram_config_static_selectorELNS0_4arch9wavefront6targetE1EEEvSI_,comdat
.Lfunc_end1081:
	.size	_ZN7rocprim17ROCPRIM_400000_NS6detail17trampoline_kernelINS0_14default_configENS1_35radix_sort_onesweep_config_selectorIjNS0_10empty_typeEEEZNS1_34radix_sort_onesweep_global_offsetsIS3_Lb0EN6thrust23THRUST_200600_302600_NS6detail15normal_iteratorINS9_10device_ptrIjEEEEPS5_jNS0_19identity_decomposerEEE10hipError_tT1_T2_PT3_SK_jT4_jjP12ihipStream_tbEUlT_E_NS1_11comp_targetILNS1_3genE9ELNS1_11target_archE1100ELNS1_3gpuE3ELNS1_3repE0EEENS1_52radix_sort_onesweep_histogram_config_static_selectorELNS0_4arch9wavefront6targetE1EEEvSI_, .Lfunc_end1081-_ZN7rocprim17ROCPRIM_400000_NS6detail17trampoline_kernelINS0_14default_configENS1_35radix_sort_onesweep_config_selectorIjNS0_10empty_typeEEEZNS1_34radix_sort_onesweep_global_offsetsIS3_Lb0EN6thrust23THRUST_200600_302600_NS6detail15normal_iteratorINS9_10device_ptrIjEEEEPS5_jNS0_19identity_decomposerEEE10hipError_tT1_T2_PT3_SK_jT4_jjP12ihipStream_tbEUlT_E_NS1_11comp_targetILNS1_3genE9ELNS1_11target_archE1100ELNS1_3gpuE3ELNS1_3repE0EEENS1_52radix_sort_onesweep_histogram_config_static_selectorELNS0_4arch9wavefront6targetE1EEEvSI_
                                        ; -- End function
	.section	.AMDGPU.csdata,"",@progbits
; Kernel info:
; codeLenInByte = 0
; NumSgprs: 4
; NumVgprs: 0
; NumAgprs: 0
; TotalNumVgprs: 0
; ScratchSize: 0
; MemoryBound: 0
; FloatMode: 240
; IeeeMode: 1
; LDSByteSize: 0 bytes/workgroup (compile time only)
; SGPRBlocks: 0
; VGPRBlocks: 0
; NumSGPRsForWavesPerEU: 4
; NumVGPRsForWavesPerEU: 1
; AccumOffset: 4
; Occupancy: 8
; WaveLimiterHint : 0
; COMPUTE_PGM_RSRC2:SCRATCH_EN: 0
; COMPUTE_PGM_RSRC2:USER_SGPR: 6
; COMPUTE_PGM_RSRC2:TRAP_HANDLER: 0
; COMPUTE_PGM_RSRC2:TGID_X_EN: 1
; COMPUTE_PGM_RSRC2:TGID_Y_EN: 0
; COMPUTE_PGM_RSRC2:TGID_Z_EN: 0
; COMPUTE_PGM_RSRC2:TIDIG_COMP_CNT: 0
; COMPUTE_PGM_RSRC3_GFX90A:ACCUM_OFFSET: 0
; COMPUTE_PGM_RSRC3_GFX90A:TG_SPLIT: 0
	.section	.text._ZN7rocprim17ROCPRIM_400000_NS6detail17trampoline_kernelINS0_14default_configENS1_35radix_sort_onesweep_config_selectorIjNS0_10empty_typeEEEZNS1_34radix_sort_onesweep_global_offsetsIS3_Lb0EN6thrust23THRUST_200600_302600_NS6detail15normal_iteratorINS9_10device_ptrIjEEEEPS5_jNS0_19identity_decomposerEEE10hipError_tT1_T2_PT3_SK_jT4_jjP12ihipStream_tbEUlT_E_NS1_11comp_targetILNS1_3genE8ELNS1_11target_archE1030ELNS1_3gpuE2ELNS1_3repE0EEENS1_52radix_sort_onesweep_histogram_config_static_selectorELNS0_4arch9wavefront6targetE1EEEvSI_,"axG",@progbits,_ZN7rocprim17ROCPRIM_400000_NS6detail17trampoline_kernelINS0_14default_configENS1_35radix_sort_onesweep_config_selectorIjNS0_10empty_typeEEEZNS1_34radix_sort_onesweep_global_offsetsIS3_Lb0EN6thrust23THRUST_200600_302600_NS6detail15normal_iteratorINS9_10device_ptrIjEEEEPS5_jNS0_19identity_decomposerEEE10hipError_tT1_T2_PT3_SK_jT4_jjP12ihipStream_tbEUlT_E_NS1_11comp_targetILNS1_3genE8ELNS1_11target_archE1030ELNS1_3gpuE2ELNS1_3repE0EEENS1_52radix_sort_onesweep_histogram_config_static_selectorELNS0_4arch9wavefront6targetE1EEEvSI_,comdat
	.protected	_ZN7rocprim17ROCPRIM_400000_NS6detail17trampoline_kernelINS0_14default_configENS1_35radix_sort_onesweep_config_selectorIjNS0_10empty_typeEEEZNS1_34radix_sort_onesweep_global_offsetsIS3_Lb0EN6thrust23THRUST_200600_302600_NS6detail15normal_iteratorINS9_10device_ptrIjEEEEPS5_jNS0_19identity_decomposerEEE10hipError_tT1_T2_PT3_SK_jT4_jjP12ihipStream_tbEUlT_E_NS1_11comp_targetILNS1_3genE8ELNS1_11target_archE1030ELNS1_3gpuE2ELNS1_3repE0EEENS1_52radix_sort_onesweep_histogram_config_static_selectorELNS0_4arch9wavefront6targetE1EEEvSI_ ; -- Begin function _ZN7rocprim17ROCPRIM_400000_NS6detail17trampoline_kernelINS0_14default_configENS1_35radix_sort_onesweep_config_selectorIjNS0_10empty_typeEEEZNS1_34radix_sort_onesweep_global_offsetsIS3_Lb0EN6thrust23THRUST_200600_302600_NS6detail15normal_iteratorINS9_10device_ptrIjEEEEPS5_jNS0_19identity_decomposerEEE10hipError_tT1_T2_PT3_SK_jT4_jjP12ihipStream_tbEUlT_E_NS1_11comp_targetILNS1_3genE8ELNS1_11target_archE1030ELNS1_3gpuE2ELNS1_3repE0EEENS1_52radix_sort_onesweep_histogram_config_static_selectorELNS0_4arch9wavefront6targetE1EEEvSI_
	.globl	_ZN7rocprim17ROCPRIM_400000_NS6detail17trampoline_kernelINS0_14default_configENS1_35radix_sort_onesweep_config_selectorIjNS0_10empty_typeEEEZNS1_34radix_sort_onesweep_global_offsetsIS3_Lb0EN6thrust23THRUST_200600_302600_NS6detail15normal_iteratorINS9_10device_ptrIjEEEEPS5_jNS0_19identity_decomposerEEE10hipError_tT1_T2_PT3_SK_jT4_jjP12ihipStream_tbEUlT_E_NS1_11comp_targetILNS1_3genE8ELNS1_11target_archE1030ELNS1_3gpuE2ELNS1_3repE0EEENS1_52radix_sort_onesweep_histogram_config_static_selectorELNS0_4arch9wavefront6targetE1EEEvSI_
	.p2align	8
	.type	_ZN7rocprim17ROCPRIM_400000_NS6detail17trampoline_kernelINS0_14default_configENS1_35radix_sort_onesweep_config_selectorIjNS0_10empty_typeEEEZNS1_34radix_sort_onesweep_global_offsetsIS3_Lb0EN6thrust23THRUST_200600_302600_NS6detail15normal_iteratorINS9_10device_ptrIjEEEEPS5_jNS0_19identity_decomposerEEE10hipError_tT1_T2_PT3_SK_jT4_jjP12ihipStream_tbEUlT_E_NS1_11comp_targetILNS1_3genE8ELNS1_11target_archE1030ELNS1_3gpuE2ELNS1_3repE0EEENS1_52radix_sort_onesweep_histogram_config_static_selectorELNS0_4arch9wavefront6targetE1EEEvSI_,@function
_ZN7rocprim17ROCPRIM_400000_NS6detail17trampoline_kernelINS0_14default_configENS1_35radix_sort_onesweep_config_selectorIjNS0_10empty_typeEEEZNS1_34radix_sort_onesweep_global_offsetsIS3_Lb0EN6thrust23THRUST_200600_302600_NS6detail15normal_iteratorINS9_10device_ptrIjEEEEPS5_jNS0_19identity_decomposerEEE10hipError_tT1_T2_PT3_SK_jT4_jjP12ihipStream_tbEUlT_E_NS1_11comp_targetILNS1_3genE8ELNS1_11target_archE1030ELNS1_3gpuE2ELNS1_3repE0EEENS1_52radix_sort_onesweep_histogram_config_static_selectorELNS0_4arch9wavefront6targetE1EEEvSI_: ; @_ZN7rocprim17ROCPRIM_400000_NS6detail17trampoline_kernelINS0_14default_configENS1_35radix_sort_onesweep_config_selectorIjNS0_10empty_typeEEEZNS1_34radix_sort_onesweep_global_offsetsIS3_Lb0EN6thrust23THRUST_200600_302600_NS6detail15normal_iteratorINS9_10device_ptrIjEEEEPS5_jNS0_19identity_decomposerEEE10hipError_tT1_T2_PT3_SK_jT4_jjP12ihipStream_tbEUlT_E_NS1_11comp_targetILNS1_3genE8ELNS1_11target_archE1030ELNS1_3gpuE2ELNS1_3repE0EEENS1_52radix_sort_onesweep_histogram_config_static_selectorELNS0_4arch9wavefront6targetE1EEEvSI_
; %bb.0:
	.section	.rodata,"a",@progbits
	.p2align	6, 0x0
	.amdhsa_kernel _ZN7rocprim17ROCPRIM_400000_NS6detail17trampoline_kernelINS0_14default_configENS1_35radix_sort_onesweep_config_selectorIjNS0_10empty_typeEEEZNS1_34radix_sort_onesweep_global_offsetsIS3_Lb0EN6thrust23THRUST_200600_302600_NS6detail15normal_iteratorINS9_10device_ptrIjEEEEPS5_jNS0_19identity_decomposerEEE10hipError_tT1_T2_PT3_SK_jT4_jjP12ihipStream_tbEUlT_E_NS1_11comp_targetILNS1_3genE8ELNS1_11target_archE1030ELNS1_3gpuE2ELNS1_3repE0EEENS1_52radix_sort_onesweep_histogram_config_static_selectorELNS0_4arch9wavefront6targetE1EEEvSI_
		.amdhsa_group_segment_fixed_size 0
		.amdhsa_private_segment_fixed_size 0
		.amdhsa_kernarg_size 40
		.amdhsa_user_sgpr_count 6
		.amdhsa_user_sgpr_private_segment_buffer 1
		.amdhsa_user_sgpr_dispatch_ptr 0
		.amdhsa_user_sgpr_queue_ptr 0
		.amdhsa_user_sgpr_kernarg_segment_ptr 1
		.amdhsa_user_sgpr_dispatch_id 0
		.amdhsa_user_sgpr_flat_scratch_init 0
		.amdhsa_user_sgpr_kernarg_preload_length 0
		.amdhsa_user_sgpr_kernarg_preload_offset 0
		.amdhsa_user_sgpr_private_segment_size 0
		.amdhsa_uses_dynamic_stack 0
		.amdhsa_system_sgpr_private_segment_wavefront_offset 0
		.amdhsa_system_sgpr_workgroup_id_x 1
		.amdhsa_system_sgpr_workgroup_id_y 0
		.amdhsa_system_sgpr_workgroup_id_z 0
		.amdhsa_system_sgpr_workgroup_info 0
		.amdhsa_system_vgpr_workitem_id 0
		.amdhsa_next_free_vgpr 1
		.amdhsa_next_free_sgpr 0
		.amdhsa_accum_offset 4
		.amdhsa_reserve_vcc 0
		.amdhsa_reserve_flat_scratch 0
		.amdhsa_float_round_mode_32 0
		.amdhsa_float_round_mode_16_64 0
		.amdhsa_float_denorm_mode_32 3
		.amdhsa_float_denorm_mode_16_64 3
		.amdhsa_dx10_clamp 1
		.amdhsa_ieee_mode 1
		.amdhsa_fp16_overflow 0
		.amdhsa_tg_split 0
		.amdhsa_exception_fp_ieee_invalid_op 0
		.amdhsa_exception_fp_denorm_src 0
		.amdhsa_exception_fp_ieee_div_zero 0
		.amdhsa_exception_fp_ieee_overflow 0
		.amdhsa_exception_fp_ieee_underflow 0
		.amdhsa_exception_fp_ieee_inexact 0
		.amdhsa_exception_int_div_zero 0
	.end_amdhsa_kernel
	.section	.text._ZN7rocprim17ROCPRIM_400000_NS6detail17trampoline_kernelINS0_14default_configENS1_35radix_sort_onesweep_config_selectorIjNS0_10empty_typeEEEZNS1_34radix_sort_onesweep_global_offsetsIS3_Lb0EN6thrust23THRUST_200600_302600_NS6detail15normal_iteratorINS9_10device_ptrIjEEEEPS5_jNS0_19identity_decomposerEEE10hipError_tT1_T2_PT3_SK_jT4_jjP12ihipStream_tbEUlT_E_NS1_11comp_targetILNS1_3genE8ELNS1_11target_archE1030ELNS1_3gpuE2ELNS1_3repE0EEENS1_52radix_sort_onesweep_histogram_config_static_selectorELNS0_4arch9wavefront6targetE1EEEvSI_,"axG",@progbits,_ZN7rocprim17ROCPRIM_400000_NS6detail17trampoline_kernelINS0_14default_configENS1_35radix_sort_onesweep_config_selectorIjNS0_10empty_typeEEEZNS1_34radix_sort_onesweep_global_offsetsIS3_Lb0EN6thrust23THRUST_200600_302600_NS6detail15normal_iteratorINS9_10device_ptrIjEEEEPS5_jNS0_19identity_decomposerEEE10hipError_tT1_T2_PT3_SK_jT4_jjP12ihipStream_tbEUlT_E_NS1_11comp_targetILNS1_3genE8ELNS1_11target_archE1030ELNS1_3gpuE2ELNS1_3repE0EEENS1_52radix_sort_onesweep_histogram_config_static_selectorELNS0_4arch9wavefront6targetE1EEEvSI_,comdat
.Lfunc_end1082:
	.size	_ZN7rocprim17ROCPRIM_400000_NS6detail17trampoline_kernelINS0_14default_configENS1_35radix_sort_onesweep_config_selectorIjNS0_10empty_typeEEEZNS1_34radix_sort_onesweep_global_offsetsIS3_Lb0EN6thrust23THRUST_200600_302600_NS6detail15normal_iteratorINS9_10device_ptrIjEEEEPS5_jNS0_19identity_decomposerEEE10hipError_tT1_T2_PT3_SK_jT4_jjP12ihipStream_tbEUlT_E_NS1_11comp_targetILNS1_3genE8ELNS1_11target_archE1030ELNS1_3gpuE2ELNS1_3repE0EEENS1_52radix_sort_onesweep_histogram_config_static_selectorELNS0_4arch9wavefront6targetE1EEEvSI_, .Lfunc_end1082-_ZN7rocprim17ROCPRIM_400000_NS6detail17trampoline_kernelINS0_14default_configENS1_35radix_sort_onesweep_config_selectorIjNS0_10empty_typeEEEZNS1_34radix_sort_onesweep_global_offsetsIS3_Lb0EN6thrust23THRUST_200600_302600_NS6detail15normal_iteratorINS9_10device_ptrIjEEEEPS5_jNS0_19identity_decomposerEEE10hipError_tT1_T2_PT3_SK_jT4_jjP12ihipStream_tbEUlT_E_NS1_11comp_targetILNS1_3genE8ELNS1_11target_archE1030ELNS1_3gpuE2ELNS1_3repE0EEENS1_52radix_sort_onesweep_histogram_config_static_selectorELNS0_4arch9wavefront6targetE1EEEvSI_
                                        ; -- End function
	.section	.AMDGPU.csdata,"",@progbits
; Kernel info:
; codeLenInByte = 0
; NumSgprs: 4
; NumVgprs: 0
; NumAgprs: 0
; TotalNumVgprs: 0
; ScratchSize: 0
; MemoryBound: 0
; FloatMode: 240
; IeeeMode: 1
; LDSByteSize: 0 bytes/workgroup (compile time only)
; SGPRBlocks: 0
; VGPRBlocks: 0
; NumSGPRsForWavesPerEU: 4
; NumVGPRsForWavesPerEU: 1
; AccumOffset: 4
; Occupancy: 8
; WaveLimiterHint : 0
; COMPUTE_PGM_RSRC2:SCRATCH_EN: 0
; COMPUTE_PGM_RSRC2:USER_SGPR: 6
; COMPUTE_PGM_RSRC2:TRAP_HANDLER: 0
; COMPUTE_PGM_RSRC2:TGID_X_EN: 1
; COMPUTE_PGM_RSRC2:TGID_Y_EN: 0
; COMPUTE_PGM_RSRC2:TGID_Z_EN: 0
; COMPUTE_PGM_RSRC2:TIDIG_COMP_CNT: 0
; COMPUTE_PGM_RSRC3_GFX90A:ACCUM_OFFSET: 0
; COMPUTE_PGM_RSRC3_GFX90A:TG_SPLIT: 0
	.section	.text._ZN7rocprim17ROCPRIM_400000_NS6detail17trampoline_kernelINS0_14default_configENS1_35radix_sort_onesweep_config_selectorIjNS0_10empty_typeEEEZNS1_34radix_sort_onesweep_global_offsetsIS3_Lb0EN6thrust23THRUST_200600_302600_NS6detail15normal_iteratorINS9_10device_ptrIjEEEEPS5_jNS0_19identity_decomposerEEE10hipError_tT1_T2_PT3_SK_jT4_jjP12ihipStream_tbEUlT_E0_NS1_11comp_targetILNS1_3genE0ELNS1_11target_archE4294967295ELNS1_3gpuE0ELNS1_3repE0EEENS1_52radix_sort_onesweep_histogram_config_static_selectorELNS0_4arch9wavefront6targetE1EEEvSI_,"axG",@progbits,_ZN7rocprim17ROCPRIM_400000_NS6detail17trampoline_kernelINS0_14default_configENS1_35radix_sort_onesweep_config_selectorIjNS0_10empty_typeEEEZNS1_34radix_sort_onesweep_global_offsetsIS3_Lb0EN6thrust23THRUST_200600_302600_NS6detail15normal_iteratorINS9_10device_ptrIjEEEEPS5_jNS0_19identity_decomposerEEE10hipError_tT1_T2_PT3_SK_jT4_jjP12ihipStream_tbEUlT_E0_NS1_11comp_targetILNS1_3genE0ELNS1_11target_archE4294967295ELNS1_3gpuE0ELNS1_3repE0EEENS1_52radix_sort_onesweep_histogram_config_static_selectorELNS0_4arch9wavefront6targetE1EEEvSI_,comdat
	.protected	_ZN7rocprim17ROCPRIM_400000_NS6detail17trampoline_kernelINS0_14default_configENS1_35radix_sort_onesweep_config_selectorIjNS0_10empty_typeEEEZNS1_34radix_sort_onesweep_global_offsetsIS3_Lb0EN6thrust23THRUST_200600_302600_NS6detail15normal_iteratorINS9_10device_ptrIjEEEEPS5_jNS0_19identity_decomposerEEE10hipError_tT1_T2_PT3_SK_jT4_jjP12ihipStream_tbEUlT_E0_NS1_11comp_targetILNS1_3genE0ELNS1_11target_archE4294967295ELNS1_3gpuE0ELNS1_3repE0EEENS1_52radix_sort_onesweep_histogram_config_static_selectorELNS0_4arch9wavefront6targetE1EEEvSI_ ; -- Begin function _ZN7rocprim17ROCPRIM_400000_NS6detail17trampoline_kernelINS0_14default_configENS1_35radix_sort_onesweep_config_selectorIjNS0_10empty_typeEEEZNS1_34radix_sort_onesweep_global_offsetsIS3_Lb0EN6thrust23THRUST_200600_302600_NS6detail15normal_iteratorINS9_10device_ptrIjEEEEPS5_jNS0_19identity_decomposerEEE10hipError_tT1_T2_PT3_SK_jT4_jjP12ihipStream_tbEUlT_E0_NS1_11comp_targetILNS1_3genE0ELNS1_11target_archE4294967295ELNS1_3gpuE0ELNS1_3repE0EEENS1_52radix_sort_onesweep_histogram_config_static_selectorELNS0_4arch9wavefront6targetE1EEEvSI_
	.globl	_ZN7rocprim17ROCPRIM_400000_NS6detail17trampoline_kernelINS0_14default_configENS1_35radix_sort_onesweep_config_selectorIjNS0_10empty_typeEEEZNS1_34radix_sort_onesweep_global_offsetsIS3_Lb0EN6thrust23THRUST_200600_302600_NS6detail15normal_iteratorINS9_10device_ptrIjEEEEPS5_jNS0_19identity_decomposerEEE10hipError_tT1_T2_PT3_SK_jT4_jjP12ihipStream_tbEUlT_E0_NS1_11comp_targetILNS1_3genE0ELNS1_11target_archE4294967295ELNS1_3gpuE0ELNS1_3repE0EEENS1_52radix_sort_onesweep_histogram_config_static_selectorELNS0_4arch9wavefront6targetE1EEEvSI_
	.p2align	8
	.type	_ZN7rocprim17ROCPRIM_400000_NS6detail17trampoline_kernelINS0_14default_configENS1_35radix_sort_onesweep_config_selectorIjNS0_10empty_typeEEEZNS1_34radix_sort_onesweep_global_offsetsIS3_Lb0EN6thrust23THRUST_200600_302600_NS6detail15normal_iteratorINS9_10device_ptrIjEEEEPS5_jNS0_19identity_decomposerEEE10hipError_tT1_T2_PT3_SK_jT4_jjP12ihipStream_tbEUlT_E0_NS1_11comp_targetILNS1_3genE0ELNS1_11target_archE4294967295ELNS1_3gpuE0ELNS1_3repE0EEENS1_52radix_sort_onesweep_histogram_config_static_selectorELNS0_4arch9wavefront6targetE1EEEvSI_,@function
_ZN7rocprim17ROCPRIM_400000_NS6detail17trampoline_kernelINS0_14default_configENS1_35radix_sort_onesweep_config_selectorIjNS0_10empty_typeEEEZNS1_34radix_sort_onesweep_global_offsetsIS3_Lb0EN6thrust23THRUST_200600_302600_NS6detail15normal_iteratorINS9_10device_ptrIjEEEEPS5_jNS0_19identity_decomposerEEE10hipError_tT1_T2_PT3_SK_jT4_jjP12ihipStream_tbEUlT_E0_NS1_11comp_targetILNS1_3genE0ELNS1_11target_archE4294967295ELNS1_3gpuE0ELNS1_3repE0EEENS1_52radix_sort_onesweep_histogram_config_static_selectorELNS0_4arch9wavefront6targetE1EEEvSI_: ; @_ZN7rocprim17ROCPRIM_400000_NS6detail17trampoline_kernelINS0_14default_configENS1_35radix_sort_onesweep_config_selectorIjNS0_10empty_typeEEEZNS1_34radix_sort_onesweep_global_offsetsIS3_Lb0EN6thrust23THRUST_200600_302600_NS6detail15normal_iteratorINS9_10device_ptrIjEEEEPS5_jNS0_19identity_decomposerEEE10hipError_tT1_T2_PT3_SK_jT4_jjP12ihipStream_tbEUlT_E0_NS1_11comp_targetILNS1_3genE0ELNS1_11target_archE4294967295ELNS1_3gpuE0ELNS1_3repE0EEENS1_52radix_sort_onesweep_histogram_config_static_selectorELNS0_4arch9wavefront6targetE1EEEvSI_
; %bb.0:
	.section	.rodata,"a",@progbits
	.p2align	6, 0x0
	.amdhsa_kernel _ZN7rocprim17ROCPRIM_400000_NS6detail17trampoline_kernelINS0_14default_configENS1_35radix_sort_onesweep_config_selectorIjNS0_10empty_typeEEEZNS1_34radix_sort_onesweep_global_offsetsIS3_Lb0EN6thrust23THRUST_200600_302600_NS6detail15normal_iteratorINS9_10device_ptrIjEEEEPS5_jNS0_19identity_decomposerEEE10hipError_tT1_T2_PT3_SK_jT4_jjP12ihipStream_tbEUlT_E0_NS1_11comp_targetILNS1_3genE0ELNS1_11target_archE4294967295ELNS1_3gpuE0ELNS1_3repE0EEENS1_52radix_sort_onesweep_histogram_config_static_selectorELNS0_4arch9wavefront6targetE1EEEvSI_
		.amdhsa_group_segment_fixed_size 0
		.amdhsa_private_segment_fixed_size 0
		.amdhsa_kernarg_size 8
		.amdhsa_user_sgpr_count 6
		.amdhsa_user_sgpr_private_segment_buffer 1
		.amdhsa_user_sgpr_dispatch_ptr 0
		.amdhsa_user_sgpr_queue_ptr 0
		.amdhsa_user_sgpr_kernarg_segment_ptr 1
		.amdhsa_user_sgpr_dispatch_id 0
		.amdhsa_user_sgpr_flat_scratch_init 0
		.amdhsa_user_sgpr_kernarg_preload_length 0
		.amdhsa_user_sgpr_kernarg_preload_offset 0
		.amdhsa_user_sgpr_private_segment_size 0
		.amdhsa_uses_dynamic_stack 0
		.amdhsa_system_sgpr_private_segment_wavefront_offset 0
		.amdhsa_system_sgpr_workgroup_id_x 1
		.amdhsa_system_sgpr_workgroup_id_y 0
		.amdhsa_system_sgpr_workgroup_id_z 0
		.amdhsa_system_sgpr_workgroup_info 0
		.amdhsa_system_vgpr_workitem_id 0
		.amdhsa_next_free_vgpr 1
		.amdhsa_next_free_sgpr 0
		.amdhsa_accum_offset 4
		.amdhsa_reserve_vcc 0
		.amdhsa_reserve_flat_scratch 0
		.amdhsa_float_round_mode_32 0
		.amdhsa_float_round_mode_16_64 0
		.amdhsa_float_denorm_mode_32 3
		.amdhsa_float_denorm_mode_16_64 3
		.amdhsa_dx10_clamp 1
		.amdhsa_ieee_mode 1
		.amdhsa_fp16_overflow 0
		.amdhsa_tg_split 0
		.amdhsa_exception_fp_ieee_invalid_op 0
		.amdhsa_exception_fp_denorm_src 0
		.amdhsa_exception_fp_ieee_div_zero 0
		.amdhsa_exception_fp_ieee_overflow 0
		.amdhsa_exception_fp_ieee_underflow 0
		.amdhsa_exception_fp_ieee_inexact 0
		.amdhsa_exception_int_div_zero 0
	.end_amdhsa_kernel
	.section	.text._ZN7rocprim17ROCPRIM_400000_NS6detail17trampoline_kernelINS0_14default_configENS1_35radix_sort_onesweep_config_selectorIjNS0_10empty_typeEEEZNS1_34radix_sort_onesweep_global_offsetsIS3_Lb0EN6thrust23THRUST_200600_302600_NS6detail15normal_iteratorINS9_10device_ptrIjEEEEPS5_jNS0_19identity_decomposerEEE10hipError_tT1_T2_PT3_SK_jT4_jjP12ihipStream_tbEUlT_E0_NS1_11comp_targetILNS1_3genE0ELNS1_11target_archE4294967295ELNS1_3gpuE0ELNS1_3repE0EEENS1_52radix_sort_onesweep_histogram_config_static_selectorELNS0_4arch9wavefront6targetE1EEEvSI_,"axG",@progbits,_ZN7rocprim17ROCPRIM_400000_NS6detail17trampoline_kernelINS0_14default_configENS1_35radix_sort_onesweep_config_selectorIjNS0_10empty_typeEEEZNS1_34radix_sort_onesweep_global_offsetsIS3_Lb0EN6thrust23THRUST_200600_302600_NS6detail15normal_iteratorINS9_10device_ptrIjEEEEPS5_jNS0_19identity_decomposerEEE10hipError_tT1_T2_PT3_SK_jT4_jjP12ihipStream_tbEUlT_E0_NS1_11comp_targetILNS1_3genE0ELNS1_11target_archE4294967295ELNS1_3gpuE0ELNS1_3repE0EEENS1_52radix_sort_onesweep_histogram_config_static_selectorELNS0_4arch9wavefront6targetE1EEEvSI_,comdat
.Lfunc_end1083:
	.size	_ZN7rocprim17ROCPRIM_400000_NS6detail17trampoline_kernelINS0_14default_configENS1_35radix_sort_onesweep_config_selectorIjNS0_10empty_typeEEEZNS1_34radix_sort_onesweep_global_offsetsIS3_Lb0EN6thrust23THRUST_200600_302600_NS6detail15normal_iteratorINS9_10device_ptrIjEEEEPS5_jNS0_19identity_decomposerEEE10hipError_tT1_T2_PT3_SK_jT4_jjP12ihipStream_tbEUlT_E0_NS1_11comp_targetILNS1_3genE0ELNS1_11target_archE4294967295ELNS1_3gpuE0ELNS1_3repE0EEENS1_52radix_sort_onesweep_histogram_config_static_selectorELNS0_4arch9wavefront6targetE1EEEvSI_, .Lfunc_end1083-_ZN7rocprim17ROCPRIM_400000_NS6detail17trampoline_kernelINS0_14default_configENS1_35radix_sort_onesweep_config_selectorIjNS0_10empty_typeEEEZNS1_34radix_sort_onesweep_global_offsetsIS3_Lb0EN6thrust23THRUST_200600_302600_NS6detail15normal_iteratorINS9_10device_ptrIjEEEEPS5_jNS0_19identity_decomposerEEE10hipError_tT1_T2_PT3_SK_jT4_jjP12ihipStream_tbEUlT_E0_NS1_11comp_targetILNS1_3genE0ELNS1_11target_archE4294967295ELNS1_3gpuE0ELNS1_3repE0EEENS1_52radix_sort_onesweep_histogram_config_static_selectorELNS0_4arch9wavefront6targetE1EEEvSI_
                                        ; -- End function
	.section	.AMDGPU.csdata,"",@progbits
; Kernel info:
; codeLenInByte = 0
; NumSgprs: 4
; NumVgprs: 0
; NumAgprs: 0
; TotalNumVgprs: 0
; ScratchSize: 0
; MemoryBound: 0
; FloatMode: 240
; IeeeMode: 1
; LDSByteSize: 0 bytes/workgroup (compile time only)
; SGPRBlocks: 0
; VGPRBlocks: 0
; NumSGPRsForWavesPerEU: 4
; NumVGPRsForWavesPerEU: 1
; AccumOffset: 4
; Occupancy: 8
; WaveLimiterHint : 0
; COMPUTE_PGM_RSRC2:SCRATCH_EN: 0
; COMPUTE_PGM_RSRC2:USER_SGPR: 6
; COMPUTE_PGM_RSRC2:TRAP_HANDLER: 0
; COMPUTE_PGM_RSRC2:TGID_X_EN: 1
; COMPUTE_PGM_RSRC2:TGID_Y_EN: 0
; COMPUTE_PGM_RSRC2:TGID_Z_EN: 0
; COMPUTE_PGM_RSRC2:TIDIG_COMP_CNT: 0
; COMPUTE_PGM_RSRC3_GFX90A:ACCUM_OFFSET: 0
; COMPUTE_PGM_RSRC3_GFX90A:TG_SPLIT: 0
	.section	.text._ZN7rocprim17ROCPRIM_400000_NS6detail17trampoline_kernelINS0_14default_configENS1_35radix_sort_onesweep_config_selectorIjNS0_10empty_typeEEEZNS1_34radix_sort_onesweep_global_offsetsIS3_Lb0EN6thrust23THRUST_200600_302600_NS6detail15normal_iteratorINS9_10device_ptrIjEEEEPS5_jNS0_19identity_decomposerEEE10hipError_tT1_T2_PT3_SK_jT4_jjP12ihipStream_tbEUlT_E0_NS1_11comp_targetILNS1_3genE6ELNS1_11target_archE950ELNS1_3gpuE13ELNS1_3repE0EEENS1_52radix_sort_onesweep_histogram_config_static_selectorELNS0_4arch9wavefront6targetE1EEEvSI_,"axG",@progbits,_ZN7rocprim17ROCPRIM_400000_NS6detail17trampoline_kernelINS0_14default_configENS1_35radix_sort_onesweep_config_selectorIjNS0_10empty_typeEEEZNS1_34radix_sort_onesweep_global_offsetsIS3_Lb0EN6thrust23THRUST_200600_302600_NS6detail15normal_iteratorINS9_10device_ptrIjEEEEPS5_jNS0_19identity_decomposerEEE10hipError_tT1_T2_PT3_SK_jT4_jjP12ihipStream_tbEUlT_E0_NS1_11comp_targetILNS1_3genE6ELNS1_11target_archE950ELNS1_3gpuE13ELNS1_3repE0EEENS1_52radix_sort_onesweep_histogram_config_static_selectorELNS0_4arch9wavefront6targetE1EEEvSI_,comdat
	.protected	_ZN7rocprim17ROCPRIM_400000_NS6detail17trampoline_kernelINS0_14default_configENS1_35radix_sort_onesweep_config_selectorIjNS0_10empty_typeEEEZNS1_34radix_sort_onesweep_global_offsetsIS3_Lb0EN6thrust23THRUST_200600_302600_NS6detail15normal_iteratorINS9_10device_ptrIjEEEEPS5_jNS0_19identity_decomposerEEE10hipError_tT1_T2_PT3_SK_jT4_jjP12ihipStream_tbEUlT_E0_NS1_11comp_targetILNS1_3genE6ELNS1_11target_archE950ELNS1_3gpuE13ELNS1_3repE0EEENS1_52radix_sort_onesweep_histogram_config_static_selectorELNS0_4arch9wavefront6targetE1EEEvSI_ ; -- Begin function _ZN7rocprim17ROCPRIM_400000_NS6detail17trampoline_kernelINS0_14default_configENS1_35radix_sort_onesweep_config_selectorIjNS0_10empty_typeEEEZNS1_34radix_sort_onesweep_global_offsetsIS3_Lb0EN6thrust23THRUST_200600_302600_NS6detail15normal_iteratorINS9_10device_ptrIjEEEEPS5_jNS0_19identity_decomposerEEE10hipError_tT1_T2_PT3_SK_jT4_jjP12ihipStream_tbEUlT_E0_NS1_11comp_targetILNS1_3genE6ELNS1_11target_archE950ELNS1_3gpuE13ELNS1_3repE0EEENS1_52radix_sort_onesweep_histogram_config_static_selectorELNS0_4arch9wavefront6targetE1EEEvSI_
	.globl	_ZN7rocprim17ROCPRIM_400000_NS6detail17trampoline_kernelINS0_14default_configENS1_35radix_sort_onesweep_config_selectorIjNS0_10empty_typeEEEZNS1_34radix_sort_onesweep_global_offsetsIS3_Lb0EN6thrust23THRUST_200600_302600_NS6detail15normal_iteratorINS9_10device_ptrIjEEEEPS5_jNS0_19identity_decomposerEEE10hipError_tT1_T2_PT3_SK_jT4_jjP12ihipStream_tbEUlT_E0_NS1_11comp_targetILNS1_3genE6ELNS1_11target_archE950ELNS1_3gpuE13ELNS1_3repE0EEENS1_52radix_sort_onesweep_histogram_config_static_selectorELNS0_4arch9wavefront6targetE1EEEvSI_
	.p2align	8
	.type	_ZN7rocprim17ROCPRIM_400000_NS6detail17trampoline_kernelINS0_14default_configENS1_35radix_sort_onesweep_config_selectorIjNS0_10empty_typeEEEZNS1_34radix_sort_onesweep_global_offsetsIS3_Lb0EN6thrust23THRUST_200600_302600_NS6detail15normal_iteratorINS9_10device_ptrIjEEEEPS5_jNS0_19identity_decomposerEEE10hipError_tT1_T2_PT3_SK_jT4_jjP12ihipStream_tbEUlT_E0_NS1_11comp_targetILNS1_3genE6ELNS1_11target_archE950ELNS1_3gpuE13ELNS1_3repE0EEENS1_52radix_sort_onesweep_histogram_config_static_selectorELNS0_4arch9wavefront6targetE1EEEvSI_,@function
_ZN7rocprim17ROCPRIM_400000_NS6detail17trampoline_kernelINS0_14default_configENS1_35radix_sort_onesweep_config_selectorIjNS0_10empty_typeEEEZNS1_34radix_sort_onesweep_global_offsetsIS3_Lb0EN6thrust23THRUST_200600_302600_NS6detail15normal_iteratorINS9_10device_ptrIjEEEEPS5_jNS0_19identity_decomposerEEE10hipError_tT1_T2_PT3_SK_jT4_jjP12ihipStream_tbEUlT_E0_NS1_11comp_targetILNS1_3genE6ELNS1_11target_archE950ELNS1_3gpuE13ELNS1_3repE0EEENS1_52radix_sort_onesweep_histogram_config_static_selectorELNS0_4arch9wavefront6targetE1EEEvSI_: ; @_ZN7rocprim17ROCPRIM_400000_NS6detail17trampoline_kernelINS0_14default_configENS1_35radix_sort_onesweep_config_selectorIjNS0_10empty_typeEEEZNS1_34radix_sort_onesweep_global_offsetsIS3_Lb0EN6thrust23THRUST_200600_302600_NS6detail15normal_iteratorINS9_10device_ptrIjEEEEPS5_jNS0_19identity_decomposerEEE10hipError_tT1_T2_PT3_SK_jT4_jjP12ihipStream_tbEUlT_E0_NS1_11comp_targetILNS1_3genE6ELNS1_11target_archE950ELNS1_3gpuE13ELNS1_3repE0EEENS1_52radix_sort_onesweep_histogram_config_static_selectorELNS0_4arch9wavefront6targetE1EEEvSI_
; %bb.0:
	.section	.rodata,"a",@progbits
	.p2align	6, 0x0
	.amdhsa_kernel _ZN7rocprim17ROCPRIM_400000_NS6detail17trampoline_kernelINS0_14default_configENS1_35radix_sort_onesweep_config_selectorIjNS0_10empty_typeEEEZNS1_34radix_sort_onesweep_global_offsetsIS3_Lb0EN6thrust23THRUST_200600_302600_NS6detail15normal_iteratorINS9_10device_ptrIjEEEEPS5_jNS0_19identity_decomposerEEE10hipError_tT1_T2_PT3_SK_jT4_jjP12ihipStream_tbEUlT_E0_NS1_11comp_targetILNS1_3genE6ELNS1_11target_archE950ELNS1_3gpuE13ELNS1_3repE0EEENS1_52radix_sort_onesweep_histogram_config_static_selectorELNS0_4arch9wavefront6targetE1EEEvSI_
		.amdhsa_group_segment_fixed_size 0
		.amdhsa_private_segment_fixed_size 0
		.amdhsa_kernarg_size 8
		.amdhsa_user_sgpr_count 6
		.amdhsa_user_sgpr_private_segment_buffer 1
		.amdhsa_user_sgpr_dispatch_ptr 0
		.amdhsa_user_sgpr_queue_ptr 0
		.amdhsa_user_sgpr_kernarg_segment_ptr 1
		.amdhsa_user_sgpr_dispatch_id 0
		.amdhsa_user_sgpr_flat_scratch_init 0
		.amdhsa_user_sgpr_kernarg_preload_length 0
		.amdhsa_user_sgpr_kernarg_preload_offset 0
		.amdhsa_user_sgpr_private_segment_size 0
		.amdhsa_uses_dynamic_stack 0
		.amdhsa_system_sgpr_private_segment_wavefront_offset 0
		.amdhsa_system_sgpr_workgroup_id_x 1
		.amdhsa_system_sgpr_workgroup_id_y 0
		.amdhsa_system_sgpr_workgroup_id_z 0
		.amdhsa_system_sgpr_workgroup_info 0
		.amdhsa_system_vgpr_workitem_id 0
		.amdhsa_next_free_vgpr 1
		.amdhsa_next_free_sgpr 0
		.amdhsa_accum_offset 4
		.amdhsa_reserve_vcc 0
		.amdhsa_reserve_flat_scratch 0
		.amdhsa_float_round_mode_32 0
		.amdhsa_float_round_mode_16_64 0
		.amdhsa_float_denorm_mode_32 3
		.amdhsa_float_denorm_mode_16_64 3
		.amdhsa_dx10_clamp 1
		.amdhsa_ieee_mode 1
		.amdhsa_fp16_overflow 0
		.amdhsa_tg_split 0
		.amdhsa_exception_fp_ieee_invalid_op 0
		.amdhsa_exception_fp_denorm_src 0
		.amdhsa_exception_fp_ieee_div_zero 0
		.amdhsa_exception_fp_ieee_overflow 0
		.amdhsa_exception_fp_ieee_underflow 0
		.amdhsa_exception_fp_ieee_inexact 0
		.amdhsa_exception_int_div_zero 0
	.end_amdhsa_kernel
	.section	.text._ZN7rocprim17ROCPRIM_400000_NS6detail17trampoline_kernelINS0_14default_configENS1_35radix_sort_onesweep_config_selectorIjNS0_10empty_typeEEEZNS1_34radix_sort_onesweep_global_offsetsIS3_Lb0EN6thrust23THRUST_200600_302600_NS6detail15normal_iteratorINS9_10device_ptrIjEEEEPS5_jNS0_19identity_decomposerEEE10hipError_tT1_T2_PT3_SK_jT4_jjP12ihipStream_tbEUlT_E0_NS1_11comp_targetILNS1_3genE6ELNS1_11target_archE950ELNS1_3gpuE13ELNS1_3repE0EEENS1_52radix_sort_onesweep_histogram_config_static_selectorELNS0_4arch9wavefront6targetE1EEEvSI_,"axG",@progbits,_ZN7rocprim17ROCPRIM_400000_NS6detail17trampoline_kernelINS0_14default_configENS1_35radix_sort_onesweep_config_selectorIjNS0_10empty_typeEEEZNS1_34radix_sort_onesweep_global_offsetsIS3_Lb0EN6thrust23THRUST_200600_302600_NS6detail15normal_iteratorINS9_10device_ptrIjEEEEPS5_jNS0_19identity_decomposerEEE10hipError_tT1_T2_PT3_SK_jT4_jjP12ihipStream_tbEUlT_E0_NS1_11comp_targetILNS1_3genE6ELNS1_11target_archE950ELNS1_3gpuE13ELNS1_3repE0EEENS1_52radix_sort_onesweep_histogram_config_static_selectorELNS0_4arch9wavefront6targetE1EEEvSI_,comdat
.Lfunc_end1084:
	.size	_ZN7rocprim17ROCPRIM_400000_NS6detail17trampoline_kernelINS0_14default_configENS1_35radix_sort_onesweep_config_selectorIjNS0_10empty_typeEEEZNS1_34radix_sort_onesweep_global_offsetsIS3_Lb0EN6thrust23THRUST_200600_302600_NS6detail15normal_iteratorINS9_10device_ptrIjEEEEPS5_jNS0_19identity_decomposerEEE10hipError_tT1_T2_PT3_SK_jT4_jjP12ihipStream_tbEUlT_E0_NS1_11comp_targetILNS1_3genE6ELNS1_11target_archE950ELNS1_3gpuE13ELNS1_3repE0EEENS1_52radix_sort_onesweep_histogram_config_static_selectorELNS0_4arch9wavefront6targetE1EEEvSI_, .Lfunc_end1084-_ZN7rocprim17ROCPRIM_400000_NS6detail17trampoline_kernelINS0_14default_configENS1_35radix_sort_onesweep_config_selectorIjNS0_10empty_typeEEEZNS1_34radix_sort_onesweep_global_offsetsIS3_Lb0EN6thrust23THRUST_200600_302600_NS6detail15normal_iteratorINS9_10device_ptrIjEEEEPS5_jNS0_19identity_decomposerEEE10hipError_tT1_T2_PT3_SK_jT4_jjP12ihipStream_tbEUlT_E0_NS1_11comp_targetILNS1_3genE6ELNS1_11target_archE950ELNS1_3gpuE13ELNS1_3repE0EEENS1_52radix_sort_onesweep_histogram_config_static_selectorELNS0_4arch9wavefront6targetE1EEEvSI_
                                        ; -- End function
	.section	.AMDGPU.csdata,"",@progbits
; Kernel info:
; codeLenInByte = 0
; NumSgprs: 4
; NumVgprs: 0
; NumAgprs: 0
; TotalNumVgprs: 0
; ScratchSize: 0
; MemoryBound: 0
; FloatMode: 240
; IeeeMode: 1
; LDSByteSize: 0 bytes/workgroup (compile time only)
; SGPRBlocks: 0
; VGPRBlocks: 0
; NumSGPRsForWavesPerEU: 4
; NumVGPRsForWavesPerEU: 1
; AccumOffset: 4
; Occupancy: 8
; WaveLimiterHint : 0
; COMPUTE_PGM_RSRC2:SCRATCH_EN: 0
; COMPUTE_PGM_RSRC2:USER_SGPR: 6
; COMPUTE_PGM_RSRC2:TRAP_HANDLER: 0
; COMPUTE_PGM_RSRC2:TGID_X_EN: 1
; COMPUTE_PGM_RSRC2:TGID_Y_EN: 0
; COMPUTE_PGM_RSRC2:TGID_Z_EN: 0
; COMPUTE_PGM_RSRC2:TIDIG_COMP_CNT: 0
; COMPUTE_PGM_RSRC3_GFX90A:ACCUM_OFFSET: 0
; COMPUTE_PGM_RSRC3_GFX90A:TG_SPLIT: 0
	.section	.text._ZN7rocprim17ROCPRIM_400000_NS6detail17trampoline_kernelINS0_14default_configENS1_35radix_sort_onesweep_config_selectorIjNS0_10empty_typeEEEZNS1_34radix_sort_onesweep_global_offsetsIS3_Lb0EN6thrust23THRUST_200600_302600_NS6detail15normal_iteratorINS9_10device_ptrIjEEEEPS5_jNS0_19identity_decomposerEEE10hipError_tT1_T2_PT3_SK_jT4_jjP12ihipStream_tbEUlT_E0_NS1_11comp_targetILNS1_3genE5ELNS1_11target_archE942ELNS1_3gpuE9ELNS1_3repE0EEENS1_52radix_sort_onesweep_histogram_config_static_selectorELNS0_4arch9wavefront6targetE1EEEvSI_,"axG",@progbits,_ZN7rocprim17ROCPRIM_400000_NS6detail17trampoline_kernelINS0_14default_configENS1_35radix_sort_onesweep_config_selectorIjNS0_10empty_typeEEEZNS1_34radix_sort_onesweep_global_offsetsIS3_Lb0EN6thrust23THRUST_200600_302600_NS6detail15normal_iteratorINS9_10device_ptrIjEEEEPS5_jNS0_19identity_decomposerEEE10hipError_tT1_T2_PT3_SK_jT4_jjP12ihipStream_tbEUlT_E0_NS1_11comp_targetILNS1_3genE5ELNS1_11target_archE942ELNS1_3gpuE9ELNS1_3repE0EEENS1_52radix_sort_onesweep_histogram_config_static_selectorELNS0_4arch9wavefront6targetE1EEEvSI_,comdat
	.protected	_ZN7rocprim17ROCPRIM_400000_NS6detail17trampoline_kernelINS0_14default_configENS1_35radix_sort_onesweep_config_selectorIjNS0_10empty_typeEEEZNS1_34radix_sort_onesweep_global_offsetsIS3_Lb0EN6thrust23THRUST_200600_302600_NS6detail15normal_iteratorINS9_10device_ptrIjEEEEPS5_jNS0_19identity_decomposerEEE10hipError_tT1_T2_PT3_SK_jT4_jjP12ihipStream_tbEUlT_E0_NS1_11comp_targetILNS1_3genE5ELNS1_11target_archE942ELNS1_3gpuE9ELNS1_3repE0EEENS1_52radix_sort_onesweep_histogram_config_static_selectorELNS0_4arch9wavefront6targetE1EEEvSI_ ; -- Begin function _ZN7rocprim17ROCPRIM_400000_NS6detail17trampoline_kernelINS0_14default_configENS1_35radix_sort_onesweep_config_selectorIjNS0_10empty_typeEEEZNS1_34radix_sort_onesweep_global_offsetsIS3_Lb0EN6thrust23THRUST_200600_302600_NS6detail15normal_iteratorINS9_10device_ptrIjEEEEPS5_jNS0_19identity_decomposerEEE10hipError_tT1_T2_PT3_SK_jT4_jjP12ihipStream_tbEUlT_E0_NS1_11comp_targetILNS1_3genE5ELNS1_11target_archE942ELNS1_3gpuE9ELNS1_3repE0EEENS1_52radix_sort_onesweep_histogram_config_static_selectorELNS0_4arch9wavefront6targetE1EEEvSI_
	.globl	_ZN7rocprim17ROCPRIM_400000_NS6detail17trampoline_kernelINS0_14default_configENS1_35radix_sort_onesweep_config_selectorIjNS0_10empty_typeEEEZNS1_34radix_sort_onesweep_global_offsetsIS3_Lb0EN6thrust23THRUST_200600_302600_NS6detail15normal_iteratorINS9_10device_ptrIjEEEEPS5_jNS0_19identity_decomposerEEE10hipError_tT1_T2_PT3_SK_jT4_jjP12ihipStream_tbEUlT_E0_NS1_11comp_targetILNS1_3genE5ELNS1_11target_archE942ELNS1_3gpuE9ELNS1_3repE0EEENS1_52radix_sort_onesweep_histogram_config_static_selectorELNS0_4arch9wavefront6targetE1EEEvSI_
	.p2align	8
	.type	_ZN7rocprim17ROCPRIM_400000_NS6detail17trampoline_kernelINS0_14default_configENS1_35radix_sort_onesweep_config_selectorIjNS0_10empty_typeEEEZNS1_34radix_sort_onesweep_global_offsetsIS3_Lb0EN6thrust23THRUST_200600_302600_NS6detail15normal_iteratorINS9_10device_ptrIjEEEEPS5_jNS0_19identity_decomposerEEE10hipError_tT1_T2_PT3_SK_jT4_jjP12ihipStream_tbEUlT_E0_NS1_11comp_targetILNS1_3genE5ELNS1_11target_archE942ELNS1_3gpuE9ELNS1_3repE0EEENS1_52radix_sort_onesweep_histogram_config_static_selectorELNS0_4arch9wavefront6targetE1EEEvSI_,@function
_ZN7rocprim17ROCPRIM_400000_NS6detail17trampoline_kernelINS0_14default_configENS1_35radix_sort_onesweep_config_selectorIjNS0_10empty_typeEEEZNS1_34radix_sort_onesweep_global_offsetsIS3_Lb0EN6thrust23THRUST_200600_302600_NS6detail15normal_iteratorINS9_10device_ptrIjEEEEPS5_jNS0_19identity_decomposerEEE10hipError_tT1_T2_PT3_SK_jT4_jjP12ihipStream_tbEUlT_E0_NS1_11comp_targetILNS1_3genE5ELNS1_11target_archE942ELNS1_3gpuE9ELNS1_3repE0EEENS1_52radix_sort_onesweep_histogram_config_static_selectorELNS0_4arch9wavefront6targetE1EEEvSI_: ; @_ZN7rocprim17ROCPRIM_400000_NS6detail17trampoline_kernelINS0_14default_configENS1_35radix_sort_onesweep_config_selectorIjNS0_10empty_typeEEEZNS1_34radix_sort_onesweep_global_offsetsIS3_Lb0EN6thrust23THRUST_200600_302600_NS6detail15normal_iteratorINS9_10device_ptrIjEEEEPS5_jNS0_19identity_decomposerEEE10hipError_tT1_T2_PT3_SK_jT4_jjP12ihipStream_tbEUlT_E0_NS1_11comp_targetILNS1_3genE5ELNS1_11target_archE942ELNS1_3gpuE9ELNS1_3repE0EEENS1_52radix_sort_onesweep_histogram_config_static_selectorELNS0_4arch9wavefront6targetE1EEEvSI_
; %bb.0:
	.section	.rodata,"a",@progbits
	.p2align	6, 0x0
	.amdhsa_kernel _ZN7rocprim17ROCPRIM_400000_NS6detail17trampoline_kernelINS0_14default_configENS1_35radix_sort_onesweep_config_selectorIjNS0_10empty_typeEEEZNS1_34radix_sort_onesweep_global_offsetsIS3_Lb0EN6thrust23THRUST_200600_302600_NS6detail15normal_iteratorINS9_10device_ptrIjEEEEPS5_jNS0_19identity_decomposerEEE10hipError_tT1_T2_PT3_SK_jT4_jjP12ihipStream_tbEUlT_E0_NS1_11comp_targetILNS1_3genE5ELNS1_11target_archE942ELNS1_3gpuE9ELNS1_3repE0EEENS1_52radix_sort_onesweep_histogram_config_static_selectorELNS0_4arch9wavefront6targetE1EEEvSI_
		.amdhsa_group_segment_fixed_size 0
		.amdhsa_private_segment_fixed_size 0
		.amdhsa_kernarg_size 8
		.amdhsa_user_sgpr_count 6
		.amdhsa_user_sgpr_private_segment_buffer 1
		.amdhsa_user_sgpr_dispatch_ptr 0
		.amdhsa_user_sgpr_queue_ptr 0
		.amdhsa_user_sgpr_kernarg_segment_ptr 1
		.amdhsa_user_sgpr_dispatch_id 0
		.amdhsa_user_sgpr_flat_scratch_init 0
		.amdhsa_user_sgpr_kernarg_preload_length 0
		.amdhsa_user_sgpr_kernarg_preload_offset 0
		.amdhsa_user_sgpr_private_segment_size 0
		.amdhsa_uses_dynamic_stack 0
		.amdhsa_system_sgpr_private_segment_wavefront_offset 0
		.amdhsa_system_sgpr_workgroup_id_x 1
		.amdhsa_system_sgpr_workgroup_id_y 0
		.amdhsa_system_sgpr_workgroup_id_z 0
		.amdhsa_system_sgpr_workgroup_info 0
		.amdhsa_system_vgpr_workitem_id 0
		.amdhsa_next_free_vgpr 1
		.amdhsa_next_free_sgpr 0
		.amdhsa_accum_offset 4
		.amdhsa_reserve_vcc 0
		.amdhsa_reserve_flat_scratch 0
		.amdhsa_float_round_mode_32 0
		.amdhsa_float_round_mode_16_64 0
		.amdhsa_float_denorm_mode_32 3
		.amdhsa_float_denorm_mode_16_64 3
		.amdhsa_dx10_clamp 1
		.amdhsa_ieee_mode 1
		.amdhsa_fp16_overflow 0
		.amdhsa_tg_split 0
		.amdhsa_exception_fp_ieee_invalid_op 0
		.amdhsa_exception_fp_denorm_src 0
		.amdhsa_exception_fp_ieee_div_zero 0
		.amdhsa_exception_fp_ieee_overflow 0
		.amdhsa_exception_fp_ieee_underflow 0
		.amdhsa_exception_fp_ieee_inexact 0
		.amdhsa_exception_int_div_zero 0
	.end_amdhsa_kernel
	.section	.text._ZN7rocprim17ROCPRIM_400000_NS6detail17trampoline_kernelINS0_14default_configENS1_35radix_sort_onesweep_config_selectorIjNS0_10empty_typeEEEZNS1_34radix_sort_onesweep_global_offsetsIS3_Lb0EN6thrust23THRUST_200600_302600_NS6detail15normal_iteratorINS9_10device_ptrIjEEEEPS5_jNS0_19identity_decomposerEEE10hipError_tT1_T2_PT3_SK_jT4_jjP12ihipStream_tbEUlT_E0_NS1_11comp_targetILNS1_3genE5ELNS1_11target_archE942ELNS1_3gpuE9ELNS1_3repE0EEENS1_52radix_sort_onesweep_histogram_config_static_selectorELNS0_4arch9wavefront6targetE1EEEvSI_,"axG",@progbits,_ZN7rocprim17ROCPRIM_400000_NS6detail17trampoline_kernelINS0_14default_configENS1_35radix_sort_onesweep_config_selectorIjNS0_10empty_typeEEEZNS1_34radix_sort_onesweep_global_offsetsIS3_Lb0EN6thrust23THRUST_200600_302600_NS6detail15normal_iteratorINS9_10device_ptrIjEEEEPS5_jNS0_19identity_decomposerEEE10hipError_tT1_T2_PT3_SK_jT4_jjP12ihipStream_tbEUlT_E0_NS1_11comp_targetILNS1_3genE5ELNS1_11target_archE942ELNS1_3gpuE9ELNS1_3repE0EEENS1_52radix_sort_onesweep_histogram_config_static_selectorELNS0_4arch9wavefront6targetE1EEEvSI_,comdat
.Lfunc_end1085:
	.size	_ZN7rocprim17ROCPRIM_400000_NS6detail17trampoline_kernelINS0_14default_configENS1_35radix_sort_onesweep_config_selectorIjNS0_10empty_typeEEEZNS1_34radix_sort_onesweep_global_offsetsIS3_Lb0EN6thrust23THRUST_200600_302600_NS6detail15normal_iteratorINS9_10device_ptrIjEEEEPS5_jNS0_19identity_decomposerEEE10hipError_tT1_T2_PT3_SK_jT4_jjP12ihipStream_tbEUlT_E0_NS1_11comp_targetILNS1_3genE5ELNS1_11target_archE942ELNS1_3gpuE9ELNS1_3repE0EEENS1_52radix_sort_onesweep_histogram_config_static_selectorELNS0_4arch9wavefront6targetE1EEEvSI_, .Lfunc_end1085-_ZN7rocprim17ROCPRIM_400000_NS6detail17trampoline_kernelINS0_14default_configENS1_35radix_sort_onesweep_config_selectorIjNS0_10empty_typeEEEZNS1_34radix_sort_onesweep_global_offsetsIS3_Lb0EN6thrust23THRUST_200600_302600_NS6detail15normal_iteratorINS9_10device_ptrIjEEEEPS5_jNS0_19identity_decomposerEEE10hipError_tT1_T2_PT3_SK_jT4_jjP12ihipStream_tbEUlT_E0_NS1_11comp_targetILNS1_3genE5ELNS1_11target_archE942ELNS1_3gpuE9ELNS1_3repE0EEENS1_52radix_sort_onesweep_histogram_config_static_selectorELNS0_4arch9wavefront6targetE1EEEvSI_
                                        ; -- End function
	.section	.AMDGPU.csdata,"",@progbits
; Kernel info:
; codeLenInByte = 0
; NumSgprs: 4
; NumVgprs: 0
; NumAgprs: 0
; TotalNumVgprs: 0
; ScratchSize: 0
; MemoryBound: 0
; FloatMode: 240
; IeeeMode: 1
; LDSByteSize: 0 bytes/workgroup (compile time only)
; SGPRBlocks: 0
; VGPRBlocks: 0
; NumSGPRsForWavesPerEU: 4
; NumVGPRsForWavesPerEU: 1
; AccumOffset: 4
; Occupancy: 8
; WaveLimiterHint : 0
; COMPUTE_PGM_RSRC2:SCRATCH_EN: 0
; COMPUTE_PGM_RSRC2:USER_SGPR: 6
; COMPUTE_PGM_RSRC2:TRAP_HANDLER: 0
; COMPUTE_PGM_RSRC2:TGID_X_EN: 1
; COMPUTE_PGM_RSRC2:TGID_Y_EN: 0
; COMPUTE_PGM_RSRC2:TGID_Z_EN: 0
; COMPUTE_PGM_RSRC2:TIDIG_COMP_CNT: 0
; COMPUTE_PGM_RSRC3_GFX90A:ACCUM_OFFSET: 0
; COMPUTE_PGM_RSRC3_GFX90A:TG_SPLIT: 0
	.section	.text._ZN7rocprim17ROCPRIM_400000_NS6detail17trampoline_kernelINS0_14default_configENS1_35radix_sort_onesweep_config_selectorIjNS0_10empty_typeEEEZNS1_34radix_sort_onesweep_global_offsetsIS3_Lb0EN6thrust23THRUST_200600_302600_NS6detail15normal_iteratorINS9_10device_ptrIjEEEEPS5_jNS0_19identity_decomposerEEE10hipError_tT1_T2_PT3_SK_jT4_jjP12ihipStream_tbEUlT_E0_NS1_11comp_targetILNS1_3genE2ELNS1_11target_archE906ELNS1_3gpuE6ELNS1_3repE0EEENS1_52radix_sort_onesweep_histogram_config_static_selectorELNS0_4arch9wavefront6targetE1EEEvSI_,"axG",@progbits,_ZN7rocprim17ROCPRIM_400000_NS6detail17trampoline_kernelINS0_14default_configENS1_35radix_sort_onesweep_config_selectorIjNS0_10empty_typeEEEZNS1_34radix_sort_onesweep_global_offsetsIS3_Lb0EN6thrust23THRUST_200600_302600_NS6detail15normal_iteratorINS9_10device_ptrIjEEEEPS5_jNS0_19identity_decomposerEEE10hipError_tT1_T2_PT3_SK_jT4_jjP12ihipStream_tbEUlT_E0_NS1_11comp_targetILNS1_3genE2ELNS1_11target_archE906ELNS1_3gpuE6ELNS1_3repE0EEENS1_52radix_sort_onesweep_histogram_config_static_selectorELNS0_4arch9wavefront6targetE1EEEvSI_,comdat
	.protected	_ZN7rocprim17ROCPRIM_400000_NS6detail17trampoline_kernelINS0_14default_configENS1_35radix_sort_onesweep_config_selectorIjNS0_10empty_typeEEEZNS1_34radix_sort_onesweep_global_offsetsIS3_Lb0EN6thrust23THRUST_200600_302600_NS6detail15normal_iteratorINS9_10device_ptrIjEEEEPS5_jNS0_19identity_decomposerEEE10hipError_tT1_T2_PT3_SK_jT4_jjP12ihipStream_tbEUlT_E0_NS1_11comp_targetILNS1_3genE2ELNS1_11target_archE906ELNS1_3gpuE6ELNS1_3repE0EEENS1_52radix_sort_onesweep_histogram_config_static_selectorELNS0_4arch9wavefront6targetE1EEEvSI_ ; -- Begin function _ZN7rocprim17ROCPRIM_400000_NS6detail17trampoline_kernelINS0_14default_configENS1_35radix_sort_onesweep_config_selectorIjNS0_10empty_typeEEEZNS1_34radix_sort_onesweep_global_offsetsIS3_Lb0EN6thrust23THRUST_200600_302600_NS6detail15normal_iteratorINS9_10device_ptrIjEEEEPS5_jNS0_19identity_decomposerEEE10hipError_tT1_T2_PT3_SK_jT4_jjP12ihipStream_tbEUlT_E0_NS1_11comp_targetILNS1_3genE2ELNS1_11target_archE906ELNS1_3gpuE6ELNS1_3repE0EEENS1_52radix_sort_onesweep_histogram_config_static_selectorELNS0_4arch9wavefront6targetE1EEEvSI_
	.globl	_ZN7rocprim17ROCPRIM_400000_NS6detail17trampoline_kernelINS0_14default_configENS1_35radix_sort_onesweep_config_selectorIjNS0_10empty_typeEEEZNS1_34radix_sort_onesweep_global_offsetsIS3_Lb0EN6thrust23THRUST_200600_302600_NS6detail15normal_iteratorINS9_10device_ptrIjEEEEPS5_jNS0_19identity_decomposerEEE10hipError_tT1_T2_PT3_SK_jT4_jjP12ihipStream_tbEUlT_E0_NS1_11comp_targetILNS1_3genE2ELNS1_11target_archE906ELNS1_3gpuE6ELNS1_3repE0EEENS1_52radix_sort_onesweep_histogram_config_static_selectorELNS0_4arch9wavefront6targetE1EEEvSI_
	.p2align	8
	.type	_ZN7rocprim17ROCPRIM_400000_NS6detail17trampoline_kernelINS0_14default_configENS1_35radix_sort_onesweep_config_selectorIjNS0_10empty_typeEEEZNS1_34radix_sort_onesweep_global_offsetsIS3_Lb0EN6thrust23THRUST_200600_302600_NS6detail15normal_iteratorINS9_10device_ptrIjEEEEPS5_jNS0_19identity_decomposerEEE10hipError_tT1_T2_PT3_SK_jT4_jjP12ihipStream_tbEUlT_E0_NS1_11comp_targetILNS1_3genE2ELNS1_11target_archE906ELNS1_3gpuE6ELNS1_3repE0EEENS1_52radix_sort_onesweep_histogram_config_static_selectorELNS0_4arch9wavefront6targetE1EEEvSI_,@function
_ZN7rocprim17ROCPRIM_400000_NS6detail17trampoline_kernelINS0_14default_configENS1_35radix_sort_onesweep_config_selectorIjNS0_10empty_typeEEEZNS1_34radix_sort_onesweep_global_offsetsIS3_Lb0EN6thrust23THRUST_200600_302600_NS6detail15normal_iteratorINS9_10device_ptrIjEEEEPS5_jNS0_19identity_decomposerEEE10hipError_tT1_T2_PT3_SK_jT4_jjP12ihipStream_tbEUlT_E0_NS1_11comp_targetILNS1_3genE2ELNS1_11target_archE906ELNS1_3gpuE6ELNS1_3repE0EEENS1_52radix_sort_onesweep_histogram_config_static_selectorELNS0_4arch9wavefront6targetE1EEEvSI_: ; @_ZN7rocprim17ROCPRIM_400000_NS6detail17trampoline_kernelINS0_14default_configENS1_35radix_sort_onesweep_config_selectorIjNS0_10empty_typeEEEZNS1_34radix_sort_onesweep_global_offsetsIS3_Lb0EN6thrust23THRUST_200600_302600_NS6detail15normal_iteratorINS9_10device_ptrIjEEEEPS5_jNS0_19identity_decomposerEEE10hipError_tT1_T2_PT3_SK_jT4_jjP12ihipStream_tbEUlT_E0_NS1_11comp_targetILNS1_3genE2ELNS1_11target_archE906ELNS1_3gpuE6ELNS1_3repE0EEENS1_52radix_sort_onesweep_histogram_config_static_selectorELNS0_4arch9wavefront6targetE1EEEvSI_
; %bb.0:
	.section	.rodata,"a",@progbits
	.p2align	6, 0x0
	.amdhsa_kernel _ZN7rocprim17ROCPRIM_400000_NS6detail17trampoline_kernelINS0_14default_configENS1_35radix_sort_onesweep_config_selectorIjNS0_10empty_typeEEEZNS1_34radix_sort_onesweep_global_offsetsIS3_Lb0EN6thrust23THRUST_200600_302600_NS6detail15normal_iteratorINS9_10device_ptrIjEEEEPS5_jNS0_19identity_decomposerEEE10hipError_tT1_T2_PT3_SK_jT4_jjP12ihipStream_tbEUlT_E0_NS1_11comp_targetILNS1_3genE2ELNS1_11target_archE906ELNS1_3gpuE6ELNS1_3repE0EEENS1_52radix_sort_onesweep_histogram_config_static_selectorELNS0_4arch9wavefront6targetE1EEEvSI_
		.amdhsa_group_segment_fixed_size 0
		.amdhsa_private_segment_fixed_size 0
		.amdhsa_kernarg_size 8
		.amdhsa_user_sgpr_count 6
		.amdhsa_user_sgpr_private_segment_buffer 1
		.amdhsa_user_sgpr_dispatch_ptr 0
		.amdhsa_user_sgpr_queue_ptr 0
		.amdhsa_user_sgpr_kernarg_segment_ptr 1
		.amdhsa_user_sgpr_dispatch_id 0
		.amdhsa_user_sgpr_flat_scratch_init 0
		.amdhsa_user_sgpr_kernarg_preload_length 0
		.amdhsa_user_sgpr_kernarg_preload_offset 0
		.amdhsa_user_sgpr_private_segment_size 0
		.amdhsa_uses_dynamic_stack 0
		.amdhsa_system_sgpr_private_segment_wavefront_offset 0
		.amdhsa_system_sgpr_workgroup_id_x 1
		.amdhsa_system_sgpr_workgroup_id_y 0
		.amdhsa_system_sgpr_workgroup_id_z 0
		.amdhsa_system_sgpr_workgroup_info 0
		.amdhsa_system_vgpr_workitem_id 0
		.amdhsa_next_free_vgpr 1
		.amdhsa_next_free_sgpr 0
		.amdhsa_accum_offset 4
		.amdhsa_reserve_vcc 0
		.amdhsa_reserve_flat_scratch 0
		.amdhsa_float_round_mode_32 0
		.amdhsa_float_round_mode_16_64 0
		.amdhsa_float_denorm_mode_32 3
		.amdhsa_float_denorm_mode_16_64 3
		.amdhsa_dx10_clamp 1
		.amdhsa_ieee_mode 1
		.amdhsa_fp16_overflow 0
		.amdhsa_tg_split 0
		.amdhsa_exception_fp_ieee_invalid_op 0
		.amdhsa_exception_fp_denorm_src 0
		.amdhsa_exception_fp_ieee_div_zero 0
		.amdhsa_exception_fp_ieee_overflow 0
		.amdhsa_exception_fp_ieee_underflow 0
		.amdhsa_exception_fp_ieee_inexact 0
		.amdhsa_exception_int_div_zero 0
	.end_amdhsa_kernel
	.section	.text._ZN7rocprim17ROCPRIM_400000_NS6detail17trampoline_kernelINS0_14default_configENS1_35radix_sort_onesweep_config_selectorIjNS0_10empty_typeEEEZNS1_34radix_sort_onesweep_global_offsetsIS3_Lb0EN6thrust23THRUST_200600_302600_NS6detail15normal_iteratorINS9_10device_ptrIjEEEEPS5_jNS0_19identity_decomposerEEE10hipError_tT1_T2_PT3_SK_jT4_jjP12ihipStream_tbEUlT_E0_NS1_11comp_targetILNS1_3genE2ELNS1_11target_archE906ELNS1_3gpuE6ELNS1_3repE0EEENS1_52radix_sort_onesweep_histogram_config_static_selectorELNS0_4arch9wavefront6targetE1EEEvSI_,"axG",@progbits,_ZN7rocprim17ROCPRIM_400000_NS6detail17trampoline_kernelINS0_14default_configENS1_35radix_sort_onesweep_config_selectorIjNS0_10empty_typeEEEZNS1_34radix_sort_onesweep_global_offsetsIS3_Lb0EN6thrust23THRUST_200600_302600_NS6detail15normal_iteratorINS9_10device_ptrIjEEEEPS5_jNS0_19identity_decomposerEEE10hipError_tT1_T2_PT3_SK_jT4_jjP12ihipStream_tbEUlT_E0_NS1_11comp_targetILNS1_3genE2ELNS1_11target_archE906ELNS1_3gpuE6ELNS1_3repE0EEENS1_52radix_sort_onesweep_histogram_config_static_selectorELNS0_4arch9wavefront6targetE1EEEvSI_,comdat
.Lfunc_end1086:
	.size	_ZN7rocprim17ROCPRIM_400000_NS6detail17trampoline_kernelINS0_14default_configENS1_35radix_sort_onesweep_config_selectorIjNS0_10empty_typeEEEZNS1_34radix_sort_onesweep_global_offsetsIS3_Lb0EN6thrust23THRUST_200600_302600_NS6detail15normal_iteratorINS9_10device_ptrIjEEEEPS5_jNS0_19identity_decomposerEEE10hipError_tT1_T2_PT3_SK_jT4_jjP12ihipStream_tbEUlT_E0_NS1_11comp_targetILNS1_3genE2ELNS1_11target_archE906ELNS1_3gpuE6ELNS1_3repE0EEENS1_52radix_sort_onesweep_histogram_config_static_selectorELNS0_4arch9wavefront6targetE1EEEvSI_, .Lfunc_end1086-_ZN7rocprim17ROCPRIM_400000_NS6detail17trampoline_kernelINS0_14default_configENS1_35radix_sort_onesweep_config_selectorIjNS0_10empty_typeEEEZNS1_34radix_sort_onesweep_global_offsetsIS3_Lb0EN6thrust23THRUST_200600_302600_NS6detail15normal_iteratorINS9_10device_ptrIjEEEEPS5_jNS0_19identity_decomposerEEE10hipError_tT1_T2_PT3_SK_jT4_jjP12ihipStream_tbEUlT_E0_NS1_11comp_targetILNS1_3genE2ELNS1_11target_archE906ELNS1_3gpuE6ELNS1_3repE0EEENS1_52radix_sort_onesweep_histogram_config_static_selectorELNS0_4arch9wavefront6targetE1EEEvSI_
                                        ; -- End function
	.section	.AMDGPU.csdata,"",@progbits
; Kernel info:
; codeLenInByte = 0
; NumSgprs: 4
; NumVgprs: 0
; NumAgprs: 0
; TotalNumVgprs: 0
; ScratchSize: 0
; MemoryBound: 0
; FloatMode: 240
; IeeeMode: 1
; LDSByteSize: 0 bytes/workgroup (compile time only)
; SGPRBlocks: 0
; VGPRBlocks: 0
; NumSGPRsForWavesPerEU: 4
; NumVGPRsForWavesPerEU: 1
; AccumOffset: 4
; Occupancy: 8
; WaveLimiterHint : 0
; COMPUTE_PGM_RSRC2:SCRATCH_EN: 0
; COMPUTE_PGM_RSRC2:USER_SGPR: 6
; COMPUTE_PGM_RSRC2:TRAP_HANDLER: 0
; COMPUTE_PGM_RSRC2:TGID_X_EN: 1
; COMPUTE_PGM_RSRC2:TGID_Y_EN: 0
; COMPUTE_PGM_RSRC2:TGID_Z_EN: 0
; COMPUTE_PGM_RSRC2:TIDIG_COMP_CNT: 0
; COMPUTE_PGM_RSRC3_GFX90A:ACCUM_OFFSET: 0
; COMPUTE_PGM_RSRC3_GFX90A:TG_SPLIT: 0
	.section	.text._ZN7rocprim17ROCPRIM_400000_NS6detail17trampoline_kernelINS0_14default_configENS1_35radix_sort_onesweep_config_selectorIjNS0_10empty_typeEEEZNS1_34radix_sort_onesweep_global_offsetsIS3_Lb0EN6thrust23THRUST_200600_302600_NS6detail15normal_iteratorINS9_10device_ptrIjEEEEPS5_jNS0_19identity_decomposerEEE10hipError_tT1_T2_PT3_SK_jT4_jjP12ihipStream_tbEUlT_E0_NS1_11comp_targetILNS1_3genE4ELNS1_11target_archE910ELNS1_3gpuE8ELNS1_3repE0EEENS1_52radix_sort_onesweep_histogram_config_static_selectorELNS0_4arch9wavefront6targetE1EEEvSI_,"axG",@progbits,_ZN7rocprim17ROCPRIM_400000_NS6detail17trampoline_kernelINS0_14default_configENS1_35radix_sort_onesweep_config_selectorIjNS0_10empty_typeEEEZNS1_34radix_sort_onesweep_global_offsetsIS3_Lb0EN6thrust23THRUST_200600_302600_NS6detail15normal_iteratorINS9_10device_ptrIjEEEEPS5_jNS0_19identity_decomposerEEE10hipError_tT1_T2_PT3_SK_jT4_jjP12ihipStream_tbEUlT_E0_NS1_11comp_targetILNS1_3genE4ELNS1_11target_archE910ELNS1_3gpuE8ELNS1_3repE0EEENS1_52radix_sort_onesweep_histogram_config_static_selectorELNS0_4arch9wavefront6targetE1EEEvSI_,comdat
	.protected	_ZN7rocprim17ROCPRIM_400000_NS6detail17trampoline_kernelINS0_14default_configENS1_35radix_sort_onesweep_config_selectorIjNS0_10empty_typeEEEZNS1_34radix_sort_onesweep_global_offsetsIS3_Lb0EN6thrust23THRUST_200600_302600_NS6detail15normal_iteratorINS9_10device_ptrIjEEEEPS5_jNS0_19identity_decomposerEEE10hipError_tT1_T2_PT3_SK_jT4_jjP12ihipStream_tbEUlT_E0_NS1_11comp_targetILNS1_3genE4ELNS1_11target_archE910ELNS1_3gpuE8ELNS1_3repE0EEENS1_52radix_sort_onesweep_histogram_config_static_selectorELNS0_4arch9wavefront6targetE1EEEvSI_ ; -- Begin function _ZN7rocprim17ROCPRIM_400000_NS6detail17trampoline_kernelINS0_14default_configENS1_35radix_sort_onesweep_config_selectorIjNS0_10empty_typeEEEZNS1_34radix_sort_onesweep_global_offsetsIS3_Lb0EN6thrust23THRUST_200600_302600_NS6detail15normal_iteratorINS9_10device_ptrIjEEEEPS5_jNS0_19identity_decomposerEEE10hipError_tT1_T2_PT3_SK_jT4_jjP12ihipStream_tbEUlT_E0_NS1_11comp_targetILNS1_3genE4ELNS1_11target_archE910ELNS1_3gpuE8ELNS1_3repE0EEENS1_52radix_sort_onesweep_histogram_config_static_selectorELNS0_4arch9wavefront6targetE1EEEvSI_
	.globl	_ZN7rocprim17ROCPRIM_400000_NS6detail17trampoline_kernelINS0_14default_configENS1_35radix_sort_onesweep_config_selectorIjNS0_10empty_typeEEEZNS1_34radix_sort_onesweep_global_offsetsIS3_Lb0EN6thrust23THRUST_200600_302600_NS6detail15normal_iteratorINS9_10device_ptrIjEEEEPS5_jNS0_19identity_decomposerEEE10hipError_tT1_T2_PT3_SK_jT4_jjP12ihipStream_tbEUlT_E0_NS1_11comp_targetILNS1_3genE4ELNS1_11target_archE910ELNS1_3gpuE8ELNS1_3repE0EEENS1_52radix_sort_onesweep_histogram_config_static_selectorELNS0_4arch9wavefront6targetE1EEEvSI_
	.p2align	8
	.type	_ZN7rocprim17ROCPRIM_400000_NS6detail17trampoline_kernelINS0_14default_configENS1_35radix_sort_onesweep_config_selectorIjNS0_10empty_typeEEEZNS1_34radix_sort_onesweep_global_offsetsIS3_Lb0EN6thrust23THRUST_200600_302600_NS6detail15normal_iteratorINS9_10device_ptrIjEEEEPS5_jNS0_19identity_decomposerEEE10hipError_tT1_T2_PT3_SK_jT4_jjP12ihipStream_tbEUlT_E0_NS1_11comp_targetILNS1_3genE4ELNS1_11target_archE910ELNS1_3gpuE8ELNS1_3repE0EEENS1_52radix_sort_onesweep_histogram_config_static_selectorELNS0_4arch9wavefront6targetE1EEEvSI_,@function
_ZN7rocprim17ROCPRIM_400000_NS6detail17trampoline_kernelINS0_14default_configENS1_35radix_sort_onesweep_config_selectorIjNS0_10empty_typeEEEZNS1_34radix_sort_onesweep_global_offsetsIS3_Lb0EN6thrust23THRUST_200600_302600_NS6detail15normal_iteratorINS9_10device_ptrIjEEEEPS5_jNS0_19identity_decomposerEEE10hipError_tT1_T2_PT3_SK_jT4_jjP12ihipStream_tbEUlT_E0_NS1_11comp_targetILNS1_3genE4ELNS1_11target_archE910ELNS1_3gpuE8ELNS1_3repE0EEENS1_52radix_sort_onesweep_histogram_config_static_selectorELNS0_4arch9wavefront6targetE1EEEvSI_: ; @_ZN7rocprim17ROCPRIM_400000_NS6detail17trampoline_kernelINS0_14default_configENS1_35radix_sort_onesweep_config_selectorIjNS0_10empty_typeEEEZNS1_34radix_sort_onesweep_global_offsetsIS3_Lb0EN6thrust23THRUST_200600_302600_NS6detail15normal_iteratorINS9_10device_ptrIjEEEEPS5_jNS0_19identity_decomposerEEE10hipError_tT1_T2_PT3_SK_jT4_jjP12ihipStream_tbEUlT_E0_NS1_11comp_targetILNS1_3genE4ELNS1_11target_archE910ELNS1_3gpuE8ELNS1_3repE0EEENS1_52radix_sort_onesweep_histogram_config_static_selectorELNS0_4arch9wavefront6targetE1EEEvSI_
; %bb.0:
	s_load_dwordx2 s[0:1], s[4:5], 0x0
	s_lshl_b32 s2, s6, 8
	s_mov_b32 s3, 0
	s_lshl_b64 s[2:3], s[2:3], 2
	v_lshlrev_b32_e32 v1, 2, v0
	s_waitcnt lgkmcnt(0)
	s_add_u32 s10, s0, s2
	s_movk_i32 s0, 0x100
	s_addc_u32 s11, s1, s3
	v_cmp_gt_u32_e32 vcc, s0, v0
                                        ; implicit-def: $vgpr3
	s_and_saveexec_b64 s[0:1], vcc
	s_cbranch_execz .LBB1087_2
; %bb.1:
	global_load_dword v3, v1, s[10:11]
.LBB1087_2:
	s_or_b64 exec, exec, s[0:1]
	v_mbcnt_lo_u32_b32 v2, -1, 0
	v_mbcnt_hi_u32_b32 v2, -1, v2
	v_and_b32_e32 v4, 15, v2
	s_waitcnt vmcnt(0)
	v_mov_b32_dpp v5, v3 row_shr:1 row_mask:0xf bank_mask:0xf
	v_cmp_eq_u32_e64 s[0:1], 0, v4
	v_cndmask_b32_e64 v5, v5, 0, s[0:1]
	v_add_u32_e32 v3, v5, v3
	v_cmp_lt_u32_e64 s[2:3], 1, v4
	v_cmp_lt_u32_e64 s[4:5], 3, v4
	v_mov_b32_dpp v5, v3 row_shr:2 row_mask:0xf bank_mask:0xf
	v_cndmask_b32_e64 v5, 0, v5, s[2:3]
	v_add_u32_e32 v3, v3, v5
	v_cmp_lt_u32_e64 s[6:7], 7, v4
	v_cmp_lt_u32_e64 s[8:9], 31, v2
	v_mov_b32_dpp v5, v3 row_shr:4 row_mask:0xf bank_mask:0xf
	v_cndmask_b32_e64 v5, 0, v5, s[4:5]
	v_add_u32_e32 v3, v3, v5
	s_nop 1
	v_mov_b32_dpp v5, v3 row_shr:8 row_mask:0xf bank_mask:0xf
	v_cndmask_b32_e64 v4, 0, v5, s[6:7]
	v_add_u32_e32 v3, v3, v4
	v_bfe_i32 v5, v2, 4, 1
	s_nop 0
	v_mov_b32_dpp v4, v3 row_bcast:15 row_mask:0xf bank_mask:0xf
	v_and_b32_e32 v4, v5, v4
	v_add_u32_e32 v3, v3, v4
	v_and_b32_e32 v5, 63, v0
	s_nop 0
	v_mov_b32_dpp v4, v3 row_bcast:31 row_mask:0xf bank_mask:0xf
	v_cndmask_b32_e64 v4, 0, v4, s[8:9]
	v_add_u32_e32 v3, v3, v4
	v_lshrrev_b32_e32 v4, 6, v0
	v_cmp_eq_u32_e64 s[8:9], 63, v5
	s_and_saveexec_b64 s[12:13], s[8:9]
	s_cbranch_execz .LBB1087_4
; %bb.3:
	v_lshlrev_b32_e32 v5, 2, v4
	ds_write_b32 v5, v3
.LBB1087_4:
	s_or_b64 exec, exec, s[12:13]
	v_cmp_gt_u32_e64 s[8:9], 16, v0
	s_waitcnt lgkmcnt(0)
	s_barrier
	s_and_saveexec_b64 s[12:13], s[8:9]
	s_cbranch_execz .LBB1087_6
; %bb.5:
	ds_read_b32 v5, v1
	s_waitcnt lgkmcnt(0)
	s_nop 0
	v_mov_b32_dpp v6, v5 row_shr:1 row_mask:0xf bank_mask:0xf
	v_cndmask_b32_e64 v6, v6, 0, s[0:1]
	v_add_u32_e32 v5, v6, v5
	s_nop 1
	v_mov_b32_dpp v6, v5 row_shr:2 row_mask:0xf bank_mask:0xf
	v_cndmask_b32_e64 v6, 0, v6, s[2:3]
	v_add_u32_e32 v5, v5, v6
	;; [unrolled: 4-line block ×4, first 2 shown]
	ds_write_b32 v1, v5
.LBB1087_6:
	s_or_b64 exec, exec, s[12:13]
	v_cmp_lt_u32_e64 s[0:1], 63, v0
	v_mov_b32_e32 v0, 0
	s_waitcnt lgkmcnt(0)
	s_barrier
	s_and_saveexec_b64 s[2:3], s[0:1]
	s_cbranch_execz .LBB1087_8
; %bb.7:
	v_lshl_add_u32 v0, v4, 2, -4
	ds_read_b32 v0, v0
.LBB1087_8:
	s_or_b64 exec, exec, s[2:3]
	v_add_u32_e32 v4, -1, v2
	v_and_b32_e32 v5, 64, v2
	v_cmp_lt_i32_e64 s[0:1], v4, v5
	v_cndmask_b32_e64 v4, v4, v2, s[0:1]
	s_waitcnt lgkmcnt(0)
	v_add_u32_e32 v3, v0, v3
	v_lshlrev_b32_e32 v4, 2, v4
	ds_bpermute_b32 v3, v4, v3
	s_and_saveexec_b64 s[0:1], vcc
	s_cbranch_execz .LBB1087_10
; %bb.9:
	v_cmp_eq_u32_e32 vcc, 0, v2
	s_waitcnt lgkmcnt(0)
	v_cndmask_b32_e32 v0, v3, v0, vcc
	global_store_dword v1, v0, s[10:11]
.LBB1087_10:
	s_endpgm
	.section	.rodata,"a",@progbits
	.p2align	6, 0x0
	.amdhsa_kernel _ZN7rocprim17ROCPRIM_400000_NS6detail17trampoline_kernelINS0_14default_configENS1_35radix_sort_onesweep_config_selectorIjNS0_10empty_typeEEEZNS1_34radix_sort_onesweep_global_offsetsIS3_Lb0EN6thrust23THRUST_200600_302600_NS6detail15normal_iteratorINS9_10device_ptrIjEEEEPS5_jNS0_19identity_decomposerEEE10hipError_tT1_T2_PT3_SK_jT4_jjP12ihipStream_tbEUlT_E0_NS1_11comp_targetILNS1_3genE4ELNS1_11target_archE910ELNS1_3gpuE8ELNS1_3repE0EEENS1_52radix_sort_onesweep_histogram_config_static_selectorELNS0_4arch9wavefront6targetE1EEEvSI_
		.amdhsa_group_segment_fixed_size 64
		.amdhsa_private_segment_fixed_size 0
		.amdhsa_kernarg_size 8
		.amdhsa_user_sgpr_count 6
		.amdhsa_user_sgpr_private_segment_buffer 1
		.amdhsa_user_sgpr_dispatch_ptr 0
		.amdhsa_user_sgpr_queue_ptr 0
		.amdhsa_user_sgpr_kernarg_segment_ptr 1
		.amdhsa_user_sgpr_dispatch_id 0
		.amdhsa_user_sgpr_flat_scratch_init 0
		.amdhsa_user_sgpr_kernarg_preload_length 0
		.amdhsa_user_sgpr_kernarg_preload_offset 0
		.amdhsa_user_sgpr_private_segment_size 0
		.amdhsa_uses_dynamic_stack 0
		.amdhsa_system_sgpr_private_segment_wavefront_offset 0
		.amdhsa_system_sgpr_workgroup_id_x 1
		.amdhsa_system_sgpr_workgroup_id_y 0
		.amdhsa_system_sgpr_workgroup_id_z 0
		.amdhsa_system_sgpr_workgroup_info 0
		.amdhsa_system_vgpr_workitem_id 0
		.amdhsa_next_free_vgpr 7
		.amdhsa_next_free_sgpr 14
		.amdhsa_accum_offset 8
		.amdhsa_reserve_vcc 1
		.amdhsa_reserve_flat_scratch 0
		.amdhsa_float_round_mode_32 0
		.amdhsa_float_round_mode_16_64 0
		.amdhsa_float_denorm_mode_32 3
		.amdhsa_float_denorm_mode_16_64 3
		.amdhsa_dx10_clamp 1
		.amdhsa_ieee_mode 1
		.amdhsa_fp16_overflow 0
		.amdhsa_tg_split 0
		.amdhsa_exception_fp_ieee_invalid_op 0
		.amdhsa_exception_fp_denorm_src 0
		.amdhsa_exception_fp_ieee_div_zero 0
		.amdhsa_exception_fp_ieee_overflow 0
		.amdhsa_exception_fp_ieee_underflow 0
		.amdhsa_exception_fp_ieee_inexact 0
		.amdhsa_exception_int_div_zero 0
	.end_amdhsa_kernel
	.section	.text._ZN7rocprim17ROCPRIM_400000_NS6detail17trampoline_kernelINS0_14default_configENS1_35radix_sort_onesweep_config_selectorIjNS0_10empty_typeEEEZNS1_34radix_sort_onesweep_global_offsetsIS3_Lb0EN6thrust23THRUST_200600_302600_NS6detail15normal_iteratorINS9_10device_ptrIjEEEEPS5_jNS0_19identity_decomposerEEE10hipError_tT1_T2_PT3_SK_jT4_jjP12ihipStream_tbEUlT_E0_NS1_11comp_targetILNS1_3genE4ELNS1_11target_archE910ELNS1_3gpuE8ELNS1_3repE0EEENS1_52radix_sort_onesweep_histogram_config_static_selectorELNS0_4arch9wavefront6targetE1EEEvSI_,"axG",@progbits,_ZN7rocprim17ROCPRIM_400000_NS6detail17trampoline_kernelINS0_14default_configENS1_35radix_sort_onesweep_config_selectorIjNS0_10empty_typeEEEZNS1_34radix_sort_onesweep_global_offsetsIS3_Lb0EN6thrust23THRUST_200600_302600_NS6detail15normal_iteratorINS9_10device_ptrIjEEEEPS5_jNS0_19identity_decomposerEEE10hipError_tT1_T2_PT3_SK_jT4_jjP12ihipStream_tbEUlT_E0_NS1_11comp_targetILNS1_3genE4ELNS1_11target_archE910ELNS1_3gpuE8ELNS1_3repE0EEENS1_52radix_sort_onesweep_histogram_config_static_selectorELNS0_4arch9wavefront6targetE1EEEvSI_,comdat
.Lfunc_end1087:
	.size	_ZN7rocprim17ROCPRIM_400000_NS6detail17trampoline_kernelINS0_14default_configENS1_35radix_sort_onesweep_config_selectorIjNS0_10empty_typeEEEZNS1_34radix_sort_onesweep_global_offsetsIS3_Lb0EN6thrust23THRUST_200600_302600_NS6detail15normal_iteratorINS9_10device_ptrIjEEEEPS5_jNS0_19identity_decomposerEEE10hipError_tT1_T2_PT3_SK_jT4_jjP12ihipStream_tbEUlT_E0_NS1_11comp_targetILNS1_3genE4ELNS1_11target_archE910ELNS1_3gpuE8ELNS1_3repE0EEENS1_52radix_sort_onesweep_histogram_config_static_selectorELNS0_4arch9wavefront6targetE1EEEvSI_, .Lfunc_end1087-_ZN7rocprim17ROCPRIM_400000_NS6detail17trampoline_kernelINS0_14default_configENS1_35radix_sort_onesweep_config_selectorIjNS0_10empty_typeEEEZNS1_34radix_sort_onesweep_global_offsetsIS3_Lb0EN6thrust23THRUST_200600_302600_NS6detail15normal_iteratorINS9_10device_ptrIjEEEEPS5_jNS0_19identity_decomposerEEE10hipError_tT1_T2_PT3_SK_jT4_jjP12ihipStream_tbEUlT_E0_NS1_11comp_targetILNS1_3genE4ELNS1_11target_archE910ELNS1_3gpuE8ELNS1_3repE0EEENS1_52radix_sort_onesweep_histogram_config_static_selectorELNS0_4arch9wavefront6targetE1EEEvSI_
                                        ; -- End function
	.section	.AMDGPU.csdata,"",@progbits
; Kernel info:
; codeLenInByte = 572
; NumSgprs: 18
; NumVgprs: 7
; NumAgprs: 0
; TotalNumVgprs: 7
; ScratchSize: 0
; MemoryBound: 0
; FloatMode: 240
; IeeeMode: 1
; LDSByteSize: 64 bytes/workgroup (compile time only)
; SGPRBlocks: 2
; VGPRBlocks: 0
; NumSGPRsForWavesPerEU: 18
; NumVGPRsForWavesPerEU: 7
; AccumOffset: 8
; Occupancy: 8
; WaveLimiterHint : 0
; COMPUTE_PGM_RSRC2:SCRATCH_EN: 0
; COMPUTE_PGM_RSRC2:USER_SGPR: 6
; COMPUTE_PGM_RSRC2:TRAP_HANDLER: 0
; COMPUTE_PGM_RSRC2:TGID_X_EN: 1
; COMPUTE_PGM_RSRC2:TGID_Y_EN: 0
; COMPUTE_PGM_RSRC2:TGID_Z_EN: 0
; COMPUTE_PGM_RSRC2:TIDIG_COMP_CNT: 0
; COMPUTE_PGM_RSRC3_GFX90A:ACCUM_OFFSET: 1
; COMPUTE_PGM_RSRC3_GFX90A:TG_SPLIT: 0
	.section	.text._ZN7rocprim17ROCPRIM_400000_NS6detail17trampoline_kernelINS0_14default_configENS1_35radix_sort_onesweep_config_selectorIjNS0_10empty_typeEEEZNS1_34radix_sort_onesweep_global_offsetsIS3_Lb0EN6thrust23THRUST_200600_302600_NS6detail15normal_iteratorINS9_10device_ptrIjEEEEPS5_jNS0_19identity_decomposerEEE10hipError_tT1_T2_PT3_SK_jT4_jjP12ihipStream_tbEUlT_E0_NS1_11comp_targetILNS1_3genE3ELNS1_11target_archE908ELNS1_3gpuE7ELNS1_3repE0EEENS1_52radix_sort_onesweep_histogram_config_static_selectorELNS0_4arch9wavefront6targetE1EEEvSI_,"axG",@progbits,_ZN7rocprim17ROCPRIM_400000_NS6detail17trampoline_kernelINS0_14default_configENS1_35radix_sort_onesweep_config_selectorIjNS0_10empty_typeEEEZNS1_34radix_sort_onesweep_global_offsetsIS3_Lb0EN6thrust23THRUST_200600_302600_NS6detail15normal_iteratorINS9_10device_ptrIjEEEEPS5_jNS0_19identity_decomposerEEE10hipError_tT1_T2_PT3_SK_jT4_jjP12ihipStream_tbEUlT_E0_NS1_11comp_targetILNS1_3genE3ELNS1_11target_archE908ELNS1_3gpuE7ELNS1_3repE0EEENS1_52radix_sort_onesweep_histogram_config_static_selectorELNS0_4arch9wavefront6targetE1EEEvSI_,comdat
	.protected	_ZN7rocprim17ROCPRIM_400000_NS6detail17trampoline_kernelINS0_14default_configENS1_35radix_sort_onesweep_config_selectorIjNS0_10empty_typeEEEZNS1_34radix_sort_onesweep_global_offsetsIS3_Lb0EN6thrust23THRUST_200600_302600_NS6detail15normal_iteratorINS9_10device_ptrIjEEEEPS5_jNS0_19identity_decomposerEEE10hipError_tT1_T2_PT3_SK_jT4_jjP12ihipStream_tbEUlT_E0_NS1_11comp_targetILNS1_3genE3ELNS1_11target_archE908ELNS1_3gpuE7ELNS1_3repE0EEENS1_52radix_sort_onesweep_histogram_config_static_selectorELNS0_4arch9wavefront6targetE1EEEvSI_ ; -- Begin function _ZN7rocprim17ROCPRIM_400000_NS6detail17trampoline_kernelINS0_14default_configENS1_35radix_sort_onesweep_config_selectorIjNS0_10empty_typeEEEZNS1_34radix_sort_onesweep_global_offsetsIS3_Lb0EN6thrust23THRUST_200600_302600_NS6detail15normal_iteratorINS9_10device_ptrIjEEEEPS5_jNS0_19identity_decomposerEEE10hipError_tT1_T2_PT3_SK_jT4_jjP12ihipStream_tbEUlT_E0_NS1_11comp_targetILNS1_3genE3ELNS1_11target_archE908ELNS1_3gpuE7ELNS1_3repE0EEENS1_52radix_sort_onesweep_histogram_config_static_selectorELNS0_4arch9wavefront6targetE1EEEvSI_
	.globl	_ZN7rocprim17ROCPRIM_400000_NS6detail17trampoline_kernelINS0_14default_configENS1_35radix_sort_onesweep_config_selectorIjNS0_10empty_typeEEEZNS1_34radix_sort_onesweep_global_offsetsIS3_Lb0EN6thrust23THRUST_200600_302600_NS6detail15normal_iteratorINS9_10device_ptrIjEEEEPS5_jNS0_19identity_decomposerEEE10hipError_tT1_T2_PT3_SK_jT4_jjP12ihipStream_tbEUlT_E0_NS1_11comp_targetILNS1_3genE3ELNS1_11target_archE908ELNS1_3gpuE7ELNS1_3repE0EEENS1_52radix_sort_onesweep_histogram_config_static_selectorELNS0_4arch9wavefront6targetE1EEEvSI_
	.p2align	8
	.type	_ZN7rocprim17ROCPRIM_400000_NS6detail17trampoline_kernelINS0_14default_configENS1_35radix_sort_onesweep_config_selectorIjNS0_10empty_typeEEEZNS1_34radix_sort_onesweep_global_offsetsIS3_Lb0EN6thrust23THRUST_200600_302600_NS6detail15normal_iteratorINS9_10device_ptrIjEEEEPS5_jNS0_19identity_decomposerEEE10hipError_tT1_T2_PT3_SK_jT4_jjP12ihipStream_tbEUlT_E0_NS1_11comp_targetILNS1_3genE3ELNS1_11target_archE908ELNS1_3gpuE7ELNS1_3repE0EEENS1_52radix_sort_onesweep_histogram_config_static_selectorELNS0_4arch9wavefront6targetE1EEEvSI_,@function
_ZN7rocprim17ROCPRIM_400000_NS6detail17trampoline_kernelINS0_14default_configENS1_35radix_sort_onesweep_config_selectorIjNS0_10empty_typeEEEZNS1_34radix_sort_onesweep_global_offsetsIS3_Lb0EN6thrust23THRUST_200600_302600_NS6detail15normal_iteratorINS9_10device_ptrIjEEEEPS5_jNS0_19identity_decomposerEEE10hipError_tT1_T2_PT3_SK_jT4_jjP12ihipStream_tbEUlT_E0_NS1_11comp_targetILNS1_3genE3ELNS1_11target_archE908ELNS1_3gpuE7ELNS1_3repE0EEENS1_52radix_sort_onesweep_histogram_config_static_selectorELNS0_4arch9wavefront6targetE1EEEvSI_: ; @_ZN7rocprim17ROCPRIM_400000_NS6detail17trampoline_kernelINS0_14default_configENS1_35radix_sort_onesweep_config_selectorIjNS0_10empty_typeEEEZNS1_34radix_sort_onesweep_global_offsetsIS3_Lb0EN6thrust23THRUST_200600_302600_NS6detail15normal_iteratorINS9_10device_ptrIjEEEEPS5_jNS0_19identity_decomposerEEE10hipError_tT1_T2_PT3_SK_jT4_jjP12ihipStream_tbEUlT_E0_NS1_11comp_targetILNS1_3genE3ELNS1_11target_archE908ELNS1_3gpuE7ELNS1_3repE0EEENS1_52radix_sort_onesweep_histogram_config_static_selectorELNS0_4arch9wavefront6targetE1EEEvSI_
; %bb.0:
	.section	.rodata,"a",@progbits
	.p2align	6, 0x0
	.amdhsa_kernel _ZN7rocprim17ROCPRIM_400000_NS6detail17trampoline_kernelINS0_14default_configENS1_35radix_sort_onesweep_config_selectorIjNS0_10empty_typeEEEZNS1_34radix_sort_onesweep_global_offsetsIS3_Lb0EN6thrust23THRUST_200600_302600_NS6detail15normal_iteratorINS9_10device_ptrIjEEEEPS5_jNS0_19identity_decomposerEEE10hipError_tT1_T2_PT3_SK_jT4_jjP12ihipStream_tbEUlT_E0_NS1_11comp_targetILNS1_3genE3ELNS1_11target_archE908ELNS1_3gpuE7ELNS1_3repE0EEENS1_52radix_sort_onesweep_histogram_config_static_selectorELNS0_4arch9wavefront6targetE1EEEvSI_
		.amdhsa_group_segment_fixed_size 0
		.amdhsa_private_segment_fixed_size 0
		.amdhsa_kernarg_size 8
		.amdhsa_user_sgpr_count 6
		.amdhsa_user_sgpr_private_segment_buffer 1
		.amdhsa_user_sgpr_dispatch_ptr 0
		.amdhsa_user_sgpr_queue_ptr 0
		.amdhsa_user_sgpr_kernarg_segment_ptr 1
		.amdhsa_user_sgpr_dispatch_id 0
		.amdhsa_user_sgpr_flat_scratch_init 0
		.amdhsa_user_sgpr_kernarg_preload_length 0
		.amdhsa_user_sgpr_kernarg_preload_offset 0
		.amdhsa_user_sgpr_private_segment_size 0
		.amdhsa_uses_dynamic_stack 0
		.amdhsa_system_sgpr_private_segment_wavefront_offset 0
		.amdhsa_system_sgpr_workgroup_id_x 1
		.amdhsa_system_sgpr_workgroup_id_y 0
		.amdhsa_system_sgpr_workgroup_id_z 0
		.amdhsa_system_sgpr_workgroup_info 0
		.amdhsa_system_vgpr_workitem_id 0
		.amdhsa_next_free_vgpr 1
		.amdhsa_next_free_sgpr 0
		.amdhsa_accum_offset 4
		.amdhsa_reserve_vcc 0
		.amdhsa_reserve_flat_scratch 0
		.amdhsa_float_round_mode_32 0
		.amdhsa_float_round_mode_16_64 0
		.amdhsa_float_denorm_mode_32 3
		.amdhsa_float_denorm_mode_16_64 3
		.amdhsa_dx10_clamp 1
		.amdhsa_ieee_mode 1
		.amdhsa_fp16_overflow 0
		.amdhsa_tg_split 0
		.amdhsa_exception_fp_ieee_invalid_op 0
		.amdhsa_exception_fp_denorm_src 0
		.amdhsa_exception_fp_ieee_div_zero 0
		.amdhsa_exception_fp_ieee_overflow 0
		.amdhsa_exception_fp_ieee_underflow 0
		.amdhsa_exception_fp_ieee_inexact 0
		.amdhsa_exception_int_div_zero 0
	.end_amdhsa_kernel
	.section	.text._ZN7rocprim17ROCPRIM_400000_NS6detail17trampoline_kernelINS0_14default_configENS1_35radix_sort_onesweep_config_selectorIjNS0_10empty_typeEEEZNS1_34radix_sort_onesweep_global_offsetsIS3_Lb0EN6thrust23THRUST_200600_302600_NS6detail15normal_iteratorINS9_10device_ptrIjEEEEPS5_jNS0_19identity_decomposerEEE10hipError_tT1_T2_PT3_SK_jT4_jjP12ihipStream_tbEUlT_E0_NS1_11comp_targetILNS1_3genE3ELNS1_11target_archE908ELNS1_3gpuE7ELNS1_3repE0EEENS1_52radix_sort_onesweep_histogram_config_static_selectorELNS0_4arch9wavefront6targetE1EEEvSI_,"axG",@progbits,_ZN7rocprim17ROCPRIM_400000_NS6detail17trampoline_kernelINS0_14default_configENS1_35radix_sort_onesweep_config_selectorIjNS0_10empty_typeEEEZNS1_34radix_sort_onesweep_global_offsetsIS3_Lb0EN6thrust23THRUST_200600_302600_NS6detail15normal_iteratorINS9_10device_ptrIjEEEEPS5_jNS0_19identity_decomposerEEE10hipError_tT1_T2_PT3_SK_jT4_jjP12ihipStream_tbEUlT_E0_NS1_11comp_targetILNS1_3genE3ELNS1_11target_archE908ELNS1_3gpuE7ELNS1_3repE0EEENS1_52radix_sort_onesweep_histogram_config_static_selectorELNS0_4arch9wavefront6targetE1EEEvSI_,comdat
.Lfunc_end1088:
	.size	_ZN7rocprim17ROCPRIM_400000_NS6detail17trampoline_kernelINS0_14default_configENS1_35radix_sort_onesweep_config_selectorIjNS0_10empty_typeEEEZNS1_34radix_sort_onesweep_global_offsetsIS3_Lb0EN6thrust23THRUST_200600_302600_NS6detail15normal_iteratorINS9_10device_ptrIjEEEEPS5_jNS0_19identity_decomposerEEE10hipError_tT1_T2_PT3_SK_jT4_jjP12ihipStream_tbEUlT_E0_NS1_11comp_targetILNS1_3genE3ELNS1_11target_archE908ELNS1_3gpuE7ELNS1_3repE0EEENS1_52radix_sort_onesweep_histogram_config_static_selectorELNS0_4arch9wavefront6targetE1EEEvSI_, .Lfunc_end1088-_ZN7rocprim17ROCPRIM_400000_NS6detail17trampoline_kernelINS0_14default_configENS1_35radix_sort_onesweep_config_selectorIjNS0_10empty_typeEEEZNS1_34radix_sort_onesweep_global_offsetsIS3_Lb0EN6thrust23THRUST_200600_302600_NS6detail15normal_iteratorINS9_10device_ptrIjEEEEPS5_jNS0_19identity_decomposerEEE10hipError_tT1_T2_PT3_SK_jT4_jjP12ihipStream_tbEUlT_E0_NS1_11comp_targetILNS1_3genE3ELNS1_11target_archE908ELNS1_3gpuE7ELNS1_3repE0EEENS1_52radix_sort_onesweep_histogram_config_static_selectorELNS0_4arch9wavefront6targetE1EEEvSI_
                                        ; -- End function
	.section	.AMDGPU.csdata,"",@progbits
; Kernel info:
; codeLenInByte = 0
; NumSgprs: 4
; NumVgprs: 0
; NumAgprs: 0
; TotalNumVgprs: 0
; ScratchSize: 0
; MemoryBound: 0
; FloatMode: 240
; IeeeMode: 1
; LDSByteSize: 0 bytes/workgroup (compile time only)
; SGPRBlocks: 0
; VGPRBlocks: 0
; NumSGPRsForWavesPerEU: 4
; NumVGPRsForWavesPerEU: 1
; AccumOffset: 4
; Occupancy: 8
; WaveLimiterHint : 0
; COMPUTE_PGM_RSRC2:SCRATCH_EN: 0
; COMPUTE_PGM_RSRC2:USER_SGPR: 6
; COMPUTE_PGM_RSRC2:TRAP_HANDLER: 0
; COMPUTE_PGM_RSRC2:TGID_X_EN: 1
; COMPUTE_PGM_RSRC2:TGID_Y_EN: 0
; COMPUTE_PGM_RSRC2:TGID_Z_EN: 0
; COMPUTE_PGM_RSRC2:TIDIG_COMP_CNT: 0
; COMPUTE_PGM_RSRC3_GFX90A:ACCUM_OFFSET: 0
; COMPUTE_PGM_RSRC3_GFX90A:TG_SPLIT: 0
	.section	.text._ZN7rocprim17ROCPRIM_400000_NS6detail17trampoline_kernelINS0_14default_configENS1_35radix_sort_onesweep_config_selectorIjNS0_10empty_typeEEEZNS1_34radix_sort_onesweep_global_offsetsIS3_Lb0EN6thrust23THRUST_200600_302600_NS6detail15normal_iteratorINS9_10device_ptrIjEEEEPS5_jNS0_19identity_decomposerEEE10hipError_tT1_T2_PT3_SK_jT4_jjP12ihipStream_tbEUlT_E0_NS1_11comp_targetILNS1_3genE10ELNS1_11target_archE1201ELNS1_3gpuE5ELNS1_3repE0EEENS1_52radix_sort_onesweep_histogram_config_static_selectorELNS0_4arch9wavefront6targetE1EEEvSI_,"axG",@progbits,_ZN7rocprim17ROCPRIM_400000_NS6detail17trampoline_kernelINS0_14default_configENS1_35radix_sort_onesweep_config_selectorIjNS0_10empty_typeEEEZNS1_34radix_sort_onesweep_global_offsetsIS3_Lb0EN6thrust23THRUST_200600_302600_NS6detail15normal_iteratorINS9_10device_ptrIjEEEEPS5_jNS0_19identity_decomposerEEE10hipError_tT1_T2_PT3_SK_jT4_jjP12ihipStream_tbEUlT_E0_NS1_11comp_targetILNS1_3genE10ELNS1_11target_archE1201ELNS1_3gpuE5ELNS1_3repE0EEENS1_52radix_sort_onesweep_histogram_config_static_selectorELNS0_4arch9wavefront6targetE1EEEvSI_,comdat
	.protected	_ZN7rocprim17ROCPRIM_400000_NS6detail17trampoline_kernelINS0_14default_configENS1_35radix_sort_onesweep_config_selectorIjNS0_10empty_typeEEEZNS1_34radix_sort_onesweep_global_offsetsIS3_Lb0EN6thrust23THRUST_200600_302600_NS6detail15normal_iteratorINS9_10device_ptrIjEEEEPS5_jNS0_19identity_decomposerEEE10hipError_tT1_T2_PT3_SK_jT4_jjP12ihipStream_tbEUlT_E0_NS1_11comp_targetILNS1_3genE10ELNS1_11target_archE1201ELNS1_3gpuE5ELNS1_3repE0EEENS1_52radix_sort_onesweep_histogram_config_static_selectorELNS0_4arch9wavefront6targetE1EEEvSI_ ; -- Begin function _ZN7rocprim17ROCPRIM_400000_NS6detail17trampoline_kernelINS0_14default_configENS1_35radix_sort_onesweep_config_selectorIjNS0_10empty_typeEEEZNS1_34radix_sort_onesweep_global_offsetsIS3_Lb0EN6thrust23THRUST_200600_302600_NS6detail15normal_iteratorINS9_10device_ptrIjEEEEPS5_jNS0_19identity_decomposerEEE10hipError_tT1_T2_PT3_SK_jT4_jjP12ihipStream_tbEUlT_E0_NS1_11comp_targetILNS1_3genE10ELNS1_11target_archE1201ELNS1_3gpuE5ELNS1_3repE0EEENS1_52radix_sort_onesweep_histogram_config_static_selectorELNS0_4arch9wavefront6targetE1EEEvSI_
	.globl	_ZN7rocprim17ROCPRIM_400000_NS6detail17trampoline_kernelINS0_14default_configENS1_35radix_sort_onesweep_config_selectorIjNS0_10empty_typeEEEZNS1_34radix_sort_onesweep_global_offsetsIS3_Lb0EN6thrust23THRUST_200600_302600_NS6detail15normal_iteratorINS9_10device_ptrIjEEEEPS5_jNS0_19identity_decomposerEEE10hipError_tT1_T2_PT3_SK_jT4_jjP12ihipStream_tbEUlT_E0_NS1_11comp_targetILNS1_3genE10ELNS1_11target_archE1201ELNS1_3gpuE5ELNS1_3repE0EEENS1_52radix_sort_onesweep_histogram_config_static_selectorELNS0_4arch9wavefront6targetE1EEEvSI_
	.p2align	8
	.type	_ZN7rocprim17ROCPRIM_400000_NS6detail17trampoline_kernelINS0_14default_configENS1_35radix_sort_onesweep_config_selectorIjNS0_10empty_typeEEEZNS1_34radix_sort_onesweep_global_offsetsIS3_Lb0EN6thrust23THRUST_200600_302600_NS6detail15normal_iteratorINS9_10device_ptrIjEEEEPS5_jNS0_19identity_decomposerEEE10hipError_tT1_T2_PT3_SK_jT4_jjP12ihipStream_tbEUlT_E0_NS1_11comp_targetILNS1_3genE10ELNS1_11target_archE1201ELNS1_3gpuE5ELNS1_3repE0EEENS1_52radix_sort_onesweep_histogram_config_static_selectorELNS0_4arch9wavefront6targetE1EEEvSI_,@function
_ZN7rocprim17ROCPRIM_400000_NS6detail17trampoline_kernelINS0_14default_configENS1_35radix_sort_onesweep_config_selectorIjNS0_10empty_typeEEEZNS1_34radix_sort_onesweep_global_offsetsIS3_Lb0EN6thrust23THRUST_200600_302600_NS6detail15normal_iteratorINS9_10device_ptrIjEEEEPS5_jNS0_19identity_decomposerEEE10hipError_tT1_T2_PT3_SK_jT4_jjP12ihipStream_tbEUlT_E0_NS1_11comp_targetILNS1_3genE10ELNS1_11target_archE1201ELNS1_3gpuE5ELNS1_3repE0EEENS1_52radix_sort_onesweep_histogram_config_static_selectorELNS0_4arch9wavefront6targetE1EEEvSI_: ; @_ZN7rocprim17ROCPRIM_400000_NS6detail17trampoline_kernelINS0_14default_configENS1_35radix_sort_onesweep_config_selectorIjNS0_10empty_typeEEEZNS1_34radix_sort_onesweep_global_offsetsIS3_Lb0EN6thrust23THRUST_200600_302600_NS6detail15normal_iteratorINS9_10device_ptrIjEEEEPS5_jNS0_19identity_decomposerEEE10hipError_tT1_T2_PT3_SK_jT4_jjP12ihipStream_tbEUlT_E0_NS1_11comp_targetILNS1_3genE10ELNS1_11target_archE1201ELNS1_3gpuE5ELNS1_3repE0EEENS1_52radix_sort_onesweep_histogram_config_static_selectorELNS0_4arch9wavefront6targetE1EEEvSI_
; %bb.0:
	.section	.rodata,"a",@progbits
	.p2align	6, 0x0
	.amdhsa_kernel _ZN7rocprim17ROCPRIM_400000_NS6detail17trampoline_kernelINS0_14default_configENS1_35radix_sort_onesweep_config_selectorIjNS0_10empty_typeEEEZNS1_34radix_sort_onesweep_global_offsetsIS3_Lb0EN6thrust23THRUST_200600_302600_NS6detail15normal_iteratorINS9_10device_ptrIjEEEEPS5_jNS0_19identity_decomposerEEE10hipError_tT1_T2_PT3_SK_jT4_jjP12ihipStream_tbEUlT_E0_NS1_11comp_targetILNS1_3genE10ELNS1_11target_archE1201ELNS1_3gpuE5ELNS1_3repE0EEENS1_52radix_sort_onesweep_histogram_config_static_selectorELNS0_4arch9wavefront6targetE1EEEvSI_
		.amdhsa_group_segment_fixed_size 0
		.amdhsa_private_segment_fixed_size 0
		.amdhsa_kernarg_size 8
		.amdhsa_user_sgpr_count 6
		.amdhsa_user_sgpr_private_segment_buffer 1
		.amdhsa_user_sgpr_dispatch_ptr 0
		.amdhsa_user_sgpr_queue_ptr 0
		.amdhsa_user_sgpr_kernarg_segment_ptr 1
		.amdhsa_user_sgpr_dispatch_id 0
		.amdhsa_user_sgpr_flat_scratch_init 0
		.amdhsa_user_sgpr_kernarg_preload_length 0
		.amdhsa_user_sgpr_kernarg_preload_offset 0
		.amdhsa_user_sgpr_private_segment_size 0
		.amdhsa_uses_dynamic_stack 0
		.amdhsa_system_sgpr_private_segment_wavefront_offset 0
		.amdhsa_system_sgpr_workgroup_id_x 1
		.amdhsa_system_sgpr_workgroup_id_y 0
		.amdhsa_system_sgpr_workgroup_id_z 0
		.amdhsa_system_sgpr_workgroup_info 0
		.amdhsa_system_vgpr_workitem_id 0
		.amdhsa_next_free_vgpr 1
		.amdhsa_next_free_sgpr 0
		.amdhsa_accum_offset 4
		.amdhsa_reserve_vcc 0
		.amdhsa_reserve_flat_scratch 0
		.amdhsa_float_round_mode_32 0
		.amdhsa_float_round_mode_16_64 0
		.amdhsa_float_denorm_mode_32 3
		.amdhsa_float_denorm_mode_16_64 3
		.amdhsa_dx10_clamp 1
		.amdhsa_ieee_mode 1
		.amdhsa_fp16_overflow 0
		.amdhsa_tg_split 0
		.amdhsa_exception_fp_ieee_invalid_op 0
		.amdhsa_exception_fp_denorm_src 0
		.amdhsa_exception_fp_ieee_div_zero 0
		.amdhsa_exception_fp_ieee_overflow 0
		.amdhsa_exception_fp_ieee_underflow 0
		.amdhsa_exception_fp_ieee_inexact 0
		.amdhsa_exception_int_div_zero 0
	.end_amdhsa_kernel
	.section	.text._ZN7rocprim17ROCPRIM_400000_NS6detail17trampoline_kernelINS0_14default_configENS1_35radix_sort_onesweep_config_selectorIjNS0_10empty_typeEEEZNS1_34radix_sort_onesweep_global_offsetsIS3_Lb0EN6thrust23THRUST_200600_302600_NS6detail15normal_iteratorINS9_10device_ptrIjEEEEPS5_jNS0_19identity_decomposerEEE10hipError_tT1_T2_PT3_SK_jT4_jjP12ihipStream_tbEUlT_E0_NS1_11comp_targetILNS1_3genE10ELNS1_11target_archE1201ELNS1_3gpuE5ELNS1_3repE0EEENS1_52radix_sort_onesweep_histogram_config_static_selectorELNS0_4arch9wavefront6targetE1EEEvSI_,"axG",@progbits,_ZN7rocprim17ROCPRIM_400000_NS6detail17trampoline_kernelINS0_14default_configENS1_35radix_sort_onesweep_config_selectorIjNS0_10empty_typeEEEZNS1_34radix_sort_onesweep_global_offsetsIS3_Lb0EN6thrust23THRUST_200600_302600_NS6detail15normal_iteratorINS9_10device_ptrIjEEEEPS5_jNS0_19identity_decomposerEEE10hipError_tT1_T2_PT3_SK_jT4_jjP12ihipStream_tbEUlT_E0_NS1_11comp_targetILNS1_3genE10ELNS1_11target_archE1201ELNS1_3gpuE5ELNS1_3repE0EEENS1_52radix_sort_onesweep_histogram_config_static_selectorELNS0_4arch9wavefront6targetE1EEEvSI_,comdat
.Lfunc_end1089:
	.size	_ZN7rocprim17ROCPRIM_400000_NS6detail17trampoline_kernelINS0_14default_configENS1_35radix_sort_onesweep_config_selectorIjNS0_10empty_typeEEEZNS1_34radix_sort_onesweep_global_offsetsIS3_Lb0EN6thrust23THRUST_200600_302600_NS6detail15normal_iteratorINS9_10device_ptrIjEEEEPS5_jNS0_19identity_decomposerEEE10hipError_tT1_T2_PT3_SK_jT4_jjP12ihipStream_tbEUlT_E0_NS1_11comp_targetILNS1_3genE10ELNS1_11target_archE1201ELNS1_3gpuE5ELNS1_3repE0EEENS1_52radix_sort_onesweep_histogram_config_static_selectorELNS0_4arch9wavefront6targetE1EEEvSI_, .Lfunc_end1089-_ZN7rocprim17ROCPRIM_400000_NS6detail17trampoline_kernelINS0_14default_configENS1_35radix_sort_onesweep_config_selectorIjNS0_10empty_typeEEEZNS1_34radix_sort_onesweep_global_offsetsIS3_Lb0EN6thrust23THRUST_200600_302600_NS6detail15normal_iteratorINS9_10device_ptrIjEEEEPS5_jNS0_19identity_decomposerEEE10hipError_tT1_T2_PT3_SK_jT4_jjP12ihipStream_tbEUlT_E0_NS1_11comp_targetILNS1_3genE10ELNS1_11target_archE1201ELNS1_3gpuE5ELNS1_3repE0EEENS1_52radix_sort_onesweep_histogram_config_static_selectorELNS0_4arch9wavefront6targetE1EEEvSI_
                                        ; -- End function
	.section	.AMDGPU.csdata,"",@progbits
; Kernel info:
; codeLenInByte = 0
; NumSgprs: 4
; NumVgprs: 0
; NumAgprs: 0
; TotalNumVgprs: 0
; ScratchSize: 0
; MemoryBound: 0
; FloatMode: 240
; IeeeMode: 1
; LDSByteSize: 0 bytes/workgroup (compile time only)
; SGPRBlocks: 0
; VGPRBlocks: 0
; NumSGPRsForWavesPerEU: 4
; NumVGPRsForWavesPerEU: 1
; AccumOffset: 4
; Occupancy: 8
; WaveLimiterHint : 0
; COMPUTE_PGM_RSRC2:SCRATCH_EN: 0
; COMPUTE_PGM_RSRC2:USER_SGPR: 6
; COMPUTE_PGM_RSRC2:TRAP_HANDLER: 0
; COMPUTE_PGM_RSRC2:TGID_X_EN: 1
; COMPUTE_PGM_RSRC2:TGID_Y_EN: 0
; COMPUTE_PGM_RSRC2:TGID_Z_EN: 0
; COMPUTE_PGM_RSRC2:TIDIG_COMP_CNT: 0
; COMPUTE_PGM_RSRC3_GFX90A:ACCUM_OFFSET: 0
; COMPUTE_PGM_RSRC3_GFX90A:TG_SPLIT: 0
	.section	.text._ZN7rocprim17ROCPRIM_400000_NS6detail17trampoline_kernelINS0_14default_configENS1_35radix_sort_onesweep_config_selectorIjNS0_10empty_typeEEEZNS1_34radix_sort_onesweep_global_offsetsIS3_Lb0EN6thrust23THRUST_200600_302600_NS6detail15normal_iteratorINS9_10device_ptrIjEEEEPS5_jNS0_19identity_decomposerEEE10hipError_tT1_T2_PT3_SK_jT4_jjP12ihipStream_tbEUlT_E0_NS1_11comp_targetILNS1_3genE9ELNS1_11target_archE1100ELNS1_3gpuE3ELNS1_3repE0EEENS1_52radix_sort_onesweep_histogram_config_static_selectorELNS0_4arch9wavefront6targetE1EEEvSI_,"axG",@progbits,_ZN7rocprim17ROCPRIM_400000_NS6detail17trampoline_kernelINS0_14default_configENS1_35radix_sort_onesweep_config_selectorIjNS0_10empty_typeEEEZNS1_34radix_sort_onesweep_global_offsetsIS3_Lb0EN6thrust23THRUST_200600_302600_NS6detail15normal_iteratorINS9_10device_ptrIjEEEEPS5_jNS0_19identity_decomposerEEE10hipError_tT1_T2_PT3_SK_jT4_jjP12ihipStream_tbEUlT_E0_NS1_11comp_targetILNS1_3genE9ELNS1_11target_archE1100ELNS1_3gpuE3ELNS1_3repE0EEENS1_52radix_sort_onesweep_histogram_config_static_selectorELNS0_4arch9wavefront6targetE1EEEvSI_,comdat
	.protected	_ZN7rocprim17ROCPRIM_400000_NS6detail17trampoline_kernelINS0_14default_configENS1_35radix_sort_onesweep_config_selectorIjNS0_10empty_typeEEEZNS1_34radix_sort_onesweep_global_offsetsIS3_Lb0EN6thrust23THRUST_200600_302600_NS6detail15normal_iteratorINS9_10device_ptrIjEEEEPS5_jNS0_19identity_decomposerEEE10hipError_tT1_T2_PT3_SK_jT4_jjP12ihipStream_tbEUlT_E0_NS1_11comp_targetILNS1_3genE9ELNS1_11target_archE1100ELNS1_3gpuE3ELNS1_3repE0EEENS1_52radix_sort_onesweep_histogram_config_static_selectorELNS0_4arch9wavefront6targetE1EEEvSI_ ; -- Begin function _ZN7rocprim17ROCPRIM_400000_NS6detail17trampoline_kernelINS0_14default_configENS1_35radix_sort_onesweep_config_selectorIjNS0_10empty_typeEEEZNS1_34radix_sort_onesweep_global_offsetsIS3_Lb0EN6thrust23THRUST_200600_302600_NS6detail15normal_iteratorINS9_10device_ptrIjEEEEPS5_jNS0_19identity_decomposerEEE10hipError_tT1_T2_PT3_SK_jT4_jjP12ihipStream_tbEUlT_E0_NS1_11comp_targetILNS1_3genE9ELNS1_11target_archE1100ELNS1_3gpuE3ELNS1_3repE0EEENS1_52radix_sort_onesweep_histogram_config_static_selectorELNS0_4arch9wavefront6targetE1EEEvSI_
	.globl	_ZN7rocprim17ROCPRIM_400000_NS6detail17trampoline_kernelINS0_14default_configENS1_35radix_sort_onesweep_config_selectorIjNS0_10empty_typeEEEZNS1_34radix_sort_onesweep_global_offsetsIS3_Lb0EN6thrust23THRUST_200600_302600_NS6detail15normal_iteratorINS9_10device_ptrIjEEEEPS5_jNS0_19identity_decomposerEEE10hipError_tT1_T2_PT3_SK_jT4_jjP12ihipStream_tbEUlT_E0_NS1_11comp_targetILNS1_3genE9ELNS1_11target_archE1100ELNS1_3gpuE3ELNS1_3repE0EEENS1_52radix_sort_onesweep_histogram_config_static_selectorELNS0_4arch9wavefront6targetE1EEEvSI_
	.p2align	8
	.type	_ZN7rocprim17ROCPRIM_400000_NS6detail17trampoline_kernelINS0_14default_configENS1_35radix_sort_onesweep_config_selectorIjNS0_10empty_typeEEEZNS1_34radix_sort_onesweep_global_offsetsIS3_Lb0EN6thrust23THRUST_200600_302600_NS6detail15normal_iteratorINS9_10device_ptrIjEEEEPS5_jNS0_19identity_decomposerEEE10hipError_tT1_T2_PT3_SK_jT4_jjP12ihipStream_tbEUlT_E0_NS1_11comp_targetILNS1_3genE9ELNS1_11target_archE1100ELNS1_3gpuE3ELNS1_3repE0EEENS1_52radix_sort_onesweep_histogram_config_static_selectorELNS0_4arch9wavefront6targetE1EEEvSI_,@function
_ZN7rocprim17ROCPRIM_400000_NS6detail17trampoline_kernelINS0_14default_configENS1_35radix_sort_onesweep_config_selectorIjNS0_10empty_typeEEEZNS1_34radix_sort_onesweep_global_offsetsIS3_Lb0EN6thrust23THRUST_200600_302600_NS6detail15normal_iteratorINS9_10device_ptrIjEEEEPS5_jNS0_19identity_decomposerEEE10hipError_tT1_T2_PT3_SK_jT4_jjP12ihipStream_tbEUlT_E0_NS1_11comp_targetILNS1_3genE9ELNS1_11target_archE1100ELNS1_3gpuE3ELNS1_3repE0EEENS1_52radix_sort_onesweep_histogram_config_static_selectorELNS0_4arch9wavefront6targetE1EEEvSI_: ; @_ZN7rocprim17ROCPRIM_400000_NS6detail17trampoline_kernelINS0_14default_configENS1_35radix_sort_onesweep_config_selectorIjNS0_10empty_typeEEEZNS1_34radix_sort_onesweep_global_offsetsIS3_Lb0EN6thrust23THRUST_200600_302600_NS6detail15normal_iteratorINS9_10device_ptrIjEEEEPS5_jNS0_19identity_decomposerEEE10hipError_tT1_T2_PT3_SK_jT4_jjP12ihipStream_tbEUlT_E0_NS1_11comp_targetILNS1_3genE9ELNS1_11target_archE1100ELNS1_3gpuE3ELNS1_3repE0EEENS1_52radix_sort_onesweep_histogram_config_static_selectorELNS0_4arch9wavefront6targetE1EEEvSI_
; %bb.0:
	.section	.rodata,"a",@progbits
	.p2align	6, 0x0
	.amdhsa_kernel _ZN7rocprim17ROCPRIM_400000_NS6detail17trampoline_kernelINS0_14default_configENS1_35radix_sort_onesweep_config_selectorIjNS0_10empty_typeEEEZNS1_34radix_sort_onesweep_global_offsetsIS3_Lb0EN6thrust23THRUST_200600_302600_NS6detail15normal_iteratorINS9_10device_ptrIjEEEEPS5_jNS0_19identity_decomposerEEE10hipError_tT1_T2_PT3_SK_jT4_jjP12ihipStream_tbEUlT_E0_NS1_11comp_targetILNS1_3genE9ELNS1_11target_archE1100ELNS1_3gpuE3ELNS1_3repE0EEENS1_52radix_sort_onesweep_histogram_config_static_selectorELNS0_4arch9wavefront6targetE1EEEvSI_
		.amdhsa_group_segment_fixed_size 0
		.amdhsa_private_segment_fixed_size 0
		.amdhsa_kernarg_size 8
		.amdhsa_user_sgpr_count 6
		.amdhsa_user_sgpr_private_segment_buffer 1
		.amdhsa_user_sgpr_dispatch_ptr 0
		.amdhsa_user_sgpr_queue_ptr 0
		.amdhsa_user_sgpr_kernarg_segment_ptr 1
		.amdhsa_user_sgpr_dispatch_id 0
		.amdhsa_user_sgpr_flat_scratch_init 0
		.amdhsa_user_sgpr_kernarg_preload_length 0
		.amdhsa_user_sgpr_kernarg_preload_offset 0
		.amdhsa_user_sgpr_private_segment_size 0
		.amdhsa_uses_dynamic_stack 0
		.amdhsa_system_sgpr_private_segment_wavefront_offset 0
		.amdhsa_system_sgpr_workgroup_id_x 1
		.amdhsa_system_sgpr_workgroup_id_y 0
		.amdhsa_system_sgpr_workgroup_id_z 0
		.amdhsa_system_sgpr_workgroup_info 0
		.amdhsa_system_vgpr_workitem_id 0
		.amdhsa_next_free_vgpr 1
		.amdhsa_next_free_sgpr 0
		.amdhsa_accum_offset 4
		.amdhsa_reserve_vcc 0
		.amdhsa_reserve_flat_scratch 0
		.amdhsa_float_round_mode_32 0
		.amdhsa_float_round_mode_16_64 0
		.amdhsa_float_denorm_mode_32 3
		.amdhsa_float_denorm_mode_16_64 3
		.amdhsa_dx10_clamp 1
		.amdhsa_ieee_mode 1
		.amdhsa_fp16_overflow 0
		.amdhsa_tg_split 0
		.amdhsa_exception_fp_ieee_invalid_op 0
		.amdhsa_exception_fp_denorm_src 0
		.amdhsa_exception_fp_ieee_div_zero 0
		.amdhsa_exception_fp_ieee_overflow 0
		.amdhsa_exception_fp_ieee_underflow 0
		.amdhsa_exception_fp_ieee_inexact 0
		.amdhsa_exception_int_div_zero 0
	.end_amdhsa_kernel
	.section	.text._ZN7rocprim17ROCPRIM_400000_NS6detail17trampoline_kernelINS0_14default_configENS1_35radix_sort_onesweep_config_selectorIjNS0_10empty_typeEEEZNS1_34radix_sort_onesweep_global_offsetsIS3_Lb0EN6thrust23THRUST_200600_302600_NS6detail15normal_iteratorINS9_10device_ptrIjEEEEPS5_jNS0_19identity_decomposerEEE10hipError_tT1_T2_PT3_SK_jT4_jjP12ihipStream_tbEUlT_E0_NS1_11comp_targetILNS1_3genE9ELNS1_11target_archE1100ELNS1_3gpuE3ELNS1_3repE0EEENS1_52radix_sort_onesweep_histogram_config_static_selectorELNS0_4arch9wavefront6targetE1EEEvSI_,"axG",@progbits,_ZN7rocprim17ROCPRIM_400000_NS6detail17trampoline_kernelINS0_14default_configENS1_35radix_sort_onesweep_config_selectorIjNS0_10empty_typeEEEZNS1_34radix_sort_onesweep_global_offsetsIS3_Lb0EN6thrust23THRUST_200600_302600_NS6detail15normal_iteratorINS9_10device_ptrIjEEEEPS5_jNS0_19identity_decomposerEEE10hipError_tT1_T2_PT3_SK_jT4_jjP12ihipStream_tbEUlT_E0_NS1_11comp_targetILNS1_3genE9ELNS1_11target_archE1100ELNS1_3gpuE3ELNS1_3repE0EEENS1_52radix_sort_onesweep_histogram_config_static_selectorELNS0_4arch9wavefront6targetE1EEEvSI_,comdat
.Lfunc_end1090:
	.size	_ZN7rocprim17ROCPRIM_400000_NS6detail17trampoline_kernelINS0_14default_configENS1_35radix_sort_onesweep_config_selectorIjNS0_10empty_typeEEEZNS1_34radix_sort_onesweep_global_offsetsIS3_Lb0EN6thrust23THRUST_200600_302600_NS6detail15normal_iteratorINS9_10device_ptrIjEEEEPS5_jNS0_19identity_decomposerEEE10hipError_tT1_T2_PT3_SK_jT4_jjP12ihipStream_tbEUlT_E0_NS1_11comp_targetILNS1_3genE9ELNS1_11target_archE1100ELNS1_3gpuE3ELNS1_3repE0EEENS1_52radix_sort_onesweep_histogram_config_static_selectorELNS0_4arch9wavefront6targetE1EEEvSI_, .Lfunc_end1090-_ZN7rocprim17ROCPRIM_400000_NS6detail17trampoline_kernelINS0_14default_configENS1_35radix_sort_onesweep_config_selectorIjNS0_10empty_typeEEEZNS1_34radix_sort_onesweep_global_offsetsIS3_Lb0EN6thrust23THRUST_200600_302600_NS6detail15normal_iteratorINS9_10device_ptrIjEEEEPS5_jNS0_19identity_decomposerEEE10hipError_tT1_T2_PT3_SK_jT4_jjP12ihipStream_tbEUlT_E0_NS1_11comp_targetILNS1_3genE9ELNS1_11target_archE1100ELNS1_3gpuE3ELNS1_3repE0EEENS1_52radix_sort_onesweep_histogram_config_static_selectorELNS0_4arch9wavefront6targetE1EEEvSI_
                                        ; -- End function
	.section	.AMDGPU.csdata,"",@progbits
; Kernel info:
; codeLenInByte = 0
; NumSgprs: 4
; NumVgprs: 0
; NumAgprs: 0
; TotalNumVgprs: 0
; ScratchSize: 0
; MemoryBound: 0
; FloatMode: 240
; IeeeMode: 1
; LDSByteSize: 0 bytes/workgroup (compile time only)
; SGPRBlocks: 0
; VGPRBlocks: 0
; NumSGPRsForWavesPerEU: 4
; NumVGPRsForWavesPerEU: 1
; AccumOffset: 4
; Occupancy: 8
; WaveLimiterHint : 0
; COMPUTE_PGM_RSRC2:SCRATCH_EN: 0
; COMPUTE_PGM_RSRC2:USER_SGPR: 6
; COMPUTE_PGM_RSRC2:TRAP_HANDLER: 0
; COMPUTE_PGM_RSRC2:TGID_X_EN: 1
; COMPUTE_PGM_RSRC2:TGID_Y_EN: 0
; COMPUTE_PGM_RSRC2:TGID_Z_EN: 0
; COMPUTE_PGM_RSRC2:TIDIG_COMP_CNT: 0
; COMPUTE_PGM_RSRC3_GFX90A:ACCUM_OFFSET: 0
; COMPUTE_PGM_RSRC3_GFX90A:TG_SPLIT: 0
	.section	.text._ZN7rocprim17ROCPRIM_400000_NS6detail17trampoline_kernelINS0_14default_configENS1_35radix_sort_onesweep_config_selectorIjNS0_10empty_typeEEEZNS1_34radix_sort_onesweep_global_offsetsIS3_Lb0EN6thrust23THRUST_200600_302600_NS6detail15normal_iteratorINS9_10device_ptrIjEEEEPS5_jNS0_19identity_decomposerEEE10hipError_tT1_T2_PT3_SK_jT4_jjP12ihipStream_tbEUlT_E0_NS1_11comp_targetILNS1_3genE8ELNS1_11target_archE1030ELNS1_3gpuE2ELNS1_3repE0EEENS1_52radix_sort_onesweep_histogram_config_static_selectorELNS0_4arch9wavefront6targetE1EEEvSI_,"axG",@progbits,_ZN7rocprim17ROCPRIM_400000_NS6detail17trampoline_kernelINS0_14default_configENS1_35radix_sort_onesweep_config_selectorIjNS0_10empty_typeEEEZNS1_34radix_sort_onesweep_global_offsetsIS3_Lb0EN6thrust23THRUST_200600_302600_NS6detail15normal_iteratorINS9_10device_ptrIjEEEEPS5_jNS0_19identity_decomposerEEE10hipError_tT1_T2_PT3_SK_jT4_jjP12ihipStream_tbEUlT_E0_NS1_11comp_targetILNS1_3genE8ELNS1_11target_archE1030ELNS1_3gpuE2ELNS1_3repE0EEENS1_52radix_sort_onesweep_histogram_config_static_selectorELNS0_4arch9wavefront6targetE1EEEvSI_,comdat
	.protected	_ZN7rocprim17ROCPRIM_400000_NS6detail17trampoline_kernelINS0_14default_configENS1_35radix_sort_onesweep_config_selectorIjNS0_10empty_typeEEEZNS1_34radix_sort_onesweep_global_offsetsIS3_Lb0EN6thrust23THRUST_200600_302600_NS6detail15normal_iteratorINS9_10device_ptrIjEEEEPS5_jNS0_19identity_decomposerEEE10hipError_tT1_T2_PT3_SK_jT4_jjP12ihipStream_tbEUlT_E0_NS1_11comp_targetILNS1_3genE8ELNS1_11target_archE1030ELNS1_3gpuE2ELNS1_3repE0EEENS1_52radix_sort_onesweep_histogram_config_static_selectorELNS0_4arch9wavefront6targetE1EEEvSI_ ; -- Begin function _ZN7rocprim17ROCPRIM_400000_NS6detail17trampoline_kernelINS0_14default_configENS1_35radix_sort_onesweep_config_selectorIjNS0_10empty_typeEEEZNS1_34radix_sort_onesweep_global_offsetsIS3_Lb0EN6thrust23THRUST_200600_302600_NS6detail15normal_iteratorINS9_10device_ptrIjEEEEPS5_jNS0_19identity_decomposerEEE10hipError_tT1_T2_PT3_SK_jT4_jjP12ihipStream_tbEUlT_E0_NS1_11comp_targetILNS1_3genE8ELNS1_11target_archE1030ELNS1_3gpuE2ELNS1_3repE0EEENS1_52radix_sort_onesweep_histogram_config_static_selectorELNS0_4arch9wavefront6targetE1EEEvSI_
	.globl	_ZN7rocprim17ROCPRIM_400000_NS6detail17trampoline_kernelINS0_14default_configENS1_35radix_sort_onesweep_config_selectorIjNS0_10empty_typeEEEZNS1_34radix_sort_onesweep_global_offsetsIS3_Lb0EN6thrust23THRUST_200600_302600_NS6detail15normal_iteratorINS9_10device_ptrIjEEEEPS5_jNS0_19identity_decomposerEEE10hipError_tT1_T2_PT3_SK_jT4_jjP12ihipStream_tbEUlT_E0_NS1_11comp_targetILNS1_3genE8ELNS1_11target_archE1030ELNS1_3gpuE2ELNS1_3repE0EEENS1_52radix_sort_onesweep_histogram_config_static_selectorELNS0_4arch9wavefront6targetE1EEEvSI_
	.p2align	8
	.type	_ZN7rocprim17ROCPRIM_400000_NS6detail17trampoline_kernelINS0_14default_configENS1_35radix_sort_onesweep_config_selectorIjNS0_10empty_typeEEEZNS1_34radix_sort_onesweep_global_offsetsIS3_Lb0EN6thrust23THRUST_200600_302600_NS6detail15normal_iteratorINS9_10device_ptrIjEEEEPS5_jNS0_19identity_decomposerEEE10hipError_tT1_T2_PT3_SK_jT4_jjP12ihipStream_tbEUlT_E0_NS1_11comp_targetILNS1_3genE8ELNS1_11target_archE1030ELNS1_3gpuE2ELNS1_3repE0EEENS1_52radix_sort_onesweep_histogram_config_static_selectorELNS0_4arch9wavefront6targetE1EEEvSI_,@function
_ZN7rocprim17ROCPRIM_400000_NS6detail17trampoline_kernelINS0_14default_configENS1_35radix_sort_onesweep_config_selectorIjNS0_10empty_typeEEEZNS1_34radix_sort_onesweep_global_offsetsIS3_Lb0EN6thrust23THRUST_200600_302600_NS6detail15normal_iteratorINS9_10device_ptrIjEEEEPS5_jNS0_19identity_decomposerEEE10hipError_tT1_T2_PT3_SK_jT4_jjP12ihipStream_tbEUlT_E0_NS1_11comp_targetILNS1_3genE8ELNS1_11target_archE1030ELNS1_3gpuE2ELNS1_3repE0EEENS1_52radix_sort_onesweep_histogram_config_static_selectorELNS0_4arch9wavefront6targetE1EEEvSI_: ; @_ZN7rocprim17ROCPRIM_400000_NS6detail17trampoline_kernelINS0_14default_configENS1_35radix_sort_onesweep_config_selectorIjNS0_10empty_typeEEEZNS1_34radix_sort_onesweep_global_offsetsIS3_Lb0EN6thrust23THRUST_200600_302600_NS6detail15normal_iteratorINS9_10device_ptrIjEEEEPS5_jNS0_19identity_decomposerEEE10hipError_tT1_T2_PT3_SK_jT4_jjP12ihipStream_tbEUlT_E0_NS1_11comp_targetILNS1_3genE8ELNS1_11target_archE1030ELNS1_3gpuE2ELNS1_3repE0EEENS1_52radix_sort_onesweep_histogram_config_static_selectorELNS0_4arch9wavefront6targetE1EEEvSI_
; %bb.0:
	.section	.rodata,"a",@progbits
	.p2align	6, 0x0
	.amdhsa_kernel _ZN7rocprim17ROCPRIM_400000_NS6detail17trampoline_kernelINS0_14default_configENS1_35radix_sort_onesweep_config_selectorIjNS0_10empty_typeEEEZNS1_34radix_sort_onesweep_global_offsetsIS3_Lb0EN6thrust23THRUST_200600_302600_NS6detail15normal_iteratorINS9_10device_ptrIjEEEEPS5_jNS0_19identity_decomposerEEE10hipError_tT1_T2_PT3_SK_jT4_jjP12ihipStream_tbEUlT_E0_NS1_11comp_targetILNS1_3genE8ELNS1_11target_archE1030ELNS1_3gpuE2ELNS1_3repE0EEENS1_52radix_sort_onesweep_histogram_config_static_selectorELNS0_4arch9wavefront6targetE1EEEvSI_
		.amdhsa_group_segment_fixed_size 0
		.amdhsa_private_segment_fixed_size 0
		.amdhsa_kernarg_size 8
		.amdhsa_user_sgpr_count 6
		.amdhsa_user_sgpr_private_segment_buffer 1
		.amdhsa_user_sgpr_dispatch_ptr 0
		.amdhsa_user_sgpr_queue_ptr 0
		.amdhsa_user_sgpr_kernarg_segment_ptr 1
		.amdhsa_user_sgpr_dispatch_id 0
		.amdhsa_user_sgpr_flat_scratch_init 0
		.amdhsa_user_sgpr_kernarg_preload_length 0
		.amdhsa_user_sgpr_kernarg_preload_offset 0
		.amdhsa_user_sgpr_private_segment_size 0
		.amdhsa_uses_dynamic_stack 0
		.amdhsa_system_sgpr_private_segment_wavefront_offset 0
		.amdhsa_system_sgpr_workgroup_id_x 1
		.amdhsa_system_sgpr_workgroup_id_y 0
		.amdhsa_system_sgpr_workgroup_id_z 0
		.amdhsa_system_sgpr_workgroup_info 0
		.amdhsa_system_vgpr_workitem_id 0
		.amdhsa_next_free_vgpr 1
		.amdhsa_next_free_sgpr 0
		.amdhsa_accum_offset 4
		.amdhsa_reserve_vcc 0
		.amdhsa_reserve_flat_scratch 0
		.amdhsa_float_round_mode_32 0
		.amdhsa_float_round_mode_16_64 0
		.amdhsa_float_denorm_mode_32 3
		.amdhsa_float_denorm_mode_16_64 3
		.amdhsa_dx10_clamp 1
		.amdhsa_ieee_mode 1
		.amdhsa_fp16_overflow 0
		.amdhsa_tg_split 0
		.amdhsa_exception_fp_ieee_invalid_op 0
		.amdhsa_exception_fp_denorm_src 0
		.amdhsa_exception_fp_ieee_div_zero 0
		.amdhsa_exception_fp_ieee_overflow 0
		.amdhsa_exception_fp_ieee_underflow 0
		.amdhsa_exception_fp_ieee_inexact 0
		.amdhsa_exception_int_div_zero 0
	.end_amdhsa_kernel
	.section	.text._ZN7rocprim17ROCPRIM_400000_NS6detail17trampoline_kernelINS0_14default_configENS1_35radix_sort_onesweep_config_selectorIjNS0_10empty_typeEEEZNS1_34radix_sort_onesweep_global_offsetsIS3_Lb0EN6thrust23THRUST_200600_302600_NS6detail15normal_iteratorINS9_10device_ptrIjEEEEPS5_jNS0_19identity_decomposerEEE10hipError_tT1_T2_PT3_SK_jT4_jjP12ihipStream_tbEUlT_E0_NS1_11comp_targetILNS1_3genE8ELNS1_11target_archE1030ELNS1_3gpuE2ELNS1_3repE0EEENS1_52radix_sort_onesweep_histogram_config_static_selectorELNS0_4arch9wavefront6targetE1EEEvSI_,"axG",@progbits,_ZN7rocprim17ROCPRIM_400000_NS6detail17trampoline_kernelINS0_14default_configENS1_35radix_sort_onesweep_config_selectorIjNS0_10empty_typeEEEZNS1_34radix_sort_onesweep_global_offsetsIS3_Lb0EN6thrust23THRUST_200600_302600_NS6detail15normal_iteratorINS9_10device_ptrIjEEEEPS5_jNS0_19identity_decomposerEEE10hipError_tT1_T2_PT3_SK_jT4_jjP12ihipStream_tbEUlT_E0_NS1_11comp_targetILNS1_3genE8ELNS1_11target_archE1030ELNS1_3gpuE2ELNS1_3repE0EEENS1_52radix_sort_onesweep_histogram_config_static_selectorELNS0_4arch9wavefront6targetE1EEEvSI_,comdat
.Lfunc_end1091:
	.size	_ZN7rocprim17ROCPRIM_400000_NS6detail17trampoline_kernelINS0_14default_configENS1_35radix_sort_onesweep_config_selectorIjNS0_10empty_typeEEEZNS1_34radix_sort_onesweep_global_offsetsIS3_Lb0EN6thrust23THRUST_200600_302600_NS6detail15normal_iteratorINS9_10device_ptrIjEEEEPS5_jNS0_19identity_decomposerEEE10hipError_tT1_T2_PT3_SK_jT4_jjP12ihipStream_tbEUlT_E0_NS1_11comp_targetILNS1_3genE8ELNS1_11target_archE1030ELNS1_3gpuE2ELNS1_3repE0EEENS1_52radix_sort_onesweep_histogram_config_static_selectorELNS0_4arch9wavefront6targetE1EEEvSI_, .Lfunc_end1091-_ZN7rocprim17ROCPRIM_400000_NS6detail17trampoline_kernelINS0_14default_configENS1_35radix_sort_onesweep_config_selectorIjNS0_10empty_typeEEEZNS1_34radix_sort_onesweep_global_offsetsIS3_Lb0EN6thrust23THRUST_200600_302600_NS6detail15normal_iteratorINS9_10device_ptrIjEEEEPS5_jNS0_19identity_decomposerEEE10hipError_tT1_T2_PT3_SK_jT4_jjP12ihipStream_tbEUlT_E0_NS1_11comp_targetILNS1_3genE8ELNS1_11target_archE1030ELNS1_3gpuE2ELNS1_3repE0EEENS1_52radix_sort_onesweep_histogram_config_static_selectorELNS0_4arch9wavefront6targetE1EEEvSI_
                                        ; -- End function
	.section	.AMDGPU.csdata,"",@progbits
; Kernel info:
; codeLenInByte = 0
; NumSgprs: 4
; NumVgprs: 0
; NumAgprs: 0
; TotalNumVgprs: 0
; ScratchSize: 0
; MemoryBound: 0
; FloatMode: 240
; IeeeMode: 1
; LDSByteSize: 0 bytes/workgroup (compile time only)
; SGPRBlocks: 0
; VGPRBlocks: 0
; NumSGPRsForWavesPerEU: 4
; NumVGPRsForWavesPerEU: 1
; AccumOffset: 4
; Occupancy: 8
; WaveLimiterHint : 0
; COMPUTE_PGM_RSRC2:SCRATCH_EN: 0
; COMPUTE_PGM_RSRC2:USER_SGPR: 6
; COMPUTE_PGM_RSRC2:TRAP_HANDLER: 0
; COMPUTE_PGM_RSRC2:TGID_X_EN: 1
; COMPUTE_PGM_RSRC2:TGID_Y_EN: 0
; COMPUTE_PGM_RSRC2:TGID_Z_EN: 0
; COMPUTE_PGM_RSRC2:TIDIG_COMP_CNT: 0
; COMPUTE_PGM_RSRC3_GFX90A:ACCUM_OFFSET: 0
; COMPUTE_PGM_RSRC3_GFX90A:TG_SPLIT: 0
	.section	.text._ZN7rocprim17ROCPRIM_400000_NS6detail17trampoline_kernelINS0_14default_configENS1_25transform_config_selectorIjLb0EEEZNS1_14transform_implILb0ES3_S5_N6thrust23THRUST_200600_302600_NS6detail15normal_iteratorINS8_10device_ptrIjEEEEPjNS0_8identityIjEEEE10hipError_tT2_T3_mT4_P12ihipStream_tbEUlT_E_NS1_11comp_targetILNS1_3genE0ELNS1_11target_archE4294967295ELNS1_3gpuE0ELNS1_3repE0EEENS1_30default_config_static_selectorELNS0_4arch9wavefront6targetE1EEEvT1_,"axG",@progbits,_ZN7rocprim17ROCPRIM_400000_NS6detail17trampoline_kernelINS0_14default_configENS1_25transform_config_selectorIjLb0EEEZNS1_14transform_implILb0ES3_S5_N6thrust23THRUST_200600_302600_NS6detail15normal_iteratorINS8_10device_ptrIjEEEEPjNS0_8identityIjEEEE10hipError_tT2_T3_mT4_P12ihipStream_tbEUlT_E_NS1_11comp_targetILNS1_3genE0ELNS1_11target_archE4294967295ELNS1_3gpuE0ELNS1_3repE0EEENS1_30default_config_static_selectorELNS0_4arch9wavefront6targetE1EEEvT1_,comdat
	.protected	_ZN7rocprim17ROCPRIM_400000_NS6detail17trampoline_kernelINS0_14default_configENS1_25transform_config_selectorIjLb0EEEZNS1_14transform_implILb0ES3_S5_N6thrust23THRUST_200600_302600_NS6detail15normal_iteratorINS8_10device_ptrIjEEEEPjNS0_8identityIjEEEE10hipError_tT2_T3_mT4_P12ihipStream_tbEUlT_E_NS1_11comp_targetILNS1_3genE0ELNS1_11target_archE4294967295ELNS1_3gpuE0ELNS1_3repE0EEENS1_30default_config_static_selectorELNS0_4arch9wavefront6targetE1EEEvT1_ ; -- Begin function _ZN7rocprim17ROCPRIM_400000_NS6detail17trampoline_kernelINS0_14default_configENS1_25transform_config_selectorIjLb0EEEZNS1_14transform_implILb0ES3_S5_N6thrust23THRUST_200600_302600_NS6detail15normal_iteratorINS8_10device_ptrIjEEEEPjNS0_8identityIjEEEE10hipError_tT2_T3_mT4_P12ihipStream_tbEUlT_E_NS1_11comp_targetILNS1_3genE0ELNS1_11target_archE4294967295ELNS1_3gpuE0ELNS1_3repE0EEENS1_30default_config_static_selectorELNS0_4arch9wavefront6targetE1EEEvT1_
	.globl	_ZN7rocprim17ROCPRIM_400000_NS6detail17trampoline_kernelINS0_14default_configENS1_25transform_config_selectorIjLb0EEEZNS1_14transform_implILb0ES3_S5_N6thrust23THRUST_200600_302600_NS6detail15normal_iteratorINS8_10device_ptrIjEEEEPjNS0_8identityIjEEEE10hipError_tT2_T3_mT4_P12ihipStream_tbEUlT_E_NS1_11comp_targetILNS1_3genE0ELNS1_11target_archE4294967295ELNS1_3gpuE0ELNS1_3repE0EEENS1_30default_config_static_selectorELNS0_4arch9wavefront6targetE1EEEvT1_
	.p2align	8
	.type	_ZN7rocprim17ROCPRIM_400000_NS6detail17trampoline_kernelINS0_14default_configENS1_25transform_config_selectorIjLb0EEEZNS1_14transform_implILb0ES3_S5_N6thrust23THRUST_200600_302600_NS6detail15normal_iteratorINS8_10device_ptrIjEEEEPjNS0_8identityIjEEEE10hipError_tT2_T3_mT4_P12ihipStream_tbEUlT_E_NS1_11comp_targetILNS1_3genE0ELNS1_11target_archE4294967295ELNS1_3gpuE0ELNS1_3repE0EEENS1_30default_config_static_selectorELNS0_4arch9wavefront6targetE1EEEvT1_,@function
_ZN7rocprim17ROCPRIM_400000_NS6detail17trampoline_kernelINS0_14default_configENS1_25transform_config_selectorIjLb0EEEZNS1_14transform_implILb0ES3_S5_N6thrust23THRUST_200600_302600_NS6detail15normal_iteratorINS8_10device_ptrIjEEEEPjNS0_8identityIjEEEE10hipError_tT2_T3_mT4_P12ihipStream_tbEUlT_E_NS1_11comp_targetILNS1_3genE0ELNS1_11target_archE4294967295ELNS1_3gpuE0ELNS1_3repE0EEENS1_30default_config_static_selectorELNS0_4arch9wavefront6targetE1EEEvT1_: ; @_ZN7rocprim17ROCPRIM_400000_NS6detail17trampoline_kernelINS0_14default_configENS1_25transform_config_selectorIjLb0EEEZNS1_14transform_implILb0ES3_S5_N6thrust23THRUST_200600_302600_NS6detail15normal_iteratorINS8_10device_ptrIjEEEEPjNS0_8identityIjEEEE10hipError_tT2_T3_mT4_P12ihipStream_tbEUlT_E_NS1_11comp_targetILNS1_3genE0ELNS1_11target_archE4294967295ELNS1_3gpuE0ELNS1_3repE0EEENS1_30default_config_static_selectorELNS0_4arch9wavefront6targetE1EEEvT1_
; %bb.0:
	.section	.rodata,"a",@progbits
	.p2align	6, 0x0
	.amdhsa_kernel _ZN7rocprim17ROCPRIM_400000_NS6detail17trampoline_kernelINS0_14default_configENS1_25transform_config_selectorIjLb0EEEZNS1_14transform_implILb0ES3_S5_N6thrust23THRUST_200600_302600_NS6detail15normal_iteratorINS8_10device_ptrIjEEEEPjNS0_8identityIjEEEE10hipError_tT2_T3_mT4_P12ihipStream_tbEUlT_E_NS1_11comp_targetILNS1_3genE0ELNS1_11target_archE4294967295ELNS1_3gpuE0ELNS1_3repE0EEENS1_30default_config_static_selectorELNS0_4arch9wavefront6targetE1EEEvT1_
		.amdhsa_group_segment_fixed_size 0
		.amdhsa_private_segment_fixed_size 0
		.amdhsa_kernarg_size 40
		.amdhsa_user_sgpr_count 6
		.amdhsa_user_sgpr_private_segment_buffer 1
		.amdhsa_user_sgpr_dispatch_ptr 0
		.amdhsa_user_sgpr_queue_ptr 0
		.amdhsa_user_sgpr_kernarg_segment_ptr 1
		.amdhsa_user_sgpr_dispatch_id 0
		.amdhsa_user_sgpr_flat_scratch_init 0
		.amdhsa_user_sgpr_kernarg_preload_length 0
		.amdhsa_user_sgpr_kernarg_preload_offset 0
		.amdhsa_user_sgpr_private_segment_size 0
		.amdhsa_uses_dynamic_stack 0
		.amdhsa_system_sgpr_private_segment_wavefront_offset 0
		.amdhsa_system_sgpr_workgroup_id_x 1
		.amdhsa_system_sgpr_workgroup_id_y 0
		.amdhsa_system_sgpr_workgroup_id_z 0
		.amdhsa_system_sgpr_workgroup_info 0
		.amdhsa_system_vgpr_workitem_id 0
		.amdhsa_next_free_vgpr 1
		.amdhsa_next_free_sgpr 0
		.amdhsa_accum_offset 4
		.amdhsa_reserve_vcc 0
		.amdhsa_reserve_flat_scratch 0
		.amdhsa_float_round_mode_32 0
		.amdhsa_float_round_mode_16_64 0
		.amdhsa_float_denorm_mode_32 3
		.amdhsa_float_denorm_mode_16_64 3
		.amdhsa_dx10_clamp 1
		.amdhsa_ieee_mode 1
		.amdhsa_fp16_overflow 0
		.amdhsa_tg_split 0
		.amdhsa_exception_fp_ieee_invalid_op 0
		.amdhsa_exception_fp_denorm_src 0
		.amdhsa_exception_fp_ieee_div_zero 0
		.amdhsa_exception_fp_ieee_overflow 0
		.amdhsa_exception_fp_ieee_underflow 0
		.amdhsa_exception_fp_ieee_inexact 0
		.amdhsa_exception_int_div_zero 0
	.end_amdhsa_kernel
	.section	.text._ZN7rocprim17ROCPRIM_400000_NS6detail17trampoline_kernelINS0_14default_configENS1_25transform_config_selectorIjLb0EEEZNS1_14transform_implILb0ES3_S5_N6thrust23THRUST_200600_302600_NS6detail15normal_iteratorINS8_10device_ptrIjEEEEPjNS0_8identityIjEEEE10hipError_tT2_T3_mT4_P12ihipStream_tbEUlT_E_NS1_11comp_targetILNS1_3genE0ELNS1_11target_archE4294967295ELNS1_3gpuE0ELNS1_3repE0EEENS1_30default_config_static_selectorELNS0_4arch9wavefront6targetE1EEEvT1_,"axG",@progbits,_ZN7rocprim17ROCPRIM_400000_NS6detail17trampoline_kernelINS0_14default_configENS1_25transform_config_selectorIjLb0EEEZNS1_14transform_implILb0ES3_S5_N6thrust23THRUST_200600_302600_NS6detail15normal_iteratorINS8_10device_ptrIjEEEEPjNS0_8identityIjEEEE10hipError_tT2_T3_mT4_P12ihipStream_tbEUlT_E_NS1_11comp_targetILNS1_3genE0ELNS1_11target_archE4294967295ELNS1_3gpuE0ELNS1_3repE0EEENS1_30default_config_static_selectorELNS0_4arch9wavefront6targetE1EEEvT1_,comdat
.Lfunc_end1092:
	.size	_ZN7rocprim17ROCPRIM_400000_NS6detail17trampoline_kernelINS0_14default_configENS1_25transform_config_selectorIjLb0EEEZNS1_14transform_implILb0ES3_S5_N6thrust23THRUST_200600_302600_NS6detail15normal_iteratorINS8_10device_ptrIjEEEEPjNS0_8identityIjEEEE10hipError_tT2_T3_mT4_P12ihipStream_tbEUlT_E_NS1_11comp_targetILNS1_3genE0ELNS1_11target_archE4294967295ELNS1_3gpuE0ELNS1_3repE0EEENS1_30default_config_static_selectorELNS0_4arch9wavefront6targetE1EEEvT1_, .Lfunc_end1092-_ZN7rocprim17ROCPRIM_400000_NS6detail17trampoline_kernelINS0_14default_configENS1_25transform_config_selectorIjLb0EEEZNS1_14transform_implILb0ES3_S5_N6thrust23THRUST_200600_302600_NS6detail15normal_iteratorINS8_10device_ptrIjEEEEPjNS0_8identityIjEEEE10hipError_tT2_T3_mT4_P12ihipStream_tbEUlT_E_NS1_11comp_targetILNS1_3genE0ELNS1_11target_archE4294967295ELNS1_3gpuE0ELNS1_3repE0EEENS1_30default_config_static_selectorELNS0_4arch9wavefront6targetE1EEEvT1_
                                        ; -- End function
	.section	.AMDGPU.csdata,"",@progbits
; Kernel info:
; codeLenInByte = 0
; NumSgprs: 4
; NumVgprs: 0
; NumAgprs: 0
; TotalNumVgprs: 0
; ScratchSize: 0
; MemoryBound: 0
; FloatMode: 240
; IeeeMode: 1
; LDSByteSize: 0 bytes/workgroup (compile time only)
; SGPRBlocks: 0
; VGPRBlocks: 0
; NumSGPRsForWavesPerEU: 4
; NumVGPRsForWavesPerEU: 1
; AccumOffset: 4
; Occupancy: 8
; WaveLimiterHint : 0
; COMPUTE_PGM_RSRC2:SCRATCH_EN: 0
; COMPUTE_PGM_RSRC2:USER_SGPR: 6
; COMPUTE_PGM_RSRC2:TRAP_HANDLER: 0
; COMPUTE_PGM_RSRC2:TGID_X_EN: 1
; COMPUTE_PGM_RSRC2:TGID_Y_EN: 0
; COMPUTE_PGM_RSRC2:TGID_Z_EN: 0
; COMPUTE_PGM_RSRC2:TIDIG_COMP_CNT: 0
; COMPUTE_PGM_RSRC3_GFX90A:ACCUM_OFFSET: 0
; COMPUTE_PGM_RSRC3_GFX90A:TG_SPLIT: 0
	.section	.text._ZN7rocprim17ROCPRIM_400000_NS6detail17trampoline_kernelINS0_14default_configENS1_25transform_config_selectorIjLb0EEEZNS1_14transform_implILb0ES3_S5_N6thrust23THRUST_200600_302600_NS6detail15normal_iteratorINS8_10device_ptrIjEEEEPjNS0_8identityIjEEEE10hipError_tT2_T3_mT4_P12ihipStream_tbEUlT_E_NS1_11comp_targetILNS1_3genE5ELNS1_11target_archE942ELNS1_3gpuE9ELNS1_3repE0EEENS1_30default_config_static_selectorELNS0_4arch9wavefront6targetE1EEEvT1_,"axG",@progbits,_ZN7rocprim17ROCPRIM_400000_NS6detail17trampoline_kernelINS0_14default_configENS1_25transform_config_selectorIjLb0EEEZNS1_14transform_implILb0ES3_S5_N6thrust23THRUST_200600_302600_NS6detail15normal_iteratorINS8_10device_ptrIjEEEEPjNS0_8identityIjEEEE10hipError_tT2_T3_mT4_P12ihipStream_tbEUlT_E_NS1_11comp_targetILNS1_3genE5ELNS1_11target_archE942ELNS1_3gpuE9ELNS1_3repE0EEENS1_30default_config_static_selectorELNS0_4arch9wavefront6targetE1EEEvT1_,comdat
	.protected	_ZN7rocprim17ROCPRIM_400000_NS6detail17trampoline_kernelINS0_14default_configENS1_25transform_config_selectorIjLb0EEEZNS1_14transform_implILb0ES3_S5_N6thrust23THRUST_200600_302600_NS6detail15normal_iteratorINS8_10device_ptrIjEEEEPjNS0_8identityIjEEEE10hipError_tT2_T3_mT4_P12ihipStream_tbEUlT_E_NS1_11comp_targetILNS1_3genE5ELNS1_11target_archE942ELNS1_3gpuE9ELNS1_3repE0EEENS1_30default_config_static_selectorELNS0_4arch9wavefront6targetE1EEEvT1_ ; -- Begin function _ZN7rocprim17ROCPRIM_400000_NS6detail17trampoline_kernelINS0_14default_configENS1_25transform_config_selectorIjLb0EEEZNS1_14transform_implILb0ES3_S5_N6thrust23THRUST_200600_302600_NS6detail15normal_iteratorINS8_10device_ptrIjEEEEPjNS0_8identityIjEEEE10hipError_tT2_T3_mT4_P12ihipStream_tbEUlT_E_NS1_11comp_targetILNS1_3genE5ELNS1_11target_archE942ELNS1_3gpuE9ELNS1_3repE0EEENS1_30default_config_static_selectorELNS0_4arch9wavefront6targetE1EEEvT1_
	.globl	_ZN7rocprim17ROCPRIM_400000_NS6detail17trampoline_kernelINS0_14default_configENS1_25transform_config_selectorIjLb0EEEZNS1_14transform_implILb0ES3_S5_N6thrust23THRUST_200600_302600_NS6detail15normal_iteratorINS8_10device_ptrIjEEEEPjNS0_8identityIjEEEE10hipError_tT2_T3_mT4_P12ihipStream_tbEUlT_E_NS1_11comp_targetILNS1_3genE5ELNS1_11target_archE942ELNS1_3gpuE9ELNS1_3repE0EEENS1_30default_config_static_selectorELNS0_4arch9wavefront6targetE1EEEvT1_
	.p2align	8
	.type	_ZN7rocprim17ROCPRIM_400000_NS6detail17trampoline_kernelINS0_14default_configENS1_25transform_config_selectorIjLb0EEEZNS1_14transform_implILb0ES3_S5_N6thrust23THRUST_200600_302600_NS6detail15normal_iteratorINS8_10device_ptrIjEEEEPjNS0_8identityIjEEEE10hipError_tT2_T3_mT4_P12ihipStream_tbEUlT_E_NS1_11comp_targetILNS1_3genE5ELNS1_11target_archE942ELNS1_3gpuE9ELNS1_3repE0EEENS1_30default_config_static_selectorELNS0_4arch9wavefront6targetE1EEEvT1_,@function
_ZN7rocprim17ROCPRIM_400000_NS6detail17trampoline_kernelINS0_14default_configENS1_25transform_config_selectorIjLb0EEEZNS1_14transform_implILb0ES3_S5_N6thrust23THRUST_200600_302600_NS6detail15normal_iteratorINS8_10device_ptrIjEEEEPjNS0_8identityIjEEEE10hipError_tT2_T3_mT4_P12ihipStream_tbEUlT_E_NS1_11comp_targetILNS1_3genE5ELNS1_11target_archE942ELNS1_3gpuE9ELNS1_3repE0EEENS1_30default_config_static_selectorELNS0_4arch9wavefront6targetE1EEEvT1_: ; @_ZN7rocprim17ROCPRIM_400000_NS6detail17trampoline_kernelINS0_14default_configENS1_25transform_config_selectorIjLb0EEEZNS1_14transform_implILb0ES3_S5_N6thrust23THRUST_200600_302600_NS6detail15normal_iteratorINS8_10device_ptrIjEEEEPjNS0_8identityIjEEEE10hipError_tT2_T3_mT4_P12ihipStream_tbEUlT_E_NS1_11comp_targetILNS1_3genE5ELNS1_11target_archE942ELNS1_3gpuE9ELNS1_3repE0EEENS1_30default_config_static_selectorELNS0_4arch9wavefront6targetE1EEEvT1_
; %bb.0:
	.section	.rodata,"a",@progbits
	.p2align	6, 0x0
	.amdhsa_kernel _ZN7rocprim17ROCPRIM_400000_NS6detail17trampoline_kernelINS0_14default_configENS1_25transform_config_selectorIjLb0EEEZNS1_14transform_implILb0ES3_S5_N6thrust23THRUST_200600_302600_NS6detail15normal_iteratorINS8_10device_ptrIjEEEEPjNS0_8identityIjEEEE10hipError_tT2_T3_mT4_P12ihipStream_tbEUlT_E_NS1_11comp_targetILNS1_3genE5ELNS1_11target_archE942ELNS1_3gpuE9ELNS1_3repE0EEENS1_30default_config_static_selectorELNS0_4arch9wavefront6targetE1EEEvT1_
		.amdhsa_group_segment_fixed_size 0
		.amdhsa_private_segment_fixed_size 0
		.amdhsa_kernarg_size 40
		.amdhsa_user_sgpr_count 6
		.amdhsa_user_sgpr_private_segment_buffer 1
		.amdhsa_user_sgpr_dispatch_ptr 0
		.amdhsa_user_sgpr_queue_ptr 0
		.amdhsa_user_sgpr_kernarg_segment_ptr 1
		.amdhsa_user_sgpr_dispatch_id 0
		.amdhsa_user_sgpr_flat_scratch_init 0
		.amdhsa_user_sgpr_kernarg_preload_length 0
		.amdhsa_user_sgpr_kernarg_preload_offset 0
		.amdhsa_user_sgpr_private_segment_size 0
		.amdhsa_uses_dynamic_stack 0
		.amdhsa_system_sgpr_private_segment_wavefront_offset 0
		.amdhsa_system_sgpr_workgroup_id_x 1
		.amdhsa_system_sgpr_workgroup_id_y 0
		.amdhsa_system_sgpr_workgroup_id_z 0
		.amdhsa_system_sgpr_workgroup_info 0
		.amdhsa_system_vgpr_workitem_id 0
		.amdhsa_next_free_vgpr 1
		.amdhsa_next_free_sgpr 0
		.amdhsa_accum_offset 4
		.amdhsa_reserve_vcc 0
		.amdhsa_reserve_flat_scratch 0
		.amdhsa_float_round_mode_32 0
		.amdhsa_float_round_mode_16_64 0
		.amdhsa_float_denorm_mode_32 3
		.amdhsa_float_denorm_mode_16_64 3
		.amdhsa_dx10_clamp 1
		.amdhsa_ieee_mode 1
		.amdhsa_fp16_overflow 0
		.amdhsa_tg_split 0
		.amdhsa_exception_fp_ieee_invalid_op 0
		.amdhsa_exception_fp_denorm_src 0
		.amdhsa_exception_fp_ieee_div_zero 0
		.amdhsa_exception_fp_ieee_overflow 0
		.amdhsa_exception_fp_ieee_underflow 0
		.amdhsa_exception_fp_ieee_inexact 0
		.amdhsa_exception_int_div_zero 0
	.end_amdhsa_kernel
	.section	.text._ZN7rocprim17ROCPRIM_400000_NS6detail17trampoline_kernelINS0_14default_configENS1_25transform_config_selectorIjLb0EEEZNS1_14transform_implILb0ES3_S5_N6thrust23THRUST_200600_302600_NS6detail15normal_iteratorINS8_10device_ptrIjEEEEPjNS0_8identityIjEEEE10hipError_tT2_T3_mT4_P12ihipStream_tbEUlT_E_NS1_11comp_targetILNS1_3genE5ELNS1_11target_archE942ELNS1_3gpuE9ELNS1_3repE0EEENS1_30default_config_static_selectorELNS0_4arch9wavefront6targetE1EEEvT1_,"axG",@progbits,_ZN7rocprim17ROCPRIM_400000_NS6detail17trampoline_kernelINS0_14default_configENS1_25transform_config_selectorIjLb0EEEZNS1_14transform_implILb0ES3_S5_N6thrust23THRUST_200600_302600_NS6detail15normal_iteratorINS8_10device_ptrIjEEEEPjNS0_8identityIjEEEE10hipError_tT2_T3_mT4_P12ihipStream_tbEUlT_E_NS1_11comp_targetILNS1_3genE5ELNS1_11target_archE942ELNS1_3gpuE9ELNS1_3repE0EEENS1_30default_config_static_selectorELNS0_4arch9wavefront6targetE1EEEvT1_,comdat
.Lfunc_end1093:
	.size	_ZN7rocprim17ROCPRIM_400000_NS6detail17trampoline_kernelINS0_14default_configENS1_25transform_config_selectorIjLb0EEEZNS1_14transform_implILb0ES3_S5_N6thrust23THRUST_200600_302600_NS6detail15normal_iteratorINS8_10device_ptrIjEEEEPjNS0_8identityIjEEEE10hipError_tT2_T3_mT4_P12ihipStream_tbEUlT_E_NS1_11comp_targetILNS1_3genE5ELNS1_11target_archE942ELNS1_3gpuE9ELNS1_3repE0EEENS1_30default_config_static_selectorELNS0_4arch9wavefront6targetE1EEEvT1_, .Lfunc_end1093-_ZN7rocprim17ROCPRIM_400000_NS6detail17trampoline_kernelINS0_14default_configENS1_25transform_config_selectorIjLb0EEEZNS1_14transform_implILb0ES3_S5_N6thrust23THRUST_200600_302600_NS6detail15normal_iteratorINS8_10device_ptrIjEEEEPjNS0_8identityIjEEEE10hipError_tT2_T3_mT4_P12ihipStream_tbEUlT_E_NS1_11comp_targetILNS1_3genE5ELNS1_11target_archE942ELNS1_3gpuE9ELNS1_3repE0EEENS1_30default_config_static_selectorELNS0_4arch9wavefront6targetE1EEEvT1_
                                        ; -- End function
	.section	.AMDGPU.csdata,"",@progbits
; Kernel info:
; codeLenInByte = 0
; NumSgprs: 4
; NumVgprs: 0
; NumAgprs: 0
; TotalNumVgprs: 0
; ScratchSize: 0
; MemoryBound: 0
; FloatMode: 240
; IeeeMode: 1
; LDSByteSize: 0 bytes/workgroup (compile time only)
; SGPRBlocks: 0
; VGPRBlocks: 0
; NumSGPRsForWavesPerEU: 4
; NumVGPRsForWavesPerEU: 1
; AccumOffset: 4
; Occupancy: 8
; WaveLimiterHint : 0
; COMPUTE_PGM_RSRC2:SCRATCH_EN: 0
; COMPUTE_PGM_RSRC2:USER_SGPR: 6
; COMPUTE_PGM_RSRC2:TRAP_HANDLER: 0
; COMPUTE_PGM_RSRC2:TGID_X_EN: 1
; COMPUTE_PGM_RSRC2:TGID_Y_EN: 0
; COMPUTE_PGM_RSRC2:TGID_Z_EN: 0
; COMPUTE_PGM_RSRC2:TIDIG_COMP_CNT: 0
; COMPUTE_PGM_RSRC3_GFX90A:ACCUM_OFFSET: 0
; COMPUTE_PGM_RSRC3_GFX90A:TG_SPLIT: 0
	.section	.text._ZN7rocprim17ROCPRIM_400000_NS6detail17trampoline_kernelINS0_14default_configENS1_25transform_config_selectorIjLb0EEEZNS1_14transform_implILb0ES3_S5_N6thrust23THRUST_200600_302600_NS6detail15normal_iteratorINS8_10device_ptrIjEEEEPjNS0_8identityIjEEEE10hipError_tT2_T3_mT4_P12ihipStream_tbEUlT_E_NS1_11comp_targetILNS1_3genE4ELNS1_11target_archE910ELNS1_3gpuE8ELNS1_3repE0EEENS1_30default_config_static_selectorELNS0_4arch9wavefront6targetE1EEEvT1_,"axG",@progbits,_ZN7rocprim17ROCPRIM_400000_NS6detail17trampoline_kernelINS0_14default_configENS1_25transform_config_selectorIjLb0EEEZNS1_14transform_implILb0ES3_S5_N6thrust23THRUST_200600_302600_NS6detail15normal_iteratorINS8_10device_ptrIjEEEEPjNS0_8identityIjEEEE10hipError_tT2_T3_mT4_P12ihipStream_tbEUlT_E_NS1_11comp_targetILNS1_3genE4ELNS1_11target_archE910ELNS1_3gpuE8ELNS1_3repE0EEENS1_30default_config_static_selectorELNS0_4arch9wavefront6targetE1EEEvT1_,comdat
	.protected	_ZN7rocprim17ROCPRIM_400000_NS6detail17trampoline_kernelINS0_14default_configENS1_25transform_config_selectorIjLb0EEEZNS1_14transform_implILb0ES3_S5_N6thrust23THRUST_200600_302600_NS6detail15normal_iteratorINS8_10device_ptrIjEEEEPjNS0_8identityIjEEEE10hipError_tT2_T3_mT4_P12ihipStream_tbEUlT_E_NS1_11comp_targetILNS1_3genE4ELNS1_11target_archE910ELNS1_3gpuE8ELNS1_3repE0EEENS1_30default_config_static_selectorELNS0_4arch9wavefront6targetE1EEEvT1_ ; -- Begin function _ZN7rocprim17ROCPRIM_400000_NS6detail17trampoline_kernelINS0_14default_configENS1_25transform_config_selectorIjLb0EEEZNS1_14transform_implILb0ES3_S5_N6thrust23THRUST_200600_302600_NS6detail15normal_iteratorINS8_10device_ptrIjEEEEPjNS0_8identityIjEEEE10hipError_tT2_T3_mT4_P12ihipStream_tbEUlT_E_NS1_11comp_targetILNS1_3genE4ELNS1_11target_archE910ELNS1_3gpuE8ELNS1_3repE0EEENS1_30default_config_static_selectorELNS0_4arch9wavefront6targetE1EEEvT1_
	.globl	_ZN7rocprim17ROCPRIM_400000_NS6detail17trampoline_kernelINS0_14default_configENS1_25transform_config_selectorIjLb0EEEZNS1_14transform_implILb0ES3_S5_N6thrust23THRUST_200600_302600_NS6detail15normal_iteratorINS8_10device_ptrIjEEEEPjNS0_8identityIjEEEE10hipError_tT2_T3_mT4_P12ihipStream_tbEUlT_E_NS1_11comp_targetILNS1_3genE4ELNS1_11target_archE910ELNS1_3gpuE8ELNS1_3repE0EEENS1_30default_config_static_selectorELNS0_4arch9wavefront6targetE1EEEvT1_
	.p2align	8
	.type	_ZN7rocprim17ROCPRIM_400000_NS6detail17trampoline_kernelINS0_14default_configENS1_25transform_config_selectorIjLb0EEEZNS1_14transform_implILb0ES3_S5_N6thrust23THRUST_200600_302600_NS6detail15normal_iteratorINS8_10device_ptrIjEEEEPjNS0_8identityIjEEEE10hipError_tT2_T3_mT4_P12ihipStream_tbEUlT_E_NS1_11comp_targetILNS1_3genE4ELNS1_11target_archE910ELNS1_3gpuE8ELNS1_3repE0EEENS1_30default_config_static_selectorELNS0_4arch9wavefront6targetE1EEEvT1_,@function
_ZN7rocprim17ROCPRIM_400000_NS6detail17trampoline_kernelINS0_14default_configENS1_25transform_config_selectorIjLb0EEEZNS1_14transform_implILb0ES3_S5_N6thrust23THRUST_200600_302600_NS6detail15normal_iteratorINS8_10device_ptrIjEEEEPjNS0_8identityIjEEEE10hipError_tT2_T3_mT4_P12ihipStream_tbEUlT_E_NS1_11comp_targetILNS1_3genE4ELNS1_11target_archE910ELNS1_3gpuE8ELNS1_3repE0EEENS1_30default_config_static_selectorELNS0_4arch9wavefront6targetE1EEEvT1_: ; @_ZN7rocprim17ROCPRIM_400000_NS6detail17trampoline_kernelINS0_14default_configENS1_25transform_config_selectorIjLb0EEEZNS1_14transform_implILb0ES3_S5_N6thrust23THRUST_200600_302600_NS6detail15normal_iteratorINS8_10device_ptrIjEEEEPjNS0_8identityIjEEEE10hipError_tT2_T3_mT4_P12ihipStream_tbEUlT_E_NS1_11comp_targetILNS1_3genE4ELNS1_11target_archE910ELNS1_3gpuE8ELNS1_3repE0EEENS1_30default_config_static_selectorELNS0_4arch9wavefront6targetE1EEEvT1_
; %bb.0:
	s_load_dwordx8 s[8:15], s[4:5], 0x0
	s_load_dword s2, s[4:5], 0x28
	v_lshlrev_b32_e32 v1, 2, v0
	s_waitcnt lgkmcnt(0)
	s_lshl_b64 s[0:1], s[10:11], 2
	s_add_u32 s3, s8, s0
	s_addc_u32 s4, s9, s1
	s_add_u32 s10, s14, s0
	s_addc_u32 s11, s15, s1
	s_lshl_b32 s0, s6, 11
	s_mov_b32 s1, 0
	s_add_i32 s2, s2, -1
	s_lshl_b64 s[8:9], s[0:1], 2
	s_add_u32 s13, s3, s8
	s_addc_u32 s14, s4, s9
	s_cmp_lg_u32 s6, s2
	s_cbranch_scc0 .LBB1094_2
; %bb.1:
	v_mov_b32_e32 v3, s14
	v_add_co_u32_e32 v2, vcc, s13, v1
	v_addc_co_u32_e32 v3, vcc, 0, v3, vcc
	flat_load_dword v6, v[2:3]
	v_add_co_u32_e32 v2, vcc, 0x1000, v2
	v_addc_co_u32_e32 v3, vcc, 0, v3, vcc
	flat_load_dword v3, v[2:3]
	s_add_u32 s4, s10, s8
	s_addc_u32 s5, s11, s9
	v_mov_b32_e32 v2, s5
	v_add_co_u32_e32 v4, vcc, s4, v1
	v_addc_co_u32_e32 v5, vcc, 0, v2, vcc
	s_waitcnt vmcnt(0) lgkmcnt(0)
	global_store_dword v1, v6, s[4:5]
	s_mov_b64 s[4:5], -1
	s_cbranch_execz .LBB1094_3
	s_branch .LBB1094_12
.LBB1094_2:
	s_mov_b64 s[4:5], 0
                                        ; implicit-def: $vgpr3
                                        ; implicit-def: $vgpr4_vgpr5
.LBB1094_3:
	s_sub_i32 s6, s12, s0
	v_cmp_gt_u32_e32 vcc, s6, v0
                                        ; implicit-def: $vgpr2_vgpr3
	s_and_saveexec_b64 s[2:3], vcc
	s_cbranch_execz .LBB1094_5
; %bb.4:
	v_mov_b32_e32 v3, s14
	v_add_co_u32_e64 v2, s[0:1], s13, v1
	v_addc_co_u32_e64 v3, s[0:1], 0, v3, s[0:1]
	flat_load_dword v2, v[2:3]
.LBB1094_5:
	s_or_b64 exec, exec, s[2:3]
	v_or_b32_e32 v0, 0x400, v0
	v_cmp_gt_u32_e64 s[0:1], s6, v0
	s_and_saveexec_b64 s[6:7], s[0:1]
	s_cbranch_execz .LBB1094_7
; %bb.6:
	v_lshlrev_b32_e32 v0, 2, v0
	v_mov_b32_e32 v3, s14
	v_add_co_u32_e64 v4, s[2:3], s13, v0
	v_addc_co_u32_e64 v5, s[2:3], 0, v3, s[2:3]
	flat_load_dword v3, v[4:5]
.LBB1094_7:
	s_or_b64 exec, exec, s[6:7]
	s_add_u32 s2, s10, s8
	s_addc_u32 s3, s11, s9
	v_mov_b32_e32 v0, s3
	v_add_co_u32_e64 v4, s[2:3], s2, v1
	v_addc_co_u32_e64 v5, s[2:3], 0, v0, s[2:3]
	s_and_saveexec_b64 s[2:3], vcc
	s_cbranch_execz .LBB1094_9
; %bb.8:
	s_waitcnt vmcnt(0) lgkmcnt(0)
	global_store_dword v[4:5], v2, off
.LBB1094_9:
	s_or_b64 exec, exec, s[2:3]
	s_and_saveexec_b64 s[2:3], s[0:1]
; %bb.10:
	s_or_b64 s[4:5], s[4:5], exec
; %bb.11:
	s_or_b64 exec, exec, s[2:3]
.LBB1094_12:
	s_and_saveexec_b64 s[0:1], s[4:5]
	s_cbranch_execnz .LBB1094_14
; %bb.13:
	s_endpgm
.LBB1094_14:
	v_add_co_u32_e32 v0, vcc, 0x1000, v4
	v_addc_co_u32_e32 v1, vcc, 0, v5, vcc
	s_waitcnt vmcnt(0) lgkmcnt(0)
	global_store_dword v[0:1], v3, off
	s_endpgm
	.section	.rodata,"a",@progbits
	.p2align	6, 0x0
	.amdhsa_kernel _ZN7rocprim17ROCPRIM_400000_NS6detail17trampoline_kernelINS0_14default_configENS1_25transform_config_selectorIjLb0EEEZNS1_14transform_implILb0ES3_S5_N6thrust23THRUST_200600_302600_NS6detail15normal_iteratorINS8_10device_ptrIjEEEEPjNS0_8identityIjEEEE10hipError_tT2_T3_mT4_P12ihipStream_tbEUlT_E_NS1_11comp_targetILNS1_3genE4ELNS1_11target_archE910ELNS1_3gpuE8ELNS1_3repE0EEENS1_30default_config_static_selectorELNS0_4arch9wavefront6targetE1EEEvT1_
		.amdhsa_group_segment_fixed_size 0
		.amdhsa_private_segment_fixed_size 0
		.amdhsa_kernarg_size 296
		.amdhsa_user_sgpr_count 6
		.amdhsa_user_sgpr_private_segment_buffer 1
		.amdhsa_user_sgpr_dispatch_ptr 0
		.amdhsa_user_sgpr_queue_ptr 0
		.amdhsa_user_sgpr_kernarg_segment_ptr 1
		.amdhsa_user_sgpr_dispatch_id 0
		.amdhsa_user_sgpr_flat_scratch_init 0
		.amdhsa_user_sgpr_kernarg_preload_length 0
		.amdhsa_user_sgpr_kernarg_preload_offset 0
		.amdhsa_user_sgpr_private_segment_size 0
		.amdhsa_uses_dynamic_stack 0
		.amdhsa_system_sgpr_private_segment_wavefront_offset 0
		.amdhsa_system_sgpr_workgroup_id_x 1
		.amdhsa_system_sgpr_workgroup_id_y 0
		.amdhsa_system_sgpr_workgroup_id_z 0
		.amdhsa_system_sgpr_workgroup_info 0
		.amdhsa_system_vgpr_workitem_id 0
		.amdhsa_next_free_vgpr 7
		.amdhsa_next_free_sgpr 16
		.amdhsa_accum_offset 8
		.amdhsa_reserve_vcc 1
		.amdhsa_reserve_flat_scratch 0
		.amdhsa_float_round_mode_32 0
		.amdhsa_float_round_mode_16_64 0
		.amdhsa_float_denorm_mode_32 3
		.amdhsa_float_denorm_mode_16_64 3
		.amdhsa_dx10_clamp 1
		.amdhsa_ieee_mode 1
		.amdhsa_fp16_overflow 0
		.amdhsa_tg_split 0
		.amdhsa_exception_fp_ieee_invalid_op 0
		.amdhsa_exception_fp_denorm_src 0
		.amdhsa_exception_fp_ieee_div_zero 0
		.amdhsa_exception_fp_ieee_overflow 0
		.amdhsa_exception_fp_ieee_underflow 0
		.amdhsa_exception_fp_ieee_inexact 0
		.amdhsa_exception_int_div_zero 0
	.end_amdhsa_kernel
	.section	.text._ZN7rocprim17ROCPRIM_400000_NS6detail17trampoline_kernelINS0_14default_configENS1_25transform_config_selectorIjLb0EEEZNS1_14transform_implILb0ES3_S5_N6thrust23THRUST_200600_302600_NS6detail15normal_iteratorINS8_10device_ptrIjEEEEPjNS0_8identityIjEEEE10hipError_tT2_T3_mT4_P12ihipStream_tbEUlT_E_NS1_11comp_targetILNS1_3genE4ELNS1_11target_archE910ELNS1_3gpuE8ELNS1_3repE0EEENS1_30default_config_static_selectorELNS0_4arch9wavefront6targetE1EEEvT1_,"axG",@progbits,_ZN7rocprim17ROCPRIM_400000_NS6detail17trampoline_kernelINS0_14default_configENS1_25transform_config_selectorIjLb0EEEZNS1_14transform_implILb0ES3_S5_N6thrust23THRUST_200600_302600_NS6detail15normal_iteratorINS8_10device_ptrIjEEEEPjNS0_8identityIjEEEE10hipError_tT2_T3_mT4_P12ihipStream_tbEUlT_E_NS1_11comp_targetILNS1_3genE4ELNS1_11target_archE910ELNS1_3gpuE8ELNS1_3repE0EEENS1_30default_config_static_selectorELNS0_4arch9wavefront6targetE1EEEvT1_,comdat
.Lfunc_end1094:
	.size	_ZN7rocprim17ROCPRIM_400000_NS6detail17trampoline_kernelINS0_14default_configENS1_25transform_config_selectorIjLb0EEEZNS1_14transform_implILb0ES3_S5_N6thrust23THRUST_200600_302600_NS6detail15normal_iteratorINS8_10device_ptrIjEEEEPjNS0_8identityIjEEEE10hipError_tT2_T3_mT4_P12ihipStream_tbEUlT_E_NS1_11comp_targetILNS1_3genE4ELNS1_11target_archE910ELNS1_3gpuE8ELNS1_3repE0EEENS1_30default_config_static_selectorELNS0_4arch9wavefront6targetE1EEEvT1_, .Lfunc_end1094-_ZN7rocprim17ROCPRIM_400000_NS6detail17trampoline_kernelINS0_14default_configENS1_25transform_config_selectorIjLb0EEEZNS1_14transform_implILb0ES3_S5_N6thrust23THRUST_200600_302600_NS6detail15normal_iteratorINS8_10device_ptrIjEEEEPjNS0_8identityIjEEEE10hipError_tT2_T3_mT4_P12ihipStream_tbEUlT_E_NS1_11comp_targetILNS1_3genE4ELNS1_11target_archE910ELNS1_3gpuE8ELNS1_3repE0EEENS1_30default_config_static_selectorELNS0_4arch9wavefront6targetE1EEEvT1_
                                        ; -- End function
	.section	.AMDGPU.csdata,"",@progbits
; Kernel info:
; codeLenInByte = 376
; NumSgprs: 20
; NumVgprs: 7
; NumAgprs: 0
; TotalNumVgprs: 7
; ScratchSize: 0
; MemoryBound: 0
; FloatMode: 240
; IeeeMode: 1
; LDSByteSize: 0 bytes/workgroup (compile time only)
; SGPRBlocks: 2
; VGPRBlocks: 0
; NumSGPRsForWavesPerEU: 20
; NumVGPRsForWavesPerEU: 7
; AccumOffset: 8
; Occupancy: 8
; WaveLimiterHint : 1
; COMPUTE_PGM_RSRC2:SCRATCH_EN: 0
; COMPUTE_PGM_RSRC2:USER_SGPR: 6
; COMPUTE_PGM_RSRC2:TRAP_HANDLER: 0
; COMPUTE_PGM_RSRC2:TGID_X_EN: 1
; COMPUTE_PGM_RSRC2:TGID_Y_EN: 0
; COMPUTE_PGM_RSRC2:TGID_Z_EN: 0
; COMPUTE_PGM_RSRC2:TIDIG_COMP_CNT: 0
; COMPUTE_PGM_RSRC3_GFX90A:ACCUM_OFFSET: 1
; COMPUTE_PGM_RSRC3_GFX90A:TG_SPLIT: 0
	.section	.text._ZN7rocprim17ROCPRIM_400000_NS6detail17trampoline_kernelINS0_14default_configENS1_25transform_config_selectorIjLb0EEEZNS1_14transform_implILb0ES3_S5_N6thrust23THRUST_200600_302600_NS6detail15normal_iteratorINS8_10device_ptrIjEEEEPjNS0_8identityIjEEEE10hipError_tT2_T3_mT4_P12ihipStream_tbEUlT_E_NS1_11comp_targetILNS1_3genE3ELNS1_11target_archE908ELNS1_3gpuE7ELNS1_3repE0EEENS1_30default_config_static_selectorELNS0_4arch9wavefront6targetE1EEEvT1_,"axG",@progbits,_ZN7rocprim17ROCPRIM_400000_NS6detail17trampoline_kernelINS0_14default_configENS1_25transform_config_selectorIjLb0EEEZNS1_14transform_implILb0ES3_S5_N6thrust23THRUST_200600_302600_NS6detail15normal_iteratorINS8_10device_ptrIjEEEEPjNS0_8identityIjEEEE10hipError_tT2_T3_mT4_P12ihipStream_tbEUlT_E_NS1_11comp_targetILNS1_3genE3ELNS1_11target_archE908ELNS1_3gpuE7ELNS1_3repE0EEENS1_30default_config_static_selectorELNS0_4arch9wavefront6targetE1EEEvT1_,comdat
	.protected	_ZN7rocprim17ROCPRIM_400000_NS6detail17trampoline_kernelINS0_14default_configENS1_25transform_config_selectorIjLb0EEEZNS1_14transform_implILb0ES3_S5_N6thrust23THRUST_200600_302600_NS6detail15normal_iteratorINS8_10device_ptrIjEEEEPjNS0_8identityIjEEEE10hipError_tT2_T3_mT4_P12ihipStream_tbEUlT_E_NS1_11comp_targetILNS1_3genE3ELNS1_11target_archE908ELNS1_3gpuE7ELNS1_3repE0EEENS1_30default_config_static_selectorELNS0_4arch9wavefront6targetE1EEEvT1_ ; -- Begin function _ZN7rocprim17ROCPRIM_400000_NS6detail17trampoline_kernelINS0_14default_configENS1_25transform_config_selectorIjLb0EEEZNS1_14transform_implILb0ES3_S5_N6thrust23THRUST_200600_302600_NS6detail15normal_iteratorINS8_10device_ptrIjEEEEPjNS0_8identityIjEEEE10hipError_tT2_T3_mT4_P12ihipStream_tbEUlT_E_NS1_11comp_targetILNS1_3genE3ELNS1_11target_archE908ELNS1_3gpuE7ELNS1_3repE0EEENS1_30default_config_static_selectorELNS0_4arch9wavefront6targetE1EEEvT1_
	.globl	_ZN7rocprim17ROCPRIM_400000_NS6detail17trampoline_kernelINS0_14default_configENS1_25transform_config_selectorIjLb0EEEZNS1_14transform_implILb0ES3_S5_N6thrust23THRUST_200600_302600_NS6detail15normal_iteratorINS8_10device_ptrIjEEEEPjNS0_8identityIjEEEE10hipError_tT2_T3_mT4_P12ihipStream_tbEUlT_E_NS1_11comp_targetILNS1_3genE3ELNS1_11target_archE908ELNS1_3gpuE7ELNS1_3repE0EEENS1_30default_config_static_selectorELNS0_4arch9wavefront6targetE1EEEvT1_
	.p2align	8
	.type	_ZN7rocprim17ROCPRIM_400000_NS6detail17trampoline_kernelINS0_14default_configENS1_25transform_config_selectorIjLb0EEEZNS1_14transform_implILb0ES3_S5_N6thrust23THRUST_200600_302600_NS6detail15normal_iteratorINS8_10device_ptrIjEEEEPjNS0_8identityIjEEEE10hipError_tT2_T3_mT4_P12ihipStream_tbEUlT_E_NS1_11comp_targetILNS1_3genE3ELNS1_11target_archE908ELNS1_3gpuE7ELNS1_3repE0EEENS1_30default_config_static_selectorELNS0_4arch9wavefront6targetE1EEEvT1_,@function
_ZN7rocprim17ROCPRIM_400000_NS6detail17trampoline_kernelINS0_14default_configENS1_25transform_config_selectorIjLb0EEEZNS1_14transform_implILb0ES3_S5_N6thrust23THRUST_200600_302600_NS6detail15normal_iteratorINS8_10device_ptrIjEEEEPjNS0_8identityIjEEEE10hipError_tT2_T3_mT4_P12ihipStream_tbEUlT_E_NS1_11comp_targetILNS1_3genE3ELNS1_11target_archE908ELNS1_3gpuE7ELNS1_3repE0EEENS1_30default_config_static_selectorELNS0_4arch9wavefront6targetE1EEEvT1_: ; @_ZN7rocprim17ROCPRIM_400000_NS6detail17trampoline_kernelINS0_14default_configENS1_25transform_config_selectorIjLb0EEEZNS1_14transform_implILb0ES3_S5_N6thrust23THRUST_200600_302600_NS6detail15normal_iteratorINS8_10device_ptrIjEEEEPjNS0_8identityIjEEEE10hipError_tT2_T3_mT4_P12ihipStream_tbEUlT_E_NS1_11comp_targetILNS1_3genE3ELNS1_11target_archE908ELNS1_3gpuE7ELNS1_3repE0EEENS1_30default_config_static_selectorELNS0_4arch9wavefront6targetE1EEEvT1_
; %bb.0:
	.section	.rodata,"a",@progbits
	.p2align	6, 0x0
	.amdhsa_kernel _ZN7rocprim17ROCPRIM_400000_NS6detail17trampoline_kernelINS0_14default_configENS1_25transform_config_selectorIjLb0EEEZNS1_14transform_implILb0ES3_S5_N6thrust23THRUST_200600_302600_NS6detail15normal_iteratorINS8_10device_ptrIjEEEEPjNS0_8identityIjEEEE10hipError_tT2_T3_mT4_P12ihipStream_tbEUlT_E_NS1_11comp_targetILNS1_3genE3ELNS1_11target_archE908ELNS1_3gpuE7ELNS1_3repE0EEENS1_30default_config_static_selectorELNS0_4arch9wavefront6targetE1EEEvT1_
		.amdhsa_group_segment_fixed_size 0
		.amdhsa_private_segment_fixed_size 0
		.amdhsa_kernarg_size 40
		.amdhsa_user_sgpr_count 6
		.amdhsa_user_sgpr_private_segment_buffer 1
		.amdhsa_user_sgpr_dispatch_ptr 0
		.amdhsa_user_sgpr_queue_ptr 0
		.amdhsa_user_sgpr_kernarg_segment_ptr 1
		.amdhsa_user_sgpr_dispatch_id 0
		.amdhsa_user_sgpr_flat_scratch_init 0
		.amdhsa_user_sgpr_kernarg_preload_length 0
		.amdhsa_user_sgpr_kernarg_preload_offset 0
		.amdhsa_user_sgpr_private_segment_size 0
		.amdhsa_uses_dynamic_stack 0
		.amdhsa_system_sgpr_private_segment_wavefront_offset 0
		.amdhsa_system_sgpr_workgroup_id_x 1
		.amdhsa_system_sgpr_workgroup_id_y 0
		.amdhsa_system_sgpr_workgroup_id_z 0
		.amdhsa_system_sgpr_workgroup_info 0
		.amdhsa_system_vgpr_workitem_id 0
		.amdhsa_next_free_vgpr 1
		.amdhsa_next_free_sgpr 0
		.amdhsa_accum_offset 4
		.amdhsa_reserve_vcc 0
		.amdhsa_reserve_flat_scratch 0
		.amdhsa_float_round_mode_32 0
		.amdhsa_float_round_mode_16_64 0
		.amdhsa_float_denorm_mode_32 3
		.amdhsa_float_denorm_mode_16_64 3
		.amdhsa_dx10_clamp 1
		.amdhsa_ieee_mode 1
		.amdhsa_fp16_overflow 0
		.amdhsa_tg_split 0
		.amdhsa_exception_fp_ieee_invalid_op 0
		.amdhsa_exception_fp_denorm_src 0
		.amdhsa_exception_fp_ieee_div_zero 0
		.amdhsa_exception_fp_ieee_overflow 0
		.amdhsa_exception_fp_ieee_underflow 0
		.amdhsa_exception_fp_ieee_inexact 0
		.amdhsa_exception_int_div_zero 0
	.end_amdhsa_kernel
	.section	.text._ZN7rocprim17ROCPRIM_400000_NS6detail17trampoline_kernelINS0_14default_configENS1_25transform_config_selectorIjLb0EEEZNS1_14transform_implILb0ES3_S5_N6thrust23THRUST_200600_302600_NS6detail15normal_iteratorINS8_10device_ptrIjEEEEPjNS0_8identityIjEEEE10hipError_tT2_T3_mT4_P12ihipStream_tbEUlT_E_NS1_11comp_targetILNS1_3genE3ELNS1_11target_archE908ELNS1_3gpuE7ELNS1_3repE0EEENS1_30default_config_static_selectorELNS0_4arch9wavefront6targetE1EEEvT1_,"axG",@progbits,_ZN7rocprim17ROCPRIM_400000_NS6detail17trampoline_kernelINS0_14default_configENS1_25transform_config_selectorIjLb0EEEZNS1_14transform_implILb0ES3_S5_N6thrust23THRUST_200600_302600_NS6detail15normal_iteratorINS8_10device_ptrIjEEEEPjNS0_8identityIjEEEE10hipError_tT2_T3_mT4_P12ihipStream_tbEUlT_E_NS1_11comp_targetILNS1_3genE3ELNS1_11target_archE908ELNS1_3gpuE7ELNS1_3repE0EEENS1_30default_config_static_selectorELNS0_4arch9wavefront6targetE1EEEvT1_,comdat
.Lfunc_end1095:
	.size	_ZN7rocprim17ROCPRIM_400000_NS6detail17trampoline_kernelINS0_14default_configENS1_25transform_config_selectorIjLb0EEEZNS1_14transform_implILb0ES3_S5_N6thrust23THRUST_200600_302600_NS6detail15normal_iteratorINS8_10device_ptrIjEEEEPjNS0_8identityIjEEEE10hipError_tT2_T3_mT4_P12ihipStream_tbEUlT_E_NS1_11comp_targetILNS1_3genE3ELNS1_11target_archE908ELNS1_3gpuE7ELNS1_3repE0EEENS1_30default_config_static_selectorELNS0_4arch9wavefront6targetE1EEEvT1_, .Lfunc_end1095-_ZN7rocprim17ROCPRIM_400000_NS6detail17trampoline_kernelINS0_14default_configENS1_25transform_config_selectorIjLb0EEEZNS1_14transform_implILb0ES3_S5_N6thrust23THRUST_200600_302600_NS6detail15normal_iteratorINS8_10device_ptrIjEEEEPjNS0_8identityIjEEEE10hipError_tT2_T3_mT4_P12ihipStream_tbEUlT_E_NS1_11comp_targetILNS1_3genE3ELNS1_11target_archE908ELNS1_3gpuE7ELNS1_3repE0EEENS1_30default_config_static_selectorELNS0_4arch9wavefront6targetE1EEEvT1_
                                        ; -- End function
	.section	.AMDGPU.csdata,"",@progbits
; Kernel info:
; codeLenInByte = 0
; NumSgprs: 4
; NumVgprs: 0
; NumAgprs: 0
; TotalNumVgprs: 0
; ScratchSize: 0
; MemoryBound: 0
; FloatMode: 240
; IeeeMode: 1
; LDSByteSize: 0 bytes/workgroup (compile time only)
; SGPRBlocks: 0
; VGPRBlocks: 0
; NumSGPRsForWavesPerEU: 4
; NumVGPRsForWavesPerEU: 1
; AccumOffset: 4
; Occupancy: 8
; WaveLimiterHint : 0
; COMPUTE_PGM_RSRC2:SCRATCH_EN: 0
; COMPUTE_PGM_RSRC2:USER_SGPR: 6
; COMPUTE_PGM_RSRC2:TRAP_HANDLER: 0
; COMPUTE_PGM_RSRC2:TGID_X_EN: 1
; COMPUTE_PGM_RSRC2:TGID_Y_EN: 0
; COMPUTE_PGM_RSRC2:TGID_Z_EN: 0
; COMPUTE_PGM_RSRC2:TIDIG_COMP_CNT: 0
; COMPUTE_PGM_RSRC3_GFX90A:ACCUM_OFFSET: 0
; COMPUTE_PGM_RSRC3_GFX90A:TG_SPLIT: 0
	.section	.text._ZN7rocprim17ROCPRIM_400000_NS6detail17trampoline_kernelINS0_14default_configENS1_25transform_config_selectorIjLb0EEEZNS1_14transform_implILb0ES3_S5_N6thrust23THRUST_200600_302600_NS6detail15normal_iteratorINS8_10device_ptrIjEEEEPjNS0_8identityIjEEEE10hipError_tT2_T3_mT4_P12ihipStream_tbEUlT_E_NS1_11comp_targetILNS1_3genE2ELNS1_11target_archE906ELNS1_3gpuE6ELNS1_3repE0EEENS1_30default_config_static_selectorELNS0_4arch9wavefront6targetE1EEEvT1_,"axG",@progbits,_ZN7rocprim17ROCPRIM_400000_NS6detail17trampoline_kernelINS0_14default_configENS1_25transform_config_selectorIjLb0EEEZNS1_14transform_implILb0ES3_S5_N6thrust23THRUST_200600_302600_NS6detail15normal_iteratorINS8_10device_ptrIjEEEEPjNS0_8identityIjEEEE10hipError_tT2_T3_mT4_P12ihipStream_tbEUlT_E_NS1_11comp_targetILNS1_3genE2ELNS1_11target_archE906ELNS1_3gpuE6ELNS1_3repE0EEENS1_30default_config_static_selectorELNS0_4arch9wavefront6targetE1EEEvT1_,comdat
	.protected	_ZN7rocprim17ROCPRIM_400000_NS6detail17trampoline_kernelINS0_14default_configENS1_25transform_config_selectorIjLb0EEEZNS1_14transform_implILb0ES3_S5_N6thrust23THRUST_200600_302600_NS6detail15normal_iteratorINS8_10device_ptrIjEEEEPjNS0_8identityIjEEEE10hipError_tT2_T3_mT4_P12ihipStream_tbEUlT_E_NS1_11comp_targetILNS1_3genE2ELNS1_11target_archE906ELNS1_3gpuE6ELNS1_3repE0EEENS1_30default_config_static_selectorELNS0_4arch9wavefront6targetE1EEEvT1_ ; -- Begin function _ZN7rocprim17ROCPRIM_400000_NS6detail17trampoline_kernelINS0_14default_configENS1_25transform_config_selectorIjLb0EEEZNS1_14transform_implILb0ES3_S5_N6thrust23THRUST_200600_302600_NS6detail15normal_iteratorINS8_10device_ptrIjEEEEPjNS0_8identityIjEEEE10hipError_tT2_T3_mT4_P12ihipStream_tbEUlT_E_NS1_11comp_targetILNS1_3genE2ELNS1_11target_archE906ELNS1_3gpuE6ELNS1_3repE0EEENS1_30default_config_static_selectorELNS0_4arch9wavefront6targetE1EEEvT1_
	.globl	_ZN7rocprim17ROCPRIM_400000_NS6detail17trampoline_kernelINS0_14default_configENS1_25transform_config_selectorIjLb0EEEZNS1_14transform_implILb0ES3_S5_N6thrust23THRUST_200600_302600_NS6detail15normal_iteratorINS8_10device_ptrIjEEEEPjNS0_8identityIjEEEE10hipError_tT2_T3_mT4_P12ihipStream_tbEUlT_E_NS1_11comp_targetILNS1_3genE2ELNS1_11target_archE906ELNS1_3gpuE6ELNS1_3repE0EEENS1_30default_config_static_selectorELNS0_4arch9wavefront6targetE1EEEvT1_
	.p2align	8
	.type	_ZN7rocprim17ROCPRIM_400000_NS6detail17trampoline_kernelINS0_14default_configENS1_25transform_config_selectorIjLb0EEEZNS1_14transform_implILb0ES3_S5_N6thrust23THRUST_200600_302600_NS6detail15normal_iteratorINS8_10device_ptrIjEEEEPjNS0_8identityIjEEEE10hipError_tT2_T3_mT4_P12ihipStream_tbEUlT_E_NS1_11comp_targetILNS1_3genE2ELNS1_11target_archE906ELNS1_3gpuE6ELNS1_3repE0EEENS1_30default_config_static_selectorELNS0_4arch9wavefront6targetE1EEEvT1_,@function
_ZN7rocprim17ROCPRIM_400000_NS6detail17trampoline_kernelINS0_14default_configENS1_25transform_config_selectorIjLb0EEEZNS1_14transform_implILb0ES3_S5_N6thrust23THRUST_200600_302600_NS6detail15normal_iteratorINS8_10device_ptrIjEEEEPjNS0_8identityIjEEEE10hipError_tT2_T3_mT4_P12ihipStream_tbEUlT_E_NS1_11comp_targetILNS1_3genE2ELNS1_11target_archE906ELNS1_3gpuE6ELNS1_3repE0EEENS1_30default_config_static_selectorELNS0_4arch9wavefront6targetE1EEEvT1_: ; @_ZN7rocprim17ROCPRIM_400000_NS6detail17trampoline_kernelINS0_14default_configENS1_25transform_config_selectorIjLb0EEEZNS1_14transform_implILb0ES3_S5_N6thrust23THRUST_200600_302600_NS6detail15normal_iteratorINS8_10device_ptrIjEEEEPjNS0_8identityIjEEEE10hipError_tT2_T3_mT4_P12ihipStream_tbEUlT_E_NS1_11comp_targetILNS1_3genE2ELNS1_11target_archE906ELNS1_3gpuE6ELNS1_3repE0EEENS1_30default_config_static_selectorELNS0_4arch9wavefront6targetE1EEEvT1_
; %bb.0:
	.section	.rodata,"a",@progbits
	.p2align	6, 0x0
	.amdhsa_kernel _ZN7rocprim17ROCPRIM_400000_NS6detail17trampoline_kernelINS0_14default_configENS1_25transform_config_selectorIjLb0EEEZNS1_14transform_implILb0ES3_S5_N6thrust23THRUST_200600_302600_NS6detail15normal_iteratorINS8_10device_ptrIjEEEEPjNS0_8identityIjEEEE10hipError_tT2_T3_mT4_P12ihipStream_tbEUlT_E_NS1_11comp_targetILNS1_3genE2ELNS1_11target_archE906ELNS1_3gpuE6ELNS1_3repE0EEENS1_30default_config_static_selectorELNS0_4arch9wavefront6targetE1EEEvT1_
		.amdhsa_group_segment_fixed_size 0
		.amdhsa_private_segment_fixed_size 0
		.amdhsa_kernarg_size 40
		.amdhsa_user_sgpr_count 6
		.amdhsa_user_sgpr_private_segment_buffer 1
		.amdhsa_user_sgpr_dispatch_ptr 0
		.amdhsa_user_sgpr_queue_ptr 0
		.amdhsa_user_sgpr_kernarg_segment_ptr 1
		.amdhsa_user_sgpr_dispatch_id 0
		.amdhsa_user_sgpr_flat_scratch_init 0
		.amdhsa_user_sgpr_kernarg_preload_length 0
		.amdhsa_user_sgpr_kernarg_preload_offset 0
		.amdhsa_user_sgpr_private_segment_size 0
		.amdhsa_uses_dynamic_stack 0
		.amdhsa_system_sgpr_private_segment_wavefront_offset 0
		.amdhsa_system_sgpr_workgroup_id_x 1
		.amdhsa_system_sgpr_workgroup_id_y 0
		.amdhsa_system_sgpr_workgroup_id_z 0
		.amdhsa_system_sgpr_workgroup_info 0
		.amdhsa_system_vgpr_workitem_id 0
		.amdhsa_next_free_vgpr 1
		.amdhsa_next_free_sgpr 0
		.amdhsa_accum_offset 4
		.amdhsa_reserve_vcc 0
		.amdhsa_reserve_flat_scratch 0
		.amdhsa_float_round_mode_32 0
		.amdhsa_float_round_mode_16_64 0
		.amdhsa_float_denorm_mode_32 3
		.amdhsa_float_denorm_mode_16_64 3
		.amdhsa_dx10_clamp 1
		.amdhsa_ieee_mode 1
		.amdhsa_fp16_overflow 0
		.amdhsa_tg_split 0
		.amdhsa_exception_fp_ieee_invalid_op 0
		.amdhsa_exception_fp_denorm_src 0
		.amdhsa_exception_fp_ieee_div_zero 0
		.amdhsa_exception_fp_ieee_overflow 0
		.amdhsa_exception_fp_ieee_underflow 0
		.amdhsa_exception_fp_ieee_inexact 0
		.amdhsa_exception_int_div_zero 0
	.end_amdhsa_kernel
	.section	.text._ZN7rocprim17ROCPRIM_400000_NS6detail17trampoline_kernelINS0_14default_configENS1_25transform_config_selectorIjLb0EEEZNS1_14transform_implILb0ES3_S5_N6thrust23THRUST_200600_302600_NS6detail15normal_iteratorINS8_10device_ptrIjEEEEPjNS0_8identityIjEEEE10hipError_tT2_T3_mT4_P12ihipStream_tbEUlT_E_NS1_11comp_targetILNS1_3genE2ELNS1_11target_archE906ELNS1_3gpuE6ELNS1_3repE0EEENS1_30default_config_static_selectorELNS0_4arch9wavefront6targetE1EEEvT1_,"axG",@progbits,_ZN7rocprim17ROCPRIM_400000_NS6detail17trampoline_kernelINS0_14default_configENS1_25transform_config_selectorIjLb0EEEZNS1_14transform_implILb0ES3_S5_N6thrust23THRUST_200600_302600_NS6detail15normal_iteratorINS8_10device_ptrIjEEEEPjNS0_8identityIjEEEE10hipError_tT2_T3_mT4_P12ihipStream_tbEUlT_E_NS1_11comp_targetILNS1_3genE2ELNS1_11target_archE906ELNS1_3gpuE6ELNS1_3repE0EEENS1_30default_config_static_selectorELNS0_4arch9wavefront6targetE1EEEvT1_,comdat
.Lfunc_end1096:
	.size	_ZN7rocprim17ROCPRIM_400000_NS6detail17trampoline_kernelINS0_14default_configENS1_25transform_config_selectorIjLb0EEEZNS1_14transform_implILb0ES3_S5_N6thrust23THRUST_200600_302600_NS6detail15normal_iteratorINS8_10device_ptrIjEEEEPjNS0_8identityIjEEEE10hipError_tT2_T3_mT4_P12ihipStream_tbEUlT_E_NS1_11comp_targetILNS1_3genE2ELNS1_11target_archE906ELNS1_3gpuE6ELNS1_3repE0EEENS1_30default_config_static_selectorELNS0_4arch9wavefront6targetE1EEEvT1_, .Lfunc_end1096-_ZN7rocprim17ROCPRIM_400000_NS6detail17trampoline_kernelINS0_14default_configENS1_25transform_config_selectorIjLb0EEEZNS1_14transform_implILb0ES3_S5_N6thrust23THRUST_200600_302600_NS6detail15normal_iteratorINS8_10device_ptrIjEEEEPjNS0_8identityIjEEEE10hipError_tT2_T3_mT4_P12ihipStream_tbEUlT_E_NS1_11comp_targetILNS1_3genE2ELNS1_11target_archE906ELNS1_3gpuE6ELNS1_3repE0EEENS1_30default_config_static_selectorELNS0_4arch9wavefront6targetE1EEEvT1_
                                        ; -- End function
	.section	.AMDGPU.csdata,"",@progbits
; Kernel info:
; codeLenInByte = 0
; NumSgprs: 4
; NumVgprs: 0
; NumAgprs: 0
; TotalNumVgprs: 0
; ScratchSize: 0
; MemoryBound: 0
; FloatMode: 240
; IeeeMode: 1
; LDSByteSize: 0 bytes/workgroup (compile time only)
; SGPRBlocks: 0
; VGPRBlocks: 0
; NumSGPRsForWavesPerEU: 4
; NumVGPRsForWavesPerEU: 1
; AccumOffset: 4
; Occupancy: 8
; WaveLimiterHint : 0
; COMPUTE_PGM_RSRC2:SCRATCH_EN: 0
; COMPUTE_PGM_RSRC2:USER_SGPR: 6
; COMPUTE_PGM_RSRC2:TRAP_HANDLER: 0
; COMPUTE_PGM_RSRC2:TGID_X_EN: 1
; COMPUTE_PGM_RSRC2:TGID_Y_EN: 0
; COMPUTE_PGM_RSRC2:TGID_Z_EN: 0
; COMPUTE_PGM_RSRC2:TIDIG_COMP_CNT: 0
; COMPUTE_PGM_RSRC3_GFX90A:ACCUM_OFFSET: 0
; COMPUTE_PGM_RSRC3_GFX90A:TG_SPLIT: 0
	.section	.text._ZN7rocprim17ROCPRIM_400000_NS6detail17trampoline_kernelINS0_14default_configENS1_25transform_config_selectorIjLb0EEEZNS1_14transform_implILb0ES3_S5_N6thrust23THRUST_200600_302600_NS6detail15normal_iteratorINS8_10device_ptrIjEEEEPjNS0_8identityIjEEEE10hipError_tT2_T3_mT4_P12ihipStream_tbEUlT_E_NS1_11comp_targetILNS1_3genE10ELNS1_11target_archE1201ELNS1_3gpuE5ELNS1_3repE0EEENS1_30default_config_static_selectorELNS0_4arch9wavefront6targetE1EEEvT1_,"axG",@progbits,_ZN7rocprim17ROCPRIM_400000_NS6detail17trampoline_kernelINS0_14default_configENS1_25transform_config_selectorIjLb0EEEZNS1_14transform_implILb0ES3_S5_N6thrust23THRUST_200600_302600_NS6detail15normal_iteratorINS8_10device_ptrIjEEEEPjNS0_8identityIjEEEE10hipError_tT2_T3_mT4_P12ihipStream_tbEUlT_E_NS1_11comp_targetILNS1_3genE10ELNS1_11target_archE1201ELNS1_3gpuE5ELNS1_3repE0EEENS1_30default_config_static_selectorELNS0_4arch9wavefront6targetE1EEEvT1_,comdat
	.protected	_ZN7rocprim17ROCPRIM_400000_NS6detail17trampoline_kernelINS0_14default_configENS1_25transform_config_selectorIjLb0EEEZNS1_14transform_implILb0ES3_S5_N6thrust23THRUST_200600_302600_NS6detail15normal_iteratorINS8_10device_ptrIjEEEEPjNS0_8identityIjEEEE10hipError_tT2_T3_mT4_P12ihipStream_tbEUlT_E_NS1_11comp_targetILNS1_3genE10ELNS1_11target_archE1201ELNS1_3gpuE5ELNS1_3repE0EEENS1_30default_config_static_selectorELNS0_4arch9wavefront6targetE1EEEvT1_ ; -- Begin function _ZN7rocprim17ROCPRIM_400000_NS6detail17trampoline_kernelINS0_14default_configENS1_25transform_config_selectorIjLb0EEEZNS1_14transform_implILb0ES3_S5_N6thrust23THRUST_200600_302600_NS6detail15normal_iteratorINS8_10device_ptrIjEEEEPjNS0_8identityIjEEEE10hipError_tT2_T3_mT4_P12ihipStream_tbEUlT_E_NS1_11comp_targetILNS1_3genE10ELNS1_11target_archE1201ELNS1_3gpuE5ELNS1_3repE0EEENS1_30default_config_static_selectorELNS0_4arch9wavefront6targetE1EEEvT1_
	.globl	_ZN7rocprim17ROCPRIM_400000_NS6detail17trampoline_kernelINS0_14default_configENS1_25transform_config_selectorIjLb0EEEZNS1_14transform_implILb0ES3_S5_N6thrust23THRUST_200600_302600_NS6detail15normal_iteratorINS8_10device_ptrIjEEEEPjNS0_8identityIjEEEE10hipError_tT2_T3_mT4_P12ihipStream_tbEUlT_E_NS1_11comp_targetILNS1_3genE10ELNS1_11target_archE1201ELNS1_3gpuE5ELNS1_3repE0EEENS1_30default_config_static_selectorELNS0_4arch9wavefront6targetE1EEEvT1_
	.p2align	8
	.type	_ZN7rocprim17ROCPRIM_400000_NS6detail17trampoline_kernelINS0_14default_configENS1_25transform_config_selectorIjLb0EEEZNS1_14transform_implILb0ES3_S5_N6thrust23THRUST_200600_302600_NS6detail15normal_iteratorINS8_10device_ptrIjEEEEPjNS0_8identityIjEEEE10hipError_tT2_T3_mT4_P12ihipStream_tbEUlT_E_NS1_11comp_targetILNS1_3genE10ELNS1_11target_archE1201ELNS1_3gpuE5ELNS1_3repE0EEENS1_30default_config_static_selectorELNS0_4arch9wavefront6targetE1EEEvT1_,@function
_ZN7rocprim17ROCPRIM_400000_NS6detail17trampoline_kernelINS0_14default_configENS1_25transform_config_selectorIjLb0EEEZNS1_14transform_implILb0ES3_S5_N6thrust23THRUST_200600_302600_NS6detail15normal_iteratorINS8_10device_ptrIjEEEEPjNS0_8identityIjEEEE10hipError_tT2_T3_mT4_P12ihipStream_tbEUlT_E_NS1_11comp_targetILNS1_3genE10ELNS1_11target_archE1201ELNS1_3gpuE5ELNS1_3repE0EEENS1_30default_config_static_selectorELNS0_4arch9wavefront6targetE1EEEvT1_: ; @_ZN7rocprim17ROCPRIM_400000_NS6detail17trampoline_kernelINS0_14default_configENS1_25transform_config_selectorIjLb0EEEZNS1_14transform_implILb0ES3_S5_N6thrust23THRUST_200600_302600_NS6detail15normal_iteratorINS8_10device_ptrIjEEEEPjNS0_8identityIjEEEE10hipError_tT2_T3_mT4_P12ihipStream_tbEUlT_E_NS1_11comp_targetILNS1_3genE10ELNS1_11target_archE1201ELNS1_3gpuE5ELNS1_3repE0EEENS1_30default_config_static_selectorELNS0_4arch9wavefront6targetE1EEEvT1_
; %bb.0:
	.section	.rodata,"a",@progbits
	.p2align	6, 0x0
	.amdhsa_kernel _ZN7rocprim17ROCPRIM_400000_NS6detail17trampoline_kernelINS0_14default_configENS1_25transform_config_selectorIjLb0EEEZNS1_14transform_implILb0ES3_S5_N6thrust23THRUST_200600_302600_NS6detail15normal_iteratorINS8_10device_ptrIjEEEEPjNS0_8identityIjEEEE10hipError_tT2_T3_mT4_P12ihipStream_tbEUlT_E_NS1_11comp_targetILNS1_3genE10ELNS1_11target_archE1201ELNS1_3gpuE5ELNS1_3repE0EEENS1_30default_config_static_selectorELNS0_4arch9wavefront6targetE1EEEvT1_
		.amdhsa_group_segment_fixed_size 0
		.amdhsa_private_segment_fixed_size 0
		.amdhsa_kernarg_size 40
		.amdhsa_user_sgpr_count 6
		.amdhsa_user_sgpr_private_segment_buffer 1
		.amdhsa_user_sgpr_dispatch_ptr 0
		.amdhsa_user_sgpr_queue_ptr 0
		.amdhsa_user_sgpr_kernarg_segment_ptr 1
		.amdhsa_user_sgpr_dispatch_id 0
		.amdhsa_user_sgpr_flat_scratch_init 0
		.amdhsa_user_sgpr_kernarg_preload_length 0
		.amdhsa_user_sgpr_kernarg_preload_offset 0
		.amdhsa_user_sgpr_private_segment_size 0
		.amdhsa_uses_dynamic_stack 0
		.amdhsa_system_sgpr_private_segment_wavefront_offset 0
		.amdhsa_system_sgpr_workgroup_id_x 1
		.amdhsa_system_sgpr_workgroup_id_y 0
		.amdhsa_system_sgpr_workgroup_id_z 0
		.amdhsa_system_sgpr_workgroup_info 0
		.amdhsa_system_vgpr_workitem_id 0
		.amdhsa_next_free_vgpr 1
		.amdhsa_next_free_sgpr 0
		.amdhsa_accum_offset 4
		.amdhsa_reserve_vcc 0
		.amdhsa_reserve_flat_scratch 0
		.amdhsa_float_round_mode_32 0
		.amdhsa_float_round_mode_16_64 0
		.amdhsa_float_denorm_mode_32 3
		.amdhsa_float_denorm_mode_16_64 3
		.amdhsa_dx10_clamp 1
		.amdhsa_ieee_mode 1
		.amdhsa_fp16_overflow 0
		.amdhsa_tg_split 0
		.amdhsa_exception_fp_ieee_invalid_op 0
		.amdhsa_exception_fp_denorm_src 0
		.amdhsa_exception_fp_ieee_div_zero 0
		.amdhsa_exception_fp_ieee_overflow 0
		.amdhsa_exception_fp_ieee_underflow 0
		.amdhsa_exception_fp_ieee_inexact 0
		.amdhsa_exception_int_div_zero 0
	.end_amdhsa_kernel
	.section	.text._ZN7rocprim17ROCPRIM_400000_NS6detail17trampoline_kernelINS0_14default_configENS1_25transform_config_selectorIjLb0EEEZNS1_14transform_implILb0ES3_S5_N6thrust23THRUST_200600_302600_NS6detail15normal_iteratorINS8_10device_ptrIjEEEEPjNS0_8identityIjEEEE10hipError_tT2_T3_mT4_P12ihipStream_tbEUlT_E_NS1_11comp_targetILNS1_3genE10ELNS1_11target_archE1201ELNS1_3gpuE5ELNS1_3repE0EEENS1_30default_config_static_selectorELNS0_4arch9wavefront6targetE1EEEvT1_,"axG",@progbits,_ZN7rocprim17ROCPRIM_400000_NS6detail17trampoline_kernelINS0_14default_configENS1_25transform_config_selectorIjLb0EEEZNS1_14transform_implILb0ES3_S5_N6thrust23THRUST_200600_302600_NS6detail15normal_iteratorINS8_10device_ptrIjEEEEPjNS0_8identityIjEEEE10hipError_tT2_T3_mT4_P12ihipStream_tbEUlT_E_NS1_11comp_targetILNS1_3genE10ELNS1_11target_archE1201ELNS1_3gpuE5ELNS1_3repE0EEENS1_30default_config_static_selectorELNS0_4arch9wavefront6targetE1EEEvT1_,comdat
.Lfunc_end1097:
	.size	_ZN7rocprim17ROCPRIM_400000_NS6detail17trampoline_kernelINS0_14default_configENS1_25transform_config_selectorIjLb0EEEZNS1_14transform_implILb0ES3_S5_N6thrust23THRUST_200600_302600_NS6detail15normal_iteratorINS8_10device_ptrIjEEEEPjNS0_8identityIjEEEE10hipError_tT2_T3_mT4_P12ihipStream_tbEUlT_E_NS1_11comp_targetILNS1_3genE10ELNS1_11target_archE1201ELNS1_3gpuE5ELNS1_3repE0EEENS1_30default_config_static_selectorELNS0_4arch9wavefront6targetE1EEEvT1_, .Lfunc_end1097-_ZN7rocprim17ROCPRIM_400000_NS6detail17trampoline_kernelINS0_14default_configENS1_25transform_config_selectorIjLb0EEEZNS1_14transform_implILb0ES3_S5_N6thrust23THRUST_200600_302600_NS6detail15normal_iteratorINS8_10device_ptrIjEEEEPjNS0_8identityIjEEEE10hipError_tT2_T3_mT4_P12ihipStream_tbEUlT_E_NS1_11comp_targetILNS1_3genE10ELNS1_11target_archE1201ELNS1_3gpuE5ELNS1_3repE0EEENS1_30default_config_static_selectorELNS0_4arch9wavefront6targetE1EEEvT1_
                                        ; -- End function
	.section	.AMDGPU.csdata,"",@progbits
; Kernel info:
; codeLenInByte = 0
; NumSgprs: 4
; NumVgprs: 0
; NumAgprs: 0
; TotalNumVgprs: 0
; ScratchSize: 0
; MemoryBound: 0
; FloatMode: 240
; IeeeMode: 1
; LDSByteSize: 0 bytes/workgroup (compile time only)
; SGPRBlocks: 0
; VGPRBlocks: 0
; NumSGPRsForWavesPerEU: 4
; NumVGPRsForWavesPerEU: 1
; AccumOffset: 4
; Occupancy: 8
; WaveLimiterHint : 0
; COMPUTE_PGM_RSRC2:SCRATCH_EN: 0
; COMPUTE_PGM_RSRC2:USER_SGPR: 6
; COMPUTE_PGM_RSRC2:TRAP_HANDLER: 0
; COMPUTE_PGM_RSRC2:TGID_X_EN: 1
; COMPUTE_PGM_RSRC2:TGID_Y_EN: 0
; COMPUTE_PGM_RSRC2:TGID_Z_EN: 0
; COMPUTE_PGM_RSRC2:TIDIG_COMP_CNT: 0
; COMPUTE_PGM_RSRC3_GFX90A:ACCUM_OFFSET: 0
; COMPUTE_PGM_RSRC3_GFX90A:TG_SPLIT: 0
	.section	.text._ZN7rocprim17ROCPRIM_400000_NS6detail17trampoline_kernelINS0_14default_configENS1_25transform_config_selectorIjLb0EEEZNS1_14transform_implILb0ES3_S5_N6thrust23THRUST_200600_302600_NS6detail15normal_iteratorINS8_10device_ptrIjEEEEPjNS0_8identityIjEEEE10hipError_tT2_T3_mT4_P12ihipStream_tbEUlT_E_NS1_11comp_targetILNS1_3genE10ELNS1_11target_archE1200ELNS1_3gpuE4ELNS1_3repE0EEENS1_30default_config_static_selectorELNS0_4arch9wavefront6targetE1EEEvT1_,"axG",@progbits,_ZN7rocprim17ROCPRIM_400000_NS6detail17trampoline_kernelINS0_14default_configENS1_25transform_config_selectorIjLb0EEEZNS1_14transform_implILb0ES3_S5_N6thrust23THRUST_200600_302600_NS6detail15normal_iteratorINS8_10device_ptrIjEEEEPjNS0_8identityIjEEEE10hipError_tT2_T3_mT4_P12ihipStream_tbEUlT_E_NS1_11comp_targetILNS1_3genE10ELNS1_11target_archE1200ELNS1_3gpuE4ELNS1_3repE0EEENS1_30default_config_static_selectorELNS0_4arch9wavefront6targetE1EEEvT1_,comdat
	.protected	_ZN7rocprim17ROCPRIM_400000_NS6detail17trampoline_kernelINS0_14default_configENS1_25transform_config_selectorIjLb0EEEZNS1_14transform_implILb0ES3_S5_N6thrust23THRUST_200600_302600_NS6detail15normal_iteratorINS8_10device_ptrIjEEEEPjNS0_8identityIjEEEE10hipError_tT2_T3_mT4_P12ihipStream_tbEUlT_E_NS1_11comp_targetILNS1_3genE10ELNS1_11target_archE1200ELNS1_3gpuE4ELNS1_3repE0EEENS1_30default_config_static_selectorELNS0_4arch9wavefront6targetE1EEEvT1_ ; -- Begin function _ZN7rocprim17ROCPRIM_400000_NS6detail17trampoline_kernelINS0_14default_configENS1_25transform_config_selectorIjLb0EEEZNS1_14transform_implILb0ES3_S5_N6thrust23THRUST_200600_302600_NS6detail15normal_iteratorINS8_10device_ptrIjEEEEPjNS0_8identityIjEEEE10hipError_tT2_T3_mT4_P12ihipStream_tbEUlT_E_NS1_11comp_targetILNS1_3genE10ELNS1_11target_archE1200ELNS1_3gpuE4ELNS1_3repE0EEENS1_30default_config_static_selectorELNS0_4arch9wavefront6targetE1EEEvT1_
	.globl	_ZN7rocprim17ROCPRIM_400000_NS6detail17trampoline_kernelINS0_14default_configENS1_25transform_config_selectorIjLb0EEEZNS1_14transform_implILb0ES3_S5_N6thrust23THRUST_200600_302600_NS6detail15normal_iteratorINS8_10device_ptrIjEEEEPjNS0_8identityIjEEEE10hipError_tT2_T3_mT4_P12ihipStream_tbEUlT_E_NS1_11comp_targetILNS1_3genE10ELNS1_11target_archE1200ELNS1_3gpuE4ELNS1_3repE0EEENS1_30default_config_static_selectorELNS0_4arch9wavefront6targetE1EEEvT1_
	.p2align	8
	.type	_ZN7rocprim17ROCPRIM_400000_NS6detail17trampoline_kernelINS0_14default_configENS1_25transform_config_selectorIjLb0EEEZNS1_14transform_implILb0ES3_S5_N6thrust23THRUST_200600_302600_NS6detail15normal_iteratorINS8_10device_ptrIjEEEEPjNS0_8identityIjEEEE10hipError_tT2_T3_mT4_P12ihipStream_tbEUlT_E_NS1_11comp_targetILNS1_3genE10ELNS1_11target_archE1200ELNS1_3gpuE4ELNS1_3repE0EEENS1_30default_config_static_selectorELNS0_4arch9wavefront6targetE1EEEvT1_,@function
_ZN7rocprim17ROCPRIM_400000_NS6detail17trampoline_kernelINS0_14default_configENS1_25transform_config_selectorIjLb0EEEZNS1_14transform_implILb0ES3_S5_N6thrust23THRUST_200600_302600_NS6detail15normal_iteratorINS8_10device_ptrIjEEEEPjNS0_8identityIjEEEE10hipError_tT2_T3_mT4_P12ihipStream_tbEUlT_E_NS1_11comp_targetILNS1_3genE10ELNS1_11target_archE1200ELNS1_3gpuE4ELNS1_3repE0EEENS1_30default_config_static_selectorELNS0_4arch9wavefront6targetE1EEEvT1_: ; @_ZN7rocprim17ROCPRIM_400000_NS6detail17trampoline_kernelINS0_14default_configENS1_25transform_config_selectorIjLb0EEEZNS1_14transform_implILb0ES3_S5_N6thrust23THRUST_200600_302600_NS6detail15normal_iteratorINS8_10device_ptrIjEEEEPjNS0_8identityIjEEEE10hipError_tT2_T3_mT4_P12ihipStream_tbEUlT_E_NS1_11comp_targetILNS1_3genE10ELNS1_11target_archE1200ELNS1_3gpuE4ELNS1_3repE0EEENS1_30default_config_static_selectorELNS0_4arch9wavefront6targetE1EEEvT1_
; %bb.0:
	.section	.rodata,"a",@progbits
	.p2align	6, 0x0
	.amdhsa_kernel _ZN7rocprim17ROCPRIM_400000_NS6detail17trampoline_kernelINS0_14default_configENS1_25transform_config_selectorIjLb0EEEZNS1_14transform_implILb0ES3_S5_N6thrust23THRUST_200600_302600_NS6detail15normal_iteratorINS8_10device_ptrIjEEEEPjNS0_8identityIjEEEE10hipError_tT2_T3_mT4_P12ihipStream_tbEUlT_E_NS1_11comp_targetILNS1_3genE10ELNS1_11target_archE1200ELNS1_3gpuE4ELNS1_3repE0EEENS1_30default_config_static_selectorELNS0_4arch9wavefront6targetE1EEEvT1_
		.amdhsa_group_segment_fixed_size 0
		.amdhsa_private_segment_fixed_size 0
		.amdhsa_kernarg_size 40
		.amdhsa_user_sgpr_count 6
		.amdhsa_user_sgpr_private_segment_buffer 1
		.amdhsa_user_sgpr_dispatch_ptr 0
		.amdhsa_user_sgpr_queue_ptr 0
		.amdhsa_user_sgpr_kernarg_segment_ptr 1
		.amdhsa_user_sgpr_dispatch_id 0
		.amdhsa_user_sgpr_flat_scratch_init 0
		.amdhsa_user_sgpr_kernarg_preload_length 0
		.amdhsa_user_sgpr_kernarg_preload_offset 0
		.amdhsa_user_sgpr_private_segment_size 0
		.amdhsa_uses_dynamic_stack 0
		.amdhsa_system_sgpr_private_segment_wavefront_offset 0
		.amdhsa_system_sgpr_workgroup_id_x 1
		.amdhsa_system_sgpr_workgroup_id_y 0
		.amdhsa_system_sgpr_workgroup_id_z 0
		.amdhsa_system_sgpr_workgroup_info 0
		.amdhsa_system_vgpr_workitem_id 0
		.amdhsa_next_free_vgpr 1
		.amdhsa_next_free_sgpr 0
		.amdhsa_accum_offset 4
		.amdhsa_reserve_vcc 0
		.amdhsa_reserve_flat_scratch 0
		.amdhsa_float_round_mode_32 0
		.amdhsa_float_round_mode_16_64 0
		.amdhsa_float_denorm_mode_32 3
		.amdhsa_float_denorm_mode_16_64 3
		.amdhsa_dx10_clamp 1
		.amdhsa_ieee_mode 1
		.amdhsa_fp16_overflow 0
		.amdhsa_tg_split 0
		.amdhsa_exception_fp_ieee_invalid_op 0
		.amdhsa_exception_fp_denorm_src 0
		.amdhsa_exception_fp_ieee_div_zero 0
		.amdhsa_exception_fp_ieee_overflow 0
		.amdhsa_exception_fp_ieee_underflow 0
		.amdhsa_exception_fp_ieee_inexact 0
		.amdhsa_exception_int_div_zero 0
	.end_amdhsa_kernel
	.section	.text._ZN7rocprim17ROCPRIM_400000_NS6detail17trampoline_kernelINS0_14default_configENS1_25transform_config_selectorIjLb0EEEZNS1_14transform_implILb0ES3_S5_N6thrust23THRUST_200600_302600_NS6detail15normal_iteratorINS8_10device_ptrIjEEEEPjNS0_8identityIjEEEE10hipError_tT2_T3_mT4_P12ihipStream_tbEUlT_E_NS1_11comp_targetILNS1_3genE10ELNS1_11target_archE1200ELNS1_3gpuE4ELNS1_3repE0EEENS1_30default_config_static_selectorELNS0_4arch9wavefront6targetE1EEEvT1_,"axG",@progbits,_ZN7rocprim17ROCPRIM_400000_NS6detail17trampoline_kernelINS0_14default_configENS1_25transform_config_selectorIjLb0EEEZNS1_14transform_implILb0ES3_S5_N6thrust23THRUST_200600_302600_NS6detail15normal_iteratorINS8_10device_ptrIjEEEEPjNS0_8identityIjEEEE10hipError_tT2_T3_mT4_P12ihipStream_tbEUlT_E_NS1_11comp_targetILNS1_3genE10ELNS1_11target_archE1200ELNS1_3gpuE4ELNS1_3repE0EEENS1_30default_config_static_selectorELNS0_4arch9wavefront6targetE1EEEvT1_,comdat
.Lfunc_end1098:
	.size	_ZN7rocprim17ROCPRIM_400000_NS6detail17trampoline_kernelINS0_14default_configENS1_25transform_config_selectorIjLb0EEEZNS1_14transform_implILb0ES3_S5_N6thrust23THRUST_200600_302600_NS6detail15normal_iteratorINS8_10device_ptrIjEEEEPjNS0_8identityIjEEEE10hipError_tT2_T3_mT4_P12ihipStream_tbEUlT_E_NS1_11comp_targetILNS1_3genE10ELNS1_11target_archE1200ELNS1_3gpuE4ELNS1_3repE0EEENS1_30default_config_static_selectorELNS0_4arch9wavefront6targetE1EEEvT1_, .Lfunc_end1098-_ZN7rocprim17ROCPRIM_400000_NS6detail17trampoline_kernelINS0_14default_configENS1_25transform_config_selectorIjLb0EEEZNS1_14transform_implILb0ES3_S5_N6thrust23THRUST_200600_302600_NS6detail15normal_iteratorINS8_10device_ptrIjEEEEPjNS0_8identityIjEEEE10hipError_tT2_T3_mT4_P12ihipStream_tbEUlT_E_NS1_11comp_targetILNS1_3genE10ELNS1_11target_archE1200ELNS1_3gpuE4ELNS1_3repE0EEENS1_30default_config_static_selectorELNS0_4arch9wavefront6targetE1EEEvT1_
                                        ; -- End function
	.section	.AMDGPU.csdata,"",@progbits
; Kernel info:
; codeLenInByte = 0
; NumSgprs: 4
; NumVgprs: 0
; NumAgprs: 0
; TotalNumVgprs: 0
; ScratchSize: 0
; MemoryBound: 0
; FloatMode: 240
; IeeeMode: 1
; LDSByteSize: 0 bytes/workgroup (compile time only)
; SGPRBlocks: 0
; VGPRBlocks: 0
; NumSGPRsForWavesPerEU: 4
; NumVGPRsForWavesPerEU: 1
; AccumOffset: 4
; Occupancy: 8
; WaveLimiterHint : 0
; COMPUTE_PGM_RSRC2:SCRATCH_EN: 0
; COMPUTE_PGM_RSRC2:USER_SGPR: 6
; COMPUTE_PGM_RSRC2:TRAP_HANDLER: 0
; COMPUTE_PGM_RSRC2:TGID_X_EN: 1
; COMPUTE_PGM_RSRC2:TGID_Y_EN: 0
; COMPUTE_PGM_RSRC2:TGID_Z_EN: 0
; COMPUTE_PGM_RSRC2:TIDIG_COMP_CNT: 0
; COMPUTE_PGM_RSRC3_GFX90A:ACCUM_OFFSET: 0
; COMPUTE_PGM_RSRC3_GFX90A:TG_SPLIT: 0
	.section	.text._ZN7rocprim17ROCPRIM_400000_NS6detail17trampoline_kernelINS0_14default_configENS1_25transform_config_selectorIjLb0EEEZNS1_14transform_implILb0ES3_S5_N6thrust23THRUST_200600_302600_NS6detail15normal_iteratorINS8_10device_ptrIjEEEEPjNS0_8identityIjEEEE10hipError_tT2_T3_mT4_P12ihipStream_tbEUlT_E_NS1_11comp_targetILNS1_3genE9ELNS1_11target_archE1100ELNS1_3gpuE3ELNS1_3repE0EEENS1_30default_config_static_selectorELNS0_4arch9wavefront6targetE1EEEvT1_,"axG",@progbits,_ZN7rocprim17ROCPRIM_400000_NS6detail17trampoline_kernelINS0_14default_configENS1_25transform_config_selectorIjLb0EEEZNS1_14transform_implILb0ES3_S5_N6thrust23THRUST_200600_302600_NS6detail15normal_iteratorINS8_10device_ptrIjEEEEPjNS0_8identityIjEEEE10hipError_tT2_T3_mT4_P12ihipStream_tbEUlT_E_NS1_11comp_targetILNS1_3genE9ELNS1_11target_archE1100ELNS1_3gpuE3ELNS1_3repE0EEENS1_30default_config_static_selectorELNS0_4arch9wavefront6targetE1EEEvT1_,comdat
	.protected	_ZN7rocprim17ROCPRIM_400000_NS6detail17trampoline_kernelINS0_14default_configENS1_25transform_config_selectorIjLb0EEEZNS1_14transform_implILb0ES3_S5_N6thrust23THRUST_200600_302600_NS6detail15normal_iteratorINS8_10device_ptrIjEEEEPjNS0_8identityIjEEEE10hipError_tT2_T3_mT4_P12ihipStream_tbEUlT_E_NS1_11comp_targetILNS1_3genE9ELNS1_11target_archE1100ELNS1_3gpuE3ELNS1_3repE0EEENS1_30default_config_static_selectorELNS0_4arch9wavefront6targetE1EEEvT1_ ; -- Begin function _ZN7rocprim17ROCPRIM_400000_NS6detail17trampoline_kernelINS0_14default_configENS1_25transform_config_selectorIjLb0EEEZNS1_14transform_implILb0ES3_S5_N6thrust23THRUST_200600_302600_NS6detail15normal_iteratorINS8_10device_ptrIjEEEEPjNS0_8identityIjEEEE10hipError_tT2_T3_mT4_P12ihipStream_tbEUlT_E_NS1_11comp_targetILNS1_3genE9ELNS1_11target_archE1100ELNS1_3gpuE3ELNS1_3repE0EEENS1_30default_config_static_selectorELNS0_4arch9wavefront6targetE1EEEvT1_
	.globl	_ZN7rocprim17ROCPRIM_400000_NS6detail17trampoline_kernelINS0_14default_configENS1_25transform_config_selectorIjLb0EEEZNS1_14transform_implILb0ES3_S5_N6thrust23THRUST_200600_302600_NS6detail15normal_iteratorINS8_10device_ptrIjEEEEPjNS0_8identityIjEEEE10hipError_tT2_T3_mT4_P12ihipStream_tbEUlT_E_NS1_11comp_targetILNS1_3genE9ELNS1_11target_archE1100ELNS1_3gpuE3ELNS1_3repE0EEENS1_30default_config_static_selectorELNS0_4arch9wavefront6targetE1EEEvT1_
	.p2align	8
	.type	_ZN7rocprim17ROCPRIM_400000_NS6detail17trampoline_kernelINS0_14default_configENS1_25transform_config_selectorIjLb0EEEZNS1_14transform_implILb0ES3_S5_N6thrust23THRUST_200600_302600_NS6detail15normal_iteratorINS8_10device_ptrIjEEEEPjNS0_8identityIjEEEE10hipError_tT2_T3_mT4_P12ihipStream_tbEUlT_E_NS1_11comp_targetILNS1_3genE9ELNS1_11target_archE1100ELNS1_3gpuE3ELNS1_3repE0EEENS1_30default_config_static_selectorELNS0_4arch9wavefront6targetE1EEEvT1_,@function
_ZN7rocprim17ROCPRIM_400000_NS6detail17trampoline_kernelINS0_14default_configENS1_25transform_config_selectorIjLb0EEEZNS1_14transform_implILb0ES3_S5_N6thrust23THRUST_200600_302600_NS6detail15normal_iteratorINS8_10device_ptrIjEEEEPjNS0_8identityIjEEEE10hipError_tT2_T3_mT4_P12ihipStream_tbEUlT_E_NS1_11comp_targetILNS1_3genE9ELNS1_11target_archE1100ELNS1_3gpuE3ELNS1_3repE0EEENS1_30default_config_static_selectorELNS0_4arch9wavefront6targetE1EEEvT1_: ; @_ZN7rocprim17ROCPRIM_400000_NS6detail17trampoline_kernelINS0_14default_configENS1_25transform_config_selectorIjLb0EEEZNS1_14transform_implILb0ES3_S5_N6thrust23THRUST_200600_302600_NS6detail15normal_iteratorINS8_10device_ptrIjEEEEPjNS0_8identityIjEEEE10hipError_tT2_T3_mT4_P12ihipStream_tbEUlT_E_NS1_11comp_targetILNS1_3genE9ELNS1_11target_archE1100ELNS1_3gpuE3ELNS1_3repE0EEENS1_30default_config_static_selectorELNS0_4arch9wavefront6targetE1EEEvT1_
; %bb.0:
	.section	.rodata,"a",@progbits
	.p2align	6, 0x0
	.amdhsa_kernel _ZN7rocprim17ROCPRIM_400000_NS6detail17trampoline_kernelINS0_14default_configENS1_25transform_config_selectorIjLb0EEEZNS1_14transform_implILb0ES3_S5_N6thrust23THRUST_200600_302600_NS6detail15normal_iteratorINS8_10device_ptrIjEEEEPjNS0_8identityIjEEEE10hipError_tT2_T3_mT4_P12ihipStream_tbEUlT_E_NS1_11comp_targetILNS1_3genE9ELNS1_11target_archE1100ELNS1_3gpuE3ELNS1_3repE0EEENS1_30default_config_static_selectorELNS0_4arch9wavefront6targetE1EEEvT1_
		.amdhsa_group_segment_fixed_size 0
		.amdhsa_private_segment_fixed_size 0
		.amdhsa_kernarg_size 40
		.amdhsa_user_sgpr_count 6
		.amdhsa_user_sgpr_private_segment_buffer 1
		.amdhsa_user_sgpr_dispatch_ptr 0
		.amdhsa_user_sgpr_queue_ptr 0
		.amdhsa_user_sgpr_kernarg_segment_ptr 1
		.amdhsa_user_sgpr_dispatch_id 0
		.amdhsa_user_sgpr_flat_scratch_init 0
		.amdhsa_user_sgpr_kernarg_preload_length 0
		.amdhsa_user_sgpr_kernarg_preload_offset 0
		.amdhsa_user_sgpr_private_segment_size 0
		.amdhsa_uses_dynamic_stack 0
		.amdhsa_system_sgpr_private_segment_wavefront_offset 0
		.amdhsa_system_sgpr_workgroup_id_x 1
		.amdhsa_system_sgpr_workgroup_id_y 0
		.amdhsa_system_sgpr_workgroup_id_z 0
		.amdhsa_system_sgpr_workgroup_info 0
		.amdhsa_system_vgpr_workitem_id 0
		.amdhsa_next_free_vgpr 1
		.amdhsa_next_free_sgpr 0
		.amdhsa_accum_offset 4
		.amdhsa_reserve_vcc 0
		.amdhsa_reserve_flat_scratch 0
		.amdhsa_float_round_mode_32 0
		.amdhsa_float_round_mode_16_64 0
		.amdhsa_float_denorm_mode_32 3
		.amdhsa_float_denorm_mode_16_64 3
		.amdhsa_dx10_clamp 1
		.amdhsa_ieee_mode 1
		.amdhsa_fp16_overflow 0
		.amdhsa_tg_split 0
		.amdhsa_exception_fp_ieee_invalid_op 0
		.amdhsa_exception_fp_denorm_src 0
		.amdhsa_exception_fp_ieee_div_zero 0
		.amdhsa_exception_fp_ieee_overflow 0
		.amdhsa_exception_fp_ieee_underflow 0
		.amdhsa_exception_fp_ieee_inexact 0
		.amdhsa_exception_int_div_zero 0
	.end_amdhsa_kernel
	.section	.text._ZN7rocprim17ROCPRIM_400000_NS6detail17trampoline_kernelINS0_14default_configENS1_25transform_config_selectorIjLb0EEEZNS1_14transform_implILb0ES3_S5_N6thrust23THRUST_200600_302600_NS6detail15normal_iteratorINS8_10device_ptrIjEEEEPjNS0_8identityIjEEEE10hipError_tT2_T3_mT4_P12ihipStream_tbEUlT_E_NS1_11comp_targetILNS1_3genE9ELNS1_11target_archE1100ELNS1_3gpuE3ELNS1_3repE0EEENS1_30default_config_static_selectorELNS0_4arch9wavefront6targetE1EEEvT1_,"axG",@progbits,_ZN7rocprim17ROCPRIM_400000_NS6detail17trampoline_kernelINS0_14default_configENS1_25transform_config_selectorIjLb0EEEZNS1_14transform_implILb0ES3_S5_N6thrust23THRUST_200600_302600_NS6detail15normal_iteratorINS8_10device_ptrIjEEEEPjNS0_8identityIjEEEE10hipError_tT2_T3_mT4_P12ihipStream_tbEUlT_E_NS1_11comp_targetILNS1_3genE9ELNS1_11target_archE1100ELNS1_3gpuE3ELNS1_3repE0EEENS1_30default_config_static_selectorELNS0_4arch9wavefront6targetE1EEEvT1_,comdat
.Lfunc_end1099:
	.size	_ZN7rocprim17ROCPRIM_400000_NS6detail17trampoline_kernelINS0_14default_configENS1_25transform_config_selectorIjLb0EEEZNS1_14transform_implILb0ES3_S5_N6thrust23THRUST_200600_302600_NS6detail15normal_iteratorINS8_10device_ptrIjEEEEPjNS0_8identityIjEEEE10hipError_tT2_T3_mT4_P12ihipStream_tbEUlT_E_NS1_11comp_targetILNS1_3genE9ELNS1_11target_archE1100ELNS1_3gpuE3ELNS1_3repE0EEENS1_30default_config_static_selectorELNS0_4arch9wavefront6targetE1EEEvT1_, .Lfunc_end1099-_ZN7rocprim17ROCPRIM_400000_NS6detail17trampoline_kernelINS0_14default_configENS1_25transform_config_selectorIjLb0EEEZNS1_14transform_implILb0ES3_S5_N6thrust23THRUST_200600_302600_NS6detail15normal_iteratorINS8_10device_ptrIjEEEEPjNS0_8identityIjEEEE10hipError_tT2_T3_mT4_P12ihipStream_tbEUlT_E_NS1_11comp_targetILNS1_3genE9ELNS1_11target_archE1100ELNS1_3gpuE3ELNS1_3repE0EEENS1_30default_config_static_selectorELNS0_4arch9wavefront6targetE1EEEvT1_
                                        ; -- End function
	.section	.AMDGPU.csdata,"",@progbits
; Kernel info:
; codeLenInByte = 0
; NumSgprs: 4
; NumVgprs: 0
; NumAgprs: 0
; TotalNumVgprs: 0
; ScratchSize: 0
; MemoryBound: 0
; FloatMode: 240
; IeeeMode: 1
; LDSByteSize: 0 bytes/workgroup (compile time only)
; SGPRBlocks: 0
; VGPRBlocks: 0
; NumSGPRsForWavesPerEU: 4
; NumVGPRsForWavesPerEU: 1
; AccumOffset: 4
; Occupancy: 8
; WaveLimiterHint : 0
; COMPUTE_PGM_RSRC2:SCRATCH_EN: 0
; COMPUTE_PGM_RSRC2:USER_SGPR: 6
; COMPUTE_PGM_RSRC2:TRAP_HANDLER: 0
; COMPUTE_PGM_RSRC2:TGID_X_EN: 1
; COMPUTE_PGM_RSRC2:TGID_Y_EN: 0
; COMPUTE_PGM_RSRC2:TGID_Z_EN: 0
; COMPUTE_PGM_RSRC2:TIDIG_COMP_CNT: 0
; COMPUTE_PGM_RSRC3_GFX90A:ACCUM_OFFSET: 0
; COMPUTE_PGM_RSRC3_GFX90A:TG_SPLIT: 0
	.section	.text._ZN7rocprim17ROCPRIM_400000_NS6detail17trampoline_kernelINS0_14default_configENS1_25transform_config_selectorIjLb0EEEZNS1_14transform_implILb0ES3_S5_N6thrust23THRUST_200600_302600_NS6detail15normal_iteratorINS8_10device_ptrIjEEEEPjNS0_8identityIjEEEE10hipError_tT2_T3_mT4_P12ihipStream_tbEUlT_E_NS1_11comp_targetILNS1_3genE8ELNS1_11target_archE1030ELNS1_3gpuE2ELNS1_3repE0EEENS1_30default_config_static_selectorELNS0_4arch9wavefront6targetE1EEEvT1_,"axG",@progbits,_ZN7rocprim17ROCPRIM_400000_NS6detail17trampoline_kernelINS0_14default_configENS1_25transform_config_selectorIjLb0EEEZNS1_14transform_implILb0ES3_S5_N6thrust23THRUST_200600_302600_NS6detail15normal_iteratorINS8_10device_ptrIjEEEEPjNS0_8identityIjEEEE10hipError_tT2_T3_mT4_P12ihipStream_tbEUlT_E_NS1_11comp_targetILNS1_3genE8ELNS1_11target_archE1030ELNS1_3gpuE2ELNS1_3repE0EEENS1_30default_config_static_selectorELNS0_4arch9wavefront6targetE1EEEvT1_,comdat
	.protected	_ZN7rocprim17ROCPRIM_400000_NS6detail17trampoline_kernelINS0_14default_configENS1_25transform_config_selectorIjLb0EEEZNS1_14transform_implILb0ES3_S5_N6thrust23THRUST_200600_302600_NS6detail15normal_iteratorINS8_10device_ptrIjEEEEPjNS0_8identityIjEEEE10hipError_tT2_T3_mT4_P12ihipStream_tbEUlT_E_NS1_11comp_targetILNS1_3genE8ELNS1_11target_archE1030ELNS1_3gpuE2ELNS1_3repE0EEENS1_30default_config_static_selectorELNS0_4arch9wavefront6targetE1EEEvT1_ ; -- Begin function _ZN7rocprim17ROCPRIM_400000_NS6detail17trampoline_kernelINS0_14default_configENS1_25transform_config_selectorIjLb0EEEZNS1_14transform_implILb0ES3_S5_N6thrust23THRUST_200600_302600_NS6detail15normal_iteratorINS8_10device_ptrIjEEEEPjNS0_8identityIjEEEE10hipError_tT2_T3_mT4_P12ihipStream_tbEUlT_E_NS1_11comp_targetILNS1_3genE8ELNS1_11target_archE1030ELNS1_3gpuE2ELNS1_3repE0EEENS1_30default_config_static_selectorELNS0_4arch9wavefront6targetE1EEEvT1_
	.globl	_ZN7rocprim17ROCPRIM_400000_NS6detail17trampoline_kernelINS0_14default_configENS1_25transform_config_selectorIjLb0EEEZNS1_14transform_implILb0ES3_S5_N6thrust23THRUST_200600_302600_NS6detail15normal_iteratorINS8_10device_ptrIjEEEEPjNS0_8identityIjEEEE10hipError_tT2_T3_mT4_P12ihipStream_tbEUlT_E_NS1_11comp_targetILNS1_3genE8ELNS1_11target_archE1030ELNS1_3gpuE2ELNS1_3repE0EEENS1_30default_config_static_selectorELNS0_4arch9wavefront6targetE1EEEvT1_
	.p2align	8
	.type	_ZN7rocprim17ROCPRIM_400000_NS6detail17trampoline_kernelINS0_14default_configENS1_25transform_config_selectorIjLb0EEEZNS1_14transform_implILb0ES3_S5_N6thrust23THRUST_200600_302600_NS6detail15normal_iteratorINS8_10device_ptrIjEEEEPjNS0_8identityIjEEEE10hipError_tT2_T3_mT4_P12ihipStream_tbEUlT_E_NS1_11comp_targetILNS1_3genE8ELNS1_11target_archE1030ELNS1_3gpuE2ELNS1_3repE0EEENS1_30default_config_static_selectorELNS0_4arch9wavefront6targetE1EEEvT1_,@function
_ZN7rocprim17ROCPRIM_400000_NS6detail17trampoline_kernelINS0_14default_configENS1_25transform_config_selectorIjLb0EEEZNS1_14transform_implILb0ES3_S5_N6thrust23THRUST_200600_302600_NS6detail15normal_iteratorINS8_10device_ptrIjEEEEPjNS0_8identityIjEEEE10hipError_tT2_T3_mT4_P12ihipStream_tbEUlT_E_NS1_11comp_targetILNS1_3genE8ELNS1_11target_archE1030ELNS1_3gpuE2ELNS1_3repE0EEENS1_30default_config_static_selectorELNS0_4arch9wavefront6targetE1EEEvT1_: ; @_ZN7rocprim17ROCPRIM_400000_NS6detail17trampoline_kernelINS0_14default_configENS1_25transform_config_selectorIjLb0EEEZNS1_14transform_implILb0ES3_S5_N6thrust23THRUST_200600_302600_NS6detail15normal_iteratorINS8_10device_ptrIjEEEEPjNS0_8identityIjEEEE10hipError_tT2_T3_mT4_P12ihipStream_tbEUlT_E_NS1_11comp_targetILNS1_3genE8ELNS1_11target_archE1030ELNS1_3gpuE2ELNS1_3repE0EEENS1_30default_config_static_selectorELNS0_4arch9wavefront6targetE1EEEvT1_
; %bb.0:
	.section	.rodata,"a",@progbits
	.p2align	6, 0x0
	.amdhsa_kernel _ZN7rocprim17ROCPRIM_400000_NS6detail17trampoline_kernelINS0_14default_configENS1_25transform_config_selectorIjLb0EEEZNS1_14transform_implILb0ES3_S5_N6thrust23THRUST_200600_302600_NS6detail15normal_iteratorINS8_10device_ptrIjEEEEPjNS0_8identityIjEEEE10hipError_tT2_T3_mT4_P12ihipStream_tbEUlT_E_NS1_11comp_targetILNS1_3genE8ELNS1_11target_archE1030ELNS1_3gpuE2ELNS1_3repE0EEENS1_30default_config_static_selectorELNS0_4arch9wavefront6targetE1EEEvT1_
		.amdhsa_group_segment_fixed_size 0
		.amdhsa_private_segment_fixed_size 0
		.amdhsa_kernarg_size 40
		.amdhsa_user_sgpr_count 6
		.amdhsa_user_sgpr_private_segment_buffer 1
		.amdhsa_user_sgpr_dispatch_ptr 0
		.amdhsa_user_sgpr_queue_ptr 0
		.amdhsa_user_sgpr_kernarg_segment_ptr 1
		.amdhsa_user_sgpr_dispatch_id 0
		.amdhsa_user_sgpr_flat_scratch_init 0
		.amdhsa_user_sgpr_kernarg_preload_length 0
		.amdhsa_user_sgpr_kernarg_preload_offset 0
		.amdhsa_user_sgpr_private_segment_size 0
		.amdhsa_uses_dynamic_stack 0
		.amdhsa_system_sgpr_private_segment_wavefront_offset 0
		.amdhsa_system_sgpr_workgroup_id_x 1
		.amdhsa_system_sgpr_workgroup_id_y 0
		.amdhsa_system_sgpr_workgroup_id_z 0
		.amdhsa_system_sgpr_workgroup_info 0
		.amdhsa_system_vgpr_workitem_id 0
		.amdhsa_next_free_vgpr 1
		.amdhsa_next_free_sgpr 0
		.amdhsa_accum_offset 4
		.amdhsa_reserve_vcc 0
		.amdhsa_reserve_flat_scratch 0
		.amdhsa_float_round_mode_32 0
		.amdhsa_float_round_mode_16_64 0
		.amdhsa_float_denorm_mode_32 3
		.amdhsa_float_denorm_mode_16_64 3
		.amdhsa_dx10_clamp 1
		.amdhsa_ieee_mode 1
		.amdhsa_fp16_overflow 0
		.amdhsa_tg_split 0
		.amdhsa_exception_fp_ieee_invalid_op 0
		.amdhsa_exception_fp_denorm_src 0
		.amdhsa_exception_fp_ieee_div_zero 0
		.amdhsa_exception_fp_ieee_overflow 0
		.amdhsa_exception_fp_ieee_underflow 0
		.amdhsa_exception_fp_ieee_inexact 0
		.amdhsa_exception_int_div_zero 0
	.end_amdhsa_kernel
	.section	.text._ZN7rocprim17ROCPRIM_400000_NS6detail17trampoline_kernelINS0_14default_configENS1_25transform_config_selectorIjLb0EEEZNS1_14transform_implILb0ES3_S5_N6thrust23THRUST_200600_302600_NS6detail15normal_iteratorINS8_10device_ptrIjEEEEPjNS0_8identityIjEEEE10hipError_tT2_T3_mT4_P12ihipStream_tbEUlT_E_NS1_11comp_targetILNS1_3genE8ELNS1_11target_archE1030ELNS1_3gpuE2ELNS1_3repE0EEENS1_30default_config_static_selectorELNS0_4arch9wavefront6targetE1EEEvT1_,"axG",@progbits,_ZN7rocprim17ROCPRIM_400000_NS6detail17trampoline_kernelINS0_14default_configENS1_25transform_config_selectorIjLb0EEEZNS1_14transform_implILb0ES3_S5_N6thrust23THRUST_200600_302600_NS6detail15normal_iteratorINS8_10device_ptrIjEEEEPjNS0_8identityIjEEEE10hipError_tT2_T3_mT4_P12ihipStream_tbEUlT_E_NS1_11comp_targetILNS1_3genE8ELNS1_11target_archE1030ELNS1_3gpuE2ELNS1_3repE0EEENS1_30default_config_static_selectorELNS0_4arch9wavefront6targetE1EEEvT1_,comdat
.Lfunc_end1100:
	.size	_ZN7rocprim17ROCPRIM_400000_NS6detail17trampoline_kernelINS0_14default_configENS1_25transform_config_selectorIjLb0EEEZNS1_14transform_implILb0ES3_S5_N6thrust23THRUST_200600_302600_NS6detail15normal_iteratorINS8_10device_ptrIjEEEEPjNS0_8identityIjEEEE10hipError_tT2_T3_mT4_P12ihipStream_tbEUlT_E_NS1_11comp_targetILNS1_3genE8ELNS1_11target_archE1030ELNS1_3gpuE2ELNS1_3repE0EEENS1_30default_config_static_selectorELNS0_4arch9wavefront6targetE1EEEvT1_, .Lfunc_end1100-_ZN7rocprim17ROCPRIM_400000_NS6detail17trampoline_kernelINS0_14default_configENS1_25transform_config_selectorIjLb0EEEZNS1_14transform_implILb0ES3_S5_N6thrust23THRUST_200600_302600_NS6detail15normal_iteratorINS8_10device_ptrIjEEEEPjNS0_8identityIjEEEE10hipError_tT2_T3_mT4_P12ihipStream_tbEUlT_E_NS1_11comp_targetILNS1_3genE8ELNS1_11target_archE1030ELNS1_3gpuE2ELNS1_3repE0EEENS1_30default_config_static_selectorELNS0_4arch9wavefront6targetE1EEEvT1_
                                        ; -- End function
	.section	.AMDGPU.csdata,"",@progbits
; Kernel info:
; codeLenInByte = 0
; NumSgprs: 4
; NumVgprs: 0
; NumAgprs: 0
; TotalNumVgprs: 0
; ScratchSize: 0
; MemoryBound: 0
; FloatMode: 240
; IeeeMode: 1
; LDSByteSize: 0 bytes/workgroup (compile time only)
; SGPRBlocks: 0
; VGPRBlocks: 0
; NumSGPRsForWavesPerEU: 4
; NumVGPRsForWavesPerEU: 1
; AccumOffset: 4
; Occupancy: 8
; WaveLimiterHint : 0
; COMPUTE_PGM_RSRC2:SCRATCH_EN: 0
; COMPUTE_PGM_RSRC2:USER_SGPR: 6
; COMPUTE_PGM_RSRC2:TRAP_HANDLER: 0
; COMPUTE_PGM_RSRC2:TGID_X_EN: 1
; COMPUTE_PGM_RSRC2:TGID_Y_EN: 0
; COMPUTE_PGM_RSRC2:TGID_Z_EN: 0
; COMPUTE_PGM_RSRC2:TIDIG_COMP_CNT: 0
; COMPUTE_PGM_RSRC3_GFX90A:ACCUM_OFFSET: 0
; COMPUTE_PGM_RSRC3_GFX90A:TG_SPLIT: 0
	.section	.text._ZN7rocprim17ROCPRIM_400000_NS6detail17trampoline_kernelINS0_14default_configENS1_35radix_sort_onesweep_config_selectorIjNS0_10empty_typeEEEZZNS1_29radix_sort_onesweep_iterationIS3_Lb0EN6thrust23THRUST_200600_302600_NS6detail15normal_iteratorINS9_10device_ptrIjEEEESE_PS5_SF_jNS0_19identity_decomposerENS1_16block_id_wrapperIjLb1EEEEE10hipError_tT1_PNSt15iterator_traitsISK_E10value_typeET2_T3_PNSL_ISQ_E10value_typeET4_T5_PSV_SW_PNS1_23onesweep_lookback_stateEbbT6_jjT7_P12ihipStream_tbENKUlT_T0_SK_SP_E_clISE_SE_SF_SF_EEDaS13_S14_SK_SP_EUlS13_E_NS1_11comp_targetILNS1_3genE0ELNS1_11target_archE4294967295ELNS1_3gpuE0ELNS1_3repE0EEENS1_47radix_sort_onesweep_sort_config_static_selectorELNS0_4arch9wavefront6targetE1EEEvSK_,"axG",@progbits,_ZN7rocprim17ROCPRIM_400000_NS6detail17trampoline_kernelINS0_14default_configENS1_35radix_sort_onesweep_config_selectorIjNS0_10empty_typeEEEZZNS1_29radix_sort_onesweep_iterationIS3_Lb0EN6thrust23THRUST_200600_302600_NS6detail15normal_iteratorINS9_10device_ptrIjEEEESE_PS5_SF_jNS0_19identity_decomposerENS1_16block_id_wrapperIjLb1EEEEE10hipError_tT1_PNSt15iterator_traitsISK_E10value_typeET2_T3_PNSL_ISQ_E10value_typeET4_T5_PSV_SW_PNS1_23onesweep_lookback_stateEbbT6_jjT7_P12ihipStream_tbENKUlT_T0_SK_SP_E_clISE_SE_SF_SF_EEDaS13_S14_SK_SP_EUlS13_E_NS1_11comp_targetILNS1_3genE0ELNS1_11target_archE4294967295ELNS1_3gpuE0ELNS1_3repE0EEENS1_47radix_sort_onesweep_sort_config_static_selectorELNS0_4arch9wavefront6targetE1EEEvSK_,comdat
	.protected	_ZN7rocprim17ROCPRIM_400000_NS6detail17trampoline_kernelINS0_14default_configENS1_35radix_sort_onesweep_config_selectorIjNS0_10empty_typeEEEZZNS1_29radix_sort_onesweep_iterationIS3_Lb0EN6thrust23THRUST_200600_302600_NS6detail15normal_iteratorINS9_10device_ptrIjEEEESE_PS5_SF_jNS0_19identity_decomposerENS1_16block_id_wrapperIjLb1EEEEE10hipError_tT1_PNSt15iterator_traitsISK_E10value_typeET2_T3_PNSL_ISQ_E10value_typeET4_T5_PSV_SW_PNS1_23onesweep_lookback_stateEbbT6_jjT7_P12ihipStream_tbENKUlT_T0_SK_SP_E_clISE_SE_SF_SF_EEDaS13_S14_SK_SP_EUlS13_E_NS1_11comp_targetILNS1_3genE0ELNS1_11target_archE4294967295ELNS1_3gpuE0ELNS1_3repE0EEENS1_47radix_sort_onesweep_sort_config_static_selectorELNS0_4arch9wavefront6targetE1EEEvSK_ ; -- Begin function _ZN7rocprim17ROCPRIM_400000_NS6detail17trampoline_kernelINS0_14default_configENS1_35radix_sort_onesweep_config_selectorIjNS0_10empty_typeEEEZZNS1_29radix_sort_onesweep_iterationIS3_Lb0EN6thrust23THRUST_200600_302600_NS6detail15normal_iteratorINS9_10device_ptrIjEEEESE_PS5_SF_jNS0_19identity_decomposerENS1_16block_id_wrapperIjLb1EEEEE10hipError_tT1_PNSt15iterator_traitsISK_E10value_typeET2_T3_PNSL_ISQ_E10value_typeET4_T5_PSV_SW_PNS1_23onesweep_lookback_stateEbbT6_jjT7_P12ihipStream_tbENKUlT_T0_SK_SP_E_clISE_SE_SF_SF_EEDaS13_S14_SK_SP_EUlS13_E_NS1_11comp_targetILNS1_3genE0ELNS1_11target_archE4294967295ELNS1_3gpuE0ELNS1_3repE0EEENS1_47radix_sort_onesweep_sort_config_static_selectorELNS0_4arch9wavefront6targetE1EEEvSK_
	.globl	_ZN7rocprim17ROCPRIM_400000_NS6detail17trampoline_kernelINS0_14default_configENS1_35radix_sort_onesweep_config_selectorIjNS0_10empty_typeEEEZZNS1_29radix_sort_onesweep_iterationIS3_Lb0EN6thrust23THRUST_200600_302600_NS6detail15normal_iteratorINS9_10device_ptrIjEEEESE_PS5_SF_jNS0_19identity_decomposerENS1_16block_id_wrapperIjLb1EEEEE10hipError_tT1_PNSt15iterator_traitsISK_E10value_typeET2_T3_PNSL_ISQ_E10value_typeET4_T5_PSV_SW_PNS1_23onesweep_lookback_stateEbbT6_jjT7_P12ihipStream_tbENKUlT_T0_SK_SP_E_clISE_SE_SF_SF_EEDaS13_S14_SK_SP_EUlS13_E_NS1_11comp_targetILNS1_3genE0ELNS1_11target_archE4294967295ELNS1_3gpuE0ELNS1_3repE0EEENS1_47radix_sort_onesweep_sort_config_static_selectorELNS0_4arch9wavefront6targetE1EEEvSK_
	.p2align	8
	.type	_ZN7rocprim17ROCPRIM_400000_NS6detail17trampoline_kernelINS0_14default_configENS1_35radix_sort_onesweep_config_selectorIjNS0_10empty_typeEEEZZNS1_29radix_sort_onesweep_iterationIS3_Lb0EN6thrust23THRUST_200600_302600_NS6detail15normal_iteratorINS9_10device_ptrIjEEEESE_PS5_SF_jNS0_19identity_decomposerENS1_16block_id_wrapperIjLb1EEEEE10hipError_tT1_PNSt15iterator_traitsISK_E10value_typeET2_T3_PNSL_ISQ_E10value_typeET4_T5_PSV_SW_PNS1_23onesweep_lookback_stateEbbT6_jjT7_P12ihipStream_tbENKUlT_T0_SK_SP_E_clISE_SE_SF_SF_EEDaS13_S14_SK_SP_EUlS13_E_NS1_11comp_targetILNS1_3genE0ELNS1_11target_archE4294967295ELNS1_3gpuE0ELNS1_3repE0EEENS1_47radix_sort_onesweep_sort_config_static_selectorELNS0_4arch9wavefront6targetE1EEEvSK_,@function
_ZN7rocprim17ROCPRIM_400000_NS6detail17trampoline_kernelINS0_14default_configENS1_35radix_sort_onesweep_config_selectorIjNS0_10empty_typeEEEZZNS1_29radix_sort_onesweep_iterationIS3_Lb0EN6thrust23THRUST_200600_302600_NS6detail15normal_iteratorINS9_10device_ptrIjEEEESE_PS5_SF_jNS0_19identity_decomposerENS1_16block_id_wrapperIjLb1EEEEE10hipError_tT1_PNSt15iterator_traitsISK_E10value_typeET2_T3_PNSL_ISQ_E10value_typeET4_T5_PSV_SW_PNS1_23onesweep_lookback_stateEbbT6_jjT7_P12ihipStream_tbENKUlT_T0_SK_SP_E_clISE_SE_SF_SF_EEDaS13_S14_SK_SP_EUlS13_E_NS1_11comp_targetILNS1_3genE0ELNS1_11target_archE4294967295ELNS1_3gpuE0ELNS1_3repE0EEENS1_47radix_sort_onesweep_sort_config_static_selectorELNS0_4arch9wavefront6targetE1EEEvSK_: ; @_ZN7rocprim17ROCPRIM_400000_NS6detail17trampoline_kernelINS0_14default_configENS1_35radix_sort_onesweep_config_selectorIjNS0_10empty_typeEEEZZNS1_29radix_sort_onesweep_iterationIS3_Lb0EN6thrust23THRUST_200600_302600_NS6detail15normal_iteratorINS9_10device_ptrIjEEEESE_PS5_SF_jNS0_19identity_decomposerENS1_16block_id_wrapperIjLb1EEEEE10hipError_tT1_PNSt15iterator_traitsISK_E10value_typeET2_T3_PNSL_ISQ_E10value_typeET4_T5_PSV_SW_PNS1_23onesweep_lookback_stateEbbT6_jjT7_P12ihipStream_tbENKUlT_T0_SK_SP_E_clISE_SE_SF_SF_EEDaS13_S14_SK_SP_EUlS13_E_NS1_11comp_targetILNS1_3genE0ELNS1_11target_archE4294967295ELNS1_3gpuE0ELNS1_3repE0EEENS1_47radix_sort_onesweep_sort_config_static_selectorELNS0_4arch9wavefront6targetE1EEEvSK_
; %bb.0:
	.section	.rodata,"a",@progbits
	.p2align	6, 0x0
	.amdhsa_kernel _ZN7rocprim17ROCPRIM_400000_NS6detail17trampoline_kernelINS0_14default_configENS1_35radix_sort_onesweep_config_selectorIjNS0_10empty_typeEEEZZNS1_29radix_sort_onesweep_iterationIS3_Lb0EN6thrust23THRUST_200600_302600_NS6detail15normal_iteratorINS9_10device_ptrIjEEEESE_PS5_SF_jNS0_19identity_decomposerENS1_16block_id_wrapperIjLb1EEEEE10hipError_tT1_PNSt15iterator_traitsISK_E10value_typeET2_T3_PNSL_ISQ_E10value_typeET4_T5_PSV_SW_PNS1_23onesweep_lookback_stateEbbT6_jjT7_P12ihipStream_tbENKUlT_T0_SK_SP_E_clISE_SE_SF_SF_EEDaS13_S14_SK_SP_EUlS13_E_NS1_11comp_targetILNS1_3genE0ELNS1_11target_archE4294967295ELNS1_3gpuE0ELNS1_3repE0EEENS1_47radix_sort_onesweep_sort_config_static_selectorELNS0_4arch9wavefront6targetE1EEEvSK_
		.amdhsa_group_segment_fixed_size 0
		.amdhsa_private_segment_fixed_size 0
		.amdhsa_kernarg_size 88
		.amdhsa_user_sgpr_count 6
		.amdhsa_user_sgpr_private_segment_buffer 1
		.amdhsa_user_sgpr_dispatch_ptr 0
		.amdhsa_user_sgpr_queue_ptr 0
		.amdhsa_user_sgpr_kernarg_segment_ptr 1
		.amdhsa_user_sgpr_dispatch_id 0
		.amdhsa_user_sgpr_flat_scratch_init 0
		.amdhsa_user_sgpr_kernarg_preload_length 0
		.amdhsa_user_sgpr_kernarg_preload_offset 0
		.amdhsa_user_sgpr_private_segment_size 0
		.amdhsa_uses_dynamic_stack 0
		.amdhsa_system_sgpr_private_segment_wavefront_offset 0
		.amdhsa_system_sgpr_workgroup_id_x 1
		.amdhsa_system_sgpr_workgroup_id_y 0
		.amdhsa_system_sgpr_workgroup_id_z 0
		.amdhsa_system_sgpr_workgroup_info 0
		.amdhsa_system_vgpr_workitem_id 0
		.amdhsa_next_free_vgpr 1
		.amdhsa_next_free_sgpr 0
		.amdhsa_accum_offset 4
		.amdhsa_reserve_vcc 0
		.amdhsa_reserve_flat_scratch 0
		.amdhsa_float_round_mode_32 0
		.amdhsa_float_round_mode_16_64 0
		.amdhsa_float_denorm_mode_32 3
		.amdhsa_float_denorm_mode_16_64 3
		.amdhsa_dx10_clamp 1
		.amdhsa_ieee_mode 1
		.amdhsa_fp16_overflow 0
		.amdhsa_tg_split 0
		.amdhsa_exception_fp_ieee_invalid_op 0
		.amdhsa_exception_fp_denorm_src 0
		.amdhsa_exception_fp_ieee_div_zero 0
		.amdhsa_exception_fp_ieee_overflow 0
		.amdhsa_exception_fp_ieee_underflow 0
		.amdhsa_exception_fp_ieee_inexact 0
		.amdhsa_exception_int_div_zero 0
	.end_amdhsa_kernel
	.section	.text._ZN7rocprim17ROCPRIM_400000_NS6detail17trampoline_kernelINS0_14default_configENS1_35radix_sort_onesweep_config_selectorIjNS0_10empty_typeEEEZZNS1_29radix_sort_onesweep_iterationIS3_Lb0EN6thrust23THRUST_200600_302600_NS6detail15normal_iteratorINS9_10device_ptrIjEEEESE_PS5_SF_jNS0_19identity_decomposerENS1_16block_id_wrapperIjLb1EEEEE10hipError_tT1_PNSt15iterator_traitsISK_E10value_typeET2_T3_PNSL_ISQ_E10value_typeET4_T5_PSV_SW_PNS1_23onesweep_lookback_stateEbbT6_jjT7_P12ihipStream_tbENKUlT_T0_SK_SP_E_clISE_SE_SF_SF_EEDaS13_S14_SK_SP_EUlS13_E_NS1_11comp_targetILNS1_3genE0ELNS1_11target_archE4294967295ELNS1_3gpuE0ELNS1_3repE0EEENS1_47radix_sort_onesweep_sort_config_static_selectorELNS0_4arch9wavefront6targetE1EEEvSK_,"axG",@progbits,_ZN7rocprim17ROCPRIM_400000_NS6detail17trampoline_kernelINS0_14default_configENS1_35radix_sort_onesweep_config_selectorIjNS0_10empty_typeEEEZZNS1_29radix_sort_onesweep_iterationIS3_Lb0EN6thrust23THRUST_200600_302600_NS6detail15normal_iteratorINS9_10device_ptrIjEEEESE_PS5_SF_jNS0_19identity_decomposerENS1_16block_id_wrapperIjLb1EEEEE10hipError_tT1_PNSt15iterator_traitsISK_E10value_typeET2_T3_PNSL_ISQ_E10value_typeET4_T5_PSV_SW_PNS1_23onesweep_lookback_stateEbbT6_jjT7_P12ihipStream_tbENKUlT_T0_SK_SP_E_clISE_SE_SF_SF_EEDaS13_S14_SK_SP_EUlS13_E_NS1_11comp_targetILNS1_3genE0ELNS1_11target_archE4294967295ELNS1_3gpuE0ELNS1_3repE0EEENS1_47radix_sort_onesweep_sort_config_static_selectorELNS0_4arch9wavefront6targetE1EEEvSK_,comdat
.Lfunc_end1101:
	.size	_ZN7rocprim17ROCPRIM_400000_NS6detail17trampoline_kernelINS0_14default_configENS1_35radix_sort_onesweep_config_selectorIjNS0_10empty_typeEEEZZNS1_29radix_sort_onesweep_iterationIS3_Lb0EN6thrust23THRUST_200600_302600_NS6detail15normal_iteratorINS9_10device_ptrIjEEEESE_PS5_SF_jNS0_19identity_decomposerENS1_16block_id_wrapperIjLb1EEEEE10hipError_tT1_PNSt15iterator_traitsISK_E10value_typeET2_T3_PNSL_ISQ_E10value_typeET4_T5_PSV_SW_PNS1_23onesweep_lookback_stateEbbT6_jjT7_P12ihipStream_tbENKUlT_T0_SK_SP_E_clISE_SE_SF_SF_EEDaS13_S14_SK_SP_EUlS13_E_NS1_11comp_targetILNS1_3genE0ELNS1_11target_archE4294967295ELNS1_3gpuE0ELNS1_3repE0EEENS1_47radix_sort_onesweep_sort_config_static_selectorELNS0_4arch9wavefront6targetE1EEEvSK_, .Lfunc_end1101-_ZN7rocprim17ROCPRIM_400000_NS6detail17trampoline_kernelINS0_14default_configENS1_35radix_sort_onesweep_config_selectorIjNS0_10empty_typeEEEZZNS1_29radix_sort_onesweep_iterationIS3_Lb0EN6thrust23THRUST_200600_302600_NS6detail15normal_iteratorINS9_10device_ptrIjEEEESE_PS5_SF_jNS0_19identity_decomposerENS1_16block_id_wrapperIjLb1EEEEE10hipError_tT1_PNSt15iterator_traitsISK_E10value_typeET2_T3_PNSL_ISQ_E10value_typeET4_T5_PSV_SW_PNS1_23onesweep_lookback_stateEbbT6_jjT7_P12ihipStream_tbENKUlT_T0_SK_SP_E_clISE_SE_SF_SF_EEDaS13_S14_SK_SP_EUlS13_E_NS1_11comp_targetILNS1_3genE0ELNS1_11target_archE4294967295ELNS1_3gpuE0ELNS1_3repE0EEENS1_47radix_sort_onesweep_sort_config_static_selectorELNS0_4arch9wavefront6targetE1EEEvSK_
                                        ; -- End function
	.section	.AMDGPU.csdata,"",@progbits
; Kernel info:
; codeLenInByte = 0
; NumSgprs: 4
; NumVgprs: 0
; NumAgprs: 0
; TotalNumVgprs: 0
; ScratchSize: 0
; MemoryBound: 0
; FloatMode: 240
; IeeeMode: 1
; LDSByteSize: 0 bytes/workgroup (compile time only)
; SGPRBlocks: 0
; VGPRBlocks: 0
; NumSGPRsForWavesPerEU: 4
; NumVGPRsForWavesPerEU: 1
; AccumOffset: 4
; Occupancy: 8
; WaveLimiterHint : 0
; COMPUTE_PGM_RSRC2:SCRATCH_EN: 0
; COMPUTE_PGM_RSRC2:USER_SGPR: 6
; COMPUTE_PGM_RSRC2:TRAP_HANDLER: 0
; COMPUTE_PGM_RSRC2:TGID_X_EN: 1
; COMPUTE_PGM_RSRC2:TGID_Y_EN: 0
; COMPUTE_PGM_RSRC2:TGID_Z_EN: 0
; COMPUTE_PGM_RSRC2:TIDIG_COMP_CNT: 0
; COMPUTE_PGM_RSRC3_GFX90A:ACCUM_OFFSET: 0
; COMPUTE_PGM_RSRC3_GFX90A:TG_SPLIT: 0
	.section	.text._ZN7rocprim17ROCPRIM_400000_NS6detail17trampoline_kernelINS0_14default_configENS1_35radix_sort_onesweep_config_selectorIjNS0_10empty_typeEEEZZNS1_29radix_sort_onesweep_iterationIS3_Lb0EN6thrust23THRUST_200600_302600_NS6detail15normal_iteratorINS9_10device_ptrIjEEEESE_PS5_SF_jNS0_19identity_decomposerENS1_16block_id_wrapperIjLb1EEEEE10hipError_tT1_PNSt15iterator_traitsISK_E10value_typeET2_T3_PNSL_ISQ_E10value_typeET4_T5_PSV_SW_PNS1_23onesweep_lookback_stateEbbT6_jjT7_P12ihipStream_tbENKUlT_T0_SK_SP_E_clISE_SE_SF_SF_EEDaS13_S14_SK_SP_EUlS13_E_NS1_11comp_targetILNS1_3genE6ELNS1_11target_archE950ELNS1_3gpuE13ELNS1_3repE0EEENS1_47radix_sort_onesweep_sort_config_static_selectorELNS0_4arch9wavefront6targetE1EEEvSK_,"axG",@progbits,_ZN7rocprim17ROCPRIM_400000_NS6detail17trampoline_kernelINS0_14default_configENS1_35radix_sort_onesweep_config_selectorIjNS0_10empty_typeEEEZZNS1_29radix_sort_onesweep_iterationIS3_Lb0EN6thrust23THRUST_200600_302600_NS6detail15normal_iteratorINS9_10device_ptrIjEEEESE_PS5_SF_jNS0_19identity_decomposerENS1_16block_id_wrapperIjLb1EEEEE10hipError_tT1_PNSt15iterator_traitsISK_E10value_typeET2_T3_PNSL_ISQ_E10value_typeET4_T5_PSV_SW_PNS1_23onesweep_lookback_stateEbbT6_jjT7_P12ihipStream_tbENKUlT_T0_SK_SP_E_clISE_SE_SF_SF_EEDaS13_S14_SK_SP_EUlS13_E_NS1_11comp_targetILNS1_3genE6ELNS1_11target_archE950ELNS1_3gpuE13ELNS1_3repE0EEENS1_47radix_sort_onesweep_sort_config_static_selectorELNS0_4arch9wavefront6targetE1EEEvSK_,comdat
	.protected	_ZN7rocprim17ROCPRIM_400000_NS6detail17trampoline_kernelINS0_14default_configENS1_35radix_sort_onesweep_config_selectorIjNS0_10empty_typeEEEZZNS1_29radix_sort_onesweep_iterationIS3_Lb0EN6thrust23THRUST_200600_302600_NS6detail15normal_iteratorINS9_10device_ptrIjEEEESE_PS5_SF_jNS0_19identity_decomposerENS1_16block_id_wrapperIjLb1EEEEE10hipError_tT1_PNSt15iterator_traitsISK_E10value_typeET2_T3_PNSL_ISQ_E10value_typeET4_T5_PSV_SW_PNS1_23onesweep_lookback_stateEbbT6_jjT7_P12ihipStream_tbENKUlT_T0_SK_SP_E_clISE_SE_SF_SF_EEDaS13_S14_SK_SP_EUlS13_E_NS1_11comp_targetILNS1_3genE6ELNS1_11target_archE950ELNS1_3gpuE13ELNS1_3repE0EEENS1_47radix_sort_onesweep_sort_config_static_selectorELNS0_4arch9wavefront6targetE1EEEvSK_ ; -- Begin function _ZN7rocprim17ROCPRIM_400000_NS6detail17trampoline_kernelINS0_14default_configENS1_35radix_sort_onesweep_config_selectorIjNS0_10empty_typeEEEZZNS1_29radix_sort_onesweep_iterationIS3_Lb0EN6thrust23THRUST_200600_302600_NS6detail15normal_iteratorINS9_10device_ptrIjEEEESE_PS5_SF_jNS0_19identity_decomposerENS1_16block_id_wrapperIjLb1EEEEE10hipError_tT1_PNSt15iterator_traitsISK_E10value_typeET2_T3_PNSL_ISQ_E10value_typeET4_T5_PSV_SW_PNS1_23onesweep_lookback_stateEbbT6_jjT7_P12ihipStream_tbENKUlT_T0_SK_SP_E_clISE_SE_SF_SF_EEDaS13_S14_SK_SP_EUlS13_E_NS1_11comp_targetILNS1_3genE6ELNS1_11target_archE950ELNS1_3gpuE13ELNS1_3repE0EEENS1_47radix_sort_onesweep_sort_config_static_selectorELNS0_4arch9wavefront6targetE1EEEvSK_
	.globl	_ZN7rocprim17ROCPRIM_400000_NS6detail17trampoline_kernelINS0_14default_configENS1_35radix_sort_onesweep_config_selectorIjNS0_10empty_typeEEEZZNS1_29radix_sort_onesweep_iterationIS3_Lb0EN6thrust23THRUST_200600_302600_NS6detail15normal_iteratorINS9_10device_ptrIjEEEESE_PS5_SF_jNS0_19identity_decomposerENS1_16block_id_wrapperIjLb1EEEEE10hipError_tT1_PNSt15iterator_traitsISK_E10value_typeET2_T3_PNSL_ISQ_E10value_typeET4_T5_PSV_SW_PNS1_23onesweep_lookback_stateEbbT6_jjT7_P12ihipStream_tbENKUlT_T0_SK_SP_E_clISE_SE_SF_SF_EEDaS13_S14_SK_SP_EUlS13_E_NS1_11comp_targetILNS1_3genE6ELNS1_11target_archE950ELNS1_3gpuE13ELNS1_3repE0EEENS1_47radix_sort_onesweep_sort_config_static_selectorELNS0_4arch9wavefront6targetE1EEEvSK_
	.p2align	8
	.type	_ZN7rocprim17ROCPRIM_400000_NS6detail17trampoline_kernelINS0_14default_configENS1_35radix_sort_onesweep_config_selectorIjNS0_10empty_typeEEEZZNS1_29radix_sort_onesweep_iterationIS3_Lb0EN6thrust23THRUST_200600_302600_NS6detail15normal_iteratorINS9_10device_ptrIjEEEESE_PS5_SF_jNS0_19identity_decomposerENS1_16block_id_wrapperIjLb1EEEEE10hipError_tT1_PNSt15iterator_traitsISK_E10value_typeET2_T3_PNSL_ISQ_E10value_typeET4_T5_PSV_SW_PNS1_23onesweep_lookback_stateEbbT6_jjT7_P12ihipStream_tbENKUlT_T0_SK_SP_E_clISE_SE_SF_SF_EEDaS13_S14_SK_SP_EUlS13_E_NS1_11comp_targetILNS1_3genE6ELNS1_11target_archE950ELNS1_3gpuE13ELNS1_3repE0EEENS1_47radix_sort_onesweep_sort_config_static_selectorELNS0_4arch9wavefront6targetE1EEEvSK_,@function
_ZN7rocprim17ROCPRIM_400000_NS6detail17trampoline_kernelINS0_14default_configENS1_35radix_sort_onesweep_config_selectorIjNS0_10empty_typeEEEZZNS1_29radix_sort_onesweep_iterationIS3_Lb0EN6thrust23THRUST_200600_302600_NS6detail15normal_iteratorINS9_10device_ptrIjEEEESE_PS5_SF_jNS0_19identity_decomposerENS1_16block_id_wrapperIjLb1EEEEE10hipError_tT1_PNSt15iterator_traitsISK_E10value_typeET2_T3_PNSL_ISQ_E10value_typeET4_T5_PSV_SW_PNS1_23onesweep_lookback_stateEbbT6_jjT7_P12ihipStream_tbENKUlT_T0_SK_SP_E_clISE_SE_SF_SF_EEDaS13_S14_SK_SP_EUlS13_E_NS1_11comp_targetILNS1_3genE6ELNS1_11target_archE950ELNS1_3gpuE13ELNS1_3repE0EEENS1_47radix_sort_onesweep_sort_config_static_selectorELNS0_4arch9wavefront6targetE1EEEvSK_: ; @_ZN7rocprim17ROCPRIM_400000_NS6detail17trampoline_kernelINS0_14default_configENS1_35radix_sort_onesweep_config_selectorIjNS0_10empty_typeEEEZZNS1_29radix_sort_onesweep_iterationIS3_Lb0EN6thrust23THRUST_200600_302600_NS6detail15normal_iteratorINS9_10device_ptrIjEEEESE_PS5_SF_jNS0_19identity_decomposerENS1_16block_id_wrapperIjLb1EEEEE10hipError_tT1_PNSt15iterator_traitsISK_E10value_typeET2_T3_PNSL_ISQ_E10value_typeET4_T5_PSV_SW_PNS1_23onesweep_lookback_stateEbbT6_jjT7_P12ihipStream_tbENKUlT_T0_SK_SP_E_clISE_SE_SF_SF_EEDaS13_S14_SK_SP_EUlS13_E_NS1_11comp_targetILNS1_3genE6ELNS1_11target_archE950ELNS1_3gpuE13ELNS1_3repE0EEENS1_47radix_sort_onesweep_sort_config_static_selectorELNS0_4arch9wavefront6targetE1EEEvSK_
; %bb.0:
	.section	.rodata,"a",@progbits
	.p2align	6, 0x0
	.amdhsa_kernel _ZN7rocprim17ROCPRIM_400000_NS6detail17trampoline_kernelINS0_14default_configENS1_35radix_sort_onesweep_config_selectorIjNS0_10empty_typeEEEZZNS1_29radix_sort_onesweep_iterationIS3_Lb0EN6thrust23THRUST_200600_302600_NS6detail15normal_iteratorINS9_10device_ptrIjEEEESE_PS5_SF_jNS0_19identity_decomposerENS1_16block_id_wrapperIjLb1EEEEE10hipError_tT1_PNSt15iterator_traitsISK_E10value_typeET2_T3_PNSL_ISQ_E10value_typeET4_T5_PSV_SW_PNS1_23onesweep_lookback_stateEbbT6_jjT7_P12ihipStream_tbENKUlT_T0_SK_SP_E_clISE_SE_SF_SF_EEDaS13_S14_SK_SP_EUlS13_E_NS1_11comp_targetILNS1_3genE6ELNS1_11target_archE950ELNS1_3gpuE13ELNS1_3repE0EEENS1_47radix_sort_onesweep_sort_config_static_selectorELNS0_4arch9wavefront6targetE1EEEvSK_
		.amdhsa_group_segment_fixed_size 0
		.amdhsa_private_segment_fixed_size 0
		.amdhsa_kernarg_size 88
		.amdhsa_user_sgpr_count 6
		.amdhsa_user_sgpr_private_segment_buffer 1
		.amdhsa_user_sgpr_dispatch_ptr 0
		.amdhsa_user_sgpr_queue_ptr 0
		.amdhsa_user_sgpr_kernarg_segment_ptr 1
		.amdhsa_user_sgpr_dispatch_id 0
		.amdhsa_user_sgpr_flat_scratch_init 0
		.amdhsa_user_sgpr_kernarg_preload_length 0
		.amdhsa_user_sgpr_kernarg_preload_offset 0
		.amdhsa_user_sgpr_private_segment_size 0
		.amdhsa_uses_dynamic_stack 0
		.amdhsa_system_sgpr_private_segment_wavefront_offset 0
		.amdhsa_system_sgpr_workgroup_id_x 1
		.amdhsa_system_sgpr_workgroup_id_y 0
		.amdhsa_system_sgpr_workgroup_id_z 0
		.amdhsa_system_sgpr_workgroup_info 0
		.amdhsa_system_vgpr_workitem_id 0
		.amdhsa_next_free_vgpr 1
		.amdhsa_next_free_sgpr 0
		.amdhsa_accum_offset 4
		.amdhsa_reserve_vcc 0
		.amdhsa_reserve_flat_scratch 0
		.amdhsa_float_round_mode_32 0
		.amdhsa_float_round_mode_16_64 0
		.amdhsa_float_denorm_mode_32 3
		.amdhsa_float_denorm_mode_16_64 3
		.amdhsa_dx10_clamp 1
		.amdhsa_ieee_mode 1
		.amdhsa_fp16_overflow 0
		.amdhsa_tg_split 0
		.amdhsa_exception_fp_ieee_invalid_op 0
		.amdhsa_exception_fp_denorm_src 0
		.amdhsa_exception_fp_ieee_div_zero 0
		.amdhsa_exception_fp_ieee_overflow 0
		.amdhsa_exception_fp_ieee_underflow 0
		.amdhsa_exception_fp_ieee_inexact 0
		.amdhsa_exception_int_div_zero 0
	.end_amdhsa_kernel
	.section	.text._ZN7rocprim17ROCPRIM_400000_NS6detail17trampoline_kernelINS0_14default_configENS1_35radix_sort_onesweep_config_selectorIjNS0_10empty_typeEEEZZNS1_29radix_sort_onesweep_iterationIS3_Lb0EN6thrust23THRUST_200600_302600_NS6detail15normal_iteratorINS9_10device_ptrIjEEEESE_PS5_SF_jNS0_19identity_decomposerENS1_16block_id_wrapperIjLb1EEEEE10hipError_tT1_PNSt15iterator_traitsISK_E10value_typeET2_T3_PNSL_ISQ_E10value_typeET4_T5_PSV_SW_PNS1_23onesweep_lookback_stateEbbT6_jjT7_P12ihipStream_tbENKUlT_T0_SK_SP_E_clISE_SE_SF_SF_EEDaS13_S14_SK_SP_EUlS13_E_NS1_11comp_targetILNS1_3genE6ELNS1_11target_archE950ELNS1_3gpuE13ELNS1_3repE0EEENS1_47radix_sort_onesweep_sort_config_static_selectorELNS0_4arch9wavefront6targetE1EEEvSK_,"axG",@progbits,_ZN7rocprim17ROCPRIM_400000_NS6detail17trampoline_kernelINS0_14default_configENS1_35radix_sort_onesweep_config_selectorIjNS0_10empty_typeEEEZZNS1_29radix_sort_onesweep_iterationIS3_Lb0EN6thrust23THRUST_200600_302600_NS6detail15normal_iteratorINS9_10device_ptrIjEEEESE_PS5_SF_jNS0_19identity_decomposerENS1_16block_id_wrapperIjLb1EEEEE10hipError_tT1_PNSt15iterator_traitsISK_E10value_typeET2_T3_PNSL_ISQ_E10value_typeET4_T5_PSV_SW_PNS1_23onesweep_lookback_stateEbbT6_jjT7_P12ihipStream_tbENKUlT_T0_SK_SP_E_clISE_SE_SF_SF_EEDaS13_S14_SK_SP_EUlS13_E_NS1_11comp_targetILNS1_3genE6ELNS1_11target_archE950ELNS1_3gpuE13ELNS1_3repE0EEENS1_47radix_sort_onesweep_sort_config_static_selectorELNS0_4arch9wavefront6targetE1EEEvSK_,comdat
.Lfunc_end1102:
	.size	_ZN7rocprim17ROCPRIM_400000_NS6detail17trampoline_kernelINS0_14default_configENS1_35radix_sort_onesweep_config_selectorIjNS0_10empty_typeEEEZZNS1_29radix_sort_onesweep_iterationIS3_Lb0EN6thrust23THRUST_200600_302600_NS6detail15normal_iteratorINS9_10device_ptrIjEEEESE_PS5_SF_jNS0_19identity_decomposerENS1_16block_id_wrapperIjLb1EEEEE10hipError_tT1_PNSt15iterator_traitsISK_E10value_typeET2_T3_PNSL_ISQ_E10value_typeET4_T5_PSV_SW_PNS1_23onesweep_lookback_stateEbbT6_jjT7_P12ihipStream_tbENKUlT_T0_SK_SP_E_clISE_SE_SF_SF_EEDaS13_S14_SK_SP_EUlS13_E_NS1_11comp_targetILNS1_3genE6ELNS1_11target_archE950ELNS1_3gpuE13ELNS1_3repE0EEENS1_47radix_sort_onesweep_sort_config_static_selectorELNS0_4arch9wavefront6targetE1EEEvSK_, .Lfunc_end1102-_ZN7rocprim17ROCPRIM_400000_NS6detail17trampoline_kernelINS0_14default_configENS1_35radix_sort_onesweep_config_selectorIjNS0_10empty_typeEEEZZNS1_29radix_sort_onesweep_iterationIS3_Lb0EN6thrust23THRUST_200600_302600_NS6detail15normal_iteratorINS9_10device_ptrIjEEEESE_PS5_SF_jNS0_19identity_decomposerENS1_16block_id_wrapperIjLb1EEEEE10hipError_tT1_PNSt15iterator_traitsISK_E10value_typeET2_T3_PNSL_ISQ_E10value_typeET4_T5_PSV_SW_PNS1_23onesweep_lookback_stateEbbT6_jjT7_P12ihipStream_tbENKUlT_T0_SK_SP_E_clISE_SE_SF_SF_EEDaS13_S14_SK_SP_EUlS13_E_NS1_11comp_targetILNS1_3genE6ELNS1_11target_archE950ELNS1_3gpuE13ELNS1_3repE0EEENS1_47radix_sort_onesweep_sort_config_static_selectorELNS0_4arch9wavefront6targetE1EEEvSK_
                                        ; -- End function
	.section	.AMDGPU.csdata,"",@progbits
; Kernel info:
; codeLenInByte = 0
; NumSgprs: 4
; NumVgprs: 0
; NumAgprs: 0
; TotalNumVgprs: 0
; ScratchSize: 0
; MemoryBound: 0
; FloatMode: 240
; IeeeMode: 1
; LDSByteSize: 0 bytes/workgroup (compile time only)
; SGPRBlocks: 0
; VGPRBlocks: 0
; NumSGPRsForWavesPerEU: 4
; NumVGPRsForWavesPerEU: 1
; AccumOffset: 4
; Occupancy: 8
; WaveLimiterHint : 0
; COMPUTE_PGM_RSRC2:SCRATCH_EN: 0
; COMPUTE_PGM_RSRC2:USER_SGPR: 6
; COMPUTE_PGM_RSRC2:TRAP_HANDLER: 0
; COMPUTE_PGM_RSRC2:TGID_X_EN: 1
; COMPUTE_PGM_RSRC2:TGID_Y_EN: 0
; COMPUTE_PGM_RSRC2:TGID_Z_EN: 0
; COMPUTE_PGM_RSRC2:TIDIG_COMP_CNT: 0
; COMPUTE_PGM_RSRC3_GFX90A:ACCUM_OFFSET: 0
; COMPUTE_PGM_RSRC3_GFX90A:TG_SPLIT: 0
	.section	.text._ZN7rocprim17ROCPRIM_400000_NS6detail17trampoline_kernelINS0_14default_configENS1_35radix_sort_onesweep_config_selectorIjNS0_10empty_typeEEEZZNS1_29radix_sort_onesweep_iterationIS3_Lb0EN6thrust23THRUST_200600_302600_NS6detail15normal_iteratorINS9_10device_ptrIjEEEESE_PS5_SF_jNS0_19identity_decomposerENS1_16block_id_wrapperIjLb1EEEEE10hipError_tT1_PNSt15iterator_traitsISK_E10value_typeET2_T3_PNSL_ISQ_E10value_typeET4_T5_PSV_SW_PNS1_23onesweep_lookback_stateEbbT6_jjT7_P12ihipStream_tbENKUlT_T0_SK_SP_E_clISE_SE_SF_SF_EEDaS13_S14_SK_SP_EUlS13_E_NS1_11comp_targetILNS1_3genE5ELNS1_11target_archE942ELNS1_3gpuE9ELNS1_3repE0EEENS1_47radix_sort_onesweep_sort_config_static_selectorELNS0_4arch9wavefront6targetE1EEEvSK_,"axG",@progbits,_ZN7rocprim17ROCPRIM_400000_NS6detail17trampoline_kernelINS0_14default_configENS1_35radix_sort_onesweep_config_selectorIjNS0_10empty_typeEEEZZNS1_29radix_sort_onesweep_iterationIS3_Lb0EN6thrust23THRUST_200600_302600_NS6detail15normal_iteratorINS9_10device_ptrIjEEEESE_PS5_SF_jNS0_19identity_decomposerENS1_16block_id_wrapperIjLb1EEEEE10hipError_tT1_PNSt15iterator_traitsISK_E10value_typeET2_T3_PNSL_ISQ_E10value_typeET4_T5_PSV_SW_PNS1_23onesweep_lookback_stateEbbT6_jjT7_P12ihipStream_tbENKUlT_T0_SK_SP_E_clISE_SE_SF_SF_EEDaS13_S14_SK_SP_EUlS13_E_NS1_11comp_targetILNS1_3genE5ELNS1_11target_archE942ELNS1_3gpuE9ELNS1_3repE0EEENS1_47radix_sort_onesweep_sort_config_static_selectorELNS0_4arch9wavefront6targetE1EEEvSK_,comdat
	.protected	_ZN7rocprim17ROCPRIM_400000_NS6detail17trampoline_kernelINS0_14default_configENS1_35radix_sort_onesweep_config_selectorIjNS0_10empty_typeEEEZZNS1_29radix_sort_onesweep_iterationIS3_Lb0EN6thrust23THRUST_200600_302600_NS6detail15normal_iteratorINS9_10device_ptrIjEEEESE_PS5_SF_jNS0_19identity_decomposerENS1_16block_id_wrapperIjLb1EEEEE10hipError_tT1_PNSt15iterator_traitsISK_E10value_typeET2_T3_PNSL_ISQ_E10value_typeET4_T5_PSV_SW_PNS1_23onesweep_lookback_stateEbbT6_jjT7_P12ihipStream_tbENKUlT_T0_SK_SP_E_clISE_SE_SF_SF_EEDaS13_S14_SK_SP_EUlS13_E_NS1_11comp_targetILNS1_3genE5ELNS1_11target_archE942ELNS1_3gpuE9ELNS1_3repE0EEENS1_47radix_sort_onesweep_sort_config_static_selectorELNS0_4arch9wavefront6targetE1EEEvSK_ ; -- Begin function _ZN7rocprim17ROCPRIM_400000_NS6detail17trampoline_kernelINS0_14default_configENS1_35radix_sort_onesweep_config_selectorIjNS0_10empty_typeEEEZZNS1_29radix_sort_onesweep_iterationIS3_Lb0EN6thrust23THRUST_200600_302600_NS6detail15normal_iteratorINS9_10device_ptrIjEEEESE_PS5_SF_jNS0_19identity_decomposerENS1_16block_id_wrapperIjLb1EEEEE10hipError_tT1_PNSt15iterator_traitsISK_E10value_typeET2_T3_PNSL_ISQ_E10value_typeET4_T5_PSV_SW_PNS1_23onesweep_lookback_stateEbbT6_jjT7_P12ihipStream_tbENKUlT_T0_SK_SP_E_clISE_SE_SF_SF_EEDaS13_S14_SK_SP_EUlS13_E_NS1_11comp_targetILNS1_3genE5ELNS1_11target_archE942ELNS1_3gpuE9ELNS1_3repE0EEENS1_47radix_sort_onesweep_sort_config_static_selectorELNS0_4arch9wavefront6targetE1EEEvSK_
	.globl	_ZN7rocprim17ROCPRIM_400000_NS6detail17trampoline_kernelINS0_14default_configENS1_35radix_sort_onesweep_config_selectorIjNS0_10empty_typeEEEZZNS1_29radix_sort_onesweep_iterationIS3_Lb0EN6thrust23THRUST_200600_302600_NS6detail15normal_iteratorINS9_10device_ptrIjEEEESE_PS5_SF_jNS0_19identity_decomposerENS1_16block_id_wrapperIjLb1EEEEE10hipError_tT1_PNSt15iterator_traitsISK_E10value_typeET2_T3_PNSL_ISQ_E10value_typeET4_T5_PSV_SW_PNS1_23onesweep_lookback_stateEbbT6_jjT7_P12ihipStream_tbENKUlT_T0_SK_SP_E_clISE_SE_SF_SF_EEDaS13_S14_SK_SP_EUlS13_E_NS1_11comp_targetILNS1_3genE5ELNS1_11target_archE942ELNS1_3gpuE9ELNS1_3repE0EEENS1_47radix_sort_onesweep_sort_config_static_selectorELNS0_4arch9wavefront6targetE1EEEvSK_
	.p2align	8
	.type	_ZN7rocprim17ROCPRIM_400000_NS6detail17trampoline_kernelINS0_14default_configENS1_35radix_sort_onesweep_config_selectorIjNS0_10empty_typeEEEZZNS1_29radix_sort_onesweep_iterationIS3_Lb0EN6thrust23THRUST_200600_302600_NS6detail15normal_iteratorINS9_10device_ptrIjEEEESE_PS5_SF_jNS0_19identity_decomposerENS1_16block_id_wrapperIjLb1EEEEE10hipError_tT1_PNSt15iterator_traitsISK_E10value_typeET2_T3_PNSL_ISQ_E10value_typeET4_T5_PSV_SW_PNS1_23onesweep_lookback_stateEbbT6_jjT7_P12ihipStream_tbENKUlT_T0_SK_SP_E_clISE_SE_SF_SF_EEDaS13_S14_SK_SP_EUlS13_E_NS1_11comp_targetILNS1_3genE5ELNS1_11target_archE942ELNS1_3gpuE9ELNS1_3repE0EEENS1_47radix_sort_onesweep_sort_config_static_selectorELNS0_4arch9wavefront6targetE1EEEvSK_,@function
_ZN7rocprim17ROCPRIM_400000_NS6detail17trampoline_kernelINS0_14default_configENS1_35radix_sort_onesweep_config_selectorIjNS0_10empty_typeEEEZZNS1_29radix_sort_onesweep_iterationIS3_Lb0EN6thrust23THRUST_200600_302600_NS6detail15normal_iteratorINS9_10device_ptrIjEEEESE_PS5_SF_jNS0_19identity_decomposerENS1_16block_id_wrapperIjLb1EEEEE10hipError_tT1_PNSt15iterator_traitsISK_E10value_typeET2_T3_PNSL_ISQ_E10value_typeET4_T5_PSV_SW_PNS1_23onesweep_lookback_stateEbbT6_jjT7_P12ihipStream_tbENKUlT_T0_SK_SP_E_clISE_SE_SF_SF_EEDaS13_S14_SK_SP_EUlS13_E_NS1_11comp_targetILNS1_3genE5ELNS1_11target_archE942ELNS1_3gpuE9ELNS1_3repE0EEENS1_47radix_sort_onesweep_sort_config_static_selectorELNS0_4arch9wavefront6targetE1EEEvSK_: ; @_ZN7rocprim17ROCPRIM_400000_NS6detail17trampoline_kernelINS0_14default_configENS1_35radix_sort_onesweep_config_selectorIjNS0_10empty_typeEEEZZNS1_29radix_sort_onesweep_iterationIS3_Lb0EN6thrust23THRUST_200600_302600_NS6detail15normal_iteratorINS9_10device_ptrIjEEEESE_PS5_SF_jNS0_19identity_decomposerENS1_16block_id_wrapperIjLb1EEEEE10hipError_tT1_PNSt15iterator_traitsISK_E10value_typeET2_T3_PNSL_ISQ_E10value_typeET4_T5_PSV_SW_PNS1_23onesweep_lookback_stateEbbT6_jjT7_P12ihipStream_tbENKUlT_T0_SK_SP_E_clISE_SE_SF_SF_EEDaS13_S14_SK_SP_EUlS13_E_NS1_11comp_targetILNS1_3genE5ELNS1_11target_archE942ELNS1_3gpuE9ELNS1_3repE0EEENS1_47radix_sort_onesweep_sort_config_static_selectorELNS0_4arch9wavefront6targetE1EEEvSK_
; %bb.0:
	.section	.rodata,"a",@progbits
	.p2align	6, 0x0
	.amdhsa_kernel _ZN7rocprim17ROCPRIM_400000_NS6detail17trampoline_kernelINS0_14default_configENS1_35radix_sort_onesweep_config_selectorIjNS0_10empty_typeEEEZZNS1_29radix_sort_onesweep_iterationIS3_Lb0EN6thrust23THRUST_200600_302600_NS6detail15normal_iteratorINS9_10device_ptrIjEEEESE_PS5_SF_jNS0_19identity_decomposerENS1_16block_id_wrapperIjLb1EEEEE10hipError_tT1_PNSt15iterator_traitsISK_E10value_typeET2_T3_PNSL_ISQ_E10value_typeET4_T5_PSV_SW_PNS1_23onesweep_lookback_stateEbbT6_jjT7_P12ihipStream_tbENKUlT_T0_SK_SP_E_clISE_SE_SF_SF_EEDaS13_S14_SK_SP_EUlS13_E_NS1_11comp_targetILNS1_3genE5ELNS1_11target_archE942ELNS1_3gpuE9ELNS1_3repE0EEENS1_47radix_sort_onesweep_sort_config_static_selectorELNS0_4arch9wavefront6targetE1EEEvSK_
		.amdhsa_group_segment_fixed_size 0
		.amdhsa_private_segment_fixed_size 0
		.amdhsa_kernarg_size 88
		.amdhsa_user_sgpr_count 6
		.amdhsa_user_sgpr_private_segment_buffer 1
		.amdhsa_user_sgpr_dispatch_ptr 0
		.amdhsa_user_sgpr_queue_ptr 0
		.amdhsa_user_sgpr_kernarg_segment_ptr 1
		.amdhsa_user_sgpr_dispatch_id 0
		.amdhsa_user_sgpr_flat_scratch_init 0
		.amdhsa_user_sgpr_kernarg_preload_length 0
		.amdhsa_user_sgpr_kernarg_preload_offset 0
		.amdhsa_user_sgpr_private_segment_size 0
		.amdhsa_uses_dynamic_stack 0
		.amdhsa_system_sgpr_private_segment_wavefront_offset 0
		.amdhsa_system_sgpr_workgroup_id_x 1
		.amdhsa_system_sgpr_workgroup_id_y 0
		.amdhsa_system_sgpr_workgroup_id_z 0
		.amdhsa_system_sgpr_workgroup_info 0
		.amdhsa_system_vgpr_workitem_id 0
		.amdhsa_next_free_vgpr 1
		.amdhsa_next_free_sgpr 0
		.amdhsa_accum_offset 4
		.amdhsa_reserve_vcc 0
		.amdhsa_reserve_flat_scratch 0
		.amdhsa_float_round_mode_32 0
		.amdhsa_float_round_mode_16_64 0
		.amdhsa_float_denorm_mode_32 3
		.amdhsa_float_denorm_mode_16_64 3
		.amdhsa_dx10_clamp 1
		.amdhsa_ieee_mode 1
		.amdhsa_fp16_overflow 0
		.amdhsa_tg_split 0
		.amdhsa_exception_fp_ieee_invalid_op 0
		.amdhsa_exception_fp_denorm_src 0
		.amdhsa_exception_fp_ieee_div_zero 0
		.amdhsa_exception_fp_ieee_overflow 0
		.amdhsa_exception_fp_ieee_underflow 0
		.amdhsa_exception_fp_ieee_inexact 0
		.amdhsa_exception_int_div_zero 0
	.end_amdhsa_kernel
	.section	.text._ZN7rocprim17ROCPRIM_400000_NS6detail17trampoline_kernelINS0_14default_configENS1_35radix_sort_onesweep_config_selectorIjNS0_10empty_typeEEEZZNS1_29radix_sort_onesweep_iterationIS3_Lb0EN6thrust23THRUST_200600_302600_NS6detail15normal_iteratorINS9_10device_ptrIjEEEESE_PS5_SF_jNS0_19identity_decomposerENS1_16block_id_wrapperIjLb1EEEEE10hipError_tT1_PNSt15iterator_traitsISK_E10value_typeET2_T3_PNSL_ISQ_E10value_typeET4_T5_PSV_SW_PNS1_23onesweep_lookback_stateEbbT6_jjT7_P12ihipStream_tbENKUlT_T0_SK_SP_E_clISE_SE_SF_SF_EEDaS13_S14_SK_SP_EUlS13_E_NS1_11comp_targetILNS1_3genE5ELNS1_11target_archE942ELNS1_3gpuE9ELNS1_3repE0EEENS1_47radix_sort_onesweep_sort_config_static_selectorELNS0_4arch9wavefront6targetE1EEEvSK_,"axG",@progbits,_ZN7rocprim17ROCPRIM_400000_NS6detail17trampoline_kernelINS0_14default_configENS1_35radix_sort_onesweep_config_selectorIjNS0_10empty_typeEEEZZNS1_29radix_sort_onesweep_iterationIS3_Lb0EN6thrust23THRUST_200600_302600_NS6detail15normal_iteratorINS9_10device_ptrIjEEEESE_PS5_SF_jNS0_19identity_decomposerENS1_16block_id_wrapperIjLb1EEEEE10hipError_tT1_PNSt15iterator_traitsISK_E10value_typeET2_T3_PNSL_ISQ_E10value_typeET4_T5_PSV_SW_PNS1_23onesweep_lookback_stateEbbT6_jjT7_P12ihipStream_tbENKUlT_T0_SK_SP_E_clISE_SE_SF_SF_EEDaS13_S14_SK_SP_EUlS13_E_NS1_11comp_targetILNS1_3genE5ELNS1_11target_archE942ELNS1_3gpuE9ELNS1_3repE0EEENS1_47radix_sort_onesweep_sort_config_static_selectorELNS0_4arch9wavefront6targetE1EEEvSK_,comdat
.Lfunc_end1103:
	.size	_ZN7rocprim17ROCPRIM_400000_NS6detail17trampoline_kernelINS0_14default_configENS1_35radix_sort_onesweep_config_selectorIjNS0_10empty_typeEEEZZNS1_29radix_sort_onesweep_iterationIS3_Lb0EN6thrust23THRUST_200600_302600_NS6detail15normal_iteratorINS9_10device_ptrIjEEEESE_PS5_SF_jNS0_19identity_decomposerENS1_16block_id_wrapperIjLb1EEEEE10hipError_tT1_PNSt15iterator_traitsISK_E10value_typeET2_T3_PNSL_ISQ_E10value_typeET4_T5_PSV_SW_PNS1_23onesweep_lookback_stateEbbT6_jjT7_P12ihipStream_tbENKUlT_T0_SK_SP_E_clISE_SE_SF_SF_EEDaS13_S14_SK_SP_EUlS13_E_NS1_11comp_targetILNS1_3genE5ELNS1_11target_archE942ELNS1_3gpuE9ELNS1_3repE0EEENS1_47radix_sort_onesweep_sort_config_static_selectorELNS0_4arch9wavefront6targetE1EEEvSK_, .Lfunc_end1103-_ZN7rocprim17ROCPRIM_400000_NS6detail17trampoline_kernelINS0_14default_configENS1_35radix_sort_onesweep_config_selectorIjNS0_10empty_typeEEEZZNS1_29radix_sort_onesweep_iterationIS3_Lb0EN6thrust23THRUST_200600_302600_NS6detail15normal_iteratorINS9_10device_ptrIjEEEESE_PS5_SF_jNS0_19identity_decomposerENS1_16block_id_wrapperIjLb1EEEEE10hipError_tT1_PNSt15iterator_traitsISK_E10value_typeET2_T3_PNSL_ISQ_E10value_typeET4_T5_PSV_SW_PNS1_23onesweep_lookback_stateEbbT6_jjT7_P12ihipStream_tbENKUlT_T0_SK_SP_E_clISE_SE_SF_SF_EEDaS13_S14_SK_SP_EUlS13_E_NS1_11comp_targetILNS1_3genE5ELNS1_11target_archE942ELNS1_3gpuE9ELNS1_3repE0EEENS1_47radix_sort_onesweep_sort_config_static_selectorELNS0_4arch9wavefront6targetE1EEEvSK_
                                        ; -- End function
	.section	.AMDGPU.csdata,"",@progbits
; Kernel info:
; codeLenInByte = 0
; NumSgprs: 4
; NumVgprs: 0
; NumAgprs: 0
; TotalNumVgprs: 0
; ScratchSize: 0
; MemoryBound: 0
; FloatMode: 240
; IeeeMode: 1
; LDSByteSize: 0 bytes/workgroup (compile time only)
; SGPRBlocks: 0
; VGPRBlocks: 0
; NumSGPRsForWavesPerEU: 4
; NumVGPRsForWavesPerEU: 1
; AccumOffset: 4
; Occupancy: 8
; WaveLimiterHint : 0
; COMPUTE_PGM_RSRC2:SCRATCH_EN: 0
; COMPUTE_PGM_RSRC2:USER_SGPR: 6
; COMPUTE_PGM_RSRC2:TRAP_HANDLER: 0
; COMPUTE_PGM_RSRC2:TGID_X_EN: 1
; COMPUTE_PGM_RSRC2:TGID_Y_EN: 0
; COMPUTE_PGM_RSRC2:TGID_Z_EN: 0
; COMPUTE_PGM_RSRC2:TIDIG_COMP_CNT: 0
; COMPUTE_PGM_RSRC3_GFX90A:ACCUM_OFFSET: 0
; COMPUTE_PGM_RSRC3_GFX90A:TG_SPLIT: 0
	.section	.text._ZN7rocprim17ROCPRIM_400000_NS6detail17trampoline_kernelINS0_14default_configENS1_35radix_sort_onesweep_config_selectorIjNS0_10empty_typeEEEZZNS1_29radix_sort_onesweep_iterationIS3_Lb0EN6thrust23THRUST_200600_302600_NS6detail15normal_iteratorINS9_10device_ptrIjEEEESE_PS5_SF_jNS0_19identity_decomposerENS1_16block_id_wrapperIjLb1EEEEE10hipError_tT1_PNSt15iterator_traitsISK_E10value_typeET2_T3_PNSL_ISQ_E10value_typeET4_T5_PSV_SW_PNS1_23onesweep_lookback_stateEbbT6_jjT7_P12ihipStream_tbENKUlT_T0_SK_SP_E_clISE_SE_SF_SF_EEDaS13_S14_SK_SP_EUlS13_E_NS1_11comp_targetILNS1_3genE2ELNS1_11target_archE906ELNS1_3gpuE6ELNS1_3repE0EEENS1_47radix_sort_onesweep_sort_config_static_selectorELNS0_4arch9wavefront6targetE1EEEvSK_,"axG",@progbits,_ZN7rocprim17ROCPRIM_400000_NS6detail17trampoline_kernelINS0_14default_configENS1_35radix_sort_onesweep_config_selectorIjNS0_10empty_typeEEEZZNS1_29radix_sort_onesweep_iterationIS3_Lb0EN6thrust23THRUST_200600_302600_NS6detail15normal_iteratorINS9_10device_ptrIjEEEESE_PS5_SF_jNS0_19identity_decomposerENS1_16block_id_wrapperIjLb1EEEEE10hipError_tT1_PNSt15iterator_traitsISK_E10value_typeET2_T3_PNSL_ISQ_E10value_typeET4_T5_PSV_SW_PNS1_23onesweep_lookback_stateEbbT6_jjT7_P12ihipStream_tbENKUlT_T0_SK_SP_E_clISE_SE_SF_SF_EEDaS13_S14_SK_SP_EUlS13_E_NS1_11comp_targetILNS1_3genE2ELNS1_11target_archE906ELNS1_3gpuE6ELNS1_3repE0EEENS1_47radix_sort_onesweep_sort_config_static_selectorELNS0_4arch9wavefront6targetE1EEEvSK_,comdat
	.protected	_ZN7rocprim17ROCPRIM_400000_NS6detail17trampoline_kernelINS0_14default_configENS1_35radix_sort_onesweep_config_selectorIjNS0_10empty_typeEEEZZNS1_29radix_sort_onesweep_iterationIS3_Lb0EN6thrust23THRUST_200600_302600_NS6detail15normal_iteratorINS9_10device_ptrIjEEEESE_PS5_SF_jNS0_19identity_decomposerENS1_16block_id_wrapperIjLb1EEEEE10hipError_tT1_PNSt15iterator_traitsISK_E10value_typeET2_T3_PNSL_ISQ_E10value_typeET4_T5_PSV_SW_PNS1_23onesweep_lookback_stateEbbT6_jjT7_P12ihipStream_tbENKUlT_T0_SK_SP_E_clISE_SE_SF_SF_EEDaS13_S14_SK_SP_EUlS13_E_NS1_11comp_targetILNS1_3genE2ELNS1_11target_archE906ELNS1_3gpuE6ELNS1_3repE0EEENS1_47radix_sort_onesweep_sort_config_static_selectorELNS0_4arch9wavefront6targetE1EEEvSK_ ; -- Begin function _ZN7rocprim17ROCPRIM_400000_NS6detail17trampoline_kernelINS0_14default_configENS1_35radix_sort_onesweep_config_selectorIjNS0_10empty_typeEEEZZNS1_29radix_sort_onesweep_iterationIS3_Lb0EN6thrust23THRUST_200600_302600_NS6detail15normal_iteratorINS9_10device_ptrIjEEEESE_PS5_SF_jNS0_19identity_decomposerENS1_16block_id_wrapperIjLb1EEEEE10hipError_tT1_PNSt15iterator_traitsISK_E10value_typeET2_T3_PNSL_ISQ_E10value_typeET4_T5_PSV_SW_PNS1_23onesweep_lookback_stateEbbT6_jjT7_P12ihipStream_tbENKUlT_T0_SK_SP_E_clISE_SE_SF_SF_EEDaS13_S14_SK_SP_EUlS13_E_NS1_11comp_targetILNS1_3genE2ELNS1_11target_archE906ELNS1_3gpuE6ELNS1_3repE0EEENS1_47radix_sort_onesweep_sort_config_static_selectorELNS0_4arch9wavefront6targetE1EEEvSK_
	.globl	_ZN7rocprim17ROCPRIM_400000_NS6detail17trampoline_kernelINS0_14default_configENS1_35radix_sort_onesweep_config_selectorIjNS0_10empty_typeEEEZZNS1_29radix_sort_onesweep_iterationIS3_Lb0EN6thrust23THRUST_200600_302600_NS6detail15normal_iteratorINS9_10device_ptrIjEEEESE_PS5_SF_jNS0_19identity_decomposerENS1_16block_id_wrapperIjLb1EEEEE10hipError_tT1_PNSt15iterator_traitsISK_E10value_typeET2_T3_PNSL_ISQ_E10value_typeET4_T5_PSV_SW_PNS1_23onesweep_lookback_stateEbbT6_jjT7_P12ihipStream_tbENKUlT_T0_SK_SP_E_clISE_SE_SF_SF_EEDaS13_S14_SK_SP_EUlS13_E_NS1_11comp_targetILNS1_3genE2ELNS1_11target_archE906ELNS1_3gpuE6ELNS1_3repE0EEENS1_47radix_sort_onesweep_sort_config_static_selectorELNS0_4arch9wavefront6targetE1EEEvSK_
	.p2align	8
	.type	_ZN7rocprim17ROCPRIM_400000_NS6detail17trampoline_kernelINS0_14default_configENS1_35radix_sort_onesweep_config_selectorIjNS0_10empty_typeEEEZZNS1_29radix_sort_onesweep_iterationIS3_Lb0EN6thrust23THRUST_200600_302600_NS6detail15normal_iteratorINS9_10device_ptrIjEEEESE_PS5_SF_jNS0_19identity_decomposerENS1_16block_id_wrapperIjLb1EEEEE10hipError_tT1_PNSt15iterator_traitsISK_E10value_typeET2_T3_PNSL_ISQ_E10value_typeET4_T5_PSV_SW_PNS1_23onesweep_lookback_stateEbbT6_jjT7_P12ihipStream_tbENKUlT_T0_SK_SP_E_clISE_SE_SF_SF_EEDaS13_S14_SK_SP_EUlS13_E_NS1_11comp_targetILNS1_3genE2ELNS1_11target_archE906ELNS1_3gpuE6ELNS1_3repE0EEENS1_47radix_sort_onesweep_sort_config_static_selectorELNS0_4arch9wavefront6targetE1EEEvSK_,@function
_ZN7rocprim17ROCPRIM_400000_NS6detail17trampoline_kernelINS0_14default_configENS1_35radix_sort_onesweep_config_selectorIjNS0_10empty_typeEEEZZNS1_29radix_sort_onesweep_iterationIS3_Lb0EN6thrust23THRUST_200600_302600_NS6detail15normal_iteratorINS9_10device_ptrIjEEEESE_PS5_SF_jNS0_19identity_decomposerENS1_16block_id_wrapperIjLb1EEEEE10hipError_tT1_PNSt15iterator_traitsISK_E10value_typeET2_T3_PNSL_ISQ_E10value_typeET4_T5_PSV_SW_PNS1_23onesweep_lookback_stateEbbT6_jjT7_P12ihipStream_tbENKUlT_T0_SK_SP_E_clISE_SE_SF_SF_EEDaS13_S14_SK_SP_EUlS13_E_NS1_11comp_targetILNS1_3genE2ELNS1_11target_archE906ELNS1_3gpuE6ELNS1_3repE0EEENS1_47radix_sort_onesweep_sort_config_static_selectorELNS0_4arch9wavefront6targetE1EEEvSK_: ; @_ZN7rocprim17ROCPRIM_400000_NS6detail17trampoline_kernelINS0_14default_configENS1_35radix_sort_onesweep_config_selectorIjNS0_10empty_typeEEEZZNS1_29radix_sort_onesweep_iterationIS3_Lb0EN6thrust23THRUST_200600_302600_NS6detail15normal_iteratorINS9_10device_ptrIjEEEESE_PS5_SF_jNS0_19identity_decomposerENS1_16block_id_wrapperIjLb1EEEEE10hipError_tT1_PNSt15iterator_traitsISK_E10value_typeET2_T3_PNSL_ISQ_E10value_typeET4_T5_PSV_SW_PNS1_23onesweep_lookback_stateEbbT6_jjT7_P12ihipStream_tbENKUlT_T0_SK_SP_E_clISE_SE_SF_SF_EEDaS13_S14_SK_SP_EUlS13_E_NS1_11comp_targetILNS1_3genE2ELNS1_11target_archE906ELNS1_3gpuE6ELNS1_3repE0EEENS1_47radix_sort_onesweep_sort_config_static_selectorELNS0_4arch9wavefront6targetE1EEEvSK_
; %bb.0:
	.section	.rodata,"a",@progbits
	.p2align	6, 0x0
	.amdhsa_kernel _ZN7rocprim17ROCPRIM_400000_NS6detail17trampoline_kernelINS0_14default_configENS1_35radix_sort_onesweep_config_selectorIjNS0_10empty_typeEEEZZNS1_29radix_sort_onesweep_iterationIS3_Lb0EN6thrust23THRUST_200600_302600_NS6detail15normal_iteratorINS9_10device_ptrIjEEEESE_PS5_SF_jNS0_19identity_decomposerENS1_16block_id_wrapperIjLb1EEEEE10hipError_tT1_PNSt15iterator_traitsISK_E10value_typeET2_T3_PNSL_ISQ_E10value_typeET4_T5_PSV_SW_PNS1_23onesweep_lookback_stateEbbT6_jjT7_P12ihipStream_tbENKUlT_T0_SK_SP_E_clISE_SE_SF_SF_EEDaS13_S14_SK_SP_EUlS13_E_NS1_11comp_targetILNS1_3genE2ELNS1_11target_archE906ELNS1_3gpuE6ELNS1_3repE0EEENS1_47radix_sort_onesweep_sort_config_static_selectorELNS0_4arch9wavefront6targetE1EEEvSK_
		.amdhsa_group_segment_fixed_size 0
		.amdhsa_private_segment_fixed_size 0
		.amdhsa_kernarg_size 88
		.amdhsa_user_sgpr_count 6
		.amdhsa_user_sgpr_private_segment_buffer 1
		.amdhsa_user_sgpr_dispatch_ptr 0
		.amdhsa_user_sgpr_queue_ptr 0
		.amdhsa_user_sgpr_kernarg_segment_ptr 1
		.amdhsa_user_sgpr_dispatch_id 0
		.amdhsa_user_sgpr_flat_scratch_init 0
		.amdhsa_user_sgpr_kernarg_preload_length 0
		.amdhsa_user_sgpr_kernarg_preload_offset 0
		.amdhsa_user_sgpr_private_segment_size 0
		.amdhsa_uses_dynamic_stack 0
		.amdhsa_system_sgpr_private_segment_wavefront_offset 0
		.amdhsa_system_sgpr_workgroup_id_x 1
		.amdhsa_system_sgpr_workgroup_id_y 0
		.amdhsa_system_sgpr_workgroup_id_z 0
		.amdhsa_system_sgpr_workgroup_info 0
		.amdhsa_system_vgpr_workitem_id 0
		.amdhsa_next_free_vgpr 1
		.amdhsa_next_free_sgpr 0
		.amdhsa_accum_offset 4
		.amdhsa_reserve_vcc 0
		.amdhsa_reserve_flat_scratch 0
		.amdhsa_float_round_mode_32 0
		.amdhsa_float_round_mode_16_64 0
		.amdhsa_float_denorm_mode_32 3
		.amdhsa_float_denorm_mode_16_64 3
		.amdhsa_dx10_clamp 1
		.amdhsa_ieee_mode 1
		.amdhsa_fp16_overflow 0
		.amdhsa_tg_split 0
		.amdhsa_exception_fp_ieee_invalid_op 0
		.amdhsa_exception_fp_denorm_src 0
		.amdhsa_exception_fp_ieee_div_zero 0
		.amdhsa_exception_fp_ieee_overflow 0
		.amdhsa_exception_fp_ieee_underflow 0
		.amdhsa_exception_fp_ieee_inexact 0
		.amdhsa_exception_int_div_zero 0
	.end_amdhsa_kernel
	.section	.text._ZN7rocprim17ROCPRIM_400000_NS6detail17trampoline_kernelINS0_14default_configENS1_35radix_sort_onesweep_config_selectorIjNS0_10empty_typeEEEZZNS1_29radix_sort_onesweep_iterationIS3_Lb0EN6thrust23THRUST_200600_302600_NS6detail15normal_iteratorINS9_10device_ptrIjEEEESE_PS5_SF_jNS0_19identity_decomposerENS1_16block_id_wrapperIjLb1EEEEE10hipError_tT1_PNSt15iterator_traitsISK_E10value_typeET2_T3_PNSL_ISQ_E10value_typeET4_T5_PSV_SW_PNS1_23onesweep_lookback_stateEbbT6_jjT7_P12ihipStream_tbENKUlT_T0_SK_SP_E_clISE_SE_SF_SF_EEDaS13_S14_SK_SP_EUlS13_E_NS1_11comp_targetILNS1_3genE2ELNS1_11target_archE906ELNS1_3gpuE6ELNS1_3repE0EEENS1_47radix_sort_onesweep_sort_config_static_selectorELNS0_4arch9wavefront6targetE1EEEvSK_,"axG",@progbits,_ZN7rocprim17ROCPRIM_400000_NS6detail17trampoline_kernelINS0_14default_configENS1_35radix_sort_onesweep_config_selectorIjNS0_10empty_typeEEEZZNS1_29radix_sort_onesweep_iterationIS3_Lb0EN6thrust23THRUST_200600_302600_NS6detail15normal_iteratorINS9_10device_ptrIjEEEESE_PS5_SF_jNS0_19identity_decomposerENS1_16block_id_wrapperIjLb1EEEEE10hipError_tT1_PNSt15iterator_traitsISK_E10value_typeET2_T3_PNSL_ISQ_E10value_typeET4_T5_PSV_SW_PNS1_23onesweep_lookback_stateEbbT6_jjT7_P12ihipStream_tbENKUlT_T0_SK_SP_E_clISE_SE_SF_SF_EEDaS13_S14_SK_SP_EUlS13_E_NS1_11comp_targetILNS1_3genE2ELNS1_11target_archE906ELNS1_3gpuE6ELNS1_3repE0EEENS1_47radix_sort_onesweep_sort_config_static_selectorELNS0_4arch9wavefront6targetE1EEEvSK_,comdat
.Lfunc_end1104:
	.size	_ZN7rocprim17ROCPRIM_400000_NS6detail17trampoline_kernelINS0_14default_configENS1_35radix_sort_onesweep_config_selectorIjNS0_10empty_typeEEEZZNS1_29radix_sort_onesweep_iterationIS3_Lb0EN6thrust23THRUST_200600_302600_NS6detail15normal_iteratorINS9_10device_ptrIjEEEESE_PS5_SF_jNS0_19identity_decomposerENS1_16block_id_wrapperIjLb1EEEEE10hipError_tT1_PNSt15iterator_traitsISK_E10value_typeET2_T3_PNSL_ISQ_E10value_typeET4_T5_PSV_SW_PNS1_23onesweep_lookback_stateEbbT6_jjT7_P12ihipStream_tbENKUlT_T0_SK_SP_E_clISE_SE_SF_SF_EEDaS13_S14_SK_SP_EUlS13_E_NS1_11comp_targetILNS1_3genE2ELNS1_11target_archE906ELNS1_3gpuE6ELNS1_3repE0EEENS1_47radix_sort_onesweep_sort_config_static_selectorELNS0_4arch9wavefront6targetE1EEEvSK_, .Lfunc_end1104-_ZN7rocprim17ROCPRIM_400000_NS6detail17trampoline_kernelINS0_14default_configENS1_35radix_sort_onesweep_config_selectorIjNS0_10empty_typeEEEZZNS1_29radix_sort_onesweep_iterationIS3_Lb0EN6thrust23THRUST_200600_302600_NS6detail15normal_iteratorINS9_10device_ptrIjEEEESE_PS5_SF_jNS0_19identity_decomposerENS1_16block_id_wrapperIjLb1EEEEE10hipError_tT1_PNSt15iterator_traitsISK_E10value_typeET2_T3_PNSL_ISQ_E10value_typeET4_T5_PSV_SW_PNS1_23onesweep_lookback_stateEbbT6_jjT7_P12ihipStream_tbENKUlT_T0_SK_SP_E_clISE_SE_SF_SF_EEDaS13_S14_SK_SP_EUlS13_E_NS1_11comp_targetILNS1_3genE2ELNS1_11target_archE906ELNS1_3gpuE6ELNS1_3repE0EEENS1_47radix_sort_onesweep_sort_config_static_selectorELNS0_4arch9wavefront6targetE1EEEvSK_
                                        ; -- End function
	.section	.AMDGPU.csdata,"",@progbits
; Kernel info:
; codeLenInByte = 0
; NumSgprs: 4
; NumVgprs: 0
; NumAgprs: 0
; TotalNumVgprs: 0
; ScratchSize: 0
; MemoryBound: 0
; FloatMode: 240
; IeeeMode: 1
; LDSByteSize: 0 bytes/workgroup (compile time only)
; SGPRBlocks: 0
; VGPRBlocks: 0
; NumSGPRsForWavesPerEU: 4
; NumVGPRsForWavesPerEU: 1
; AccumOffset: 4
; Occupancy: 8
; WaveLimiterHint : 0
; COMPUTE_PGM_RSRC2:SCRATCH_EN: 0
; COMPUTE_PGM_RSRC2:USER_SGPR: 6
; COMPUTE_PGM_RSRC2:TRAP_HANDLER: 0
; COMPUTE_PGM_RSRC2:TGID_X_EN: 1
; COMPUTE_PGM_RSRC2:TGID_Y_EN: 0
; COMPUTE_PGM_RSRC2:TGID_Z_EN: 0
; COMPUTE_PGM_RSRC2:TIDIG_COMP_CNT: 0
; COMPUTE_PGM_RSRC3_GFX90A:ACCUM_OFFSET: 0
; COMPUTE_PGM_RSRC3_GFX90A:TG_SPLIT: 0
	.section	.text._ZN7rocprim17ROCPRIM_400000_NS6detail17trampoline_kernelINS0_14default_configENS1_35radix_sort_onesweep_config_selectorIjNS0_10empty_typeEEEZZNS1_29radix_sort_onesweep_iterationIS3_Lb0EN6thrust23THRUST_200600_302600_NS6detail15normal_iteratorINS9_10device_ptrIjEEEESE_PS5_SF_jNS0_19identity_decomposerENS1_16block_id_wrapperIjLb1EEEEE10hipError_tT1_PNSt15iterator_traitsISK_E10value_typeET2_T3_PNSL_ISQ_E10value_typeET4_T5_PSV_SW_PNS1_23onesweep_lookback_stateEbbT6_jjT7_P12ihipStream_tbENKUlT_T0_SK_SP_E_clISE_SE_SF_SF_EEDaS13_S14_SK_SP_EUlS13_E_NS1_11comp_targetILNS1_3genE4ELNS1_11target_archE910ELNS1_3gpuE8ELNS1_3repE0EEENS1_47radix_sort_onesweep_sort_config_static_selectorELNS0_4arch9wavefront6targetE1EEEvSK_,"axG",@progbits,_ZN7rocprim17ROCPRIM_400000_NS6detail17trampoline_kernelINS0_14default_configENS1_35radix_sort_onesweep_config_selectorIjNS0_10empty_typeEEEZZNS1_29radix_sort_onesweep_iterationIS3_Lb0EN6thrust23THRUST_200600_302600_NS6detail15normal_iteratorINS9_10device_ptrIjEEEESE_PS5_SF_jNS0_19identity_decomposerENS1_16block_id_wrapperIjLb1EEEEE10hipError_tT1_PNSt15iterator_traitsISK_E10value_typeET2_T3_PNSL_ISQ_E10value_typeET4_T5_PSV_SW_PNS1_23onesweep_lookback_stateEbbT6_jjT7_P12ihipStream_tbENKUlT_T0_SK_SP_E_clISE_SE_SF_SF_EEDaS13_S14_SK_SP_EUlS13_E_NS1_11comp_targetILNS1_3genE4ELNS1_11target_archE910ELNS1_3gpuE8ELNS1_3repE0EEENS1_47radix_sort_onesweep_sort_config_static_selectorELNS0_4arch9wavefront6targetE1EEEvSK_,comdat
	.protected	_ZN7rocprim17ROCPRIM_400000_NS6detail17trampoline_kernelINS0_14default_configENS1_35radix_sort_onesweep_config_selectorIjNS0_10empty_typeEEEZZNS1_29radix_sort_onesweep_iterationIS3_Lb0EN6thrust23THRUST_200600_302600_NS6detail15normal_iteratorINS9_10device_ptrIjEEEESE_PS5_SF_jNS0_19identity_decomposerENS1_16block_id_wrapperIjLb1EEEEE10hipError_tT1_PNSt15iterator_traitsISK_E10value_typeET2_T3_PNSL_ISQ_E10value_typeET4_T5_PSV_SW_PNS1_23onesweep_lookback_stateEbbT6_jjT7_P12ihipStream_tbENKUlT_T0_SK_SP_E_clISE_SE_SF_SF_EEDaS13_S14_SK_SP_EUlS13_E_NS1_11comp_targetILNS1_3genE4ELNS1_11target_archE910ELNS1_3gpuE8ELNS1_3repE0EEENS1_47radix_sort_onesweep_sort_config_static_selectorELNS0_4arch9wavefront6targetE1EEEvSK_ ; -- Begin function _ZN7rocprim17ROCPRIM_400000_NS6detail17trampoline_kernelINS0_14default_configENS1_35radix_sort_onesweep_config_selectorIjNS0_10empty_typeEEEZZNS1_29radix_sort_onesweep_iterationIS3_Lb0EN6thrust23THRUST_200600_302600_NS6detail15normal_iteratorINS9_10device_ptrIjEEEESE_PS5_SF_jNS0_19identity_decomposerENS1_16block_id_wrapperIjLb1EEEEE10hipError_tT1_PNSt15iterator_traitsISK_E10value_typeET2_T3_PNSL_ISQ_E10value_typeET4_T5_PSV_SW_PNS1_23onesweep_lookback_stateEbbT6_jjT7_P12ihipStream_tbENKUlT_T0_SK_SP_E_clISE_SE_SF_SF_EEDaS13_S14_SK_SP_EUlS13_E_NS1_11comp_targetILNS1_3genE4ELNS1_11target_archE910ELNS1_3gpuE8ELNS1_3repE0EEENS1_47radix_sort_onesweep_sort_config_static_selectorELNS0_4arch9wavefront6targetE1EEEvSK_
	.globl	_ZN7rocprim17ROCPRIM_400000_NS6detail17trampoline_kernelINS0_14default_configENS1_35radix_sort_onesweep_config_selectorIjNS0_10empty_typeEEEZZNS1_29radix_sort_onesweep_iterationIS3_Lb0EN6thrust23THRUST_200600_302600_NS6detail15normal_iteratorINS9_10device_ptrIjEEEESE_PS5_SF_jNS0_19identity_decomposerENS1_16block_id_wrapperIjLb1EEEEE10hipError_tT1_PNSt15iterator_traitsISK_E10value_typeET2_T3_PNSL_ISQ_E10value_typeET4_T5_PSV_SW_PNS1_23onesweep_lookback_stateEbbT6_jjT7_P12ihipStream_tbENKUlT_T0_SK_SP_E_clISE_SE_SF_SF_EEDaS13_S14_SK_SP_EUlS13_E_NS1_11comp_targetILNS1_3genE4ELNS1_11target_archE910ELNS1_3gpuE8ELNS1_3repE0EEENS1_47radix_sort_onesweep_sort_config_static_selectorELNS0_4arch9wavefront6targetE1EEEvSK_
	.p2align	8
	.type	_ZN7rocprim17ROCPRIM_400000_NS6detail17trampoline_kernelINS0_14default_configENS1_35radix_sort_onesweep_config_selectorIjNS0_10empty_typeEEEZZNS1_29radix_sort_onesweep_iterationIS3_Lb0EN6thrust23THRUST_200600_302600_NS6detail15normal_iteratorINS9_10device_ptrIjEEEESE_PS5_SF_jNS0_19identity_decomposerENS1_16block_id_wrapperIjLb1EEEEE10hipError_tT1_PNSt15iterator_traitsISK_E10value_typeET2_T3_PNSL_ISQ_E10value_typeET4_T5_PSV_SW_PNS1_23onesweep_lookback_stateEbbT6_jjT7_P12ihipStream_tbENKUlT_T0_SK_SP_E_clISE_SE_SF_SF_EEDaS13_S14_SK_SP_EUlS13_E_NS1_11comp_targetILNS1_3genE4ELNS1_11target_archE910ELNS1_3gpuE8ELNS1_3repE0EEENS1_47radix_sort_onesweep_sort_config_static_selectorELNS0_4arch9wavefront6targetE1EEEvSK_,@function
_ZN7rocprim17ROCPRIM_400000_NS6detail17trampoline_kernelINS0_14default_configENS1_35radix_sort_onesweep_config_selectorIjNS0_10empty_typeEEEZZNS1_29radix_sort_onesweep_iterationIS3_Lb0EN6thrust23THRUST_200600_302600_NS6detail15normal_iteratorINS9_10device_ptrIjEEEESE_PS5_SF_jNS0_19identity_decomposerENS1_16block_id_wrapperIjLb1EEEEE10hipError_tT1_PNSt15iterator_traitsISK_E10value_typeET2_T3_PNSL_ISQ_E10value_typeET4_T5_PSV_SW_PNS1_23onesweep_lookback_stateEbbT6_jjT7_P12ihipStream_tbENKUlT_T0_SK_SP_E_clISE_SE_SF_SF_EEDaS13_S14_SK_SP_EUlS13_E_NS1_11comp_targetILNS1_3genE4ELNS1_11target_archE910ELNS1_3gpuE8ELNS1_3repE0EEENS1_47radix_sort_onesweep_sort_config_static_selectorELNS0_4arch9wavefront6targetE1EEEvSK_: ; @_ZN7rocprim17ROCPRIM_400000_NS6detail17trampoline_kernelINS0_14default_configENS1_35radix_sort_onesweep_config_selectorIjNS0_10empty_typeEEEZZNS1_29radix_sort_onesweep_iterationIS3_Lb0EN6thrust23THRUST_200600_302600_NS6detail15normal_iteratorINS9_10device_ptrIjEEEESE_PS5_SF_jNS0_19identity_decomposerENS1_16block_id_wrapperIjLb1EEEEE10hipError_tT1_PNSt15iterator_traitsISK_E10value_typeET2_T3_PNSL_ISQ_E10value_typeET4_T5_PSV_SW_PNS1_23onesweep_lookback_stateEbbT6_jjT7_P12ihipStream_tbENKUlT_T0_SK_SP_E_clISE_SE_SF_SF_EEDaS13_S14_SK_SP_EUlS13_E_NS1_11comp_targetILNS1_3genE4ELNS1_11target_archE910ELNS1_3gpuE8ELNS1_3repE0EEENS1_47radix_sort_onesweep_sort_config_static_selectorELNS0_4arch9wavefront6targetE1EEEvSK_
; %bb.0:
	s_load_dwordx4 s[16:19], s[4:5], 0x28
	s_load_dwordx2 s[14:15], s[4:5], 0x38
	s_load_dwordx4 s[20:23], s[4:5], 0x44
	v_and_b32_e32 v2, 0x3ff, v0
	v_cmp_eq_u32_e64 s[0:1], 0, v2
	s_and_saveexec_b64 s[2:3], s[0:1]
	s_cbranch_execz .LBB1105_4
; %bb.1:
	s_mov_b64 s[10:11], exec
	v_mbcnt_lo_u32_b32 v1, s10, 0
	v_mbcnt_hi_u32_b32 v1, s11, v1
	v_cmp_eq_u32_e32 vcc, 0, v1
                                        ; implicit-def: $vgpr3
	s_and_saveexec_b64 s[8:9], vcc
	s_cbranch_execz .LBB1105_3
; %bb.2:
	s_load_dwordx2 s[12:13], s[4:5], 0x50
	s_bcnt1_i32_b64 s7, s[10:11]
	v_mov_b32_e32 v3, 0
	v_mov_b32_e32 v4, s7
	s_waitcnt lgkmcnt(0)
	global_atomic_add v3, v3, v4, s[12:13] glc
.LBB1105_3:
	s_or_b64 exec, exec, s[8:9]
	s_waitcnt vmcnt(0)
	v_readfirstlane_b32 s7, v3
	v_add_u32_e32 v1, s7, v1
	v_mov_b32_e32 v3, 0
	ds_write_b32 v3, v1 offset:20544
.LBB1105_4:
	s_or_b64 exec, exec, s[2:3]
	v_mov_b32_e32 v1, 0
	s_load_dwordx4 s[24:27], s[4:5], 0x0
	s_load_dword s2, s[4:5], 0x20
	s_waitcnt lgkmcnt(0)
	s_barrier
	ds_read_b32 v1, v1 offset:20544
	s_waitcnt lgkmcnt(0)
	s_barrier
	v_readfirstlane_b32 s30, v1
	v_cmp_le_u32_e32 vcc, s22, v1
	s_mul_i32 s28, s30, 0x3000
	v_mbcnt_lo_u32_b32 v1, -1, 0
	s_cbranch_vccz .LBB1105_83
; %bb.5:
	s_mul_i32 s7, s22, 0xffffd000
	s_mov_b32 s29, 0
	s_add_i32 s7, s7, s2
	s_lshl_b64 s[2:3], s[28:29], 2
	v_mbcnt_hi_u32_b32 v8, -1, v1
	s_add_u32 s2, s24, s2
	v_and_b32_e32 v3, 63, v8
	v_and_b32_e32 v4, 0x3c0, v2
	s_addc_u32 s3, s25, s3
	v_mul_u32_u24_e32 v6, 12, v4
	v_lshlrev_b32_e32 v4, 2, v3
	v_mov_b32_e32 v5, s3
	v_add_co_u32_e32 v4, vcc, s2, v4
	v_addc_co_u32_e32 v5, vcc, 0, v5, vcc
	v_lshlrev_b32_e32 v7, 2, v6
	v_add_co_u32_e32 v4, vcc, v4, v7
	v_addc_co_u32_e32 v5, vcc, 0, v5, vcc
	v_or_b32_e32 v6, v3, v6
	v_cmp_gt_u32_e32 vcc, s7, v6
	v_mov_b32_e32 v3, -1
	v_mov_b32_e32 v10, -1
	s_and_saveexec_b64 s[2:3], vcc
	s_cbranch_execz .LBB1105_7
; %bb.6:
	global_load_dword v10, v[4:5], off
.LBB1105_7:
	s_or_b64 exec, exec, s[2:3]
	v_or_b32_e32 v7, 64, v6
	v_cmp_gt_u32_e32 vcc, s7, v7
	v_mov_b32_e32 v11, -1
	s_and_saveexec_b64 s[2:3], vcc
	s_cbranch_execz .LBB1105_9
; %bb.8:
	global_load_dword v11, v[4:5], off offset:256
.LBB1105_9:
	s_or_b64 exec, exec, s[2:3]
	v_or_b32_e32 v7, 0x80, v6
	v_cmp_gt_u32_e32 vcc, s7, v7
	s_and_saveexec_b64 s[2:3], vcc
	s_cbranch_execz .LBB1105_11
; %bb.10:
	global_load_dword v3, v[4:5], off offset:512
.LBB1105_11:
	s_or_b64 exec, exec, s[2:3]
	v_or_b32_e32 v7, 0xc0, v6
	v_cmp_gt_u32_e32 vcc, s7, v7
	v_mov_b32_e32 v12, -1
	v_mov_b32_e32 v13, -1
	s_and_saveexec_b64 s[2:3], vcc
	s_cbranch_execz .LBB1105_13
; %bb.12:
	global_load_dword v13, v[4:5], off offset:768
.LBB1105_13:
	s_or_b64 exec, exec, s[2:3]
	v_add_u32_e32 v7, 0x100, v6
	v_cmp_gt_u32_e32 vcc, s7, v7
	s_and_saveexec_b64 s[2:3], vcc
	s_cbranch_execz .LBB1105_15
; %bb.14:
	global_load_dword v12, v[4:5], off offset:1024
.LBB1105_15:
	s_or_b64 exec, exec, s[2:3]
	v_add_u32_e32 v7, 0x140, v6
	v_cmp_gt_u32_e32 vcc, s7, v7
	v_mov_b32_e32 v14, -1
	v_mov_b32_e32 v15, -1
	s_and_saveexec_b64 s[2:3], vcc
	s_cbranch_execz .LBB1105_17
; %bb.16:
	global_load_dword v15, v[4:5], off offset:1280
.LBB1105_17:
	s_or_b64 exec, exec, s[2:3]
	v_add_u32_e32 v7, 0x180, v6
	v_cmp_gt_u32_e32 vcc, s7, v7
	s_and_saveexec_b64 s[2:3], vcc
	s_cbranch_execz .LBB1105_19
; %bb.18:
	global_load_dword v14, v[4:5], off offset:1536
.LBB1105_19:
	s_or_b64 exec, exec, s[2:3]
	v_add_u32_e32 v7, 0x1c0, v6
	;; [unrolled: 18-line block ×4, first 2 shown]
	v_cmp_gt_u32_e32 vcc, s7, v6
	v_mov_b32_e32 v20, -1
	s_and_saveexec_b64 s[2:3], vcc
	s_cbranch_execz .LBB1105_29
; %bb.28:
	global_load_dword v20, v[4:5], off offset:2816
.LBB1105_29:
	s_or_b64 exec, exec, s[2:3]
	s_load_dword s2, s[4:5], 0x64
	s_load_dword s29, s[4:5], 0x58
	s_add_u32 s3, s4, 0x58
	s_addc_u32 s8, s5, 0
	v_mov_b32_e32 v4, 0
	s_waitcnt lgkmcnt(0)
	s_lshr_b32 s9, s2, 16
	s_cmp_lt_u32 s6, s29
	s_cselect_b32 s2, 12, 18
	s_add_u32 s2, s3, s2
	s_addc_u32 s3, s8, 0
	global_load_ushort v6, v4, s[2:3]
	s_lshl_b32 s2, -1, s21
	s_waitcnt vmcnt(1)
	v_lshrrev_b32_e32 v21, s20, v10
	s_not_b32 s31, s2
	v_and_b32_e32 v21, s31, v21
	v_and_b32_e32 v23, 1, v21
	v_bfe_u32 v5, v0, 10, 10
	v_bfe_u32 v7, v0, 20, 10
	v_add_co_u32_e32 v24, vcc, -1, v23
	v_mad_u32_u24 v7, v7, s9, v5
	v_lshlrev_b32_e32 v5, 30, v21
	v_addc_co_u32_e64 v25, s[2:3], 0, -1, vcc
	v_cmp_ne_u32_e32 vcc, 0, v23
	v_cmp_gt_i64_e64 s[2:3], 0, v[4:5]
	v_not_b32_e32 v23, v5
	v_lshlrev_b32_e32 v5, 29, v21
	v_xor_b32_e32 v25, vcc_hi, v25
	v_xor_b32_e32 v24, vcc_lo, v24
	v_ashrrev_i32_e32 v23, 31, v23
	v_cmp_gt_i64_e32 vcc, 0, v[4:5]
	v_not_b32_e32 v26, v5
	v_lshlrev_b32_e32 v5, 28, v21
	v_and_b32_e32 v25, exec_hi, v25
	v_and_b32_e32 v24, exec_lo, v24
	v_xor_b32_e32 v27, s3, v23
	v_xor_b32_e32 v23, s2, v23
	v_ashrrev_i32_e32 v26, 31, v26
	v_cmp_gt_i64_e64 s[2:3], 0, v[4:5]
	v_not_b32_e32 v28, v5
	v_lshlrev_b32_e32 v5, 27, v21
	v_and_b32_e32 v25, v25, v27
	v_and_b32_e32 v23, v24, v23
	v_xor_b32_e32 v24, vcc_hi, v26
	v_xor_b32_e32 v26, vcc_lo, v26
	v_ashrrev_i32_e32 v27, 31, v28
	v_cmp_gt_i64_e32 vcc, 0, v[4:5]
	v_not_b32_e32 v28, v5
	v_lshlrev_b32_e32 v5, 26, v21
	v_and_b32_e32 v24, v25, v24
	v_and_b32_e32 v23, v23, v26
	v_xor_b32_e32 v25, s3, v27
	v_xor_b32_e32 v26, s2, v27
	v_ashrrev_i32_e32 v27, 31, v28
	v_cmp_gt_i64_e64 s[2:3], 0, v[4:5]
	v_not_b32_e32 v28, v5
	v_lshlrev_b32_e32 v5, 25, v21
	v_and_b32_e32 v24, v24, v25
	v_and_b32_e32 v23, v23, v26
	v_xor_b32_e32 v25, vcc_hi, v27
	v_xor_b32_e32 v26, vcc_lo, v27
	v_ashrrev_i32_e32 v27, 31, v28
	v_cmp_gt_i64_e32 vcc, 0, v[4:5]
	v_not_b32_e32 v28, v5
	v_lshlrev_b32_e32 v5, 24, v21
	v_lshl_add_u32 v22, v21, 4, v21
	v_and_b32_e32 v21, v24, v25
	v_and_b32_e32 v23, v23, v26
	v_xor_b32_e32 v24, s3, v27
	v_xor_b32_e32 v25, s2, v27
	v_ashrrev_i32_e32 v26, 31, v28
	v_cmp_gt_i64_e64 s[2:3], 0, v[4:5]
	v_not_b32_e32 v5, v5
	v_and_b32_e32 v21, v21, v24
	v_and_b32_e32 v23, v23, v25
	v_xor_b32_e32 v24, vcc_hi, v26
	v_xor_b32_e32 v25, vcc_lo, v26
	v_ashrrev_i32_e32 v5, 31, v5
	v_and_b32_e32 v21, v21, v24
	v_and_b32_e32 v23, v23, v25
	v_mul_u32_u24_e32 v9, 5, v2
	v_lshlrev_b32_e32 v9, 2, v9
	ds_write2_b32 v9, v4, v4 offset0:16 offset1:17
	ds_write2_b32 v9, v4, v4 offset0:18 offset1:19
	ds_write_b32 v9, v4 offset:80
	s_waitcnt lgkmcnt(0)
	s_barrier
	s_waitcnt lgkmcnt(0)
	; wave barrier
	s_waitcnt vmcnt(0)
	v_mad_u64_u32 v[6:7], s[8:9], v7, v6, v[2:3]
	v_lshrrev_b32_e32 v32, 6, v6
	v_xor_b32_e32 v6, s3, v5
	v_xor_b32_e32 v5, s2, v5
	v_and_b32_e32 v7, v21, v6
	v_and_b32_e32 v6, v23, v5
	v_mbcnt_lo_u32_b32 v5, v6, 0
	v_mbcnt_hi_u32_b32 v21, v7, v5
	v_cmp_eq_u32_e32 vcc, 0, v21
	v_cmp_ne_u64_e64 s[2:3], 0, v[6:7]
	v_add_lshl_u32 v25, v32, v22, 2
	s_and_b64 s[8:9], s[2:3], vcc
	s_and_saveexec_b64 s[2:3], s[8:9]
	s_cbranch_execz .LBB1105_31
; %bb.30:
	v_bcnt_u32_b32 v5, v6, 0
	v_bcnt_u32_b32 v5, v7, v5
	ds_write_b32 v25, v5 offset:64
.LBB1105_31:
	s_or_b64 exec, exec, s[2:3]
	v_lshrrev_b32_e32 v5, s20, v11
	v_and_b32_e32 v6, s31, v5
	v_lshl_add_u32 v5, v6, 4, v6
	v_add_lshl_u32 v26, v32, v5, 2
	v_and_b32_e32 v5, 1, v6
	v_add_co_u32_e32 v7, vcc, -1, v5
	v_addc_co_u32_e64 v23, s[2:3], 0, -1, vcc
	v_cmp_ne_u32_e32 vcc, 0, v5
	v_xor_b32_e32 v5, vcc_hi, v23
	v_and_b32_e32 v23, exec_hi, v5
	v_lshlrev_b32_e32 v5, 30, v6
	v_xor_b32_e32 v7, vcc_lo, v7
	v_cmp_gt_i64_e32 vcc, 0, v[4:5]
	v_not_b32_e32 v5, v5
	v_ashrrev_i32_e32 v5, 31, v5
	v_and_b32_e32 v7, exec_lo, v7
	v_xor_b32_e32 v24, vcc_hi, v5
	v_xor_b32_e32 v5, vcc_lo, v5
	v_and_b32_e32 v7, v7, v5
	v_lshlrev_b32_e32 v5, 29, v6
	v_cmp_gt_i64_e32 vcc, 0, v[4:5]
	v_not_b32_e32 v5, v5
	v_ashrrev_i32_e32 v5, 31, v5
	v_and_b32_e32 v23, v23, v24
	v_xor_b32_e32 v24, vcc_hi, v5
	v_xor_b32_e32 v5, vcc_lo, v5
	v_and_b32_e32 v7, v7, v5
	v_lshlrev_b32_e32 v5, 28, v6
	v_cmp_gt_i64_e32 vcc, 0, v[4:5]
	v_not_b32_e32 v5, v5
	v_ashrrev_i32_e32 v5, 31, v5
	v_and_b32_e32 v23, v23, v24
	;; [unrolled: 8-line block ×5, first 2 shown]
	v_xor_b32_e32 v24, vcc_hi, v5
	v_xor_b32_e32 v5, vcc_lo, v5
	v_and_b32_e32 v7, v7, v5
	v_lshlrev_b32_e32 v5, 24, v6
	v_cmp_gt_i64_e32 vcc, 0, v[4:5]
	v_not_b32_e32 v4, v5
	v_ashrrev_i32_e32 v4, 31, v4
	v_xor_b32_e32 v5, vcc_hi, v4
	v_xor_b32_e32 v4, vcc_lo, v4
	; wave barrier
	ds_read_b32 v22, v26 offset:64
	v_and_b32_e32 v23, v23, v24
	v_and_b32_e32 v4, v7, v4
	;; [unrolled: 1-line block ×3, first 2 shown]
	v_mbcnt_lo_u32_b32 v6, v4, 0
	v_mbcnt_hi_u32_b32 v23, v5, v6
	v_cmp_eq_u32_e32 vcc, 0, v23
	v_cmp_ne_u64_e64 s[2:3], 0, v[4:5]
	s_and_b64 s[8:9], s[2:3], vcc
	; wave barrier
	s_and_saveexec_b64 s[2:3], s[8:9]
	s_cbranch_execz .LBB1105_33
; %bb.32:
	v_bcnt_u32_b32 v4, v4, 0
	v_bcnt_u32_b32 v4, v5, v4
	s_waitcnt lgkmcnt(0)
	v_add_u32_e32 v4, v22, v4
	ds_write_b32 v26, v4 offset:64
.LBB1105_33:
	s_or_b64 exec, exec, s[2:3]
	v_lshrrev_b32_e32 v4, s20, v3
	v_and_b32_e32 v6, s31, v4
	v_and_b32_e32 v5, 1, v6
	v_add_co_u32_e32 v7, vcc, -1, v5
	v_addc_co_u32_e64 v27, s[2:3], 0, -1, vcc
	v_cmp_ne_u32_e32 vcc, 0, v5
	v_lshl_add_u32 v4, v6, 4, v6
	v_xor_b32_e32 v5, vcc_hi, v27
	v_add_lshl_u32 v29, v32, v4, 2
	v_mov_b32_e32 v4, 0
	v_and_b32_e32 v27, exec_hi, v5
	v_lshlrev_b32_e32 v5, 30, v6
	v_xor_b32_e32 v7, vcc_lo, v7
	v_cmp_gt_i64_e32 vcc, 0, v[4:5]
	v_not_b32_e32 v5, v5
	v_ashrrev_i32_e32 v5, 31, v5
	v_and_b32_e32 v7, exec_lo, v7
	v_xor_b32_e32 v28, vcc_hi, v5
	v_xor_b32_e32 v5, vcc_lo, v5
	v_and_b32_e32 v7, v7, v5
	v_lshlrev_b32_e32 v5, 29, v6
	v_cmp_gt_i64_e32 vcc, 0, v[4:5]
	v_not_b32_e32 v5, v5
	v_ashrrev_i32_e32 v5, 31, v5
	v_and_b32_e32 v27, v27, v28
	v_xor_b32_e32 v28, vcc_hi, v5
	v_xor_b32_e32 v5, vcc_lo, v5
	v_and_b32_e32 v7, v7, v5
	v_lshlrev_b32_e32 v5, 28, v6
	v_cmp_gt_i64_e32 vcc, 0, v[4:5]
	v_not_b32_e32 v5, v5
	v_ashrrev_i32_e32 v5, 31, v5
	v_and_b32_e32 v27, v27, v28
	;; [unrolled: 8-line block ×5, first 2 shown]
	v_xor_b32_e32 v28, vcc_hi, v5
	v_xor_b32_e32 v5, vcc_lo, v5
	v_and_b32_e32 v27, v27, v28
	v_and_b32_e32 v28, v7, v5
	v_lshlrev_b32_e32 v5, 24, v6
	v_cmp_gt_i64_e32 vcc, 0, v[4:5]
	v_not_b32_e32 v5, v5
	v_ashrrev_i32_e32 v5, 31, v5
	v_xor_b32_e32 v6, vcc_hi, v5
	v_xor_b32_e32 v5, vcc_lo, v5
	; wave barrier
	ds_read_b32 v24, v29 offset:64
	v_and_b32_e32 v7, v27, v6
	v_and_b32_e32 v6, v28, v5
	v_mbcnt_lo_u32_b32 v5, v6, 0
	v_mbcnt_hi_u32_b32 v27, v7, v5
	v_cmp_eq_u32_e32 vcc, 0, v27
	v_cmp_ne_u64_e64 s[2:3], 0, v[6:7]
	s_and_b64 s[8:9], s[2:3], vcc
	; wave barrier
	s_and_saveexec_b64 s[2:3], s[8:9]
	s_cbranch_execz .LBB1105_35
; %bb.34:
	v_bcnt_u32_b32 v5, v6, 0
	v_bcnt_u32_b32 v5, v7, v5
	s_waitcnt lgkmcnt(0)
	v_add_u32_e32 v5, v24, v5
	ds_write_b32 v29, v5 offset:64
.LBB1105_35:
	s_or_b64 exec, exec, s[2:3]
	v_lshrrev_b32_e32 v5, s20, v13
	v_and_b32_e32 v6, s31, v5
	v_lshl_add_u32 v5, v6, 4, v6
	v_add_lshl_u32 v33, v32, v5, 2
	v_and_b32_e32 v5, 1, v6
	v_add_co_u32_e32 v7, vcc, -1, v5
	v_addc_co_u32_e64 v30, s[2:3], 0, -1, vcc
	v_cmp_ne_u32_e32 vcc, 0, v5
	v_xor_b32_e32 v5, vcc_hi, v30
	v_and_b32_e32 v30, exec_hi, v5
	v_lshlrev_b32_e32 v5, 30, v6
	v_xor_b32_e32 v7, vcc_lo, v7
	v_cmp_gt_i64_e32 vcc, 0, v[4:5]
	v_not_b32_e32 v5, v5
	v_ashrrev_i32_e32 v5, 31, v5
	v_and_b32_e32 v7, exec_lo, v7
	v_xor_b32_e32 v31, vcc_hi, v5
	v_xor_b32_e32 v5, vcc_lo, v5
	v_and_b32_e32 v7, v7, v5
	v_lshlrev_b32_e32 v5, 29, v6
	v_cmp_gt_i64_e32 vcc, 0, v[4:5]
	v_not_b32_e32 v5, v5
	v_ashrrev_i32_e32 v5, 31, v5
	v_and_b32_e32 v30, v30, v31
	v_xor_b32_e32 v31, vcc_hi, v5
	v_xor_b32_e32 v5, vcc_lo, v5
	v_and_b32_e32 v7, v7, v5
	v_lshlrev_b32_e32 v5, 28, v6
	v_cmp_gt_i64_e32 vcc, 0, v[4:5]
	v_not_b32_e32 v5, v5
	v_ashrrev_i32_e32 v5, 31, v5
	v_and_b32_e32 v30, v30, v31
	;; [unrolled: 8-line block ×5, first 2 shown]
	v_xor_b32_e32 v31, vcc_hi, v5
	v_xor_b32_e32 v5, vcc_lo, v5
	v_and_b32_e32 v7, v7, v5
	v_lshlrev_b32_e32 v5, 24, v6
	v_cmp_gt_i64_e32 vcc, 0, v[4:5]
	v_not_b32_e32 v4, v5
	v_ashrrev_i32_e32 v4, 31, v4
	v_xor_b32_e32 v5, vcc_hi, v4
	v_xor_b32_e32 v4, vcc_lo, v4
	; wave barrier
	ds_read_b32 v28, v33 offset:64
	v_and_b32_e32 v30, v30, v31
	v_and_b32_e32 v4, v7, v4
	;; [unrolled: 1-line block ×3, first 2 shown]
	v_mbcnt_lo_u32_b32 v6, v4, 0
	v_mbcnt_hi_u32_b32 v30, v5, v6
	v_cmp_eq_u32_e32 vcc, 0, v30
	v_cmp_ne_u64_e64 s[2:3], 0, v[4:5]
	s_and_b64 s[8:9], s[2:3], vcc
	; wave barrier
	s_and_saveexec_b64 s[2:3], s[8:9]
	s_cbranch_execz .LBB1105_37
; %bb.36:
	v_bcnt_u32_b32 v4, v4, 0
	v_bcnt_u32_b32 v4, v5, v4
	s_waitcnt lgkmcnt(0)
	v_add_u32_e32 v4, v28, v4
	ds_write_b32 v33, v4 offset:64
.LBB1105_37:
	s_or_b64 exec, exec, s[2:3]
	v_lshrrev_b32_e32 v4, s20, v12
	v_and_b32_e32 v6, s31, v4
	v_and_b32_e32 v5, 1, v6
	v_add_co_u32_e32 v7, vcc, -1, v5
	v_addc_co_u32_e64 v34, s[2:3], 0, -1, vcc
	v_cmp_ne_u32_e32 vcc, 0, v5
	v_lshl_add_u32 v4, v6, 4, v6
	v_xor_b32_e32 v5, vcc_hi, v34
	v_add_lshl_u32 v36, v32, v4, 2
	v_mov_b32_e32 v4, 0
	v_and_b32_e32 v34, exec_hi, v5
	v_lshlrev_b32_e32 v5, 30, v6
	v_xor_b32_e32 v7, vcc_lo, v7
	v_cmp_gt_i64_e32 vcc, 0, v[4:5]
	v_not_b32_e32 v5, v5
	v_ashrrev_i32_e32 v5, 31, v5
	v_and_b32_e32 v7, exec_lo, v7
	v_xor_b32_e32 v35, vcc_hi, v5
	v_xor_b32_e32 v5, vcc_lo, v5
	v_and_b32_e32 v7, v7, v5
	v_lshlrev_b32_e32 v5, 29, v6
	v_cmp_gt_i64_e32 vcc, 0, v[4:5]
	v_not_b32_e32 v5, v5
	v_ashrrev_i32_e32 v5, 31, v5
	v_and_b32_e32 v34, v34, v35
	v_xor_b32_e32 v35, vcc_hi, v5
	v_xor_b32_e32 v5, vcc_lo, v5
	v_and_b32_e32 v7, v7, v5
	v_lshlrev_b32_e32 v5, 28, v6
	v_cmp_gt_i64_e32 vcc, 0, v[4:5]
	v_not_b32_e32 v5, v5
	v_ashrrev_i32_e32 v5, 31, v5
	v_and_b32_e32 v34, v34, v35
	;; [unrolled: 8-line block ×5, first 2 shown]
	v_xor_b32_e32 v35, vcc_hi, v5
	v_xor_b32_e32 v5, vcc_lo, v5
	v_and_b32_e32 v34, v34, v35
	v_and_b32_e32 v35, v7, v5
	v_lshlrev_b32_e32 v5, 24, v6
	v_cmp_gt_i64_e32 vcc, 0, v[4:5]
	v_not_b32_e32 v5, v5
	v_ashrrev_i32_e32 v5, 31, v5
	v_xor_b32_e32 v6, vcc_hi, v5
	v_xor_b32_e32 v5, vcc_lo, v5
	; wave barrier
	ds_read_b32 v31, v36 offset:64
	v_and_b32_e32 v7, v34, v6
	v_and_b32_e32 v6, v35, v5
	v_mbcnt_lo_u32_b32 v5, v6, 0
	v_mbcnt_hi_u32_b32 v34, v7, v5
	v_cmp_eq_u32_e32 vcc, 0, v34
	v_cmp_ne_u64_e64 s[2:3], 0, v[6:7]
	s_and_b64 s[8:9], s[2:3], vcc
	; wave barrier
	s_and_saveexec_b64 s[2:3], s[8:9]
	s_cbranch_execz .LBB1105_39
; %bb.38:
	v_bcnt_u32_b32 v5, v6, 0
	v_bcnt_u32_b32 v5, v7, v5
	s_waitcnt lgkmcnt(0)
	v_add_u32_e32 v5, v31, v5
	ds_write_b32 v36, v5 offset:64
.LBB1105_39:
	s_or_b64 exec, exec, s[2:3]
	v_lshrrev_b32_e32 v5, s20, v15
	v_and_b32_e32 v6, s31, v5
	v_lshl_add_u32 v5, v6, 4, v6
	v_add_lshl_u32 v39, v32, v5, 2
	v_and_b32_e32 v5, 1, v6
	v_add_co_u32_e32 v7, vcc, -1, v5
	v_addc_co_u32_e64 v37, s[2:3], 0, -1, vcc
	v_cmp_ne_u32_e32 vcc, 0, v5
	v_xor_b32_e32 v5, vcc_hi, v37
	v_and_b32_e32 v37, exec_hi, v5
	v_lshlrev_b32_e32 v5, 30, v6
	v_xor_b32_e32 v7, vcc_lo, v7
	v_cmp_gt_i64_e32 vcc, 0, v[4:5]
	v_not_b32_e32 v5, v5
	v_ashrrev_i32_e32 v5, 31, v5
	v_and_b32_e32 v7, exec_lo, v7
	v_xor_b32_e32 v38, vcc_hi, v5
	v_xor_b32_e32 v5, vcc_lo, v5
	v_and_b32_e32 v7, v7, v5
	v_lshlrev_b32_e32 v5, 29, v6
	v_cmp_gt_i64_e32 vcc, 0, v[4:5]
	v_not_b32_e32 v5, v5
	v_ashrrev_i32_e32 v5, 31, v5
	v_and_b32_e32 v37, v37, v38
	v_xor_b32_e32 v38, vcc_hi, v5
	v_xor_b32_e32 v5, vcc_lo, v5
	v_and_b32_e32 v7, v7, v5
	v_lshlrev_b32_e32 v5, 28, v6
	v_cmp_gt_i64_e32 vcc, 0, v[4:5]
	v_not_b32_e32 v5, v5
	v_ashrrev_i32_e32 v5, 31, v5
	v_and_b32_e32 v37, v37, v38
	;; [unrolled: 8-line block ×5, first 2 shown]
	v_xor_b32_e32 v38, vcc_hi, v5
	v_xor_b32_e32 v5, vcc_lo, v5
	v_and_b32_e32 v7, v7, v5
	v_lshlrev_b32_e32 v5, 24, v6
	v_cmp_gt_i64_e32 vcc, 0, v[4:5]
	v_not_b32_e32 v4, v5
	v_ashrrev_i32_e32 v4, 31, v4
	v_xor_b32_e32 v5, vcc_hi, v4
	v_xor_b32_e32 v4, vcc_lo, v4
	; wave barrier
	ds_read_b32 v35, v39 offset:64
	v_and_b32_e32 v37, v37, v38
	v_and_b32_e32 v4, v7, v4
	;; [unrolled: 1-line block ×3, first 2 shown]
	v_mbcnt_lo_u32_b32 v6, v4, 0
	v_mbcnt_hi_u32_b32 v37, v5, v6
	v_cmp_eq_u32_e32 vcc, 0, v37
	v_cmp_ne_u64_e64 s[2:3], 0, v[4:5]
	s_and_b64 s[8:9], s[2:3], vcc
	; wave barrier
	s_and_saveexec_b64 s[2:3], s[8:9]
	s_cbranch_execz .LBB1105_41
; %bb.40:
	v_bcnt_u32_b32 v4, v4, 0
	v_bcnt_u32_b32 v4, v5, v4
	s_waitcnt lgkmcnt(0)
	v_add_u32_e32 v4, v35, v4
	ds_write_b32 v39, v4 offset:64
.LBB1105_41:
	s_or_b64 exec, exec, s[2:3]
	v_lshrrev_b32_e32 v4, s20, v14
	v_and_b32_e32 v6, s31, v4
	v_and_b32_e32 v5, 1, v6
	v_add_co_u32_e32 v7, vcc, -1, v5
	v_addc_co_u32_e64 v40, s[2:3], 0, -1, vcc
	v_cmp_ne_u32_e32 vcc, 0, v5
	v_lshl_add_u32 v4, v6, 4, v6
	v_xor_b32_e32 v5, vcc_hi, v40
	v_add_lshl_u32 v42, v32, v4, 2
	v_mov_b32_e32 v4, 0
	v_and_b32_e32 v40, exec_hi, v5
	v_lshlrev_b32_e32 v5, 30, v6
	v_xor_b32_e32 v7, vcc_lo, v7
	v_cmp_gt_i64_e32 vcc, 0, v[4:5]
	v_not_b32_e32 v5, v5
	v_ashrrev_i32_e32 v5, 31, v5
	v_and_b32_e32 v7, exec_lo, v7
	v_xor_b32_e32 v41, vcc_hi, v5
	v_xor_b32_e32 v5, vcc_lo, v5
	v_and_b32_e32 v7, v7, v5
	v_lshlrev_b32_e32 v5, 29, v6
	v_cmp_gt_i64_e32 vcc, 0, v[4:5]
	v_not_b32_e32 v5, v5
	v_ashrrev_i32_e32 v5, 31, v5
	v_and_b32_e32 v40, v40, v41
	v_xor_b32_e32 v41, vcc_hi, v5
	v_xor_b32_e32 v5, vcc_lo, v5
	v_and_b32_e32 v7, v7, v5
	v_lshlrev_b32_e32 v5, 28, v6
	v_cmp_gt_i64_e32 vcc, 0, v[4:5]
	v_not_b32_e32 v5, v5
	v_ashrrev_i32_e32 v5, 31, v5
	v_and_b32_e32 v40, v40, v41
	;; [unrolled: 8-line block ×5, first 2 shown]
	v_xor_b32_e32 v41, vcc_hi, v5
	v_xor_b32_e32 v5, vcc_lo, v5
	v_and_b32_e32 v40, v40, v41
	v_and_b32_e32 v41, v7, v5
	v_lshlrev_b32_e32 v5, 24, v6
	v_cmp_gt_i64_e32 vcc, 0, v[4:5]
	v_not_b32_e32 v5, v5
	v_ashrrev_i32_e32 v5, 31, v5
	v_xor_b32_e32 v6, vcc_hi, v5
	v_xor_b32_e32 v5, vcc_lo, v5
	; wave barrier
	ds_read_b32 v38, v42 offset:64
	v_and_b32_e32 v7, v40, v6
	v_and_b32_e32 v6, v41, v5
	v_mbcnt_lo_u32_b32 v5, v6, 0
	v_mbcnt_hi_u32_b32 v40, v7, v5
	v_cmp_eq_u32_e32 vcc, 0, v40
	v_cmp_ne_u64_e64 s[2:3], 0, v[6:7]
	s_and_b64 s[8:9], s[2:3], vcc
	; wave barrier
	s_and_saveexec_b64 s[2:3], s[8:9]
	s_cbranch_execz .LBB1105_43
; %bb.42:
	v_bcnt_u32_b32 v5, v6, 0
	v_bcnt_u32_b32 v5, v7, v5
	s_waitcnt lgkmcnt(0)
	v_add_u32_e32 v5, v38, v5
	ds_write_b32 v42, v5 offset:64
.LBB1105_43:
	s_or_b64 exec, exec, s[2:3]
	v_lshrrev_b32_e32 v5, s20, v17
	v_and_b32_e32 v6, s31, v5
	v_lshl_add_u32 v5, v6, 4, v6
	v_add_lshl_u32 v45, v32, v5, 2
	v_and_b32_e32 v5, 1, v6
	v_add_co_u32_e32 v7, vcc, -1, v5
	v_addc_co_u32_e64 v43, s[2:3], 0, -1, vcc
	v_cmp_ne_u32_e32 vcc, 0, v5
	v_xor_b32_e32 v5, vcc_hi, v43
	v_and_b32_e32 v43, exec_hi, v5
	v_lshlrev_b32_e32 v5, 30, v6
	v_xor_b32_e32 v7, vcc_lo, v7
	v_cmp_gt_i64_e32 vcc, 0, v[4:5]
	v_not_b32_e32 v5, v5
	v_ashrrev_i32_e32 v5, 31, v5
	v_and_b32_e32 v7, exec_lo, v7
	v_xor_b32_e32 v44, vcc_hi, v5
	v_xor_b32_e32 v5, vcc_lo, v5
	v_and_b32_e32 v7, v7, v5
	v_lshlrev_b32_e32 v5, 29, v6
	v_cmp_gt_i64_e32 vcc, 0, v[4:5]
	v_not_b32_e32 v5, v5
	v_ashrrev_i32_e32 v5, 31, v5
	v_and_b32_e32 v43, v43, v44
	v_xor_b32_e32 v44, vcc_hi, v5
	v_xor_b32_e32 v5, vcc_lo, v5
	v_and_b32_e32 v7, v7, v5
	v_lshlrev_b32_e32 v5, 28, v6
	v_cmp_gt_i64_e32 vcc, 0, v[4:5]
	v_not_b32_e32 v5, v5
	v_ashrrev_i32_e32 v5, 31, v5
	v_and_b32_e32 v43, v43, v44
	;; [unrolled: 8-line block ×5, first 2 shown]
	v_xor_b32_e32 v44, vcc_hi, v5
	v_xor_b32_e32 v5, vcc_lo, v5
	v_and_b32_e32 v7, v7, v5
	v_lshlrev_b32_e32 v5, 24, v6
	v_cmp_gt_i64_e32 vcc, 0, v[4:5]
	v_not_b32_e32 v4, v5
	v_ashrrev_i32_e32 v4, 31, v4
	v_xor_b32_e32 v5, vcc_hi, v4
	v_xor_b32_e32 v4, vcc_lo, v4
	; wave barrier
	ds_read_b32 v41, v45 offset:64
	v_and_b32_e32 v43, v43, v44
	v_and_b32_e32 v4, v7, v4
	;; [unrolled: 1-line block ×3, first 2 shown]
	v_mbcnt_lo_u32_b32 v6, v4, 0
	v_mbcnt_hi_u32_b32 v43, v5, v6
	v_cmp_eq_u32_e32 vcc, 0, v43
	v_cmp_ne_u64_e64 s[2:3], 0, v[4:5]
	s_and_b64 s[8:9], s[2:3], vcc
	; wave barrier
	s_and_saveexec_b64 s[2:3], s[8:9]
	s_cbranch_execz .LBB1105_45
; %bb.44:
	v_bcnt_u32_b32 v4, v4, 0
	v_bcnt_u32_b32 v4, v5, v4
	s_waitcnt lgkmcnt(0)
	v_add_u32_e32 v4, v41, v4
	ds_write_b32 v45, v4 offset:64
.LBB1105_45:
	s_or_b64 exec, exec, s[2:3]
	v_lshrrev_b32_e32 v4, s20, v16
	v_and_b32_e32 v6, s31, v4
	v_and_b32_e32 v5, 1, v6
	v_add_co_u32_e32 v7, vcc, -1, v5
	v_addc_co_u32_e64 v46, s[2:3], 0, -1, vcc
	v_cmp_ne_u32_e32 vcc, 0, v5
	v_lshl_add_u32 v4, v6, 4, v6
	v_xor_b32_e32 v5, vcc_hi, v46
	v_add_lshl_u32 v48, v32, v4, 2
	v_mov_b32_e32 v4, 0
	v_and_b32_e32 v46, exec_hi, v5
	v_lshlrev_b32_e32 v5, 30, v6
	v_xor_b32_e32 v7, vcc_lo, v7
	v_cmp_gt_i64_e32 vcc, 0, v[4:5]
	v_not_b32_e32 v5, v5
	v_ashrrev_i32_e32 v5, 31, v5
	v_and_b32_e32 v7, exec_lo, v7
	v_xor_b32_e32 v47, vcc_hi, v5
	v_xor_b32_e32 v5, vcc_lo, v5
	v_and_b32_e32 v7, v7, v5
	v_lshlrev_b32_e32 v5, 29, v6
	v_cmp_gt_i64_e32 vcc, 0, v[4:5]
	v_not_b32_e32 v5, v5
	v_ashrrev_i32_e32 v5, 31, v5
	v_and_b32_e32 v46, v46, v47
	v_xor_b32_e32 v47, vcc_hi, v5
	v_xor_b32_e32 v5, vcc_lo, v5
	v_and_b32_e32 v7, v7, v5
	v_lshlrev_b32_e32 v5, 28, v6
	v_cmp_gt_i64_e32 vcc, 0, v[4:5]
	v_not_b32_e32 v5, v5
	v_ashrrev_i32_e32 v5, 31, v5
	v_and_b32_e32 v46, v46, v47
	;; [unrolled: 8-line block ×5, first 2 shown]
	v_xor_b32_e32 v47, vcc_hi, v5
	v_xor_b32_e32 v5, vcc_lo, v5
	v_and_b32_e32 v46, v46, v47
	v_and_b32_e32 v47, v7, v5
	v_lshlrev_b32_e32 v5, 24, v6
	v_cmp_gt_i64_e32 vcc, 0, v[4:5]
	v_not_b32_e32 v5, v5
	v_ashrrev_i32_e32 v5, 31, v5
	v_xor_b32_e32 v6, vcc_hi, v5
	v_xor_b32_e32 v5, vcc_lo, v5
	; wave barrier
	ds_read_b32 v44, v48 offset:64
	v_and_b32_e32 v7, v46, v6
	v_and_b32_e32 v6, v47, v5
	v_mbcnt_lo_u32_b32 v5, v6, 0
	v_mbcnt_hi_u32_b32 v46, v7, v5
	v_cmp_eq_u32_e32 vcc, 0, v46
	v_cmp_ne_u64_e64 s[2:3], 0, v[6:7]
	s_and_b64 s[8:9], s[2:3], vcc
	; wave barrier
	s_and_saveexec_b64 s[2:3], s[8:9]
	s_cbranch_execz .LBB1105_47
; %bb.46:
	v_bcnt_u32_b32 v5, v6, 0
	v_bcnt_u32_b32 v5, v7, v5
	s_waitcnt lgkmcnt(0)
	v_add_u32_e32 v5, v44, v5
	ds_write_b32 v48, v5 offset:64
.LBB1105_47:
	s_or_b64 exec, exec, s[2:3]
	v_lshrrev_b32_e32 v5, s20, v19
	v_and_b32_e32 v6, s31, v5
	v_lshl_add_u32 v5, v6, 4, v6
	v_add_lshl_u32 v51, v32, v5, 2
	v_and_b32_e32 v5, 1, v6
	v_add_co_u32_e32 v7, vcc, -1, v5
	v_addc_co_u32_e64 v49, s[2:3], 0, -1, vcc
	v_cmp_ne_u32_e32 vcc, 0, v5
	v_xor_b32_e32 v5, vcc_hi, v49
	v_and_b32_e32 v49, exec_hi, v5
	v_lshlrev_b32_e32 v5, 30, v6
	v_xor_b32_e32 v7, vcc_lo, v7
	v_cmp_gt_i64_e32 vcc, 0, v[4:5]
	v_not_b32_e32 v5, v5
	v_ashrrev_i32_e32 v5, 31, v5
	v_and_b32_e32 v7, exec_lo, v7
	v_xor_b32_e32 v50, vcc_hi, v5
	v_xor_b32_e32 v5, vcc_lo, v5
	v_and_b32_e32 v7, v7, v5
	v_lshlrev_b32_e32 v5, 29, v6
	v_cmp_gt_i64_e32 vcc, 0, v[4:5]
	v_not_b32_e32 v5, v5
	v_ashrrev_i32_e32 v5, 31, v5
	v_and_b32_e32 v49, v49, v50
	v_xor_b32_e32 v50, vcc_hi, v5
	v_xor_b32_e32 v5, vcc_lo, v5
	v_and_b32_e32 v7, v7, v5
	v_lshlrev_b32_e32 v5, 28, v6
	v_cmp_gt_i64_e32 vcc, 0, v[4:5]
	v_not_b32_e32 v5, v5
	v_ashrrev_i32_e32 v5, 31, v5
	v_and_b32_e32 v49, v49, v50
	v_xor_b32_e32 v50, vcc_hi, v5
	v_xor_b32_e32 v5, vcc_lo, v5
	v_and_b32_e32 v7, v7, v5
	v_lshlrev_b32_e32 v5, 27, v6
	v_cmp_gt_i64_e32 vcc, 0, v[4:5]
	v_not_b32_e32 v5, v5
	v_ashrrev_i32_e32 v5, 31, v5
	v_and_b32_e32 v49, v49, v50
	v_xor_b32_e32 v50, vcc_hi, v5
	v_xor_b32_e32 v5, vcc_lo, v5
	v_and_b32_e32 v7, v7, v5
	v_lshlrev_b32_e32 v5, 26, v6
	v_cmp_gt_i64_e32 vcc, 0, v[4:5]
	v_not_b32_e32 v5, v5
	v_ashrrev_i32_e32 v5, 31, v5
	v_and_b32_e32 v49, v49, v50
	v_xor_b32_e32 v50, vcc_hi, v5
	v_xor_b32_e32 v5, vcc_lo, v5
	v_and_b32_e32 v7, v7, v5
	v_lshlrev_b32_e32 v5, 25, v6
	v_cmp_gt_i64_e32 vcc, 0, v[4:5]
	v_not_b32_e32 v5, v5
	v_ashrrev_i32_e32 v5, 31, v5
	v_and_b32_e32 v49, v49, v50
	v_xor_b32_e32 v50, vcc_hi, v5
	v_xor_b32_e32 v5, vcc_lo, v5
	v_and_b32_e32 v7, v7, v5
	v_lshlrev_b32_e32 v5, 24, v6
	v_cmp_gt_i64_e32 vcc, 0, v[4:5]
	v_not_b32_e32 v4, v5
	v_ashrrev_i32_e32 v4, 31, v4
	v_xor_b32_e32 v5, vcc_hi, v4
	v_xor_b32_e32 v4, vcc_lo, v4
	; wave barrier
	ds_read_b32 v47, v51 offset:64
	v_and_b32_e32 v49, v49, v50
	v_and_b32_e32 v4, v7, v4
	;; [unrolled: 1-line block ×3, first 2 shown]
	v_mbcnt_lo_u32_b32 v6, v4, 0
	v_mbcnt_hi_u32_b32 v49, v5, v6
	v_cmp_eq_u32_e32 vcc, 0, v49
	v_cmp_ne_u64_e64 s[2:3], 0, v[4:5]
	s_and_b64 s[8:9], s[2:3], vcc
	; wave barrier
	s_and_saveexec_b64 s[2:3], s[8:9]
	s_cbranch_execz .LBB1105_49
; %bb.48:
	v_bcnt_u32_b32 v4, v4, 0
	v_bcnt_u32_b32 v4, v5, v4
	s_waitcnt lgkmcnt(0)
	v_add_u32_e32 v4, v47, v4
	ds_write_b32 v51, v4 offset:64
.LBB1105_49:
	s_or_b64 exec, exec, s[2:3]
	v_lshrrev_b32_e32 v4, s20, v18
	v_and_b32_e32 v6, s31, v4
	v_and_b32_e32 v5, 1, v6
	v_add_co_u32_e32 v7, vcc, -1, v5
	v_addc_co_u32_e64 v52, s[2:3], 0, -1, vcc
	v_cmp_ne_u32_e32 vcc, 0, v5
	v_lshl_add_u32 v4, v6, 4, v6
	v_xor_b32_e32 v5, vcc_hi, v52
	v_add_lshl_u32 v53, v32, v4, 2
	v_mov_b32_e32 v4, 0
	v_and_b32_e32 v52, exec_hi, v5
	v_lshlrev_b32_e32 v5, 30, v6
	v_xor_b32_e32 v7, vcc_lo, v7
	v_cmp_gt_i64_e32 vcc, 0, v[4:5]
	v_not_b32_e32 v5, v5
	v_ashrrev_i32_e32 v5, 31, v5
	v_and_b32_e32 v7, exec_lo, v7
	v_xor_b32_e32 v54, vcc_hi, v5
	v_xor_b32_e32 v5, vcc_lo, v5
	v_and_b32_e32 v7, v7, v5
	v_lshlrev_b32_e32 v5, 29, v6
	v_cmp_gt_i64_e32 vcc, 0, v[4:5]
	v_not_b32_e32 v5, v5
	v_ashrrev_i32_e32 v5, 31, v5
	v_and_b32_e32 v52, v52, v54
	v_xor_b32_e32 v54, vcc_hi, v5
	v_xor_b32_e32 v5, vcc_lo, v5
	v_and_b32_e32 v7, v7, v5
	v_lshlrev_b32_e32 v5, 28, v6
	v_cmp_gt_i64_e32 vcc, 0, v[4:5]
	v_not_b32_e32 v5, v5
	v_ashrrev_i32_e32 v5, 31, v5
	v_and_b32_e32 v52, v52, v54
	;; [unrolled: 8-line block ×5, first 2 shown]
	v_xor_b32_e32 v54, vcc_hi, v5
	v_xor_b32_e32 v5, vcc_lo, v5
	v_and_b32_e32 v52, v52, v54
	v_and_b32_e32 v54, v7, v5
	v_lshlrev_b32_e32 v5, 24, v6
	v_cmp_gt_i64_e32 vcc, 0, v[4:5]
	v_not_b32_e32 v5, v5
	v_ashrrev_i32_e32 v5, 31, v5
	v_xor_b32_e32 v6, vcc_hi, v5
	v_xor_b32_e32 v5, vcc_lo, v5
	; wave barrier
	ds_read_b32 v50, v53 offset:64
	v_and_b32_e32 v7, v52, v6
	v_and_b32_e32 v6, v54, v5
	v_mbcnt_lo_u32_b32 v5, v6, 0
	v_mbcnt_hi_u32_b32 v52, v7, v5
	v_cmp_eq_u32_e32 vcc, 0, v52
	v_cmp_ne_u64_e64 s[2:3], 0, v[6:7]
	s_and_b64 s[8:9], s[2:3], vcc
	; wave barrier
	s_and_saveexec_b64 s[2:3], s[8:9]
	s_cbranch_execz .LBB1105_51
; %bb.50:
	v_bcnt_u32_b32 v5, v6, 0
	v_bcnt_u32_b32 v5, v7, v5
	s_waitcnt lgkmcnt(0)
	v_add_u32_e32 v5, v50, v5
	ds_write_b32 v53, v5 offset:64
.LBB1105_51:
	s_or_b64 exec, exec, s[2:3]
	v_lshrrev_b32_e32 v5, s20, v20
	v_and_b32_e32 v6, s31, v5
	v_lshl_add_u32 v5, v6, 4, v6
	v_add_lshl_u32 v55, v32, v5, 2
	v_and_b32_e32 v5, 1, v6
	v_add_co_u32_e32 v7, vcc, -1, v5
	v_addc_co_u32_e64 v54, s[2:3], 0, -1, vcc
	v_cmp_ne_u32_e32 vcc, 0, v5
	v_xor_b32_e32 v5, vcc_hi, v54
	v_and_b32_e32 v54, exec_hi, v5
	v_lshlrev_b32_e32 v5, 30, v6
	v_xor_b32_e32 v7, vcc_lo, v7
	v_cmp_gt_i64_e32 vcc, 0, v[4:5]
	v_not_b32_e32 v5, v5
	v_ashrrev_i32_e32 v5, 31, v5
	v_and_b32_e32 v7, exec_lo, v7
	v_xor_b32_e32 v57, vcc_hi, v5
	v_xor_b32_e32 v5, vcc_lo, v5
	v_and_b32_e32 v7, v7, v5
	v_lshlrev_b32_e32 v5, 29, v6
	v_cmp_gt_i64_e32 vcc, 0, v[4:5]
	v_not_b32_e32 v5, v5
	v_ashrrev_i32_e32 v5, 31, v5
	v_and_b32_e32 v54, v54, v57
	v_xor_b32_e32 v57, vcc_hi, v5
	v_xor_b32_e32 v5, vcc_lo, v5
	v_and_b32_e32 v7, v7, v5
	v_lshlrev_b32_e32 v5, 28, v6
	v_cmp_gt_i64_e32 vcc, 0, v[4:5]
	v_not_b32_e32 v5, v5
	v_ashrrev_i32_e32 v5, 31, v5
	v_and_b32_e32 v54, v54, v57
	;; [unrolled: 8-line block ×5, first 2 shown]
	v_xor_b32_e32 v57, vcc_hi, v5
	v_xor_b32_e32 v5, vcc_lo, v5
	v_and_b32_e32 v7, v7, v5
	v_lshlrev_b32_e32 v5, 24, v6
	v_cmp_gt_i64_e32 vcc, 0, v[4:5]
	v_not_b32_e32 v4, v5
	v_ashrrev_i32_e32 v4, 31, v4
	v_xor_b32_e32 v5, vcc_hi, v4
	v_xor_b32_e32 v4, vcc_lo, v4
	; wave barrier
	ds_read_b32 v32, v55 offset:64
	v_and_b32_e32 v54, v54, v57
	v_and_b32_e32 v4, v7, v4
	;; [unrolled: 1-line block ×3, first 2 shown]
	v_mbcnt_lo_u32_b32 v6, v4, 0
	v_mbcnt_hi_u32_b32 v54, v5, v6
	v_cmp_eq_u32_e32 vcc, 0, v54
	v_cmp_ne_u64_e64 s[2:3], 0, v[4:5]
	v_add_u32_e32 v56, 64, v9
	s_and_b64 s[8:9], s[2:3], vcc
	; wave barrier
	s_and_saveexec_b64 s[2:3], s[8:9]
	s_cbranch_execz .LBB1105_53
; %bb.52:
	v_bcnt_u32_b32 v4, v4, 0
	v_bcnt_u32_b32 v4, v5, v4
	s_waitcnt lgkmcnt(0)
	v_add_u32_e32 v4, v32, v4
	ds_write_b32 v55, v4 offset:64
.LBB1105_53:
	s_or_b64 exec, exec, s[2:3]
	; wave barrier
	s_waitcnt lgkmcnt(0)
	s_barrier
	ds_read2_b32 v[6:7], v9 offset0:16 offset1:17
	ds_read2_b32 v[4:5], v56 offset0:2 offset1:3
	ds_read_b32 v57, v56 offset:16
	v_cmp_lt_u32_e64 s[12:13], 31, v8
	s_waitcnt lgkmcnt(1)
	v_add3_u32 v58, v7, v6, v4
	s_waitcnt lgkmcnt(0)
	v_add3_u32 v57, v58, v5, v57
	v_and_b32_e32 v58, 15, v8
	v_cmp_eq_u32_e32 vcc, 0, v58
	v_mov_b32_dpp v59, v57 row_shr:1 row_mask:0xf bank_mask:0xf
	v_cndmask_b32_e64 v59, v59, 0, vcc
	v_add_u32_e32 v57, v59, v57
	v_cmp_lt_u32_e64 s[2:3], 1, v58
	v_cmp_lt_u32_e64 s[10:11], 3, v58
	v_mov_b32_dpp v59, v57 row_shr:2 row_mask:0xf bank_mask:0xf
	v_cndmask_b32_e64 v59, 0, v59, s[2:3]
	v_add_u32_e32 v57, v57, v59
	v_cmp_lt_u32_e64 s[8:9], 7, v58
	s_nop 0
	v_mov_b32_dpp v59, v57 row_shr:4 row_mask:0xf bank_mask:0xf
	v_cndmask_b32_e64 v59, 0, v59, s[10:11]
	v_add_u32_e32 v57, v57, v59
	s_nop 1
	v_mov_b32_dpp v59, v57 row_shr:8 row_mask:0xf bank_mask:0xf
	v_cndmask_b32_e64 v58, 0, v59, s[8:9]
	v_add_u32_e32 v57, v57, v58
	v_bfe_i32 v59, v8, 4, 1
	s_nop 0
	v_mov_b32_dpp v58, v57 row_bcast:15 row_mask:0xf bank_mask:0xf
	v_and_b32_e32 v58, v59, v58
	v_add_u32_e32 v57, v57, v58
	v_and_b32_e32 v59, 63, v2
	s_nop 0
	v_mov_b32_dpp v58, v57 row_bcast:31 row_mask:0xf bank_mask:0xf
	v_cndmask_b32_e64 v58, 0, v58, s[12:13]
	v_add_u32_e32 v57, v57, v58
	v_lshrrev_b32_e32 v58, 6, v2
	v_cmp_eq_u32_e64 s[12:13], 63, v59
	s_and_saveexec_b64 s[22:23], s[12:13]
	s_cbranch_execz .LBB1105_55
; %bb.54:
	v_lshlrev_b32_e32 v59, 2, v58
	ds_write_b32 v59, v57
.LBB1105_55:
	s_or_b64 exec, exec, s[22:23]
	v_cmp_gt_u32_e64 s[12:13], 16, v2
	s_waitcnt lgkmcnt(0)
	s_barrier
	s_and_saveexec_b64 s[22:23], s[12:13]
	s_cbranch_execz .LBB1105_57
; %bb.56:
	v_lshlrev_b32_e32 v59, 2, v2
	ds_read_b32 v60, v59
	s_waitcnt lgkmcnt(0)
	s_nop 0
	v_mov_b32_dpp v61, v60 row_shr:1 row_mask:0xf bank_mask:0xf
	v_cndmask_b32_e64 v61, v61, 0, vcc
	v_add_u32_e32 v60, v61, v60
	s_nop 1
	v_mov_b32_dpp v61, v60 row_shr:2 row_mask:0xf bank_mask:0xf
	v_cndmask_b32_e64 v61, 0, v61, s[2:3]
	v_add_u32_e32 v60, v60, v61
	s_nop 1
	v_mov_b32_dpp v61, v60 row_shr:4 row_mask:0xf bank_mask:0xf
	v_cndmask_b32_e64 v61, 0, v61, s[10:11]
	;; [unrolled: 4-line block ×3, first 2 shown]
	v_add_u32_e32 v60, v60, v61
	ds_write_b32 v59, v60
.LBB1105_57:
	s_or_b64 exec, exec, s[22:23]
	v_cmp_lt_u32_e32 vcc, 63, v2
	v_mov_b32_e32 v59, 0
	s_waitcnt lgkmcnt(0)
	s_barrier
	s_and_saveexec_b64 s[2:3], vcc
	s_cbranch_execz .LBB1105_59
; %bb.58:
	v_lshl_add_u32 v58, v58, 2, -4
	ds_read_b32 v59, v58
.LBB1105_59:
	s_or_b64 exec, exec, s[2:3]
	v_add_u32_e32 v58, -1, v8
	v_and_b32_e32 v60, 64, v8
	v_cmp_lt_i32_e32 vcc, v58, v60
	v_cndmask_b32_e32 v58, v58, v8, vcc
	s_waitcnt lgkmcnt(0)
	v_add_u32_e32 v57, v59, v57
	v_lshlrev_b32_e32 v58, 2, v58
	ds_bpermute_b32 v57, v58, v57
	v_cmp_eq_u32_e32 vcc, 0, v8
	s_movk_i32 s2, 0x100
	s_waitcnt lgkmcnt(0)
	v_cndmask_b32_e32 v8, v57, v59, vcc
	v_cndmask_b32_e64 v8, v8, 0, s[0:1]
	v_add_u32_e32 v6, v8, v6
	v_add_u32_e32 v7, v6, v7
	;; [unrolled: 1-line block ×4, first 2 shown]
	ds_write2_b32 v9, v8, v6 offset0:16 offset1:17
	ds_write2_b32 v56, v7, v4 offset0:2 offset1:3
	ds_write_b32 v56, v5 offset:16
	s_waitcnt lgkmcnt(0)
	s_barrier
	ds_read_b32 v60, v25 offset:64
	ds_read_b32 v56, v26 offset:64
	;; [unrolled: 1-line block ×12, first 2 shown]
	v_cmp_gt_u32_e32 vcc, s2, v2
                                        ; implicit-def: $vgpr25
                                        ; implicit-def: $vgpr26
	s_and_saveexec_b64 s[8:9], vcc
	s_cbranch_execz .LBB1105_63
; %bb.60:
	v_mul_u32_u24_e32 v4, 17, v2
	v_lshlrev_b32_e32 v5, 2, v4
	ds_read_b32 v25, v5 offset:64
	s_movk_i32 s2, 0xff
	v_cmp_ne_u32_e64 s[2:3], s2, v2
	v_mov_b32_e32 v4, 0x3000
	s_and_saveexec_b64 s[10:11], s[2:3]
	s_cbranch_execz .LBB1105_62
; %bb.61:
	ds_read_b32 v4, v5 offset:132
.LBB1105_62:
	s_or_b64 exec, exec, s[10:11]
	s_waitcnt lgkmcnt(0)
	v_sub_u32_e32 v26, v4, v25
.LBB1105_63:
	s_or_b64 exec, exec, s[8:9]
	s_waitcnt lgkmcnt(0)
	s_barrier
	s_and_saveexec_b64 s[8:9], vcc
	s_cbranch_execz .LBB1105_73
; %bb.64:
	v_lshl_or_b32 v4, s30, 8, v2
	v_mov_b32_e32 v5, 0
	v_lshlrev_b64 v[6:7], 2, v[4:5]
	v_mov_b32_e32 v51, s15
	v_add_co_u32_e64 v6, s[2:3], s14, v6
	v_addc_co_u32_e64 v7, s[2:3], v51, v7, s[2:3]
	v_or_b32_e32 v4, 2.0, v26
	s_mov_b64 s[10:11], 0
	s_brev_b32 s33, 1
	s_mov_b32 s34, s30
	v_mov_b32_e32 v53, 0
	global_store_dword v[6:7], v4, off
                                        ; implicit-def: $sgpr2_sgpr3
	s_branch .LBB1105_66
.LBB1105_65:                            ;   in Loop: Header=BB1105_66 Depth=1
	s_or_b64 exec, exec, s[12:13]
	v_and_b32_e32 v8, 0x3fffffff, v55
	v_add_u32_e32 v53, v8, v53
	v_cmp_eq_u32_e64 s[2:3], s33, v4
	s_and_b64 s[12:13], exec, s[2:3]
	s_or_b64 s[10:11], s[12:13], s[10:11]
	s_andn2_b64 exec, exec, s[10:11]
	s_cbranch_execz .LBB1105_72
.LBB1105_66:                            ; =>This Loop Header: Depth=1
                                        ;     Child Loop BB1105_69 Depth 2
	s_or_b64 s[2:3], s[2:3], exec
	s_cmp_eq_u32 s34, 0
	s_cbranch_scc1 .LBB1105_71
; %bb.67:                               ;   in Loop: Header=BB1105_66 Depth=1
	s_add_i32 s34, s34, -1
	v_lshl_or_b32 v4, s34, 8, v2
	v_lshlrev_b64 v[8:9], 2, v[4:5]
	v_add_co_u32_e64 v8, s[2:3], s14, v8
	v_addc_co_u32_e64 v9, s[2:3], v51, v9, s[2:3]
	global_load_dword v55, v[8:9], off glc
	s_waitcnt vmcnt(0)
	v_and_b32_e32 v4, -2.0, v55
	v_cmp_eq_u32_e64 s[2:3], 0, v4
	s_and_saveexec_b64 s[12:13], s[2:3]
	s_cbranch_execz .LBB1105_65
; %bb.68:                               ;   in Loop: Header=BB1105_66 Depth=1
	s_mov_b64 s[22:23], 0
.LBB1105_69:                            ;   Parent Loop BB1105_66 Depth=1
                                        ; =>  This Inner Loop Header: Depth=2
	global_load_dword v55, v[8:9], off glc
	s_waitcnt vmcnt(0)
	v_and_b32_e32 v4, -2.0, v55
	v_cmp_ne_u32_e64 s[2:3], 0, v4
	s_or_b64 s[22:23], s[2:3], s[22:23]
	s_andn2_b64 exec, exec, s[22:23]
	s_cbranch_execnz .LBB1105_69
; %bb.70:                               ;   in Loop: Header=BB1105_66 Depth=1
	s_or_b64 exec, exec, s[22:23]
	s_branch .LBB1105_65
.LBB1105_71:                            ;   in Loop: Header=BB1105_66 Depth=1
                                        ; implicit-def: $sgpr34
	s_and_b64 s[12:13], exec, s[2:3]
	s_or_b64 s[10:11], s[12:13], s[10:11]
	s_andn2_b64 exec, exec, s[10:11]
	s_cbranch_execnz .LBB1105_66
.LBB1105_72:
	s_or_b64 exec, exec, s[10:11]
	v_add_u32_e32 v4, v53, v26
	v_or_b32_e32 v4, 0x80000000, v4
	global_store_dword v[6:7], v4, off
	v_lshlrev_b32_e32 v4, 2, v2
	global_load_dword v5, v4, s[16:17]
	v_sub_u32_e32 v6, v53, v25
	s_waitcnt vmcnt(0)
	v_add_u32_e32 v5, v6, v5
	ds_write_b32 v4, v5
.LBB1105_73:
	s_or_b64 exec, exec, s[8:9]
	v_lshlrev_b32_e32 v7, 2, v2
	v_add_u32_e32 v6, v60, v21
	s_movk_i32 s10, 0x400
	v_add_u32_e32 v8, 0x400, v7
	v_add3_u32 v9, v54, v48, v32
	v_add3_u32 v21, v52, v45, v50
	;; [unrolled: 1-line block ×11, first 2 shown]
	s_mov_b32 s11, 0
	v_mov_b32_e32 v5, 0
	s_movk_i32 s12, 0x800
	s_movk_i32 s13, 0xc00
	v_mov_b32_e32 v23, v2
	s_branch .LBB1105_75
.LBB1105_74:                            ;   in Loop: Header=BB1105_75 Depth=1
	s_or_b64 exec, exec, s[8:9]
	s_addk_i32 s11, 0xf000
	s_cmpk_eq_i32 s11, 0xd000
	v_add_u32_e32 v23, 0x1000, v23
	s_barrier
	s_cbranch_scc1 .LBB1105_84
.LBB1105_75:                            ; =>This Inner Loop Header: Depth=1
	v_add_u32_e32 v4, s11, v6
	v_min_u32_e32 v4, 0x1000, v4
	v_lshlrev_b32_e32 v4, 2, v4
	ds_write_b32 v4, v10 offset:1024
	v_add_u32_e32 v4, s11, v22
	v_min_u32_e32 v4, 0x1000, v4
	v_lshlrev_b32_e32 v4, 2, v4
	ds_write_b32 v4, v11 offset:1024
	;; [unrolled: 4-line block ×11, first 2 shown]
	v_add_u32_e32 v4, s11, v9
	v_min_u32_e32 v4, 0x1000, v4
	v_lshlrev_b32_e32 v4, 2, v4
	v_cmp_gt_u32_e64 s[2:3], s7, v23
	ds_write_b32 v4, v20 offset:1024
	s_waitcnt lgkmcnt(0)
	s_barrier
	s_and_saveexec_b64 s[8:9], s[2:3]
	s_cbranch_execz .LBB1105_77
; %bb.76:                               ;   in Loop: Header=BB1105_75 Depth=1
	ds_read_b32 v27, v7 offset:1024
	v_mov_b32_e32 v30, s27
	s_waitcnt lgkmcnt(0)
	v_lshrrev_b32_e32 v4, s20, v27
	v_and_b32_e32 v4, s31, v4
	v_lshlrev_b32_e32 v4, 2, v4
	ds_read_b32 v4, v4
	s_waitcnt lgkmcnt(0)
	v_add_u32_e32 v4, v23, v4
	v_lshlrev_b64 v[38:39], 2, v[4:5]
	v_add_co_u32_e64 v38, s[2:3], s26, v38
	v_addc_co_u32_e64 v39, s[2:3], v30, v39, s[2:3]
	global_store_dword v[38:39], v27, off
.LBB1105_77:                            ;   in Loop: Header=BB1105_75 Depth=1
	s_or_b64 exec, exec, s[8:9]
	v_add_u32_e32 v4, 0x400, v23
	v_cmp_gt_u32_e64 s[2:3], s7, v4
	s_and_saveexec_b64 s[8:9], s[2:3]
	s_cbranch_execz .LBB1105_79
; %bb.78:                               ;   in Loop: Header=BB1105_75 Depth=1
	ds_read_b32 v27, v8 offset:4096
	v_mov_b32_e32 v30, s27
	s_waitcnt lgkmcnt(0)
	v_lshrrev_b32_e32 v4, s20, v27
	v_and_b32_e32 v4, s31, v4
	v_lshlrev_b32_e32 v4, 2, v4
	ds_read_b32 v4, v4
	s_waitcnt lgkmcnt(0)
	v_add3_u32 v4, v23, v4, s10
	v_lshlrev_b64 v[38:39], 2, v[4:5]
	v_add_co_u32_e64 v38, s[2:3], s26, v38
	v_addc_co_u32_e64 v39, s[2:3], v30, v39, s[2:3]
	global_store_dword v[38:39], v27, off
.LBB1105_79:                            ;   in Loop: Header=BB1105_75 Depth=1
	s_or_b64 exec, exec, s[8:9]
	v_add_u32_e32 v4, 0x800, v23
	v_cmp_gt_u32_e64 s[2:3], s7, v4
	s_and_saveexec_b64 s[8:9], s[2:3]
	s_cbranch_execz .LBB1105_81
; %bb.80:                               ;   in Loop: Header=BB1105_75 Depth=1
	ds_read_b32 v27, v8 offset:8192
	v_mov_b32_e32 v30, s27
	s_waitcnt lgkmcnt(0)
	v_lshrrev_b32_e32 v4, s20, v27
	v_and_b32_e32 v4, s31, v4
	v_lshlrev_b32_e32 v4, 2, v4
	ds_read_b32 v4, v4
	s_waitcnt lgkmcnt(0)
	v_add3_u32 v4, v23, v4, s12
	v_lshlrev_b64 v[38:39], 2, v[4:5]
	v_add_co_u32_e64 v38, s[2:3], s26, v38
	v_addc_co_u32_e64 v39, s[2:3], v30, v39, s[2:3]
	global_store_dword v[38:39], v27, off
.LBB1105_81:                            ;   in Loop: Header=BB1105_75 Depth=1
	s_or_b64 exec, exec, s[8:9]
	v_add_u32_e32 v4, 0xc00, v23
	v_cmp_gt_u32_e64 s[2:3], s7, v4
	s_and_saveexec_b64 s[8:9], s[2:3]
	s_cbranch_execz .LBB1105_74
; %bb.82:                               ;   in Loop: Header=BB1105_75 Depth=1
	ds_read_b32 v27, v8 offset:12288
	v_mov_b32_e32 v30, s27
	s_waitcnt lgkmcnt(0)
	v_lshrrev_b32_e32 v4, s20, v27
	v_and_b32_e32 v4, s31, v4
	v_lshlrev_b32_e32 v4, 2, v4
	ds_read_b32 v4, v4
	s_waitcnt lgkmcnt(0)
	v_add3_u32 v4, v23, v4, s13
	v_lshlrev_b64 v[38:39], 2, v[4:5]
	v_add_co_u32_e64 v38, s[2:3], s26, v38
	v_addc_co_u32_e64 v39, s[2:3], v30, v39, s[2:3]
	global_store_dword v[38:39], v27, off
	s_branch .LBB1105_74
.LBB1105_83:
	s_mov_b64 s[10:11], 0
                                        ; implicit-def: $vgpr3
	s_cbranch_execnz .LBB1105_87
	s_branch .LBB1105_136
.LBB1105_84:
	s_add_i32 s29, s29, -1
	s_cmp_eq_u32 s29, s30
	s_cselect_b64 s[2:3], -1, 0
	s_and_b64 s[8:9], vcc, s[2:3]
	s_mov_b64 s[2:3], 0
	s_mov_b64 s[10:11], 0
                                        ; implicit-def: $vgpr3
	s_and_saveexec_b64 s[12:13], s[8:9]
	s_xor_b64 s[8:9], exec, s[12:13]
; %bb.85:
	s_mov_b64 s[10:11], exec
	v_add_u32_e32 v3, v25, v26
; %bb.86:
	s_or_b64 exec, exec, s[8:9]
	s_and_b64 vcc, exec, s[2:3]
	s_cbranch_vccz .LBB1105_136
.LBB1105_87:
	s_mov_b32 s29, 0
	v_mbcnt_hi_u32_b32 v6, -1, v1
	s_lshl_b64 s[2:3], s[28:29], 2
	v_and_b32_e32 v1, 63, v6
	s_add_u32 s2, s24, s2
	v_lshlrev_b32_e32 v1, 2, v1
	v_add_co_u32_e32 v1, vcc, s2, v1
	s_load_dword s22, s[4:5], 0x58
	s_load_dword s2, s[4:5], 0x64
	s_addc_u32 s3, s25, s3
	v_and_b32_e32 v3, 0x3c0, v2
	v_mul_u32_u24_e32 v3, 12, v3
	v_mov_b32_e32 v5, s3
	s_add_u32 s3, s4, 0x58
	v_addc_co_u32_e32 v5, vcc, 0, v5, vcc
	v_lshlrev_b32_e32 v3, 2, v3
	s_addc_u32 s4, s5, 0
	s_waitcnt lgkmcnt(0)
	s_lshr_b32 s5, s2, 16
	v_add_co_u32_e32 v20, vcc, v1, v3
	s_cmp_lt_u32 s6, s22
	v_addc_co_u32_e32 v21, vcc, 0, v5, vcc
	s_cselect_b32 s2, 12, 18
	global_load_dword v3, v[20:21], off
	s_add_u32 s2, s3, s2
	v_mov_b32_e32 v4, 0
	s_addc_u32 s3, s4, 0
	global_load_ushort v1, v4, s[2:3]
	v_mul_u32_u24_e32 v7, 5, v2
	v_lshlrev_b32_e32 v7, 2, v7
	ds_write2_b32 v7, v4, v4 offset0:16 offset1:17
	ds_write2_b32 v7, v4, v4 offset0:18 offset1:19
	ds_write_b32 v7, v4 offset:80
	global_load_dword v8, v[20:21], off offset:256
	global_load_dword v9, v[20:21], off offset:512
	;; [unrolled: 1-line block ×11, first 2 shown]
	v_bfe_u32 v5, v0, 10, 10
	v_bfe_u32 v0, v0, 20, 10
	s_lshl_b32 s2, -1, s21
	v_mad_u32_u24 v0, v0, s5, v5
	s_not_b32 s21, s2
	s_waitcnt lgkmcnt(0)
	s_barrier
	s_waitcnt lgkmcnt(0)
	; wave barrier
	s_waitcnt vmcnt(12)
	v_lshrrev_b32_e32 v5, s20, v3
	v_and_b32_e32 v19, s21, v5
	v_and_b32_e32 v21, 1, v19
	v_lshlrev_b32_e32 v5, 30, v19
	s_waitcnt vmcnt(11)
	v_mad_u64_u32 v[0:1], s[2:3], v0, v1, v[2:3]
	v_add_co_u32_e32 v1, vcc, -1, v21
	v_addc_co_u32_e64 v22, s[2:3], 0, -1, vcc
	v_cmp_ne_u32_e32 vcc, 0, v21
	v_cmp_gt_i64_e64 s[2:3], 0, v[4:5]
	v_not_b32_e32 v21, v5
	v_lshlrev_b32_e32 v5, 29, v19
	v_lshl_add_u32 v20, v19, 4, v19
	v_lshrrev_b32_e32 v28, 6, v0
	v_xor_b32_e32 v0, vcc_hi, v22
	v_xor_b32_e32 v1, vcc_lo, v1
	v_ashrrev_i32_e32 v21, 31, v21
	v_cmp_gt_i64_e32 vcc, 0, v[4:5]
	v_not_b32_e32 v23, v5
	v_lshlrev_b32_e32 v5, 28, v19
	v_add_lshl_u32 v22, v28, v20, 2
	v_and_b32_e32 v0, exec_hi, v0
	v_and_b32_e32 v1, exec_lo, v1
	v_xor_b32_e32 v20, s3, v21
	v_xor_b32_e32 v21, s2, v21
	v_ashrrev_i32_e32 v23, 31, v23
	v_cmp_gt_i64_e64 s[2:3], 0, v[4:5]
	v_not_b32_e32 v5, v5
	v_and_b32_e32 v0, v0, v20
	v_and_b32_e32 v1, v1, v21
	v_xor_b32_e32 v20, vcc_hi, v23
	v_xor_b32_e32 v21, vcc_lo, v23
	v_ashrrev_i32_e32 v5, 31, v5
	v_and_b32_e32 v0, v0, v20
	v_and_b32_e32 v1, v1, v21
	v_xor_b32_e32 v20, s3, v5
	v_xor_b32_e32 v5, s2, v5
	v_and_b32_e32 v1, v1, v5
	v_lshlrev_b32_e32 v5, 27, v19
	v_cmp_gt_i64_e32 vcc, 0, v[4:5]
	v_not_b32_e32 v5, v5
	v_ashrrev_i32_e32 v5, 31, v5
	v_and_b32_e32 v0, v0, v20
	v_xor_b32_e32 v20, vcc_hi, v5
	v_xor_b32_e32 v5, vcc_lo, v5
	v_and_b32_e32 v1, v1, v5
	v_lshlrev_b32_e32 v5, 26, v19
	v_cmp_gt_i64_e32 vcc, 0, v[4:5]
	v_not_b32_e32 v5, v5
	v_ashrrev_i32_e32 v5, 31, v5
	v_and_b32_e32 v0, v0, v20
	v_xor_b32_e32 v20, vcc_hi, v5
	v_xor_b32_e32 v5, vcc_lo, v5
	;; [unrolled: 8-line block ×3, first 2 shown]
	v_and_b32_e32 v0, v0, v20
	v_and_b32_e32 v20, v1, v5
	v_lshlrev_b32_e32 v5, 24, v19
	v_not_b32_e32 v1, v5
	v_cmp_gt_i64_e32 vcc, 0, v[4:5]
	v_ashrrev_i32_e32 v1, 31, v1
	v_xor_b32_e32 v5, vcc_hi, v1
	v_xor_b32_e32 v19, vcc_lo, v1
	v_and_b32_e32 v1, v0, v5
	v_and_b32_e32 v0, v20, v19
	v_mbcnt_lo_u32_b32 v5, v0, 0
	v_mbcnt_hi_u32_b32 v19, v1, v5
	v_cmp_eq_u32_e32 vcc, 0, v19
	v_cmp_ne_u64_e64 s[2:3], 0, v[0:1]
	s_and_b64 s[4:5], s[2:3], vcc
	s_and_saveexec_b64 s[2:3], s[4:5]
	s_cbranch_execz .LBB1105_89
; %bb.88:
	v_bcnt_u32_b32 v0, v0, 0
	v_bcnt_u32_b32 v0, v1, v0
	ds_write_b32 v22, v0 offset:64
.LBB1105_89:
	s_or_b64 exec, exec, s[2:3]
	s_waitcnt vmcnt(10)
	v_lshrrev_b32_e32 v0, s20, v8
	v_and_b32_e32 v0, s21, v0
	v_lshl_add_u32 v1, v0, 4, v0
	v_add_lshl_u32 v24, v28, v1, 2
	v_and_b32_e32 v1, 1, v0
	v_add_co_u32_e32 v5, vcc, -1, v1
	v_addc_co_u32_e64 v21, s[2:3], 0, -1, vcc
	v_cmp_ne_u32_e32 vcc, 0, v1
	v_xor_b32_e32 v5, vcc_lo, v5
	v_xor_b32_e32 v1, vcc_hi, v21
	v_and_b32_e32 v21, exec_lo, v5
	v_lshlrev_b32_e32 v5, 30, v0
	v_cmp_gt_i64_e32 vcc, 0, v[4:5]
	v_not_b32_e32 v5, v5
	v_ashrrev_i32_e32 v5, 31, v5
	v_xor_b32_e32 v23, vcc_hi, v5
	v_xor_b32_e32 v5, vcc_lo, v5
	v_and_b32_e32 v21, v21, v5
	v_lshlrev_b32_e32 v5, 29, v0
	v_cmp_gt_i64_e32 vcc, 0, v[4:5]
	v_not_b32_e32 v5, v5
	v_and_b32_e32 v1, exec_hi, v1
	v_ashrrev_i32_e32 v5, 31, v5
	v_and_b32_e32 v1, v1, v23
	v_xor_b32_e32 v23, vcc_hi, v5
	v_xor_b32_e32 v5, vcc_lo, v5
	v_and_b32_e32 v21, v21, v5
	v_lshlrev_b32_e32 v5, 28, v0
	v_cmp_gt_i64_e32 vcc, 0, v[4:5]
	v_not_b32_e32 v5, v5
	v_ashrrev_i32_e32 v5, 31, v5
	v_and_b32_e32 v1, v1, v23
	v_xor_b32_e32 v23, vcc_hi, v5
	v_xor_b32_e32 v5, vcc_lo, v5
	v_and_b32_e32 v21, v21, v5
	v_lshlrev_b32_e32 v5, 27, v0
	v_cmp_gt_i64_e32 vcc, 0, v[4:5]
	v_not_b32_e32 v5, v5
	;; [unrolled: 8-line block ×4, first 2 shown]
	v_ashrrev_i32_e32 v5, 31, v5
	v_and_b32_e32 v1, v1, v23
	v_xor_b32_e32 v23, vcc_hi, v5
	v_xor_b32_e32 v5, vcc_lo, v5
	v_and_b32_e32 v21, v21, v5
	v_lshlrev_b32_e32 v5, 24, v0
	v_not_b32_e32 v0, v5
	v_cmp_gt_i64_e32 vcc, 0, v[4:5]
	v_ashrrev_i32_e32 v0, 31, v0
	v_xor_b32_e32 v4, vcc_hi, v0
	v_xor_b32_e32 v0, vcc_lo, v0
	; wave barrier
	ds_read_b32 v20, v24 offset:64
	v_and_b32_e32 v1, v1, v23
	v_and_b32_e32 v0, v21, v0
	;; [unrolled: 1-line block ×3, first 2 shown]
	v_mbcnt_lo_u32_b32 v4, v0, 0
	v_mbcnt_hi_u32_b32 v21, v1, v4
	v_cmp_eq_u32_e32 vcc, 0, v21
	v_cmp_ne_u64_e64 s[2:3], 0, v[0:1]
	s_and_b64 s[4:5], s[2:3], vcc
	; wave barrier
	s_and_saveexec_b64 s[2:3], s[4:5]
	s_cbranch_execz .LBB1105_91
; %bb.90:
	v_bcnt_u32_b32 v0, v0, 0
	v_bcnt_u32_b32 v0, v1, v0
	s_waitcnt lgkmcnt(0)
	v_add_u32_e32 v0, v20, v0
	ds_write_b32 v24, v0 offset:64
.LBB1105_91:
	s_or_b64 exec, exec, s[2:3]
	s_waitcnt vmcnt(9)
	v_lshrrev_b32_e32 v0, s20, v9
	v_and_b32_e32 v4, s21, v0
	v_and_b32_e32 v1, 1, v4
	v_add_co_u32_e32 v5, vcc, -1, v1
	v_addc_co_u32_e64 v25, s[2:3], 0, -1, vcc
	v_cmp_ne_u32_e32 vcc, 0, v1
	v_lshl_add_u32 v0, v4, 4, v4
	v_xor_b32_e32 v1, vcc_hi, v25
	v_add_lshl_u32 v27, v28, v0, 2
	v_mov_b32_e32 v0, 0
	v_and_b32_e32 v25, exec_hi, v1
	v_lshlrev_b32_e32 v1, 30, v4
	v_xor_b32_e32 v5, vcc_lo, v5
	v_cmp_gt_i64_e32 vcc, 0, v[0:1]
	v_not_b32_e32 v1, v1
	v_ashrrev_i32_e32 v1, 31, v1
	v_and_b32_e32 v5, exec_lo, v5
	v_xor_b32_e32 v26, vcc_hi, v1
	v_xor_b32_e32 v1, vcc_lo, v1
	v_and_b32_e32 v5, v5, v1
	v_lshlrev_b32_e32 v1, 29, v4
	v_cmp_gt_i64_e32 vcc, 0, v[0:1]
	v_not_b32_e32 v1, v1
	v_ashrrev_i32_e32 v1, 31, v1
	v_and_b32_e32 v25, v25, v26
	v_xor_b32_e32 v26, vcc_hi, v1
	v_xor_b32_e32 v1, vcc_lo, v1
	v_and_b32_e32 v5, v5, v1
	v_lshlrev_b32_e32 v1, 28, v4
	v_cmp_gt_i64_e32 vcc, 0, v[0:1]
	v_not_b32_e32 v1, v1
	v_ashrrev_i32_e32 v1, 31, v1
	v_and_b32_e32 v25, v25, v26
	v_xor_b32_e32 v26, vcc_hi, v1
	v_xor_b32_e32 v1, vcc_lo, v1
	v_and_b32_e32 v5, v5, v1
	v_lshlrev_b32_e32 v1, 27, v4
	v_cmp_gt_i64_e32 vcc, 0, v[0:1]
	v_not_b32_e32 v1, v1
	v_ashrrev_i32_e32 v1, 31, v1
	v_and_b32_e32 v25, v25, v26
	v_xor_b32_e32 v26, vcc_hi, v1
	v_xor_b32_e32 v1, vcc_lo, v1
	v_and_b32_e32 v5, v5, v1
	v_lshlrev_b32_e32 v1, 26, v4
	v_cmp_gt_i64_e32 vcc, 0, v[0:1]
	v_not_b32_e32 v1, v1
	v_ashrrev_i32_e32 v1, 31, v1
	v_and_b32_e32 v25, v25, v26
	v_xor_b32_e32 v26, vcc_hi, v1
	v_xor_b32_e32 v1, vcc_lo, v1
	v_and_b32_e32 v5, v5, v1
	v_lshlrev_b32_e32 v1, 25, v4
	v_cmp_gt_i64_e32 vcc, 0, v[0:1]
	v_not_b32_e32 v1, v1
	v_ashrrev_i32_e32 v1, 31, v1
	v_and_b32_e32 v25, v25, v26
	v_xor_b32_e32 v26, vcc_hi, v1
	v_xor_b32_e32 v1, vcc_lo, v1
	v_and_b32_e32 v25, v25, v26
	v_and_b32_e32 v26, v5, v1
	v_lshlrev_b32_e32 v1, 24, v4
	v_cmp_gt_i64_e32 vcc, 0, v[0:1]
	v_not_b32_e32 v1, v1
	v_ashrrev_i32_e32 v1, 31, v1
	v_xor_b32_e32 v4, vcc_hi, v1
	v_xor_b32_e32 v1, vcc_lo, v1
	; wave barrier
	ds_read_b32 v23, v27 offset:64
	v_and_b32_e32 v5, v25, v4
	v_and_b32_e32 v4, v26, v1
	v_mbcnt_lo_u32_b32 v1, v4, 0
	v_mbcnt_hi_u32_b32 v25, v5, v1
	v_cmp_eq_u32_e32 vcc, 0, v25
	v_cmp_ne_u64_e64 s[2:3], 0, v[4:5]
	s_and_b64 s[4:5], s[2:3], vcc
	; wave barrier
	s_and_saveexec_b64 s[2:3], s[4:5]
	s_cbranch_execz .LBB1105_93
; %bb.92:
	v_bcnt_u32_b32 v1, v4, 0
	v_bcnt_u32_b32 v1, v5, v1
	s_waitcnt lgkmcnt(0)
	v_add_u32_e32 v1, v23, v1
	ds_write_b32 v27, v1 offset:64
.LBB1105_93:
	s_or_b64 exec, exec, s[2:3]
	s_waitcnt vmcnt(8)
	v_lshrrev_b32_e32 v1, s20, v10
	v_and_b32_e32 v4, s21, v1
	v_lshl_add_u32 v1, v4, 4, v4
	v_add_lshl_u32 v31, v28, v1, 2
	v_and_b32_e32 v1, 1, v4
	v_add_co_u32_e32 v5, vcc, -1, v1
	v_addc_co_u32_e64 v29, s[2:3], 0, -1, vcc
	v_cmp_ne_u32_e32 vcc, 0, v1
	v_xor_b32_e32 v1, vcc_hi, v29
	v_and_b32_e32 v29, exec_hi, v1
	v_lshlrev_b32_e32 v1, 30, v4
	v_xor_b32_e32 v5, vcc_lo, v5
	v_cmp_gt_i64_e32 vcc, 0, v[0:1]
	v_not_b32_e32 v1, v1
	v_ashrrev_i32_e32 v1, 31, v1
	v_and_b32_e32 v5, exec_lo, v5
	v_xor_b32_e32 v30, vcc_hi, v1
	v_xor_b32_e32 v1, vcc_lo, v1
	v_and_b32_e32 v5, v5, v1
	v_lshlrev_b32_e32 v1, 29, v4
	v_cmp_gt_i64_e32 vcc, 0, v[0:1]
	v_not_b32_e32 v1, v1
	v_ashrrev_i32_e32 v1, 31, v1
	v_and_b32_e32 v29, v29, v30
	v_xor_b32_e32 v30, vcc_hi, v1
	v_xor_b32_e32 v1, vcc_lo, v1
	v_and_b32_e32 v5, v5, v1
	v_lshlrev_b32_e32 v1, 28, v4
	v_cmp_gt_i64_e32 vcc, 0, v[0:1]
	v_not_b32_e32 v1, v1
	v_ashrrev_i32_e32 v1, 31, v1
	v_and_b32_e32 v29, v29, v30
	;; [unrolled: 8-line block ×5, first 2 shown]
	v_xor_b32_e32 v30, vcc_hi, v1
	v_xor_b32_e32 v1, vcc_lo, v1
	v_and_b32_e32 v5, v5, v1
	v_lshlrev_b32_e32 v1, 24, v4
	v_cmp_gt_i64_e32 vcc, 0, v[0:1]
	v_not_b32_e32 v0, v1
	v_ashrrev_i32_e32 v0, 31, v0
	v_xor_b32_e32 v1, vcc_hi, v0
	v_xor_b32_e32 v0, vcc_lo, v0
	; wave barrier
	ds_read_b32 v26, v31 offset:64
	v_and_b32_e32 v29, v29, v30
	v_and_b32_e32 v0, v5, v0
	;; [unrolled: 1-line block ×3, first 2 shown]
	v_mbcnt_lo_u32_b32 v4, v0, 0
	v_mbcnt_hi_u32_b32 v29, v1, v4
	v_cmp_eq_u32_e32 vcc, 0, v29
	v_cmp_ne_u64_e64 s[2:3], 0, v[0:1]
	s_and_b64 s[4:5], s[2:3], vcc
	; wave barrier
	s_and_saveexec_b64 s[2:3], s[4:5]
	s_cbranch_execz .LBB1105_95
; %bb.94:
	v_bcnt_u32_b32 v0, v0, 0
	v_bcnt_u32_b32 v0, v1, v0
	s_waitcnt lgkmcnt(0)
	v_add_u32_e32 v0, v26, v0
	ds_write_b32 v31, v0 offset:64
.LBB1105_95:
	s_or_b64 exec, exec, s[2:3]
	s_waitcnt vmcnt(7)
	v_lshrrev_b32_e32 v0, s20, v11
	v_and_b32_e32 v4, s21, v0
	v_and_b32_e32 v1, 1, v4
	v_add_co_u32_e32 v5, vcc, -1, v1
	v_addc_co_u32_e64 v32, s[2:3], 0, -1, vcc
	v_cmp_ne_u32_e32 vcc, 0, v1
	v_lshl_add_u32 v0, v4, 4, v4
	v_xor_b32_e32 v1, vcc_hi, v32
	v_add_lshl_u32 v34, v28, v0, 2
	v_mov_b32_e32 v0, 0
	v_and_b32_e32 v32, exec_hi, v1
	v_lshlrev_b32_e32 v1, 30, v4
	v_xor_b32_e32 v5, vcc_lo, v5
	v_cmp_gt_i64_e32 vcc, 0, v[0:1]
	v_not_b32_e32 v1, v1
	v_ashrrev_i32_e32 v1, 31, v1
	v_and_b32_e32 v5, exec_lo, v5
	v_xor_b32_e32 v33, vcc_hi, v1
	v_xor_b32_e32 v1, vcc_lo, v1
	v_and_b32_e32 v5, v5, v1
	v_lshlrev_b32_e32 v1, 29, v4
	v_cmp_gt_i64_e32 vcc, 0, v[0:1]
	v_not_b32_e32 v1, v1
	v_ashrrev_i32_e32 v1, 31, v1
	v_and_b32_e32 v32, v32, v33
	v_xor_b32_e32 v33, vcc_hi, v1
	v_xor_b32_e32 v1, vcc_lo, v1
	v_and_b32_e32 v5, v5, v1
	v_lshlrev_b32_e32 v1, 28, v4
	v_cmp_gt_i64_e32 vcc, 0, v[0:1]
	v_not_b32_e32 v1, v1
	v_ashrrev_i32_e32 v1, 31, v1
	v_and_b32_e32 v32, v32, v33
	;; [unrolled: 8-line block ×5, first 2 shown]
	v_xor_b32_e32 v33, vcc_hi, v1
	v_xor_b32_e32 v1, vcc_lo, v1
	v_and_b32_e32 v32, v32, v33
	v_and_b32_e32 v33, v5, v1
	v_lshlrev_b32_e32 v1, 24, v4
	v_cmp_gt_i64_e32 vcc, 0, v[0:1]
	v_not_b32_e32 v1, v1
	v_ashrrev_i32_e32 v1, 31, v1
	v_xor_b32_e32 v4, vcc_hi, v1
	v_xor_b32_e32 v1, vcc_lo, v1
	; wave barrier
	ds_read_b32 v30, v34 offset:64
	v_and_b32_e32 v5, v32, v4
	v_and_b32_e32 v4, v33, v1
	v_mbcnt_lo_u32_b32 v1, v4, 0
	v_mbcnt_hi_u32_b32 v32, v5, v1
	v_cmp_eq_u32_e32 vcc, 0, v32
	v_cmp_ne_u64_e64 s[2:3], 0, v[4:5]
	s_and_b64 s[4:5], s[2:3], vcc
	; wave barrier
	s_and_saveexec_b64 s[2:3], s[4:5]
	s_cbranch_execz .LBB1105_97
; %bb.96:
	v_bcnt_u32_b32 v1, v4, 0
	v_bcnt_u32_b32 v1, v5, v1
	s_waitcnt lgkmcnt(0)
	v_add_u32_e32 v1, v30, v1
	ds_write_b32 v34, v1 offset:64
.LBB1105_97:
	s_or_b64 exec, exec, s[2:3]
	s_waitcnt vmcnt(6)
	v_lshrrev_b32_e32 v1, s20, v12
	v_and_b32_e32 v4, s21, v1
	v_lshl_add_u32 v1, v4, 4, v4
	v_add_lshl_u32 v37, v28, v1, 2
	v_and_b32_e32 v1, 1, v4
	v_add_co_u32_e32 v5, vcc, -1, v1
	v_addc_co_u32_e64 v35, s[2:3], 0, -1, vcc
	v_cmp_ne_u32_e32 vcc, 0, v1
	v_xor_b32_e32 v1, vcc_hi, v35
	v_and_b32_e32 v35, exec_hi, v1
	v_lshlrev_b32_e32 v1, 30, v4
	v_xor_b32_e32 v5, vcc_lo, v5
	v_cmp_gt_i64_e32 vcc, 0, v[0:1]
	v_not_b32_e32 v1, v1
	v_ashrrev_i32_e32 v1, 31, v1
	v_and_b32_e32 v5, exec_lo, v5
	v_xor_b32_e32 v36, vcc_hi, v1
	v_xor_b32_e32 v1, vcc_lo, v1
	v_and_b32_e32 v5, v5, v1
	v_lshlrev_b32_e32 v1, 29, v4
	v_cmp_gt_i64_e32 vcc, 0, v[0:1]
	v_not_b32_e32 v1, v1
	v_ashrrev_i32_e32 v1, 31, v1
	v_and_b32_e32 v35, v35, v36
	v_xor_b32_e32 v36, vcc_hi, v1
	v_xor_b32_e32 v1, vcc_lo, v1
	v_and_b32_e32 v5, v5, v1
	v_lshlrev_b32_e32 v1, 28, v4
	v_cmp_gt_i64_e32 vcc, 0, v[0:1]
	v_not_b32_e32 v1, v1
	v_ashrrev_i32_e32 v1, 31, v1
	v_and_b32_e32 v35, v35, v36
	;; [unrolled: 8-line block ×5, first 2 shown]
	v_xor_b32_e32 v36, vcc_hi, v1
	v_xor_b32_e32 v1, vcc_lo, v1
	v_and_b32_e32 v5, v5, v1
	v_lshlrev_b32_e32 v1, 24, v4
	v_cmp_gt_i64_e32 vcc, 0, v[0:1]
	v_not_b32_e32 v0, v1
	v_ashrrev_i32_e32 v0, 31, v0
	v_xor_b32_e32 v1, vcc_hi, v0
	v_xor_b32_e32 v0, vcc_lo, v0
	; wave barrier
	ds_read_b32 v33, v37 offset:64
	v_and_b32_e32 v35, v35, v36
	v_and_b32_e32 v0, v5, v0
	;; [unrolled: 1-line block ×3, first 2 shown]
	v_mbcnt_lo_u32_b32 v4, v0, 0
	v_mbcnt_hi_u32_b32 v35, v1, v4
	v_cmp_eq_u32_e32 vcc, 0, v35
	v_cmp_ne_u64_e64 s[2:3], 0, v[0:1]
	s_and_b64 s[4:5], s[2:3], vcc
	; wave barrier
	s_and_saveexec_b64 s[2:3], s[4:5]
	s_cbranch_execz .LBB1105_99
; %bb.98:
	v_bcnt_u32_b32 v0, v0, 0
	v_bcnt_u32_b32 v0, v1, v0
	s_waitcnt lgkmcnt(0)
	v_add_u32_e32 v0, v33, v0
	ds_write_b32 v37, v0 offset:64
.LBB1105_99:
	s_or_b64 exec, exec, s[2:3]
	s_waitcnt vmcnt(5)
	v_lshrrev_b32_e32 v0, s20, v13
	v_and_b32_e32 v4, s21, v0
	v_and_b32_e32 v1, 1, v4
	v_add_co_u32_e32 v5, vcc, -1, v1
	v_addc_co_u32_e64 v38, s[2:3], 0, -1, vcc
	v_cmp_ne_u32_e32 vcc, 0, v1
	v_lshl_add_u32 v0, v4, 4, v4
	v_xor_b32_e32 v1, vcc_hi, v38
	v_add_lshl_u32 v40, v28, v0, 2
	v_mov_b32_e32 v0, 0
	v_and_b32_e32 v38, exec_hi, v1
	v_lshlrev_b32_e32 v1, 30, v4
	v_xor_b32_e32 v5, vcc_lo, v5
	v_cmp_gt_i64_e32 vcc, 0, v[0:1]
	v_not_b32_e32 v1, v1
	v_ashrrev_i32_e32 v1, 31, v1
	v_and_b32_e32 v5, exec_lo, v5
	v_xor_b32_e32 v39, vcc_hi, v1
	v_xor_b32_e32 v1, vcc_lo, v1
	v_and_b32_e32 v5, v5, v1
	v_lshlrev_b32_e32 v1, 29, v4
	v_cmp_gt_i64_e32 vcc, 0, v[0:1]
	v_not_b32_e32 v1, v1
	v_ashrrev_i32_e32 v1, 31, v1
	v_and_b32_e32 v38, v38, v39
	v_xor_b32_e32 v39, vcc_hi, v1
	v_xor_b32_e32 v1, vcc_lo, v1
	v_and_b32_e32 v5, v5, v1
	v_lshlrev_b32_e32 v1, 28, v4
	v_cmp_gt_i64_e32 vcc, 0, v[0:1]
	v_not_b32_e32 v1, v1
	v_ashrrev_i32_e32 v1, 31, v1
	v_and_b32_e32 v38, v38, v39
	;; [unrolled: 8-line block ×5, first 2 shown]
	v_xor_b32_e32 v39, vcc_hi, v1
	v_xor_b32_e32 v1, vcc_lo, v1
	v_and_b32_e32 v38, v38, v39
	v_and_b32_e32 v39, v5, v1
	v_lshlrev_b32_e32 v1, 24, v4
	v_cmp_gt_i64_e32 vcc, 0, v[0:1]
	v_not_b32_e32 v1, v1
	v_ashrrev_i32_e32 v1, 31, v1
	v_xor_b32_e32 v4, vcc_hi, v1
	v_xor_b32_e32 v1, vcc_lo, v1
	; wave barrier
	ds_read_b32 v36, v40 offset:64
	v_and_b32_e32 v5, v38, v4
	v_and_b32_e32 v4, v39, v1
	v_mbcnt_lo_u32_b32 v1, v4, 0
	v_mbcnt_hi_u32_b32 v38, v5, v1
	v_cmp_eq_u32_e32 vcc, 0, v38
	v_cmp_ne_u64_e64 s[2:3], 0, v[4:5]
	s_and_b64 s[4:5], s[2:3], vcc
	; wave barrier
	s_and_saveexec_b64 s[2:3], s[4:5]
	s_cbranch_execz .LBB1105_101
; %bb.100:
	v_bcnt_u32_b32 v1, v4, 0
	v_bcnt_u32_b32 v1, v5, v1
	s_waitcnt lgkmcnt(0)
	v_add_u32_e32 v1, v36, v1
	ds_write_b32 v40, v1 offset:64
.LBB1105_101:
	s_or_b64 exec, exec, s[2:3]
	s_waitcnt vmcnt(4)
	v_lshrrev_b32_e32 v1, s20, v14
	v_and_b32_e32 v4, s21, v1
	v_lshl_add_u32 v1, v4, 4, v4
	v_add_lshl_u32 v43, v28, v1, 2
	v_and_b32_e32 v1, 1, v4
	v_add_co_u32_e32 v5, vcc, -1, v1
	v_addc_co_u32_e64 v41, s[2:3], 0, -1, vcc
	v_cmp_ne_u32_e32 vcc, 0, v1
	v_xor_b32_e32 v1, vcc_hi, v41
	v_and_b32_e32 v41, exec_hi, v1
	v_lshlrev_b32_e32 v1, 30, v4
	v_xor_b32_e32 v5, vcc_lo, v5
	v_cmp_gt_i64_e32 vcc, 0, v[0:1]
	v_not_b32_e32 v1, v1
	v_ashrrev_i32_e32 v1, 31, v1
	v_and_b32_e32 v5, exec_lo, v5
	v_xor_b32_e32 v42, vcc_hi, v1
	v_xor_b32_e32 v1, vcc_lo, v1
	v_and_b32_e32 v5, v5, v1
	v_lshlrev_b32_e32 v1, 29, v4
	v_cmp_gt_i64_e32 vcc, 0, v[0:1]
	v_not_b32_e32 v1, v1
	v_ashrrev_i32_e32 v1, 31, v1
	v_and_b32_e32 v41, v41, v42
	v_xor_b32_e32 v42, vcc_hi, v1
	v_xor_b32_e32 v1, vcc_lo, v1
	v_and_b32_e32 v5, v5, v1
	v_lshlrev_b32_e32 v1, 28, v4
	v_cmp_gt_i64_e32 vcc, 0, v[0:1]
	v_not_b32_e32 v1, v1
	v_ashrrev_i32_e32 v1, 31, v1
	v_and_b32_e32 v41, v41, v42
	v_xor_b32_e32 v42, vcc_hi, v1
	v_xor_b32_e32 v1, vcc_lo, v1
	v_and_b32_e32 v5, v5, v1
	v_lshlrev_b32_e32 v1, 27, v4
	v_cmp_gt_i64_e32 vcc, 0, v[0:1]
	v_not_b32_e32 v1, v1
	v_ashrrev_i32_e32 v1, 31, v1
	v_and_b32_e32 v41, v41, v42
	v_xor_b32_e32 v42, vcc_hi, v1
	v_xor_b32_e32 v1, vcc_lo, v1
	v_and_b32_e32 v5, v5, v1
	v_lshlrev_b32_e32 v1, 26, v4
	v_cmp_gt_i64_e32 vcc, 0, v[0:1]
	v_not_b32_e32 v1, v1
	v_ashrrev_i32_e32 v1, 31, v1
	v_and_b32_e32 v41, v41, v42
	v_xor_b32_e32 v42, vcc_hi, v1
	v_xor_b32_e32 v1, vcc_lo, v1
	v_and_b32_e32 v5, v5, v1
	v_lshlrev_b32_e32 v1, 25, v4
	v_cmp_gt_i64_e32 vcc, 0, v[0:1]
	v_not_b32_e32 v1, v1
	v_ashrrev_i32_e32 v1, 31, v1
	v_and_b32_e32 v41, v41, v42
	v_xor_b32_e32 v42, vcc_hi, v1
	v_xor_b32_e32 v1, vcc_lo, v1
	v_and_b32_e32 v5, v5, v1
	v_lshlrev_b32_e32 v1, 24, v4
	v_cmp_gt_i64_e32 vcc, 0, v[0:1]
	v_not_b32_e32 v0, v1
	v_ashrrev_i32_e32 v0, 31, v0
	v_xor_b32_e32 v1, vcc_hi, v0
	v_xor_b32_e32 v0, vcc_lo, v0
	; wave barrier
	ds_read_b32 v39, v43 offset:64
	v_and_b32_e32 v41, v41, v42
	v_and_b32_e32 v0, v5, v0
	;; [unrolled: 1-line block ×3, first 2 shown]
	v_mbcnt_lo_u32_b32 v4, v0, 0
	v_mbcnt_hi_u32_b32 v41, v1, v4
	v_cmp_eq_u32_e32 vcc, 0, v41
	v_cmp_ne_u64_e64 s[2:3], 0, v[0:1]
	s_and_b64 s[4:5], s[2:3], vcc
	; wave barrier
	s_and_saveexec_b64 s[2:3], s[4:5]
	s_cbranch_execz .LBB1105_103
; %bb.102:
	v_bcnt_u32_b32 v0, v0, 0
	v_bcnt_u32_b32 v0, v1, v0
	s_waitcnt lgkmcnt(0)
	v_add_u32_e32 v0, v39, v0
	ds_write_b32 v43, v0 offset:64
.LBB1105_103:
	s_or_b64 exec, exec, s[2:3]
	s_waitcnt vmcnt(3)
	v_lshrrev_b32_e32 v0, s20, v15
	v_and_b32_e32 v4, s21, v0
	v_and_b32_e32 v1, 1, v4
	v_add_co_u32_e32 v5, vcc, -1, v1
	v_addc_co_u32_e64 v44, s[2:3], 0, -1, vcc
	v_cmp_ne_u32_e32 vcc, 0, v1
	v_lshl_add_u32 v0, v4, 4, v4
	v_xor_b32_e32 v1, vcc_hi, v44
	v_add_lshl_u32 v46, v28, v0, 2
	v_mov_b32_e32 v0, 0
	v_and_b32_e32 v44, exec_hi, v1
	v_lshlrev_b32_e32 v1, 30, v4
	v_xor_b32_e32 v5, vcc_lo, v5
	v_cmp_gt_i64_e32 vcc, 0, v[0:1]
	v_not_b32_e32 v1, v1
	v_ashrrev_i32_e32 v1, 31, v1
	v_and_b32_e32 v5, exec_lo, v5
	v_xor_b32_e32 v45, vcc_hi, v1
	v_xor_b32_e32 v1, vcc_lo, v1
	v_and_b32_e32 v5, v5, v1
	v_lshlrev_b32_e32 v1, 29, v4
	v_cmp_gt_i64_e32 vcc, 0, v[0:1]
	v_not_b32_e32 v1, v1
	v_ashrrev_i32_e32 v1, 31, v1
	v_and_b32_e32 v44, v44, v45
	v_xor_b32_e32 v45, vcc_hi, v1
	v_xor_b32_e32 v1, vcc_lo, v1
	v_and_b32_e32 v5, v5, v1
	v_lshlrev_b32_e32 v1, 28, v4
	v_cmp_gt_i64_e32 vcc, 0, v[0:1]
	v_not_b32_e32 v1, v1
	v_ashrrev_i32_e32 v1, 31, v1
	v_and_b32_e32 v44, v44, v45
	v_xor_b32_e32 v45, vcc_hi, v1
	v_xor_b32_e32 v1, vcc_lo, v1
	v_and_b32_e32 v5, v5, v1
	v_lshlrev_b32_e32 v1, 27, v4
	v_cmp_gt_i64_e32 vcc, 0, v[0:1]
	v_not_b32_e32 v1, v1
	v_ashrrev_i32_e32 v1, 31, v1
	v_and_b32_e32 v44, v44, v45
	v_xor_b32_e32 v45, vcc_hi, v1
	v_xor_b32_e32 v1, vcc_lo, v1
	v_and_b32_e32 v5, v5, v1
	v_lshlrev_b32_e32 v1, 26, v4
	v_cmp_gt_i64_e32 vcc, 0, v[0:1]
	v_not_b32_e32 v1, v1
	v_ashrrev_i32_e32 v1, 31, v1
	v_and_b32_e32 v44, v44, v45
	v_xor_b32_e32 v45, vcc_hi, v1
	v_xor_b32_e32 v1, vcc_lo, v1
	v_and_b32_e32 v5, v5, v1
	v_lshlrev_b32_e32 v1, 25, v4
	v_cmp_gt_i64_e32 vcc, 0, v[0:1]
	v_not_b32_e32 v1, v1
	v_ashrrev_i32_e32 v1, 31, v1
	v_and_b32_e32 v44, v44, v45
	v_xor_b32_e32 v45, vcc_hi, v1
	v_xor_b32_e32 v1, vcc_lo, v1
	v_and_b32_e32 v44, v44, v45
	v_and_b32_e32 v45, v5, v1
	v_lshlrev_b32_e32 v1, 24, v4
	v_cmp_gt_i64_e32 vcc, 0, v[0:1]
	v_not_b32_e32 v1, v1
	v_ashrrev_i32_e32 v1, 31, v1
	v_xor_b32_e32 v4, vcc_hi, v1
	v_xor_b32_e32 v1, vcc_lo, v1
	; wave barrier
	ds_read_b32 v42, v46 offset:64
	v_and_b32_e32 v5, v44, v4
	v_and_b32_e32 v4, v45, v1
	v_mbcnt_lo_u32_b32 v1, v4, 0
	v_mbcnt_hi_u32_b32 v44, v5, v1
	v_cmp_eq_u32_e32 vcc, 0, v44
	v_cmp_ne_u64_e64 s[2:3], 0, v[4:5]
	s_and_b64 s[4:5], s[2:3], vcc
	; wave barrier
	s_and_saveexec_b64 s[2:3], s[4:5]
	s_cbranch_execz .LBB1105_105
; %bb.104:
	v_bcnt_u32_b32 v1, v4, 0
	v_bcnt_u32_b32 v1, v5, v1
	s_waitcnt lgkmcnt(0)
	v_add_u32_e32 v1, v42, v1
	ds_write_b32 v46, v1 offset:64
.LBB1105_105:
	s_or_b64 exec, exec, s[2:3]
	s_waitcnt vmcnt(2)
	v_lshrrev_b32_e32 v1, s20, v16
	v_and_b32_e32 v4, s21, v1
	v_lshl_add_u32 v1, v4, 4, v4
	v_add_lshl_u32 v49, v28, v1, 2
	v_and_b32_e32 v1, 1, v4
	v_add_co_u32_e32 v5, vcc, -1, v1
	v_addc_co_u32_e64 v47, s[2:3], 0, -1, vcc
	v_cmp_ne_u32_e32 vcc, 0, v1
	v_xor_b32_e32 v1, vcc_hi, v47
	v_and_b32_e32 v47, exec_hi, v1
	v_lshlrev_b32_e32 v1, 30, v4
	v_xor_b32_e32 v5, vcc_lo, v5
	v_cmp_gt_i64_e32 vcc, 0, v[0:1]
	v_not_b32_e32 v1, v1
	v_ashrrev_i32_e32 v1, 31, v1
	v_and_b32_e32 v5, exec_lo, v5
	v_xor_b32_e32 v48, vcc_hi, v1
	v_xor_b32_e32 v1, vcc_lo, v1
	v_and_b32_e32 v5, v5, v1
	v_lshlrev_b32_e32 v1, 29, v4
	v_cmp_gt_i64_e32 vcc, 0, v[0:1]
	v_not_b32_e32 v1, v1
	v_ashrrev_i32_e32 v1, 31, v1
	v_and_b32_e32 v47, v47, v48
	v_xor_b32_e32 v48, vcc_hi, v1
	v_xor_b32_e32 v1, vcc_lo, v1
	v_and_b32_e32 v5, v5, v1
	v_lshlrev_b32_e32 v1, 28, v4
	v_cmp_gt_i64_e32 vcc, 0, v[0:1]
	v_not_b32_e32 v1, v1
	v_ashrrev_i32_e32 v1, 31, v1
	v_and_b32_e32 v47, v47, v48
	;; [unrolled: 8-line block ×5, first 2 shown]
	v_xor_b32_e32 v48, vcc_hi, v1
	v_xor_b32_e32 v1, vcc_lo, v1
	v_and_b32_e32 v5, v5, v1
	v_lshlrev_b32_e32 v1, 24, v4
	v_cmp_gt_i64_e32 vcc, 0, v[0:1]
	v_not_b32_e32 v0, v1
	v_ashrrev_i32_e32 v0, 31, v0
	v_xor_b32_e32 v1, vcc_hi, v0
	v_xor_b32_e32 v0, vcc_lo, v0
	; wave barrier
	ds_read_b32 v45, v49 offset:64
	v_and_b32_e32 v47, v47, v48
	v_and_b32_e32 v0, v5, v0
	;; [unrolled: 1-line block ×3, first 2 shown]
	v_mbcnt_lo_u32_b32 v4, v0, 0
	v_mbcnt_hi_u32_b32 v47, v1, v4
	v_cmp_eq_u32_e32 vcc, 0, v47
	v_cmp_ne_u64_e64 s[2:3], 0, v[0:1]
	s_and_b64 s[4:5], s[2:3], vcc
	; wave barrier
	s_and_saveexec_b64 s[2:3], s[4:5]
	s_cbranch_execz .LBB1105_107
; %bb.106:
	v_bcnt_u32_b32 v0, v0, 0
	v_bcnt_u32_b32 v0, v1, v0
	s_waitcnt lgkmcnt(0)
	v_add_u32_e32 v0, v45, v0
	ds_write_b32 v49, v0 offset:64
.LBB1105_107:
	s_or_b64 exec, exec, s[2:3]
	s_waitcnt vmcnt(1)
	v_lshrrev_b32_e32 v0, s20, v17
	v_and_b32_e32 v4, s21, v0
	v_and_b32_e32 v1, 1, v4
	v_add_co_u32_e32 v5, vcc, -1, v1
	v_addc_co_u32_e64 v50, s[2:3], 0, -1, vcc
	v_cmp_ne_u32_e32 vcc, 0, v1
	v_lshl_add_u32 v0, v4, 4, v4
	v_xor_b32_e32 v1, vcc_hi, v50
	v_add_lshl_u32 v51, v28, v0, 2
	v_mov_b32_e32 v0, 0
	v_and_b32_e32 v50, exec_hi, v1
	v_lshlrev_b32_e32 v1, 30, v4
	v_xor_b32_e32 v5, vcc_lo, v5
	v_cmp_gt_i64_e32 vcc, 0, v[0:1]
	v_not_b32_e32 v1, v1
	v_ashrrev_i32_e32 v1, 31, v1
	v_and_b32_e32 v5, exec_lo, v5
	v_xor_b32_e32 v52, vcc_hi, v1
	v_xor_b32_e32 v1, vcc_lo, v1
	v_and_b32_e32 v5, v5, v1
	v_lshlrev_b32_e32 v1, 29, v4
	v_cmp_gt_i64_e32 vcc, 0, v[0:1]
	v_not_b32_e32 v1, v1
	v_ashrrev_i32_e32 v1, 31, v1
	v_and_b32_e32 v50, v50, v52
	v_xor_b32_e32 v52, vcc_hi, v1
	v_xor_b32_e32 v1, vcc_lo, v1
	v_and_b32_e32 v5, v5, v1
	v_lshlrev_b32_e32 v1, 28, v4
	v_cmp_gt_i64_e32 vcc, 0, v[0:1]
	v_not_b32_e32 v1, v1
	v_ashrrev_i32_e32 v1, 31, v1
	v_and_b32_e32 v50, v50, v52
	;; [unrolled: 8-line block ×5, first 2 shown]
	v_xor_b32_e32 v52, vcc_hi, v1
	v_xor_b32_e32 v1, vcc_lo, v1
	v_and_b32_e32 v50, v50, v52
	v_and_b32_e32 v52, v5, v1
	v_lshlrev_b32_e32 v1, 24, v4
	v_cmp_gt_i64_e32 vcc, 0, v[0:1]
	v_not_b32_e32 v1, v1
	v_ashrrev_i32_e32 v1, 31, v1
	v_xor_b32_e32 v4, vcc_hi, v1
	v_xor_b32_e32 v1, vcc_lo, v1
	; wave barrier
	ds_read_b32 v48, v51 offset:64
	v_and_b32_e32 v5, v50, v4
	v_and_b32_e32 v4, v52, v1
	v_mbcnt_lo_u32_b32 v1, v4, 0
	v_mbcnt_hi_u32_b32 v50, v5, v1
	v_cmp_eq_u32_e32 vcc, 0, v50
	v_cmp_ne_u64_e64 s[2:3], 0, v[4:5]
	s_and_b64 s[4:5], s[2:3], vcc
	; wave barrier
	s_and_saveexec_b64 s[2:3], s[4:5]
	s_cbranch_execz .LBB1105_109
; %bb.108:
	v_bcnt_u32_b32 v1, v4, 0
	v_bcnt_u32_b32 v1, v5, v1
	s_waitcnt lgkmcnt(0)
	v_add_u32_e32 v1, v48, v1
	ds_write_b32 v51, v1 offset:64
.LBB1105_109:
	s_or_b64 exec, exec, s[2:3]
	s_waitcnt vmcnt(0)
	v_lshrrev_b32_e32 v1, s20, v18
	v_and_b32_e32 v4, s21, v1
	v_lshl_add_u32 v1, v4, 4, v4
	v_add_lshl_u32 v53, v28, v1, 2
	v_and_b32_e32 v1, 1, v4
	v_add_co_u32_e32 v5, vcc, -1, v1
	v_addc_co_u32_e64 v52, s[2:3], 0, -1, vcc
	v_cmp_ne_u32_e32 vcc, 0, v1
	v_xor_b32_e32 v1, vcc_hi, v52
	v_and_b32_e32 v52, exec_hi, v1
	v_lshlrev_b32_e32 v1, 30, v4
	v_xor_b32_e32 v5, vcc_lo, v5
	v_cmp_gt_i64_e32 vcc, 0, v[0:1]
	v_not_b32_e32 v1, v1
	v_ashrrev_i32_e32 v1, 31, v1
	v_and_b32_e32 v5, exec_lo, v5
	v_xor_b32_e32 v55, vcc_hi, v1
	v_xor_b32_e32 v1, vcc_lo, v1
	v_and_b32_e32 v5, v5, v1
	v_lshlrev_b32_e32 v1, 29, v4
	v_cmp_gt_i64_e32 vcc, 0, v[0:1]
	v_not_b32_e32 v1, v1
	v_ashrrev_i32_e32 v1, 31, v1
	v_and_b32_e32 v52, v52, v55
	v_xor_b32_e32 v55, vcc_hi, v1
	v_xor_b32_e32 v1, vcc_lo, v1
	v_and_b32_e32 v5, v5, v1
	v_lshlrev_b32_e32 v1, 28, v4
	v_cmp_gt_i64_e32 vcc, 0, v[0:1]
	v_not_b32_e32 v1, v1
	v_ashrrev_i32_e32 v1, 31, v1
	v_and_b32_e32 v52, v52, v55
	;; [unrolled: 8-line block ×5, first 2 shown]
	v_xor_b32_e32 v55, vcc_hi, v1
	v_xor_b32_e32 v1, vcc_lo, v1
	v_and_b32_e32 v5, v5, v1
	v_lshlrev_b32_e32 v1, 24, v4
	v_cmp_gt_i64_e32 vcc, 0, v[0:1]
	v_not_b32_e32 v0, v1
	v_ashrrev_i32_e32 v0, 31, v0
	v_xor_b32_e32 v1, vcc_hi, v0
	v_xor_b32_e32 v0, vcc_lo, v0
	; wave barrier
	ds_read_b32 v28, v53 offset:64
	v_and_b32_e32 v52, v52, v55
	v_and_b32_e32 v0, v5, v0
	;; [unrolled: 1-line block ×3, first 2 shown]
	v_mbcnt_lo_u32_b32 v4, v0, 0
	v_mbcnt_hi_u32_b32 v52, v1, v4
	v_cmp_eq_u32_e32 vcc, 0, v52
	v_cmp_ne_u64_e64 s[2:3], 0, v[0:1]
	v_add_u32_e32 v54, 64, v7
	s_and_b64 s[4:5], s[2:3], vcc
	; wave barrier
	s_and_saveexec_b64 s[2:3], s[4:5]
	s_cbranch_execz .LBB1105_111
; %bb.110:
	v_bcnt_u32_b32 v0, v0, 0
	v_bcnt_u32_b32 v0, v1, v0
	s_waitcnt lgkmcnt(0)
	v_add_u32_e32 v0, v28, v0
	ds_write_b32 v53, v0 offset:64
.LBB1105_111:
	s_or_b64 exec, exec, s[2:3]
	; wave barrier
	s_waitcnt lgkmcnt(0)
	s_barrier
	ds_read2_b32 v[4:5], v7 offset0:16 offset1:17
	ds_read2_b32 v[0:1], v54 offset0:2 offset1:3
	ds_read_b32 v55, v54 offset:16
	v_cmp_lt_u32_e64 s[8:9], 31, v6
	s_waitcnt lgkmcnt(1)
	v_add3_u32 v56, v5, v4, v0
	s_waitcnt lgkmcnt(0)
	v_add3_u32 v55, v56, v1, v55
	v_and_b32_e32 v56, 15, v6
	v_cmp_eq_u32_e32 vcc, 0, v56
	v_mov_b32_dpp v57, v55 row_shr:1 row_mask:0xf bank_mask:0xf
	v_cndmask_b32_e64 v57, v57, 0, vcc
	v_add_u32_e32 v55, v57, v55
	v_cmp_lt_u32_e64 s[2:3], 1, v56
	v_cmp_lt_u32_e64 s[4:5], 3, v56
	v_mov_b32_dpp v57, v55 row_shr:2 row_mask:0xf bank_mask:0xf
	v_cndmask_b32_e64 v57, 0, v57, s[2:3]
	v_add_u32_e32 v55, v55, v57
	v_cmp_lt_u32_e64 s[6:7], 7, v56
	s_nop 0
	v_mov_b32_dpp v57, v55 row_shr:4 row_mask:0xf bank_mask:0xf
	v_cndmask_b32_e64 v57, 0, v57, s[4:5]
	v_add_u32_e32 v55, v55, v57
	s_nop 1
	v_mov_b32_dpp v57, v55 row_shr:8 row_mask:0xf bank_mask:0xf
	v_cndmask_b32_e64 v56, 0, v57, s[6:7]
	v_add_u32_e32 v55, v55, v56
	v_bfe_i32 v57, v6, 4, 1
	s_nop 0
	v_mov_b32_dpp v56, v55 row_bcast:15 row_mask:0xf bank_mask:0xf
	v_and_b32_e32 v56, v57, v56
	v_add_u32_e32 v55, v55, v56
	v_and_b32_e32 v57, 63, v2
	s_nop 0
	v_mov_b32_dpp v56, v55 row_bcast:31 row_mask:0xf bank_mask:0xf
	v_cndmask_b32_e64 v56, 0, v56, s[8:9]
	v_add_u32_e32 v55, v55, v56
	v_lshrrev_b32_e32 v56, 6, v2
	v_cmp_eq_u32_e64 s[8:9], 63, v57
	s_and_saveexec_b64 s[12:13], s[8:9]
	s_cbranch_execz .LBB1105_113
; %bb.112:
	v_lshlrev_b32_e32 v57, 2, v56
	ds_write_b32 v57, v55
.LBB1105_113:
	s_or_b64 exec, exec, s[12:13]
	v_cmp_gt_u32_e64 s[8:9], 16, v2
	s_waitcnt lgkmcnt(0)
	s_barrier
	s_and_saveexec_b64 s[12:13], s[8:9]
	s_cbranch_execz .LBB1105_115
; %bb.114:
	v_lshlrev_b32_e32 v57, 2, v2
	ds_read_b32 v58, v57
	s_waitcnt lgkmcnt(0)
	s_nop 0
	v_mov_b32_dpp v59, v58 row_shr:1 row_mask:0xf bank_mask:0xf
	v_cndmask_b32_e64 v59, v59, 0, vcc
	v_add_u32_e32 v58, v59, v58
	s_nop 1
	v_mov_b32_dpp v59, v58 row_shr:2 row_mask:0xf bank_mask:0xf
	v_cndmask_b32_e64 v59, 0, v59, s[2:3]
	v_add_u32_e32 v58, v58, v59
	s_nop 1
	v_mov_b32_dpp v59, v58 row_shr:4 row_mask:0xf bank_mask:0xf
	v_cndmask_b32_e64 v59, 0, v59, s[4:5]
	;; [unrolled: 4-line block ×3, first 2 shown]
	v_add_u32_e32 v58, v58, v59
	ds_write_b32 v57, v58
.LBB1105_115:
	s_or_b64 exec, exec, s[12:13]
	v_cmp_lt_u32_e32 vcc, 63, v2
	v_mov_b32_e32 v57, 0
	s_waitcnt lgkmcnt(0)
	s_barrier
	s_and_saveexec_b64 s[2:3], vcc
	s_cbranch_execz .LBB1105_117
; %bb.116:
	v_lshl_add_u32 v56, v56, 2, -4
	ds_read_b32 v57, v56
.LBB1105_117:
	s_or_b64 exec, exec, s[2:3]
	v_add_u32_e32 v56, -1, v6
	v_and_b32_e32 v58, 64, v6
	v_cmp_lt_i32_e32 vcc, v56, v58
	v_cndmask_b32_e32 v56, v56, v6, vcc
	s_waitcnt lgkmcnt(0)
	v_add_u32_e32 v55, v57, v55
	v_lshlrev_b32_e32 v56, 2, v56
	ds_bpermute_b32 v55, v56, v55
	v_cmp_eq_u32_e32 vcc, 0, v6
	s_waitcnt lgkmcnt(0)
	v_cndmask_b32_e32 v6, v55, v57, vcc
	v_cndmask_b32_e64 v6, v6, 0, s[0:1]
	v_add_u32_e32 v4, v6, v4
	v_add_u32_e32 v5, v4, v5
	;; [unrolled: 1-line block ×4, first 2 shown]
	ds_write2_b32 v7, v6, v4 offset0:16 offset1:17
	ds_write2_b32 v54, v5, v0 offset0:2 offset1:3
	ds_write_b32 v54, v1 offset:16
	s_waitcnt lgkmcnt(0)
	s_barrier
	ds_read_b32 v58, v22 offset:64
	ds_read_b32 v54, v24 offset:64
	;; [unrolled: 1-line block ×12, first 2 shown]
	s_movk_i32 s0, 0x100
	v_cmp_gt_u32_e32 vcc, s0, v2
                                        ; implicit-def: $vgpr22
                                        ; implicit-def: $vgpr24
	s_and_saveexec_b64 s[2:3], vcc
	s_cbranch_execz .LBB1105_121
; %bb.118:
	v_mul_u32_u24_e32 v0, 17, v2
	v_lshlrev_b32_e32 v1, 2, v0
	ds_read_b32 v22, v1 offset:64
	s_movk_i32 s0, 0xff
	v_cmp_ne_u32_e64 s[0:1], s0, v2
	v_mov_b32_e32 v0, 0x3000
	s_and_saveexec_b64 s[4:5], s[0:1]
	s_cbranch_execz .LBB1105_120
; %bb.119:
	ds_read_b32 v0, v1 offset:132
.LBB1105_120:
	s_or_b64 exec, exec, s[4:5]
	s_waitcnt lgkmcnt(0)
	v_sub_u32_e32 v24, v0, v22
.LBB1105_121:
	s_or_b64 exec, exec, s[2:3]
	s_waitcnt lgkmcnt(0)
	s_barrier
	s_and_saveexec_b64 s[2:3], vcc
	s_cbranch_execz .LBB1105_131
; %bb.122:
	v_lshl_or_b32 v0, s30, 8, v2
	v_mov_b32_e32 v1, 0
	v_lshlrev_b64 v[4:5], 2, v[0:1]
	v_mov_b32_e32 v49, s15
	v_add_co_u32_e64 v4, s[0:1], s14, v4
	v_addc_co_u32_e64 v5, s[0:1], v49, v5, s[0:1]
	v_or_b32_e32 v0, 2.0, v24
	s_mov_b64 s[4:5], 0
	s_brev_b32 s12, 1
	s_mov_b32 s13, s30
	v_mov_b32_e32 v51, 0
	global_store_dword v[4:5], v0, off
                                        ; implicit-def: $sgpr0_sgpr1
	s_branch .LBB1105_125
.LBB1105_123:                           ;   in Loop: Header=BB1105_125 Depth=1
	s_or_b64 exec, exec, s[8:9]
.LBB1105_124:                           ;   in Loop: Header=BB1105_125 Depth=1
	s_or_b64 exec, exec, s[6:7]
	v_and_b32_e32 v6, 0x3fffffff, v53
	v_add_u32_e32 v51, v6, v51
	v_cmp_eq_u32_e64 s[0:1], s12, v0
	s_and_b64 s[6:7], exec, s[0:1]
	s_or_b64 s[4:5], s[6:7], s[4:5]
	s_andn2_b64 exec, exec, s[4:5]
	s_cbranch_execz .LBB1105_130
.LBB1105_125:                           ; =>This Loop Header: Depth=1
                                        ;     Child Loop BB1105_128 Depth 2
	s_or_b64 s[0:1], s[0:1], exec
	s_cmp_eq_u32 s13, 0
	s_cbranch_scc1 .LBB1105_129
; %bb.126:                              ;   in Loop: Header=BB1105_125 Depth=1
	s_add_i32 s13, s13, -1
	v_lshl_or_b32 v0, s13, 8, v2
	v_lshlrev_b64 v[6:7], 2, v[0:1]
	v_add_co_u32_e64 v6, s[0:1], s14, v6
	v_addc_co_u32_e64 v7, s[0:1], v49, v7, s[0:1]
	global_load_dword v53, v[6:7], off glc
	s_waitcnt vmcnt(0)
	v_and_b32_e32 v0, -2.0, v53
	v_cmp_eq_u32_e64 s[0:1], 0, v0
	s_and_saveexec_b64 s[6:7], s[0:1]
	s_cbranch_execz .LBB1105_124
; %bb.127:                              ;   in Loop: Header=BB1105_125 Depth=1
	s_mov_b64 s[8:9], 0
.LBB1105_128:                           ;   Parent Loop BB1105_125 Depth=1
                                        ; =>  This Inner Loop Header: Depth=2
	global_load_dword v53, v[6:7], off glc
	s_waitcnt vmcnt(0)
	v_and_b32_e32 v0, -2.0, v53
	v_cmp_ne_u32_e64 s[0:1], 0, v0
	s_or_b64 s[8:9], s[0:1], s[8:9]
	s_andn2_b64 exec, exec, s[8:9]
	s_cbranch_execnz .LBB1105_128
	s_branch .LBB1105_123
.LBB1105_129:                           ;   in Loop: Header=BB1105_125 Depth=1
                                        ; implicit-def: $sgpr13
	s_and_b64 s[6:7], exec, s[0:1]
	s_or_b64 s[4:5], s[6:7], s[4:5]
	s_andn2_b64 exec, exec, s[4:5]
	s_cbranch_execnz .LBB1105_125
.LBB1105_130:
	s_or_b64 exec, exec, s[4:5]
	v_add_u32_e32 v0, v51, v24
	v_or_b32_e32 v0, 0x80000000, v0
	global_store_dword v[4:5], v0, off
	v_lshlrev_b32_e32 v0, 2, v2
	global_load_dword v1, v0, s[16:17]
	v_sub_u32_e32 v4, v51, v22
	s_waitcnt vmcnt(0)
	v_add_u32_e32 v1, v4, v1
	ds_write_b32 v0, v1
.LBB1105_131:
	s_or_b64 exec, exec, s[2:3]
	v_lshlrev_b32_e32 v5, 2, v2
	v_add_u32_e32 v4, v58, v19
	s_movk_i32 s2, 0x400
	v_add_u32_e32 v6, 0x400, v5
	v_add3_u32 v7, v52, v46, v28
	v_add3_u32 v19, v50, v43, v48
	;; [unrolled: 1-line block ×11, first 2 shown]
	s_mov_b32 s3, 0
	v_mov_b32_e32 v21, s27
	s_movk_i32 s4, 0x800
	s_movk_i32 s5, 0xc00
	v_mov_b32_e32 v1, 0
	v_mov_b32_e32 v25, v2
.LBB1105_132:                           ; =>This Inner Loop Header: Depth=1
	v_add_u32_e32 v0, s3, v4
	v_add_u32_e32 v29, s3, v20
	;; [unrolled: 1-line block ×12, first 2 shown]
	v_min_u32_e32 v0, 0x1000, v0
	v_min_u32_e32 v29, 0x1000, v29
	v_min_u32_e32 v36, 0x1000, v36
	v_min_u32_e32 v37, 0x1000, v37
	v_min_u32_e32 v32, 0x1000, v32
	v_min_u32_e32 v35, 0x1000, v35
	v_min_u32_e32 v38, 0x1000, v38
	v_min_u32_e32 v39, 0x1000, v39
	v_min_u32_e32 v40, 0x1000, v40
	v_min_u32_e32 v41, 0x1000, v41
	v_min_u32_e32 v42, 0x1000, v42
	v_min_u32_e32 v43, 0x1000, v43
	v_lshlrev_b32_e32 v0, 2, v0
	v_lshlrev_b32_e32 v29, 2, v29
	v_lshlrev_b32_e32 v36, 2, v36
	v_lshlrev_b32_e32 v37, 2, v37
	v_lshlrev_b32_e32 v32, 2, v32
	v_lshlrev_b32_e32 v35, 2, v35
	v_lshlrev_b32_e32 v38, 2, v38
	v_lshlrev_b32_e32 v39, 2, v39
	v_lshlrev_b32_e32 v40, 2, v40
	v_lshlrev_b32_e32 v41, 2, v41
	v_lshlrev_b32_e32 v42, 2, v42
	v_lshlrev_b32_e32 v43, 2, v43
	ds_write_b32 v0, v3 offset:1024
	ds_write_b32 v29, v8 offset:1024
	ds_write_b32 v32, v9 offset:1024
	ds_write_b32 v35, v10 offset:1024
	ds_write_b32 v36, v11 offset:1024
	ds_write_b32 v37, v12 offset:1024
	ds_write_b32 v38, v13 offset:1024
	ds_write_b32 v39, v14 offset:1024
	ds_write_b32 v40, v15 offset:1024
	ds_write_b32 v41, v16 offset:1024
	ds_write_b32 v42, v17 offset:1024
	ds_write_b32 v43, v18 offset:1024
	s_waitcnt lgkmcnt(0)
	s_barrier
	ds_read2st64_b32 v[36:37], v6 offset0:16 offset1:32
	ds_read_b32 v29, v5 offset:1024
	s_addk_i32 s3, 0xf000
	s_cmpk_lg_i32 s3, 0xd000
	s_waitcnt lgkmcnt(1)
	v_lshrrev_b32_e32 v0, s20, v36
	v_and_b32_e32 v0, s21, v0
	v_lshlrev_b32_e32 v0, 2, v0
	v_lshrrev_b32_e32 v32, s20, v37
	ds_read_b32 v35, v0
	ds_read_b32 v42, v6 offset:12288
	s_waitcnt lgkmcnt(2)
	v_lshrrev_b32_e32 v0, s20, v29
	v_and_b32_e32 v32, s21, v32
	v_and_b32_e32 v0, s21, v0
	v_lshlrev_b32_e32 v32, 2, v32
	v_lshlrev_b32_e32 v0, 2, v0
	ds_read_b32 v0, v0
	ds_read_b32 v32, v32
	s_waitcnt lgkmcnt(2)
	v_lshrrev_b32_e32 v38, s20, v42
	v_and_b32_e32 v38, s21, v38
	v_lshlrev_b32_e32 v38, 2, v38
	s_waitcnt lgkmcnt(1)
	v_add_u32_e32 v0, v25, v0
	ds_read_b32 v43, v38
	v_lshlrev_b64 v[38:39], 2, v[0:1]
	v_add3_u32 v0, v25, v35, s2
	v_add_co_u32_e64 v38, s[0:1], s26, v38
	v_addc_co_u32_e64 v39, s[0:1], v21, v39, s[0:1]
	v_lshlrev_b64 v[40:41], 2, v[0:1]
	s_waitcnt lgkmcnt(1)
	v_add3_u32 v0, v25, v32, s4
	global_store_dword v[38:39], v29, off
	v_add_co_u32_e64 v38, s[0:1], s26, v40
	v_addc_co_u32_e64 v39, s[0:1], v21, v41, s[0:1]
	v_lshlrev_b64 v[40:41], 2, v[0:1]
	global_store_dword v[38:39], v36, off
	v_add_co_u32_e64 v38, s[0:1], s26, v40
	v_addc_co_u32_e64 v39, s[0:1], v21, v41, s[0:1]
	s_waitcnt lgkmcnt(0)
	v_add3_u32 v0, v25, v43, s5
	global_store_dword v[38:39], v37, off
	v_lshlrev_b64 v[36:37], 2, v[0:1]
	v_add_co_u32_e64 v36, s[0:1], s26, v36
	v_add_u32_e32 v25, 0x1000, v25
	v_addc_co_u32_e64 v37, s[0:1], v21, v37, s[0:1]
	global_store_dword v[36:37], v42, off
	s_barrier
	s_cbranch_scc1 .LBB1105_132
; %bb.133:
	s_add_i32 s22, s22, -1
	s_cmp_eq_u32 s22, s30
	s_cselect_b64 s[0:1], -1, 0
	s_and_b64 s[2:3], vcc, s[0:1]
                                        ; implicit-def: $vgpr3
	s_and_saveexec_b64 s[0:1], s[2:3]
; %bb.134:
	v_add_u32_e32 v3, v22, v24
	s_or_b64 s[10:11], s[10:11], exec
; %bb.135:
	s_or_b64 exec, exec, s[0:1]
.LBB1105_136:
	s_and_saveexec_b64 s[0:1], s[10:11]
	s_cbranch_execnz .LBB1105_138
; %bb.137:
	s_endpgm
.LBB1105_138:
	v_lshlrev_b32_e32 v0, 2, v2
	ds_read_b32 v1, v0
	s_waitcnt lgkmcnt(0)
	v_add_u32_e32 v1, v1, v3
	global_store_dword v0, v1, s[18:19]
	s_endpgm
	.section	.rodata,"a",@progbits
	.p2align	6, 0x0
	.amdhsa_kernel _ZN7rocprim17ROCPRIM_400000_NS6detail17trampoline_kernelINS0_14default_configENS1_35radix_sort_onesweep_config_selectorIjNS0_10empty_typeEEEZZNS1_29radix_sort_onesweep_iterationIS3_Lb0EN6thrust23THRUST_200600_302600_NS6detail15normal_iteratorINS9_10device_ptrIjEEEESE_PS5_SF_jNS0_19identity_decomposerENS1_16block_id_wrapperIjLb1EEEEE10hipError_tT1_PNSt15iterator_traitsISK_E10value_typeET2_T3_PNSL_ISQ_E10value_typeET4_T5_PSV_SW_PNS1_23onesweep_lookback_stateEbbT6_jjT7_P12ihipStream_tbENKUlT_T0_SK_SP_E_clISE_SE_SF_SF_EEDaS13_S14_SK_SP_EUlS13_E_NS1_11comp_targetILNS1_3genE4ELNS1_11target_archE910ELNS1_3gpuE8ELNS1_3repE0EEENS1_47radix_sort_onesweep_sort_config_static_selectorELNS0_4arch9wavefront6targetE1EEEvSK_
		.amdhsa_group_segment_fixed_size 20552
		.amdhsa_private_segment_fixed_size 0
		.amdhsa_kernarg_size 344
		.amdhsa_user_sgpr_count 6
		.amdhsa_user_sgpr_private_segment_buffer 1
		.amdhsa_user_sgpr_dispatch_ptr 0
		.amdhsa_user_sgpr_queue_ptr 0
		.amdhsa_user_sgpr_kernarg_segment_ptr 1
		.amdhsa_user_sgpr_dispatch_id 0
		.amdhsa_user_sgpr_flat_scratch_init 0
		.amdhsa_user_sgpr_kernarg_preload_length 0
		.amdhsa_user_sgpr_kernarg_preload_offset 0
		.amdhsa_user_sgpr_private_segment_size 0
		.amdhsa_uses_dynamic_stack 0
		.amdhsa_system_sgpr_private_segment_wavefront_offset 0
		.amdhsa_system_sgpr_workgroup_id_x 1
		.amdhsa_system_sgpr_workgroup_id_y 0
		.amdhsa_system_sgpr_workgroup_id_z 0
		.amdhsa_system_sgpr_workgroup_info 0
		.amdhsa_system_vgpr_workitem_id 2
		.amdhsa_next_free_vgpr 62
		.amdhsa_next_free_sgpr 35
		.amdhsa_accum_offset 64
		.amdhsa_reserve_vcc 1
		.amdhsa_reserve_flat_scratch 0
		.amdhsa_float_round_mode_32 0
		.amdhsa_float_round_mode_16_64 0
		.amdhsa_float_denorm_mode_32 3
		.amdhsa_float_denorm_mode_16_64 3
		.amdhsa_dx10_clamp 1
		.amdhsa_ieee_mode 1
		.amdhsa_fp16_overflow 0
		.amdhsa_tg_split 0
		.amdhsa_exception_fp_ieee_invalid_op 0
		.amdhsa_exception_fp_denorm_src 0
		.amdhsa_exception_fp_ieee_div_zero 0
		.amdhsa_exception_fp_ieee_overflow 0
		.amdhsa_exception_fp_ieee_underflow 0
		.amdhsa_exception_fp_ieee_inexact 0
		.amdhsa_exception_int_div_zero 0
	.end_amdhsa_kernel
	.section	.text._ZN7rocprim17ROCPRIM_400000_NS6detail17trampoline_kernelINS0_14default_configENS1_35radix_sort_onesweep_config_selectorIjNS0_10empty_typeEEEZZNS1_29radix_sort_onesweep_iterationIS3_Lb0EN6thrust23THRUST_200600_302600_NS6detail15normal_iteratorINS9_10device_ptrIjEEEESE_PS5_SF_jNS0_19identity_decomposerENS1_16block_id_wrapperIjLb1EEEEE10hipError_tT1_PNSt15iterator_traitsISK_E10value_typeET2_T3_PNSL_ISQ_E10value_typeET4_T5_PSV_SW_PNS1_23onesweep_lookback_stateEbbT6_jjT7_P12ihipStream_tbENKUlT_T0_SK_SP_E_clISE_SE_SF_SF_EEDaS13_S14_SK_SP_EUlS13_E_NS1_11comp_targetILNS1_3genE4ELNS1_11target_archE910ELNS1_3gpuE8ELNS1_3repE0EEENS1_47radix_sort_onesweep_sort_config_static_selectorELNS0_4arch9wavefront6targetE1EEEvSK_,"axG",@progbits,_ZN7rocprim17ROCPRIM_400000_NS6detail17trampoline_kernelINS0_14default_configENS1_35radix_sort_onesweep_config_selectorIjNS0_10empty_typeEEEZZNS1_29radix_sort_onesweep_iterationIS3_Lb0EN6thrust23THRUST_200600_302600_NS6detail15normal_iteratorINS9_10device_ptrIjEEEESE_PS5_SF_jNS0_19identity_decomposerENS1_16block_id_wrapperIjLb1EEEEE10hipError_tT1_PNSt15iterator_traitsISK_E10value_typeET2_T3_PNSL_ISQ_E10value_typeET4_T5_PSV_SW_PNS1_23onesweep_lookback_stateEbbT6_jjT7_P12ihipStream_tbENKUlT_T0_SK_SP_E_clISE_SE_SF_SF_EEDaS13_S14_SK_SP_EUlS13_E_NS1_11comp_targetILNS1_3genE4ELNS1_11target_archE910ELNS1_3gpuE8ELNS1_3repE0EEENS1_47radix_sort_onesweep_sort_config_static_selectorELNS0_4arch9wavefront6targetE1EEEvSK_,comdat
.Lfunc_end1105:
	.size	_ZN7rocprim17ROCPRIM_400000_NS6detail17trampoline_kernelINS0_14default_configENS1_35radix_sort_onesweep_config_selectorIjNS0_10empty_typeEEEZZNS1_29radix_sort_onesweep_iterationIS3_Lb0EN6thrust23THRUST_200600_302600_NS6detail15normal_iteratorINS9_10device_ptrIjEEEESE_PS5_SF_jNS0_19identity_decomposerENS1_16block_id_wrapperIjLb1EEEEE10hipError_tT1_PNSt15iterator_traitsISK_E10value_typeET2_T3_PNSL_ISQ_E10value_typeET4_T5_PSV_SW_PNS1_23onesweep_lookback_stateEbbT6_jjT7_P12ihipStream_tbENKUlT_T0_SK_SP_E_clISE_SE_SF_SF_EEDaS13_S14_SK_SP_EUlS13_E_NS1_11comp_targetILNS1_3genE4ELNS1_11target_archE910ELNS1_3gpuE8ELNS1_3repE0EEENS1_47radix_sort_onesweep_sort_config_static_selectorELNS0_4arch9wavefront6targetE1EEEvSK_, .Lfunc_end1105-_ZN7rocprim17ROCPRIM_400000_NS6detail17trampoline_kernelINS0_14default_configENS1_35radix_sort_onesweep_config_selectorIjNS0_10empty_typeEEEZZNS1_29radix_sort_onesweep_iterationIS3_Lb0EN6thrust23THRUST_200600_302600_NS6detail15normal_iteratorINS9_10device_ptrIjEEEESE_PS5_SF_jNS0_19identity_decomposerENS1_16block_id_wrapperIjLb1EEEEE10hipError_tT1_PNSt15iterator_traitsISK_E10value_typeET2_T3_PNSL_ISQ_E10value_typeET4_T5_PSV_SW_PNS1_23onesweep_lookback_stateEbbT6_jjT7_P12ihipStream_tbENKUlT_T0_SK_SP_E_clISE_SE_SF_SF_EEDaS13_S14_SK_SP_EUlS13_E_NS1_11comp_targetILNS1_3genE4ELNS1_11target_archE910ELNS1_3gpuE8ELNS1_3repE0EEENS1_47radix_sort_onesweep_sort_config_static_selectorELNS0_4arch9wavefront6targetE1EEEvSK_
                                        ; -- End function
	.section	.AMDGPU.csdata,"",@progbits
; Kernel info:
; codeLenInByte = 14040
; NumSgprs: 39
; NumVgprs: 62
; NumAgprs: 0
; TotalNumVgprs: 62
; ScratchSize: 0
; MemoryBound: 0
; FloatMode: 240
; IeeeMode: 1
; LDSByteSize: 20552 bytes/workgroup (compile time only)
; SGPRBlocks: 4
; VGPRBlocks: 7
; NumSGPRsForWavesPerEU: 39
; NumVGPRsForWavesPerEU: 62
; AccumOffset: 64
; Occupancy: 8
; WaveLimiterHint : 1
; COMPUTE_PGM_RSRC2:SCRATCH_EN: 0
; COMPUTE_PGM_RSRC2:USER_SGPR: 6
; COMPUTE_PGM_RSRC2:TRAP_HANDLER: 0
; COMPUTE_PGM_RSRC2:TGID_X_EN: 1
; COMPUTE_PGM_RSRC2:TGID_Y_EN: 0
; COMPUTE_PGM_RSRC2:TGID_Z_EN: 0
; COMPUTE_PGM_RSRC2:TIDIG_COMP_CNT: 2
; COMPUTE_PGM_RSRC3_GFX90A:ACCUM_OFFSET: 15
; COMPUTE_PGM_RSRC3_GFX90A:TG_SPLIT: 0
	.section	.text._ZN7rocprim17ROCPRIM_400000_NS6detail17trampoline_kernelINS0_14default_configENS1_35radix_sort_onesweep_config_selectorIjNS0_10empty_typeEEEZZNS1_29radix_sort_onesweep_iterationIS3_Lb0EN6thrust23THRUST_200600_302600_NS6detail15normal_iteratorINS9_10device_ptrIjEEEESE_PS5_SF_jNS0_19identity_decomposerENS1_16block_id_wrapperIjLb1EEEEE10hipError_tT1_PNSt15iterator_traitsISK_E10value_typeET2_T3_PNSL_ISQ_E10value_typeET4_T5_PSV_SW_PNS1_23onesweep_lookback_stateEbbT6_jjT7_P12ihipStream_tbENKUlT_T0_SK_SP_E_clISE_SE_SF_SF_EEDaS13_S14_SK_SP_EUlS13_E_NS1_11comp_targetILNS1_3genE3ELNS1_11target_archE908ELNS1_3gpuE7ELNS1_3repE0EEENS1_47radix_sort_onesweep_sort_config_static_selectorELNS0_4arch9wavefront6targetE1EEEvSK_,"axG",@progbits,_ZN7rocprim17ROCPRIM_400000_NS6detail17trampoline_kernelINS0_14default_configENS1_35radix_sort_onesweep_config_selectorIjNS0_10empty_typeEEEZZNS1_29radix_sort_onesweep_iterationIS3_Lb0EN6thrust23THRUST_200600_302600_NS6detail15normal_iteratorINS9_10device_ptrIjEEEESE_PS5_SF_jNS0_19identity_decomposerENS1_16block_id_wrapperIjLb1EEEEE10hipError_tT1_PNSt15iterator_traitsISK_E10value_typeET2_T3_PNSL_ISQ_E10value_typeET4_T5_PSV_SW_PNS1_23onesweep_lookback_stateEbbT6_jjT7_P12ihipStream_tbENKUlT_T0_SK_SP_E_clISE_SE_SF_SF_EEDaS13_S14_SK_SP_EUlS13_E_NS1_11comp_targetILNS1_3genE3ELNS1_11target_archE908ELNS1_3gpuE7ELNS1_3repE0EEENS1_47radix_sort_onesweep_sort_config_static_selectorELNS0_4arch9wavefront6targetE1EEEvSK_,comdat
	.protected	_ZN7rocprim17ROCPRIM_400000_NS6detail17trampoline_kernelINS0_14default_configENS1_35radix_sort_onesweep_config_selectorIjNS0_10empty_typeEEEZZNS1_29radix_sort_onesweep_iterationIS3_Lb0EN6thrust23THRUST_200600_302600_NS6detail15normal_iteratorINS9_10device_ptrIjEEEESE_PS5_SF_jNS0_19identity_decomposerENS1_16block_id_wrapperIjLb1EEEEE10hipError_tT1_PNSt15iterator_traitsISK_E10value_typeET2_T3_PNSL_ISQ_E10value_typeET4_T5_PSV_SW_PNS1_23onesweep_lookback_stateEbbT6_jjT7_P12ihipStream_tbENKUlT_T0_SK_SP_E_clISE_SE_SF_SF_EEDaS13_S14_SK_SP_EUlS13_E_NS1_11comp_targetILNS1_3genE3ELNS1_11target_archE908ELNS1_3gpuE7ELNS1_3repE0EEENS1_47radix_sort_onesweep_sort_config_static_selectorELNS0_4arch9wavefront6targetE1EEEvSK_ ; -- Begin function _ZN7rocprim17ROCPRIM_400000_NS6detail17trampoline_kernelINS0_14default_configENS1_35radix_sort_onesweep_config_selectorIjNS0_10empty_typeEEEZZNS1_29radix_sort_onesweep_iterationIS3_Lb0EN6thrust23THRUST_200600_302600_NS6detail15normal_iteratorINS9_10device_ptrIjEEEESE_PS5_SF_jNS0_19identity_decomposerENS1_16block_id_wrapperIjLb1EEEEE10hipError_tT1_PNSt15iterator_traitsISK_E10value_typeET2_T3_PNSL_ISQ_E10value_typeET4_T5_PSV_SW_PNS1_23onesweep_lookback_stateEbbT6_jjT7_P12ihipStream_tbENKUlT_T0_SK_SP_E_clISE_SE_SF_SF_EEDaS13_S14_SK_SP_EUlS13_E_NS1_11comp_targetILNS1_3genE3ELNS1_11target_archE908ELNS1_3gpuE7ELNS1_3repE0EEENS1_47radix_sort_onesweep_sort_config_static_selectorELNS0_4arch9wavefront6targetE1EEEvSK_
	.globl	_ZN7rocprim17ROCPRIM_400000_NS6detail17trampoline_kernelINS0_14default_configENS1_35radix_sort_onesweep_config_selectorIjNS0_10empty_typeEEEZZNS1_29radix_sort_onesweep_iterationIS3_Lb0EN6thrust23THRUST_200600_302600_NS6detail15normal_iteratorINS9_10device_ptrIjEEEESE_PS5_SF_jNS0_19identity_decomposerENS1_16block_id_wrapperIjLb1EEEEE10hipError_tT1_PNSt15iterator_traitsISK_E10value_typeET2_T3_PNSL_ISQ_E10value_typeET4_T5_PSV_SW_PNS1_23onesweep_lookback_stateEbbT6_jjT7_P12ihipStream_tbENKUlT_T0_SK_SP_E_clISE_SE_SF_SF_EEDaS13_S14_SK_SP_EUlS13_E_NS1_11comp_targetILNS1_3genE3ELNS1_11target_archE908ELNS1_3gpuE7ELNS1_3repE0EEENS1_47radix_sort_onesweep_sort_config_static_selectorELNS0_4arch9wavefront6targetE1EEEvSK_
	.p2align	8
	.type	_ZN7rocprim17ROCPRIM_400000_NS6detail17trampoline_kernelINS0_14default_configENS1_35radix_sort_onesweep_config_selectorIjNS0_10empty_typeEEEZZNS1_29radix_sort_onesweep_iterationIS3_Lb0EN6thrust23THRUST_200600_302600_NS6detail15normal_iteratorINS9_10device_ptrIjEEEESE_PS5_SF_jNS0_19identity_decomposerENS1_16block_id_wrapperIjLb1EEEEE10hipError_tT1_PNSt15iterator_traitsISK_E10value_typeET2_T3_PNSL_ISQ_E10value_typeET4_T5_PSV_SW_PNS1_23onesweep_lookback_stateEbbT6_jjT7_P12ihipStream_tbENKUlT_T0_SK_SP_E_clISE_SE_SF_SF_EEDaS13_S14_SK_SP_EUlS13_E_NS1_11comp_targetILNS1_3genE3ELNS1_11target_archE908ELNS1_3gpuE7ELNS1_3repE0EEENS1_47radix_sort_onesweep_sort_config_static_selectorELNS0_4arch9wavefront6targetE1EEEvSK_,@function
_ZN7rocprim17ROCPRIM_400000_NS6detail17trampoline_kernelINS0_14default_configENS1_35radix_sort_onesweep_config_selectorIjNS0_10empty_typeEEEZZNS1_29radix_sort_onesweep_iterationIS3_Lb0EN6thrust23THRUST_200600_302600_NS6detail15normal_iteratorINS9_10device_ptrIjEEEESE_PS5_SF_jNS0_19identity_decomposerENS1_16block_id_wrapperIjLb1EEEEE10hipError_tT1_PNSt15iterator_traitsISK_E10value_typeET2_T3_PNSL_ISQ_E10value_typeET4_T5_PSV_SW_PNS1_23onesweep_lookback_stateEbbT6_jjT7_P12ihipStream_tbENKUlT_T0_SK_SP_E_clISE_SE_SF_SF_EEDaS13_S14_SK_SP_EUlS13_E_NS1_11comp_targetILNS1_3genE3ELNS1_11target_archE908ELNS1_3gpuE7ELNS1_3repE0EEENS1_47radix_sort_onesweep_sort_config_static_selectorELNS0_4arch9wavefront6targetE1EEEvSK_: ; @_ZN7rocprim17ROCPRIM_400000_NS6detail17trampoline_kernelINS0_14default_configENS1_35radix_sort_onesweep_config_selectorIjNS0_10empty_typeEEEZZNS1_29radix_sort_onesweep_iterationIS3_Lb0EN6thrust23THRUST_200600_302600_NS6detail15normal_iteratorINS9_10device_ptrIjEEEESE_PS5_SF_jNS0_19identity_decomposerENS1_16block_id_wrapperIjLb1EEEEE10hipError_tT1_PNSt15iterator_traitsISK_E10value_typeET2_T3_PNSL_ISQ_E10value_typeET4_T5_PSV_SW_PNS1_23onesweep_lookback_stateEbbT6_jjT7_P12ihipStream_tbENKUlT_T0_SK_SP_E_clISE_SE_SF_SF_EEDaS13_S14_SK_SP_EUlS13_E_NS1_11comp_targetILNS1_3genE3ELNS1_11target_archE908ELNS1_3gpuE7ELNS1_3repE0EEENS1_47radix_sort_onesweep_sort_config_static_selectorELNS0_4arch9wavefront6targetE1EEEvSK_
; %bb.0:
	.section	.rodata,"a",@progbits
	.p2align	6, 0x0
	.amdhsa_kernel _ZN7rocprim17ROCPRIM_400000_NS6detail17trampoline_kernelINS0_14default_configENS1_35radix_sort_onesweep_config_selectorIjNS0_10empty_typeEEEZZNS1_29radix_sort_onesweep_iterationIS3_Lb0EN6thrust23THRUST_200600_302600_NS6detail15normal_iteratorINS9_10device_ptrIjEEEESE_PS5_SF_jNS0_19identity_decomposerENS1_16block_id_wrapperIjLb1EEEEE10hipError_tT1_PNSt15iterator_traitsISK_E10value_typeET2_T3_PNSL_ISQ_E10value_typeET4_T5_PSV_SW_PNS1_23onesweep_lookback_stateEbbT6_jjT7_P12ihipStream_tbENKUlT_T0_SK_SP_E_clISE_SE_SF_SF_EEDaS13_S14_SK_SP_EUlS13_E_NS1_11comp_targetILNS1_3genE3ELNS1_11target_archE908ELNS1_3gpuE7ELNS1_3repE0EEENS1_47radix_sort_onesweep_sort_config_static_selectorELNS0_4arch9wavefront6targetE1EEEvSK_
		.amdhsa_group_segment_fixed_size 0
		.amdhsa_private_segment_fixed_size 0
		.amdhsa_kernarg_size 88
		.amdhsa_user_sgpr_count 6
		.amdhsa_user_sgpr_private_segment_buffer 1
		.amdhsa_user_sgpr_dispatch_ptr 0
		.amdhsa_user_sgpr_queue_ptr 0
		.amdhsa_user_sgpr_kernarg_segment_ptr 1
		.amdhsa_user_sgpr_dispatch_id 0
		.amdhsa_user_sgpr_flat_scratch_init 0
		.amdhsa_user_sgpr_kernarg_preload_length 0
		.amdhsa_user_sgpr_kernarg_preload_offset 0
		.amdhsa_user_sgpr_private_segment_size 0
		.amdhsa_uses_dynamic_stack 0
		.amdhsa_system_sgpr_private_segment_wavefront_offset 0
		.amdhsa_system_sgpr_workgroup_id_x 1
		.amdhsa_system_sgpr_workgroup_id_y 0
		.amdhsa_system_sgpr_workgroup_id_z 0
		.amdhsa_system_sgpr_workgroup_info 0
		.amdhsa_system_vgpr_workitem_id 0
		.amdhsa_next_free_vgpr 1
		.amdhsa_next_free_sgpr 0
		.amdhsa_accum_offset 4
		.amdhsa_reserve_vcc 0
		.amdhsa_reserve_flat_scratch 0
		.amdhsa_float_round_mode_32 0
		.amdhsa_float_round_mode_16_64 0
		.amdhsa_float_denorm_mode_32 3
		.amdhsa_float_denorm_mode_16_64 3
		.amdhsa_dx10_clamp 1
		.amdhsa_ieee_mode 1
		.amdhsa_fp16_overflow 0
		.amdhsa_tg_split 0
		.amdhsa_exception_fp_ieee_invalid_op 0
		.amdhsa_exception_fp_denorm_src 0
		.amdhsa_exception_fp_ieee_div_zero 0
		.amdhsa_exception_fp_ieee_overflow 0
		.amdhsa_exception_fp_ieee_underflow 0
		.amdhsa_exception_fp_ieee_inexact 0
		.amdhsa_exception_int_div_zero 0
	.end_amdhsa_kernel
	.section	.text._ZN7rocprim17ROCPRIM_400000_NS6detail17trampoline_kernelINS0_14default_configENS1_35radix_sort_onesweep_config_selectorIjNS0_10empty_typeEEEZZNS1_29radix_sort_onesweep_iterationIS3_Lb0EN6thrust23THRUST_200600_302600_NS6detail15normal_iteratorINS9_10device_ptrIjEEEESE_PS5_SF_jNS0_19identity_decomposerENS1_16block_id_wrapperIjLb1EEEEE10hipError_tT1_PNSt15iterator_traitsISK_E10value_typeET2_T3_PNSL_ISQ_E10value_typeET4_T5_PSV_SW_PNS1_23onesweep_lookback_stateEbbT6_jjT7_P12ihipStream_tbENKUlT_T0_SK_SP_E_clISE_SE_SF_SF_EEDaS13_S14_SK_SP_EUlS13_E_NS1_11comp_targetILNS1_3genE3ELNS1_11target_archE908ELNS1_3gpuE7ELNS1_3repE0EEENS1_47radix_sort_onesweep_sort_config_static_selectorELNS0_4arch9wavefront6targetE1EEEvSK_,"axG",@progbits,_ZN7rocprim17ROCPRIM_400000_NS6detail17trampoline_kernelINS0_14default_configENS1_35radix_sort_onesweep_config_selectorIjNS0_10empty_typeEEEZZNS1_29radix_sort_onesweep_iterationIS3_Lb0EN6thrust23THRUST_200600_302600_NS6detail15normal_iteratorINS9_10device_ptrIjEEEESE_PS5_SF_jNS0_19identity_decomposerENS1_16block_id_wrapperIjLb1EEEEE10hipError_tT1_PNSt15iterator_traitsISK_E10value_typeET2_T3_PNSL_ISQ_E10value_typeET4_T5_PSV_SW_PNS1_23onesweep_lookback_stateEbbT6_jjT7_P12ihipStream_tbENKUlT_T0_SK_SP_E_clISE_SE_SF_SF_EEDaS13_S14_SK_SP_EUlS13_E_NS1_11comp_targetILNS1_3genE3ELNS1_11target_archE908ELNS1_3gpuE7ELNS1_3repE0EEENS1_47radix_sort_onesweep_sort_config_static_selectorELNS0_4arch9wavefront6targetE1EEEvSK_,comdat
.Lfunc_end1106:
	.size	_ZN7rocprim17ROCPRIM_400000_NS6detail17trampoline_kernelINS0_14default_configENS1_35radix_sort_onesweep_config_selectorIjNS0_10empty_typeEEEZZNS1_29radix_sort_onesweep_iterationIS3_Lb0EN6thrust23THRUST_200600_302600_NS6detail15normal_iteratorINS9_10device_ptrIjEEEESE_PS5_SF_jNS0_19identity_decomposerENS1_16block_id_wrapperIjLb1EEEEE10hipError_tT1_PNSt15iterator_traitsISK_E10value_typeET2_T3_PNSL_ISQ_E10value_typeET4_T5_PSV_SW_PNS1_23onesweep_lookback_stateEbbT6_jjT7_P12ihipStream_tbENKUlT_T0_SK_SP_E_clISE_SE_SF_SF_EEDaS13_S14_SK_SP_EUlS13_E_NS1_11comp_targetILNS1_3genE3ELNS1_11target_archE908ELNS1_3gpuE7ELNS1_3repE0EEENS1_47radix_sort_onesweep_sort_config_static_selectorELNS0_4arch9wavefront6targetE1EEEvSK_, .Lfunc_end1106-_ZN7rocprim17ROCPRIM_400000_NS6detail17trampoline_kernelINS0_14default_configENS1_35radix_sort_onesweep_config_selectorIjNS0_10empty_typeEEEZZNS1_29radix_sort_onesweep_iterationIS3_Lb0EN6thrust23THRUST_200600_302600_NS6detail15normal_iteratorINS9_10device_ptrIjEEEESE_PS5_SF_jNS0_19identity_decomposerENS1_16block_id_wrapperIjLb1EEEEE10hipError_tT1_PNSt15iterator_traitsISK_E10value_typeET2_T3_PNSL_ISQ_E10value_typeET4_T5_PSV_SW_PNS1_23onesweep_lookback_stateEbbT6_jjT7_P12ihipStream_tbENKUlT_T0_SK_SP_E_clISE_SE_SF_SF_EEDaS13_S14_SK_SP_EUlS13_E_NS1_11comp_targetILNS1_3genE3ELNS1_11target_archE908ELNS1_3gpuE7ELNS1_3repE0EEENS1_47radix_sort_onesweep_sort_config_static_selectorELNS0_4arch9wavefront6targetE1EEEvSK_
                                        ; -- End function
	.section	.AMDGPU.csdata,"",@progbits
; Kernel info:
; codeLenInByte = 0
; NumSgprs: 4
; NumVgprs: 0
; NumAgprs: 0
; TotalNumVgprs: 0
; ScratchSize: 0
; MemoryBound: 0
; FloatMode: 240
; IeeeMode: 1
; LDSByteSize: 0 bytes/workgroup (compile time only)
; SGPRBlocks: 0
; VGPRBlocks: 0
; NumSGPRsForWavesPerEU: 4
; NumVGPRsForWavesPerEU: 1
; AccumOffset: 4
; Occupancy: 8
; WaveLimiterHint : 0
; COMPUTE_PGM_RSRC2:SCRATCH_EN: 0
; COMPUTE_PGM_RSRC2:USER_SGPR: 6
; COMPUTE_PGM_RSRC2:TRAP_HANDLER: 0
; COMPUTE_PGM_RSRC2:TGID_X_EN: 1
; COMPUTE_PGM_RSRC2:TGID_Y_EN: 0
; COMPUTE_PGM_RSRC2:TGID_Z_EN: 0
; COMPUTE_PGM_RSRC2:TIDIG_COMP_CNT: 0
; COMPUTE_PGM_RSRC3_GFX90A:ACCUM_OFFSET: 0
; COMPUTE_PGM_RSRC3_GFX90A:TG_SPLIT: 0
	.section	.text._ZN7rocprim17ROCPRIM_400000_NS6detail17trampoline_kernelINS0_14default_configENS1_35radix_sort_onesweep_config_selectorIjNS0_10empty_typeEEEZZNS1_29radix_sort_onesweep_iterationIS3_Lb0EN6thrust23THRUST_200600_302600_NS6detail15normal_iteratorINS9_10device_ptrIjEEEESE_PS5_SF_jNS0_19identity_decomposerENS1_16block_id_wrapperIjLb1EEEEE10hipError_tT1_PNSt15iterator_traitsISK_E10value_typeET2_T3_PNSL_ISQ_E10value_typeET4_T5_PSV_SW_PNS1_23onesweep_lookback_stateEbbT6_jjT7_P12ihipStream_tbENKUlT_T0_SK_SP_E_clISE_SE_SF_SF_EEDaS13_S14_SK_SP_EUlS13_E_NS1_11comp_targetILNS1_3genE10ELNS1_11target_archE1201ELNS1_3gpuE5ELNS1_3repE0EEENS1_47radix_sort_onesweep_sort_config_static_selectorELNS0_4arch9wavefront6targetE1EEEvSK_,"axG",@progbits,_ZN7rocprim17ROCPRIM_400000_NS6detail17trampoline_kernelINS0_14default_configENS1_35radix_sort_onesweep_config_selectorIjNS0_10empty_typeEEEZZNS1_29radix_sort_onesweep_iterationIS3_Lb0EN6thrust23THRUST_200600_302600_NS6detail15normal_iteratorINS9_10device_ptrIjEEEESE_PS5_SF_jNS0_19identity_decomposerENS1_16block_id_wrapperIjLb1EEEEE10hipError_tT1_PNSt15iterator_traitsISK_E10value_typeET2_T3_PNSL_ISQ_E10value_typeET4_T5_PSV_SW_PNS1_23onesweep_lookback_stateEbbT6_jjT7_P12ihipStream_tbENKUlT_T0_SK_SP_E_clISE_SE_SF_SF_EEDaS13_S14_SK_SP_EUlS13_E_NS1_11comp_targetILNS1_3genE10ELNS1_11target_archE1201ELNS1_3gpuE5ELNS1_3repE0EEENS1_47radix_sort_onesweep_sort_config_static_selectorELNS0_4arch9wavefront6targetE1EEEvSK_,comdat
	.protected	_ZN7rocprim17ROCPRIM_400000_NS6detail17trampoline_kernelINS0_14default_configENS1_35radix_sort_onesweep_config_selectorIjNS0_10empty_typeEEEZZNS1_29radix_sort_onesweep_iterationIS3_Lb0EN6thrust23THRUST_200600_302600_NS6detail15normal_iteratorINS9_10device_ptrIjEEEESE_PS5_SF_jNS0_19identity_decomposerENS1_16block_id_wrapperIjLb1EEEEE10hipError_tT1_PNSt15iterator_traitsISK_E10value_typeET2_T3_PNSL_ISQ_E10value_typeET4_T5_PSV_SW_PNS1_23onesweep_lookback_stateEbbT6_jjT7_P12ihipStream_tbENKUlT_T0_SK_SP_E_clISE_SE_SF_SF_EEDaS13_S14_SK_SP_EUlS13_E_NS1_11comp_targetILNS1_3genE10ELNS1_11target_archE1201ELNS1_3gpuE5ELNS1_3repE0EEENS1_47radix_sort_onesweep_sort_config_static_selectorELNS0_4arch9wavefront6targetE1EEEvSK_ ; -- Begin function _ZN7rocprim17ROCPRIM_400000_NS6detail17trampoline_kernelINS0_14default_configENS1_35radix_sort_onesweep_config_selectorIjNS0_10empty_typeEEEZZNS1_29radix_sort_onesweep_iterationIS3_Lb0EN6thrust23THRUST_200600_302600_NS6detail15normal_iteratorINS9_10device_ptrIjEEEESE_PS5_SF_jNS0_19identity_decomposerENS1_16block_id_wrapperIjLb1EEEEE10hipError_tT1_PNSt15iterator_traitsISK_E10value_typeET2_T3_PNSL_ISQ_E10value_typeET4_T5_PSV_SW_PNS1_23onesweep_lookback_stateEbbT6_jjT7_P12ihipStream_tbENKUlT_T0_SK_SP_E_clISE_SE_SF_SF_EEDaS13_S14_SK_SP_EUlS13_E_NS1_11comp_targetILNS1_3genE10ELNS1_11target_archE1201ELNS1_3gpuE5ELNS1_3repE0EEENS1_47radix_sort_onesweep_sort_config_static_selectorELNS0_4arch9wavefront6targetE1EEEvSK_
	.globl	_ZN7rocprim17ROCPRIM_400000_NS6detail17trampoline_kernelINS0_14default_configENS1_35radix_sort_onesweep_config_selectorIjNS0_10empty_typeEEEZZNS1_29radix_sort_onesweep_iterationIS3_Lb0EN6thrust23THRUST_200600_302600_NS6detail15normal_iteratorINS9_10device_ptrIjEEEESE_PS5_SF_jNS0_19identity_decomposerENS1_16block_id_wrapperIjLb1EEEEE10hipError_tT1_PNSt15iterator_traitsISK_E10value_typeET2_T3_PNSL_ISQ_E10value_typeET4_T5_PSV_SW_PNS1_23onesweep_lookback_stateEbbT6_jjT7_P12ihipStream_tbENKUlT_T0_SK_SP_E_clISE_SE_SF_SF_EEDaS13_S14_SK_SP_EUlS13_E_NS1_11comp_targetILNS1_3genE10ELNS1_11target_archE1201ELNS1_3gpuE5ELNS1_3repE0EEENS1_47radix_sort_onesweep_sort_config_static_selectorELNS0_4arch9wavefront6targetE1EEEvSK_
	.p2align	8
	.type	_ZN7rocprim17ROCPRIM_400000_NS6detail17trampoline_kernelINS0_14default_configENS1_35radix_sort_onesweep_config_selectorIjNS0_10empty_typeEEEZZNS1_29radix_sort_onesweep_iterationIS3_Lb0EN6thrust23THRUST_200600_302600_NS6detail15normal_iteratorINS9_10device_ptrIjEEEESE_PS5_SF_jNS0_19identity_decomposerENS1_16block_id_wrapperIjLb1EEEEE10hipError_tT1_PNSt15iterator_traitsISK_E10value_typeET2_T3_PNSL_ISQ_E10value_typeET4_T5_PSV_SW_PNS1_23onesweep_lookback_stateEbbT6_jjT7_P12ihipStream_tbENKUlT_T0_SK_SP_E_clISE_SE_SF_SF_EEDaS13_S14_SK_SP_EUlS13_E_NS1_11comp_targetILNS1_3genE10ELNS1_11target_archE1201ELNS1_3gpuE5ELNS1_3repE0EEENS1_47radix_sort_onesweep_sort_config_static_selectorELNS0_4arch9wavefront6targetE1EEEvSK_,@function
_ZN7rocprim17ROCPRIM_400000_NS6detail17trampoline_kernelINS0_14default_configENS1_35radix_sort_onesweep_config_selectorIjNS0_10empty_typeEEEZZNS1_29radix_sort_onesweep_iterationIS3_Lb0EN6thrust23THRUST_200600_302600_NS6detail15normal_iteratorINS9_10device_ptrIjEEEESE_PS5_SF_jNS0_19identity_decomposerENS1_16block_id_wrapperIjLb1EEEEE10hipError_tT1_PNSt15iterator_traitsISK_E10value_typeET2_T3_PNSL_ISQ_E10value_typeET4_T5_PSV_SW_PNS1_23onesweep_lookback_stateEbbT6_jjT7_P12ihipStream_tbENKUlT_T0_SK_SP_E_clISE_SE_SF_SF_EEDaS13_S14_SK_SP_EUlS13_E_NS1_11comp_targetILNS1_3genE10ELNS1_11target_archE1201ELNS1_3gpuE5ELNS1_3repE0EEENS1_47radix_sort_onesweep_sort_config_static_selectorELNS0_4arch9wavefront6targetE1EEEvSK_: ; @_ZN7rocprim17ROCPRIM_400000_NS6detail17trampoline_kernelINS0_14default_configENS1_35radix_sort_onesweep_config_selectorIjNS0_10empty_typeEEEZZNS1_29radix_sort_onesweep_iterationIS3_Lb0EN6thrust23THRUST_200600_302600_NS6detail15normal_iteratorINS9_10device_ptrIjEEEESE_PS5_SF_jNS0_19identity_decomposerENS1_16block_id_wrapperIjLb1EEEEE10hipError_tT1_PNSt15iterator_traitsISK_E10value_typeET2_T3_PNSL_ISQ_E10value_typeET4_T5_PSV_SW_PNS1_23onesweep_lookback_stateEbbT6_jjT7_P12ihipStream_tbENKUlT_T0_SK_SP_E_clISE_SE_SF_SF_EEDaS13_S14_SK_SP_EUlS13_E_NS1_11comp_targetILNS1_3genE10ELNS1_11target_archE1201ELNS1_3gpuE5ELNS1_3repE0EEENS1_47radix_sort_onesweep_sort_config_static_selectorELNS0_4arch9wavefront6targetE1EEEvSK_
; %bb.0:
	.section	.rodata,"a",@progbits
	.p2align	6, 0x0
	.amdhsa_kernel _ZN7rocprim17ROCPRIM_400000_NS6detail17trampoline_kernelINS0_14default_configENS1_35radix_sort_onesweep_config_selectorIjNS0_10empty_typeEEEZZNS1_29radix_sort_onesweep_iterationIS3_Lb0EN6thrust23THRUST_200600_302600_NS6detail15normal_iteratorINS9_10device_ptrIjEEEESE_PS5_SF_jNS0_19identity_decomposerENS1_16block_id_wrapperIjLb1EEEEE10hipError_tT1_PNSt15iterator_traitsISK_E10value_typeET2_T3_PNSL_ISQ_E10value_typeET4_T5_PSV_SW_PNS1_23onesweep_lookback_stateEbbT6_jjT7_P12ihipStream_tbENKUlT_T0_SK_SP_E_clISE_SE_SF_SF_EEDaS13_S14_SK_SP_EUlS13_E_NS1_11comp_targetILNS1_3genE10ELNS1_11target_archE1201ELNS1_3gpuE5ELNS1_3repE0EEENS1_47radix_sort_onesweep_sort_config_static_selectorELNS0_4arch9wavefront6targetE1EEEvSK_
		.amdhsa_group_segment_fixed_size 0
		.amdhsa_private_segment_fixed_size 0
		.amdhsa_kernarg_size 88
		.amdhsa_user_sgpr_count 6
		.amdhsa_user_sgpr_private_segment_buffer 1
		.amdhsa_user_sgpr_dispatch_ptr 0
		.amdhsa_user_sgpr_queue_ptr 0
		.amdhsa_user_sgpr_kernarg_segment_ptr 1
		.amdhsa_user_sgpr_dispatch_id 0
		.amdhsa_user_sgpr_flat_scratch_init 0
		.amdhsa_user_sgpr_kernarg_preload_length 0
		.amdhsa_user_sgpr_kernarg_preload_offset 0
		.amdhsa_user_sgpr_private_segment_size 0
		.amdhsa_uses_dynamic_stack 0
		.amdhsa_system_sgpr_private_segment_wavefront_offset 0
		.amdhsa_system_sgpr_workgroup_id_x 1
		.amdhsa_system_sgpr_workgroup_id_y 0
		.amdhsa_system_sgpr_workgroup_id_z 0
		.amdhsa_system_sgpr_workgroup_info 0
		.amdhsa_system_vgpr_workitem_id 0
		.amdhsa_next_free_vgpr 1
		.amdhsa_next_free_sgpr 0
		.amdhsa_accum_offset 4
		.amdhsa_reserve_vcc 0
		.amdhsa_reserve_flat_scratch 0
		.amdhsa_float_round_mode_32 0
		.amdhsa_float_round_mode_16_64 0
		.amdhsa_float_denorm_mode_32 3
		.amdhsa_float_denorm_mode_16_64 3
		.amdhsa_dx10_clamp 1
		.amdhsa_ieee_mode 1
		.amdhsa_fp16_overflow 0
		.amdhsa_tg_split 0
		.amdhsa_exception_fp_ieee_invalid_op 0
		.amdhsa_exception_fp_denorm_src 0
		.amdhsa_exception_fp_ieee_div_zero 0
		.amdhsa_exception_fp_ieee_overflow 0
		.amdhsa_exception_fp_ieee_underflow 0
		.amdhsa_exception_fp_ieee_inexact 0
		.amdhsa_exception_int_div_zero 0
	.end_amdhsa_kernel
	.section	.text._ZN7rocprim17ROCPRIM_400000_NS6detail17trampoline_kernelINS0_14default_configENS1_35radix_sort_onesweep_config_selectorIjNS0_10empty_typeEEEZZNS1_29radix_sort_onesweep_iterationIS3_Lb0EN6thrust23THRUST_200600_302600_NS6detail15normal_iteratorINS9_10device_ptrIjEEEESE_PS5_SF_jNS0_19identity_decomposerENS1_16block_id_wrapperIjLb1EEEEE10hipError_tT1_PNSt15iterator_traitsISK_E10value_typeET2_T3_PNSL_ISQ_E10value_typeET4_T5_PSV_SW_PNS1_23onesweep_lookback_stateEbbT6_jjT7_P12ihipStream_tbENKUlT_T0_SK_SP_E_clISE_SE_SF_SF_EEDaS13_S14_SK_SP_EUlS13_E_NS1_11comp_targetILNS1_3genE10ELNS1_11target_archE1201ELNS1_3gpuE5ELNS1_3repE0EEENS1_47radix_sort_onesweep_sort_config_static_selectorELNS0_4arch9wavefront6targetE1EEEvSK_,"axG",@progbits,_ZN7rocprim17ROCPRIM_400000_NS6detail17trampoline_kernelINS0_14default_configENS1_35radix_sort_onesweep_config_selectorIjNS0_10empty_typeEEEZZNS1_29radix_sort_onesweep_iterationIS3_Lb0EN6thrust23THRUST_200600_302600_NS6detail15normal_iteratorINS9_10device_ptrIjEEEESE_PS5_SF_jNS0_19identity_decomposerENS1_16block_id_wrapperIjLb1EEEEE10hipError_tT1_PNSt15iterator_traitsISK_E10value_typeET2_T3_PNSL_ISQ_E10value_typeET4_T5_PSV_SW_PNS1_23onesweep_lookback_stateEbbT6_jjT7_P12ihipStream_tbENKUlT_T0_SK_SP_E_clISE_SE_SF_SF_EEDaS13_S14_SK_SP_EUlS13_E_NS1_11comp_targetILNS1_3genE10ELNS1_11target_archE1201ELNS1_3gpuE5ELNS1_3repE0EEENS1_47radix_sort_onesweep_sort_config_static_selectorELNS0_4arch9wavefront6targetE1EEEvSK_,comdat
.Lfunc_end1107:
	.size	_ZN7rocprim17ROCPRIM_400000_NS6detail17trampoline_kernelINS0_14default_configENS1_35radix_sort_onesweep_config_selectorIjNS0_10empty_typeEEEZZNS1_29radix_sort_onesweep_iterationIS3_Lb0EN6thrust23THRUST_200600_302600_NS6detail15normal_iteratorINS9_10device_ptrIjEEEESE_PS5_SF_jNS0_19identity_decomposerENS1_16block_id_wrapperIjLb1EEEEE10hipError_tT1_PNSt15iterator_traitsISK_E10value_typeET2_T3_PNSL_ISQ_E10value_typeET4_T5_PSV_SW_PNS1_23onesweep_lookback_stateEbbT6_jjT7_P12ihipStream_tbENKUlT_T0_SK_SP_E_clISE_SE_SF_SF_EEDaS13_S14_SK_SP_EUlS13_E_NS1_11comp_targetILNS1_3genE10ELNS1_11target_archE1201ELNS1_3gpuE5ELNS1_3repE0EEENS1_47radix_sort_onesweep_sort_config_static_selectorELNS0_4arch9wavefront6targetE1EEEvSK_, .Lfunc_end1107-_ZN7rocprim17ROCPRIM_400000_NS6detail17trampoline_kernelINS0_14default_configENS1_35radix_sort_onesweep_config_selectorIjNS0_10empty_typeEEEZZNS1_29radix_sort_onesweep_iterationIS3_Lb0EN6thrust23THRUST_200600_302600_NS6detail15normal_iteratorINS9_10device_ptrIjEEEESE_PS5_SF_jNS0_19identity_decomposerENS1_16block_id_wrapperIjLb1EEEEE10hipError_tT1_PNSt15iterator_traitsISK_E10value_typeET2_T3_PNSL_ISQ_E10value_typeET4_T5_PSV_SW_PNS1_23onesweep_lookback_stateEbbT6_jjT7_P12ihipStream_tbENKUlT_T0_SK_SP_E_clISE_SE_SF_SF_EEDaS13_S14_SK_SP_EUlS13_E_NS1_11comp_targetILNS1_3genE10ELNS1_11target_archE1201ELNS1_3gpuE5ELNS1_3repE0EEENS1_47radix_sort_onesweep_sort_config_static_selectorELNS0_4arch9wavefront6targetE1EEEvSK_
                                        ; -- End function
	.section	.AMDGPU.csdata,"",@progbits
; Kernel info:
; codeLenInByte = 0
; NumSgprs: 4
; NumVgprs: 0
; NumAgprs: 0
; TotalNumVgprs: 0
; ScratchSize: 0
; MemoryBound: 0
; FloatMode: 240
; IeeeMode: 1
; LDSByteSize: 0 bytes/workgroup (compile time only)
; SGPRBlocks: 0
; VGPRBlocks: 0
; NumSGPRsForWavesPerEU: 4
; NumVGPRsForWavesPerEU: 1
; AccumOffset: 4
; Occupancy: 8
; WaveLimiterHint : 0
; COMPUTE_PGM_RSRC2:SCRATCH_EN: 0
; COMPUTE_PGM_RSRC2:USER_SGPR: 6
; COMPUTE_PGM_RSRC2:TRAP_HANDLER: 0
; COMPUTE_PGM_RSRC2:TGID_X_EN: 1
; COMPUTE_PGM_RSRC2:TGID_Y_EN: 0
; COMPUTE_PGM_RSRC2:TGID_Z_EN: 0
; COMPUTE_PGM_RSRC2:TIDIG_COMP_CNT: 0
; COMPUTE_PGM_RSRC3_GFX90A:ACCUM_OFFSET: 0
; COMPUTE_PGM_RSRC3_GFX90A:TG_SPLIT: 0
	.section	.text._ZN7rocprim17ROCPRIM_400000_NS6detail17trampoline_kernelINS0_14default_configENS1_35radix_sort_onesweep_config_selectorIjNS0_10empty_typeEEEZZNS1_29radix_sort_onesweep_iterationIS3_Lb0EN6thrust23THRUST_200600_302600_NS6detail15normal_iteratorINS9_10device_ptrIjEEEESE_PS5_SF_jNS0_19identity_decomposerENS1_16block_id_wrapperIjLb1EEEEE10hipError_tT1_PNSt15iterator_traitsISK_E10value_typeET2_T3_PNSL_ISQ_E10value_typeET4_T5_PSV_SW_PNS1_23onesweep_lookback_stateEbbT6_jjT7_P12ihipStream_tbENKUlT_T0_SK_SP_E_clISE_SE_SF_SF_EEDaS13_S14_SK_SP_EUlS13_E_NS1_11comp_targetILNS1_3genE9ELNS1_11target_archE1100ELNS1_3gpuE3ELNS1_3repE0EEENS1_47radix_sort_onesweep_sort_config_static_selectorELNS0_4arch9wavefront6targetE1EEEvSK_,"axG",@progbits,_ZN7rocprim17ROCPRIM_400000_NS6detail17trampoline_kernelINS0_14default_configENS1_35radix_sort_onesweep_config_selectorIjNS0_10empty_typeEEEZZNS1_29radix_sort_onesweep_iterationIS3_Lb0EN6thrust23THRUST_200600_302600_NS6detail15normal_iteratorINS9_10device_ptrIjEEEESE_PS5_SF_jNS0_19identity_decomposerENS1_16block_id_wrapperIjLb1EEEEE10hipError_tT1_PNSt15iterator_traitsISK_E10value_typeET2_T3_PNSL_ISQ_E10value_typeET4_T5_PSV_SW_PNS1_23onesweep_lookback_stateEbbT6_jjT7_P12ihipStream_tbENKUlT_T0_SK_SP_E_clISE_SE_SF_SF_EEDaS13_S14_SK_SP_EUlS13_E_NS1_11comp_targetILNS1_3genE9ELNS1_11target_archE1100ELNS1_3gpuE3ELNS1_3repE0EEENS1_47radix_sort_onesweep_sort_config_static_selectorELNS0_4arch9wavefront6targetE1EEEvSK_,comdat
	.protected	_ZN7rocprim17ROCPRIM_400000_NS6detail17trampoline_kernelINS0_14default_configENS1_35radix_sort_onesweep_config_selectorIjNS0_10empty_typeEEEZZNS1_29radix_sort_onesweep_iterationIS3_Lb0EN6thrust23THRUST_200600_302600_NS6detail15normal_iteratorINS9_10device_ptrIjEEEESE_PS5_SF_jNS0_19identity_decomposerENS1_16block_id_wrapperIjLb1EEEEE10hipError_tT1_PNSt15iterator_traitsISK_E10value_typeET2_T3_PNSL_ISQ_E10value_typeET4_T5_PSV_SW_PNS1_23onesweep_lookback_stateEbbT6_jjT7_P12ihipStream_tbENKUlT_T0_SK_SP_E_clISE_SE_SF_SF_EEDaS13_S14_SK_SP_EUlS13_E_NS1_11comp_targetILNS1_3genE9ELNS1_11target_archE1100ELNS1_3gpuE3ELNS1_3repE0EEENS1_47radix_sort_onesweep_sort_config_static_selectorELNS0_4arch9wavefront6targetE1EEEvSK_ ; -- Begin function _ZN7rocprim17ROCPRIM_400000_NS6detail17trampoline_kernelINS0_14default_configENS1_35radix_sort_onesweep_config_selectorIjNS0_10empty_typeEEEZZNS1_29radix_sort_onesweep_iterationIS3_Lb0EN6thrust23THRUST_200600_302600_NS6detail15normal_iteratorINS9_10device_ptrIjEEEESE_PS5_SF_jNS0_19identity_decomposerENS1_16block_id_wrapperIjLb1EEEEE10hipError_tT1_PNSt15iterator_traitsISK_E10value_typeET2_T3_PNSL_ISQ_E10value_typeET4_T5_PSV_SW_PNS1_23onesweep_lookback_stateEbbT6_jjT7_P12ihipStream_tbENKUlT_T0_SK_SP_E_clISE_SE_SF_SF_EEDaS13_S14_SK_SP_EUlS13_E_NS1_11comp_targetILNS1_3genE9ELNS1_11target_archE1100ELNS1_3gpuE3ELNS1_3repE0EEENS1_47radix_sort_onesweep_sort_config_static_selectorELNS0_4arch9wavefront6targetE1EEEvSK_
	.globl	_ZN7rocprim17ROCPRIM_400000_NS6detail17trampoline_kernelINS0_14default_configENS1_35radix_sort_onesweep_config_selectorIjNS0_10empty_typeEEEZZNS1_29radix_sort_onesweep_iterationIS3_Lb0EN6thrust23THRUST_200600_302600_NS6detail15normal_iteratorINS9_10device_ptrIjEEEESE_PS5_SF_jNS0_19identity_decomposerENS1_16block_id_wrapperIjLb1EEEEE10hipError_tT1_PNSt15iterator_traitsISK_E10value_typeET2_T3_PNSL_ISQ_E10value_typeET4_T5_PSV_SW_PNS1_23onesweep_lookback_stateEbbT6_jjT7_P12ihipStream_tbENKUlT_T0_SK_SP_E_clISE_SE_SF_SF_EEDaS13_S14_SK_SP_EUlS13_E_NS1_11comp_targetILNS1_3genE9ELNS1_11target_archE1100ELNS1_3gpuE3ELNS1_3repE0EEENS1_47radix_sort_onesweep_sort_config_static_selectorELNS0_4arch9wavefront6targetE1EEEvSK_
	.p2align	8
	.type	_ZN7rocprim17ROCPRIM_400000_NS6detail17trampoline_kernelINS0_14default_configENS1_35radix_sort_onesweep_config_selectorIjNS0_10empty_typeEEEZZNS1_29radix_sort_onesweep_iterationIS3_Lb0EN6thrust23THRUST_200600_302600_NS6detail15normal_iteratorINS9_10device_ptrIjEEEESE_PS5_SF_jNS0_19identity_decomposerENS1_16block_id_wrapperIjLb1EEEEE10hipError_tT1_PNSt15iterator_traitsISK_E10value_typeET2_T3_PNSL_ISQ_E10value_typeET4_T5_PSV_SW_PNS1_23onesweep_lookback_stateEbbT6_jjT7_P12ihipStream_tbENKUlT_T0_SK_SP_E_clISE_SE_SF_SF_EEDaS13_S14_SK_SP_EUlS13_E_NS1_11comp_targetILNS1_3genE9ELNS1_11target_archE1100ELNS1_3gpuE3ELNS1_3repE0EEENS1_47radix_sort_onesweep_sort_config_static_selectorELNS0_4arch9wavefront6targetE1EEEvSK_,@function
_ZN7rocprim17ROCPRIM_400000_NS6detail17trampoline_kernelINS0_14default_configENS1_35radix_sort_onesweep_config_selectorIjNS0_10empty_typeEEEZZNS1_29radix_sort_onesweep_iterationIS3_Lb0EN6thrust23THRUST_200600_302600_NS6detail15normal_iteratorINS9_10device_ptrIjEEEESE_PS5_SF_jNS0_19identity_decomposerENS1_16block_id_wrapperIjLb1EEEEE10hipError_tT1_PNSt15iterator_traitsISK_E10value_typeET2_T3_PNSL_ISQ_E10value_typeET4_T5_PSV_SW_PNS1_23onesweep_lookback_stateEbbT6_jjT7_P12ihipStream_tbENKUlT_T0_SK_SP_E_clISE_SE_SF_SF_EEDaS13_S14_SK_SP_EUlS13_E_NS1_11comp_targetILNS1_3genE9ELNS1_11target_archE1100ELNS1_3gpuE3ELNS1_3repE0EEENS1_47radix_sort_onesweep_sort_config_static_selectorELNS0_4arch9wavefront6targetE1EEEvSK_: ; @_ZN7rocprim17ROCPRIM_400000_NS6detail17trampoline_kernelINS0_14default_configENS1_35radix_sort_onesweep_config_selectorIjNS0_10empty_typeEEEZZNS1_29radix_sort_onesweep_iterationIS3_Lb0EN6thrust23THRUST_200600_302600_NS6detail15normal_iteratorINS9_10device_ptrIjEEEESE_PS5_SF_jNS0_19identity_decomposerENS1_16block_id_wrapperIjLb1EEEEE10hipError_tT1_PNSt15iterator_traitsISK_E10value_typeET2_T3_PNSL_ISQ_E10value_typeET4_T5_PSV_SW_PNS1_23onesweep_lookback_stateEbbT6_jjT7_P12ihipStream_tbENKUlT_T0_SK_SP_E_clISE_SE_SF_SF_EEDaS13_S14_SK_SP_EUlS13_E_NS1_11comp_targetILNS1_3genE9ELNS1_11target_archE1100ELNS1_3gpuE3ELNS1_3repE0EEENS1_47radix_sort_onesweep_sort_config_static_selectorELNS0_4arch9wavefront6targetE1EEEvSK_
; %bb.0:
	.section	.rodata,"a",@progbits
	.p2align	6, 0x0
	.amdhsa_kernel _ZN7rocprim17ROCPRIM_400000_NS6detail17trampoline_kernelINS0_14default_configENS1_35radix_sort_onesweep_config_selectorIjNS0_10empty_typeEEEZZNS1_29radix_sort_onesweep_iterationIS3_Lb0EN6thrust23THRUST_200600_302600_NS6detail15normal_iteratorINS9_10device_ptrIjEEEESE_PS5_SF_jNS0_19identity_decomposerENS1_16block_id_wrapperIjLb1EEEEE10hipError_tT1_PNSt15iterator_traitsISK_E10value_typeET2_T3_PNSL_ISQ_E10value_typeET4_T5_PSV_SW_PNS1_23onesweep_lookback_stateEbbT6_jjT7_P12ihipStream_tbENKUlT_T0_SK_SP_E_clISE_SE_SF_SF_EEDaS13_S14_SK_SP_EUlS13_E_NS1_11comp_targetILNS1_3genE9ELNS1_11target_archE1100ELNS1_3gpuE3ELNS1_3repE0EEENS1_47radix_sort_onesweep_sort_config_static_selectorELNS0_4arch9wavefront6targetE1EEEvSK_
		.amdhsa_group_segment_fixed_size 0
		.amdhsa_private_segment_fixed_size 0
		.amdhsa_kernarg_size 88
		.amdhsa_user_sgpr_count 6
		.amdhsa_user_sgpr_private_segment_buffer 1
		.amdhsa_user_sgpr_dispatch_ptr 0
		.amdhsa_user_sgpr_queue_ptr 0
		.amdhsa_user_sgpr_kernarg_segment_ptr 1
		.amdhsa_user_sgpr_dispatch_id 0
		.amdhsa_user_sgpr_flat_scratch_init 0
		.amdhsa_user_sgpr_kernarg_preload_length 0
		.amdhsa_user_sgpr_kernarg_preload_offset 0
		.amdhsa_user_sgpr_private_segment_size 0
		.amdhsa_uses_dynamic_stack 0
		.amdhsa_system_sgpr_private_segment_wavefront_offset 0
		.amdhsa_system_sgpr_workgroup_id_x 1
		.amdhsa_system_sgpr_workgroup_id_y 0
		.amdhsa_system_sgpr_workgroup_id_z 0
		.amdhsa_system_sgpr_workgroup_info 0
		.amdhsa_system_vgpr_workitem_id 0
		.amdhsa_next_free_vgpr 1
		.amdhsa_next_free_sgpr 0
		.amdhsa_accum_offset 4
		.amdhsa_reserve_vcc 0
		.amdhsa_reserve_flat_scratch 0
		.amdhsa_float_round_mode_32 0
		.amdhsa_float_round_mode_16_64 0
		.amdhsa_float_denorm_mode_32 3
		.amdhsa_float_denorm_mode_16_64 3
		.amdhsa_dx10_clamp 1
		.amdhsa_ieee_mode 1
		.amdhsa_fp16_overflow 0
		.amdhsa_tg_split 0
		.amdhsa_exception_fp_ieee_invalid_op 0
		.amdhsa_exception_fp_denorm_src 0
		.amdhsa_exception_fp_ieee_div_zero 0
		.amdhsa_exception_fp_ieee_overflow 0
		.amdhsa_exception_fp_ieee_underflow 0
		.amdhsa_exception_fp_ieee_inexact 0
		.amdhsa_exception_int_div_zero 0
	.end_amdhsa_kernel
	.section	.text._ZN7rocprim17ROCPRIM_400000_NS6detail17trampoline_kernelINS0_14default_configENS1_35radix_sort_onesweep_config_selectorIjNS0_10empty_typeEEEZZNS1_29radix_sort_onesweep_iterationIS3_Lb0EN6thrust23THRUST_200600_302600_NS6detail15normal_iteratorINS9_10device_ptrIjEEEESE_PS5_SF_jNS0_19identity_decomposerENS1_16block_id_wrapperIjLb1EEEEE10hipError_tT1_PNSt15iterator_traitsISK_E10value_typeET2_T3_PNSL_ISQ_E10value_typeET4_T5_PSV_SW_PNS1_23onesweep_lookback_stateEbbT6_jjT7_P12ihipStream_tbENKUlT_T0_SK_SP_E_clISE_SE_SF_SF_EEDaS13_S14_SK_SP_EUlS13_E_NS1_11comp_targetILNS1_3genE9ELNS1_11target_archE1100ELNS1_3gpuE3ELNS1_3repE0EEENS1_47radix_sort_onesweep_sort_config_static_selectorELNS0_4arch9wavefront6targetE1EEEvSK_,"axG",@progbits,_ZN7rocprim17ROCPRIM_400000_NS6detail17trampoline_kernelINS0_14default_configENS1_35radix_sort_onesweep_config_selectorIjNS0_10empty_typeEEEZZNS1_29radix_sort_onesweep_iterationIS3_Lb0EN6thrust23THRUST_200600_302600_NS6detail15normal_iteratorINS9_10device_ptrIjEEEESE_PS5_SF_jNS0_19identity_decomposerENS1_16block_id_wrapperIjLb1EEEEE10hipError_tT1_PNSt15iterator_traitsISK_E10value_typeET2_T3_PNSL_ISQ_E10value_typeET4_T5_PSV_SW_PNS1_23onesweep_lookback_stateEbbT6_jjT7_P12ihipStream_tbENKUlT_T0_SK_SP_E_clISE_SE_SF_SF_EEDaS13_S14_SK_SP_EUlS13_E_NS1_11comp_targetILNS1_3genE9ELNS1_11target_archE1100ELNS1_3gpuE3ELNS1_3repE0EEENS1_47radix_sort_onesweep_sort_config_static_selectorELNS0_4arch9wavefront6targetE1EEEvSK_,comdat
.Lfunc_end1108:
	.size	_ZN7rocprim17ROCPRIM_400000_NS6detail17trampoline_kernelINS0_14default_configENS1_35radix_sort_onesweep_config_selectorIjNS0_10empty_typeEEEZZNS1_29radix_sort_onesweep_iterationIS3_Lb0EN6thrust23THRUST_200600_302600_NS6detail15normal_iteratorINS9_10device_ptrIjEEEESE_PS5_SF_jNS0_19identity_decomposerENS1_16block_id_wrapperIjLb1EEEEE10hipError_tT1_PNSt15iterator_traitsISK_E10value_typeET2_T3_PNSL_ISQ_E10value_typeET4_T5_PSV_SW_PNS1_23onesweep_lookback_stateEbbT6_jjT7_P12ihipStream_tbENKUlT_T0_SK_SP_E_clISE_SE_SF_SF_EEDaS13_S14_SK_SP_EUlS13_E_NS1_11comp_targetILNS1_3genE9ELNS1_11target_archE1100ELNS1_3gpuE3ELNS1_3repE0EEENS1_47radix_sort_onesweep_sort_config_static_selectorELNS0_4arch9wavefront6targetE1EEEvSK_, .Lfunc_end1108-_ZN7rocprim17ROCPRIM_400000_NS6detail17trampoline_kernelINS0_14default_configENS1_35radix_sort_onesweep_config_selectorIjNS0_10empty_typeEEEZZNS1_29radix_sort_onesweep_iterationIS3_Lb0EN6thrust23THRUST_200600_302600_NS6detail15normal_iteratorINS9_10device_ptrIjEEEESE_PS5_SF_jNS0_19identity_decomposerENS1_16block_id_wrapperIjLb1EEEEE10hipError_tT1_PNSt15iterator_traitsISK_E10value_typeET2_T3_PNSL_ISQ_E10value_typeET4_T5_PSV_SW_PNS1_23onesweep_lookback_stateEbbT6_jjT7_P12ihipStream_tbENKUlT_T0_SK_SP_E_clISE_SE_SF_SF_EEDaS13_S14_SK_SP_EUlS13_E_NS1_11comp_targetILNS1_3genE9ELNS1_11target_archE1100ELNS1_3gpuE3ELNS1_3repE0EEENS1_47radix_sort_onesweep_sort_config_static_selectorELNS0_4arch9wavefront6targetE1EEEvSK_
                                        ; -- End function
	.section	.AMDGPU.csdata,"",@progbits
; Kernel info:
; codeLenInByte = 0
; NumSgprs: 4
; NumVgprs: 0
; NumAgprs: 0
; TotalNumVgprs: 0
; ScratchSize: 0
; MemoryBound: 0
; FloatMode: 240
; IeeeMode: 1
; LDSByteSize: 0 bytes/workgroup (compile time only)
; SGPRBlocks: 0
; VGPRBlocks: 0
; NumSGPRsForWavesPerEU: 4
; NumVGPRsForWavesPerEU: 1
; AccumOffset: 4
; Occupancy: 8
; WaveLimiterHint : 0
; COMPUTE_PGM_RSRC2:SCRATCH_EN: 0
; COMPUTE_PGM_RSRC2:USER_SGPR: 6
; COMPUTE_PGM_RSRC2:TRAP_HANDLER: 0
; COMPUTE_PGM_RSRC2:TGID_X_EN: 1
; COMPUTE_PGM_RSRC2:TGID_Y_EN: 0
; COMPUTE_PGM_RSRC2:TGID_Z_EN: 0
; COMPUTE_PGM_RSRC2:TIDIG_COMP_CNT: 0
; COMPUTE_PGM_RSRC3_GFX90A:ACCUM_OFFSET: 0
; COMPUTE_PGM_RSRC3_GFX90A:TG_SPLIT: 0
	.section	.text._ZN7rocprim17ROCPRIM_400000_NS6detail17trampoline_kernelINS0_14default_configENS1_35radix_sort_onesweep_config_selectorIjNS0_10empty_typeEEEZZNS1_29radix_sort_onesweep_iterationIS3_Lb0EN6thrust23THRUST_200600_302600_NS6detail15normal_iteratorINS9_10device_ptrIjEEEESE_PS5_SF_jNS0_19identity_decomposerENS1_16block_id_wrapperIjLb1EEEEE10hipError_tT1_PNSt15iterator_traitsISK_E10value_typeET2_T3_PNSL_ISQ_E10value_typeET4_T5_PSV_SW_PNS1_23onesweep_lookback_stateEbbT6_jjT7_P12ihipStream_tbENKUlT_T0_SK_SP_E_clISE_SE_SF_SF_EEDaS13_S14_SK_SP_EUlS13_E_NS1_11comp_targetILNS1_3genE8ELNS1_11target_archE1030ELNS1_3gpuE2ELNS1_3repE0EEENS1_47radix_sort_onesweep_sort_config_static_selectorELNS0_4arch9wavefront6targetE1EEEvSK_,"axG",@progbits,_ZN7rocprim17ROCPRIM_400000_NS6detail17trampoline_kernelINS0_14default_configENS1_35radix_sort_onesweep_config_selectorIjNS0_10empty_typeEEEZZNS1_29radix_sort_onesweep_iterationIS3_Lb0EN6thrust23THRUST_200600_302600_NS6detail15normal_iteratorINS9_10device_ptrIjEEEESE_PS5_SF_jNS0_19identity_decomposerENS1_16block_id_wrapperIjLb1EEEEE10hipError_tT1_PNSt15iterator_traitsISK_E10value_typeET2_T3_PNSL_ISQ_E10value_typeET4_T5_PSV_SW_PNS1_23onesweep_lookback_stateEbbT6_jjT7_P12ihipStream_tbENKUlT_T0_SK_SP_E_clISE_SE_SF_SF_EEDaS13_S14_SK_SP_EUlS13_E_NS1_11comp_targetILNS1_3genE8ELNS1_11target_archE1030ELNS1_3gpuE2ELNS1_3repE0EEENS1_47radix_sort_onesweep_sort_config_static_selectorELNS0_4arch9wavefront6targetE1EEEvSK_,comdat
	.protected	_ZN7rocprim17ROCPRIM_400000_NS6detail17trampoline_kernelINS0_14default_configENS1_35radix_sort_onesweep_config_selectorIjNS0_10empty_typeEEEZZNS1_29radix_sort_onesweep_iterationIS3_Lb0EN6thrust23THRUST_200600_302600_NS6detail15normal_iteratorINS9_10device_ptrIjEEEESE_PS5_SF_jNS0_19identity_decomposerENS1_16block_id_wrapperIjLb1EEEEE10hipError_tT1_PNSt15iterator_traitsISK_E10value_typeET2_T3_PNSL_ISQ_E10value_typeET4_T5_PSV_SW_PNS1_23onesweep_lookback_stateEbbT6_jjT7_P12ihipStream_tbENKUlT_T0_SK_SP_E_clISE_SE_SF_SF_EEDaS13_S14_SK_SP_EUlS13_E_NS1_11comp_targetILNS1_3genE8ELNS1_11target_archE1030ELNS1_3gpuE2ELNS1_3repE0EEENS1_47radix_sort_onesweep_sort_config_static_selectorELNS0_4arch9wavefront6targetE1EEEvSK_ ; -- Begin function _ZN7rocprim17ROCPRIM_400000_NS6detail17trampoline_kernelINS0_14default_configENS1_35radix_sort_onesweep_config_selectorIjNS0_10empty_typeEEEZZNS1_29radix_sort_onesweep_iterationIS3_Lb0EN6thrust23THRUST_200600_302600_NS6detail15normal_iteratorINS9_10device_ptrIjEEEESE_PS5_SF_jNS0_19identity_decomposerENS1_16block_id_wrapperIjLb1EEEEE10hipError_tT1_PNSt15iterator_traitsISK_E10value_typeET2_T3_PNSL_ISQ_E10value_typeET4_T5_PSV_SW_PNS1_23onesweep_lookback_stateEbbT6_jjT7_P12ihipStream_tbENKUlT_T0_SK_SP_E_clISE_SE_SF_SF_EEDaS13_S14_SK_SP_EUlS13_E_NS1_11comp_targetILNS1_3genE8ELNS1_11target_archE1030ELNS1_3gpuE2ELNS1_3repE0EEENS1_47radix_sort_onesweep_sort_config_static_selectorELNS0_4arch9wavefront6targetE1EEEvSK_
	.globl	_ZN7rocprim17ROCPRIM_400000_NS6detail17trampoline_kernelINS0_14default_configENS1_35radix_sort_onesweep_config_selectorIjNS0_10empty_typeEEEZZNS1_29radix_sort_onesweep_iterationIS3_Lb0EN6thrust23THRUST_200600_302600_NS6detail15normal_iteratorINS9_10device_ptrIjEEEESE_PS5_SF_jNS0_19identity_decomposerENS1_16block_id_wrapperIjLb1EEEEE10hipError_tT1_PNSt15iterator_traitsISK_E10value_typeET2_T3_PNSL_ISQ_E10value_typeET4_T5_PSV_SW_PNS1_23onesweep_lookback_stateEbbT6_jjT7_P12ihipStream_tbENKUlT_T0_SK_SP_E_clISE_SE_SF_SF_EEDaS13_S14_SK_SP_EUlS13_E_NS1_11comp_targetILNS1_3genE8ELNS1_11target_archE1030ELNS1_3gpuE2ELNS1_3repE0EEENS1_47radix_sort_onesweep_sort_config_static_selectorELNS0_4arch9wavefront6targetE1EEEvSK_
	.p2align	8
	.type	_ZN7rocprim17ROCPRIM_400000_NS6detail17trampoline_kernelINS0_14default_configENS1_35radix_sort_onesweep_config_selectorIjNS0_10empty_typeEEEZZNS1_29radix_sort_onesweep_iterationIS3_Lb0EN6thrust23THRUST_200600_302600_NS6detail15normal_iteratorINS9_10device_ptrIjEEEESE_PS5_SF_jNS0_19identity_decomposerENS1_16block_id_wrapperIjLb1EEEEE10hipError_tT1_PNSt15iterator_traitsISK_E10value_typeET2_T3_PNSL_ISQ_E10value_typeET4_T5_PSV_SW_PNS1_23onesweep_lookback_stateEbbT6_jjT7_P12ihipStream_tbENKUlT_T0_SK_SP_E_clISE_SE_SF_SF_EEDaS13_S14_SK_SP_EUlS13_E_NS1_11comp_targetILNS1_3genE8ELNS1_11target_archE1030ELNS1_3gpuE2ELNS1_3repE0EEENS1_47radix_sort_onesweep_sort_config_static_selectorELNS0_4arch9wavefront6targetE1EEEvSK_,@function
_ZN7rocprim17ROCPRIM_400000_NS6detail17trampoline_kernelINS0_14default_configENS1_35radix_sort_onesweep_config_selectorIjNS0_10empty_typeEEEZZNS1_29radix_sort_onesweep_iterationIS3_Lb0EN6thrust23THRUST_200600_302600_NS6detail15normal_iteratorINS9_10device_ptrIjEEEESE_PS5_SF_jNS0_19identity_decomposerENS1_16block_id_wrapperIjLb1EEEEE10hipError_tT1_PNSt15iterator_traitsISK_E10value_typeET2_T3_PNSL_ISQ_E10value_typeET4_T5_PSV_SW_PNS1_23onesweep_lookback_stateEbbT6_jjT7_P12ihipStream_tbENKUlT_T0_SK_SP_E_clISE_SE_SF_SF_EEDaS13_S14_SK_SP_EUlS13_E_NS1_11comp_targetILNS1_3genE8ELNS1_11target_archE1030ELNS1_3gpuE2ELNS1_3repE0EEENS1_47radix_sort_onesweep_sort_config_static_selectorELNS0_4arch9wavefront6targetE1EEEvSK_: ; @_ZN7rocprim17ROCPRIM_400000_NS6detail17trampoline_kernelINS0_14default_configENS1_35radix_sort_onesweep_config_selectorIjNS0_10empty_typeEEEZZNS1_29radix_sort_onesweep_iterationIS3_Lb0EN6thrust23THRUST_200600_302600_NS6detail15normal_iteratorINS9_10device_ptrIjEEEESE_PS5_SF_jNS0_19identity_decomposerENS1_16block_id_wrapperIjLb1EEEEE10hipError_tT1_PNSt15iterator_traitsISK_E10value_typeET2_T3_PNSL_ISQ_E10value_typeET4_T5_PSV_SW_PNS1_23onesweep_lookback_stateEbbT6_jjT7_P12ihipStream_tbENKUlT_T0_SK_SP_E_clISE_SE_SF_SF_EEDaS13_S14_SK_SP_EUlS13_E_NS1_11comp_targetILNS1_3genE8ELNS1_11target_archE1030ELNS1_3gpuE2ELNS1_3repE0EEENS1_47radix_sort_onesweep_sort_config_static_selectorELNS0_4arch9wavefront6targetE1EEEvSK_
; %bb.0:
	.section	.rodata,"a",@progbits
	.p2align	6, 0x0
	.amdhsa_kernel _ZN7rocprim17ROCPRIM_400000_NS6detail17trampoline_kernelINS0_14default_configENS1_35radix_sort_onesweep_config_selectorIjNS0_10empty_typeEEEZZNS1_29radix_sort_onesweep_iterationIS3_Lb0EN6thrust23THRUST_200600_302600_NS6detail15normal_iteratorINS9_10device_ptrIjEEEESE_PS5_SF_jNS0_19identity_decomposerENS1_16block_id_wrapperIjLb1EEEEE10hipError_tT1_PNSt15iterator_traitsISK_E10value_typeET2_T3_PNSL_ISQ_E10value_typeET4_T5_PSV_SW_PNS1_23onesweep_lookback_stateEbbT6_jjT7_P12ihipStream_tbENKUlT_T0_SK_SP_E_clISE_SE_SF_SF_EEDaS13_S14_SK_SP_EUlS13_E_NS1_11comp_targetILNS1_3genE8ELNS1_11target_archE1030ELNS1_3gpuE2ELNS1_3repE0EEENS1_47radix_sort_onesweep_sort_config_static_selectorELNS0_4arch9wavefront6targetE1EEEvSK_
		.amdhsa_group_segment_fixed_size 0
		.amdhsa_private_segment_fixed_size 0
		.amdhsa_kernarg_size 88
		.amdhsa_user_sgpr_count 6
		.amdhsa_user_sgpr_private_segment_buffer 1
		.amdhsa_user_sgpr_dispatch_ptr 0
		.amdhsa_user_sgpr_queue_ptr 0
		.amdhsa_user_sgpr_kernarg_segment_ptr 1
		.amdhsa_user_sgpr_dispatch_id 0
		.amdhsa_user_sgpr_flat_scratch_init 0
		.amdhsa_user_sgpr_kernarg_preload_length 0
		.amdhsa_user_sgpr_kernarg_preload_offset 0
		.amdhsa_user_sgpr_private_segment_size 0
		.amdhsa_uses_dynamic_stack 0
		.amdhsa_system_sgpr_private_segment_wavefront_offset 0
		.amdhsa_system_sgpr_workgroup_id_x 1
		.amdhsa_system_sgpr_workgroup_id_y 0
		.amdhsa_system_sgpr_workgroup_id_z 0
		.amdhsa_system_sgpr_workgroup_info 0
		.amdhsa_system_vgpr_workitem_id 0
		.amdhsa_next_free_vgpr 1
		.amdhsa_next_free_sgpr 0
		.amdhsa_accum_offset 4
		.amdhsa_reserve_vcc 0
		.amdhsa_reserve_flat_scratch 0
		.amdhsa_float_round_mode_32 0
		.amdhsa_float_round_mode_16_64 0
		.amdhsa_float_denorm_mode_32 3
		.amdhsa_float_denorm_mode_16_64 3
		.amdhsa_dx10_clamp 1
		.amdhsa_ieee_mode 1
		.amdhsa_fp16_overflow 0
		.amdhsa_tg_split 0
		.amdhsa_exception_fp_ieee_invalid_op 0
		.amdhsa_exception_fp_denorm_src 0
		.amdhsa_exception_fp_ieee_div_zero 0
		.amdhsa_exception_fp_ieee_overflow 0
		.amdhsa_exception_fp_ieee_underflow 0
		.amdhsa_exception_fp_ieee_inexact 0
		.amdhsa_exception_int_div_zero 0
	.end_amdhsa_kernel
	.section	.text._ZN7rocprim17ROCPRIM_400000_NS6detail17trampoline_kernelINS0_14default_configENS1_35radix_sort_onesweep_config_selectorIjNS0_10empty_typeEEEZZNS1_29radix_sort_onesweep_iterationIS3_Lb0EN6thrust23THRUST_200600_302600_NS6detail15normal_iteratorINS9_10device_ptrIjEEEESE_PS5_SF_jNS0_19identity_decomposerENS1_16block_id_wrapperIjLb1EEEEE10hipError_tT1_PNSt15iterator_traitsISK_E10value_typeET2_T3_PNSL_ISQ_E10value_typeET4_T5_PSV_SW_PNS1_23onesweep_lookback_stateEbbT6_jjT7_P12ihipStream_tbENKUlT_T0_SK_SP_E_clISE_SE_SF_SF_EEDaS13_S14_SK_SP_EUlS13_E_NS1_11comp_targetILNS1_3genE8ELNS1_11target_archE1030ELNS1_3gpuE2ELNS1_3repE0EEENS1_47radix_sort_onesweep_sort_config_static_selectorELNS0_4arch9wavefront6targetE1EEEvSK_,"axG",@progbits,_ZN7rocprim17ROCPRIM_400000_NS6detail17trampoline_kernelINS0_14default_configENS1_35radix_sort_onesweep_config_selectorIjNS0_10empty_typeEEEZZNS1_29radix_sort_onesweep_iterationIS3_Lb0EN6thrust23THRUST_200600_302600_NS6detail15normal_iteratorINS9_10device_ptrIjEEEESE_PS5_SF_jNS0_19identity_decomposerENS1_16block_id_wrapperIjLb1EEEEE10hipError_tT1_PNSt15iterator_traitsISK_E10value_typeET2_T3_PNSL_ISQ_E10value_typeET4_T5_PSV_SW_PNS1_23onesweep_lookback_stateEbbT6_jjT7_P12ihipStream_tbENKUlT_T0_SK_SP_E_clISE_SE_SF_SF_EEDaS13_S14_SK_SP_EUlS13_E_NS1_11comp_targetILNS1_3genE8ELNS1_11target_archE1030ELNS1_3gpuE2ELNS1_3repE0EEENS1_47radix_sort_onesweep_sort_config_static_selectorELNS0_4arch9wavefront6targetE1EEEvSK_,comdat
.Lfunc_end1109:
	.size	_ZN7rocprim17ROCPRIM_400000_NS6detail17trampoline_kernelINS0_14default_configENS1_35radix_sort_onesweep_config_selectorIjNS0_10empty_typeEEEZZNS1_29radix_sort_onesweep_iterationIS3_Lb0EN6thrust23THRUST_200600_302600_NS6detail15normal_iteratorINS9_10device_ptrIjEEEESE_PS5_SF_jNS0_19identity_decomposerENS1_16block_id_wrapperIjLb1EEEEE10hipError_tT1_PNSt15iterator_traitsISK_E10value_typeET2_T3_PNSL_ISQ_E10value_typeET4_T5_PSV_SW_PNS1_23onesweep_lookback_stateEbbT6_jjT7_P12ihipStream_tbENKUlT_T0_SK_SP_E_clISE_SE_SF_SF_EEDaS13_S14_SK_SP_EUlS13_E_NS1_11comp_targetILNS1_3genE8ELNS1_11target_archE1030ELNS1_3gpuE2ELNS1_3repE0EEENS1_47radix_sort_onesweep_sort_config_static_selectorELNS0_4arch9wavefront6targetE1EEEvSK_, .Lfunc_end1109-_ZN7rocprim17ROCPRIM_400000_NS6detail17trampoline_kernelINS0_14default_configENS1_35radix_sort_onesweep_config_selectorIjNS0_10empty_typeEEEZZNS1_29radix_sort_onesweep_iterationIS3_Lb0EN6thrust23THRUST_200600_302600_NS6detail15normal_iteratorINS9_10device_ptrIjEEEESE_PS5_SF_jNS0_19identity_decomposerENS1_16block_id_wrapperIjLb1EEEEE10hipError_tT1_PNSt15iterator_traitsISK_E10value_typeET2_T3_PNSL_ISQ_E10value_typeET4_T5_PSV_SW_PNS1_23onesweep_lookback_stateEbbT6_jjT7_P12ihipStream_tbENKUlT_T0_SK_SP_E_clISE_SE_SF_SF_EEDaS13_S14_SK_SP_EUlS13_E_NS1_11comp_targetILNS1_3genE8ELNS1_11target_archE1030ELNS1_3gpuE2ELNS1_3repE0EEENS1_47radix_sort_onesweep_sort_config_static_selectorELNS0_4arch9wavefront6targetE1EEEvSK_
                                        ; -- End function
	.section	.AMDGPU.csdata,"",@progbits
; Kernel info:
; codeLenInByte = 0
; NumSgprs: 4
; NumVgprs: 0
; NumAgprs: 0
; TotalNumVgprs: 0
; ScratchSize: 0
; MemoryBound: 0
; FloatMode: 240
; IeeeMode: 1
; LDSByteSize: 0 bytes/workgroup (compile time only)
; SGPRBlocks: 0
; VGPRBlocks: 0
; NumSGPRsForWavesPerEU: 4
; NumVGPRsForWavesPerEU: 1
; AccumOffset: 4
; Occupancy: 8
; WaveLimiterHint : 0
; COMPUTE_PGM_RSRC2:SCRATCH_EN: 0
; COMPUTE_PGM_RSRC2:USER_SGPR: 6
; COMPUTE_PGM_RSRC2:TRAP_HANDLER: 0
; COMPUTE_PGM_RSRC2:TGID_X_EN: 1
; COMPUTE_PGM_RSRC2:TGID_Y_EN: 0
; COMPUTE_PGM_RSRC2:TGID_Z_EN: 0
; COMPUTE_PGM_RSRC2:TIDIG_COMP_CNT: 0
; COMPUTE_PGM_RSRC3_GFX90A:ACCUM_OFFSET: 0
; COMPUTE_PGM_RSRC3_GFX90A:TG_SPLIT: 0
	.section	.text._ZN7rocprim17ROCPRIM_400000_NS6detail17trampoline_kernelINS0_14default_configENS1_35radix_sort_onesweep_config_selectorIjNS0_10empty_typeEEEZZNS1_29radix_sort_onesweep_iterationIS3_Lb0EN6thrust23THRUST_200600_302600_NS6detail15normal_iteratorINS9_10device_ptrIjEEEESE_PS5_SF_jNS0_19identity_decomposerENS1_16block_id_wrapperIjLb1EEEEE10hipError_tT1_PNSt15iterator_traitsISK_E10value_typeET2_T3_PNSL_ISQ_E10value_typeET4_T5_PSV_SW_PNS1_23onesweep_lookback_stateEbbT6_jjT7_P12ihipStream_tbENKUlT_T0_SK_SP_E_clISE_PjSF_SF_EEDaS13_S14_SK_SP_EUlS13_E_NS1_11comp_targetILNS1_3genE0ELNS1_11target_archE4294967295ELNS1_3gpuE0ELNS1_3repE0EEENS1_47radix_sort_onesweep_sort_config_static_selectorELNS0_4arch9wavefront6targetE1EEEvSK_,"axG",@progbits,_ZN7rocprim17ROCPRIM_400000_NS6detail17trampoline_kernelINS0_14default_configENS1_35radix_sort_onesweep_config_selectorIjNS0_10empty_typeEEEZZNS1_29radix_sort_onesweep_iterationIS3_Lb0EN6thrust23THRUST_200600_302600_NS6detail15normal_iteratorINS9_10device_ptrIjEEEESE_PS5_SF_jNS0_19identity_decomposerENS1_16block_id_wrapperIjLb1EEEEE10hipError_tT1_PNSt15iterator_traitsISK_E10value_typeET2_T3_PNSL_ISQ_E10value_typeET4_T5_PSV_SW_PNS1_23onesweep_lookback_stateEbbT6_jjT7_P12ihipStream_tbENKUlT_T0_SK_SP_E_clISE_PjSF_SF_EEDaS13_S14_SK_SP_EUlS13_E_NS1_11comp_targetILNS1_3genE0ELNS1_11target_archE4294967295ELNS1_3gpuE0ELNS1_3repE0EEENS1_47radix_sort_onesweep_sort_config_static_selectorELNS0_4arch9wavefront6targetE1EEEvSK_,comdat
	.protected	_ZN7rocprim17ROCPRIM_400000_NS6detail17trampoline_kernelINS0_14default_configENS1_35radix_sort_onesweep_config_selectorIjNS0_10empty_typeEEEZZNS1_29radix_sort_onesweep_iterationIS3_Lb0EN6thrust23THRUST_200600_302600_NS6detail15normal_iteratorINS9_10device_ptrIjEEEESE_PS5_SF_jNS0_19identity_decomposerENS1_16block_id_wrapperIjLb1EEEEE10hipError_tT1_PNSt15iterator_traitsISK_E10value_typeET2_T3_PNSL_ISQ_E10value_typeET4_T5_PSV_SW_PNS1_23onesweep_lookback_stateEbbT6_jjT7_P12ihipStream_tbENKUlT_T0_SK_SP_E_clISE_PjSF_SF_EEDaS13_S14_SK_SP_EUlS13_E_NS1_11comp_targetILNS1_3genE0ELNS1_11target_archE4294967295ELNS1_3gpuE0ELNS1_3repE0EEENS1_47radix_sort_onesweep_sort_config_static_selectorELNS0_4arch9wavefront6targetE1EEEvSK_ ; -- Begin function _ZN7rocprim17ROCPRIM_400000_NS6detail17trampoline_kernelINS0_14default_configENS1_35radix_sort_onesweep_config_selectorIjNS0_10empty_typeEEEZZNS1_29radix_sort_onesweep_iterationIS3_Lb0EN6thrust23THRUST_200600_302600_NS6detail15normal_iteratorINS9_10device_ptrIjEEEESE_PS5_SF_jNS0_19identity_decomposerENS1_16block_id_wrapperIjLb1EEEEE10hipError_tT1_PNSt15iterator_traitsISK_E10value_typeET2_T3_PNSL_ISQ_E10value_typeET4_T5_PSV_SW_PNS1_23onesweep_lookback_stateEbbT6_jjT7_P12ihipStream_tbENKUlT_T0_SK_SP_E_clISE_PjSF_SF_EEDaS13_S14_SK_SP_EUlS13_E_NS1_11comp_targetILNS1_3genE0ELNS1_11target_archE4294967295ELNS1_3gpuE0ELNS1_3repE0EEENS1_47radix_sort_onesweep_sort_config_static_selectorELNS0_4arch9wavefront6targetE1EEEvSK_
	.globl	_ZN7rocprim17ROCPRIM_400000_NS6detail17trampoline_kernelINS0_14default_configENS1_35radix_sort_onesweep_config_selectorIjNS0_10empty_typeEEEZZNS1_29radix_sort_onesweep_iterationIS3_Lb0EN6thrust23THRUST_200600_302600_NS6detail15normal_iteratorINS9_10device_ptrIjEEEESE_PS5_SF_jNS0_19identity_decomposerENS1_16block_id_wrapperIjLb1EEEEE10hipError_tT1_PNSt15iterator_traitsISK_E10value_typeET2_T3_PNSL_ISQ_E10value_typeET4_T5_PSV_SW_PNS1_23onesweep_lookback_stateEbbT6_jjT7_P12ihipStream_tbENKUlT_T0_SK_SP_E_clISE_PjSF_SF_EEDaS13_S14_SK_SP_EUlS13_E_NS1_11comp_targetILNS1_3genE0ELNS1_11target_archE4294967295ELNS1_3gpuE0ELNS1_3repE0EEENS1_47radix_sort_onesweep_sort_config_static_selectorELNS0_4arch9wavefront6targetE1EEEvSK_
	.p2align	8
	.type	_ZN7rocprim17ROCPRIM_400000_NS6detail17trampoline_kernelINS0_14default_configENS1_35radix_sort_onesweep_config_selectorIjNS0_10empty_typeEEEZZNS1_29radix_sort_onesweep_iterationIS3_Lb0EN6thrust23THRUST_200600_302600_NS6detail15normal_iteratorINS9_10device_ptrIjEEEESE_PS5_SF_jNS0_19identity_decomposerENS1_16block_id_wrapperIjLb1EEEEE10hipError_tT1_PNSt15iterator_traitsISK_E10value_typeET2_T3_PNSL_ISQ_E10value_typeET4_T5_PSV_SW_PNS1_23onesweep_lookback_stateEbbT6_jjT7_P12ihipStream_tbENKUlT_T0_SK_SP_E_clISE_PjSF_SF_EEDaS13_S14_SK_SP_EUlS13_E_NS1_11comp_targetILNS1_3genE0ELNS1_11target_archE4294967295ELNS1_3gpuE0ELNS1_3repE0EEENS1_47radix_sort_onesweep_sort_config_static_selectorELNS0_4arch9wavefront6targetE1EEEvSK_,@function
_ZN7rocprim17ROCPRIM_400000_NS6detail17trampoline_kernelINS0_14default_configENS1_35radix_sort_onesweep_config_selectorIjNS0_10empty_typeEEEZZNS1_29radix_sort_onesweep_iterationIS3_Lb0EN6thrust23THRUST_200600_302600_NS6detail15normal_iteratorINS9_10device_ptrIjEEEESE_PS5_SF_jNS0_19identity_decomposerENS1_16block_id_wrapperIjLb1EEEEE10hipError_tT1_PNSt15iterator_traitsISK_E10value_typeET2_T3_PNSL_ISQ_E10value_typeET4_T5_PSV_SW_PNS1_23onesweep_lookback_stateEbbT6_jjT7_P12ihipStream_tbENKUlT_T0_SK_SP_E_clISE_PjSF_SF_EEDaS13_S14_SK_SP_EUlS13_E_NS1_11comp_targetILNS1_3genE0ELNS1_11target_archE4294967295ELNS1_3gpuE0ELNS1_3repE0EEENS1_47radix_sort_onesweep_sort_config_static_selectorELNS0_4arch9wavefront6targetE1EEEvSK_: ; @_ZN7rocprim17ROCPRIM_400000_NS6detail17trampoline_kernelINS0_14default_configENS1_35radix_sort_onesweep_config_selectorIjNS0_10empty_typeEEEZZNS1_29radix_sort_onesweep_iterationIS3_Lb0EN6thrust23THRUST_200600_302600_NS6detail15normal_iteratorINS9_10device_ptrIjEEEESE_PS5_SF_jNS0_19identity_decomposerENS1_16block_id_wrapperIjLb1EEEEE10hipError_tT1_PNSt15iterator_traitsISK_E10value_typeET2_T3_PNSL_ISQ_E10value_typeET4_T5_PSV_SW_PNS1_23onesweep_lookback_stateEbbT6_jjT7_P12ihipStream_tbENKUlT_T0_SK_SP_E_clISE_PjSF_SF_EEDaS13_S14_SK_SP_EUlS13_E_NS1_11comp_targetILNS1_3genE0ELNS1_11target_archE4294967295ELNS1_3gpuE0ELNS1_3repE0EEENS1_47radix_sort_onesweep_sort_config_static_selectorELNS0_4arch9wavefront6targetE1EEEvSK_
; %bb.0:
	.section	.rodata,"a",@progbits
	.p2align	6, 0x0
	.amdhsa_kernel _ZN7rocprim17ROCPRIM_400000_NS6detail17trampoline_kernelINS0_14default_configENS1_35radix_sort_onesweep_config_selectorIjNS0_10empty_typeEEEZZNS1_29radix_sort_onesweep_iterationIS3_Lb0EN6thrust23THRUST_200600_302600_NS6detail15normal_iteratorINS9_10device_ptrIjEEEESE_PS5_SF_jNS0_19identity_decomposerENS1_16block_id_wrapperIjLb1EEEEE10hipError_tT1_PNSt15iterator_traitsISK_E10value_typeET2_T3_PNSL_ISQ_E10value_typeET4_T5_PSV_SW_PNS1_23onesweep_lookback_stateEbbT6_jjT7_P12ihipStream_tbENKUlT_T0_SK_SP_E_clISE_PjSF_SF_EEDaS13_S14_SK_SP_EUlS13_E_NS1_11comp_targetILNS1_3genE0ELNS1_11target_archE4294967295ELNS1_3gpuE0ELNS1_3repE0EEENS1_47radix_sort_onesweep_sort_config_static_selectorELNS0_4arch9wavefront6targetE1EEEvSK_
		.amdhsa_group_segment_fixed_size 0
		.amdhsa_private_segment_fixed_size 0
		.amdhsa_kernarg_size 88
		.amdhsa_user_sgpr_count 6
		.amdhsa_user_sgpr_private_segment_buffer 1
		.amdhsa_user_sgpr_dispatch_ptr 0
		.amdhsa_user_sgpr_queue_ptr 0
		.amdhsa_user_sgpr_kernarg_segment_ptr 1
		.amdhsa_user_sgpr_dispatch_id 0
		.amdhsa_user_sgpr_flat_scratch_init 0
		.amdhsa_user_sgpr_kernarg_preload_length 0
		.amdhsa_user_sgpr_kernarg_preload_offset 0
		.amdhsa_user_sgpr_private_segment_size 0
		.amdhsa_uses_dynamic_stack 0
		.amdhsa_system_sgpr_private_segment_wavefront_offset 0
		.amdhsa_system_sgpr_workgroup_id_x 1
		.amdhsa_system_sgpr_workgroup_id_y 0
		.amdhsa_system_sgpr_workgroup_id_z 0
		.amdhsa_system_sgpr_workgroup_info 0
		.amdhsa_system_vgpr_workitem_id 0
		.amdhsa_next_free_vgpr 1
		.amdhsa_next_free_sgpr 0
		.amdhsa_accum_offset 4
		.amdhsa_reserve_vcc 0
		.amdhsa_reserve_flat_scratch 0
		.amdhsa_float_round_mode_32 0
		.amdhsa_float_round_mode_16_64 0
		.amdhsa_float_denorm_mode_32 3
		.amdhsa_float_denorm_mode_16_64 3
		.amdhsa_dx10_clamp 1
		.amdhsa_ieee_mode 1
		.amdhsa_fp16_overflow 0
		.amdhsa_tg_split 0
		.amdhsa_exception_fp_ieee_invalid_op 0
		.amdhsa_exception_fp_denorm_src 0
		.amdhsa_exception_fp_ieee_div_zero 0
		.amdhsa_exception_fp_ieee_overflow 0
		.amdhsa_exception_fp_ieee_underflow 0
		.amdhsa_exception_fp_ieee_inexact 0
		.amdhsa_exception_int_div_zero 0
	.end_amdhsa_kernel
	.section	.text._ZN7rocprim17ROCPRIM_400000_NS6detail17trampoline_kernelINS0_14default_configENS1_35radix_sort_onesweep_config_selectorIjNS0_10empty_typeEEEZZNS1_29radix_sort_onesweep_iterationIS3_Lb0EN6thrust23THRUST_200600_302600_NS6detail15normal_iteratorINS9_10device_ptrIjEEEESE_PS5_SF_jNS0_19identity_decomposerENS1_16block_id_wrapperIjLb1EEEEE10hipError_tT1_PNSt15iterator_traitsISK_E10value_typeET2_T3_PNSL_ISQ_E10value_typeET4_T5_PSV_SW_PNS1_23onesweep_lookback_stateEbbT6_jjT7_P12ihipStream_tbENKUlT_T0_SK_SP_E_clISE_PjSF_SF_EEDaS13_S14_SK_SP_EUlS13_E_NS1_11comp_targetILNS1_3genE0ELNS1_11target_archE4294967295ELNS1_3gpuE0ELNS1_3repE0EEENS1_47radix_sort_onesweep_sort_config_static_selectorELNS0_4arch9wavefront6targetE1EEEvSK_,"axG",@progbits,_ZN7rocprim17ROCPRIM_400000_NS6detail17trampoline_kernelINS0_14default_configENS1_35radix_sort_onesweep_config_selectorIjNS0_10empty_typeEEEZZNS1_29radix_sort_onesweep_iterationIS3_Lb0EN6thrust23THRUST_200600_302600_NS6detail15normal_iteratorINS9_10device_ptrIjEEEESE_PS5_SF_jNS0_19identity_decomposerENS1_16block_id_wrapperIjLb1EEEEE10hipError_tT1_PNSt15iterator_traitsISK_E10value_typeET2_T3_PNSL_ISQ_E10value_typeET4_T5_PSV_SW_PNS1_23onesweep_lookback_stateEbbT6_jjT7_P12ihipStream_tbENKUlT_T0_SK_SP_E_clISE_PjSF_SF_EEDaS13_S14_SK_SP_EUlS13_E_NS1_11comp_targetILNS1_3genE0ELNS1_11target_archE4294967295ELNS1_3gpuE0ELNS1_3repE0EEENS1_47radix_sort_onesweep_sort_config_static_selectorELNS0_4arch9wavefront6targetE1EEEvSK_,comdat
.Lfunc_end1110:
	.size	_ZN7rocprim17ROCPRIM_400000_NS6detail17trampoline_kernelINS0_14default_configENS1_35radix_sort_onesweep_config_selectorIjNS0_10empty_typeEEEZZNS1_29radix_sort_onesweep_iterationIS3_Lb0EN6thrust23THRUST_200600_302600_NS6detail15normal_iteratorINS9_10device_ptrIjEEEESE_PS5_SF_jNS0_19identity_decomposerENS1_16block_id_wrapperIjLb1EEEEE10hipError_tT1_PNSt15iterator_traitsISK_E10value_typeET2_T3_PNSL_ISQ_E10value_typeET4_T5_PSV_SW_PNS1_23onesweep_lookback_stateEbbT6_jjT7_P12ihipStream_tbENKUlT_T0_SK_SP_E_clISE_PjSF_SF_EEDaS13_S14_SK_SP_EUlS13_E_NS1_11comp_targetILNS1_3genE0ELNS1_11target_archE4294967295ELNS1_3gpuE0ELNS1_3repE0EEENS1_47radix_sort_onesweep_sort_config_static_selectorELNS0_4arch9wavefront6targetE1EEEvSK_, .Lfunc_end1110-_ZN7rocprim17ROCPRIM_400000_NS6detail17trampoline_kernelINS0_14default_configENS1_35radix_sort_onesweep_config_selectorIjNS0_10empty_typeEEEZZNS1_29radix_sort_onesweep_iterationIS3_Lb0EN6thrust23THRUST_200600_302600_NS6detail15normal_iteratorINS9_10device_ptrIjEEEESE_PS5_SF_jNS0_19identity_decomposerENS1_16block_id_wrapperIjLb1EEEEE10hipError_tT1_PNSt15iterator_traitsISK_E10value_typeET2_T3_PNSL_ISQ_E10value_typeET4_T5_PSV_SW_PNS1_23onesweep_lookback_stateEbbT6_jjT7_P12ihipStream_tbENKUlT_T0_SK_SP_E_clISE_PjSF_SF_EEDaS13_S14_SK_SP_EUlS13_E_NS1_11comp_targetILNS1_3genE0ELNS1_11target_archE4294967295ELNS1_3gpuE0ELNS1_3repE0EEENS1_47radix_sort_onesweep_sort_config_static_selectorELNS0_4arch9wavefront6targetE1EEEvSK_
                                        ; -- End function
	.section	.AMDGPU.csdata,"",@progbits
; Kernel info:
; codeLenInByte = 0
; NumSgprs: 4
; NumVgprs: 0
; NumAgprs: 0
; TotalNumVgprs: 0
; ScratchSize: 0
; MemoryBound: 0
; FloatMode: 240
; IeeeMode: 1
; LDSByteSize: 0 bytes/workgroup (compile time only)
; SGPRBlocks: 0
; VGPRBlocks: 0
; NumSGPRsForWavesPerEU: 4
; NumVGPRsForWavesPerEU: 1
; AccumOffset: 4
; Occupancy: 8
; WaveLimiterHint : 0
; COMPUTE_PGM_RSRC2:SCRATCH_EN: 0
; COMPUTE_PGM_RSRC2:USER_SGPR: 6
; COMPUTE_PGM_RSRC2:TRAP_HANDLER: 0
; COMPUTE_PGM_RSRC2:TGID_X_EN: 1
; COMPUTE_PGM_RSRC2:TGID_Y_EN: 0
; COMPUTE_PGM_RSRC2:TGID_Z_EN: 0
; COMPUTE_PGM_RSRC2:TIDIG_COMP_CNT: 0
; COMPUTE_PGM_RSRC3_GFX90A:ACCUM_OFFSET: 0
; COMPUTE_PGM_RSRC3_GFX90A:TG_SPLIT: 0
	.section	.text._ZN7rocprim17ROCPRIM_400000_NS6detail17trampoline_kernelINS0_14default_configENS1_35radix_sort_onesweep_config_selectorIjNS0_10empty_typeEEEZZNS1_29radix_sort_onesweep_iterationIS3_Lb0EN6thrust23THRUST_200600_302600_NS6detail15normal_iteratorINS9_10device_ptrIjEEEESE_PS5_SF_jNS0_19identity_decomposerENS1_16block_id_wrapperIjLb1EEEEE10hipError_tT1_PNSt15iterator_traitsISK_E10value_typeET2_T3_PNSL_ISQ_E10value_typeET4_T5_PSV_SW_PNS1_23onesweep_lookback_stateEbbT6_jjT7_P12ihipStream_tbENKUlT_T0_SK_SP_E_clISE_PjSF_SF_EEDaS13_S14_SK_SP_EUlS13_E_NS1_11comp_targetILNS1_3genE6ELNS1_11target_archE950ELNS1_3gpuE13ELNS1_3repE0EEENS1_47radix_sort_onesweep_sort_config_static_selectorELNS0_4arch9wavefront6targetE1EEEvSK_,"axG",@progbits,_ZN7rocprim17ROCPRIM_400000_NS6detail17trampoline_kernelINS0_14default_configENS1_35radix_sort_onesweep_config_selectorIjNS0_10empty_typeEEEZZNS1_29radix_sort_onesweep_iterationIS3_Lb0EN6thrust23THRUST_200600_302600_NS6detail15normal_iteratorINS9_10device_ptrIjEEEESE_PS5_SF_jNS0_19identity_decomposerENS1_16block_id_wrapperIjLb1EEEEE10hipError_tT1_PNSt15iterator_traitsISK_E10value_typeET2_T3_PNSL_ISQ_E10value_typeET4_T5_PSV_SW_PNS1_23onesweep_lookback_stateEbbT6_jjT7_P12ihipStream_tbENKUlT_T0_SK_SP_E_clISE_PjSF_SF_EEDaS13_S14_SK_SP_EUlS13_E_NS1_11comp_targetILNS1_3genE6ELNS1_11target_archE950ELNS1_3gpuE13ELNS1_3repE0EEENS1_47radix_sort_onesweep_sort_config_static_selectorELNS0_4arch9wavefront6targetE1EEEvSK_,comdat
	.protected	_ZN7rocprim17ROCPRIM_400000_NS6detail17trampoline_kernelINS0_14default_configENS1_35radix_sort_onesweep_config_selectorIjNS0_10empty_typeEEEZZNS1_29radix_sort_onesweep_iterationIS3_Lb0EN6thrust23THRUST_200600_302600_NS6detail15normal_iteratorINS9_10device_ptrIjEEEESE_PS5_SF_jNS0_19identity_decomposerENS1_16block_id_wrapperIjLb1EEEEE10hipError_tT1_PNSt15iterator_traitsISK_E10value_typeET2_T3_PNSL_ISQ_E10value_typeET4_T5_PSV_SW_PNS1_23onesweep_lookback_stateEbbT6_jjT7_P12ihipStream_tbENKUlT_T0_SK_SP_E_clISE_PjSF_SF_EEDaS13_S14_SK_SP_EUlS13_E_NS1_11comp_targetILNS1_3genE6ELNS1_11target_archE950ELNS1_3gpuE13ELNS1_3repE0EEENS1_47radix_sort_onesweep_sort_config_static_selectorELNS0_4arch9wavefront6targetE1EEEvSK_ ; -- Begin function _ZN7rocprim17ROCPRIM_400000_NS6detail17trampoline_kernelINS0_14default_configENS1_35radix_sort_onesweep_config_selectorIjNS0_10empty_typeEEEZZNS1_29radix_sort_onesweep_iterationIS3_Lb0EN6thrust23THRUST_200600_302600_NS6detail15normal_iteratorINS9_10device_ptrIjEEEESE_PS5_SF_jNS0_19identity_decomposerENS1_16block_id_wrapperIjLb1EEEEE10hipError_tT1_PNSt15iterator_traitsISK_E10value_typeET2_T3_PNSL_ISQ_E10value_typeET4_T5_PSV_SW_PNS1_23onesweep_lookback_stateEbbT6_jjT7_P12ihipStream_tbENKUlT_T0_SK_SP_E_clISE_PjSF_SF_EEDaS13_S14_SK_SP_EUlS13_E_NS1_11comp_targetILNS1_3genE6ELNS1_11target_archE950ELNS1_3gpuE13ELNS1_3repE0EEENS1_47radix_sort_onesweep_sort_config_static_selectorELNS0_4arch9wavefront6targetE1EEEvSK_
	.globl	_ZN7rocprim17ROCPRIM_400000_NS6detail17trampoline_kernelINS0_14default_configENS1_35radix_sort_onesweep_config_selectorIjNS0_10empty_typeEEEZZNS1_29radix_sort_onesweep_iterationIS3_Lb0EN6thrust23THRUST_200600_302600_NS6detail15normal_iteratorINS9_10device_ptrIjEEEESE_PS5_SF_jNS0_19identity_decomposerENS1_16block_id_wrapperIjLb1EEEEE10hipError_tT1_PNSt15iterator_traitsISK_E10value_typeET2_T3_PNSL_ISQ_E10value_typeET4_T5_PSV_SW_PNS1_23onesweep_lookback_stateEbbT6_jjT7_P12ihipStream_tbENKUlT_T0_SK_SP_E_clISE_PjSF_SF_EEDaS13_S14_SK_SP_EUlS13_E_NS1_11comp_targetILNS1_3genE6ELNS1_11target_archE950ELNS1_3gpuE13ELNS1_3repE0EEENS1_47radix_sort_onesweep_sort_config_static_selectorELNS0_4arch9wavefront6targetE1EEEvSK_
	.p2align	8
	.type	_ZN7rocprim17ROCPRIM_400000_NS6detail17trampoline_kernelINS0_14default_configENS1_35radix_sort_onesweep_config_selectorIjNS0_10empty_typeEEEZZNS1_29radix_sort_onesweep_iterationIS3_Lb0EN6thrust23THRUST_200600_302600_NS6detail15normal_iteratorINS9_10device_ptrIjEEEESE_PS5_SF_jNS0_19identity_decomposerENS1_16block_id_wrapperIjLb1EEEEE10hipError_tT1_PNSt15iterator_traitsISK_E10value_typeET2_T3_PNSL_ISQ_E10value_typeET4_T5_PSV_SW_PNS1_23onesweep_lookback_stateEbbT6_jjT7_P12ihipStream_tbENKUlT_T0_SK_SP_E_clISE_PjSF_SF_EEDaS13_S14_SK_SP_EUlS13_E_NS1_11comp_targetILNS1_3genE6ELNS1_11target_archE950ELNS1_3gpuE13ELNS1_3repE0EEENS1_47radix_sort_onesweep_sort_config_static_selectorELNS0_4arch9wavefront6targetE1EEEvSK_,@function
_ZN7rocprim17ROCPRIM_400000_NS6detail17trampoline_kernelINS0_14default_configENS1_35radix_sort_onesweep_config_selectorIjNS0_10empty_typeEEEZZNS1_29radix_sort_onesweep_iterationIS3_Lb0EN6thrust23THRUST_200600_302600_NS6detail15normal_iteratorINS9_10device_ptrIjEEEESE_PS5_SF_jNS0_19identity_decomposerENS1_16block_id_wrapperIjLb1EEEEE10hipError_tT1_PNSt15iterator_traitsISK_E10value_typeET2_T3_PNSL_ISQ_E10value_typeET4_T5_PSV_SW_PNS1_23onesweep_lookback_stateEbbT6_jjT7_P12ihipStream_tbENKUlT_T0_SK_SP_E_clISE_PjSF_SF_EEDaS13_S14_SK_SP_EUlS13_E_NS1_11comp_targetILNS1_3genE6ELNS1_11target_archE950ELNS1_3gpuE13ELNS1_3repE0EEENS1_47radix_sort_onesweep_sort_config_static_selectorELNS0_4arch9wavefront6targetE1EEEvSK_: ; @_ZN7rocprim17ROCPRIM_400000_NS6detail17trampoline_kernelINS0_14default_configENS1_35radix_sort_onesweep_config_selectorIjNS0_10empty_typeEEEZZNS1_29radix_sort_onesweep_iterationIS3_Lb0EN6thrust23THRUST_200600_302600_NS6detail15normal_iteratorINS9_10device_ptrIjEEEESE_PS5_SF_jNS0_19identity_decomposerENS1_16block_id_wrapperIjLb1EEEEE10hipError_tT1_PNSt15iterator_traitsISK_E10value_typeET2_T3_PNSL_ISQ_E10value_typeET4_T5_PSV_SW_PNS1_23onesweep_lookback_stateEbbT6_jjT7_P12ihipStream_tbENKUlT_T0_SK_SP_E_clISE_PjSF_SF_EEDaS13_S14_SK_SP_EUlS13_E_NS1_11comp_targetILNS1_3genE6ELNS1_11target_archE950ELNS1_3gpuE13ELNS1_3repE0EEENS1_47radix_sort_onesweep_sort_config_static_selectorELNS0_4arch9wavefront6targetE1EEEvSK_
; %bb.0:
	.section	.rodata,"a",@progbits
	.p2align	6, 0x0
	.amdhsa_kernel _ZN7rocprim17ROCPRIM_400000_NS6detail17trampoline_kernelINS0_14default_configENS1_35radix_sort_onesweep_config_selectorIjNS0_10empty_typeEEEZZNS1_29radix_sort_onesweep_iterationIS3_Lb0EN6thrust23THRUST_200600_302600_NS6detail15normal_iteratorINS9_10device_ptrIjEEEESE_PS5_SF_jNS0_19identity_decomposerENS1_16block_id_wrapperIjLb1EEEEE10hipError_tT1_PNSt15iterator_traitsISK_E10value_typeET2_T3_PNSL_ISQ_E10value_typeET4_T5_PSV_SW_PNS1_23onesweep_lookback_stateEbbT6_jjT7_P12ihipStream_tbENKUlT_T0_SK_SP_E_clISE_PjSF_SF_EEDaS13_S14_SK_SP_EUlS13_E_NS1_11comp_targetILNS1_3genE6ELNS1_11target_archE950ELNS1_3gpuE13ELNS1_3repE0EEENS1_47radix_sort_onesweep_sort_config_static_selectorELNS0_4arch9wavefront6targetE1EEEvSK_
		.amdhsa_group_segment_fixed_size 0
		.amdhsa_private_segment_fixed_size 0
		.amdhsa_kernarg_size 88
		.amdhsa_user_sgpr_count 6
		.amdhsa_user_sgpr_private_segment_buffer 1
		.amdhsa_user_sgpr_dispatch_ptr 0
		.amdhsa_user_sgpr_queue_ptr 0
		.amdhsa_user_sgpr_kernarg_segment_ptr 1
		.amdhsa_user_sgpr_dispatch_id 0
		.amdhsa_user_sgpr_flat_scratch_init 0
		.amdhsa_user_sgpr_kernarg_preload_length 0
		.amdhsa_user_sgpr_kernarg_preload_offset 0
		.amdhsa_user_sgpr_private_segment_size 0
		.amdhsa_uses_dynamic_stack 0
		.amdhsa_system_sgpr_private_segment_wavefront_offset 0
		.amdhsa_system_sgpr_workgroup_id_x 1
		.amdhsa_system_sgpr_workgroup_id_y 0
		.amdhsa_system_sgpr_workgroup_id_z 0
		.amdhsa_system_sgpr_workgroup_info 0
		.amdhsa_system_vgpr_workitem_id 0
		.amdhsa_next_free_vgpr 1
		.amdhsa_next_free_sgpr 0
		.amdhsa_accum_offset 4
		.amdhsa_reserve_vcc 0
		.amdhsa_reserve_flat_scratch 0
		.amdhsa_float_round_mode_32 0
		.amdhsa_float_round_mode_16_64 0
		.amdhsa_float_denorm_mode_32 3
		.amdhsa_float_denorm_mode_16_64 3
		.amdhsa_dx10_clamp 1
		.amdhsa_ieee_mode 1
		.amdhsa_fp16_overflow 0
		.amdhsa_tg_split 0
		.amdhsa_exception_fp_ieee_invalid_op 0
		.amdhsa_exception_fp_denorm_src 0
		.amdhsa_exception_fp_ieee_div_zero 0
		.amdhsa_exception_fp_ieee_overflow 0
		.amdhsa_exception_fp_ieee_underflow 0
		.amdhsa_exception_fp_ieee_inexact 0
		.amdhsa_exception_int_div_zero 0
	.end_amdhsa_kernel
	.section	.text._ZN7rocprim17ROCPRIM_400000_NS6detail17trampoline_kernelINS0_14default_configENS1_35radix_sort_onesweep_config_selectorIjNS0_10empty_typeEEEZZNS1_29radix_sort_onesweep_iterationIS3_Lb0EN6thrust23THRUST_200600_302600_NS6detail15normal_iteratorINS9_10device_ptrIjEEEESE_PS5_SF_jNS0_19identity_decomposerENS1_16block_id_wrapperIjLb1EEEEE10hipError_tT1_PNSt15iterator_traitsISK_E10value_typeET2_T3_PNSL_ISQ_E10value_typeET4_T5_PSV_SW_PNS1_23onesweep_lookback_stateEbbT6_jjT7_P12ihipStream_tbENKUlT_T0_SK_SP_E_clISE_PjSF_SF_EEDaS13_S14_SK_SP_EUlS13_E_NS1_11comp_targetILNS1_3genE6ELNS1_11target_archE950ELNS1_3gpuE13ELNS1_3repE0EEENS1_47radix_sort_onesweep_sort_config_static_selectorELNS0_4arch9wavefront6targetE1EEEvSK_,"axG",@progbits,_ZN7rocprim17ROCPRIM_400000_NS6detail17trampoline_kernelINS0_14default_configENS1_35radix_sort_onesweep_config_selectorIjNS0_10empty_typeEEEZZNS1_29radix_sort_onesweep_iterationIS3_Lb0EN6thrust23THRUST_200600_302600_NS6detail15normal_iteratorINS9_10device_ptrIjEEEESE_PS5_SF_jNS0_19identity_decomposerENS1_16block_id_wrapperIjLb1EEEEE10hipError_tT1_PNSt15iterator_traitsISK_E10value_typeET2_T3_PNSL_ISQ_E10value_typeET4_T5_PSV_SW_PNS1_23onesweep_lookback_stateEbbT6_jjT7_P12ihipStream_tbENKUlT_T0_SK_SP_E_clISE_PjSF_SF_EEDaS13_S14_SK_SP_EUlS13_E_NS1_11comp_targetILNS1_3genE6ELNS1_11target_archE950ELNS1_3gpuE13ELNS1_3repE0EEENS1_47radix_sort_onesweep_sort_config_static_selectorELNS0_4arch9wavefront6targetE1EEEvSK_,comdat
.Lfunc_end1111:
	.size	_ZN7rocprim17ROCPRIM_400000_NS6detail17trampoline_kernelINS0_14default_configENS1_35radix_sort_onesweep_config_selectorIjNS0_10empty_typeEEEZZNS1_29radix_sort_onesweep_iterationIS3_Lb0EN6thrust23THRUST_200600_302600_NS6detail15normal_iteratorINS9_10device_ptrIjEEEESE_PS5_SF_jNS0_19identity_decomposerENS1_16block_id_wrapperIjLb1EEEEE10hipError_tT1_PNSt15iterator_traitsISK_E10value_typeET2_T3_PNSL_ISQ_E10value_typeET4_T5_PSV_SW_PNS1_23onesweep_lookback_stateEbbT6_jjT7_P12ihipStream_tbENKUlT_T0_SK_SP_E_clISE_PjSF_SF_EEDaS13_S14_SK_SP_EUlS13_E_NS1_11comp_targetILNS1_3genE6ELNS1_11target_archE950ELNS1_3gpuE13ELNS1_3repE0EEENS1_47radix_sort_onesweep_sort_config_static_selectorELNS0_4arch9wavefront6targetE1EEEvSK_, .Lfunc_end1111-_ZN7rocprim17ROCPRIM_400000_NS6detail17trampoline_kernelINS0_14default_configENS1_35radix_sort_onesweep_config_selectorIjNS0_10empty_typeEEEZZNS1_29radix_sort_onesweep_iterationIS3_Lb0EN6thrust23THRUST_200600_302600_NS6detail15normal_iteratorINS9_10device_ptrIjEEEESE_PS5_SF_jNS0_19identity_decomposerENS1_16block_id_wrapperIjLb1EEEEE10hipError_tT1_PNSt15iterator_traitsISK_E10value_typeET2_T3_PNSL_ISQ_E10value_typeET4_T5_PSV_SW_PNS1_23onesweep_lookback_stateEbbT6_jjT7_P12ihipStream_tbENKUlT_T0_SK_SP_E_clISE_PjSF_SF_EEDaS13_S14_SK_SP_EUlS13_E_NS1_11comp_targetILNS1_3genE6ELNS1_11target_archE950ELNS1_3gpuE13ELNS1_3repE0EEENS1_47radix_sort_onesweep_sort_config_static_selectorELNS0_4arch9wavefront6targetE1EEEvSK_
                                        ; -- End function
	.section	.AMDGPU.csdata,"",@progbits
; Kernel info:
; codeLenInByte = 0
; NumSgprs: 4
; NumVgprs: 0
; NumAgprs: 0
; TotalNumVgprs: 0
; ScratchSize: 0
; MemoryBound: 0
; FloatMode: 240
; IeeeMode: 1
; LDSByteSize: 0 bytes/workgroup (compile time only)
; SGPRBlocks: 0
; VGPRBlocks: 0
; NumSGPRsForWavesPerEU: 4
; NumVGPRsForWavesPerEU: 1
; AccumOffset: 4
; Occupancy: 8
; WaveLimiterHint : 0
; COMPUTE_PGM_RSRC2:SCRATCH_EN: 0
; COMPUTE_PGM_RSRC2:USER_SGPR: 6
; COMPUTE_PGM_RSRC2:TRAP_HANDLER: 0
; COMPUTE_PGM_RSRC2:TGID_X_EN: 1
; COMPUTE_PGM_RSRC2:TGID_Y_EN: 0
; COMPUTE_PGM_RSRC2:TGID_Z_EN: 0
; COMPUTE_PGM_RSRC2:TIDIG_COMP_CNT: 0
; COMPUTE_PGM_RSRC3_GFX90A:ACCUM_OFFSET: 0
; COMPUTE_PGM_RSRC3_GFX90A:TG_SPLIT: 0
	.section	.text._ZN7rocprim17ROCPRIM_400000_NS6detail17trampoline_kernelINS0_14default_configENS1_35radix_sort_onesweep_config_selectorIjNS0_10empty_typeEEEZZNS1_29radix_sort_onesweep_iterationIS3_Lb0EN6thrust23THRUST_200600_302600_NS6detail15normal_iteratorINS9_10device_ptrIjEEEESE_PS5_SF_jNS0_19identity_decomposerENS1_16block_id_wrapperIjLb1EEEEE10hipError_tT1_PNSt15iterator_traitsISK_E10value_typeET2_T3_PNSL_ISQ_E10value_typeET4_T5_PSV_SW_PNS1_23onesweep_lookback_stateEbbT6_jjT7_P12ihipStream_tbENKUlT_T0_SK_SP_E_clISE_PjSF_SF_EEDaS13_S14_SK_SP_EUlS13_E_NS1_11comp_targetILNS1_3genE5ELNS1_11target_archE942ELNS1_3gpuE9ELNS1_3repE0EEENS1_47radix_sort_onesweep_sort_config_static_selectorELNS0_4arch9wavefront6targetE1EEEvSK_,"axG",@progbits,_ZN7rocprim17ROCPRIM_400000_NS6detail17trampoline_kernelINS0_14default_configENS1_35radix_sort_onesweep_config_selectorIjNS0_10empty_typeEEEZZNS1_29radix_sort_onesweep_iterationIS3_Lb0EN6thrust23THRUST_200600_302600_NS6detail15normal_iteratorINS9_10device_ptrIjEEEESE_PS5_SF_jNS0_19identity_decomposerENS1_16block_id_wrapperIjLb1EEEEE10hipError_tT1_PNSt15iterator_traitsISK_E10value_typeET2_T3_PNSL_ISQ_E10value_typeET4_T5_PSV_SW_PNS1_23onesweep_lookback_stateEbbT6_jjT7_P12ihipStream_tbENKUlT_T0_SK_SP_E_clISE_PjSF_SF_EEDaS13_S14_SK_SP_EUlS13_E_NS1_11comp_targetILNS1_3genE5ELNS1_11target_archE942ELNS1_3gpuE9ELNS1_3repE0EEENS1_47radix_sort_onesweep_sort_config_static_selectorELNS0_4arch9wavefront6targetE1EEEvSK_,comdat
	.protected	_ZN7rocprim17ROCPRIM_400000_NS6detail17trampoline_kernelINS0_14default_configENS1_35radix_sort_onesweep_config_selectorIjNS0_10empty_typeEEEZZNS1_29radix_sort_onesweep_iterationIS3_Lb0EN6thrust23THRUST_200600_302600_NS6detail15normal_iteratorINS9_10device_ptrIjEEEESE_PS5_SF_jNS0_19identity_decomposerENS1_16block_id_wrapperIjLb1EEEEE10hipError_tT1_PNSt15iterator_traitsISK_E10value_typeET2_T3_PNSL_ISQ_E10value_typeET4_T5_PSV_SW_PNS1_23onesweep_lookback_stateEbbT6_jjT7_P12ihipStream_tbENKUlT_T0_SK_SP_E_clISE_PjSF_SF_EEDaS13_S14_SK_SP_EUlS13_E_NS1_11comp_targetILNS1_3genE5ELNS1_11target_archE942ELNS1_3gpuE9ELNS1_3repE0EEENS1_47radix_sort_onesweep_sort_config_static_selectorELNS0_4arch9wavefront6targetE1EEEvSK_ ; -- Begin function _ZN7rocprim17ROCPRIM_400000_NS6detail17trampoline_kernelINS0_14default_configENS1_35radix_sort_onesweep_config_selectorIjNS0_10empty_typeEEEZZNS1_29radix_sort_onesweep_iterationIS3_Lb0EN6thrust23THRUST_200600_302600_NS6detail15normal_iteratorINS9_10device_ptrIjEEEESE_PS5_SF_jNS0_19identity_decomposerENS1_16block_id_wrapperIjLb1EEEEE10hipError_tT1_PNSt15iterator_traitsISK_E10value_typeET2_T3_PNSL_ISQ_E10value_typeET4_T5_PSV_SW_PNS1_23onesweep_lookback_stateEbbT6_jjT7_P12ihipStream_tbENKUlT_T0_SK_SP_E_clISE_PjSF_SF_EEDaS13_S14_SK_SP_EUlS13_E_NS1_11comp_targetILNS1_3genE5ELNS1_11target_archE942ELNS1_3gpuE9ELNS1_3repE0EEENS1_47radix_sort_onesweep_sort_config_static_selectorELNS0_4arch9wavefront6targetE1EEEvSK_
	.globl	_ZN7rocprim17ROCPRIM_400000_NS6detail17trampoline_kernelINS0_14default_configENS1_35radix_sort_onesweep_config_selectorIjNS0_10empty_typeEEEZZNS1_29radix_sort_onesweep_iterationIS3_Lb0EN6thrust23THRUST_200600_302600_NS6detail15normal_iteratorINS9_10device_ptrIjEEEESE_PS5_SF_jNS0_19identity_decomposerENS1_16block_id_wrapperIjLb1EEEEE10hipError_tT1_PNSt15iterator_traitsISK_E10value_typeET2_T3_PNSL_ISQ_E10value_typeET4_T5_PSV_SW_PNS1_23onesweep_lookback_stateEbbT6_jjT7_P12ihipStream_tbENKUlT_T0_SK_SP_E_clISE_PjSF_SF_EEDaS13_S14_SK_SP_EUlS13_E_NS1_11comp_targetILNS1_3genE5ELNS1_11target_archE942ELNS1_3gpuE9ELNS1_3repE0EEENS1_47radix_sort_onesweep_sort_config_static_selectorELNS0_4arch9wavefront6targetE1EEEvSK_
	.p2align	8
	.type	_ZN7rocprim17ROCPRIM_400000_NS6detail17trampoline_kernelINS0_14default_configENS1_35radix_sort_onesweep_config_selectorIjNS0_10empty_typeEEEZZNS1_29radix_sort_onesweep_iterationIS3_Lb0EN6thrust23THRUST_200600_302600_NS6detail15normal_iteratorINS9_10device_ptrIjEEEESE_PS5_SF_jNS0_19identity_decomposerENS1_16block_id_wrapperIjLb1EEEEE10hipError_tT1_PNSt15iterator_traitsISK_E10value_typeET2_T3_PNSL_ISQ_E10value_typeET4_T5_PSV_SW_PNS1_23onesweep_lookback_stateEbbT6_jjT7_P12ihipStream_tbENKUlT_T0_SK_SP_E_clISE_PjSF_SF_EEDaS13_S14_SK_SP_EUlS13_E_NS1_11comp_targetILNS1_3genE5ELNS1_11target_archE942ELNS1_3gpuE9ELNS1_3repE0EEENS1_47radix_sort_onesweep_sort_config_static_selectorELNS0_4arch9wavefront6targetE1EEEvSK_,@function
_ZN7rocprim17ROCPRIM_400000_NS6detail17trampoline_kernelINS0_14default_configENS1_35radix_sort_onesweep_config_selectorIjNS0_10empty_typeEEEZZNS1_29radix_sort_onesweep_iterationIS3_Lb0EN6thrust23THRUST_200600_302600_NS6detail15normal_iteratorINS9_10device_ptrIjEEEESE_PS5_SF_jNS0_19identity_decomposerENS1_16block_id_wrapperIjLb1EEEEE10hipError_tT1_PNSt15iterator_traitsISK_E10value_typeET2_T3_PNSL_ISQ_E10value_typeET4_T5_PSV_SW_PNS1_23onesweep_lookback_stateEbbT6_jjT7_P12ihipStream_tbENKUlT_T0_SK_SP_E_clISE_PjSF_SF_EEDaS13_S14_SK_SP_EUlS13_E_NS1_11comp_targetILNS1_3genE5ELNS1_11target_archE942ELNS1_3gpuE9ELNS1_3repE0EEENS1_47radix_sort_onesweep_sort_config_static_selectorELNS0_4arch9wavefront6targetE1EEEvSK_: ; @_ZN7rocprim17ROCPRIM_400000_NS6detail17trampoline_kernelINS0_14default_configENS1_35radix_sort_onesweep_config_selectorIjNS0_10empty_typeEEEZZNS1_29radix_sort_onesweep_iterationIS3_Lb0EN6thrust23THRUST_200600_302600_NS6detail15normal_iteratorINS9_10device_ptrIjEEEESE_PS5_SF_jNS0_19identity_decomposerENS1_16block_id_wrapperIjLb1EEEEE10hipError_tT1_PNSt15iterator_traitsISK_E10value_typeET2_T3_PNSL_ISQ_E10value_typeET4_T5_PSV_SW_PNS1_23onesweep_lookback_stateEbbT6_jjT7_P12ihipStream_tbENKUlT_T0_SK_SP_E_clISE_PjSF_SF_EEDaS13_S14_SK_SP_EUlS13_E_NS1_11comp_targetILNS1_3genE5ELNS1_11target_archE942ELNS1_3gpuE9ELNS1_3repE0EEENS1_47radix_sort_onesweep_sort_config_static_selectorELNS0_4arch9wavefront6targetE1EEEvSK_
; %bb.0:
	.section	.rodata,"a",@progbits
	.p2align	6, 0x0
	.amdhsa_kernel _ZN7rocprim17ROCPRIM_400000_NS6detail17trampoline_kernelINS0_14default_configENS1_35radix_sort_onesweep_config_selectorIjNS0_10empty_typeEEEZZNS1_29radix_sort_onesweep_iterationIS3_Lb0EN6thrust23THRUST_200600_302600_NS6detail15normal_iteratorINS9_10device_ptrIjEEEESE_PS5_SF_jNS0_19identity_decomposerENS1_16block_id_wrapperIjLb1EEEEE10hipError_tT1_PNSt15iterator_traitsISK_E10value_typeET2_T3_PNSL_ISQ_E10value_typeET4_T5_PSV_SW_PNS1_23onesweep_lookback_stateEbbT6_jjT7_P12ihipStream_tbENKUlT_T0_SK_SP_E_clISE_PjSF_SF_EEDaS13_S14_SK_SP_EUlS13_E_NS1_11comp_targetILNS1_3genE5ELNS1_11target_archE942ELNS1_3gpuE9ELNS1_3repE0EEENS1_47radix_sort_onesweep_sort_config_static_selectorELNS0_4arch9wavefront6targetE1EEEvSK_
		.amdhsa_group_segment_fixed_size 0
		.amdhsa_private_segment_fixed_size 0
		.amdhsa_kernarg_size 88
		.amdhsa_user_sgpr_count 6
		.amdhsa_user_sgpr_private_segment_buffer 1
		.amdhsa_user_sgpr_dispatch_ptr 0
		.amdhsa_user_sgpr_queue_ptr 0
		.amdhsa_user_sgpr_kernarg_segment_ptr 1
		.amdhsa_user_sgpr_dispatch_id 0
		.amdhsa_user_sgpr_flat_scratch_init 0
		.amdhsa_user_sgpr_kernarg_preload_length 0
		.amdhsa_user_sgpr_kernarg_preload_offset 0
		.amdhsa_user_sgpr_private_segment_size 0
		.amdhsa_uses_dynamic_stack 0
		.amdhsa_system_sgpr_private_segment_wavefront_offset 0
		.amdhsa_system_sgpr_workgroup_id_x 1
		.amdhsa_system_sgpr_workgroup_id_y 0
		.amdhsa_system_sgpr_workgroup_id_z 0
		.amdhsa_system_sgpr_workgroup_info 0
		.amdhsa_system_vgpr_workitem_id 0
		.amdhsa_next_free_vgpr 1
		.amdhsa_next_free_sgpr 0
		.amdhsa_accum_offset 4
		.amdhsa_reserve_vcc 0
		.amdhsa_reserve_flat_scratch 0
		.amdhsa_float_round_mode_32 0
		.amdhsa_float_round_mode_16_64 0
		.amdhsa_float_denorm_mode_32 3
		.amdhsa_float_denorm_mode_16_64 3
		.amdhsa_dx10_clamp 1
		.amdhsa_ieee_mode 1
		.amdhsa_fp16_overflow 0
		.amdhsa_tg_split 0
		.amdhsa_exception_fp_ieee_invalid_op 0
		.amdhsa_exception_fp_denorm_src 0
		.amdhsa_exception_fp_ieee_div_zero 0
		.amdhsa_exception_fp_ieee_overflow 0
		.amdhsa_exception_fp_ieee_underflow 0
		.amdhsa_exception_fp_ieee_inexact 0
		.amdhsa_exception_int_div_zero 0
	.end_amdhsa_kernel
	.section	.text._ZN7rocprim17ROCPRIM_400000_NS6detail17trampoline_kernelINS0_14default_configENS1_35radix_sort_onesweep_config_selectorIjNS0_10empty_typeEEEZZNS1_29radix_sort_onesweep_iterationIS3_Lb0EN6thrust23THRUST_200600_302600_NS6detail15normal_iteratorINS9_10device_ptrIjEEEESE_PS5_SF_jNS0_19identity_decomposerENS1_16block_id_wrapperIjLb1EEEEE10hipError_tT1_PNSt15iterator_traitsISK_E10value_typeET2_T3_PNSL_ISQ_E10value_typeET4_T5_PSV_SW_PNS1_23onesweep_lookback_stateEbbT6_jjT7_P12ihipStream_tbENKUlT_T0_SK_SP_E_clISE_PjSF_SF_EEDaS13_S14_SK_SP_EUlS13_E_NS1_11comp_targetILNS1_3genE5ELNS1_11target_archE942ELNS1_3gpuE9ELNS1_3repE0EEENS1_47radix_sort_onesweep_sort_config_static_selectorELNS0_4arch9wavefront6targetE1EEEvSK_,"axG",@progbits,_ZN7rocprim17ROCPRIM_400000_NS6detail17trampoline_kernelINS0_14default_configENS1_35radix_sort_onesweep_config_selectorIjNS0_10empty_typeEEEZZNS1_29radix_sort_onesweep_iterationIS3_Lb0EN6thrust23THRUST_200600_302600_NS6detail15normal_iteratorINS9_10device_ptrIjEEEESE_PS5_SF_jNS0_19identity_decomposerENS1_16block_id_wrapperIjLb1EEEEE10hipError_tT1_PNSt15iterator_traitsISK_E10value_typeET2_T3_PNSL_ISQ_E10value_typeET4_T5_PSV_SW_PNS1_23onesweep_lookback_stateEbbT6_jjT7_P12ihipStream_tbENKUlT_T0_SK_SP_E_clISE_PjSF_SF_EEDaS13_S14_SK_SP_EUlS13_E_NS1_11comp_targetILNS1_3genE5ELNS1_11target_archE942ELNS1_3gpuE9ELNS1_3repE0EEENS1_47radix_sort_onesweep_sort_config_static_selectorELNS0_4arch9wavefront6targetE1EEEvSK_,comdat
.Lfunc_end1112:
	.size	_ZN7rocprim17ROCPRIM_400000_NS6detail17trampoline_kernelINS0_14default_configENS1_35radix_sort_onesweep_config_selectorIjNS0_10empty_typeEEEZZNS1_29radix_sort_onesweep_iterationIS3_Lb0EN6thrust23THRUST_200600_302600_NS6detail15normal_iteratorINS9_10device_ptrIjEEEESE_PS5_SF_jNS0_19identity_decomposerENS1_16block_id_wrapperIjLb1EEEEE10hipError_tT1_PNSt15iterator_traitsISK_E10value_typeET2_T3_PNSL_ISQ_E10value_typeET4_T5_PSV_SW_PNS1_23onesweep_lookback_stateEbbT6_jjT7_P12ihipStream_tbENKUlT_T0_SK_SP_E_clISE_PjSF_SF_EEDaS13_S14_SK_SP_EUlS13_E_NS1_11comp_targetILNS1_3genE5ELNS1_11target_archE942ELNS1_3gpuE9ELNS1_3repE0EEENS1_47radix_sort_onesweep_sort_config_static_selectorELNS0_4arch9wavefront6targetE1EEEvSK_, .Lfunc_end1112-_ZN7rocprim17ROCPRIM_400000_NS6detail17trampoline_kernelINS0_14default_configENS1_35radix_sort_onesweep_config_selectorIjNS0_10empty_typeEEEZZNS1_29radix_sort_onesweep_iterationIS3_Lb0EN6thrust23THRUST_200600_302600_NS6detail15normal_iteratorINS9_10device_ptrIjEEEESE_PS5_SF_jNS0_19identity_decomposerENS1_16block_id_wrapperIjLb1EEEEE10hipError_tT1_PNSt15iterator_traitsISK_E10value_typeET2_T3_PNSL_ISQ_E10value_typeET4_T5_PSV_SW_PNS1_23onesweep_lookback_stateEbbT6_jjT7_P12ihipStream_tbENKUlT_T0_SK_SP_E_clISE_PjSF_SF_EEDaS13_S14_SK_SP_EUlS13_E_NS1_11comp_targetILNS1_3genE5ELNS1_11target_archE942ELNS1_3gpuE9ELNS1_3repE0EEENS1_47radix_sort_onesweep_sort_config_static_selectorELNS0_4arch9wavefront6targetE1EEEvSK_
                                        ; -- End function
	.section	.AMDGPU.csdata,"",@progbits
; Kernel info:
; codeLenInByte = 0
; NumSgprs: 4
; NumVgprs: 0
; NumAgprs: 0
; TotalNumVgprs: 0
; ScratchSize: 0
; MemoryBound: 0
; FloatMode: 240
; IeeeMode: 1
; LDSByteSize: 0 bytes/workgroup (compile time only)
; SGPRBlocks: 0
; VGPRBlocks: 0
; NumSGPRsForWavesPerEU: 4
; NumVGPRsForWavesPerEU: 1
; AccumOffset: 4
; Occupancy: 8
; WaveLimiterHint : 0
; COMPUTE_PGM_RSRC2:SCRATCH_EN: 0
; COMPUTE_PGM_RSRC2:USER_SGPR: 6
; COMPUTE_PGM_RSRC2:TRAP_HANDLER: 0
; COMPUTE_PGM_RSRC2:TGID_X_EN: 1
; COMPUTE_PGM_RSRC2:TGID_Y_EN: 0
; COMPUTE_PGM_RSRC2:TGID_Z_EN: 0
; COMPUTE_PGM_RSRC2:TIDIG_COMP_CNT: 0
; COMPUTE_PGM_RSRC3_GFX90A:ACCUM_OFFSET: 0
; COMPUTE_PGM_RSRC3_GFX90A:TG_SPLIT: 0
	.section	.text._ZN7rocprim17ROCPRIM_400000_NS6detail17trampoline_kernelINS0_14default_configENS1_35radix_sort_onesweep_config_selectorIjNS0_10empty_typeEEEZZNS1_29radix_sort_onesweep_iterationIS3_Lb0EN6thrust23THRUST_200600_302600_NS6detail15normal_iteratorINS9_10device_ptrIjEEEESE_PS5_SF_jNS0_19identity_decomposerENS1_16block_id_wrapperIjLb1EEEEE10hipError_tT1_PNSt15iterator_traitsISK_E10value_typeET2_T3_PNSL_ISQ_E10value_typeET4_T5_PSV_SW_PNS1_23onesweep_lookback_stateEbbT6_jjT7_P12ihipStream_tbENKUlT_T0_SK_SP_E_clISE_PjSF_SF_EEDaS13_S14_SK_SP_EUlS13_E_NS1_11comp_targetILNS1_3genE2ELNS1_11target_archE906ELNS1_3gpuE6ELNS1_3repE0EEENS1_47radix_sort_onesweep_sort_config_static_selectorELNS0_4arch9wavefront6targetE1EEEvSK_,"axG",@progbits,_ZN7rocprim17ROCPRIM_400000_NS6detail17trampoline_kernelINS0_14default_configENS1_35radix_sort_onesweep_config_selectorIjNS0_10empty_typeEEEZZNS1_29radix_sort_onesweep_iterationIS3_Lb0EN6thrust23THRUST_200600_302600_NS6detail15normal_iteratorINS9_10device_ptrIjEEEESE_PS5_SF_jNS0_19identity_decomposerENS1_16block_id_wrapperIjLb1EEEEE10hipError_tT1_PNSt15iterator_traitsISK_E10value_typeET2_T3_PNSL_ISQ_E10value_typeET4_T5_PSV_SW_PNS1_23onesweep_lookback_stateEbbT6_jjT7_P12ihipStream_tbENKUlT_T0_SK_SP_E_clISE_PjSF_SF_EEDaS13_S14_SK_SP_EUlS13_E_NS1_11comp_targetILNS1_3genE2ELNS1_11target_archE906ELNS1_3gpuE6ELNS1_3repE0EEENS1_47radix_sort_onesweep_sort_config_static_selectorELNS0_4arch9wavefront6targetE1EEEvSK_,comdat
	.protected	_ZN7rocprim17ROCPRIM_400000_NS6detail17trampoline_kernelINS0_14default_configENS1_35radix_sort_onesweep_config_selectorIjNS0_10empty_typeEEEZZNS1_29radix_sort_onesweep_iterationIS3_Lb0EN6thrust23THRUST_200600_302600_NS6detail15normal_iteratorINS9_10device_ptrIjEEEESE_PS5_SF_jNS0_19identity_decomposerENS1_16block_id_wrapperIjLb1EEEEE10hipError_tT1_PNSt15iterator_traitsISK_E10value_typeET2_T3_PNSL_ISQ_E10value_typeET4_T5_PSV_SW_PNS1_23onesweep_lookback_stateEbbT6_jjT7_P12ihipStream_tbENKUlT_T0_SK_SP_E_clISE_PjSF_SF_EEDaS13_S14_SK_SP_EUlS13_E_NS1_11comp_targetILNS1_3genE2ELNS1_11target_archE906ELNS1_3gpuE6ELNS1_3repE0EEENS1_47radix_sort_onesweep_sort_config_static_selectorELNS0_4arch9wavefront6targetE1EEEvSK_ ; -- Begin function _ZN7rocprim17ROCPRIM_400000_NS6detail17trampoline_kernelINS0_14default_configENS1_35radix_sort_onesweep_config_selectorIjNS0_10empty_typeEEEZZNS1_29radix_sort_onesweep_iterationIS3_Lb0EN6thrust23THRUST_200600_302600_NS6detail15normal_iteratorINS9_10device_ptrIjEEEESE_PS5_SF_jNS0_19identity_decomposerENS1_16block_id_wrapperIjLb1EEEEE10hipError_tT1_PNSt15iterator_traitsISK_E10value_typeET2_T3_PNSL_ISQ_E10value_typeET4_T5_PSV_SW_PNS1_23onesweep_lookback_stateEbbT6_jjT7_P12ihipStream_tbENKUlT_T0_SK_SP_E_clISE_PjSF_SF_EEDaS13_S14_SK_SP_EUlS13_E_NS1_11comp_targetILNS1_3genE2ELNS1_11target_archE906ELNS1_3gpuE6ELNS1_3repE0EEENS1_47radix_sort_onesweep_sort_config_static_selectorELNS0_4arch9wavefront6targetE1EEEvSK_
	.globl	_ZN7rocprim17ROCPRIM_400000_NS6detail17trampoline_kernelINS0_14default_configENS1_35radix_sort_onesweep_config_selectorIjNS0_10empty_typeEEEZZNS1_29radix_sort_onesweep_iterationIS3_Lb0EN6thrust23THRUST_200600_302600_NS6detail15normal_iteratorINS9_10device_ptrIjEEEESE_PS5_SF_jNS0_19identity_decomposerENS1_16block_id_wrapperIjLb1EEEEE10hipError_tT1_PNSt15iterator_traitsISK_E10value_typeET2_T3_PNSL_ISQ_E10value_typeET4_T5_PSV_SW_PNS1_23onesweep_lookback_stateEbbT6_jjT7_P12ihipStream_tbENKUlT_T0_SK_SP_E_clISE_PjSF_SF_EEDaS13_S14_SK_SP_EUlS13_E_NS1_11comp_targetILNS1_3genE2ELNS1_11target_archE906ELNS1_3gpuE6ELNS1_3repE0EEENS1_47radix_sort_onesweep_sort_config_static_selectorELNS0_4arch9wavefront6targetE1EEEvSK_
	.p2align	8
	.type	_ZN7rocprim17ROCPRIM_400000_NS6detail17trampoline_kernelINS0_14default_configENS1_35radix_sort_onesweep_config_selectorIjNS0_10empty_typeEEEZZNS1_29radix_sort_onesweep_iterationIS3_Lb0EN6thrust23THRUST_200600_302600_NS6detail15normal_iteratorINS9_10device_ptrIjEEEESE_PS5_SF_jNS0_19identity_decomposerENS1_16block_id_wrapperIjLb1EEEEE10hipError_tT1_PNSt15iterator_traitsISK_E10value_typeET2_T3_PNSL_ISQ_E10value_typeET4_T5_PSV_SW_PNS1_23onesweep_lookback_stateEbbT6_jjT7_P12ihipStream_tbENKUlT_T0_SK_SP_E_clISE_PjSF_SF_EEDaS13_S14_SK_SP_EUlS13_E_NS1_11comp_targetILNS1_3genE2ELNS1_11target_archE906ELNS1_3gpuE6ELNS1_3repE0EEENS1_47radix_sort_onesweep_sort_config_static_selectorELNS0_4arch9wavefront6targetE1EEEvSK_,@function
_ZN7rocprim17ROCPRIM_400000_NS6detail17trampoline_kernelINS0_14default_configENS1_35radix_sort_onesweep_config_selectorIjNS0_10empty_typeEEEZZNS1_29radix_sort_onesweep_iterationIS3_Lb0EN6thrust23THRUST_200600_302600_NS6detail15normal_iteratorINS9_10device_ptrIjEEEESE_PS5_SF_jNS0_19identity_decomposerENS1_16block_id_wrapperIjLb1EEEEE10hipError_tT1_PNSt15iterator_traitsISK_E10value_typeET2_T3_PNSL_ISQ_E10value_typeET4_T5_PSV_SW_PNS1_23onesweep_lookback_stateEbbT6_jjT7_P12ihipStream_tbENKUlT_T0_SK_SP_E_clISE_PjSF_SF_EEDaS13_S14_SK_SP_EUlS13_E_NS1_11comp_targetILNS1_3genE2ELNS1_11target_archE906ELNS1_3gpuE6ELNS1_3repE0EEENS1_47radix_sort_onesweep_sort_config_static_selectorELNS0_4arch9wavefront6targetE1EEEvSK_: ; @_ZN7rocprim17ROCPRIM_400000_NS6detail17trampoline_kernelINS0_14default_configENS1_35radix_sort_onesweep_config_selectorIjNS0_10empty_typeEEEZZNS1_29radix_sort_onesweep_iterationIS3_Lb0EN6thrust23THRUST_200600_302600_NS6detail15normal_iteratorINS9_10device_ptrIjEEEESE_PS5_SF_jNS0_19identity_decomposerENS1_16block_id_wrapperIjLb1EEEEE10hipError_tT1_PNSt15iterator_traitsISK_E10value_typeET2_T3_PNSL_ISQ_E10value_typeET4_T5_PSV_SW_PNS1_23onesweep_lookback_stateEbbT6_jjT7_P12ihipStream_tbENKUlT_T0_SK_SP_E_clISE_PjSF_SF_EEDaS13_S14_SK_SP_EUlS13_E_NS1_11comp_targetILNS1_3genE2ELNS1_11target_archE906ELNS1_3gpuE6ELNS1_3repE0EEENS1_47radix_sort_onesweep_sort_config_static_selectorELNS0_4arch9wavefront6targetE1EEEvSK_
; %bb.0:
	.section	.rodata,"a",@progbits
	.p2align	6, 0x0
	.amdhsa_kernel _ZN7rocprim17ROCPRIM_400000_NS6detail17trampoline_kernelINS0_14default_configENS1_35radix_sort_onesweep_config_selectorIjNS0_10empty_typeEEEZZNS1_29radix_sort_onesweep_iterationIS3_Lb0EN6thrust23THRUST_200600_302600_NS6detail15normal_iteratorINS9_10device_ptrIjEEEESE_PS5_SF_jNS0_19identity_decomposerENS1_16block_id_wrapperIjLb1EEEEE10hipError_tT1_PNSt15iterator_traitsISK_E10value_typeET2_T3_PNSL_ISQ_E10value_typeET4_T5_PSV_SW_PNS1_23onesweep_lookback_stateEbbT6_jjT7_P12ihipStream_tbENKUlT_T0_SK_SP_E_clISE_PjSF_SF_EEDaS13_S14_SK_SP_EUlS13_E_NS1_11comp_targetILNS1_3genE2ELNS1_11target_archE906ELNS1_3gpuE6ELNS1_3repE0EEENS1_47radix_sort_onesweep_sort_config_static_selectorELNS0_4arch9wavefront6targetE1EEEvSK_
		.amdhsa_group_segment_fixed_size 0
		.amdhsa_private_segment_fixed_size 0
		.amdhsa_kernarg_size 88
		.amdhsa_user_sgpr_count 6
		.amdhsa_user_sgpr_private_segment_buffer 1
		.amdhsa_user_sgpr_dispatch_ptr 0
		.amdhsa_user_sgpr_queue_ptr 0
		.amdhsa_user_sgpr_kernarg_segment_ptr 1
		.amdhsa_user_sgpr_dispatch_id 0
		.amdhsa_user_sgpr_flat_scratch_init 0
		.amdhsa_user_sgpr_kernarg_preload_length 0
		.amdhsa_user_sgpr_kernarg_preload_offset 0
		.amdhsa_user_sgpr_private_segment_size 0
		.amdhsa_uses_dynamic_stack 0
		.amdhsa_system_sgpr_private_segment_wavefront_offset 0
		.amdhsa_system_sgpr_workgroup_id_x 1
		.amdhsa_system_sgpr_workgroup_id_y 0
		.amdhsa_system_sgpr_workgroup_id_z 0
		.amdhsa_system_sgpr_workgroup_info 0
		.amdhsa_system_vgpr_workitem_id 0
		.amdhsa_next_free_vgpr 1
		.amdhsa_next_free_sgpr 0
		.amdhsa_accum_offset 4
		.amdhsa_reserve_vcc 0
		.amdhsa_reserve_flat_scratch 0
		.amdhsa_float_round_mode_32 0
		.amdhsa_float_round_mode_16_64 0
		.amdhsa_float_denorm_mode_32 3
		.amdhsa_float_denorm_mode_16_64 3
		.amdhsa_dx10_clamp 1
		.amdhsa_ieee_mode 1
		.amdhsa_fp16_overflow 0
		.amdhsa_tg_split 0
		.amdhsa_exception_fp_ieee_invalid_op 0
		.amdhsa_exception_fp_denorm_src 0
		.amdhsa_exception_fp_ieee_div_zero 0
		.amdhsa_exception_fp_ieee_overflow 0
		.amdhsa_exception_fp_ieee_underflow 0
		.amdhsa_exception_fp_ieee_inexact 0
		.amdhsa_exception_int_div_zero 0
	.end_amdhsa_kernel
	.section	.text._ZN7rocprim17ROCPRIM_400000_NS6detail17trampoline_kernelINS0_14default_configENS1_35radix_sort_onesweep_config_selectorIjNS0_10empty_typeEEEZZNS1_29radix_sort_onesweep_iterationIS3_Lb0EN6thrust23THRUST_200600_302600_NS6detail15normal_iteratorINS9_10device_ptrIjEEEESE_PS5_SF_jNS0_19identity_decomposerENS1_16block_id_wrapperIjLb1EEEEE10hipError_tT1_PNSt15iterator_traitsISK_E10value_typeET2_T3_PNSL_ISQ_E10value_typeET4_T5_PSV_SW_PNS1_23onesweep_lookback_stateEbbT6_jjT7_P12ihipStream_tbENKUlT_T0_SK_SP_E_clISE_PjSF_SF_EEDaS13_S14_SK_SP_EUlS13_E_NS1_11comp_targetILNS1_3genE2ELNS1_11target_archE906ELNS1_3gpuE6ELNS1_3repE0EEENS1_47radix_sort_onesweep_sort_config_static_selectorELNS0_4arch9wavefront6targetE1EEEvSK_,"axG",@progbits,_ZN7rocprim17ROCPRIM_400000_NS6detail17trampoline_kernelINS0_14default_configENS1_35radix_sort_onesweep_config_selectorIjNS0_10empty_typeEEEZZNS1_29radix_sort_onesweep_iterationIS3_Lb0EN6thrust23THRUST_200600_302600_NS6detail15normal_iteratorINS9_10device_ptrIjEEEESE_PS5_SF_jNS0_19identity_decomposerENS1_16block_id_wrapperIjLb1EEEEE10hipError_tT1_PNSt15iterator_traitsISK_E10value_typeET2_T3_PNSL_ISQ_E10value_typeET4_T5_PSV_SW_PNS1_23onesweep_lookback_stateEbbT6_jjT7_P12ihipStream_tbENKUlT_T0_SK_SP_E_clISE_PjSF_SF_EEDaS13_S14_SK_SP_EUlS13_E_NS1_11comp_targetILNS1_3genE2ELNS1_11target_archE906ELNS1_3gpuE6ELNS1_3repE0EEENS1_47radix_sort_onesweep_sort_config_static_selectorELNS0_4arch9wavefront6targetE1EEEvSK_,comdat
.Lfunc_end1113:
	.size	_ZN7rocprim17ROCPRIM_400000_NS6detail17trampoline_kernelINS0_14default_configENS1_35radix_sort_onesweep_config_selectorIjNS0_10empty_typeEEEZZNS1_29radix_sort_onesweep_iterationIS3_Lb0EN6thrust23THRUST_200600_302600_NS6detail15normal_iteratorINS9_10device_ptrIjEEEESE_PS5_SF_jNS0_19identity_decomposerENS1_16block_id_wrapperIjLb1EEEEE10hipError_tT1_PNSt15iterator_traitsISK_E10value_typeET2_T3_PNSL_ISQ_E10value_typeET4_T5_PSV_SW_PNS1_23onesweep_lookback_stateEbbT6_jjT7_P12ihipStream_tbENKUlT_T0_SK_SP_E_clISE_PjSF_SF_EEDaS13_S14_SK_SP_EUlS13_E_NS1_11comp_targetILNS1_3genE2ELNS1_11target_archE906ELNS1_3gpuE6ELNS1_3repE0EEENS1_47radix_sort_onesweep_sort_config_static_selectorELNS0_4arch9wavefront6targetE1EEEvSK_, .Lfunc_end1113-_ZN7rocprim17ROCPRIM_400000_NS6detail17trampoline_kernelINS0_14default_configENS1_35radix_sort_onesweep_config_selectorIjNS0_10empty_typeEEEZZNS1_29radix_sort_onesweep_iterationIS3_Lb0EN6thrust23THRUST_200600_302600_NS6detail15normal_iteratorINS9_10device_ptrIjEEEESE_PS5_SF_jNS0_19identity_decomposerENS1_16block_id_wrapperIjLb1EEEEE10hipError_tT1_PNSt15iterator_traitsISK_E10value_typeET2_T3_PNSL_ISQ_E10value_typeET4_T5_PSV_SW_PNS1_23onesweep_lookback_stateEbbT6_jjT7_P12ihipStream_tbENKUlT_T0_SK_SP_E_clISE_PjSF_SF_EEDaS13_S14_SK_SP_EUlS13_E_NS1_11comp_targetILNS1_3genE2ELNS1_11target_archE906ELNS1_3gpuE6ELNS1_3repE0EEENS1_47radix_sort_onesweep_sort_config_static_selectorELNS0_4arch9wavefront6targetE1EEEvSK_
                                        ; -- End function
	.section	.AMDGPU.csdata,"",@progbits
; Kernel info:
; codeLenInByte = 0
; NumSgprs: 4
; NumVgprs: 0
; NumAgprs: 0
; TotalNumVgprs: 0
; ScratchSize: 0
; MemoryBound: 0
; FloatMode: 240
; IeeeMode: 1
; LDSByteSize: 0 bytes/workgroup (compile time only)
; SGPRBlocks: 0
; VGPRBlocks: 0
; NumSGPRsForWavesPerEU: 4
; NumVGPRsForWavesPerEU: 1
; AccumOffset: 4
; Occupancy: 8
; WaveLimiterHint : 0
; COMPUTE_PGM_RSRC2:SCRATCH_EN: 0
; COMPUTE_PGM_RSRC2:USER_SGPR: 6
; COMPUTE_PGM_RSRC2:TRAP_HANDLER: 0
; COMPUTE_PGM_RSRC2:TGID_X_EN: 1
; COMPUTE_PGM_RSRC2:TGID_Y_EN: 0
; COMPUTE_PGM_RSRC2:TGID_Z_EN: 0
; COMPUTE_PGM_RSRC2:TIDIG_COMP_CNT: 0
; COMPUTE_PGM_RSRC3_GFX90A:ACCUM_OFFSET: 0
; COMPUTE_PGM_RSRC3_GFX90A:TG_SPLIT: 0
	.section	.text._ZN7rocprim17ROCPRIM_400000_NS6detail17trampoline_kernelINS0_14default_configENS1_35radix_sort_onesweep_config_selectorIjNS0_10empty_typeEEEZZNS1_29radix_sort_onesweep_iterationIS3_Lb0EN6thrust23THRUST_200600_302600_NS6detail15normal_iteratorINS9_10device_ptrIjEEEESE_PS5_SF_jNS0_19identity_decomposerENS1_16block_id_wrapperIjLb1EEEEE10hipError_tT1_PNSt15iterator_traitsISK_E10value_typeET2_T3_PNSL_ISQ_E10value_typeET4_T5_PSV_SW_PNS1_23onesweep_lookback_stateEbbT6_jjT7_P12ihipStream_tbENKUlT_T0_SK_SP_E_clISE_PjSF_SF_EEDaS13_S14_SK_SP_EUlS13_E_NS1_11comp_targetILNS1_3genE4ELNS1_11target_archE910ELNS1_3gpuE8ELNS1_3repE0EEENS1_47radix_sort_onesweep_sort_config_static_selectorELNS0_4arch9wavefront6targetE1EEEvSK_,"axG",@progbits,_ZN7rocprim17ROCPRIM_400000_NS6detail17trampoline_kernelINS0_14default_configENS1_35radix_sort_onesweep_config_selectorIjNS0_10empty_typeEEEZZNS1_29radix_sort_onesweep_iterationIS3_Lb0EN6thrust23THRUST_200600_302600_NS6detail15normal_iteratorINS9_10device_ptrIjEEEESE_PS5_SF_jNS0_19identity_decomposerENS1_16block_id_wrapperIjLb1EEEEE10hipError_tT1_PNSt15iterator_traitsISK_E10value_typeET2_T3_PNSL_ISQ_E10value_typeET4_T5_PSV_SW_PNS1_23onesweep_lookback_stateEbbT6_jjT7_P12ihipStream_tbENKUlT_T0_SK_SP_E_clISE_PjSF_SF_EEDaS13_S14_SK_SP_EUlS13_E_NS1_11comp_targetILNS1_3genE4ELNS1_11target_archE910ELNS1_3gpuE8ELNS1_3repE0EEENS1_47radix_sort_onesweep_sort_config_static_selectorELNS0_4arch9wavefront6targetE1EEEvSK_,comdat
	.protected	_ZN7rocprim17ROCPRIM_400000_NS6detail17trampoline_kernelINS0_14default_configENS1_35radix_sort_onesweep_config_selectorIjNS0_10empty_typeEEEZZNS1_29radix_sort_onesweep_iterationIS3_Lb0EN6thrust23THRUST_200600_302600_NS6detail15normal_iteratorINS9_10device_ptrIjEEEESE_PS5_SF_jNS0_19identity_decomposerENS1_16block_id_wrapperIjLb1EEEEE10hipError_tT1_PNSt15iterator_traitsISK_E10value_typeET2_T3_PNSL_ISQ_E10value_typeET4_T5_PSV_SW_PNS1_23onesweep_lookback_stateEbbT6_jjT7_P12ihipStream_tbENKUlT_T0_SK_SP_E_clISE_PjSF_SF_EEDaS13_S14_SK_SP_EUlS13_E_NS1_11comp_targetILNS1_3genE4ELNS1_11target_archE910ELNS1_3gpuE8ELNS1_3repE0EEENS1_47radix_sort_onesweep_sort_config_static_selectorELNS0_4arch9wavefront6targetE1EEEvSK_ ; -- Begin function _ZN7rocprim17ROCPRIM_400000_NS6detail17trampoline_kernelINS0_14default_configENS1_35radix_sort_onesweep_config_selectorIjNS0_10empty_typeEEEZZNS1_29radix_sort_onesweep_iterationIS3_Lb0EN6thrust23THRUST_200600_302600_NS6detail15normal_iteratorINS9_10device_ptrIjEEEESE_PS5_SF_jNS0_19identity_decomposerENS1_16block_id_wrapperIjLb1EEEEE10hipError_tT1_PNSt15iterator_traitsISK_E10value_typeET2_T3_PNSL_ISQ_E10value_typeET4_T5_PSV_SW_PNS1_23onesweep_lookback_stateEbbT6_jjT7_P12ihipStream_tbENKUlT_T0_SK_SP_E_clISE_PjSF_SF_EEDaS13_S14_SK_SP_EUlS13_E_NS1_11comp_targetILNS1_3genE4ELNS1_11target_archE910ELNS1_3gpuE8ELNS1_3repE0EEENS1_47radix_sort_onesweep_sort_config_static_selectorELNS0_4arch9wavefront6targetE1EEEvSK_
	.globl	_ZN7rocprim17ROCPRIM_400000_NS6detail17trampoline_kernelINS0_14default_configENS1_35radix_sort_onesweep_config_selectorIjNS0_10empty_typeEEEZZNS1_29radix_sort_onesweep_iterationIS3_Lb0EN6thrust23THRUST_200600_302600_NS6detail15normal_iteratorINS9_10device_ptrIjEEEESE_PS5_SF_jNS0_19identity_decomposerENS1_16block_id_wrapperIjLb1EEEEE10hipError_tT1_PNSt15iterator_traitsISK_E10value_typeET2_T3_PNSL_ISQ_E10value_typeET4_T5_PSV_SW_PNS1_23onesweep_lookback_stateEbbT6_jjT7_P12ihipStream_tbENKUlT_T0_SK_SP_E_clISE_PjSF_SF_EEDaS13_S14_SK_SP_EUlS13_E_NS1_11comp_targetILNS1_3genE4ELNS1_11target_archE910ELNS1_3gpuE8ELNS1_3repE0EEENS1_47radix_sort_onesweep_sort_config_static_selectorELNS0_4arch9wavefront6targetE1EEEvSK_
	.p2align	8
	.type	_ZN7rocprim17ROCPRIM_400000_NS6detail17trampoline_kernelINS0_14default_configENS1_35radix_sort_onesweep_config_selectorIjNS0_10empty_typeEEEZZNS1_29radix_sort_onesweep_iterationIS3_Lb0EN6thrust23THRUST_200600_302600_NS6detail15normal_iteratorINS9_10device_ptrIjEEEESE_PS5_SF_jNS0_19identity_decomposerENS1_16block_id_wrapperIjLb1EEEEE10hipError_tT1_PNSt15iterator_traitsISK_E10value_typeET2_T3_PNSL_ISQ_E10value_typeET4_T5_PSV_SW_PNS1_23onesweep_lookback_stateEbbT6_jjT7_P12ihipStream_tbENKUlT_T0_SK_SP_E_clISE_PjSF_SF_EEDaS13_S14_SK_SP_EUlS13_E_NS1_11comp_targetILNS1_3genE4ELNS1_11target_archE910ELNS1_3gpuE8ELNS1_3repE0EEENS1_47radix_sort_onesweep_sort_config_static_selectorELNS0_4arch9wavefront6targetE1EEEvSK_,@function
_ZN7rocprim17ROCPRIM_400000_NS6detail17trampoline_kernelINS0_14default_configENS1_35radix_sort_onesweep_config_selectorIjNS0_10empty_typeEEEZZNS1_29radix_sort_onesweep_iterationIS3_Lb0EN6thrust23THRUST_200600_302600_NS6detail15normal_iteratorINS9_10device_ptrIjEEEESE_PS5_SF_jNS0_19identity_decomposerENS1_16block_id_wrapperIjLb1EEEEE10hipError_tT1_PNSt15iterator_traitsISK_E10value_typeET2_T3_PNSL_ISQ_E10value_typeET4_T5_PSV_SW_PNS1_23onesweep_lookback_stateEbbT6_jjT7_P12ihipStream_tbENKUlT_T0_SK_SP_E_clISE_PjSF_SF_EEDaS13_S14_SK_SP_EUlS13_E_NS1_11comp_targetILNS1_3genE4ELNS1_11target_archE910ELNS1_3gpuE8ELNS1_3repE0EEENS1_47radix_sort_onesweep_sort_config_static_selectorELNS0_4arch9wavefront6targetE1EEEvSK_: ; @_ZN7rocprim17ROCPRIM_400000_NS6detail17trampoline_kernelINS0_14default_configENS1_35radix_sort_onesweep_config_selectorIjNS0_10empty_typeEEEZZNS1_29radix_sort_onesweep_iterationIS3_Lb0EN6thrust23THRUST_200600_302600_NS6detail15normal_iteratorINS9_10device_ptrIjEEEESE_PS5_SF_jNS0_19identity_decomposerENS1_16block_id_wrapperIjLb1EEEEE10hipError_tT1_PNSt15iterator_traitsISK_E10value_typeET2_T3_PNSL_ISQ_E10value_typeET4_T5_PSV_SW_PNS1_23onesweep_lookback_stateEbbT6_jjT7_P12ihipStream_tbENKUlT_T0_SK_SP_E_clISE_PjSF_SF_EEDaS13_S14_SK_SP_EUlS13_E_NS1_11comp_targetILNS1_3genE4ELNS1_11target_archE910ELNS1_3gpuE8ELNS1_3repE0EEENS1_47radix_sort_onesweep_sort_config_static_selectorELNS0_4arch9wavefront6targetE1EEEvSK_
; %bb.0:
	s_load_dwordx4 s[16:19], s[4:5], 0x28
	s_load_dwordx2 s[14:15], s[4:5], 0x38
	s_load_dwordx4 s[20:23], s[4:5], 0x44
	v_and_b32_e32 v2, 0x3ff, v0
	v_cmp_eq_u32_e64 s[0:1], 0, v2
	s_and_saveexec_b64 s[2:3], s[0:1]
	s_cbranch_execz .LBB1114_4
; %bb.1:
	s_mov_b64 s[10:11], exec
	v_mbcnt_lo_u32_b32 v1, s10, 0
	v_mbcnt_hi_u32_b32 v1, s11, v1
	v_cmp_eq_u32_e32 vcc, 0, v1
                                        ; implicit-def: $vgpr3
	s_and_saveexec_b64 s[8:9], vcc
	s_cbranch_execz .LBB1114_3
; %bb.2:
	s_load_dwordx2 s[12:13], s[4:5], 0x50
	s_bcnt1_i32_b64 s7, s[10:11]
	v_mov_b32_e32 v3, 0
	v_mov_b32_e32 v4, s7
	s_waitcnt lgkmcnt(0)
	global_atomic_add v3, v3, v4, s[12:13] glc
.LBB1114_3:
	s_or_b64 exec, exec, s[8:9]
	s_waitcnt vmcnt(0)
	v_readfirstlane_b32 s7, v3
	v_add_u32_e32 v1, s7, v1
	v_mov_b32_e32 v3, 0
	ds_write_b32 v3, v1 offset:20544
.LBB1114_4:
	s_or_b64 exec, exec, s[2:3]
	v_mov_b32_e32 v1, 0
	s_load_dwordx4 s[24:27], s[4:5], 0x0
	s_load_dword s2, s[4:5], 0x20
	s_waitcnt lgkmcnt(0)
	s_barrier
	ds_read_b32 v1, v1 offset:20544
	s_waitcnt lgkmcnt(0)
	s_barrier
	v_readfirstlane_b32 s30, v1
	v_cmp_le_u32_e32 vcc, s22, v1
	s_mul_i32 s28, s30, 0x3000
	v_mbcnt_lo_u32_b32 v1, -1, 0
	s_cbranch_vccz .LBB1114_83
; %bb.5:
	s_mul_i32 s7, s22, 0xffffd000
	s_mov_b32 s29, 0
	s_add_i32 s7, s7, s2
	s_lshl_b64 s[2:3], s[28:29], 2
	v_mbcnt_hi_u32_b32 v8, -1, v1
	s_add_u32 s2, s24, s2
	v_and_b32_e32 v3, 63, v8
	v_and_b32_e32 v4, 0x3c0, v2
	s_addc_u32 s3, s25, s3
	v_mul_u32_u24_e32 v6, 12, v4
	v_lshlrev_b32_e32 v4, 2, v3
	v_mov_b32_e32 v5, s3
	v_add_co_u32_e32 v4, vcc, s2, v4
	v_addc_co_u32_e32 v5, vcc, 0, v5, vcc
	v_lshlrev_b32_e32 v7, 2, v6
	v_add_co_u32_e32 v4, vcc, v4, v7
	v_addc_co_u32_e32 v5, vcc, 0, v5, vcc
	v_or_b32_e32 v6, v3, v6
	v_cmp_gt_u32_e32 vcc, s7, v6
	v_mov_b32_e32 v3, -1
	v_mov_b32_e32 v10, -1
	s_and_saveexec_b64 s[2:3], vcc
	s_cbranch_execz .LBB1114_7
; %bb.6:
	global_load_dword v10, v[4:5], off
.LBB1114_7:
	s_or_b64 exec, exec, s[2:3]
	v_or_b32_e32 v7, 64, v6
	v_cmp_gt_u32_e32 vcc, s7, v7
	v_mov_b32_e32 v11, -1
	s_and_saveexec_b64 s[2:3], vcc
	s_cbranch_execz .LBB1114_9
; %bb.8:
	global_load_dword v11, v[4:5], off offset:256
.LBB1114_9:
	s_or_b64 exec, exec, s[2:3]
	v_or_b32_e32 v7, 0x80, v6
	v_cmp_gt_u32_e32 vcc, s7, v7
	s_and_saveexec_b64 s[2:3], vcc
	s_cbranch_execz .LBB1114_11
; %bb.10:
	global_load_dword v3, v[4:5], off offset:512
.LBB1114_11:
	s_or_b64 exec, exec, s[2:3]
	v_or_b32_e32 v7, 0xc0, v6
	v_cmp_gt_u32_e32 vcc, s7, v7
	v_mov_b32_e32 v12, -1
	v_mov_b32_e32 v13, -1
	s_and_saveexec_b64 s[2:3], vcc
	s_cbranch_execz .LBB1114_13
; %bb.12:
	global_load_dword v13, v[4:5], off offset:768
.LBB1114_13:
	s_or_b64 exec, exec, s[2:3]
	v_add_u32_e32 v7, 0x100, v6
	v_cmp_gt_u32_e32 vcc, s7, v7
	s_and_saveexec_b64 s[2:3], vcc
	s_cbranch_execz .LBB1114_15
; %bb.14:
	global_load_dword v12, v[4:5], off offset:1024
.LBB1114_15:
	s_or_b64 exec, exec, s[2:3]
	v_add_u32_e32 v7, 0x140, v6
	v_cmp_gt_u32_e32 vcc, s7, v7
	v_mov_b32_e32 v14, -1
	v_mov_b32_e32 v15, -1
	s_and_saveexec_b64 s[2:3], vcc
	s_cbranch_execz .LBB1114_17
; %bb.16:
	global_load_dword v15, v[4:5], off offset:1280
.LBB1114_17:
	s_or_b64 exec, exec, s[2:3]
	v_add_u32_e32 v7, 0x180, v6
	v_cmp_gt_u32_e32 vcc, s7, v7
	s_and_saveexec_b64 s[2:3], vcc
	s_cbranch_execz .LBB1114_19
; %bb.18:
	global_load_dword v14, v[4:5], off offset:1536
.LBB1114_19:
	s_or_b64 exec, exec, s[2:3]
	v_add_u32_e32 v7, 0x1c0, v6
	;; [unrolled: 18-line block ×4, first 2 shown]
	v_cmp_gt_u32_e32 vcc, s7, v6
	v_mov_b32_e32 v20, -1
	s_and_saveexec_b64 s[2:3], vcc
	s_cbranch_execz .LBB1114_29
; %bb.28:
	global_load_dword v20, v[4:5], off offset:2816
.LBB1114_29:
	s_or_b64 exec, exec, s[2:3]
	s_load_dword s2, s[4:5], 0x64
	s_load_dword s29, s[4:5], 0x58
	s_add_u32 s3, s4, 0x58
	s_addc_u32 s8, s5, 0
	v_mov_b32_e32 v4, 0
	s_waitcnt lgkmcnt(0)
	s_lshr_b32 s9, s2, 16
	s_cmp_lt_u32 s6, s29
	s_cselect_b32 s2, 12, 18
	s_add_u32 s2, s3, s2
	s_addc_u32 s3, s8, 0
	global_load_ushort v6, v4, s[2:3]
	s_lshl_b32 s2, -1, s21
	s_waitcnt vmcnt(1)
	v_lshrrev_b32_e32 v21, s20, v10
	s_not_b32 s31, s2
	v_and_b32_e32 v21, s31, v21
	v_and_b32_e32 v23, 1, v21
	v_bfe_u32 v5, v0, 10, 10
	v_bfe_u32 v7, v0, 20, 10
	v_add_co_u32_e32 v24, vcc, -1, v23
	v_mad_u32_u24 v7, v7, s9, v5
	v_lshlrev_b32_e32 v5, 30, v21
	v_addc_co_u32_e64 v25, s[2:3], 0, -1, vcc
	v_cmp_ne_u32_e32 vcc, 0, v23
	v_cmp_gt_i64_e64 s[2:3], 0, v[4:5]
	v_not_b32_e32 v23, v5
	v_lshlrev_b32_e32 v5, 29, v21
	v_xor_b32_e32 v25, vcc_hi, v25
	v_xor_b32_e32 v24, vcc_lo, v24
	v_ashrrev_i32_e32 v23, 31, v23
	v_cmp_gt_i64_e32 vcc, 0, v[4:5]
	v_not_b32_e32 v26, v5
	v_lshlrev_b32_e32 v5, 28, v21
	v_and_b32_e32 v25, exec_hi, v25
	v_and_b32_e32 v24, exec_lo, v24
	v_xor_b32_e32 v27, s3, v23
	v_xor_b32_e32 v23, s2, v23
	v_ashrrev_i32_e32 v26, 31, v26
	v_cmp_gt_i64_e64 s[2:3], 0, v[4:5]
	v_not_b32_e32 v28, v5
	v_lshlrev_b32_e32 v5, 27, v21
	v_and_b32_e32 v25, v25, v27
	v_and_b32_e32 v23, v24, v23
	v_xor_b32_e32 v24, vcc_hi, v26
	v_xor_b32_e32 v26, vcc_lo, v26
	v_ashrrev_i32_e32 v27, 31, v28
	v_cmp_gt_i64_e32 vcc, 0, v[4:5]
	v_not_b32_e32 v28, v5
	v_lshlrev_b32_e32 v5, 26, v21
	v_and_b32_e32 v24, v25, v24
	v_and_b32_e32 v23, v23, v26
	v_xor_b32_e32 v25, s3, v27
	v_xor_b32_e32 v26, s2, v27
	v_ashrrev_i32_e32 v27, 31, v28
	v_cmp_gt_i64_e64 s[2:3], 0, v[4:5]
	v_not_b32_e32 v28, v5
	v_lshlrev_b32_e32 v5, 25, v21
	v_and_b32_e32 v24, v24, v25
	v_and_b32_e32 v23, v23, v26
	v_xor_b32_e32 v25, vcc_hi, v27
	v_xor_b32_e32 v26, vcc_lo, v27
	v_ashrrev_i32_e32 v27, 31, v28
	v_cmp_gt_i64_e32 vcc, 0, v[4:5]
	v_not_b32_e32 v28, v5
	v_lshlrev_b32_e32 v5, 24, v21
	v_lshl_add_u32 v22, v21, 4, v21
	v_and_b32_e32 v21, v24, v25
	v_and_b32_e32 v23, v23, v26
	v_xor_b32_e32 v24, s3, v27
	v_xor_b32_e32 v25, s2, v27
	v_ashrrev_i32_e32 v26, 31, v28
	v_cmp_gt_i64_e64 s[2:3], 0, v[4:5]
	v_not_b32_e32 v5, v5
	v_and_b32_e32 v21, v21, v24
	v_and_b32_e32 v23, v23, v25
	v_xor_b32_e32 v24, vcc_hi, v26
	v_xor_b32_e32 v25, vcc_lo, v26
	v_ashrrev_i32_e32 v5, 31, v5
	v_and_b32_e32 v21, v21, v24
	v_and_b32_e32 v23, v23, v25
	v_mul_u32_u24_e32 v9, 5, v2
	v_lshlrev_b32_e32 v9, 2, v9
	ds_write2_b32 v9, v4, v4 offset0:16 offset1:17
	ds_write2_b32 v9, v4, v4 offset0:18 offset1:19
	ds_write_b32 v9, v4 offset:80
	s_waitcnt lgkmcnt(0)
	s_barrier
	s_waitcnt lgkmcnt(0)
	; wave barrier
	s_waitcnt vmcnt(0)
	v_mad_u64_u32 v[6:7], s[8:9], v7, v6, v[2:3]
	v_lshrrev_b32_e32 v32, 6, v6
	v_xor_b32_e32 v6, s3, v5
	v_xor_b32_e32 v5, s2, v5
	v_and_b32_e32 v7, v21, v6
	v_and_b32_e32 v6, v23, v5
	v_mbcnt_lo_u32_b32 v5, v6, 0
	v_mbcnt_hi_u32_b32 v21, v7, v5
	v_cmp_eq_u32_e32 vcc, 0, v21
	v_cmp_ne_u64_e64 s[2:3], 0, v[6:7]
	v_add_lshl_u32 v25, v32, v22, 2
	s_and_b64 s[8:9], s[2:3], vcc
	s_and_saveexec_b64 s[2:3], s[8:9]
	s_cbranch_execz .LBB1114_31
; %bb.30:
	v_bcnt_u32_b32 v5, v6, 0
	v_bcnt_u32_b32 v5, v7, v5
	ds_write_b32 v25, v5 offset:64
.LBB1114_31:
	s_or_b64 exec, exec, s[2:3]
	v_lshrrev_b32_e32 v5, s20, v11
	v_and_b32_e32 v6, s31, v5
	v_lshl_add_u32 v5, v6, 4, v6
	v_add_lshl_u32 v26, v32, v5, 2
	v_and_b32_e32 v5, 1, v6
	v_add_co_u32_e32 v7, vcc, -1, v5
	v_addc_co_u32_e64 v23, s[2:3], 0, -1, vcc
	v_cmp_ne_u32_e32 vcc, 0, v5
	v_xor_b32_e32 v5, vcc_hi, v23
	v_and_b32_e32 v23, exec_hi, v5
	v_lshlrev_b32_e32 v5, 30, v6
	v_xor_b32_e32 v7, vcc_lo, v7
	v_cmp_gt_i64_e32 vcc, 0, v[4:5]
	v_not_b32_e32 v5, v5
	v_ashrrev_i32_e32 v5, 31, v5
	v_and_b32_e32 v7, exec_lo, v7
	v_xor_b32_e32 v24, vcc_hi, v5
	v_xor_b32_e32 v5, vcc_lo, v5
	v_and_b32_e32 v7, v7, v5
	v_lshlrev_b32_e32 v5, 29, v6
	v_cmp_gt_i64_e32 vcc, 0, v[4:5]
	v_not_b32_e32 v5, v5
	v_ashrrev_i32_e32 v5, 31, v5
	v_and_b32_e32 v23, v23, v24
	v_xor_b32_e32 v24, vcc_hi, v5
	v_xor_b32_e32 v5, vcc_lo, v5
	v_and_b32_e32 v7, v7, v5
	v_lshlrev_b32_e32 v5, 28, v6
	v_cmp_gt_i64_e32 vcc, 0, v[4:5]
	v_not_b32_e32 v5, v5
	v_ashrrev_i32_e32 v5, 31, v5
	v_and_b32_e32 v23, v23, v24
	;; [unrolled: 8-line block ×5, first 2 shown]
	v_xor_b32_e32 v24, vcc_hi, v5
	v_xor_b32_e32 v5, vcc_lo, v5
	v_and_b32_e32 v7, v7, v5
	v_lshlrev_b32_e32 v5, 24, v6
	v_cmp_gt_i64_e32 vcc, 0, v[4:5]
	v_not_b32_e32 v4, v5
	v_ashrrev_i32_e32 v4, 31, v4
	v_xor_b32_e32 v5, vcc_hi, v4
	v_xor_b32_e32 v4, vcc_lo, v4
	; wave barrier
	ds_read_b32 v22, v26 offset:64
	v_and_b32_e32 v23, v23, v24
	v_and_b32_e32 v4, v7, v4
	;; [unrolled: 1-line block ×3, first 2 shown]
	v_mbcnt_lo_u32_b32 v6, v4, 0
	v_mbcnt_hi_u32_b32 v23, v5, v6
	v_cmp_eq_u32_e32 vcc, 0, v23
	v_cmp_ne_u64_e64 s[2:3], 0, v[4:5]
	s_and_b64 s[8:9], s[2:3], vcc
	; wave barrier
	s_and_saveexec_b64 s[2:3], s[8:9]
	s_cbranch_execz .LBB1114_33
; %bb.32:
	v_bcnt_u32_b32 v4, v4, 0
	v_bcnt_u32_b32 v4, v5, v4
	s_waitcnt lgkmcnt(0)
	v_add_u32_e32 v4, v22, v4
	ds_write_b32 v26, v4 offset:64
.LBB1114_33:
	s_or_b64 exec, exec, s[2:3]
	v_lshrrev_b32_e32 v4, s20, v3
	v_and_b32_e32 v6, s31, v4
	v_and_b32_e32 v5, 1, v6
	v_add_co_u32_e32 v7, vcc, -1, v5
	v_addc_co_u32_e64 v27, s[2:3], 0, -1, vcc
	v_cmp_ne_u32_e32 vcc, 0, v5
	v_lshl_add_u32 v4, v6, 4, v6
	v_xor_b32_e32 v5, vcc_hi, v27
	v_add_lshl_u32 v29, v32, v4, 2
	v_mov_b32_e32 v4, 0
	v_and_b32_e32 v27, exec_hi, v5
	v_lshlrev_b32_e32 v5, 30, v6
	v_xor_b32_e32 v7, vcc_lo, v7
	v_cmp_gt_i64_e32 vcc, 0, v[4:5]
	v_not_b32_e32 v5, v5
	v_ashrrev_i32_e32 v5, 31, v5
	v_and_b32_e32 v7, exec_lo, v7
	v_xor_b32_e32 v28, vcc_hi, v5
	v_xor_b32_e32 v5, vcc_lo, v5
	v_and_b32_e32 v7, v7, v5
	v_lshlrev_b32_e32 v5, 29, v6
	v_cmp_gt_i64_e32 vcc, 0, v[4:5]
	v_not_b32_e32 v5, v5
	v_ashrrev_i32_e32 v5, 31, v5
	v_and_b32_e32 v27, v27, v28
	v_xor_b32_e32 v28, vcc_hi, v5
	v_xor_b32_e32 v5, vcc_lo, v5
	v_and_b32_e32 v7, v7, v5
	v_lshlrev_b32_e32 v5, 28, v6
	v_cmp_gt_i64_e32 vcc, 0, v[4:5]
	v_not_b32_e32 v5, v5
	v_ashrrev_i32_e32 v5, 31, v5
	v_and_b32_e32 v27, v27, v28
	;; [unrolled: 8-line block ×5, first 2 shown]
	v_xor_b32_e32 v28, vcc_hi, v5
	v_xor_b32_e32 v5, vcc_lo, v5
	v_and_b32_e32 v27, v27, v28
	v_and_b32_e32 v28, v7, v5
	v_lshlrev_b32_e32 v5, 24, v6
	v_cmp_gt_i64_e32 vcc, 0, v[4:5]
	v_not_b32_e32 v5, v5
	v_ashrrev_i32_e32 v5, 31, v5
	v_xor_b32_e32 v6, vcc_hi, v5
	v_xor_b32_e32 v5, vcc_lo, v5
	; wave barrier
	ds_read_b32 v24, v29 offset:64
	v_and_b32_e32 v7, v27, v6
	v_and_b32_e32 v6, v28, v5
	v_mbcnt_lo_u32_b32 v5, v6, 0
	v_mbcnt_hi_u32_b32 v27, v7, v5
	v_cmp_eq_u32_e32 vcc, 0, v27
	v_cmp_ne_u64_e64 s[2:3], 0, v[6:7]
	s_and_b64 s[8:9], s[2:3], vcc
	; wave barrier
	s_and_saveexec_b64 s[2:3], s[8:9]
	s_cbranch_execz .LBB1114_35
; %bb.34:
	v_bcnt_u32_b32 v5, v6, 0
	v_bcnt_u32_b32 v5, v7, v5
	s_waitcnt lgkmcnt(0)
	v_add_u32_e32 v5, v24, v5
	ds_write_b32 v29, v5 offset:64
.LBB1114_35:
	s_or_b64 exec, exec, s[2:3]
	v_lshrrev_b32_e32 v5, s20, v13
	v_and_b32_e32 v6, s31, v5
	v_lshl_add_u32 v5, v6, 4, v6
	v_add_lshl_u32 v33, v32, v5, 2
	v_and_b32_e32 v5, 1, v6
	v_add_co_u32_e32 v7, vcc, -1, v5
	v_addc_co_u32_e64 v30, s[2:3], 0, -1, vcc
	v_cmp_ne_u32_e32 vcc, 0, v5
	v_xor_b32_e32 v5, vcc_hi, v30
	v_and_b32_e32 v30, exec_hi, v5
	v_lshlrev_b32_e32 v5, 30, v6
	v_xor_b32_e32 v7, vcc_lo, v7
	v_cmp_gt_i64_e32 vcc, 0, v[4:5]
	v_not_b32_e32 v5, v5
	v_ashrrev_i32_e32 v5, 31, v5
	v_and_b32_e32 v7, exec_lo, v7
	v_xor_b32_e32 v31, vcc_hi, v5
	v_xor_b32_e32 v5, vcc_lo, v5
	v_and_b32_e32 v7, v7, v5
	v_lshlrev_b32_e32 v5, 29, v6
	v_cmp_gt_i64_e32 vcc, 0, v[4:5]
	v_not_b32_e32 v5, v5
	v_ashrrev_i32_e32 v5, 31, v5
	v_and_b32_e32 v30, v30, v31
	v_xor_b32_e32 v31, vcc_hi, v5
	v_xor_b32_e32 v5, vcc_lo, v5
	v_and_b32_e32 v7, v7, v5
	v_lshlrev_b32_e32 v5, 28, v6
	v_cmp_gt_i64_e32 vcc, 0, v[4:5]
	v_not_b32_e32 v5, v5
	v_ashrrev_i32_e32 v5, 31, v5
	v_and_b32_e32 v30, v30, v31
	;; [unrolled: 8-line block ×5, first 2 shown]
	v_xor_b32_e32 v31, vcc_hi, v5
	v_xor_b32_e32 v5, vcc_lo, v5
	v_and_b32_e32 v7, v7, v5
	v_lshlrev_b32_e32 v5, 24, v6
	v_cmp_gt_i64_e32 vcc, 0, v[4:5]
	v_not_b32_e32 v4, v5
	v_ashrrev_i32_e32 v4, 31, v4
	v_xor_b32_e32 v5, vcc_hi, v4
	v_xor_b32_e32 v4, vcc_lo, v4
	; wave barrier
	ds_read_b32 v28, v33 offset:64
	v_and_b32_e32 v30, v30, v31
	v_and_b32_e32 v4, v7, v4
	;; [unrolled: 1-line block ×3, first 2 shown]
	v_mbcnt_lo_u32_b32 v6, v4, 0
	v_mbcnt_hi_u32_b32 v30, v5, v6
	v_cmp_eq_u32_e32 vcc, 0, v30
	v_cmp_ne_u64_e64 s[2:3], 0, v[4:5]
	s_and_b64 s[8:9], s[2:3], vcc
	; wave barrier
	s_and_saveexec_b64 s[2:3], s[8:9]
	s_cbranch_execz .LBB1114_37
; %bb.36:
	v_bcnt_u32_b32 v4, v4, 0
	v_bcnt_u32_b32 v4, v5, v4
	s_waitcnt lgkmcnt(0)
	v_add_u32_e32 v4, v28, v4
	ds_write_b32 v33, v4 offset:64
.LBB1114_37:
	s_or_b64 exec, exec, s[2:3]
	v_lshrrev_b32_e32 v4, s20, v12
	v_and_b32_e32 v6, s31, v4
	v_and_b32_e32 v5, 1, v6
	v_add_co_u32_e32 v7, vcc, -1, v5
	v_addc_co_u32_e64 v34, s[2:3], 0, -1, vcc
	v_cmp_ne_u32_e32 vcc, 0, v5
	v_lshl_add_u32 v4, v6, 4, v6
	v_xor_b32_e32 v5, vcc_hi, v34
	v_add_lshl_u32 v36, v32, v4, 2
	v_mov_b32_e32 v4, 0
	v_and_b32_e32 v34, exec_hi, v5
	v_lshlrev_b32_e32 v5, 30, v6
	v_xor_b32_e32 v7, vcc_lo, v7
	v_cmp_gt_i64_e32 vcc, 0, v[4:5]
	v_not_b32_e32 v5, v5
	v_ashrrev_i32_e32 v5, 31, v5
	v_and_b32_e32 v7, exec_lo, v7
	v_xor_b32_e32 v35, vcc_hi, v5
	v_xor_b32_e32 v5, vcc_lo, v5
	v_and_b32_e32 v7, v7, v5
	v_lshlrev_b32_e32 v5, 29, v6
	v_cmp_gt_i64_e32 vcc, 0, v[4:5]
	v_not_b32_e32 v5, v5
	v_ashrrev_i32_e32 v5, 31, v5
	v_and_b32_e32 v34, v34, v35
	v_xor_b32_e32 v35, vcc_hi, v5
	v_xor_b32_e32 v5, vcc_lo, v5
	v_and_b32_e32 v7, v7, v5
	v_lshlrev_b32_e32 v5, 28, v6
	v_cmp_gt_i64_e32 vcc, 0, v[4:5]
	v_not_b32_e32 v5, v5
	v_ashrrev_i32_e32 v5, 31, v5
	v_and_b32_e32 v34, v34, v35
	;; [unrolled: 8-line block ×5, first 2 shown]
	v_xor_b32_e32 v35, vcc_hi, v5
	v_xor_b32_e32 v5, vcc_lo, v5
	v_and_b32_e32 v34, v34, v35
	v_and_b32_e32 v35, v7, v5
	v_lshlrev_b32_e32 v5, 24, v6
	v_cmp_gt_i64_e32 vcc, 0, v[4:5]
	v_not_b32_e32 v5, v5
	v_ashrrev_i32_e32 v5, 31, v5
	v_xor_b32_e32 v6, vcc_hi, v5
	v_xor_b32_e32 v5, vcc_lo, v5
	; wave barrier
	ds_read_b32 v31, v36 offset:64
	v_and_b32_e32 v7, v34, v6
	v_and_b32_e32 v6, v35, v5
	v_mbcnt_lo_u32_b32 v5, v6, 0
	v_mbcnt_hi_u32_b32 v34, v7, v5
	v_cmp_eq_u32_e32 vcc, 0, v34
	v_cmp_ne_u64_e64 s[2:3], 0, v[6:7]
	s_and_b64 s[8:9], s[2:3], vcc
	; wave barrier
	s_and_saveexec_b64 s[2:3], s[8:9]
	s_cbranch_execz .LBB1114_39
; %bb.38:
	v_bcnt_u32_b32 v5, v6, 0
	v_bcnt_u32_b32 v5, v7, v5
	s_waitcnt lgkmcnt(0)
	v_add_u32_e32 v5, v31, v5
	ds_write_b32 v36, v5 offset:64
.LBB1114_39:
	s_or_b64 exec, exec, s[2:3]
	v_lshrrev_b32_e32 v5, s20, v15
	v_and_b32_e32 v6, s31, v5
	v_lshl_add_u32 v5, v6, 4, v6
	v_add_lshl_u32 v39, v32, v5, 2
	v_and_b32_e32 v5, 1, v6
	v_add_co_u32_e32 v7, vcc, -1, v5
	v_addc_co_u32_e64 v37, s[2:3], 0, -1, vcc
	v_cmp_ne_u32_e32 vcc, 0, v5
	v_xor_b32_e32 v5, vcc_hi, v37
	v_and_b32_e32 v37, exec_hi, v5
	v_lshlrev_b32_e32 v5, 30, v6
	v_xor_b32_e32 v7, vcc_lo, v7
	v_cmp_gt_i64_e32 vcc, 0, v[4:5]
	v_not_b32_e32 v5, v5
	v_ashrrev_i32_e32 v5, 31, v5
	v_and_b32_e32 v7, exec_lo, v7
	v_xor_b32_e32 v38, vcc_hi, v5
	v_xor_b32_e32 v5, vcc_lo, v5
	v_and_b32_e32 v7, v7, v5
	v_lshlrev_b32_e32 v5, 29, v6
	v_cmp_gt_i64_e32 vcc, 0, v[4:5]
	v_not_b32_e32 v5, v5
	v_ashrrev_i32_e32 v5, 31, v5
	v_and_b32_e32 v37, v37, v38
	v_xor_b32_e32 v38, vcc_hi, v5
	v_xor_b32_e32 v5, vcc_lo, v5
	v_and_b32_e32 v7, v7, v5
	v_lshlrev_b32_e32 v5, 28, v6
	v_cmp_gt_i64_e32 vcc, 0, v[4:5]
	v_not_b32_e32 v5, v5
	v_ashrrev_i32_e32 v5, 31, v5
	v_and_b32_e32 v37, v37, v38
	;; [unrolled: 8-line block ×5, first 2 shown]
	v_xor_b32_e32 v38, vcc_hi, v5
	v_xor_b32_e32 v5, vcc_lo, v5
	v_and_b32_e32 v7, v7, v5
	v_lshlrev_b32_e32 v5, 24, v6
	v_cmp_gt_i64_e32 vcc, 0, v[4:5]
	v_not_b32_e32 v4, v5
	v_ashrrev_i32_e32 v4, 31, v4
	v_xor_b32_e32 v5, vcc_hi, v4
	v_xor_b32_e32 v4, vcc_lo, v4
	; wave barrier
	ds_read_b32 v35, v39 offset:64
	v_and_b32_e32 v37, v37, v38
	v_and_b32_e32 v4, v7, v4
	;; [unrolled: 1-line block ×3, first 2 shown]
	v_mbcnt_lo_u32_b32 v6, v4, 0
	v_mbcnt_hi_u32_b32 v37, v5, v6
	v_cmp_eq_u32_e32 vcc, 0, v37
	v_cmp_ne_u64_e64 s[2:3], 0, v[4:5]
	s_and_b64 s[8:9], s[2:3], vcc
	; wave barrier
	s_and_saveexec_b64 s[2:3], s[8:9]
	s_cbranch_execz .LBB1114_41
; %bb.40:
	v_bcnt_u32_b32 v4, v4, 0
	v_bcnt_u32_b32 v4, v5, v4
	s_waitcnt lgkmcnt(0)
	v_add_u32_e32 v4, v35, v4
	ds_write_b32 v39, v4 offset:64
.LBB1114_41:
	s_or_b64 exec, exec, s[2:3]
	v_lshrrev_b32_e32 v4, s20, v14
	v_and_b32_e32 v6, s31, v4
	v_and_b32_e32 v5, 1, v6
	v_add_co_u32_e32 v7, vcc, -1, v5
	v_addc_co_u32_e64 v40, s[2:3], 0, -1, vcc
	v_cmp_ne_u32_e32 vcc, 0, v5
	v_lshl_add_u32 v4, v6, 4, v6
	v_xor_b32_e32 v5, vcc_hi, v40
	v_add_lshl_u32 v42, v32, v4, 2
	v_mov_b32_e32 v4, 0
	v_and_b32_e32 v40, exec_hi, v5
	v_lshlrev_b32_e32 v5, 30, v6
	v_xor_b32_e32 v7, vcc_lo, v7
	v_cmp_gt_i64_e32 vcc, 0, v[4:5]
	v_not_b32_e32 v5, v5
	v_ashrrev_i32_e32 v5, 31, v5
	v_and_b32_e32 v7, exec_lo, v7
	v_xor_b32_e32 v41, vcc_hi, v5
	v_xor_b32_e32 v5, vcc_lo, v5
	v_and_b32_e32 v7, v7, v5
	v_lshlrev_b32_e32 v5, 29, v6
	v_cmp_gt_i64_e32 vcc, 0, v[4:5]
	v_not_b32_e32 v5, v5
	v_ashrrev_i32_e32 v5, 31, v5
	v_and_b32_e32 v40, v40, v41
	v_xor_b32_e32 v41, vcc_hi, v5
	v_xor_b32_e32 v5, vcc_lo, v5
	v_and_b32_e32 v7, v7, v5
	v_lshlrev_b32_e32 v5, 28, v6
	v_cmp_gt_i64_e32 vcc, 0, v[4:5]
	v_not_b32_e32 v5, v5
	v_ashrrev_i32_e32 v5, 31, v5
	v_and_b32_e32 v40, v40, v41
	;; [unrolled: 8-line block ×5, first 2 shown]
	v_xor_b32_e32 v41, vcc_hi, v5
	v_xor_b32_e32 v5, vcc_lo, v5
	v_and_b32_e32 v40, v40, v41
	v_and_b32_e32 v41, v7, v5
	v_lshlrev_b32_e32 v5, 24, v6
	v_cmp_gt_i64_e32 vcc, 0, v[4:5]
	v_not_b32_e32 v5, v5
	v_ashrrev_i32_e32 v5, 31, v5
	v_xor_b32_e32 v6, vcc_hi, v5
	v_xor_b32_e32 v5, vcc_lo, v5
	; wave barrier
	ds_read_b32 v38, v42 offset:64
	v_and_b32_e32 v7, v40, v6
	v_and_b32_e32 v6, v41, v5
	v_mbcnt_lo_u32_b32 v5, v6, 0
	v_mbcnt_hi_u32_b32 v40, v7, v5
	v_cmp_eq_u32_e32 vcc, 0, v40
	v_cmp_ne_u64_e64 s[2:3], 0, v[6:7]
	s_and_b64 s[8:9], s[2:3], vcc
	; wave barrier
	s_and_saveexec_b64 s[2:3], s[8:9]
	s_cbranch_execz .LBB1114_43
; %bb.42:
	v_bcnt_u32_b32 v5, v6, 0
	v_bcnt_u32_b32 v5, v7, v5
	s_waitcnt lgkmcnt(0)
	v_add_u32_e32 v5, v38, v5
	ds_write_b32 v42, v5 offset:64
.LBB1114_43:
	s_or_b64 exec, exec, s[2:3]
	v_lshrrev_b32_e32 v5, s20, v17
	v_and_b32_e32 v6, s31, v5
	v_lshl_add_u32 v5, v6, 4, v6
	v_add_lshl_u32 v45, v32, v5, 2
	v_and_b32_e32 v5, 1, v6
	v_add_co_u32_e32 v7, vcc, -1, v5
	v_addc_co_u32_e64 v43, s[2:3], 0, -1, vcc
	v_cmp_ne_u32_e32 vcc, 0, v5
	v_xor_b32_e32 v5, vcc_hi, v43
	v_and_b32_e32 v43, exec_hi, v5
	v_lshlrev_b32_e32 v5, 30, v6
	v_xor_b32_e32 v7, vcc_lo, v7
	v_cmp_gt_i64_e32 vcc, 0, v[4:5]
	v_not_b32_e32 v5, v5
	v_ashrrev_i32_e32 v5, 31, v5
	v_and_b32_e32 v7, exec_lo, v7
	v_xor_b32_e32 v44, vcc_hi, v5
	v_xor_b32_e32 v5, vcc_lo, v5
	v_and_b32_e32 v7, v7, v5
	v_lshlrev_b32_e32 v5, 29, v6
	v_cmp_gt_i64_e32 vcc, 0, v[4:5]
	v_not_b32_e32 v5, v5
	v_ashrrev_i32_e32 v5, 31, v5
	v_and_b32_e32 v43, v43, v44
	v_xor_b32_e32 v44, vcc_hi, v5
	v_xor_b32_e32 v5, vcc_lo, v5
	v_and_b32_e32 v7, v7, v5
	v_lshlrev_b32_e32 v5, 28, v6
	v_cmp_gt_i64_e32 vcc, 0, v[4:5]
	v_not_b32_e32 v5, v5
	v_ashrrev_i32_e32 v5, 31, v5
	v_and_b32_e32 v43, v43, v44
	;; [unrolled: 8-line block ×5, first 2 shown]
	v_xor_b32_e32 v44, vcc_hi, v5
	v_xor_b32_e32 v5, vcc_lo, v5
	v_and_b32_e32 v7, v7, v5
	v_lshlrev_b32_e32 v5, 24, v6
	v_cmp_gt_i64_e32 vcc, 0, v[4:5]
	v_not_b32_e32 v4, v5
	v_ashrrev_i32_e32 v4, 31, v4
	v_xor_b32_e32 v5, vcc_hi, v4
	v_xor_b32_e32 v4, vcc_lo, v4
	; wave barrier
	ds_read_b32 v41, v45 offset:64
	v_and_b32_e32 v43, v43, v44
	v_and_b32_e32 v4, v7, v4
	;; [unrolled: 1-line block ×3, first 2 shown]
	v_mbcnt_lo_u32_b32 v6, v4, 0
	v_mbcnt_hi_u32_b32 v43, v5, v6
	v_cmp_eq_u32_e32 vcc, 0, v43
	v_cmp_ne_u64_e64 s[2:3], 0, v[4:5]
	s_and_b64 s[8:9], s[2:3], vcc
	; wave barrier
	s_and_saveexec_b64 s[2:3], s[8:9]
	s_cbranch_execz .LBB1114_45
; %bb.44:
	v_bcnt_u32_b32 v4, v4, 0
	v_bcnt_u32_b32 v4, v5, v4
	s_waitcnt lgkmcnt(0)
	v_add_u32_e32 v4, v41, v4
	ds_write_b32 v45, v4 offset:64
.LBB1114_45:
	s_or_b64 exec, exec, s[2:3]
	v_lshrrev_b32_e32 v4, s20, v16
	v_and_b32_e32 v6, s31, v4
	v_and_b32_e32 v5, 1, v6
	v_add_co_u32_e32 v7, vcc, -1, v5
	v_addc_co_u32_e64 v46, s[2:3], 0, -1, vcc
	v_cmp_ne_u32_e32 vcc, 0, v5
	v_lshl_add_u32 v4, v6, 4, v6
	v_xor_b32_e32 v5, vcc_hi, v46
	v_add_lshl_u32 v48, v32, v4, 2
	v_mov_b32_e32 v4, 0
	v_and_b32_e32 v46, exec_hi, v5
	v_lshlrev_b32_e32 v5, 30, v6
	v_xor_b32_e32 v7, vcc_lo, v7
	v_cmp_gt_i64_e32 vcc, 0, v[4:5]
	v_not_b32_e32 v5, v5
	v_ashrrev_i32_e32 v5, 31, v5
	v_and_b32_e32 v7, exec_lo, v7
	v_xor_b32_e32 v47, vcc_hi, v5
	v_xor_b32_e32 v5, vcc_lo, v5
	v_and_b32_e32 v7, v7, v5
	v_lshlrev_b32_e32 v5, 29, v6
	v_cmp_gt_i64_e32 vcc, 0, v[4:5]
	v_not_b32_e32 v5, v5
	v_ashrrev_i32_e32 v5, 31, v5
	v_and_b32_e32 v46, v46, v47
	v_xor_b32_e32 v47, vcc_hi, v5
	v_xor_b32_e32 v5, vcc_lo, v5
	v_and_b32_e32 v7, v7, v5
	v_lshlrev_b32_e32 v5, 28, v6
	v_cmp_gt_i64_e32 vcc, 0, v[4:5]
	v_not_b32_e32 v5, v5
	v_ashrrev_i32_e32 v5, 31, v5
	v_and_b32_e32 v46, v46, v47
	;; [unrolled: 8-line block ×5, first 2 shown]
	v_xor_b32_e32 v47, vcc_hi, v5
	v_xor_b32_e32 v5, vcc_lo, v5
	v_and_b32_e32 v46, v46, v47
	v_and_b32_e32 v47, v7, v5
	v_lshlrev_b32_e32 v5, 24, v6
	v_cmp_gt_i64_e32 vcc, 0, v[4:5]
	v_not_b32_e32 v5, v5
	v_ashrrev_i32_e32 v5, 31, v5
	v_xor_b32_e32 v6, vcc_hi, v5
	v_xor_b32_e32 v5, vcc_lo, v5
	; wave barrier
	ds_read_b32 v44, v48 offset:64
	v_and_b32_e32 v7, v46, v6
	v_and_b32_e32 v6, v47, v5
	v_mbcnt_lo_u32_b32 v5, v6, 0
	v_mbcnt_hi_u32_b32 v46, v7, v5
	v_cmp_eq_u32_e32 vcc, 0, v46
	v_cmp_ne_u64_e64 s[2:3], 0, v[6:7]
	s_and_b64 s[8:9], s[2:3], vcc
	; wave barrier
	s_and_saveexec_b64 s[2:3], s[8:9]
	s_cbranch_execz .LBB1114_47
; %bb.46:
	v_bcnt_u32_b32 v5, v6, 0
	v_bcnt_u32_b32 v5, v7, v5
	s_waitcnt lgkmcnt(0)
	v_add_u32_e32 v5, v44, v5
	ds_write_b32 v48, v5 offset:64
.LBB1114_47:
	s_or_b64 exec, exec, s[2:3]
	v_lshrrev_b32_e32 v5, s20, v19
	v_and_b32_e32 v6, s31, v5
	v_lshl_add_u32 v5, v6, 4, v6
	v_add_lshl_u32 v51, v32, v5, 2
	v_and_b32_e32 v5, 1, v6
	v_add_co_u32_e32 v7, vcc, -1, v5
	v_addc_co_u32_e64 v49, s[2:3], 0, -1, vcc
	v_cmp_ne_u32_e32 vcc, 0, v5
	v_xor_b32_e32 v5, vcc_hi, v49
	v_and_b32_e32 v49, exec_hi, v5
	v_lshlrev_b32_e32 v5, 30, v6
	v_xor_b32_e32 v7, vcc_lo, v7
	v_cmp_gt_i64_e32 vcc, 0, v[4:5]
	v_not_b32_e32 v5, v5
	v_ashrrev_i32_e32 v5, 31, v5
	v_and_b32_e32 v7, exec_lo, v7
	v_xor_b32_e32 v50, vcc_hi, v5
	v_xor_b32_e32 v5, vcc_lo, v5
	v_and_b32_e32 v7, v7, v5
	v_lshlrev_b32_e32 v5, 29, v6
	v_cmp_gt_i64_e32 vcc, 0, v[4:5]
	v_not_b32_e32 v5, v5
	v_ashrrev_i32_e32 v5, 31, v5
	v_and_b32_e32 v49, v49, v50
	v_xor_b32_e32 v50, vcc_hi, v5
	v_xor_b32_e32 v5, vcc_lo, v5
	v_and_b32_e32 v7, v7, v5
	v_lshlrev_b32_e32 v5, 28, v6
	v_cmp_gt_i64_e32 vcc, 0, v[4:5]
	v_not_b32_e32 v5, v5
	v_ashrrev_i32_e32 v5, 31, v5
	v_and_b32_e32 v49, v49, v50
	;; [unrolled: 8-line block ×5, first 2 shown]
	v_xor_b32_e32 v50, vcc_hi, v5
	v_xor_b32_e32 v5, vcc_lo, v5
	v_and_b32_e32 v7, v7, v5
	v_lshlrev_b32_e32 v5, 24, v6
	v_cmp_gt_i64_e32 vcc, 0, v[4:5]
	v_not_b32_e32 v4, v5
	v_ashrrev_i32_e32 v4, 31, v4
	v_xor_b32_e32 v5, vcc_hi, v4
	v_xor_b32_e32 v4, vcc_lo, v4
	; wave barrier
	ds_read_b32 v47, v51 offset:64
	v_and_b32_e32 v49, v49, v50
	v_and_b32_e32 v4, v7, v4
	;; [unrolled: 1-line block ×3, first 2 shown]
	v_mbcnt_lo_u32_b32 v6, v4, 0
	v_mbcnt_hi_u32_b32 v49, v5, v6
	v_cmp_eq_u32_e32 vcc, 0, v49
	v_cmp_ne_u64_e64 s[2:3], 0, v[4:5]
	s_and_b64 s[8:9], s[2:3], vcc
	; wave barrier
	s_and_saveexec_b64 s[2:3], s[8:9]
	s_cbranch_execz .LBB1114_49
; %bb.48:
	v_bcnt_u32_b32 v4, v4, 0
	v_bcnt_u32_b32 v4, v5, v4
	s_waitcnt lgkmcnt(0)
	v_add_u32_e32 v4, v47, v4
	ds_write_b32 v51, v4 offset:64
.LBB1114_49:
	s_or_b64 exec, exec, s[2:3]
	v_lshrrev_b32_e32 v4, s20, v18
	v_and_b32_e32 v6, s31, v4
	v_and_b32_e32 v5, 1, v6
	v_add_co_u32_e32 v7, vcc, -1, v5
	v_addc_co_u32_e64 v52, s[2:3], 0, -1, vcc
	v_cmp_ne_u32_e32 vcc, 0, v5
	v_lshl_add_u32 v4, v6, 4, v6
	v_xor_b32_e32 v5, vcc_hi, v52
	v_add_lshl_u32 v53, v32, v4, 2
	v_mov_b32_e32 v4, 0
	v_and_b32_e32 v52, exec_hi, v5
	v_lshlrev_b32_e32 v5, 30, v6
	v_xor_b32_e32 v7, vcc_lo, v7
	v_cmp_gt_i64_e32 vcc, 0, v[4:5]
	v_not_b32_e32 v5, v5
	v_ashrrev_i32_e32 v5, 31, v5
	v_and_b32_e32 v7, exec_lo, v7
	v_xor_b32_e32 v54, vcc_hi, v5
	v_xor_b32_e32 v5, vcc_lo, v5
	v_and_b32_e32 v7, v7, v5
	v_lshlrev_b32_e32 v5, 29, v6
	v_cmp_gt_i64_e32 vcc, 0, v[4:5]
	v_not_b32_e32 v5, v5
	v_ashrrev_i32_e32 v5, 31, v5
	v_and_b32_e32 v52, v52, v54
	v_xor_b32_e32 v54, vcc_hi, v5
	v_xor_b32_e32 v5, vcc_lo, v5
	v_and_b32_e32 v7, v7, v5
	v_lshlrev_b32_e32 v5, 28, v6
	v_cmp_gt_i64_e32 vcc, 0, v[4:5]
	v_not_b32_e32 v5, v5
	v_ashrrev_i32_e32 v5, 31, v5
	v_and_b32_e32 v52, v52, v54
	;; [unrolled: 8-line block ×5, first 2 shown]
	v_xor_b32_e32 v54, vcc_hi, v5
	v_xor_b32_e32 v5, vcc_lo, v5
	v_and_b32_e32 v52, v52, v54
	v_and_b32_e32 v54, v7, v5
	v_lshlrev_b32_e32 v5, 24, v6
	v_cmp_gt_i64_e32 vcc, 0, v[4:5]
	v_not_b32_e32 v5, v5
	v_ashrrev_i32_e32 v5, 31, v5
	v_xor_b32_e32 v6, vcc_hi, v5
	v_xor_b32_e32 v5, vcc_lo, v5
	; wave barrier
	ds_read_b32 v50, v53 offset:64
	v_and_b32_e32 v7, v52, v6
	v_and_b32_e32 v6, v54, v5
	v_mbcnt_lo_u32_b32 v5, v6, 0
	v_mbcnt_hi_u32_b32 v52, v7, v5
	v_cmp_eq_u32_e32 vcc, 0, v52
	v_cmp_ne_u64_e64 s[2:3], 0, v[6:7]
	s_and_b64 s[8:9], s[2:3], vcc
	; wave barrier
	s_and_saveexec_b64 s[2:3], s[8:9]
	s_cbranch_execz .LBB1114_51
; %bb.50:
	v_bcnt_u32_b32 v5, v6, 0
	v_bcnt_u32_b32 v5, v7, v5
	s_waitcnt lgkmcnt(0)
	v_add_u32_e32 v5, v50, v5
	ds_write_b32 v53, v5 offset:64
.LBB1114_51:
	s_or_b64 exec, exec, s[2:3]
	v_lshrrev_b32_e32 v5, s20, v20
	v_and_b32_e32 v6, s31, v5
	v_lshl_add_u32 v5, v6, 4, v6
	v_add_lshl_u32 v55, v32, v5, 2
	v_and_b32_e32 v5, 1, v6
	v_add_co_u32_e32 v7, vcc, -1, v5
	v_addc_co_u32_e64 v54, s[2:3], 0, -1, vcc
	v_cmp_ne_u32_e32 vcc, 0, v5
	v_xor_b32_e32 v5, vcc_hi, v54
	v_and_b32_e32 v54, exec_hi, v5
	v_lshlrev_b32_e32 v5, 30, v6
	v_xor_b32_e32 v7, vcc_lo, v7
	v_cmp_gt_i64_e32 vcc, 0, v[4:5]
	v_not_b32_e32 v5, v5
	v_ashrrev_i32_e32 v5, 31, v5
	v_and_b32_e32 v7, exec_lo, v7
	v_xor_b32_e32 v57, vcc_hi, v5
	v_xor_b32_e32 v5, vcc_lo, v5
	v_and_b32_e32 v7, v7, v5
	v_lshlrev_b32_e32 v5, 29, v6
	v_cmp_gt_i64_e32 vcc, 0, v[4:5]
	v_not_b32_e32 v5, v5
	v_ashrrev_i32_e32 v5, 31, v5
	v_and_b32_e32 v54, v54, v57
	v_xor_b32_e32 v57, vcc_hi, v5
	v_xor_b32_e32 v5, vcc_lo, v5
	v_and_b32_e32 v7, v7, v5
	v_lshlrev_b32_e32 v5, 28, v6
	v_cmp_gt_i64_e32 vcc, 0, v[4:5]
	v_not_b32_e32 v5, v5
	v_ashrrev_i32_e32 v5, 31, v5
	v_and_b32_e32 v54, v54, v57
	;; [unrolled: 8-line block ×5, first 2 shown]
	v_xor_b32_e32 v57, vcc_hi, v5
	v_xor_b32_e32 v5, vcc_lo, v5
	v_and_b32_e32 v7, v7, v5
	v_lshlrev_b32_e32 v5, 24, v6
	v_cmp_gt_i64_e32 vcc, 0, v[4:5]
	v_not_b32_e32 v4, v5
	v_ashrrev_i32_e32 v4, 31, v4
	v_xor_b32_e32 v5, vcc_hi, v4
	v_xor_b32_e32 v4, vcc_lo, v4
	; wave barrier
	ds_read_b32 v32, v55 offset:64
	v_and_b32_e32 v54, v54, v57
	v_and_b32_e32 v4, v7, v4
	;; [unrolled: 1-line block ×3, first 2 shown]
	v_mbcnt_lo_u32_b32 v6, v4, 0
	v_mbcnt_hi_u32_b32 v54, v5, v6
	v_cmp_eq_u32_e32 vcc, 0, v54
	v_cmp_ne_u64_e64 s[2:3], 0, v[4:5]
	v_add_u32_e32 v56, 64, v9
	s_and_b64 s[8:9], s[2:3], vcc
	; wave barrier
	s_and_saveexec_b64 s[2:3], s[8:9]
	s_cbranch_execz .LBB1114_53
; %bb.52:
	v_bcnt_u32_b32 v4, v4, 0
	v_bcnt_u32_b32 v4, v5, v4
	s_waitcnt lgkmcnt(0)
	v_add_u32_e32 v4, v32, v4
	ds_write_b32 v55, v4 offset:64
.LBB1114_53:
	s_or_b64 exec, exec, s[2:3]
	; wave barrier
	s_waitcnt lgkmcnt(0)
	s_barrier
	ds_read2_b32 v[6:7], v9 offset0:16 offset1:17
	ds_read2_b32 v[4:5], v56 offset0:2 offset1:3
	ds_read_b32 v57, v56 offset:16
	v_cmp_lt_u32_e64 s[12:13], 31, v8
	s_waitcnt lgkmcnt(1)
	v_add3_u32 v58, v7, v6, v4
	s_waitcnt lgkmcnt(0)
	v_add3_u32 v57, v58, v5, v57
	v_and_b32_e32 v58, 15, v8
	v_cmp_eq_u32_e32 vcc, 0, v58
	v_mov_b32_dpp v59, v57 row_shr:1 row_mask:0xf bank_mask:0xf
	v_cndmask_b32_e64 v59, v59, 0, vcc
	v_add_u32_e32 v57, v59, v57
	v_cmp_lt_u32_e64 s[2:3], 1, v58
	v_cmp_lt_u32_e64 s[10:11], 3, v58
	v_mov_b32_dpp v59, v57 row_shr:2 row_mask:0xf bank_mask:0xf
	v_cndmask_b32_e64 v59, 0, v59, s[2:3]
	v_add_u32_e32 v57, v57, v59
	v_cmp_lt_u32_e64 s[8:9], 7, v58
	s_nop 0
	v_mov_b32_dpp v59, v57 row_shr:4 row_mask:0xf bank_mask:0xf
	v_cndmask_b32_e64 v59, 0, v59, s[10:11]
	v_add_u32_e32 v57, v57, v59
	s_nop 1
	v_mov_b32_dpp v59, v57 row_shr:8 row_mask:0xf bank_mask:0xf
	v_cndmask_b32_e64 v58, 0, v59, s[8:9]
	v_add_u32_e32 v57, v57, v58
	v_bfe_i32 v59, v8, 4, 1
	s_nop 0
	v_mov_b32_dpp v58, v57 row_bcast:15 row_mask:0xf bank_mask:0xf
	v_and_b32_e32 v58, v59, v58
	v_add_u32_e32 v57, v57, v58
	v_and_b32_e32 v59, 63, v2
	s_nop 0
	v_mov_b32_dpp v58, v57 row_bcast:31 row_mask:0xf bank_mask:0xf
	v_cndmask_b32_e64 v58, 0, v58, s[12:13]
	v_add_u32_e32 v57, v57, v58
	v_lshrrev_b32_e32 v58, 6, v2
	v_cmp_eq_u32_e64 s[12:13], 63, v59
	s_and_saveexec_b64 s[22:23], s[12:13]
	s_cbranch_execz .LBB1114_55
; %bb.54:
	v_lshlrev_b32_e32 v59, 2, v58
	ds_write_b32 v59, v57
.LBB1114_55:
	s_or_b64 exec, exec, s[22:23]
	v_cmp_gt_u32_e64 s[12:13], 16, v2
	s_waitcnt lgkmcnt(0)
	s_barrier
	s_and_saveexec_b64 s[22:23], s[12:13]
	s_cbranch_execz .LBB1114_57
; %bb.56:
	v_lshlrev_b32_e32 v59, 2, v2
	ds_read_b32 v60, v59
	s_waitcnt lgkmcnt(0)
	s_nop 0
	v_mov_b32_dpp v61, v60 row_shr:1 row_mask:0xf bank_mask:0xf
	v_cndmask_b32_e64 v61, v61, 0, vcc
	v_add_u32_e32 v60, v61, v60
	s_nop 1
	v_mov_b32_dpp v61, v60 row_shr:2 row_mask:0xf bank_mask:0xf
	v_cndmask_b32_e64 v61, 0, v61, s[2:3]
	v_add_u32_e32 v60, v60, v61
	s_nop 1
	v_mov_b32_dpp v61, v60 row_shr:4 row_mask:0xf bank_mask:0xf
	v_cndmask_b32_e64 v61, 0, v61, s[10:11]
	;; [unrolled: 4-line block ×3, first 2 shown]
	v_add_u32_e32 v60, v60, v61
	ds_write_b32 v59, v60
.LBB1114_57:
	s_or_b64 exec, exec, s[22:23]
	v_cmp_lt_u32_e32 vcc, 63, v2
	v_mov_b32_e32 v59, 0
	s_waitcnt lgkmcnt(0)
	s_barrier
	s_and_saveexec_b64 s[2:3], vcc
	s_cbranch_execz .LBB1114_59
; %bb.58:
	v_lshl_add_u32 v58, v58, 2, -4
	ds_read_b32 v59, v58
.LBB1114_59:
	s_or_b64 exec, exec, s[2:3]
	v_add_u32_e32 v58, -1, v8
	v_and_b32_e32 v60, 64, v8
	v_cmp_lt_i32_e32 vcc, v58, v60
	v_cndmask_b32_e32 v58, v58, v8, vcc
	s_waitcnt lgkmcnt(0)
	v_add_u32_e32 v57, v59, v57
	v_lshlrev_b32_e32 v58, 2, v58
	ds_bpermute_b32 v57, v58, v57
	v_cmp_eq_u32_e32 vcc, 0, v8
	s_movk_i32 s2, 0x100
	s_waitcnt lgkmcnt(0)
	v_cndmask_b32_e32 v8, v57, v59, vcc
	v_cndmask_b32_e64 v8, v8, 0, s[0:1]
	v_add_u32_e32 v6, v8, v6
	v_add_u32_e32 v7, v6, v7
	;; [unrolled: 1-line block ×4, first 2 shown]
	ds_write2_b32 v9, v8, v6 offset0:16 offset1:17
	ds_write2_b32 v56, v7, v4 offset0:2 offset1:3
	ds_write_b32 v56, v5 offset:16
	s_waitcnt lgkmcnt(0)
	s_barrier
	ds_read_b32 v60, v25 offset:64
	ds_read_b32 v56, v26 offset:64
	;; [unrolled: 1-line block ×12, first 2 shown]
	v_cmp_gt_u32_e32 vcc, s2, v2
                                        ; implicit-def: $vgpr25
                                        ; implicit-def: $vgpr26
	s_and_saveexec_b64 s[8:9], vcc
	s_cbranch_execz .LBB1114_63
; %bb.60:
	v_mul_u32_u24_e32 v4, 17, v2
	v_lshlrev_b32_e32 v5, 2, v4
	ds_read_b32 v25, v5 offset:64
	s_movk_i32 s2, 0xff
	v_cmp_ne_u32_e64 s[2:3], s2, v2
	v_mov_b32_e32 v4, 0x3000
	s_and_saveexec_b64 s[10:11], s[2:3]
	s_cbranch_execz .LBB1114_62
; %bb.61:
	ds_read_b32 v4, v5 offset:132
.LBB1114_62:
	s_or_b64 exec, exec, s[10:11]
	s_waitcnt lgkmcnt(0)
	v_sub_u32_e32 v26, v4, v25
.LBB1114_63:
	s_or_b64 exec, exec, s[8:9]
	s_waitcnt lgkmcnt(0)
	s_barrier
	s_and_saveexec_b64 s[8:9], vcc
	s_cbranch_execz .LBB1114_73
; %bb.64:
	v_lshl_or_b32 v4, s30, 8, v2
	v_mov_b32_e32 v5, 0
	v_lshlrev_b64 v[6:7], 2, v[4:5]
	v_mov_b32_e32 v51, s15
	v_add_co_u32_e64 v6, s[2:3], s14, v6
	v_addc_co_u32_e64 v7, s[2:3], v51, v7, s[2:3]
	v_or_b32_e32 v4, 2.0, v26
	s_mov_b64 s[10:11], 0
	s_brev_b32 s33, 1
	s_mov_b32 s34, s30
	v_mov_b32_e32 v53, 0
	global_store_dword v[6:7], v4, off
                                        ; implicit-def: $sgpr2_sgpr3
	s_branch .LBB1114_66
.LBB1114_65:                            ;   in Loop: Header=BB1114_66 Depth=1
	s_or_b64 exec, exec, s[12:13]
	v_and_b32_e32 v8, 0x3fffffff, v55
	v_add_u32_e32 v53, v8, v53
	v_cmp_eq_u32_e64 s[2:3], s33, v4
	s_and_b64 s[12:13], exec, s[2:3]
	s_or_b64 s[10:11], s[12:13], s[10:11]
	s_andn2_b64 exec, exec, s[10:11]
	s_cbranch_execz .LBB1114_72
.LBB1114_66:                            ; =>This Loop Header: Depth=1
                                        ;     Child Loop BB1114_69 Depth 2
	s_or_b64 s[2:3], s[2:3], exec
	s_cmp_eq_u32 s34, 0
	s_cbranch_scc1 .LBB1114_71
; %bb.67:                               ;   in Loop: Header=BB1114_66 Depth=1
	s_add_i32 s34, s34, -1
	v_lshl_or_b32 v4, s34, 8, v2
	v_lshlrev_b64 v[8:9], 2, v[4:5]
	v_add_co_u32_e64 v8, s[2:3], s14, v8
	v_addc_co_u32_e64 v9, s[2:3], v51, v9, s[2:3]
	global_load_dword v55, v[8:9], off glc
	s_waitcnt vmcnt(0)
	v_and_b32_e32 v4, -2.0, v55
	v_cmp_eq_u32_e64 s[2:3], 0, v4
	s_and_saveexec_b64 s[12:13], s[2:3]
	s_cbranch_execz .LBB1114_65
; %bb.68:                               ;   in Loop: Header=BB1114_66 Depth=1
	s_mov_b64 s[22:23], 0
.LBB1114_69:                            ;   Parent Loop BB1114_66 Depth=1
                                        ; =>  This Inner Loop Header: Depth=2
	global_load_dword v55, v[8:9], off glc
	s_waitcnt vmcnt(0)
	v_and_b32_e32 v4, -2.0, v55
	v_cmp_ne_u32_e64 s[2:3], 0, v4
	s_or_b64 s[22:23], s[2:3], s[22:23]
	s_andn2_b64 exec, exec, s[22:23]
	s_cbranch_execnz .LBB1114_69
; %bb.70:                               ;   in Loop: Header=BB1114_66 Depth=1
	s_or_b64 exec, exec, s[22:23]
	s_branch .LBB1114_65
.LBB1114_71:                            ;   in Loop: Header=BB1114_66 Depth=1
                                        ; implicit-def: $sgpr34
	s_and_b64 s[12:13], exec, s[2:3]
	s_or_b64 s[10:11], s[12:13], s[10:11]
	s_andn2_b64 exec, exec, s[10:11]
	s_cbranch_execnz .LBB1114_66
.LBB1114_72:
	s_or_b64 exec, exec, s[10:11]
	v_add_u32_e32 v4, v53, v26
	v_or_b32_e32 v4, 0x80000000, v4
	global_store_dword v[6:7], v4, off
	v_lshlrev_b32_e32 v4, 2, v2
	global_load_dword v5, v4, s[16:17]
	v_sub_u32_e32 v6, v53, v25
	s_waitcnt vmcnt(0)
	v_add_u32_e32 v5, v6, v5
	ds_write_b32 v4, v5
.LBB1114_73:
	s_or_b64 exec, exec, s[8:9]
	v_lshlrev_b32_e32 v7, 2, v2
	v_add_u32_e32 v6, v60, v21
	s_movk_i32 s10, 0x400
	v_add_u32_e32 v8, 0x400, v7
	v_add3_u32 v9, v54, v48, v32
	v_add3_u32 v21, v52, v45, v50
	;; [unrolled: 1-line block ×11, first 2 shown]
	s_mov_b32 s11, 0
	v_mov_b32_e32 v5, 0
	s_movk_i32 s12, 0x800
	s_movk_i32 s13, 0xc00
	v_mov_b32_e32 v23, v2
	s_branch .LBB1114_75
.LBB1114_74:                            ;   in Loop: Header=BB1114_75 Depth=1
	s_or_b64 exec, exec, s[8:9]
	s_addk_i32 s11, 0xf000
	s_cmpk_eq_i32 s11, 0xd000
	v_add_u32_e32 v23, 0x1000, v23
	s_barrier
	s_cbranch_scc1 .LBB1114_84
.LBB1114_75:                            ; =>This Inner Loop Header: Depth=1
	v_add_u32_e32 v4, s11, v6
	v_min_u32_e32 v4, 0x1000, v4
	v_lshlrev_b32_e32 v4, 2, v4
	ds_write_b32 v4, v10 offset:1024
	v_add_u32_e32 v4, s11, v22
	v_min_u32_e32 v4, 0x1000, v4
	v_lshlrev_b32_e32 v4, 2, v4
	ds_write_b32 v4, v11 offset:1024
	;; [unrolled: 4-line block ×11, first 2 shown]
	v_add_u32_e32 v4, s11, v9
	v_min_u32_e32 v4, 0x1000, v4
	v_lshlrev_b32_e32 v4, 2, v4
	v_cmp_gt_u32_e64 s[2:3], s7, v23
	ds_write_b32 v4, v20 offset:1024
	s_waitcnt lgkmcnt(0)
	s_barrier
	s_and_saveexec_b64 s[8:9], s[2:3]
	s_cbranch_execz .LBB1114_77
; %bb.76:                               ;   in Loop: Header=BB1114_75 Depth=1
	ds_read_b32 v27, v7 offset:1024
	v_mov_b32_e32 v30, s27
	s_waitcnt lgkmcnt(0)
	v_lshrrev_b32_e32 v4, s20, v27
	v_and_b32_e32 v4, s31, v4
	v_lshlrev_b32_e32 v4, 2, v4
	ds_read_b32 v4, v4
	s_waitcnt lgkmcnt(0)
	v_add_u32_e32 v4, v23, v4
	v_lshlrev_b64 v[38:39], 2, v[4:5]
	v_add_co_u32_e64 v38, s[2:3], s26, v38
	v_addc_co_u32_e64 v39, s[2:3], v30, v39, s[2:3]
	global_store_dword v[38:39], v27, off
.LBB1114_77:                            ;   in Loop: Header=BB1114_75 Depth=1
	s_or_b64 exec, exec, s[8:9]
	v_add_u32_e32 v4, 0x400, v23
	v_cmp_gt_u32_e64 s[2:3], s7, v4
	s_and_saveexec_b64 s[8:9], s[2:3]
	s_cbranch_execz .LBB1114_79
; %bb.78:                               ;   in Loop: Header=BB1114_75 Depth=1
	ds_read_b32 v27, v8 offset:4096
	v_mov_b32_e32 v30, s27
	s_waitcnt lgkmcnt(0)
	v_lshrrev_b32_e32 v4, s20, v27
	v_and_b32_e32 v4, s31, v4
	v_lshlrev_b32_e32 v4, 2, v4
	ds_read_b32 v4, v4
	s_waitcnt lgkmcnt(0)
	v_add3_u32 v4, v23, v4, s10
	v_lshlrev_b64 v[38:39], 2, v[4:5]
	v_add_co_u32_e64 v38, s[2:3], s26, v38
	v_addc_co_u32_e64 v39, s[2:3], v30, v39, s[2:3]
	global_store_dword v[38:39], v27, off
.LBB1114_79:                            ;   in Loop: Header=BB1114_75 Depth=1
	s_or_b64 exec, exec, s[8:9]
	v_add_u32_e32 v4, 0x800, v23
	v_cmp_gt_u32_e64 s[2:3], s7, v4
	s_and_saveexec_b64 s[8:9], s[2:3]
	s_cbranch_execz .LBB1114_81
; %bb.80:                               ;   in Loop: Header=BB1114_75 Depth=1
	ds_read_b32 v27, v8 offset:8192
	v_mov_b32_e32 v30, s27
	s_waitcnt lgkmcnt(0)
	v_lshrrev_b32_e32 v4, s20, v27
	v_and_b32_e32 v4, s31, v4
	v_lshlrev_b32_e32 v4, 2, v4
	ds_read_b32 v4, v4
	s_waitcnt lgkmcnt(0)
	v_add3_u32 v4, v23, v4, s12
	v_lshlrev_b64 v[38:39], 2, v[4:5]
	v_add_co_u32_e64 v38, s[2:3], s26, v38
	v_addc_co_u32_e64 v39, s[2:3], v30, v39, s[2:3]
	global_store_dword v[38:39], v27, off
.LBB1114_81:                            ;   in Loop: Header=BB1114_75 Depth=1
	s_or_b64 exec, exec, s[8:9]
	v_add_u32_e32 v4, 0xc00, v23
	v_cmp_gt_u32_e64 s[2:3], s7, v4
	s_and_saveexec_b64 s[8:9], s[2:3]
	s_cbranch_execz .LBB1114_74
; %bb.82:                               ;   in Loop: Header=BB1114_75 Depth=1
	ds_read_b32 v27, v8 offset:12288
	v_mov_b32_e32 v30, s27
	s_waitcnt lgkmcnt(0)
	v_lshrrev_b32_e32 v4, s20, v27
	v_and_b32_e32 v4, s31, v4
	v_lshlrev_b32_e32 v4, 2, v4
	ds_read_b32 v4, v4
	s_waitcnt lgkmcnt(0)
	v_add3_u32 v4, v23, v4, s13
	v_lshlrev_b64 v[38:39], 2, v[4:5]
	v_add_co_u32_e64 v38, s[2:3], s26, v38
	v_addc_co_u32_e64 v39, s[2:3], v30, v39, s[2:3]
	global_store_dword v[38:39], v27, off
	s_branch .LBB1114_74
.LBB1114_83:
	s_mov_b64 s[10:11], 0
                                        ; implicit-def: $vgpr3
	s_cbranch_execnz .LBB1114_87
	s_branch .LBB1114_136
.LBB1114_84:
	s_add_i32 s29, s29, -1
	s_cmp_eq_u32 s29, s30
	s_cselect_b64 s[2:3], -1, 0
	s_and_b64 s[8:9], vcc, s[2:3]
	s_mov_b64 s[2:3], 0
	s_mov_b64 s[10:11], 0
                                        ; implicit-def: $vgpr3
	s_and_saveexec_b64 s[12:13], s[8:9]
	s_xor_b64 s[8:9], exec, s[12:13]
; %bb.85:
	s_mov_b64 s[10:11], exec
	v_add_u32_e32 v3, v25, v26
; %bb.86:
	s_or_b64 exec, exec, s[8:9]
	s_and_b64 vcc, exec, s[2:3]
	s_cbranch_vccz .LBB1114_136
.LBB1114_87:
	s_mov_b32 s29, 0
	v_mbcnt_hi_u32_b32 v6, -1, v1
	s_lshl_b64 s[2:3], s[28:29], 2
	v_and_b32_e32 v1, 63, v6
	s_add_u32 s2, s24, s2
	v_lshlrev_b32_e32 v1, 2, v1
	v_add_co_u32_e32 v1, vcc, s2, v1
	s_load_dword s22, s[4:5], 0x58
	s_load_dword s2, s[4:5], 0x64
	s_addc_u32 s3, s25, s3
	v_and_b32_e32 v3, 0x3c0, v2
	v_mul_u32_u24_e32 v3, 12, v3
	v_mov_b32_e32 v5, s3
	s_add_u32 s3, s4, 0x58
	v_addc_co_u32_e32 v5, vcc, 0, v5, vcc
	v_lshlrev_b32_e32 v3, 2, v3
	s_addc_u32 s4, s5, 0
	s_waitcnt lgkmcnt(0)
	s_lshr_b32 s5, s2, 16
	v_add_co_u32_e32 v20, vcc, v1, v3
	s_cmp_lt_u32 s6, s22
	v_addc_co_u32_e32 v21, vcc, 0, v5, vcc
	s_cselect_b32 s2, 12, 18
	global_load_dword v3, v[20:21], off
	s_add_u32 s2, s3, s2
	v_mov_b32_e32 v4, 0
	s_addc_u32 s3, s4, 0
	global_load_ushort v1, v4, s[2:3]
	v_mul_u32_u24_e32 v7, 5, v2
	v_lshlrev_b32_e32 v7, 2, v7
	ds_write2_b32 v7, v4, v4 offset0:16 offset1:17
	ds_write2_b32 v7, v4, v4 offset0:18 offset1:19
	ds_write_b32 v7, v4 offset:80
	global_load_dword v8, v[20:21], off offset:256
	global_load_dword v9, v[20:21], off offset:512
	;; [unrolled: 1-line block ×11, first 2 shown]
	v_bfe_u32 v5, v0, 10, 10
	v_bfe_u32 v0, v0, 20, 10
	s_lshl_b32 s2, -1, s21
	v_mad_u32_u24 v0, v0, s5, v5
	s_not_b32 s21, s2
	s_waitcnt lgkmcnt(0)
	s_barrier
	s_waitcnt lgkmcnt(0)
	; wave barrier
	s_waitcnt vmcnt(12)
	v_lshrrev_b32_e32 v5, s20, v3
	v_and_b32_e32 v19, s21, v5
	v_and_b32_e32 v21, 1, v19
	v_lshlrev_b32_e32 v5, 30, v19
	s_waitcnt vmcnt(11)
	v_mad_u64_u32 v[0:1], s[2:3], v0, v1, v[2:3]
	v_add_co_u32_e32 v1, vcc, -1, v21
	v_addc_co_u32_e64 v22, s[2:3], 0, -1, vcc
	v_cmp_ne_u32_e32 vcc, 0, v21
	v_cmp_gt_i64_e64 s[2:3], 0, v[4:5]
	v_not_b32_e32 v21, v5
	v_lshlrev_b32_e32 v5, 29, v19
	v_lshl_add_u32 v20, v19, 4, v19
	v_lshrrev_b32_e32 v28, 6, v0
	v_xor_b32_e32 v0, vcc_hi, v22
	v_xor_b32_e32 v1, vcc_lo, v1
	v_ashrrev_i32_e32 v21, 31, v21
	v_cmp_gt_i64_e32 vcc, 0, v[4:5]
	v_not_b32_e32 v23, v5
	v_lshlrev_b32_e32 v5, 28, v19
	v_add_lshl_u32 v22, v28, v20, 2
	v_and_b32_e32 v0, exec_hi, v0
	v_and_b32_e32 v1, exec_lo, v1
	v_xor_b32_e32 v20, s3, v21
	v_xor_b32_e32 v21, s2, v21
	v_ashrrev_i32_e32 v23, 31, v23
	v_cmp_gt_i64_e64 s[2:3], 0, v[4:5]
	v_not_b32_e32 v5, v5
	v_and_b32_e32 v0, v0, v20
	v_and_b32_e32 v1, v1, v21
	v_xor_b32_e32 v20, vcc_hi, v23
	v_xor_b32_e32 v21, vcc_lo, v23
	v_ashrrev_i32_e32 v5, 31, v5
	v_and_b32_e32 v0, v0, v20
	v_and_b32_e32 v1, v1, v21
	v_xor_b32_e32 v20, s3, v5
	v_xor_b32_e32 v5, s2, v5
	v_and_b32_e32 v1, v1, v5
	v_lshlrev_b32_e32 v5, 27, v19
	v_cmp_gt_i64_e32 vcc, 0, v[4:5]
	v_not_b32_e32 v5, v5
	v_ashrrev_i32_e32 v5, 31, v5
	v_and_b32_e32 v0, v0, v20
	v_xor_b32_e32 v20, vcc_hi, v5
	v_xor_b32_e32 v5, vcc_lo, v5
	v_and_b32_e32 v1, v1, v5
	v_lshlrev_b32_e32 v5, 26, v19
	v_cmp_gt_i64_e32 vcc, 0, v[4:5]
	v_not_b32_e32 v5, v5
	v_ashrrev_i32_e32 v5, 31, v5
	v_and_b32_e32 v0, v0, v20
	v_xor_b32_e32 v20, vcc_hi, v5
	v_xor_b32_e32 v5, vcc_lo, v5
	;; [unrolled: 8-line block ×3, first 2 shown]
	v_and_b32_e32 v0, v0, v20
	v_and_b32_e32 v20, v1, v5
	v_lshlrev_b32_e32 v5, 24, v19
	v_not_b32_e32 v1, v5
	v_cmp_gt_i64_e32 vcc, 0, v[4:5]
	v_ashrrev_i32_e32 v1, 31, v1
	v_xor_b32_e32 v5, vcc_hi, v1
	v_xor_b32_e32 v19, vcc_lo, v1
	v_and_b32_e32 v1, v0, v5
	v_and_b32_e32 v0, v20, v19
	v_mbcnt_lo_u32_b32 v5, v0, 0
	v_mbcnt_hi_u32_b32 v19, v1, v5
	v_cmp_eq_u32_e32 vcc, 0, v19
	v_cmp_ne_u64_e64 s[2:3], 0, v[0:1]
	s_and_b64 s[4:5], s[2:3], vcc
	s_and_saveexec_b64 s[2:3], s[4:5]
	s_cbranch_execz .LBB1114_89
; %bb.88:
	v_bcnt_u32_b32 v0, v0, 0
	v_bcnt_u32_b32 v0, v1, v0
	ds_write_b32 v22, v0 offset:64
.LBB1114_89:
	s_or_b64 exec, exec, s[2:3]
	s_waitcnt vmcnt(10)
	v_lshrrev_b32_e32 v0, s20, v8
	v_and_b32_e32 v0, s21, v0
	v_lshl_add_u32 v1, v0, 4, v0
	v_add_lshl_u32 v24, v28, v1, 2
	v_and_b32_e32 v1, 1, v0
	v_add_co_u32_e32 v5, vcc, -1, v1
	v_addc_co_u32_e64 v21, s[2:3], 0, -1, vcc
	v_cmp_ne_u32_e32 vcc, 0, v1
	v_xor_b32_e32 v5, vcc_lo, v5
	v_xor_b32_e32 v1, vcc_hi, v21
	v_and_b32_e32 v21, exec_lo, v5
	v_lshlrev_b32_e32 v5, 30, v0
	v_cmp_gt_i64_e32 vcc, 0, v[4:5]
	v_not_b32_e32 v5, v5
	v_ashrrev_i32_e32 v5, 31, v5
	v_xor_b32_e32 v23, vcc_hi, v5
	v_xor_b32_e32 v5, vcc_lo, v5
	v_and_b32_e32 v21, v21, v5
	v_lshlrev_b32_e32 v5, 29, v0
	v_cmp_gt_i64_e32 vcc, 0, v[4:5]
	v_not_b32_e32 v5, v5
	v_and_b32_e32 v1, exec_hi, v1
	v_ashrrev_i32_e32 v5, 31, v5
	v_and_b32_e32 v1, v1, v23
	v_xor_b32_e32 v23, vcc_hi, v5
	v_xor_b32_e32 v5, vcc_lo, v5
	v_and_b32_e32 v21, v21, v5
	v_lshlrev_b32_e32 v5, 28, v0
	v_cmp_gt_i64_e32 vcc, 0, v[4:5]
	v_not_b32_e32 v5, v5
	v_ashrrev_i32_e32 v5, 31, v5
	v_and_b32_e32 v1, v1, v23
	v_xor_b32_e32 v23, vcc_hi, v5
	v_xor_b32_e32 v5, vcc_lo, v5
	v_and_b32_e32 v21, v21, v5
	v_lshlrev_b32_e32 v5, 27, v0
	v_cmp_gt_i64_e32 vcc, 0, v[4:5]
	v_not_b32_e32 v5, v5
	;; [unrolled: 8-line block ×4, first 2 shown]
	v_ashrrev_i32_e32 v5, 31, v5
	v_and_b32_e32 v1, v1, v23
	v_xor_b32_e32 v23, vcc_hi, v5
	v_xor_b32_e32 v5, vcc_lo, v5
	v_and_b32_e32 v21, v21, v5
	v_lshlrev_b32_e32 v5, 24, v0
	v_not_b32_e32 v0, v5
	v_cmp_gt_i64_e32 vcc, 0, v[4:5]
	v_ashrrev_i32_e32 v0, 31, v0
	v_xor_b32_e32 v4, vcc_hi, v0
	v_xor_b32_e32 v0, vcc_lo, v0
	; wave barrier
	ds_read_b32 v20, v24 offset:64
	v_and_b32_e32 v1, v1, v23
	v_and_b32_e32 v0, v21, v0
	v_and_b32_e32 v1, v1, v4
	v_mbcnt_lo_u32_b32 v4, v0, 0
	v_mbcnt_hi_u32_b32 v21, v1, v4
	v_cmp_eq_u32_e32 vcc, 0, v21
	v_cmp_ne_u64_e64 s[2:3], 0, v[0:1]
	s_and_b64 s[4:5], s[2:3], vcc
	; wave barrier
	s_and_saveexec_b64 s[2:3], s[4:5]
	s_cbranch_execz .LBB1114_91
; %bb.90:
	v_bcnt_u32_b32 v0, v0, 0
	v_bcnt_u32_b32 v0, v1, v0
	s_waitcnt lgkmcnt(0)
	v_add_u32_e32 v0, v20, v0
	ds_write_b32 v24, v0 offset:64
.LBB1114_91:
	s_or_b64 exec, exec, s[2:3]
	s_waitcnt vmcnt(9)
	v_lshrrev_b32_e32 v0, s20, v9
	v_and_b32_e32 v4, s21, v0
	v_and_b32_e32 v1, 1, v4
	v_add_co_u32_e32 v5, vcc, -1, v1
	v_addc_co_u32_e64 v25, s[2:3], 0, -1, vcc
	v_cmp_ne_u32_e32 vcc, 0, v1
	v_lshl_add_u32 v0, v4, 4, v4
	v_xor_b32_e32 v1, vcc_hi, v25
	v_add_lshl_u32 v27, v28, v0, 2
	v_mov_b32_e32 v0, 0
	v_and_b32_e32 v25, exec_hi, v1
	v_lshlrev_b32_e32 v1, 30, v4
	v_xor_b32_e32 v5, vcc_lo, v5
	v_cmp_gt_i64_e32 vcc, 0, v[0:1]
	v_not_b32_e32 v1, v1
	v_ashrrev_i32_e32 v1, 31, v1
	v_and_b32_e32 v5, exec_lo, v5
	v_xor_b32_e32 v26, vcc_hi, v1
	v_xor_b32_e32 v1, vcc_lo, v1
	v_and_b32_e32 v5, v5, v1
	v_lshlrev_b32_e32 v1, 29, v4
	v_cmp_gt_i64_e32 vcc, 0, v[0:1]
	v_not_b32_e32 v1, v1
	v_ashrrev_i32_e32 v1, 31, v1
	v_and_b32_e32 v25, v25, v26
	v_xor_b32_e32 v26, vcc_hi, v1
	v_xor_b32_e32 v1, vcc_lo, v1
	v_and_b32_e32 v5, v5, v1
	v_lshlrev_b32_e32 v1, 28, v4
	v_cmp_gt_i64_e32 vcc, 0, v[0:1]
	v_not_b32_e32 v1, v1
	v_ashrrev_i32_e32 v1, 31, v1
	v_and_b32_e32 v25, v25, v26
	;; [unrolled: 8-line block ×5, first 2 shown]
	v_xor_b32_e32 v26, vcc_hi, v1
	v_xor_b32_e32 v1, vcc_lo, v1
	v_and_b32_e32 v25, v25, v26
	v_and_b32_e32 v26, v5, v1
	v_lshlrev_b32_e32 v1, 24, v4
	v_cmp_gt_i64_e32 vcc, 0, v[0:1]
	v_not_b32_e32 v1, v1
	v_ashrrev_i32_e32 v1, 31, v1
	v_xor_b32_e32 v4, vcc_hi, v1
	v_xor_b32_e32 v1, vcc_lo, v1
	; wave barrier
	ds_read_b32 v23, v27 offset:64
	v_and_b32_e32 v5, v25, v4
	v_and_b32_e32 v4, v26, v1
	v_mbcnt_lo_u32_b32 v1, v4, 0
	v_mbcnt_hi_u32_b32 v25, v5, v1
	v_cmp_eq_u32_e32 vcc, 0, v25
	v_cmp_ne_u64_e64 s[2:3], 0, v[4:5]
	s_and_b64 s[4:5], s[2:3], vcc
	; wave barrier
	s_and_saveexec_b64 s[2:3], s[4:5]
	s_cbranch_execz .LBB1114_93
; %bb.92:
	v_bcnt_u32_b32 v1, v4, 0
	v_bcnt_u32_b32 v1, v5, v1
	s_waitcnt lgkmcnt(0)
	v_add_u32_e32 v1, v23, v1
	ds_write_b32 v27, v1 offset:64
.LBB1114_93:
	s_or_b64 exec, exec, s[2:3]
	s_waitcnt vmcnt(8)
	v_lshrrev_b32_e32 v1, s20, v10
	v_and_b32_e32 v4, s21, v1
	v_lshl_add_u32 v1, v4, 4, v4
	v_add_lshl_u32 v31, v28, v1, 2
	v_and_b32_e32 v1, 1, v4
	v_add_co_u32_e32 v5, vcc, -1, v1
	v_addc_co_u32_e64 v29, s[2:3], 0, -1, vcc
	v_cmp_ne_u32_e32 vcc, 0, v1
	v_xor_b32_e32 v1, vcc_hi, v29
	v_and_b32_e32 v29, exec_hi, v1
	v_lshlrev_b32_e32 v1, 30, v4
	v_xor_b32_e32 v5, vcc_lo, v5
	v_cmp_gt_i64_e32 vcc, 0, v[0:1]
	v_not_b32_e32 v1, v1
	v_ashrrev_i32_e32 v1, 31, v1
	v_and_b32_e32 v5, exec_lo, v5
	v_xor_b32_e32 v30, vcc_hi, v1
	v_xor_b32_e32 v1, vcc_lo, v1
	v_and_b32_e32 v5, v5, v1
	v_lshlrev_b32_e32 v1, 29, v4
	v_cmp_gt_i64_e32 vcc, 0, v[0:1]
	v_not_b32_e32 v1, v1
	v_ashrrev_i32_e32 v1, 31, v1
	v_and_b32_e32 v29, v29, v30
	v_xor_b32_e32 v30, vcc_hi, v1
	v_xor_b32_e32 v1, vcc_lo, v1
	v_and_b32_e32 v5, v5, v1
	v_lshlrev_b32_e32 v1, 28, v4
	v_cmp_gt_i64_e32 vcc, 0, v[0:1]
	v_not_b32_e32 v1, v1
	v_ashrrev_i32_e32 v1, 31, v1
	v_and_b32_e32 v29, v29, v30
	;; [unrolled: 8-line block ×5, first 2 shown]
	v_xor_b32_e32 v30, vcc_hi, v1
	v_xor_b32_e32 v1, vcc_lo, v1
	v_and_b32_e32 v5, v5, v1
	v_lshlrev_b32_e32 v1, 24, v4
	v_cmp_gt_i64_e32 vcc, 0, v[0:1]
	v_not_b32_e32 v0, v1
	v_ashrrev_i32_e32 v0, 31, v0
	v_xor_b32_e32 v1, vcc_hi, v0
	v_xor_b32_e32 v0, vcc_lo, v0
	; wave barrier
	ds_read_b32 v26, v31 offset:64
	v_and_b32_e32 v29, v29, v30
	v_and_b32_e32 v0, v5, v0
	;; [unrolled: 1-line block ×3, first 2 shown]
	v_mbcnt_lo_u32_b32 v4, v0, 0
	v_mbcnt_hi_u32_b32 v29, v1, v4
	v_cmp_eq_u32_e32 vcc, 0, v29
	v_cmp_ne_u64_e64 s[2:3], 0, v[0:1]
	s_and_b64 s[4:5], s[2:3], vcc
	; wave barrier
	s_and_saveexec_b64 s[2:3], s[4:5]
	s_cbranch_execz .LBB1114_95
; %bb.94:
	v_bcnt_u32_b32 v0, v0, 0
	v_bcnt_u32_b32 v0, v1, v0
	s_waitcnt lgkmcnt(0)
	v_add_u32_e32 v0, v26, v0
	ds_write_b32 v31, v0 offset:64
.LBB1114_95:
	s_or_b64 exec, exec, s[2:3]
	s_waitcnt vmcnt(7)
	v_lshrrev_b32_e32 v0, s20, v11
	v_and_b32_e32 v4, s21, v0
	v_and_b32_e32 v1, 1, v4
	v_add_co_u32_e32 v5, vcc, -1, v1
	v_addc_co_u32_e64 v32, s[2:3], 0, -1, vcc
	v_cmp_ne_u32_e32 vcc, 0, v1
	v_lshl_add_u32 v0, v4, 4, v4
	v_xor_b32_e32 v1, vcc_hi, v32
	v_add_lshl_u32 v34, v28, v0, 2
	v_mov_b32_e32 v0, 0
	v_and_b32_e32 v32, exec_hi, v1
	v_lshlrev_b32_e32 v1, 30, v4
	v_xor_b32_e32 v5, vcc_lo, v5
	v_cmp_gt_i64_e32 vcc, 0, v[0:1]
	v_not_b32_e32 v1, v1
	v_ashrrev_i32_e32 v1, 31, v1
	v_and_b32_e32 v5, exec_lo, v5
	v_xor_b32_e32 v33, vcc_hi, v1
	v_xor_b32_e32 v1, vcc_lo, v1
	v_and_b32_e32 v5, v5, v1
	v_lshlrev_b32_e32 v1, 29, v4
	v_cmp_gt_i64_e32 vcc, 0, v[0:1]
	v_not_b32_e32 v1, v1
	v_ashrrev_i32_e32 v1, 31, v1
	v_and_b32_e32 v32, v32, v33
	v_xor_b32_e32 v33, vcc_hi, v1
	v_xor_b32_e32 v1, vcc_lo, v1
	v_and_b32_e32 v5, v5, v1
	v_lshlrev_b32_e32 v1, 28, v4
	v_cmp_gt_i64_e32 vcc, 0, v[0:1]
	v_not_b32_e32 v1, v1
	v_ashrrev_i32_e32 v1, 31, v1
	v_and_b32_e32 v32, v32, v33
	v_xor_b32_e32 v33, vcc_hi, v1
	v_xor_b32_e32 v1, vcc_lo, v1
	v_and_b32_e32 v5, v5, v1
	v_lshlrev_b32_e32 v1, 27, v4
	v_cmp_gt_i64_e32 vcc, 0, v[0:1]
	v_not_b32_e32 v1, v1
	v_ashrrev_i32_e32 v1, 31, v1
	v_and_b32_e32 v32, v32, v33
	v_xor_b32_e32 v33, vcc_hi, v1
	v_xor_b32_e32 v1, vcc_lo, v1
	v_and_b32_e32 v5, v5, v1
	v_lshlrev_b32_e32 v1, 26, v4
	v_cmp_gt_i64_e32 vcc, 0, v[0:1]
	v_not_b32_e32 v1, v1
	v_ashrrev_i32_e32 v1, 31, v1
	v_and_b32_e32 v32, v32, v33
	v_xor_b32_e32 v33, vcc_hi, v1
	v_xor_b32_e32 v1, vcc_lo, v1
	v_and_b32_e32 v5, v5, v1
	v_lshlrev_b32_e32 v1, 25, v4
	v_cmp_gt_i64_e32 vcc, 0, v[0:1]
	v_not_b32_e32 v1, v1
	v_ashrrev_i32_e32 v1, 31, v1
	v_and_b32_e32 v32, v32, v33
	v_xor_b32_e32 v33, vcc_hi, v1
	v_xor_b32_e32 v1, vcc_lo, v1
	v_and_b32_e32 v32, v32, v33
	v_and_b32_e32 v33, v5, v1
	v_lshlrev_b32_e32 v1, 24, v4
	v_cmp_gt_i64_e32 vcc, 0, v[0:1]
	v_not_b32_e32 v1, v1
	v_ashrrev_i32_e32 v1, 31, v1
	v_xor_b32_e32 v4, vcc_hi, v1
	v_xor_b32_e32 v1, vcc_lo, v1
	; wave barrier
	ds_read_b32 v30, v34 offset:64
	v_and_b32_e32 v5, v32, v4
	v_and_b32_e32 v4, v33, v1
	v_mbcnt_lo_u32_b32 v1, v4, 0
	v_mbcnt_hi_u32_b32 v32, v5, v1
	v_cmp_eq_u32_e32 vcc, 0, v32
	v_cmp_ne_u64_e64 s[2:3], 0, v[4:5]
	s_and_b64 s[4:5], s[2:3], vcc
	; wave barrier
	s_and_saveexec_b64 s[2:3], s[4:5]
	s_cbranch_execz .LBB1114_97
; %bb.96:
	v_bcnt_u32_b32 v1, v4, 0
	v_bcnt_u32_b32 v1, v5, v1
	s_waitcnt lgkmcnt(0)
	v_add_u32_e32 v1, v30, v1
	ds_write_b32 v34, v1 offset:64
.LBB1114_97:
	s_or_b64 exec, exec, s[2:3]
	s_waitcnt vmcnt(6)
	v_lshrrev_b32_e32 v1, s20, v12
	v_and_b32_e32 v4, s21, v1
	v_lshl_add_u32 v1, v4, 4, v4
	v_add_lshl_u32 v37, v28, v1, 2
	v_and_b32_e32 v1, 1, v4
	v_add_co_u32_e32 v5, vcc, -1, v1
	v_addc_co_u32_e64 v35, s[2:3], 0, -1, vcc
	v_cmp_ne_u32_e32 vcc, 0, v1
	v_xor_b32_e32 v1, vcc_hi, v35
	v_and_b32_e32 v35, exec_hi, v1
	v_lshlrev_b32_e32 v1, 30, v4
	v_xor_b32_e32 v5, vcc_lo, v5
	v_cmp_gt_i64_e32 vcc, 0, v[0:1]
	v_not_b32_e32 v1, v1
	v_ashrrev_i32_e32 v1, 31, v1
	v_and_b32_e32 v5, exec_lo, v5
	v_xor_b32_e32 v36, vcc_hi, v1
	v_xor_b32_e32 v1, vcc_lo, v1
	v_and_b32_e32 v5, v5, v1
	v_lshlrev_b32_e32 v1, 29, v4
	v_cmp_gt_i64_e32 vcc, 0, v[0:1]
	v_not_b32_e32 v1, v1
	v_ashrrev_i32_e32 v1, 31, v1
	v_and_b32_e32 v35, v35, v36
	v_xor_b32_e32 v36, vcc_hi, v1
	v_xor_b32_e32 v1, vcc_lo, v1
	v_and_b32_e32 v5, v5, v1
	v_lshlrev_b32_e32 v1, 28, v4
	v_cmp_gt_i64_e32 vcc, 0, v[0:1]
	v_not_b32_e32 v1, v1
	v_ashrrev_i32_e32 v1, 31, v1
	v_and_b32_e32 v35, v35, v36
	;; [unrolled: 8-line block ×5, first 2 shown]
	v_xor_b32_e32 v36, vcc_hi, v1
	v_xor_b32_e32 v1, vcc_lo, v1
	v_and_b32_e32 v5, v5, v1
	v_lshlrev_b32_e32 v1, 24, v4
	v_cmp_gt_i64_e32 vcc, 0, v[0:1]
	v_not_b32_e32 v0, v1
	v_ashrrev_i32_e32 v0, 31, v0
	v_xor_b32_e32 v1, vcc_hi, v0
	v_xor_b32_e32 v0, vcc_lo, v0
	; wave barrier
	ds_read_b32 v33, v37 offset:64
	v_and_b32_e32 v35, v35, v36
	v_and_b32_e32 v0, v5, v0
	;; [unrolled: 1-line block ×3, first 2 shown]
	v_mbcnt_lo_u32_b32 v4, v0, 0
	v_mbcnt_hi_u32_b32 v35, v1, v4
	v_cmp_eq_u32_e32 vcc, 0, v35
	v_cmp_ne_u64_e64 s[2:3], 0, v[0:1]
	s_and_b64 s[4:5], s[2:3], vcc
	; wave barrier
	s_and_saveexec_b64 s[2:3], s[4:5]
	s_cbranch_execz .LBB1114_99
; %bb.98:
	v_bcnt_u32_b32 v0, v0, 0
	v_bcnt_u32_b32 v0, v1, v0
	s_waitcnt lgkmcnt(0)
	v_add_u32_e32 v0, v33, v0
	ds_write_b32 v37, v0 offset:64
.LBB1114_99:
	s_or_b64 exec, exec, s[2:3]
	s_waitcnt vmcnt(5)
	v_lshrrev_b32_e32 v0, s20, v13
	v_and_b32_e32 v4, s21, v0
	v_and_b32_e32 v1, 1, v4
	v_add_co_u32_e32 v5, vcc, -1, v1
	v_addc_co_u32_e64 v38, s[2:3], 0, -1, vcc
	v_cmp_ne_u32_e32 vcc, 0, v1
	v_lshl_add_u32 v0, v4, 4, v4
	v_xor_b32_e32 v1, vcc_hi, v38
	v_add_lshl_u32 v40, v28, v0, 2
	v_mov_b32_e32 v0, 0
	v_and_b32_e32 v38, exec_hi, v1
	v_lshlrev_b32_e32 v1, 30, v4
	v_xor_b32_e32 v5, vcc_lo, v5
	v_cmp_gt_i64_e32 vcc, 0, v[0:1]
	v_not_b32_e32 v1, v1
	v_ashrrev_i32_e32 v1, 31, v1
	v_and_b32_e32 v5, exec_lo, v5
	v_xor_b32_e32 v39, vcc_hi, v1
	v_xor_b32_e32 v1, vcc_lo, v1
	v_and_b32_e32 v5, v5, v1
	v_lshlrev_b32_e32 v1, 29, v4
	v_cmp_gt_i64_e32 vcc, 0, v[0:1]
	v_not_b32_e32 v1, v1
	v_ashrrev_i32_e32 v1, 31, v1
	v_and_b32_e32 v38, v38, v39
	v_xor_b32_e32 v39, vcc_hi, v1
	v_xor_b32_e32 v1, vcc_lo, v1
	v_and_b32_e32 v5, v5, v1
	v_lshlrev_b32_e32 v1, 28, v4
	v_cmp_gt_i64_e32 vcc, 0, v[0:1]
	v_not_b32_e32 v1, v1
	v_ashrrev_i32_e32 v1, 31, v1
	v_and_b32_e32 v38, v38, v39
	;; [unrolled: 8-line block ×5, first 2 shown]
	v_xor_b32_e32 v39, vcc_hi, v1
	v_xor_b32_e32 v1, vcc_lo, v1
	v_and_b32_e32 v38, v38, v39
	v_and_b32_e32 v39, v5, v1
	v_lshlrev_b32_e32 v1, 24, v4
	v_cmp_gt_i64_e32 vcc, 0, v[0:1]
	v_not_b32_e32 v1, v1
	v_ashrrev_i32_e32 v1, 31, v1
	v_xor_b32_e32 v4, vcc_hi, v1
	v_xor_b32_e32 v1, vcc_lo, v1
	; wave barrier
	ds_read_b32 v36, v40 offset:64
	v_and_b32_e32 v5, v38, v4
	v_and_b32_e32 v4, v39, v1
	v_mbcnt_lo_u32_b32 v1, v4, 0
	v_mbcnt_hi_u32_b32 v38, v5, v1
	v_cmp_eq_u32_e32 vcc, 0, v38
	v_cmp_ne_u64_e64 s[2:3], 0, v[4:5]
	s_and_b64 s[4:5], s[2:3], vcc
	; wave barrier
	s_and_saveexec_b64 s[2:3], s[4:5]
	s_cbranch_execz .LBB1114_101
; %bb.100:
	v_bcnt_u32_b32 v1, v4, 0
	v_bcnt_u32_b32 v1, v5, v1
	s_waitcnt lgkmcnt(0)
	v_add_u32_e32 v1, v36, v1
	ds_write_b32 v40, v1 offset:64
.LBB1114_101:
	s_or_b64 exec, exec, s[2:3]
	s_waitcnt vmcnt(4)
	v_lshrrev_b32_e32 v1, s20, v14
	v_and_b32_e32 v4, s21, v1
	v_lshl_add_u32 v1, v4, 4, v4
	v_add_lshl_u32 v43, v28, v1, 2
	v_and_b32_e32 v1, 1, v4
	v_add_co_u32_e32 v5, vcc, -1, v1
	v_addc_co_u32_e64 v41, s[2:3], 0, -1, vcc
	v_cmp_ne_u32_e32 vcc, 0, v1
	v_xor_b32_e32 v1, vcc_hi, v41
	v_and_b32_e32 v41, exec_hi, v1
	v_lshlrev_b32_e32 v1, 30, v4
	v_xor_b32_e32 v5, vcc_lo, v5
	v_cmp_gt_i64_e32 vcc, 0, v[0:1]
	v_not_b32_e32 v1, v1
	v_ashrrev_i32_e32 v1, 31, v1
	v_and_b32_e32 v5, exec_lo, v5
	v_xor_b32_e32 v42, vcc_hi, v1
	v_xor_b32_e32 v1, vcc_lo, v1
	v_and_b32_e32 v5, v5, v1
	v_lshlrev_b32_e32 v1, 29, v4
	v_cmp_gt_i64_e32 vcc, 0, v[0:1]
	v_not_b32_e32 v1, v1
	v_ashrrev_i32_e32 v1, 31, v1
	v_and_b32_e32 v41, v41, v42
	v_xor_b32_e32 v42, vcc_hi, v1
	v_xor_b32_e32 v1, vcc_lo, v1
	v_and_b32_e32 v5, v5, v1
	v_lshlrev_b32_e32 v1, 28, v4
	v_cmp_gt_i64_e32 vcc, 0, v[0:1]
	v_not_b32_e32 v1, v1
	v_ashrrev_i32_e32 v1, 31, v1
	v_and_b32_e32 v41, v41, v42
	;; [unrolled: 8-line block ×5, first 2 shown]
	v_xor_b32_e32 v42, vcc_hi, v1
	v_xor_b32_e32 v1, vcc_lo, v1
	v_and_b32_e32 v5, v5, v1
	v_lshlrev_b32_e32 v1, 24, v4
	v_cmp_gt_i64_e32 vcc, 0, v[0:1]
	v_not_b32_e32 v0, v1
	v_ashrrev_i32_e32 v0, 31, v0
	v_xor_b32_e32 v1, vcc_hi, v0
	v_xor_b32_e32 v0, vcc_lo, v0
	; wave barrier
	ds_read_b32 v39, v43 offset:64
	v_and_b32_e32 v41, v41, v42
	v_and_b32_e32 v0, v5, v0
	;; [unrolled: 1-line block ×3, first 2 shown]
	v_mbcnt_lo_u32_b32 v4, v0, 0
	v_mbcnt_hi_u32_b32 v41, v1, v4
	v_cmp_eq_u32_e32 vcc, 0, v41
	v_cmp_ne_u64_e64 s[2:3], 0, v[0:1]
	s_and_b64 s[4:5], s[2:3], vcc
	; wave barrier
	s_and_saveexec_b64 s[2:3], s[4:5]
	s_cbranch_execz .LBB1114_103
; %bb.102:
	v_bcnt_u32_b32 v0, v0, 0
	v_bcnt_u32_b32 v0, v1, v0
	s_waitcnt lgkmcnt(0)
	v_add_u32_e32 v0, v39, v0
	ds_write_b32 v43, v0 offset:64
.LBB1114_103:
	s_or_b64 exec, exec, s[2:3]
	s_waitcnt vmcnt(3)
	v_lshrrev_b32_e32 v0, s20, v15
	v_and_b32_e32 v4, s21, v0
	v_and_b32_e32 v1, 1, v4
	v_add_co_u32_e32 v5, vcc, -1, v1
	v_addc_co_u32_e64 v44, s[2:3], 0, -1, vcc
	v_cmp_ne_u32_e32 vcc, 0, v1
	v_lshl_add_u32 v0, v4, 4, v4
	v_xor_b32_e32 v1, vcc_hi, v44
	v_add_lshl_u32 v46, v28, v0, 2
	v_mov_b32_e32 v0, 0
	v_and_b32_e32 v44, exec_hi, v1
	v_lshlrev_b32_e32 v1, 30, v4
	v_xor_b32_e32 v5, vcc_lo, v5
	v_cmp_gt_i64_e32 vcc, 0, v[0:1]
	v_not_b32_e32 v1, v1
	v_ashrrev_i32_e32 v1, 31, v1
	v_and_b32_e32 v5, exec_lo, v5
	v_xor_b32_e32 v45, vcc_hi, v1
	v_xor_b32_e32 v1, vcc_lo, v1
	v_and_b32_e32 v5, v5, v1
	v_lshlrev_b32_e32 v1, 29, v4
	v_cmp_gt_i64_e32 vcc, 0, v[0:1]
	v_not_b32_e32 v1, v1
	v_ashrrev_i32_e32 v1, 31, v1
	v_and_b32_e32 v44, v44, v45
	v_xor_b32_e32 v45, vcc_hi, v1
	v_xor_b32_e32 v1, vcc_lo, v1
	v_and_b32_e32 v5, v5, v1
	v_lshlrev_b32_e32 v1, 28, v4
	v_cmp_gt_i64_e32 vcc, 0, v[0:1]
	v_not_b32_e32 v1, v1
	v_ashrrev_i32_e32 v1, 31, v1
	v_and_b32_e32 v44, v44, v45
	;; [unrolled: 8-line block ×5, first 2 shown]
	v_xor_b32_e32 v45, vcc_hi, v1
	v_xor_b32_e32 v1, vcc_lo, v1
	v_and_b32_e32 v44, v44, v45
	v_and_b32_e32 v45, v5, v1
	v_lshlrev_b32_e32 v1, 24, v4
	v_cmp_gt_i64_e32 vcc, 0, v[0:1]
	v_not_b32_e32 v1, v1
	v_ashrrev_i32_e32 v1, 31, v1
	v_xor_b32_e32 v4, vcc_hi, v1
	v_xor_b32_e32 v1, vcc_lo, v1
	; wave barrier
	ds_read_b32 v42, v46 offset:64
	v_and_b32_e32 v5, v44, v4
	v_and_b32_e32 v4, v45, v1
	v_mbcnt_lo_u32_b32 v1, v4, 0
	v_mbcnt_hi_u32_b32 v44, v5, v1
	v_cmp_eq_u32_e32 vcc, 0, v44
	v_cmp_ne_u64_e64 s[2:3], 0, v[4:5]
	s_and_b64 s[4:5], s[2:3], vcc
	; wave barrier
	s_and_saveexec_b64 s[2:3], s[4:5]
	s_cbranch_execz .LBB1114_105
; %bb.104:
	v_bcnt_u32_b32 v1, v4, 0
	v_bcnt_u32_b32 v1, v5, v1
	s_waitcnt lgkmcnt(0)
	v_add_u32_e32 v1, v42, v1
	ds_write_b32 v46, v1 offset:64
.LBB1114_105:
	s_or_b64 exec, exec, s[2:3]
	s_waitcnt vmcnt(2)
	v_lshrrev_b32_e32 v1, s20, v16
	v_and_b32_e32 v4, s21, v1
	v_lshl_add_u32 v1, v4, 4, v4
	v_add_lshl_u32 v49, v28, v1, 2
	v_and_b32_e32 v1, 1, v4
	v_add_co_u32_e32 v5, vcc, -1, v1
	v_addc_co_u32_e64 v47, s[2:3], 0, -1, vcc
	v_cmp_ne_u32_e32 vcc, 0, v1
	v_xor_b32_e32 v1, vcc_hi, v47
	v_and_b32_e32 v47, exec_hi, v1
	v_lshlrev_b32_e32 v1, 30, v4
	v_xor_b32_e32 v5, vcc_lo, v5
	v_cmp_gt_i64_e32 vcc, 0, v[0:1]
	v_not_b32_e32 v1, v1
	v_ashrrev_i32_e32 v1, 31, v1
	v_and_b32_e32 v5, exec_lo, v5
	v_xor_b32_e32 v48, vcc_hi, v1
	v_xor_b32_e32 v1, vcc_lo, v1
	v_and_b32_e32 v5, v5, v1
	v_lshlrev_b32_e32 v1, 29, v4
	v_cmp_gt_i64_e32 vcc, 0, v[0:1]
	v_not_b32_e32 v1, v1
	v_ashrrev_i32_e32 v1, 31, v1
	v_and_b32_e32 v47, v47, v48
	v_xor_b32_e32 v48, vcc_hi, v1
	v_xor_b32_e32 v1, vcc_lo, v1
	v_and_b32_e32 v5, v5, v1
	v_lshlrev_b32_e32 v1, 28, v4
	v_cmp_gt_i64_e32 vcc, 0, v[0:1]
	v_not_b32_e32 v1, v1
	v_ashrrev_i32_e32 v1, 31, v1
	v_and_b32_e32 v47, v47, v48
	;; [unrolled: 8-line block ×5, first 2 shown]
	v_xor_b32_e32 v48, vcc_hi, v1
	v_xor_b32_e32 v1, vcc_lo, v1
	v_and_b32_e32 v5, v5, v1
	v_lshlrev_b32_e32 v1, 24, v4
	v_cmp_gt_i64_e32 vcc, 0, v[0:1]
	v_not_b32_e32 v0, v1
	v_ashrrev_i32_e32 v0, 31, v0
	v_xor_b32_e32 v1, vcc_hi, v0
	v_xor_b32_e32 v0, vcc_lo, v0
	; wave barrier
	ds_read_b32 v45, v49 offset:64
	v_and_b32_e32 v47, v47, v48
	v_and_b32_e32 v0, v5, v0
	;; [unrolled: 1-line block ×3, first 2 shown]
	v_mbcnt_lo_u32_b32 v4, v0, 0
	v_mbcnt_hi_u32_b32 v47, v1, v4
	v_cmp_eq_u32_e32 vcc, 0, v47
	v_cmp_ne_u64_e64 s[2:3], 0, v[0:1]
	s_and_b64 s[4:5], s[2:3], vcc
	; wave barrier
	s_and_saveexec_b64 s[2:3], s[4:5]
	s_cbranch_execz .LBB1114_107
; %bb.106:
	v_bcnt_u32_b32 v0, v0, 0
	v_bcnt_u32_b32 v0, v1, v0
	s_waitcnt lgkmcnt(0)
	v_add_u32_e32 v0, v45, v0
	ds_write_b32 v49, v0 offset:64
.LBB1114_107:
	s_or_b64 exec, exec, s[2:3]
	s_waitcnt vmcnt(1)
	v_lshrrev_b32_e32 v0, s20, v17
	v_and_b32_e32 v4, s21, v0
	v_and_b32_e32 v1, 1, v4
	v_add_co_u32_e32 v5, vcc, -1, v1
	v_addc_co_u32_e64 v50, s[2:3], 0, -1, vcc
	v_cmp_ne_u32_e32 vcc, 0, v1
	v_lshl_add_u32 v0, v4, 4, v4
	v_xor_b32_e32 v1, vcc_hi, v50
	v_add_lshl_u32 v51, v28, v0, 2
	v_mov_b32_e32 v0, 0
	v_and_b32_e32 v50, exec_hi, v1
	v_lshlrev_b32_e32 v1, 30, v4
	v_xor_b32_e32 v5, vcc_lo, v5
	v_cmp_gt_i64_e32 vcc, 0, v[0:1]
	v_not_b32_e32 v1, v1
	v_ashrrev_i32_e32 v1, 31, v1
	v_and_b32_e32 v5, exec_lo, v5
	v_xor_b32_e32 v52, vcc_hi, v1
	v_xor_b32_e32 v1, vcc_lo, v1
	v_and_b32_e32 v5, v5, v1
	v_lshlrev_b32_e32 v1, 29, v4
	v_cmp_gt_i64_e32 vcc, 0, v[0:1]
	v_not_b32_e32 v1, v1
	v_ashrrev_i32_e32 v1, 31, v1
	v_and_b32_e32 v50, v50, v52
	v_xor_b32_e32 v52, vcc_hi, v1
	v_xor_b32_e32 v1, vcc_lo, v1
	v_and_b32_e32 v5, v5, v1
	v_lshlrev_b32_e32 v1, 28, v4
	v_cmp_gt_i64_e32 vcc, 0, v[0:1]
	v_not_b32_e32 v1, v1
	v_ashrrev_i32_e32 v1, 31, v1
	v_and_b32_e32 v50, v50, v52
	v_xor_b32_e32 v52, vcc_hi, v1
	v_xor_b32_e32 v1, vcc_lo, v1
	v_and_b32_e32 v5, v5, v1
	v_lshlrev_b32_e32 v1, 27, v4
	v_cmp_gt_i64_e32 vcc, 0, v[0:1]
	v_not_b32_e32 v1, v1
	v_ashrrev_i32_e32 v1, 31, v1
	v_and_b32_e32 v50, v50, v52
	v_xor_b32_e32 v52, vcc_hi, v1
	v_xor_b32_e32 v1, vcc_lo, v1
	v_and_b32_e32 v5, v5, v1
	v_lshlrev_b32_e32 v1, 26, v4
	v_cmp_gt_i64_e32 vcc, 0, v[0:1]
	v_not_b32_e32 v1, v1
	v_ashrrev_i32_e32 v1, 31, v1
	v_and_b32_e32 v50, v50, v52
	v_xor_b32_e32 v52, vcc_hi, v1
	v_xor_b32_e32 v1, vcc_lo, v1
	v_and_b32_e32 v5, v5, v1
	v_lshlrev_b32_e32 v1, 25, v4
	v_cmp_gt_i64_e32 vcc, 0, v[0:1]
	v_not_b32_e32 v1, v1
	v_ashrrev_i32_e32 v1, 31, v1
	v_and_b32_e32 v50, v50, v52
	v_xor_b32_e32 v52, vcc_hi, v1
	v_xor_b32_e32 v1, vcc_lo, v1
	v_and_b32_e32 v50, v50, v52
	v_and_b32_e32 v52, v5, v1
	v_lshlrev_b32_e32 v1, 24, v4
	v_cmp_gt_i64_e32 vcc, 0, v[0:1]
	v_not_b32_e32 v1, v1
	v_ashrrev_i32_e32 v1, 31, v1
	v_xor_b32_e32 v4, vcc_hi, v1
	v_xor_b32_e32 v1, vcc_lo, v1
	; wave barrier
	ds_read_b32 v48, v51 offset:64
	v_and_b32_e32 v5, v50, v4
	v_and_b32_e32 v4, v52, v1
	v_mbcnt_lo_u32_b32 v1, v4, 0
	v_mbcnt_hi_u32_b32 v50, v5, v1
	v_cmp_eq_u32_e32 vcc, 0, v50
	v_cmp_ne_u64_e64 s[2:3], 0, v[4:5]
	s_and_b64 s[4:5], s[2:3], vcc
	; wave barrier
	s_and_saveexec_b64 s[2:3], s[4:5]
	s_cbranch_execz .LBB1114_109
; %bb.108:
	v_bcnt_u32_b32 v1, v4, 0
	v_bcnt_u32_b32 v1, v5, v1
	s_waitcnt lgkmcnt(0)
	v_add_u32_e32 v1, v48, v1
	ds_write_b32 v51, v1 offset:64
.LBB1114_109:
	s_or_b64 exec, exec, s[2:3]
	s_waitcnt vmcnt(0)
	v_lshrrev_b32_e32 v1, s20, v18
	v_and_b32_e32 v4, s21, v1
	v_lshl_add_u32 v1, v4, 4, v4
	v_add_lshl_u32 v53, v28, v1, 2
	v_and_b32_e32 v1, 1, v4
	v_add_co_u32_e32 v5, vcc, -1, v1
	v_addc_co_u32_e64 v52, s[2:3], 0, -1, vcc
	v_cmp_ne_u32_e32 vcc, 0, v1
	v_xor_b32_e32 v1, vcc_hi, v52
	v_and_b32_e32 v52, exec_hi, v1
	v_lshlrev_b32_e32 v1, 30, v4
	v_xor_b32_e32 v5, vcc_lo, v5
	v_cmp_gt_i64_e32 vcc, 0, v[0:1]
	v_not_b32_e32 v1, v1
	v_ashrrev_i32_e32 v1, 31, v1
	v_and_b32_e32 v5, exec_lo, v5
	v_xor_b32_e32 v55, vcc_hi, v1
	v_xor_b32_e32 v1, vcc_lo, v1
	v_and_b32_e32 v5, v5, v1
	v_lshlrev_b32_e32 v1, 29, v4
	v_cmp_gt_i64_e32 vcc, 0, v[0:1]
	v_not_b32_e32 v1, v1
	v_ashrrev_i32_e32 v1, 31, v1
	v_and_b32_e32 v52, v52, v55
	v_xor_b32_e32 v55, vcc_hi, v1
	v_xor_b32_e32 v1, vcc_lo, v1
	v_and_b32_e32 v5, v5, v1
	v_lshlrev_b32_e32 v1, 28, v4
	v_cmp_gt_i64_e32 vcc, 0, v[0:1]
	v_not_b32_e32 v1, v1
	v_ashrrev_i32_e32 v1, 31, v1
	v_and_b32_e32 v52, v52, v55
	;; [unrolled: 8-line block ×5, first 2 shown]
	v_xor_b32_e32 v55, vcc_hi, v1
	v_xor_b32_e32 v1, vcc_lo, v1
	v_and_b32_e32 v5, v5, v1
	v_lshlrev_b32_e32 v1, 24, v4
	v_cmp_gt_i64_e32 vcc, 0, v[0:1]
	v_not_b32_e32 v0, v1
	v_ashrrev_i32_e32 v0, 31, v0
	v_xor_b32_e32 v1, vcc_hi, v0
	v_xor_b32_e32 v0, vcc_lo, v0
	; wave barrier
	ds_read_b32 v28, v53 offset:64
	v_and_b32_e32 v52, v52, v55
	v_and_b32_e32 v0, v5, v0
	;; [unrolled: 1-line block ×3, first 2 shown]
	v_mbcnt_lo_u32_b32 v4, v0, 0
	v_mbcnt_hi_u32_b32 v52, v1, v4
	v_cmp_eq_u32_e32 vcc, 0, v52
	v_cmp_ne_u64_e64 s[2:3], 0, v[0:1]
	v_add_u32_e32 v54, 64, v7
	s_and_b64 s[4:5], s[2:3], vcc
	; wave barrier
	s_and_saveexec_b64 s[2:3], s[4:5]
	s_cbranch_execz .LBB1114_111
; %bb.110:
	v_bcnt_u32_b32 v0, v0, 0
	v_bcnt_u32_b32 v0, v1, v0
	s_waitcnt lgkmcnt(0)
	v_add_u32_e32 v0, v28, v0
	ds_write_b32 v53, v0 offset:64
.LBB1114_111:
	s_or_b64 exec, exec, s[2:3]
	; wave barrier
	s_waitcnt lgkmcnt(0)
	s_barrier
	ds_read2_b32 v[4:5], v7 offset0:16 offset1:17
	ds_read2_b32 v[0:1], v54 offset0:2 offset1:3
	ds_read_b32 v55, v54 offset:16
	v_cmp_lt_u32_e64 s[8:9], 31, v6
	s_waitcnt lgkmcnt(1)
	v_add3_u32 v56, v5, v4, v0
	s_waitcnt lgkmcnt(0)
	v_add3_u32 v55, v56, v1, v55
	v_and_b32_e32 v56, 15, v6
	v_cmp_eq_u32_e32 vcc, 0, v56
	v_mov_b32_dpp v57, v55 row_shr:1 row_mask:0xf bank_mask:0xf
	v_cndmask_b32_e64 v57, v57, 0, vcc
	v_add_u32_e32 v55, v57, v55
	v_cmp_lt_u32_e64 s[2:3], 1, v56
	v_cmp_lt_u32_e64 s[4:5], 3, v56
	v_mov_b32_dpp v57, v55 row_shr:2 row_mask:0xf bank_mask:0xf
	v_cndmask_b32_e64 v57, 0, v57, s[2:3]
	v_add_u32_e32 v55, v55, v57
	v_cmp_lt_u32_e64 s[6:7], 7, v56
	s_nop 0
	v_mov_b32_dpp v57, v55 row_shr:4 row_mask:0xf bank_mask:0xf
	v_cndmask_b32_e64 v57, 0, v57, s[4:5]
	v_add_u32_e32 v55, v55, v57
	s_nop 1
	v_mov_b32_dpp v57, v55 row_shr:8 row_mask:0xf bank_mask:0xf
	v_cndmask_b32_e64 v56, 0, v57, s[6:7]
	v_add_u32_e32 v55, v55, v56
	v_bfe_i32 v57, v6, 4, 1
	s_nop 0
	v_mov_b32_dpp v56, v55 row_bcast:15 row_mask:0xf bank_mask:0xf
	v_and_b32_e32 v56, v57, v56
	v_add_u32_e32 v55, v55, v56
	v_and_b32_e32 v57, 63, v2
	s_nop 0
	v_mov_b32_dpp v56, v55 row_bcast:31 row_mask:0xf bank_mask:0xf
	v_cndmask_b32_e64 v56, 0, v56, s[8:9]
	v_add_u32_e32 v55, v55, v56
	v_lshrrev_b32_e32 v56, 6, v2
	v_cmp_eq_u32_e64 s[8:9], 63, v57
	s_and_saveexec_b64 s[12:13], s[8:9]
	s_cbranch_execz .LBB1114_113
; %bb.112:
	v_lshlrev_b32_e32 v57, 2, v56
	ds_write_b32 v57, v55
.LBB1114_113:
	s_or_b64 exec, exec, s[12:13]
	v_cmp_gt_u32_e64 s[8:9], 16, v2
	s_waitcnt lgkmcnt(0)
	s_barrier
	s_and_saveexec_b64 s[12:13], s[8:9]
	s_cbranch_execz .LBB1114_115
; %bb.114:
	v_lshlrev_b32_e32 v57, 2, v2
	ds_read_b32 v58, v57
	s_waitcnt lgkmcnt(0)
	s_nop 0
	v_mov_b32_dpp v59, v58 row_shr:1 row_mask:0xf bank_mask:0xf
	v_cndmask_b32_e64 v59, v59, 0, vcc
	v_add_u32_e32 v58, v59, v58
	s_nop 1
	v_mov_b32_dpp v59, v58 row_shr:2 row_mask:0xf bank_mask:0xf
	v_cndmask_b32_e64 v59, 0, v59, s[2:3]
	v_add_u32_e32 v58, v58, v59
	s_nop 1
	v_mov_b32_dpp v59, v58 row_shr:4 row_mask:0xf bank_mask:0xf
	v_cndmask_b32_e64 v59, 0, v59, s[4:5]
	;; [unrolled: 4-line block ×3, first 2 shown]
	v_add_u32_e32 v58, v58, v59
	ds_write_b32 v57, v58
.LBB1114_115:
	s_or_b64 exec, exec, s[12:13]
	v_cmp_lt_u32_e32 vcc, 63, v2
	v_mov_b32_e32 v57, 0
	s_waitcnt lgkmcnt(0)
	s_barrier
	s_and_saveexec_b64 s[2:3], vcc
	s_cbranch_execz .LBB1114_117
; %bb.116:
	v_lshl_add_u32 v56, v56, 2, -4
	ds_read_b32 v57, v56
.LBB1114_117:
	s_or_b64 exec, exec, s[2:3]
	v_add_u32_e32 v56, -1, v6
	v_and_b32_e32 v58, 64, v6
	v_cmp_lt_i32_e32 vcc, v56, v58
	v_cndmask_b32_e32 v56, v56, v6, vcc
	s_waitcnt lgkmcnt(0)
	v_add_u32_e32 v55, v57, v55
	v_lshlrev_b32_e32 v56, 2, v56
	ds_bpermute_b32 v55, v56, v55
	v_cmp_eq_u32_e32 vcc, 0, v6
	s_waitcnt lgkmcnt(0)
	v_cndmask_b32_e32 v6, v55, v57, vcc
	v_cndmask_b32_e64 v6, v6, 0, s[0:1]
	v_add_u32_e32 v4, v6, v4
	v_add_u32_e32 v5, v4, v5
	;; [unrolled: 1-line block ×4, first 2 shown]
	ds_write2_b32 v7, v6, v4 offset0:16 offset1:17
	ds_write2_b32 v54, v5, v0 offset0:2 offset1:3
	ds_write_b32 v54, v1 offset:16
	s_waitcnt lgkmcnt(0)
	s_barrier
	ds_read_b32 v58, v22 offset:64
	ds_read_b32 v54, v24 offset:64
	ds_read_b32 v55, v27 offset:64
	ds_read_b32 v56, v31 offset:64
	ds_read_b32 v57, v34 offset:64
	ds_read_b32 v37, v37 offset:64
	ds_read_b32 v34, v40 offset:64
	ds_read_b32 v31, v43 offset:64
	ds_read_b32 v40, v46 offset:64
	ds_read_b32 v27, v49 offset:64
	ds_read_b32 v43, v51 offset:64
	ds_read_b32 v46, v53 offset:64
	s_movk_i32 s0, 0x100
	v_cmp_gt_u32_e32 vcc, s0, v2
                                        ; implicit-def: $vgpr22
                                        ; implicit-def: $vgpr24
	s_and_saveexec_b64 s[2:3], vcc
	s_cbranch_execz .LBB1114_121
; %bb.118:
	v_mul_u32_u24_e32 v0, 17, v2
	v_lshlrev_b32_e32 v1, 2, v0
	ds_read_b32 v22, v1 offset:64
	s_movk_i32 s0, 0xff
	v_cmp_ne_u32_e64 s[0:1], s0, v2
	v_mov_b32_e32 v0, 0x3000
	s_and_saveexec_b64 s[4:5], s[0:1]
	s_cbranch_execz .LBB1114_120
; %bb.119:
	ds_read_b32 v0, v1 offset:132
.LBB1114_120:
	s_or_b64 exec, exec, s[4:5]
	s_waitcnt lgkmcnt(0)
	v_sub_u32_e32 v24, v0, v22
.LBB1114_121:
	s_or_b64 exec, exec, s[2:3]
	s_waitcnt lgkmcnt(0)
	s_barrier
	s_and_saveexec_b64 s[2:3], vcc
	s_cbranch_execz .LBB1114_131
; %bb.122:
	v_lshl_or_b32 v0, s30, 8, v2
	v_mov_b32_e32 v1, 0
	v_lshlrev_b64 v[4:5], 2, v[0:1]
	v_mov_b32_e32 v49, s15
	v_add_co_u32_e64 v4, s[0:1], s14, v4
	v_addc_co_u32_e64 v5, s[0:1], v49, v5, s[0:1]
	v_or_b32_e32 v0, 2.0, v24
	s_mov_b64 s[4:5], 0
	s_brev_b32 s12, 1
	s_mov_b32 s13, s30
	v_mov_b32_e32 v51, 0
	global_store_dword v[4:5], v0, off
                                        ; implicit-def: $sgpr0_sgpr1
	s_branch .LBB1114_125
.LBB1114_123:                           ;   in Loop: Header=BB1114_125 Depth=1
	s_or_b64 exec, exec, s[8:9]
.LBB1114_124:                           ;   in Loop: Header=BB1114_125 Depth=1
	s_or_b64 exec, exec, s[6:7]
	v_and_b32_e32 v6, 0x3fffffff, v53
	v_add_u32_e32 v51, v6, v51
	v_cmp_eq_u32_e64 s[0:1], s12, v0
	s_and_b64 s[6:7], exec, s[0:1]
	s_or_b64 s[4:5], s[6:7], s[4:5]
	s_andn2_b64 exec, exec, s[4:5]
	s_cbranch_execz .LBB1114_130
.LBB1114_125:                           ; =>This Loop Header: Depth=1
                                        ;     Child Loop BB1114_128 Depth 2
	s_or_b64 s[0:1], s[0:1], exec
	s_cmp_eq_u32 s13, 0
	s_cbranch_scc1 .LBB1114_129
; %bb.126:                              ;   in Loop: Header=BB1114_125 Depth=1
	s_add_i32 s13, s13, -1
	v_lshl_or_b32 v0, s13, 8, v2
	v_lshlrev_b64 v[6:7], 2, v[0:1]
	v_add_co_u32_e64 v6, s[0:1], s14, v6
	v_addc_co_u32_e64 v7, s[0:1], v49, v7, s[0:1]
	global_load_dword v53, v[6:7], off glc
	s_waitcnt vmcnt(0)
	v_and_b32_e32 v0, -2.0, v53
	v_cmp_eq_u32_e64 s[0:1], 0, v0
	s_and_saveexec_b64 s[6:7], s[0:1]
	s_cbranch_execz .LBB1114_124
; %bb.127:                              ;   in Loop: Header=BB1114_125 Depth=1
	s_mov_b64 s[8:9], 0
.LBB1114_128:                           ;   Parent Loop BB1114_125 Depth=1
                                        ; =>  This Inner Loop Header: Depth=2
	global_load_dword v53, v[6:7], off glc
	s_waitcnt vmcnt(0)
	v_and_b32_e32 v0, -2.0, v53
	v_cmp_ne_u32_e64 s[0:1], 0, v0
	s_or_b64 s[8:9], s[0:1], s[8:9]
	s_andn2_b64 exec, exec, s[8:9]
	s_cbranch_execnz .LBB1114_128
	s_branch .LBB1114_123
.LBB1114_129:                           ;   in Loop: Header=BB1114_125 Depth=1
                                        ; implicit-def: $sgpr13
	s_and_b64 s[6:7], exec, s[0:1]
	s_or_b64 s[4:5], s[6:7], s[4:5]
	s_andn2_b64 exec, exec, s[4:5]
	s_cbranch_execnz .LBB1114_125
.LBB1114_130:
	s_or_b64 exec, exec, s[4:5]
	v_add_u32_e32 v0, v51, v24
	v_or_b32_e32 v0, 0x80000000, v0
	global_store_dword v[4:5], v0, off
	v_lshlrev_b32_e32 v0, 2, v2
	global_load_dword v1, v0, s[16:17]
	v_sub_u32_e32 v4, v51, v22
	s_waitcnt vmcnt(0)
	v_add_u32_e32 v1, v4, v1
	ds_write_b32 v0, v1
.LBB1114_131:
	s_or_b64 exec, exec, s[2:3]
	v_lshlrev_b32_e32 v5, 2, v2
	v_add_u32_e32 v4, v58, v19
	s_movk_i32 s2, 0x400
	v_add_u32_e32 v6, 0x400, v5
	v_add3_u32 v7, v52, v46, v28
	v_add3_u32 v19, v50, v43, v48
	;; [unrolled: 1-line block ×11, first 2 shown]
	s_mov_b32 s3, 0
	v_mov_b32_e32 v21, s27
	s_movk_i32 s4, 0x800
	s_movk_i32 s5, 0xc00
	v_mov_b32_e32 v1, 0
	v_mov_b32_e32 v25, v2
.LBB1114_132:                           ; =>This Inner Loop Header: Depth=1
	v_add_u32_e32 v0, s3, v4
	v_add_u32_e32 v29, s3, v20
	;; [unrolled: 1-line block ×12, first 2 shown]
	v_min_u32_e32 v0, 0x1000, v0
	v_min_u32_e32 v29, 0x1000, v29
	;; [unrolled: 1-line block ×12, first 2 shown]
	v_lshlrev_b32_e32 v0, 2, v0
	v_lshlrev_b32_e32 v29, 2, v29
	;; [unrolled: 1-line block ×12, first 2 shown]
	ds_write_b32 v0, v3 offset:1024
	ds_write_b32 v29, v8 offset:1024
	ds_write_b32 v32, v9 offset:1024
	ds_write_b32 v35, v10 offset:1024
	ds_write_b32 v36, v11 offset:1024
	ds_write_b32 v37, v12 offset:1024
	ds_write_b32 v38, v13 offset:1024
	ds_write_b32 v39, v14 offset:1024
	ds_write_b32 v40, v15 offset:1024
	ds_write_b32 v41, v16 offset:1024
	ds_write_b32 v42, v17 offset:1024
	ds_write_b32 v43, v18 offset:1024
	s_waitcnt lgkmcnt(0)
	s_barrier
	ds_read2st64_b32 v[36:37], v6 offset0:16 offset1:32
	ds_read_b32 v29, v5 offset:1024
	s_addk_i32 s3, 0xf000
	s_cmpk_lg_i32 s3, 0xd000
	s_waitcnt lgkmcnt(1)
	v_lshrrev_b32_e32 v0, s20, v36
	v_and_b32_e32 v0, s21, v0
	v_lshlrev_b32_e32 v0, 2, v0
	v_lshrrev_b32_e32 v32, s20, v37
	ds_read_b32 v35, v0
	ds_read_b32 v42, v6 offset:12288
	s_waitcnt lgkmcnt(2)
	v_lshrrev_b32_e32 v0, s20, v29
	v_and_b32_e32 v32, s21, v32
	v_and_b32_e32 v0, s21, v0
	v_lshlrev_b32_e32 v32, 2, v32
	v_lshlrev_b32_e32 v0, 2, v0
	ds_read_b32 v0, v0
	ds_read_b32 v32, v32
	s_waitcnt lgkmcnt(2)
	v_lshrrev_b32_e32 v38, s20, v42
	v_and_b32_e32 v38, s21, v38
	v_lshlrev_b32_e32 v38, 2, v38
	s_waitcnt lgkmcnt(1)
	v_add_u32_e32 v0, v25, v0
	ds_read_b32 v43, v38
	v_lshlrev_b64 v[38:39], 2, v[0:1]
	v_add3_u32 v0, v25, v35, s2
	v_add_co_u32_e64 v38, s[0:1], s26, v38
	v_addc_co_u32_e64 v39, s[0:1], v21, v39, s[0:1]
	v_lshlrev_b64 v[40:41], 2, v[0:1]
	s_waitcnt lgkmcnt(1)
	v_add3_u32 v0, v25, v32, s4
	global_store_dword v[38:39], v29, off
	v_add_co_u32_e64 v38, s[0:1], s26, v40
	v_addc_co_u32_e64 v39, s[0:1], v21, v41, s[0:1]
	v_lshlrev_b64 v[40:41], 2, v[0:1]
	global_store_dword v[38:39], v36, off
	v_add_co_u32_e64 v38, s[0:1], s26, v40
	v_addc_co_u32_e64 v39, s[0:1], v21, v41, s[0:1]
	s_waitcnt lgkmcnt(0)
	v_add3_u32 v0, v25, v43, s5
	global_store_dword v[38:39], v37, off
	v_lshlrev_b64 v[36:37], 2, v[0:1]
	v_add_co_u32_e64 v36, s[0:1], s26, v36
	v_add_u32_e32 v25, 0x1000, v25
	v_addc_co_u32_e64 v37, s[0:1], v21, v37, s[0:1]
	global_store_dword v[36:37], v42, off
	s_barrier
	s_cbranch_scc1 .LBB1114_132
; %bb.133:
	s_add_i32 s22, s22, -1
	s_cmp_eq_u32 s22, s30
	s_cselect_b64 s[0:1], -1, 0
	s_and_b64 s[2:3], vcc, s[0:1]
                                        ; implicit-def: $vgpr3
	s_and_saveexec_b64 s[0:1], s[2:3]
; %bb.134:
	v_add_u32_e32 v3, v22, v24
	s_or_b64 s[10:11], s[10:11], exec
; %bb.135:
	s_or_b64 exec, exec, s[0:1]
.LBB1114_136:
	s_and_saveexec_b64 s[0:1], s[10:11]
	s_cbranch_execnz .LBB1114_138
; %bb.137:
	s_endpgm
.LBB1114_138:
	v_lshlrev_b32_e32 v0, 2, v2
	ds_read_b32 v1, v0
	s_waitcnt lgkmcnt(0)
	v_add_u32_e32 v1, v1, v3
	global_store_dword v0, v1, s[18:19]
	s_endpgm
	.section	.rodata,"a",@progbits
	.p2align	6, 0x0
	.amdhsa_kernel _ZN7rocprim17ROCPRIM_400000_NS6detail17trampoline_kernelINS0_14default_configENS1_35radix_sort_onesweep_config_selectorIjNS0_10empty_typeEEEZZNS1_29radix_sort_onesweep_iterationIS3_Lb0EN6thrust23THRUST_200600_302600_NS6detail15normal_iteratorINS9_10device_ptrIjEEEESE_PS5_SF_jNS0_19identity_decomposerENS1_16block_id_wrapperIjLb1EEEEE10hipError_tT1_PNSt15iterator_traitsISK_E10value_typeET2_T3_PNSL_ISQ_E10value_typeET4_T5_PSV_SW_PNS1_23onesweep_lookback_stateEbbT6_jjT7_P12ihipStream_tbENKUlT_T0_SK_SP_E_clISE_PjSF_SF_EEDaS13_S14_SK_SP_EUlS13_E_NS1_11comp_targetILNS1_3genE4ELNS1_11target_archE910ELNS1_3gpuE8ELNS1_3repE0EEENS1_47radix_sort_onesweep_sort_config_static_selectorELNS0_4arch9wavefront6targetE1EEEvSK_
		.amdhsa_group_segment_fixed_size 20552
		.amdhsa_private_segment_fixed_size 0
		.amdhsa_kernarg_size 344
		.amdhsa_user_sgpr_count 6
		.amdhsa_user_sgpr_private_segment_buffer 1
		.amdhsa_user_sgpr_dispatch_ptr 0
		.amdhsa_user_sgpr_queue_ptr 0
		.amdhsa_user_sgpr_kernarg_segment_ptr 1
		.amdhsa_user_sgpr_dispatch_id 0
		.amdhsa_user_sgpr_flat_scratch_init 0
		.amdhsa_user_sgpr_kernarg_preload_length 0
		.amdhsa_user_sgpr_kernarg_preload_offset 0
		.amdhsa_user_sgpr_private_segment_size 0
		.amdhsa_uses_dynamic_stack 0
		.amdhsa_system_sgpr_private_segment_wavefront_offset 0
		.amdhsa_system_sgpr_workgroup_id_x 1
		.amdhsa_system_sgpr_workgroup_id_y 0
		.amdhsa_system_sgpr_workgroup_id_z 0
		.amdhsa_system_sgpr_workgroup_info 0
		.amdhsa_system_vgpr_workitem_id 2
		.amdhsa_next_free_vgpr 62
		.amdhsa_next_free_sgpr 35
		.amdhsa_accum_offset 64
		.amdhsa_reserve_vcc 1
		.amdhsa_reserve_flat_scratch 0
		.amdhsa_float_round_mode_32 0
		.amdhsa_float_round_mode_16_64 0
		.amdhsa_float_denorm_mode_32 3
		.amdhsa_float_denorm_mode_16_64 3
		.amdhsa_dx10_clamp 1
		.amdhsa_ieee_mode 1
		.amdhsa_fp16_overflow 0
		.amdhsa_tg_split 0
		.amdhsa_exception_fp_ieee_invalid_op 0
		.amdhsa_exception_fp_denorm_src 0
		.amdhsa_exception_fp_ieee_div_zero 0
		.amdhsa_exception_fp_ieee_overflow 0
		.amdhsa_exception_fp_ieee_underflow 0
		.amdhsa_exception_fp_ieee_inexact 0
		.amdhsa_exception_int_div_zero 0
	.end_amdhsa_kernel
	.section	.text._ZN7rocprim17ROCPRIM_400000_NS6detail17trampoline_kernelINS0_14default_configENS1_35radix_sort_onesweep_config_selectorIjNS0_10empty_typeEEEZZNS1_29radix_sort_onesweep_iterationIS3_Lb0EN6thrust23THRUST_200600_302600_NS6detail15normal_iteratorINS9_10device_ptrIjEEEESE_PS5_SF_jNS0_19identity_decomposerENS1_16block_id_wrapperIjLb1EEEEE10hipError_tT1_PNSt15iterator_traitsISK_E10value_typeET2_T3_PNSL_ISQ_E10value_typeET4_T5_PSV_SW_PNS1_23onesweep_lookback_stateEbbT6_jjT7_P12ihipStream_tbENKUlT_T0_SK_SP_E_clISE_PjSF_SF_EEDaS13_S14_SK_SP_EUlS13_E_NS1_11comp_targetILNS1_3genE4ELNS1_11target_archE910ELNS1_3gpuE8ELNS1_3repE0EEENS1_47radix_sort_onesweep_sort_config_static_selectorELNS0_4arch9wavefront6targetE1EEEvSK_,"axG",@progbits,_ZN7rocprim17ROCPRIM_400000_NS6detail17trampoline_kernelINS0_14default_configENS1_35radix_sort_onesweep_config_selectorIjNS0_10empty_typeEEEZZNS1_29radix_sort_onesweep_iterationIS3_Lb0EN6thrust23THRUST_200600_302600_NS6detail15normal_iteratorINS9_10device_ptrIjEEEESE_PS5_SF_jNS0_19identity_decomposerENS1_16block_id_wrapperIjLb1EEEEE10hipError_tT1_PNSt15iterator_traitsISK_E10value_typeET2_T3_PNSL_ISQ_E10value_typeET4_T5_PSV_SW_PNS1_23onesweep_lookback_stateEbbT6_jjT7_P12ihipStream_tbENKUlT_T0_SK_SP_E_clISE_PjSF_SF_EEDaS13_S14_SK_SP_EUlS13_E_NS1_11comp_targetILNS1_3genE4ELNS1_11target_archE910ELNS1_3gpuE8ELNS1_3repE0EEENS1_47radix_sort_onesweep_sort_config_static_selectorELNS0_4arch9wavefront6targetE1EEEvSK_,comdat
.Lfunc_end1114:
	.size	_ZN7rocprim17ROCPRIM_400000_NS6detail17trampoline_kernelINS0_14default_configENS1_35radix_sort_onesweep_config_selectorIjNS0_10empty_typeEEEZZNS1_29radix_sort_onesweep_iterationIS3_Lb0EN6thrust23THRUST_200600_302600_NS6detail15normal_iteratorINS9_10device_ptrIjEEEESE_PS5_SF_jNS0_19identity_decomposerENS1_16block_id_wrapperIjLb1EEEEE10hipError_tT1_PNSt15iterator_traitsISK_E10value_typeET2_T3_PNSL_ISQ_E10value_typeET4_T5_PSV_SW_PNS1_23onesweep_lookback_stateEbbT6_jjT7_P12ihipStream_tbENKUlT_T0_SK_SP_E_clISE_PjSF_SF_EEDaS13_S14_SK_SP_EUlS13_E_NS1_11comp_targetILNS1_3genE4ELNS1_11target_archE910ELNS1_3gpuE8ELNS1_3repE0EEENS1_47radix_sort_onesweep_sort_config_static_selectorELNS0_4arch9wavefront6targetE1EEEvSK_, .Lfunc_end1114-_ZN7rocprim17ROCPRIM_400000_NS6detail17trampoline_kernelINS0_14default_configENS1_35radix_sort_onesweep_config_selectorIjNS0_10empty_typeEEEZZNS1_29radix_sort_onesweep_iterationIS3_Lb0EN6thrust23THRUST_200600_302600_NS6detail15normal_iteratorINS9_10device_ptrIjEEEESE_PS5_SF_jNS0_19identity_decomposerENS1_16block_id_wrapperIjLb1EEEEE10hipError_tT1_PNSt15iterator_traitsISK_E10value_typeET2_T3_PNSL_ISQ_E10value_typeET4_T5_PSV_SW_PNS1_23onesweep_lookback_stateEbbT6_jjT7_P12ihipStream_tbENKUlT_T0_SK_SP_E_clISE_PjSF_SF_EEDaS13_S14_SK_SP_EUlS13_E_NS1_11comp_targetILNS1_3genE4ELNS1_11target_archE910ELNS1_3gpuE8ELNS1_3repE0EEENS1_47radix_sort_onesweep_sort_config_static_selectorELNS0_4arch9wavefront6targetE1EEEvSK_
                                        ; -- End function
	.section	.AMDGPU.csdata,"",@progbits
; Kernel info:
; codeLenInByte = 14040
; NumSgprs: 39
; NumVgprs: 62
; NumAgprs: 0
; TotalNumVgprs: 62
; ScratchSize: 0
; MemoryBound: 0
; FloatMode: 240
; IeeeMode: 1
; LDSByteSize: 20552 bytes/workgroup (compile time only)
; SGPRBlocks: 4
; VGPRBlocks: 7
; NumSGPRsForWavesPerEU: 39
; NumVGPRsForWavesPerEU: 62
; AccumOffset: 64
; Occupancy: 8
; WaveLimiterHint : 1
; COMPUTE_PGM_RSRC2:SCRATCH_EN: 0
; COMPUTE_PGM_RSRC2:USER_SGPR: 6
; COMPUTE_PGM_RSRC2:TRAP_HANDLER: 0
; COMPUTE_PGM_RSRC2:TGID_X_EN: 1
; COMPUTE_PGM_RSRC2:TGID_Y_EN: 0
; COMPUTE_PGM_RSRC2:TGID_Z_EN: 0
; COMPUTE_PGM_RSRC2:TIDIG_COMP_CNT: 2
; COMPUTE_PGM_RSRC3_GFX90A:ACCUM_OFFSET: 15
; COMPUTE_PGM_RSRC3_GFX90A:TG_SPLIT: 0
	.section	.text._ZN7rocprim17ROCPRIM_400000_NS6detail17trampoline_kernelINS0_14default_configENS1_35radix_sort_onesweep_config_selectorIjNS0_10empty_typeEEEZZNS1_29radix_sort_onesweep_iterationIS3_Lb0EN6thrust23THRUST_200600_302600_NS6detail15normal_iteratorINS9_10device_ptrIjEEEESE_PS5_SF_jNS0_19identity_decomposerENS1_16block_id_wrapperIjLb1EEEEE10hipError_tT1_PNSt15iterator_traitsISK_E10value_typeET2_T3_PNSL_ISQ_E10value_typeET4_T5_PSV_SW_PNS1_23onesweep_lookback_stateEbbT6_jjT7_P12ihipStream_tbENKUlT_T0_SK_SP_E_clISE_PjSF_SF_EEDaS13_S14_SK_SP_EUlS13_E_NS1_11comp_targetILNS1_3genE3ELNS1_11target_archE908ELNS1_3gpuE7ELNS1_3repE0EEENS1_47radix_sort_onesweep_sort_config_static_selectorELNS0_4arch9wavefront6targetE1EEEvSK_,"axG",@progbits,_ZN7rocprim17ROCPRIM_400000_NS6detail17trampoline_kernelINS0_14default_configENS1_35radix_sort_onesweep_config_selectorIjNS0_10empty_typeEEEZZNS1_29radix_sort_onesweep_iterationIS3_Lb0EN6thrust23THRUST_200600_302600_NS6detail15normal_iteratorINS9_10device_ptrIjEEEESE_PS5_SF_jNS0_19identity_decomposerENS1_16block_id_wrapperIjLb1EEEEE10hipError_tT1_PNSt15iterator_traitsISK_E10value_typeET2_T3_PNSL_ISQ_E10value_typeET4_T5_PSV_SW_PNS1_23onesweep_lookback_stateEbbT6_jjT7_P12ihipStream_tbENKUlT_T0_SK_SP_E_clISE_PjSF_SF_EEDaS13_S14_SK_SP_EUlS13_E_NS1_11comp_targetILNS1_3genE3ELNS1_11target_archE908ELNS1_3gpuE7ELNS1_3repE0EEENS1_47radix_sort_onesweep_sort_config_static_selectorELNS0_4arch9wavefront6targetE1EEEvSK_,comdat
	.protected	_ZN7rocprim17ROCPRIM_400000_NS6detail17trampoline_kernelINS0_14default_configENS1_35radix_sort_onesweep_config_selectorIjNS0_10empty_typeEEEZZNS1_29radix_sort_onesweep_iterationIS3_Lb0EN6thrust23THRUST_200600_302600_NS6detail15normal_iteratorINS9_10device_ptrIjEEEESE_PS5_SF_jNS0_19identity_decomposerENS1_16block_id_wrapperIjLb1EEEEE10hipError_tT1_PNSt15iterator_traitsISK_E10value_typeET2_T3_PNSL_ISQ_E10value_typeET4_T5_PSV_SW_PNS1_23onesweep_lookback_stateEbbT6_jjT7_P12ihipStream_tbENKUlT_T0_SK_SP_E_clISE_PjSF_SF_EEDaS13_S14_SK_SP_EUlS13_E_NS1_11comp_targetILNS1_3genE3ELNS1_11target_archE908ELNS1_3gpuE7ELNS1_3repE0EEENS1_47radix_sort_onesweep_sort_config_static_selectorELNS0_4arch9wavefront6targetE1EEEvSK_ ; -- Begin function _ZN7rocprim17ROCPRIM_400000_NS6detail17trampoline_kernelINS0_14default_configENS1_35radix_sort_onesweep_config_selectorIjNS0_10empty_typeEEEZZNS1_29radix_sort_onesweep_iterationIS3_Lb0EN6thrust23THRUST_200600_302600_NS6detail15normal_iteratorINS9_10device_ptrIjEEEESE_PS5_SF_jNS0_19identity_decomposerENS1_16block_id_wrapperIjLb1EEEEE10hipError_tT1_PNSt15iterator_traitsISK_E10value_typeET2_T3_PNSL_ISQ_E10value_typeET4_T5_PSV_SW_PNS1_23onesweep_lookback_stateEbbT6_jjT7_P12ihipStream_tbENKUlT_T0_SK_SP_E_clISE_PjSF_SF_EEDaS13_S14_SK_SP_EUlS13_E_NS1_11comp_targetILNS1_3genE3ELNS1_11target_archE908ELNS1_3gpuE7ELNS1_3repE0EEENS1_47radix_sort_onesweep_sort_config_static_selectorELNS0_4arch9wavefront6targetE1EEEvSK_
	.globl	_ZN7rocprim17ROCPRIM_400000_NS6detail17trampoline_kernelINS0_14default_configENS1_35radix_sort_onesweep_config_selectorIjNS0_10empty_typeEEEZZNS1_29radix_sort_onesweep_iterationIS3_Lb0EN6thrust23THRUST_200600_302600_NS6detail15normal_iteratorINS9_10device_ptrIjEEEESE_PS5_SF_jNS0_19identity_decomposerENS1_16block_id_wrapperIjLb1EEEEE10hipError_tT1_PNSt15iterator_traitsISK_E10value_typeET2_T3_PNSL_ISQ_E10value_typeET4_T5_PSV_SW_PNS1_23onesweep_lookback_stateEbbT6_jjT7_P12ihipStream_tbENKUlT_T0_SK_SP_E_clISE_PjSF_SF_EEDaS13_S14_SK_SP_EUlS13_E_NS1_11comp_targetILNS1_3genE3ELNS1_11target_archE908ELNS1_3gpuE7ELNS1_3repE0EEENS1_47radix_sort_onesweep_sort_config_static_selectorELNS0_4arch9wavefront6targetE1EEEvSK_
	.p2align	8
	.type	_ZN7rocprim17ROCPRIM_400000_NS6detail17trampoline_kernelINS0_14default_configENS1_35radix_sort_onesweep_config_selectorIjNS0_10empty_typeEEEZZNS1_29radix_sort_onesweep_iterationIS3_Lb0EN6thrust23THRUST_200600_302600_NS6detail15normal_iteratorINS9_10device_ptrIjEEEESE_PS5_SF_jNS0_19identity_decomposerENS1_16block_id_wrapperIjLb1EEEEE10hipError_tT1_PNSt15iterator_traitsISK_E10value_typeET2_T3_PNSL_ISQ_E10value_typeET4_T5_PSV_SW_PNS1_23onesweep_lookback_stateEbbT6_jjT7_P12ihipStream_tbENKUlT_T0_SK_SP_E_clISE_PjSF_SF_EEDaS13_S14_SK_SP_EUlS13_E_NS1_11comp_targetILNS1_3genE3ELNS1_11target_archE908ELNS1_3gpuE7ELNS1_3repE0EEENS1_47radix_sort_onesweep_sort_config_static_selectorELNS0_4arch9wavefront6targetE1EEEvSK_,@function
_ZN7rocprim17ROCPRIM_400000_NS6detail17trampoline_kernelINS0_14default_configENS1_35radix_sort_onesweep_config_selectorIjNS0_10empty_typeEEEZZNS1_29radix_sort_onesweep_iterationIS3_Lb0EN6thrust23THRUST_200600_302600_NS6detail15normal_iteratorINS9_10device_ptrIjEEEESE_PS5_SF_jNS0_19identity_decomposerENS1_16block_id_wrapperIjLb1EEEEE10hipError_tT1_PNSt15iterator_traitsISK_E10value_typeET2_T3_PNSL_ISQ_E10value_typeET4_T5_PSV_SW_PNS1_23onesweep_lookback_stateEbbT6_jjT7_P12ihipStream_tbENKUlT_T0_SK_SP_E_clISE_PjSF_SF_EEDaS13_S14_SK_SP_EUlS13_E_NS1_11comp_targetILNS1_3genE3ELNS1_11target_archE908ELNS1_3gpuE7ELNS1_3repE0EEENS1_47radix_sort_onesweep_sort_config_static_selectorELNS0_4arch9wavefront6targetE1EEEvSK_: ; @_ZN7rocprim17ROCPRIM_400000_NS6detail17trampoline_kernelINS0_14default_configENS1_35radix_sort_onesweep_config_selectorIjNS0_10empty_typeEEEZZNS1_29radix_sort_onesweep_iterationIS3_Lb0EN6thrust23THRUST_200600_302600_NS6detail15normal_iteratorINS9_10device_ptrIjEEEESE_PS5_SF_jNS0_19identity_decomposerENS1_16block_id_wrapperIjLb1EEEEE10hipError_tT1_PNSt15iterator_traitsISK_E10value_typeET2_T3_PNSL_ISQ_E10value_typeET4_T5_PSV_SW_PNS1_23onesweep_lookback_stateEbbT6_jjT7_P12ihipStream_tbENKUlT_T0_SK_SP_E_clISE_PjSF_SF_EEDaS13_S14_SK_SP_EUlS13_E_NS1_11comp_targetILNS1_3genE3ELNS1_11target_archE908ELNS1_3gpuE7ELNS1_3repE0EEENS1_47radix_sort_onesweep_sort_config_static_selectorELNS0_4arch9wavefront6targetE1EEEvSK_
; %bb.0:
	.section	.rodata,"a",@progbits
	.p2align	6, 0x0
	.amdhsa_kernel _ZN7rocprim17ROCPRIM_400000_NS6detail17trampoline_kernelINS0_14default_configENS1_35radix_sort_onesweep_config_selectorIjNS0_10empty_typeEEEZZNS1_29radix_sort_onesweep_iterationIS3_Lb0EN6thrust23THRUST_200600_302600_NS6detail15normal_iteratorINS9_10device_ptrIjEEEESE_PS5_SF_jNS0_19identity_decomposerENS1_16block_id_wrapperIjLb1EEEEE10hipError_tT1_PNSt15iterator_traitsISK_E10value_typeET2_T3_PNSL_ISQ_E10value_typeET4_T5_PSV_SW_PNS1_23onesweep_lookback_stateEbbT6_jjT7_P12ihipStream_tbENKUlT_T0_SK_SP_E_clISE_PjSF_SF_EEDaS13_S14_SK_SP_EUlS13_E_NS1_11comp_targetILNS1_3genE3ELNS1_11target_archE908ELNS1_3gpuE7ELNS1_3repE0EEENS1_47radix_sort_onesweep_sort_config_static_selectorELNS0_4arch9wavefront6targetE1EEEvSK_
		.amdhsa_group_segment_fixed_size 0
		.amdhsa_private_segment_fixed_size 0
		.amdhsa_kernarg_size 88
		.amdhsa_user_sgpr_count 6
		.amdhsa_user_sgpr_private_segment_buffer 1
		.amdhsa_user_sgpr_dispatch_ptr 0
		.amdhsa_user_sgpr_queue_ptr 0
		.amdhsa_user_sgpr_kernarg_segment_ptr 1
		.amdhsa_user_sgpr_dispatch_id 0
		.amdhsa_user_sgpr_flat_scratch_init 0
		.amdhsa_user_sgpr_kernarg_preload_length 0
		.amdhsa_user_sgpr_kernarg_preload_offset 0
		.amdhsa_user_sgpr_private_segment_size 0
		.amdhsa_uses_dynamic_stack 0
		.amdhsa_system_sgpr_private_segment_wavefront_offset 0
		.amdhsa_system_sgpr_workgroup_id_x 1
		.amdhsa_system_sgpr_workgroup_id_y 0
		.amdhsa_system_sgpr_workgroup_id_z 0
		.amdhsa_system_sgpr_workgroup_info 0
		.amdhsa_system_vgpr_workitem_id 0
		.amdhsa_next_free_vgpr 1
		.amdhsa_next_free_sgpr 0
		.amdhsa_accum_offset 4
		.amdhsa_reserve_vcc 0
		.amdhsa_reserve_flat_scratch 0
		.amdhsa_float_round_mode_32 0
		.amdhsa_float_round_mode_16_64 0
		.amdhsa_float_denorm_mode_32 3
		.amdhsa_float_denorm_mode_16_64 3
		.amdhsa_dx10_clamp 1
		.amdhsa_ieee_mode 1
		.amdhsa_fp16_overflow 0
		.amdhsa_tg_split 0
		.amdhsa_exception_fp_ieee_invalid_op 0
		.amdhsa_exception_fp_denorm_src 0
		.amdhsa_exception_fp_ieee_div_zero 0
		.amdhsa_exception_fp_ieee_overflow 0
		.amdhsa_exception_fp_ieee_underflow 0
		.amdhsa_exception_fp_ieee_inexact 0
		.amdhsa_exception_int_div_zero 0
	.end_amdhsa_kernel
	.section	.text._ZN7rocprim17ROCPRIM_400000_NS6detail17trampoline_kernelINS0_14default_configENS1_35radix_sort_onesweep_config_selectorIjNS0_10empty_typeEEEZZNS1_29radix_sort_onesweep_iterationIS3_Lb0EN6thrust23THRUST_200600_302600_NS6detail15normal_iteratorINS9_10device_ptrIjEEEESE_PS5_SF_jNS0_19identity_decomposerENS1_16block_id_wrapperIjLb1EEEEE10hipError_tT1_PNSt15iterator_traitsISK_E10value_typeET2_T3_PNSL_ISQ_E10value_typeET4_T5_PSV_SW_PNS1_23onesweep_lookback_stateEbbT6_jjT7_P12ihipStream_tbENKUlT_T0_SK_SP_E_clISE_PjSF_SF_EEDaS13_S14_SK_SP_EUlS13_E_NS1_11comp_targetILNS1_3genE3ELNS1_11target_archE908ELNS1_3gpuE7ELNS1_3repE0EEENS1_47radix_sort_onesweep_sort_config_static_selectorELNS0_4arch9wavefront6targetE1EEEvSK_,"axG",@progbits,_ZN7rocprim17ROCPRIM_400000_NS6detail17trampoline_kernelINS0_14default_configENS1_35radix_sort_onesweep_config_selectorIjNS0_10empty_typeEEEZZNS1_29radix_sort_onesweep_iterationIS3_Lb0EN6thrust23THRUST_200600_302600_NS6detail15normal_iteratorINS9_10device_ptrIjEEEESE_PS5_SF_jNS0_19identity_decomposerENS1_16block_id_wrapperIjLb1EEEEE10hipError_tT1_PNSt15iterator_traitsISK_E10value_typeET2_T3_PNSL_ISQ_E10value_typeET4_T5_PSV_SW_PNS1_23onesweep_lookback_stateEbbT6_jjT7_P12ihipStream_tbENKUlT_T0_SK_SP_E_clISE_PjSF_SF_EEDaS13_S14_SK_SP_EUlS13_E_NS1_11comp_targetILNS1_3genE3ELNS1_11target_archE908ELNS1_3gpuE7ELNS1_3repE0EEENS1_47radix_sort_onesweep_sort_config_static_selectorELNS0_4arch9wavefront6targetE1EEEvSK_,comdat
.Lfunc_end1115:
	.size	_ZN7rocprim17ROCPRIM_400000_NS6detail17trampoline_kernelINS0_14default_configENS1_35radix_sort_onesweep_config_selectorIjNS0_10empty_typeEEEZZNS1_29radix_sort_onesweep_iterationIS3_Lb0EN6thrust23THRUST_200600_302600_NS6detail15normal_iteratorINS9_10device_ptrIjEEEESE_PS5_SF_jNS0_19identity_decomposerENS1_16block_id_wrapperIjLb1EEEEE10hipError_tT1_PNSt15iterator_traitsISK_E10value_typeET2_T3_PNSL_ISQ_E10value_typeET4_T5_PSV_SW_PNS1_23onesweep_lookback_stateEbbT6_jjT7_P12ihipStream_tbENKUlT_T0_SK_SP_E_clISE_PjSF_SF_EEDaS13_S14_SK_SP_EUlS13_E_NS1_11comp_targetILNS1_3genE3ELNS1_11target_archE908ELNS1_3gpuE7ELNS1_3repE0EEENS1_47radix_sort_onesweep_sort_config_static_selectorELNS0_4arch9wavefront6targetE1EEEvSK_, .Lfunc_end1115-_ZN7rocprim17ROCPRIM_400000_NS6detail17trampoline_kernelINS0_14default_configENS1_35radix_sort_onesweep_config_selectorIjNS0_10empty_typeEEEZZNS1_29radix_sort_onesweep_iterationIS3_Lb0EN6thrust23THRUST_200600_302600_NS6detail15normal_iteratorINS9_10device_ptrIjEEEESE_PS5_SF_jNS0_19identity_decomposerENS1_16block_id_wrapperIjLb1EEEEE10hipError_tT1_PNSt15iterator_traitsISK_E10value_typeET2_T3_PNSL_ISQ_E10value_typeET4_T5_PSV_SW_PNS1_23onesweep_lookback_stateEbbT6_jjT7_P12ihipStream_tbENKUlT_T0_SK_SP_E_clISE_PjSF_SF_EEDaS13_S14_SK_SP_EUlS13_E_NS1_11comp_targetILNS1_3genE3ELNS1_11target_archE908ELNS1_3gpuE7ELNS1_3repE0EEENS1_47radix_sort_onesweep_sort_config_static_selectorELNS0_4arch9wavefront6targetE1EEEvSK_
                                        ; -- End function
	.section	.AMDGPU.csdata,"",@progbits
; Kernel info:
; codeLenInByte = 0
; NumSgprs: 4
; NumVgprs: 0
; NumAgprs: 0
; TotalNumVgprs: 0
; ScratchSize: 0
; MemoryBound: 0
; FloatMode: 240
; IeeeMode: 1
; LDSByteSize: 0 bytes/workgroup (compile time only)
; SGPRBlocks: 0
; VGPRBlocks: 0
; NumSGPRsForWavesPerEU: 4
; NumVGPRsForWavesPerEU: 1
; AccumOffset: 4
; Occupancy: 8
; WaveLimiterHint : 0
; COMPUTE_PGM_RSRC2:SCRATCH_EN: 0
; COMPUTE_PGM_RSRC2:USER_SGPR: 6
; COMPUTE_PGM_RSRC2:TRAP_HANDLER: 0
; COMPUTE_PGM_RSRC2:TGID_X_EN: 1
; COMPUTE_PGM_RSRC2:TGID_Y_EN: 0
; COMPUTE_PGM_RSRC2:TGID_Z_EN: 0
; COMPUTE_PGM_RSRC2:TIDIG_COMP_CNT: 0
; COMPUTE_PGM_RSRC3_GFX90A:ACCUM_OFFSET: 0
; COMPUTE_PGM_RSRC3_GFX90A:TG_SPLIT: 0
	.section	.text._ZN7rocprim17ROCPRIM_400000_NS6detail17trampoline_kernelINS0_14default_configENS1_35radix_sort_onesweep_config_selectorIjNS0_10empty_typeEEEZZNS1_29radix_sort_onesweep_iterationIS3_Lb0EN6thrust23THRUST_200600_302600_NS6detail15normal_iteratorINS9_10device_ptrIjEEEESE_PS5_SF_jNS0_19identity_decomposerENS1_16block_id_wrapperIjLb1EEEEE10hipError_tT1_PNSt15iterator_traitsISK_E10value_typeET2_T3_PNSL_ISQ_E10value_typeET4_T5_PSV_SW_PNS1_23onesweep_lookback_stateEbbT6_jjT7_P12ihipStream_tbENKUlT_T0_SK_SP_E_clISE_PjSF_SF_EEDaS13_S14_SK_SP_EUlS13_E_NS1_11comp_targetILNS1_3genE10ELNS1_11target_archE1201ELNS1_3gpuE5ELNS1_3repE0EEENS1_47radix_sort_onesweep_sort_config_static_selectorELNS0_4arch9wavefront6targetE1EEEvSK_,"axG",@progbits,_ZN7rocprim17ROCPRIM_400000_NS6detail17trampoline_kernelINS0_14default_configENS1_35radix_sort_onesweep_config_selectorIjNS0_10empty_typeEEEZZNS1_29radix_sort_onesweep_iterationIS3_Lb0EN6thrust23THRUST_200600_302600_NS6detail15normal_iteratorINS9_10device_ptrIjEEEESE_PS5_SF_jNS0_19identity_decomposerENS1_16block_id_wrapperIjLb1EEEEE10hipError_tT1_PNSt15iterator_traitsISK_E10value_typeET2_T3_PNSL_ISQ_E10value_typeET4_T5_PSV_SW_PNS1_23onesweep_lookback_stateEbbT6_jjT7_P12ihipStream_tbENKUlT_T0_SK_SP_E_clISE_PjSF_SF_EEDaS13_S14_SK_SP_EUlS13_E_NS1_11comp_targetILNS1_3genE10ELNS1_11target_archE1201ELNS1_3gpuE5ELNS1_3repE0EEENS1_47radix_sort_onesweep_sort_config_static_selectorELNS0_4arch9wavefront6targetE1EEEvSK_,comdat
	.protected	_ZN7rocprim17ROCPRIM_400000_NS6detail17trampoline_kernelINS0_14default_configENS1_35radix_sort_onesweep_config_selectorIjNS0_10empty_typeEEEZZNS1_29radix_sort_onesweep_iterationIS3_Lb0EN6thrust23THRUST_200600_302600_NS6detail15normal_iteratorINS9_10device_ptrIjEEEESE_PS5_SF_jNS0_19identity_decomposerENS1_16block_id_wrapperIjLb1EEEEE10hipError_tT1_PNSt15iterator_traitsISK_E10value_typeET2_T3_PNSL_ISQ_E10value_typeET4_T5_PSV_SW_PNS1_23onesweep_lookback_stateEbbT6_jjT7_P12ihipStream_tbENKUlT_T0_SK_SP_E_clISE_PjSF_SF_EEDaS13_S14_SK_SP_EUlS13_E_NS1_11comp_targetILNS1_3genE10ELNS1_11target_archE1201ELNS1_3gpuE5ELNS1_3repE0EEENS1_47radix_sort_onesweep_sort_config_static_selectorELNS0_4arch9wavefront6targetE1EEEvSK_ ; -- Begin function _ZN7rocprim17ROCPRIM_400000_NS6detail17trampoline_kernelINS0_14default_configENS1_35radix_sort_onesweep_config_selectorIjNS0_10empty_typeEEEZZNS1_29radix_sort_onesweep_iterationIS3_Lb0EN6thrust23THRUST_200600_302600_NS6detail15normal_iteratorINS9_10device_ptrIjEEEESE_PS5_SF_jNS0_19identity_decomposerENS1_16block_id_wrapperIjLb1EEEEE10hipError_tT1_PNSt15iterator_traitsISK_E10value_typeET2_T3_PNSL_ISQ_E10value_typeET4_T5_PSV_SW_PNS1_23onesweep_lookback_stateEbbT6_jjT7_P12ihipStream_tbENKUlT_T0_SK_SP_E_clISE_PjSF_SF_EEDaS13_S14_SK_SP_EUlS13_E_NS1_11comp_targetILNS1_3genE10ELNS1_11target_archE1201ELNS1_3gpuE5ELNS1_3repE0EEENS1_47radix_sort_onesweep_sort_config_static_selectorELNS0_4arch9wavefront6targetE1EEEvSK_
	.globl	_ZN7rocprim17ROCPRIM_400000_NS6detail17trampoline_kernelINS0_14default_configENS1_35radix_sort_onesweep_config_selectorIjNS0_10empty_typeEEEZZNS1_29radix_sort_onesweep_iterationIS3_Lb0EN6thrust23THRUST_200600_302600_NS6detail15normal_iteratorINS9_10device_ptrIjEEEESE_PS5_SF_jNS0_19identity_decomposerENS1_16block_id_wrapperIjLb1EEEEE10hipError_tT1_PNSt15iterator_traitsISK_E10value_typeET2_T3_PNSL_ISQ_E10value_typeET4_T5_PSV_SW_PNS1_23onesweep_lookback_stateEbbT6_jjT7_P12ihipStream_tbENKUlT_T0_SK_SP_E_clISE_PjSF_SF_EEDaS13_S14_SK_SP_EUlS13_E_NS1_11comp_targetILNS1_3genE10ELNS1_11target_archE1201ELNS1_3gpuE5ELNS1_3repE0EEENS1_47radix_sort_onesweep_sort_config_static_selectorELNS0_4arch9wavefront6targetE1EEEvSK_
	.p2align	8
	.type	_ZN7rocprim17ROCPRIM_400000_NS6detail17trampoline_kernelINS0_14default_configENS1_35radix_sort_onesweep_config_selectorIjNS0_10empty_typeEEEZZNS1_29radix_sort_onesweep_iterationIS3_Lb0EN6thrust23THRUST_200600_302600_NS6detail15normal_iteratorINS9_10device_ptrIjEEEESE_PS5_SF_jNS0_19identity_decomposerENS1_16block_id_wrapperIjLb1EEEEE10hipError_tT1_PNSt15iterator_traitsISK_E10value_typeET2_T3_PNSL_ISQ_E10value_typeET4_T5_PSV_SW_PNS1_23onesweep_lookback_stateEbbT6_jjT7_P12ihipStream_tbENKUlT_T0_SK_SP_E_clISE_PjSF_SF_EEDaS13_S14_SK_SP_EUlS13_E_NS1_11comp_targetILNS1_3genE10ELNS1_11target_archE1201ELNS1_3gpuE5ELNS1_3repE0EEENS1_47radix_sort_onesweep_sort_config_static_selectorELNS0_4arch9wavefront6targetE1EEEvSK_,@function
_ZN7rocprim17ROCPRIM_400000_NS6detail17trampoline_kernelINS0_14default_configENS1_35radix_sort_onesweep_config_selectorIjNS0_10empty_typeEEEZZNS1_29radix_sort_onesweep_iterationIS3_Lb0EN6thrust23THRUST_200600_302600_NS6detail15normal_iteratorINS9_10device_ptrIjEEEESE_PS5_SF_jNS0_19identity_decomposerENS1_16block_id_wrapperIjLb1EEEEE10hipError_tT1_PNSt15iterator_traitsISK_E10value_typeET2_T3_PNSL_ISQ_E10value_typeET4_T5_PSV_SW_PNS1_23onesweep_lookback_stateEbbT6_jjT7_P12ihipStream_tbENKUlT_T0_SK_SP_E_clISE_PjSF_SF_EEDaS13_S14_SK_SP_EUlS13_E_NS1_11comp_targetILNS1_3genE10ELNS1_11target_archE1201ELNS1_3gpuE5ELNS1_3repE0EEENS1_47radix_sort_onesweep_sort_config_static_selectorELNS0_4arch9wavefront6targetE1EEEvSK_: ; @_ZN7rocprim17ROCPRIM_400000_NS6detail17trampoline_kernelINS0_14default_configENS1_35radix_sort_onesweep_config_selectorIjNS0_10empty_typeEEEZZNS1_29radix_sort_onesweep_iterationIS3_Lb0EN6thrust23THRUST_200600_302600_NS6detail15normal_iteratorINS9_10device_ptrIjEEEESE_PS5_SF_jNS0_19identity_decomposerENS1_16block_id_wrapperIjLb1EEEEE10hipError_tT1_PNSt15iterator_traitsISK_E10value_typeET2_T3_PNSL_ISQ_E10value_typeET4_T5_PSV_SW_PNS1_23onesweep_lookback_stateEbbT6_jjT7_P12ihipStream_tbENKUlT_T0_SK_SP_E_clISE_PjSF_SF_EEDaS13_S14_SK_SP_EUlS13_E_NS1_11comp_targetILNS1_3genE10ELNS1_11target_archE1201ELNS1_3gpuE5ELNS1_3repE0EEENS1_47radix_sort_onesweep_sort_config_static_selectorELNS0_4arch9wavefront6targetE1EEEvSK_
; %bb.0:
	.section	.rodata,"a",@progbits
	.p2align	6, 0x0
	.amdhsa_kernel _ZN7rocprim17ROCPRIM_400000_NS6detail17trampoline_kernelINS0_14default_configENS1_35radix_sort_onesweep_config_selectorIjNS0_10empty_typeEEEZZNS1_29radix_sort_onesweep_iterationIS3_Lb0EN6thrust23THRUST_200600_302600_NS6detail15normal_iteratorINS9_10device_ptrIjEEEESE_PS5_SF_jNS0_19identity_decomposerENS1_16block_id_wrapperIjLb1EEEEE10hipError_tT1_PNSt15iterator_traitsISK_E10value_typeET2_T3_PNSL_ISQ_E10value_typeET4_T5_PSV_SW_PNS1_23onesweep_lookback_stateEbbT6_jjT7_P12ihipStream_tbENKUlT_T0_SK_SP_E_clISE_PjSF_SF_EEDaS13_S14_SK_SP_EUlS13_E_NS1_11comp_targetILNS1_3genE10ELNS1_11target_archE1201ELNS1_3gpuE5ELNS1_3repE0EEENS1_47radix_sort_onesweep_sort_config_static_selectorELNS0_4arch9wavefront6targetE1EEEvSK_
		.amdhsa_group_segment_fixed_size 0
		.amdhsa_private_segment_fixed_size 0
		.amdhsa_kernarg_size 88
		.amdhsa_user_sgpr_count 6
		.amdhsa_user_sgpr_private_segment_buffer 1
		.amdhsa_user_sgpr_dispatch_ptr 0
		.amdhsa_user_sgpr_queue_ptr 0
		.amdhsa_user_sgpr_kernarg_segment_ptr 1
		.amdhsa_user_sgpr_dispatch_id 0
		.amdhsa_user_sgpr_flat_scratch_init 0
		.amdhsa_user_sgpr_kernarg_preload_length 0
		.amdhsa_user_sgpr_kernarg_preload_offset 0
		.amdhsa_user_sgpr_private_segment_size 0
		.amdhsa_uses_dynamic_stack 0
		.amdhsa_system_sgpr_private_segment_wavefront_offset 0
		.amdhsa_system_sgpr_workgroup_id_x 1
		.amdhsa_system_sgpr_workgroup_id_y 0
		.amdhsa_system_sgpr_workgroup_id_z 0
		.amdhsa_system_sgpr_workgroup_info 0
		.amdhsa_system_vgpr_workitem_id 0
		.amdhsa_next_free_vgpr 1
		.amdhsa_next_free_sgpr 0
		.amdhsa_accum_offset 4
		.amdhsa_reserve_vcc 0
		.amdhsa_reserve_flat_scratch 0
		.amdhsa_float_round_mode_32 0
		.amdhsa_float_round_mode_16_64 0
		.amdhsa_float_denorm_mode_32 3
		.amdhsa_float_denorm_mode_16_64 3
		.amdhsa_dx10_clamp 1
		.amdhsa_ieee_mode 1
		.amdhsa_fp16_overflow 0
		.amdhsa_tg_split 0
		.amdhsa_exception_fp_ieee_invalid_op 0
		.amdhsa_exception_fp_denorm_src 0
		.amdhsa_exception_fp_ieee_div_zero 0
		.amdhsa_exception_fp_ieee_overflow 0
		.amdhsa_exception_fp_ieee_underflow 0
		.amdhsa_exception_fp_ieee_inexact 0
		.amdhsa_exception_int_div_zero 0
	.end_amdhsa_kernel
	.section	.text._ZN7rocprim17ROCPRIM_400000_NS6detail17trampoline_kernelINS0_14default_configENS1_35radix_sort_onesweep_config_selectorIjNS0_10empty_typeEEEZZNS1_29radix_sort_onesweep_iterationIS3_Lb0EN6thrust23THRUST_200600_302600_NS6detail15normal_iteratorINS9_10device_ptrIjEEEESE_PS5_SF_jNS0_19identity_decomposerENS1_16block_id_wrapperIjLb1EEEEE10hipError_tT1_PNSt15iterator_traitsISK_E10value_typeET2_T3_PNSL_ISQ_E10value_typeET4_T5_PSV_SW_PNS1_23onesweep_lookback_stateEbbT6_jjT7_P12ihipStream_tbENKUlT_T0_SK_SP_E_clISE_PjSF_SF_EEDaS13_S14_SK_SP_EUlS13_E_NS1_11comp_targetILNS1_3genE10ELNS1_11target_archE1201ELNS1_3gpuE5ELNS1_3repE0EEENS1_47radix_sort_onesweep_sort_config_static_selectorELNS0_4arch9wavefront6targetE1EEEvSK_,"axG",@progbits,_ZN7rocprim17ROCPRIM_400000_NS6detail17trampoline_kernelINS0_14default_configENS1_35radix_sort_onesweep_config_selectorIjNS0_10empty_typeEEEZZNS1_29radix_sort_onesweep_iterationIS3_Lb0EN6thrust23THRUST_200600_302600_NS6detail15normal_iteratorINS9_10device_ptrIjEEEESE_PS5_SF_jNS0_19identity_decomposerENS1_16block_id_wrapperIjLb1EEEEE10hipError_tT1_PNSt15iterator_traitsISK_E10value_typeET2_T3_PNSL_ISQ_E10value_typeET4_T5_PSV_SW_PNS1_23onesweep_lookback_stateEbbT6_jjT7_P12ihipStream_tbENKUlT_T0_SK_SP_E_clISE_PjSF_SF_EEDaS13_S14_SK_SP_EUlS13_E_NS1_11comp_targetILNS1_3genE10ELNS1_11target_archE1201ELNS1_3gpuE5ELNS1_3repE0EEENS1_47radix_sort_onesweep_sort_config_static_selectorELNS0_4arch9wavefront6targetE1EEEvSK_,comdat
.Lfunc_end1116:
	.size	_ZN7rocprim17ROCPRIM_400000_NS6detail17trampoline_kernelINS0_14default_configENS1_35radix_sort_onesweep_config_selectorIjNS0_10empty_typeEEEZZNS1_29radix_sort_onesweep_iterationIS3_Lb0EN6thrust23THRUST_200600_302600_NS6detail15normal_iteratorINS9_10device_ptrIjEEEESE_PS5_SF_jNS0_19identity_decomposerENS1_16block_id_wrapperIjLb1EEEEE10hipError_tT1_PNSt15iterator_traitsISK_E10value_typeET2_T3_PNSL_ISQ_E10value_typeET4_T5_PSV_SW_PNS1_23onesweep_lookback_stateEbbT6_jjT7_P12ihipStream_tbENKUlT_T0_SK_SP_E_clISE_PjSF_SF_EEDaS13_S14_SK_SP_EUlS13_E_NS1_11comp_targetILNS1_3genE10ELNS1_11target_archE1201ELNS1_3gpuE5ELNS1_3repE0EEENS1_47radix_sort_onesweep_sort_config_static_selectorELNS0_4arch9wavefront6targetE1EEEvSK_, .Lfunc_end1116-_ZN7rocprim17ROCPRIM_400000_NS6detail17trampoline_kernelINS0_14default_configENS1_35radix_sort_onesweep_config_selectorIjNS0_10empty_typeEEEZZNS1_29radix_sort_onesweep_iterationIS3_Lb0EN6thrust23THRUST_200600_302600_NS6detail15normal_iteratorINS9_10device_ptrIjEEEESE_PS5_SF_jNS0_19identity_decomposerENS1_16block_id_wrapperIjLb1EEEEE10hipError_tT1_PNSt15iterator_traitsISK_E10value_typeET2_T3_PNSL_ISQ_E10value_typeET4_T5_PSV_SW_PNS1_23onesweep_lookback_stateEbbT6_jjT7_P12ihipStream_tbENKUlT_T0_SK_SP_E_clISE_PjSF_SF_EEDaS13_S14_SK_SP_EUlS13_E_NS1_11comp_targetILNS1_3genE10ELNS1_11target_archE1201ELNS1_3gpuE5ELNS1_3repE0EEENS1_47radix_sort_onesweep_sort_config_static_selectorELNS0_4arch9wavefront6targetE1EEEvSK_
                                        ; -- End function
	.section	.AMDGPU.csdata,"",@progbits
; Kernel info:
; codeLenInByte = 0
; NumSgprs: 4
; NumVgprs: 0
; NumAgprs: 0
; TotalNumVgprs: 0
; ScratchSize: 0
; MemoryBound: 0
; FloatMode: 240
; IeeeMode: 1
; LDSByteSize: 0 bytes/workgroup (compile time only)
; SGPRBlocks: 0
; VGPRBlocks: 0
; NumSGPRsForWavesPerEU: 4
; NumVGPRsForWavesPerEU: 1
; AccumOffset: 4
; Occupancy: 8
; WaveLimiterHint : 0
; COMPUTE_PGM_RSRC2:SCRATCH_EN: 0
; COMPUTE_PGM_RSRC2:USER_SGPR: 6
; COMPUTE_PGM_RSRC2:TRAP_HANDLER: 0
; COMPUTE_PGM_RSRC2:TGID_X_EN: 1
; COMPUTE_PGM_RSRC2:TGID_Y_EN: 0
; COMPUTE_PGM_RSRC2:TGID_Z_EN: 0
; COMPUTE_PGM_RSRC2:TIDIG_COMP_CNT: 0
; COMPUTE_PGM_RSRC3_GFX90A:ACCUM_OFFSET: 0
; COMPUTE_PGM_RSRC3_GFX90A:TG_SPLIT: 0
	.section	.text._ZN7rocprim17ROCPRIM_400000_NS6detail17trampoline_kernelINS0_14default_configENS1_35radix_sort_onesweep_config_selectorIjNS0_10empty_typeEEEZZNS1_29radix_sort_onesweep_iterationIS3_Lb0EN6thrust23THRUST_200600_302600_NS6detail15normal_iteratorINS9_10device_ptrIjEEEESE_PS5_SF_jNS0_19identity_decomposerENS1_16block_id_wrapperIjLb1EEEEE10hipError_tT1_PNSt15iterator_traitsISK_E10value_typeET2_T3_PNSL_ISQ_E10value_typeET4_T5_PSV_SW_PNS1_23onesweep_lookback_stateEbbT6_jjT7_P12ihipStream_tbENKUlT_T0_SK_SP_E_clISE_PjSF_SF_EEDaS13_S14_SK_SP_EUlS13_E_NS1_11comp_targetILNS1_3genE9ELNS1_11target_archE1100ELNS1_3gpuE3ELNS1_3repE0EEENS1_47radix_sort_onesweep_sort_config_static_selectorELNS0_4arch9wavefront6targetE1EEEvSK_,"axG",@progbits,_ZN7rocprim17ROCPRIM_400000_NS6detail17trampoline_kernelINS0_14default_configENS1_35radix_sort_onesweep_config_selectorIjNS0_10empty_typeEEEZZNS1_29radix_sort_onesweep_iterationIS3_Lb0EN6thrust23THRUST_200600_302600_NS6detail15normal_iteratorINS9_10device_ptrIjEEEESE_PS5_SF_jNS0_19identity_decomposerENS1_16block_id_wrapperIjLb1EEEEE10hipError_tT1_PNSt15iterator_traitsISK_E10value_typeET2_T3_PNSL_ISQ_E10value_typeET4_T5_PSV_SW_PNS1_23onesweep_lookback_stateEbbT6_jjT7_P12ihipStream_tbENKUlT_T0_SK_SP_E_clISE_PjSF_SF_EEDaS13_S14_SK_SP_EUlS13_E_NS1_11comp_targetILNS1_3genE9ELNS1_11target_archE1100ELNS1_3gpuE3ELNS1_3repE0EEENS1_47radix_sort_onesweep_sort_config_static_selectorELNS0_4arch9wavefront6targetE1EEEvSK_,comdat
	.protected	_ZN7rocprim17ROCPRIM_400000_NS6detail17trampoline_kernelINS0_14default_configENS1_35radix_sort_onesweep_config_selectorIjNS0_10empty_typeEEEZZNS1_29radix_sort_onesweep_iterationIS3_Lb0EN6thrust23THRUST_200600_302600_NS6detail15normal_iteratorINS9_10device_ptrIjEEEESE_PS5_SF_jNS0_19identity_decomposerENS1_16block_id_wrapperIjLb1EEEEE10hipError_tT1_PNSt15iterator_traitsISK_E10value_typeET2_T3_PNSL_ISQ_E10value_typeET4_T5_PSV_SW_PNS1_23onesweep_lookback_stateEbbT6_jjT7_P12ihipStream_tbENKUlT_T0_SK_SP_E_clISE_PjSF_SF_EEDaS13_S14_SK_SP_EUlS13_E_NS1_11comp_targetILNS1_3genE9ELNS1_11target_archE1100ELNS1_3gpuE3ELNS1_3repE0EEENS1_47radix_sort_onesweep_sort_config_static_selectorELNS0_4arch9wavefront6targetE1EEEvSK_ ; -- Begin function _ZN7rocprim17ROCPRIM_400000_NS6detail17trampoline_kernelINS0_14default_configENS1_35radix_sort_onesweep_config_selectorIjNS0_10empty_typeEEEZZNS1_29radix_sort_onesweep_iterationIS3_Lb0EN6thrust23THRUST_200600_302600_NS6detail15normal_iteratorINS9_10device_ptrIjEEEESE_PS5_SF_jNS0_19identity_decomposerENS1_16block_id_wrapperIjLb1EEEEE10hipError_tT1_PNSt15iterator_traitsISK_E10value_typeET2_T3_PNSL_ISQ_E10value_typeET4_T5_PSV_SW_PNS1_23onesweep_lookback_stateEbbT6_jjT7_P12ihipStream_tbENKUlT_T0_SK_SP_E_clISE_PjSF_SF_EEDaS13_S14_SK_SP_EUlS13_E_NS1_11comp_targetILNS1_3genE9ELNS1_11target_archE1100ELNS1_3gpuE3ELNS1_3repE0EEENS1_47radix_sort_onesweep_sort_config_static_selectorELNS0_4arch9wavefront6targetE1EEEvSK_
	.globl	_ZN7rocprim17ROCPRIM_400000_NS6detail17trampoline_kernelINS0_14default_configENS1_35radix_sort_onesweep_config_selectorIjNS0_10empty_typeEEEZZNS1_29radix_sort_onesweep_iterationIS3_Lb0EN6thrust23THRUST_200600_302600_NS6detail15normal_iteratorINS9_10device_ptrIjEEEESE_PS5_SF_jNS0_19identity_decomposerENS1_16block_id_wrapperIjLb1EEEEE10hipError_tT1_PNSt15iterator_traitsISK_E10value_typeET2_T3_PNSL_ISQ_E10value_typeET4_T5_PSV_SW_PNS1_23onesweep_lookback_stateEbbT6_jjT7_P12ihipStream_tbENKUlT_T0_SK_SP_E_clISE_PjSF_SF_EEDaS13_S14_SK_SP_EUlS13_E_NS1_11comp_targetILNS1_3genE9ELNS1_11target_archE1100ELNS1_3gpuE3ELNS1_3repE0EEENS1_47radix_sort_onesweep_sort_config_static_selectorELNS0_4arch9wavefront6targetE1EEEvSK_
	.p2align	8
	.type	_ZN7rocprim17ROCPRIM_400000_NS6detail17trampoline_kernelINS0_14default_configENS1_35radix_sort_onesweep_config_selectorIjNS0_10empty_typeEEEZZNS1_29radix_sort_onesweep_iterationIS3_Lb0EN6thrust23THRUST_200600_302600_NS6detail15normal_iteratorINS9_10device_ptrIjEEEESE_PS5_SF_jNS0_19identity_decomposerENS1_16block_id_wrapperIjLb1EEEEE10hipError_tT1_PNSt15iterator_traitsISK_E10value_typeET2_T3_PNSL_ISQ_E10value_typeET4_T5_PSV_SW_PNS1_23onesweep_lookback_stateEbbT6_jjT7_P12ihipStream_tbENKUlT_T0_SK_SP_E_clISE_PjSF_SF_EEDaS13_S14_SK_SP_EUlS13_E_NS1_11comp_targetILNS1_3genE9ELNS1_11target_archE1100ELNS1_3gpuE3ELNS1_3repE0EEENS1_47radix_sort_onesweep_sort_config_static_selectorELNS0_4arch9wavefront6targetE1EEEvSK_,@function
_ZN7rocprim17ROCPRIM_400000_NS6detail17trampoline_kernelINS0_14default_configENS1_35radix_sort_onesweep_config_selectorIjNS0_10empty_typeEEEZZNS1_29radix_sort_onesweep_iterationIS3_Lb0EN6thrust23THRUST_200600_302600_NS6detail15normal_iteratorINS9_10device_ptrIjEEEESE_PS5_SF_jNS0_19identity_decomposerENS1_16block_id_wrapperIjLb1EEEEE10hipError_tT1_PNSt15iterator_traitsISK_E10value_typeET2_T3_PNSL_ISQ_E10value_typeET4_T5_PSV_SW_PNS1_23onesweep_lookback_stateEbbT6_jjT7_P12ihipStream_tbENKUlT_T0_SK_SP_E_clISE_PjSF_SF_EEDaS13_S14_SK_SP_EUlS13_E_NS1_11comp_targetILNS1_3genE9ELNS1_11target_archE1100ELNS1_3gpuE3ELNS1_3repE0EEENS1_47radix_sort_onesweep_sort_config_static_selectorELNS0_4arch9wavefront6targetE1EEEvSK_: ; @_ZN7rocprim17ROCPRIM_400000_NS6detail17trampoline_kernelINS0_14default_configENS1_35radix_sort_onesweep_config_selectorIjNS0_10empty_typeEEEZZNS1_29radix_sort_onesweep_iterationIS3_Lb0EN6thrust23THRUST_200600_302600_NS6detail15normal_iteratorINS9_10device_ptrIjEEEESE_PS5_SF_jNS0_19identity_decomposerENS1_16block_id_wrapperIjLb1EEEEE10hipError_tT1_PNSt15iterator_traitsISK_E10value_typeET2_T3_PNSL_ISQ_E10value_typeET4_T5_PSV_SW_PNS1_23onesweep_lookback_stateEbbT6_jjT7_P12ihipStream_tbENKUlT_T0_SK_SP_E_clISE_PjSF_SF_EEDaS13_S14_SK_SP_EUlS13_E_NS1_11comp_targetILNS1_3genE9ELNS1_11target_archE1100ELNS1_3gpuE3ELNS1_3repE0EEENS1_47radix_sort_onesweep_sort_config_static_selectorELNS0_4arch9wavefront6targetE1EEEvSK_
; %bb.0:
	.section	.rodata,"a",@progbits
	.p2align	6, 0x0
	.amdhsa_kernel _ZN7rocprim17ROCPRIM_400000_NS6detail17trampoline_kernelINS0_14default_configENS1_35radix_sort_onesweep_config_selectorIjNS0_10empty_typeEEEZZNS1_29radix_sort_onesweep_iterationIS3_Lb0EN6thrust23THRUST_200600_302600_NS6detail15normal_iteratorINS9_10device_ptrIjEEEESE_PS5_SF_jNS0_19identity_decomposerENS1_16block_id_wrapperIjLb1EEEEE10hipError_tT1_PNSt15iterator_traitsISK_E10value_typeET2_T3_PNSL_ISQ_E10value_typeET4_T5_PSV_SW_PNS1_23onesweep_lookback_stateEbbT6_jjT7_P12ihipStream_tbENKUlT_T0_SK_SP_E_clISE_PjSF_SF_EEDaS13_S14_SK_SP_EUlS13_E_NS1_11comp_targetILNS1_3genE9ELNS1_11target_archE1100ELNS1_3gpuE3ELNS1_3repE0EEENS1_47radix_sort_onesweep_sort_config_static_selectorELNS0_4arch9wavefront6targetE1EEEvSK_
		.amdhsa_group_segment_fixed_size 0
		.amdhsa_private_segment_fixed_size 0
		.amdhsa_kernarg_size 88
		.amdhsa_user_sgpr_count 6
		.amdhsa_user_sgpr_private_segment_buffer 1
		.amdhsa_user_sgpr_dispatch_ptr 0
		.amdhsa_user_sgpr_queue_ptr 0
		.amdhsa_user_sgpr_kernarg_segment_ptr 1
		.amdhsa_user_sgpr_dispatch_id 0
		.amdhsa_user_sgpr_flat_scratch_init 0
		.amdhsa_user_sgpr_kernarg_preload_length 0
		.amdhsa_user_sgpr_kernarg_preload_offset 0
		.amdhsa_user_sgpr_private_segment_size 0
		.amdhsa_uses_dynamic_stack 0
		.amdhsa_system_sgpr_private_segment_wavefront_offset 0
		.amdhsa_system_sgpr_workgroup_id_x 1
		.amdhsa_system_sgpr_workgroup_id_y 0
		.amdhsa_system_sgpr_workgroup_id_z 0
		.amdhsa_system_sgpr_workgroup_info 0
		.amdhsa_system_vgpr_workitem_id 0
		.amdhsa_next_free_vgpr 1
		.amdhsa_next_free_sgpr 0
		.amdhsa_accum_offset 4
		.amdhsa_reserve_vcc 0
		.amdhsa_reserve_flat_scratch 0
		.amdhsa_float_round_mode_32 0
		.amdhsa_float_round_mode_16_64 0
		.amdhsa_float_denorm_mode_32 3
		.amdhsa_float_denorm_mode_16_64 3
		.amdhsa_dx10_clamp 1
		.amdhsa_ieee_mode 1
		.amdhsa_fp16_overflow 0
		.amdhsa_tg_split 0
		.amdhsa_exception_fp_ieee_invalid_op 0
		.amdhsa_exception_fp_denorm_src 0
		.amdhsa_exception_fp_ieee_div_zero 0
		.amdhsa_exception_fp_ieee_overflow 0
		.amdhsa_exception_fp_ieee_underflow 0
		.amdhsa_exception_fp_ieee_inexact 0
		.amdhsa_exception_int_div_zero 0
	.end_amdhsa_kernel
	.section	.text._ZN7rocprim17ROCPRIM_400000_NS6detail17trampoline_kernelINS0_14default_configENS1_35radix_sort_onesweep_config_selectorIjNS0_10empty_typeEEEZZNS1_29radix_sort_onesweep_iterationIS3_Lb0EN6thrust23THRUST_200600_302600_NS6detail15normal_iteratorINS9_10device_ptrIjEEEESE_PS5_SF_jNS0_19identity_decomposerENS1_16block_id_wrapperIjLb1EEEEE10hipError_tT1_PNSt15iterator_traitsISK_E10value_typeET2_T3_PNSL_ISQ_E10value_typeET4_T5_PSV_SW_PNS1_23onesweep_lookback_stateEbbT6_jjT7_P12ihipStream_tbENKUlT_T0_SK_SP_E_clISE_PjSF_SF_EEDaS13_S14_SK_SP_EUlS13_E_NS1_11comp_targetILNS1_3genE9ELNS1_11target_archE1100ELNS1_3gpuE3ELNS1_3repE0EEENS1_47radix_sort_onesweep_sort_config_static_selectorELNS0_4arch9wavefront6targetE1EEEvSK_,"axG",@progbits,_ZN7rocprim17ROCPRIM_400000_NS6detail17trampoline_kernelINS0_14default_configENS1_35radix_sort_onesweep_config_selectorIjNS0_10empty_typeEEEZZNS1_29radix_sort_onesweep_iterationIS3_Lb0EN6thrust23THRUST_200600_302600_NS6detail15normal_iteratorINS9_10device_ptrIjEEEESE_PS5_SF_jNS0_19identity_decomposerENS1_16block_id_wrapperIjLb1EEEEE10hipError_tT1_PNSt15iterator_traitsISK_E10value_typeET2_T3_PNSL_ISQ_E10value_typeET4_T5_PSV_SW_PNS1_23onesweep_lookback_stateEbbT6_jjT7_P12ihipStream_tbENKUlT_T0_SK_SP_E_clISE_PjSF_SF_EEDaS13_S14_SK_SP_EUlS13_E_NS1_11comp_targetILNS1_3genE9ELNS1_11target_archE1100ELNS1_3gpuE3ELNS1_3repE0EEENS1_47radix_sort_onesweep_sort_config_static_selectorELNS0_4arch9wavefront6targetE1EEEvSK_,comdat
.Lfunc_end1117:
	.size	_ZN7rocprim17ROCPRIM_400000_NS6detail17trampoline_kernelINS0_14default_configENS1_35radix_sort_onesweep_config_selectorIjNS0_10empty_typeEEEZZNS1_29radix_sort_onesweep_iterationIS3_Lb0EN6thrust23THRUST_200600_302600_NS6detail15normal_iteratorINS9_10device_ptrIjEEEESE_PS5_SF_jNS0_19identity_decomposerENS1_16block_id_wrapperIjLb1EEEEE10hipError_tT1_PNSt15iterator_traitsISK_E10value_typeET2_T3_PNSL_ISQ_E10value_typeET4_T5_PSV_SW_PNS1_23onesweep_lookback_stateEbbT6_jjT7_P12ihipStream_tbENKUlT_T0_SK_SP_E_clISE_PjSF_SF_EEDaS13_S14_SK_SP_EUlS13_E_NS1_11comp_targetILNS1_3genE9ELNS1_11target_archE1100ELNS1_3gpuE3ELNS1_3repE0EEENS1_47radix_sort_onesweep_sort_config_static_selectorELNS0_4arch9wavefront6targetE1EEEvSK_, .Lfunc_end1117-_ZN7rocprim17ROCPRIM_400000_NS6detail17trampoline_kernelINS0_14default_configENS1_35radix_sort_onesweep_config_selectorIjNS0_10empty_typeEEEZZNS1_29radix_sort_onesweep_iterationIS3_Lb0EN6thrust23THRUST_200600_302600_NS6detail15normal_iteratorINS9_10device_ptrIjEEEESE_PS5_SF_jNS0_19identity_decomposerENS1_16block_id_wrapperIjLb1EEEEE10hipError_tT1_PNSt15iterator_traitsISK_E10value_typeET2_T3_PNSL_ISQ_E10value_typeET4_T5_PSV_SW_PNS1_23onesweep_lookback_stateEbbT6_jjT7_P12ihipStream_tbENKUlT_T0_SK_SP_E_clISE_PjSF_SF_EEDaS13_S14_SK_SP_EUlS13_E_NS1_11comp_targetILNS1_3genE9ELNS1_11target_archE1100ELNS1_3gpuE3ELNS1_3repE0EEENS1_47radix_sort_onesweep_sort_config_static_selectorELNS0_4arch9wavefront6targetE1EEEvSK_
                                        ; -- End function
	.section	.AMDGPU.csdata,"",@progbits
; Kernel info:
; codeLenInByte = 0
; NumSgprs: 4
; NumVgprs: 0
; NumAgprs: 0
; TotalNumVgprs: 0
; ScratchSize: 0
; MemoryBound: 0
; FloatMode: 240
; IeeeMode: 1
; LDSByteSize: 0 bytes/workgroup (compile time only)
; SGPRBlocks: 0
; VGPRBlocks: 0
; NumSGPRsForWavesPerEU: 4
; NumVGPRsForWavesPerEU: 1
; AccumOffset: 4
; Occupancy: 8
; WaveLimiterHint : 0
; COMPUTE_PGM_RSRC2:SCRATCH_EN: 0
; COMPUTE_PGM_RSRC2:USER_SGPR: 6
; COMPUTE_PGM_RSRC2:TRAP_HANDLER: 0
; COMPUTE_PGM_RSRC2:TGID_X_EN: 1
; COMPUTE_PGM_RSRC2:TGID_Y_EN: 0
; COMPUTE_PGM_RSRC2:TGID_Z_EN: 0
; COMPUTE_PGM_RSRC2:TIDIG_COMP_CNT: 0
; COMPUTE_PGM_RSRC3_GFX90A:ACCUM_OFFSET: 0
; COMPUTE_PGM_RSRC3_GFX90A:TG_SPLIT: 0
	.section	.text._ZN7rocprim17ROCPRIM_400000_NS6detail17trampoline_kernelINS0_14default_configENS1_35radix_sort_onesweep_config_selectorIjNS0_10empty_typeEEEZZNS1_29radix_sort_onesweep_iterationIS3_Lb0EN6thrust23THRUST_200600_302600_NS6detail15normal_iteratorINS9_10device_ptrIjEEEESE_PS5_SF_jNS0_19identity_decomposerENS1_16block_id_wrapperIjLb1EEEEE10hipError_tT1_PNSt15iterator_traitsISK_E10value_typeET2_T3_PNSL_ISQ_E10value_typeET4_T5_PSV_SW_PNS1_23onesweep_lookback_stateEbbT6_jjT7_P12ihipStream_tbENKUlT_T0_SK_SP_E_clISE_PjSF_SF_EEDaS13_S14_SK_SP_EUlS13_E_NS1_11comp_targetILNS1_3genE8ELNS1_11target_archE1030ELNS1_3gpuE2ELNS1_3repE0EEENS1_47radix_sort_onesweep_sort_config_static_selectorELNS0_4arch9wavefront6targetE1EEEvSK_,"axG",@progbits,_ZN7rocprim17ROCPRIM_400000_NS6detail17trampoline_kernelINS0_14default_configENS1_35radix_sort_onesweep_config_selectorIjNS0_10empty_typeEEEZZNS1_29radix_sort_onesweep_iterationIS3_Lb0EN6thrust23THRUST_200600_302600_NS6detail15normal_iteratorINS9_10device_ptrIjEEEESE_PS5_SF_jNS0_19identity_decomposerENS1_16block_id_wrapperIjLb1EEEEE10hipError_tT1_PNSt15iterator_traitsISK_E10value_typeET2_T3_PNSL_ISQ_E10value_typeET4_T5_PSV_SW_PNS1_23onesweep_lookback_stateEbbT6_jjT7_P12ihipStream_tbENKUlT_T0_SK_SP_E_clISE_PjSF_SF_EEDaS13_S14_SK_SP_EUlS13_E_NS1_11comp_targetILNS1_3genE8ELNS1_11target_archE1030ELNS1_3gpuE2ELNS1_3repE0EEENS1_47radix_sort_onesweep_sort_config_static_selectorELNS0_4arch9wavefront6targetE1EEEvSK_,comdat
	.protected	_ZN7rocprim17ROCPRIM_400000_NS6detail17trampoline_kernelINS0_14default_configENS1_35radix_sort_onesweep_config_selectorIjNS0_10empty_typeEEEZZNS1_29radix_sort_onesweep_iterationIS3_Lb0EN6thrust23THRUST_200600_302600_NS6detail15normal_iteratorINS9_10device_ptrIjEEEESE_PS5_SF_jNS0_19identity_decomposerENS1_16block_id_wrapperIjLb1EEEEE10hipError_tT1_PNSt15iterator_traitsISK_E10value_typeET2_T3_PNSL_ISQ_E10value_typeET4_T5_PSV_SW_PNS1_23onesweep_lookback_stateEbbT6_jjT7_P12ihipStream_tbENKUlT_T0_SK_SP_E_clISE_PjSF_SF_EEDaS13_S14_SK_SP_EUlS13_E_NS1_11comp_targetILNS1_3genE8ELNS1_11target_archE1030ELNS1_3gpuE2ELNS1_3repE0EEENS1_47radix_sort_onesweep_sort_config_static_selectorELNS0_4arch9wavefront6targetE1EEEvSK_ ; -- Begin function _ZN7rocprim17ROCPRIM_400000_NS6detail17trampoline_kernelINS0_14default_configENS1_35radix_sort_onesweep_config_selectorIjNS0_10empty_typeEEEZZNS1_29radix_sort_onesweep_iterationIS3_Lb0EN6thrust23THRUST_200600_302600_NS6detail15normal_iteratorINS9_10device_ptrIjEEEESE_PS5_SF_jNS0_19identity_decomposerENS1_16block_id_wrapperIjLb1EEEEE10hipError_tT1_PNSt15iterator_traitsISK_E10value_typeET2_T3_PNSL_ISQ_E10value_typeET4_T5_PSV_SW_PNS1_23onesweep_lookback_stateEbbT6_jjT7_P12ihipStream_tbENKUlT_T0_SK_SP_E_clISE_PjSF_SF_EEDaS13_S14_SK_SP_EUlS13_E_NS1_11comp_targetILNS1_3genE8ELNS1_11target_archE1030ELNS1_3gpuE2ELNS1_3repE0EEENS1_47radix_sort_onesweep_sort_config_static_selectorELNS0_4arch9wavefront6targetE1EEEvSK_
	.globl	_ZN7rocprim17ROCPRIM_400000_NS6detail17trampoline_kernelINS0_14default_configENS1_35radix_sort_onesweep_config_selectorIjNS0_10empty_typeEEEZZNS1_29radix_sort_onesweep_iterationIS3_Lb0EN6thrust23THRUST_200600_302600_NS6detail15normal_iteratorINS9_10device_ptrIjEEEESE_PS5_SF_jNS0_19identity_decomposerENS1_16block_id_wrapperIjLb1EEEEE10hipError_tT1_PNSt15iterator_traitsISK_E10value_typeET2_T3_PNSL_ISQ_E10value_typeET4_T5_PSV_SW_PNS1_23onesweep_lookback_stateEbbT6_jjT7_P12ihipStream_tbENKUlT_T0_SK_SP_E_clISE_PjSF_SF_EEDaS13_S14_SK_SP_EUlS13_E_NS1_11comp_targetILNS1_3genE8ELNS1_11target_archE1030ELNS1_3gpuE2ELNS1_3repE0EEENS1_47radix_sort_onesweep_sort_config_static_selectorELNS0_4arch9wavefront6targetE1EEEvSK_
	.p2align	8
	.type	_ZN7rocprim17ROCPRIM_400000_NS6detail17trampoline_kernelINS0_14default_configENS1_35radix_sort_onesweep_config_selectorIjNS0_10empty_typeEEEZZNS1_29radix_sort_onesweep_iterationIS3_Lb0EN6thrust23THRUST_200600_302600_NS6detail15normal_iteratorINS9_10device_ptrIjEEEESE_PS5_SF_jNS0_19identity_decomposerENS1_16block_id_wrapperIjLb1EEEEE10hipError_tT1_PNSt15iterator_traitsISK_E10value_typeET2_T3_PNSL_ISQ_E10value_typeET4_T5_PSV_SW_PNS1_23onesweep_lookback_stateEbbT6_jjT7_P12ihipStream_tbENKUlT_T0_SK_SP_E_clISE_PjSF_SF_EEDaS13_S14_SK_SP_EUlS13_E_NS1_11comp_targetILNS1_3genE8ELNS1_11target_archE1030ELNS1_3gpuE2ELNS1_3repE0EEENS1_47radix_sort_onesweep_sort_config_static_selectorELNS0_4arch9wavefront6targetE1EEEvSK_,@function
_ZN7rocprim17ROCPRIM_400000_NS6detail17trampoline_kernelINS0_14default_configENS1_35radix_sort_onesweep_config_selectorIjNS0_10empty_typeEEEZZNS1_29radix_sort_onesweep_iterationIS3_Lb0EN6thrust23THRUST_200600_302600_NS6detail15normal_iteratorINS9_10device_ptrIjEEEESE_PS5_SF_jNS0_19identity_decomposerENS1_16block_id_wrapperIjLb1EEEEE10hipError_tT1_PNSt15iterator_traitsISK_E10value_typeET2_T3_PNSL_ISQ_E10value_typeET4_T5_PSV_SW_PNS1_23onesweep_lookback_stateEbbT6_jjT7_P12ihipStream_tbENKUlT_T0_SK_SP_E_clISE_PjSF_SF_EEDaS13_S14_SK_SP_EUlS13_E_NS1_11comp_targetILNS1_3genE8ELNS1_11target_archE1030ELNS1_3gpuE2ELNS1_3repE0EEENS1_47radix_sort_onesweep_sort_config_static_selectorELNS0_4arch9wavefront6targetE1EEEvSK_: ; @_ZN7rocprim17ROCPRIM_400000_NS6detail17trampoline_kernelINS0_14default_configENS1_35radix_sort_onesweep_config_selectorIjNS0_10empty_typeEEEZZNS1_29radix_sort_onesweep_iterationIS3_Lb0EN6thrust23THRUST_200600_302600_NS6detail15normal_iteratorINS9_10device_ptrIjEEEESE_PS5_SF_jNS0_19identity_decomposerENS1_16block_id_wrapperIjLb1EEEEE10hipError_tT1_PNSt15iterator_traitsISK_E10value_typeET2_T3_PNSL_ISQ_E10value_typeET4_T5_PSV_SW_PNS1_23onesweep_lookback_stateEbbT6_jjT7_P12ihipStream_tbENKUlT_T0_SK_SP_E_clISE_PjSF_SF_EEDaS13_S14_SK_SP_EUlS13_E_NS1_11comp_targetILNS1_3genE8ELNS1_11target_archE1030ELNS1_3gpuE2ELNS1_3repE0EEENS1_47radix_sort_onesweep_sort_config_static_selectorELNS0_4arch9wavefront6targetE1EEEvSK_
; %bb.0:
	.section	.rodata,"a",@progbits
	.p2align	6, 0x0
	.amdhsa_kernel _ZN7rocprim17ROCPRIM_400000_NS6detail17trampoline_kernelINS0_14default_configENS1_35radix_sort_onesweep_config_selectorIjNS0_10empty_typeEEEZZNS1_29radix_sort_onesweep_iterationIS3_Lb0EN6thrust23THRUST_200600_302600_NS6detail15normal_iteratorINS9_10device_ptrIjEEEESE_PS5_SF_jNS0_19identity_decomposerENS1_16block_id_wrapperIjLb1EEEEE10hipError_tT1_PNSt15iterator_traitsISK_E10value_typeET2_T3_PNSL_ISQ_E10value_typeET4_T5_PSV_SW_PNS1_23onesweep_lookback_stateEbbT6_jjT7_P12ihipStream_tbENKUlT_T0_SK_SP_E_clISE_PjSF_SF_EEDaS13_S14_SK_SP_EUlS13_E_NS1_11comp_targetILNS1_3genE8ELNS1_11target_archE1030ELNS1_3gpuE2ELNS1_3repE0EEENS1_47radix_sort_onesweep_sort_config_static_selectorELNS0_4arch9wavefront6targetE1EEEvSK_
		.amdhsa_group_segment_fixed_size 0
		.amdhsa_private_segment_fixed_size 0
		.amdhsa_kernarg_size 88
		.amdhsa_user_sgpr_count 6
		.amdhsa_user_sgpr_private_segment_buffer 1
		.amdhsa_user_sgpr_dispatch_ptr 0
		.amdhsa_user_sgpr_queue_ptr 0
		.amdhsa_user_sgpr_kernarg_segment_ptr 1
		.amdhsa_user_sgpr_dispatch_id 0
		.amdhsa_user_sgpr_flat_scratch_init 0
		.amdhsa_user_sgpr_kernarg_preload_length 0
		.amdhsa_user_sgpr_kernarg_preload_offset 0
		.amdhsa_user_sgpr_private_segment_size 0
		.amdhsa_uses_dynamic_stack 0
		.amdhsa_system_sgpr_private_segment_wavefront_offset 0
		.amdhsa_system_sgpr_workgroup_id_x 1
		.amdhsa_system_sgpr_workgroup_id_y 0
		.amdhsa_system_sgpr_workgroup_id_z 0
		.amdhsa_system_sgpr_workgroup_info 0
		.amdhsa_system_vgpr_workitem_id 0
		.amdhsa_next_free_vgpr 1
		.amdhsa_next_free_sgpr 0
		.amdhsa_accum_offset 4
		.amdhsa_reserve_vcc 0
		.amdhsa_reserve_flat_scratch 0
		.amdhsa_float_round_mode_32 0
		.amdhsa_float_round_mode_16_64 0
		.amdhsa_float_denorm_mode_32 3
		.amdhsa_float_denorm_mode_16_64 3
		.amdhsa_dx10_clamp 1
		.amdhsa_ieee_mode 1
		.amdhsa_fp16_overflow 0
		.amdhsa_tg_split 0
		.amdhsa_exception_fp_ieee_invalid_op 0
		.amdhsa_exception_fp_denorm_src 0
		.amdhsa_exception_fp_ieee_div_zero 0
		.amdhsa_exception_fp_ieee_overflow 0
		.amdhsa_exception_fp_ieee_underflow 0
		.amdhsa_exception_fp_ieee_inexact 0
		.amdhsa_exception_int_div_zero 0
	.end_amdhsa_kernel
	.section	.text._ZN7rocprim17ROCPRIM_400000_NS6detail17trampoline_kernelINS0_14default_configENS1_35radix_sort_onesweep_config_selectorIjNS0_10empty_typeEEEZZNS1_29radix_sort_onesweep_iterationIS3_Lb0EN6thrust23THRUST_200600_302600_NS6detail15normal_iteratorINS9_10device_ptrIjEEEESE_PS5_SF_jNS0_19identity_decomposerENS1_16block_id_wrapperIjLb1EEEEE10hipError_tT1_PNSt15iterator_traitsISK_E10value_typeET2_T3_PNSL_ISQ_E10value_typeET4_T5_PSV_SW_PNS1_23onesweep_lookback_stateEbbT6_jjT7_P12ihipStream_tbENKUlT_T0_SK_SP_E_clISE_PjSF_SF_EEDaS13_S14_SK_SP_EUlS13_E_NS1_11comp_targetILNS1_3genE8ELNS1_11target_archE1030ELNS1_3gpuE2ELNS1_3repE0EEENS1_47radix_sort_onesweep_sort_config_static_selectorELNS0_4arch9wavefront6targetE1EEEvSK_,"axG",@progbits,_ZN7rocprim17ROCPRIM_400000_NS6detail17trampoline_kernelINS0_14default_configENS1_35radix_sort_onesweep_config_selectorIjNS0_10empty_typeEEEZZNS1_29radix_sort_onesweep_iterationIS3_Lb0EN6thrust23THRUST_200600_302600_NS6detail15normal_iteratorINS9_10device_ptrIjEEEESE_PS5_SF_jNS0_19identity_decomposerENS1_16block_id_wrapperIjLb1EEEEE10hipError_tT1_PNSt15iterator_traitsISK_E10value_typeET2_T3_PNSL_ISQ_E10value_typeET4_T5_PSV_SW_PNS1_23onesweep_lookback_stateEbbT6_jjT7_P12ihipStream_tbENKUlT_T0_SK_SP_E_clISE_PjSF_SF_EEDaS13_S14_SK_SP_EUlS13_E_NS1_11comp_targetILNS1_3genE8ELNS1_11target_archE1030ELNS1_3gpuE2ELNS1_3repE0EEENS1_47radix_sort_onesweep_sort_config_static_selectorELNS0_4arch9wavefront6targetE1EEEvSK_,comdat
.Lfunc_end1118:
	.size	_ZN7rocprim17ROCPRIM_400000_NS6detail17trampoline_kernelINS0_14default_configENS1_35radix_sort_onesweep_config_selectorIjNS0_10empty_typeEEEZZNS1_29radix_sort_onesweep_iterationIS3_Lb0EN6thrust23THRUST_200600_302600_NS6detail15normal_iteratorINS9_10device_ptrIjEEEESE_PS5_SF_jNS0_19identity_decomposerENS1_16block_id_wrapperIjLb1EEEEE10hipError_tT1_PNSt15iterator_traitsISK_E10value_typeET2_T3_PNSL_ISQ_E10value_typeET4_T5_PSV_SW_PNS1_23onesweep_lookback_stateEbbT6_jjT7_P12ihipStream_tbENKUlT_T0_SK_SP_E_clISE_PjSF_SF_EEDaS13_S14_SK_SP_EUlS13_E_NS1_11comp_targetILNS1_3genE8ELNS1_11target_archE1030ELNS1_3gpuE2ELNS1_3repE0EEENS1_47radix_sort_onesweep_sort_config_static_selectorELNS0_4arch9wavefront6targetE1EEEvSK_, .Lfunc_end1118-_ZN7rocprim17ROCPRIM_400000_NS6detail17trampoline_kernelINS0_14default_configENS1_35radix_sort_onesweep_config_selectorIjNS0_10empty_typeEEEZZNS1_29radix_sort_onesweep_iterationIS3_Lb0EN6thrust23THRUST_200600_302600_NS6detail15normal_iteratorINS9_10device_ptrIjEEEESE_PS5_SF_jNS0_19identity_decomposerENS1_16block_id_wrapperIjLb1EEEEE10hipError_tT1_PNSt15iterator_traitsISK_E10value_typeET2_T3_PNSL_ISQ_E10value_typeET4_T5_PSV_SW_PNS1_23onesweep_lookback_stateEbbT6_jjT7_P12ihipStream_tbENKUlT_T0_SK_SP_E_clISE_PjSF_SF_EEDaS13_S14_SK_SP_EUlS13_E_NS1_11comp_targetILNS1_3genE8ELNS1_11target_archE1030ELNS1_3gpuE2ELNS1_3repE0EEENS1_47radix_sort_onesweep_sort_config_static_selectorELNS0_4arch9wavefront6targetE1EEEvSK_
                                        ; -- End function
	.section	.AMDGPU.csdata,"",@progbits
; Kernel info:
; codeLenInByte = 0
; NumSgprs: 4
; NumVgprs: 0
; NumAgprs: 0
; TotalNumVgprs: 0
; ScratchSize: 0
; MemoryBound: 0
; FloatMode: 240
; IeeeMode: 1
; LDSByteSize: 0 bytes/workgroup (compile time only)
; SGPRBlocks: 0
; VGPRBlocks: 0
; NumSGPRsForWavesPerEU: 4
; NumVGPRsForWavesPerEU: 1
; AccumOffset: 4
; Occupancy: 8
; WaveLimiterHint : 0
; COMPUTE_PGM_RSRC2:SCRATCH_EN: 0
; COMPUTE_PGM_RSRC2:USER_SGPR: 6
; COMPUTE_PGM_RSRC2:TRAP_HANDLER: 0
; COMPUTE_PGM_RSRC2:TGID_X_EN: 1
; COMPUTE_PGM_RSRC2:TGID_Y_EN: 0
; COMPUTE_PGM_RSRC2:TGID_Z_EN: 0
; COMPUTE_PGM_RSRC2:TIDIG_COMP_CNT: 0
; COMPUTE_PGM_RSRC3_GFX90A:ACCUM_OFFSET: 0
; COMPUTE_PGM_RSRC3_GFX90A:TG_SPLIT: 0
	.section	.text._ZN7rocprim17ROCPRIM_400000_NS6detail17trampoline_kernelINS0_14default_configENS1_35radix_sort_onesweep_config_selectorIjNS0_10empty_typeEEEZZNS1_29radix_sort_onesweep_iterationIS3_Lb0EN6thrust23THRUST_200600_302600_NS6detail15normal_iteratorINS9_10device_ptrIjEEEESE_PS5_SF_jNS0_19identity_decomposerENS1_16block_id_wrapperIjLb1EEEEE10hipError_tT1_PNSt15iterator_traitsISK_E10value_typeET2_T3_PNSL_ISQ_E10value_typeET4_T5_PSV_SW_PNS1_23onesweep_lookback_stateEbbT6_jjT7_P12ihipStream_tbENKUlT_T0_SK_SP_E_clIPjSE_SF_SF_EEDaS13_S14_SK_SP_EUlS13_E_NS1_11comp_targetILNS1_3genE0ELNS1_11target_archE4294967295ELNS1_3gpuE0ELNS1_3repE0EEENS1_47radix_sort_onesweep_sort_config_static_selectorELNS0_4arch9wavefront6targetE1EEEvSK_,"axG",@progbits,_ZN7rocprim17ROCPRIM_400000_NS6detail17trampoline_kernelINS0_14default_configENS1_35radix_sort_onesweep_config_selectorIjNS0_10empty_typeEEEZZNS1_29radix_sort_onesweep_iterationIS3_Lb0EN6thrust23THRUST_200600_302600_NS6detail15normal_iteratorINS9_10device_ptrIjEEEESE_PS5_SF_jNS0_19identity_decomposerENS1_16block_id_wrapperIjLb1EEEEE10hipError_tT1_PNSt15iterator_traitsISK_E10value_typeET2_T3_PNSL_ISQ_E10value_typeET4_T5_PSV_SW_PNS1_23onesweep_lookback_stateEbbT6_jjT7_P12ihipStream_tbENKUlT_T0_SK_SP_E_clIPjSE_SF_SF_EEDaS13_S14_SK_SP_EUlS13_E_NS1_11comp_targetILNS1_3genE0ELNS1_11target_archE4294967295ELNS1_3gpuE0ELNS1_3repE0EEENS1_47radix_sort_onesweep_sort_config_static_selectorELNS0_4arch9wavefront6targetE1EEEvSK_,comdat
	.protected	_ZN7rocprim17ROCPRIM_400000_NS6detail17trampoline_kernelINS0_14default_configENS1_35radix_sort_onesweep_config_selectorIjNS0_10empty_typeEEEZZNS1_29radix_sort_onesweep_iterationIS3_Lb0EN6thrust23THRUST_200600_302600_NS6detail15normal_iteratorINS9_10device_ptrIjEEEESE_PS5_SF_jNS0_19identity_decomposerENS1_16block_id_wrapperIjLb1EEEEE10hipError_tT1_PNSt15iterator_traitsISK_E10value_typeET2_T3_PNSL_ISQ_E10value_typeET4_T5_PSV_SW_PNS1_23onesweep_lookback_stateEbbT6_jjT7_P12ihipStream_tbENKUlT_T0_SK_SP_E_clIPjSE_SF_SF_EEDaS13_S14_SK_SP_EUlS13_E_NS1_11comp_targetILNS1_3genE0ELNS1_11target_archE4294967295ELNS1_3gpuE0ELNS1_3repE0EEENS1_47radix_sort_onesweep_sort_config_static_selectorELNS0_4arch9wavefront6targetE1EEEvSK_ ; -- Begin function _ZN7rocprim17ROCPRIM_400000_NS6detail17trampoline_kernelINS0_14default_configENS1_35radix_sort_onesweep_config_selectorIjNS0_10empty_typeEEEZZNS1_29radix_sort_onesweep_iterationIS3_Lb0EN6thrust23THRUST_200600_302600_NS6detail15normal_iteratorINS9_10device_ptrIjEEEESE_PS5_SF_jNS0_19identity_decomposerENS1_16block_id_wrapperIjLb1EEEEE10hipError_tT1_PNSt15iterator_traitsISK_E10value_typeET2_T3_PNSL_ISQ_E10value_typeET4_T5_PSV_SW_PNS1_23onesweep_lookback_stateEbbT6_jjT7_P12ihipStream_tbENKUlT_T0_SK_SP_E_clIPjSE_SF_SF_EEDaS13_S14_SK_SP_EUlS13_E_NS1_11comp_targetILNS1_3genE0ELNS1_11target_archE4294967295ELNS1_3gpuE0ELNS1_3repE0EEENS1_47radix_sort_onesweep_sort_config_static_selectorELNS0_4arch9wavefront6targetE1EEEvSK_
	.globl	_ZN7rocprim17ROCPRIM_400000_NS6detail17trampoline_kernelINS0_14default_configENS1_35radix_sort_onesweep_config_selectorIjNS0_10empty_typeEEEZZNS1_29radix_sort_onesweep_iterationIS3_Lb0EN6thrust23THRUST_200600_302600_NS6detail15normal_iteratorINS9_10device_ptrIjEEEESE_PS5_SF_jNS0_19identity_decomposerENS1_16block_id_wrapperIjLb1EEEEE10hipError_tT1_PNSt15iterator_traitsISK_E10value_typeET2_T3_PNSL_ISQ_E10value_typeET4_T5_PSV_SW_PNS1_23onesweep_lookback_stateEbbT6_jjT7_P12ihipStream_tbENKUlT_T0_SK_SP_E_clIPjSE_SF_SF_EEDaS13_S14_SK_SP_EUlS13_E_NS1_11comp_targetILNS1_3genE0ELNS1_11target_archE4294967295ELNS1_3gpuE0ELNS1_3repE0EEENS1_47radix_sort_onesweep_sort_config_static_selectorELNS0_4arch9wavefront6targetE1EEEvSK_
	.p2align	8
	.type	_ZN7rocprim17ROCPRIM_400000_NS6detail17trampoline_kernelINS0_14default_configENS1_35radix_sort_onesweep_config_selectorIjNS0_10empty_typeEEEZZNS1_29radix_sort_onesweep_iterationIS3_Lb0EN6thrust23THRUST_200600_302600_NS6detail15normal_iteratorINS9_10device_ptrIjEEEESE_PS5_SF_jNS0_19identity_decomposerENS1_16block_id_wrapperIjLb1EEEEE10hipError_tT1_PNSt15iterator_traitsISK_E10value_typeET2_T3_PNSL_ISQ_E10value_typeET4_T5_PSV_SW_PNS1_23onesweep_lookback_stateEbbT6_jjT7_P12ihipStream_tbENKUlT_T0_SK_SP_E_clIPjSE_SF_SF_EEDaS13_S14_SK_SP_EUlS13_E_NS1_11comp_targetILNS1_3genE0ELNS1_11target_archE4294967295ELNS1_3gpuE0ELNS1_3repE0EEENS1_47radix_sort_onesweep_sort_config_static_selectorELNS0_4arch9wavefront6targetE1EEEvSK_,@function
_ZN7rocprim17ROCPRIM_400000_NS6detail17trampoline_kernelINS0_14default_configENS1_35radix_sort_onesweep_config_selectorIjNS0_10empty_typeEEEZZNS1_29radix_sort_onesweep_iterationIS3_Lb0EN6thrust23THRUST_200600_302600_NS6detail15normal_iteratorINS9_10device_ptrIjEEEESE_PS5_SF_jNS0_19identity_decomposerENS1_16block_id_wrapperIjLb1EEEEE10hipError_tT1_PNSt15iterator_traitsISK_E10value_typeET2_T3_PNSL_ISQ_E10value_typeET4_T5_PSV_SW_PNS1_23onesweep_lookback_stateEbbT6_jjT7_P12ihipStream_tbENKUlT_T0_SK_SP_E_clIPjSE_SF_SF_EEDaS13_S14_SK_SP_EUlS13_E_NS1_11comp_targetILNS1_3genE0ELNS1_11target_archE4294967295ELNS1_3gpuE0ELNS1_3repE0EEENS1_47radix_sort_onesweep_sort_config_static_selectorELNS0_4arch9wavefront6targetE1EEEvSK_: ; @_ZN7rocprim17ROCPRIM_400000_NS6detail17trampoline_kernelINS0_14default_configENS1_35radix_sort_onesweep_config_selectorIjNS0_10empty_typeEEEZZNS1_29radix_sort_onesweep_iterationIS3_Lb0EN6thrust23THRUST_200600_302600_NS6detail15normal_iteratorINS9_10device_ptrIjEEEESE_PS5_SF_jNS0_19identity_decomposerENS1_16block_id_wrapperIjLb1EEEEE10hipError_tT1_PNSt15iterator_traitsISK_E10value_typeET2_T3_PNSL_ISQ_E10value_typeET4_T5_PSV_SW_PNS1_23onesweep_lookback_stateEbbT6_jjT7_P12ihipStream_tbENKUlT_T0_SK_SP_E_clIPjSE_SF_SF_EEDaS13_S14_SK_SP_EUlS13_E_NS1_11comp_targetILNS1_3genE0ELNS1_11target_archE4294967295ELNS1_3gpuE0ELNS1_3repE0EEENS1_47radix_sort_onesweep_sort_config_static_selectorELNS0_4arch9wavefront6targetE1EEEvSK_
; %bb.0:
	.section	.rodata,"a",@progbits
	.p2align	6, 0x0
	.amdhsa_kernel _ZN7rocprim17ROCPRIM_400000_NS6detail17trampoline_kernelINS0_14default_configENS1_35radix_sort_onesweep_config_selectorIjNS0_10empty_typeEEEZZNS1_29radix_sort_onesweep_iterationIS3_Lb0EN6thrust23THRUST_200600_302600_NS6detail15normal_iteratorINS9_10device_ptrIjEEEESE_PS5_SF_jNS0_19identity_decomposerENS1_16block_id_wrapperIjLb1EEEEE10hipError_tT1_PNSt15iterator_traitsISK_E10value_typeET2_T3_PNSL_ISQ_E10value_typeET4_T5_PSV_SW_PNS1_23onesweep_lookback_stateEbbT6_jjT7_P12ihipStream_tbENKUlT_T0_SK_SP_E_clIPjSE_SF_SF_EEDaS13_S14_SK_SP_EUlS13_E_NS1_11comp_targetILNS1_3genE0ELNS1_11target_archE4294967295ELNS1_3gpuE0ELNS1_3repE0EEENS1_47radix_sort_onesweep_sort_config_static_selectorELNS0_4arch9wavefront6targetE1EEEvSK_
		.amdhsa_group_segment_fixed_size 0
		.amdhsa_private_segment_fixed_size 0
		.amdhsa_kernarg_size 88
		.amdhsa_user_sgpr_count 6
		.amdhsa_user_sgpr_private_segment_buffer 1
		.amdhsa_user_sgpr_dispatch_ptr 0
		.amdhsa_user_sgpr_queue_ptr 0
		.amdhsa_user_sgpr_kernarg_segment_ptr 1
		.amdhsa_user_sgpr_dispatch_id 0
		.amdhsa_user_sgpr_flat_scratch_init 0
		.amdhsa_user_sgpr_kernarg_preload_length 0
		.amdhsa_user_sgpr_kernarg_preload_offset 0
		.amdhsa_user_sgpr_private_segment_size 0
		.amdhsa_uses_dynamic_stack 0
		.amdhsa_system_sgpr_private_segment_wavefront_offset 0
		.amdhsa_system_sgpr_workgroup_id_x 1
		.amdhsa_system_sgpr_workgroup_id_y 0
		.amdhsa_system_sgpr_workgroup_id_z 0
		.amdhsa_system_sgpr_workgroup_info 0
		.amdhsa_system_vgpr_workitem_id 0
		.amdhsa_next_free_vgpr 1
		.amdhsa_next_free_sgpr 0
		.amdhsa_accum_offset 4
		.amdhsa_reserve_vcc 0
		.amdhsa_reserve_flat_scratch 0
		.amdhsa_float_round_mode_32 0
		.amdhsa_float_round_mode_16_64 0
		.amdhsa_float_denorm_mode_32 3
		.amdhsa_float_denorm_mode_16_64 3
		.amdhsa_dx10_clamp 1
		.amdhsa_ieee_mode 1
		.amdhsa_fp16_overflow 0
		.amdhsa_tg_split 0
		.amdhsa_exception_fp_ieee_invalid_op 0
		.amdhsa_exception_fp_denorm_src 0
		.amdhsa_exception_fp_ieee_div_zero 0
		.amdhsa_exception_fp_ieee_overflow 0
		.amdhsa_exception_fp_ieee_underflow 0
		.amdhsa_exception_fp_ieee_inexact 0
		.amdhsa_exception_int_div_zero 0
	.end_amdhsa_kernel
	.section	.text._ZN7rocprim17ROCPRIM_400000_NS6detail17trampoline_kernelINS0_14default_configENS1_35radix_sort_onesweep_config_selectorIjNS0_10empty_typeEEEZZNS1_29radix_sort_onesweep_iterationIS3_Lb0EN6thrust23THRUST_200600_302600_NS6detail15normal_iteratorINS9_10device_ptrIjEEEESE_PS5_SF_jNS0_19identity_decomposerENS1_16block_id_wrapperIjLb1EEEEE10hipError_tT1_PNSt15iterator_traitsISK_E10value_typeET2_T3_PNSL_ISQ_E10value_typeET4_T5_PSV_SW_PNS1_23onesweep_lookback_stateEbbT6_jjT7_P12ihipStream_tbENKUlT_T0_SK_SP_E_clIPjSE_SF_SF_EEDaS13_S14_SK_SP_EUlS13_E_NS1_11comp_targetILNS1_3genE0ELNS1_11target_archE4294967295ELNS1_3gpuE0ELNS1_3repE0EEENS1_47radix_sort_onesweep_sort_config_static_selectorELNS0_4arch9wavefront6targetE1EEEvSK_,"axG",@progbits,_ZN7rocprim17ROCPRIM_400000_NS6detail17trampoline_kernelINS0_14default_configENS1_35radix_sort_onesweep_config_selectorIjNS0_10empty_typeEEEZZNS1_29radix_sort_onesweep_iterationIS3_Lb0EN6thrust23THRUST_200600_302600_NS6detail15normal_iteratorINS9_10device_ptrIjEEEESE_PS5_SF_jNS0_19identity_decomposerENS1_16block_id_wrapperIjLb1EEEEE10hipError_tT1_PNSt15iterator_traitsISK_E10value_typeET2_T3_PNSL_ISQ_E10value_typeET4_T5_PSV_SW_PNS1_23onesweep_lookback_stateEbbT6_jjT7_P12ihipStream_tbENKUlT_T0_SK_SP_E_clIPjSE_SF_SF_EEDaS13_S14_SK_SP_EUlS13_E_NS1_11comp_targetILNS1_3genE0ELNS1_11target_archE4294967295ELNS1_3gpuE0ELNS1_3repE0EEENS1_47radix_sort_onesweep_sort_config_static_selectorELNS0_4arch9wavefront6targetE1EEEvSK_,comdat
.Lfunc_end1119:
	.size	_ZN7rocprim17ROCPRIM_400000_NS6detail17trampoline_kernelINS0_14default_configENS1_35radix_sort_onesweep_config_selectorIjNS0_10empty_typeEEEZZNS1_29radix_sort_onesweep_iterationIS3_Lb0EN6thrust23THRUST_200600_302600_NS6detail15normal_iteratorINS9_10device_ptrIjEEEESE_PS5_SF_jNS0_19identity_decomposerENS1_16block_id_wrapperIjLb1EEEEE10hipError_tT1_PNSt15iterator_traitsISK_E10value_typeET2_T3_PNSL_ISQ_E10value_typeET4_T5_PSV_SW_PNS1_23onesweep_lookback_stateEbbT6_jjT7_P12ihipStream_tbENKUlT_T0_SK_SP_E_clIPjSE_SF_SF_EEDaS13_S14_SK_SP_EUlS13_E_NS1_11comp_targetILNS1_3genE0ELNS1_11target_archE4294967295ELNS1_3gpuE0ELNS1_3repE0EEENS1_47radix_sort_onesweep_sort_config_static_selectorELNS0_4arch9wavefront6targetE1EEEvSK_, .Lfunc_end1119-_ZN7rocprim17ROCPRIM_400000_NS6detail17trampoline_kernelINS0_14default_configENS1_35radix_sort_onesweep_config_selectorIjNS0_10empty_typeEEEZZNS1_29radix_sort_onesweep_iterationIS3_Lb0EN6thrust23THRUST_200600_302600_NS6detail15normal_iteratorINS9_10device_ptrIjEEEESE_PS5_SF_jNS0_19identity_decomposerENS1_16block_id_wrapperIjLb1EEEEE10hipError_tT1_PNSt15iterator_traitsISK_E10value_typeET2_T3_PNSL_ISQ_E10value_typeET4_T5_PSV_SW_PNS1_23onesweep_lookback_stateEbbT6_jjT7_P12ihipStream_tbENKUlT_T0_SK_SP_E_clIPjSE_SF_SF_EEDaS13_S14_SK_SP_EUlS13_E_NS1_11comp_targetILNS1_3genE0ELNS1_11target_archE4294967295ELNS1_3gpuE0ELNS1_3repE0EEENS1_47radix_sort_onesweep_sort_config_static_selectorELNS0_4arch9wavefront6targetE1EEEvSK_
                                        ; -- End function
	.section	.AMDGPU.csdata,"",@progbits
; Kernel info:
; codeLenInByte = 0
; NumSgprs: 4
; NumVgprs: 0
; NumAgprs: 0
; TotalNumVgprs: 0
; ScratchSize: 0
; MemoryBound: 0
; FloatMode: 240
; IeeeMode: 1
; LDSByteSize: 0 bytes/workgroup (compile time only)
; SGPRBlocks: 0
; VGPRBlocks: 0
; NumSGPRsForWavesPerEU: 4
; NumVGPRsForWavesPerEU: 1
; AccumOffset: 4
; Occupancy: 8
; WaveLimiterHint : 0
; COMPUTE_PGM_RSRC2:SCRATCH_EN: 0
; COMPUTE_PGM_RSRC2:USER_SGPR: 6
; COMPUTE_PGM_RSRC2:TRAP_HANDLER: 0
; COMPUTE_PGM_RSRC2:TGID_X_EN: 1
; COMPUTE_PGM_RSRC2:TGID_Y_EN: 0
; COMPUTE_PGM_RSRC2:TGID_Z_EN: 0
; COMPUTE_PGM_RSRC2:TIDIG_COMP_CNT: 0
; COMPUTE_PGM_RSRC3_GFX90A:ACCUM_OFFSET: 0
; COMPUTE_PGM_RSRC3_GFX90A:TG_SPLIT: 0
	.section	.text._ZN7rocprim17ROCPRIM_400000_NS6detail17trampoline_kernelINS0_14default_configENS1_35radix_sort_onesweep_config_selectorIjNS0_10empty_typeEEEZZNS1_29radix_sort_onesweep_iterationIS3_Lb0EN6thrust23THRUST_200600_302600_NS6detail15normal_iteratorINS9_10device_ptrIjEEEESE_PS5_SF_jNS0_19identity_decomposerENS1_16block_id_wrapperIjLb1EEEEE10hipError_tT1_PNSt15iterator_traitsISK_E10value_typeET2_T3_PNSL_ISQ_E10value_typeET4_T5_PSV_SW_PNS1_23onesweep_lookback_stateEbbT6_jjT7_P12ihipStream_tbENKUlT_T0_SK_SP_E_clIPjSE_SF_SF_EEDaS13_S14_SK_SP_EUlS13_E_NS1_11comp_targetILNS1_3genE6ELNS1_11target_archE950ELNS1_3gpuE13ELNS1_3repE0EEENS1_47radix_sort_onesweep_sort_config_static_selectorELNS0_4arch9wavefront6targetE1EEEvSK_,"axG",@progbits,_ZN7rocprim17ROCPRIM_400000_NS6detail17trampoline_kernelINS0_14default_configENS1_35radix_sort_onesweep_config_selectorIjNS0_10empty_typeEEEZZNS1_29radix_sort_onesweep_iterationIS3_Lb0EN6thrust23THRUST_200600_302600_NS6detail15normal_iteratorINS9_10device_ptrIjEEEESE_PS5_SF_jNS0_19identity_decomposerENS1_16block_id_wrapperIjLb1EEEEE10hipError_tT1_PNSt15iterator_traitsISK_E10value_typeET2_T3_PNSL_ISQ_E10value_typeET4_T5_PSV_SW_PNS1_23onesweep_lookback_stateEbbT6_jjT7_P12ihipStream_tbENKUlT_T0_SK_SP_E_clIPjSE_SF_SF_EEDaS13_S14_SK_SP_EUlS13_E_NS1_11comp_targetILNS1_3genE6ELNS1_11target_archE950ELNS1_3gpuE13ELNS1_3repE0EEENS1_47radix_sort_onesweep_sort_config_static_selectorELNS0_4arch9wavefront6targetE1EEEvSK_,comdat
	.protected	_ZN7rocprim17ROCPRIM_400000_NS6detail17trampoline_kernelINS0_14default_configENS1_35radix_sort_onesweep_config_selectorIjNS0_10empty_typeEEEZZNS1_29radix_sort_onesweep_iterationIS3_Lb0EN6thrust23THRUST_200600_302600_NS6detail15normal_iteratorINS9_10device_ptrIjEEEESE_PS5_SF_jNS0_19identity_decomposerENS1_16block_id_wrapperIjLb1EEEEE10hipError_tT1_PNSt15iterator_traitsISK_E10value_typeET2_T3_PNSL_ISQ_E10value_typeET4_T5_PSV_SW_PNS1_23onesweep_lookback_stateEbbT6_jjT7_P12ihipStream_tbENKUlT_T0_SK_SP_E_clIPjSE_SF_SF_EEDaS13_S14_SK_SP_EUlS13_E_NS1_11comp_targetILNS1_3genE6ELNS1_11target_archE950ELNS1_3gpuE13ELNS1_3repE0EEENS1_47radix_sort_onesweep_sort_config_static_selectorELNS0_4arch9wavefront6targetE1EEEvSK_ ; -- Begin function _ZN7rocprim17ROCPRIM_400000_NS6detail17trampoline_kernelINS0_14default_configENS1_35radix_sort_onesweep_config_selectorIjNS0_10empty_typeEEEZZNS1_29radix_sort_onesweep_iterationIS3_Lb0EN6thrust23THRUST_200600_302600_NS6detail15normal_iteratorINS9_10device_ptrIjEEEESE_PS5_SF_jNS0_19identity_decomposerENS1_16block_id_wrapperIjLb1EEEEE10hipError_tT1_PNSt15iterator_traitsISK_E10value_typeET2_T3_PNSL_ISQ_E10value_typeET4_T5_PSV_SW_PNS1_23onesweep_lookback_stateEbbT6_jjT7_P12ihipStream_tbENKUlT_T0_SK_SP_E_clIPjSE_SF_SF_EEDaS13_S14_SK_SP_EUlS13_E_NS1_11comp_targetILNS1_3genE6ELNS1_11target_archE950ELNS1_3gpuE13ELNS1_3repE0EEENS1_47radix_sort_onesweep_sort_config_static_selectorELNS0_4arch9wavefront6targetE1EEEvSK_
	.globl	_ZN7rocprim17ROCPRIM_400000_NS6detail17trampoline_kernelINS0_14default_configENS1_35radix_sort_onesweep_config_selectorIjNS0_10empty_typeEEEZZNS1_29radix_sort_onesweep_iterationIS3_Lb0EN6thrust23THRUST_200600_302600_NS6detail15normal_iteratorINS9_10device_ptrIjEEEESE_PS5_SF_jNS0_19identity_decomposerENS1_16block_id_wrapperIjLb1EEEEE10hipError_tT1_PNSt15iterator_traitsISK_E10value_typeET2_T3_PNSL_ISQ_E10value_typeET4_T5_PSV_SW_PNS1_23onesweep_lookback_stateEbbT6_jjT7_P12ihipStream_tbENKUlT_T0_SK_SP_E_clIPjSE_SF_SF_EEDaS13_S14_SK_SP_EUlS13_E_NS1_11comp_targetILNS1_3genE6ELNS1_11target_archE950ELNS1_3gpuE13ELNS1_3repE0EEENS1_47radix_sort_onesweep_sort_config_static_selectorELNS0_4arch9wavefront6targetE1EEEvSK_
	.p2align	8
	.type	_ZN7rocprim17ROCPRIM_400000_NS6detail17trampoline_kernelINS0_14default_configENS1_35radix_sort_onesweep_config_selectorIjNS0_10empty_typeEEEZZNS1_29radix_sort_onesweep_iterationIS3_Lb0EN6thrust23THRUST_200600_302600_NS6detail15normal_iteratorINS9_10device_ptrIjEEEESE_PS5_SF_jNS0_19identity_decomposerENS1_16block_id_wrapperIjLb1EEEEE10hipError_tT1_PNSt15iterator_traitsISK_E10value_typeET2_T3_PNSL_ISQ_E10value_typeET4_T5_PSV_SW_PNS1_23onesweep_lookback_stateEbbT6_jjT7_P12ihipStream_tbENKUlT_T0_SK_SP_E_clIPjSE_SF_SF_EEDaS13_S14_SK_SP_EUlS13_E_NS1_11comp_targetILNS1_3genE6ELNS1_11target_archE950ELNS1_3gpuE13ELNS1_3repE0EEENS1_47radix_sort_onesweep_sort_config_static_selectorELNS0_4arch9wavefront6targetE1EEEvSK_,@function
_ZN7rocprim17ROCPRIM_400000_NS6detail17trampoline_kernelINS0_14default_configENS1_35radix_sort_onesweep_config_selectorIjNS0_10empty_typeEEEZZNS1_29radix_sort_onesweep_iterationIS3_Lb0EN6thrust23THRUST_200600_302600_NS6detail15normal_iteratorINS9_10device_ptrIjEEEESE_PS5_SF_jNS0_19identity_decomposerENS1_16block_id_wrapperIjLb1EEEEE10hipError_tT1_PNSt15iterator_traitsISK_E10value_typeET2_T3_PNSL_ISQ_E10value_typeET4_T5_PSV_SW_PNS1_23onesweep_lookback_stateEbbT6_jjT7_P12ihipStream_tbENKUlT_T0_SK_SP_E_clIPjSE_SF_SF_EEDaS13_S14_SK_SP_EUlS13_E_NS1_11comp_targetILNS1_3genE6ELNS1_11target_archE950ELNS1_3gpuE13ELNS1_3repE0EEENS1_47radix_sort_onesweep_sort_config_static_selectorELNS0_4arch9wavefront6targetE1EEEvSK_: ; @_ZN7rocprim17ROCPRIM_400000_NS6detail17trampoline_kernelINS0_14default_configENS1_35radix_sort_onesweep_config_selectorIjNS0_10empty_typeEEEZZNS1_29radix_sort_onesweep_iterationIS3_Lb0EN6thrust23THRUST_200600_302600_NS6detail15normal_iteratorINS9_10device_ptrIjEEEESE_PS5_SF_jNS0_19identity_decomposerENS1_16block_id_wrapperIjLb1EEEEE10hipError_tT1_PNSt15iterator_traitsISK_E10value_typeET2_T3_PNSL_ISQ_E10value_typeET4_T5_PSV_SW_PNS1_23onesweep_lookback_stateEbbT6_jjT7_P12ihipStream_tbENKUlT_T0_SK_SP_E_clIPjSE_SF_SF_EEDaS13_S14_SK_SP_EUlS13_E_NS1_11comp_targetILNS1_3genE6ELNS1_11target_archE950ELNS1_3gpuE13ELNS1_3repE0EEENS1_47radix_sort_onesweep_sort_config_static_selectorELNS0_4arch9wavefront6targetE1EEEvSK_
; %bb.0:
	.section	.rodata,"a",@progbits
	.p2align	6, 0x0
	.amdhsa_kernel _ZN7rocprim17ROCPRIM_400000_NS6detail17trampoline_kernelINS0_14default_configENS1_35radix_sort_onesweep_config_selectorIjNS0_10empty_typeEEEZZNS1_29radix_sort_onesweep_iterationIS3_Lb0EN6thrust23THRUST_200600_302600_NS6detail15normal_iteratorINS9_10device_ptrIjEEEESE_PS5_SF_jNS0_19identity_decomposerENS1_16block_id_wrapperIjLb1EEEEE10hipError_tT1_PNSt15iterator_traitsISK_E10value_typeET2_T3_PNSL_ISQ_E10value_typeET4_T5_PSV_SW_PNS1_23onesweep_lookback_stateEbbT6_jjT7_P12ihipStream_tbENKUlT_T0_SK_SP_E_clIPjSE_SF_SF_EEDaS13_S14_SK_SP_EUlS13_E_NS1_11comp_targetILNS1_3genE6ELNS1_11target_archE950ELNS1_3gpuE13ELNS1_3repE0EEENS1_47radix_sort_onesweep_sort_config_static_selectorELNS0_4arch9wavefront6targetE1EEEvSK_
		.amdhsa_group_segment_fixed_size 0
		.amdhsa_private_segment_fixed_size 0
		.amdhsa_kernarg_size 88
		.amdhsa_user_sgpr_count 6
		.amdhsa_user_sgpr_private_segment_buffer 1
		.amdhsa_user_sgpr_dispatch_ptr 0
		.amdhsa_user_sgpr_queue_ptr 0
		.amdhsa_user_sgpr_kernarg_segment_ptr 1
		.amdhsa_user_sgpr_dispatch_id 0
		.amdhsa_user_sgpr_flat_scratch_init 0
		.amdhsa_user_sgpr_kernarg_preload_length 0
		.amdhsa_user_sgpr_kernarg_preload_offset 0
		.amdhsa_user_sgpr_private_segment_size 0
		.amdhsa_uses_dynamic_stack 0
		.amdhsa_system_sgpr_private_segment_wavefront_offset 0
		.amdhsa_system_sgpr_workgroup_id_x 1
		.amdhsa_system_sgpr_workgroup_id_y 0
		.amdhsa_system_sgpr_workgroup_id_z 0
		.amdhsa_system_sgpr_workgroup_info 0
		.amdhsa_system_vgpr_workitem_id 0
		.amdhsa_next_free_vgpr 1
		.amdhsa_next_free_sgpr 0
		.amdhsa_accum_offset 4
		.amdhsa_reserve_vcc 0
		.amdhsa_reserve_flat_scratch 0
		.amdhsa_float_round_mode_32 0
		.amdhsa_float_round_mode_16_64 0
		.amdhsa_float_denorm_mode_32 3
		.amdhsa_float_denorm_mode_16_64 3
		.amdhsa_dx10_clamp 1
		.amdhsa_ieee_mode 1
		.amdhsa_fp16_overflow 0
		.amdhsa_tg_split 0
		.amdhsa_exception_fp_ieee_invalid_op 0
		.amdhsa_exception_fp_denorm_src 0
		.amdhsa_exception_fp_ieee_div_zero 0
		.amdhsa_exception_fp_ieee_overflow 0
		.amdhsa_exception_fp_ieee_underflow 0
		.amdhsa_exception_fp_ieee_inexact 0
		.amdhsa_exception_int_div_zero 0
	.end_amdhsa_kernel
	.section	.text._ZN7rocprim17ROCPRIM_400000_NS6detail17trampoline_kernelINS0_14default_configENS1_35radix_sort_onesweep_config_selectorIjNS0_10empty_typeEEEZZNS1_29radix_sort_onesweep_iterationIS3_Lb0EN6thrust23THRUST_200600_302600_NS6detail15normal_iteratorINS9_10device_ptrIjEEEESE_PS5_SF_jNS0_19identity_decomposerENS1_16block_id_wrapperIjLb1EEEEE10hipError_tT1_PNSt15iterator_traitsISK_E10value_typeET2_T3_PNSL_ISQ_E10value_typeET4_T5_PSV_SW_PNS1_23onesweep_lookback_stateEbbT6_jjT7_P12ihipStream_tbENKUlT_T0_SK_SP_E_clIPjSE_SF_SF_EEDaS13_S14_SK_SP_EUlS13_E_NS1_11comp_targetILNS1_3genE6ELNS1_11target_archE950ELNS1_3gpuE13ELNS1_3repE0EEENS1_47radix_sort_onesweep_sort_config_static_selectorELNS0_4arch9wavefront6targetE1EEEvSK_,"axG",@progbits,_ZN7rocprim17ROCPRIM_400000_NS6detail17trampoline_kernelINS0_14default_configENS1_35radix_sort_onesweep_config_selectorIjNS0_10empty_typeEEEZZNS1_29radix_sort_onesweep_iterationIS3_Lb0EN6thrust23THRUST_200600_302600_NS6detail15normal_iteratorINS9_10device_ptrIjEEEESE_PS5_SF_jNS0_19identity_decomposerENS1_16block_id_wrapperIjLb1EEEEE10hipError_tT1_PNSt15iterator_traitsISK_E10value_typeET2_T3_PNSL_ISQ_E10value_typeET4_T5_PSV_SW_PNS1_23onesweep_lookback_stateEbbT6_jjT7_P12ihipStream_tbENKUlT_T0_SK_SP_E_clIPjSE_SF_SF_EEDaS13_S14_SK_SP_EUlS13_E_NS1_11comp_targetILNS1_3genE6ELNS1_11target_archE950ELNS1_3gpuE13ELNS1_3repE0EEENS1_47radix_sort_onesweep_sort_config_static_selectorELNS0_4arch9wavefront6targetE1EEEvSK_,comdat
.Lfunc_end1120:
	.size	_ZN7rocprim17ROCPRIM_400000_NS6detail17trampoline_kernelINS0_14default_configENS1_35radix_sort_onesweep_config_selectorIjNS0_10empty_typeEEEZZNS1_29radix_sort_onesweep_iterationIS3_Lb0EN6thrust23THRUST_200600_302600_NS6detail15normal_iteratorINS9_10device_ptrIjEEEESE_PS5_SF_jNS0_19identity_decomposerENS1_16block_id_wrapperIjLb1EEEEE10hipError_tT1_PNSt15iterator_traitsISK_E10value_typeET2_T3_PNSL_ISQ_E10value_typeET4_T5_PSV_SW_PNS1_23onesweep_lookback_stateEbbT6_jjT7_P12ihipStream_tbENKUlT_T0_SK_SP_E_clIPjSE_SF_SF_EEDaS13_S14_SK_SP_EUlS13_E_NS1_11comp_targetILNS1_3genE6ELNS1_11target_archE950ELNS1_3gpuE13ELNS1_3repE0EEENS1_47radix_sort_onesweep_sort_config_static_selectorELNS0_4arch9wavefront6targetE1EEEvSK_, .Lfunc_end1120-_ZN7rocprim17ROCPRIM_400000_NS6detail17trampoline_kernelINS0_14default_configENS1_35radix_sort_onesweep_config_selectorIjNS0_10empty_typeEEEZZNS1_29radix_sort_onesweep_iterationIS3_Lb0EN6thrust23THRUST_200600_302600_NS6detail15normal_iteratorINS9_10device_ptrIjEEEESE_PS5_SF_jNS0_19identity_decomposerENS1_16block_id_wrapperIjLb1EEEEE10hipError_tT1_PNSt15iterator_traitsISK_E10value_typeET2_T3_PNSL_ISQ_E10value_typeET4_T5_PSV_SW_PNS1_23onesweep_lookback_stateEbbT6_jjT7_P12ihipStream_tbENKUlT_T0_SK_SP_E_clIPjSE_SF_SF_EEDaS13_S14_SK_SP_EUlS13_E_NS1_11comp_targetILNS1_3genE6ELNS1_11target_archE950ELNS1_3gpuE13ELNS1_3repE0EEENS1_47radix_sort_onesweep_sort_config_static_selectorELNS0_4arch9wavefront6targetE1EEEvSK_
                                        ; -- End function
	.section	.AMDGPU.csdata,"",@progbits
; Kernel info:
; codeLenInByte = 0
; NumSgprs: 4
; NumVgprs: 0
; NumAgprs: 0
; TotalNumVgprs: 0
; ScratchSize: 0
; MemoryBound: 0
; FloatMode: 240
; IeeeMode: 1
; LDSByteSize: 0 bytes/workgroup (compile time only)
; SGPRBlocks: 0
; VGPRBlocks: 0
; NumSGPRsForWavesPerEU: 4
; NumVGPRsForWavesPerEU: 1
; AccumOffset: 4
; Occupancy: 8
; WaveLimiterHint : 0
; COMPUTE_PGM_RSRC2:SCRATCH_EN: 0
; COMPUTE_PGM_RSRC2:USER_SGPR: 6
; COMPUTE_PGM_RSRC2:TRAP_HANDLER: 0
; COMPUTE_PGM_RSRC2:TGID_X_EN: 1
; COMPUTE_PGM_RSRC2:TGID_Y_EN: 0
; COMPUTE_PGM_RSRC2:TGID_Z_EN: 0
; COMPUTE_PGM_RSRC2:TIDIG_COMP_CNT: 0
; COMPUTE_PGM_RSRC3_GFX90A:ACCUM_OFFSET: 0
; COMPUTE_PGM_RSRC3_GFX90A:TG_SPLIT: 0
	.section	.text._ZN7rocprim17ROCPRIM_400000_NS6detail17trampoline_kernelINS0_14default_configENS1_35radix_sort_onesweep_config_selectorIjNS0_10empty_typeEEEZZNS1_29radix_sort_onesweep_iterationIS3_Lb0EN6thrust23THRUST_200600_302600_NS6detail15normal_iteratorINS9_10device_ptrIjEEEESE_PS5_SF_jNS0_19identity_decomposerENS1_16block_id_wrapperIjLb1EEEEE10hipError_tT1_PNSt15iterator_traitsISK_E10value_typeET2_T3_PNSL_ISQ_E10value_typeET4_T5_PSV_SW_PNS1_23onesweep_lookback_stateEbbT6_jjT7_P12ihipStream_tbENKUlT_T0_SK_SP_E_clIPjSE_SF_SF_EEDaS13_S14_SK_SP_EUlS13_E_NS1_11comp_targetILNS1_3genE5ELNS1_11target_archE942ELNS1_3gpuE9ELNS1_3repE0EEENS1_47radix_sort_onesweep_sort_config_static_selectorELNS0_4arch9wavefront6targetE1EEEvSK_,"axG",@progbits,_ZN7rocprim17ROCPRIM_400000_NS6detail17trampoline_kernelINS0_14default_configENS1_35radix_sort_onesweep_config_selectorIjNS0_10empty_typeEEEZZNS1_29radix_sort_onesweep_iterationIS3_Lb0EN6thrust23THRUST_200600_302600_NS6detail15normal_iteratorINS9_10device_ptrIjEEEESE_PS5_SF_jNS0_19identity_decomposerENS1_16block_id_wrapperIjLb1EEEEE10hipError_tT1_PNSt15iterator_traitsISK_E10value_typeET2_T3_PNSL_ISQ_E10value_typeET4_T5_PSV_SW_PNS1_23onesweep_lookback_stateEbbT6_jjT7_P12ihipStream_tbENKUlT_T0_SK_SP_E_clIPjSE_SF_SF_EEDaS13_S14_SK_SP_EUlS13_E_NS1_11comp_targetILNS1_3genE5ELNS1_11target_archE942ELNS1_3gpuE9ELNS1_3repE0EEENS1_47radix_sort_onesweep_sort_config_static_selectorELNS0_4arch9wavefront6targetE1EEEvSK_,comdat
	.protected	_ZN7rocprim17ROCPRIM_400000_NS6detail17trampoline_kernelINS0_14default_configENS1_35radix_sort_onesweep_config_selectorIjNS0_10empty_typeEEEZZNS1_29radix_sort_onesweep_iterationIS3_Lb0EN6thrust23THRUST_200600_302600_NS6detail15normal_iteratorINS9_10device_ptrIjEEEESE_PS5_SF_jNS0_19identity_decomposerENS1_16block_id_wrapperIjLb1EEEEE10hipError_tT1_PNSt15iterator_traitsISK_E10value_typeET2_T3_PNSL_ISQ_E10value_typeET4_T5_PSV_SW_PNS1_23onesweep_lookback_stateEbbT6_jjT7_P12ihipStream_tbENKUlT_T0_SK_SP_E_clIPjSE_SF_SF_EEDaS13_S14_SK_SP_EUlS13_E_NS1_11comp_targetILNS1_3genE5ELNS1_11target_archE942ELNS1_3gpuE9ELNS1_3repE0EEENS1_47radix_sort_onesweep_sort_config_static_selectorELNS0_4arch9wavefront6targetE1EEEvSK_ ; -- Begin function _ZN7rocprim17ROCPRIM_400000_NS6detail17trampoline_kernelINS0_14default_configENS1_35radix_sort_onesweep_config_selectorIjNS0_10empty_typeEEEZZNS1_29radix_sort_onesweep_iterationIS3_Lb0EN6thrust23THRUST_200600_302600_NS6detail15normal_iteratorINS9_10device_ptrIjEEEESE_PS5_SF_jNS0_19identity_decomposerENS1_16block_id_wrapperIjLb1EEEEE10hipError_tT1_PNSt15iterator_traitsISK_E10value_typeET2_T3_PNSL_ISQ_E10value_typeET4_T5_PSV_SW_PNS1_23onesweep_lookback_stateEbbT6_jjT7_P12ihipStream_tbENKUlT_T0_SK_SP_E_clIPjSE_SF_SF_EEDaS13_S14_SK_SP_EUlS13_E_NS1_11comp_targetILNS1_3genE5ELNS1_11target_archE942ELNS1_3gpuE9ELNS1_3repE0EEENS1_47radix_sort_onesweep_sort_config_static_selectorELNS0_4arch9wavefront6targetE1EEEvSK_
	.globl	_ZN7rocprim17ROCPRIM_400000_NS6detail17trampoline_kernelINS0_14default_configENS1_35radix_sort_onesweep_config_selectorIjNS0_10empty_typeEEEZZNS1_29radix_sort_onesweep_iterationIS3_Lb0EN6thrust23THRUST_200600_302600_NS6detail15normal_iteratorINS9_10device_ptrIjEEEESE_PS5_SF_jNS0_19identity_decomposerENS1_16block_id_wrapperIjLb1EEEEE10hipError_tT1_PNSt15iterator_traitsISK_E10value_typeET2_T3_PNSL_ISQ_E10value_typeET4_T5_PSV_SW_PNS1_23onesweep_lookback_stateEbbT6_jjT7_P12ihipStream_tbENKUlT_T0_SK_SP_E_clIPjSE_SF_SF_EEDaS13_S14_SK_SP_EUlS13_E_NS1_11comp_targetILNS1_3genE5ELNS1_11target_archE942ELNS1_3gpuE9ELNS1_3repE0EEENS1_47radix_sort_onesweep_sort_config_static_selectorELNS0_4arch9wavefront6targetE1EEEvSK_
	.p2align	8
	.type	_ZN7rocprim17ROCPRIM_400000_NS6detail17trampoline_kernelINS0_14default_configENS1_35radix_sort_onesweep_config_selectorIjNS0_10empty_typeEEEZZNS1_29radix_sort_onesweep_iterationIS3_Lb0EN6thrust23THRUST_200600_302600_NS6detail15normal_iteratorINS9_10device_ptrIjEEEESE_PS5_SF_jNS0_19identity_decomposerENS1_16block_id_wrapperIjLb1EEEEE10hipError_tT1_PNSt15iterator_traitsISK_E10value_typeET2_T3_PNSL_ISQ_E10value_typeET4_T5_PSV_SW_PNS1_23onesweep_lookback_stateEbbT6_jjT7_P12ihipStream_tbENKUlT_T0_SK_SP_E_clIPjSE_SF_SF_EEDaS13_S14_SK_SP_EUlS13_E_NS1_11comp_targetILNS1_3genE5ELNS1_11target_archE942ELNS1_3gpuE9ELNS1_3repE0EEENS1_47radix_sort_onesweep_sort_config_static_selectorELNS0_4arch9wavefront6targetE1EEEvSK_,@function
_ZN7rocprim17ROCPRIM_400000_NS6detail17trampoline_kernelINS0_14default_configENS1_35radix_sort_onesweep_config_selectorIjNS0_10empty_typeEEEZZNS1_29radix_sort_onesweep_iterationIS3_Lb0EN6thrust23THRUST_200600_302600_NS6detail15normal_iteratorINS9_10device_ptrIjEEEESE_PS5_SF_jNS0_19identity_decomposerENS1_16block_id_wrapperIjLb1EEEEE10hipError_tT1_PNSt15iterator_traitsISK_E10value_typeET2_T3_PNSL_ISQ_E10value_typeET4_T5_PSV_SW_PNS1_23onesweep_lookback_stateEbbT6_jjT7_P12ihipStream_tbENKUlT_T0_SK_SP_E_clIPjSE_SF_SF_EEDaS13_S14_SK_SP_EUlS13_E_NS1_11comp_targetILNS1_3genE5ELNS1_11target_archE942ELNS1_3gpuE9ELNS1_3repE0EEENS1_47radix_sort_onesweep_sort_config_static_selectorELNS0_4arch9wavefront6targetE1EEEvSK_: ; @_ZN7rocprim17ROCPRIM_400000_NS6detail17trampoline_kernelINS0_14default_configENS1_35radix_sort_onesweep_config_selectorIjNS0_10empty_typeEEEZZNS1_29radix_sort_onesweep_iterationIS3_Lb0EN6thrust23THRUST_200600_302600_NS6detail15normal_iteratorINS9_10device_ptrIjEEEESE_PS5_SF_jNS0_19identity_decomposerENS1_16block_id_wrapperIjLb1EEEEE10hipError_tT1_PNSt15iterator_traitsISK_E10value_typeET2_T3_PNSL_ISQ_E10value_typeET4_T5_PSV_SW_PNS1_23onesweep_lookback_stateEbbT6_jjT7_P12ihipStream_tbENKUlT_T0_SK_SP_E_clIPjSE_SF_SF_EEDaS13_S14_SK_SP_EUlS13_E_NS1_11comp_targetILNS1_3genE5ELNS1_11target_archE942ELNS1_3gpuE9ELNS1_3repE0EEENS1_47radix_sort_onesweep_sort_config_static_selectorELNS0_4arch9wavefront6targetE1EEEvSK_
; %bb.0:
	.section	.rodata,"a",@progbits
	.p2align	6, 0x0
	.amdhsa_kernel _ZN7rocprim17ROCPRIM_400000_NS6detail17trampoline_kernelINS0_14default_configENS1_35radix_sort_onesweep_config_selectorIjNS0_10empty_typeEEEZZNS1_29radix_sort_onesweep_iterationIS3_Lb0EN6thrust23THRUST_200600_302600_NS6detail15normal_iteratorINS9_10device_ptrIjEEEESE_PS5_SF_jNS0_19identity_decomposerENS1_16block_id_wrapperIjLb1EEEEE10hipError_tT1_PNSt15iterator_traitsISK_E10value_typeET2_T3_PNSL_ISQ_E10value_typeET4_T5_PSV_SW_PNS1_23onesweep_lookback_stateEbbT6_jjT7_P12ihipStream_tbENKUlT_T0_SK_SP_E_clIPjSE_SF_SF_EEDaS13_S14_SK_SP_EUlS13_E_NS1_11comp_targetILNS1_3genE5ELNS1_11target_archE942ELNS1_3gpuE9ELNS1_3repE0EEENS1_47radix_sort_onesweep_sort_config_static_selectorELNS0_4arch9wavefront6targetE1EEEvSK_
		.amdhsa_group_segment_fixed_size 0
		.amdhsa_private_segment_fixed_size 0
		.amdhsa_kernarg_size 88
		.amdhsa_user_sgpr_count 6
		.amdhsa_user_sgpr_private_segment_buffer 1
		.amdhsa_user_sgpr_dispatch_ptr 0
		.amdhsa_user_sgpr_queue_ptr 0
		.amdhsa_user_sgpr_kernarg_segment_ptr 1
		.amdhsa_user_sgpr_dispatch_id 0
		.amdhsa_user_sgpr_flat_scratch_init 0
		.amdhsa_user_sgpr_kernarg_preload_length 0
		.amdhsa_user_sgpr_kernarg_preload_offset 0
		.amdhsa_user_sgpr_private_segment_size 0
		.amdhsa_uses_dynamic_stack 0
		.amdhsa_system_sgpr_private_segment_wavefront_offset 0
		.amdhsa_system_sgpr_workgroup_id_x 1
		.amdhsa_system_sgpr_workgroup_id_y 0
		.amdhsa_system_sgpr_workgroup_id_z 0
		.amdhsa_system_sgpr_workgroup_info 0
		.amdhsa_system_vgpr_workitem_id 0
		.amdhsa_next_free_vgpr 1
		.amdhsa_next_free_sgpr 0
		.amdhsa_accum_offset 4
		.amdhsa_reserve_vcc 0
		.amdhsa_reserve_flat_scratch 0
		.amdhsa_float_round_mode_32 0
		.amdhsa_float_round_mode_16_64 0
		.amdhsa_float_denorm_mode_32 3
		.amdhsa_float_denorm_mode_16_64 3
		.amdhsa_dx10_clamp 1
		.amdhsa_ieee_mode 1
		.amdhsa_fp16_overflow 0
		.amdhsa_tg_split 0
		.amdhsa_exception_fp_ieee_invalid_op 0
		.amdhsa_exception_fp_denorm_src 0
		.amdhsa_exception_fp_ieee_div_zero 0
		.amdhsa_exception_fp_ieee_overflow 0
		.amdhsa_exception_fp_ieee_underflow 0
		.amdhsa_exception_fp_ieee_inexact 0
		.amdhsa_exception_int_div_zero 0
	.end_amdhsa_kernel
	.section	.text._ZN7rocprim17ROCPRIM_400000_NS6detail17trampoline_kernelINS0_14default_configENS1_35radix_sort_onesweep_config_selectorIjNS0_10empty_typeEEEZZNS1_29radix_sort_onesweep_iterationIS3_Lb0EN6thrust23THRUST_200600_302600_NS6detail15normal_iteratorINS9_10device_ptrIjEEEESE_PS5_SF_jNS0_19identity_decomposerENS1_16block_id_wrapperIjLb1EEEEE10hipError_tT1_PNSt15iterator_traitsISK_E10value_typeET2_T3_PNSL_ISQ_E10value_typeET4_T5_PSV_SW_PNS1_23onesweep_lookback_stateEbbT6_jjT7_P12ihipStream_tbENKUlT_T0_SK_SP_E_clIPjSE_SF_SF_EEDaS13_S14_SK_SP_EUlS13_E_NS1_11comp_targetILNS1_3genE5ELNS1_11target_archE942ELNS1_3gpuE9ELNS1_3repE0EEENS1_47radix_sort_onesweep_sort_config_static_selectorELNS0_4arch9wavefront6targetE1EEEvSK_,"axG",@progbits,_ZN7rocprim17ROCPRIM_400000_NS6detail17trampoline_kernelINS0_14default_configENS1_35radix_sort_onesweep_config_selectorIjNS0_10empty_typeEEEZZNS1_29radix_sort_onesweep_iterationIS3_Lb0EN6thrust23THRUST_200600_302600_NS6detail15normal_iteratorINS9_10device_ptrIjEEEESE_PS5_SF_jNS0_19identity_decomposerENS1_16block_id_wrapperIjLb1EEEEE10hipError_tT1_PNSt15iterator_traitsISK_E10value_typeET2_T3_PNSL_ISQ_E10value_typeET4_T5_PSV_SW_PNS1_23onesweep_lookback_stateEbbT6_jjT7_P12ihipStream_tbENKUlT_T0_SK_SP_E_clIPjSE_SF_SF_EEDaS13_S14_SK_SP_EUlS13_E_NS1_11comp_targetILNS1_3genE5ELNS1_11target_archE942ELNS1_3gpuE9ELNS1_3repE0EEENS1_47radix_sort_onesweep_sort_config_static_selectorELNS0_4arch9wavefront6targetE1EEEvSK_,comdat
.Lfunc_end1121:
	.size	_ZN7rocprim17ROCPRIM_400000_NS6detail17trampoline_kernelINS0_14default_configENS1_35radix_sort_onesweep_config_selectorIjNS0_10empty_typeEEEZZNS1_29radix_sort_onesweep_iterationIS3_Lb0EN6thrust23THRUST_200600_302600_NS6detail15normal_iteratorINS9_10device_ptrIjEEEESE_PS5_SF_jNS0_19identity_decomposerENS1_16block_id_wrapperIjLb1EEEEE10hipError_tT1_PNSt15iterator_traitsISK_E10value_typeET2_T3_PNSL_ISQ_E10value_typeET4_T5_PSV_SW_PNS1_23onesweep_lookback_stateEbbT6_jjT7_P12ihipStream_tbENKUlT_T0_SK_SP_E_clIPjSE_SF_SF_EEDaS13_S14_SK_SP_EUlS13_E_NS1_11comp_targetILNS1_3genE5ELNS1_11target_archE942ELNS1_3gpuE9ELNS1_3repE0EEENS1_47radix_sort_onesweep_sort_config_static_selectorELNS0_4arch9wavefront6targetE1EEEvSK_, .Lfunc_end1121-_ZN7rocprim17ROCPRIM_400000_NS6detail17trampoline_kernelINS0_14default_configENS1_35radix_sort_onesweep_config_selectorIjNS0_10empty_typeEEEZZNS1_29radix_sort_onesweep_iterationIS3_Lb0EN6thrust23THRUST_200600_302600_NS6detail15normal_iteratorINS9_10device_ptrIjEEEESE_PS5_SF_jNS0_19identity_decomposerENS1_16block_id_wrapperIjLb1EEEEE10hipError_tT1_PNSt15iterator_traitsISK_E10value_typeET2_T3_PNSL_ISQ_E10value_typeET4_T5_PSV_SW_PNS1_23onesweep_lookback_stateEbbT6_jjT7_P12ihipStream_tbENKUlT_T0_SK_SP_E_clIPjSE_SF_SF_EEDaS13_S14_SK_SP_EUlS13_E_NS1_11comp_targetILNS1_3genE5ELNS1_11target_archE942ELNS1_3gpuE9ELNS1_3repE0EEENS1_47radix_sort_onesweep_sort_config_static_selectorELNS0_4arch9wavefront6targetE1EEEvSK_
                                        ; -- End function
	.section	.AMDGPU.csdata,"",@progbits
; Kernel info:
; codeLenInByte = 0
; NumSgprs: 4
; NumVgprs: 0
; NumAgprs: 0
; TotalNumVgprs: 0
; ScratchSize: 0
; MemoryBound: 0
; FloatMode: 240
; IeeeMode: 1
; LDSByteSize: 0 bytes/workgroup (compile time only)
; SGPRBlocks: 0
; VGPRBlocks: 0
; NumSGPRsForWavesPerEU: 4
; NumVGPRsForWavesPerEU: 1
; AccumOffset: 4
; Occupancy: 8
; WaveLimiterHint : 0
; COMPUTE_PGM_RSRC2:SCRATCH_EN: 0
; COMPUTE_PGM_RSRC2:USER_SGPR: 6
; COMPUTE_PGM_RSRC2:TRAP_HANDLER: 0
; COMPUTE_PGM_RSRC2:TGID_X_EN: 1
; COMPUTE_PGM_RSRC2:TGID_Y_EN: 0
; COMPUTE_PGM_RSRC2:TGID_Z_EN: 0
; COMPUTE_PGM_RSRC2:TIDIG_COMP_CNT: 0
; COMPUTE_PGM_RSRC3_GFX90A:ACCUM_OFFSET: 0
; COMPUTE_PGM_RSRC3_GFX90A:TG_SPLIT: 0
	.section	.text._ZN7rocprim17ROCPRIM_400000_NS6detail17trampoline_kernelINS0_14default_configENS1_35radix_sort_onesweep_config_selectorIjNS0_10empty_typeEEEZZNS1_29radix_sort_onesweep_iterationIS3_Lb0EN6thrust23THRUST_200600_302600_NS6detail15normal_iteratorINS9_10device_ptrIjEEEESE_PS5_SF_jNS0_19identity_decomposerENS1_16block_id_wrapperIjLb1EEEEE10hipError_tT1_PNSt15iterator_traitsISK_E10value_typeET2_T3_PNSL_ISQ_E10value_typeET4_T5_PSV_SW_PNS1_23onesweep_lookback_stateEbbT6_jjT7_P12ihipStream_tbENKUlT_T0_SK_SP_E_clIPjSE_SF_SF_EEDaS13_S14_SK_SP_EUlS13_E_NS1_11comp_targetILNS1_3genE2ELNS1_11target_archE906ELNS1_3gpuE6ELNS1_3repE0EEENS1_47radix_sort_onesweep_sort_config_static_selectorELNS0_4arch9wavefront6targetE1EEEvSK_,"axG",@progbits,_ZN7rocprim17ROCPRIM_400000_NS6detail17trampoline_kernelINS0_14default_configENS1_35radix_sort_onesweep_config_selectorIjNS0_10empty_typeEEEZZNS1_29radix_sort_onesweep_iterationIS3_Lb0EN6thrust23THRUST_200600_302600_NS6detail15normal_iteratorINS9_10device_ptrIjEEEESE_PS5_SF_jNS0_19identity_decomposerENS1_16block_id_wrapperIjLb1EEEEE10hipError_tT1_PNSt15iterator_traitsISK_E10value_typeET2_T3_PNSL_ISQ_E10value_typeET4_T5_PSV_SW_PNS1_23onesweep_lookback_stateEbbT6_jjT7_P12ihipStream_tbENKUlT_T0_SK_SP_E_clIPjSE_SF_SF_EEDaS13_S14_SK_SP_EUlS13_E_NS1_11comp_targetILNS1_3genE2ELNS1_11target_archE906ELNS1_3gpuE6ELNS1_3repE0EEENS1_47radix_sort_onesweep_sort_config_static_selectorELNS0_4arch9wavefront6targetE1EEEvSK_,comdat
	.protected	_ZN7rocprim17ROCPRIM_400000_NS6detail17trampoline_kernelINS0_14default_configENS1_35radix_sort_onesweep_config_selectorIjNS0_10empty_typeEEEZZNS1_29radix_sort_onesweep_iterationIS3_Lb0EN6thrust23THRUST_200600_302600_NS6detail15normal_iteratorINS9_10device_ptrIjEEEESE_PS5_SF_jNS0_19identity_decomposerENS1_16block_id_wrapperIjLb1EEEEE10hipError_tT1_PNSt15iterator_traitsISK_E10value_typeET2_T3_PNSL_ISQ_E10value_typeET4_T5_PSV_SW_PNS1_23onesweep_lookback_stateEbbT6_jjT7_P12ihipStream_tbENKUlT_T0_SK_SP_E_clIPjSE_SF_SF_EEDaS13_S14_SK_SP_EUlS13_E_NS1_11comp_targetILNS1_3genE2ELNS1_11target_archE906ELNS1_3gpuE6ELNS1_3repE0EEENS1_47radix_sort_onesweep_sort_config_static_selectorELNS0_4arch9wavefront6targetE1EEEvSK_ ; -- Begin function _ZN7rocprim17ROCPRIM_400000_NS6detail17trampoline_kernelINS0_14default_configENS1_35radix_sort_onesweep_config_selectorIjNS0_10empty_typeEEEZZNS1_29radix_sort_onesweep_iterationIS3_Lb0EN6thrust23THRUST_200600_302600_NS6detail15normal_iteratorINS9_10device_ptrIjEEEESE_PS5_SF_jNS0_19identity_decomposerENS1_16block_id_wrapperIjLb1EEEEE10hipError_tT1_PNSt15iterator_traitsISK_E10value_typeET2_T3_PNSL_ISQ_E10value_typeET4_T5_PSV_SW_PNS1_23onesweep_lookback_stateEbbT6_jjT7_P12ihipStream_tbENKUlT_T0_SK_SP_E_clIPjSE_SF_SF_EEDaS13_S14_SK_SP_EUlS13_E_NS1_11comp_targetILNS1_3genE2ELNS1_11target_archE906ELNS1_3gpuE6ELNS1_3repE0EEENS1_47radix_sort_onesweep_sort_config_static_selectorELNS0_4arch9wavefront6targetE1EEEvSK_
	.globl	_ZN7rocprim17ROCPRIM_400000_NS6detail17trampoline_kernelINS0_14default_configENS1_35radix_sort_onesweep_config_selectorIjNS0_10empty_typeEEEZZNS1_29radix_sort_onesweep_iterationIS3_Lb0EN6thrust23THRUST_200600_302600_NS6detail15normal_iteratorINS9_10device_ptrIjEEEESE_PS5_SF_jNS0_19identity_decomposerENS1_16block_id_wrapperIjLb1EEEEE10hipError_tT1_PNSt15iterator_traitsISK_E10value_typeET2_T3_PNSL_ISQ_E10value_typeET4_T5_PSV_SW_PNS1_23onesweep_lookback_stateEbbT6_jjT7_P12ihipStream_tbENKUlT_T0_SK_SP_E_clIPjSE_SF_SF_EEDaS13_S14_SK_SP_EUlS13_E_NS1_11comp_targetILNS1_3genE2ELNS1_11target_archE906ELNS1_3gpuE6ELNS1_3repE0EEENS1_47radix_sort_onesweep_sort_config_static_selectorELNS0_4arch9wavefront6targetE1EEEvSK_
	.p2align	8
	.type	_ZN7rocprim17ROCPRIM_400000_NS6detail17trampoline_kernelINS0_14default_configENS1_35radix_sort_onesweep_config_selectorIjNS0_10empty_typeEEEZZNS1_29radix_sort_onesweep_iterationIS3_Lb0EN6thrust23THRUST_200600_302600_NS6detail15normal_iteratorINS9_10device_ptrIjEEEESE_PS5_SF_jNS0_19identity_decomposerENS1_16block_id_wrapperIjLb1EEEEE10hipError_tT1_PNSt15iterator_traitsISK_E10value_typeET2_T3_PNSL_ISQ_E10value_typeET4_T5_PSV_SW_PNS1_23onesweep_lookback_stateEbbT6_jjT7_P12ihipStream_tbENKUlT_T0_SK_SP_E_clIPjSE_SF_SF_EEDaS13_S14_SK_SP_EUlS13_E_NS1_11comp_targetILNS1_3genE2ELNS1_11target_archE906ELNS1_3gpuE6ELNS1_3repE0EEENS1_47radix_sort_onesweep_sort_config_static_selectorELNS0_4arch9wavefront6targetE1EEEvSK_,@function
_ZN7rocprim17ROCPRIM_400000_NS6detail17trampoline_kernelINS0_14default_configENS1_35radix_sort_onesweep_config_selectorIjNS0_10empty_typeEEEZZNS1_29radix_sort_onesweep_iterationIS3_Lb0EN6thrust23THRUST_200600_302600_NS6detail15normal_iteratorINS9_10device_ptrIjEEEESE_PS5_SF_jNS0_19identity_decomposerENS1_16block_id_wrapperIjLb1EEEEE10hipError_tT1_PNSt15iterator_traitsISK_E10value_typeET2_T3_PNSL_ISQ_E10value_typeET4_T5_PSV_SW_PNS1_23onesweep_lookback_stateEbbT6_jjT7_P12ihipStream_tbENKUlT_T0_SK_SP_E_clIPjSE_SF_SF_EEDaS13_S14_SK_SP_EUlS13_E_NS1_11comp_targetILNS1_3genE2ELNS1_11target_archE906ELNS1_3gpuE6ELNS1_3repE0EEENS1_47radix_sort_onesweep_sort_config_static_selectorELNS0_4arch9wavefront6targetE1EEEvSK_: ; @_ZN7rocprim17ROCPRIM_400000_NS6detail17trampoline_kernelINS0_14default_configENS1_35radix_sort_onesweep_config_selectorIjNS0_10empty_typeEEEZZNS1_29radix_sort_onesweep_iterationIS3_Lb0EN6thrust23THRUST_200600_302600_NS6detail15normal_iteratorINS9_10device_ptrIjEEEESE_PS5_SF_jNS0_19identity_decomposerENS1_16block_id_wrapperIjLb1EEEEE10hipError_tT1_PNSt15iterator_traitsISK_E10value_typeET2_T3_PNSL_ISQ_E10value_typeET4_T5_PSV_SW_PNS1_23onesweep_lookback_stateEbbT6_jjT7_P12ihipStream_tbENKUlT_T0_SK_SP_E_clIPjSE_SF_SF_EEDaS13_S14_SK_SP_EUlS13_E_NS1_11comp_targetILNS1_3genE2ELNS1_11target_archE906ELNS1_3gpuE6ELNS1_3repE0EEENS1_47radix_sort_onesweep_sort_config_static_selectorELNS0_4arch9wavefront6targetE1EEEvSK_
; %bb.0:
	.section	.rodata,"a",@progbits
	.p2align	6, 0x0
	.amdhsa_kernel _ZN7rocprim17ROCPRIM_400000_NS6detail17trampoline_kernelINS0_14default_configENS1_35radix_sort_onesweep_config_selectorIjNS0_10empty_typeEEEZZNS1_29radix_sort_onesweep_iterationIS3_Lb0EN6thrust23THRUST_200600_302600_NS6detail15normal_iteratorINS9_10device_ptrIjEEEESE_PS5_SF_jNS0_19identity_decomposerENS1_16block_id_wrapperIjLb1EEEEE10hipError_tT1_PNSt15iterator_traitsISK_E10value_typeET2_T3_PNSL_ISQ_E10value_typeET4_T5_PSV_SW_PNS1_23onesweep_lookback_stateEbbT6_jjT7_P12ihipStream_tbENKUlT_T0_SK_SP_E_clIPjSE_SF_SF_EEDaS13_S14_SK_SP_EUlS13_E_NS1_11comp_targetILNS1_3genE2ELNS1_11target_archE906ELNS1_3gpuE6ELNS1_3repE0EEENS1_47radix_sort_onesweep_sort_config_static_selectorELNS0_4arch9wavefront6targetE1EEEvSK_
		.amdhsa_group_segment_fixed_size 0
		.amdhsa_private_segment_fixed_size 0
		.amdhsa_kernarg_size 88
		.amdhsa_user_sgpr_count 6
		.amdhsa_user_sgpr_private_segment_buffer 1
		.amdhsa_user_sgpr_dispatch_ptr 0
		.amdhsa_user_sgpr_queue_ptr 0
		.amdhsa_user_sgpr_kernarg_segment_ptr 1
		.amdhsa_user_sgpr_dispatch_id 0
		.amdhsa_user_sgpr_flat_scratch_init 0
		.amdhsa_user_sgpr_kernarg_preload_length 0
		.amdhsa_user_sgpr_kernarg_preload_offset 0
		.amdhsa_user_sgpr_private_segment_size 0
		.amdhsa_uses_dynamic_stack 0
		.amdhsa_system_sgpr_private_segment_wavefront_offset 0
		.amdhsa_system_sgpr_workgroup_id_x 1
		.amdhsa_system_sgpr_workgroup_id_y 0
		.amdhsa_system_sgpr_workgroup_id_z 0
		.amdhsa_system_sgpr_workgroup_info 0
		.amdhsa_system_vgpr_workitem_id 0
		.amdhsa_next_free_vgpr 1
		.amdhsa_next_free_sgpr 0
		.amdhsa_accum_offset 4
		.amdhsa_reserve_vcc 0
		.amdhsa_reserve_flat_scratch 0
		.amdhsa_float_round_mode_32 0
		.amdhsa_float_round_mode_16_64 0
		.amdhsa_float_denorm_mode_32 3
		.amdhsa_float_denorm_mode_16_64 3
		.amdhsa_dx10_clamp 1
		.amdhsa_ieee_mode 1
		.amdhsa_fp16_overflow 0
		.amdhsa_tg_split 0
		.amdhsa_exception_fp_ieee_invalid_op 0
		.amdhsa_exception_fp_denorm_src 0
		.amdhsa_exception_fp_ieee_div_zero 0
		.amdhsa_exception_fp_ieee_overflow 0
		.amdhsa_exception_fp_ieee_underflow 0
		.amdhsa_exception_fp_ieee_inexact 0
		.amdhsa_exception_int_div_zero 0
	.end_amdhsa_kernel
	.section	.text._ZN7rocprim17ROCPRIM_400000_NS6detail17trampoline_kernelINS0_14default_configENS1_35radix_sort_onesweep_config_selectorIjNS0_10empty_typeEEEZZNS1_29radix_sort_onesweep_iterationIS3_Lb0EN6thrust23THRUST_200600_302600_NS6detail15normal_iteratorINS9_10device_ptrIjEEEESE_PS5_SF_jNS0_19identity_decomposerENS1_16block_id_wrapperIjLb1EEEEE10hipError_tT1_PNSt15iterator_traitsISK_E10value_typeET2_T3_PNSL_ISQ_E10value_typeET4_T5_PSV_SW_PNS1_23onesweep_lookback_stateEbbT6_jjT7_P12ihipStream_tbENKUlT_T0_SK_SP_E_clIPjSE_SF_SF_EEDaS13_S14_SK_SP_EUlS13_E_NS1_11comp_targetILNS1_3genE2ELNS1_11target_archE906ELNS1_3gpuE6ELNS1_3repE0EEENS1_47radix_sort_onesweep_sort_config_static_selectorELNS0_4arch9wavefront6targetE1EEEvSK_,"axG",@progbits,_ZN7rocprim17ROCPRIM_400000_NS6detail17trampoline_kernelINS0_14default_configENS1_35radix_sort_onesweep_config_selectorIjNS0_10empty_typeEEEZZNS1_29radix_sort_onesweep_iterationIS3_Lb0EN6thrust23THRUST_200600_302600_NS6detail15normal_iteratorINS9_10device_ptrIjEEEESE_PS5_SF_jNS0_19identity_decomposerENS1_16block_id_wrapperIjLb1EEEEE10hipError_tT1_PNSt15iterator_traitsISK_E10value_typeET2_T3_PNSL_ISQ_E10value_typeET4_T5_PSV_SW_PNS1_23onesweep_lookback_stateEbbT6_jjT7_P12ihipStream_tbENKUlT_T0_SK_SP_E_clIPjSE_SF_SF_EEDaS13_S14_SK_SP_EUlS13_E_NS1_11comp_targetILNS1_3genE2ELNS1_11target_archE906ELNS1_3gpuE6ELNS1_3repE0EEENS1_47radix_sort_onesweep_sort_config_static_selectorELNS0_4arch9wavefront6targetE1EEEvSK_,comdat
.Lfunc_end1122:
	.size	_ZN7rocprim17ROCPRIM_400000_NS6detail17trampoline_kernelINS0_14default_configENS1_35radix_sort_onesweep_config_selectorIjNS0_10empty_typeEEEZZNS1_29radix_sort_onesweep_iterationIS3_Lb0EN6thrust23THRUST_200600_302600_NS6detail15normal_iteratorINS9_10device_ptrIjEEEESE_PS5_SF_jNS0_19identity_decomposerENS1_16block_id_wrapperIjLb1EEEEE10hipError_tT1_PNSt15iterator_traitsISK_E10value_typeET2_T3_PNSL_ISQ_E10value_typeET4_T5_PSV_SW_PNS1_23onesweep_lookback_stateEbbT6_jjT7_P12ihipStream_tbENKUlT_T0_SK_SP_E_clIPjSE_SF_SF_EEDaS13_S14_SK_SP_EUlS13_E_NS1_11comp_targetILNS1_3genE2ELNS1_11target_archE906ELNS1_3gpuE6ELNS1_3repE0EEENS1_47radix_sort_onesweep_sort_config_static_selectorELNS0_4arch9wavefront6targetE1EEEvSK_, .Lfunc_end1122-_ZN7rocprim17ROCPRIM_400000_NS6detail17trampoline_kernelINS0_14default_configENS1_35radix_sort_onesweep_config_selectorIjNS0_10empty_typeEEEZZNS1_29radix_sort_onesweep_iterationIS3_Lb0EN6thrust23THRUST_200600_302600_NS6detail15normal_iteratorINS9_10device_ptrIjEEEESE_PS5_SF_jNS0_19identity_decomposerENS1_16block_id_wrapperIjLb1EEEEE10hipError_tT1_PNSt15iterator_traitsISK_E10value_typeET2_T3_PNSL_ISQ_E10value_typeET4_T5_PSV_SW_PNS1_23onesweep_lookback_stateEbbT6_jjT7_P12ihipStream_tbENKUlT_T0_SK_SP_E_clIPjSE_SF_SF_EEDaS13_S14_SK_SP_EUlS13_E_NS1_11comp_targetILNS1_3genE2ELNS1_11target_archE906ELNS1_3gpuE6ELNS1_3repE0EEENS1_47radix_sort_onesweep_sort_config_static_selectorELNS0_4arch9wavefront6targetE1EEEvSK_
                                        ; -- End function
	.section	.AMDGPU.csdata,"",@progbits
; Kernel info:
; codeLenInByte = 0
; NumSgprs: 4
; NumVgprs: 0
; NumAgprs: 0
; TotalNumVgprs: 0
; ScratchSize: 0
; MemoryBound: 0
; FloatMode: 240
; IeeeMode: 1
; LDSByteSize: 0 bytes/workgroup (compile time only)
; SGPRBlocks: 0
; VGPRBlocks: 0
; NumSGPRsForWavesPerEU: 4
; NumVGPRsForWavesPerEU: 1
; AccumOffset: 4
; Occupancy: 8
; WaveLimiterHint : 0
; COMPUTE_PGM_RSRC2:SCRATCH_EN: 0
; COMPUTE_PGM_RSRC2:USER_SGPR: 6
; COMPUTE_PGM_RSRC2:TRAP_HANDLER: 0
; COMPUTE_PGM_RSRC2:TGID_X_EN: 1
; COMPUTE_PGM_RSRC2:TGID_Y_EN: 0
; COMPUTE_PGM_RSRC2:TGID_Z_EN: 0
; COMPUTE_PGM_RSRC2:TIDIG_COMP_CNT: 0
; COMPUTE_PGM_RSRC3_GFX90A:ACCUM_OFFSET: 0
; COMPUTE_PGM_RSRC3_GFX90A:TG_SPLIT: 0
	.section	.text._ZN7rocprim17ROCPRIM_400000_NS6detail17trampoline_kernelINS0_14default_configENS1_35radix_sort_onesweep_config_selectorIjNS0_10empty_typeEEEZZNS1_29radix_sort_onesweep_iterationIS3_Lb0EN6thrust23THRUST_200600_302600_NS6detail15normal_iteratorINS9_10device_ptrIjEEEESE_PS5_SF_jNS0_19identity_decomposerENS1_16block_id_wrapperIjLb1EEEEE10hipError_tT1_PNSt15iterator_traitsISK_E10value_typeET2_T3_PNSL_ISQ_E10value_typeET4_T5_PSV_SW_PNS1_23onesweep_lookback_stateEbbT6_jjT7_P12ihipStream_tbENKUlT_T0_SK_SP_E_clIPjSE_SF_SF_EEDaS13_S14_SK_SP_EUlS13_E_NS1_11comp_targetILNS1_3genE4ELNS1_11target_archE910ELNS1_3gpuE8ELNS1_3repE0EEENS1_47radix_sort_onesweep_sort_config_static_selectorELNS0_4arch9wavefront6targetE1EEEvSK_,"axG",@progbits,_ZN7rocprim17ROCPRIM_400000_NS6detail17trampoline_kernelINS0_14default_configENS1_35radix_sort_onesweep_config_selectorIjNS0_10empty_typeEEEZZNS1_29radix_sort_onesweep_iterationIS3_Lb0EN6thrust23THRUST_200600_302600_NS6detail15normal_iteratorINS9_10device_ptrIjEEEESE_PS5_SF_jNS0_19identity_decomposerENS1_16block_id_wrapperIjLb1EEEEE10hipError_tT1_PNSt15iterator_traitsISK_E10value_typeET2_T3_PNSL_ISQ_E10value_typeET4_T5_PSV_SW_PNS1_23onesweep_lookback_stateEbbT6_jjT7_P12ihipStream_tbENKUlT_T0_SK_SP_E_clIPjSE_SF_SF_EEDaS13_S14_SK_SP_EUlS13_E_NS1_11comp_targetILNS1_3genE4ELNS1_11target_archE910ELNS1_3gpuE8ELNS1_3repE0EEENS1_47radix_sort_onesweep_sort_config_static_selectorELNS0_4arch9wavefront6targetE1EEEvSK_,comdat
	.protected	_ZN7rocprim17ROCPRIM_400000_NS6detail17trampoline_kernelINS0_14default_configENS1_35radix_sort_onesweep_config_selectorIjNS0_10empty_typeEEEZZNS1_29radix_sort_onesweep_iterationIS3_Lb0EN6thrust23THRUST_200600_302600_NS6detail15normal_iteratorINS9_10device_ptrIjEEEESE_PS5_SF_jNS0_19identity_decomposerENS1_16block_id_wrapperIjLb1EEEEE10hipError_tT1_PNSt15iterator_traitsISK_E10value_typeET2_T3_PNSL_ISQ_E10value_typeET4_T5_PSV_SW_PNS1_23onesweep_lookback_stateEbbT6_jjT7_P12ihipStream_tbENKUlT_T0_SK_SP_E_clIPjSE_SF_SF_EEDaS13_S14_SK_SP_EUlS13_E_NS1_11comp_targetILNS1_3genE4ELNS1_11target_archE910ELNS1_3gpuE8ELNS1_3repE0EEENS1_47radix_sort_onesweep_sort_config_static_selectorELNS0_4arch9wavefront6targetE1EEEvSK_ ; -- Begin function _ZN7rocprim17ROCPRIM_400000_NS6detail17trampoline_kernelINS0_14default_configENS1_35radix_sort_onesweep_config_selectorIjNS0_10empty_typeEEEZZNS1_29radix_sort_onesweep_iterationIS3_Lb0EN6thrust23THRUST_200600_302600_NS6detail15normal_iteratorINS9_10device_ptrIjEEEESE_PS5_SF_jNS0_19identity_decomposerENS1_16block_id_wrapperIjLb1EEEEE10hipError_tT1_PNSt15iterator_traitsISK_E10value_typeET2_T3_PNSL_ISQ_E10value_typeET4_T5_PSV_SW_PNS1_23onesweep_lookback_stateEbbT6_jjT7_P12ihipStream_tbENKUlT_T0_SK_SP_E_clIPjSE_SF_SF_EEDaS13_S14_SK_SP_EUlS13_E_NS1_11comp_targetILNS1_3genE4ELNS1_11target_archE910ELNS1_3gpuE8ELNS1_3repE0EEENS1_47radix_sort_onesweep_sort_config_static_selectorELNS0_4arch9wavefront6targetE1EEEvSK_
	.globl	_ZN7rocprim17ROCPRIM_400000_NS6detail17trampoline_kernelINS0_14default_configENS1_35radix_sort_onesweep_config_selectorIjNS0_10empty_typeEEEZZNS1_29radix_sort_onesweep_iterationIS3_Lb0EN6thrust23THRUST_200600_302600_NS6detail15normal_iteratorINS9_10device_ptrIjEEEESE_PS5_SF_jNS0_19identity_decomposerENS1_16block_id_wrapperIjLb1EEEEE10hipError_tT1_PNSt15iterator_traitsISK_E10value_typeET2_T3_PNSL_ISQ_E10value_typeET4_T5_PSV_SW_PNS1_23onesweep_lookback_stateEbbT6_jjT7_P12ihipStream_tbENKUlT_T0_SK_SP_E_clIPjSE_SF_SF_EEDaS13_S14_SK_SP_EUlS13_E_NS1_11comp_targetILNS1_3genE4ELNS1_11target_archE910ELNS1_3gpuE8ELNS1_3repE0EEENS1_47radix_sort_onesweep_sort_config_static_selectorELNS0_4arch9wavefront6targetE1EEEvSK_
	.p2align	8
	.type	_ZN7rocprim17ROCPRIM_400000_NS6detail17trampoline_kernelINS0_14default_configENS1_35radix_sort_onesweep_config_selectorIjNS0_10empty_typeEEEZZNS1_29radix_sort_onesweep_iterationIS3_Lb0EN6thrust23THRUST_200600_302600_NS6detail15normal_iteratorINS9_10device_ptrIjEEEESE_PS5_SF_jNS0_19identity_decomposerENS1_16block_id_wrapperIjLb1EEEEE10hipError_tT1_PNSt15iterator_traitsISK_E10value_typeET2_T3_PNSL_ISQ_E10value_typeET4_T5_PSV_SW_PNS1_23onesweep_lookback_stateEbbT6_jjT7_P12ihipStream_tbENKUlT_T0_SK_SP_E_clIPjSE_SF_SF_EEDaS13_S14_SK_SP_EUlS13_E_NS1_11comp_targetILNS1_3genE4ELNS1_11target_archE910ELNS1_3gpuE8ELNS1_3repE0EEENS1_47radix_sort_onesweep_sort_config_static_selectorELNS0_4arch9wavefront6targetE1EEEvSK_,@function
_ZN7rocprim17ROCPRIM_400000_NS6detail17trampoline_kernelINS0_14default_configENS1_35radix_sort_onesweep_config_selectorIjNS0_10empty_typeEEEZZNS1_29radix_sort_onesweep_iterationIS3_Lb0EN6thrust23THRUST_200600_302600_NS6detail15normal_iteratorINS9_10device_ptrIjEEEESE_PS5_SF_jNS0_19identity_decomposerENS1_16block_id_wrapperIjLb1EEEEE10hipError_tT1_PNSt15iterator_traitsISK_E10value_typeET2_T3_PNSL_ISQ_E10value_typeET4_T5_PSV_SW_PNS1_23onesweep_lookback_stateEbbT6_jjT7_P12ihipStream_tbENKUlT_T0_SK_SP_E_clIPjSE_SF_SF_EEDaS13_S14_SK_SP_EUlS13_E_NS1_11comp_targetILNS1_3genE4ELNS1_11target_archE910ELNS1_3gpuE8ELNS1_3repE0EEENS1_47radix_sort_onesweep_sort_config_static_selectorELNS0_4arch9wavefront6targetE1EEEvSK_: ; @_ZN7rocprim17ROCPRIM_400000_NS6detail17trampoline_kernelINS0_14default_configENS1_35radix_sort_onesweep_config_selectorIjNS0_10empty_typeEEEZZNS1_29radix_sort_onesweep_iterationIS3_Lb0EN6thrust23THRUST_200600_302600_NS6detail15normal_iteratorINS9_10device_ptrIjEEEESE_PS5_SF_jNS0_19identity_decomposerENS1_16block_id_wrapperIjLb1EEEEE10hipError_tT1_PNSt15iterator_traitsISK_E10value_typeET2_T3_PNSL_ISQ_E10value_typeET4_T5_PSV_SW_PNS1_23onesweep_lookback_stateEbbT6_jjT7_P12ihipStream_tbENKUlT_T0_SK_SP_E_clIPjSE_SF_SF_EEDaS13_S14_SK_SP_EUlS13_E_NS1_11comp_targetILNS1_3genE4ELNS1_11target_archE910ELNS1_3gpuE8ELNS1_3repE0EEENS1_47radix_sort_onesweep_sort_config_static_selectorELNS0_4arch9wavefront6targetE1EEEvSK_
; %bb.0:
	s_load_dwordx4 s[16:19], s[4:5], 0x28
	s_load_dwordx2 s[14:15], s[4:5], 0x38
	s_load_dwordx4 s[20:23], s[4:5], 0x44
	v_and_b32_e32 v2, 0x3ff, v0
	v_cmp_eq_u32_e64 s[0:1], 0, v2
	s_and_saveexec_b64 s[2:3], s[0:1]
	s_cbranch_execz .LBB1123_4
; %bb.1:
	s_mov_b64 s[10:11], exec
	v_mbcnt_lo_u32_b32 v1, s10, 0
	v_mbcnt_hi_u32_b32 v1, s11, v1
	v_cmp_eq_u32_e32 vcc, 0, v1
                                        ; implicit-def: $vgpr3
	s_and_saveexec_b64 s[8:9], vcc
	s_cbranch_execz .LBB1123_3
; %bb.2:
	s_load_dwordx2 s[12:13], s[4:5], 0x50
	s_bcnt1_i32_b64 s7, s[10:11]
	v_mov_b32_e32 v3, 0
	v_mov_b32_e32 v4, s7
	s_waitcnt lgkmcnt(0)
	global_atomic_add v3, v3, v4, s[12:13] glc
.LBB1123_3:
	s_or_b64 exec, exec, s[8:9]
	s_waitcnt vmcnt(0)
	v_readfirstlane_b32 s7, v3
	v_add_u32_e32 v1, s7, v1
	v_mov_b32_e32 v3, 0
	ds_write_b32 v3, v1 offset:20544
.LBB1123_4:
	s_or_b64 exec, exec, s[2:3]
	v_mov_b32_e32 v1, 0
	s_load_dwordx4 s[24:27], s[4:5], 0x0
	s_load_dword s2, s[4:5], 0x20
	s_waitcnt lgkmcnt(0)
	s_barrier
	ds_read_b32 v1, v1 offset:20544
	s_waitcnt lgkmcnt(0)
	s_barrier
	v_readfirstlane_b32 s30, v1
	v_cmp_le_u32_e32 vcc, s22, v1
	s_mul_i32 s28, s30, 0x3000
	v_mbcnt_lo_u32_b32 v1, -1, 0
	s_cbranch_vccz .LBB1123_83
; %bb.5:
	s_mul_i32 s7, s22, 0xffffd000
	s_mov_b32 s29, 0
	s_add_i32 s7, s7, s2
	s_lshl_b64 s[2:3], s[28:29], 2
	v_mbcnt_hi_u32_b32 v8, -1, v1
	s_add_u32 s2, s24, s2
	v_and_b32_e32 v3, 63, v8
	v_and_b32_e32 v4, 0x3c0, v2
	s_addc_u32 s3, s25, s3
	v_mul_u32_u24_e32 v6, 12, v4
	v_lshlrev_b32_e32 v4, 2, v3
	v_mov_b32_e32 v5, s3
	v_add_co_u32_e32 v4, vcc, s2, v4
	v_addc_co_u32_e32 v5, vcc, 0, v5, vcc
	v_lshlrev_b32_e32 v7, 2, v6
	v_add_co_u32_e32 v4, vcc, v4, v7
	v_addc_co_u32_e32 v5, vcc, 0, v5, vcc
	v_or_b32_e32 v6, v3, v6
	v_cmp_gt_u32_e32 vcc, s7, v6
	v_mov_b32_e32 v3, -1
	v_mov_b32_e32 v10, -1
	s_and_saveexec_b64 s[2:3], vcc
	s_cbranch_execz .LBB1123_7
; %bb.6:
	global_load_dword v10, v[4:5], off
.LBB1123_7:
	s_or_b64 exec, exec, s[2:3]
	v_or_b32_e32 v7, 64, v6
	v_cmp_gt_u32_e32 vcc, s7, v7
	v_mov_b32_e32 v11, -1
	s_and_saveexec_b64 s[2:3], vcc
	s_cbranch_execz .LBB1123_9
; %bb.8:
	global_load_dword v11, v[4:5], off offset:256
.LBB1123_9:
	s_or_b64 exec, exec, s[2:3]
	v_or_b32_e32 v7, 0x80, v6
	v_cmp_gt_u32_e32 vcc, s7, v7
	s_and_saveexec_b64 s[2:3], vcc
	s_cbranch_execz .LBB1123_11
; %bb.10:
	global_load_dword v3, v[4:5], off offset:512
.LBB1123_11:
	s_or_b64 exec, exec, s[2:3]
	v_or_b32_e32 v7, 0xc0, v6
	v_cmp_gt_u32_e32 vcc, s7, v7
	v_mov_b32_e32 v12, -1
	v_mov_b32_e32 v13, -1
	s_and_saveexec_b64 s[2:3], vcc
	s_cbranch_execz .LBB1123_13
; %bb.12:
	global_load_dword v13, v[4:5], off offset:768
.LBB1123_13:
	s_or_b64 exec, exec, s[2:3]
	v_add_u32_e32 v7, 0x100, v6
	v_cmp_gt_u32_e32 vcc, s7, v7
	s_and_saveexec_b64 s[2:3], vcc
	s_cbranch_execz .LBB1123_15
; %bb.14:
	global_load_dword v12, v[4:5], off offset:1024
.LBB1123_15:
	s_or_b64 exec, exec, s[2:3]
	v_add_u32_e32 v7, 0x140, v6
	v_cmp_gt_u32_e32 vcc, s7, v7
	v_mov_b32_e32 v14, -1
	v_mov_b32_e32 v15, -1
	s_and_saveexec_b64 s[2:3], vcc
	s_cbranch_execz .LBB1123_17
; %bb.16:
	global_load_dword v15, v[4:5], off offset:1280
.LBB1123_17:
	s_or_b64 exec, exec, s[2:3]
	v_add_u32_e32 v7, 0x180, v6
	v_cmp_gt_u32_e32 vcc, s7, v7
	s_and_saveexec_b64 s[2:3], vcc
	s_cbranch_execz .LBB1123_19
; %bb.18:
	global_load_dword v14, v[4:5], off offset:1536
.LBB1123_19:
	s_or_b64 exec, exec, s[2:3]
	v_add_u32_e32 v7, 0x1c0, v6
	;; [unrolled: 18-line block ×4, first 2 shown]
	v_cmp_gt_u32_e32 vcc, s7, v6
	v_mov_b32_e32 v20, -1
	s_and_saveexec_b64 s[2:3], vcc
	s_cbranch_execz .LBB1123_29
; %bb.28:
	global_load_dword v20, v[4:5], off offset:2816
.LBB1123_29:
	s_or_b64 exec, exec, s[2:3]
	s_load_dword s2, s[4:5], 0x64
	s_load_dword s29, s[4:5], 0x58
	s_add_u32 s3, s4, 0x58
	s_addc_u32 s8, s5, 0
	v_mov_b32_e32 v4, 0
	s_waitcnt lgkmcnt(0)
	s_lshr_b32 s9, s2, 16
	s_cmp_lt_u32 s6, s29
	s_cselect_b32 s2, 12, 18
	s_add_u32 s2, s3, s2
	s_addc_u32 s3, s8, 0
	global_load_ushort v6, v4, s[2:3]
	s_lshl_b32 s2, -1, s21
	s_waitcnt vmcnt(1)
	v_lshrrev_b32_e32 v21, s20, v10
	s_not_b32 s31, s2
	v_and_b32_e32 v21, s31, v21
	v_and_b32_e32 v23, 1, v21
	v_bfe_u32 v5, v0, 10, 10
	v_bfe_u32 v7, v0, 20, 10
	v_add_co_u32_e32 v24, vcc, -1, v23
	v_mad_u32_u24 v7, v7, s9, v5
	v_lshlrev_b32_e32 v5, 30, v21
	v_addc_co_u32_e64 v25, s[2:3], 0, -1, vcc
	v_cmp_ne_u32_e32 vcc, 0, v23
	v_cmp_gt_i64_e64 s[2:3], 0, v[4:5]
	v_not_b32_e32 v23, v5
	v_lshlrev_b32_e32 v5, 29, v21
	v_xor_b32_e32 v25, vcc_hi, v25
	v_xor_b32_e32 v24, vcc_lo, v24
	v_ashrrev_i32_e32 v23, 31, v23
	v_cmp_gt_i64_e32 vcc, 0, v[4:5]
	v_not_b32_e32 v26, v5
	v_lshlrev_b32_e32 v5, 28, v21
	v_and_b32_e32 v25, exec_hi, v25
	v_and_b32_e32 v24, exec_lo, v24
	v_xor_b32_e32 v27, s3, v23
	v_xor_b32_e32 v23, s2, v23
	v_ashrrev_i32_e32 v26, 31, v26
	v_cmp_gt_i64_e64 s[2:3], 0, v[4:5]
	v_not_b32_e32 v28, v5
	v_lshlrev_b32_e32 v5, 27, v21
	v_and_b32_e32 v25, v25, v27
	v_and_b32_e32 v23, v24, v23
	v_xor_b32_e32 v24, vcc_hi, v26
	v_xor_b32_e32 v26, vcc_lo, v26
	v_ashrrev_i32_e32 v27, 31, v28
	v_cmp_gt_i64_e32 vcc, 0, v[4:5]
	v_not_b32_e32 v28, v5
	v_lshlrev_b32_e32 v5, 26, v21
	v_and_b32_e32 v24, v25, v24
	v_and_b32_e32 v23, v23, v26
	v_xor_b32_e32 v25, s3, v27
	v_xor_b32_e32 v26, s2, v27
	v_ashrrev_i32_e32 v27, 31, v28
	v_cmp_gt_i64_e64 s[2:3], 0, v[4:5]
	v_not_b32_e32 v28, v5
	v_lshlrev_b32_e32 v5, 25, v21
	v_and_b32_e32 v24, v24, v25
	v_and_b32_e32 v23, v23, v26
	v_xor_b32_e32 v25, vcc_hi, v27
	v_xor_b32_e32 v26, vcc_lo, v27
	v_ashrrev_i32_e32 v27, 31, v28
	v_cmp_gt_i64_e32 vcc, 0, v[4:5]
	v_not_b32_e32 v28, v5
	v_lshlrev_b32_e32 v5, 24, v21
	v_lshl_add_u32 v22, v21, 4, v21
	v_and_b32_e32 v21, v24, v25
	v_and_b32_e32 v23, v23, v26
	v_xor_b32_e32 v24, s3, v27
	v_xor_b32_e32 v25, s2, v27
	v_ashrrev_i32_e32 v26, 31, v28
	v_cmp_gt_i64_e64 s[2:3], 0, v[4:5]
	v_not_b32_e32 v5, v5
	v_and_b32_e32 v21, v21, v24
	v_and_b32_e32 v23, v23, v25
	v_xor_b32_e32 v24, vcc_hi, v26
	v_xor_b32_e32 v25, vcc_lo, v26
	v_ashrrev_i32_e32 v5, 31, v5
	v_and_b32_e32 v21, v21, v24
	v_and_b32_e32 v23, v23, v25
	v_mul_u32_u24_e32 v9, 5, v2
	v_lshlrev_b32_e32 v9, 2, v9
	ds_write2_b32 v9, v4, v4 offset0:16 offset1:17
	ds_write2_b32 v9, v4, v4 offset0:18 offset1:19
	ds_write_b32 v9, v4 offset:80
	s_waitcnt lgkmcnt(0)
	s_barrier
	s_waitcnt lgkmcnt(0)
	; wave barrier
	s_waitcnt vmcnt(0)
	v_mad_u64_u32 v[6:7], s[8:9], v7, v6, v[2:3]
	v_lshrrev_b32_e32 v32, 6, v6
	v_xor_b32_e32 v6, s3, v5
	v_xor_b32_e32 v5, s2, v5
	v_and_b32_e32 v7, v21, v6
	v_and_b32_e32 v6, v23, v5
	v_mbcnt_lo_u32_b32 v5, v6, 0
	v_mbcnt_hi_u32_b32 v21, v7, v5
	v_cmp_eq_u32_e32 vcc, 0, v21
	v_cmp_ne_u64_e64 s[2:3], 0, v[6:7]
	v_add_lshl_u32 v25, v32, v22, 2
	s_and_b64 s[8:9], s[2:3], vcc
	s_and_saveexec_b64 s[2:3], s[8:9]
	s_cbranch_execz .LBB1123_31
; %bb.30:
	v_bcnt_u32_b32 v5, v6, 0
	v_bcnt_u32_b32 v5, v7, v5
	ds_write_b32 v25, v5 offset:64
.LBB1123_31:
	s_or_b64 exec, exec, s[2:3]
	v_lshrrev_b32_e32 v5, s20, v11
	v_and_b32_e32 v6, s31, v5
	v_lshl_add_u32 v5, v6, 4, v6
	v_add_lshl_u32 v26, v32, v5, 2
	v_and_b32_e32 v5, 1, v6
	v_add_co_u32_e32 v7, vcc, -1, v5
	v_addc_co_u32_e64 v23, s[2:3], 0, -1, vcc
	v_cmp_ne_u32_e32 vcc, 0, v5
	v_xor_b32_e32 v5, vcc_hi, v23
	v_and_b32_e32 v23, exec_hi, v5
	v_lshlrev_b32_e32 v5, 30, v6
	v_xor_b32_e32 v7, vcc_lo, v7
	v_cmp_gt_i64_e32 vcc, 0, v[4:5]
	v_not_b32_e32 v5, v5
	v_ashrrev_i32_e32 v5, 31, v5
	v_and_b32_e32 v7, exec_lo, v7
	v_xor_b32_e32 v24, vcc_hi, v5
	v_xor_b32_e32 v5, vcc_lo, v5
	v_and_b32_e32 v7, v7, v5
	v_lshlrev_b32_e32 v5, 29, v6
	v_cmp_gt_i64_e32 vcc, 0, v[4:5]
	v_not_b32_e32 v5, v5
	v_ashrrev_i32_e32 v5, 31, v5
	v_and_b32_e32 v23, v23, v24
	v_xor_b32_e32 v24, vcc_hi, v5
	v_xor_b32_e32 v5, vcc_lo, v5
	v_and_b32_e32 v7, v7, v5
	v_lshlrev_b32_e32 v5, 28, v6
	v_cmp_gt_i64_e32 vcc, 0, v[4:5]
	v_not_b32_e32 v5, v5
	v_ashrrev_i32_e32 v5, 31, v5
	v_and_b32_e32 v23, v23, v24
	v_xor_b32_e32 v24, vcc_hi, v5
	v_xor_b32_e32 v5, vcc_lo, v5
	v_and_b32_e32 v7, v7, v5
	v_lshlrev_b32_e32 v5, 27, v6
	v_cmp_gt_i64_e32 vcc, 0, v[4:5]
	v_not_b32_e32 v5, v5
	v_ashrrev_i32_e32 v5, 31, v5
	v_and_b32_e32 v23, v23, v24
	v_xor_b32_e32 v24, vcc_hi, v5
	v_xor_b32_e32 v5, vcc_lo, v5
	v_and_b32_e32 v7, v7, v5
	v_lshlrev_b32_e32 v5, 26, v6
	v_cmp_gt_i64_e32 vcc, 0, v[4:5]
	v_not_b32_e32 v5, v5
	v_ashrrev_i32_e32 v5, 31, v5
	v_and_b32_e32 v23, v23, v24
	v_xor_b32_e32 v24, vcc_hi, v5
	v_xor_b32_e32 v5, vcc_lo, v5
	v_and_b32_e32 v7, v7, v5
	v_lshlrev_b32_e32 v5, 25, v6
	v_cmp_gt_i64_e32 vcc, 0, v[4:5]
	v_not_b32_e32 v5, v5
	v_ashrrev_i32_e32 v5, 31, v5
	v_and_b32_e32 v23, v23, v24
	v_xor_b32_e32 v24, vcc_hi, v5
	v_xor_b32_e32 v5, vcc_lo, v5
	v_and_b32_e32 v7, v7, v5
	v_lshlrev_b32_e32 v5, 24, v6
	v_cmp_gt_i64_e32 vcc, 0, v[4:5]
	v_not_b32_e32 v4, v5
	v_ashrrev_i32_e32 v4, 31, v4
	v_xor_b32_e32 v5, vcc_hi, v4
	v_xor_b32_e32 v4, vcc_lo, v4
	; wave barrier
	ds_read_b32 v22, v26 offset:64
	v_and_b32_e32 v23, v23, v24
	v_and_b32_e32 v4, v7, v4
	;; [unrolled: 1-line block ×3, first 2 shown]
	v_mbcnt_lo_u32_b32 v6, v4, 0
	v_mbcnt_hi_u32_b32 v23, v5, v6
	v_cmp_eq_u32_e32 vcc, 0, v23
	v_cmp_ne_u64_e64 s[2:3], 0, v[4:5]
	s_and_b64 s[8:9], s[2:3], vcc
	; wave barrier
	s_and_saveexec_b64 s[2:3], s[8:9]
	s_cbranch_execz .LBB1123_33
; %bb.32:
	v_bcnt_u32_b32 v4, v4, 0
	v_bcnt_u32_b32 v4, v5, v4
	s_waitcnt lgkmcnt(0)
	v_add_u32_e32 v4, v22, v4
	ds_write_b32 v26, v4 offset:64
.LBB1123_33:
	s_or_b64 exec, exec, s[2:3]
	v_lshrrev_b32_e32 v4, s20, v3
	v_and_b32_e32 v6, s31, v4
	v_and_b32_e32 v5, 1, v6
	v_add_co_u32_e32 v7, vcc, -1, v5
	v_addc_co_u32_e64 v27, s[2:3], 0, -1, vcc
	v_cmp_ne_u32_e32 vcc, 0, v5
	v_lshl_add_u32 v4, v6, 4, v6
	v_xor_b32_e32 v5, vcc_hi, v27
	v_add_lshl_u32 v29, v32, v4, 2
	v_mov_b32_e32 v4, 0
	v_and_b32_e32 v27, exec_hi, v5
	v_lshlrev_b32_e32 v5, 30, v6
	v_xor_b32_e32 v7, vcc_lo, v7
	v_cmp_gt_i64_e32 vcc, 0, v[4:5]
	v_not_b32_e32 v5, v5
	v_ashrrev_i32_e32 v5, 31, v5
	v_and_b32_e32 v7, exec_lo, v7
	v_xor_b32_e32 v28, vcc_hi, v5
	v_xor_b32_e32 v5, vcc_lo, v5
	v_and_b32_e32 v7, v7, v5
	v_lshlrev_b32_e32 v5, 29, v6
	v_cmp_gt_i64_e32 vcc, 0, v[4:5]
	v_not_b32_e32 v5, v5
	v_ashrrev_i32_e32 v5, 31, v5
	v_and_b32_e32 v27, v27, v28
	v_xor_b32_e32 v28, vcc_hi, v5
	v_xor_b32_e32 v5, vcc_lo, v5
	v_and_b32_e32 v7, v7, v5
	v_lshlrev_b32_e32 v5, 28, v6
	v_cmp_gt_i64_e32 vcc, 0, v[4:5]
	v_not_b32_e32 v5, v5
	v_ashrrev_i32_e32 v5, 31, v5
	v_and_b32_e32 v27, v27, v28
	;; [unrolled: 8-line block ×5, first 2 shown]
	v_xor_b32_e32 v28, vcc_hi, v5
	v_xor_b32_e32 v5, vcc_lo, v5
	v_and_b32_e32 v27, v27, v28
	v_and_b32_e32 v28, v7, v5
	v_lshlrev_b32_e32 v5, 24, v6
	v_cmp_gt_i64_e32 vcc, 0, v[4:5]
	v_not_b32_e32 v5, v5
	v_ashrrev_i32_e32 v5, 31, v5
	v_xor_b32_e32 v6, vcc_hi, v5
	v_xor_b32_e32 v5, vcc_lo, v5
	; wave barrier
	ds_read_b32 v24, v29 offset:64
	v_and_b32_e32 v7, v27, v6
	v_and_b32_e32 v6, v28, v5
	v_mbcnt_lo_u32_b32 v5, v6, 0
	v_mbcnt_hi_u32_b32 v27, v7, v5
	v_cmp_eq_u32_e32 vcc, 0, v27
	v_cmp_ne_u64_e64 s[2:3], 0, v[6:7]
	s_and_b64 s[8:9], s[2:3], vcc
	; wave barrier
	s_and_saveexec_b64 s[2:3], s[8:9]
	s_cbranch_execz .LBB1123_35
; %bb.34:
	v_bcnt_u32_b32 v5, v6, 0
	v_bcnt_u32_b32 v5, v7, v5
	s_waitcnt lgkmcnt(0)
	v_add_u32_e32 v5, v24, v5
	ds_write_b32 v29, v5 offset:64
.LBB1123_35:
	s_or_b64 exec, exec, s[2:3]
	v_lshrrev_b32_e32 v5, s20, v13
	v_and_b32_e32 v6, s31, v5
	v_lshl_add_u32 v5, v6, 4, v6
	v_add_lshl_u32 v33, v32, v5, 2
	v_and_b32_e32 v5, 1, v6
	v_add_co_u32_e32 v7, vcc, -1, v5
	v_addc_co_u32_e64 v30, s[2:3], 0, -1, vcc
	v_cmp_ne_u32_e32 vcc, 0, v5
	v_xor_b32_e32 v5, vcc_hi, v30
	v_and_b32_e32 v30, exec_hi, v5
	v_lshlrev_b32_e32 v5, 30, v6
	v_xor_b32_e32 v7, vcc_lo, v7
	v_cmp_gt_i64_e32 vcc, 0, v[4:5]
	v_not_b32_e32 v5, v5
	v_ashrrev_i32_e32 v5, 31, v5
	v_and_b32_e32 v7, exec_lo, v7
	v_xor_b32_e32 v31, vcc_hi, v5
	v_xor_b32_e32 v5, vcc_lo, v5
	v_and_b32_e32 v7, v7, v5
	v_lshlrev_b32_e32 v5, 29, v6
	v_cmp_gt_i64_e32 vcc, 0, v[4:5]
	v_not_b32_e32 v5, v5
	v_ashrrev_i32_e32 v5, 31, v5
	v_and_b32_e32 v30, v30, v31
	v_xor_b32_e32 v31, vcc_hi, v5
	v_xor_b32_e32 v5, vcc_lo, v5
	v_and_b32_e32 v7, v7, v5
	v_lshlrev_b32_e32 v5, 28, v6
	v_cmp_gt_i64_e32 vcc, 0, v[4:5]
	v_not_b32_e32 v5, v5
	v_ashrrev_i32_e32 v5, 31, v5
	v_and_b32_e32 v30, v30, v31
	;; [unrolled: 8-line block ×5, first 2 shown]
	v_xor_b32_e32 v31, vcc_hi, v5
	v_xor_b32_e32 v5, vcc_lo, v5
	v_and_b32_e32 v7, v7, v5
	v_lshlrev_b32_e32 v5, 24, v6
	v_cmp_gt_i64_e32 vcc, 0, v[4:5]
	v_not_b32_e32 v4, v5
	v_ashrrev_i32_e32 v4, 31, v4
	v_xor_b32_e32 v5, vcc_hi, v4
	v_xor_b32_e32 v4, vcc_lo, v4
	; wave barrier
	ds_read_b32 v28, v33 offset:64
	v_and_b32_e32 v30, v30, v31
	v_and_b32_e32 v4, v7, v4
	;; [unrolled: 1-line block ×3, first 2 shown]
	v_mbcnt_lo_u32_b32 v6, v4, 0
	v_mbcnt_hi_u32_b32 v30, v5, v6
	v_cmp_eq_u32_e32 vcc, 0, v30
	v_cmp_ne_u64_e64 s[2:3], 0, v[4:5]
	s_and_b64 s[8:9], s[2:3], vcc
	; wave barrier
	s_and_saveexec_b64 s[2:3], s[8:9]
	s_cbranch_execz .LBB1123_37
; %bb.36:
	v_bcnt_u32_b32 v4, v4, 0
	v_bcnt_u32_b32 v4, v5, v4
	s_waitcnt lgkmcnt(0)
	v_add_u32_e32 v4, v28, v4
	ds_write_b32 v33, v4 offset:64
.LBB1123_37:
	s_or_b64 exec, exec, s[2:3]
	v_lshrrev_b32_e32 v4, s20, v12
	v_and_b32_e32 v6, s31, v4
	v_and_b32_e32 v5, 1, v6
	v_add_co_u32_e32 v7, vcc, -1, v5
	v_addc_co_u32_e64 v34, s[2:3], 0, -1, vcc
	v_cmp_ne_u32_e32 vcc, 0, v5
	v_lshl_add_u32 v4, v6, 4, v6
	v_xor_b32_e32 v5, vcc_hi, v34
	v_add_lshl_u32 v36, v32, v4, 2
	v_mov_b32_e32 v4, 0
	v_and_b32_e32 v34, exec_hi, v5
	v_lshlrev_b32_e32 v5, 30, v6
	v_xor_b32_e32 v7, vcc_lo, v7
	v_cmp_gt_i64_e32 vcc, 0, v[4:5]
	v_not_b32_e32 v5, v5
	v_ashrrev_i32_e32 v5, 31, v5
	v_and_b32_e32 v7, exec_lo, v7
	v_xor_b32_e32 v35, vcc_hi, v5
	v_xor_b32_e32 v5, vcc_lo, v5
	v_and_b32_e32 v7, v7, v5
	v_lshlrev_b32_e32 v5, 29, v6
	v_cmp_gt_i64_e32 vcc, 0, v[4:5]
	v_not_b32_e32 v5, v5
	v_ashrrev_i32_e32 v5, 31, v5
	v_and_b32_e32 v34, v34, v35
	v_xor_b32_e32 v35, vcc_hi, v5
	v_xor_b32_e32 v5, vcc_lo, v5
	v_and_b32_e32 v7, v7, v5
	v_lshlrev_b32_e32 v5, 28, v6
	v_cmp_gt_i64_e32 vcc, 0, v[4:5]
	v_not_b32_e32 v5, v5
	v_ashrrev_i32_e32 v5, 31, v5
	v_and_b32_e32 v34, v34, v35
	;; [unrolled: 8-line block ×5, first 2 shown]
	v_xor_b32_e32 v35, vcc_hi, v5
	v_xor_b32_e32 v5, vcc_lo, v5
	v_and_b32_e32 v34, v34, v35
	v_and_b32_e32 v35, v7, v5
	v_lshlrev_b32_e32 v5, 24, v6
	v_cmp_gt_i64_e32 vcc, 0, v[4:5]
	v_not_b32_e32 v5, v5
	v_ashrrev_i32_e32 v5, 31, v5
	v_xor_b32_e32 v6, vcc_hi, v5
	v_xor_b32_e32 v5, vcc_lo, v5
	; wave barrier
	ds_read_b32 v31, v36 offset:64
	v_and_b32_e32 v7, v34, v6
	v_and_b32_e32 v6, v35, v5
	v_mbcnt_lo_u32_b32 v5, v6, 0
	v_mbcnt_hi_u32_b32 v34, v7, v5
	v_cmp_eq_u32_e32 vcc, 0, v34
	v_cmp_ne_u64_e64 s[2:3], 0, v[6:7]
	s_and_b64 s[8:9], s[2:3], vcc
	; wave barrier
	s_and_saveexec_b64 s[2:3], s[8:9]
	s_cbranch_execz .LBB1123_39
; %bb.38:
	v_bcnt_u32_b32 v5, v6, 0
	v_bcnt_u32_b32 v5, v7, v5
	s_waitcnt lgkmcnt(0)
	v_add_u32_e32 v5, v31, v5
	ds_write_b32 v36, v5 offset:64
.LBB1123_39:
	s_or_b64 exec, exec, s[2:3]
	v_lshrrev_b32_e32 v5, s20, v15
	v_and_b32_e32 v6, s31, v5
	v_lshl_add_u32 v5, v6, 4, v6
	v_add_lshl_u32 v39, v32, v5, 2
	v_and_b32_e32 v5, 1, v6
	v_add_co_u32_e32 v7, vcc, -1, v5
	v_addc_co_u32_e64 v37, s[2:3], 0, -1, vcc
	v_cmp_ne_u32_e32 vcc, 0, v5
	v_xor_b32_e32 v5, vcc_hi, v37
	v_and_b32_e32 v37, exec_hi, v5
	v_lshlrev_b32_e32 v5, 30, v6
	v_xor_b32_e32 v7, vcc_lo, v7
	v_cmp_gt_i64_e32 vcc, 0, v[4:5]
	v_not_b32_e32 v5, v5
	v_ashrrev_i32_e32 v5, 31, v5
	v_and_b32_e32 v7, exec_lo, v7
	v_xor_b32_e32 v38, vcc_hi, v5
	v_xor_b32_e32 v5, vcc_lo, v5
	v_and_b32_e32 v7, v7, v5
	v_lshlrev_b32_e32 v5, 29, v6
	v_cmp_gt_i64_e32 vcc, 0, v[4:5]
	v_not_b32_e32 v5, v5
	v_ashrrev_i32_e32 v5, 31, v5
	v_and_b32_e32 v37, v37, v38
	v_xor_b32_e32 v38, vcc_hi, v5
	v_xor_b32_e32 v5, vcc_lo, v5
	v_and_b32_e32 v7, v7, v5
	v_lshlrev_b32_e32 v5, 28, v6
	v_cmp_gt_i64_e32 vcc, 0, v[4:5]
	v_not_b32_e32 v5, v5
	v_ashrrev_i32_e32 v5, 31, v5
	v_and_b32_e32 v37, v37, v38
	;; [unrolled: 8-line block ×5, first 2 shown]
	v_xor_b32_e32 v38, vcc_hi, v5
	v_xor_b32_e32 v5, vcc_lo, v5
	v_and_b32_e32 v7, v7, v5
	v_lshlrev_b32_e32 v5, 24, v6
	v_cmp_gt_i64_e32 vcc, 0, v[4:5]
	v_not_b32_e32 v4, v5
	v_ashrrev_i32_e32 v4, 31, v4
	v_xor_b32_e32 v5, vcc_hi, v4
	v_xor_b32_e32 v4, vcc_lo, v4
	; wave barrier
	ds_read_b32 v35, v39 offset:64
	v_and_b32_e32 v37, v37, v38
	v_and_b32_e32 v4, v7, v4
	;; [unrolled: 1-line block ×3, first 2 shown]
	v_mbcnt_lo_u32_b32 v6, v4, 0
	v_mbcnt_hi_u32_b32 v37, v5, v6
	v_cmp_eq_u32_e32 vcc, 0, v37
	v_cmp_ne_u64_e64 s[2:3], 0, v[4:5]
	s_and_b64 s[8:9], s[2:3], vcc
	; wave barrier
	s_and_saveexec_b64 s[2:3], s[8:9]
	s_cbranch_execz .LBB1123_41
; %bb.40:
	v_bcnt_u32_b32 v4, v4, 0
	v_bcnt_u32_b32 v4, v5, v4
	s_waitcnt lgkmcnt(0)
	v_add_u32_e32 v4, v35, v4
	ds_write_b32 v39, v4 offset:64
.LBB1123_41:
	s_or_b64 exec, exec, s[2:3]
	v_lshrrev_b32_e32 v4, s20, v14
	v_and_b32_e32 v6, s31, v4
	v_and_b32_e32 v5, 1, v6
	v_add_co_u32_e32 v7, vcc, -1, v5
	v_addc_co_u32_e64 v40, s[2:3], 0, -1, vcc
	v_cmp_ne_u32_e32 vcc, 0, v5
	v_lshl_add_u32 v4, v6, 4, v6
	v_xor_b32_e32 v5, vcc_hi, v40
	v_add_lshl_u32 v42, v32, v4, 2
	v_mov_b32_e32 v4, 0
	v_and_b32_e32 v40, exec_hi, v5
	v_lshlrev_b32_e32 v5, 30, v6
	v_xor_b32_e32 v7, vcc_lo, v7
	v_cmp_gt_i64_e32 vcc, 0, v[4:5]
	v_not_b32_e32 v5, v5
	v_ashrrev_i32_e32 v5, 31, v5
	v_and_b32_e32 v7, exec_lo, v7
	v_xor_b32_e32 v41, vcc_hi, v5
	v_xor_b32_e32 v5, vcc_lo, v5
	v_and_b32_e32 v7, v7, v5
	v_lshlrev_b32_e32 v5, 29, v6
	v_cmp_gt_i64_e32 vcc, 0, v[4:5]
	v_not_b32_e32 v5, v5
	v_ashrrev_i32_e32 v5, 31, v5
	v_and_b32_e32 v40, v40, v41
	v_xor_b32_e32 v41, vcc_hi, v5
	v_xor_b32_e32 v5, vcc_lo, v5
	v_and_b32_e32 v7, v7, v5
	v_lshlrev_b32_e32 v5, 28, v6
	v_cmp_gt_i64_e32 vcc, 0, v[4:5]
	v_not_b32_e32 v5, v5
	v_ashrrev_i32_e32 v5, 31, v5
	v_and_b32_e32 v40, v40, v41
	;; [unrolled: 8-line block ×5, first 2 shown]
	v_xor_b32_e32 v41, vcc_hi, v5
	v_xor_b32_e32 v5, vcc_lo, v5
	v_and_b32_e32 v40, v40, v41
	v_and_b32_e32 v41, v7, v5
	v_lshlrev_b32_e32 v5, 24, v6
	v_cmp_gt_i64_e32 vcc, 0, v[4:5]
	v_not_b32_e32 v5, v5
	v_ashrrev_i32_e32 v5, 31, v5
	v_xor_b32_e32 v6, vcc_hi, v5
	v_xor_b32_e32 v5, vcc_lo, v5
	; wave barrier
	ds_read_b32 v38, v42 offset:64
	v_and_b32_e32 v7, v40, v6
	v_and_b32_e32 v6, v41, v5
	v_mbcnt_lo_u32_b32 v5, v6, 0
	v_mbcnt_hi_u32_b32 v40, v7, v5
	v_cmp_eq_u32_e32 vcc, 0, v40
	v_cmp_ne_u64_e64 s[2:3], 0, v[6:7]
	s_and_b64 s[8:9], s[2:3], vcc
	; wave barrier
	s_and_saveexec_b64 s[2:3], s[8:9]
	s_cbranch_execz .LBB1123_43
; %bb.42:
	v_bcnt_u32_b32 v5, v6, 0
	v_bcnt_u32_b32 v5, v7, v5
	s_waitcnt lgkmcnt(0)
	v_add_u32_e32 v5, v38, v5
	ds_write_b32 v42, v5 offset:64
.LBB1123_43:
	s_or_b64 exec, exec, s[2:3]
	v_lshrrev_b32_e32 v5, s20, v17
	v_and_b32_e32 v6, s31, v5
	v_lshl_add_u32 v5, v6, 4, v6
	v_add_lshl_u32 v45, v32, v5, 2
	v_and_b32_e32 v5, 1, v6
	v_add_co_u32_e32 v7, vcc, -1, v5
	v_addc_co_u32_e64 v43, s[2:3], 0, -1, vcc
	v_cmp_ne_u32_e32 vcc, 0, v5
	v_xor_b32_e32 v5, vcc_hi, v43
	v_and_b32_e32 v43, exec_hi, v5
	v_lshlrev_b32_e32 v5, 30, v6
	v_xor_b32_e32 v7, vcc_lo, v7
	v_cmp_gt_i64_e32 vcc, 0, v[4:5]
	v_not_b32_e32 v5, v5
	v_ashrrev_i32_e32 v5, 31, v5
	v_and_b32_e32 v7, exec_lo, v7
	v_xor_b32_e32 v44, vcc_hi, v5
	v_xor_b32_e32 v5, vcc_lo, v5
	v_and_b32_e32 v7, v7, v5
	v_lshlrev_b32_e32 v5, 29, v6
	v_cmp_gt_i64_e32 vcc, 0, v[4:5]
	v_not_b32_e32 v5, v5
	v_ashrrev_i32_e32 v5, 31, v5
	v_and_b32_e32 v43, v43, v44
	v_xor_b32_e32 v44, vcc_hi, v5
	v_xor_b32_e32 v5, vcc_lo, v5
	v_and_b32_e32 v7, v7, v5
	v_lshlrev_b32_e32 v5, 28, v6
	v_cmp_gt_i64_e32 vcc, 0, v[4:5]
	v_not_b32_e32 v5, v5
	v_ashrrev_i32_e32 v5, 31, v5
	v_and_b32_e32 v43, v43, v44
	;; [unrolled: 8-line block ×5, first 2 shown]
	v_xor_b32_e32 v44, vcc_hi, v5
	v_xor_b32_e32 v5, vcc_lo, v5
	v_and_b32_e32 v7, v7, v5
	v_lshlrev_b32_e32 v5, 24, v6
	v_cmp_gt_i64_e32 vcc, 0, v[4:5]
	v_not_b32_e32 v4, v5
	v_ashrrev_i32_e32 v4, 31, v4
	v_xor_b32_e32 v5, vcc_hi, v4
	v_xor_b32_e32 v4, vcc_lo, v4
	; wave barrier
	ds_read_b32 v41, v45 offset:64
	v_and_b32_e32 v43, v43, v44
	v_and_b32_e32 v4, v7, v4
	;; [unrolled: 1-line block ×3, first 2 shown]
	v_mbcnt_lo_u32_b32 v6, v4, 0
	v_mbcnt_hi_u32_b32 v43, v5, v6
	v_cmp_eq_u32_e32 vcc, 0, v43
	v_cmp_ne_u64_e64 s[2:3], 0, v[4:5]
	s_and_b64 s[8:9], s[2:3], vcc
	; wave barrier
	s_and_saveexec_b64 s[2:3], s[8:9]
	s_cbranch_execz .LBB1123_45
; %bb.44:
	v_bcnt_u32_b32 v4, v4, 0
	v_bcnt_u32_b32 v4, v5, v4
	s_waitcnt lgkmcnt(0)
	v_add_u32_e32 v4, v41, v4
	ds_write_b32 v45, v4 offset:64
.LBB1123_45:
	s_or_b64 exec, exec, s[2:3]
	v_lshrrev_b32_e32 v4, s20, v16
	v_and_b32_e32 v6, s31, v4
	v_and_b32_e32 v5, 1, v6
	v_add_co_u32_e32 v7, vcc, -1, v5
	v_addc_co_u32_e64 v46, s[2:3], 0, -1, vcc
	v_cmp_ne_u32_e32 vcc, 0, v5
	v_lshl_add_u32 v4, v6, 4, v6
	v_xor_b32_e32 v5, vcc_hi, v46
	v_add_lshl_u32 v48, v32, v4, 2
	v_mov_b32_e32 v4, 0
	v_and_b32_e32 v46, exec_hi, v5
	v_lshlrev_b32_e32 v5, 30, v6
	v_xor_b32_e32 v7, vcc_lo, v7
	v_cmp_gt_i64_e32 vcc, 0, v[4:5]
	v_not_b32_e32 v5, v5
	v_ashrrev_i32_e32 v5, 31, v5
	v_and_b32_e32 v7, exec_lo, v7
	v_xor_b32_e32 v47, vcc_hi, v5
	v_xor_b32_e32 v5, vcc_lo, v5
	v_and_b32_e32 v7, v7, v5
	v_lshlrev_b32_e32 v5, 29, v6
	v_cmp_gt_i64_e32 vcc, 0, v[4:5]
	v_not_b32_e32 v5, v5
	v_ashrrev_i32_e32 v5, 31, v5
	v_and_b32_e32 v46, v46, v47
	v_xor_b32_e32 v47, vcc_hi, v5
	v_xor_b32_e32 v5, vcc_lo, v5
	v_and_b32_e32 v7, v7, v5
	v_lshlrev_b32_e32 v5, 28, v6
	v_cmp_gt_i64_e32 vcc, 0, v[4:5]
	v_not_b32_e32 v5, v5
	v_ashrrev_i32_e32 v5, 31, v5
	v_and_b32_e32 v46, v46, v47
	;; [unrolled: 8-line block ×5, first 2 shown]
	v_xor_b32_e32 v47, vcc_hi, v5
	v_xor_b32_e32 v5, vcc_lo, v5
	v_and_b32_e32 v46, v46, v47
	v_and_b32_e32 v47, v7, v5
	v_lshlrev_b32_e32 v5, 24, v6
	v_cmp_gt_i64_e32 vcc, 0, v[4:5]
	v_not_b32_e32 v5, v5
	v_ashrrev_i32_e32 v5, 31, v5
	v_xor_b32_e32 v6, vcc_hi, v5
	v_xor_b32_e32 v5, vcc_lo, v5
	; wave barrier
	ds_read_b32 v44, v48 offset:64
	v_and_b32_e32 v7, v46, v6
	v_and_b32_e32 v6, v47, v5
	v_mbcnt_lo_u32_b32 v5, v6, 0
	v_mbcnt_hi_u32_b32 v46, v7, v5
	v_cmp_eq_u32_e32 vcc, 0, v46
	v_cmp_ne_u64_e64 s[2:3], 0, v[6:7]
	s_and_b64 s[8:9], s[2:3], vcc
	; wave barrier
	s_and_saveexec_b64 s[2:3], s[8:9]
	s_cbranch_execz .LBB1123_47
; %bb.46:
	v_bcnt_u32_b32 v5, v6, 0
	v_bcnt_u32_b32 v5, v7, v5
	s_waitcnt lgkmcnt(0)
	v_add_u32_e32 v5, v44, v5
	ds_write_b32 v48, v5 offset:64
.LBB1123_47:
	s_or_b64 exec, exec, s[2:3]
	v_lshrrev_b32_e32 v5, s20, v19
	v_and_b32_e32 v6, s31, v5
	v_lshl_add_u32 v5, v6, 4, v6
	v_add_lshl_u32 v51, v32, v5, 2
	v_and_b32_e32 v5, 1, v6
	v_add_co_u32_e32 v7, vcc, -1, v5
	v_addc_co_u32_e64 v49, s[2:3], 0, -1, vcc
	v_cmp_ne_u32_e32 vcc, 0, v5
	v_xor_b32_e32 v5, vcc_hi, v49
	v_and_b32_e32 v49, exec_hi, v5
	v_lshlrev_b32_e32 v5, 30, v6
	v_xor_b32_e32 v7, vcc_lo, v7
	v_cmp_gt_i64_e32 vcc, 0, v[4:5]
	v_not_b32_e32 v5, v5
	v_ashrrev_i32_e32 v5, 31, v5
	v_and_b32_e32 v7, exec_lo, v7
	v_xor_b32_e32 v50, vcc_hi, v5
	v_xor_b32_e32 v5, vcc_lo, v5
	v_and_b32_e32 v7, v7, v5
	v_lshlrev_b32_e32 v5, 29, v6
	v_cmp_gt_i64_e32 vcc, 0, v[4:5]
	v_not_b32_e32 v5, v5
	v_ashrrev_i32_e32 v5, 31, v5
	v_and_b32_e32 v49, v49, v50
	v_xor_b32_e32 v50, vcc_hi, v5
	v_xor_b32_e32 v5, vcc_lo, v5
	v_and_b32_e32 v7, v7, v5
	v_lshlrev_b32_e32 v5, 28, v6
	v_cmp_gt_i64_e32 vcc, 0, v[4:5]
	v_not_b32_e32 v5, v5
	v_ashrrev_i32_e32 v5, 31, v5
	v_and_b32_e32 v49, v49, v50
	;; [unrolled: 8-line block ×5, first 2 shown]
	v_xor_b32_e32 v50, vcc_hi, v5
	v_xor_b32_e32 v5, vcc_lo, v5
	v_and_b32_e32 v7, v7, v5
	v_lshlrev_b32_e32 v5, 24, v6
	v_cmp_gt_i64_e32 vcc, 0, v[4:5]
	v_not_b32_e32 v4, v5
	v_ashrrev_i32_e32 v4, 31, v4
	v_xor_b32_e32 v5, vcc_hi, v4
	v_xor_b32_e32 v4, vcc_lo, v4
	; wave barrier
	ds_read_b32 v47, v51 offset:64
	v_and_b32_e32 v49, v49, v50
	v_and_b32_e32 v4, v7, v4
	;; [unrolled: 1-line block ×3, first 2 shown]
	v_mbcnt_lo_u32_b32 v6, v4, 0
	v_mbcnt_hi_u32_b32 v49, v5, v6
	v_cmp_eq_u32_e32 vcc, 0, v49
	v_cmp_ne_u64_e64 s[2:3], 0, v[4:5]
	s_and_b64 s[8:9], s[2:3], vcc
	; wave barrier
	s_and_saveexec_b64 s[2:3], s[8:9]
	s_cbranch_execz .LBB1123_49
; %bb.48:
	v_bcnt_u32_b32 v4, v4, 0
	v_bcnt_u32_b32 v4, v5, v4
	s_waitcnt lgkmcnt(0)
	v_add_u32_e32 v4, v47, v4
	ds_write_b32 v51, v4 offset:64
.LBB1123_49:
	s_or_b64 exec, exec, s[2:3]
	v_lshrrev_b32_e32 v4, s20, v18
	v_and_b32_e32 v6, s31, v4
	v_and_b32_e32 v5, 1, v6
	v_add_co_u32_e32 v7, vcc, -1, v5
	v_addc_co_u32_e64 v52, s[2:3], 0, -1, vcc
	v_cmp_ne_u32_e32 vcc, 0, v5
	v_lshl_add_u32 v4, v6, 4, v6
	v_xor_b32_e32 v5, vcc_hi, v52
	v_add_lshl_u32 v53, v32, v4, 2
	v_mov_b32_e32 v4, 0
	v_and_b32_e32 v52, exec_hi, v5
	v_lshlrev_b32_e32 v5, 30, v6
	v_xor_b32_e32 v7, vcc_lo, v7
	v_cmp_gt_i64_e32 vcc, 0, v[4:5]
	v_not_b32_e32 v5, v5
	v_ashrrev_i32_e32 v5, 31, v5
	v_and_b32_e32 v7, exec_lo, v7
	v_xor_b32_e32 v54, vcc_hi, v5
	v_xor_b32_e32 v5, vcc_lo, v5
	v_and_b32_e32 v7, v7, v5
	v_lshlrev_b32_e32 v5, 29, v6
	v_cmp_gt_i64_e32 vcc, 0, v[4:5]
	v_not_b32_e32 v5, v5
	v_ashrrev_i32_e32 v5, 31, v5
	v_and_b32_e32 v52, v52, v54
	v_xor_b32_e32 v54, vcc_hi, v5
	v_xor_b32_e32 v5, vcc_lo, v5
	v_and_b32_e32 v7, v7, v5
	v_lshlrev_b32_e32 v5, 28, v6
	v_cmp_gt_i64_e32 vcc, 0, v[4:5]
	v_not_b32_e32 v5, v5
	v_ashrrev_i32_e32 v5, 31, v5
	v_and_b32_e32 v52, v52, v54
	;; [unrolled: 8-line block ×5, first 2 shown]
	v_xor_b32_e32 v54, vcc_hi, v5
	v_xor_b32_e32 v5, vcc_lo, v5
	v_and_b32_e32 v52, v52, v54
	v_and_b32_e32 v54, v7, v5
	v_lshlrev_b32_e32 v5, 24, v6
	v_cmp_gt_i64_e32 vcc, 0, v[4:5]
	v_not_b32_e32 v5, v5
	v_ashrrev_i32_e32 v5, 31, v5
	v_xor_b32_e32 v6, vcc_hi, v5
	v_xor_b32_e32 v5, vcc_lo, v5
	; wave barrier
	ds_read_b32 v50, v53 offset:64
	v_and_b32_e32 v7, v52, v6
	v_and_b32_e32 v6, v54, v5
	v_mbcnt_lo_u32_b32 v5, v6, 0
	v_mbcnt_hi_u32_b32 v52, v7, v5
	v_cmp_eq_u32_e32 vcc, 0, v52
	v_cmp_ne_u64_e64 s[2:3], 0, v[6:7]
	s_and_b64 s[8:9], s[2:3], vcc
	; wave barrier
	s_and_saveexec_b64 s[2:3], s[8:9]
	s_cbranch_execz .LBB1123_51
; %bb.50:
	v_bcnt_u32_b32 v5, v6, 0
	v_bcnt_u32_b32 v5, v7, v5
	s_waitcnt lgkmcnt(0)
	v_add_u32_e32 v5, v50, v5
	ds_write_b32 v53, v5 offset:64
.LBB1123_51:
	s_or_b64 exec, exec, s[2:3]
	v_lshrrev_b32_e32 v5, s20, v20
	v_and_b32_e32 v6, s31, v5
	v_lshl_add_u32 v5, v6, 4, v6
	v_add_lshl_u32 v55, v32, v5, 2
	v_and_b32_e32 v5, 1, v6
	v_add_co_u32_e32 v7, vcc, -1, v5
	v_addc_co_u32_e64 v54, s[2:3], 0, -1, vcc
	v_cmp_ne_u32_e32 vcc, 0, v5
	v_xor_b32_e32 v5, vcc_hi, v54
	v_and_b32_e32 v54, exec_hi, v5
	v_lshlrev_b32_e32 v5, 30, v6
	v_xor_b32_e32 v7, vcc_lo, v7
	v_cmp_gt_i64_e32 vcc, 0, v[4:5]
	v_not_b32_e32 v5, v5
	v_ashrrev_i32_e32 v5, 31, v5
	v_and_b32_e32 v7, exec_lo, v7
	v_xor_b32_e32 v57, vcc_hi, v5
	v_xor_b32_e32 v5, vcc_lo, v5
	v_and_b32_e32 v7, v7, v5
	v_lshlrev_b32_e32 v5, 29, v6
	v_cmp_gt_i64_e32 vcc, 0, v[4:5]
	v_not_b32_e32 v5, v5
	v_ashrrev_i32_e32 v5, 31, v5
	v_and_b32_e32 v54, v54, v57
	v_xor_b32_e32 v57, vcc_hi, v5
	v_xor_b32_e32 v5, vcc_lo, v5
	v_and_b32_e32 v7, v7, v5
	v_lshlrev_b32_e32 v5, 28, v6
	v_cmp_gt_i64_e32 vcc, 0, v[4:5]
	v_not_b32_e32 v5, v5
	v_ashrrev_i32_e32 v5, 31, v5
	v_and_b32_e32 v54, v54, v57
	;; [unrolled: 8-line block ×5, first 2 shown]
	v_xor_b32_e32 v57, vcc_hi, v5
	v_xor_b32_e32 v5, vcc_lo, v5
	v_and_b32_e32 v7, v7, v5
	v_lshlrev_b32_e32 v5, 24, v6
	v_cmp_gt_i64_e32 vcc, 0, v[4:5]
	v_not_b32_e32 v4, v5
	v_ashrrev_i32_e32 v4, 31, v4
	v_xor_b32_e32 v5, vcc_hi, v4
	v_xor_b32_e32 v4, vcc_lo, v4
	; wave barrier
	ds_read_b32 v32, v55 offset:64
	v_and_b32_e32 v54, v54, v57
	v_and_b32_e32 v4, v7, v4
	;; [unrolled: 1-line block ×3, first 2 shown]
	v_mbcnt_lo_u32_b32 v6, v4, 0
	v_mbcnt_hi_u32_b32 v54, v5, v6
	v_cmp_eq_u32_e32 vcc, 0, v54
	v_cmp_ne_u64_e64 s[2:3], 0, v[4:5]
	v_add_u32_e32 v56, 64, v9
	s_and_b64 s[8:9], s[2:3], vcc
	; wave barrier
	s_and_saveexec_b64 s[2:3], s[8:9]
	s_cbranch_execz .LBB1123_53
; %bb.52:
	v_bcnt_u32_b32 v4, v4, 0
	v_bcnt_u32_b32 v4, v5, v4
	s_waitcnt lgkmcnt(0)
	v_add_u32_e32 v4, v32, v4
	ds_write_b32 v55, v4 offset:64
.LBB1123_53:
	s_or_b64 exec, exec, s[2:3]
	; wave barrier
	s_waitcnt lgkmcnt(0)
	s_barrier
	ds_read2_b32 v[6:7], v9 offset0:16 offset1:17
	ds_read2_b32 v[4:5], v56 offset0:2 offset1:3
	ds_read_b32 v57, v56 offset:16
	v_cmp_lt_u32_e64 s[12:13], 31, v8
	s_waitcnt lgkmcnt(1)
	v_add3_u32 v58, v7, v6, v4
	s_waitcnt lgkmcnt(0)
	v_add3_u32 v57, v58, v5, v57
	v_and_b32_e32 v58, 15, v8
	v_cmp_eq_u32_e32 vcc, 0, v58
	v_mov_b32_dpp v59, v57 row_shr:1 row_mask:0xf bank_mask:0xf
	v_cndmask_b32_e64 v59, v59, 0, vcc
	v_add_u32_e32 v57, v59, v57
	v_cmp_lt_u32_e64 s[2:3], 1, v58
	v_cmp_lt_u32_e64 s[10:11], 3, v58
	v_mov_b32_dpp v59, v57 row_shr:2 row_mask:0xf bank_mask:0xf
	v_cndmask_b32_e64 v59, 0, v59, s[2:3]
	v_add_u32_e32 v57, v57, v59
	v_cmp_lt_u32_e64 s[8:9], 7, v58
	s_nop 0
	v_mov_b32_dpp v59, v57 row_shr:4 row_mask:0xf bank_mask:0xf
	v_cndmask_b32_e64 v59, 0, v59, s[10:11]
	v_add_u32_e32 v57, v57, v59
	s_nop 1
	v_mov_b32_dpp v59, v57 row_shr:8 row_mask:0xf bank_mask:0xf
	v_cndmask_b32_e64 v58, 0, v59, s[8:9]
	v_add_u32_e32 v57, v57, v58
	v_bfe_i32 v59, v8, 4, 1
	s_nop 0
	v_mov_b32_dpp v58, v57 row_bcast:15 row_mask:0xf bank_mask:0xf
	v_and_b32_e32 v58, v59, v58
	v_add_u32_e32 v57, v57, v58
	v_and_b32_e32 v59, 63, v2
	s_nop 0
	v_mov_b32_dpp v58, v57 row_bcast:31 row_mask:0xf bank_mask:0xf
	v_cndmask_b32_e64 v58, 0, v58, s[12:13]
	v_add_u32_e32 v57, v57, v58
	v_lshrrev_b32_e32 v58, 6, v2
	v_cmp_eq_u32_e64 s[12:13], 63, v59
	s_and_saveexec_b64 s[22:23], s[12:13]
	s_cbranch_execz .LBB1123_55
; %bb.54:
	v_lshlrev_b32_e32 v59, 2, v58
	ds_write_b32 v59, v57
.LBB1123_55:
	s_or_b64 exec, exec, s[22:23]
	v_cmp_gt_u32_e64 s[12:13], 16, v2
	s_waitcnt lgkmcnt(0)
	s_barrier
	s_and_saveexec_b64 s[22:23], s[12:13]
	s_cbranch_execz .LBB1123_57
; %bb.56:
	v_lshlrev_b32_e32 v59, 2, v2
	ds_read_b32 v60, v59
	s_waitcnt lgkmcnt(0)
	s_nop 0
	v_mov_b32_dpp v61, v60 row_shr:1 row_mask:0xf bank_mask:0xf
	v_cndmask_b32_e64 v61, v61, 0, vcc
	v_add_u32_e32 v60, v61, v60
	s_nop 1
	v_mov_b32_dpp v61, v60 row_shr:2 row_mask:0xf bank_mask:0xf
	v_cndmask_b32_e64 v61, 0, v61, s[2:3]
	v_add_u32_e32 v60, v60, v61
	s_nop 1
	v_mov_b32_dpp v61, v60 row_shr:4 row_mask:0xf bank_mask:0xf
	v_cndmask_b32_e64 v61, 0, v61, s[10:11]
	v_add_u32_e32 v60, v60, v61
	s_nop 1
	v_mov_b32_dpp v61, v60 row_shr:8 row_mask:0xf bank_mask:0xf
	v_cndmask_b32_e64 v61, 0, v61, s[8:9]
	v_add_u32_e32 v60, v60, v61
	ds_write_b32 v59, v60
.LBB1123_57:
	s_or_b64 exec, exec, s[22:23]
	v_cmp_lt_u32_e32 vcc, 63, v2
	v_mov_b32_e32 v59, 0
	s_waitcnt lgkmcnt(0)
	s_barrier
	s_and_saveexec_b64 s[2:3], vcc
	s_cbranch_execz .LBB1123_59
; %bb.58:
	v_lshl_add_u32 v58, v58, 2, -4
	ds_read_b32 v59, v58
.LBB1123_59:
	s_or_b64 exec, exec, s[2:3]
	v_add_u32_e32 v58, -1, v8
	v_and_b32_e32 v60, 64, v8
	v_cmp_lt_i32_e32 vcc, v58, v60
	v_cndmask_b32_e32 v58, v58, v8, vcc
	s_waitcnt lgkmcnt(0)
	v_add_u32_e32 v57, v59, v57
	v_lshlrev_b32_e32 v58, 2, v58
	ds_bpermute_b32 v57, v58, v57
	v_cmp_eq_u32_e32 vcc, 0, v8
	s_movk_i32 s2, 0x100
	s_waitcnt lgkmcnt(0)
	v_cndmask_b32_e32 v8, v57, v59, vcc
	v_cndmask_b32_e64 v8, v8, 0, s[0:1]
	v_add_u32_e32 v6, v8, v6
	v_add_u32_e32 v7, v6, v7
	;; [unrolled: 1-line block ×4, first 2 shown]
	ds_write2_b32 v9, v8, v6 offset0:16 offset1:17
	ds_write2_b32 v56, v7, v4 offset0:2 offset1:3
	ds_write_b32 v56, v5 offset:16
	s_waitcnt lgkmcnt(0)
	s_barrier
	ds_read_b32 v60, v25 offset:64
	ds_read_b32 v56, v26 offset:64
	;; [unrolled: 1-line block ×12, first 2 shown]
	v_cmp_gt_u32_e32 vcc, s2, v2
                                        ; implicit-def: $vgpr25
                                        ; implicit-def: $vgpr26
	s_and_saveexec_b64 s[8:9], vcc
	s_cbranch_execz .LBB1123_63
; %bb.60:
	v_mul_u32_u24_e32 v4, 17, v2
	v_lshlrev_b32_e32 v5, 2, v4
	ds_read_b32 v25, v5 offset:64
	s_movk_i32 s2, 0xff
	v_cmp_ne_u32_e64 s[2:3], s2, v2
	v_mov_b32_e32 v4, 0x3000
	s_and_saveexec_b64 s[10:11], s[2:3]
	s_cbranch_execz .LBB1123_62
; %bb.61:
	ds_read_b32 v4, v5 offset:132
.LBB1123_62:
	s_or_b64 exec, exec, s[10:11]
	s_waitcnt lgkmcnt(0)
	v_sub_u32_e32 v26, v4, v25
.LBB1123_63:
	s_or_b64 exec, exec, s[8:9]
	s_waitcnt lgkmcnt(0)
	s_barrier
	s_and_saveexec_b64 s[8:9], vcc
	s_cbranch_execz .LBB1123_73
; %bb.64:
	v_lshl_or_b32 v4, s30, 8, v2
	v_mov_b32_e32 v5, 0
	v_lshlrev_b64 v[6:7], 2, v[4:5]
	v_mov_b32_e32 v51, s15
	v_add_co_u32_e64 v6, s[2:3], s14, v6
	v_addc_co_u32_e64 v7, s[2:3], v51, v7, s[2:3]
	v_or_b32_e32 v4, 2.0, v26
	s_mov_b64 s[10:11], 0
	s_brev_b32 s33, 1
	s_mov_b32 s34, s30
	v_mov_b32_e32 v53, 0
	global_store_dword v[6:7], v4, off
                                        ; implicit-def: $sgpr2_sgpr3
	s_branch .LBB1123_66
.LBB1123_65:                            ;   in Loop: Header=BB1123_66 Depth=1
	s_or_b64 exec, exec, s[12:13]
	v_and_b32_e32 v8, 0x3fffffff, v55
	v_add_u32_e32 v53, v8, v53
	v_cmp_eq_u32_e64 s[2:3], s33, v4
	s_and_b64 s[12:13], exec, s[2:3]
	s_or_b64 s[10:11], s[12:13], s[10:11]
	s_andn2_b64 exec, exec, s[10:11]
	s_cbranch_execz .LBB1123_72
.LBB1123_66:                            ; =>This Loop Header: Depth=1
                                        ;     Child Loop BB1123_69 Depth 2
	s_or_b64 s[2:3], s[2:3], exec
	s_cmp_eq_u32 s34, 0
	s_cbranch_scc1 .LBB1123_71
; %bb.67:                               ;   in Loop: Header=BB1123_66 Depth=1
	s_add_i32 s34, s34, -1
	v_lshl_or_b32 v4, s34, 8, v2
	v_lshlrev_b64 v[8:9], 2, v[4:5]
	v_add_co_u32_e64 v8, s[2:3], s14, v8
	v_addc_co_u32_e64 v9, s[2:3], v51, v9, s[2:3]
	global_load_dword v55, v[8:9], off glc
	s_waitcnt vmcnt(0)
	v_and_b32_e32 v4, -2.0, v55
	v_cmp_eq_u32_e64 s[2:3], 0, v4
	s_and_saveexec_b64 s[12:13], s[2:3]
	s_cbranch_execz .LBB1123_65
; %bb.68:                               ;   in Loop: Header=BB1123_66 Depth=1
	s_mov_b64 s[22:23], 0
.LBB1123_69:                            ;   Parent Loop BB1123_66 Depth=1
                                        ; =>  This Inner Loop Header: Depth=2
	global_load_dword v55, v[8:9], off glc
	s_waitcnt vmcnt(0)
	v_and_b32_e32 v4, -2.0, v55
	v_cmp_ne_u32_e64 s[2:3], 0, v4
	s_or_b64 s[22:23], s[2:3], s[22:23]
	s_andn2_b64 exec, exec, s[22:23]
	s_cbranch_execnz .LBB1123_69
; %bb.70:                               ;   in Loop: Header=BB1123_66 Depth=1
	s_or_b64 exec, exec, s[22:23]
	s_branch .LBB1123_65
.LBB1123_71:                            ;   in Loop: Header=BB1123_66 Depth=1
                                        ; implicit-def: $sgpr34
	s_and_b64 s[12:13], exec, s[2:3]
	s_or_b64 s[10:11], s[12:13], s[10:11]
	s_andn2_b64 exec, exec, s[10:11]
	s_cbranch_execnz .LBB1123_66
.LBB1123_72:
	s_or_b64 exec, exec, s[10:11]
	v_add_u32_e32 v4, v53, v26
	v_or_b32_e32 v4, 0x80000000, v4
	global_store_dword v[6:7], v4, off
	v_lshlrev_b32_e32 v4, 2, v2
	global_load_dword v5, v4, s[16:17]
	v_sub_u32_e32 v6, v53, v25
	s_waitcnt vmcnt(0)
	v_add_u32_e32 v5, v6, v5
	ds_write_b32 v4, v5
.LBB1123_73:
	s_or_b64 exec, exec, s[8:9]
	v_lshlrev_b32_e32 v7, 2, v2
	v_add_u32_e32 v6, v60, v21
	s_movk_i32 s10, 0x400
	v_add_u32_e32 v8, 0x400, v7
	v_add3_u32 v9, v54, v48, v32
	v_add3_u32 v21, v52, v45, v50
	;; [unrolled: 1-line block ×11, first 2 shown]
	s_mov_b32 s11, 0
	v_mov_b32_e32 v5, 0
	s_movk_i32 s12, 0x800
	s_movk_i32 s13, 0xc00
	v_mov_b32_e32 v23, v2
	s_branch .LBB1123_75
.LBB1123_74:                            ;   in Loop: Header=BB1123_75 Depth=1
	s_or_b64 exec, exec, s[8:9]
	s_addk_i32 s11, 0xf000
	s_cmpk_eq_i32 s11, 0xd000
	v_add_u32_e32 v23, 0x1000, v23
	s_barrier
	s_cbranch_scc1 .LBB1123_84
.LBB1123_75:                            ; =>This Inner Loop Header: Depth=1
	v_add_u32_e32 v4, s11, v6
	v_min_u32_e32 v4, 0x1000, v4
	v_lshlrev_b32_e32 v4, 2, v4
	ds_write_b32 v4, v10 offset:1024
	v_add_u32_e32 v4, s11, v22
	v_min_u32_e32 v4, 0x1000, v4
	v_lshlrev_b32_e32 v4, 2, v4
	ds_write_b32 v4, v11 offset:1024
	;; [unrolled: 4-line block ×11, first 2 shown]
	v_add_u32_e32 v4, s11, v9
	v_min_u32_e32 v4, 0x1000, v4
	v_lshlrev_b32_e32 v4, 2, v4
	v_cmp_gt_u32_e64 s[2:3], s7, v23
	ds_write_b32 v4, v20 offset:1024
	s_waitcnt lgkmcnt(0)
	s_barrier
	s_and_saveexec_b64 s[8:9], s[2:3]
	s_cbranch_execz .LBB1123_77
; %bb.76:                               ;   in Loop: Header=BB1123_75 Depth=1
	ds_read_b32 v27, v7 offset:1024
	v_mov_b32_e32 v30, s27
	s_waitcnt lgkmcnt(0)
	v_lshrrev_b32_e32 v4, s20, v27
	v_and_b32_e32 v4, s31, v4
	v_lshlrev_b32_e32 v4, 2, v4
	ds_read_b32 v4, v4
	s_waitcnt lgkmcnt(0)
	v_add_u32_e32 v4, v23, v4
	v_lshlrev_b64 v[38:39], 2, v[4:5]
	v_add_co_u32_e64 v38, s[2:3], s26, v38
	v_addc_co_u32_e64 v39, s[2:3], v30, v39, s[2:3]
	global_store_dword v[38:39], v27, off
.LBB1123_77:                            ;   in Loop: Header=BB1123_75 Depth=1
	s_or_b64 exec, exec, s[8:9]
	v_add_u32_e32 v4, 0x400, v23
	v_cmp_gt_u32_e64 s[2:3], s7, v4
	s_and_saveexec_b64 s[8:9], s[2:3]
	s_cbranch_execz .LBB1123_79
; %bb.78:                               ;   in Loop: Header=BB1123_75 Depth=1
	ds_read_b32 v27, v8 offset:4096
	v_mov_b32_e32 v30, s27
	s_waitcnt lgkmcnt(0)
	v_lshrrev_b32_e32 v4, s20, v27
	v_and_b32_e32 v4, s31, v4
	v_lshlrev_b32_e32 v4, 2, v4
	ds_read_b32 v4, v4
	s_waitcnt lgkmcnt(0)
	v_add3_u32 v4, v23, v4, s10
	v_lshlrev_b64 v[38:39], 2, v[4:5]
	v_add_co_u32_e64 v38, s[2:3], s26, v38
	v_addc_co_u32_e64 v39, s[2:3], v30, v39, s[2:3]
	global_store_dword v[38:39], v27, off
.LBB1123_79:                            ;   in Loop: Header=BB1123_75 Depth=1
	s_or_b64 exec, exec, s[8:9]
	v_add_u32_e32 v4, 0x800, v23
	v_cmp_gt_u32_e64 s[2:3], s7, v4
	s_and_saveexec_b64 s[8:9], s[2:3]
	s_cbranch_execz .LBB1123_81
; %bb.80:                               ;   in Loop: Header=BB1123_75 Depth=1
	ds_read_b32 v27, v8 offset:8192
	v_mov_b32_e32 v30, s27
	s_waitcnt lgkmcnt(0)
	v_lshrrev_b32_e32 v4, s20, v27
	v_and_b32_e32 v4, s31, v4
	v_lshlrev_b32_e32 v4, 2, v4
	ds_read_b32 v4, v4
	s_waitcnt lgkmcnt(0)
	v_add3_u32 v4, v23, v4, s12
	v_lshlrev_b64 v[38:39], 2, v[4:5]
	v_add_co_u32_e64 v38, s[2:3], s26, v38
	v_addc_co_u32_e64 v39, s[2:3], v30, v39, s[2:3]
	global_store_dword v[38:39], v27, off
.LBB1123_81:                            ;   in Loop: Header=BB1123_75 Depth=1
	s_or_b64 exec, exec, s[8:9]
	v_add_u32_e32 v4, 0xc00, v23
	v_cmp_gt_u32_e64 s[2:3], s7, v4
	s_and_saveexec_b64 s[8:9], s[2:3]
	s_cbranch_execz .LBB1123_74
; %bb.82:                               ;   in Loop: Header=BB1123_75 Depth=1
	ds_read_b32 v27, v8 offset:12288
	v_mov_b32_e32 v30, s27
	s_waitcnt lgkmcnt(0)
	v_lshrrev_b32_e32 v4, s20, v27
	v_and_b32_e32 v4, s31, v4
	v_lshlrev_b32_e32 v4, 2, v4
	ds_read_b32 v4, v4
	s_waitcnt lgkmcnt(0)
	v_add3_u32 v4, v23, v4, s13
	v_lshlrev_b64 v[38:39], 2, v[4:5]
	v_add_co_u32_e64 v38, s[2:3], s26, v38
	v_addc_co_u32_e64 v39, s[2:3], v30, v39, s[2:3]
	global_store_dword v[38:39], v27, off
	s_branch .LBB1123_74
.LBB1123_83:
	s_mov_b64 s[10:11], 0
                                        ; implicit-def: $vgpr3
	s_cbranch_execnz .LBB1123_87
	s_branch .LBB1123_136
.LBB1123_84:
	s_add_i32 s29, s29, -1
	s_cmp_eq_u32 s29, s30
	s_cselect_b64 s[2:3], -1, 0
	s_and_b64 s[8:9], vcc, s[2:3]
	s_mov_b64 s[2:3], 0
	s_mov_b64 s[10:11], 0
                                        ; implicit-def: $vgpr3
	s_and_saveexec_b64 s[12:13], s[8:9]
	s_xor_b64 s[8:9], exec, s[12:13]
; %bb.85:
	s_mov_b64 s[10:11], exec
	v_add_u32_e32 v3, v25, v26
; %bb.86:
	s_or_b64 exec, exec, s[8:9]
	s_and_b64 vcc, exec, s[2:3]
	s_cbranch_vccz .LBB1123_136
.LBB1123_87:
	s_mov_b32 s29, 0
	v_mbcnt_hi_u32_b32 v6, -1, v1
	s_lshl_b64 s[2:3], s[28:29], 2
	v_and_b32_e32 v1, 63, v6
	s_add_u32 s2, s24, s2
	v_lshlrev_b32_e32 v1, 2, v1
	v_add_co_u32_e32 v1, vcc, s2, v1
	s_load_dword s22, s[4:5], 0x58
	s_load_dword s2, s[4:5], 0x64
	s_addc_u32 s3, s25, s3
	v_and_b32_e32 v3, 0x3c0, v2
	v_mul_u32_u24_e32 v3, 12, v3
	v_mov_b32_e32 v5, s3
	s_add_u32 s3, s4, 0x58
	v_addc_co_u32_e32 v5, vcc, 0, v5, vcc
	v_lshlrev_b32_e32 v3, 2, v3
	s_addc_u32 s4, s5, 0
	s_waitcnt lgkmcnt(0)
	s_lshr_b32 s5, s2, 16
	v_add_co_u32_e32 v20, vcc, v1, v3
	s_cmp_lt_u32 s6, s22
	v_addc_co_u32_e32 v21, vcc, 0, v5, vcc
	s_cselect_b32 s2, 12, 18
	global_load_dword v3, v[20:21], off
	s_add_u32 s2, s3, s2
	v_mov_b32_e32 v4, 0
	s_addc_u32 s3, s4, 0
	global_load_ushort v1, v4, s[2:3]
	v_mul_u32_u24_e32 v7, 5, v2
	v_lshlrev_b32_e32 v7, 2, v7
	ds_write2_b32 v7, v4, v4 offset0:16 offset1:17
	ds_write2_b32 v7, v4, v4 offset0:18 offset1:19
	ds_write_b32 v7, v4 offset:80
	global_load_dword v8, v[20:21], off offset:256
	global_load_dword v9, v[20:21], off offset:512
	;; [unrolled: 1-line block ×11, first 2 shown]
	v_bfe_u32 v5, v0, 10, 10
	v_bfe_u32 v0, v0, 20, 10
	s_lshl_b32 s2, -1, s21
	v_mad_u32_u24 v0, v0, s5, v5
	s_not_b32 s21, s2
	s_waitcnt lgkmcnt(0)
	s_barrier
	s_waitcnt lgkmcnt(0)
	; wave barrier
	s_waitcnt vmcnt(12)
	v_lshrrev_b32_e32 v5, s20, v3
	v_and_b32_e32 v19, s21, v5
	v_and_b32_e32 v21, 1, v19
	v_lshlrev_b32_e32 v5, 30, v19
	s_waitcnt vmcnt(11)
	v_mad_u64_u32 v[0:1], s[2:3], v0, v1, v[2:3]
	v_add_co_u32_e32 v1, vcc, -1, v21
	v_addc_co_u32_e64 v22, s[2:3], 0, -1, vcc
	v_cmp_ne_u32_e32 vcc, 0, v21
	v_cmp_gt_i64_e64 s[2:3], 0, v[4:5]
	v_not_b32_e32 v21, v5
	v_lshlrev_b32_e32 v5, 29, v19
	v_lshl_add_u32 v20, v19, 4, v19
	v_lshrrev_b32_e32 v28, 6, v0
	v_xor_b32_e32 v0, vcc_hi, v22
	v_xor_b32_e32 v1, vcc_lo, v1
	v_ashrrev_i32_e32 v21, 31, v21
	v_cmp_gt_i64_e32 vcc, 0, v[4:5]
	v_not_b32_e32 v23, v5
	v_lshlrev_b32_e32 v5, 28, v19
	v_add_lshl_u32 v22, v28, v20, 2
	v_and_b32_e32 v0, exec_hi, v0
	v_and_b32_e32 v1, exec_lo, v1
	v_xor_b32_e32 v20, s3, v21
	v_xor_b32_e32 v21, s2, v21
	v_ashrrev_i32_e32 v23, 31, v23
	v_cmp_gt_i64_e64 s[2:3], 0, v[4:5]
	v_not_b32_e32 v5, v5
	v_and_b32_e32 v0, v0, v20
	v_and_b32_e32 v1, v1, v21
	v_xor_b32_e32 v20, vcc_hi, v23
	v_xor_b32_e32 v21, vcc_lo, v23
	v_ashrrev_i32_e32 v5, 31, v5
	v_and_b32_e32 v0, v0, v20
	v_and_b32_e32 v1, v1, v21
	v_xor_b32_e32 v20, s3, v5
	v_xor_b32_e32 v5, s2, v5
	v_and_b32_e32 v1, v1, v5
	v_lshlrev_b32_e32 v5, 27, v19
	v_cmp_gt_i64_e32 vcc, 0, v[4:5]
	v_not_b32_e32 v5, v5
	v_ashrrev_i32_e32 v5, 31, v5
	v_and_b32_e32 v0, v0, v20
	v_xor_b32_e32 v20, vcc_hi, v5
	v_xor_b32_e32 v5, vcc_lo, v5
	v_and_b32_e32 v1, v1, v5
	v_lshlrev_b32_e32 v5, 26, v19
	v_cmp_gt_i64_e32 vcc, 0, v[4:5]
	v_not_b32_e32 v5, v5
	v_ashrrev_i32_e32 v5, 31, v5
	v_and_b32_e32 v0, v0, v20
	v_xor_b32_e32 v20, vcc_hi, v5
	v_xor_b32_e32 v5, vcc_lo, v5
	v_and_b32_e32 v1, v1, v5
	v_lshlrev_b32_e32 v5, 25, v19
	v_cmp_gt_i64_e32 vcc, 0, v[4:5]
	v_not_b32_e32 v5, v5
	v_ashrrev_i32_e32 v5, 31, v5
	v_and_b32_e32 v0, v0, v20
	v_xor_b32_e32 v20, vcc_hi, v5
	v_xor_b32_e32 v5, vcc_lo, v5
	v_and_b32_e32 v0, v0, v20
	v_and_b32_e32 v20, v1, v5
	v_lshlrev_b32_e32 v5, 24, v19
	v_not_b32_e32 v1, v5
	v_cmp_gt_i64_e32 vcc, 0, v[4:5]
	v_ashrrev_i32_e32 v1, 31, v1
	v_xor_b32_e32 v5, vcc_hi, v1
	v_xor_b32_e32 v19, vcc_lo, v1
	v_and_b32_e32 v1, v0, v5
	v_and_b32_e32 v0, v20, v19
	v_mbcnt_lo_u32_b32 v5, v0, 0
	v_mbcnt_hi_u32_b32 v19, v1, v5
	v_cmp_eq_u32_e32 vcc, 0, v19
	v_cmp_ne_u64_e64 s[2:3], 0, v[0:1]
	s_and_b64 s[4:5], s[2:3], vcc
	s_and_saveexec_b64 s[2:3], s[4:5]
	s_cbranch_execz .LBB1123_89
; %bb.88:
	v_bcnt_u32_b32 v0, v0, 0
	v_bcnt_u32_b32 v0, v1, v0
	ds_write_b32 v22, v0 offset:64
.LBB1123_89:
	s_or_b64 exec, exec, s[2:3]
	s_waitcnt vmcnt(10)
	v_lshrrev_b32_e32 v0, s20, v8
	v_and_b32_e32 v0, s21, v0
	v_lshl_add_u32 v1, v0, 4, v0
	v_add_lshl_u32 v24, v28, v1, 2
	v_and_b32_e32 v1, 1, v0
	v_add_co_u32_e32 v5, vcc, -1, v1
	v_addc_co_u32_e64 v21, s[2:3], 0, -1, vcc
	v_cmp_ne_u32_e32 vcc, 0, v1
	v_xor_b32_e32 v5, vcc_lo, v5
	v_xor_b32_e32 v1, vcc_hi, v21
	v_and_b32_e32 v21, exec_lo, v5
	v_lshlrev_b32_e32 v5, 30, v0
	v_cmp_gt_i64_e32 vcc, 0, v[4:5]
	v_not_b32_e32 v5, v5
	v_ashrrev_i32_e32 v5, 31, v5
	v_xor_b32_e32 v23, vcc_hi, v5
	v_xor_b32_e32 v5, vcc_lo, v5
	v_and_b32_e32 v21, v21, v5
	v_lshlrev_b32_e32 v5, 29, v0
	v_cmp_gt_i64_e32 vcc, 0, v[4:5]
	v_not_b32_e32 v5, v5
	v_and_b32_e32 v1, exec_hi, v1
	v_ashrrev_i32_e32 v5, 31, v5
	v_and_b32_e32 v1, v1, v23
	v_xor_b32_e32 v23, vcc_hi, v5
	v_xor_b32_e32 v5, vcc_lo, v5
	v_and_b32_e32 v21, v21, v5
	v_lshlrev_b32_e32 v5, 28, v0
	v_cmp_gt_i64_e32 vcc, 0, v[4:5]
	v_not_b32_e32 v5, v5
	v_ashrrev_i32_e32 v5, 31, v5
	v_and_b32_e32 v1, v1, v23
	v_xor_b32_e32 v23, vcc_hi, v5
	v_xor_b32_e32 v5, vcc_lo, v5
	v_and_b32_e32 v21, v21, v5
	v_lshlrev_b32_e32 v5, 27, v0
	v_cmp_gt_i64_e32 vcc, 0, v[4:5]
	v_not_b32_e32 v5, v5
	;; [unrolled: 8-line block ×4, first 2 shown]
	v_ashrrev_i32_e32 v5, 31, v5
	v_and_b32_e32 v1, v1, v23
	v_xor_b32_e32 v23, vcc_hi, v5
	v_xor_b32_e32 v5, vcc_lo, v5
	v_and_b32_e32 v21, v21, v5
	v_lshlrev_b32_e32 v5, 24, v0
	v_not_b32_e32 v0, v5
	v_cmp_gt_i64_e32 vcc, 0, v[4:5]
	v_ashrrev_i32_e32 v0, 31, v0
	v_xor_b32_e32 v4, vcc_hi, v0
	v_xor_b32_e32 v0, vcc_lo, v0
	; wave barrier
	ds_read_b32 v20, v24 offset:64
	v_and_b32_e32 v1, v1, v23
	v_and_b32_e32 v0, v21, v0
	v_and_b32_e32 v1, v1, v4
	v_mbcnt_lo_u32_b32 v4, v0, 0
	v_mbcnt_hi_u32_b32 v21, v1, v4
	v_cmp_eq_u32_e32 vcc, 0, v21
	v_cmp_ne_u64_e64 s[2:3], 0, v[0:1]
	s_and_b64 s[4:5], s[2:3], vcc
	; wave barrier
	s_and_saveexec_b64 s[2:3], s[4:5]
	s_cbranch_execz .LBB1123_91
; %bb.90:
	v_bcnt_u32_b32 v0, v0, 0
	v_bcnt_u32_b32 v0, v1, v0
	s_waitcnt lgkmcnt(0)
	v_add_u32_e32 v0, v20, v0
	ds_write_b32 v24, v0 offset:64
.LBB1123_91:
	s_or_b64 exec, exec, s[2:3]
	s_waitcnt vmcnt(9)
	v_lshrrev_b32_e32 v0, s20, v9
	v_and_b32_e32 v4, s21, v0
	v_and_b32_e32 v1, 1, v4
	v_add_co_u32_e32 v5, vcc, -1, v1
	v_addc_co_u32_e64 v25, s[2:3], 0, -1, vcc
	v_cmp_ne_u32_e32 vcc, 0, v1
	v_lshl_add_u32 v0, v4, 4, v4
	v_xor_b32_e32 v1, vcc_hi, v25
	v_add_lshl_u32 v27, v28, v0, 2
	v_mov_b32_e32 v0, 0
	v_and_b32_e32 v25, exec_hi, v1
	v_lshlrev_b32_e32 v1, 30, v4
	v_xor_b32_e32 v5, vcc_lo, v5
	v_cmp_gt_i64_e32 vcc, 0, v[0:1]
	v_not_b32_e32 v1, v1
	v_ashrrev_i32_e32 v1, 31, v1
	v_and_b32_e32 v5, exec_lo, v5
	v_xor_b32_e32 v26, vcc_hi, v1
	v_xor_b32_e32 v1, vcc_lo, v1
	v_and_b32_e32 v5, v5, v1
	v_lshlrev_b32_e32 v1, 29, v4
	v_cmp_gt_i64_e32 vcc, 0, v[0:1]
	v_not_b32_e32 v1, v1
	v_ashrrev_i32_e32 v1, 31, v1
	v_and_b32_e32 v25, v25, v26
	v_xor_b32_e32 v26, vcc_hi, v1
	v_xor_b32_e32 v1, vcc_lo, v1
	v_and_b32_e32 v5, v5, v1
	v_lshlrev_b32_e32 v1, 28, v4
	v_cmp_gt_i64_e32 vcc, 0, v[0:1]
	v_not_b32_e32 v1, v1
	v_ashrrev_i32_e32 v1, 31, v1
	v_and_b32_e32 v25, v25, v26
	;; [unrolled: 8-line block ×5, first 2 shown]
	v_xor_b32_e32 v26, vcc_hi, v1
	v_xor_b32_e32 v1, vcc_lo, v1
	v_and_b32_e32 v25, v25, v26
	v_and_b32_e32 v26, v5, v1
	v_lshlrev_b32_e32 v1, 24, v4
	v_cmp_gt_i64_e32 vcc, 0, v[0:1]
	v_not_b32_e32 v1, v1
	v_ashrrev_i32_e32 v1, 31, v1
	v_xor_b32_e32 v4, vcc_hi, v1
	v_xor_b32_e32 v1, vcc_lo, v1
	; wave barrier
	ds_read_b32 v23, v27 offset:64
	v_and_b32_e32 v5, v25, v4
	v_and_b32_e32 v4, v26, v1
	v_mbcnt_lo_u32_b32 v1, v4, 0
	v_mbcnt_hi_u32_b32 v25, v5, v1
	v_cmp_eq_u32_e32 vcc, 0, v25
	v_cmp_ne_u64_e64 s[2:3], 0, v[4:5]
	s_and_b64 s[4:5], s[2:3], vcc
	; wave barrier
	s_and_saveexec_b64 s[2:3], s[4:5]
	s_cbranch_execz .LBB1123_93
; %bb.92:
	v_bcnt_u32_b32 v1, v4, 0
	v_bcnt_u32_b32 v1, v5, v1
	s_waitcnt lgkmcnt(0)
	v_add_u32_e32 v1, v23, v1
	ds_write_b32 v27, v1 offset:64
.LBB1123_93:
	s_or_b64 exec, exec, s[2:3]
	s_waitcnt vmcnt(8)
	v_lshrrev_b32_e32 v1, s20, v10
	v_and_b32_e32 v4, s21, v1
	v_lshl_add_u32 v1, v4, 4, v4
	v_add_lshl_u32 v31, v28, v1, 2
	v_and_b32_e32 v1, 1, v4
	v_add_co_u32_e32 v5, vcc, -1, v1
	v_addc_co_u32_e64 v29, s[2:3], 0, -1, vcc
	v_cmp_ne_u32_e32 vcc, 0, v1
	v_xor_b32_e32 v1, vcc_hi, v29
	v_and_b32_e32 v29, exec_hi, v1
	v_lshlrev_b32_e32 v1, 30, v4
	v_xor_b32_e32 v5, vcc_lo, v5
	v_cmp_gt_i64_e32 vcc, 0, v[0:1]
	v_not_b32_e32 v1, v1
	v_ashrrev_i32_e32 v1, 31, v1
	v_and_b32_e32 v5, exec_lo, v5
	v_xor_b32_e32 v30, vcc_hi, v1
	v_xor_b32_e32 v1, vcc_lo, v1
	v_and_b32_e32 v5, v5, v1
	v_lshlrev_b32_e32 v1, 29, v4
	v_cmp_gt_i64_e32 vcc, 0, v[0:1]
	v_not_b32_e32 v1, v1
	v_ashrrev_i32_e32 v1, 31, v1
	v_and_b32_e32 v29, v29, v30
	v_xor_b32_e32 v30, vcc_hi, v1
	v_xor_b32_e32 v1, vcc_lo, v1
	v_and_b32_e32 v5, v5, v1
	v_lshlrev_b32_e32 v1, 28, v4
	v_cmp_gt_i64_e32 vcc, 0, v[0:1]
	v_not_b32_e32 v1, v1
	v_ashrrev_i32_e32 v1, 31, v1
	v_and_b32_e32 v29, v29, v30
	;; [unrolled: 8-line block ×5, first 2 shown]
	v_xor_b32_e32 v30, vcc_hi, v1
	v_xor_b32_e32 v1, vcc_lo, v1
	v_and_b32_e32 v5, v5, v1
	v_lshlrev_b32_e32 v1, 24, v4
	v_cmp_gt_i64_e32 vcc, 0, v[0:1]
	v_not_b32_e32 v0, v1
	v_ashrrev_i32_e32 v0, 31, v0
	v_xor_b32_e32 v1, vcc_hi, v0
	v_xor_b32_e32 v0, vcc_lo, v0
	; wave barrier
	ds_read_b32 v26, v31 offset:64
	v_and_b32_e32 v29, v29, v30
	v_and_b32_e32 v0, v5, v0
	;; [unrolled: 1-line block ×3, first 2 shown]
	v_mbcnt_lo_u32_b32 v4, v0, 0
	v_mbcnt_hi_u32_b32 v29, v1, v4
	v_cmp_eq_u32_e32 vcc, 0, v29
	v_cmp_ne_u64_e64 s[2:3], 0, v[0:1]
	s_and_b64 s[4:5], s[2:3], vcc
	; wave barrier
	s_and_saveexec_b64 s[2:3], s[4:5]
	s_cbranch_execz .LBB1123_95
; %bb.94:
	v_bcnt_u32_b32 v0, v0, 0
	v_bcnt_u32_b32 v0, v1, v0
	s_waitcnt lgkmcnt(0)
	v_add_u32_e32 v0, v26, v0
	ds_write_b32 v31, v0 offset:64
.LBB1123_95:
	s_or_b64 exec, exec, s[2:3]
	s_waitcnt vmcnt(7)
	v_lshrrev_b32_e32 v0, s20, v11
	v_and_b32_e32 v4, s21, v0
	v_and_b32_e32 v1, 1, v4
	v_add_co_u32_e32 v5, vcc, -1, v1
	v_addc_co_u32_e64 v32, s[2:3], 0, -1, vcc
	v_cmp_ne_u32_e32 vcc, 0, v1
	v_lshl_add_u32 v0, v4, 4, v4
	v_xor_b32_e32 v1, vcc_hi, v32
	v_add_lshl_u32 v34, v28, v0, 2
	v_mov_b32_e32 v0, 0
	v_and_b32_e32 v32, exec_hi, v1
	v_lshlrev_b32_e32 v1, 30, v4
	v_xor_b32_e32 v5, vcc_lo, v5
	v_cmp_gt_i64_e32 vcc, 0, v[0:1]
	v_not_b32_e32 v1, v1
	v_ashrrev_i32_e32 v1, 31, v1
	v_and_b32_e32 v5, exec_lo, v5
	v_xor_b32_e32 v33, vcc_hi, v1
	v_xor_b32_e32 v1, vcc_lo, v1
	v_and_b32_e32 v5, v5, v1
	v_lshlrev_b32_e32 v1, 29, v4
	v_cmp_gt_i64_e32 vcc, 0, v[0:1]
	v_not_b32_e32 v1, v1
	v_ashrrev_i32_e32 v1, 31, v1
	v_and_b32_e32 v32, v32, v33
	v_xor_b32_e32 v33, vcc_hi, v1
	v_xor_b32_e32 v1, vcc_lo, v1
	v_and_b32_e32 v5, v5, v1
	v_lshlrev_b32_e32 v1, 28, v4
	v_cmp_gt_i64_e32 vcc, 0, v[0:1]
	v_not_b32_e32 v1, v1
	v_ashrrev_i32_e32 v1, 31, v1
	v_and_b32_e32 v32, v32, v33
	;; [unrolled: 8-line block ×5, first 2 shown]
	v_xor_b32_e32 v33, vcc_hi, v1
	v_xor_b32_e32 v1, vcc_lo, v1
	v_and_b32_e32 v32, v32, v33
	v_and_b32_e32 v33, v5, v1
	v_lshlrev_b32_e32 v1, 24, v4
	v_cmp_gt_i64_e32 vcc, 0, v[0:1]
	v_not_b32_e32 v1, v1
	v_ashrrev_i32_e32 v1, 31, v1
	v_xor_b32_e32 v4, vcc_hi, v1
	v_xor_b32_e32 v1, vcc_lo, v1
	; wave barrier
	ds_read_b32 v30, v34 offset:64
	v_and_b32_e32 v5, v32, v4
	v_and_b32_e32 v4, v33, v1
	v_mbcnt_lo_u32_b32 v1, v4, 0
	v_mbcnt_hi_u32_b32 v32, v5, v1
	v_cmp_eq_u32_e32 vcc, 0, v32
	v_cmp_ne_u64_e64 s[2:3], 0, v[4:5]
	s_and_b64 s[4:5], s[2:3], vcc
	; wave barrier
	s_and_saveexec_b64 s[2:3], s[4:5]
	s_cbranch_execz .LBB1123_97
; %bb.96:
	v_bcnt_u32_b32 v1, v4, 0
	v_bcnt_u32_b32 v1, v5, v1
	s_waitcnt lgkmcnt(0)
	v_add_u32_e32 v1, v30, v1
	ds_write_b32 v34, v1 offset:64
.LBB1123_97:
	s_or_b64 exec, exec, s[2:3]
	s_waitcnt vmcnt(6)
	v_lshrrev_b32_e32 v1, s20, v12
	v_and_b32_e32 v4, s21, v1
	v_lshl_add_u32 v1, v4, 4, v4
	v_add_lshl_u32 v37, v28, v1, 2
	v_and_b32_e32 v1, 1, v4
	v_add_co_u32_e32 v5, vcc, -1, v1
	v_addc_co_u32_e64 v35, s[2:3], 0, -1, vcc
	v_cmp_ne_u32_e32 vcc, 0, v1
	v_xor_b32_e32 v1, vcc_hi, v35
	v_and_b32_e32 v35, exec_hi, v1
	v_lshlrev_b32_e32 v1, 30, v4
	v_xor_b32_e32 v5, vcc_lo, v5
	v_cmp_gt_i64_e32 vcc, 0, v[0:1]
	v_not_b32_e32 v1, v1
	v_ashrrev_i32_e32 v1, 31, v1
	v_and_b32_e32 v5, exec_lo, v5
	v_xor_b32_e32 v36, vcc_hi, v1
	v_xor_b32_e32 v1, vcc_lo, v1
	v_and_b32_e32 v5, v5, v1
	v_lshlrev_b32_e32 v1, 29, v4
	v_cmp_gt_i64_e32 vcc, 0, v[0:1]
	v_not_b32_e32 v1, v1
	v_ashrrev_i32_e32 v1, 31, v1
	v_and_b32_e32 v35, v35, v36
	v_xor_b32_e32 v36, vcc_hi, v1
	v_xor_b32_e32 v1, vcc_lo, v1
	v_and_b32_e32 v5, v5, v1
	v_lshlrev_b32_e32 v1, 28, v4
	v_cmp_gt_i64_e32 vcc, 0, v[0:1]
	v_not_b32_e32 v1, v1
	v_ashrrev_i32_e32 v1, 31, v1
	v_and_b32_e32 v35, v35, v36
	;; [unrolled: 8-line block ×5, first 2 shown]
	v_xor_b32_e32 v36, vcc_hi, v1
	v_xor_b32_e32 v1, vcc_lo, v1
	v_and_b32_e32 v5, v5, v1
	v_lshlrev_b32_e32 v1, 24, v4
	v_cmp_gt_i64_e32 vcc, 0, v[0:1]
	v_not_b32_e32 v0, v1
	v_ashrrev_i32_e32 v0, 31, v0
	v_xor_b32_e32 v1, vcc_hi, v0
	v_xor_b32_e32 v0, vcc_lo, v0
	; wave barrier
	ds_read_b32 v33, v37 offset:64
	v_and_b32_e32 v35, v35, v36
	v_and_b32_e32 v0, v5, v0
	;; [unrolled: 1-line block ×3, first 2 shown]
	v_mbcnt_lo_u32_b32 v4, v0, 0
	v_mbcnt_hi_u32_b32 v35, v1, v4
	v_cmp_eq_u32_e32 vcc, 0, v35
	v_cmp_ne_u64_e64 s[2:3], 0, v[0:1]
	s_and_b64 s[4:5], s[2:3], vcc
	; wave barrier
	s_and_saveexec_b64 s[2:3], s[4:5]
	s_cbranch_execz .LBB1123_99
; %bb.98:
	v_bcnt_u32_b32 v0, v0, 0
	v_bcnt_u32_b32 v0, v1, v0
	s_waitcnt lgkmcnt(0)
	v_add_u32_e32 v0, v33, v0
	ds_write_b32 v37, v0 offset:64
.LBB1123_99:
	s_or_b64 exec, exec, s[2:3]
	s_waitcnt vmcnt(5)
	v_lshrrev_b32_e32 v0, s20, v13
	v_and_b32_e32 v4, s21, v0
	v_and_b32_e32 v1, 1, v4
	v_add_co_u32_e32 v5, vcc, -1, v1
	v_addc_co_u32_e64 v38, s[2:3], 0, -1, vcc
	v_cmp_ne_u32_e32 vcc, 0, v1
	v_lshl_add_u32 v0, v4, 4, v4
	v_xor_b32_e32 v1, vcc_hi, v38
	v_add_lshl_u32 v40, v28, v0, 2
	v_mov_b32_e32 v0, 0
	v_and_b32_e32 v38, exec_hi, v1
	v_lshlrev_b32_e32 v1, 30, v4
	v_xor_b32_e32 v5, vcc_lo, v5
	v_cmp_gt_i64_e32 vcc, 0, v[0:1]
	v_not_b32_e32 v1, v1
	v_ashrrev_i32_e32 v1, 31, v1
	v_and_b32_e32 v5, exec_lo, v5
	v_xor_b32_e32 v39, vcc_hi, v1
	v_xor_b32_e32 v1, vcc_lo, v1
	v_and_b32_e32 v5, v5, v1
	v_lshlrev_b32_e32 v1, 29, v4
	v_cmp_gt_i64_e32 vcc, 0, v[0:1]
	v_not_b32_e32 v1, v1
	v_ashrrev_i32_e32 v1, 31, v1
	v_and_b32_e32 v38, v38, v39
	v_xor_b32_e32 v39, vcc_hi, v1
	v_xor_b32_e32 v1, vcc_lo, v1
	v_and_b32_e32 v5, v5, v1
	v_lshlrev_b32_e32 v1, 28, v4
	v_cmp_gt_i64_e32 vcc, 0, v[0:1]
	v_not_b32_e32 v1, v1
	v_ashrrev_i32_e32 v1, 31, v1
	v_and_b32_e32 v38, v38, v39
	;; [unrolled: 8-line block ×5, first 2 shown]
	v_xor_b32_e32 v39, vcc_hi, v1
	v_xor_b32_e32 v1, vcc_lo, v1
	v_and_b32_e32 v38, v38, v39
	v_and_b32_e32 v39, v5, v1
	v_lshlrev_b32_e32 v1, 24, v4
	v_cmp_gt_i64_e32 vcc, 0, v[0:1]
	v_not_b32_e32 v1, v1
	v_ashrrev_i32_e32 v1, 31, v1
	v_xor_b32_e32 v4, vcc_hi, v1
	v_xor_b32_e32 v1, vcc_lo, v1
	; wave barrier
	ds_read_b32 v36, v40 offset:64
	v_and_b32_e32 v5, v38, v4
	v_and_b32_e32 v4, v39, v1
	v_mbcnt_lo_u32_b32 v1, v4, 0
	v_mbcnt_hi_u32_b32 v38, v5, v1
	v_cmp_eq_u32_e32 vcc, 0, v38
	v_cmp_ne_u64_e64 s[2:3], 0, v[4:5]
	s_and_b64 s[4:5], s[2:3], vcc
	; wave barrier
	s_and_saveexec_b64 s[2:3], s[4:5]
	s_cbranch_execz .LBB1123_101
; %bb.100:
	v_bcnt_u32_b32 v1, v4, 0
	v_bcnt_u32_b32 v1, v5, v1
	s_waitcnt lgkmcnt(0)
	v_add_u32_e32 v1, v36, v1
	ds_write_b32 v40, v1 offset:64
.LBB1123_101:
	s_or_b64 exec, exec, s[2:3]
	s_waitcnt vmcnt(4)
	v_lshrrev_b32_e32 v1, s20, v14
	v_and_b32_e32 v4, s21, v1
	v_lshl_add_u32 v1, v4, 4, v4
	v_add_lshl_u32 v43, v28, v1, 2
	v_and_b32_e32 v1, 1, v4
	v_add_co_u32_e32 v5, vcc, -1, v1
	v_addc_co_u32_e64 v41, s[2:3], 0, -1, vcc
	v_cmp_ne_u32_e32 vcc, 0, v1
	v_xor_b32_e32 v1, vcc_hi, v41
	v_and_b32_e32 v41, exec_hi, v1
	v_lshlrev_b32_e32 v1, 30, v4
	v_xor_b32_e32 v5, vcc_lo, v5
	v_cmp_gt_i64_e32 vcc, 0, v[0:1]
	v_not_b32_e32 v1, v1
	v_ashrrev_i32_e32 v1, 31, v1
	v_and_b32_e32 v5, exec_lo, v5
	v_xor_b32_e32 v42, vcc_hi, v1
	v_xor_b32_e32 v1, vcc_lo, v1
	v_and_b32_e32 v5, v5, v1
	v_lshlrev_b32_e32 v1, 29, v4
	v_cmp_gt_i64_e32 vcc, 0, v[0:1]
	v_not_b32_e32 v1, v1
	v_ashrrev_i32_e32 v1, 31, v1
	v_and_b32_e32 v41, v41, v42
	v_xor_b32_e32 v42, vcc_hi, v1
	v_xor_b32_e32 v1, vcc_lo, v1
	v_and_b32_e32 v5, v5, v1
	v_lshlrev_b32_e32 v1, 28, v4
	v_cmp_gt_i64_e32 vcc, 0, v[0:1]
	v_not_b32_e32 v1, v1
	v_ashrrev_i32_e32 v1, 31, v1
	v_and_b32_e32 v41, v41, v42
	;; [unrolled: 8-line block ×5, first 2 shown]
	v_xor_b32_e32 v42, vcc_hi, v1
	v_xor_b32_e32 v1, vcc_lo, v1
	v_and_b32_e32 v5, v5, v1
	v_lshlrev_b32_e32 v1, 24, v4
	v_cmp_gt_i64_e32 vcc, 0, v[0:1]
	v_not_b32_e32 v0, v1
	v_ashrrev_i32_e32 v0, 31, v0
	v_xor_b32_e32 v1, vcc_hi, v0
	v_xor_b32_e32 v0, vcc_lo, v0
	; wave barrier
	ds_read_b32 v39, v43 offset:64
	v_and_b32_e32 v41, v41, v42
	v_and_b32_e32 v0, v5, v0
	;; [unrolled: 1-line block ×3, first 2 shown]
	v_mbcnt_lo_u32_b32 v4, v0, 0
	v_mbcnt_hi_u32_b32 v41, v1, v4
	v_cmp_eq_u32_e32 vcc, 0, v41
	v_cmp_ne_u64_e64 s[2:3], 0, v[0:1]
	s_and_b64 s[4:5], s[2:3], vcc
	; wave barrier
	s_and_saveexec_b64 s[2:3], s[4:5]
	s_cbranch_execz .LBB1123_103
; %bb.102:
	v_bcnt_u32_b32 v0, v0, 0
	v_bcnt_u32_b32 v0, v1, v0
	s_waitcnt lgkmcnt(0)
	v_add_u32_e32 v0, v39, v0
	ds_write_b32 v43, v0 offset:64
.LBB1123_103:
	s_or_b64 exec, exec, s[2:3]
	s_waitcnt vmcnt(3)
	v_lshrrev_b32_e32 v0, s20, v15
	v_and_b32_e32 v4, s21, v0
	v_and_b32_e32 v1, 1, v4
	v_add_co_u32_e32 v5, vcc, -1, v1
	v_addc_co_u32_e64 v44, s[2:3], 0, -1, vcc
	v_cmp_ne_u32_e32 vcc, 0, v1
	v_lshl_add_u32 v0, v4, 4, v4
	v_xor_b32_e32 v1, vcc_hi, v44
	v_add_lshl_u32 v46, v28, v0, 2
	v_mov_b32_e32 v0, 0
	v_and_b32_e32 v44, exec_hi, v1
	v_lshlrev_b32_e32 v1, 30, v4
	v_xor_b32_e32 v5, vcc_lo, v5
	v_cmp_gt_i64_e32 vcc, 0, v[0:1]
	v_not_b32_e32 v1, v1
	v_ashrrev_i32_e32 v1, 31, v1
	v_and_b32_e32 v5, exec_lo, v5
	v_xor_b32_e32 v45, vcc_hi, v1
	v_xor_b32_e32 v1, vcc_lo, v1
	v_and_b32_e32 v5, v5, v1
	v_lshlrev_b32_e32 v1, 29, v4
	v_cmp_gt_i64_e32 vcc, 0, v[0:1]
	v_not_b32_e32 v1, v1
	v_ashrrev_i32_e32 v1, 31, v1
	v_and_b32_e32 v44, v44, v45
	v_xor_b32_e32 v45, vcc_hi, v1
	v_xor_b32_e32 v1, vcc_lo, v1
	v_and_b32_e32 v5, v5, v1
	v_lshlrev_b32_e32 v1, 28, v4
	v_cmp_gt_i64_e32 vcc, 0, v[0:1]
	v_not_b32_e32 v1, v1
	v_ashrrev_i32_e32 v1, 31, v1
	v_and_b32_e32 v44, v44, v45
	;; [unrolled: 8-line block ×5, first 2 shown]
	v_xor_b32_e32 v45, vcc_hi, v1
	v_xor_b32_e32 v1, vcc_lo, v1
	v_and_b32_e32 v44, v44, v45
	v_and_b32_e32 v45, v5, v1
	v_lshlrev_b32_e32 v1, 24, v4
	v_cmp_gt_i64_e32 vcc, 0, v[0:1]
	v_not_b32_e32 v1, v1
	v_ashrrev_i32_e32 v1, 31, v1
	v_xor_b32_e32 v4, vcc_hi, v1
	v_xor_b32_e32 v1, vcc_lo, v1
	; wave barrier
	ds_read_b32 v42, v46 offset:64
	v_and_b32_e32 v5, v44, v4
	v_and_b32_e32 v4, v45, v1
	v_mbcnt_lo_u32_b32 v1, v4, 0
	v_mbcnt_hi_u32_b32 v44, v5, v1
	v_cmp_eq_u32_e32 vcc, 0, v44
	v_cmp_ne_u64_e64 s[2:3], 0, v[4:5]
	s_and_b64 s[4:5], s[2:3], vcc
	; wave barrier
	s_and_saveexec_b64 s[2:3], s[4:5]
	s_cbranch_execz .LBB1123_105
; %bb.104:
	v_bcnt_u32_b32 v1, v4, 0
	v_bcnt_u32_b32 v1, v5, v1
	s_waitcnt lgkmcnt(0)
	v_add_u32_e32 v1, v42, v1
	ds_write_b32 v46, v1 offset:64
.LBB1123_105:
	s_or_b64 exec, exec, s[2:3]
	s_waitcnt vmcnt(2)
	v_lshrrev_b32_e32 v1, s20, v16
	v_and_b32_e32 v4, s21, v1
	v_lshl_add_u32 v1, v4, 4, v4
	v_add_lshl_u32 v49, v28, v1, 2
	v_and_b32_e32 v1, 1, v4
	v_add_co_u32_e32 v5, vcc, -1, v1
	v_addc_co_u32_e64 v47, s[2:3], 0, -1, vcc
	v_cmp_ne_u32_e32 vcc, 0, v1
	v_xor_b32_e32 v1, vcc_hi, v47
	v_and_b32_e32 v47, exec_hi, v1
	v_lshlrev_b32_e32 v1, 30, v4
	v_xor_b32_e32 v5, vcc_lo, v5
	v_cmp_gt_i64_e32 vcc, 0, v[0:1]
	v_not_b32_e32 v1, v1
	v_ashrrev_i32_e32 v1, 31, v1
	v_and_b32_e32 v5, exec_lo, v5
	v_xor_b32_e32 v48, vcc_hi, v1
	v_xor_b32_e32 v1, vcc_lo, v1
	v_and_b32_e32 v5, v5, v1
	v_lshlrev_b32_e32 v1, 29, v4
	v_cmp_gt_i64_e32 vcc, 0, v[0:1]
	v_not_b32_e32 v1, v1
	v_ashrrev_i32_e32 v1, 31, v1
	v_and_b32_e32 v47, v47, v48
	v_xor_b32_e32 v48, vcc_hi, v1
	v_xor_b32_e32 v1, vcc_lo, v1
	v_and_b32_e32 v5, v5, v1
	v_lshlrev_b32_e32 v1, 28, v4
	v_cmp_gt_i64_e32 vcc, 0, v[0:1]
	v_not_b32_e32 v1, v1
	v_ashrrev_i32_e32 v1, 31, v1
	v_and_b32_e32 v47, v47, v48
	;; [unrolled: 8-line block ×5, first 2 shown]
	v_xor_b32_e32 v48, vcc_hi, v1
	v_xor_b32_e32 v1, vcc_lo, v1
	v_and_b32_e32 v5, v5, v1
	v_lshlrev_b32_e32 v1, 24, v4
	v_cmp_gt_i64_e32 vcc, 0, v[0:1]
	v_not_b32_e32 v0, v1
	v_ashrrev_i32_e32 v0, 31, v0
	v_xor_b32_e32 v1, vcc_hi, v0
	v_xor_b32_e32 v0, vcc_lo, v0
	; wave barrier
	ds_read_b32 v45, v49 offset:64
	v_and_b32_e32 v47, v47, v48
	v_and_b32_e32 v0, v5, v0
	;; [unrolled: 1-line block ×3, first 2 shown]
	v_mbcnt_lo_u32_b32 v4, v0, 0
	v_mbcnt_hi_u32_b32 v47, v1, v4
	v_cmp_eq_u32_e32 vcc, 0, v47
	v_cmp_ne_u64_e64 s[2:3], 0, v[0:1]
	s_and_b64 s[4:5], s[2:3], vcc
	; wave barrier
	s_and_saveexec_b64 s[2:3], s[4:5]
	s_cbranch_execz .LBB1123_107
; %bb.106:
	v_bcnt_u32_b32 v0, v0, 0
	v_bcnt_u32_b32 v0, v1, v0
	s_waitcnt lgkmcnt(0)
	v_add_u32_e32 v0, v45, v0
	ds_write_b32 v49, v0 offset:64
.LBB1123_107:
	s_or_b64 exec, exec, s[2:3]
	s_waitcnt vmcnt(1)
	v_lshrrev_b32_e32 v0, s20, v17
	v_and_b32_e32 v4, s21, v0
	v_and_b32_e32 v1, 1, v4
	v_add_co_u32_e32 v5, vcc, -1, v1
	v_addc_co_u32_e64 v50, s[2:3], 0, -1, vcc
	v_cmp_ne_u32_e32 vcc, 0, v1
	v_lshl_add_u32 v0, v4, 4, v4
	v_xor_b32_e32 v1, vcc_hi, v50
	v_add_lshl_u32 v51, v28, v0, 2
	v_mov_b32_e32 v0, 0
	v_and_b32_e32 v50, exec_hi, v1
	v_lshlrev_b32_e32 v1, 30, v4
	v_xor_b32_e32 v5, vcc_lo, v5
	v_cmp_gt_i64_e32 vcc, 0, v[0:1]
	v_not_b32_e32 v1, v1
	v_ashrrev_i32_e32 v1, 31, v1
	v_and_b32_e32 v5, exec_lo, v5
	v_xor_b32_e32 v52, vcc_hi, v1
	v_xor_b32_e32 v1, vcc_lo, v1
	v_and_b32_e32 v5, v5, v1
	v_lshlrev_b32_e32 v1, 29, v4
	v_cmp_gt_i64_e32 vcc, 0, v[0:1]
	v_not_b32_e32 v1, v1
	v_ashrrev_i32_e32 v1, 31, v1
	v_and_b32_e32 v50, v50, v52
	v_xor_b32_e32 v52, vcc_hi, v1
	v_xor_b32_e32 v1, vcc_lo, v1
	v_and_b32_e32 v5, v5, v1
	v_lshlrev_b32_e32 v1, 28, v4
	v_cmp_gt_i64_e32 vcc, 0, v[0:1]
	v_not_b32_e32 v1, v1
	v_ashrrev_i32_e32 v1, 31, v1
	v_and_b32_e32 v50, v50, v52
	;; [unrolled: 8-line block ×5, first 2 shown]
	v_xor_b32_e32 v52, vcc_hi, v1
	v_xor_b32_e32 v1, vcc_lo, v1
	v_and_b32_e32 v50, v50, v52
	v_and_b32_e32 v52, v5, v1
	v_lshlrev_b32_e32 v1, 24, v4
	v_cmp_gt_i64_e32 vcc, 0, v[0:1]
	v_not_b32_e32 v1, v1
	v_ashrrev_i32_e32 v1, 31, v1
	v_xor_b32_e32 v4, vcc_hi, v1
	v_xor_b32_e32 v1, vcc_lo, v1
	; wave barrier
	ds_read_b32 v48, v51 offset:64
	v_and_b32_e32 v5, v50, v4
	v_and_b32_e32 v4, v52, v1
	v_mbcnt_lo_u32_b32 v1, v4, 0
	v_mbcnt_hi_u32_b32 v50, v5, v1
	v_cmp_eq_u32_e32 vcc, 0, v50
	v_cmp_ne_u64_e64 s[2:3], 0, v[4:5]
	s_and_b64 s[4:5], s[2:3], vcc
	; wave barrier
	s_and_saveexec_b64 s[2:3], s[4:5]
	s_cbranch_execz .LBB1123_109
; %bb.108:
	v_bcnt_u32_b32 v1, v4, 0
	v_bcnt_u32_b32 v1, v5, v1
	s_waitcnt lgkmcnt(0)
	v_add_u32_e32 v1, v48, v1
	ds_write_b32 v51, v1 offset:64
.LBB1123_109:
	s_or_b64 exec, exec, s[2:3]
	s_waitcnt vmcnt(0)
	v_lshrrev_b32_e32 v1, s20, v18
	v_and_b32_e32 v4, s21, v1
	v_lshl_add_u32 v1, v4, 4, v4
	v_add_lshl_u32 v53, v28, v1, 2
	v_and_b32_e32 v1, 1, v4
	v_add_co_u32_e32 v5, vcc, -1, v1
	v_addc_co_u32_e64 v52, s[2:3], 0, -1, vcc
	v_cmp_ne_u32_e32 vcc, 0, v1
	v_xor_b32_e32 v1, vcc_hi, v52
	v_and_b32_e32 v52, exec_hi, v1
	v_lshlrev_b32_e32 v1, 30, v4
	v_xor_b32_e32 v5, vcc_lo, v5
	v_cmp_gt_i64_e32 vcc, 0, v[0:1]
	v_not_b32_e32 v1, v1
	v_ashrrev_i32_e32 v1, 31, v1
	v_and_b32_e32 v5, exec_lo, v5
	v_xor_b32_e32 v55, vcc_hi, v1
	v_xor_b32_e32 v1, vcc_lo, v1
	v_and_b32_e32 v5, v5, v1
	v_lshlrev_b32_e32 v1, 29, v4
	v_cmp_gt_i64_e32 vcc, 0, v[0:1]
	v_not_b32_e32 v1, v1
	v_ashrrev_i32_e32 v1, 31, v1
	v_and_b32_e32 v52, v52, v55
	v_xor_b32_e32 v55, vcc_hi, v1
	v_xor_b32_e32 v1, vcc_lo, v1
	v_and_b32_e32 v5, v5, v1
	v_lshlrev_b32_e32 v1, 28, v4
	v_cmp_gt_i64_e32 vcc, 0, v[0:1]
	v_not_b32_e32 v1, v1
	v_ashrrev_i32_e32 v1, 31, v1
	v_and_b32_e32 v52, v52, v55
	;; [unrolled: 8-line block ×5, first 2 shown]
	v_xor_b32_e32 v55, vcc_hi, v1
	v_xor_b32_e32 v1, vcc_lo, v1
	v_and_b32_e32 v5, v5, v1
	v_lshlrev_b32_e32 v1, 24, v4
	v_cmp_gt_i64_e32 vcc, 0, v[0:1]
	v_not_b32_e32 v0, v1
	v_ashrrev_i32_e32 v0, 31, v0
	v_xor_b32_e32 v1, vcc_hi, v0
	v_xor_b32_e32 v0, vcc_lo, v0
	; wave barrier
	ds_read_b32 v28, v53 offset:64
	v_and_b32_e32 v52, v52, v55
	v_and_b32_e32 v0, v5, v0
	;; [unrolled: 1-line block ×3, first 2 shown]
	v_mbcnt_lo_u32_b32 v4, v0, 0
	v_mbcnt_hi_u32_b32 v52, v1, v4
	v_cmp_eq_u32_e32 vcc, 0, v52
	v_cmp_ne_u64_e64 s[2:3], 0, v[0:1]
	v_add_u32_e32 v54, 64, v7
	s_and_b64 s[4:5], s[2:3], vcc
	; wave barrier
	s_and_saveexec_b64 s[2:3], s[4:5]
	s_cbranch_execz .LBB1123_111
; %bb.110:
	v_bcnt_u32_b32 v0, v0, 0
	v_bcnt_u32_b32 v0, v1, v0
	s_waitcnt lgkmcnt(0)
	v_add_u32_e32 v0, v28, v0
	ds_write_b32 v53, v0 offset:64
.LBB1123_111:
	s_or_b64 exec, exec, s[2:3]
	; wave barrier
	s_waitcnt lgkmcnt(0)
	s_barrier
	ds_read2_b32 v[4:5], v7 offset0:16 offset1:17
	ds_read2_b32 v[0:1], v54 offset0:2 offset1:3
	ds_read_b32 v55, v54 offset:16
	v_cmp_lt_u32_e64 s[8:9], 31, v6
	s_waitcnt lgkmcnt(1)
	v_add3_u32 v56, v5, v4, v0
	s_waitcnt lgkmcnt(0)
	v_add3_u32 v55, v56, v1, v55
	v_and_b32_e32 v56, 15, v6
	v_cmp_eq_u32_e32 vcc, 0, v56
	v_mov_b32_dpp v57, v55 row_shr:1 row_mask:0xf bank_mask:0xf
	v_cndmask_b32_e64 v57, v57, 0, vcc
	v_add_u32_e32 v55, v57, v55
	v_cmp_lt_u32_e64 s[2:3], 1, v56
	v_cmp_lt_u32_e64 s[4:5], 3, v56
	v_mov_b32_dpp v57, v55 row_shr:2 row_mask:0xf bank_mask:0xf
	v_cndmask_b32_e64 v57, 0, v57, s[2:3]
	v_add_u32_e32 v55, v55, v57
	v_cmp_lt_u32_e64 s[6:7], 7, v56
	s_nop 0
	v_mov_b32_dpp v57, v55 row_shr:4 row_mask:0xf bank_mask:0xf
	v_cndmask_b32_e64 v57, 0, v57, s[4:5]
	v_add_u32_e32 v55, v55, v57
	s_nop 1
	v_mov_b32_dpp v57, v55 row_shr:8 row_mask:0xf bank_mask:0xf
	v_cndmask_b32_e64 v56, 0, v57, s[6:7]
	v_add_u32_e32 v55, v55, v56
	v_bfe_i32 v57, v6, 4, 1
	s_nop 0
	v_mov_b32_dpp v56, v55 row_bcast:15 row_mask:0xf bank_mask:0xf
	v_and_b32_e32 v56, v57, v56
	v_add_u32_e32 v55, v55, v56
	v_and_b32_e32 v57, 63, v2
	s_nop 0
	v_mov_b32_dpp v56, v55 row_bcast:31 row_mask:0xf bank_mask:0xf
	v_cndmask_b32_e64 v56, 0, v56, s[8:9]
	v_add_u32_e32 v55, v55, v56
	v_lshrrev_b32_e32 v56, 6, v2
	v_cmp_eq_u32_e64 s[8:9], 63, v57
	s_and_saveexec_b64 s[12:13], s[8:9]
	s_cbranch_execz .LBB1123_113
; %bb.112:
	v_lshlrev_b32_e32 v57, 2, v56
	ds_write_b32 v57, v55
.LBB1123_113:
	s_or_b64 exec, exec, s[12:13]
	v_cmp_gt_u32_e64 s[8:9], 16, v2
	s_waitcnt lgkmcnt(0)
	s_barrier
	s_and_saveexec_b64 s[12:13], s[8:9]
	s_cbranch_execz .LBB1123_115
; %bb.114:
	v_lshlrev_b32_e32 v57, 2, v2
	ds_read_b32 v58, v57
	s_waitcnt lgkmcnt(0)
	s_nop 0
	v_mov_b32_dpp v59, v58 row_shr:1 row_mask:0xf bank_mask:0xf
	v_cndmask_b32_e64 v59, v59, 0, vcc
	v_add_u32_e32 v58, v59, v58
	s_nop 1
	v_mov_b32_dpp v59, v58 row_shr:2 row_mask:0xf bank_mask:0xf
	v_cndmask_b32_e64 v59, 0, v59, s[2:3]
	v_add_u32_e32 v58, v58, v59
	s_nop 1
	v_mov_b32_dpp v59, v58 row_shr:4 row_mask:0xf bank_mask:0xf
	v_cndmask_b32_e64 v59, 0, v59, s[4:5]
	;; [unrolled: 4-line block ×3, first 2 shown]
	v_add_u32_e32 v58, v58, v59
	ds_write_b32 v57, v58
.LBB1123_115:
	s_or_b64 exec, exec, s[12:13]
	v_cmp_lt_u32_e32 vcc, 63, v2
	v_mov_b32_e32 v57, 0
	s_waitcnt lgkmcnt(0)
	s_barrier
	s_and_saveexec_b64 s[2:3], vcc
	s_cbranch_execz .LBB1123_117
; %bb.116:
	v_lshl_add_u32 v56, v56, 2, -4
	ds_read_b32 v57, v56
.LBB1123_117:
	s_or_b64 exec, exec, s[2:3]
	v_add_u32_e32 v56, -1, v6
	v_and_b32_e32 v58, 64, v6
	v_cmp_lt_i32_e32 vcc, v56, v58
	v_cndmask_b32_e32 v56, v56, v6, vcc
	s_waitcnt lgkmcnt(0)
	v_add_u32_e32 v55, v57, v55
	v_lshlrev_b32_e32 v56, 2, v56
	ds_bpermute_b32 v55, v56, v55
	v_cmp_eq_u32_e32 vcc, 0, v6
	s_waitcnt lgkmcnt(0)
	v_cndmask_b32_e32 v6, v55, v57, vcc
	v_cndmask_b32_e64 v6, v6, 0, s[0:1]
	v_add_u32_e32 v4, v6, v4
	v_add_u32_e32 v5, v4, v5
	;; [unrolled: 1-line block ×4, first 2 shown]
	ds_write2_b32 v7, v6, v4 offset0:16 offset1:17
	ds_write2_b32 v54, v5, v0 offset0:2 offset1:3
	ds_write_b32 v54, v1 offset:16
	s_waitcnt lgkmcnt(0)
	s_barrier
	ds_read_b32 v58, v22 offset:64
	ds_read_b32 v54, v24 offset:64
	ds_read_b32 v55, v27 offset:64
	ds_read_b32 v56, v31 offset:64
	ds_read_b32 v57, v34 offset:64
	ds_read_b32 v37, v37 offset:64
	ds_read_b32 v34, v40 offset:64
	ds_read_b32 v31, v43 offset:64
	ds_read_b32 v40, v46 offset:64
	ds_read_b32 v27, v49 offset:64
	ds_read_b32 v43, v51 offset:64
	ds_read_b32 v46, v53 offset:64
	s_movk_i32 s0, 0x100
	v_cmp_gt_u32_e32 vcc, s0, v2
                                        ; implicit-def: $vgpr22
                                        ; implicit-def: $vgpr24
	s_and_saveexec_b64 s[2:3], vcc
	s_cbranch_execz .LBB1123_121
; %bb.118:
	v_mul_u32_u24_e32 v0, 17, v2
	v_lshlrev_b32_e32 v1, 2, v0
	ds_read_b32 v22, v1 offset:64
	s_movk_i32 s0, 0xff
	v_cmp_ne_u32_e64 s[0:1], s0, v2
	v_mov_b32_e32 v0, 0x3000
	s_and_saveexec_b64 s[4:5], s[0:1]
	s_cbranch_execz .LBB1123_120
; %bb.119:
	ds_read_b32 v0, v1 offset:132
.LBB1123_120:
	s_or_b64 exec, exec, s[4:5]
	s_waitcnt lgkmcnt(0)
	v_sub_u32_e32 v24, v0, v22
.LBB1123_121:
	s_or_b64 exec, exec, s[2:3]
	s_waitcnt lgkmcnt(0)
	s_barrier
	s_and_saveexec_b64 s[2:3], vcc
	s_cbranch_execz .LBB1123_131
; %bb.122:
	v_lshl_or_b32 v0, s30, 8, v2
	v_mov_b32_e32 v1, 0
	v_lshlrev_b64 v[4:5], 2, v[0:1]
	v_mov_b32_e32 v49, s15
	v_add_co_u32_e64 v4, s[0:1], s14, v4
	v_addc_co_u32_e64 v5, s[0:1], v49, v5, s[0:1]
	v_or_b32_e32 v0, 2.0, v24
	s_mov_b64 s[4:5], 0
	s_brev_b32 s12, 1
	s_mov_b32 s13, s30
	v_mov_b32_e32 v51, 0
	global_store_dword v[4:5], v0, off
                                        ; implicit-def: $sgpr0_sgpr1
	s_branch .LBB1123_125
.LBB1123_123:                           ;   in Loop: Header=BB1123_125 Depth=1
	s_or_b64 exec, exec, s[8:9]
.LBB1123_124:                           ;   in Loop: Header=BB1123_125 Depth=1
	s_or_b64 exec, exec, s[6:7]
	v_and_b32_e32 v6, 0x3fffffff, v53
	v_add_u32_e32 v51, v6, v51
	v_cmp_eq_u32_e64 s[0:1], s12, v0
	s_and_b64 s[6:7], exec, s[0:1]
	s_or_b64 s[4:5], s[6:7], s[4:5]
	s_andn2_b64 exec, exec, s[4:5]
	s_cbranch_execz .LBB1123_130
.LBB1123_125:                           ; =>This Loop Header: Depth=1
                                        ;     Child Loop BB1123_128 Depth 2
	s_or_b64 s[0:1], s[0:1], exec
	s_cmp_eq_u32 s13, 0
	s_cbranch_scc1 .LBB1123_129
; %bb.126:                              ;   in Loop: Header=BB1123_125 Depth=1
	s_add_i32 s13, s13, -1
	v_lshl_or_b32 v0, s13, 8, v2
	v_lshlrev_b64 v[6:7], 2, v[0:1]
	v_add_co_u32_e64 v6, s[0:1], s14, v6
	v_addc_co_u32_e64 v7, s[0:1], v49, v7, s[0:1]
	global_load_dword v53, v[6:7], off glc
	s_waitcnt vmcnt(0)
	v_and_b32_e32 v0, -2.0, v53
	v_cmp_eq_u32_e64 s[0:1], 0, v0
	s_and_saveexec_b64 s[6:7], s[0:1]
	s_cbranch_execz .LBB1123_124
; %bb.127:                              ;   in Loop: Header=BB1123_125 Depth=1
	s_mov_b64 s[8:9], 0
.LBB1123_128:                           ;   Parent Loop BB1123_125 Depth=1
                                        ; =>  This Inner Loop Header: Depth=2
	global_load_dword v53, v[6:7], off glc
	s_waitcnt vmcnt(0)
	v_and_b32_e32 v0, -2.0, v53
	v_cmp_ne_u32_e64 s[0:1], 0, v0
	s_or_b64 s[8:9], s[0:1], s[8:9]
	s_andn2_b64 exec, exec, s[8:9]
	s_cbranch_execnz .LBB1123_128
	s_branch .LBB1123_123
.LBB1123_129:                           ;   in Loop: Header=BB1123_125 Depth=1
                                        ; implicit-def: $sgpr13
	s_and_b64 s[6:7], exec, s[0:1]
	s_or_b64 s[4:5], s[6:7], s[4:5]
	s_andn2_b64 exec, exec, s[4:5]
	s_cbranch_execnz .LBB1123_125
.LBB1123_130:
	s_or_b64 exec, exec, s[4:5]
	v_add_u32_e32 v0, v51, v24
	v_or_b32_e32 v0, 0x80000000, v0
	global_store_dword v[4:5], v0, off
	v_lshlrev_b32_e32 v0, 2, v2
	global_load_dword v1, v0, s[16:17]
	v_sub_u32_e32 v4, v51, v22
	s_waitcnt vmcnt(0)
	v_add_u32_e32 v1, v4, v1
	ds_write_b32 v0, v1
.LBB1123_131:
	s_or_b64 exec, exec, s[2:3]
	v_lshlrev_b32_e32 v5, 2, v2
	v_add_u32_e32 v4, v58, v19
	s_movk_i32 s2, 0x400
	v_add_u32_e32 v6, 0x400, v5
	v_add3_u32 v7, v52, v46, v28
	v_add3_u32 v19, v50, v43, v48
	v_add3_u32 v27, v47, v27, v45
	v_add3_u32 v28, v44, v40, v42
	v_add3_u32 v31, v41, v31, v39
	v_add3_u32 v34, v38, v34, v36
	v_add3_u32 v33, v35, v37, v33
	v_add3_u32 v30, v32, v57, v30
	v_add3_u32 v26, v29, v56, v26
	v_add3_u32 v23, v25, v55, v23
	v_add3_u32 v20, v21, v54, v20
	s_mov_b32 s3, 0
	v_mov_b32_e32 v21, s27
	s_movk_i32 s4, 0x800
	s_movk_i32 s5, 0xc00
	v_mov_b32_e32 v1, 0
	v_mov_b32_e32 v25, v2
.LBB1123_132:                           ; =>This Inner Loop Header: Depth=1
	v_add_u32_e32 v0, s3, v4
	v_add_u32_e32 v29, s3, v20
	;; [unrolled: 1-line block ×12, first 2 shown]
	v_min_u32_e32 v0, 0x1000, v0
	v_min_u32_e32 v29, 0x1000, v29
	;; [unrolled: 1-line block ×12, first 2 shown]
	v_lshlrev_b32_e32 v0, 2, v0
	v_lshlrev_b32_e32 v29, 2, v29
	;; [unrolled: 1-line block ×12, first 2 shown]
	ds_write_b32 v0, v3 offset:1024
	ds_write_b32 v29, v8 offset:1024
	;; [unrolled: 1-line block ×12, first 2 shown]
	s_waitcnt lgkmcnt(0)
	s_barrier
	ds_read2st64_b32 v[36:37], v6 offset0:16 offset1:32
	ds_read_b32 v29, v5 offset:1024
	s_addk_i32 s3, 0xf000
	s_cmpk_lg_i32 s3, 0xd000
	s_waitcnt lgkmcnt(1)
	v_lshrrev_b32_e32 v0, s20, v36
	v_and_b32_e32 v0, s21, v0
	v_lshlrev_b32_e32 v0, 2, v0
	v_lshrrev_b32_e32 v32, s20, v37
	ds_read_b32 v35, v0
	ds_read_b32 v42, v6 offset:12288
	s_waitcnt lgkmcnt(2)
	v_lshrrev_b32_e32 v0, s20, v29
	v_and_b32_e32 v32, s21, v32
	v_and_b32_e32 v0, s21, v0
	v_lshlrev_b32_e32 v32, 2, v32
	v_lshlrev_b32_e32 v0, 2, v0
	ds_read_b32 v0, v0
	ds_read_b32 v32, v32
	s_waitcnt lgkmcnt(2)
	v_lshrrev_b32_e32 v38, s20, v42
	v_and_b32_e32 v38, s21, v38
	v_lshlrev_b32_e32 v38, 2, v38
	s_waitcnt lgkmcnt(1)
	v_add_u32_e32 v0, v25, v0
	ds_read_b32 v43, v38
	v_lshlrev_b64 v[38:39], 2, v[0:1]
	v_add3_u32 v0, v25, v35, s2
	v_add_co_u32_e64 v38, s[0:1], s26, v38
	v_addc_co_u32_e64 v39, s[0:1], v21, v39, s[0:1]
	v_lshlrev_b64 v[40:41], 2, v[0:1]
	s_waitcnt lgkmcnt(1)
	v_add3_u32 v0, v25, v32, s4
	global_store_dword v[38:39], v29, off
	v_add_co_u32_e64 v38, s[0:1], s26, v40
	v_addc_co_u32_e64 v39, s[0:1], v21, v41, s[0:1]
	v_lshlrev_b64 v[40:41], 2, v[0:1]
	global_store_dword v[38:39], v36, off
	v_add_co_u32_e64 v38, s[0:1], s26, v40
	v_addc_co_u32_e64 v39, s[0:1], v21, v41, s[0:1]
	s_waitcnt lgkmcnt(0)
	v_add3_u32 v0, v25, v43, s5
	global_store_dword v[38:39], v37, off
	v_lshlrev_b64 v[36:37], 2, v[0:1]
	v_add_co_u32_e64 v36, s[0:1], s26, v36
	v_add_u32_e32 v25, 0x1000, v25
	v_addc_co_u32_e64 v37, s[0:1], v21, v37, s[0:1]
	global_store_dword v[36:37], v42, off
	s_barrier
	s_cbranch_scc1 .LBB1123_132
; %bb.133:
	s_add_i32 s22, s22, -1
	s_cmp_eq_u32 s22, s30
	s_cselect_b64 s[0:1], -1, 0
	s_and_b64 s[2:3], vcc, s[0:1]
                                        ; implicit-def: $vgpr3
	s_and_saveexec_b64 s[0:1], s[2:3]
; %bb.134:
	v_add_u32_e32 v3, v22, v24
	s_or_b64 s[10:11], s[10:11], exec
; %bb.135:
	s_or_b64 exec, exec, s[0:1]
.LBB1123_136:
	s_and_saveexec_b64 s[0:1], s[10:11]
	s_cbranch_execnz .LBB1123_138
; %bb.137:
	s_endpgm
.LBB1123_138:
	v_lshlrev_b32_e32 v0, 2, v2
	ds_read_b32 v1, v0
	s_waitcnt lgkmcnt(0)
	v_add_u32_e32 v1, v1, v3
	global_store_dword v0, v1, s[18:19]
	s_endpgm
	.section	.rodata,"a",@progbits
	.p2align	6, 0x0
	.amdhsa_kernel _ZN7rocprim17ROCPRIM_400000_NS6detail17trampoline_kernelINS0_14default_configENS1_35radix_sort_onesweep_config_selectorIjNS0_10empty_typeEEEZZNS1_29radix_sort_onesweep_iterationIS3_Lb0EN6thrust23THRUST_200600_302600_NS6detail15normal_iteratorINS9_10device_ptrIjEEEESE_PS5_SF_jNS0_19identity_decomposerENS1_16block_id_wrapperIjLb1EEEEE10hipError_tT1_PNSt15iterator_traitsISK_E10value_typeET2_T3_PNSL_ISQ_E10value_typeET4_T5_PSV_SW_PNS1_23onesweep_lookback_stateEbbT6_jjT7_P12ihipStream_tbENKUlT_T0_SK_SP_E_clIPjSE_SF_SF_EEDaS13_S14_SK_SP_EUlS13_E_NS1_11comp_targetILNS1_3genE4ELNS1_11target_archE910ELNS1_3gpuE8ELNS1_3repE0EEENS1_47radix_sort_onesweep_sort_config_static_selectorELNS0_4arch9wavefront6targetE1EEEvSK_
		.amdhsa_group_segment_fixed_size 20552
		.amdhsa_private_segment_fixed_size 0
		.amdhsa_kernarg_size 344
		.amdhsa_user_sgpr_count 6
		.amdhsa_user_sgpr_private_segment_buffer 1
		.amdhsa_user_sgpr_dispatch_ptr 0
		.amdhsa_user_sgpr_queue_ptr 0
		.amdhsa_user_sgpr_kernarg_segment_ptr 1
		.amdhsa_user_sgpr_dispatch_id 0
		.amdhsa_user_sgpr_flat_scratch_init 0
		.amdhsa_user_sgpr_kernarg_preload_length 0
		.amdhsa_user_sgpr_kernarg_preload_offset 0
		.amdhsa_user_sgpr_private_segment_size 0
		.amdhsa_uses_dynamic_stack 0
		.amdhsa_system_sgpr_private_segment_wavefront_offset 0
		.amdhsa_system_sgpr_workgroup_id_x 1
		.amdhsa_system_sgpr_workgroup_id_y 0
		.amdhsa_system_sgpr_workgroup_id_z 0
		.amdhsa_system_sgpr_workgroup_info 0
		.amdhsa_system_vgpr_workitem_id 2
		.amdhsa_next_free_vgpr 62
		.amdhsa_next_free_sgpr 35
		.amdhsa_accum_offset 64
		.amdhsa_reserve_vcc 1
		.amdhsa_reserve_flat_scratch 0
		.amdhsa_float_round_mode_32 0
		.amdhsa_float_round_mode_16_64 0
		.amdhsa_float_denorm_mode_32 3
		.amdhsa_float_denorm_mode_16_64 3
		.amdhsa_dx10_clamp 1
		.amdhsa_ieee_mode 1
		.amdhsa_fp16_overflow 0
		.amdhsa_tg_split 0
		.amdhsa_exception_fp_ieee_invalid_op 0
		.amdhsa_exception_fp_denorm_src 0
		.amdhsa_exception_fp_ieee_div_zero 0
		.amdhsa_exception_fp_ieee_overflow 0
		.amdhsa_exception_fp_ieee_underflow 0
		.amdhsa_exception_fp_ieee_inexact 0
		.amdhsa_exception_int_div_zero 0
	.end_amdhsa_kernel
	.section	.text._ZN7rocprim17ROCPRIM_400000_NS6detail17trampoline_kernelINS0_14default_configENS1_35radix_sort_onesweep_config_selectorIjNS0_10empty_typeEEEZZNS1_29radix_sort_onesweep_iterationIS3_Lb0EN6thrust23THRUST_200600_302600_NS6detail15normal_iteratorINS9_10device_ptrIjEEEESE_PS5_SF_jNS0_19identity_decomposerENS1_16block_id_wrapperIjLb1EEEEE10hipError_tT1_PNSt15iterator_traitsISK_E10value_typeET2_T3_PNSL_ISQ_E10value_typeET4_T5_PSV_SW_PNS1_23onesweep_lookback_stateEbbT6_jjT7_P12ihipStream_tbENKUlT_T0_SK_SP_E_clIPjSE_SF_SF_EEDaS13_S14_SK_SP_EUlS13_E_NS1_11comp_targetILNS1_3genE4ELNS1_11target_archE910ELNS1_3gpuE8ELNS1_3repE0EEENS1_47radix_sort_onesweep_sort_config_static_selectorELNS0_4arch9wavefront6targetE1EEEvSK_,"axG",@progbits,_ZN7rocprim17ROCPRIM_400000_NS6detail17trampoline_kernelINS0_14default_configENS1_35radix_sort_onesweep_config_selectorIjNS0_10empty_typeEEEZZNS1_29radix_sort_onesweep_iterationIS3_Lb0EN6thrust23THRUST_200600_302600_NS6detail15normal_iteratorINS9_10device_ptrIjEEEESE_PS5_SF_jNS0_19identity_decomposerENS1_16block_id_wrapperIjLb1EEEEE10hipError_tT1_PNSt15iterator_traitsISK_E10value_typeET2_T3_PNSL_ISQ_E10value_typeET4_T5_PSV_SW_PNS1_23onesweep_lookback_stateEbbT6_jjT7_P12ihipStream_tbENKUlT_T0_SK_SP_E_clIPjSE_SF_SF_EEDaS13_S14_SK_SP_EUlS13_E_NS1_11comp_targetILNS1_3genE4ELNS1_11target_archE910ELNS1_3gpuE8ELNS1_3repE0EEENS1_47radix_sort_onesweep_sort_config_static_selectorELNS0_4arch9wavefront6targetE1EEEvSK_,comdat
.Lfunc_end1123:
	.size	_ZN7rocprim17ROCPRIM_400000_NS6detail17trampoline_kernelINS0_14default_configENS1_35radix_sort_onesweep_config_selectorIjNS0_10empty_typeEEEZZNS1_29radix_sort_onesweep_iterationIS3_Lb0EN6thrust23THRUST_200600_302600_NS6detail15normal_iteratorINS9_10device_ptrIjEEEESE_PS5_SF_jNS0_19identity_decomposerENS1_16block_id_wrapperIjLb1EEEEE10hipError_tT1_PNSt15iterator_traitsISK_E10value_typeET2_T3_PNSL_ISQ_E10value_typeET4_T5_PSV_SW_PNS1_23onesweep_lookback_stateEbbT6_jjT7_P12ihipStream_tbENKUlT_T0_SK_SP_E_clIPjSE_SF_SF_EEDaS13_S14_SK_SP_EUlS13_E_NS1_11comp_targetILNS1_3genE4ELNS1_11target_archE910ELNS1_3gpuE8ELNS1_3repE0EEENS1_47radix_sort_onesweep_sort_config_static_selectorELNS0_4arch9wavefront6targetE1EEEvSK_, .Lfunc_end1123-_ZN7rocprim17ROCPRIM_400000_NS6detail17trampoline_kernelINS0_14default_configENS1_35radix_sort_onesweep_config_selectorIjNS0_10empty_typeEEEZZNS1_29radix_sort_onesweep_iterationIS3_Lb0EN6thrust23THRUST_200600_302600_NS6detail15normal_iteratorINS9_10device_ptrIjEEEESE_PS5_SF_jNS0_19identity_decomposerENS1_16block_id_wrapperIjLb1EEEEE10hipError_tT1_PNSt15iterator_traitsISK_E10value_typeET2_T3_PNSL_ISQ_E10value_typeET4_T5_PSV_SW_PNS1_23onesweep_lookback_stateEbbT6_jjT7_P12ihipStream_tbENKUlT_T0_SK_SP_E_clIPjSE_SF_SF_EEDaS13_S14_SK_SP_EUlS13_E_NS1_11comp_targetILNS1_3genE4ELNS1_11target_archE910ELNS1_3gpuE8ELNS1_3repE0EEENS1_47radix_sort_onesweep_sort_config_static_selectorELNS0_4arch9wavefront6targetE1EEEvSK_
                                        ; -- End function
	.section	.AMDGPU.csdata,"",@progbits
; Kernel info:
; codeLenInByte = 14040
; NumSgprs: 39
; NumVgprs: 62
; NumAgprs: 0
; TotalNumVgprs: 62
; ScratchSize: 0
; MemoryBound: 0
; FloatMode: 240
; IeeeMode: 1
; LDSByteSize: 20552 bytes/workgroup (compile time only)
; SGPRBlocks: 4
; VGPRBlocks: 7
; NumSGPRsForWavesPerEU: 39
; NumVGPRsForWavesPerEU: 62
; AccumOffset: 64
; Occupancy: 8
; WaveLimiterHint : 1
; COMPUTE_PGM_RSRC2:SCRATCH_EN: 0
; COMPUTE_PGM_RSRC2:USER_SGPR: 6
; COMPUTE_PGM_RSRC2:TRAP_HANDLER: 0
; COMPUTE_PGM_RSRC2:TGID_X_EN: 1
; COMPUTE_PGM_RSRC2:TGID_Y_EN: 0
; COMPUTE_PGM_RSRC2:TGID_Z_EN: 0
; COMPUTE_PGM_RSRC2:TIDIG_COMP_CNT: 2
; COMPUTE_PGM_RSRC3_GFX90A:ACCUM_OFFSET: 15
; COMPUTE_PGM_RSRC3_GFX90A:TG_SPLIT: 0
	.section	.text._ZN7rocprim17ROCPRIM_400000_NS6detail17trampoline_kernelINS0_14default_configENS1_35radix_sort_onesweep_config_selectorIjNS0_10empty_typeEEEZZNS1_29radix_sort_onesweep_iterationIS3_Lb0EN6thrust23THRUST_200600_302600_NS6detail15normal_iteratorINS9_10device_ptrIjEEEESE_PS5_SF_jNS0_19identity_decomposerENS1_16block_id_wrapperIjLb1EEEEE10hipError_tT1_PNSt15iterator_traitsISK_E10value_typeET2_T3_PNSL_ISQ_E10value_typeET4_T5_PSV_SW_PNS1_23onesweep_lookback_stateEbbT6_jjT7_P12ihipStream_tbENKUlT_T0_SK_SP_E_clIPjSE_SF_SF_EEDaS13_S14_SK_SP_EUlS13_E_NS1_11comp_targetILNS1_3genE3ELNS1_11target_archE908ELNS1_3gpuE7ELNS1_3repE0EEENS1_47radix_sort_onesweep_sort_config_static_selectorELNS0_4arch9wavefront6targetE1EEEvSK_,"axG",@progbits,_ZN7rocprim17ROCPRIM_400000_NS6detail17trampoline_kernelINS0_14default_configENS1_35radix_sort_onesweep_config_selectorIjNS0_10empty_typeEEEZZNS1_29radix_sort_onesweep_iterationIS3_Lb0EN6thrust23THRUST_200600_302600_NS6detail15normal_iteratorINS9_10device_ptrIjEEEESE_PS5_SF_jNS0_19identity_decomposerENS1_16block_id_wrapperIjLb1EEEEE10hipError_tT1_PNSt15iterator_traitsISK_E10value_typeET2_T3_PNSL_ISQ_E10value_typeET4_T5_PSV_SW_PNS1_23onesweep_lookback_stateEbbT6_jjT7_P12ihipStream_tbENKUlT_T0_SK_SP_E_clIPjSE_SF_SF_EEDaS13_S14_SK_SP_EUlS13_E_NS1_11comp_targetILNS1_3genE3ELNS1_11target_archE908ELNS1_3gpuE7ELNS1_3repE0EEENS1_47radix_sort_onesweep_sort_config_static_selectorELNS0_4arch9wavefront6targetE1EEEvSK_,comdat
	.protected	_ZN7rocprim17ROCPRIM_400000_NS6detail17trampoline_kernelINS0_14default_configENS1_35radix_sort_onesweep_config_selectorIjNS0_10empty_typeEEEZZNS1_29radix_sort_onesweep_iterationIS3_Lb0EN6thrust23THRUST_200600_302600_NS6detail15normal_iteratorINS9_10device_ptrIjEEEESE_PS5_SF_jNS0_19identity_decomposerENS1_16block_id_wrapperIjLb1EEEEE10hipError_tT1_PNSt15iterator_traitsISK_E10value_typeET2_T3_PNSL_ISQ_E10value_typeET4_T5_PSV_SW_PNS1_23onesweep_lookback_stateEbbT6_jjT7_P12ihipStream_tbENKUlT_T0_SK_SP_E_clIPjSE_SF_SF_EEDaS13_S14_SK_SP_EUlS13_E_NS1_11comp_targetILNS1_3genE3ELNS1_11target_archE908ELNS1_3gpuE7ELNS1_3repE0EEENS1_47radix_sort_onesweep_sort_config_static_selectorELNS0_4arch9wavefront6targetE1EEEvSK_ ; -- Begin function _ZN7rocprim17ROCPRIM_400000_NS6detail17trampoline_kernelINS0_14default_configENS1_35radix_sort_onesweep_config_selectorIjNS0_10empty_typeEEEZZNS1_29radix_sort_onesweep_iterationIS3_Lb0EN6thrust23THRUST_200600_302600_NS6detail15normal_iteratorINS9_10device_ptrIjEEEESE_PS5_SF_jNS0_19identity_decomposerENS1_16block_id_wrapperIjLb1EEEEE10hipError_tT1_PNSt15iterator_traitsISK_E10value_typeET2_T3_PNSL_ISQ_E10value_typeET4_T5_PSV_SW_PNS1_23onesweep_lookback_stateEbbT6_jjT7_P12ihipStream_tbENKUlT_T0_SK_SP_E_clIPjSE_SF_SF_EEDaS13_S14_SK_SP_EUlS13_E_NS1_11comp_targetILNS1_3genE3ELNS1_11target_archE908ELNS1_3gpuE7ELNS1_3repE0EEENS1_47radix_sort_onesweep_sort_config_static_selectorELNS0_4arch9wavefront6targetE1EEEvSK_
	.globl	_ZN7rocprim17ROCPRIM_400000_NS6detail17trampoline_kernelINS0_14default_configENS1_35radix_sort_onesweep_config_selectorIjNS0_10empty_typeEEEZZNS1_29radix_sort_onesweep_iterationIS3_Lb0EN6thrust23THRUST_200600_302600_NS6detail15normal_iteratorINS9_10device_ptrIjEEEESE_PS5_SF_jNS0_19identity_decomposerENS1_16block_id_wrapperIjLb1EEEEE10hipError_tT1_PNSt15iterator_traitsISK_E10value_typeET2_T3_PNSL_ISQ_E10value_typeET4_T5_PSV_SW_PNS1_23onesweep_lookback_stateEbbT6_jjT7_P12ihipStream_tbENKUlT_T0_SK_SP_E_clIPjSE_SF_SF_EEDaS13_S14_SK_SP_EUlS13_E_NS1_11comp_targetILNS1_3genE3ELNS1_11target_archE908ELNS1_3gpuE7ELNS1_3repE0EEENS1_47radix_sort_onesweep_sort_config_static_selectorELNS0_4arch9wavefront6targetE1EEEvSK_
	.p2align	8
	.type	_ZN7rocprim17ROCPRIM_400000_NS6detail17trampoline_kernelINS0_14default_configENS1_35radix_sort_onesweep_config_selectorIjNS0_10empty_typeEEEZZNS1_29radix_sort_onesweep_iterationIS3_Lb0EN6thrust23THRUST_200600_302600_NS6detail15normal_iteratorINS9_10device_ptrIjEEEESE_PS5_SF_jNS0_19identity_decomposerENS1_16block_id_wrapperIjLb1EEEEE10hipError_tT1_PNSt15iterator_traitsISK_E10value_typeET2_T3_PNSL_ISQ_E10value_typeET4_T5_PSV_SW_PNS1_23onesweep_lookback_stateEbbT6_jjT7_P12ihipStream_tbENKUlT_T0_SK_SP_E_clIPjSE_SF_SF_EEDaS13_S14_SK_SP_EUlS13_E_NS1_11comp_targetILNS1_3genE3ELNS1_11target_archE908ELNS1_3gpuE7ELNS1_3repE0EEENS1_47radix_sort_onesweep_sort_config_static_selectorELNS0_4arch9wavefront6targetE1EEEvSK_,@function
_ZN7rocprim17ROCPRIM_400000_NS6detail17trampoline_kernelINS0_14default_configENS1_35radix_sort_onesweep_config_selectorIjNS0_10empty_typeEEEZZNS1_29radix_sort_onesweep_iterationIS3_Lb0EN6thrust23THRUST_200600_302600_NS6detail15normal_iteratorINS9_10device_ptrIjEEEESE_PS5_SF_jNS0_19identity_decomposerENS1_16block_id_wrapperIjLb1EEEEE10hipError_tT1_PNSt15iterator_traitsISK_E10value_typeET2_T3_PNSL_ISQ_E10value_typeET4_T5_PSV_SW_PNS1_23onesweep_lookback_stateEbbT6_jjT7_P12ihipStream_tbENKUlT_T0_SK_SP_E_clIPjSE_SF_SF_EEDaS13_S14_SK_SP_EUlS13_E_NS1_11comp_targetILNS1_3genE3ELNS1_11target_archE908ELNS1_3gpuE7ELNS1_3repE0EEENS1_47radix_sort_onesweep_sort_config_static_selectorELNS0_4arch9wavefront6targetE1EEEvSK_: ; @_ZN7rocprim17ROCPRIM_400000_NS6detail17trampoline_kernelINS0_14default_configENS1_35radix_sort_onesweep_config_selectorIjNS0_10empty_typeEEEZZNS1_29radix_sort_onesweep_iterationIS3_Lb0EN6thrust23THRUST_200600_302600_NS6detail15normal_iteratorINS9_10device_ptrIjEEEESE_PS5_SF_jNS0_19identity_decomposerENS1_16block_id_wrapperIjLb1EEEEE10hipError_tT1_PNSt15iterator_traitsISK_E10value_typeET2_T3_PNSL_ISQ_E10value_typeET4_T5_PSV_SW_PNS1_23onesweep_lookback_stateEbbT6_jjT7_P12ihipStream_tbENKUlT_T0_SK_SP_E_clIPjSE_SF_SF_EEDaS13_S14_SK_SP_EUlS13_E_NS1_11comp_targetILNS1_3genE3ELNS1_11target_archE908ELNS1_3gpuE7ELNS1_3repE0EEENS1_47radix_sort_onesweep_sort_config_static_selectorELNS0_4arch9wavefront6targetE1EEEvSK_
; %bb.0:
	.section	.rodata,"a",@progbits
	.p2align	6, 0x0
	.amdhsa_kernel _ZN7rocprim17ROCPRIM_400000_NS6detail17trampoline_kernelINS0_14default_configENS1_35radix_sort_onesweep_config_selectorIjNS0_10empty_typeEEEZZNS1_29radix_sort_onesweep_iterationIS3_Lb0EN6thrust23THRUST_200600_302600_NS6detail15normal_iteratorINS9_10device_ptrIjEEEESE_PS5_SF_jNS0_19identity_decomposerENS1_16block_id_wrapperIjLb1EEEEE10hipError_tT1_PNSt15iterator_traitsISK_E10value_typeET2_T3_PNSL_ISQ_E10value_typeET4_T5_PSV_SW_PNS1_23onesweep_lookback_stateEbbT6_jjT7_P12ihipStream_tbENKUlT_T0_SK_SP_E_clIPjSE_SF_SF_EEDaS13_S14_SK_SP_EUlS13_E_NS1_11comp_targetILNS1_3genE3ELNS1_11target_archE908ELNS1_3gpuE7ELNS1_3repE0EEENS1_47radix_sort_onesweep_sort_config_static_selectorELNS0_4arch9wavefront6targetE1EEEvSK_
		.amdhsa_group_segment_fixed_size 0
		.amdhsa_private_segment_fixed_size 0
		.amdhsa_kernarg_size 88
		.amdhsa_user_sgpr_count 6
		.amdhsa_user_sgpr_private_segment_buffer 1
		.amdhsa_user_sgpr_dispatch_ptr 0
		.amdhsa_user_sgpr_queue_ptr 0
		.amdhsa_user_sgpr_kernarg_segment_ptr 1
		.amdhsa_user_sgpr_dispatch_id 0
		.amdhsa_user_sgpr_flat_scratch_init 0
		.amdhsa_user_sgpr_kernarg_preload_length 0
		.amdhsa_user_sgpr_kernarg_preload_offset 0
		.amdhsa_user_sgpr_private_segment_size 0
		.amdhsa_uses_dynamic_stack 0
		.amdhsa_system_sgpr_private_segment_wavefront_offset 0
		.amdhsa_system_sgpr_workgroup_id_x 1
		.amdhsa_system_sgpr_workgroup_id_y 0
		.amdhsa_system_sgpr_workgroup_id_z 0
		.amdhsa_system_sgpr_workgroup_info 0
		.amdhsa_system_vgpr_workitem_id 0
		.amdhsa_next_free_vgpr 1
		.amdhsa_next_free_sgpr 0
		.amdhsa_accum_offset 4
		.amdhsa_reserve_vcc 0
		.amdhsa_reserve_flat_scratch 0
		.amdhsa_float_round_mode_32 0
		.amdhsa_float_round_mode_16_64 0
		.amdhsa_float_denorm_mode_32 3
		.amdhsa_float_denorm_mode_16_64 3
		.amdhsa_dx10_clamp 1
		.amdhsa_ieee_mode 1
		.amdhsa_fp16_overflow 0
		.amdhsa_tg_split 0
		.amdhsa_exception_fp_ieee_invalid_op 0
		.amdhsa_exception_fp_denorm_src 0
		.amdhsa_exception_fp_ieee_div_zero 0
		.amdhsa_exception_fp_ieee_overflow 0
		.amdhsa_exception_fp_ieee_underflow 0
		.amdhsa_exception_fp_ieee_inexact 0
		.amdhsa_exception_int_div_zero 0
	.end_amdhsa_kernel
	.section	.text._ZN7rocprim17ROCPRIM_400000_NS6detail17trampoline_kernelINS0_14default_configENS1_35radix_sort_onesweep_config_selectorIjNS0_10empty_typeEEEZZNS1_29radix_sort_onesweep_iterationIS3_Lb0EN6thrust23THRUST_200600_302600_NS6detail15normal_iteratorINS9_10device_ptrIjEEEESE_PS5_SF_jNS0_19identity_decomposerENS1_16block_id_wrapperIjLb1EEEEE10hipError_tT1_PNSt15iterator_traitsISK_E10value_typeET2_T3_PNSL_ISQ_E10value_typeET4_T5_PSV_SW_PNS1_23onesweep_lookback_stateEbbT6_jjT7_P12ihipStream_tbENKUlT_T0_SK_SP_E_clIPjSE_SF_SF_EEDaS13_S14_SK_SP_EUlS13_E_NS1_11comp_targetILNS1_3genE3ELNS1_11target_archE908ELNS1_3gpuE7ELNS1_3repE0EEENS1_47radix_sort_onesweep_sort_config_static_selectorELNS0_4arch9wavefront6targetE1EEEvSK_,"axG",@progbits,_ZN7rocprim17ROCPRIM_400000_NS6detail17trampoline_kernelINS0_14default_configENS1_35radix_sort_onesweep_config_selectorIjNS0_10empty_typeEEEZZNS1_29radix_sort_onesweep_iterationIS3_Lb0EN6thrust23THRUST_200600_302600_NS6detail15normal_iteratorINS9_10device_ptrIjEEEESE_PS5_SF_jNS0_19identity_decomposerENS1_16block_id_wrapperIjLb1EEEEE10hipError_tT1_PNSt15iterator_traitsISK_E10value_typeET2_T3_PNSL_ISQ_E10value_typeET4_T5_PSV_SW_PNS1_23onesweep_lookback_stateEbbT6_jjT7_P12ihipStream_tbENKUlT_T0_SK_SP_E_clIPjSE_SF_SF_EEDaS13_S14_SK_SP_EUlS13_E_NS1_11comp_targetILNS1_3genE3ELNS1_11target_archE908ELNS1_3gpuE7ELNS1_3repE0EEENS1_47radix_sort_onesweep_sort_config_static_selectorELNS0_4arch9wavefront6targetE1EEEvSK_,comdat
.Lfunc_end1124:
	.size	_ZN7rocprim17ROCPRIM_400000_NS6detail17trampoline_kernelINS0_14default_configENS1_35radix_sort_onesweep_config_selectorIjNS0_10empty_typeEEEZZNS1_29radix_sort_onesweep_iterationIS3_Lb0EN6thrust23THRUST_200600_302600_NS6detail15normal_iteratorINS9_10device_ptrIjEEEESE_PS5_SF_jNS0_19identity_decomposerENS1_16block_id_wrapperIjLb1EEEEE10hipError_tT1_PNSt15iterator_traitsISK_E10value_typeET2_T3_PNSL_ISQ_E10value_typeET4_T5_PSV_SW_PNS1_23onesweep_lookback_stateEbbT6_jjT7_P12ihipStream_tbENKUlT_T0_SK_SP_E_clIPjSE_SF_SF_EEDaS13_S14_SK_SP_EUlS13_E_NS1_11comp_targetILNS1_3genE3ELNS1_11target_archE908ELNS1_3gpuE7ELNS1_3repE0EEENS1_47radix_sort_onesweep_sort_config_static_selectorELNS0_4arch9wavefront6targetE1EEEvSK_, .Lfunc_end1124-_ZN7rocprim17ROCPRIM_400000_NS6detail17trampoline_kernelINS0_14default_configENS1_35radix_sort_onesweep_config_selectorIjNS0_10empty_typeEEEZZNS1_29radix_sort_onesweep_iterationIS3_Lb0EN6thrust23THRUST_200600_302600_NS6detail15normal_iteratorINS9_10device_ptrIjEEEESE_PS5_SF_jNS0_19identity_decomposerENS1_16block_id_wrapperIjLb1EEEEE10hipError_tT1_PNSt15iterator_traitsISK_E10value_typeET2_T3_PNSL_ISQ_E10value_typeET4_T5_PSV_SW_PNS1_23onesweep_lookback_stateEbbT6_jjT7_P12ihipStream_tbENKUlT_T0_SK_SP_E_clIPjSE_SF_SF_EEDaS13_S14_SK_SP_EUlS13_E_NS1_11comp_targetILNS1_3genE3ELNS1_11target_archE908ELNS1_3gpuE7ELNS1_3repE0EEENS1_47radix_sort_onesweep_sort_config_static_selectorELNS0_4arch9wavefront6targetE1EEEvSK_
                                        ; -- End function
	.section	.AMDGPU.csdata,"",@progbits
; Kernel info:
; codeLenInByte = 0
; NumSgprs: 4
; NumVgprs: 0
; NumAgprs: 0
; TotalNumVgprs: 0
; ScratchSize: 0
; MemoryBound: 0
; FloatMode: 240
; IeeeMode: 1
; LDSByteSize: 0 bytes/workgroup (compile time only)
; SGPRBlocks: 0
; VGPRBlocks: 0
; NumSGPRsForWavesPerEU: 4
; NumVGPRsForWavesPerEU: 1
; AccumOffset: 4
; Occupancy: 8
; WaveLimiterHint : 0
; COMPUTE_PGM_RSRC2:SCRATCH_EN: 0
; COMPUTE_PGM_RSRC2:USER_SGPR: 6
; COMPUTE_PGM_RSRC2:TRAP_HANDLER: 0
; COMPUTE_PGM_RSRC2:TGID_X_EN: 1
; COMPUTE_PGM_RSRC2:TGID_Y_EN: 0
; COMPUTE_PGM_RSRC2:TGID_Z_EN: 0
; COMPUTE_PGM_RSRC2:TIDIG_COMP_CNT: 0
; COMPUTE_PGM_RSRC3_GFX90A:ACCUM_OFFSET: 0
; COMPUTE_PGM_RSRC3_GFX90A:TG_SPLIT: 0
	.section	.text._ZN7rocprim17ROCPRIM_400000_NS6detail17trampoline_kernelINS0_14default_configENS1_35radix_sort_onesweep_config_selectorIjNS0_10empty_typeEEEZZNS1_29radix_sort_onesweep_iterationIS3_Lb0EN6thrust23THRUST_200600_302600_NS6detail15normal_iteratorINS9_10device_ptrIjEEEESE_PS5_SF_jNS0_19identity_decomposerENS1_16block_id_wrapperIjLb1EEEEE10hipError_tT1_PNSt15iterator_traitsISK_E10value_typeET2_T3_PNSL_ISQ_E10value_typeET4_T5_PSV_SW_PNS1_23onesweep_lookback_stateEbbT6_jjT7_P12ihipStream_tbENKUlT_T0_SK_SP_E_clIPjSE_SF_SF_EEDaS13_S14_SK_SP_EUlS13_E_NS1_11comp_targetILNS1_3genE10ELNS1_11target_archE1201ELNS1_3gpuE5ELNS1_3repE0EEENS1_47radix_sort_onesweep_sort_config_static_selectorELNS0_4arch9wavefront6targetE1EEEvSK_,"axG",@progbits,_ZN7rocprim17ROCPRIM_400000_NS6detail17trampoline_kernelINS0_14default_configENS1_35radix_sort_onesweep_config_selectorIjNS0_10empty_typeEEEZZNS1_29radix_sort_onesweep_iterationIS3_Lb0EN6thrust23THRUST_200600_302600_NS6detail15normal_iteratorINS9_10device_ptrIjEEEESE_PS5_SF_jNS0_19identity_decomposerENS1_16block_id_wrapperIjLb1EEEEE10hipError_tT1_PNSt15iterator_traitsISK_E10value_typeET2_T3_PNSL_ISQ_E10value_typeET4_T5_PSV_SW_PNS1_23onesweep_lookback_stateEbbT6_jjT7_P12ihipStream_tbENKUlT_T0_SK_SP_E_clIPjSE_SF_SF_EEDaS13_S14_SK_SP_EUlS13_E_NS1_11comp_targetILNS1_3genE10ELNS1_11target_archE1201ELNS1_3gpuE5ELNS1_3repE0EEENS1_47radix_sort_onesweep_sort_config_static_selectorELNS0_4arch9wavefront6targetE1EEEvSK_,comdat
	.protected	_ZN7rocprim17ROCPRIM_400000_NS6detail17trampoline_kernelINS0_14default_configENS1_35radix_sort_onesweep_config_selectorIjNS0_10empty_typeEEEZZNS1_29radix_sort_onesweep_iterationIS3_Lb0EN6thrust23THRUST_200600_302600_NS6detail15normal_iteratorINS9_10device_ptrIjEEEESE_PS5_SF_jNS0_19identity_decomposerENS1_16block_id_wrapperIjLb1EEEEE10hipError_tT1_PNSt15iterator_traitsISK_E10value_typeET2_T3_PNSL_ISQ_E10value_typeET4_T5_PSV_SW_PNS1_23onesweep_lookback_stateEbbT6_jjT7_P12ihipStream_tbENKUlT_T0_SK_SP_E_clIPjSE_SF_SF_EEDaS13_S14_SK_SP_EUlS13_E_NS1_11comp_targetILNS1_3genE10ELNS1_11target_archE1201ELNS1_3gpuE5ELNS1_3repE0EEENS1_47radix_sort_onesweep_sort_config_static_selectorELNS0_4arch9wavefront6targetE1EEEvSK_ ; -- Begin function _ZN7rocprim17ROCPRIM_400000_NS6detail17trampoline_kernelINS0_14default_configENS1_35radix_sort_onesweep_config_selectorIjNS0_10empty_typeEEEZZNS1_29radix_sort_onesweep_iterationIS3_Lb0EN6thrust23THRUST_200600_302600_NS6detail15normal_iteratorINS9_10device_ptrIjEEEESE_PS5_SF_jNS0_19identity_decomposerENS1_16block_id_wrapperIjLb1EEEEE10hipError_tT1_PNSt15iterator_traitsISK_E10value_typeET2_T3_PNSL_ISQ_E10value_typeET4_T5_PSV_SW_PNS1_23onesweep_lookback_stateEbbT6_jjT7_P12ihipStream_tbENKUlT_T0_SK_SP_E_clIPjSE_SF_SF_EEDaS13_S14_SK_SP_EUlS13_E_NS1_11comp_targetILNS1_3genE10ELNS1_11target_archE1201ELNS1_3gpuE5ELNS1_3repE0EEENS1_47radix_sort_onesweep_sort_config_static_selectorELNS0_4arch9wavefront6targetE1EEEvSK_
	.globl	_ZN7rocprim17ROCPRIM_400000_NS6detail17trampoline_kernelINS0_14default_configENS1_35radix_sort_onesweep_config_selectorIjNS0_10empty_typeEEEZZNS1_29radix_sort_onesweep_iterationIS3_Lb0EN6thrust23THRUST_200600_302600_NS6detail15normal_iteratorINS9_10device_ptrIjEEEESE_PS5_SF_jNS0_19identity_decomposerENS1_16block_id_wrapperIjLb1EEEEE10hipError_tT1_PNSt15iterator_traitsISK_E10value_typeET2_T3_PNSL_ISQ_E10value_typeET4_T5_PSV_SW_PNS1_23onesweep_lookback_stateEbbT6_jjT7_P12ihipStream_tbENKUlT_T0_SK_SP_E_clIPjSE_SF_SF_EEDaS13_S14_SK_SP_EUlS13_E_NS1_11comp_targetILNS1_3genE10ELNS1_11target_archE1201ELNS1_3gpuE5ELNS1_3repE0EEENS1_47radix_sort_onesweep_sort_config_static_selectorELNS0_4arch9wavefront6targetE1EEEvSK_
	.p2align	8
	.type	_ZN7rocprim17ROCPRIM_400000_NS6detail17trampoline_kernelINS0_14default_configENS1_35radix_sort_onesweep_config_selectorIjNS0_10empty_typeEEEZZNS1_29radix_sort_onesweep_iterationIS3_Lb0EN6thrust23THRUST_200600_302600_NS6detail15normal_iteratorINS9_10device_ptrIjEEEESE_PS5_SF_jNS0_19identity_decomposerENS1_16block_id_wrapperIjLb1EEEEE10hipError_tT1_PNSt15iterator_traitsISK_E10value_typeET2_T3_PNSL_ISQ_E10value_typeET4_T5_PSV_SW_PNS1_23onesweep_lookback_stateEbbT6_jjT7_P12ihipStream_tbENKUlT_T0_SK_SP_E_clIPjSE_SF_SF_EEDaS13_S14_SK_SP_EUlS13_E_NS1_11comp_targetILNS1_3genE10ELNS1_11target_archE1201ELNS1_3gpuE5ELNS1_3repE0EEENS1_47radix_sort_onesweep_sort_config_static_selectorELNS0_4arch9wavefront6targetE1EEEvSK_,@function
_ZN7rocprim17ROCPRIM_400000_NS6detail17trampoline_kernelINS0_14default_configENS1_35radix_sort_onesweep_config_selectorIjNS0_10empty_typeEEEZZNS1_29radix_sort_onesweep_iterationIS3_Lb0EN6thrust23THRUST_200600_302600_NS6detail15normal_iteratorINS9_10device_ptrIjEEEESE_PS5_SF_jNS0_19identity_decomposerENS1_16block_id_wrapperIjLb1EEEEE10hipError_tT1_PNSt15iterator_traitsISK_E10value_typeET2_T3_PNSL_ISQ_E10value_typeET4_T5_PSV_SW_PNS1_23onesweep_lookback_stateEbbT6_jjT7_P12ihipStream_tbENKUlT_T0_SK_SP_E_clIPjSE_SF_SF_EEDaS13_S14_SK_SP_EUlS13_E_NS1_11comp_targetILNS1_3genE10ELNS1_11target_archE1201ELNS1_3gpuE5ELNS1_3repE0EEENS1_47radix_sort_onesweep_sort_config_static_selectorELNS0_4arch9wavefront6targetE1EEEvSK_: ; @_ZN7rocprim17ROCPRIM_400000_NS6detail17trampoline_kernelINS0_14default_configENS1_35radix_sort_onesweep_config_selectorIjNS0_10empty_typeEEEZZNS1_29radix_sort_onesweep_iterationIS3_Lb0EN6thrust23THRUST_200600_302600_NS6detail15normal_iteratorINS9_10device_ptrIjEEEESE_PS5_SF_jNS0_19identity_decomposerENS1_16block_id_wrapperIjLb1EEEEE10hipError_tT1_PNSt15iterator_traitsISK_E10value_typeET2_T3_PNSL_ISQ_E10value_typeET4_T5_PSV_SW_PNS1_23onesweep_lookback_stateEbbT6_jjT7_P12ihipStream_tbENKUlT_T0_SK_SP_E_clIPjSE_SF_SF_EEDaS13_S14_SK_SP_EUlS13_E_NS1_11comp_targetILNS1_3genE10ELNS1_11target_archE1201ELNS1_3gpuE5ELNS1_3repE0EEENS1_47radix_sort_onesweep_sort_config_static_selectorELNS0_4arch9wavefront6targetE1EEEvSK_
; %bb.0:
	.section	.rodata,"a",@progbits
	.p2align	6, 0x0
	.amdhsa_kernel _ZN7rocprim17ROCPRIM_400000_NS6detail17trampoline_kernelINS0_14default_configENS1_35radix_sort_onesweep_config_selectorIjNS0_10empty_typeEEEZZNS1_29radix_sort_onesweep_iterationIS3_Lb0EN6thrust23THRUST_200600_302600_NS6detail15normal_iteratorINS9_10device_ptrIjEEEESE_PS5_SF_jNS0_19identity_decomposerENS1_16block_id_wrapperIjLb1EEEEE10hipError_tT1_PNSt15iterator_traitsISK_E10value_typeET2_T3_PNSL_ISQ_E10value_typeET4_T5_PSV_SW_PNS1_23onesweep_lookback_stateEbbT6_jjT7_P12ihipStream_tbENKUlT_T0_SK_SP_E_clIPjSE_SF_SF_EEDaS13_S14_SK_SP_EUlS13_E_NS1_11comp_targetILNS1_3genE10ELNS1_11target_archE1201ELNS1_3gpuE5ELNS1_3repE0EEENS1_47radix_sort_onesweep_sort_config_static_selectorELNS0_4arch9wavefront6targetE1EEEvSK_
		.amdhsa_group_segment_fixed_size 0
		.amdhsa_private_segment_fixed_size 0
		.amdhsa_kernarg_size 88
		.amdhsa_user_sgpr_count 6
		.amdhsa_user_sgpr_private_segment_buffer 1
		.amdhsa_user_sgpr_dispatch_ptr 0
		.amdhsa_user_sgpr_queue_ptr 0
		.amdhsa_user_sgpr_kernarg_segment_ptr 1
		.amdhsa_user_sgpr_dispatch_id 0
		.amdhsa_user_sgpr_flat_scratch_init 0
		.amdhsa_user_sgpr_kernarg_preload_length 0
		.amdhsa_user_sgpr_kernarg_preload_offset 0
		.amdhsa_user_sgpr_private_segment_size 0
		.amdhsa_uses_dynamic_stack 0
		.amdhsa_system_sgpr_private_segment_wavefront_offset 0
		.amdhsa_system_sgpr_workgroup_id_x 1
		.amdhsa_system_sgpr_workgroup_id_y 0
		.amdhsa_system_sgpr_workgroup_id_z 0
		.amdhsa_system_sgpr_workgroup_info 0
		.amdhsa_system_vgpr_workitem_id 0
		.amdhsa_next_free_vgpr 1
		.amdhsa_next_free_sgpr 0
		.amdhsa_accum_offset 4
		.amdhsa_reserve_vcc 0
		.amdhsa_reserve_flat_scratch 0
		.amdhsa_float_round_mode_32 0
		.amdhsa_float_round_mode_16_64 0
		.amdhsa_float_denorm_mode_32 3
		.amdhsa_float_denorm_mode_16_64 3
		.amdhsa_dx10_clamp 1
		.amdhsa_ieee_mode 1
		.amdhsa_fp16_overflow 0
		.amdhsa_tg_split 0
		.amdhsa_exception_fp_ieee_invalid_op 0
		.amdhsa_exception_fp_denorm_src 0
		.amdhsa_exception_fp_ieee_div_zero 0
		.amdhsa_exception_fp_ieee_overflow 0
		.amdhsa_exception_fp_ieee_underflow 0
		.amdhsa_exception_fp_ieee_inexact 0
		.amdhsa_exception_int_div_zero 0
	.end_amdhsa_kernel
	.section	.text._ZN7rocprim17ROCPRIM_400000_NS6detail17trampoline_kernelINS0_14default_configENS1_35radix_sort_onesweep_config_selectorIjNS0_10empty_typeEEEZZNS1_29radix_sort_onesweep_iterationIS3_Lb0EN6thrust23THRUST_200600_302600_NS6detail15normal_iteratorINS9_10device_ptrIjEEEESE_PS5_SF_jNS0_19identity_decomposerENS1_16block_id_wrapperIjLb1EEEEE10hipError_tT1_PNSt15iterator_traitsISK_E10value_typeET2_T3_PNSL_ISQ_E10value_typeET4_T5_PSV_SW_PNS1_23onesweep_lookback_stateEbbT6_jjT7_P12ihipStream_tbENKUlT_T0_SK_SP_E_clIPjSE_SF_SF_EEDaS13_S14_SK_SP_EUlS13_E_NS1_11comp_targetILNS1_3genE10ELNS1_11target_archE1201ELNS1_3gpuE5ELNS1_3repE0EEENS1_47radix_sort_onesweep_sort_config_static_selectorELNS0_4arch9wavefront6targetE1EEEvSK_,"axG",@progbits,_ZN7rocprim17ROCPRIM_400000_NS6detail17trampoline_kernelINS0_14default_configENS1_35radix_sort_onesweep_config_selectorIjNS0_10empty_typeEEEZZNS1_29radix_sort_onesweep_iterationIS3_Lb0EN6thrust23THRUST_200600_302600_NS6detail15normal_iteratorINS9_10device_ptrIjEEEESE_PS5_SF_jNS0_19identity_decomposerENS1_16block_id_wrapperIjLb1EEEEE10hipError_tT1_PNSt15iterator_traitsISK_E10value_typeET2_T3_PNSL_ISQ_E10value_typeET4_T5_PSV_SW_PNS1_23onesweep_lookback_stateEbbT6_jjT7_P12ihipStream_tbENKUlT_T0_SK_SP_E_clIPjSE_SF_SF_EEDaS13_S14_SK_SP_EUlS13_E_NS1_11comp_targetILNS1_3genE10ELNS1_11target_archE1201ELNS1_3gpuE5ELNS1_3repE0EEENS1_47radix_sort_onesweep_sort_config_static_selectorELNS0_4arch9wavefront6targetE1EEEvSK_,comdat
.Lfunc_end1125:
	.size	_ZN7rocprim17ROCPRIM_400000_NS6detail17trampoline_kernelINS0_14default_configENS1_35radix_sort_onesweep_config_selectorIjNS0_10empty_typeEEEZZNS1_29radix_sort_onesweep_iterationIS3_Lb0EN6thrust23THRUST_200600_302600_NS6detail15normal_iteratorINS9_10device_ptrIjEEEESE_PS5_SF_jNS0_19identity_decomposerENS1_16block_id_wrapperIjLb1EEEEE10hipError_tT1_PNSt15iterator_traitsISK_E10value_typeET2_T3_PNSL_ISQ_E10value_typeET4_T5_PSV_SW_PNS1_23onesweep_lookback_stateEbbT6_jjT7_P12ihipStream_tbENKUlT_T0_SK_SP_E_clIPjSE_SF_SF_EEDaS13_S14_SK_SP_EUlS13_E_NS1_11comp_targetILNS1_3genE10ELNS1_11target_archE1201ELNS1_3gpuE5ELNS1_3repE0EEENS1_47radix_sort_onesweep_sort_config_static_selectorELNS0_4arch9wavefront6targetE1EEEvSK_, .Lfunc_end1125-_ZN7rocprim17ROCPRIM_400000_NS6detail17trampoline_kernelINS0_14default_configENS1_35radix_sort_onesweep_config_selectorIjNS0_10empty_typeEEEZZNS1_29radix_sort_onesweep_iterationIS3_Lb0EN6thrust23THRUST_200600_302600_NS6detail15normal_iteratorINS9_10device_ptrIjEEEESE_PS5_SF_jNS0_19identity_decomposerENS1_16block_id_wrapperIjLb1EEEEE10hipError_tT1_PNSt15iterator_traitsISK_E10value_typeET2_T3_PNSL_ISQ_E10value_typeET4_T5_PSV_SW_PNS1_23onesweep_lookback_stateEbbT6_jjT7_P12ihipStream_tbENKUlT_T0_SK_SP_E_clIPjSE_SF_SF_EEDaS13_S14_SK_SP_EUlS13_E_NS1_11comp_targetILNS1_3genE10ELNS1_11target_archE1201ELNS1_3gpuE5ELNS1_3repE0EEENS1_47radix_sort_onesweep_sort_config_static_selectorELNS0_4arch9wavefront6targetE1EEEvSK_
                                        ; -- End function
	.section	.AMDGPU.csdata,"",@progbits
; Kernel info:
; codeLenInByte = 0
; NumSgprs: 4
; NumVgprs: 0
; NumAgprs: 0
; TotalNumVgprs: 0
; ScratchSize: 0
; MemoryBound: 0
; FloatMode: 240
; IeeeMode: 1
; LDSByteSize: 0 bytes/workgroup (compile time only)
; SGPRBlocks: 0
; VGPRBlocks: 0
; NumSGPRsForWavesPerEU: 4
; NumVGPRsForWavesPerEU: 1
; AccumOffset: 4
; Occupancy: 8
; WaveLimiterHint : 0
; COMPUTE_PGM_RSRC2:SCRATCH_EN: 0
; COMPUTE_PGM_RSRC2:USER_SGPR: 6
; COMPUTE_PGM_RSRC2:TRAP_HANDLER: 0
; COMPUTE_PGM_RSRC2:TGID_X_EN: 1
; COMPUTE_PGM_RSRC2:TGID_Y_EN: 0
; COMPUTE_PGM_RSRC2:TGID_Z_EN: 0
; COMPUTE_PGM_RSRC2:TIDIG_COMP_CNT: 0
; COMPUTE_PGM_RSRC3_GFX90A:ACCUM_OFFSET: 0
; COMPUTE_PGM_RSRC3_GFX90A:TG_SPLIT: 0
	.section	.text._ZN7rocprim17ROCPRIM_400000_NS6detail17trampoline_kernelINS0_14default_configENS1_35radix_sort_onesweep_config_selectorIjNS0_10empty_typeEEEZZNS1_29radix_sort_onesweep_iterationIS3_Lb0EN6thrust23THRUST_200600_302600_NS6detail15normal_iteratorINS9_10device_ptrIjEEEESE_PS5_SF_jNS0_19identity_decomposerENS1_16block_id_wrapperIjLb1EEEEE10hipError_tT1_PNSt15iterator_traitsISK_E10value_typeET2_T3_PNSL_ISQ_E10value_typeET4_T5_PSV_SW_PNS1_23onesweep_lookback_stateEbbT6_jjT7_P12ihipStream_tbENKUlT_T0_SK_SP_E_clIPjSE_SF_SF_EEDaS13_S14_SK_SP_EUlS13_E_NS1_11comp_targetILNS1_3genE9ELNS1_11target_archE1100ELNS1_3gpuE3ELNS1_3repE0EEENS1_47radix_sort_onesweep_sort_config_static_selectorELNS0_4arch9wavefront6targetE1EEEvSK_,"axG",@progbits,_ZN7rocprim17ROCPRIM_400000_NS6detail17trampoline_kernelINS0_14default_configENS1_35radix_sort_onesweep_config_selectorIjNS0_10empty_typeEEEZZNS1_29radix_sort_onesweep_iterationIS3_Lb0EN6thrust23THRUST_200600_302600_NS6detail15normal_iteratorINS9_10device_ptrIjEEEESE_PS5_SF_jNS0_19identity_decomposerENS1_16block_id_wrapperIjLb1EEEEE10hipError_tT1_PNSt15iterator_traitsISK_E10value_typeET2_T3_PNSL_ISQ_E10value_typeET4_T5_PSV_SW_PNS1_23onesweep_lookback_stateEbbT6_jjT7_P12ihipStream_tbENKUlT_T0_SK_SP_E_clIPjSE_SF_SF_EEDaS13_S14_SK_SP_EUlS13_E_NS1_11comp_targetILNS1_3genE9ELNS1_11target_archE1100ELNS1_3gpuE3ELNS1_3repE0EEENS1_47radix_sort_onesweep_sort_config_static_selectorELNS0_4arch9wavefront6targetE1EEEvSK_,comdat
	.protected	_ZN7rocprim17ROCPRIM_400000_NS6detail17trampoline_kernelINS0_14default_configENS1_35radix_sort_onesweep_config_selectorIjNS0_10empty_typeEEEZZNS1_29radix_sort_onesweep_iterationIS3_Lb0EN6thrust23THRUST_200600_302600_NS6detail15normal_iteratorINS9_10device_ptrIjEEEESE_PS5_SF_jNS0_19identity_decomposerENS1_16block_id_wrapperIjLb1EEEEE10hipError_tT1_PNSt15iterator_traitsISK_E10value_typeET2_T3_PNSL_ISQ_E10value_typeET4_T5_PSV_SW_PNS1_23onesweep_lookback_stateEbbT6_jjT7_P12ihipStream_tbENKUlT_T0_SK_SP_E_clIPjSE_SF_SF_EEDaS13_S14_SK_SP_EUlS13_E_NS1_11comp_targetILNS1_3genE9ELNS1_11target_archE1100ELNS1_3gpuE3ELNS1_3repE0EEENS1_47radix_sort_onesweep_sort_config_static_selectorELNS0_4arch9wavefront6targetE1EEEvSK_ ; -- Begin function _ZN7rocprim17ROCPRIM_400000_NS6detail17trampoline_kernelINS0_14default_configENS1_35radix_sort_onesweep_config_selectorIjNS0_10empty_typeEEEZZNS1_29radix_sort_onesweep_iterationIS3_Lb0EN6thrust23THRUST_200600_302600_NS6detail15normal_iteratorINS9_10device_ptrIjEEEESE_PS5_SF_jNS0_19identity_decomposerENS1_16block_id_wrapperIjLb1EEEEE10hipError_tT1_PNSt15iterator_traitsISK_E10value_typeET2_T3_PNSL_ISQ_E10value_typeET4_T5_PSV_SW_PNS1_23onesweep_lookback_stateEbbT6_jjT7_P12ihipStream_tbENKUlT_T0_SK_SP_E_clIPjSE_SF_SF_EEDaS13_S14_SK_SP_EUlS13_E_NS1_11comp_targetILNS1_3genE9ELNS1_11target_archE1100ELNS1_3gpuE3ELNS1_3repE0EEENS1_47radix_sort_onesweep_sort_config_static_selectorELNS0_4arch9wavefront6targetE1EEEvSK_
	.globl	_ZN7rocprim17ROCPRIM_400000_NS6detail17trampoline_kernelINS0_14default_configENS1_35radix_sort_onesweep_config_selectorIjNS0_10empty_typeEEEZZNS1_29radix_sort_onesweep_iterationIS3_Lb0EN6thrust23THRUST_200600_302600_NS6detail15normal_iteratorINS9_10device_ptrIjEEEESE_PS5_SF_jNS0_19identity_decomposerENS1_16block_id_wrapperIjLb1EEEEE10hipError_tT1_PNSt15iterator_traitsISK_E10value_typeET2_T3_PNSL_ISQ_E10value_typeET4_T5_PSV_SW_PNS1_23onesweep_lookback_stateEbbT6_jjT7_P12ihipStream_tbENKUlT_T0_SK_SP_E_clIPjSE_SF_SF_EEDaS13_S14_SK_SP_EUlS13_E_NS1_11comp_targetILNS1_3genE9ELNS1_11target_archE1100ELNS1_3gpuE3ELNS1_3repE0EEENS1_47radix_sort_onesweep_sort_config_static_selectorELNS0_4arch9wavefront6targetE1EEEvSK_
	.p2align	8
	.type	_ZN7rocprim17ROCPRIM_400000_NS6detail17trampoline_kernelINS0_14default_configENS1_35radix_sort_onesweep_config_selectorIjNS0_10empty_typeEEEZZNS1_29radix_sort_onesweep_iterationIS3_Lb0EN6thrust23THRUST_200600_302600_NS6detail15normal_iteratorINS9_10device_ptrIjEEEESE_PS5_SF_jNS0_19identity_decomposerENS1_16block_id_wrapperIjLb1EEEEE10hipError_tT1_PNSt15iterator_traitsISK_E10value_typeET2_T3_PNSL_ISQ_E10value_typeET4_T5_PSV_SW_PNS1_23onesweep_lookback_stateEbbT6_jjT7_P12ihipStream_tbENKUlT_T0_SK_SP_E_clIPjSE_SF_SF_EEDaS13_S14_SK_SP_EUlS13_E_NS1_11comp_targetILNS1_3genE9ELNS1_11target_archE1100ELNS1_3gpuE3ELNS1_3repE0EEENS1_47radix_sort_onesweep_sort_config_static_selectorELNS0_4arch9wavefront6targetE1EEEvSK_,@function
_ZN7rocprim17ROCPRIM_400000_NS6detail17trampoline_kernelINS0_14default_configENS1_35radix_sort_onesweep_config_selectorIjNS0_10empty_typeEEEZZNS1_29radix_sort_onesweep_iterationIS3_Lb0EN6thrust23THRUST_200600_302600_NS6detail15normal_iteratorINS9_10device_ptrIjEEEESE_PS5_SF_jNS0_19identity_decomposerENS1_16block_id_wrapperIjLb1EEEEE10hipError_tT1_PNSt15iterator_traitsISK_E10value_typeET2_T3_PNSL_ISQ_E10value_typeET4_T5_PSV_SW_PNS1_23onesweep_lookback_stateEbbT6_jjT7_P12ihipStream_tbENKUlT_T0_SK_SP_E_clIPjSE_SF_SF_EEDaS13_S14_SK_SP_EUlS13_E_NS1_11comp_targetILNS1_3genE9ELNS1_11target_archE1100ELNS1_3gpuE3ELNS1_3repE0EEENS1_47radix_sort_onesweep_sort_config_static_selectorELNS0_4arch9wavefront6targetE1EEEvSK_: ; @_ZN7rocprim17ROCPRIM_400000_NS6detail17trampoline_kernelINS0_14default_configENS1_35radix_sort_onesweep_config_selectorIjNS0_10empty_typeEEEZZNS1_29radix_sort_onesweep_iterationIS3_Lb0EN6thrust23THRUST_200600_302600_NS6detail15normal_iteratorINS9_10device_ptrIjEEEESE_PS5_SF_jNS0_19identity_decomposerENS1_16block_id_wrapperIjLb1EEEEE10hipError_tT1_PNSt15iterator_traitsISK_E10value_typeET2_T3_PNSL_ISQ_E10value_typeET4_T5_PSV_SW_PNS1_23onesweep_lookback_stateEbbT6_jjT7_P12ihipStream_tbENKUlT_T0_SK_SP_E_clIPjSE_SF_SF_EEDaS13_S14_SK_SP_EUlS13_E_NS1_11comp_targetILNS1_3genE9ELNS1_11target_archE1100ELNS1_3gpuE3ELNS1_3repE0EEENS1_47radix_sort_onesweep_sort_config_static_selectorELNS0_4arch9wavefront6targetE1EEEvSK_
; %bb.0:
	.section	.rodata,"a",@progbits
	.p2align	6, 0x0
	.amdhsa_kernel _ZN7rocprim17ROCPRIM_400000_NS6detail17trampoline_kernelINS0_14default_configENS1_35radix_sort_onesweep_config_selectorIjNS0_10empty_typeEEEZZNS1_29radix_sort_onesweep_iterationIS3_Lb0EN6thrust23THRUST_200600_302600_NS6detail15normal_iteratorINS9_10device_ptrIjEEEESE_PS5_SF_jNS0_19identity_decomposerENS1_16block_id_wrapperIjLb1EEEEE10hipError_tT1_PNSt15iterator_traitsISK_E10value_typeET2_T3_PNSL_ISQ_E10value_typeET4_T5_PSV_SW_PNS1_23onesweep_lookback_stateEbbT6_jjT7_P12ihipStream_tbENKUlT_T0_SK_SP_E_clIPjSE_SF_SF_EEDaS13_S14_SK_SP_EUlS13_E_NS1_11comp_targetILNS1_3genE9ELNS1_11target_archE1100ELNS1_3gpuE3ELNS1_3repE0EEENS1_47radix_sort_onesweep_sort_config_static_selectorELNS0_4arch9wavefront6targetE1EEEvSK_
		.amdhsa_group_segment_fixed_size 0
		.amdhsa_private_segment_fixed_size 0
		.amdhsa_kernarg_size 88
		.amdhsa_user_sgpr_count 6
		.amdhsa_user_sgpr_private_segment_buffer 1
		.amdhsa_user_sgpr_dispatch_ptr 0
		.amdhsa_user_sgpr_queue_ptr 0
		.amdhsa_user_sgpr_kernarg_segment_ptr 1
		.amdhsa_user_sgpr_dispatch_id 0
		.amdhsa_user_sgpr_flat_scratch_init 0
		.amdhsa_user_sgpr_kernarg_preload_length 0
		.amdhsa_user_sgpr_kernarg_preload_offset 0
		.amdhsa_user_sgpr_private_segment_size 0
		.amdhsa_uses_dynamic_stack 0
		.amdhsa_system_sgpr_private_segment_wavefront_offset 0
		.amdhsa_system_sgpr_workgroup_id_x 1
		.amdhsa_system_sgpr_workgroup_id_y 0
		.amdhsa_system_sgpr_workgroup_id_z 0
		.amdhsa_system_sgpr_workgroup_info 0
		.amdhsa_system_vgpr_workitem_id 0
		.amdhsa_next_free_vgpr 1
		.amdhsa_next_free_sgpr 0
		.amdhsa_accum_offset 4
		.amdhsa_reserve_vcc 0
		.amdhsa_reserve_flat_scratch 0
		.amdhsa_float_round_mode_32 0
		.amdhsa_float_round_mode_16_64 0
		.amdhsa_float_denorm_mode_32 3
		.amdhsa_float_denorm_mode_16_64 3
		.amdhsa_dx10_clamp 1
		.amdhsa_ieee_mode 1
		.amdhsa_fp16_overflow 0
		.amdhsa_tg_split 0
		.amdhsa_exception_fp_ieee_invalid_op 0
		.amdhsa_exception_fp_denorm_src 0
		.amdhsa_exception_fp_ieee_div_zero 0
		.amdhsa_exception_fp_ieee_overflow 0
		.amdhsa_exception_fp_ieee_underflow 0
		.amdhsa_exception_fp_ieee_inexact 0
		.amdhsa_exception_int_div_zero 0
	.end_amdhsa_kernel
	.section	.text._ZN7rocprim17ROCPRIM_400000_NS6detail17trampoline_kernelINS0_14default_configENS1_35radix_sort_onesweep_config_selectorIjNS0_10empty_typeEEEZZNS1_29radix_sort_onesweep_iterationIS3_Lb0EN6thrust23THRUST_200600_302600_NS6detail15normal_iteratorINS9_10device_ptrIjEEEESE_PS5_SF_jNS0_19identity_decomposerENS1_16block_id_wrapperIjLb1EEEEE10hipError_tT1_PNSt15iterator_traitsISK_E10value_typeET2_T3_PNSL_ISQ_E10value_typeET4_T5_PSV_SW_PNS1_23onesweep_lookback_stateEbbT6_jjT7_P12ihipStream_tbENKUlT_T0_SK_SP_E_clIPjSE_SF_SF_EEDaS13_S14_SK_SP_EUlS13_E_NS1_11comp_targetILNS1_3genE9ELNS1_11target_archE1100ELNS1_3gpuE3ELNS1_3repE0EEENS1_47radix_sort_onesweep_sort_config_static_selectorELNS0_4arch9wavefront6targetE1EEEvSK_,"axG",@progbits,_ZN7rocprim17ROCPRIM_400000_NS6detail17trampoline_kernelINS0_14default_configENS1_35radix_sort_onesweep_config_selectorIjNS0_10empty_typeEEEZZNS1_29radix_sort_onesweep_iterationIS3_Lb0EN6thrust23THRUST_200600_302600_NS6detail15normal_iteratorINS9_10device_ptrIjEEEESE_PS5_SF_jNS0_19identity_decomposerENS1_16block_id_wrapperIjLb1EEEEE10hipError_tT1_PNSt15iterator_traitsISK_E10value_typeET2_T3_PNSL_ISQ_E10value_typeET4_T5_PSV_SW_PNS1_23onesweep_lookback_stateEbbT6_jjT7_P12ihipStream_tbENKUlT_T0_SK_SP_E_clIPjSE_SF_SF_EEDaS13_S14_SK_SP_EUlS13_E_NS1_11comp_targetILNS1_3genE9ELNS1_11target_archE1100ELNS1_3gpuE3ELNS1_3repE0EEENS1_47radix_sort_onesweep_sort_config_static_selectorELNS0_4arch9wavefront6targetE1EEEvSK_,comdat
.Lfunc_end1126:
	.size	_ZN7rocprim17ROCPRIM_400000_NS6detail17trampoline_kernelINS0_14default_configENS1_35radix_sort_onesweep_config_selectorIjNS0_10empty_typeEEEZZNS1_29radix_sort_onesweep_iterationIS3_Lb0EN6thrust23THRUST_200600_302600_NS6detail15normal_iteratorINS9_10device_ptrIjEEEESE_PS5_SF_jNS0_19identity_decomposerENS1_16block_id_wrapperIjLb1EEEEE10hipError_tT1_PNSt15iterator_traitsISK_E10value_typeET2_T3_PNSL_ISQ_E10value_typeET4_T5_PSV_SW_PNS1_23onesweep_lookback_stateEbbT6_jjT7_P12ihipStream_tbENKUlT_T0_SK_SP_E_clIPjSE_SF_SF_EEDaS13_S14_SK_SP_EUlS13_E_NS1_11comp_targetILNS1_3genE9ELNS1_11target_archE1100ELNS1_3gpuE3ELNS1_3repE0EEENS1_47radix_sort_onesweep_sort_config_static_selectorELNS0_4arch9wavefront6targetE1EEEvSK_, .Lfunc_end1126-_ZN7rocprim17ROCPRIM_400000_NS6detail17trampoline_kernelINS0_14default_configENS1_35radix_sort_onesweep_config_selectorIjNS0_10empty_typeEEEZZNS1_29radix_sort_onesweep_iterationIS3_Lb0EN6thrust23THRUST_200600_302600_NS6detail15normal_iteratorINS9_10device_ptrIjEEEESE_PS5_SF_jNS0_19identity_decomposerENS1_16block_id_wrapperIjLb1EEEEE10hipError_tT1_PNSt15iterator_traitsISK_E10value_typeET2_T3_PNSL_ISQ_E10value_typeET4_T5_PSV_SW_PNS1_23onesweep_lookback_stateEbbT6_jjT7_P12ihipStream_tbENKUlT_T0_SK_SP_E_clIPjSE_SF_SF_EEDaS13_S14_SK_SP_EUlS13_E_NS1_11comp_targetILNS1_3genE9ELNS1_11target_archE1100ELNS1_3gpuE3ELNS1_3repE0EEENS1_47radix_sort_onesweep_sort_config_static_selectorELNS0_4arch9wavefront6targetE1EEEvSK_
                                        ; -- End function
	.section	.AMDGPU.csdata,"",@progbits
; Kernel info:
; codeLenInByte = 0
; NumSgprs: 4
; NumVgprs: 0
; NumAgprs: 0
; TotalNumVgprs: 0
; ScratchSize: 0
; MemoryBound: 0
; FloatMode: 240
; IeeeMode: 1
; LDSByteSize: 0 bytes/workgroup (compile time only)
; SGPRBlocks: 0
; VGPRBlocks: 0
; NumSGPRsForWavesPerEU: 4
; NumVGPRsForWavesPerEU: 1
; AccumOffset: 4
; Occupancy: 8
; WaveLimiterHint : 0
; COMPUTE_PGM_RSRC2:SCRATCH_EN: 0
; COMPUTE_PGM_RSRC2:USER_SGPR: 6
; COMPUTE_PGM_RSRC2:TRAP_HANDLER: 0
; COMPUTE_PGM_RSRC2:TGID_X_EN: 1
; COMPUTE_PGM_RSRC2:TGID_Y_EN: 0
; COMPUTE_PGM_RSRC2:TGID_Z_EN: 0
; COMPUTE_PGM_RSRC2:TIDIG_COMP_CNT: 0
; COMPUTE_PGM_RSRC3_GFX90A:ACCUM_OFFSET: 0
; COMPUTE_PGM_RSRC3_GFX90A:TG_SPLIT: 0
	.section	.text._ZN7rocprim17ROCPRIM_400000_NS6detail17trampoline_kernelINS0_14default_configENS1_35radix_sort_onesweep_config_selectorIjNS0_10empty_typeEEEZZNS1_29radix_sort_onesweep_iterationIS3_Lb0EN6thrust23THRUST_200600_302600_NS6detail15normal_iteratorINS9_10device_ptrIjEEEESE_PS5_SF_jNS0_19identity_decomposerENS1_16block_id_wrapperIjLb1EEEEE10hipError_tT1_PNSt15iterator_traitsISK_E10value_typeET2_T3_PNSL_ISQ_E10value_typeET4_T5_PSV_SW_PNS1_23onesweep_lookback_stateEbbT6_jjT7_P12ihipStream_tbENKUlT_T0_SK_SP_E_clIPjSE_SF_SF_EEDaS13_S14_SK_SP_EUlS13_E_NS1_11comp_targetILNS1_3genE8ELNS1_11target_archE1030ELNS1_3gpuE2ELNS1_3repE0EEENS1_47radix_sort_onesweep_sort_config_static_selectorELNS0_4arch9wavefront6targetE1EEEvSK_,"axG",@progbits,_ZN7rocprim17ROCPRIM_400000_NS6detail17trampoline_kernelINS0_14default_configENS1_35radix_sort_onesweep_config_selectorIjNS0_10empty_typeEEEZZNS1_29radix_sort_onesweep_iterationIS3_Lb0EN6thrust23THRUST_200600_302600_NS6detail15normal_iteratorINS9_10device_ptrIjEEEESE_PS5_SF_jNS0_19identity_decomposerENS1_16block_id_wrapperIjLb1EEEEE10hipError_tT1_PNSt15iterator_traitsISK_E10value_typeET2_T3_PNSL_ISQ_E10value_typeET4_T5_PSV_SW_PNS1_23onesweep_lookback_stateEbbT6_jjT7_P12ihipStream_tbENKUlT_T0_SK_SP_E_clIPjSE_SF_SF_EEDaS13_S14_SK_SP_EUlS13_E_NS1_11comp_targetILNS1_3genE8ELNS1_11target_archE1030ELNS1_3gpuE2ELNS1_3repE0EEENS1_47radix_sort_onesweep_sort_config_static_selectorELNS0_4arch9wavefront6targetE1EEEvSK_,comdat
	.protected	_ZN7rocprim17ROCPRIM_400000_NS6detail17trampoline_kernelINS0_14default_configENS1_35radix_sort_onesweep_config_selectorIjNS0_10empty_typeEEEZZNS1_29radix_sort_onesweep_iterationIS3_Lb0EN6thrust23THRUST_200600_302600_NS6detail15normal_iteratorINS9_10device_ptrIjEEEESE_PS5_SF_jNS0_19identity_decomposerENS1_16block_id_wrapperIjLb1EEEEE10hipError_tT1_PNSt15iterator_traitsISK_E10value_typeET2_T3_PNSL_ISQ_E10value_typeET4_T5_PSV_SW_PNS1_23onesweep_lookback_stateEbbT6_jjT7_P12ihipStream_tbENKUlT_T0_SK_SP_E_clIPjSE_SF_SF_EEDaS13_S14_SK_SP_EUlS13_E_NS1_11comp_targetILNS1_3genE8ELNS1_11target_archE1030ELNS1_3gpuE2ELNS1_3repE0EEENS1_47radix_sort_onesweep_sort_config_static_selectorELNS0_4arch9wavefront6targetE1EEEvSK_ ; -- Begin function _ZN7rocprim17ROCPRIM_400000_NS6detail17trampoline_kernelINS0_14default_configENS1_35radix_sort_onesweep_config_selectorIjNS0_10empty_typeEEEZZNS1_29radix_sort_onesweep_iterationIS3_Lb0EN6thrust23THRUST_200600_302600_NS6detail15normal_iteratorINS9_10device_ptrIjEEEESE_PS5_SF_jNS0_19identity_decomposerENS1_16block_id_wrapperIjLb1EEEEE10hipError_tT1_PNSt15iterator_traitsISK_E10value_typeET2_T3_PNSL_ISQ_E10value_typeET4_T5_PSV_SW_PNS1_23onesweep_lookback_stateEbbT6_jjT7_P12ihipStream_tbENKUlT_T0_SK_SP_E_clIPjSE_SF_SF_EEDaS13_S14_SK_SP_EUlS13_E_NS1_11comp_targetILNS1_3genE8ELNS1_11target_archE1030ELNS1_3gpuE2ELNS1_3repE0EEENS1_47radix_sort_onesweep_sort_config_static_selectorELNS0_4arch9wavefront6targetE1EEEvSK_
	.globl	_ZN7rocprim17ROCPRIM_400000_NS6detail17trampoline_kernelINS0_14default_configENS1_35radix_sort_onesweep_config_selectorIjNS0_10empty_typeEEEZZNS1_29radix_sort_onesweep_iterationIS3_Lb0EN6thrust23THRUST_200600_302600_NS6detail15normal_iteratorINS9_10device_ptrIjEEEESE_PS5_SF_jNS0_19identity_decomposerENS1_16block_id_wrapperIjLb1EEEEE10hipError_tT1_PNSt15iterator_traitsISK_E10value_typeET2_T3_PNSL_ISQ_E10value_typeET4_T5_PSV_SW_PNS1_23onesweep_lookback_stateEbbT6_jjT7_P12ihipStream_tbENKUlT_T0_SK_SP_E_clIPjSE_SF_SF_EEDaS13_S14_SK_SP_EUlS13_E_NS1_11comp_targetILNS1_3genE8ELNS1_11target_archE1030ELNS1_3gpuE2ELNS1_3repE0EEENS1_47radix_sort_onesweep_sort_config_static_selectorELNS0_4arch9wavefront6targetE1EEEvSK_
	.p2align	8
	.type	_ZN7rocprim17ROCPRIM_400000_NS6detail17trampoline_kernelINS0_14default_configENS1_35radix_sort_onesweep_config_selectorIjNS0_10empty_typeEEEZZNS1_29radix_sort_onesweep_iterationIS3_Lb0EN6thrust23THRUST_200600_302600_NS6detail15normal_iteratorINS9_10device_ptrIjEEEESE_PS5_SF_jNS0_19identity_decomposerENS1_16block_id_wrapperIjLb1EEEEE10hipError_tT1_PNSt15iterator_traitsISK_E10value_typeET2_T3_PNSL_ISQ_E10value_typeET4_T5_PSV_SW_PNS1_23onesweep_lookback_stateEbbT6_jjT7_P12ihipStream_tbENKUlT_T0_SK_SP_E_clIPjSE_SF_SF_EEDaS13_S14_SK_SP_EUlS13_E_NS1_11comp_targetILNS1_3genE8ELNS1_11target_archE1030ELNS1_3gpuE2ELNS1_3repE0EEENS1_47radix_sort_onesweep_sort_config_static_selectorELNS0_4arch9wavefront6targetE1EEEvSK_,@function
_ZN7rocprim17ROCPRIM_400000_NS6detail17trampoline_kernelINS0_14default_configENS1_35radix_sort_onesweep_config_selectorIjNS0_10empty_typeEEEZZNS1_29radix_sort_onesweep_iterationIS3_Lb0EN6thrust23THRUST_200600_302600_NS6detail15normal_iteratorINS9_10device_ptrIjEEEESE_PS5_SF_jNS0_19identity_decomposerENS1_16block_id_wrapperIjLb1EEEEE10hipError_tT1_PNSt15iterator_traitsISK_E10value_typeET2_T3_PNSL_ISQ_E10value_typeET4_T5_PSV_SW_PNS1_23onesweep_lookback_stateEbbT6_jjT7_P12ihipStream_tbENKUlT_T0_SK_SP_E_clIPjSE_SF_SF_EEDaS13_S14_SK_SP_EUlS13_E_NS1_11comp_targetILNS1_3genE8ELNS1_11target_archE1030ELNS1_3gpuE2ELNS1_3repE0EEENS1_47radix_sort_onesweep_sort_config_static_selectorELNS0_4arch9wavefront6targetE1EEEvSK_: ; @_ZN7rocprim17ROCPRIM_400000_NS6detail17trampoline_kernelINS0_14default_configENS1_35radix_sort_onesweep_config_selectorIjNS0_10empty_typeEEEZZNS1_29radix_sort_onesweep_iterationIS3_Lb0EN6thrust23THRUST_200600_302600_NS6detail15normal_iteratorINS9_10device_ptrIjEEEESE_PS5_SF_jNS0_19identity_decomposerENS1_16block_id_wrapperIjLb1EEEEE10hipError_tT1_PNSt15iterator_traitsISK_E10value_typeET2_T3_PNSL_ISQ_E10value_typeET4_T5_PSV_SW_PNS1_23onesweep_lookback_stateEbbT6_jjT7_P12ihipStream_tbENKUlT_T0_SK_SP_E_clIPjSE_SF_SF_EEDaS13_S14_SK_SP_EUlS13_E_NS1_11comp_targetILNS1_3genE8ELNS1_11target_archE1030ELNS1_3gpuE2ELNS1_3repE0EEENS1_47radix_sort_onesweep_sort_config_static_selectorELNS0_4arch9wavefront6targetE1EEEvSK_
; %bb.0:
	.section	.rodata,"a",@progbits
	.p2align	6, 0x0
	.amdhsa_kernel _ZN7rocprim17ROCPRIM_400000_NS6detail17trampoline_kernelINS0_14default_configENS1_35radix_sort_onesweep_config_selectorIjNS0_10empty_typeEEEZZNS1_29radix_sort_onesweep_iterationIS3_Lb0EN6thrust23THRUST_200600_302600_NS6detail15normal_iteratorINS9_10device_ptrIjEEEESE_PS5_SF_jNS0_19identity_decomposerENS1_16block_id_wrapperIjLb1EEEEE10hipError_tT1_PNSt15iterator_traitsISK_E10value_typeET2_T3_PNSL_ISQ_E10value_typeET4_T5_PSV_SW_PNS1_23onesweep_lookback_stateEbbT6_jjT7_P12ihipStream_tbENKUlT_T0_SK_SP_E_clIPjSE_SF_SF_EEDaS13_S14_SK_SP_EUlS13_E_NS1_11comp_targetILNS1_3genE8ELNS1_11target_archE1030ELNS1_3gpuE2ELNS1_3repE0EEENS1_47radix_sort_onesweep_sort_config_static_selectorELNS0_4arch9wavefront6targetE1EEEvSK_
		.amdhsa_group_segment_fixed_size 0
		.amdhsa_private_segment_fixed_size 0
		.amdhsa_kernarg_size 88
		.amdhsa_user_sgpr_count 6
		.amdhsa_user_sgpr_private_segment_buffer 1
		.amdhsa_user_sgpr_dispatch_ptr 0
		.amdhsa_user_sgpr_queue_ptr 0
		.amdhsa_user_sgpr_kernarg_segment_ptr 1
		.amdhsa_user_sgpr_dispatch_id 0
		.amdhsa_user_sgpr_flat_scratch_init 0
		.amdhsa_user_sgpr_kernarg_preload_length 0
		.amdhsa_user_sgpr_kernarg_preload_offset 0
		.amdhsa_user_sgpr_private_segment_size 0
		.amdhsa_uses_dynamic_stack 0
		.amdhsa_system_sgpr_private_segment_wavefront_offset 0
		.amdhsa_system_sgpr_workgroup_id_x 1
		.amdhsa_system_sgpr_workgroup_id_y 0
		.amdhsa_system_sgpr_workgroup_id_z 0
		.amdhsa_system_sgpr_workgroup_info 0
		.amdhsa_system_vgpr_workitem_id 0
		.amdhsa_next_free_vgpr 1
		.amdhsa_next_free_sgpr 0
		.amdhsa_accum_offset 4
		.amdhsa_reserve_vcc 0
		.amdhsa_reserve_flat_scratch 0
		.amdhsa_float_round_mode_32 0
		.amdhsa_float_round_mode_16_64 0
		.amdhsa_float_denorm_mode_32 3
		.amdhsa_float_denorm_mode_16_64 3
		.amdhsa_dx10_clamp 1
		.amdhsa_ieee_mode 1
		.amdhsa_fp16_overflow 0
		.amdhsa_tg_split 0
		.amdhsa_exception_fp_ieee_invalid_op 0
		.amdhsa_exception_fp_denorm_src 0
		.amdhsa_exception_fp_ieee_div_zero 0
		.amdhsa_exception_fp_ieee_overflow 0
		.amdhsa_exception_fp_ieee_underflow 0
		.amdhsa_exception_fp_ieee_inexact 0
		.amdhsa_exception_int_div_zero 0
	.end_amdhsa_kernel
	.section	.text._ZN7rocprim17ROCPRIM_400000_NS6detail17trampoline_kernelINS0_14default_configENS1_35radix_sort_onesweep_config_selectorIjNS0_10empty_typeEEEZZNS1_29radix_sort_onesweep_iterationIS3_Lb0EN6thrust23THRUST_200600_302600_NS6detail15normal_iteratorINS9_10device_ptrIjEEEESE_PS5_SF_jNS0_19identity_decomposerENS1_16block_id_wrapperIjLb1EEEEE10hipError_tT1_PNSt15iterator_traitsISK_E10value_typeET2_T3_PNSL_ISQ_E10value_typeET4_T5_PSV_SW_PNS1_23onesweep_lookback_stateEbbT6_jjT7_P12ihipStream_tbENKUlT_T0_SK_SP_E_clIPjSE_SF_SF_EEDaS13_S14_SK_SP_EUlS13_E_NS1_11comp_targetILNS1_3genE8ELNS1_11target_archE1030ELNS1_3gpuE2ELNS1_3repE0EEENS1_47radix_sort_onesweep_sort_config_static_selectorELNS0_4arch9wavefront6targetE1EEEvSK_,"axG",@progbits,_ZN7rocprim17ROCPRIM_400000_NS6detail17trampoline_kernelINS0_14default_configENS1_35radix_sort_onesweep_config_selectorIjNS0_10empty_typeEEEZZNS1_29radix_sort_onesweep_iterationIS3_Lb0EN6thrust23THRUST_200600_302600_NS6detail15normal_iteratorINS9_10device_ptrIjEEEESE_PS5_SF_jNS0_19identity_decomposerENS1_16block_id_wrapperIjLb1EEEEE10hipError_tT1_PNSt15iterator_traitsISK_E10value_typeET2_T3_PNSL_ISQ_E10value_typeET4_T5_PSV_SW_PNS1_23onesweep_lookback_stateEbbT6_jjT7_P12ihipStream_tbENKUlT_T0_SK_SP_E_clIPjSE_SF_SF_EEDaS13_S14_SK_SP_EUlS13_E_NS1_11comp_targetILNS1_3genE8ELNS1_11target_archE1030ELNS1_3gpuE2ELNS1_3repE0EEENS1_47radix_sort_onesweep_sort_config_static_selectorELNS0_4arch9wavefront6targetE1EEEvSK_,comdat
.Lfunc_end1127:
	.size	_ZN7rocprim17ROCPRIM_400000_NS6detail17trampoline_kernelINS0_14default_configENS1_35radix_sort_onesweep_config_selectorIjNS0_10empty_typeEEEZZNS1_29radix_sort_onesweep_iterationIS3_Lb0EN6thrust23THRUST_200600_302600_NS6detail15normal_iteratorINS9_10device_ptrIjEEEESE_PS5_SF_jNS0_19identity_decomposerENS1_16block_id_wrapperIjLb1EEEEE10hipError_tT1_PNSt15iterator_traitsISK_E10value_typeET2_T3_PNSL_ISQ_E10value_typeET4_T5_PSV_SW_PNS1_23onesweep_lookback_stateEbbT6_jjT7_P12ihipStream_tbENKUlT_T0_SK_SP_E_clIPjSE_SF_SF_EEDaS13_S14_SK_SP_EUlS13_E_NS1_11comp_targetILNS1_3genE8ELNS1_11target_archE1030ELNS1_3gpuE2ELNS1_3repE0EEENS1_47radix_sort_onesweep_sort_config_static_selectorELNS0_4arch9wavefront6targetE1EEEvSK_, .Lfunc_end1127-_ZN7rocprim17ROCPRIM_400000_NS6detail17trampoline_kernelINS0_14default_configENS1_35radix_sort_onesweep_config_selectorIjNS0_10empty_typeEEEZZNS1_29radix_sort_onesweep_iterationIS3_Lb0EN6thrust23THRUST_200600_302600_NS6detail15normal_iteratorINS9_10device_ptrIjEEEESE_PS5_SF_jNS0_19identity_decomposerENS1_16block_id_wrapperIjLb1EEEEE10hipError_tT1_PNSt15iterator_traitsISK_E10value_typeET2_T3_PNSL_ISQ_E10value_typeET4_T5_PSV_SW_PNS1_23onesweep_lookback_stateEbbT6_jjT7_P12ihipStream_tbENKUlT_T0_SK_SP_E_clIPjSE_SF_SF_EEDaS13_S14_SK_SP_EUlS13_E_NS1_11comp_targetILNS1_3genE8ELNS1_11target_archE1030ELNS1_3gpuE2ELNS1_3repE0EEENS1_47radix_sort_onesweep_sort_config_static_selectorELNS0_4arch9wavefront6targetE1EEEvSK_
                                        ; -- End function
	.section	.AMDGPU.csdata,"",@progbits
; Kernel info:
; codeLenInByte = 0
; NumSgprs: 4
; NumVgprs: 0
; NumAgprs: 0
; TotalNumVgprs: 0
; ScratchSize: 0
; MemoryBound: 0
; FloatMode: 240
; IeeeMode: 1
; LDSByteSize: 0 bytes/workgroup (compile time only)
; SGPRBlocks: 0
; VGPRBlocks: 0
; NumSGPRsForWavesPerEU: 4
; NumVGPRsForWavesPerEU: 1
; AccumOffset: 4
; Occupancy: 8
; WaveLimiterHint : 0
; COMPUTE_PGM_RSRC2:SCRATCH_EN: 0
; COMPUTE_PGM_RSRC2:USER_SGPR: 6
; COMPUTE_PGM_RSRC2:TRAP_HANDLER: 0
; COMPUTE_PGM_RSRC2:TGID_X_EN: 1
; COMPUTE_PGM_RSRC2:TGID_Y_EN: 0
; COMPUTE_PGM_RSRC2:TGID_Z_EN: 0
; COMPUTE_PGM_RSRC2:TIDIG_COMP_CNT: 0
; COMPUTE_PGM_RSRC3_GFX90A:ACCUM_OFFSET: 0
; COMPUTE_PGM_RSRC3_GFX90A:TG_SPLIT: 0
	.section	.text._ZN7rocprim17ROCPRIM_400000_NS6detail17trampoline_kernelINS0_14default_configENS1_35radix_sort_onesweep_config_selectorIjNS0_10empty_typeEEEZZNS1_29radix_sort_onesweep_iterationIS3_Lb0EN6thrust23THRUST_200600_302600_NS6detail15normal_iteratorINS9_10device_ptrIjEEEESE_PS5_SF_jNS0_19identity_decomposerENS1_16block_id_wrapperIjLb0EEEEE10hipError_tT1_PNSt15iterator_traitsISK_E10value_typeET2_T3_PNSL_ISQ_E10value_typeET4_T5_PSV_SW_PNS1_23onesweep_lookback_stateEbbT6_jjT7_P12ihipStream_tbENKUlT_T0_SK_SP_E_clISE_SE_SF_SF_EEDaS13_S14_SK_SP_EUlS13_E_NS1_11comp_targetILNS1_3genE0ELNS1_11target_archE4294967295ELNS1_3gpuE0ELNS1_3repE0EEENS1_47radix_sort_onesweep_sort_config_static_selectorELNS0_4arch9wavefront6targetE1EEEvSK_,"axG",@progbits,_ZN7rocprim17ROCPRIM_400000_NS6detail17trampoline_kernelINS0_14default_configENS1_35radix_sort_onesweep_config_selectorIjNS0_10empty_typeEEEZZNS1_29radix_sort_onesweep_iterationIS3_Lb0EN6thrust23THRUST_200600_302600_NS6detail15normal_iteratorINS9_10device_ptrIjEEEESE_PS5_SF_jNS0_19identity_decomposerENS1_16block_id_wrapperIjLb0EEEEE10hipError_tT1_PNSt15iterator_traitsISK_E10value_typeET2_T3_PNSL_ISQ_E10value_typeET4_T5_PSV_SW_PNS1_23onesweep_lookback_stateEbbT6_jjT7_P12ihipStream_tbENKUlT_T0_SK_SP_E_clISE_SE_SF_SF_EEDaS13_S14_SK_SP_EUlS13_E_NS1_11comp_targetILNS1_3genE0ELNS1_11target_archE4294967295ELNS1_3gpuE0ELNS1_3repE0EEENS1_47radix_sort_onesweep_sort_config_static_selectorELNS0_4arch9wavefront6targetE1EEEvSK_,comdat
	.protected	_ZN7rocprim17ROCPRIM_400000_NS6detail17trampoline_kernelINS0_14default_configENS1_35radix_sort_onesweep_config_selectorIjNS0_10empty_typeEEEZZNS1_29radix_sort_onesweep_iterationIS3_Lb0EN6thrust23THRUST_200600_302600_NS6detail15normal_iteratorINS9_10device_ptrIjEEEESE_PS5_SF_jNS0_19identity_decomposerENS1_16block_id_wrapperIjLb0EEEEE10hipError_tT1_PNSt15iterator_traitsISK_E10value_typeET2_T3_PNSL_ISQ_E10value_typeET4_T5_PSV_SW_PNS1_23onesweep_lookback_stateEbbT6_jjT7_P12ihipStream_tbENKUlT_T0_SK_SP_E_clISE_SE_SF_SF_EEDaS13_S14_SK_SP_EUlS13_E_NS1_11comp_targetILNS1_3genE0ELNS1_11target_archE4294967295ELNS1_3gpuE0ELNS1_3repE0EEENS1_47radix_sort_onesweep_sort_config_static_selectorELNS0_4arch9wavefront6targetE1EEEvSK_ ; -- Begin function _ZN7rocprim17ROCPRIM_400000_NS6detail17trampoline_kernelINS0_14default_configENS1_35radix_sort_onesweep_config_selectorIjNS0_10empty_typeEEEZZNS1_29radix_sort_onesweep_iterationIS3_Lb0EN6thrust23THRUST_200600_302600_NS6detail15normal_iteratorINS9_10device_ptrIjEEEESE_PS5_SF_jNS0_19identity_decomposerENS1_16block_id_wrapperIjLb0EEEEE10hipError_tT1_PNSt15iterator_traitsISK_E10value_typeET2_T3_PNSL_ISQ_E10value_typeET4_T5_PSV_SW_PNS1_23onesweep_lookback_stateEbbT6_jjT7_P12ihipStream_tbENKUlT_T0_SK_SP_E_clISE_SE_SF_SF_EEDaS13_S14_SK_SP_EUlS13_E_NS1_11comp_targetILNS1_3genE0ELNS1_11target_archE4294967295ELNS1_3gpuE0ELNS1_3repE0EEENS1_47radix_sort_onesweep_sort_config_static_selectorELNS0_4arch9wavefront6targetE1EEEvSK_
	.globl	_ZN7rocprim17ROCPRIM_400000_NS6detail17trampoline_kernelINS0_14default_configENS1_35radix_sort_onesweep_config_selectorIjNS0_10empty_typeEEEZZNS1_29radix_sort_onesweep_iterationIS3_Lb0EN6thrust23THRUST_200600_302600_NS6detail15normal_iteratorINS9_10device_ptrIjEEEESE_PS5_SF_jNS0_19identity_decomposerENS1_16block_id_wrapperIjLb0EEEEE10hipError_tT1_PNSt15iterator_traitsISK_E10value_typeET2_T3_PNSL_ISQ_E10value_typeET4_T5_PSV_SW_PNS1_23onesweep_lookback_stateEbbT6_jjT7_P12ihipStream_tbENKUlT_T0_SK_SP_E_clISE_SE_SF_SF_EEDaS13_S14_SK_SP_EUlS13_E_NS1_11comp_targetILNS1_3genE0ELNS1_11target_archE4294967295ELNS1_3gpuE0ELNS1_3repE0EEENS1_47radix_sort_onesweep_sort_config_static_selectorELNS0_4arch9wavefront6targetE1EEEvSK_
	.p2align	8
	.type	_ZN7rocprim17ROCPRIM_400000_NS6detail17trampoline_kernelINS0_14default_configENS1_35radix_sort_onesweep_config_selectorIjNS0_10empty_typeEEEZZNS1_29radix_sort_onesweep_iterationIS3_Lb0EN6thrust23THRUST_200600_302600_NS6detail15normal_iteratorINS9_10device_ptrIjEEEESE_PS5_SF_jNS0_19identity_decomposerENS1_16block_id_wrapperIjLb0EEEEE10hipError_tT1_PNSt15iterator_traitsISK_E10value_typeET2_T3_PNSL_ISQ_E10value_typeET4_T5_PSV_SW_PNS1_23onesweep_lookback_stateEbbT6_jjT7_P12ihipStream_tbENKUlT_T0_SK_SP_E_clISE_SE_SF_SF_EEDaS13_S14_SK_SP_EUlS13_E_NS1_11comp_targetILNS1_3genE0ELNS1_11target_archE4294967295ELNS1_3gpuE0ELNS1_3repE0EEENS1_47radix_sort_onesweep_sort_config_static_selectorELNS0_4arch9wavefront6targetE1EEEvSK_,@function
_ZN7rocprim17ROCPRIM_400000_NS6detail17trampoline_kernelINS0_14default_configENS1_35radix_sort_onesweep_config_selectorIjNS0_10empty_typeEEEZZNS1_29radix_sort_onesweep_iterationIS3_Lb0EN6thrust23THRUST_200600_302600_NS6detail15normal_iteratorINS9_10device_ptrIjEEEESE_PS5_SF_jNS0_19identity_decomposerENS1_16block_id_wrapperIjLb0EEEEE10hipError_tT1_PNSt15iterator_traitsISK_E10value_typeET2_T3_PNSL_ISQ_E10value_typeET4_T5_PSV_SW_PNS1_23onesweep_lookback_stateEbbT6_jjT7_P12ihipStream_tbENKUlT_T0_SK_SP_E_clISE_SE_SF_SF_EEDaS13_S14_SK_SP_EUlS13_E_NS1_11comp_targetILNS1_3genE0ELNS1_11target_archE4294967295ELNS1_3gpuE0ELNS1_3repE0EEENS1_47radix_sort_onesweep_sort_config_static_selectorELNS0_4arch9wavefront6targetE1EEEvSK_: ; @_ZN7rocprim17ROCPRIM_400000_NS6detail17trampoline_kernelINS0_14default_configENS1_35radix_sort_onesweep_config_selectorIjNS0_10empty_typeEEEZZNS1_29radix_sort_onesweep_iterationIS3_Lb0EN6thrust23THRUST_200600_302600_NS6detail15normal_iteratorINS9_10device_ptrIjEEEESE_PS5_SF_jNS0_19identity_decomposerENS1_16block_id_wrapperIjLb0EEEEE10hipError_tT1_PNSt15iterator_traitsISK_E10value_typeET2_T3_PNSL_ISQ_E10value_typeET4_T5_PSV_SW_PNS1_23onesweep_lookback_stateEbbT6_jjT7_P12ihipStream_tbENKUlT_T0_SK_SP_E_clISE_SE_SF_SF_EEDaS13_S14_SK_SP_EUlS13_E_NS1_11comp_targetILNS1_3genE0ELNS1_11target_archE4294967295ELNS1_3gpuE0ELNS1_3repE0EEENS1_47radix_sort_onesweep_sort_config_static_selectorELNS0_4arch9wavefront6targetE1EEEvSK_
; %bb.0:
	.section	.rodata,"a",@progbits
	.p2align	6, 0x0
	.amdhsa_kernel _ZN7rocprim17ROCPRIM_400000_NS6detail17trampoline_kernelINS0_14default_configENS1_35radix_sort_onesweep_config_selectorIjNS0_10empty_typeEEEZZNS1_29radix_sort_onesweep_iterationIS3_Lb0EN6thrust23THRUST_200600_302600_NS6detail15normal_iteratorINS9_10device_ptrIjEEEESE_PS5_SF_jNS0_19identity_decomposerENS1_16block_id_wrapperIjLb0EEEEE10hipError_tT1_PNSt15iterator_traitsISK_E10value_typeET2_T3_PNSL_ISQ_E10value_typeET4_T5_PSV_SW_PNS1_23onesweep_lookback_stateEbbT6_jjT7_P12ihipStream_tbENKUlT_T0_SK_SP_E_clISE_SE_SF_SF_EEDaS13_S14_SK_SP_EUlS13_E_NS1_11comp_targetILNS1_3genE0ELNS1_11target_archE4294967295ELNS1_3gpuE0ELNS1_3repE0EEENS1_47radix_sort_onesweep_sort_config_static_selectorELNS0_4arch9wavefront6targetE1EEEvSK_
		.amdhsa_group_segment_fixed_size 0
		.amdhsa_private_segment_fixed_size 0
		.amdhsa_kernarg_size 88
		.amdhsa_user_sgpr_count 6
		.amdhsa_user_sgpr_private_segment_buffer 1
		.amdhsa_user_sgpr_dispatch_ptr 0
		.amdhsa_user_sgpr_queue_ptr 0
		.amdhsa_user_sgpr_kernarg_segment_ptr 1
		.amdhsa_user_sgpr_dispatch_id 0
		.amdhsa_user_sgpr_flat_scratch_init 0
		.amdhsa_user_sgpr_kernarg_preload_length 0
		.amdhsa_user_sgpr_kernarg_preload_offset 0
		.amdhsa_user_sgpr_private_segment_size 0
		.amdhsa_uses_dynamic_stack 0
		.amdhsa_system_sgpr_private_segment_wavefront_offset 0
		.amdhsa_system_sgpr_workgroup_id_x 1
		.amdhsa_system_sgpr_workgroup_id_y 0
		.amdhsa_system_sgpr_workgroup_id_z 0
		.amdhsa_system_sgpr_workgroup_info 0
		.amdhsa_system_vgpr_workitem_id 0
		.amdhsa_next_free_vgpr 1
		.amdhsa_next_free_sgpr 0
		.amdhsa_accum_offset 4
		.amdhsa_reserve_vcc 0
		.amdhsa_reserve_flat_scratch 0
		.amdhsa_float_round_mode_32 0
		.amdhsa_float_round_mode_16_64 0
		.amdhsa_float_denorm_mode_32 3
		.amdhsa_float_denorm_mode_16_64 3
		.amdhsa_dx10_clamp 1
		.amdhsa_ieee_mode 1
		.amdhsa_fp16_overflow 0
		.amdhsa_tg_split 0
		.amdhsa_exception_fp_ieee_invalid_op 0
		.amdhsa_exception_fp_denorm_src 0
		.amdhsa_exception_fp_ieee_div_zero 0
		.amdhsa_exception_fp_ieee_overflow 0
		.amdhsa_exception_fp_ieee_underflow 0
		.amdhsa_exception_fp_ieee_inexact 0
		.amdhsa_exception_int_div_zero 0
	.end_amdhsa_kernel
	.section	.text._ZN7rocprim17ROCPRIM_400000_NS6detail17trampoline_kernelINS0_14default_configENS1_35radix_sort_onesweep_config_selectorIjNS0_10empty_typeEEEZZNS1_29radix_sort_onesweep_iterationIS3_Lb0EN6thrust23THRUST_200600_302600_NS6detail15normal_iteratorINS9_10device_ptrIjEEEESE_PS5_SF_jNS0_19identity_decomposerENS1_16block_id_wrapperIjLb0EEEEE10hipError_tT1_PNSt15iterator_traitsISK_E10value_typeET2_T3_PNSL_ISQ_E10value_typeET4_T5_PSV_SW_PNS1_23onesweep_lookback_stateEbbT6_jjT7_P12ihipStream_tbENKUlT_T0_SK_SP_E_clISE_SE_SF_SF_EEDaS13_S14_SK_SP_EUlS13_E_NS1_11comp_targetILNS1_3genE0ELNS1_11target_archE4294967295ELNS1_3gpuE0ELNS1_3repE0EEENS1_47radix_sort_onesweep_sort_config_static_selectorELNS0_4arch9wavefront6targetE1EEEvSK_,"axG",@progbits,_ZN7rocprim17ROCPRIM_400000_NS6detail17trampoline_kernelINS0_14default_configENS1_35radix_sort_onesweep_config_selectorIjNS0_10empty_typeEEEZZNS1_29radix_sort_onesweep_iterationIS3_Lb0EN6thrust23THRUST_200600_302600_NS6detail15normal_iteratorINS9_10device_ptrIjEEEESE_PS5_SF_jNS0_19identity_decomposerENS1_16block_id_wrapperIjLb0EEEEE10hipError_tT1_PNSt15iterator_traitsISK_E10value_typeET2_T3_PNSL_ISQ_E10value_typeET4_T5_PSV_SW_PNS1_23onesweep_lookback_stateEbbT6_jjT7_P12ihipStream_tbENKUlT_T0_SK_SP_E_clISE_SE_SF_SF_EEDaS13_S14_SK_SP_EUlS13_E_NS1_11comp_targetILNS1_3genE0ELNS1_11target_archE4294967295ELNS1_3gpuE0ELNS1_3repE0EEENS1_47radix_sort_onesweep_sort_config_static_selectorELNS0_4arch9wavefront6targetE1EEEvSK_,comdat
.Lfunc_end1128:
	.size	_ZN7rocprim17ROCPRIM_400000_NS6detail17trampoline_kernelINS0_14default_configENS1_35radix_sort_onesweep_config_selectorIjNS0_10empty_typeEEEZZNS1_29radix_sort_onesweep_iterationIS3_Lb0EN6thrust23THRUST_200600_302600_NS6detail15normal_iteratorINS9_10device_ptrIjEEEESE_PS5_SF_jNS0_19identity_decomposerENS1_16block_id_wrapperIjLb0EEEEE10hipError_tT1_PNSt15iterator_traitsISK_E10value_typeET2_T3_PNSL_ISQ_E10value_typeET4_T5_PSV_SW_PNS1_23onesweep_lookback_stateEbbT6_jjT7_P12ihipStream_tbENKUlT_T0_SK_SP_E_clISE_SE_SF_SF_EEDaS13_S14_SK_SP_EUlS13_E_NS1_11comp_targetILNS1_3genE0ELNS1_11target_archE4294967295ELNS1_3gpuE0ELNS1_3repE0EEENS1_47radix_sort_onesweep_sort_config_static_selectorELNS0_4arch9wavefront6targetE1EEEvSK_, .Lfunc_end1128-_ZN7rocprim17ROCPRIM_400000_NS6detail17trampoline_kernelINS0_14default_configENS1_35radix_sort_onesweep_config_selectorIjNS0_10empty_typeEEEZZNS1_29radix_sort_onesweep_iterationIS3_Lb0EN6thrust23THRUST_200600_302600_NS6detail15normal_iteratorINS9_10device_ptrIjEEEESE_PS5_SF_jNS0_19identity_decomposerENS1_16block_id_wrapperIjLb0EEEEE10hipError_tT1_PNSt15iterator_traitsISK_E10value_typeET2_T3_PNSL_ISQ_E10value_typeET4_T5_PSV_SW_PNS1_23onesweep_lookback_stateEbbT6_jjT7_P12ihipStream_tbENKUlT_T0_SK_SP_E_clISE_SE_SF_SF_EEDaS13_S14_SK_SP_EUlS13_E_NS1_11comp_targetILNS1_3genE0ELNS1_11target_archE4294967295ELNS1_3gpuE0ELNS1_3repE0EEENS1_47radix_sort_onesweep_sort_config_static_selectorELNS0_4arch9wavefront6targetE1EEEvSK_
                                        ; -- End function
	.section	.AMDGPU.csdata,"",@progbits
; Kernel info:
; codeLenInByte = 0
; NumSgprs: 4
; NumVgprs: 0
; NumAgprs: 0
; TotalNumVgprs: 0
; ScratchSize: 0
; MemoryBound: 0
; FloatMode: 240
; IeeeMode: 1
; LDSByteSize: 0 bytes/workgroup (compile time only)
; SGPRBlocks: 0
; VGPRBlocks: 0
; NumSGPRsForWavesPerEU: 4
; NumVGPRsForWavesPerEU: 1
; AccumOffset: 4
; Occupancy: 8
; WaveLimiterHint : 0
; COMPUTE_PGM_RSRC2:SCRATCH_EN: 0
; COMPUTE_PGM_RSRC2:USER_SGPR: 6
; COMPUTE_PGM_RSRC2:TRAP_HANDLER: 0
; COMPUTE_PGM_RSRC2:TGID_X_EN: 1
; COMPUTE_PGM_RSRC2:TGID_Y_EN: 0
; COMPUTE_PGM_RSRC2:TGID_Z_EN: 0
; COMPUTE_PGM_RSRC2:TIDIG_COMP_CNT: 0
; COMPUTE_PGM_RSRC3_GFX90A:ACCUM_OFFSET: 0
; COMPUTE_PGM_RSRC3_GFX90A:TG_SPLIT: 0
	.section	.text._ZN7rocprim17ROCPRIM_400000_NS6detail17trampoline_kernelINS0_14default_configENS1_35radix_sort_onesweep_config_selectorIjNS0_10empty_typeEEEZZNS1_29radix_sort_onesweep_iterationIS3_Lb0EN6thrust23THRUST_200600_302600_NS6detail15normal_iteratorINS9_10device_ptrIjEEEESE_PS5_SF_jNS0_19identity_decomposerENS1_16block_id_wrapperIjLb0EEEEE10hipError_tT1_PNSt15iterator_traitsISK_E10value_typeET2_T3_PNSL_ISQ_E10value_typeET4_T5_PSV_SW_PNS1_23onesweep_lookback_stateEbbT6_jjT7_P12ihipStream_tbENKUlT_T0_SK_SP_E_clISE_SE_SF_SF_EEDaS13_S14_SK_SP_EUlS13_E_NS1_11comp_targetILNS1_3genE6ELNS1_11target_archE950ELNS1_3gpuE13ELNS1_3repE0EEENS1_47radix_sort_onesweep_sort_config_static_selectorELNS0_4arch9wavefront6targetE1EEEvSK_,"axG",@progbits,_ZN7rocprim17ROCPRIM_400000_NS6detail17trampoline_kernelINS0_14default_configENS1_35radix_sort_onesweep_config_selectorIjNS0_10empty_typeEEEZZNS1_29radix_sort_onesweep_iterationIS3_Lb0EN6thrust23THRUST_200600_302600_NS6detail15normal_iteratorINS9_10device_ptrIjEEEESE_PS5_SF_jNS0_19identity_decomposerENS1_16block_id_wrapperIjLb0EEEEE10hipError_tT1_PNSt15iterator_traitsISK_E10value_typeET2_T3_PNSL_ISQ_E10value_typeET4_T5_PSV_SW_PNS1_23onesweep_lookback_stateEbbT6_jjT7_P12ihipStream_tbENKUlT_T0_SK_SP_E_clISE_SE_SF_SF_EEDaS13_S14_SK_SP_EUlS13_E_NS1_11comp_targetILNS1_3genE6ELNS1_11target_archE950ELNS1_3gpuE13ELNS1_3repE0EEENS1_47radix_sort_onesweep_sort_config_static_selectorELNS0_4arch9wavefront6targetE1EEEvSK_,comdat
	.protected	_ZN7rocprim17ROCPRIM_400000_NS6detail17trampoline_kernelINS0_14default_configENS1_35radix_sort_onesweep_config_selectorIjNS0_10empty_typeEEEZZNS1_29radix_sort_onesweep_iterationIS3_Lb0EN6thrust23THRUST_200600_302600_NS6detail15normal_iteratorINS9_10device_ptrIjEEEESE_PS5_SF_jNS0_19identity_decomposerENS1_16block_id_wrapperIjLb0EEEEE10hipError_tT1_PNSt15iterator_traitsISK_E10value_typeET2_T3_PNSL_ISQ_E10value_typeET4_T5_PSV_SW_PNS1_23onesweep_lookback_stateEbbT6_jjT7_P12ihipStream_tbENKUlT_T0_SK_SP_E_clISE_SE_SF_SF_EEDaS13_S14_SK_SP_EUlS13_E_NS1_11comp_targetILNS1_3genE6ELNS1_11target_archE950ELNS1_3gpuE13ELNS1_3repE0EEENS1_47radix_sort_onesweep_sort_config_static_selectorELNS0_4arch9wavefront6targetE1EEEvSK_ ; -- Begin function _ZN7rocprim17ROCPRIM_400000_NS6detail17trampoline_kernelINS0_14default_configENS1_35radix_sort_onesweep_config_selectorIjNS0_10empty_typeEEEZZNS1_29radix_sort_onesweep_iterationIS3_Lb0EN6thrust23THRUST_200600_302600_NS6detail15normal_iteratorINS9_10device_ptrIjEEEESE_PS5_SF_jNS0_19identity_decomposerENS1_16block_id_wrapperIjLb0EEEEE10hipError_tT1_PNSt15iterator_traitsISK_E10value_typeET2_T3_PNSL_ISQ_E10value_typeET4_T5_PSV_SW_PNS1_23onesweep_lookback_stateEbbT6_jjT7_P12ihipStream_tbENKUlT_T0_SK_SP_E_clISE_SE_SF_SF_EEDaS13_S14_SK_SP_EUlS13_E_NS1_11comp_targetILNS1_3genE6ELNS1_11target_archE950ELNS1_3gpuE13ELNS1_3repE0EEENS1_47radix_sort_onesweep_sort_config_static_selectorELNS0_4arch9wavefront6targetE1EEEvSK_
	.globl	_ZN7rocprim17ROCPRIM_400000_NS6detail17trampoline_kernelINS0_14default_configENS1_35radix_sort_onesweep_config_selectorIjNS0_10empty_typeEEEZZNS1_29radix_sort_onesweep_iterationIS3_Lb0EN6thrust23THRUST_200600_302600_NS6detail15normal_iteratorINS9_10device_ptrIjEEEESE_PS5_SF_jNS0_19identity_decomposerENS1_16block_id_wrapperIjLb0EEEEE10hipError_tT1_PNSt15iterator_traitsISK_E10value_typeET2_T3_PNSL_ISQ_E10value_typeET4_T5_PSV_SW_PNS1_23onesweep_lookback_stateEbbT6_jjT7_P12ihipStream_tbENKUlT_T0_SK_SP_E_clISE_SE_SF_SF_EEDaS13_S14_SK_SP_EUlS13_E_NS1_11comp_targetILNS1_3genE6ELNS1_11target_archE950ELNS1_3gpuE13ELNS1_3repE0EEENS1_47radix_sort_onesweep_sort_config_static_selectorELNS0_4arch9wavefront6targetE1EEEvSK_
	.p2align	8
	.type	_ZN7rocprim17ROCPRIM_400000_NS6detail17trampoline_kernelINS0_14default_configENS1_35radix_sort_onesweep_config_selectorIjNS0_10empty_typeEEEZZNS1_29radix_sort_onesweep_iterationIS3_Lb0EN6thrust23THRUST_200600_302600_NS6detail15normal_iteratorINS9_10device_ptrIjEEEESE_PS5_SF_jNS0_19identity_decomposerENS1_16block_id_wrapperIjLb0EEEEE10hipError_tT1_PNSt15iterator_traitsISK_E10value_typeET2_T3_PNSL_ISQ_E10value_typeET4_T5_PSV_SW_PNS1_23onesweep_lookback_stateEbbT6_jjT7_P12ihipStream_tbENKUlT_T0_SK_SP_E_clISE_SE_SF_SF_EEDaS13_S14_SK_SP_EUlS13_E_NS1_11comp_targetILNS1_3genE6ELNS1_11target_archE950ELNS1_3gpuE13ELNS1_3repE0EEENS1_47radix_sort_onesweep_sort_config_static_selectorELNS0_4arch9wavefront6targetE1EEEvSK_,@function
_ZN7rocprim17ROCPRIM_400000_NS6detail17trampoline_kernelINS0_14default_configENS1_35radix_sort_onesweep_config_selectorIjNS0_10empty_typeEEEZZNS1_29radix_sort_onesweep_iterationIS3_Lb0EN6thrust23THRUST_200600_302600_NS6detail15normal_iteratorINS9_10device_ptrIjEEEESE_PS5_SF_jNS0_19identity_decomposerENS1_16block_id_wrapperIjLb0EEEEE10hipError_tT1_PNSt15iterator_traitsISK_E10value_typeET2_T3_PNSL_ISQ_E10value_typeET4_T5_PSV_SW_PNS1_23onesweep_lookback_stateEbbT6_jjT7_P12ihipStream_tbENKUlT_T0_SK_SP_E_clISE_SE_SF_SF_EEDaS13_S14_SK_SP_EUlS13_E_NS1_11comp_targetILNS1_3genE6ELNS1_11target_archE950ELNS1_3gpuE13ELNS1_3repE0EEENS1_47radix_sort_onesweep_sort_config_static_selectorELNS0_4arch9wavefront6targetE1EEEvSK_: ; @_ZN7rocprim17ROCPRIM_400000_NS6detail17trampoline_kernelINS0_14default_configENS1_35radix_sort_onesweep_config_selectorIjNS0_10empty_typeEEEZZNS1_29radix_sort_onesweep_iterationIS3_Lb0EN6thrust23THRUST_200600_302600_NS6detail15normal_iteratorINS9_10device_ptrIjEEEESE_PS5_SF_jNS0_19identity_decomposerENS1_16block_id_wrapperIjLb0EEEEE10hipError_tT1_PNSt15iterator_traitsISK_E10value_typeET2_T3_PNSL_ISQ_E10value_typeET4_T5_PSV_SW_PNS1_23onesweep_lookback_stateEbbT6_jjT7_P12ihipStream_tbENKUlT_T0_SK_SP_E_clISE_SE_SF_SF_EEDaS13_S14_SK_SP_EUlS13_E_NS1_11comp_targetILNS1_3genE6ELNS1_11target_archE950ELNS1_3gpuE13ELNS1_3repE0EEENS1_47radix_sort_onesweep_sort_config_static_selectorELNS0_4arch9wavefront6targetE1EEEvSK_
; %bb.0:
	.section	.rodata,"a",@progbits
	.p2align	6, 0x0
	.amdhsa_kernel _ZN7rocprim17ROCPRIM_400000_NS6detail17trampoline_kernelINS0_14default_configENS1_35radix_sort_onesweep_config_selectorIjNS0_10empty_typeEEEZZNS1_29radix_sort_onesweep_iterationIS3_Lb0EN6thrust23THRUST_200600_302600_NS6detail15normal_iteratorINS9_10device_ptrIjEEEESE_PS5_SF_jNS0_19identity_decomposerENS1_16block_id_wrapperIjLb0EEEEE10hipError_tT1_PNSt15iterator_traitsISK_E10value_typeET2_T3_PNSL_ISQ_E10value_typeET4_T5_PSV_SW_PNS1_23onesweep_lookback_stateEbbT6_jjT7_P12ihipStream_tbENKUlT_T0_SK_SP_E_clISE_SE_SF_SF_EEDaS13_S14_SK_SP_EUlS13_E_NS1_11comp_targetILNS1_3genE6ELNS1_11target_archE950ELNS1_3gpuE13ELNS1_3repE0EEENS1_47radix_sort_onesweep_sort_config_static_selectorELNS0_4arch9wavefront6targetE1EEEvSK_
		.amdhsa_group_segment_fixed_size 0
		.amdhsa_private_segment_fixed_size 0
		.amdhsa_kernarg_size 88
		.amdhsa_user_sgpr_count 6
		.amdhsa_user_sgpr_private_segment_buffer 1
		.amdhsa_user_sgpr_dispatch_ptr 0
		.amdhsa_user_sgpr_queue_ptr 0
		.amdhsa_user_sgpr_kernarg_segment_ptr 1
		.amdhsa_user_sgpr_dispatch_id 0
		.amdhsa_user_sgpr_flat_scratch_init 0
		.amdhsa_user_sgpr_kernarg_preload_length 0
		.amdhsa_user_sgpr_kernarg_preload_offset 0
		.amdhsa_user_sgpr_private_segment_size 0
		.amdhsa_uses_dynamic_stack 0
		.amdhsa_system_sgpr_private_segment_wavefront_offset 0
		.amdhsa_system_sgpr_workgroup_id_x 1
		.amdhsa_system_sgpr_workgroup_id_y 0
		.amdhsa_system_sgpr_workgroup_id_z 0
		.amdhsa_system_sgpr_workgroup_info 0
		.amdhsa_system_vgpr_workitem_id 0
		.amdhsa_next_free_vgpr 1
		.amdhsa_next_free_sgpr 0
		.amdhsa_accum_offset 4
		.amdhsa_reserve_vcc 0
		.amdhsa_reserve_flat_scratch 0
		.amdhsa_float_round_mode_32 0
		.amdhsa_float_round_mode_16_64 0
		.amdhsa_float_denorm_mode_32 3
		.amdhsa_float_denorm_mode_16_64 3
		.amdhsa_dx10_clamp 1
		.amdhsa_ieee_mode 1
		.amdhsa_fp16_overflow 0
		.amdhsa_tg_split 0
		.amdhsa_exception_fp_ieee_invalid_op 0
		.amdhsa_exception_fp_denorm_src 0
		.amdhsa_exception_fp_ieee_div_zero 0
		.amdhsa_exception_fp_ieee_overflow 0
		.amdhsa_exception_fp_ieee_underflow 0
		.amdhsa_exception_fp_ieee_inexact 0
		.amdhsa_exception_int_div_zero 0
	.end_amdhsa_kernel
	.section	.text._ZN7rocprim17ROCPRIM_400000_NS6detail17trampoline_kernelINS0_14default_configENS1_35radix_sort_onesweep_config_selectorIjNS0_10empty_typeEEEZZNS1_29radix_sort_onesweep_iterationIS3_Lb0EN6thrust23THRUST_200600_302600_NS6detail15normal_iteratorINS9_10device_ptrIjEEEESE_PS5_SF_jNS0_19identity_decomposerENS1_16block_id_wrapperIjLb0EEEEE10hipError_tT1_PNSt15iterator_traitsISK_E10value_typeET2_T3_PNSL_ISQ_E10value_typeET4_T5_PSV_SW_PNS1_23onesweep_lookback_stateEbbT6_jjT7_P12ihipStream_tbENKUlT_T0_SK_SP_E_clISE_SE_SF_SF_EEDaS13_S14_SK_SP_EUlS13_E_NS1_11comp_targetILNS1_3genE6ELNS1_11target_archE950ELNS1_3gpuE13ELNS1_3repE0EEENS1_47radix_sort_onesweep_sort_config_static_selectorELNS0_4arch9wavefront6targetE1EEEvSK_,"axG",@progbits,_ZN7rocprim17ROCPRIM_400000_NS6detail17trampoline_kernelINS0_14default_configENS1_35radix_sort_onesweep_config_selectorIjNS0_10empty_typeEEEZZNS1_29radix_sort_onesweep_iterationIS3_Lb0EN6thrust23THRUST_200600_302600_NS6detail15normal_iteratorINS9_10device_ptrIjEEEESE_PS5_SF_jNS0_19identity_decomposerENS1_16block_id_wrapperIjLb0EEEEE10hipError_tT1_PNSt15iterator_traitsISK_E10value_typeET2_T3_PNSL_ISQ_E10value_typeET4_T5_PSV_SW_PNS1_23onesweep_lookback_stateEbbT6_jjT7_P12ihipStream_tbENKUlT_T0_SK_SP_E_clISE_SE_SF_SF_EEDaS13_S14_SK_SP_EUlS13_E_NS1_11comp_targetILNS1_3genE6ELNS1_11target_archE950ELNS1_3gpuE13ELNS1_3repE0EEENS1_47radix_sort_onesweep_sort_config_static_selectorELNS0_4arch9wavefront6targetE1EEEvSK_,comdat
.Lfunc_end1129:
	.size	_ZN7rocprim17ROCPRIM_400000_NS6detail17trampoline_kernelINS0_14default_configENS1_35radix_sort_onesweep_config_selectorIjNS0_10empty_typeEEEZZNS1_29radix_sort_onesweep_iterationIS3_Lb0EN6thrust23THRUST_200600_302600_NS6detail15normal_iteratorINS9_10device_ptrIjEEEESE_PS5_SF_jNS0_19identity_decomposerENS1_16block_id_wrapperIjLb0EEEEE10hipError_tT1_PNSt15iterator_traitsISK_E10value_typeET2_T3_PNSL_ISQ_E10value_typeET4_T5_PSV_SW_PNS1_23onesweep_lookback_stateEbbT6_jjT7_P12ihipStream_tbENKUlT_T0_SK_SP_E_clISE_SE_SF_SF_EEDaS13_S14_SK_SP_EUlS13_E_NS1_11comp_targetILNS1_3genE6ELNS1_11target_archE950ELNS1_3gpuE13ELNS1_3repE0EEENS1_47radix_sort_onesweep_sort_config_static_selectorELNS0_4arch9wavefront6targetE1EEEvSK_, .Lfunc_end1129-_ZN7rocprim17ROCPRIM_400000_NS6detail17trampoline_kernelINS0_14default_configENS1_35radix_sort_onesweep_config_selectorIjNS0_10empty_typeEEEZZNS1_29radix_sort_onesweep_iterationIS3_Lb0EN6thrust23THRUST_200600_302600_NS6detail15normal_iteratorINS9_10device_ptrIjEEEESE_PS5_SF_jNS0_19identity_decomposerENS1_16block_id_wrapperIjLb0EEEEE10hipError_tT1_PNSt15iterator_traitsISK_E10value_typeET2_T3_PNSL_ISQ_E10value_typeET4_T5_PSV_SW_PNS1_23onesweep_lookback_stateEbbT6_jjT7_P12ihipStream_tbENKUlT_T0_SK_SP_E_clISE_SE_SF_SF_EEDaS13_S14_SK_SP_EUlS13_E_NS1_11comp_targetILNS1_3genE6ELNS1_11target_archE950ELNS1_3gpuE13ELNS1_3repE0EEENS1_47radix_sort_onesweep_sort_config_static_selectorELNS0_4arch9wavefront6targetE1EEEvSK_
                                        ; -- End function
	.section	.AMDGPU.csdata,"",@progbits
; Kernel info:
; codeLenInByte = 0
; NumSgprs: 4
; NumVgprs: 0
; NumAgprs: 0
; TotalNumVgprs: 0
; ScratchSize: 0
; MemoryBound: 0
; FloatMode: 240
; IeeeMode: 1
; LDSByteSize: 0 bytes/workgroup (compile time only)
; SGPRBlocks: 0
; VGPRBlocks: 0
; NumSGPRsForWavesPerEU: 4
; NumVGPRsForWavesPerEU: 1
; AccumOffset: 4
; Occupancy: 8
; WaveLimiterHint : 0
; COMPUTE_PGM_RSRC2:SCRATCH_EN: 0
; COMPUTE_PGM_RSRC2:USER_SGPR: 6
; COMPUTE_PGM_RSRC2:TRAP_HANDLER: 0
; COMPUTE_PGM_RSRC2:TGID_X_EN: 1
; COMPUTE_PGM_RSRC2:TGID_Y_EN: 0
; COMPUTE_PGM_RSRC2:TGID_Z_EN: 0
; COMPUTE_PGM_RSRC2:TIDIG_COMP_CNT: 0
; COMPUTE_PGM_RSRC3_GFX90A:ACCUM_OFFSET: 0
; COMPUTE_PGM_RSRC3_GFX90A:TG_SPLIT: 0
	.section	.text._ZN7rocprim17ROCPRIM_400000_NS6detail17trampoline_kernelINS0_14default_configENS1_35radix_sort_onesweep_config_selectorIjNS0_10empty_typeEEEZZNS1_29radix_sort_onesweep_iterationIS3_Lb0EN6thrust23THRUST_200600_302600_NS6detail15normal_iteratorINS9_10device_ptrIjEEEESE_PS5_SF_jNS0_19identity_decomposerENS1_16block_id_wrapperIjLb0EEEEE10hipError_tT1_PNSt15iterator_traitsISK_E10value_typeET2_T3_PNSL_ISQ_E10value_typeET4_T5_PSV_SW_PNS1_23onesweep_lookback_stateEbbT6_jjT7_P12ihipStream_tbENKUlT_T0_SK_SP_E_clISE_SE_SF_SF_EEDaS13_S14_SK_SP_EUlS13_E_NS1_11comp_targetILNS1_3genE5ELNS1_11target_archE942ELNS1_3gpuE9ELNS1_3repE0EEENS1_47radix_sort_onesweep_sort_config_static_selectorELNS0_4arch9wavefront6targetE1EEEvSK_,"axG",@progbits,_ZN7rocprim17ROCPRIM_400000_NS6detail17trampoline_kernelINS0_14default_configENS1_35radix_sort_onesweep_config_selectorIjNS0_10empty_typeEEEZZNS1_29radix_sort_onesweep_iterationIS3_Lb0EN6thrust23THRUST_200600_302600_NS6detail15normal_iteratorINS9_10device_ptrIjEEEESE_PS5_SF_jNS0_19identity_decomposerENS1_16block_id_wrapperIjLb0EEEEE10hipError_tT1_PNSt15iterator_traitsISK_E10value_typeET2_T3_PNSL_ISQ_E10value_typeET4_T5_PSV_SW_PNS1_23onesweep_lookback_stateEbbT6_jjT7_P12ihipStream_tbENKUlT_T0_SK_SP_E_clISE_SE_SF_SF_EEDaS13_S14_SK_SP_EUlS13_E_NS1_11comp_targetILNS1_3genE5ELNS1_11target_archE942ELNS1_3gpuE9ELNS1_3repE0EEENS1_47radix_sort_onesweep_sort_config_static_selectorELNS0_4arch9wavefront6targetE1EEEvSK_,comdat
	.protected	_ZN7rocprim17ROCPRIM_400000_NS6detail17trampoline_kernelINS0_14default_configENS1_35radix_sort_onesweep_config_selectorIjNS0_10empty_typeEEEZZNS1_29radix_sort_onesweep_iterationIS3_Lb0EN6thrust23THRUST_200600_302600_NS6detail15normal_iteratorINS9_10device_ptrIjEEEESE_PS5_SF_jNS0_19identity_decomposerENS1_16block_id_wrapperIjLb0EEEEE10hipError_tT1_PNSt15iterator_traitsISK_E10value_typeET2_T3_PNSL_ISQ_E10value_typeET4_T5_PSV_SW_PNS1_23onesweep_lookback_stateEbbT6_jjT7_P12ihipStream_tbENKUlT_T0_SK_SP_E_clISE_SE_SF_SF_EEDaS13_S14_SK_SP_EUlS13_E_NS1_11comp_targetILNS1_3genE5ELNS1_11target_archE942ELNS1_3gpuE9ELNS1_3repE0EEENS1_47radix_sort_onesweep_sort_config_static_selectorELNS0_4arch9wavefront6targetE1EEEvSK_ ; -- Begin function _ZN7rocprim17ROCPRIM_400000_NS6detail17trampoline_kernelINS0_14default_configENS1_35radix_sort_onesweep_config_selectorIjNS0_10empty_typeEEEZZNS1_29radix_sort_onesweep_iterationIS3_Lb0EN6thrust23THRUST_200600_302600_NS6detail15normal_iteratorINS9_10device_ptrIjEEEESE_PS5_SF_jNS0_19identity_decomposerENS1_16block_id_wrapperIjLb0EEEEE10hipError_tT1_PNSt15iterator_traitsISK_E10value_typeET2_T3_PNSL_ISQ_E10value_typeET4_T5_PSV_SW_PNS1_23onesweep_lookback_stateEbbT6_jjT7_P12ihipStream_tbENKUlT_T0_SK_SP_E_clISE_SE_SF_SF_EEDaS13_S14_SK_SP_EUlS13_E_NS1_11comp_targetILNS1_3genE5ELNS1_11target_archE942ELNS1_3gpuE9ELNS1_3repE0EEENS1_47radix_sort_onesweep_sort_config_static_selectorELNS0_4arch9wavefront6targetE1EEEvSK_
	.globl	_ZN7rocprim17ROCPRIM_400000_NS6detail17trampoline_kernelINS0_14default_configENS1_35radix_sort_onesweep_config_selectorIjNS0_10empty_typeEEEZZNS1_29radix_sort_onesweep_iterationIS3_Lb0EN6thrust23THRUST_200600_302600_NS6detail15normal_iteratorINS9_10device_ptrIjEEEESE_PS5_SF_jNS0_19identity_decomposerENS1_16block_id_wrapperIjLb0EEEEE10hipError_tT1_PNSt15iterator_traitsISK_E10value_typeET2_T3_PNSL_ISQ_E10value_typeET4_T5_PSV_SW_PNS1_23onesweep_lookback_stateEbbT6_jjT7_P12ihipStream_tbENKUlT_T0_SK_SP_E_clISE_SE_SF_SF_EEDaS13_S14_SK_SP_EUlS13_E_NS1_11comp_targetILNS1_3genE5ELNS1_11target_archE942ELNS1_3gpuE9ELNS1_3repE0EEENS1_47radix_sort_onesweep_sort_config_static_selectorELNS0_4arch9wavefront6targetE1EEEvSK_
	.p2align	8
	.type	_ZN7rocprim17ROCPRIM_400000_NS6detail17trampoline_kernelINS0_14default_configENS1_35radix_sort_onesweep_config_selectorIjNS0_10empty_typeEEEZZNS1_29radix_sort_onesweep_iterationIS3_Lb0EN6thrust23THRUST_200600_302600_NS6detail15normal_iteratorINS9_10device_ptrIjEEEESE_PS5_SF_jNS0_19identity_decomposerENS1_16block_id_wrapperIjLb0EEEEE10hipError_tT1_PNSt15iterator_traitsISK_E10value_typeET2_T3_PNSL_ISQ_E10value_typeET4_T5_PSV_SW_PNS1_23onesweep_lookback_stateEbbT6_jjT7_P12ihipStream_tbENKUlT_T0_SK_SP_E_clISE_SE_SF_SF_EEDaS13_S14_SK_SP_EUlS13_E_NS1_11comp_targetILNS1_3genE5ELNS1_11target_archE942ELNS1_3gpuE9ELNS1_3repE0EEENS1_47radix_sort_onesweep_sort_config_static_selectorELNS0_4arch9wavefront6targetE1EEEvSK_,@function
_ZN7rocprim17ROCPRIM_400000_NS6detail17trampoline_kernelINS0_14default_configENS1_35radix_sort_onesweep_config_selectorIjNS0_10empty_typeEEEZZNS1_29radix_sort_onesweep_iterationIS3_Lb0EN6thrust23THRUST_200600_302600_NS6detail15normal_iteratorINS9_10device_ptrIjEEEESE_PS5_SF_jNS0_19identity_decomposerENS1_16block_id_wrapperIjLb0EEEEE10hipError_tT1_PNSt15iterator_traitsISK_E10value_typeET2_T3_PNSL_ISQ_E10value_typeET4_T5_PSV_SW_PNS1_23onesweep_lookback_stateEbbT6_jjT7_P12ihipStream_tbENKUlT_T0_SK_SP_E_clISE_SE_SF_SF_EEDaS13_S14_SK_SP_EUlS13_E_NS1_11comp_targetILNS1_3genE5ELNS1_11target_archE942ELNS1_3gpuE9ELNS1_3repE0EEENS1_47radix_sort_onesweep_sort_config_static_selectorELNS0_4arch9wavefront6targetE1EEEvSK_: ; @_ZN7rocprim17ROCPRIM_400000_NS6detail17trampoline_kernelINS0_14default_configENS1_35radix_sort_onesweep_config_selectorIjNS0_10empty_typeEEEZZNS1_29radix_sort_onesweep_iterationIS3_Lb0EN6thrust23THRUST_200600_302600_NS6detail15normal_iteratorINS9_10device_ptrIjEEEESE_PS5_SF_jNS0_19identity_decomposerENS1_16block_id_wrapperIjLb0EEEEE10hipError_tT1_PNSt15iterator_traitsISK_E10value_typeET2_T3_PNSL_ISQ_E10value_typeET4_T5_PSV_SW_PNS1_23onesweep_lookback_stateEbbT6_jjT7_P12ihipStream_tbENKUlT_T0_SK_SP_E_clISE_SE_SF_SF_EEDaS13_S14_SK_SP_EUlS13_E_NS1_11comp_targetILNS1_3genE5ELNS1_11target_archE942ELNS1_3gpuE9ELNS1_3repE0EEENS1_47radix_sort_onesweep_sort_config_static_selectorELNS0_4arch9wavefront6targetE1EEEvSK_
; %bb.0:
	.section	.rodata,"a",@progbits
	.p2align	6, 0x0
	.amdhsa_kernel _ZN7rocprim17ROCPRIM_400000_NS6detail17trampoline_kernelINS0_14default_configENS1_35radix_sort_onesweep_config_selectorIjNS0_10empty_typeEEEZZNS1_29radix_sort_onesweep_iterationIS3_Lb0EN6thrust23THRUST_200600_302600_NS6detail15normal_iteratorINS9_10device_ptrIjEEEESE_PS5_SF_jNS0_19identity_decomposerENS1_16block_id_wrapperIjLb0EEEEE10hipError_tT1_PNSt15iterator_traitsISK_E10value_typeET2_T3_PNSL_ISQ_E10value_typeET4_T5_PSV_SW_PNS1_23onesweep_lookback_stateEbbT6_jjT7_P12ihipStream_tbENKUlT_T0_SK_SP_E_clISE_SE_SF_SF_EEDaS13_S14_SK_SP_EUlS13_E_NS1_11comp_targetILNS1_3genE5ELNS1_11target_archE942ELNS1_3gpuE9ELNS1_3repE0EEENS1_47radix_sort_onesweep_sort_config_static_selectorELNS0_4arch9wavefront6targetE1EEEvSK_
		.amdhsa_group_segment_fixed_size 0
		.amdhsa_private_segment_fixed_size 0
		.amdhsa_kernarg_size 88
		.amdhsa_user_sgpr_count 6
		.amdhsa_user_sgpr_private_segment_buffer 1
		.amdhsa_user_sgpr_dispatch_ptr 0
		.amdhsa_user_sgpr_queue_ptr 0
		.amdhsa_user_sgpr_kernarg_segment_ptr 1
		.amdhsa_user_sgpr_dispatch_id 0
		.amdhsa_user_sgpr_flat_scratch_init 0
		.amdhsa_user_sgpr_kernarg_preload_length 0
		.amdhsa_user_sgpr_kernarg_preload_offset 0
		.amdhsa_user_sgpr_private_segment_size 0
		.amdhsa_uses_dynamic_stack 0
		.amdhsa_system_sgpr_private_segment_wavefront_offset 0
		.amdhsa_system_sgpr_workgroup_id_x 1
		.amdhsa_system_sgpr_workgroup_id_y 0
		.amdhsa_system_sgpr_workgroup_id_z 0
		.amdhsa_system_sgpr_workgroup_info 0
		.amdhsa_system_vgpr_workitem_id 0
		.amdhsa_next_free_vgpr 1
		.amdhsa_next_free_sgpr 0
		.amdhsa_accum_offset 4
		.amdhsa_reserve_vcc 0
		.amdhsa_reserve_flat_scratch 0
		.amdhsa_float_round_mode_32 0
		.amdhsa_float_round_mode_16_64 0
		.amdhsa_float_denorm_mode_32 3
		.amdhsa_float_denorm_mode_16_64 3
		.amdhsa_dx10_clamp 1
		.amdhsa_ieee_mode 1
		.amdhsa_fp16_overflow 0
		.amdhsa_tg_split 0
		.amdhsa_exception_fp_ieee_invalid_op 0
		.amdhsa_exception_fp_denorm_src 0
		.amdhsa_exception_fp_ieee_div_zero 0
		.amdhsa_exception_fp_ieee_overflow 0
		.amdhsa_exception_fp_ieee_underflow 0
		.amdhsa_exception_fp_ieee_inexact 0
		.amdhsa_exception_int_div_zero 0
	.end_amdhsa_kernel
	.section	.text._ZN7rocprim17ROCPRIM_400000_NS6detail17trampoline_kernelINS0_14default_configENS1_35radix_sort_onesweep_config_selectorIjNS0_10empty_typeEEEZZNS1_29radix_sort_onesweep_iterationIS3_Lb0EN6thrust23THRUST_200600_302600_NS6detail15normal_iteratorINS9_10device_ptrIjEEEESE_PS5_SF_jNS0_19identity_decomposerENS1_16block_id_wrapperIjLb0EEEEE10hipError_tT1_PNSt15iterator_traitsISK_E10value_typeET2_T3_PNSL_ISQ_E10value_typeET4_T5_PSV_SW_PNS1_23onesweep_lookback_stateEbbT6_jjT7_P12ihipStream_tbENKUlT_T0_SK_SP_E_clISE_SE_SF_SF_EEDaS13_S14_SK_SP_EUlS13_E_NS1_11comp_targetILNS1_3genE5ELNS1_11target_archE942ELNS1_3gpuE9ELNS1_3repE0EEENS1_47radix_sort_onesweep_sort_config_static_selectorELNS0_4arch9wavefront6targetE1EEEvSK_,"axG",@progbits,_ZN7rocprim17ROCPRIM_400000_NS6detail17trampoline_kernelINS0_14default_configENS1_35radix_sort_onesweep_config_selectorIjNS0_10empty_typeEEEZZNS1_29radix_sort_onesweep_iterationIS3_Lb0EN6thrust23THRUST_200600_302600_NS6detail15normal_iteratorINS9_10device_ptrIjEEEESE_PS5_SF_jNS0_19identity_decomposerENS1_16block_id_wrapperIjLb0EEEEE10hipError_tT1_PNSt15iterator_traitsISK_E10value_typeET2_T3_PNSL_ISQ_E10value_typeET4_T5_PSV_SW_PNS1_23onesweep_lookback_stateEbbT6_jjT7_P12ihipStream_tbENKUlT_T0_SK_SP_E_clISE_SE_SF_SF_EEDaS13_S14_SK_SP_EUlS13_E_NS1_11comp_targetILNS1_3genE5ELNS1_11target_archE942ELNS1_3gpuE9ELNS1_3repE0EEENS1_47radix_sort_onesweep_sort_config_static_selectorELNS0_4arch9wavefront6targetE1EEEvSK_,comdat
.Lfunc_end1130:
	.size	_ZN7rocprim17ROCPRIM_400000_NS6detail17trampoline_kernelINS0_14default_configENS1_35radix_sort_onesweep_config_selectorIjNS0_10empty_typeEEEZZNS1_29radix_sort_onesweep_iterationIS3_Lb0EN6thrust23THRUST_200600_302600_NS6detail15normal_iteratorINS9_10device_ptrIjEEEESE_PS5_SF_jNS0_19identity_decomposerENS1_16block_id_wrapperIjLb0EEEEE10hipError_tT1_PNSt15iterator_traitsISK_E10value_typeET2_T3_PNSL_ISQ_E10value_typeET4_T5_PSV_SW_PNS1_23onesweep_lookback_stateEbbT6_jjT7_P12ihipStream_tbENKUlT_T0_SK_SP_E_clISE_SE_SF_SF_EEDaS13_S14_SK_SP_EUlS13_E_NS1_11comp_targetILNS1_3genE5ELNS1_11target_archE942ELNS1_3gpuE9ELNS1_3repE0EEENS1_47radix_sort_onesweep_sort_config_static_selectorELNS0_4arch9wavefront6targetE1EEEvSK_, .Lfunc_end1130-_ZN7rocprim17ROCPRIM_400000_NS6detail17trampoline_kernelINS0_14default_configENS1_35radix_sort_onesweep_config_selectorIjNS0_10empty_typeEEEZZNS1_29radix_sort_onesweep_iterationIS3_Lb0EN6thrust23THRUST_200600_302600_NS6detail15normal_iteratorINS9_10device_ptrIjEEEESE_PS5_SF_jNS0_19identity_decomposerENS1_16block_id_wrapperIjLb0EEEEE10hipError_tT1_PNSt15iterator_traitsISK_E10value_typeET2_T3_PNSL_ISQ_E10value_typeET4_T5_PSV_SW_PNS1_23onesweep_lookback_stateEbbT6_jjT7_P12ihipStream_tbENKUlT_T0_SK_SP_E_clISE_SE_SF_SF_EEDaS13_S14_SK_SP_EUlS13_E_NS1_11comp_targetILNS1_3genE5ELNS1_11target_archE942ELNS1_3gpuE9ELNS1_3repE0EEENS1_47radix_sort_onesweep_sort_config_static_selectorELNS0_4arch9wavefront6targetE1EEEvSK_
                                        ; -- End function
	.section	.AMDGPU.csdata,"",@progbits
; Kernel info:
; codeLenInByte = 0
; NumSgprs: 4
; NumVgprs: 0
; NumAgprs: 0
; TotalNumVgprs: 0
; ScratchSize: 0
; MemoryBound: 0
; FloatMode: 240
; IeeeMode: 1
; LDSByteSize: 0 bytes/workgroup (compile time only)
; SGPRBlocks: 0
; VGPRBlocks: 0
; NumSGPRsForWavesPerEU: 4
; NumVGPRsForWavesPerEU: 1
; AccumOffset: 4
; Occupancy: 8
; WaveLimiterHint : 0
; COMPUTE_PGM_RSRC2:SCRATCH_EN: 0
; COMPUTE_PGM_RSRC2:USER_SGPR: 6
; COMPUTE_PGM_RSRC2:TRAP_HANDLER: 0
; COMPUTE_PGM_RSRC2:TGID_X_EN: 1
; COMPUTE_PGM_RSRC2:TGID_Y_EN: 0
; COMPUTE_PGM_RSRC2:TGID_Z_EN: 0
; COMPUTE_PGM_RSRC2:TIDIG_COMP_CNT: 0
; COMPUTE_PGM_RSRC3_GFX90A:ACCUM_OFFSET: 0
; COMPUTE_PGM_RSRC3_GFX90A:TG_SPLIT: 0
	.section	.text._ZN7rocprim17ROCPRIM_400000_NS6detail17trampoline_kernelINS0_14default_configENS1_35radix_sort_onesweep_config_selectorIjNS0_10empty_typeEEEZZNS1_29radix_sort_onesweep_iterationIS3_Lb0EN6thrust23THRUST_200600_302600_NS6detail15normal_iteratorINS9_10device_ptrIjEEEESE_PS5_SF_jNS0_19identity_decomposerENS1_16block_id_wrapperIjLb0EEEEE10hipError_tT1_PNSt15iterator_traitsISK_E10value_typeET2_T3_PNSL_ISQ_E10value_typeET4_T5_PSV_SW_PNS1_23onesweep_lookback_stateEbbT6_jjT7_P12ihipStream_tbENKUlT_T0_SK_SP_E_clISE_SE_SF_SF_EEDaS13_S14_SK_SP_EUlS13_E_NS1_11comp_targetILNS1_3genE2ELNS1_11target_archE906ELNS1_3gpuE6ELNS1_3repE0EEENS1_47radix_sort_onesweep_sort_config_static_selectorELNS0_4arch9wavefront6targetE1EEEvSK_,"axG",@progbits,_ZN7rocprim17ROCPRIM_400000_NS6detail17trampoline_kernelINS0_14default_configENS1_35radix_sort_onesweep_config_selectorIjNS0_10empty_typeEEEZZNS1_29radix_sort_onesweep_iterationIS3_Lb0EN6thrust23THRUST_200600_302600_NS6detail15normal_iteratorINS9_10device_ptrIjEEEESE_PS5_SF_jNS0_19identity_decomposerENS1_16block_id_wrapperIjLb0EEEEE10hipError_tT1_PNSt15iterator_traitsISK_E10value_typeET2_T3_PNSL_ISQ_E10value_typeET4_T5_PSV_SW_PNS1_23onesweep_lookback_stateEbbT6_jjT7_P12ihipStream_tbENKUlT_T0_SK_SP_E_clISE_SE_SF_SF_EEDaS13_S14_SK_SP_EUlS13_E_NS1_11comp_targetILNS1_3genE2ELNS1_11target_archE906ELNS1_3gpuE6ELNS1_3repE0EEENS1_47radix_sort_onesweep_sort_config_static_selectorELNS0_4arch9wavefront6targetE1EEEvSK_,comdat
	.protected	_ZN7rocprim17ROCPRIM_400000_NS6detail17trampoline_kernelINS0_14default_configENS1_35radix_sort_onesweep_config_selectorIjNS0_10empty_typeEEEZZNS1_29radix_sort_onesweep_iterationIS3_Lb0EN6thrust23THRUST_200600_302600_NS6detail15normal_iteratorINS9_10device_ptrIjEEEESE_PS5_SF_jNS0_19identity_decomposerENS1_16block_id_wrapperIjLb0EEEEE10hipError_tT1_PNSt15iterator_traitsISK_E10value_typeET2_T3_PNSL_ISQ_E10value_typeET4_T5_PSV_SW_PNS1_23onesweep_lookback_stateEbbT6_jjT7_P12ihipStream_tbENKUlT_T0_SK_SP_E_clISE_SE_SF_SF_EEDaS13_S14_SK_SP_EUlS13_E_NS1_11comp_targetILNS1_3genE2ELNS1_11target_archE906ELNS1_3gpuE6ELNS1_3repE0EEENS1_47radix_sort_onesweep_sort_config_static_selectorELNS0_4arch9wavefront6targetE1EEEvSK_ ; -- Begin function _ZN7rocprim17ROCPRIM_400000_NS6detail17trampoline_kernelINS0_14default_configENS1_35radix_sort_onesweep_config_selectorIjNS0_10empty_typeEEEZZNS1_29radix_sort_onesweep_iterationIS3_Lb0EN6thrust23THRUST_200600_302600_NS6detail15normal_iteratorINS9_10device_ptrIjEEEESE_PS5_SF_jNS0_19identity_decomposerENS1_16block_id_wrapperIjLb0EEEEE10hipError_tT1_PNSt15iterator_traitsISK_E10value_typeET2_T3_PNSL_ISQ_E10value_typeET4_T5_PSV_SW_PNS1_23onesweep_lookback_stateEbbT6_jjT7_P12ihipStream_tbENKUlT_T0_SK_SP_E_clISE_SE_SF_SF_EEDaS13_S14_SK_SP_EUlS13_E_NS1_11comp_targetILNS1_3genE2ELNS1_11target_archE906ELNS1_3gpuE6ELNS1_3repE0EEENS1_47radix_sort_onesweep_sort_config_static_selectorELNS0_4arch9wavefront6targetE1EEEvSK_
	.globl	_ZN7rocprim17ROCPRIM_400000_NS6detail17trampoline_kernelINS0_14default_configENS1_35radix_sort_onesweep_config_selectorIjNS0_10empty_typeEEEZZNS1_29radix_sort_onesweep_iterationIS3_Lb0EN6thrust23THRUST_200600_302600_NS6detail15normal_iteratorINS9_10device_ptrIjEEEESE_PS5_SF_jNS0_19identity_decomposerENS1_16block_id_wrapperIjLb0EEEEE10hipError_tT1_PNSt15iterator_traitsISK_E10value_typeET2_T3_PNSL_ISQ_E10value_typeET4_T5_PSV_SW_PNS1_23onesweep_lookback_stateEbbT6_jjT7_P12ihipStream_tbENKUlT_T0_SK_SP_E_clISE_SE_SF_SF_EEDaS13_S14_SK_SP_EUlS13_E_NS1_11comp_targetILNS1_3genE2ELNS1_11target_archE906ELNS1_3gpuE6ELNS1_3repE0EEENS1_47radix_sort_onesweep_sort_config_static_selectorELNS0_4arch9wavefront6targetE1EEEvSK_
	.p2align	8
	.type	_ZN7rocprim17ROCPRIM_400000_NS6detail17trampoline_kernelINS0_14default_configENS1_35radix_sort_onesweep_config_selectorIjNS0_10empty_typeEEEZZNS1_29radix_sort_onesweep_iterationIS3_Lb0EN6thrust23THRUST_200600_302600_NS6detail15normal_iteratorINS9_10device_ptrIjEEEESE_PS5_SF_jNS0_19identity_decomposerENS1_16block_id_wrapperIjLb0EEEEE10hipError_tT1_PNSt15iterator_traitsISK_E10value_typeET2_T3_PNSL_ISQ_E10value_typeET4_T5_PSV_SW_PNS1_23onesweep_lookback_stateEbbT6_jjT7_P12ihipStream_tbENKUlT_T0_SK_SP_E_clISE_SE_SF_SF_EEDaS13_S14_SK_SP_EUlS13_E_NS1_11comp_targetILNS1_3genE2ELNS1_11target_archE906ELNS1_3gpuE6ELNS1_3repE0EEENS1_47radix_sort_onesweep_sort_config_static_selectorELNS0_4arch9wavefront6targetE1EEEvSK_,@function
_ZN7rocprim17ROCPRIM_400000_NS6detail17trampoline_kernelINS0_14default_configENS1_35radix_sort_onesweep_config_selectorIjNS0_10empty_typeEEEZZNS1_29radix_sort_onesweep_iterationIS3_Lb0EN6thrust23THRUST_200600_302600_NS6detail15normal_iteratorINS9_10device_ptrIjEEEESE_PS5_SF_jNS0_19identity_decomposerENS1_16block_id_wrapperIjLb0EEEEE10hipError_tT1_PNSt15iterator_traitsISK_E10value_typeET2_T3_PNSL_ISQ_E10value_typeET4_T5_PSV_SW_PNS1_23onesweep_lookback_stateEbbT6_jjT7_P12ihipStream_tbENKUlT_T0_SK_SP_E_clISE_SE_SF_SF_EEDaS13_S14_SK_SP_EUlS13_E_NS1_11comp_targetILNS1_3genE2ELNS1_11target_archE906ELNS1_3gpuE6ELNS1_3repE0EEENS1_47radix_sort_onesweep_sort_config_static_selectorELNS0_4arch9wavefront6targetE1EEEvSK_: ; @_ZN7rocprim17ROCPRIM_400000_NS6detail17trampoline_kernelINS0_14default_configENS1_35radix_sort_onesweep_config_selectorIjNS0_10empty_typeEEEZZNS1_29radix_sort_onesweep_iterationIS3_Lb0EN6thrust23THRUST_200600_302600_NS6detail15normal_iteratorINS9_10device_ptrIjEEEESE_PS5_SF_jNS0_19identity_decomposerENS1_16block_id_wrapperIjLb0EEEEE10hipError_tT1_PNSt15iterator_traitsISK_E10value_typeET2_T3_PNSL_ISQ_E10value_typeET4_T5_PSV_SW_PNS1_23onesweep_lookback_stateEbbT6_jjT7_P12ihipStream_tbENKUlT_T0_SK_SP_E_clISE_SE_SF_SF_EEDaS13_S14_SK_SP_EUlS13_E_NS1_11comp_targetILNS1_3genE2ELNS1_11target_archE906ELNS1_3gpuE6ELNS1_3repE0EEENS1_47radix_sort_onesweep_sort_config_static_selectorELNS0_4arch9wavefront6targetE1EEEvSK_
; %bb.0:
	.section	.rodata,"a",@progbits
	.p2align	6, 0x0
	.amdhsa_kernel _ZN7rocprim17ROCPRIM_400000_NS6detail17trampoline_kernelINS0_14default_configENS1_35radix_sort_onesweep_config_selectorIjNS0_10empty_typeEEEZZNS1_29radix_sort_onesweep_iterationIS3_Lb0EN6thrust23THRUST_200600_302600_NS6detail15normal_iteratorINS9_10device_ptrIjEEEESE_PS5_SF_jNS0_19identity_decomposerENS1_16block_id_wrapperIjLb0EEEEE10hipError_tT1_PNSt15iterator_traitsISK_E10value_typeET2_T3_PNSL_ISQ_E10value_typeET4_T5_PSV_SW_PNS1_23onesweep_lookback_stateEbbT6_jjT7_P12ihipStream_tbENKUlT_T0_SK_SP_E_clISE_SE_SF_SF_EEDaS13_S14_SK_SP_EUlS13_E_NS1_11comp_targetILNS1_3genE2ELNS1_11target_archE906ELNS1_3gpuE6ELNS1_3repE0EEENS1_47radix_sort_onesweep_sort_config_static_selectorELNS0_4arch9wavefront6targetE1EEEvSK_
		.amdhsa_group_segment_fixed_size 0
		.amdhsa_private_segment_fixed_size 0
		.amdhsa_kernarg_size 88
		.amdhsa_user_sgpr_count 6
		.amdhsa_user_sgpr_private_segment_buffer 1
		.amdhsa_user_sgpr_dispatch_ptr 0
		.amdhsa_user_sgpr_queue_ptr 0
		.amdhsa_user_sgpr_kernarg_segment_ptr 1
		.amdhsa_user_sgpr_dispatch_id 0
		.amdhsa_user_sgpr_flat_scratch_init 0
		.amdhsa_user_sgpr_kernarg_preload_length 0
		.amdhsa_user_sgpr_kernarg_preload_offset 0
		.amdhsa_user_sgpr_private_segment_size 0
		.amdhsa_uses_dynamic_stack 0
		.amdhsa_system_sgpr_private_segment_wavefront_offset 0
		.amdhsa_system_sgpr_workgroup_id_x 1
		.amdhsa_system_sgpr_workgroup_id_y 0
		.amdhsa_system_sgpr_workgroup_id_z 0
		.amdhsa_system_sgpr_workgroup_info 0
		.amdhsa_system_vgpr_workitem_id 0
		.amdhsa_next_free_vgpr 1
		.amdhsa_next_free_sgpr 0
		.amdhsa_accum_offset 4
		.amdhsa_reserve_vcc 0
		.amdhsa_reserve_flat_scratch 0
		.amdhsa_float_round_mode_32 0
		.amdhsa_float_round_mode_16_64 0
		.amdhsa_float_denorm_mode_32 3
		.amdhsa_float_denorm_mode_16_64 3
		.amdhsa_dx10_clamp 1
		.amdhsa_ieee_mode 1
		.amdhsa_fp16_overflow 0
		.amdhsa_tg_split 0
		.amdhsa_exception_fp_ieee_invalid_op 0
		.amdhsa_exception_fp_denorm_src 0
		.amdhsa_exception_fp_ieee_div_zero 0
		.amdhsa_exception_fp_ieee_overflow 0
		.amdhsa_exception_fp_ieee_underflow 0
		.amdhsa_exception_fp_ieee_inexact 0
		.amdhsa_exception_int_div_zero 0
	.end_amdhsa_kernel
	.section	.text._ZN7rocprim17ROCPRIM_400000_NS6detail17trampoline_kernelINS0_14default_configENS1_35radix_sort_onesweep_config_selectorIjNS0_10empty_typeEEEZZNS1_29radix_sort_onesweep_iterationIS3_Lb0EN6thrust23THRUST_200600_302600_NS6detail15normal_iteratorINS9_10device_ptrIjEEEESE_PS5_SF_jNS0_19identity_decomposerENS1_16block_id_wrapperIjLb0EEEEE10hipError_tT1_PNSt15iterator_traitsISK_E10value_typeET2_T3_PNSL_ISQ_E10value_typeET4_T5_PSV_SW_PNS1_23onesweep_lookback_stateEbbT6_jjT7_P12ihipStream_tbENKUlT_T0_SK_SP_E_clISE_SE_SF_SF_EEDaS13_S14_SK_SP_EUlS13_E_NS1_11comp_targetILNS1_3genE2ELNS1_11target_archE906ELNS1_3gpuE6ELNS1_3repE0EEENS1_47radix_sort_onesweep_sort_config_static_selectorELNS0_4arch9wavefront6targetE1EEEvSK_,"axG",@progbits,_ZN7rocprim17ROCPRIM_400000_NS6detail17trampoline_kernelINS0_14default_configENS1_35radix_sort_onesweep_config_selectorIjNS0_10empty_typeEEEZZNS1_29radix_sort_onesweep_iterationIS3_Lb0EN6thrust23THRUST_200600_302600_NS6detail15normal_iteratorINS9_10device_ptrIjEEEESE_PS5_SF_jNS0_19identity_decomposerENS1_16block_id_wrapperIjLb0EEEEE10hipError_tT1_PNSt15iterator_traitsISK_E10value_typeET2_T3_PNSL_ISQ_E10value_typeET4_T5_PSV_SW_PNS1_23onesweep_lookback_stateEbbT6_jjT7_P12ihipStream_tbENKUlT_T0_SK_SP_E_clISE_SE_SF_SF_EEDaS13_S14_SK_SP_EUlS13_E_NS1_11comp_targetILNS1_3genE2ELNS1_11target_archE906ELNS1_3gpuE6ELNS1_3repE0EEENS1_47radix_sort_onesweep_sort_config_static_selectorELNS0_4arch9wavefront6targetE1EEEvSK_,comdat
.Lfunc_end1131:
	.size	_ZN7rocprim17ROCPRIM_400000_NS6detail17trampoline_kernelINS0_14default_configENS1_35radix_sort_onesweep_config_selectorIjNS0_10empty_typeEEEZZNS1_29radix_sort_onesweep_iterationIS3_Lb0EN6thrust23THRUST_200600_302600_NS6detail15normal_iteratorINS9_10device_ptrIjEEEESE_PS5_SF_jNS0_19identity_decomposerENS1_16block_id_wrapperIjLb0EEEEE10hipError_tT1_PNSt15iterator_traitsISK_E10value_typeET2_T3_PNSL_ISQ_E10value_typeET4_T5_PSV_SW_PNS1_23onesweep_lookback_stateEbbT6_jjT7_P12ihipStream_tbENKUlT_T0_SK_SP_E_clISE_SE_SF_SF_EEDaS13_S14_SK_SP_EUlS13_E_NS1_11comp_targetILNS1_3genE2ELNS1_11target_archE906ELNS1_3gpuE6ELNS1_3repE0EEENS1_47radix_sort_onesweep_sort_config_static_selectorELNS0_4arch9wavefront6targetE1EEEvSK_, .Lfunc_end1131-_ZN7rocprim17ROCPRIM_400000_NS6detail17trampoline_kernelINS0_14default_configENS1_35radix_sort_onesweep_config_selectorIjNS0_10empty_typeEEEZZNS1_29radix_sort_onesweep_iterationIS3_Lb0EN6thrust23THRUST_200600_302600_NS6detail15normal_iteratorINS9_10device_ptrIjEEEESE_PS5_SF_jNS0_19identity_decomposerENS1_16block_id_wrapperIjLb0EEEEE10hipError_tT1_PNSt15iterator_traitsISK_E10value_typeET2_T3_PNSL_ISQ_E10value_typeET4_T5_PSV_SW_PNS1_23onesweep_lookback_stateEbbT6_jjT7_P12ihipStream_tbENKUlT_T0_SK_SP_E_clISE_SE_SF_SF_EEDaS13_S14_SK_SP_EUlS13_E_NS1_11comp_targetILNS1_3genE2ELNS1_11target_archE906ELNS1_3gpuE6ELNS1_3repE0EEENS1_47radix_sort_onesweep_sort_config_static_selectorELNS0_4arch9wavefront6targetE1EEEvSK_
                                        ; -- End function
	.section	.AMDGPU.csdata,"",@progbits
; Kernel info:
; codeLenInByte = 0
; NumSgprs: 4
; NumVgprs: 0
; NumAgprs: 0
; TotalNumVgprs: 0
; ScratchSize: 0
; MemoryBound: 0
; FloatMode: 240
; IeeeMode: 1
; LDSByteSize: 0 bytes/workgroup (compile time only)
; SGPRBlocks: 0
; VGPRBlocks: 0
; NumSGPRsForWavesPerEU: 4
; NumVGPRsForWavesPerEU: 1
; AccumOffset: 4
; Occupancy: 8
; WaveLimiterHint : 0
; COMPUTE_PGM_RSRC2:SCRATCH_EN: 0
; COMPUTE_PGM_RSRC2:USER_SGPR: 6
; COMPUTE_PGM_RSRC2:TRAP_HANDLER: 0
; COMPUTE_PGM_RSRC2:TGID_X_EN: 1
; COMPUTE_PGM_RSRC2:TGID_Y_EN: 0
; COMPUTE_PGM_RSRC2:TGID_Z_EN: 0
; COMPUTE_PGM_RSRC2:TIDIG_COMP_CNT: 0
; COMPUTE_PGM_RSRC3_GFX90A:ACCUM_OFFSET: 0
; COMPUTE_PGM_RSRC3_GFX90A:TG_SPLIT: 0
	.section	.text._ZN7rocprim17ROCPRIM_400000_NS6detail17trampoline_kernelINS0_14default_configENS1_35radix_sort_onesweep_config_selectorIjNS0_10empty_typeEEEZZNS1_29radix_sort_onesweep_iterationIS3_Lb0EN6thrust23THRUST_200600_302600_NS6detail15normal_iteratorINS9_10device_ptrIjEEEESE_PS5_SF_jNS0_19identity_decomposerENS1_16block_id_wrapperIjLb0EEEEE10hipError_tT1_PNSt15iterator_traitsISK_E10value_typeET2_T3_PNSL_ISQ_E10value_typeET4_T5_PSV_SW_PNS1_23onesweep_lookback_stateEbbT6_jjT7_P12ihipStream_tbENKUlT_T0_SK_SP_E_clISE_SE_SF_SF_EEDaS13_S14_SK_SP_EUlS13_E_NS1_11comp_targetILNS1_3genE4ELNS1_11target_archE910ELNS1_3gpuE8ELNS1_3repE0EEENS1_47radix_sort_onesweep_sort_config_static_selectorELNS0_4arch9wavefront6targetE1EEEvSK_,"axG",@progbits,_ZN7rocprim17ROCPRIM_400000_NS6detail17trampoline_kernelINS0_14default_configENS1_35radix_sort_onesweep_config_selectorIjNS0_10empty_typeEEEZZNS1_29radix_sort_onesweep_iterationIS3_Lb0EN6thrust23THRUST_200600_302600_NS6detail15normal_iteratorINS9_10device_ptrIjEEEESE_PS5_SF_jNS0_19identity_decomposerENS1_16block_id_wrapperIjLb0EEEEE10hipError_tT1_PNSt15iterator_traitsISK_E10value_typeET2_T3_PNSL_ISQ_E10value_typeET4_T5_PSV_SW_PNS1_23onesweep_lookback_stateEbbT6_jjT7_P12ihipStream_tbENKUlT_T0_SK_SP_E_clISE_SE_SF_SF_EEDaS13_S14_SK_SP_EUlS13_E_NS1_11comp_targetILNS1_3genE4ELNS1_11target_archE910ELNS1_3gpuE8ELNS1_3repE0EEENS1_47radix_sort_onesweep_sort_config_static_selectorELNS0_4arch9wavefront6targetE1EEEvSK_,comdat
	.protected	_ZN7rocprim17ROCPRIM_400000_NS6detail17trampoline_kernelINS0_14default_configENS1_35radix_sort_onesweep_config_selectorIjNS0_10empty_typeEEEZZNS1_29radix_sort_onesweep_iterationIS3_Lb0EN6thrust23THRUST_200600_302600_NS6detail15normal_iteratorINS9_10device_ptrIjEEEESE_PS5_SF_jNS0_19identity_decomposerENS1_16block_id_wrapperIjLb0EEEEE10hipError_tT1_PNSt15iterator_traitsISK_E10value_typeET2_T3_PNSL_ISQ_E10value_typeET4_T5_PSV_SW_PNS1_23onesweep_lookback_stateEbbT6_jjT7_P12ihipStream_tbENKUlT_T0_SK_SP_E_clISE_SE_SF_SF_EEDaS13_S14_SK_SP_EUlS13_E_NS1_11comp_targetILNS1_3genE4ELNS1_11target_archE910ELNS1_3gpuE8ELNS1_3repE0EEENS1_47radix_sort_onesweep_sort_config_static_selectorELNS0_4arch9wavefront6targetE1EEEvSK_ ; -- Begin function _ZN7rocprim17ROCPRIM_400000_NS6detail17trampoline_kernelINS0_14default_configENS1_35radix_sort_onesweep_config_selectorIjNS0_10empty_typeEEEZZNS1_29radix_sort_onesweep_iterationIS3_Lb0EN6thrust23THRUST_200600_302600_NS6detail15normal_iteratorINS9_10device_ptrIjEEEESE_PS5_SF_jNS0_19identity_decomposerENS1_16block_id_wrapperIjLb0EEEEE10hipError_tT1_PNSt15iterator_traitsISK_E10value_typeET2_T3_PNSL_ISQ_E10value_typeET4_T5_PSV_SW_PNS1_23onesweep_lookback_stateEbbT6_jjT7_P12ihipStream_tbENKUlT_T0_SK_SP_E_clISE_SE_SF_SF_EEDaS13_S14_SK_SP_EUlS13_E_NS1_11comp_targetILNS1_3genE4ELNS1_11target_archE910ELNS1_3gpuE8ELNS1_3repE0EEENS1_47radix_sort_onesweep_sort_config_static_selectorELNS0_4arch9wavefront6targetE1EEEvSK_
	.globl	_ZN7rocprim17ROCPRIM_400000_NS6detail17trampoline_kernelINS0_14default_configENS1_35radix_sort_onesweep_config_selectorIjNS0_10empty_typeEEEZZNS1_29radix_sort_onesweep_iterationIS3_Lb0EN6thrust23THRUST_200600_302600_NS6detail15normal_iteratorINS9_10device_ptrIjEEEESE_PS5_SF_jNS0_19identity_decomposerENS1_16block_id_wrapperIjLb0EEEEE10hipError_tT1_PNSt15iterator_traitsISK_E10value_typeET2_T3_PNSL_ISQ_E10value_typeET4_T5_PSV_SW_PNS1_23onesweep_lookback_stateEbbT6_jjT7_P12ihipStream_tbENKUlT_T0_SK_SP_E_clISE_SE_SF_SF_EEDaS13_S14_SK_SP_EUlS13_E_NS1_11comp_targetILNS1_3genE4ELNS1_11target_archE910ELNS1_3gpuE8ELNS1_3repE0EEENS1_47radix_sort_onesweep_sort_config_static_selectorELNS0_4arch9wavefront6targetE1EEEvSK_
	.p2align	8
	.type	_ZN7rocprim17ROCPRIM_400000_NS6detail17trampoline_kernelINS0_14default_configENS1_35radix_sort_onesweep_config_selectorIjNS0_10empty_typeEEEZZNS1_29radix_sort_onesweep_iterationIS3_Lb0EN6thrust23THRUST_200600_302600_NS6detail15normal_iteratorINS9_10device_ptrIjEEEESE_PS5_SF_jNS0_19identity_decomposerENS1_16block_id_wrapperIjLb0EEEEE10hipError_tT1_PNSt15iterator_traitsISK_E10value_typeET2_T3_PNSL_ISQ_E10value_typeET4_T5_PSV_SW_PNS1_23onesweep_lookback_stateEbbT6_jjT7_P12ihipStream_tbENKUlT_T0_SK_SP_E_clISE_SE_SF_SF_EEDaS13_S14_SK_SP_EUlS13_E_NS1_11comp_targetILNS1_3genE4ELNS1_11target_archE910ELNS1_3gpuE8ELNS1_3repE0EEENS1_47radix_sort_onesweep_sort_config_static_selectorELNS0_4arch9wavefront6targetE1EEEvSK_,@function
_ZN7rocprim17ROCPRIM_400000_NS6detail17trampoline_kernelINS0_14default_configENS1_35radix_sort_onesweep_config_selectorIjNS0_10empty_typeEEEZZNS1_29radix_sort_onesweep_iterationIS3_Lb0EN6thrust23THRUST_200600_302600_NS6detail15normal_iteratorINS9_10device_ptrIjEEEESE_PS5_SF_jNS0_19identity_decomposerENS1_16block_id_wrapperIjLb0EEEEE10hipError_tT1_PNSt15iterator_traitsISK_E10value_typeET2_T3_PNSL_ISQ_E10value_typeET4_T5_PSV_SW_PNS1_23onesweep_lookback_stateEbbT6_jjT7_P12ihipStream_tbENKUlT_T0_SK_SP_E_clISE_SE_SF_SF_EEDaS13_S14_SK_SP_EUlS13_E_NS1_11comp_targetILNS1_3genE4ELNS1_11target_archE910ELNS1_3gpuE8ELNS1_3repE0EEENS1_47radix_sort_onesweep_sort_config_static_selectorELNS0_4arch9wavefront6targetE1EEEvSK_: ; @_ZN7rocprim17ROCPRIM_400000_NS6detail17trampoline_kernelINS0_14default_configENS1_35radix_sort_onesweep_config_selectorIjNS0_10empty_typeEEEZZNS1_29radix_sort_onesweep_iterationIS3_Lb0EN6thrust23THRUST_200600_302600_NS6detail15normal_iteratorINS9_10device_ptrIjEEEESE_PS5_SF_jNS0_19identity_decomposerENS1_16block_id_wrapperIjLb0EEEEE10hipError_tT1_PNSt15iterator_traitsISK_E10value_typeET2_T3_PNSL_ISQ_E10value_typeET4_T5_PSV_SW_PNS1_23onesweep_lookback_stateEbbT6_jjT7_P12ihipStream_tbENKUlT_T0_SK_SP_E_clISE_SE_SF_SF_EEDaS13_S14_SK_SP_EUlS13_E_NS1_11comp_targetILNS1_3genE4ELNS1_11target_archE910ELNS1_3gpuE8ELNS1_3repE0EEENS1_47radix_sort_onesweep_sort_config_static_selectorELNS0_4arch9wavefront6targetE1EEEvSK_
; %bb.0:
	s_load_dwordx4 s[16:19], s[4:5], 0x44
	s_load_dwordx2 s[24:25], s[4:5], 0x38
	s_load_dwordx4 s[20:23], s[4:5], 0x0
	s_load_dwordx4 s[12:15], s[4:5], 0x28
	s_mul_i32 s26, s6, 0x3000
	s_waitcnt lgkmcnt(0)
	s_cmp_ge_u32 s6, s18
	v_mbcnt_lo_u32_b32 v1, -1, 0
	s_cbranch_scc0 .LBB1132_79
; %bb.1:
	s_load_dword s7, s[4:5], 0x20
	s_mul_i32 s2, s18, 0xffffd000
	s_mov_b32 s27, 0
	v_and_b32_e32 v2, 0x3ff, v0
	s_lshl_b64 s[0:1], s[26:27], 2
	s_waitcnt lgkmcnt(0)
	s_add_i32 s7, s7, s2
	v_mbcnt_hi_u32_b32 v8, -1, v1
	s_add_u32 s0, s20, s0
	v_and_b32_e32 v3, 63, v8
	v_and_b32_e32 v4, 0x3c0, v2
	s_addc_u32 s1, s21, s1
	v_mul_u32_u24_e32 v6, 12, v4
	v_lshlrev_b32_e32 v4, 2, v3
	v_mov_b32_e32 v5, s1
	v_add_co_u32_e32 v4, vcc, s0, v4
	v_addc_co_u32_e32 v5, vcc, 0, v5, vcc
	v_lshlrev_b32_e32 v7, 2, v6
	v_add_co_u32_e32 v4, vcc, v4, v7
	v_addc_co_u32_e32 v5, vcc, 0, v5, vcc
	v_or_b32_e32 v6, v3, v6
	v_cmp_gt_u32_e32 vcc, s7, v6
	v_mov_b32_e32 v3, -1
	v_mov_b32_e32 v10, -1
	s_and_saveexec_b64 s[0:1], vcc
	s_cbranch_execz .LBB1132_3
; %bb.2:
	global_load_dword v10, v[4:5], off
.LBB1132_3:
	s_or_b64 exec, exec, s[0:1]
	v_or_b32_e32 v7, 64, v6
	v_cmp_gt_u32_e32 vcc, s7, v7
	v_mov_b32_e32 v11, -1
	s_and_saveexec_b64 s[0:1], vcc
	s_cbranch_execz .LBB1132_5
; %bb.4:
	global_load_dword v11, v[4:5], off offset:256
.LBB1132_5:
	s_or_b64 exec, exec, s[0:1]
	v_or_b32_e32 v7, 0x80, v6
	v_cmp_gt_u32_e32 vcc, s7, v7
	s_and_saveexec_b64 s[0:1], vcc
	s_cbranch_execz .LBB1132_7
; %bb.6:
	global_load_dword v3, v[4:5], off offset:512
.LBB1132_7:
	s_or_b64 exec, exec, s[0:1]
	v_or_b32_e32 v7, 0xc0, v6
	v_cmp_gt_u32_e32 vcc, s7, v7
	v_mov_b32_e32 v12, -1
	v_mov_b32_e32 v13, -1
	s_and_saveexec_b64 s[0:1], vcc
	s_cbranch_execz .LBB1132_9
; %bb.8:
	global_load_dword v13, v[4:5], off offset:768
.LBB1132_9:
	s_or_b64 exec, exec, s[0:1]
	v_add_u32_e32 v7, 0x100, v6
	v_cmp_gt_u32_e32 vcc, s7, v7
	s_and_saveexec_b64 s[0:1], vcc
	s_cbranch_execz .LBB1132_11
; %bb.10:
	global_load_dword v12, v[4:5], off offset:1024
.LBB1132_11:
	s_or_b64 exec, exec, s[0:1]
	v_add_u32_e32 v7, 0x140, v6
	v_cmp_gt_u32_e32 vcc, s7, v7
	v_mov_b32_e32 v14, -1
	v_mov_b32_e32 v15, -1
	s_and_saveexec_b64 s[0:1], vcc
	s_cbranch_execz .LBB1132_13
; %bb.12:
	global_load_dword v15, v[4:5], off offset:1280
.LBB1132_13:
	s_or_b64 exec, exec, s[0:1]
	v_add_u32_e32 v7, 0x180, v6
	v_cmp_gt_u32_e32 vcc, s7, v7
	s_and_saveexec_b64 s[0:1], vcc
	s_cbranch_execz .LBB1132_15
; %bb.14:
	global_load_dword v14, v[4:5], off offset:1536
.LBB1132_15:
	s_or_b64 exec, exec, s[0:1]
	v_add_u32_e32 v7, 0x1c0, v6
	;; [unrolled: 18-line block ×4, first 2 shown]
	v_cmp_gt_u32_e32 vcc, s7, v6
	v_mov_b32_e32 v20, -1
	s_and_saveexec_b64 s[0:1], vcc
	s_cbranch_execz .LBB1132_25
; %bb.24:
	global_load_dword v20, v[4:5], off offset:2816
.LBB1132_25:
	s_or_b64 exec, exec, s[0:1]
	s_load_dword s0, s[4:5], 0x64
	s_load_dword s27, s[4:5], 0x58
	s_add_u32 s1, s4, 0x58
	s_addc_u32 s2, s5, 0
	v_mov_b32_e32 v4, 0
	s_waitcnt lgkmcnt(0)
	s_lshr_b32 s3, s0, 16
	s_cmp_lt_u32 s6, s27
	s_cselect_b32 s0, 12, 18
	s_add_u32 s0, s1, s0
	s_addc_u32 s1, s2, 0
	global_load_ushort v6, v4, s[0:1]
	s_lshl_b32 s0, -1, s17
	s_waitcnt vmcnt(1)
	v_lshrrev_b32_e32 v21, s16, v10
	s_not_b32 s28, s0
	v_and_b32_e32 v21, s28, v21
	v_and_b32_e32 v23, 1, v21
	v_bfe_u32 v5, v0, 10, 10
	v_bfe_u32 v7, v0, 20, 10
	v_add_co_u32_e32 v24, vcc, -1, v23
	v_mad_u32_u24 v7, v7, s3, v5
	v_lshlrev_b32_e32 v5, 30, v21
	v_addc_co_u32_e64 v25, s[0:1], 0, -1, vcc
	v_cmp_ne_u32_e32 vcc, 0, v23
	v_cmp_gt_i64_e64 s[0:1], 0, v[4:5]
	v_not_b32_e32 v23, v5
	v_lshlrev_b32_e32 v5, 29, v21
	v_xor_b32_e32 v25, vcc_hi, v25
	v_xor_b32_e32 v24, vcc_lo, v24
	v_ashrrev_i32_e32 v23, 31, v23
	v_cmp_gt_i64_e32 vcc, 0, v[4:5]
	v_not_b32_e32 v26, v5
	v_lshlrev_b32_e32 v5, 28, v21
	v_and_b32_e32 v25, exec_hi, v25
	v_and_b32_e32 v24, exec_lo, v24
	v_xor_b32_e32 v27, s1, v23
	v_xor_b32_e32 v23, s0, v23
	v_ashrrev_i32_e32 v26, 31, v26
	v_cmp_gt_i64_e64 s[0:1], 0, v[4:5]
	v_not_b32_e32 v28, v5
	v_lshlrev_b32_e32 v5, 27, v21
	v_and_b32_e32 v25, v25, v27
	v_and_b32_e32 v23, v24, v23
	v_xor_b32_e32 v24, vcc_hi, v26
	v_xor_b32_e32 v26, vcc_lo, v26
	v_ashrrev_i32_e32 v27, 31, v28
	v_cmp_gt_i64_e32 vcc, 0, v[4:5]
	v_not_b32_e32 v28, v5
	v_lshlrev_b32_e32 v5, 26, v21
	v_and_b32_e32 v24, v25, v24
	v_and_b32_e32 v23, v23, v26
	v_xor_b32_e32 v25, s1, v27
	v_xor_b32_e32 v26, s0, v27
	v_ashrrev_i32_e32 v27, 31, v28
	v_cmp_gt_i64_e64 s[0:1], 0, v[4:5]
	v_not_b32_e32 v28, v5
	v_lshlrev_b32_e32 v5, 25, v21
	v_and_b32_e32 v24, v24, v25
	v_and_b32_e32 v23, v23, v26
	v_xor_b32_e32 v25, vcc_hi, v27
	v_xor_b32_e32 v26, vcc_lo, v27
	v_ashrrev_i32_e32 v27, 31, v28
	v_cmp_gt_i64_e32 vcc, 0, v[4:5]
	v_not_b32_e32 v28, v5
	v_lshlrev_b32_e32 v5, 24, v21
	v_lshl_add_u32 v22, v21, 4, v21
	v_and_b32_e32 v21, v24, v25
	v_and_b32_e32 v23, v23, v26
	v_xor_b32_e32 v24, s1, v27
	v_xor_b32_e32 v25, s0, v27
	v_ashrrev_i32_e32 v26, 31, v28
	v_cmp_gt_i64_e64 s[0:1], 0, v[4:5]
	v_not_b32_e32 v5, v5
	v_and_b32_e32 v21, v21, v24
	v_and_b32_e32 v23, v23, v25
	v_xor_b32_e32 v24, vcc_hi, v26
	v_xor_b32_e32 v25, vcc_lo, v26
	v_ashrrev_i32_e32 v5, 31, v5
	v_and_b32_e32 v21, v21, v24
	v_and_b32_e32 v23, v23, v25
	v_mul_u32_u24_e32 v9, 5, v2
	v_lshlrev_b32_e32 v9, 2, v9
	ds_write2_b32 v9, v4, v4 offset0:16 offset1:17
	ds_write2_b32 v9, v4, v4 offset0:18 offset1:19
	ds_write_b32 v9, v4 offset:80
	s_waitcnt lgkmcnt(0)
	s_barrier
	s_waitcnt lgkmcnt(0)
	; wave barrier
	s_waitcnt vmcnt(0)
	v_mad_u64_u32 v[6:7], s[2:3], v7, v6, v[2:3]
	v_lshrrev_b32_e32 v32, 6, v6
	v_xor_b32_e32 v6, s1, v5
	v_xor_b32_e32 v5, s0, v5
	v_and_b32_e32 v7, v21, v6
	v_and_b32_e32 v6, v23, v5
	v_mbcnt_lo_u32_b32 v5, v6, 0
	v_mbcnt_hi_u32_b32 v21, v7, v5
	v_cmp_eq_u32_e32 vcc, 0, v21
	v_cmp_ne_u64_e64 s[0:1], 0, v[6:7]
	v_add_lshl_u32 v25, v32, v22, 2
	s_and_b64 s[2:3], s[0:1], vcc
	s_and_saveexec_b64 s[0:1], s[2:3]
	s_cbranch_execz .LBB1132_27
; %bb.26:
	v_bcnt_u32_b32 v5, v6, 0
	v_bcnt_u32_b32 v5, v7, v5
	ds_write_b32 v25, v5 offset:64
.LBB1132_27:
	s_or_b64 exec, exec, s[0:1]
	v_lshrrev_b32_e32 v5, s16, v11
	v_and_b32_e32 v6, s28, v5
	v_lshl_add_u32 v5, v6, 4, v6
	v_add_lshl_u32 v26, v32, v5, 2
	v_and_b32_e32 v5, 1, v6
	v_add_co_u32_e32 v7, vcc, -1, v5
	v_addc_co_u32_e64 v23, s[0:1], 0, -1, vcc
	v_cmp_ne_u32_e32 vcc, 0, v5
	v_xor_b32_e32 v5, vcc_hi, v23
	v_and_b32_e32 v23, exec_hi, v5
	v_lshlrev_b32_e32 v5, 30, v6
	v_xor_b32_e32 v7, vcc_lo, v7
	v_cmp_gt_i64_e32 vcc, 0, v[4:5]
	v_not_b32_e32 v5, v5
	v_ashrrev_i32_e32 v5, 31, v5
	v_and_b32_e32 v7, exec_lo, v7
	v_xor_b32_e32 v24, vcc_hi, v5
	v_xor_b32_e32 v5, vcc_lo, v5
	v_and_b32_e32 v7, v7, v5
	v_lshlrev_b32_e32 v5, 29, v6
	v_cmp_gt_i64_e32 vcc, 0, v[4:5]
	v_not_b32_e32 v5, v5
	v_ashrrev_i32_e32 v5, 31, v5
	v_and_b32_e32 v23, v23, v24
	v_xor_b32_e32 v24, vcc_hi, v5
	v_xor_b32_e32 v5, vcc_lo, v5
	v_and_b32_e32 v7, v7, v5
	v_lshlrev_b32_e32 v5, 28, v6
	v_cmp_gt_i64_e32 vcc, 0, v[4:5]
	v_not_b32_e32 v5, v5
	v_ashrrev_i32_e32 v5, 31, v5
	v_and_b32_e32 v23, v23, v24
	;; [unrolled: 8-line block ×5, first 2 shown]
	v_xor_b32_e32 v24, vcc_hi, v5
	v_xor_b32_e32 v5, vcc_lo, v5
	v_and_b32_e32 v7, v7, v5
	v_lshlrev_b32_e32 v5, 24, v6
	v_cmp_gt_i64_e32 vcc, 0, v[4:5]
	v_not_b32_e32 v4, v5
	v_ashrrev_i32_e32 v4, 31, v4
	v_xor_b32_e32 v5, vcc_hi, v4
	v_xor_b32_e32 v4, vcc_lo, v4
	; wave barrier
	ds_read_b32 v22, v26 offset:64
	v_and_b32_e32 v23, v23, v24
	v_and_b32_e32 v4, v7, v4
	;; [unrolled: 1-line block ×3, first 2 shown]
	v_mbcnt_lo_u32_b32 v6, v4, 0
	v_mbcnt_hi_u32_b32 v23, v5, v6
	v_cmp_eq_u32_e32 vcc, 0, v23
	v_cmp_ne_u64_e64 s[0:1], 0, v[4:5]
	s_and_b64 s[2:3], s[0:1], vcc
	; wave barrier
	s_and_saveexec_b64 s[0:1], s[2:3]
	s_cbranch_execz .LBB1132_29
; %bb.28:
	v_bcnt_u32_b32 v4, v4, 0
	v_bcnt_u32_b32 v4, v5, v4
	s_waitcnt lgkmcnt(0)
	v_add_u32_e32 v4, v22, v4
	ds_write_b32 v26, v4 offset:64
.LBB1132_29:
	s_or_b64 exec, exec, s[0:1]
	v_lshrrev_b32_e32 v4, s16, v3
	v_and_b32_e32 v6, s28, v4
	v_and_b32_e32 v5, 1, v6
	v_add_co_u32_e32 v7, vcc, -1, v5
	v_addc_co_u32_e64 v27, s[0:1], 0, -1, vcc
	v_cmp_ne_u32_e32 vcc, 0, v5
	v_lshl_add_u32 v4, v6, 4, v6
	v_xor_b32_e32 v5, vcc_hi, v27
	v_add_lshl_u32 v29, v32, v4, 2
	v_mov_b32_e32 v4, 0
	v_and_b32_e32 v27, exec_hi, v5
	v_lshlrev_b32_e32 v5, 30, v6
	v_xor_b32_e32 v7, vcc_lo, v7
	v_cmp_gt_i64_e32 vcc, 0, v[4:5]
	v_not_b32_e32 v5, v5
	v_ashrrev_i32_e32 v5, 31, v5
	v_and_b32_e32 v7, exec_lo, v7
	v_xor_b32_e32 v28, vcc_hi, v5
	v_xor_b32_e32 v5, vcc_lo, v5
	v_and_b32_e32 v7, v7, v5
	v_lshlrev_b32_e32 v5, 29, v6
	v_cmp_gt_i64_e32 vcc, 0, v[4:5]
	v_not_b32_e32 v5, v5
	v_ashrrev_i32_e32 v5, 31, v5
	v_and_b32_e32 v27, v27, v28
	v_xor_b32_e32 v28, vcc_hi, v5
	v_xor_b32_e32 v5, vcc_lo, v5
	v_and_b32_e32 v7, v7, v5
	v_lshlrev_b32_e32 v5, 28, v6
	v_cmp_gt_i64_e32 vcc, 0, v[4:5]
	v_not_b32_e32 v5, v5
	v_ashrrev_i32_e32 v5, 31, v5
	v_and_b32_e32 v27, v27, v28
	;; [unrolled: 8-line block ×5, first 2 shown]
	v_xor_b32_e32 v28, vcc_hi, v5
	v_xor_b32_e32 v5, vcc_lo, v5
	v_and_b32_e32 v27, v27, v28
	v_and_b32_e32 v28, v7, v5
	v_lshlrev_b32_e32 v5, 24, v6
	v_cmp_gt_i64_e32 vcc, 0, v[4:5]
	v_not_b32_e32 v5, v5
	v_ashrrev_i32_e32 v5, 31, v5
	v_xor_b32_e32 v6, vcc_hi, v5
	v_xor_b32_e32 v5, vcc_lo, v5
	; wave barrier
	ds_read_b32 v24, v29 offset:64
	v_and_b32_e32 v7, v27, v6
	v_and_b32_e32 v6, v28, v5
	v_mbcnt_lo_u32_b32 v5, v6, 0
	v_mbcnt_hi_u32_b32 v27, v7, v5
	v_cmp_eq_u32_e32 vcc, 0, v27
	v_cmp_ne_u64_e64 s[0:1], 0, v[6:7]
	s_and_b64 s[2:3], s[0:1], vcc
	; wave barrier
	s_and_saveexec_b64 s[0:1], s[2:3]
	s_cbranch_execz .LBB1132_31
; %bb.30:
	v_bcnt_u32_b32 v5, v6, 0
	v_bcnt_u32_b32 v5, v7, v5
	s_waitcnt lgkmcnt(0)
	v_add_u32_e32 v5, v24, v5
	ds_write_b32 v29, v5 offset:64
.LBB1132_31:
	s_or_b64 exec, exec, s[0:1]
	v_lshrrev_b32_e32 v5, s16, v13
	v_and_b32_e32 v6, s28, v5
	v_lshl_add_u32 v5, v6, 4, v6
	v_add_lshl_u32 v33, v32, v5, 2
	v_and_b32_e32 v5, 1, v6
	v_add_co_u32_e32 v7, vcc, -1, v5
	v_addc_co_u32_e64 v30, s[0:1], 0, -1, vcc
	v_cmp_ne_u32_e32 vcc, 0, v5
	v_xor_b32_e32 v5, vcc_hi, v30
	v_and_b32_e32 v30, exec_hi, v5
	v_lshlrev_b32_e32 v5, 30, v6
	v_xor_b32_e32 v7, vcc_lo, v7
	v_cmp_gt_i64_e32 vcc, 0, v[4:5]
	v_not_b32_e32 v5, v5
	v_ashrrev_i32_e32 v5, 31, v5
	v_and_b32_e32 v7, exec_lo, v7
	v_xor_b32_e32 v31, vcc_hi, v5
	v_xor_b32_e32 v5, vcc_lo, v5
	v_and_b32_e32 v7, v7, v5
	v_lshlrev_b32_e32 v5, 29, v6
	v_cmp_gt_i64_e32 vcc, 0, v[4:5]
	v_not_b32_e32 v5, v5
	v_ashrrev_i32_e32 v5, 31, v5
	v_and_b32_e32 v30, v30, v31
	v_xor_b32_e32 v31, vcc_hi, v5
	v_xor_b32_e32 v5, vcc_lo, v5
	v_and_b32_e32 v7, v7, v5
	v_lshlrev_b32_e32 v5, 28, v6
	v_cmp_gt_i64_e32 vcc, 0, v[4:5]
	v_not_b32_e32 v5, v5
	v_ashrrev_i32_e32 v5, 31, v5
	v_and_b32_e32 v30, v30, v31
	;; [unrolled: 8-line block ×5, first 2 shown]
	v_xor_b32_e32 v31, vcc_hi, v5
	v_xor_b32_e32 v5, vcc_lo, v5
	v_and_b32_e32 v7, v7, v5
	v_lshlrev_b32_e32 v5, 24, v6
	v_cmp_gt_i64_e32 vcc, 0, v[4:5]
	v_not_b32_e32 v4, v5
	v_ashrrev_i32_e32 v4, 31, v4
	v_xor_b32_e32 v5, vcc_hi, v4
	v_xor_b32_e32 v4, vcc_lo, v4
	; wave barrier
	ds_read_b32 v28, v33 offset:64
	v_and_b32_e32 v30, v30, v31
	v_and_b32_e32 v4, v7, v4
	;; [unrolled: 1-line block ×3, first 2 shown]
	v_mbcnt_lo_u32_b32 v6, v4, 0
	v_mbcnt_hi_u32_b32 v30, v5, v6
	v_cmp_eq_u32_e32 vcc, 0, v30
	v_cmp_ne_u64_e64 s[0:1], 0, v[4:5]
	s_and_b64 s[2:3], s[0:1], vcc
	; wave barrier
	s_and_saveexec_b64 s[0:1], s[2:3]
	s_cbranch_execz .LBB1132_33
; %bb.32:
	v_bcnt_u32_b32 v4, v4, 0
	v_bcnt_u32_b32 v4, v5, v4
	s_waitcnt lgkmcnt(0)
	v_add_u32_e32 v4, v28, v4
	ds_write_b32 v33, v4 offset:64
.LBB1132_33:
	s_or_b64 exec, exec, s[0:1]
	v_lshrrev_b32_e32 v4, s16, v12
	v_and_b32_e32 v6, s28, v4
	v_and_b32_e32 v5, 1, v6
	v_add_co_u32_e32 v7, vcc, -1, v5
	v_addc_co_u32_e64 v34, s[0:1], 0, -1, vcc
	v_cmp_ne_u32_e32 vcc, 0, v5
	v_lshl_add_u32 v4, v6, 4, v6
	v_xor_b32_e32 v5, vcc_hi, v34
	v_add_lshl_u32 v36, v32, v4, 2
	v_mov_b32_e32 v4, 0
	v_and_b32_e32 v34, exec_hi, v5
	v_lshlrev_b32_e32 v5, 30, v6
	v_xor_b32_e32 v7, vcc_lo, v7
	v_cmp_gt_i64_e32 vcc, 0, v[4:5]
	v_not_b32_e32 v5, v5
	v_ashrrev_i32_e32 v5, 31, v5
	v_and_b32_e32 v7, exec_lo, v7
	v_xor_b32_e32 v35, vcc_hi, v5
	v_xor_b32_e32 v5, vcc_lo, v5
	v_and_b32_e32 v7, v7, v5
	v_lshlrev_b32_e32 v5, 29, v6
	v_cmp_gt_i64_e32 vcc, 0, v[4:5]
	v_not_b32_e32 v5, v5
	v_ashrrev_i32_e32 v5, 31, v5
	v_and_b32_e32 v34, v34, v35
	v_xor_b32_e32 v35, vcc_hi, v5
	v_xor_b32_e32 v5, vcc_lo, v5
	v_and_b32_e32 v7, v7, v5
	v_lshlrev_b32_e32 v5, 28, v6
	v_cmp_gt_i64_e32 vcc, 0, v[4:5]
	v_not_b32_e32 v5, v5
	v_ashrrev_i32_e32 v5, 31, v5
	v_and_b32_e32 v34, v34, v35
	v_xor_b32_e32 v35, vcc_hi, v5
	v_xor_b32_e32 v5, vcc_lo, v5
	v_and_b32_e32 v7, v7, v5
	v_lshlrev_b32_e32 v5, 27, v6
	v_cmp_gt_i64_e32 vcc, 0, v[4:5]
	v_not_b32_e32 v5, v5
	v_ashrrev_i32_e32 v5, 31, v5
	v_and_b32_e32 v34, v34, v35
	v_xor_b32_e32 v35, vcc_hi, v5
	v_xor_b32_e32 v5, vcc_lo, v5
	v_and_b32_e32 v7, v7, v5
	v_lshlrev_b32_e32 v5, 26, v6
	v_cmp_gt_i64_e32 vcc, 0, v[4:5]
	v_not_b32_e32 v5, v5
	v_ashrrev_i32_e32 v5, 31, v5
	v_and_b32_e32 v34, v34, v35
	v_xor_b32_e32 v35, vcc_hi, v5
	v_xor_b32_e32 v5, vcc_lo, v5
	v_and_b32_e32 v7, v7, v5
	v_lshlrev_b32_e32 v5, 25, v6
	v_cmp_gt_i64_e32 vcc, 0, v[4:5]
	v_not_b32_e32 v5, v5
	v_ashrrev_i32_e32 v5, 31, v5
	v_and_b32_e32 v34, v34, v35
	v_xor_b32_e32 v35, vcc_hi, v5
	v_xor_b32_e32 v5, vcc_lo, v5
	v_and_b32_e32 v34, v34, v35
	v_and_b32_e32 v35, v7, v5
	v_lshlrev_b32_e32 v5, 24, v6
	v_cmp_gt_i64_e32 vcc, 0, v[4:5]
	v_not_b32_e32 v5, v5
	v_ashrrev_i32_e32 v5, 31, v5
	v_xor_b32_e32 v6, vcc_hi, v5
	v_xor_b32_e32 v5, vcc_lo, v5
	; wave barrier
	ds_read_b32 v31, v36 offset:64
	v_and_b32_e32 v7, v34, v6
	v_and_b32_e32 v6, v35, v5
	v_mbcnt_lo_u32_b32 v5, v6, 0
	v_mbcnt_hi_u32_b32 v34, v7, v5
	v_cmp_eq_u32_e32 vcc, 0, v34
	v_cmp_ne_u64_e64 s[0:1], 0, v[6:7]
	s_and_b64 s[2:3], s[0:1], vcc
	; wave barrier
	s_and_saveexec_b64 s[0:1], s[2:3]
	s_cbranch_execz .LBB1132_35
; %bb.34:
	v_bcnt_u32_b32 v5, v6, 0
	v_bcnt_u32_b32 v5, v7, v5
	s_waitcnt lgkmcnt(0)
	v_add_u32_e32 v5, v31, v5
	ds_write_b32 v36, v5 offset:64
.LBB1132_35:
	s_or_b64 exec, exec, s[0:1]
	v_lshrrev_b32_e32 v5, s16, v15
	v_and_b32_e32 v6, s28, v5
	v_lshl_add_u32 v5, v6, 4, v6
	v_add_lshl_u32 v39, v32, v5, 2
	v_and_b32_e32 v5, 1, v6
	v_add_co_u32_e32 v7, vcc, -1, v5
	v_addc_co_u32_e64 v37, s[0:1], 0, -1, vcc
	v_cmp_ne_u32_e32 vcc, 0, v5
	v_xor_b32_e32 v5, vcc_hi, v37
	v_and_b32_e32 v37, exec_hi, v5
	v_lshlrev_b32_e32 v5, 30, v6
	v_xor_b32_e32 v7, vcc_lo, v7
	v_cmp_gt_i64_e32 vcc, 0, v[4:5]
	v_not_b32_e32 v5, v5
	v_ashrrev_i32_e32 v5, 31, v5
	v_and_b32_e32 v7, exec_lo, v7
	v_xor_b32_e32 v38, vcc_hi, v5
	v_xor_b32_e32 v5, vcc_lo, v5
	v_and_b32_e32 v7, v7, v5
	v_lshlrev_b32_e32 v5, 29, v6
	v_cmp_gt_i64_e32 vcc, 0, v[4:5]
	v_not_b32_e32 v5, v5
	v_ashrrev_i32_e32 v5, 31, v5
	v_and_b32_e32 v37, v37, v38
	v_xor_b32_e32 v38, vcc_hi, v5
	v_xor_b32_e32 v5, vcc_lo, v5
	v_and_b32_e32 v7, v7, v5
	v_lshlrev_b32_e32 v5, 28, v6
	v_cmp_gt_i64_e32 vcc, 0, v[4:5]
	v_not_b32_e32 v5, v5
	v_ashrrev_i32_e32 v5, 31, v5
	v_and_b32_e32 v37, v37, v38
	;; [unrolled: 8-line block ×5, first 2 shown]
	v_xor_b32_e32 v38, vcc_hi, v5
	v_xor_b32_e32 v5, vcc_lo, v5
	v_and_b32_e32 v7, v7, v5
	v_lshlrev_b32_e32 v5, 24, v6
	v_cmp_gt_i64_e32 vcc, 0, v[4:5]
	v_not_b32_e32 v4, v5
	v_ashrrev_i32_e32 v4, 31, v4
	v_xor_b32_e32 v5, vcc_hi, v4
	v_xor_b32_e32 v4, vcc_lo, v4
	; wave barrier
	ds_read_b32 v35, v39 offset:64
	v_and_b32_e32 v37, v37, v38
	v_and_b32_e32 v4, v7, v4
	;; [unrolled: 1-line block ×3, first 2 shown]
	v_mbcnt_lo_u32_b32 v6, v4, 0
	v_mbcnt_hi_u32_b32 v37, v5, v6
	v_cmp_eq_u32_e32 vcc, 0, v37
	v_cmp_ne_u64_e64 s[0:1], 0, v[4:5]
	s_and_b64 s[2:3], s[0:1], vcc
	; wave barrier
	s_and_saveexec_b64 s[0:1], s[2:3]
	s_cbranch_execz .LBB1132_37
; %bb.36:
	v_bcnt_u32_b32 v4, v4, 0
	v_bcnt_u32_b32 v4, v5, v4
	s_waitcnt lgkmcnt(0)
	v_add_u32_e32 v4, v35, v4
	ds_write_b32 v39, v4 offset:64
.LBB1132_37:
	s_or_b64 exec, exec, s[0:1]
	v_lshrrev_b32_e32 v4, s16, v14
	v_and_b32_e32 v6, s28, v4
	v_and_b32_e32 v5, 1, v6
	v_add_co_u32_e32 v7, vcc, -1, v5
	v_addc_co_u32_e64 v40, s[0:1], 0, -1, vcc
	v_cmp_ne_u32_e32 vcc, 0, v5
	v_lshl_add_u32 v4, v6, 4, v6
	v_xor_b32_e32 v5, vcc_hi, v40
	v_add_lshl_u32 v42, v32, v4, 2
	v_mov_b32_e32 v4, 0
	v_and_b32_e32 v40, exec_hi, v5
	v_lshlrev_b32_e32 v5, 30, v6
	v_xor_b32_e32 v7, vcc_lo, v7
	v_cmp_gt_i64_e32 vcc, 0, v[4:5]
	v_not_b32_e32 v5, v5
	v_ashrrev_i32_e32 v5, 31, v5
	v_and_b32_e32 v7, exec_lo, v7
	v_xor_b32_e32 v41, vcc_hi, v5
	v_xor_b32_e32 v5, vcc_lo, v5
	v_and_b32_e32 v7, v7, v5
	v_lshlrev_b32_e32 v5, 29, v6
	v_cmp_gt_i64_e32 vcc, 0, v[4:5]
	v_not_b32_e32 v5, v5
	v_ashrrev_i32_e32 v5, 31, v5
	v_and_b32_e32 v40, v40, v41
	v_xor_b32_e32 v41, vcc_hi, v5
	v_xor_b32_e32 v5, vcc_lo, v5
	v_and_b32_e32 v7, v7, v5
	v_lshlrev_b32_e32 v5, 28, v6
	v_cmp_gt_i64_e32 vcc, 0, v[4:5]
	v_not_b32_e32 v5, v5
	v_ashrrev_i32_e32 v5, 31, v5
	v_and_b32_e32 v40, v40, v41
	;; [unrolled: 8-line block ×5, first 2 shown]
	v_xor_b32_e32 v41, vcc_hi, v5
	v_xor_b32_e32 v5, vcc_lo, v5
	v_and_b32_e32 v40, v40, v41
	v_and_b32_e32 v41, v7, v5
	v_lshlrev_b32_e32 v5, 24, v6
	v_cmp_gt_i64_e32 vcc, 0, v[4:5]
	v_not_b32_e32 v5, v5
	v_ashrrev_i32_e32 v5, 31, v5
	v_xor_b32_e32 v6, vcc_hi, v5
	v_xor_b32_e32 v5, vcc_lo, v5
	; wave barrier
	ds_read_b32 v38, v42 offset:64
	v_and_b32_e32 v7, v40, v6
	v_and_b32_e32 v6, v41, v5
	v_mbcnt_lo_u32_b32 v5, v6, 0
	v_mbcnt_hi_u32_b32 v40, v7, v5
	v_cmp_eq_u32_e32 vcc, 0, v40
	v_cmp_ne_u64_e64 s[0:1], 0, v[6:7]
	s_and_b64 s[2:3], s[0:1], vcc
	; wave barrier
	s_and_saveexec_b64 s[0:1], s[2:3]
	s_cbranch_execz .LBB1132_39
; %bb.38:
	v_bcnt_u32_b32 v5, v6, 0
	v_bcnt_u32_b32 v5, v7, v5
	s_waitcnt lgkmcnt(0)
	v_add_u32_e32 v5, v38, v5
	ds_write_b32 v42, v5 offset:64
.LBB1132_39:
	s_or_b64 exec, exec, s[0:1]
	v_lshrrev_b32_e32 v5, s16, v17
	v_and_b32_e32 v6, s28, v5
	v_lshl_add_u32 v5, v6, 4, v6
	v_add_lshl_u32 v45, v32, v5, 2
	v_and_b32_e32 v5, 1, v6
	v_add_co_u32_e32 v7, vcc, -1, v5
	v_addc_co_u32_e64 v43, s[0:1], 0, -1, vcc
	v_cmp_ne_u32_e32 vcc, 0, v5
	v_xor_b32_e32 v5, vcc_hi, v43
	v_and_b32_e32 v43, exec_hi, v5
	v_lshlrev_b32_e32 v5, 30, v6
	v_xor_b32_e32 v7, vcc_lo, v7
	v_cmp_gt_i64_e32 vcc, 0, v[4:5]
	v_not_b32_e32 v5, v5
	v_ashrrev_i32_e32 v5, 31, v5
	v_and_b32_e32 v7, exec_lo, v7
	v_xor_b32_e32 v44, vcc_hi, v5
	v_xor_b32_e32 v5, vcc_lo, v5
	v_and_b32_e32 v7, v7, v5
	v_lshlrev_b32_e32 v5, 29, v6
	v_cmp_gt_i64_e32 vcc, 0, v[4:5]
	v_not_b32_e32 v5, v5
	v_ashrrev_i32_e32 v5, 31, v5
	v_and_b32_e32 v43, v43, v44
	v_xor_b32_e32 v44, vcc_hi, v5
	v_xor_b32_e32 v5, vcc_lo, v5
	v_and_b32_e32 v7, v7, v5
	v_lshlrev_b32_e32 v5, 28, v6
	v_cmp_gt_i64_e32 vcc, 0, v[4:5]
	v_not_b32_e32 v5, v5
	v_ashrrev_i32_e32 v5, 31, v5
	v_and_b32_e32 v43, v43, v44
	;; [unrolled: 8-line block ×5, first 2 shown]
	v_xor_b32_e32 v44, vcc_hi, v5
	v_xor_b32_e32 v5, vcc_lo, v5
	v_and_b32_e32 v7, v7, v5
	v_lshlrev_b32_e32 v5, 24, v6
	v_cmp_gt_i64_e32 vcc, 0, v[4:5]
	v_not_b32_e32 v4, v5
	v_ashrrev_i32_e32 v4, 31, v4
	v_xor_b32_e32 v5, vcc_hi, v4
	v_xor_b32_e32 v4, vcc_lo, v4
	; wave barrier
	ds_read_b32 v41, v45 offset:64
	v_and_b32_e32 v43, v43, v44
	v_and_b32_e32 v4, v7, v4
	;; [unrolled: 1-line block ×3, first 2 shown]
	v_mbcnt_lo_u32_b32 v6, v4, 0
	v_mbcnt_hi_u32_b32 v43, v5, v6
	v_cmp_eq_u32_e32 vcc, 0, v43
	v_cmp_ne_u64_e64 s[0:1], 0, v[4:5]
	s_and_b64 s[2:3], s[0:1], vcc
	; wave barrier
	s_and_saveexec_b64 s[0:1], s[2:3]
	s_cbranch_execz .LBB1132_41
; %bb.40:
	v_bcnt_u32_b32 v4, v4, 0
	v_bcnt_u32_b32 v4, v5, v4
	s_waitcnt lgkmcnt(0)
	v_add_u32_e32 v4, v41, v4
	ds_write_b32 v45, v4 offset:64
.LBB1132_41:
	s_or_b64 exec, exec, s[0:1]
	v_lshrrev_b32_e32 v4, s16, v16
	v_and_b32_e32 v6, s28, v4
	v_and_b32_e32 v5, 1, v6
	v_add_co_u32_e32 v7, vcc, -1, v5
	v_addc_co_u32_e64 v46, s[0:1], 0, -1, vcc
	v_cmp_ne_u32_e32 vcc, 0, v5
	v_lshl_add_u32 v4, v6, 4, v6
	v_xor_b32_e32 v5, vcc_hi, v46
	v_add_lshl_u32 v48, v32, v4, 2
	v_mov_b32_e32 v4, 0
	v_and_b32_e32 v46, exec_hi, v5
	v_lshlrev_b32_e32 v5, 30, v6
	v_xor_b32_e32 v7, vcc_lo, v7
	v_cmp_gt_i64_e32 vcc, 0, v[4:5]
	v_not_b32_e32 v5, v5
	v_ashrrev_i32_e32 v5, 31, v5
	v_and_b32_e32 v7, exec_lo, v7
	v_xor_b32_e32 v47, vcc_hi, v5
	v_xor_b32_e32 v5, vcc_lo, v5
	v_and_b32_e32 v7, v7, v5
	v_lshlrev_b32_e32 v5, 29, v6
	v_cmp_gt_i64_e32 vcc, 0, v[4:5]
	v_not_b32_e32 v5, v5
	v_ashrrev_i32_e32 v5, 31, v5
	v_and_b32_e32 v46, v46, v47
	v_xor_b32_e32 v47, vcc_hi, v5
	v_xor_b32_e32 v5, vcc_lo, v5
	v_and_b32_e32 v7, v7, v5
	v_lshlrev_b32_e32 v5, 28, v6
	v_cmp_gt_i64_e32 vcc, 0, v[4:5]
	v_not_b32_e32 v5, v5
	v_ashrrev_i32_e32 v5, 31, v5
	v_and_b32_e32 v46, v46, v47
	;; [unrolled: 8-line block ×5, first 2 shown]
	v_xor_b32_e32 v47, vcc_hi, v5
	v_xor_b32_e32 v5, vcc_lo, v5
	v_and_b32_e32 v46, v46, v47
	v_and_b32_e32 v47, v7, v5
	v_lshlrev_b32_e32 v5, 24, v6
	v_cmp_gt_i64_e32 vcc, 0, v[4:5]
	v_not_b32_e32 v5, v5
	v_ashrrev_i32_e32 v5, 31, v5
	v_xor_b32_e32 v6, vcc_hi, v5
	v_xor_b32_e32 v5, vcc_lo, v5
	; wave barrier
	ds_read_b32 v44, v48 offset:64
	v_and_b32_e32 v7, v46, v6
	v_and_b32_e32 v6, v47, v5
	v_mbcnt_lo_u32_b32 v5, v6, 0
	v_mbcnt_hi_u32_b32 v46, v7, v5
	v_cmp_eq_u32_e32 vcc, 0, v46
	v_cmp_ne_u64_e64 s[0:1], 0, v[6:7]
	s_and_b64 s[2:3], s[0:1], vcc
	; wave barrier
	s_and_saveexec_b64 s[0:1], s[2:3]
	s_cbranch_execz .LBB1132_43
; %bb.42:
	v_bcnt_u32_b32 v5, v6, 0
	v_bcnt_u32_b32 v5, v7, v5
	s_waitcnt lgkmcnt(0)
	v_add_u32_e32 v5, v44, v5
	ds_write_b32 v48, v5 offset:64
.LBB1132_43:
	s_or_b64 exec, exec, s[0:1]
	v_lshrrev_b32_e32 v5, s16, v19
	v_and_b32_e32 v6, s28, v5
	v_lshl_add_u32 v5, v6, 4, v6
	v_add_lshl_u32 v51, v32, v5, 2
	v_and_b32_e32 v5, 1, v6
	v_add_co_u32_e32 v7, vcc, -1, v5
	v_addc_co_u32_e64 v49, s[0:1], 0, -1, vcc
	v_cmp_ne_u32_e32 vcc, 0, v5
	v_xor_b32_e32 v5, vcc_hi, v49
	v_and_b32_e32 v49, exec_hi, v5
	v_lshlrev_b32_e32 v5, 30, v6
	v_xor_b32_e32 v7, vcc_lo, v7
	v_cmp_gt_i64_e32 vcc, 0, v[4:5]
	v_not_b32_e32 v5, v5
	v_ashrrev_i32_e32 v5, 31, v5
	v_and_b32_e32 v7, exec_lo, v7
	v_xor_b32_e32 v50, vcc_hi, v5
	v_xor_b32_e32 v5, vcc_lo, v5
	v_and_b32_e32 v7, v7, v5
	v_lshlrev_b32_e32 v5, 29, v6
	v_cmp_gt_i64_e32 vcc, 0, v[4:5]
	v_not_b32_e32 v5, v5
	v_ashrrev_i32_e32 v5, 31, v5
	v_and_b32_e32 v49, v49, v50
	v_xor_b32_e32 v50, vcc_hi, v5
	v_xor_b32_e32 v5, vcc_lo, v5
	v_and_b32_e32 v7, v7, v5
	v_lshlrev_b32_e32 v5, 28, v6
	v_cmp_gt_i64_e32 vcc, 0, v[4:5]
	v_not_b32_e32 v5, v5
	v_ashrrev_i32_e32 v5, 31, v5
	v_and_b32_e32 v49, v49, v50
	;; [unrolled: 8-line block ×5, first 2 shown]
	v_xor_b32_e32 v50, vcc_hi, v5
	v_xor_b32_e32 v5, vcc_lo, v5
	v_and_b32_e32 v7, v7, v5
	v_lshlrev_b32_e32 v5, 24, v6
	v_cmp_gt_i64_e32 vcc, 0, v[4:5]
	v_not_b32_e32 v4, v5
	v_ashrrev_i32_e32 v4, 31, v4
	v_xor_b32_e32 v5, vcc_hi, v4
	v_xor_b32_e32 v4, vcc_lo, v4
	; wave barrier
	ds_read_b32 v47, v51 offset:64
	v_and_b32_e32 v49, v49, v50
	v_and_b32_e32 v4, v7, v4
	;; [unrolled: 1-line block ×3, first 2 shown]
	v_mbcnt_lo_u32_b32 v6, v4, 0
	v_mbcnt_hi_u32_b32 v49, v5, v6
	v_cmp_eq_u32_e32 vcc, 0, v49
	v_cmp_ne_u64_e64 s[0:1], 0, v[4:5]
	s_and_b64 s[2:3], s[0:1], vcc
	; wave barrier
	s_and_saveexec_b64 s[0:1], s[2:3]
	s_cbranch_execz .LBB1132_45
; %bb.44:
	v_bcnt_u32_b32 v4, v4, 0
	v_bcnt_u32_b32 v4, v5, v4
	s_waitcnt lgkmcnt(0)
	v_add_u32_e32 v4, v47, v4
	ds_write_b32 v51, v4 offset:64
.LBB1132_45:
	s_or_b64 exec, exec, s[0:1]
	v_lshrrev_b32_e32 v4, s16, v18
	v_and_b32_e32 v6, s28, v4
	v_and_b32_e32 v5, 1, v6
	v_add_co_u32_e32 v7, vcc, -1, v5
	v_addc_co_u32_e64 v52, s[0:1], 0, -1, vcc
	v_cmp_ne_u32_e32 vcc, 0, v5
	v_lshl_add_u32 v4, v6, 4, v6
	v_xor_b32_e32 v5, vcc_hi, v52
	v_add_lshl_u32 v54, v32, v4, 2
	v_mov_b32_e32 v4, 0
	v_and_b32_e32 v52, exec_hi, v5
	v_lshlrev_b32_e32 v5, 30, v6
	v_xor_b32_e32 v7, vcc_lo, v7
	v_cmp_gt_i64_e32 vcc, 0, v[4:5]
	v_not_b32_e32 v5, v5
	v_ashrrev_i32_e32 v5, 31, v5
	v_and_b32_e32 v7, exec_lo, v7
	v_xor_b32_e32 v53, vcc_hi, v5
	v_xor_b32_e32 v5, vcc_lo, v5
	v_and_b32_e32 v7, v7, v5
	v_lshlrev_b32_e32 v5, 29, v6
	v_cmp_gt_i64_e32 vcc, 0, v[4:5]
	v_not_b32_e32 v5, v5
	v_ashrrev_i32_e32 v5, 31, v5
	v_and_b32_e32 v52, v52, v53
	v_xor_b32_e32 v53, vcc_hi, v5
	v_xor_b32_e32 v5, vcc_lo, v5
	v_and_b32_e32 v7, v7, v5
	v_lshlrev_b32_e32 v5, 28, v6
	v_cmp_gt_i64_e32 vcc, 0, v[4:5]
	v_not_b32_e32 v5, v5
	v_ashrrev_i32_e32 v5, 31, v5
	v_and_b32_e32 v52, v52, v53
	;; [unrolled: 8-line block ×5, first 2 shown]
	v_xor_b32_e32 v53, vcc_hi, v5
	v_xor_b32_e32 v5, vcc_lo, v5
	v_and_b32_e32 v52, v52, v53
	v_and_b32_e32 v53, v7, v5
	v_lshlrev_b32_e32 v5, 24, v6
	v_cmp_gt_i64_e32 vcc, 0, v[4:5]
	v_not_b32_e32 v5, v5
	v_ashrrev_i32_e32 v5, 31, v5
	v_xor_b32_e32 v6, vcc_hi, v5
	v_xor_b32_e32 v5, vcc_lo, v5
	; wave barrier
	ds_read_b32 v50, v54 offset:64
	v_and_b32_e32 v7, v52, v6
	v_and_b32_e32 v6, v53, v5
	v_mbcnt_lo_u32_b32 v5, v6, 0
	v_mbcnt_hi_u32_b32 v52, v7, v5
	v_cmp_eq_u32_e32 vcc, 0, v52
	v_cmp_ne_u64_e64 s[0:1], 0, v[6:7]
	s_and_b64 s[2:3], s[0:1], vcc
	; wave barrier
	s_and_saveexec_b64 s[0:1], s[2:3]
	s_cbranch_execz .LBB1132_47
; %bb.46:
	v_bcnt_u32_b32 v5, v6, 0
	v_bcnt_u32_b32 v5, v7, v5
	s_waitcnt lgkmcnt(0)
	v_add_u32_e32 v5, v50, v5
	ds_write_b32 v54, v5 offset:64
.LBB1132_47:
	s_or_b64 exec, exec, s[0:1]
	v_lshrrev_b32_e32 v5, s16, v20
	v_and_b32_e32 v6, s28, v5
	v_lshl_add_u32 v5, v6, 4, v6
	v_add_lshl_u32 v56, v32, v5, 2
	v_and_b32_e32 v5, 1, v6
	v_add_co_u32_e32 v7, vcc, -1, v5
	v_addc_co_u32_e64 v32, s[0:1], 0, -1, vcc
	v_cmp_ne_u32_e32 vcc, 0, v5
	v_xor_b32_e32 v5, vcc_hi, v32
	v_and_b32_e32 v32, exec_hi, v5
	v_lshlrev_b32_e32 v5, 30, v6
	v_xor_b32_e32 v7, vcc_lo, v7
	v_cmp_gt_i64_e32 vcc, 0, v[4:5]
	v_not_b32_e32 v5, v5
	v_ashrrev_i32_e32 v5, 31, v5
	v_and_b32_e32 v7, exec_lo, v7
	v_xor_b32_e32 v55, vcc_hi, v5
	v_xor_b32_e32 v5, vcc_lo, v5
	v_and_b32_e32 v7, v7, v5
	v_lshlrev_b32_e32 v5, 29, v6
	v_cmp_gt_i64_e32 vcc, 0, v[4:5]
	v_not_b32_e32 v5, v5
	v_ashrrev_i32_e32 v5, 31, v5
	v_and_b32_e32 v32, v32, v55
	v_xor_b32_e32 v55, vcc_hi, v5
	v_xor_b32_e32 v5, vcc_lo, v5
	v_and_b32_e32 v7, v7, v5
	v_lshlrev_b32_e32 v5, 28, v6
	v_cmp_gt_i64_e32 vcc, 0, v[4:5]
	v_not_b32_e32 v5, v5
	v_ashrrev_i32_e32 v5, 31, v5
	v_and_b32_e32 v32, v32, v55
	;; [unrolled: 8-line block ×5, first 2 shown]
	v_xor_b32_e32 v55, vcc_hi, v5
	v_xor_b32_e32 v5, vcc_lo, v5
	v_and_b32_e32 v7, v7, v5
	v_lshlrev_b32_e32 v5, 24, v6
	v_cmp_gt_i64_e32 vcc, 0, v[4:5]
	v_not_b32_e32 v4, v5
	v_ashrrev_i32_e32 v4, 31, v4
	v_xor_b32_e32 v5, vcc_hi, v4
	v_xor_b32_e32 v4, vcc_lo, v4
	; wave barrier
	ds_read_b32 v53, v56 offset:64
	v_and_b32_e32 v32, v32, v55
	v_and_b32_e32 v4, v7, v4
	;; [unrolled: 1-line block ×3, first 2 shown]
	v_mbcnt_lo_u32_b32 v6, v4, 0
	v_mbcnt_hi_u32_b32 v55, v5, v6
	v_cmp_eq_u32_e32 vcc, 0, v55
	v_cmp_ne_u64_e64 s[0:1], 0, v[4:5]
	v_add_u32_e32 v57, 64, v9
	s_and_b64 s[2:3], s[0:1], vcc
	; wave barrier
	s_and_saveexec_b64 s[0:1], s[2:3]
	s_cbranch_execz .LBB1132_49
; %bb.48:
	v_bcnt_u32_b32 v4, v4, 0
	v_bcnt_u32_b32 v4, v5, v4
	s_waitcnt lgkmcnt(0)
	v_add_u32_e32 v4, v53, v4
	ds_write_b32 v56, v4 offset:64
.LBB1132_49:
	s_or_b64 exec, exec, s[0:1]
	; wave barrier
	s_waitcnt lgkmcnt(0)
	s_barrier
	ds_read2_b32 v[6:7], v9 offset0:16 offset1:17
	ds_read2_b32 v[4:5], v57 offset0:2 offset1:3
	ds_read_b32 v32, v57 offset:16
	v_cmp_lt_u32_e64 s[10:11], 31, v8
	s_waitcnt lgkmcnt(1)
	v_add3_u32 v58, v7, v6, v4
	s_waitcnt lgkmcnt(0)
	v_add3_u32 v32, v58, v5, v32
	v_and_b32_e32 v58, 15, v8
	v_cmp_eq_u32_e32 vcc, 0, v58
	v_mov_b32_dpp v59, v32 row_shr:1 row_mask:0xf bank_mask:0xf
	v_cndmask_b32_e64 v59, v59, 0, vcc
	v_add_u32_e32 v32, v59, v32
	v_cmp_lt_u32_e64 s[0:1], 1, v58
	v_cmp_lt_u32_e64 s[2:3], 3, v58
	v_mov_b32_dpp v59, v32 row_shr:2 row_mask:0xf bank_mask:0xf
	v_cndmask_b32_e64 v59, 0, v59, s[0:1]
	v_add_u32_e32 v32, v32, v59
	v_cmp_lt_u32_e64 s[8:9], 7, v58
	s_nop 0
	v_mov_b32_dpp v59, v32 row_shr:4 row_mask:0xf bank_mask:0xf
	v_cndmask_b32_e64 v59, 0, v59, s[2:3]
	v_add_u32_e32 v32, v32, v59
	s_nop 1
	v_mov_b32_dpp v59, v32 row_shr:8 row_mask:0xf bank_mask:0xf
	v_cndmask_b32_e64 v58, 0, v59, s[8:9]
	v_add_u32_e32 v32, v32, v58
	v_bfe_i32 v59, v8, 4, 1
	s_nop 0
	v_mov_b32_dpp v58, v32 row_bcast:15 row_mask:0xf bank_mask:0xf
	v_and_b32_e32 v58, v59, v58
	v_add_u32_e32 v32, v32, v58
	v_lshrrev_b32_e32 v59, 6, v2
	s_nop 0
	v_mov_b32_dpp v58, v32 row_bcast:31 row_mask:0xf bank_mask:0xf
	v_cndmask_b32_e64 v58, 0, v58, s[10:11]
	v_add_u32_e32 v58, v32, v58
	v_and_b32_e32 v32, 63, v2
	v_cmp_eq_u32_e64 s[10:11], 63, v32
	s_and_saveexec_b64 s[18:19], s[10:11]
	s_cbranch_execz .LBB1132_51
; %bb.50:
	v_lshlrev_b32_e32 v32, 2, v59
	ds_write_b32 v32, v58
.LBB1132_51:
	s_or_b64 exec, exec, s[18:19]
	v_cmp_gt_u32_e64 s[10:11], 16, v2
	v_lshlrev_b32_e32 v32, 2, v2
	s_waitcnt lgkmcnt(0)
	s_barrier
	s_and_saveexec_b64 s[18:19], s[10:11]
	s_cbranch_execz .LBB1132_53
; %bb.52:
	ds_read_b32 v60, v32
	s_waitcnt lgkmcnt(0)
	s_nop 0
	v_mov_b32_dpp v61, v60 row_shr:1 row_mask:0xf bank_mask:0xf
	v_cndmask_b32_e64 v61, v61, 0, vcc
	v_add_u32_e32 v60, v61, v60
	s_nop 1
	v_mov_b32_dpp v61, v60 row_shr:2 row_mask:0xf bank_mask:0xf
	v_cndmask_b32_e64 v61, 0, v61, s[0:1]
	v_add_u32_e32 v60, v60, v61
	s_nop 1
	v_mov_b32_dpp v61, v60 row_shr:4 row_mask:0xf bank_mask:0xf
	v_cndmask_b32_e64 v61, 0, v61, s[2:3]
	;; [unrolled: 4-line block ×3, first 2 shown]
	v_add_u32_e32 v60, v60, v61
	ds_write_b32 v32, v60
.LBB1132_53:
	s_or_b64 exec, exec, s[18:19]
	v_cmp_lt_u32_e32 vcc, 63, v2
	v_mov_b32_e32 v60, 0
	s_waitcnt lgkmcnt(0)
	s_barrier
	s_and_saveexec_b64 s[0:1], vcc
	s_cbranch_execz .LBB1132_55
; %bb.54:
	v_lshl_add_u32 v59, v59, 2, -4
	ds_read_b32 v60, v59
.LBB1132_55:
	s_or_b64 exec, exec, s[0:1]
	v_add_u32_e32 v59, -1, v8
	v_and_b32_e32 v61, 64, v8
	v_cmp_lt_i32_e32 vcc, v59, v61
	v_cndmask_b32_e32 v59, v59, v8, vcc
	s_waitcnt lgkmcnt(0)
	v_add_u32_e32 v58, v60, v58
	v_lshlrev_b32_e32 v59, 2, v59
	ds_bpermute_b32 v58, v59, v58
	v_cmp_eq_u32_e32 vcc, 0, v8
	s_movk_i32 s0, 0x100
	s_waitcnt lgkmcnt(0)
	v_cndmask_b32_e32 v8, v58, v60, vcc
	v_cmp_ne_u32_e32 vcc, 0, v2
	v_cndmask_b32_e32 v8, 0, v8, vcc
	v_add_u32_e32 v6, v8, v6
	v_add_u32_e32 v7, v6, v7
	;; [unrolled: 1-line block ×4, first 2 shown]
	ds_write2_b32 v9, v8, v6 offset0:16 offset1:17
	ds_write2_b32 v57, v7, v4 offset0:2 offset1:3
	ds_write_b32 v57, v5 offset:16
	s_waitcnt lgkmcnt(0)
	s_barrier
	ds_read_b32 v61, v25 offset:64
	ds_read_b32 v57, v26 offset:64
	;; [unrolled: 1-line block ×12, first 2 shown]
	v_cmp_gt_u32_e32 vcc, s0, v2
                                        ; implicit-def: $vgpr25
                                        ; implicit-def: $vgpr26
	s_and_saveexec_b64 s[2:3], vcc
	s_cbranch_execz .LBB1132_59
; %bb.56:
	v_mul_u32_u24_e32 v4, 17, v2
	v_lshlrev_b32_e32 v5, 2, v4
	ds_read_b32 v25, v5 offset:64
	s_movk_i32 s0, 0xff
	v_cmp_ne_u32_e64 s[0:1], s0, v2
	v_mov_b32_e32 v4, 0x3000
	s_and_saveexec_b64 s[8:9], s[0:1]
	s_cbranch_execz .LBB1132_58
; %bb.57:
	ds_read_b32 v4, v5 offset:132
.LBB1132_58:
	s_or_b64 exec, exec, s[8:9]
	s_waitcnt lgkmcnt(0)
	v_sub_u32_e32 v26, v4, v25
.LBB1132_59:
	s_or_b64 exec, exec, s[2:3]
	s_waitcnt lgkmcnt(0)
	s_barrier
	s_and_saveexec_b64 s[2:3], vcc
	s_cbranch_execz .LBB1132_69
; %bb.60:
	v_lshl_or_b32 v4, s6, 8, v2
	v_mov_b32_e32 v5, 0
	v_lshlrev_b64 v[6:7], 2, v[4:5]
	v_mov_b32_e32 v51, s25
	v_add_co_u32_e64 v6, s[0:1], s24, v6
	v_addc_co_u32_e64 v7, s[0:1], v51, v7, s[0:1]
	v_or_b32_e32 v4, 2.0, v26
	s_mov_b64 s[8:9], 0
	s_brev_b32 s29, 1
	s_mov_b32 s30, s6
	v_mov_b32_e32 v54, 0
	global_store_dword v[6:7], v4, off
                                        ; implicit-def: $sgpr0_sgpr1
	s_branch .LBB1132_62
.LBB1132_61:                            ;   in Loop: Header=BB1132_62 Depth=1
	s_or_b64 exec, exec, s[10:11]
	v_and_b32_e32 v8, 0x3fffffff, v56
	v_add_u32_e32 v54, v8, v54
	v_cmp_eq_u32_e64 s[0:1], s29, v4
	s_and_b64 s[10:11], exec, s[0:1]
	s_or_b64 s[8:9], s[10:11], s[8:9]
	s_andn2_b64 exec, exec, s[8:9]
	s_cbranch_execz .LBB1132_68
.LBB1132_62:                            ; =>This Loop Header: Depth=1
                                        ;     Child Loop BB1132_65 Depth 2
	s_or_b64 s[0:1], s[0:1], exec
	s_cmp_eq_u32 s30, 0
	s_cbranch_scc1 .LBB1132_67
; %bb.63:                               ;   in Loop: Header=BB1132_62 Depth=1
	s_add_i32 s30, s30, -1
	v_lshl_or_b32 v4, s30, 8, v2
	v_lshlrev_b64 v[8:9], 2, v[4:5]
	v_add_co_u32_e64 v8, s[0:1], s24, v8
	v_addc_co_u32_e64 v9, s[0:1], v51, v9, s[0:1]
	global_load_dword v56, v[8:9], off glc
	s_waitcnt vmcnt(0)
	v_and_b32_e32 v4, -2.0, v56
	v_cmp_eq_u32_e64 s[0:1], 0, v4
	s_and_saveexec_b64 s[10:11], s[0:1]
	s_cbranch_execz .LBB1132_61
; %bb.64:                               ;   in Loop: Header=BB1132_62 Depth=1
	s_mov_b64 s[18:19], 0
.LBB1132_65:                            ;   Parent Loop BB1132_62 Depth=1
                                        ; =>  This Inner Loop Header: Depth=2
	global_load_dword v56, v[8:9], off glc
	s_waitcnt vmcnt(0)
	v_and_b32_e32 v4, -2.0, v56
	v_cmp_ne_u32_e64 s[0:1], 0, v4
	s_or_b64 s[18:19], s[0:1], s[18:19]
	s_andn2_b64 exec, exec, s[18:19]
	s_cbranch_execnz .LBB1132_65
; %bb.66:                               ;   in Loop: Header=BB1132_62 Depth=1
	s_or_b64 exec, exec, s[18:19]
	s_branch .LBB1132_61
.LBB1132_67:                            ;   in Loop: Header=BB1132_62 Depth=1
                                        ; implicit-def: $sgpr30
	s_and_b64 s[10:11], exec, s[0:1]
	s_or_b64 s[8:9], s[10:11], s[8:9]
	s_andn2_b64 exec, exec, s[8:9]
	s_cbranch_execnz .LBB1132_62
.LBB1132_68:
	s_or_b64 exec, exec, s[8:9]
	v_add_u32_e32 v4, v54, v26
	v_or_b32_e32 v4, 0x80000000, v4
	global_store_dword v[6:7], v4, off
	global_load_dword v4, v32, s[12:13]
	v_sub_u32_e32 v5, v54, v25
	s_waitcnt vmcnt(0)
	v_add_u32_e32 v4, v5, v4
	ds_write_b32 v32, v4
.LBB1132_69:
	s_or_b64 exec, exec, s[2:3]
	v_add_u32_e32 v6, v61, v21
	s_movk_i32 s8, 0x400
	v_add_u32_e32 v7, 0x400, v32
	v_add3_u32 v8, v55, v48, v53
	v_add3_u32 v9, v52, v45, v50
	;; [unrolled: 1-line block ×11, first 2 shown]
	s_mov_b32 s9, 0
	v_mov_b32_e32 v5, 0
	s_movk_i32 s10, 0x800
	s_movk_i32 s11, 0xc00
	s_mov_b32 s18, 0
	s_branch .LBB1132_71
.LBB1132_70:                            ;   in Loop: Header=BB1132_71 Depth=1
	s_or_b64 exec, exec, s[2:3]
	s_addk_i32 s18, 0x1000
	s_addk_i32 s9, 0xf000
	s_cmpk_eq_i32 s9, 0xd000
	s_barrier
	s_cbranch_scc1 .LBB1132_80
.LBB1132_71:                            ; =>This Inner Loop Header: Depth=1
	v_add_u32_e32 v4, s9, v6
	v_min_u32_e32 v4, 0x1000, v4
	v_lshlrev_b32_e32 v4, 2, v4
	ds_write_b32 v4, v10 offset:1024
	v_add_u32_e32 v4, s9, v22
	v_min_u32_e32 v4, 0x1000, v4
	v_lshlrev_b32_e32 v4, 2, v4
	ds_write_b32 v4, v11 offset:1024
	;; [unrolled: 4-line block ×11, first 2 shown]
	v_add_u32_e32 v4, s9, v8
	v_min_u32_e32 v4, 0x1000, v4
	v_add_u32_e32 v23, s18, v2
	v_lshlrev_b32_e32 v4, 2, v4
	v_cmp_gt_u32_e64 s[0:1], s7, v23
	ds_write_b32 v4, v20 offset:1024
	s_waitcnt lgkmcnt(0)
	s_barrier
	s_and_saveexec_b64 s[2:3], s[0:1]
	s_cbranch_execz .LBB1132_73
; %bb.72:                               ;   in Loop: Header=BB1132_71 Depth=1
	ds_read_b32 v27, v32 offset:1024
	v_mov_b32_e32 v30, s23
	s_waitcnt lgkmcnt(0)
	v_lshrrev_b32_e32 v4, s16, v27
	v_and_b32_e32 v4, s28, v4
	v_lshlrev_b32_e32 v4, 2, v4
	ds_read_b32 v4, v4
	s_waitcnt lgkmcnt(0)
	v_add_u32_e32 v4, v23, v4
	v_lshlrev_b64 v[38:39], 2, v[4:5]
	v_add_co_u32_e64 v38, s[0:1], s22, v38
	v_addc_co_u32_e64 v39, s[0:1], v30, v39, s[0:1]
	global_store_dword v[38:39], v27, off
.LBB1132_73:                            ;   in Loop: Header=BB1132_71 Depth=1
	s_or_b64 exec, exec, s[2:3]
	v_add_u32_e32 v4, 0x400, v23
	v_cmp_gt_u32_e64 s[0:1], s7, v4
	s_and_saveexec_b64 s[2:3], s[0:1]
	s_cbranch_execz .LBB1132_75
; %bb.74:                               ;   in Loop: Header=BB1132_71 Depth=1
	ds_read_b32 v27, v7 offset:4096
	v_mov_b32_e32 v30, s23
	s_waitcnt lgkmcnt(0)
	v_lshrrev_b32_e32 v4, s16, v27
	v_and_b32_e32 v4, s28, v4
	v_lshlrev_b32_e32 v4, 2, v4
	ds_read_b32 v4, v4
	s_waitcnt lgkmcnt(0)
	v_add3_u32 v4, v23, v4, s8
	v_lshlrev_b64 v[38:39], 2, v[4:5]
	v_add_co_u32_e64 v38, s[0:1], s22, v38
	v_addc_co_u32_e64 v39, s[0:1], v30, v39, s[0:1]
	global_store_dword v[38:39], v27, off
.LBB1132_75:                            ;   in Loop: Header=BB1132_71 Depth=1
	s_or_b64 exec, exec, s[2:3]
	v_add_u32_e32 v4, 0x800, v23
	v_cmp_gt_u32_e64 s[0:1], s7, v4
	s_and_saveexec_b64 s[2:3], s[0:1]
	s_cbranch_execz .LBB1132_77
; %bb.76:                               ;   in Loop: Header=BB1132_71 Depth=1
	ds_read_b32 v27, v7 offset:8192
	v_mov_b32_e32 v30, s23
	s_waitcnt lgkmcnt(0)
	v_lshrrev_b32_e32 v4, s16, v27
	v_and_b32_e32 v4, s28, v4
	v_lshlrev_b32_e32 v4, 2, v4
	ds_read_b32 v4, v4
	s_waitcnt lgkmcnt(0)
	v_add3_u32 v4, v23, v4, s10
	v_lshlrev_b64 v[38:39], 2, v[4:5]
	v_add_co_u32_e64 v38, s[0:1], s22, v38
	v_addc_co_u32_e64 v39, s[0:1], v30, v39, s[0:1]
	global_store_dword v[38:39], v27, off
.LBB1132_77:                            ;   in Loop: Header=BB1132_71 Depth=1
	s_or_b64 exec, exec, s[2:3]
	v_add_u32_e32 v4, 0xc00, v23
	v_cmp_gt_u32_e64 s[0:1], s7, v4
	s_and_saveexec_b64 s[2:3], s[0:1]
	s_cbranch_execz .LBB1132_70
; %bb.78:                               ;   in Loop: Header=BB1132_71 Depth=1
	ds_read_b32 v27, v7 offset:12288
	v_mov_b32_e32 v30, s23
	s_waitcnt lgkmcnt(0)
	v_lshrrev_b32_e32 v4, s16, v27
	v_and_b32_e32 v4, s28, v4
	v_lshlrev_b32_e32 v4, 2, v4
	ds_read_b32 v4, v4
	s_waitcnt lgkmcnt(0)
	v_add3_u32 v4, v23, v4, s11
	v_lshlrev_b64 v[38:39], 2, v[4:5]
	v_add_co_u32_e64 v38, s[0:1], s22, v38
	v_addc_co_u32_e64 v39, s[0:1], v30, v39, s[0:1]
	global_store_dword v[38:39], v27, off
	s_branch .LBB1132_70
.LBB1132_79:
	s_mov_b64 s[10:11], 0
                                        ; implicit-def: $vgpr4
                                        ; implicit-def: $vgpr2
	s_cbranch_execnz .LBB1132_83
	s_branch .LBB1132_132
.LBB1132_80:
	s_add_i32 s27, s27, -1
	s_cmp_eq_u32 s27, s6
	s_cselect_b64 s[0:1], -1, 0
	s_and_b64 s[2:3], vcc, s[0:1]
	s_mov_b64 s[0:1], 0
	s_mov_b64 s[10:11], 0
                                        ; implicit-def: $vgpr4
	s_and_saveexec_b64 s[8:9], s[2:3]
	s_xor_b64 s[2:3], exec, s[8:9]
; %bb.81:
	s_mov_b64 s[10:11], exec
	v_add_u32_e32 v4, v25, v26
; %bb.82:
	s_or_b64 exec, exec, s[2:3]
	s_and_b64 vcc, exec, s[0:1]
	s_cbranch_vccz .LBB1132_132
.LBB1132_83:
	s_mov_b32 s27, 0
	v_mbcnt_hi_u32_b32 v6, -1, v1
	s_lshl_b64 s[0:1], s[26:27], 2
	v_and_b32_e32 v1, 63, v6
	s_add_u32 s0, s20, s0
	v_lshlrev_b32_e32 v1, 2, v1
	v_add_co_u32_e32 v1, vcc, s0, v1
	s_load_dword s7, s[4:5], 0x58
	s_load_dword s0, s[4:5], 0x64
	v_and_b32_e32 v2, 0x3ff, v0
	s_addc_u32 s1, s21, s1
	v_and_b32_e32 v3, 0x3c0, v2
	v_mul_u32_u24_e32 v3, 12, v3
	v_mov_b32_e32 v5, s1
	s_add_u32 s1, s4, 0x58
	v_addc_co_u32_e32 v5, vcc, 0, v5, vcc
	v_lshlrev_b32_e32 v3, 2, v3
	s_addc_u32 s2, s5, 0
	s_waitcnt lgkmcnt(0)
	s_lshr_b32 s3, s0, 16
	v_add_co_u32_e32 v20, vcc, v1, v3
	s_cmp_lt_u32 s6, s7
	v_addc_co_u32_e32 v21, vcc, 0, v5, vcc
	s_cselect_b32 s0, 12, 18
	global_load_dword v3, v[20:21], off
	s_add_u32 s0, s1, s0
	v_mov_b32_e32 v4, 0
	s_addc_u32 s1, s2, 0
	global_load_ushort v1, v4, s[0:1]
	v_mul_u32_u24_e32 v7, 5, v2
	v_lshlrev_b32_e32 v7, 2, v7
	ds_write2_b32 v7, v4, v4 offset0:16 offset1:17
	ds_write2_b32 v7, v4, v4 offset0:18 offset1:19
	ds_write_b32 v7, v4 offset:80
	global_load_dword v8, v[20:21], off offset:256
	global_load_dword v9, v[20:21], off offset:512
	;; [unrolled: 1-line block ×11, first 2 shown]
	v_bfe_u32 v5, v0, 10, 10
	v_bfe_u32 v0, v0, 20, 10
	s_lshl_b32 s0, -1, s17
	v_mad_u32_u24 v0, v0, s3, v5
	s_not_b32 s17, s0
	s_waitcnt lgkmcnt(0)
	s_barrier
	s_waitcnt lgkmcnt(0)
	; wave barrier
	s_waitcnt vmcnt(12)
	v_lshrrev_b32_e32 v5, s16, v3
	v_and_b32_e32 v19, s17, v5
	v_and_b32_e32 v21, 1, v19
	v_lshlrev_b32_e32 v5, 30, v19
	s_waitcnt vmcnt(11)
	v_mad_u64_u32 v[0:1], s[0:1], v0, v1, v[2:3]
	v_add_co_u32_e32 v1, vcc, -1, v21
	v_addc_co_u32_e64 v22, s[0:1], 0, -1, vcc
	v_cmp_ne_u32_e32 vcc, 0, v21
	v_cmp_gt_i64_e64 s[0:1], 0, v[4:5]
	v_not_b32_e32 v21, v5
	v_lshlrev_b32_e32 v5, 29, v19
	v_lshl_add_u32 v20, v19, 4, v19
	v_lshrrev_b32_e32 v28, 6, v0
	v_xor_b32_e32 v0, vcc_hi, v22
	v_xor_b32_e32 v1, vcc_lo, v1
	v_ashrrev_i32_e32 v21, 31, v21
	v_cmp_gt_i64_e32 vcc, 0, v[4:5]
	v_not_b32_e32 v23, v5
	v_lshlrev_b32_e32 v5, 28, v19
	v_add_lshl_u32 v22, v28, v20, 2
	v_and_b32_e32 v0, exec_hi, v0
	v_and_b32_e32 v1, exec_lo, v1
	v_xor_b32_e32 v20, s1, v21
	v_xor_b32_e32 v21, s0, v21
	v_ashrrev_i32_e32 v23, 31, v23
	v_cmp_gt_i64_e64 s[0:1], 0, v[4:5]
	v_not_b32_e32 v5, v5
	v_and_b32_e32 v0, v0, v20
	v_and_b32_e32 v1, v1, v21
	v_xor_b32_e32 v20, vcc_hi, v23
	v_xor_b32_e32 v21, vcc_lo, v23
	v_ashrrev_i32_e32 v5, 31, v5
	v_and_b32_e32 v0, v0, v20
	v_and_b32_e32 v1, v1, v21
	v_xor_b32_e32 v20, s1, v5
	v_xor_b32_e32 v5, s0, v5
	v_and_b32_e32 v1, v1, v5
	v_lshlrev_b32_e32 v5, 27, v19
	v_cmp_gt_i64_e32 vcc, 0, v[4:5]
	v_not_b32_e32 v5, v5
	v_ashrrev_i32_e32 v5, 31, v5
	v_and_b32_e32 v0, v0, v20
	v_xor_b32_e32 v20, vcc_hi, v5
	v_xor_b32_e32 v5, vcc_lo, v5
	v_and_b32_e32 v1, v1, v5
	v_lshlrev_b32_e32 v5, 26, v19
	v_cmp_gt_i64_e32 vcc, 0, v[4:5]
	v_not_b32_e32 v5, v5
	v_ashrrev_i32_e32 v5, 31, v5
	v_and_b32_e32 v0, v0, v20
	v_xor_b32_e32 v20, vcc_hi, v5
	v_xor_b32_e32 v5, vcc_lo, v5
	;; [unrolled: 8-line block ×3, first 2 shown]
	v_and_b32_e32 v0, v0, v20
	v_and_b32_e32 v20, v1, v5
	v_lshlrev_b32_e32 v5, 24, v19
	v_not_b32_e32 v1, v5
	v_cmp_gt_i64_e32 vcc, 0, v[4:5]
	v_ashrrev_i32_e32 v1, 31, v1
	v_xor_b32_e32 v5, vcc_hi, v1
	v_xor_b32_e32 v19, vcc_lo, v1
	v_and_b32_e32 v1, v0, v5
	v_and_b32_e32 v0, v20, v19
	v_mbcnt_lo_u32_b32 v5, v0, 0
	v_mbcnt_hi_u32_b32 v19, v1, v5
	v_cmp_eq_u32_e32 vcc, 0, v19
	v_cmp_ne_u64_e64 s[0:1], 0, v[0:1]
	s_and_b64 s[2:3], s[0:1], vcc
	s_and_saveexec_b64 s[0:1], s[2:3]
	s_cbranch_execz .LBB1132_85
; %bb.84:
	v_bcnt_u32_b32 v0, v0, 0
	v_bcnt_u32_b32 v0, v1, v0
	ds_write_b32 v22, v0 offset:64
.LBB1132_85:
	s_or_b64 exec, exec, s[0:1]
	s_waitcnt vmcnt(10)
	v_lshrrev_b32_e32 v0, s16, v8
	v_and_b32_e32 v0, s17, v0
	v_lshl_add_u32 v1, v0, 4, v0
	v_add_lshl_u32 v24, v28, v1, 2
	v_and_b32_e32 v1, 1, v0
	v_add_co_u32_e32 v5, vcc, -1, v1
	v_addc_co_u32_e64 v21, s[0:1], 0, -1, vcc
	v_cmp_ne_u32_e32 vcc, 0, v1
	v_xor_b32_e32 v5, vcc_lo, v5
	v_xor_b32_e32 v1, vcc_hi, v21
	v_and_b32_e32 v21, exec_lo, v5
	v_lshlrev_b32_e32 v5, 30, v0
	v_cmp_gt_i64_e32 vcc, 0, v[4:5]
	v_not_b32_e32 v5, v5
	v_ashrrev_i32_e32 v5, 31, v5
	v_xor_b32_e32 v23, vcc_hi, v5
	v_xor_b32_e32 v5, vcc_lo, v5
	v_and_b32_e32 v21, v21, v5
	v_lshlrev_b32_e32 v5, 29, v0
	v_cmp_gt_i64_e32 vcc, 0, v[4:5]
	v_not_b32_e32 v5, v5
	v_and_b32_e32 v1, exec_hi, v1
	v_ashrrev_i32_e32 v5, 31, v5
	v_and_b32_e32 v1, v1, v23
	v_xor_b32_e32 v23, vcc_hi, v5
	v_xor_b32_e32 v5, vcc_lo, v5
	v_and_b32_e32 v21, v21, v5
	v_lshlrev_b32_e32 v5, 28, v0
	v_cmp_gt_i64_e32 vcc, 0, v[4:5]
	v_not_b32_e32 v5, v5
	v_ashrrev_i32_e32 v5, 31, v5
	v_and_b32_e32 v1, v1, v23
	v_xor_b32_e32 v23, vcc_hi, v5
	v_xor_b32_e32 v5, vcc_lo, v5
	v_and_b32_e32 v21, v21, v5
	v_lshlrev_b32_e32 v5, 27, v0
	v_cmp_gt_i64_e32 vcc, 0, v[4:5]
	v_not_b32_e32 v5, v5
	;; [unrolled: 8-line block ×4, first 2 shown]
	v_ashrrev_i32_e32 v5, 31, v5
	v_and_b32_e32 v1, v1, v23
	v_xor_b32_e32 v23, vcc_hi, v5
	v_xor_b32_e32 v5, vcc_lo, v5
	v_and_b32_e32 v21, v21, v5
	v_lshlrev_b32_e32 v5, 24, v0
	v_not_b32_e32 v0, v5
	v_cmp_gt_i64_e32 vcc, 0, v[4:5]
	v_ashrrev_i32_e32 v0, 31, v0
	v_xor_b32_e32 v4, vcc_hi, v0
	v_xor_b32_e32 v0, vcc_lo, v0
	; wave barrier
	ds_read_b32 v20, v24 offset:64
	v_and_b32_e32 v1, v1, v23
	v_and_b32_e32 v0, v21, v0
	;; [unrolled: 1-line block ×3, first 2 shown]
	v_mbcnt_lo_u32_b32 v4, v0, 0
	v_mbcnt_hi_u32_b32 v21, v1, v4
	v_cmp_eq_u32_e32 vcc, 0, v21
	v_cmp_ne_u64_e64 s[0:1], 0, v[0:1]
	s_and_b64 s[2:3], s[0:1], vcc
	; wave barrier
	s_and_saveexec_b64 s[0:1], s[2:3]
	s_cbranch_execz .LBB1132_87
; %bb.86:
	v_bcnt_u32_b32 v0, v0, 0
	v_bcnt_u32_b32 v0, v1, v0
	s_waitcnt lgkmcnt(0)
	v_add_u32_e32 v0, v20, v0
	ds_write_b32 v24, v0 offset:64
.LBB1132_87:
	s_or_b64 exec, exec, s[0:1]
	s_waitcnt vmcnt(9)
	v_lshrrev_b32_e32 v0, s16, v9
	v_and_b32_e32 v4, s17, v0
	v_and_b32_e32 v1, 1, v4
	v_add_co_u32_e32 v5, vcc, -1, v1
	v_addc_co_u32_e64 v25, s[0:1], 0, -1, vcc
	v_cmp_ne_u32_e32 vcc, 0, v1
	v_lshl_add_u32 v0, v4, 4, v4
	v_xor_b32_e32 v1, vcc_hi, v25
	v_add_lshl_u32 v27, v28, v0, 2
	v_mov_b32_e32 v0, 0
	v_and_b32_e32 v25, exec_hi, v1
	v_lshlrev_b32_e32 v1, 30, v4
	v_xor_b32_e32 v5, vcc_lo, v5
	v_cmp_gt_i64_e32 vcc, 0, v[0:1]
	v_not_b32_e32 v1, v1
	v_ashrrev_i32_e32 v1, 31, v1
	v_and_b32_e32 v5, exec_lo, v5
	v_xor_b32_e32 v26, vcc_hi, v1
	v_xor_b32_e32 v1, vcc_lo, v1
	v_and_b32_e32 v5, v5, v1
	v_lshlrev_b32_e32 v1, 29, v4
	v_cmp_gt_i64_e32 vcc, 0, v[0:1]
	v_not_b32_e32 v1, v1
	v_ashrrev_i32_e32 v1, 31, v1
	v_and_b32_e32 v25, v25, v26
	v_xor_b32_e32 v26, vcc_hi, v1
	v_xor_b32_e32 v1, vcc_lo, v1
	v_and_b32_e32 v5, v5, v1
	v_lshlrev_b32_e32 v1, 28, v4
	v_cmp_gt_i64_e32 vcc, 0, v[0:1]
	v_not_b32_e32 v1, v1
	v_ashrrev_i32_e32 v1, 31, v1
	v_and_b32_e32 v25, v25, v26
	;; [unrolled: 8-line block ×5, first 2 shown]
	v_xor_b32_e32 v26, vcc_hi, v1
	v_xor_b32_e32 v1, vcc_lo, v1
	v_and_b32_e32 v25, v25, v26
	v_and_b32_e32 v26, v5, v1
	v_lshlrev_b32_e32 v1, 24, v4
	v_cmp_gt_i64_e32 vcc, 0, v[0:1]
	v_not_b32_e32 v1, v1
	v_ashrrev_i32_e32 v1, 31, v1
	v_xor_b32_e32 v4, vcc_hi, v1
	v_xor_b32_e32 v1, vcc_lo, v1
	; wave barrier
	ds_read_b32 v23, v27 offset:64
	v_and_b32_e32 v5, v25, v4
	v_and_b32_e32 v4, v26, v1
	v_mbcnt_lo_u32_b32 v1, v4, 0
	v_mbcnt_hi_u32_b32 v25, v5, v1
	v_cmp_eq_u32_e32 vcc, 0, v25
	v_cmp_ne_u64_e64 s[0:1], 0, v[4:5]
	s_and_b64 s[2:3], s[0:1], vcc
	; wave barrier
	s_and_saveexec_b64 s[0:1], s[2:3]
	s_cbranch_execz .LBB1132_89
; %bb.88:
	v_bcnt_u32_b32 v1, v4, 0
	v_bcnt_u32_b32 v1, v5, v1
	s_waitcnt lgkmcnt(0)
	v_add_u32_e32 v1, v23, v1
	ds_write_b32 v27, v1 offset:64
.LBB1132_89:
	s_or_b64 exec, exec, s[0:1]
	s_waitcnt vmcnt(8)
	v_lshrrev_b32_e32 v1, s16, v10
	v_and_b32_e32 v4, s17, v1
	v_lshl_add_u32 v1, v4, 4, v4
	v_add_lshl_u32 v31, v28, v1, 2
	v_and_b32_e32 v1, 1, v4
	v_add_co_u32_e32 v5, vcc, -1, v1
	v_addc_co_u32_e64 v29, s[0:1], 0, -1, vcc
	v_cmp_ne_u32_e32 vcc, 0, v1
	v_xor_b32_e32 v1, vcc_hi, v29
	v_and_b32_e32 v29, exec_hi, v1
	v_lshlrev_b32_e32 v1, 30, v4
	v_xor_b32_e32 v5, vcc_lo, v5
	v_cmp_gt_i64_e32 vcc, 0, v[0:1]
	v_not_b32_e32 v1, v1
	v_ashrrev_i32_e32 v1, 31, v1
	v_and_b32_e32 v5, exec_lo, v5
	v_xor_b32_e32 v30, vcc_hi, v1
	v_xor_b32_e32 v1, vcc_lo, v1
	v_and_b32_e32 v5, v5, v1
	v_lshlrev_b32_e32 v1, 29, v4
	v_cmp_gt_i64_e32 vcc, 0, v[0:1]
	v_not_b32_e32 v1, v1
	v_ashrrev_i32_e32 v1, 31, v1
	v_and_b32_e32 v29, v29, v30
	v_xor_b32_e32 v30, vcc_hi, v1
	v_xor_b32_e32 v1, vcc_lo, v1
	v_and_b32_e32 v5, v5, v1
	v_lshlrev_b32_e32 v1, 28, v4
	v_cmp_gt_i64_e32 vcc, 0, v[0:1]
	v_not_b32_e32 v1, v1
	v_ashrrev_i32_e32 v1, 31, v1
	v_and_b32_e32 v29, v29, v30
	;; [unrolled: 8-line block ×5, first 2 shown]
	v_xor_b32_e32 v30, vcc_hi, v1
	v_xor_b32_e32 v1, vcc_lo, v1
	v_and_b32_e32 v5, v5, v1
	v_lshlrev_b32_e32 v1, 24, v4
	v_cmp_gt_i64_e32 vcc, 0, v[0:1]
	v_not_b32_e32 v0, v1
	v_ashrrev_i32_e32 v0, 31, v0
	v_xor_b32_e32 v1, vcc_hi, v0
	v_xor_b32_e32 v0, vcc_lo, v0
	; wave barrier
	ds_read_b32 v26, v31 offset:64
	v_and_b32_e32 v29, v29, v30
	v_and_b32_e32 v0, v5, v0
	;; [unrolled: 1-line block ×3, first 2 shown]
	v_mbcnt_lo_u32_b32 v4, v0, 0
	v_mbcnt_hi_u32_b32 v29, v1, v4
	v_cmp_eq_u32_e32 vcc, 0, v29
	v_cmp_ne_u64_e64 s[0:1], 0, v[0:1]
	s_and_b64 s[2:3], s[0:1], vcc
	; wave barrier
	s_and_saveexec_b64 s[0:1], s[2:3]
	s_cbranch_execz .LBB1132_91
; %bb.90:
	v_bcnt_u32_b32 v0, v0, 0
	v_bcnt_u32_b32 v0, v1, v0
	s_waitcnt lgkmcnt(0)
	v_add_u32_e32 v0, v26, v0
	ds_write_b32 v31, v0 offset:64
.LBB1132_91:
	s_or_b64 exec, exec, s[0:1]
	s_waitcnt vmcnt(7)
	v_lshrrev_b32_e32 v0, s16, v11
	v_and_b32_e32 v4, s17, v0
	v_and_b32_e32 v1, 1, v4
	v_add_co_u32_e32 v5, vcc, -1, v1
	v_addc_co_u32_e64 v32, s[0:1], 0, -1, vcc
	v_cmp_ne_u32_e32 vcc, 0, v1
	v_lshl_add_u32 v0, v4, 4, v4
	v_xor_b32_e32 v1, vcc_hi, v32
	v_add_lshl_u32 v34, v28, v0, 2
	v_mov_b32_e32 v0, 0
	v_and_b32_e32 v32, exec_hi, v1
	v_lshlrev_b32_e32 v1, 30, v4
	v_xor_b32_e32 v5, vcc_lo, v5
	v_cmp_gt_i64_e32 vcc, 0, v[0:1]
	v_not_b32_e32 v1, v1
	v_ashrrev_i32_e32 v1, 31, v1
	v_and_b32_e32 v5, exec_lo, v5
	v_xor_b32_e32 v33, vcc_hi, v1
	v_xor_b32_e32 v1, vcc_lo, v1
	v_and_b32_e32 v5, v5, v1
	v_lshlrev_b32_e32 v1, 29, v4
	v_cmp_gt_i64_e32 vcc, 0, v[0:1]
	v_not_b32_e32 v1, v1
	v_ashrrev_i32_e32 v1, 31, v1
	v_and_b32_e32 v32, v32, v33
	v_xor_b32_e32 v33, vcc_hi, v1
	v_xor_b32_e32 v1, vcc_lo, v1
	v_and_b32_e32 v5, v5, v1
	v_lshlrev_b32_e32 v1, 28, v4
	v_cmp_gt_i64_e32 vcc, 0, v[0:1]
	v_not_b32_e32 v1, v1
	v_ashrrev_i32_e32 v1, 31, v1
	v_and_b32_e32 v32, v32, v33
	;; [unrolled: 8-line block ×5, first 2 shown]
	v_xor_b32_e32 v33, vcc_hi, v1
	v_xor_b32_e32 v1, vcc_lo, v1
	v_and_b32_e32 v32, v32, v33
	v_and_b32_e32 v33, v5, v1
	v_lshlrev_b32_e32 v1, 24, v4
	v_cmp_gt_i64_e32 vcc, 0, v[0:1]
	v_not_b32_e32 v1, v1
	v_ashrrev_i32_e32 v1, 31, v1
	v_xor_b32_e32 v4, vcc_hi, v1
	v_xor_b32_e32 v1, vcc_lo, v1
	; wave barrier
	ds_read_b32 v30, v34 offset:64
	v_and_b32_e32 v5, v32, v4
	v_and_b32_e32 v4, v33, v1
	v_mbcnt_lo_u32_b32 v1, v4, 0
	v_mbcnt_hi_u32_b32 v32, v5, v1
	v_cmp_eq_u32_e32 vcc, 0, v32
	v_cmp_ne_u64_e64 s[0:1], 0, v[4:5]
	s_and_b64 s[2:3], s[0:1], vcc
	; wave barrier
	s_and_saveexec_b64 s[0:1], s[2:3]
	s_cbranch_execz .LBB1132_93
; %bb.92:
	v_bcnt_u32_b32 v1, v4, 0
	v_bcnt_u32_b32 v1, v5, v1
	s_waitcnt lgkmcnt(0)
	v_add_u32_e32 v1, v30, v1
	ds_write_b32 v34, v1 offset:64
.LBB1132_93:
	s_or_b64 exec, exec, s[0:1]
	s_waitcnt vmcnt(6)
	v_lshrrev_b32_e32 v1, s16, v12
	v_and_b32_e32 v4, s17, v1
	v_lshl_add_u32 v1, v4, 4, v4
	v_add_lshl_u32 v37, v28, v1, 2
	v_and_b32_e32 v1, 1, v4
	v_add_co_u32_e32 v5, vcc, -1, v1
	v_addc_co_u32_e64 v35, s[0:1], 0, -1, vcc
	v_cmp_ne_u32_e32 vcc, 0, v1
	v_xor_b32_e32 v1, vcc_hi, v35
	v_and_b32_e32 v35, exec_hi, v1
	v_lshlrev_b32_e32 v1, 30, v4
	v_xor_b32_e32 v5, vcc_lo, v5
	v_cmp_gt_i64_e32 vcc, 0, v[0:1]
	v_not_b32_e32 v1, v1
	v_ashrrev_i32_e32 v1, 31, v1
	v_and_b32_e32 v5, exec_lo, v5
	v_xor_b32_e32 v36, vcc_hi, v1
	v_xor_b32_e32 v1, vcc_lo, v1
	v_and_b32_e32 v5, v5, v1
	v_lshlrev_b32_e32 v1, 29, v4
	v_cmp_gt_i64_e32 vcc, 0, v[0:1]
	v_not_b32_e32 v1, v1
	v_ashrrev_i32_e32 v1, 31, v1
	v_and_b32_e32 v35, v35, v36
	v_xor_b32_e32 v36, vcc_hi, v1
	v_xor_b32_e32 v1, vcc_lo, v1
	v_and_b32_e32 v5, v5, v1
	v_lshlrev_b32_e32 v1, 28, v4
	v_cmp_gt_i64_e32 vcc, 0, v[0:1]
	v_not_b32_e32 v1, v1
	v_ashrrev_i32_e32 v1, 31, v1
	v_and_b32_e32 v35, v35, v36
	;; [unrolled: 8-line block ×5, first 2 shown]
	v_xor_b32_e32 v36, vcc_hi, v1
	v_xor_b32_e32 v1, vcc_lo, v1
	v_and_b32_e32 v5, v5, v1
	v_lshlrev_b32_e32 v1, 24, v4
	v_cmp_gt_i64_e32 vcc, 0, v[0:1]
	v_not_b32_e32 v0, v1
	v_ashrrev_i32_e32 v0, 31, v0
	v_xor_b32_e32 v1, vcc_hi, v0
	v_xor_b32_e32 v0, vcc_lo, v0
	; wave barrier
	ds_read_b32 v33, v37 offset:64
	v_and_b32_e32 v35, v35, v36
	v_and_b32_e32 v0, v5, v0
	;; [unrolled: 1-line block ×3, first 2 shown]
	v_mbcnt_lo_u32_b32 v4, v0, 0
	v_mbcnt_hi_u32_b32 v35, v1, v4
	v_cmp_eq_u32_e32 vcc, 0, v35
	v_cmp_ne_u64_e64 s[0:1], 0, v[0:1]
	s_and_b64 s[2:3], s[0:1], vcc
	; wave barrier
	s_and_saveexec_b64 s[0:1], s[2:3]
	s_cbranch_execz .LBB1132_95
; %bb.94:
	v_bcnt_u32_b32 v0, v0, 0
	v_bcnt_u32_b32 v0, v1, v0
	s_waitcnt lgkmcnt(0)
	v_add_u32_e32 v0, v33, v0
	ds_write_b32 v37, v0 offset:64
.LBB1132_95:
	s_or_b64 exec, exec, s[0:1]
	s_waitcnt vmcnt(5)
	v_lshrrev_b32_e32 v0, s16, v13
	v_and_b32_e32 v4, s17, v0
	v_and_b32_e32 v1, 1, v4
	v_add_co_u32_e32 v5, vcc, -1, v1
	v_addc_co_u32_e64 v38, s[0:1], 0, -1, vcc
	v_cmp_ne_u32_e32 vcc, 0, v1
	v_lshl_add_u32 v0, v4, 4, v4
	v_xor_b32_e32 v1, vcc_hi, v38
	v_add_lshl_u32 v40, v28, v0, 2
	v_mov_b32_e32 v0, 0
	v_and_b32_e32 v38, exec_hi, v1
	v_lshlrev_b32_e32 v1, 30, v4
	v_xor_b32_e32 v5, vcc_lo, v5
	v_cmp_gt_i64_e32 vcc, 0, v[0:1]
	v_not_b32_e32 v1, v1
	v_ashrrev_i32_e32 v1, 31, v1
	v_and_b32_e32 v5, exec_lo, v5
	v_xor_b32_e32 v39, vcc_hi, v1
	v_xor_b32_e32 v1, vcc_lo, v1
	v_and_b32_e32 v5, v5, v1
	v_lshlrev_b32_e32 v1, 29, v4
	v_cmp_gt_i64_e32 vcc, 0, v[0:1]
	v_not_b32_e32 v1, v1
	v_ashrrev_i32_e32 v1, 31, v1
	v_and_b32_e32 v38, v38, v39
	v_xor_b32_e32 v39, vcc_hi, v1
	v_xor_b32_e32 v1, vcc_lo, v1
	v_and_b32_e32 v5, v5, v1
	v_lshlrev_b32_e32 v1, 28, v4
	v_cmp_gt_i64_e32 vcc, 0, v[0:1]
	v_not_b32_e32 v1, v1
	v_ashrrev_i32_e32 v1, 31, v1
	v_and_b32_e32 v38, v38, v39
	;; [unrolled: 8-line block ×5, first 2 shown]
	v_xor_b32_e32 v39, vcc_hi, v1
	v_xor_b32_e32 v1, vcc_lo, v1
	v_and_b32_e32 v38, v38, v39
	v_and_b32_e32 v39, v5, v1
	v_lshlrev_b32_e32 v1, 24, v4
	v_cmp_gt_i64_e32 vcc, 0, v[0:1]
	v_not_b32_e32 v1, v1
	v_ashrrev_i32_e32 v1, 31, v1
	v_xor_b32_e32 v4, vcc_hi, v1
	v_xor_b32_e32 v1, vcc_lo, v1
	; wave barrier
	ds_read_b32 v36, v40 offset:64
	v_and_b32_e32 v5, v38, v4
	v_and_b32_e32 v4, v39, v1
	v_mbcnt_lo_u32_b32 v1, v4, 0
	v_mbcnt_hi_u32_b32 v38, v5, v1
	v_cmp_eq_u32_e32 vcc, 0, v38
	v_cmp_ne_u64_e64 s[0:1], 0, v[4:5]
	s_and_b64 s[2:3], s[0:1], vcc
	; wave barrier
	s_and_saveexec_b64 s[0:1], s[2:3]
	s_cbranch_execz .LBB1132_97
; %bb.96:
	v_bcnt_u32_b32 v1, v4, 0
	v_bcnt_u32_b32 v1, v5, v1
	s_waitcnt lgkmcnt(0)
	v_add_u32_e32 v1, v36, v1
	ds_write_b32 v40, v1 offset:64
.LBB1132_97:
	s_or_b64 exec, exec, s[0:1]
	s_waitcnt vmcnt(4)
	v_lshrrev_b32_e32 v1, s16, v14
	v_and_b32_e32 v4, s17, v1
	v_lshl_add_u32 v1, v4, 4, v4
	v_add_lshl_u32 v43, v28, v1, 2
	v_and_b32_e32 v1, 1, v4
	v_add_co_u32_e32 v5, vcc, -1, v1
	v_addc_co_u32_e64 v41, s[0:1], 0, -1, vcc
	v_cmp_ne_u32_e32 vcc, 0, v1
	v_xor_b32_e32 v1, vcc_hi, v41
	v_and_b32_e32 v41, exec_hi, v1
	v_lshlrev_b32_e32 v1, 30, v4
	v_xor_b32_e32 v5, vcc_lo, v5
	v_cmp_gt_i64_e32 vcc, 0, v[0:1]
	v_not_b32_e32 v1, v1
	v_ashrrev_i32_e32 v1, 31, v1
	v_and_b32_e32 v5, exec_lo, v5
	v_xor_b32_e32 v42, vcc_hi, v1
	v_xor_b32_e32 v1, vcc_lo, v1
	v_and_b32_e32 v5, v5, v1
	v_lshlrev_b32_e32 v1, 29, v4
	v_cmp_gt_i64_e32 vcc, 0, v[0:1]
	v_not_b32_e32 v1, v1
	v_ashrrev_i32_e32 v1, 31, v1
	v_and_b32_e32 v41, v41, v42
	v_xor_b32_e32 v42, vcc_hi, v1
	v_xor_b32_e32 v1, vcc_lo, v1
	v_and_b32_e32 v5, v5, v1
	v_lshlrev_b32_e32 v1, 28, v4
	v_cmp_gt_i64_e32 vcc, 0, v[0:1]
	v_not_b32_e32 v1, v1
	v_ashrrev_i32_e32 v1, 31, v1
	v_and_b32_e32 v41, v41, v42
	;; [unrolled: 8-line block ×5, first 2 shown]
	v_xor_b32_e32 v42, vcc_hi, v1
	v_xor_b32_e32 v1, vcc_lo, v1
	v_and_b32_e32 v5, v5, v1
	v_lshlrev_b32_e32 v1, 24, v4
	v_cmp_gt_i64_e32 vcc, 0, v[0:1]
	v_not_b32_e32 v0, v1
	v_ashrrev_i32_e32 v0, 31, v0
	v_xor_b32_e32 v1, vcc_hi, v0
	v_xor_b32_e32 v0, vcc_lo, v0
	; wave barrier
	ds_read_b32 v39, v43 offset:64
	v_and_b32_e32 v41, v41, v42
	v_and_b32_e32 v0, v5, v0
	;; [unrolled: 1-line block ×3, first 2 shown]
	v_mbcnt_lo_u32_b32 v4, v0, 0
	v_mbcnt_hi_u32_b32 v41, v1, v4
	v_cmp_eq_u32_e32 vcc, 0, v41
	v_cmp_ne_u64_e64 s[0:1], 0, v[0:1]
	s_and_b64 s[2:3], s[0:1], vcc
	; wave barrier
	s_and_saveexec_b64 s[0:1], s[2:3]
	s_cbranch_execz .LBB1132_99
; %bb.98:
	v_bcnt_u32_b32 v0, v0, 0
	v_bcnt_u32_b32 v0, v1, v0
	s_waitcnt lgkmcnt(0)
	v_add_u32_e32 v0, v39, v0
	ds_write_b32 v43, v0 offset:64
.LBB1132_99:
	s_or_b64 exec, exec, s[0:1]
	s_waitcnt vmcnt(3)
	v_lshrrev_b32_e32 v0, s16, v15
	v_and_b32_e32 v4, s17, v0
	v_and_b32_e32 v1, 1, v4
	v_add_co_u32_e32 v5, vcc, -1, v1
	v_addc_co_u32_e64 v44, s[0:1], 0, -1, vcc
	v_cmp_ne_u32_e32 vcc, 0, v1
	v_lshl_add_u32 v0, v4, 4, v4
	v_xor_b32_e32 v1, vcc_hi, v44
	v_add_lshl_u32 v46, v28, v0, 2
	v_mov_b32_e32 v0, 0
	v_and_b32_e32 v44, exec_hi, v1
	v_lshlrev_b32_e32 v1, 30, v4
	v_xor_b32_e32 v5, vcc_lo, v5
	v_cmp_gt_i64_e32 vcc, 0, v[0:1]
	v_not_b32_e32 v1, v1
	v_ashrrev_i32_e32 v1, 31, v1
	v_and_b32_e32 v5, exec_lo, v5
	v_xor_b32_e32 v45, vcc_hi, v1
	v_xor_b32_e32 v1, vcc_lo, v1
	v_and_b32_e32 v5, v5, v1
	v_lshlrev_b32_e32 v1, 29, v4
	v_cmp_gt_i64_e32 vcc, 0, v[0:1]
	v_not_b32_e32 v1, v1
	v_ashrrev_i32_e32 v1, 31, v1
	v_and_b32_e32 v44, v44, v45
	v_xor_b32_e32 v45, vcc_hi, v1
	v_xor_b32_e32 v1, vcc_lo, v1
	v_and_b32_e32 v5, v5, v1
	v_lshlrev_b32_e32 v1, 28, v4
	v_cmp_gt_i64_e32 vcc, 0, v[0:1]
	v_not_b32_e32 v1, v1
	v_ashrrev_i32_e32 v1, 31, v1
	v_and_b32_e32 v44, v44, v45
	;; [unrolled: 8-line block ×5, first 2 shown]
	v_xor_b32_e32 v45, vcc_hi, v1
	v_xor_b32_e32 v1, vcc_lo, v1
	v_and_b32_e32 v44, v44, v45
	v_and_b32_e32 v45, v5, v1
	v_lshlrev_b32_e32 v1, 24, v4
	v_cmp_gt_i64_e32 vcc, 0, v[0:1]
	v_not_b32_e32 v1, v1
	v_ashrrev_i32_e32 v1, 31, v1
	v_xor_b32_e32 v4, vcc_hi, v1
	v_xor_b32_e32 v1, vcc_lo, v1
	; wave barrier
	ds_read_b32 v42, v46 offset:64
	v_and_b32_e32 v5, v44, v4
	v_and_b32_e32 v4, v45, v1
	v_mbcnt_lo_u32_b32 v1, v4, 0
	v_mbcnt_hi_u32_b32 v44, v5, v1
	v_cmp_eq_u32_e32 vcc, 0, v44
	v_cmp_ne_u64_e64 s[0:1], 0, v[4:5]
	s_and_b64 s[2:3], s[0:1], vcc
	; wave barrier
	s_and_saveexec_b64 s[0:1], s[2:3]
	s_cbranch_execz .LBB1132_101
; %bb.100:
	v_bcnt_u32_b32 v1, v4, 0
	v_bcnt_u32_b32 v1, v5, v1
	s_waitcnt lgkmcnt(0)
	v_add_u32_e32 v1, v42, v1
	ds_write_b32 v46, v1 offset:64
.LBB1132_101:
	s_or_b64 exec, exec, s[0:1]
	s_waitcnt vmcnt(2)
	v_lshrrev_b32_e32 v1, s16, v16
	v_and_b32_e32 v4, s17, v1
	v_lshl_add_u32 v1, v4, 4, v4
	v_add_lshl_u32 v49, v28, v1, 2
	v_and_b32_e32 v1, 1, v4
	v_add_co_u32_e32 v5, vcc, -1, v1
	v_addc_co_u32_e64 v47, s[0:1], 0, -1, vcc
	v_cmp_ne_u32_e32 vcc, 0, v1
	v_xor_b32_e32 v1, vcc_hi, v47
	v_and_b32_e32 v47, exec_hi, v1
	v_lshlrev_b32_e32 v1, 30, v4
	v_xor_b32_e32 v5, vcc_lo, v5
	v_cmp_gt_i64_e32 vcc, 0, v[0:1]
	v_not_b32_e32 v1, v1
	v_ashrrev_i32_e32 v1, 31, v1
	v_and_b32_e32 v5, exec_lo, v5
	v_xor_b32_e32 v48, vcc_hi, v1
	v_xor_b32_e32 v1, vcc_lo, v1
	v_and_b32_e32 v5, v5, v1
	v_lshlrev_b32_e32 v1, 29, v4
	v_cmp_gt_i64_e32 vcc, 0, v[0:1]
	v_not_b32_e32 v1, v1
	v_ashrrev_i32_e32 v1, 31, v1
	v_and_b32_e32 v47, v47, v48
	v_xor_b32_e32 v48, vcc_hi, v1
	v_xor_b32_e32 v1, vcc_lo, v1
	v_and_b32_e32 v5, v5, v1
	v_lshlrev_b32_e32 v1, 28, v4
	v_cmp_gt_i64_e32 vcc, 0, v[0:1]
	v_not_b32_e32 v1, v1
	v_ashrrev_i32_e32 v1, 31, v1
	v_and_b32_e32 v47, v47, v48
	;; [unrolled: 8-line block ×5, first 2 shown]
	v_xor_b32_e32 v48, vcc_hi, v1
	v_xor_b32_e32 v1, vcc_lo, v1
	v_and_b32_e32 v5, v5, v1
	v_lshlrev_b32_e32 v1, 24, v4
	v_cmp_gt_i64_e32 vcc, 0, v[0:1]
	v_not_b32_e32 v0, v1
	v_ashrrev_i32_e32 v0, 31, v0
	v_xor_b32_e32 v1, vcc_hi, v0
	v_xor_b32_e32 v0, vcc_lo, v0
	; wave barrier
	ds_read_b32 v45, v49 offset:64
	v_and_b32_e32 v47, v47, v48
	v_and_b32_e32 v0, v5, v0
	;; [unrolled: 1-line block ×3, first 2 shown]
	v_mbcnt_lo_u32_b32 v4, v0, 0
	v_mbcnt_hi_u32_b32 v47, v1, v4
	v_cmp_eq_u32_e32 vcc, 0, v47
	v_cmp_ne_u64_e64 s[0:1], 0, v[0:1]
	s_and_b64 s[2:3], s[0:1], vcc
	; wave barrier
	s_and_saveexec_b64 s[0:1], s[2:3]
	s_cbranch_execz .LBB1132_103
; %bb.102:
	v_bcnt_u32_b32 v0, v0, 0
	v_bcnt_u32_b32 v0, v1, v0
	s_waitcnt lgkmcnt(0)
	v_add_u32_e32 v0, v45, v0
	ds_write_b32 v49, v0 offset:64
.LBB1132_103:
	s_or_b64 exec, exec, s[0:1]
	s_waitcnt vmcnt(1)
	v_lshrrev_b32_e32 v0, s16, v17
	v_and_b32_e32 v4, s17, v0
	v_and_b32_e32 v1, 1, v4
	v_add_co_u32_e32 v5, vcc, -1, v1
	v_addc_co_u32_e64 v50, s[0:1], 0, -1, vcc
	v_cmp_ne_u32_e32 vcc, 0, v1
	v_lshl_add_u32 v0, v4, 4, v4
	v_xor_b32_e32 v1, vcc_hi, v50
	v_add_lshl_u32 v52, v28, v0, 2
	v_mov_b32_e32 v0, 0
	v_and_b32_e32 v50, exec_hi, v1
	v_lshlrev_b32_e32 v1, 30, v4
	v_xor_b32_e32 v5, vcc_lo, v5
	v_cmp_gt_i64_e32 vcc, 0, v[0:1]
	v_not_b32_e32 v1, v1
	v_ashrrev_i32_e32 v1, 31, v1
	v_and_b32_e32 v5, exec_lo, v5
	v_xor_b32_e32 v51, vcc_hi, v1
	v_xor_b32_e32 v1, vcc_lo, v1
	v_and_b32_e32 v5, v5, v1
	v_lshlrev_b32_e32 v1, 29, v4
	v_cmp_gt_i64_e32 vcc, 0, v[0:1]
	v_not_b32_e32 v1, v1
	v_ashrrev_i32_e32 v1, 31, v1
	v_and_b32_e32 v50, v50, v51
	v_xor_b32_e32 v51, vcc_hi, v1
	v_xor_b32_e32 v1, vcc_lo, v1
	v_and_b32_e32 v5, v5, v1
	v_lshlrev_b32_e32 v1, 28, v4
	v_cmp_gt_i64_e32 vcc, 0, v[0:1]
	v_not_b32_e32 v1, v1
	v_ashrrev_i32_e32 v1, 31, v1
	v_and_b32_e32 v50, v50, v51
	;; [unrolled: 8-line block ×5, first 2 shown]
	v_xor_b32_e32 v51, vcc_hi, v1
	v_xor_b32_e32 v1, vcc_lo, v1
	v_and_b32_e32 v50, v50, v51
	v_and_b32_e32 v51, v5, v1
	v_lshlrev_b32_e32 v1, 24, v4
	v_cmp_gt_i64_e32 vcc, 0, v[0:1]
	v_not_b32_e32 v1, v1
	v_ashrrev_i32_e32 v1, 31, v1
	v_xor_b32_e32 v4, vcc_hi, v1
	v_xor_b32_e32 v1, vcc_lo, v1
	; wave barrier
	ds_read_b32 v48, v52 offset:64
	v_and_b32_e32 v5, v50, v4
	v_and_b32_e32 v4, v51, v1
	v_mbcnt_lo_u32_b32 v1, v4, 0
	v_mbcnt_hi_u32_b32 v50, v5, v1
	v_cmp_eq_u32_e32 vcc, 0, v50
	v_cmp_ne_u64_e64 s[0:1], 0, v[4:5]
	s_and_b64 s[2:3], s[0:1], vcc
	; wave barrier
	s_and_saveexec_b64 s[0:1], s[2:3]
	s_cbranch_execz .LBB1132_105
; %bb.104:
	v_bcnt_u32_b32 v1, v4, 0
	v_bcnt_u32_b32 v1, v5, v1
	s_waitcnt lgkmcnt(0)
	v_add_u32_e32 v1, v48, v1
	ds_write_b32 v52, v1 offset:64
.LBB1132_105:
	s_or_b64 exec, exec, s[0:1]
	s_waitcnt vmcnt(0)
	v_lshrrev_b32_e32 v1, s16, v18
	v_and_b32_e32 v4, s17, v1
	v_lshl_add_u32 v1, v4, 4, v4
	v_add_lshl_u32 v54, v28, v1, 2
	v_and_b32_e32 v1, 1, v4
	v_add_co_u32_e32 v5, vcc, -1, v1
	v_addc_co_u32_e64 v28, s[0:1], 0, -1, vcc
	v_cmp_ne_u32_e32 vcc, 0, v1
	v_xor_b32_e32 v1, vcc_hi, v28
	v_and_b32_e32 v28, exec_hi, v1
	v_lshlrev_b32_e32 v1, 30, v4
	v_xor_b32_e32 v5, vcc_lo, v5
	v_cmp_gt_i64_e32 vcc, 0, v[0:1]
	v_not_b32_e32 v1, v1
	v_ashrrev_i32_e32 v1, 31, v1
	v_and_b32_e32 v5, exec_lo, v5
	v_xor_b32_e32 v53, vcc_hi, v1
	v_xor_b32_e32 v1, vcc_lo, v1
	v_and_b32_e32 v5, v5, v1
	v_lshlrev_b32_e32 v1, 29, v4
	v_cmp_gt_i64_e32 vcc, 0, v[0:1]
	v_not_b32_e32 v1, v1
	v_ashrrev_i32_e32 v1, 31, v1
	v_and_b32_e32 v28, v28, v53
	v_xor_b32_e32 v53, vcc_hi, v1
	v_xor_b32_e32 v1, vcc_lo, v1
	v_and_b32_e32 v5, v5, v1
	v_lshlrev_b32_e32 v1, 28, v4
	v_cmp_gt_i64_e32 vcc, 0, v[0:1]
	v_not_b32_e32 v1, v1
	v_ashrrev_i32_e32 v1, 31, v1
	v_and_b32_e32 v28, v28, v53
	;; [unrolled: 8-line block ×5, first 2 shown]
	v_xor_b32_e32 v53, vcc_hi, v1
	v_xor_b32_e32 v1, vcc_lo, v1
	v_and_b32_e32 v5, v5, v1
	v_lshlrev_b32_e32 v1, 24, v4
	v_cmp_gt_i64_e32 vcc, 0, v[0:1]
	v_not_b32_e32 v0, v1
	v_ashrrev_i32_e32 v0, 31, v0
	v_xor_b32_e32 v1, vcc_hi, v0
	v_xor_b32_e32 v0, vcc_lo, v0
	; wave barrier
	ds_read_b32 v51, v54 offset:64
	v_and_b32_e32 v28, v28, v53
	v_and_b32_e32 v0, v5, v0
	;; [unrolled: 1-line block ×3, first 2 shown]
	v_mbcnt_lo_u32_b32 v4, v0, 0
	v_mbcnt_hi_u32_b32 v53, v1, v4
	v_cmp_eq_u32_e32 vcc, 0, v53
	v_cmp_ne_u64_e64 s[0:1], 0, v[0:1]
	v_add_u32_e32 v55, 64, v7
	s_and_b64 s[2:3], s[0:1], vcc
	; wave barrier
	s_and_saveexec_b64 s[0:1], s[2:3]
	s_cbranch_execz .LBB1132_107
; %bb.106:
	v_bcnt_u32_b32 v0, v0, 0
	v_bcnt_u32_b32 v0, v1, v0
	s_waitcnt lgkmcnt(0)
	v_add_u32_e32 v0, v51, v0
	ds_write_b32 v54, v0 offset:64
.LBB1132_107:
	s_or_b64 exec, exec, s[0:1]
	; wave barrier
	s_waitcnt lgkmcnt(0)
	s_barrier
	ds_read2_b32 v[4:5], v7 offset0:16 offset1:17
	ds_read2_b32 v[0:1], v55 offset0:2 offset1:3
	ds_read_b32 v28, v55 offset:16
	v_cmp_lt_u32_e64 s[8:9], 31, v6
	s_waitcnt lgkmcnt(1)
	v_add3_u32 v56, v5, v4, v0
	s_waitcnt lgkmcnt(0)
	v_add3_u32 v28, v56, v1, v28
	v_and_b32_e32 v56, 15, v6
	v_cmp_eq_u32_e32 vcc, 0, v56
	v_mov_b32_dpp v57, v28 row_shr:1 row_mask:0xf bank_mask:0xf
	v_cndmask_b32_e64 v57, v57, 0, vcc
	v_add_u32_e32 v28, v57, v28
	v_cmp_lt_u32_e64 s[0:1], 1, v56
	v_cmp_lt_u32_e64 s[2:3], 3, v56
	v_mov_b32_dpp v57, v28 row_shr:2 row_mask:0xf bank_mask:0xf
	v_cndmask_b32_e64 v57, 0, v57, s[0:1]
	v_add_u32_e32 v28, v28, v57
	v_cmp_lt_u32_e64 s[4:5], 7, v56
	s_nop 0
	v_mov_b32_dpp v57, v28 row_shr:4 row_mask:0xf bank_mask:0xf
	v_cndmask_b32_e64 v57, 0, v57, s[2:3]
	v_add_u32_e32 v28, v28, v57
	s_nop 1
	v_mov_b32_dpp v57, v28 row_shr:8 row_mask:0xf bank_mask:0xf
	v_cndmask_b32_e64 v56, 0, v57, s[4:5]
	v_add_u32_e32 v28, v28, v56
	v_bfe_i32 v57, v6, 4, 1
	s_nop 0
	v_mov_b32_dpp v56, v28 row_bcast:15 row_mask:0xf bank_mask:0xf
	v_and_b32_e32 v56, v57, v56
	v_add_u32_e32 v28, v28, v56
	v_lshrrev_b32_e32 v57, 6, v2
	s_nop 0
	v_mov_b32_dpp v56, v28 row_bcast:31 row_mask:0xf bank_mask:0xf
	v_cndmask_b32_e64 v56, 0, v56, s[8:9]
	v_add_u32_e32 v56, v28, v56
	v_and_b32_e32 v28, 63, v2
	v_cmp_eq_u32_e64 s[8:9], 63, v28
	s_and_saveexec_b64 s[18:19], s[8:9]
	s_cbranch_execz .LBB1132_109
; %bb.108:
	v_lshlrev_b32_e32 v28, 2, v57
	ds_write_b32 v28, v56
.LBB1132_109:
	s_or_b64 exec, exec, s[18:19]
	v_cmp_gt_u32_e64 s[8:9], 16, v2
	v_lshlrev_b32_e32 v28, 2, v2
	s_waitcnt lgkmcnt(0)
	s_barrier
	s_and_saveexec_b64 s[18:19], s[8:9]
	s_cbranch_execz .LBB1132_111
; %bb.110:
	ds_read_b32 v58, v28
	s_waitcnt lgkmcnt(0)
	s_nop 0
	v_mov_b32_dpp v59, v58 row_shr:1 row_mask:0xf bank_mask:0xf
	v_cndmask_b32_e64 v59, v59, 0, vcc
	v_add_u32_e32 v58, v59, v58
	s_nop 1
	v_mov_b32_dpp v59, v58 row_shr:2 row_mask:0xf bank_mask:0xf
	v_cndmask_b32_e64 v59, 0, v59, s[0:1]
	v_add_u32_e32 v58, v58, v59
	s_nop 1
	v_mov_b32_dpp v59, v58 row_shr:4 row_mask:0xf bank_mask:0xf
	v_cndmask_b32_e64 v59, 0, v59, s[2:3]
	;; [unrolled: 4-line block ×3, first 2 shown]
	v_add_u32_e32 v58, v58, v59
	ds_write_b32 v28, v58
.LBB1132_111:
	s_or_b64 exec, exec, s[18:19]
	v_cmp_lt_u32_e32 vcc, 63, v2
	v_mov_b32_e32 v58, 0
	s_waitcnt lgkmcnt(0)
	s_barrier
	s_and_saveexec_b64 s[0:1], vcc
	s_cbranch_execz .LBB1132_113
; %bb.112:
	v_lshl_add_u32 v57, v57, 2, -4
	ds_read_b32 v58, v57
.LBB1132_113:
	s_or_b64 exec, exec, s[0:1]
	v_add_u32_e32 v57, -1, v6
	v_and_b32_e32 v59, 64, v6
	v_cmp_lt_i32_e32 vcc, v57, v59
	v_cndmask_b32_e32 v57, v57, v6, vcc
	s_waitcnt lgkmcnt(0)
	v_add_u32_e32 v56, v58, v56
	v_lshlrev_b32_e32 v57, 2, v57
	ds_bpermute_b32 v56, v57, v56
	v_cmp_eq_u32_e32 vcc, 0, v6
	s_movk_i32 s0, 0x100
	s_waitcnt lgkmcnt(0)
	v_cndmask_b32_e32 v6, v56, v58, vcc
	v_cmp_ne_u32_e32 vcc, 0, v2
	v_cndmask_b32_e32 v6, 0, v6, vcc
	v_add_u32_e32 v4, v6, v4
	v_add_u32_e32 v5, v4, v5
	;; [unrolled: 1-line block ×4, first 2 shown]
	ds_write2_b32 v7, v6, v4 offset0:16 offset1:17
	ds_write2_b32 v55, v5, v0 offset0:2 offset1:3
	ds_write_b32 v55, v1 offset:16
	s_waitcnt lgkmcnt(0)
	s_barrier
	ds_read_b32 v59, v22 offset:64
	ds_read_b32 v55, v24 offset:64
	ds_read_b32 v56, v27 offset:64
	ds_read_b32 v57, v31 offset:64
	ds_read_b32 v58, v34 offset:64
	ds_read_b32 v37, v37 offset:64
	ds_read_b32 v34, v40 offset:64
	ds_read_b32 v31, v43 offset:64
	ds_read_b32 v27, v46 offset:64
	ds_read_b32 v40, v49 offset:64
	ds_read_b32 v43, v52 offset:64
	ds_read_b32 v46, v54 offset:64
	v_cmp_gt_u32_e32 vcc, s0, v2
                                        ; implicit-def: $vgpr22
                                        ; implicit-def: $vgpr24
	s_and_saveexec_b64 s[2:3], vcc
	s_cbranch_execz .LBB1132_117
; %bb.114:
	v_mul_u32_u24_e32 v0, 17, v2
	v_lshlrev_b32_e32 v1, 2, v0
	ds_read_b32 v22, v1 offset:64
	s_movk_i32 s0, 0xff
	v_cmp_ne_u32_e64 s[0:1], s0, v2
	v_mov_b32_e32 v0, 0x3000
	s_and_saveexec_b64 s[4:5], s[0:1]
	s_cbranch_execz .LBB1132_116
; %bb.115:
	ds_read_b32 v0, v1 offset:132
.LBB1132_116:
	s_or_b64 exec, exec, s[4:5]
	s_waitcnt lgkmcnt(0)
	v_sub_u32_e32 v24, v0, v22
.LBB1132_117:
	s_or_b64 exec, exec, s[2:3]
	s_waitcnt lgkmcnt(0)
	s_barrier
	s_and_saveexec_b64 s[2:3], vcc
	s_cbranch_execz .LBB1132_127
; %bb.118:
	v_lshl_or_b32 v0, s6, 8, v2
	v_mov_b32_e32 v1, 0
	v_lshlrev_b64 v[4:5], 2, v[0:1]
	v_mov_b32_e32 v49, s25
	v_add_co_u32_e64 v4, s[0:1], s24, v4
	v_addc_co_u32_e64 v5, s[0:1], v49, v5, s[0:1]
	v_or_b32_e32 v0, 2.0, v24
	s_mov_b64 s[4:5], 0
	s_brev_b32 s20, 1
	s_mov_b32 s21, s6
	v_mov_b32_e32 v52, 0
	global_store_dword v[4:5], v0, off
                                        ; implicit-def: $sgpr0_sgpr1
	s_branch .LBB1132_121
.LBB1132_119:                           ;   in Loop: Header=BB1132_121 Depth=1
	s_or_b64 exec, exec, s[18:19]
.LBB1132_120:                           ;   in Loop: Header=BB1132_121 Depth=1
	s_or_b64 exec, exec, s[8:9]
	v_and_b32_e32 v6, 0x3fffffff, v54
	v_add_u32_e32 v52, v6, v52
	v_cmp_eq_u32_e64 s[0:1], s20, v0
	s_and_b64 s[8:9], exec, s[0:1]
	s_or_b64 s[4:5], s[8:9], s[4:5]
	s_andn2_b64 exec, exec, s[4:5]
	s_cbranch_execz .LBB1132_126
.LBB1132_121:                           ; =>This Loop Header: Depth=1
                                        ;     Child Loop BB1132_124 Depth 2
	s_or_b64 s[0:1], s[0:1], exec
	s_cmp_eq_u32 s21, 0
	s_cbranch_scc1 .LBB1132_125
; %bb.122:                              ;   in Loop: Header=BB1132_121 Depth=1
	s_add_i32 s21, s21, -1
	v_lshl_or_b32 v0, s21, 8, v2
	v_lshlrev_b64 v[6:7], 2, v[0:1]
	v_add_co_u32_e64 v6, s[0:1], s24, v6
	v_addc_co_u32_e64 v7, s[0:1], v49, v7, s[0:1]
	global_load_dword v54, v[6:7], off glc
	s_waitcnt vmcnt(0)
	v_and_b32_e32 v0, -2.0, v54
	v_cmp_eq_u32_e64 s[0:1], 0, v0
	s_and_saveexec_b64 s[8:9], s[0:1]
	s_cbranch_execz .LBB1132_120
; %bb.123:                              ;   in Loop: Header=BB1132_121 Depth=1
	s_mov_b64 s[18:19], 0
.LBB1132_124:                           ;   Parent Loop BB1132_121 Depth=1
                                        ; =>  This Inner Loop Header: Depth=2
	global_load_dword v54, v[6:7], off glc
	s_waitcnt vmcnt(0)
	v_and_b32_e32 v0, -2.0, v54
	v_cmp_ne_u32_e64 s[0:1], 0, v0
	s_or_b64 s[18:19], s[0:1], s[18:19]
	s_andn2_b64 exec, exec, s[18:19]
	s_cbranch_execnz .LBB1132_124
	s_branch .LBB1132_119
.LBB1132_125:                           ;   in Loop: Header=BB1132_121 Depth=1
                                        ; implicit-def: $sgpr21
	s_and_b64 s[8:9], exec, s[0:1]
	s_or_b64 s[4:5], s[8:9], s[4:5]
	s_andn2_b64 exec, exec, s[4:5]
	s_cbranch_execnz .LBB1132_121
.LBB1132_126:
	s_or_b64 exec, exec, s[4:5]
	v_add_u32_e32 v0, v52, v24
	v_or_b32_e32 v0, 0x80000000, v0
	global_store_dword v[4:5], v0, off
	global_load_dword v0, v28, s[12:13]
	v_sub_u32_e32 v1, v52, v22
	s_waitcnt vmcnt(0)
	v_add_u32_e32 v0, v1, v0
	ds_write_b32 v28, v0
.LBB1132_127:
	s_or_b64 exec, exec, s[2:3]
	v_add_u32_e32 v4, v59, v19
	s_movk_i32 s2, 0x400
	v_add_u32_e32 v5, 0x400, v28
	v_add3_u32 v6, v53, v46, v51
	v_add3_u32 v7, v50, v43, v48
	;; [unrolled: 1-line block ×11, first 2 shown]
	s_mov_b32 s3, 0
	v_mov_b32_e32 v21, s23
	s_movk_i32 s4, 0x800
	s_movk_i32 s5, 0xc00
	v_mov_b32_e32 v1, 0
	v_mov_b32_e32 v25, v2
.LBB1132_128:                           ; =>This Inner Loop Header: Depth=1
	v_add_u32_e32 v0, s3, v4
	v_add_u32_e32 v29, s3, v20
	v_add_u32_e32 v36, s3, v30
	v_add_u32_e32 v37, s3, v33
	v_add_u32_e32 v32, s3, v23
	v_add_u32_e32 v35, s3, v26
	v_add_u32_e32 v38, s3, v34
	v_add_u32_e32 v39, s3, v31
	v_add_u32_e32 v40, s3, v27
	v_add_u32_e32 v41, s3, v19
	v_add_u32_e32 v42, s3, v7
	v_add_u32_e32 v43, s3, v6
	v_min_u32_e32 v0, 0x1000, v0
	v_min_u32_e32 v29, 0x1000, v29
	;; [unrolled: 1-line block ×12, first 2 shown]
	v_lshlrev_b32_e32 v0, 2, v0
	v_lshlrev_b32_e32 v29, 2, v29
	;; [unrolled: 1-line block ×12, first 2 shown]
	ds_write_b32 v0, v3 offset:1024
	ds_write_b32 v29, v8 offset:1024
	;; [unrolled: 1-line block ×12, first 2 shown]
	s_waitcnt lgkmcnt(0)
	s_barrier
	ds_read_b32 v29, v28 offset:1024
	ds_read2st64_b32 v[36:37], v5 offset0:16 offset1:32
	s_addk_i32 s3, 0xf000
	s_cmpk_lg_i32 s3, 0xd000
	s_waitcnt lgkmcnt(1)
	v_lshrrev_b32_e32 v0, s16, v29
	s_waitcnt lgkmcnt(0)
	v_lshrrev_b32_e32 v32, s16, v36
	v_lshrrev_b32_e32 v35, s16, v37
	v_and_b32_e32 v0, s17, v0
	v_and_b32_e32 v32, s17, v32
	;; [unrolled: 1-line block ×3, first 2 shown]
	v_lshlrev_b32_e32 v0, 2, v0
	v_lshlrev_b32_e32 v32, 2, v32
	;; [unrolled: 1-line block ×3, first 2 shown]
	ds_read_b32 v32, v32
	ds_read_b32 v35, v35
	;; [unrolled: 1-line block ×3, first 2 shown]
	ds_read_b32 v42, v5 offset:12288
	s_waitcnt lgkmcnt(1)
	v_add_u32_e32 v0, v25, v0
	v_lshlrev_b64 v[38:39], 2, v[0:1]
	s_waitcnt lgkmcnt(0)
	v_lshrrev_b32_e32 v40, s16, v42
	v_add3_u32 v0, v25, v32, s2
	v_add_co_u32_e64 v38, s[0:1], s22, v38
	v_and_b32_e32 v32, s17, v40
	v_addc_co_u32_e64 v39, s[0:1], v21, v39, s[0:1]
	v_lshlrev_b64 v[40:41], 2, v[0:1]
	v_add3_u32 v0, v25, v35, s4
	v_lshlrev_b32_e32 v32, 2, v32
	global_store_dword v[38:39], v29, off
	v_add_co_u32_e64 v38, s[0:1], s22, v40
	v_addc_co_u32_e64 v39, s[0:1], v21, v41, s[0:1]
	v_lshlrev_b64 v[40:41], 2, v[0:1]
	ds_read_b32 v0, v32
	global_store_dword v[38:39], v36, off
	v_add_co_u32_e64 v38, s[0:1], s22, v40
	v_addc_co_u32_e64 v39, s[0:1], v21, v41, s[0:1]
	s_waitcnt lgkmcnt(0)
	v_add3_u32 v0, v25, v0, s5
	global_store_dword v[38:39], v37, off
	v_lshlrev_b64 v[36:37], 2, v[0:1]
	v_add_co_u32_e64 v36, s[0:1], s22, v36
	v_add_u32_e32 v25, 0x1000, v25
	v_addc_co_u32_e64 v37, s[0:1], v21, v37, s[0:1]
	global_store_dword v[36:37], v42, off
	s_barrier
	s_cbranch_scc1 .LBB1132_128
; %bb.129:
	s_add_i32 s7, s7, -1
	s_cmp_eq_u32 s7, s6
	s_cselect_b64 s[0:1], -1, 0
	s_and_b64 s[2:3], vcc, s[0:1]
                                        ; implicit-def: $vgpr4
	s_and_saveexec_b64 s[0:1], s[2:3]
; %bb.130:
	v_add_u32_e32 v4, v22, v24
	s_or_b64 s[10:11], s[10:11], exec
; %bb.131:
	s_or_b64 exec, exec, s[0:1]
.LBB1132_132:
	s_and_saveexec_b64 s[0:1], s[10:11]
	s_cbranch_execnz .LBB1132_134
; %bb.133:
	s_endpgm
.LBB1132_134:
	v_mov_b32_e32 v3, 0
	v_lshlrev_b32_e32 v5, 2, v2
	v_lshlrev_b64 v[0:1], 2, v[2:3]
	ds_read_b32 v3, v5
	v_mov_b32_e32 v2, s15
	v_add_co_u32_e32 v0, vcc, s14, v0
	v_addc_co_u32_e32 v1, vcc, v2, v1, vcc
	s_waitcnt lgkmcnt(0)
	v_add_u32_e32 v2, v3, v4
	global_store_dword v[0:1], v2, off
	s_endpgm
	.section	.rodata,"a",@progbits
	.p2align	6, 0x0
	.amdhsa_kernel _ZN7rocprim17ROCPRIM_400000_NS6detail17trampoline_kernelINS0_14default_configENS1_35radix_sort_onesweep_config_selectorIjNS0_10empty_typeEEEZZNS1_29radix_sort_onesweep_iterationIS3_Lb0EN6thrust23THRUST_200600_302600_NS6detail15normal_iteratorINS9_10device_ptrIjEEEESE_PS5_SF_jNS0_19identity_decomposerENS1_16block_id_wrapperIjLb0EEEEE10hipError_tT1_PNSt15iterator_traitsISK_E10value_typeET2_T3_PNSL_ISQ_E10value_typeET4_T5_PSV_SW_PNS1_23onesweep_lookback_stateEbbT6_jjT7_P12ihipStream_tbENKUlT_T0_SK_SP_E_clISE_SE_SF_SF_EEDaS13_S14_SK_SP_EUlS13_E_NS1_11comp_targetILNS1_3genE4ELNS1_11target_archE910ELNS1_3gpuE8ELNS1_3repE0EEENS1_47radix_sort_onesweep_sort_config_static_selectorELNS0_4arch9wavefront6targetE1EEEvSK_
		.amdhsa_group_segment_fixed_size 20552
		.amdhsa_private_segment_fixed_size 0
		.amdhsa_kernarg_size 344
		.amdhsa_user_sgpr_count 6
		.amdhsa_user_sgpr_private_segment_buffer 1
		.amdhsa_user_sgpr_dispatch_ptr 0
		.amdhsa_user_sgpr_queue_ptr 0
		.amdhsa_user_sgpr_kernarg_segment_ptr 1
		.amdhsa_user_sgpr_dispatch_id 0
		.amdhsa_user_sgpr_flat_scratch_init 0
		.amdhsa_user_sgpr_kernarg_preload_length 0
		.amdhsa_user_sgpr_kernarg_preload_offset 0
		.amdhsa_user_sgpr_private_segment_size 0
		.amdhsa_uses_dynamic_stack 0
		.amdhsa_system_sgpr_private_segment_wavefront_offset 0
		.amdhsa_system_sgpr_workgroup_id_x 1
		.amdhsa_system_sgpr_workgroup_id_y 0
		.amdhsa_system_sgpr_workgroup_id_z 0
		.amdhsa_system_sgpr_workgroup_info 0
		.amdhsa_system_vgpr_workitem_id 2
		.amdhsa_next_free_vgpr 62
		.amdhsa_next_free_sgpr 31
		.amdhsa_accum_offset 64
		.amdhsa_reserve_vcc 1
		.amdhsa_reserve_flat_scratch 0
		.amdhsa_float_round_mode_32 0
		.amdhsa_float_round_mode_16_64 0
		.amdhsa_float_denorm_mode_32 3
		.amdhsa_float_denorm_mode_16_64 3
		.amdhsa_dx10_clamp 1
		.amdhsa_ieee_mode 1
		.amdhsa_fp16_overflow 0
		.amdhsa_tg_split 0
		.amdhsa_exception_fp_ieee_invalid_op 0
		.amdhsa_exception_fp_denorm_src 0
		.amdhsa_exception_fp_ieee_div_zero 0
		.amdhsa_exception_fp_ieee_overflow 0
		.amdhsa_exception_fp_ieee_underflow 0
		.amdhsa_exception_fp_ieee_inexact 0
		.amdhsa_exception_int_div_zero 0
	.end_amdhsa_kernel
	.section	.text._ZN7rocprim17ROCPRIM_400000_NS6detail17trampoline_kernelINS0_14default_configENS1_35radix_sort_onesweep_config_selectorIjNS0_10empty_typeEEEZZNS1_29radix_sort_onesweep_iterationIS3_Lb0EN6thrust23THRUST_200600_302600_NS6detail15normal_iteratorINS9_10device_ptrIjEEEESE_PS5_SF_jNS0_19identity_decomposerENS1_16block_id_wrapperIjLb0EEEEE10hipError_tT1_PNSt15iterator_traitsISK_E10value_typeET2_T3_PNSL_ISQ_E10value_typeET4_T5_PSV_SW_PNS1_23onesweep_lookback_stateEbbT6_jjT7_P12ihipStream_tbENKUlT_T0_SK_SP_E_clISE_SE_SF_SF_EEDaS13_S14_SK_SP_EUlS13_E_NS1_11comp_targetILNS1_3genE4ELNS1_11target_archE910ELNS1_3gpuE8ELNS1_3repE0EEENS1_47radix_sort_onesweep_sort_config_static_selectorELNS0_4arch9wavefront6targetE1EEEvSK_,"axG",@progbits,_ZN7rocprim17ROCPRIM_400000_NS6detail17trampoline_kernelINS0_14default_configENS1_35radix_sort_onesweep_config_selectorIjNS0_10empty_typeEEEZZNS1_29radix_sort_onesweep_iterationIS3_Lb0EN6thrust23THRUST_200600_302600_NS6detail15normal_iteratorINS9_10device_ptrIjEEEESE_PS5_SF_jNS0_19identity_decomposerENS1_16block_id_wrapperIjLb0EEEEE10hipError_tT1_PNSt15iterator_traitsISK_E10value_typeET2_T3_PNSL_ISQ_E10value_typeET4_T5_PSV_SW_PNS1_23onesweep_lookback_stateEbbT6_jjT7_P12ihipStream_tbENKUlT_T0_SK_SP_E_clISE_SE_SF_SF_EEDaS13_S14_SK_SP_EUlS13_E_NS1_11comp_targetILNS1_3genE4ELNS1_11target_archE910ELNS1_3gpuE8ELNS1_3repE0EEENS1_47radix_sort_onesweep_sort_config_static_selectorELNS0_4arch9wavefront6targetE1EEEvSK_,comdat
.Lfunc_end1132:
	.size	_ZN7rocprim17ROCPRIM_400000_NS6detail17trampoline_kernelINS0_14default_configENS1_35radix_sort_onesweep_config_selectorIjNS0_10empty_typeEEEZZNS1_29radix_sort_onesweep_iterationIS3_Lb0EN6thrust23THRUST_200600_302600_NS6detail15normal_iteratorINS9_10device_ptrIjEEEESE_PS5_SF_jNS0_19identity_decomposerENS1_16block_id_wrapperIjLb0EEEEE10hipError_tT1_PNSt15iterator_traitsISK_E10value_typeET2_T3_PNSL_ISQ_E10value_typeET4_T5_PSV_SW_PNS1_23onesweep_lookback_stateEbbT6_jjT7_P12ihipStream_tbENKUlT_T0_SK_SP_E_clISE_SE_SF_SF_EEDaS13_S14_SK_SP_EUlS13_E_NS1_11comp_targetILNS1_3genE4ELNS1_11target_archE910ELNS1_3gpuE8ELNS1_3repE0EEENS1_47radix_sort_onesweep_sort_config_static_selectorELNS0_4arch9wavefront6targetE1EEEvSK_, .Lfunc_end1132-_ZN7rocprim17ROCPRIM_400000_NS6detail17trampoline_kernelINS0_14default_configENS1_35radix_sort_onesweep_config_selectorIjNS0_10empty_typeEEEZZNS1_29radix_sort_onesweep_iterationIS3_Lb0EN6thrust23THRUST_200600_302600_NS6detail15normal_iteratorINS9_10device_ptrIjEEEESE_PS5_SF_jNS0_19identity_decomposerENS1_16block_id_wrapperIjLb0EEEEE10hipError_tT1_PNSt15iterator_traitsISK_E10value_typeET2_T3_PNSL_ISQ_E10value_typeET4_T5_PSV_SW_PNS1_23onesweep_lookback_stateEbbT6_jjT7_P12ihipStream_tbENKUlT_T0_SK_SP_E_clISE_SE_SF_SF_EEDaS13_S14_SK_SP_EUlS13_E_NS1_11comp_targetILNS1_3genE4ELNS1_11target_archE910ELNS1_3gpuE8ELNS1_3repE0EEENS1_47radix_sort_onesweep_sort_config_static_selectorELNS0_4arch9wavefront6targetE1EEEvSK_
                                        ; -- End function
	.section	.AMDGPU.csdata,"",@progbits
; Kernel info:
; codeLenInByte = 13916
; NumSgprs: 35
; NumVgprs: 62
; NumAgprs: 0
; TotalNumVgprs: 62
; ScratchSize: 0
; MemoryBound: 0
; FloatMode: 240
; IeeeMode: 1
; LDSByteSize: 20552 bytes/workgroup (compile time only)
; SGPRBlocks: 4
; VGPRBlocks: 7
; NumSGPRsForWavesPerEU: 35
; NumVGPRsForWavesPerEU: 62
; AccumOffset: 64
; Occupancy: 8
; WaveLimiterHint : 1
; COMPUTE_PGM_RSRC2:SCRATCH_EN: 0
; COMPUTE_PGM_RSRC2:USER_SGPR: 6
; COMPUTE_PGM_RSRC2:TRAP_HANDLER: 0
; COMPUTE_PGM_RSRC2:TGID_X_EN: 1
; COMPUTE_PGM_RSRC2:TGID_Y_EN: 0
; COMPUTE_PGM_RSRC2:TGID_Z_EN: 0
; COMPUTE_PGM_RSRC2:TIDIG_COMP_CNT: 2
; COMPUTE_PGM_RSRC3_GFX90A:ACCUM_OFFSET: 15
; COMPUTE_PGM_RSRC3_GFX90A:TG_SPLIT: 0
	.section	.text._ZN7rocprim17ROCPRIM_400000_NS6detail17trampoline_kernelINS0_14default_configENS1_35radix_sort_onesweep_config_selectorIjNS0_10empty_typeEEEZZNS1_29radix_sort_onesweep_iterationIS3_Lb0EN6thrust23THRUST_200600_302600_NS6detail15normal_iteratorINS9_10device_ptrIjEEEESE_PS5_SF_jNS0_19identity_decomposerENS1_16block_id_wrapperIjLb0EEEEE10hipError_tT1_PNSt15iterator_traitsISK_E10value_typeET2_T3_PNSL_ISQ_E10value_typeET4_T5_PSV_SW_PNS1_23onesweep_lookback_stateEbbT6_jjT7_P12ihipStream_tbENKUlT_T0_SK_SP_E_clISE_SE_SF_SF_EEDaS13_S14_SK_SP_EUlS13_E_NS1_11comp_targetILNS1_3genE3ELNS1_11target_archE908ELNS1_3gpuE7ELNS1_3repE0EEENS1_47radix_sort_onesweep_sort_config_static_selectorELNS0_4arch9wavefront6targetE1EEEvSK_,"axG",@progbits,_ZN7rocprim17ROCPRIM_400000_NS6detail17trampoline_kernelINS0_14default_configENS1_35radix_sort_onesweep_config_selectorIjNS0_10empty_typeEEEZZNS1_29radix_sort_onesweep_iterationIS3_Lb0EN6thrust23THRUST_200600_302600_NS6detail15normal_iteratorINS9_10device_ptrIjEEEESE_PS5_SF_jNS0_19identity_decomposerENS1_16block_id_wrapperIjLb0EEEEE10hipError_tT1_PNSt15iterator_traitsISK_E10value_typeET2_T3_PNSL_ISQ_E10value_typeET4_T5_PSV_SW_PNS1_23onesweep_lookback_stateEbbT6_jjT7_P12ihipStream_tbENKUlT_T0_SK_SP_E_clISE_SE_SF_SF_EEDaS13_S14_SK_SP_EUlS13_E_NS1_11comp_targetILNS1_3genE3ELNS1_11target_archE908ELNS1_3gpuE7ELNS1_3repE0EEENS1_47radix_sort_onesweep_sort_config_static_selectorELNS0_4arch9wavefront6targetE1EEEvSK_,comdat
	.protected	_ZN7rocprim17ROCPRIM_400000_NS6detail17trampoline_kernelINS0_14default_configENS1_35radix_sort_onesweep_config_selectorIjNS0_10empty_typeEEEZZNS1_29radix_sort_onesweep_iterationIS3_Lb0EN6thrust23THRUST_200600_302600_NS6detail15normal_iteratorINS9_10device_ptrIjEEEESE_PS5_SF_jNS0_19identity_decomposerENS1_16block_id_wrapperIjLb0EEEEE10hipError_tT1_PNSt15iterator_traitsISK_E10value_typeET2_T3_PNSL_ISQ_E10value_typeET4_T5_PSV_SW_PNS1_23onesweep_lookback_stateEbbT6_jjT7_P12ihipStream_tbENKUlT_T0_SK_SP_E_clISE_SE_SF_SF_EEDaS13_S14_SK_SP_EUlS13_E_NS1_11comp_targetILNS1_3genE3ELNS1_11target_archE908ELNS1_3gpuE7ELNS1_3repE0EEENS1_47radix_sort_onesweep_sort_config_static_selectorELNS0_4arch9wavefront6targetE1EEEvSK_ ; -- Begin function _ZN7rocprim17ROCPRIM_400000_NS6detail17trampoline_kernelINS0_14default_configENS1_35radix_sort_onesweep_config_selectorIjNS0_10empty_typeEEEZZNS1_29radix_sort_onesweep_iterationIS3_Lb0EN6thrust23THRUST_200600_302600_NS6detail15normal_iteratorINS9_10device_ptrIjEEEESE_PS5_SF_jNS0_19identity_decomposerENS1_16block_id_wrapperIjLb0EEEEE10hipError_tT1_PNSt15iterator_traitsISK_E10value_typeET2_T3_PNSL_ISQ_E10value_typeET4_T5_PSV_SW_PNS1_23onesweep_lookback_stateEbbT6_jjT7_P12ihipStream_tbENKUlT_T0_SK_SP_E_clISE_SE_SF_SF_EEDaS13_S14_SK_SP_EUlS13_E_NS1_11comp_targetILNS1_3genE3ELNS1_11target_archE908ELNS1_3gpuE7ELNS1_3repE0EEENS1_47radix_sort_onesweep_sort_config_static_selectorELNS0_4arch9wavefront6targetE1EEEvSK_
	.globl	_ZN7rocprim17ROCPRIM_400000_NS6detail17trampoline_kernelINS0_14default_configENS1_35radix_sort_onesweep_config_selectorIjNS0_10empty_typeEEEZZNS1_29radix_sort_onesweep_iterationIS3_Lb0EN6thrust23THRUST_200600_302600_NS6detail15normal_iteratorINS9_10device_ptrIjEEEESE_PS5_SF_jNS0_19identity_decomposerENS1_16block_id_wrapperIjLb0EEEEE10hipError_tT1_PNSt15iterator_traitsISK_E10value_typeET2_T3_PNSL_ISQ_E10value_typeET4_T5_PSV_SW_PNS1_23onesweep_lookback_stateEbbT6_jjT7_P12ihipStream_tbENKUlT_T0_SK_SP_E_clISE_SE_SF_SF_EEDaS13_S14_SK_SP_EUlS13_E_NS1_11comp_targetILNS1_3genE3ELNS1_11target_archE908ELNS1_3gpuE7ELNS1_3repE0EEENS1_47radix_sort_onesweep_sort_config_static_selectorELNS0_4arch9wavefront6targetE1EEEvSK_
	.p2align	8
	.type	_ZN7rocprim17ROCPRIM_400000_NS6detail17trampoline_kernelINS0_14default_configENS1_35radix_sort_onesweep_config_selectorIjNS0_10empty_typeEEEZZNS1_29radix_sort_onesweep_iterationIS3_Lb0EN6thrust23THRUST_200600_302600_NS6detail15normal_iteratorINS9_10device_ptrIjEEEESE_PS5_SF_jNS0_19identity_decomposerENS1_16block_id_wrapperIjLb0EEEEE10hipError_tT1_PNSt15iterator_traitsISK_E10value_typeET2_T3_PNSL_ISQ_E10value_typeET4_T5_PSV_SW_PNS1_23onesweep_lookback_stateEbbT6_jjT7_P12ihipStream_tbENKUlT_T0_SK_SP_E_clISE_SE_SF_SF_EEDaS13_S14_SK_SP_EUlS13_E_NS1_11comp_targetILNS1_3genE3ELNS1_11target_archE908ELNS1_3gpuE7ELNS1_3repE0EEENS1_47radix_sort_onesweep_sort_config_static_selectorELNS0_4arch9wavefront6targetE1EEEvSK_,@function
_ZN7rocprim17ROCPRIM_400000_NS6detail17trampoline_kernelINS0_14default_configENS1_35radix_sort_onesweep_config_selectorIjNS0_10empty_typeEEEZZNS1_29radix_sort_onesweep_iterationIS3_Lb0EN6thrust23THRUST_200600_302600_NS6detail15normal_iteratorINS9_10device_ptrIjEEEESE_PS5_SF_jNS0_19identity_decomposerENS1_16block_id_wrapperIjLb0EEEEE10hipError_tT1_PNSt15iterator_traitsISK_E10value_typeET2_T3_PNSL_ISQ_E10value_typeET4_T5_PSV_SW_PNS1_23onesweep_lookback_stateEbbT6_jjT7_P12ihipStream_tbENKUlT_T0_SK_SP_E_clISE_SE_SF_SF_EEDaS13_S14_SK_SP_EUlS13_E_NS1_11comp_targetILNS1_3genE3ELNS1_11target_archE908ELNS1_3gpuE7ELNS1_3repE0EEENS1_47radix_sort_onesweep_sort_config_static_selectorELNS0_4arch9wavefront6targetE1EEEvSK_: ; @_ZN7rocprim17ROCPRIM_400000_NS6detail17trampoline_kernelINS0_14default_configENS1_35radix_sort_onesweep_config_selectorIjNS0_10empty_typeEEEZZNS1_29radix_sort_onesweep_iterationIS3_Lb0EN6thrust23THRUST_200600_302600_NS6detail15normal_iteratorINS9_10device_ptrIjEEEESE_PS5_SF_jNS0_19identity_decomposerENS1_16block_id_wrapperIjLb0EEEEE10hipError_tT1_PNSt15iterator_traitsISK_E10value_typeET2_T3_PNSL_ISQ_E10value_typeET4_T5_PSV_SW_PNS1_23onesweep_lookback_stateEbbT6_jjT7_P12ihipStream_tbENKUlT_T0_SK_SP_E_clISE_SE_SF_SF_EEDaS13_S14_SK_SP_EUlS13_E_NS1_11comp_targetILNS1_3genE3ELNS1_11target_archE908ELNS1_3gpuE7ELNS1_3repE0EEENS1_47radix_sort_onesweep_sort_config_static_selectorELNS0_4arch9wavefront6targetE1EEEvSK_
; %bb.0:
	.section	.rodata,"a",@progbits
	.p2align	6, 0x0
	.amdhsa_kernel _ZN7rocprim17ROCPRIM_400000_NS6detail17trampoline_kernelINS0_14default_configENS1_35radix_sort_onesweep_config_selectorIjNS0_10empty_typeEEEZZNS1_29radix_sort_onesweep_iterationIS3_Lb0EN6thrust23THRUST_200600_302600_NS6detail15normal_iteratorINS9_10device_ptrIjEEEESE_PS5_SF_jNS0_19identity_decomposerENS1_16block_id_wrapperIjLb0EEEEE10hipError_tT1_PNSt15iterator_traitsISK_E10value_typeET2_T3_PNSL_ISQ_E10value_typeET4_T5_PSV_SW_PNS1_23onesweep_lookback_stateEbbT6_jjT7_P12ihipStream_tbENKUlT_T0_SK_SP_E_clISE_SE_SF_SF_EEDaS13_S14_SK_SP_EUlS13_E_NS1_11comp_targetILNS1_3genE3ELNS1_11target_archE908ELNS1_3gpuE7ELNS1_3repE0EEENS1_47radix_sort_onesweep_sort_config_static_selectorELNS0_4arch9wavefront6targetE1EEEvSK_
		.amdhsa_group_segment_fixed_size 0
		.amdhsa_private_segment_fixed_size 0
		.amdhsa_kernarg_size 88
		.amdhsa_user_sgpr_count 6
		.amdhsa_user_sgpr_private_segment_buffer 1
		.amdhsa_user_sgpr_dispatch_ptr 0
		.amdhsa_user_sgpr_queue_ptr 0
		.amdhsa_user_sgpr_kernarg_segment_ptr 1
		.amdhsa_user_sgpr_dispatch_id 0
		.amdhsa_user_sgpr_flat_scratch_init 0
		.amdhsa_user_sgpr_kernarg_preload_length 0
		.amdhsa_user_sgpr_kernarg_preload_offset 0
		.amdhsa_user_sgpr_private_segment_size 0
		.amdhsa_uses_dynamic_stack 0
		.amdhsa_system_sgpr_private_segment_wavefront_offset 0
		.amdhsa_system_sgpr_workgroup_id_x 1
		.amdhsa_system_sgpr_workgroup_id_y 0
		.amdhsa_system_sgpr_workgroup_id_z 0
		.amdhsa_system_sgpr_workgroup_info 0
		.amdhsa_system_vgpr_workitem_id 0
		.amdhsa_next_free_vgpr 1
		.amdhsa_next_free_sgpr 0
		.amdhsa_accum_offset 4
		.amdhsa_reserve_vcc 0
		.amdhsa_reserve_flat_scratch 0
		.amdhsa_float_round_mode_32 0
		.amdhsa_float_round_mode_16_64 0
		.amdhsa_float_denorm_mode_32 3
		.amdhsa_float_denorm_mode_16_64 3
		.amdhsa_dx10_clamp 1
		.amdhsa_ieee_mode 1
		.amdhsa_fp16_overflow 0
		.amdhsa_tg_split 0
		.amdhsa_exception_fp_ieee_invalid_op 0
		.amdhsa_exception_fp_denorm_src 0
		.amdhsa_exception_fp_ieee_div_zero 0
		.amdhsa_exception_fp_ieee_overflow 0
		.amdhsa_exception_fp_ieee_underflow 0
		.amdhsa_exception_fp_ieee_inexact 0
		.amdhsa_exception_int_div_zero 0
	.end_amdhsa_kernel
	.section	.text._ZN7rocprim17ROCPRIM_400000_NS6detail17trampoline_kernelINS0_14default_configENS1_35radix_sort_onesweep_config_selectorIjNS0_10empty_typeEEEZZNS1_29radix_sort_onesweep_iterationIS3_Lb0EN6thrust23THRUST_200600_302600_NS6detail15normal_iteratorINS9_10device_ptrIjEEEESE_PS5_SF_jNS0_19identity_decomposerENS1_16block_id_wrapperIjLb0EEEEE10hipError_tT1_PNSt15iterator_traitsISK_E10value_typeET2_T3_PNSL_ISQ_E10value_typeET4_T5_PSV_SW_PNS1_23onesweep_lookback_stateEbbT6_jjT7_P12ihipStream_tbENKUlT_T0_SK_SP_E_clISE_SE_SF_SF_EEDaS13_S14_SK_SP_EUlS13_E_NS1_11comp_targetILNS1_3genE3ELNS1_11target_archE908ELNS1_3gpuE7ELNS1_3repE0EEENS1_47radix_sort_onesweep_sort_config_static_selectorELNS0_4arch9wavefront6targetE1EEEvSK_,"axG",@progbits,_ZN7rocprim17ROCPRIM_400000_NS6detail17trampoline_kernelINS0_14default_configENS1_35radix_sort_onesweep_config_selectorIjNS0_10empty_typeEEEZZNS1_29radix_sort_onesweep_iterationIS3_Lb0EN6thrust23THRUST_200600_302600_NS6detail15normal_iteratorINS9_10device_ptrIjEEEESE_PS5_SF_jNS0_19identity_decomposerENS1_16block_id_wrapperIjLb0EEEEE10hipError_tT1_PNSt15iterator_traitsISK_E10value_typeET2_T3_PNSL_ISQ_E10value_typeET4_T5_PSV_SW_PNS1_23onesweep_lookback_stateEbbT6_jjT7_P12ihipStream_tbENKUlT_T0_SK_SP_E_clISE_SE_SF_SF_EEDaS13_S14_SK_SP_EUlS13_E_NS1_11comp_targetILNS1_3genE3ELNS1_11target_archE908ELNS1_3gpuE7ELNS1_3repE0EEENS1_47radix_sort_onesweep_sort_config_static_selectorELNS0_4arch9wavefront6targetE1EEEvSK_,comdat
.Lfunc_end1133:
	.size	_ZN7rocprim17ROCPRIM_400000_NS6detail17trampoline_kernelINS0_14default_configENS1_35radix_sort_onesweep_config_selectorIjNS0_10empty_typeEEEZZNS1_29radix_sort_onesweep_iterationIS3_Lb0EN6thrust23THRUST_200600_302600_NS6detail15normal_iteratorINS9_10device_ptrIjEEEESE_PS5_SF_jNS0_19identity_decomposerENS1_16block_id_wrapperIjLb0EEEEE10hipError_tT1_PNSt15iterator_traitsISK_E10value_typeET2_T3_PNSL_ISQ_E10value_typeET4_T5_PSV_SW_PNS1_23onesweep_lookback_stateEbbT6_jjT7_P12ihipStream_tbENKUlT_T0_SK_SP_E_clISE_SE_SF_SF_EEDaS13_S14_SK_SP_EUlS13_E_NS1_11comp_targetILNS1_3genE3ELNS1_11target_archE908ELNS1_3gpuE7ELNS1_3repE0EEENS1_47radix_sort_onesweep_sort_config_static_selectorELNS0_4arch9wavefront6targetE1EEEvSK_, .Lfunc_end1133-_ZN7rocprim17ROCPRIM_400000_NS6detail17trampoline_kernelINS0_14default_configENS1_35radix_sort_onesweep_config_selectorIjNS0_10empty_typeEEEZZNS1_29radix_sort_onesweep_iterationIS3_Lb0EN6thrust23THRUST_200600_302600_NS6detail15normal_iteratorINS9_10device_ptrIjEEEESE_PS5_SF_jNS0_19identity_decomposerENS1_16block_id_wrapperIjLb0EEEEE10hipError_tT1_PNSt15iterator_traitsISK_E10value_typeET2_T3_PNSL_ISQ_E10value_typeET4_T5_PSV_SW_PNS1_23onesweep_lookback_stateEbbT6_jjT7_P12ihipStream_tbENKUlT_T0_SK_SP_E_clISE_SE_SF_SF_EEDaS13_S14_SK_SP_EUlS13_E_NS1_11comp_targetILNS1_3genE3ELNS1_11target_archE908ELNS1_3gpuE7ELNS1_3repE0EEENS1_47radix_sort_onesweep_sort_config_static_selectorELNS0_4arch9wavefront6targetE1EEEvSK_
                                        ; -- End function
	.section	.AMDGPU.csdata,"",@progbits
; Kernel info:
; codeLenInByte = 0
; NumSgprs: 4
; NumVgprs: 0
; NumAgprs: 0
; TotalNumVgprs: 0
; ScratchSize: 0
; MemoryBound: 0
; FloatMode: 240
; IeeeMode: 1
; LDSByteSize: 0 bytes/workgroup (compile time only)
; SGPRBlocks: 0
; VGPRBlocks: 0
; NumSGPRsForWavesPerEU: 4
; NumVGPRsForWavesPerEU: 1
; AccumOffset: 4
; Occupancy: 8
; WaveLimiterHint : 0
; COMPUTE_PGM_RSRC2:SCRATCH_EN: 0
; COMPUTE_PGM_RSRC2:USER_SGPR: 6
; COMPUTE_PGM_RSRC2:TRAP_HANDLER: 0
; COMPUTE_PGM_RSRC2:TGID_X_EN: 1
; COMPUTE_PGM_RSRC2:TGID_Y_EN: 0
; COMPUTE_PGM_RSRC2:TGID_Z_EN: 0
; COMPUTE_PGM_RSRC2:TIDIG_COMP_CNT: 0
; COMPUTE_PGM_RSRC3_GFX90A:ACCUM_OFFSET: 0
; COMPUTE_PGM_RSRC3_GFX90A:TG_SPLIT: 0
	.section	.text._ZN7rocprim17ROCPRIM_400000_NS6detail17trampoline_kernelINS0_14default_configENS1_35radix_sort_onesweep_config_selectorIjNS0_10empty_typeEEEZZNS1_29radix_sort_onesweep_iterationIS3_Lb0EN6thrust23THRUST_200600_302600_NS6detail15normal_iteratorINS9_10device_ptrIjEEEESE_PS5_SF_jNS0_19identity_decomposerENS1_16block_id_wrapperIjLb0EEEEE10hipError_tT1_PNSt15iterator_traitsISK_E10value_typeET2_T3_PNSL_ISQ_E10value_typeET4_T5_PSV_SW_PNS1_23onesweep_lookback_stateEbbT6_jjT7_P12ihipStream_tbENKUlT_T0_SK_SP_E_clISE_SE_SF_SF_EEDaS13_S14_SK_SP_EUlS13_E_NS1_11comp_targetILNS1_3genE10ELNS1_11target_archE1201ELNS1_3gpuE5ELNS1_3repE0EEENS1_47radix_sort_onesweep_sort_config_static_selectorELNS0_4arch9wavefront6targetE1EEEvSK_,"axG",@progbits,_ZN7rocprim17ROCPRIM_400000_NS6detail17trampoline_kernelINS0_14default_configENS1_35radix_sort_onesweep_config_selectorIjNS0_10empty_typeEEEZZNS1_29radix_sort_onesweep_iterationIS3_Lb0EN6thrust23THRUST_200600_302600_NS6detail15normal_iteratorINS9_10device_ptrIjEEEESE_PS5_SF_jNS0_19identity_decomposerENS1_16block_id_wrapperIjLb0EEEEE10hipError_tT1_PNSt15iterator_traitsISK_E10value_typeET2_T3_PNSL_ISQ_E10value_typeET4_T5_PSV_SW_PNS1_23onesweep_lookback_stateEbbT6_jjT7_P12ihipStream_tbENKUlT_T0_SK_SP_E_clISE_SE_SF_SF_EEDaS13_S14_SK_SP_EUlS13_E_NS1_11comp_targetILNS1_3genE10ELNS1_11target_archE1201ELNS1_3gpuE5ELNS1_3repE0EEENS1_47radix_sort_onesweep_sort_config_static_selectorELNS0_4arch9wavefront6targetE1EEEvSK_,comdat
	.protected	_ZN7rocprim17ROCPRIM_400000_NS6detail17trampoline_kernelINS0_14default_configENS1_35radix_sort_onesweep_config_selectorIjNS0_10empty_typeEEEZZNS1_29radix_sort_onesweep_iterationIS3_Lb0EN6thrust23THRUST_200600_302600_NS6detail15normal_iteratorINS9_10device_ptrIjEEEESE_PS5_SF_jNS0_19identity_decomposerENS1_16block_id_wrapperIjLb0EEEEE10hipError_tT1_PNSt15iterator_traitsISK_E10value_typeET2_T3_PNSL_ISQ_E10value_typeET4_T5_PSV_SW_PNS1_23onesweep_lookback_stateEbbT6_jjT7_P12ihipStream_tbENKUlT_T0_SK_SP_E_clISE_SE_SF_SF_EEDaS13_S14_SK_SP_EUlS13_E_NS1_11comp_targetILNS1_3genE10ELNS1_11target_archE1201ELNS1_3gpuE5ELNS1_3repE0EEENS1_47radix_sort_onesweep_sort_config_static_selectorELNS0_4arch9wavefront6targetE1EEEvSK_ ; -- Begin function _ZN7rocprim17ROCPRIM_400000_NS6detail17trampoline_kernelINS0_14default_configENS1_35radix_sort_onesweep_config_selectorIjNS0_10empty_typeEEEZZNS1_29radix_sort_onesweep_iterationIS3_Lb0EN6thrust23THRUST_200600_302600_NS6detail15normal_iteratorINS9_10device_ptrIjEEEESE_PS5_SF_jNS0_19identity_decomposerENS1_16block_id_wrapperIjLb0EEEEE10hipError_tT1_PNSt15iterator_traitsISK_E10value_typeET2_T3_PNSL_ISQ_E10value_typeET4_T5_PSV_SW_PNS1_23onesweep_lookback_stateEbbT6_jjT7_P12ihipStream_tbENKUlT_T0_SK_SP_E_clISE_SE_SF_SF_EEDaS13_S14_SK_SP_EUlS13_E_NS1_11comp_targetILNS1_3genE10ELNS1_11target_archE1201ELNS1_3gpuE5ELNS1_3repE0EEENS1_47radix_sort_onesweep_sort_config_static_selectorELNS0_4arch9wavefront6targetE1EEEvSK_
	.globl	_ZN7rocprim17ROCPRIM_400000_NS6detail17trampoline_kernelINS0_14default_configENS1_35radix_sort_onesweep_config_selectorIjNS0_10empty_typeEEEZZNS1_29radix_sort_onesweep_iterationIS3_Lb0EN6thrust23THRUST_200600_302600_NS6detail15normal_iteratorINS9_10device_ptrIjEEEESE_PS5_SF_jNS0_19identity_decomposerENS1_16block_id_wrapperIjLb0EEEEE10hipError_tT1_PNSt15iterator_traitsISK_E10value_typeET2_T3_PNSL_ISQ_E10value_typeET4_T5_PSV_SW_PNS1_23onesweep_lookback_stateEbbT6_jjT7_P12ihipStream_tbENKUlT_T0_SK_SP_E_clISE_SE_SF_SF_EEDaS13_S14_SK_SP_EUlS13_E_NS1_11comp_targetILNS1_3genE10ELNS1_11target_archE1201ELNS1_3gpuE5ELNS1_3repE0EEENS1_47radix_sort_onesweep_sort_config_static_selectorELNS0_4arch9wavefront6targetE1EEEvSK_
	.p2align	8
	.type	_ZN7rocprim17ROCPRIM_400000_NS6detail17trampoline_kernelINS0_14default_configENS1_35radix_sort_onesweep_config_selectorIjNS0_10empty_typeEEEZZNS1_29radix_sort_onesweep_iterationIS3_Lb0EN6thrust23THRUST_200600_302600_NS6detail15normal_iteratorINS9_10device_ptrIjEEEESE_PS5_SF_jNS0_19identity_decomposerENS1_16block_id_wrapperIjLb0EEEEE10hipError_tT1_PNSt15iterator_traitsISK_E10value_typeET2_T3_PNSL_ISQ_E10value_typeET4_T5_PSV_SW_PNS1_23onesweep_lookback_stateEbbT6_jjT7_P12ihipStream_tbENKUlT_T0_SK_SP_E_clISE_SE_SF_SF_EEDaS13_S14_SK_SP_EUlS13_E_NS1_11comp_targetILNS1_3genE10ELNS1_11target_archE1201ELNS1_3gpuE5ELNS1_3repE0EEENS1_47radix_sort_onesweep_sort_config_static_selectorELNS0_4arch9wavefront6targetE1EEEvSK_,@function
_ZN7rocprim17ROCPRIM_400000_NS6detail17trampoline_kernelINS0_14default_configENS1_35radix_sort_onesweep_config_selectorIjNS0_10empty_typeEEEZZNS1_29radix_sort_onesweep_iterationIS3_Lb0EN6thrust23THRUST_200600_302600_NS6detail15normal_iteratorINS9_10device_ptrIjEEEESE_PS5_SF_jNS0_19identity_decomposerENS1_16block_id_wrapperIjLb0EEEEE10hipError_tT1_PNSt15iterator_traitsISK_E10value_typeET2_T3_PNSL_ISQ_E10value_typeET4_T5_PSV_SW_PNS1_23onesweep_lookback_stateEbbT6_jjT7_P12ihipStream_tbENKUlT_T0_SK_SP_E_clISE_SE_SF_SF_EEDaS13_S14_SK_SP_EUlS13_E_NS1_11comp_targetILNS1_3genE10ELNS1_11target_archE1201ELNS1_3gpuE5ELNS1_3repE0EEENS1_47radix_sort_onesweep_sort_config_static_selectorELNS0_4arch9wavefront6targetE1EEEvSK_: ; @_ZN7rocprim17ROCPRIM_400000_NS6detail17trampoline_kernelINS0_14default_configENS1_35radix_sort_onesweep_config_selectorIjNS0_10empty_typeEEEZZNS1_29radix_sort_onesweep_iterationIS3_Lb0EN6thrust23THRUST_200600_302600_NS6detail15normal_iteratorINS9_10device_ptrIjEEEESE_PS5_SF_jNS0_19identity_decomposerENS1_16block_id_wrapperIjLb0EEEEE10hipError_tT1_PNSt15iterator_traitsISK_E10value_typeET2_T3_PNSL_ISQ_E10value_typeET4_T5_PSV_SW_PNS1_23onesweep_lookback_stateEbbT6_jjT7_P12ihipStream_tbENKUlT_T0_SK_SP_E_clISE_SE_SF_SF_EEDaS13_S14_SK_SP_EUlS13_E_NS1_11comp_targetILNS1_3genE10ELNS1_11target_archE1201ELNS1_3gpuE5ELNS1_3repE0EEENS1_47radix_sort_onesweep_sort_config_static_selectorELNS0_4arch9wavefront6targetE1EEEvSK_
; %bb.0:
	.section	.rodata,"a",@progbits
	.p2align	6, 0x0
	.amdhsa_kernel _ZN7rocprim17ROCPRIM_400000_NS6detail17trampoline_kernelINS0_14default_configENS1_35radix_sort_onesweep_config_selectorIjNS0_10empty_typeEEEZZNS1_29radix_sort_onesweep_iterationIS3_Lb0EN6thrust23THRUST_200600_302600_NS6detail15normal_iteratorINS9_10device_ptrIjEEEESE_PS5_SF_jNS0_19identity_decomposerENS1_16block_id_wrapperIjLb0EEEEE10hipError_tT1_PNSt15iterator_traitsISK_E10value_typeET2_T3_PNSL_ISQ_E10value_typeET4_T5_PSV_SW_PNS1_23onesweep_lookback_stateEbbT6_jjT7_P12ihipStream_tbENKUlT_T0_SK_SP_E_clISE_SE_SF_SF_EEDaS13_S14_SK_SP_EUlS13_E_NS1_11comp_targetILNS1_3genE10ELNS1_11target_archE1201ELNS1_3gpuE5ELNS1_3repE0EEENS1_47radix_sort_onesweep_sort_config_static_selectorELNS0_4arch9wavefront6targetE1EEEvSK_
		.amdhsa_group_segment_fixed_size 0
		.amdhsa_private_segment_fixed_size 0
		.amdhsa_kernarg_size 88
		.amdhsa_user_sgpr_count 6
		.amdhsa_user_sgpr_private_segment_buffer 1
		.amdhsa_user_sgpr_dispatch_ptr 0
		.amdhsa_user_sgpr_queue_ptr 0
		.amdhsa_user_sgpr_kernarg_segment_ptr 1
		.amdhsa_user_sgpr_dispatch_id 0
		.amdhsa_user_sgpr_flat_scratch_init 0
		.amdhsa_user_sgpr_kernarg_preload_length 0
		.amdhsa_user_sgpr_kernarg_preload_offset 0
		.amdhsa_user_sgpr_private_segment_size 0
		.amdhsa_uses_dynamic_stack 0
		.amdhsa_system_sgpr_private_segment_wavefront_offset 0
		.amdhsa_system_sgpr_workgroup_id_x 1
		.amdhsa_system_sgpr_workgroup_id_y 0
		.amdhsa_system_sgpr_workgroup_id_z 0
		.amdhsa_system_sgpr_workgroup_info 0
		.amdhsa_system_vgpr_workitem_id 0
		.amdhsa_next_free_vgpr 1
		.amdhsa_next_free_sgpr 0
		.amdhsa_accum_offset 4
		.amdhsa_reserve_vcc 0
		.amdhsa_reserve_flat_scratch 0
		.amdhsa_float_round_mode_32 0
		.amdhsa_float_round_mode_16_64 0
		.amdhsa_float_denorm_mode_32 3
		.amdhsa_float_denorm_mode_16_64 3
		.amdhsa_dx10_clamp 1
		.amdhsa_ieee_mode 1
		.amdhsa_fp16_overflow 0
		.amdhsa_tg_split 0
		.amdhsa_exception_fp_ieee_invalid_op 0
		.amdhsa_exception_fp_denorm_src 0
		.amdhsa_exception_fp_ieee_div_zero 0
		.amdhsa_exception_fp_ieee_overflow 0
		.amdhsa_exception_fp_ieee_underflow 0
		.amdhsa_exception_fp_ieee_inexact 0
		.amdhsa_exception_int_div_zero 0
	.end_amdhsa_kernel
	.section	.text._ZN7rocprim17ROCPRIM_400000_NS6detail17trampoline_kernelINS0_14default_configENS1_35radix_sort_onesweep_config_selectorIjNS0_10empty_typeEEEZZNS1_29radix_sort_onesweep_iterationIS3_Lb0EN6thrust23THRUST_200600_302600_NS6detail15normal_iteratorINS9_10device_ptrIjEEEESE_PS5_SF_jNS0_19identity_decomposerENS1_16block_id_wrapperIjLb0EEEEE10hipError_tT1_PNSt15iterator_traitsISK_E10value_typeET2_T3_PNSL_ISQ_E10value_typeET4_T5_PSV_SW_PNS1_23onesweep_lookback_stateEbbT6_jjT7_P12ihipStream_tbENKUlT_T0_SK_SP_E_clISE_SE_SF_SF_EEDaS13_S14_SK_SP_EUlS13_E_NS1_11comp_targetILNS1_3genE10ELNS1_11target_archE1201ELNS1_3gpuE5ELNS1_3repE0EEENS1_47radix_sort_onesweep_sort_config_static_selectorELNS0_4arch9wavefront6targetE1EEEvSK_,"axG",@progbits,_ZN7rocprim17ROCPRIM_400000_NS6detail17trampoline_kernelINS0_14default_configENS1_35radix_sort_onesweep_config_selectorIjNS0_10empty_typeEEEZZNS1_29radix_sort_onesweep_iterationIS3_Lb0EN6thrust23THRUST_200600_302600_NS6detail15normal_iteratorINS9_10device_ptrIjEEEESE_PS5_SF_jNS0_19identity_decomposerENS1_16block_id_wrapperIjLb0EEEEE10hipError_tT1_PNSt15iterator_traitsISK_E10value_typeET2_T3_PNSL_ISQ_E10value_typeET4_T5_PSV_SW_PNS1_23onesweep_lookback_stateEbbT6_jjT7_P12ihipStream_tbENKUlT_T0_SK_SP_E_clISE_SE_SF_SF_EEDaS13_S14_SK_SP_EUlS13_E_NS1_11comp_targetILNS1_3genE10ELNS1_11target_archE1201ELNS1_3gpuE5ELNS1_3repE0EEENS1_47radix_sort_onesweep_sort_config_static_selectorELNS0_4arch9wavefront6targetE1EEEvSK_,comdat
.Lfunc_end1134:
	.size	_ZN7rocprim17ROCPRIM_400000_NS6detail17trampoline_kernelINS0_14default_configENS1_35radix_sort_onesweep_config_selectorIjNS0_10empty_typeEEEZZNS1_29radix_sort_onesweep_iterationIS3_Lb0EN6thrust23THRUST_200600_302600_NS6detail15normal_iteratorINS9_10device_ptrIjEEEESE_PS5_SF_jNS0_19identity_decomposerENS1_16block_id_wrapperIjLb0EEEEE10hipError_tT1_PNSt15iterator_traitsISK_E10value_typeET2_T3_PNSL_ISQ_E10value_typeET4_T5_PSV_SW_PNS1_23onesweep_lookback_stateEbbT6_jjT7_P12ihipStream_tbENKUlT_T0_SK_SP_E_clISE_SE_SF_SF_EEDaS13_S14_SK_SP_EUlS13_E_NS1_11comp_targetILNS1_3genE10ELNS1_11target_archE1201ELNS1_3gpuE5ELNS1_3repE0EEENS1_47radix_sort_onesweep_sort_config_static_selectorELNS0_4arch9wavefront6targetE1EEEvSK_, .Lfunc_end1134-_ZN7rocprim17ROCPRIM_400000_NS6detail17trampoline_kernelINS0_14default_configENS1_35radix_sort_onesweep_config_selectorIjNS0_10empty_typeEEEZZNS1_29radix_sort_onesweep_iterationIS3_Lb0EN6thrust23THRUST_200600_302600_NS6detail15normal_iteratorINS9_10device_ptrIjEEEESE_PS5_SF_jNS0_19identity_decomposerENS1_16block_id_wrapperIjLb0EEEEE10hipError_tT1_PNSt15iterator_traitsISK_E10value_typeET2_T3_PNSL_ISQ_E10value_typeET4_T5_PSV_SW_PNS1_23onesweep_lookback_stateEbbT6_jjT7_P12ihipStream_tbENKUlT_T0_SK_SP_E_clISE_SE_SF_SF_EEDaS13_S14_SK_SP_EUlS13_E_NS1_11comp_targetILNS1_3genE10ELNS1_11target_archE1201ELNS1_3gpuE5ELNS1_3repE0EEENS1_47radix_sort_onesweep_sort_config_static_selectorELNS0_4arch9wavefront6targetE1EEEvSK_
                                        ; -- End function
	.section	.AMDGPU.csdata,"",@progbits
; Kernel info:
; codeLenInByte = 0
; NumSgprs: 4
; NumVgprs: 0
; NumAgprs: 0
; TotalNumVgprs: 0
; ScratchSize: 0
; MemoryBound: 0
; FloatMode: 240
; IeeeMode: 1
; LDSByteSize: 0 bytes/workgroup (compile time only)
; SGPRBlocks: 0
; VGPRBlocks: 0
; NumSGPRsForWavesPerEU: 4
; NumVGPRsForWavesPerEU: 1
; AccumOffset: 4
; Occupancy: 8
; WaveLimiterHint : 0
; COMPUTE_PGM_RSRC2:SCRATCH_EN: 0
; COMPUTE_PGM_RSRC2:USER_SGPR: 6
; COMPUTE_PGM_RSRC2:TRAP_HANDLER: 0
; COMPUTE_PGM_RSRC2:TGID_X_EN: 1
; COMPUTE_PGM_RSRC2:TGID_Y_EN: 0
; COMPUTE_PGM_RSRC2:TGID_Z_EN: 0
; COMPUTE_PGM_RSRC2:TIDIG_COMP_CNT: 0
; COMPUTE_PGM_RSRC3_GFX90A:ACCUM_OFFSET: 0
; COMPUTE_PGM_RSRC3_GFX90A:TG_SPLIT: 0
	.section	.text._ZN7rocprim17ROCPRIM_400000_NS6detail17trampoline_kernelINS0_14default_configENS1_35radix_sort_onesweep_config_selectorIjNS0_10empty_typeEEEZZNS1_29radix_sort_onesweep_iterationIS3_Lb0EN6thrust23THRUST_200600_302600_NS6detail15normal_iteratorINS9_10device_ptrIjEEEESE_PS5_SF_jNS0_19identity_decomposerENS1_16block_id_wrapperIjLb0EEEEE10hipError_tT1_PNSt15iterator_traitsISK_E10value_typeET2_T3_PNSL_ISQ_E10value_typeET4_T5_PSV_SW_PNS1_23onesweep_lookback_stateEbbT6_jjT7_P12ihipStream_tbENKUlT_T0_SK_SP_E_clISE_SE_SF_SF_EEDaS13_S14_SK_SP_EUlS13_E_NS1_11comp_targetILNS1_3genE9ELNS1_11target_archE1100ELNS1_3gpuE3ELNS1_3repE0EEENS1_47radix_sort_onesweep_sort_config_static_selectorELNS0_4arch9wavefront6targetE1EEEvSK_,"axG",@progbits,_ZN7rocprim17ROCPRIM_400000_NS6detail17trampoline_kernelINS0_14default_configENS1_35radix_sort_onesweep_config_selectorIjNS0_10empty_typeEEEZZNS1_29radix_sort_onesweep_iterationIS3_Lb0EN6thrust23THRUST_200600_302600_NS6detail15normal_iteratorINS9_10device_ptrIjEEEESE_PS5_SF_jNS0_19identity_decomposerENS1_16block_id_wrapperIjLb0EEEEE10hipError_tT1_PNSt15iterator_traitsISK_E10value_typeET2_T3_PNSL_ISQ_E10value_typeET4_T5_PSV_SW_PNS1_23onesweep_lookback_stateEbbT6_jjT7_P12ihipStream_tbENKUlT_T0_SK_SP_E_clISE_SE_SF_SF_EEDaS13_S14_SK_SP_EUlS13_E_NS1_11comp_targetILNS1_3genE9ELNS1_11target_archE1100ELNS1_3gpuE3ELNS1_3repE0EEENS1_47radix_sort_onesweep_sort_config_static_selectorELNS0_4arch9wavefront6targetE1EEEvSK_,comdat
	.protected	_ZN7rocprim17ROCPRIM_400000_NS6detail17trampoline_kernelINS0_14default_configENS1_35radix_sort_onesweep_config_selectorIjNS0_10empty_typeEEEZZNS1_29radix_sort_onesweep_iterationIS3_Lb0EN6thrust23THRUST_200600_302600_NS6detail15normal_iteratorINS9_10device_ptrIjEEEESE_PS5_SF_jNS0_19identity_decomposerENS1_16block_id_wrapperIjLb0EEEEE10hipError_tT1_PNSt15iterator_traitsISK_E10value_typeET2_T3_PNSL_ISQ_E10value_typeET4_T5_PSV_SW_PNS1_23onesweep_lookback_stateEbbT6_jjT7_P12ihipStream_tbENKUlT_T0_SK_SP_E_clISE_SE_SF_SF_EEDaS13_S14_SK_SP_EUlS13_E_NS1_11comp_targetILNS1_3genE9ELNS1_11target_archE1100ELNS1_3gpuE3ELNS1_3repE0EEENS1_47radix_sort_onesweep_sort_config_static_selectorELNS0_4arch9wavefront6targetE1EEEvSK_ ; -- Begin function _ZN7rocprim17ROCPRIM_400000_NS6detail17trampoline_kernelINS0_14default_configENS1_35radix_sort_onesweep_config_selectorIjNS0_10empty_typeEEEZZNS1_29radix_sort_onesweep_iterationIS3_Lb0EN6thrust23THRUST_200600_302600_NS6detail15normal_iteratorINS9_10device_ptrIjEEEESE_PS5_SF_jNS0_19identity_decomposerENS1_16block_id_wrapperIjLb0EEEEE10hipError_tT1_PNSt15iterator_traitsISK_E10value_typeET2_T3_PNSL_ISQ_E10value_typeET4_T5_PSV_SW_PNS1_23onesweep_lookback_stateEbbT6_jjT7_P12ihipStream_tbENKUlT_T0_SK_SP_E_clISE_SE_SF_SF_EEDaS13_S14_SK_SP_EUlS13_E_NS1_11comp_targetILNS1_3genE9ELNS1_11target_archE1100ELNS1_3gpuE3ELNS1_3repE0EEENS1_47radix_sort_onesweep_sort_config_static_selectorELNS0_4arch9wavefront6targetE1EEEvSK_
	.globl	_ZN7rocprim17ROCPRIM_400000_NS6detail17trampoline_kernelINS0_14default_configENS1_35radix_sort_onesweep_config_selectorIjNS0_10empty_typeEEEZZNS1_29radix_sort_onesweep_iterationIS3_Lb0EN6thrust23THRUST_200600_302600_NS6detail15normal_iteratorINS9_10device_ptrIjEEEESE_PS5_SF_jNS0_19identity_decomposerENS1_16block_id_wrapperIjLb0EEEEE10hipError_tT1_PNSt15iterator_traitsISK_E10value_typeET2_T3_PNSL_ISQ_E10value_typeET4_T5_PSV_SW_PNS1_23onesweep_lookback_stateEbbT6_jjT7_P12ihipStream_tbENKUlT_T0_SK_SP_E_clISE_SE_SF_SF_EEDaS13_S14_SK_SP_EUlS13_E_NS1_11comp_targetILNS1_3genE9ELNS1_11target_archE1100ELNS1_3gpuE3ELNS1_3repE0EEENS1_47radix_sort_onesweep_sort_config_static_selectorELNS0_4arch9wavefront6targetE1EEEvSK_
	.p2align	8
	.type	_ZN7rocprim17ROCPRIM_400000_NS6detail17trampoline_kernelINS0_14default_configENS1_35radix_sort_onesweep_config_selectorIjNS0_10empty_typeEEEZZNS1_29radix_sort_onesweep_iterationIS3_Lb0EN6thrust23THRUST_200600_302600_NS6detail15normal_iteratorINS9_10device_ptrIjEEEESE_PS5_SF_jNS0_19identity_decomposerENS1_16block_id_wrapperIjLb0EEEEE10hipError_tT1_PNSt15iterator_traitsISK_E10value_typeET2_T3_PNSL_ISQ_E10value_typeET4_T5_PSV_SW_PNS1_23onesweep_lookback_stateEbbT6_jjT7_P12ihipStream_tbENKUlT_T0_SK_SP_E_clISE_SE_SF_SF_EEDaS13_S14_SK_SP_EUlS13_E_NS1_11comp_targetILNS1_3genE9ELNS1_11target_archE1100ELNS1_3gpuE3ELNS1_3repE0EEENS1_47radix_sort_onesweep_sort_config_static_selectorELNS0_4arch9wavefront6targetE1EEEvSK_,@function
_ZN7rocprim17ROCPRIM_400000_NS6detail17trampoline_kernelINS0_14default_configENS1_35radix_sort_onesweep_config_selectorIjNS0_10empty_typeEEEZZNS1_29radix_sort_onesweep_iterationIS3_Lb0EN6thrust23THRUST_200600_302600_NS6detail15normal_iteratorINS9_10device_ptrIjEEEESE_PS5_SF_jNS0_19identity_decomposerENS1_16block_id_wrapperIjLb0EEEEE10hipError_tT1_PNSt15iterator_traitsISK_E10value_typeET2_T3_PNSL_ISQ_E10value_typeET4_T5_PSV_SW_PNS1_23onesweep_lookback_stateEbbT6_jjT7_P12ihipStream_tbENKUlT_T0_SK_SP_E_clISE_SE_SF_SF_EEDaS13_S14_SK_SP_EUlS13_E_NS1_11comp_targetILNS1_3genE9ELNS1_11target_archE1100ELNS1_3gpuE3ELNS1_3repE0EEENS1_47radix_sort_onesweep_sort_config_static_selectorELNS0_4arch9wavefront6targetE1EEEvSK_: ; @_ZN7rocprim17ROCPRIM_400000_NS6detail17trampoline_kernelINS0_14default_configENS1_35radix_sort_onesweep_config_selectorIjNS0_10empty_typeEEEZZNS1_29radix_sort_onesweep_iterationIS3_Lb0EN6thrust23THRUST_200600_302600_NS6detail15normal_iteratorINS9_10device_ptrIjEEEESE_PS5_SF_jNS0_19identity_decomposerENS1_16block_id_wrapperIjLb0EEEEE10hipError_tT1_PNSt15iterator_traitsISK_E10value_typeET2_T3_PNSL_ISQ_E10value_typeET4_T5_PSV_SW_PNS1_23onesweep_lookback_stateEbbT6_jjT7_P12ihipStream_tbENKUlT_T0_SK_SP_E_clISE_SE_SF_SF_EEDaS13_S14_SK_SP_EUlS13_E_NS1_11comp_targetILNS1_3genE9ELNS1_11target_archE1100ELNS1_3gpuE3ELNS1_3repE0EEENS1_47radix_sort_onesweep_sort_config_static_selectorELNS0_4arch9wavefront6targetE1EEEvSK_
; %bb.0:
	.section	.rodata,"a",@progbits
	.p2align	6, 0x0
	.amdhsa_kernel _ZN7rocprim17ROCPRIM_400000_NS6detail17trampoline_kernelINS0_14default_configENS1_35radix_sort_onesweep_config_selectorIjNS0_10empty_typeEEEZZNS1_29radix_sort_onesweep_iterationIS3_Lb0EN6thrust23THRUST_200600_302600_NS6detail15normal_iteratorINS9_10device_ptrIjEEEESE_PS5_SF_jNS0_19identity_decomposerENS1_16block_id_wrapperIjLb0EEEEE10hipError_tT1_PNSt15iterator_traitsISK_E10value_typeET2_T3_PNSL_ISQ_E10value_typeET4_T5_PSV_SW_PNS1_23onesweep_lookback_stateEbbT6_jjT7_P12ihipStream_tbENKUlT_T0_SK_SP_E_clISE_SE_SF_SF_EEDaS13_S14_SK_SP_EUlS13_E_NS1_11comp_targetILNS1_3genE9ELNS1_11target_archE1100ELNS1_3gpuE3ELNS1_3repE0EEENS1_47radix_sort_onesweep_sort_config_static_selectorELNS0_4arch9wavefront6targetE1EEEvSK_
		.amdhsa_group_segment_fixed_size 0
		.amdhsa_private_segment_fixed_size 0
		.amdhsa_kernarg_size 88
		.amdhsa_user_sgpr_count 6
		.amdhsa_user_sgpr_private_segment_buffer 1
		.amdhsa_user_sgpr_dispatch_ptr 0
		.amdhsa_user_sgpr_queue_ptr 0
		.amdhsa_user_sgpr_kernarg_segment_ptr 1
		.amdhsa_user_sgpr_dispatch_id 0
		.amdhsa_user_sgpr_flat_scratch_init 0
		.amdhsa_user_sgpr_kernarg_preload_length 0
		.amdhsa_user_sgpr_kernarg_preload_offset 0
		.amdhsa_user_sgpr_private_segment_size 0
		.amdhsa_uses_dynamic_stack 0
		.amdhsa_system_sgpr_private_segment_wavefront_offset 0
		.amdhsa_system_sgpr_workgroup_id_x 1
		.amdhsa_system_sgpr_workgroup_id_y 0
		.amdhsa_system_sgpr_workgroup_id_z 0
		.amdhsa_system_sgpr_workgroup_info 0
		.amdhsa_system_vgpr_workitem_id 0
		.amdhsa_next_free_vgpr 1
		.amdhsa_next_free_sgpr 0
		.amdhsa_accum_offset 4
		.amdhsa_reserve_vcc 0
		.amdhsa_reserve_flat_scratch 0
		.amdhsa_float_round_mode_32 0
		.amdhsa_float_round_mode_16_64 0
		.amdhsa_float_denorm_mode_32 3
		.amdhsa_float_denorm_mode_16_64 3
		.amdhsa_dx10_clamp 1
		.amdhsa_ieee_mode 1
		.amdhsa_fp16_overflow 0
		.amdhsa_tg_split 0
		.amdhsa_exception_fp_ieee_invalid_op 0
		.amdhsa_exception_fp_denorm_src 0
		.amdhsa_exception_fp_ieee_div_zero 0
		.amdhsa_exception_fp_ieee_overflow 0
		.amdhsa_exception_fp_ieee_underflow 0
		.amdhsa_exception_fp_ieee_inexact 0
		.amdhsa_exception_int_div_zero 0
	.end_amdhsa_kernel
	.section	.text._ZN7rocprim17ROCPRIM_400000_NS6detail17trampoline_kernelINS0_14default_configENS1_35radix_sort_onesweep_config_selectorIjNS0_10empty_typeEEEZZNS1_29radix_sort_onesweep_iterationIS3_Lb0EN6thrust23THRUST_200600_302600_NS6detail15normal_iteratorINS9_10device_ptrIjEEEESE_PS5_SF_jNS0_19identity_decomposerENS1_16block_id_wrapperIjLb0EEEEE10hipError_tT1_PNSt15iterator_traitsISK_E10value_typeET2_T3_PNSL_ISQ_E10value_typeET4_T5_PSV_SW_PNS1_23onesweep_lookback_stateEbbT6_jjT7_P12ihipStream_tbENKUlT_T0_SK_SP_E_clISE_SE_SF_SF_EEDaS13_S14_SK_SP_EUlS13_E_NS1_11comp_targetILNS1_3genE9ELNS1_11target_archE1100ELNS1_3gpuE3ELNS1_3repE0EEENS1_47radix_sort_onesweep_sort_config_static_selectorELNS0_4arch9wavefront6targetE1EEEvSK_,"axG",@progbits,_ZN7rocprim17ROCPRIM_400000_NS6detail17trampoline_kernelINS0_14default_configENS1_35radix_sort_onesweep_config_selectorIjNS0_10empty_typeEEEZZNS1_29radix_sort_onesweep_iterationIS3_Lb0EN6thrust23THRUST_200600_302600_NS6detail15normal_iteratorINS9_10device_ptrIjEEEESE_PS5_SF_jNS0_19identity_decomposerENS1_16block_id_wrapperIjLb0EEEEE10hipError_tT1_PNSt15iterator_traitsISK_E10value_typeET2_T3_PNSL_ISQ_E10value_typeET4_T5_PSV_SW_PNS1_23onesweep_lookback_stateEbbT6_jjT7_P12ihipStream_tbENKUlT_T0_SK_SP_E_clISE_SE_SF_SF_EEDaS13_S14_SK_SP_EUlS13_E_NS1_11comp_targetILNS1_3genE9ELNS1_11target_archE1100ELNS1_3gpuE3ELNS1_3repE0EEENS1_47radix_sort_onesweep_sort_config_static_selectorELNS0_4arch9wavefront6targetE1EEEvSK_,comdat
.Lfunc_end1135:
	.size	_ZN7rocprim17ROCPRIM_400000_NS6detail17trampoline_kernelINS0_14default_configENS1_35radix_sort_onesweep_config_selectorIjNS0_10empty_typeEEEZZNS1_29radix_sort_onesweep_iterationIS3_Lb0EN6thrust23THRUST_200600_302600_NS6detail15normal_iteratorINS9_10device_ptrIjEEEESE_PS5_SF_jNS0_19identity_decomposerENS1_16block_id_wrapperIjLb0EEEEE10hipError_tT1_PNSt15iterator_traitsISK_E10value_typeET2_T3_PNSL_ISQ_E10value_typeET4_T5_PSV_SW_PNS1_23onesweep_lookback_stateEbbT6_jjT7_P12ihipStream_tbENKUlT_T0_SK_SP_E_clISE_SE_SF_SF_EEDaS13_S14_SK_SP_EUlS13_E_NS1_11comp_targetILNS1_3genE9ELNS1_11target_archE1100ELNS1_3gpuE3ELNS1_3repE0EEENS1_47radix_sort_onesweep_sort_config_static_selectorELNS0_4arch9wavefront6targetE1EEEvSK_, .Lfunc_end1135-_ZN7rocprim17ROCPRIM_400000_NS6detail17trampoline_kernelINS0_14default_configENS1_35radix_sort_onesweep_config_selectorIjNS0_10empty_typeEEEZZNS1_29radix_sort_onesweep_iterationIS3_Lb0EN6thrust23THRUST_200600_302600_NS6detail15normal_iteratorINS9_10device_ptrIjEEEESE_PS5_SF_jNS0_19identity_decomposerENS1_16block_id_wrapperIjLb0EEEEE10hipError_tT1_PNSt15iterator_traitsISK_E10value_typeET2_T3_PNSL_ISQ_E10value_typeET4_T5_PSV_SW_PNS1_23onesweep_lookback_stateEbbT6_jjT7_P12ihipStream_tbENKUlT_T0_SK_SP_E_clISE_SE_SF_SF_EEDaS13_S14_SK_SP_EUlS13_E_NS1_11comp_targetILNS1_3genE9ELNS1_11target_archE1100ELNS1_3gpuE3ELNS1_3repE0EEENS1_47radix_sort_onesweep_sort_config_static_selectorELNS0_4arch9wavefront6targetE1EEEvSK_
                                        ; -- End function
	.section	.AMDGPU.csdata,"",@progbits
; Kernel info:
; codeLenInByte = 0
; NumSgprs: 4
; NumVgprs: 0
; NumAgprs: 0
; TotalNumVgprs: 0
; ScratchSize: 0
; MemoryBound: 0
; FloatMode: 240
; IeeeMode: 1
; LDSByteSize: 0 bytes/workgroup (compile time only)
; SGPRBlocks: 0
; VGPRBlocks: 0
; NumSGPRsForWavesPerEU: 4
; NumVGPRsForWavesPerEU: 1
; AccumOffset: 4
; Occupancy: 8
; WaveLimiterHint : 0
; COMPUTE_PGM_RSRC2:SCRATCH_EN: 0
; COMPUTE_PGM_RSRC2:USER_SGPR: 6
; COMPUTE_PGM_RSRC2:TRAP_HANDLER: 0
; COMPUTE_PGM_RSRC2:TGID_X_EN: 1
; COMPUTE_PGM_RSRC2:TGID_Y_EN: 0
; COMPUTE_PGM_RSRC2:TGID_Z_EN: 0
; COMPUTE_PGM_RSRC2:TIDIG_COMP_CNT: 0
; COMPUTE_PGM_RSRC3_GFX90A:ACCUM_OFFSET: 0
; COMPUTE_PGM_RSRC3_GFX90A:TG_SPLIT: 0
	.section	.text._ZN7rocprim17ROCPRIM_400000_NS6detail17trampoline_kernelINS0_14default_configENS1_35radix_sort_onesweep_config_selectorIjNS0_10empty_typeEEEZZNS1_29radix_sort_onesweep_iterationIS3_Lb0EN6thrust23THRUST_200600_302600_NS6detail15normal_iteratorINS9_10device_ptrIjEEEESE_PS5_SF_jNS0_19identity_decomposerENS1_16block_id_wrapperIjLb0EEEEE10hipError_tT1_PNSt15iterator_traitsISK_E10value_typeET2_T3_PNSL_ISQ_E10value_typeET4_T5_PSV_SW_PNS1_23onesweep_lookback_stateEbbT6_jjT7_P12ihipStream_tbENKUlT_T0_SK_SP_E_clISE_SE_SF_SF_EEDaS13_S14_SK_SP_EUlS13_E_NS1_11comp_targetILNS1_3genE8ELNS1_11target_archE1030ELNS1_3gpuE2ELNS1_3repE0EEENS1_47radix_sort_onesweep_sort_config_static_selectorELNS0_4arch9wavefront6targetE1EEEvSK_,"axG",@progbits,_ZN7rocprim17ROCPRIM_400000_NS6detail17trampoline_kernelINS0_14default_configENS1_35radix_sort_onesweep_config_selectorIjNS0_10empty_typeEEEZZNS1_29radix_sort_onesweep_iterationIS3_Lb0EN6thrust23THRUST_200600_302600_NS6detail15normal_iteratorINS9_10device_ptrIjEEEESE_PS5_SF_jNS0_19identity_decomposerENS1_16block_id_wrapperIjLb0EEEEE10hipError_tT1_PNSt15iterator_traitsISK_E10value_typeET2_T3_PNSL_ISQ_E10value_typeET4_T5_PSV_SW_PNS1_23onesweep_lookback_stateEbbT6_jjT7_P12ihipStream_tbENKUlT_T0_SK_SP_E_clISE_SE_SF_SF_EEDaS13_S14_SK_SP_EUlS13_E_NS1_11comp_targetILNS1_3genE8ELNS1_11target_archE1030ELNS1_3gpuE2ELNS1_3repE0EEENS1_47radix_sort_onesweep_sort_config_static_selectorELNS0_4arch9wavefront6targetE1EEEvSK_,comdat
	.protected	_ZN7rocprim17ROCPRIM_400000_NS6detail17trampoline_kernelINS0_14default_configENS1_35radix_sort_onesweep_config_selectorIjNS0_10empty_typeEEEZZNS1_29radix_sort_onesweep_iterationIS3_Lb0EN6thrust23THRUST_200600_302600_NS6detail15normal_iteratorINS9_10device_ptrIjEEEESE_PS5_SF_jNS0_19identity_decomposerENS1_16block_id_wrapperIjLb0EEEEE10hipError_tT1_PNSt15iterator_traitsISK_E10value_typeET2_T3_PNSL_ISQ_E10value_typeET4_T5_PSV_SW_PNS1_23onesweep_lookback_stateEbbT6_jjT7_P12ihipStream_tbENKUlT_T0_SK_SP_E_clISE_SE_SF_SF_EEDaS13_S14_SK_SP_EUlS13_E_NS1_11comp_targetILNS1_3genE8ELNS1_11target_archE1030ELNS1_3gpuE2ELNS1_3repE0EEENS1_47radix_sort_onesweep_sort_config_static_selectorELNS0_4arch9wavefront6targetE1EEEvSK_ ; -- Begin function _ZN7rocprim17ROCPRIM_400000_NS6detail17trampoline_kernelINS0_14default_configENS1_35radix_sort_onesweep_config_selectorIjNS0_10empty_typeEEEZZNS1_29radix_sort_onesweep_iterationIS3_Lb0EN6thrust23THRUST_200600_302600_NS6detail15normal_iteratorINS9_10device_ptrIjEEEESE_PS5_SF_jNS0_19identity_decomposerENS1_16block_id_wrapperIjLb0EEEEE10hipError_tT1_PNSt15iterator_traitsISK_E10value_typeET2_T3_PNSL_ISQ_E10value_typeET4_T5_PSV_SW_PNS1_23onesweep_lookback_stateEbbT6_jjT7_P12ihipStream_tbENKUlT_T0_SK_SP_E_clISE_SE_SF_SF_EEDaS13_S14_SK_SP_EUlS13_E_NS1_11comp_targetILNS1_3genE8ELNS1_11target_archE1030ELNS1_3gpuE2ELNS1_3repE0EEENS1_47radix_sort_onesweep_sort_config_static_selectorELNS0_4arch9wavefront6targetE1EEEvSK_
	.globl	_ZN7rocprim17ROCPRIM_400000_NS6detail17trampoline_kernelINS0_14default_configENS1_35radix_sort_onesweep_config_selectorIjNS0_10empty_typeEEEZZNS1_29radix_sort_onesweep_iterationIS3_Lb0EN6thrust23THRUST_200600_302600_NS6detail15normal_iteratorINS9_10device_ptrIjEEEESE_PS5_SF_jNS0_19identity_decomposerENS1_16block_id_wrapperIjLb0EEEEE10hipError_tT1_PNSt15iterator_traitsISK_E10value_typeET2_T3_PNSL_ISQ_E10value_typeET4_T5_PSV_SW_PNS1_23onesweep_lookback_stateEbbT6_jjT7_P12ihipStream_tbENKUlT_T0_SK_SP_E_clISE_SE_SF_SF_EEDaS13_S14_SK_SP_EUlS13_E_NS1_11comp_targetILNS1_3genE8ELNS1_11target_archE1030ELNS1_3gpuE2ELNS1_3repE0EEENS1_47radix_sort_onesweep_sort_config_static_selectorELNS0_4arch9wavefront6targetE1EEEvSK_
	.p2align	8
	.type	_ZN7rocprim17ROCPRIM_400000_NS6detail17trampoline_kernelINS0_14default_configENS1_35radix_sort_onesweep_config_selectorIjNS0_10empty_typeEEEZZNS1_29radix_sort_onesweep_iterationIS3_Lb0EN6thrust23THRUST_200600_302600_NS6detail15normal_iteratorINS9_10device_ptrIjEEEESE_PS5_SF_jNS0_19identity_decomposerENS1_16block_id_wrapperIjLb0EEEEE10hipError_tT1_PNSt15iterator_traitsISK_E10value_typeET2_T3_PNSL_ISQ_E10value_typeET4_T5_PSV_SW_PNS1_23onesweep_lookback_stateEbbT6_jjT7_P12ihipStream_tbENKUlT_T0_SK_SP_E_clISE_SE_SF_SF_EEDaS13_S14_SK_SP_EUlS13_E_NS1_11comp_targetILNS1_3genE8ELNS1_11target_archE1030ELNS1_3gpuE2ELNS1_3repE0EEENS1_47radix_sort_onesweep_sort_config_static_selectorELNS0_4arch9wavefront6targetE1EEEvSK_,@function
_ZN7rocprim17ROCPRIM_400000_NS6detail17trampoline_kernelINS0_14default_configENS1_35radix_sort_onesweep_config_selectorIjNS0_10empty_typeEEEZZNS1_29radix_sort_onesweep_iterationIS3_Lb0EN6thrust23THRUST_200600_302600_NS6detail15normal_iteratorINS9_10device_ptrIjEEEESE_PS5_SF_jNS0_19identity_decomposerENS1_16block_id_wrapperIjLb0EEEEE10hipError_tT1_PNSt15iterator_traitsISK_E10value_typeET2_T3_PNSL_ISQ_E10value_typeET4_T5_PSV_SW_PNS1_23onesweep_lookback_stateEbbT6_jjT7_P12ihipStream_tbENKUlT_T0_SK_SP_E_clISE_SE_SF_SF_EEDaS13_S14_SK_SP_EUlS13_E_NS1_11comp_targetILNS1_3genE8ELNS1_11target_archE1030ELNS1_3gpuE2ELNS1_3repE0EEENS1_47radix_sort_onesweep_sort_config_static_selectorELNS0_4arch9wavefront6targetE1EEEvSK_: ; @_ZN7rocprim17ROCPRIM_400000_NS6detail17trampoline_kernelINS0_14default_configENS1_35radix_sort_onesweep_config_selectorIjNS0_10empty_typeEEEZZNS1_29radix_sort_onesweep_iterationIS3_Lb0EN6thrust23THRUST_200600_302600_NS6detail15normal_iteratorINS9_10device_ptrIjEEEESE_PS5_SF_jNS0_19identity_decomposerENS1_16block_id_wrapperIjLb0EEEEE10hipError_tT1_PNSt15iterator_traitsISK_E10value_typeET2_T3_PNSL_ISQ_E10value_typeET4_T5_PSV_SW_PNS1_23onesweep_lookback_stateEbbT6_jjT7_P12ihipStream_tbENKUlT_T0_SK_SP_E_clISE_SE_SF_SF_EEDaS13_S14_SK_SP_EUlS13_E_NS1_11comp_targetILNS1_3genE8ELNS1_11target_archE1030ELNS1_3gpuE2ELNS1_3repE0EEENS1_47radix_sort_onesweep_sort_config_static_selectorELNS0_4arch9wavefront6targetE1EEEvSK_
; %bb.0:
	.section	.rodata,"a",@progbits
	.p2align	6, 0x0
	.amdhsa_kernel _ZN7rocprim17ROCPRIM_400000_NS6detail17trampoline_kernelINS0_14default_configENS1_35radix_sort_onesweep_config_selectorIjNS0_10empty_typeEEEZZNS1_29radix_sort_onesweep_iterationIS3_Lb0EN6thrust23THRUST_200600_302600_NS6detail15normal_iteratorINS9_10device_ptrIjEEEESE_PS5_SF_jNS0_19identity_decomposerENS1_16block_id_wrapperIjLb0EEEEE10hipError_tT1_PNSt15iterator_traitsISK_E10value_typeET2_T3_PNSL_ISQ_E10value_typeET4_T5_PSV_SW_PNS1_23onesweep_lookback_stateEbbT6_jjT7_P12ihipStream_tbENKUlT_T0_SK_SP_E_clISE_SE_SF_SF_EEDaS13_S14_SK_SP_EUlS13_E_NS1_11comp_targetILNS1_3genE8ELNS1_11target_archE1030ELNS1_3gpuE2ELNS1_3repE0EEENS1_47radix_sort_onesweep_sort_config_static_selectorELNS0_4arch9wavefront6targetE1EEEvSK_
		.amdhsa_group_segment_fixed_size 0
		.amdhsa_private_segment_fixed_size 0
		.amdhsa_kernarg_size 88
		.amdhsa_user_sgpr_count 6
		.amdhsa_user_sgpr_private_segment_buffer 1
		.amdhsa_user_sgpr_dispatch_ptr 0
		.amdhsa_user_sgpr_queue_ptr 0
		.amdhsa_user_sgpr_kernarg_segment_ptr 1
		.amdhsa_user_sgpr_dispatch_id 0
		.amdhsa_user_sgpr_flat_scratch_init 0
		.amdhsa_user_sgpr_kernarg_preload_length 0
		.amdhsa_user_sgpr_kernarg_preload_offset 0
		.amdhsa_user_sgpr_private_segment_size 0
		.amdhsa_uses_dynamic_stack 0
		.amdhsa_system_sgpr_private_segment_wavefront_offset 0
		.amdhsa_system_sgpr_workgroup_id_x 1
		.amdhsa_system_sgpr_workgroup_id_y 0
		.amdhsa_system_sgpr_workgroup_id_z 0
		.amdhsa_system_sgpr_workgroup_info 0
		.amdhsa_system_vgpr_workitem_id 0
		.amdhsa_next_free_vgpr 1
		.amdhsa_next_free_sgpr 0
		.amdhsa_accum_offset 4
		.amdhsa_reserve_vcc 0
		.amdhsa_reserve_flat_scratch 0
		.amdhsa_float_round_mode_32 0
		.amdhsa_float_round_mode_16_64 0
		.amdhsa_float_denorm_mode_32 3
		.amdhsa_float_denorm_mode_16_64 3
		.amdhsa_dx10_clamp 1
		.amdhsa_ieee_mode 1
		.amdhsa_fp16_overflow 0
		.amdhsa_tg_split 0
		.amdhsa_exception_fp_ieee_invalid_op 0
		.amdhsa_exception_fp_denorm_src 0
		.amdhsa_exception_fp_ieee_div_zero 0
		.amdhsa_exception_fp_ieee_overflow 0
		.amdhsa_exception_fp_ieee_underflow 0
		.amdhsa_exception_fp_ieee_inexact 0
		.amdhsa_exception_int_div_zero 0
	.end_amdhsa_kernel
	.section	.text._ZN7rocprim17ROCPRIM_400000_NS6detail17trampoline_kernelINS0_14default_configENS1_35radix_sort_onesweep_config_selectorIjNS0_10empty_typeEEEZZNS1_29radix_sort_onesweep_iterationIS3_Lb0EN6thrust23THRUST_200600_302600_NS6detail15normal_iteratorINS9_10device_ptrIjEEEESE_PS5_SF_jNS0_19identity_decomposerENS1_16block_id_wrapperIjLb0EEEEE10hipError_tT1_PNSt15iterator_traitsISK_E10value_typeET2_T3_PNSL_ISQ_E10value_typeET4_T5_PSV_SW_PNS1_23onesweep_lookback_stateEbbT6_jjT7_P12ihipStream_tbENKUlT_T0_SK_SP_E_clISE_SE_SF_SF_EEDaS13_S14_SK_SP_EUlS13_E_NS1_11comp_targetILNS1_3genE8ELNS1_11target_archE1030ELNS1_3gpuE2ELNS1_3repE0EEENS1_47radix_sort_onesweep_sort_config_static_selectorELNS0_4arch9wavefront6targetE1EEEvSK_,"axG",@progbits,_ZN7rocprim17ROCPRIM_400000_NS6detail17trampoline_kernelINS0_14default_configENS1_35radix_sort_onesweep_config_selectorIjNS0_10empty_typeEEEZZNS1_29radix_sort_onesweep_iterationIS3_Lb0EN6thrust23THRUST_200600_302600_NS6detail15normal_iteratorINS9_10device_ptrIjEEEESE_PS5_SF_jNS0_19identity_decomposerENS1_16block_id_wrapperIjLb0EEEEE10hipError_tT1_PNSt15iterator_traitsISK_E10value_typeET2_T3_PNSL_ISQ_E10value_typeET4_T5_PSV_SW_PNS1_23onesweep_lookback_stateEbbT6_jjT7_P12ihipStream_tbENKUlT_T0_SK_SP_E_clISE_SE_SF_SF_EEDaS13_S14_SK_SP_EUlS13_E_NS1_11comp_targetILNS1_3genE8ELNS1_11target_archE1030ELNS1_3gpuE2ELNS1_3repE0EEENS1_47radix_sort_onesweep_sort_config_static_selectorELNS0_4arch9wavefront6targetE1EEEvSK_,comdat
.Lfunc_end1136:
	.size	_ZN7rocprim17ROCPRIM_400000_NS6detail17trampoline_kernelINS0_14default_configENS1_35radix_sort_onesweep_config_selectorIjNS0_10empty_typeEEEZZNS1_29radix_sort_onesweep_iterationIS3_Lb0EN6thrust23THRUST_200600_302600_NS6detail15normal_iteratorINS9_10device_ptrIjEEEESE_PS5_SF_jNS0_19identity_decomposerENS1_16block_id_wrapperIjLb0EEEEE10hipError_tT1_PNSt15iterator_traitsISK_E10value_typeET2_T3_PNSL_ISQ_E10value_typeET4_T5_PSV_SW_PNS1_23onesweep_lookback_stateEbbT6_jjT7_P12ihipStream_tbENKUlT_T0_SK_SP_E_clISE_SE_SF_SF_EEDaS13_S14_SK_SP_EUlS13_E_NS1_11comp_targetILNS1_3genE8ELNS1_11target_archE1030ELNS1_3gpuE2ELNS1_3repE0EEENS1_47radix_sort_onesweep_sort_config_static_selectorELNS0_4arch9wavefront6targetE1EEEvSK_, .Lfunc_end1136-_ZN7rocprim17ROCPRIM_400000_NS6detail17trampoline_kernelINS0_14default_configENS1_35radix_sort_onesweep_config_selectorIjNS0_10empty_typeEEEZZNS1_29radix_sort_onesweep_iterationIS3_Lb0EN6thrust23THRUST_200600_302600_NS6detail15normal_iteratorINS9_10device_ptrIjEEEESE_PS5_SF_jNS0_19identity_decomposerENS1_16block_id_wrapperIjLb0EEEEE10hipError_tT1_PNSt15iterator_traitsISK_E10value_typeET2_T3_PNSL_ISQ_E10value_typeET4_T5_PSV_SW_PNS1_23onesweep_lookback_stateEbbT6_jjT7_P12ihipStream_tbENKUlT_T0_SK_SP_E_clISE_SE_SF_SF_EEDaS13_S14_SK_SP_EUlS13_E_NS1_11comp_targetILNS1_3genE8ELNS1_11target_archE1030ELNS1_3gpuE2ELNS1_3repE0EEENS1_47radix_sort_onesweep_sort_config_static_selectorELNS0_4arch9wavefront6targetE1EEEvSK_
                                        ; -- End function
	.section	.AMDGPU.csdata,"",@progbits
; Kernel info:
; codeLenInByte = 0
; NumSgprs: 4
; NumVgprs: 0
; NumAgprs: 0
; TotalNumVgprs: 0
; ScratchSize: 0
; MemoryBound: 0
; FloatMode: 240
; IeeeMode: 1
; LDSByteSize: 0 bytes/workgroup (compile time only)
; SGPRBlocks: 0
; VGPRBlocks: 0
; NumSGPRsForWavesPerEU: 4
; NumVGPRsForWavesPerEU: 1
; AccumOffset: 4
; Occupancy: 8
; WaveLimiterHint : 0
; COMPUTE_PGM_RSRC2:SCRATCH_EN: 0
; COMPUTE_PGM_RSRC2:USER_SGPR: 6
; COMPUTE_PGM_RSRC2:TRAP_HANDLER: 0
; COMPUTE_PGM_RSRC2:TGID_X_EN: 1
; COMPUTE_PGM_RSRC2:TGID_Y_EN: 0
; COMPUTE_PGM_RSRC2:TGID_Z_EN: 0
; COMPUTE_PGM_RSRC2:TIDIG_COMP_CNT: 0
; COMPUTE_PGM_RSRC3_GFX90A:ACCUM_OFFSET: 0
; COMPUTE_PGM_RSRC3_GFX90A:TG_SPLIT: 0
	.section	.text._ZN7rocprim17ROCPRIM_400000_NS6detail17trampoline_kernelINS0_14default_configENS1_35radix_sort_onesweep_config_selectorIjNS0_10empty_typeEEEZZNS1_29radix_sort_onesweep_iterationIS3_Lb0EN6thrust23THRUST_200600_302600_NS6detail15normal_iteratorINS9_10device_ptrIjEEEESE_PS5_SF_jNS0_19identity_decomposerENS1_16block_id_wrapperIjLb0EEEEE10hipError_tT1_PNSt15iterator_traitsISK_E10value_typeET2_T3_PNSL_ISQ_E10value_typeET4_T5_PSV_SW_PNS1_23onesweep_lookback_stateEbbT6_jjT7_P12ihipStream_tbENKUlT_T0_SK_SP_E_clISE_PjSF_SF_EEDaS13_S14_SK_SP_EUlS13_E_NS1_11comp_targetILNS1_3genE0ELNS1_11target_archE4294967295ELNS1_3gpuE0ELNS1_3repE0EEENS1_47radix_sort_onesweep_sort_config_static_selectorELNS0_4arch9wavefront6targetE1EEEvSK_,"axG",@progbits,_ZN7rocprim17ROCPRIM_400000_NS6detail17trampoline_kernelINS0_14default_configENS1_35radix_sort_onesweep_config_selectorIjNS0_10empty_typeEEEZZNS1_29radix_sort_onesweep_iterationIS3_Lb0EN6thrust23THRUST_200600_302600_NS6detail15normal_iteratorINS9_10device_ptrIjEEEESE_PS5_SF_jNS0_19identity_decomposerENS1_16block_id_wrapperIjLb0EEEEE10hipError_tT1_PNSt15iterator_traitsISK_E10value_typeET2_T3_PNSL_ISQ_E10value_typeET4_T5_PSV_SW_PNS1_23onesweep_lookback_stateEbbT6_jjT7_P12ihipStream_tbENKUlT_T0_SK_SP_E_clISE_PjSF_SF_EEDaS13_S14_SK_SP_EUlS13_E_NS1_11comp_targetILNS1_3genE0ELNS1_11target_archE4294967295ELNS1_3gpuE0ELNS1_3repE0EEENS1_47radix_sort_onesweep_sort_config_static_selectorELNS0_4arch9wavefront6targetE1EEEvSK_,comdat
	.protected	_ZN7rocprim17ROCPRIM_400000_NS6detail17trampoline_kernelINS0_14default_configENS1_35radix_sort_onesweep_config_selectorIjNS0_10empty_typeEEEZZNS1_29radix_sort_onesweep_iterationIS3_Lb0EN6thrust23THRUST_200600_302600_NS6detail15normal_iteratorINS9_10device_ptrIjEEEESE_PS5_SF_jNS0_19identity_decomposerENS1_16block_id_wrapperIjLb0EEEEE10hipError_tT1_PNSt15iterator_traitsISK_E10value_typeET2_T3_PNSL_ISQ_E10value_typeET4_T5_PSV_SW_PNS1_23onesweep_lookback_stateEbbT6_jjT7_P12ihipStream_tbENKUlT_T0_SK_SP_E_clISE_PjSF_SF_EEDaS13_S14_SK_SP_EUlS13_E_NS1_11comp_targetILNS1_3genE0ELNS1_11target_archE4294967295ELNS1_3gpuE0ELNS1_3repE0EEENS1_47radix_sort_onesweep_sort_config_static_selectorELNS0_4arch9wavefront6targetE1EEEvSK_ ; -- Begin function _ZN7rocprim17ROCPRIM_400000_NS6detail17trampoline_kernelINS0_14default_configENS1_35radix_sort_onesweep_config_selectorIjNS0_10empty_typeEEEZZNS1_29radix_sort_onesweep_iterationIS3_Lb0EN6thrust23THRUST_200600_302600_NS6detail15normal_iteratorINS9_10device_ptrIjEEEESE_PS5_SF_jNS0_19identity_decomposerENS1_16block_id_wrapperIjLb0EEEEE10hipError_tT1_PNSt15iterator_traitsISK_E10value_typeET2_T3_PNSL_ISQ_E10value_typeET4_T5_PSV_SW_PNS1_23onesweep_lookback_stateEbbT6_jjT7_P12ihipStream_tbENKUlT_T0_SK_SP_E_clISE_PjSF_SF_EEDaS13_S14_SK_SP_EUlS13_E_NS1_11comp_targetILNS1_3genE0ELNS1_11target_archE4294967295ELNS1_3gpuE0ELNS1_3repE0EEENS1_47radix_sort_onesweep_sort_config_static_selectorELNS0_4arch9wavefront6targetE1EEEvSK_
	.globl	_ZN7rocprim17ROCPRIM_400000_NS6detail17trampoline_kernelINS0_14default_configENS1_35radix_sort_onesweep_config_selectorIjNS0_10empty_typeEEEZZNS1_29radix_sort_onesweep_iterationIS3_Lb0EN6thrust23THRUST_200600_302600_NS6detail15normal_iteratorINS9_10device_ptrIjEEEESE_PS5_SF_jNS0_19identity_decomposerENS1_16block_id_wrapperIjLb0EEEEE10hipError_tT1_PNSt15iterator_traitsISK_E10value_typeET2_T3_PNSL_ISQ_E10value_typeET4_T5_PSV_SW_PNS1_23onesweep_lookback_stateEbbT6_jjT7_P12ihipStream_tbENKUlT_T0_SK_SP_E_clISE_PjSF_SF_EEDaS13_S14_SK_SP_EUlS13_E_NS1_11comp_targetILNS1_3genE0ELNS1_11target_archE4294967295ELNS1_3gpuE0ELNS1_3repE0EEENS1_47radix_sort_onesweep_sort_config_static_selectorELNS0_4arch9wavefront6targetE1EEEvSK_
	.p2align	8
	.type	_ZN7rocprim17ROCPRIM_400000_NS6detail17trampoline_kernelINS0_14default_configENS1_35radix_sort_onesweep_config_selectorIjNS0_10empty_typeEEEZZNS1_29radix_sort_onesweep_iterationIS3_Lb0EN6thrust23THRUST_200600_302600_NS6detail15normal_iteratorINS9_10device_ptrIjEEEESE_PS5_SF_jNS0_19identity_decomposerENS1_16block_id_wrapperIjLb0EEEEE10hipError_tT1_PNSt15iterator_traitsISK_E10value_typeET2_T3_PNSL_ISQ_E10value_typeET4_T5_PSV_SW_PNS1_23onesweep_lookback_stateEbbT6_jjT7_P12ihipStream_tbENKUlT_T0_SK_SP_E_clISE_PjSF_SF_EEDaS13_S14_SK_SP_EUlS13_E_NS1_11comp_targetILNS1_3genE0ELNS1_11target_archE4294967295ELNS1_3gpuE0ELNS1_3repE0EEENS1_47radix_sort_onesweep_sort_config_static_selectorELNS0_4arch9wavefront6targetE1EEEvSK_,@function
_ZN7rocprim17ROCPRIM_400000_NS6detail17trampoline_kernelINS0_14default_configENS1_35radix_sort_onesweep_config_selectorIjNS0_10empty_typeEEEZZNS1_29radix_sort_onesweep_iterationIS3_Lb0EN6thrust23THRUST_200600_302600_NS6detail15normal_iteratorINS9_10device_ptrIjEEEESE_PS5_SF_jNS0_19identity_decomposerENS1_16block_id_wrapperIjLb0EEEEE10hipError_tT1_PNSt15iterator_traitsISK_E10value_typeET2_T3_PNSL_ISQ_E10value_typeET4_T5_PSV_SW_PNS1_23onesweep_lookback_stateEbbT6_jjT7_P12ihipStream_tbENKUlT_T0_SK_SP_E_clISE_PjSF_SF_EEDaS13_S14_SK_SP_EUlS13_E_NS1_11comp_targetILNS1_3genE0ELNS1_11target_archE4294967295ELNS1_3gpuE0ELNS1_3repE0EEENS1_47radix_sort_onesweep_sort_config_static_selectorELNS0_4arch9wavefront6targetE1EEEvSK_: ; @_ZN7rocprim17ROCPRIM_400000_NS6detail17trampoline_kernelINS0_14default_configENS1_35radix_sort_onesweep_config_selectorIjNS0_10empty_typeEEEZZNS1_29radix_sort_onesweep_iterationIS3_Lb0EN6thrust23THRUST_200600_302600_NS6detail15normal_iteratorINS9_10device_ptrIjEEEESE_PS5_SF_jNS0_19identity_decomposerENS1_16block_id_wrapperIjLb0EEEEE10hipError_tT1_PNSt15iterator_traitsISK_E10value_typeET2_T3_PNSL_ISQ_E10value_typeET4_T5_PSV_SW_PNS1_23onesweep_lookback_stateEbbT6_jjT7_P12ihipStream_tbENKUlT_T0_SK_SP_E_clISE_PjSF_SF_EEDaS13_S14_SK_SP_EUlS13_E_NS1_11comp_targetILNS1_3genE0ELNS1_11target_archE4294967295ELNS1_3gpuE0ELNS1_3repE0EEENS1_47radix_sort_onesweep_sort_config_static_selectorELNS0_4arch9wavefront6targetE1EEEvSK_
; %bb.0:
	.section	.rodata,"a",@progbits
	.p2align	6, 0x0
	.amdhsa_kernel _ZN7rocprim17ROCPRIM_400000_NS6detail17trampoline_kernelINS0_14default_configENS1_35radix_sort_onesweep_config_selectorIjNS0_10empty_typeEEEZZNS1_29radix_sort_onesweep_iterationIS3_Lb0EN6thrust23THRUST_200600_302600_NS6detail15normal_iteratorINS9_10device_ptrIjEEEESE_PS5_SF_jNS0_19identity_decomposerENS1_16block_id_wrapperIjLb0EEEEE10hipError_tT1_PNSt15iterator_traitsISK_E10value_typeET2_T3_PNSL_ISQ_E10value_typeET4_T5_PSV_SW_PNS1_23onesweep_lookback_stateEbbT6_jjT7_P12ihipStream_tbENKUlT_T0_SK_SP_E_clISE_PjSF_SF_EEDaS13_S14_SK_SP_EUlS13_E_NS1_11comp_targetILNS1_3genE0ELNS1_11target_archE4294967295ELNS1_3gpuE0ELNS1_3repE0EEENS1_47radix_sort_onesweep_sort_config_static_selectorELNS0_4arch9wavefront6targetE1EEEvSK_
		.amdhsa_group_segment_fixed_size 0
		.amdhsa_private_segment_fixed_size 0
		.amdhsa_kernarg_size 88
		.amdhsa_user_sgpr_count 6
		.amdhsa_user_sgpr_private_segment_buffer 1
		.amdhsa_user_sgpr_dispatch_ptr 0
		.amdhsa_user_sgpr_queue_ptr 0
		.amdhsa_user_sgpr_kernarg_segment_ptr 1
		.amdhsa_user_sgpr_dispatch_id 0
		.amdhsa_user_sgpr_flat_scratch_init 0
		.amdhsa_user_sgpr_kernarg_preload_length 0
		.amdhsa_user_sgpr_kernarg_preload_offset 0
		.amdhsa_user_sgpr_private_segment_size 0
		.amdhsa_uses_dynamic_stack 0
		.amdhsa_system_sgpr_private_segment_wavefront_offset 0
		.amdhsa_system_sgpr_workgroup_id_x 1
		.amdhsa_system_sgpr_workgroup_id_y 0
		.amdhsa_system_sgpr_workgroup_id_z 0
		.amdhsa_system_sgpr_workgroup_info 0
		.amdhsa_system_vgpr_workitem_id 0
		.amdhsa_next_free_vgpr 1
		.amdhsa_next_free_sgpr 0
		.amdhsa_accum_offset 4
		.amdhsa_reserve_vcc 0
		.amdhsa_reserve_flat_scratch 0
		.amdhsa_float_round_mode_32 0
		.amdhsa_float_round_mode_16_64 0
		.amdhsa_float_denorm_mode_32 3
		.amdhsa_float_denorm_mode_16_64 3
		.amdhsa_dx10_clamp 1
		.amdhsa_ieee_mode 1
		.amdhsa_fp16_overflow 0
		.amdhsa_tg_split 0
		.amdhsa_exception_fp_ieee_invalid_op 0
		.amdhsa_exception_fp_denorm_src 0
		.amdhsa_exception_fp_ieee_div_zero 0
		.amdhsa_exception_fp_ieee_overflow 0
		.amdhsa_exception_fp_ieee_underflow 0
		.amdhsa_exception_fp_ieee_inexact 0
		.amdhsa_exception_int_div_zero 0
	.end_amdhsa_kernel
	.section	.text._ZN7rocprim17ROCPRIM_400000_NS6detail17trampoline_kernelINS0_14default_configENS1_35radix_sort_onesweep_config_selectorIjNS0_10empty_typeEEEZZNS1_29radix_sort_onesweep_iterationIS3_Lb0EN6thrust23THRUST_200600_302600_NS6detail15normal_iteratorINS9_10device_ptrIjEEEESE_PS5_SF_jNS0_19identity_decomposerENS1_16block_id_wrapperIjLb0EEEEE10hipError_tT1_PNSt15iterator_traitsISK_E10value_typeET2_T3_PNSL_ISQ_E10value_typeET4_T5_PSV_SW_PNS1_23onesweep_lookback_stateEbbT6_jjT7_P12ihipStream_tbENKUlT_T0_SK_SP_E_clISE_PjSF_SF_EEDaS13_S14_SK_SP_EUlS13_E_NS1_11comp_targetILNS1_3genE0ELNS1_11target_archE4294967295ELNS1_3gpuE0ELNS1_3repE0EEENS1_47radix_sort_onesweep_sort_config_static_selectorELNS0_4arch9wavefront6targetE1EEEvSK_,"axG",@progbits,_ZN7rocprim17ROCPRIM_400000_NS6detail17trampoline_kernelINS0_14default_configENS1_35radix_sort_onesweep_config_selectorIjNS0_10empty_typeEEEZZNS1_29radix_sort_onesweep_iterationIS3_Lb0EN6thrust23THRUST_200600_302600_NS6detail15normal_iteratorINS9_10device_ptrIjEEEESE_PS5_SF_jNS0_19identity_decomposerENS1_16block_id_wrapperIjLb0EEEEE10hipError_tT1_PNSt15iterator_traitsISK_E10value_typeET2_T3_PNSL_ISQ_E10value_typeET4_T5_PSV_SW_PNS1_23onesweep_lookback_stateEbbT6_jjT7_P12ihipStream_tbENKUlT_T0_SK_SP_E_clISE_PjSF_SF_EEDaS13_S14_SK_SP_EUlS13_E_NS1_11comp_targetILNS1_3genE0ELNS1_11target_archE4294967295ELNS1_3gpuE0ELNS1_3repE0EEENS1_47radix_sort_onesweep_sort_config_static_selectorELNS0_4arch9wavefront6targetE1EEEvSK_,comdat
.Lfunc_end1137:
	.size	_ZN7rocprim17ROCPRIM_400000_NS6detail17trampoline_kernelINS0_14default_configENS1_35radix_sort_onesweep_config_selectorIjNS0_10empty_typeEEEZZNS1_29radix_sort_onesweep_iterationIS3_Lb0EN6thrust23THRUST_200600_302600_NS6detail15normal_iteratorINS9_10device_ptrIjEEEESE_PS5_SF_jNS0_19identity_decomposerENS1_16block_id_wrapperIjLb0EEEEE10hipError_tT1_PNSt15iterator_traitsISK_E10value_typeET2_T3_PNSL_ISQ_E10value_typeET4_T5_PSV_SW_PNS1_23onesweep_lookback_stateEbbT6_jjT7_P12ihipStream_tbENKUlT_T0_SK_SP_E_clISE_PjSF_SF_EEDaS13_S14_SK_SP_EUlS13_E_NS1_11comp_targetILNS1_3genE0ELNS1_11target_archE4294967295ELNS1_3gpuE0ELNS1_3repE0EEENS1_47radix_sort_onesweep_sort_config_static_selectorELNS0_4arch9wavefront6targetE1EEEvSK_, .Lfunc_end1137-_ZN7rocprim17ROCPRIM_400000_NS6detail17trampoline_kernelINS0_14default_configENS1_35radix_sort_onesweep_config_selectorIjNS0_10empty_typeEEEZZNS1_29radix_sort_onesweep_iterationIS3_Lb0EN6thrust23THRUST_200600_302600_NS6detail15normal_iteratorINS9_10device_ptrIjEEEESE_PS5_SF_jNS0_19identity_decomposerENS1_16block_id_wrapperIjLb0EEEEE10hipError_tT1_PNSt15iterator_traitsISK_E10value_typeET2_T3_PNSL_ISQ_E10value_typeET4_T5_PSV_SW_PNS1_23onesweep_lookback_stateEbbT6_jjT7_P12ihipStream_tbENKUlT_T0_SK_SP_E_clISE_PjSF_SF_EEDaS13_S14_SK_SP_EUlS13_E_NS1_11comp_targetILNS1_3genE0ELNS1_11target_archE4294967295ELNS1_3gpuE0ELNS1_3repE0EEENS1_47radix_sort_onesweep_sort_config_static_selectorELNS0_4arch9wavefront6targetE1EEEvSK_
                                        ; -- End function
	.section	.AMDGPU.csdata,"",@progbits
; Kernel info:
; codeLenInByte = 0
; NumSgprs: 4
; NumVgprs: 0
; NumAgprs: 0
; TotalNumVgprs: 0
; ScratchSize: 0
; MemoryBound: 0
; FloatMode: 240
; IeeeMode: 1
; LDSByteSize: 0 bytes/workgroup (compile time only)
; SGPRBlocks: 0
; VGPRBlocks: 0
; NumSGPRsForWavesPerEU: 4
; NumVGPRsForWavesPerEU: 1
; AccumOffset: 4
; Occupancy: 8
; WaveLimiterHint : 0
; COMPUTE_PGM_RSRC2:SCRATCH_EN: 0
; COMPUTE_PGM_RSRC2:USER_SGPR: 6
; COMPUTE_PGM_RSRC2:TRAP_HANDLER: 0
; COMPUTE_PGM_RSRC2:TGID_X_EN: 1
; COMPUTE_PGM_RSRC2:TGID_Y_EN: 0
; COMPUTE_PGM_RSRC2:TGID_Z_EN: 0
; COMPUTE_PGM_RSRC2:TIDIG_COMP_CNT: 0
; COMPUTE_PGM_RSRC3_GFX90A:ACCUM_OFFSET: 0
; COMPUTE_PGM_RSRC3_GFX90A:TG_SPLIT: 0
	.section	.text._ZN7rocprim17ROCPRIM_400000_NS6detail17trampoline_kernelINS0_14default_configENS1_35radix_sort_onesweep_config_selectorIjNS0_10empty_typeEEEZZNS1_29radix_sort_onesweep_iterationIS3_Lb0EN6thrust23THRUST_200600_302600_NS6detail15normal_iteratorINS9_10device_ptrIjEEEESE_PS5_SF_jNS0_19identity_decomposerENS1_16block_id_wrapperIjLb0EEEEE10hipError_tT1_PNSt15iterator_traitsISK_E10value_typeET2_T3_PNSL_ISQ_E10value_typeET4_T5_PSV_SW_PNS1_23onesweep_lookback_stateEbbT6_jjT7_P12ihipStream_tbENKUlT_T0_SK_SP_E_clISE_PjSF_SF_EEDaS13_S14_SK_SP_EUlS13_E_NS1_11comp_targetILNS1_3genE6ELNS1_11target_archE950ELNS1_3gpuE13ELNS1_3repE0EEENS1_47radix_sort_onesweep_sort_config_static_selectorELNS0_4arch9wavefront6targetE1EEEvSK_,"axG",@progbits,_ZN7rocprim17ROCPRIM_400000_NS6detail17trampoline_kernelINS0_14default_configENS1_35radix_sort_onesweep_config_selectorIjNS0_10empty_typeEEEZZNS1_29radix_sort_onesweep_iterationIS3_Lb0EN6thrust23THRUST_200600_302600_NS6detail15normal_iteratorINS9_10device_ptrIjEEEESE_PS5_SF_jNS0_19identity_decomposerENS1_16block_id_wrapperIjLb0EEEEE10hipError_tT1_PNSt15iterator_traitsISK_E10value_typeET2_T3_PNSL_ISQ_E10value_typeET4_T5_PSV_SW_PNS1_23onesweep_lookback_stateEbbT6_jjT7_P12ihipStream_tbENKUlT_T0_SK_SP_E_clISE_PjSF_SF_EEDaS13_S14_SK_SP_EUlS13_E_NS1_11comp_targetILNS1_3genE6ELNS1_11target_archE950ELNS1_3gpuE13ELNS1_3repE0EEENS1_47radix_sort_onesweep_sort_config_static_selectorELNS0_4arch9wavefront6targetE1EEEvSK_,comdat
	.protected	_ZN7rocprim17ROCPRIM_400000_NS6detail17trampoline_kernelINS0_14default_configENS1_35radix_sort_onesweep_config_selectorIjNS0_10empty_typeEEEZZNS1_29radix_sort_onesweep_iterationIS3_Lb0EN6thrust23THRUST_200600_302600_NS6detail15normal_iteratorINS9_10device_ptrIjEEEESE_PS5_SF_jNS0_19identity_decomposerENS1_16block_id_wrapperIjLb0EEEEE10hipError_tT1_PNSt15iterator_traitsISK_E10value_typeET2_T3_PNSL_ISQ_E10value_typeET4_T5_PSV_SW_PNS1_23onesweep_lookback_stateEbbT6_jjT7_P12ihipStream_tbENKUlT_T0_SK_SP_E_clISE_PjSF_SF_EEDaS13_S14_SK_SP_EUlS13_E_NS1_11comp_targetILNS1_3genE6ELNS1_11target_archE950ELNS1_3gpuE13ELNS1_3repE0EEENS1_47radix_sort_onesweep_sort_config_static_selectorELNS0_4arch9wavefront6targetE1EEEvSK_ ; -- Begin function _ZN7rocprim17ROCPRIM_400000_NS6detail17trampoline_kernelINS0_14default_configENS1_35radix_sort_onesweep_config_selectorIjNS0_10empty_typeEEEZZNS1_29radix_sort_onesweep_iterationIS3_Lb0EN6thrust23THRUST_200600_302600_NS6detail15normal_iteratorINS9_10device_ptrIjEEEESE_PS5_SF_jNS0_19identity_decomposerENS1_16block_id_wrapperIjLb0EEEEE10hipError_tT1_PNSt15iterator_traitsISK_E10value_typeET2_T3_PNSL_ISQ_E10value_typeET4_T5_PSV_SW_PNS1_23onesweep_lookback_stateEbbT6_jjT7_P12ihipStream_tbENKUlT_T0_SK_SP_E_clISE_PjSF_SF_EEDaS13_S14_SK_SP_EUlS13_E_NS1_11comp_targetILNS1_3genE6ELNS1_11target_archE950ELNS1_3gpuE13ELNS1_3repE0EEENS1_47radix_sort_onesweep_sort_config_static_selectorELNS0_4arch9wavefront6targetE1EEEvSK_
	.globl	_ZN7rocprim17ROCPRIM_400000_NS6detail17trampoline_kernelINS0_14default_configENS1_35radix_sort_onesweep_config_selectorIjNS0_10empty_typeEEEZZNS1_29radix_sort_onesweep_iterationIS3_Lb0EN6thrust23THRUST_200600_302600_NS6detail15normal_iteratorINS9_10device_ptrIjEEEESE_PS5_SF_jNS0_19identity_decomposerENS1_16block_id_wrapperIjLb0EEEEE10hipError_tT1_PNSt15iterator_traitsISK_E10value_typeET2_T3_PNSL_ISQ_E10value_typeET4_T5_PSV_SW_PNS1_23onesweep_lookback_stateEbbT6_jjT7_P12ihipStream_tbENKUlT_T0_SK_SP_E_clISE_PjSF_SF_EEDaS13_S14_SK_SP_EUlS13_E_NS1_11comp_targetILNS1_3genE6ELNS1_11target_archE950ELNS1_3gpuE13ELNS1_3repE0EEENS1_47radix_sort_onesweep_sort_config_static_selectorELNS0_4arch9wavefront6targetE1EEEvSK_
	.p2align	8
	.type	_ZN7rocprim17ROCPRIM_400000_NS6detail17trampoline_kernelINS0_14default_configENS1_35radix_sort_onesweep_config_selectorIjNS0_10empty_typeEEEZZNS1_29radix_sort_onesweep_iterationIS3_Lb0EN6thrust23THRUST_200600_302600_NS6detail15normal_iteratorINS9_10device_ptrIjEEEESE_PS5_SF_jNS0_19identity_decomposerENS1_16block_id_wrapperIjLb0EEEEE10hipError_tT1_PNSt15iterator_traitsISK_E10value_typeET2_T3_PNSL_ISQ_E10value_typeET4_T5_PSV_SW_PNS1_23onesweep_lookback_stateEbbT6_jjT7_P12ihipStream_tbENKUlT_T0_SK_SP_E_clISE_PjSF_SF_EEDaS13_S14_SK_SP_EUlS13_E_NS1_11comp_targetILNS1_3genE6ELNS1_11target_archE950ELNS1_3gpuE13ELNS1_3repE0EEENS1_47radix_sort_onesweep_sort_config_static_selectorELNS0_4arch9wavefront6targetE1EEEvSK_,@function
_ZN7rocprim17ROCPRIM_400000_NS6detail17trampoline_kernelINS0_14default_configENS1_35radix_sort_onesweep_config_selectorIjNS0_10empty_typeEEEZZNS1_29radix_sort_onesweep_iterationIS3_Lb0EN6thrust23THRUST_200600_302600_NS6detail15normal_iteratorINS9_10device_ptrIjEEEESE_PS5_SF_jNS0_19identity_decomposerENS1_16block_id_wrapperIjLb0EEEEE10hipError_tT1_PNSt15iterator_traitsISK_E10value_typeET2_T3_PNSL_ISQ_E10value_typeET4_T5_PSV_SW_PNS1_23onesweep_lookback_stateEbbT6_jjT7_P12ihipStream_tbENKUlT_T0_SK_SP_E_clISE_PjSF_SF_EEDaS13_S14_SK_SP_EUlS13_E_NS1_11comp_targetILNS1_3genE6ELNS1_11target_archE950ELNS1_3gpuE13ELNS1_3repE0EEENS1_47radix_sort_onesweep_sort_config_static_selectorELNS0_4arch9wavefront6targetE1EEEvSK_: ; @_ZN7rocprim17ROCPRIM_400000_NS6detail17trampoline_kernelINS0_14default_configENS1_35radix_sort_onesweep_config_selectorIjNS0_10empty_typeEEEZZNS1_29radix_sort_onesweep_iterationIS3_Lb0EN6thrust23THRUST_200600_302600_NS6detail15normal_iteratorINS9_10device_ptrIjEEEESE_PS5_SF_jNS0_19identity_decomposerENS1_16block_id_wrapperIjLb0EEEEE10hipError_tT1_PNSt15iterator_traitsISK_E10value_typeET2_T3_PNSL_ISQ_E10value_typeET4_T5_PSV_SW_PNS1_23onesweep_lookback_stateEbbT6_jjT7_P12ihipStream_tbENKUlT_T0_SK_SP_E_clISE_PjSF_SF_EEDaS13_S14_SK_SP_EUlS13_E_NS1_11comp_targetILNS1_3genE6ELNS1_11target_archE950ELNS1_3gpuE13ELNS1_3repE0EEENS1_47radix_sort_onesweep_sort_config_static_selectorELNS0_4arch9wavefront6targetE1EEEvSK_
; %bb.0:
	.section	.rodata,"a",@progbits
	.p2align	6, 0x0
	.amdhsa_kernel _ZN7rocprim17ROCPRIM_400000_NS6detail17trampoline_kernelINS0_14default_configENS1_35radix_sort_onesweep_config_selectorIjNS0_10empty_typeEEEZZNS1_29radix_sort_onesweep_iterationIS3_Lb0EN6thrust23THRUST_200600_302600_NS6detail15normal_iteratorINS9_10device_ptrIjEEEESE_PS5_SF_jNS0_19identity_decomposerENS1_16block_id_wrapperIjLb0EEEEE10hipError_tT1_PNSt15iterator_traitsISK_E10value_typeET2_T3_PNSL_ISQ_E10value_typeET4_T5_PSV_SW_PNS1_23onesweep_lookback_stateEbbT6_jjT7_P12ihipStream_tbENKUlT_T0_SK_SP_E_clISE_PjSF_SF_EEDaS13_S14_SK_SP_EUlS13_E_NS1_11comp_targetILNS1_3genE6ELNS1_11target_archE950ELNS1_3gpuE13ELNS1_3repE0EEENS1_47radix_sort_onesweep_sort_config_static_selectorELNS0_4arch9wavefront6targetE1EEEvSK_
		.amdhsa_group_segment_fixed_size 0
		.amdhsa_private_segment_fixed_size 0
		.amdhsa_kernarg_size 88
		.amdhsa_user_sgpr_count 6
		.amdhsa_user_sgpr_private_segment_buffer 1
		.amdhsa_user_sgpr_dispatch_ptr 0
		.amdhsa_user_sgpr_queue_ptr 0
		.amdhsa_user_sgpr_kernarg_segment_ptr 1
		.amdhsa_user_sgpr_dispatch_id 0
		.amdhsa_user_sgpr_flat_scratch_init 0
		.amdhsa_user_sgpr_kernarg_preload_length 0
		.amdhsa_user_sgpr_kernarg_preload_offset 0
		.amdhsa_user_sgpr_private_segment_size 0
		.amdhsa_uses_dynamic_stack 0
		.amdhsa_system_sgpr_private_segment_wavefront_offset 0
		.amdhsa_system_sgpr_workgroup_id_x 1
		.amdhsa_system_sgpr_workgroup_id_y 0
		.amdhsa_system_sgpr_workgroup_id_z 0
		.amdhsa_system_sgpr_workgroup_info 0
		.amdhsa_system_vgpr_workitem_id 0
		.amdhsa_next_free_vgpr 1
		.amdhsa_next_free_sgpr 0
		.amdhsa_accum_offset 4
		.amdhsa_reserve_vcc 0
		.amdhsa_reserve_flat_scratch 0
		.amdhsa_float_round_mode_32 0
		.amdhsa_float_round_mode_16_64 0
		.amdhsa_float_denorm_mode_32 3
		.amdhsa_float_denorm_mode_16_64 3
		.amdhsa_dx10_clamp 1
		.amdhsa_ieee_mode 1
		.amdhsa_fp16_overflow 0
		.amdhsa_tg_split 0
		.amdhsa_exception_fp_ieee_invalid_op 0
		.amdhsa_exception_fp_denorm_src 0
		.amdhsa_exception_fp_ieee_div_zero 0
		.amdhsa_exception_fp_ieee_overflow 0
		.amdhsa_exception_fp_ieee_underflow 0
		.amdhsa_exception_fp_ieee_inexact 0
		.amdhsa_exception_int_div_zero 0
	.end_amdhsa_kernel
	.section	.text._ZN7rocprim17ROCPRIM_400000_NS6detail17trampoline_kernelINS0_14default_configENS1_35radix_sort_onesweep_config_selectorIjNS0_10empty_typeEEEZZNS1_29radix_sort_onesweep_iterationIS3_Lb0EN6thrust23THRUST_200600_302600_NS6detail15normal_iteratorINS9_10device_ptrIjEEEESE_PS5_SF_jNS0_19identity_decomposerENS1_16block_id_wrapperIjLb0EEEEE10hipError_tT1_PNSt15iterator_traitsISK_E10value_typeET2_T3_PNSL_ISQ_E10value_typeET4_T5_PSV_SW_PNS1_23onesweep_lookback_stateEbbT6_jjT7_P12ihipStream_tbENKUlT_T0_SK_SP_E_clISE_PjSF_SF_EEDaS13_S14_SK_SP_EUlS13_E_NS1_11comp_targetILNS1_3genE6ELNS1_11target_archE950ELNS1_3gpuE13ELNS1_3repE0EEENS1_47radix_sort_onesweep_sort_config_static_selectorELNS0_4arch9wavefront6targetE1EEEvSK_,"axG",@progbits,_ZN7rocprim17ROCPRIM_400000_NS6detail17trampoline_kernelINS0_14default_configENS1_35radix_sort_onesweep_config_selectorIjNS0_10empty_typeEEEZZNS1_29radix_sort_onesweep_iterationIS3_Lb0EN6thrust23THRUST_200600_302600_NS6detail15normal_iteratorINS9_10device_ptrIjEEEESE_PS5_SF_jNS0_19identity_decomposerENS1_16block_id_wrapperIjLb0EEEEE10hipError_tT1_PNSt15iterator_traitsISK_E10value_typeET2_T3_PNSL_ISQ_E10value_typeET4_T5_PSV_SW_PNS1_23onesweep_lookback_stateEbbT6_jjT7_P12ihipStream_tbENKUlT_T0_SK_SP_E_clISE_PjSF_SF_EEDaS13_S14_SK_SP_EUlS13_E_NS1_11comp_targetILNS1_3genE6ELNS1_11target_archE950ELNS1_3gpuE13ELNS1_3repE0EEENS1_47radix_sort_onesweep_sort_config_static_selectorELNS0_4arch9wavefront6targetE1EEEvSK_,comdat
.Lfunc_end1138:
	.size	_ZN7rocprim17ROCPRIM_400000_NS6detail17trampoline_kernelINS0_14default_configENS1_35radix_sort_onesweep_config_selectorIjNS0_10empty_typeEEEZZNS1_29radix_sort_onesweep_iterationIS3_Lb0EN6thrust23THRUST_200600_302600_NS6detail15normal_iteratorINS9_10device_ptrIjEEEESE_PS5_SF_jNS0_19identity_decomposerENS1_16block_id_wrapperIjLb0EEEEE10hipError_tT1_PNSt15iterator_traitsISK_E10value_typeET2_T3_PNSL_ISQ_E10value_typeET4_T5_PSV_SW_PNS1_23onesweep_lookback_stateEbbT6_jjT7_P12ihipStream_tbENKUlT_T0_SK_SP_E_clISE_PjSF_SF_EEDaS13_S14_SK_SP_EUlS13_E_NS1_11comp_targetILNS1_3genE6ELNS1_11target_archE950ELNS1_3gpuE13ELNS1_3repE0EEENS1_47radix_sort_onesweep_sort_config_static_selectorELNS0_4arch9wavefront6targetE1EEEvSK_, .Lfunc_end1138-_ZN7rocprim17ROCPRIM_400000_NS6detail17trampoline_kernelINS0_14default_configENS1_35radix_sort_onesweep_config_selectorIjNS0_10empty_typeEEEZZNS1_29radix_sort_onesweep_iterationIS3_Lb0EN6thrust23THRUST_200600_302600_NS6detail15normal_iteratorINS9_10device_ptrIjEEEESE_PS5_SF_jNS0_19identity_decomposerENS1_16block_id_wrapperIjLb0EEEEE10hipError_tT1_PNSt15iterator_traitsISK_E10value_typeET2_T3_PNSL_ISQ_E10value_typeET4_T5_PSV_SW_PNS1_23onesweep_lookback_stateEbbT6_jjT7_P12ihipStream_tbENKUlT_T0_SK_SP_E_clISE_PjSF_SF_EEDaS13_S14_SK_SP_EUlS13_E_NS1_11comp_targetILNS1_3genE6ELNS1_11target_archE950ELNS1_3gpuE13ELNS1_3repE0EEENS1_47radix_sort_onesweep_sort_config_static_selectorELNS0_4arch9wavefront6targetE1EEEvSK_
                                        ; -- End function
	.section	.AMDGPU.csdata,"",@progbits
; Kernel info:
; codeLenInByte = 0
; NumSgprs: 4
; NumVgprs: 0
; NumAgprs: 0
; TotalNumVgprs: 0
; ScratchSize: 0
; MemoryBound: 0
; FloatMode: 240
; IeeeMode: 1
; LDSByteSize: 0 bytes/workgroup (compile time only)
; SGPRBlocks: 0
; VGPRBlocks: 0
; NumSGPRsForWavesPerEU: 4
; NumVGPRsForWavesPerEU: 1
; AccumOffset: 4
; Occupancy: 8
; WaveLimiterHint : 0
; COMPUTE_PGM_RSRC2:SCRATCH_EN: 0
; COMPUTE_PGM_RSRC2:USER_SGPR: 6
; COMPUTE_PGM_RSRC2:TRAP_HANDLER: 0
; COMPUTE_PGM_RSRC2:TGID_X_EN: 1
; COMPUTE_PGM_RSRC2:TGID_Y_EN: 0
; COMPUTE_PGM_RSRC2:TGID_Z_EN: 0
; COMPUTE_PGM_RSRC2:TIDIG_COMP_CNT: 0
; COMPUTE_PGM_RSRC3_GFX90A:ACCUM_OFFSET: 0
; COMPUTE_PGM_RSRC3_GFX90A:TG_SPLIT: 0
	.section	.text._ZN7rocprim17ROCPRIM_400000_NS6detail17trampoline_kernelINS0_14default_configENS1_35radix_sort_onesweep_config_selectorIjNS0_10empty_typeEEEZZNS1_29radix_sort_onesweep_iterationIS3_Lb0EN6thrust23THRUST_200600_302600_NS6detail15normal_iteratorINS9_10device_ptrIjEEEESE_PS5_SF_jNS0_19identity_decomposerENS1_16block_id_wrapperIjLb0EEEEE10hipError_tT1_PNSt15iterator_traitsISK_E10value_typeET2_T3_PNSL_ISQ_E10value_typeET4_T5_PSV_SW_PNS1_23onesweep_lookback_stateEbbT6_jjT7_P12ihipStream_tbENKUlT_T0_SK_SP_E_clISE_PjSF_SF_EEDaS13_S14_SK_SP_EUlS13_E_NS1_11comp_targetILNS1_3genE5ELNS1_11target_archE942ELNS1_3gpuE9ELNS1_3repE0EEENS1_47radix_sort_onesweep_sort_config_static_selectorELNS0_4arch9wavefront6targetE1EEEvSK_,"axG",@progbits,_ZN7rocprim17ROCPRIM_400000_NS6detail17trampoline_kernelINS0_14default_configENS1_35radix_sort_onesweep_config_selectorIjNS0_10empty_typeEEEZZNS1_29radix_sort_onesweep_iterationIS3_Lb0EN6thrust23THRUST_200600_302600_NS6detail15normal_iteratorINS9_10device_ptrIjEEEESE_PS5_SF_jNS0_19identity_decomposerENS1_16block_id_wrapperIjLb0EEEEE10hipError_tT1_PNSt15iterator_traitsISK_E10value_typeET2_T3_PNSL_ISQ_E10value_typeET4_T5_PSV_SW_PNS1_23onesweep_lookback_stateEbbT6_jjT7_P12ihipStream_tbENKUlT_T0_SK_SP_E_clISE_PjSF_SF_EEDaS13_S14_SK_SP_EUlS13_E_NS1_11comp_targetILNS1_3genE5ELNS1_11target_archE942ELNS1_3gpuE9ELNS1_3repE0EEENS1_47radix_sort_onesweep_sort_config_static_selectorELNS0_4arch9wavefront6targetE1EEEvSK_,comdat
	.protected	_ZN7rocprim17ROCPRIM_400000_NS6detail17trampoline_kernelINS0_14default_configENS1_35radix_sort_onesweep_config_selectorIjNS0_10empty_typeEEEZZNS1_29radix_sort_onesweep_iterationIS3_Lb0EN6thrust23THRUST_200600_302600_NS6detail15normal_iteratorINS9_10device_ptrIjEEEESE_PS5_SF_jNS0_19identity_decomposerENS1_16block_id_wrapperIjLb0EEEEE10hipError_tT1_PNSt15iterator_traitsISK_E10value_typeET2_T3_PNSL_ISQ_E10value_typeET4_T5_PSV_SW_PNS1_23onesweep_lookback_stateEbbT6_jjT7_P12ihipStream_tbENKUlT_T0_SK_SP_E_clISE_PjSF_SF_EEDaS13_S14_SK_SP_EUlS13_E_NS1_11comp_targetILNS1_3genE5ELNS1_11target_archE942ELNS1_3gpuE9ELNS1_3repE0EEENS1_47radix_sort_onesweep_sort_config_static_selectorELNS0_4arch9wavefront6targetE1EEEvSK_ ; -- Begin function _ZN7rocprim17ROCPRIM_400000_NS6detail17trampoline_kernelINS0_14default_configENS1_35radix_sort_onesweep_config_selectorIjNS0_10empty_typeEEEZZNS1_29radix_sort_onesweep_iterationIS3_Lb0EN6thrust23THRUST_200600_302600_NS6detail15normal_iteratorINS9_10device_ptrIjEEEESE_PS5_SF_jNS0_19identity_decomposerENS1_16block_id_wrapperIjLb0EEEEE10hipError_tT1_PNSt15iterator_traitsISK_E10value_typeET2_T3_PNSL_ISQ_E10value_typeET4_T5_PSV_SW_PNS1_23onesweep_lookback_stateEbbT6_jjT7_P12ihipStream_tbENKUlT_T0_SK_SP_E_clISE_PjSF_SF_EEDaS13_S14_SK_SP_EUlS13_E_NS1_11comp_targetILNS1_3genE5ELNS1_11target_archE942ELNS1_3gpuE9ELNS1_3repE0EEENS1_47radix_sort_onesweep_sort_config_static_selectorELNS0_4arch9wavefront6targetE1EEEvSK_
	.globl	_ZN7rocprim17ROCPRIM_400000_NS6detail17trampoline_kernelINS0_14default_configENS1_35radix_sort_onesweep_config_selectorIjNS0_10empty_typeEEEZZNS1_29radix_sort_onesweep_iterationIS3_Lb0EN6thrust23THRUST_200600_302600_NS6detail15normal_iteratorINS9_10device_ptrIjEEEESE_PS5_SF_jNS0_19identity_decomposerENS1_16block_id_wrapperIjLb0EEEEE10hipError_tT1_PNSt15iterator_traitsISK_E10value_typeET2_T3_PNSL_ISQ_E10value_typeET4_T5_PSV_SW_PNS1_23onesweep_lookback_stateEbbT6_jjT7_P12ihipStream_tbENKUlT_T0_SK_SP_E_clISE_PjSF_SF_EEDaS13_S14_SK_SP_EUlS13_E_NS1_11comp_targetILNS1_3genE5ELNS1_11target_archE942ELNS1_3gpuE9ELNS1_3repE0EEENS1_47radix_sort_onesweep_sort_config_static_selectorELNS0_4arch9wavefront6targetE1EEEvSK_
	.p2align	8
	.type	_ZN7rocprim17ROCPRIM_400000_NS6detail17trampoline_kernelINS0_14default_configENS1_35radix_sort_onesweep_config_selectorIjNS0_10empty_typeEEEZZNS1_29radix_sort_onesweep_iterationIS3_Lb0EN6thrust23THRUST_200600_302600_NS6detail15normal_iteratorINS9_10device_ptrIjEEEESE_PS5_SF_jNS0_19identity_decomposerENS1_16block_id_wrapperIjLb0EEEEE10hipError_tT1_PNSt15iterator_traitsISK_E10value_typeET2_T3_PNSL_ISQ_E10value_typeET4_T5_PSV_SW_PNS1_23onesweep_lookback_stateEbbT6_jjT7_P12ihipStream_tbENKUlT_T0_SK_SP_E_clISE_PjSF_SF_EEDaS13_S14_SK_SP_EUlS13_E_NS1_11comp_targetILNS1_3genE5ELNS1_11target_archE942ELNS1_3gpuE9ELNS1_3repE0EEENS1_47radix_sort_onesweep_sort_config_static_selectorELNS0_4arch9wavefront6targetE1EEEvSK_,@function
_ZN7rocprim17ROCPRIM_400000_NS6detail17trampoline_kernelINS0_14default_configENS1_35radix_sort_onesweep_config_selectorIjNS0_10empty_typeEEEZZNS1_29radix_sort_onesweep_iterationIS3_Lb0EN6thrust23THRUST_200600_302600_NS6detail15normal_iteratorINS9_10device_ptrIjEEEESE_PS5_SF_jNS0_19identity_decomposerENS1_16block_id_wrapperIjLb0EEEEE10hipError_tT1_PNSt15iterator_traitsISK_E10value_typeET2_T3_PNSL_ISQ_E10value_typeET4_T5_PSV_SW_PNS1_23onesweep_lookback_stateEbbT6_jjT7_P12ihipStream_tbENKUlT_T0_SK_SP_E_clISE_PjSF_SF_EEDaS13_S14_SK_SP_EUlS13_E_NS1_11comp_targetILNS1_3genE5ELNS1_11target_archE942ELNS1_3gpuE9ELNS1_3repE0EEENS1_47radix_sort_onesweep_sort_config_static_selectorELNS0_4arch9wavefront6targetE1EEEvSK_: ; @_ZN7rocprim17ROCPRIM_400000_NS6detail17trampoline_kernelINS0_14default_configENS1_35radix_sort_onesweep_config_selectorIjNS0_10empty_typeEEEZZNS1_29radix_sort_onesweep_iterationIS3_Lb0EN6thrust23THRUST_200600_302600_NS6detail15normal_iteratorINS9_10device_ptrIjEEEESE_PS5_SF_jNS0_19identity_decomposerENS1_16block_id_wrapperIjLb0EEEEE10hipError_tT1_PNSt15iterator_traitsISK_E10value_typeET2_T3_PNSL_ISQ_E10value_typeET4_T5_PSV_SW_PNS1_23onesweep_lookback_stateEbbT6_jjT7_P12ihipStream_tbENKUlT_T0_SK_SP_E_clISE_PjSF_SF_EEDaS13_S14_SK_SP_EUlS13_E_NS1_11comp_targetILNS1_3genE5ELNS1_11target_archE942ELNS1_3gpuE9ELNS1_3repE0EEENS1_47radix_sort_onesweep_sort_config_static_selectorELNS0_4arch9wavefront6targetE1EEEvSK_
; %bb.0:
	.section	.rodata,"a",@progbits
	.p2align	6, 0x0
	.amdhsa_kernel _ZN7rocprim17ROCPRIM_400000_NS6detail17trampoline_kernelINS0_14default_configENS1_35radix_sort_onesweep_config_selectorIjNS0_10empty_typeEEEZZNS1_29radix_sort_onesweep_iterationIS3_Lb0EN6thrust23THRUST_200600_302600_NS6detail15normal_iteratorINS9_10device_ptrIjEEEESE_PS5_SF_jNS0_19identity_decomposerENS1_16block_id_wrapperIjLb0EEEEE10hipError_tT1_PNSt15iterator_traitsISK_E10value_typeET2_T3_PNSL_ISQ_E10value_typeET4_T5_PSV_SW_PNS1_23onesweep_lookback_stateEbbT6_jjT7_P12ihipStream_tbENKUlT_T0_SK_SP_E_clISE_PjSF_SF_EEDaS13_S14_SK_SP_EUlS13_E_NS1_11comp_targetILNS1_3genE5ELNS1_11target_archE942ELNS1_3gpuE9ELNS1_3repE0EEENS1_47radix_sort_onesweep_sort_config_static_selectorELNS0_4arch9wavefront6targetE1EEEvSK_
		.amdhsa_group_segment_fixed_size 0
		.amdhsa_private_segment_fixed_size 0
		.amdhsa_kernarg_size 88
		.amdhsa_user_sgpr_count 6
		.amdhsa_user_sgpr_private_segment_buffer 1
		.amdhsa_user_sgpr_dispatch_ptr 0
		.amdhsa_user_sgpr_queue_ptr 0
		.amdhsa_user_sgpr_kernarg_segment_ptr 1
		.amdhsa_user_sgpr_dispatch_id 0
		.amdhsa_user_sgpr_flat_scratch_init 0
		.amdhsa_user_sgpr_kernarg_preload_length 0
		.amdhsa_user_sgpr_kernarg_preload_offset 0
		.amdhsa_user_sgpr_private_segment_size 0
		.amdhsa_uses_dynamic_stack 0
		.amdhsa_system_sgpr_private_segment_wavefront_offset 0
		.amdhsa_system_sgpr_workgroup_id_x 1
		.amdhsa_system_sgpr_workgroup_id_y 0
		.amdhsa_system_sgpr_workgroup_id_z 0
		.amdhsa_system_sgpr_workgroup_info 0
		.amdhsa_system_vgpr_workitem_id 0
		.amdhsa_next_free_vgpr 1
		.amdhsa_next_free_sgpr 0
		.amdhsa_accum_offset 4
		.amdhsa_reserve_vcc 0
		.amdhsa_reserve_flat_scratch 0
		.amdhsa_float_round_mode_32 0
		.amdhsa_float_round_mode_16_64 0
		.amdhsa_float_denorm_mode_32 3
		.amdhsa_float_denorm_mode_16_64 3
		.amdhsa_dx10_clamp 1
		.amdhsa_ieee_mode 1
		.amdhsa_fp16_overflow 0
		.amdhsa_tg_split 0
		.amdhsa_exception_fp_ieee_invalid_op 0
		.amdhsa_exception_fp_denorm_src 0
		.amdhsa_exception_fp_ieee_div_zero 0
		.amdhsa_exception_fp_ieee_overflow 0
		.amdhsa_exception_fp_ieee_underflow 0
		.amdhsa_exception_fp_ieee_inexact 0
		.amdhsa_exception_int_div_zero 0
	.end_amdhsa_kernel
	.section	.text._ZN7rocprim17ROCPRIM_400000_NS6detail17trampoline_kernelINS0_14default_configENS1_35radix_sort_onesweep_config_selectorIjNS0_10empty_typeEEEZZNS1_29radix_sort_onesweep_iterationIS3_Lb0EN6thrust23THRUST_200600_302600_NS6detail15normal_iteratorINS9_10device_ptrIjEEEESE_PS5_SF_jNS0_19identity_decomposerENS1_16block_id_wrapperIjLb0EEEEE10hipError_tT1_PNSt15iterator_traitsISK_E10value_typeET2_T3_PNSL_ISQ_E10value_typeET4_T5_PSV_SW_PNS1_23onesweep_lookback_stateEbbT6_jjT7_P12ihipStream_tbENKUlT_T0_SK_SP_E_clISE_PjSF_SF_EEDaS13_S14_SK_SP_EUlS13_E_NS1_11comp_targetILNS1_3genE5ELNS1_11target_archE942ELNS1_3gpuE9ELNS1_3repE0EEENS1_47radix_sort_onesweep_sort_config_static_selectorELNS0_4arch9wavefront6targetE1EEEvSK_,"axG",@progbits,_ZN7rocprim17ROCPRIM_400000_NS6detail17trampoline_kernelINS0_14default_configENS1_35radix_sort_onesweep_config_selectorIjNS0_10empty_typeEEEZZNS1_29radix_sort_onesweep_iterationIS3_Lb0EN6thrust23THRUST_200600_302600_NS6detail15normal_iteratorINS9_10device_ptrIjEEEESE_PS5_SF_jNS0_19identity_decomposerENS1_16block_id_wrapperIjLb0EEEEE10hipError_tT1_PNSt15iterator_traitsISK_E10value_typeET2_T3_PNSL_ISQ_E10value_typeET4_T5_PSV_SW_PNS1_23onesweep_lookback_stateEbbT6_jjT7_P12ihipStream_tbENKUlT_T0_SK_SP_E_clISE_PjSF_SF_EEDaS13_S14_SK_SP_EUlS13_E_NS1_11comp_targetILNS1_3genE5ELNS1_11target_archE942ELNS1_3gpuE9ELNS1_3repE0EEENS1_47radix_sort_onesweep_sort_config_static_selectorELNS0_4arch9wavefront6targetE1EEEvSK_,comdat
.Lfunc_end1139:
	.size	_ZN7rocprim17ROCPRIM_400000_NS6detail17trampoline_kernelINS0_14default_configENS1_35radix_sort_onesweep_config_selectorIjNS0_10empty_typeEEEZZNS1_29radix_sort_onesweep_iterationIS3_Lb0EN6thrust23THRUST_200600_302600_NS6detail15normal_iteratorINS9_10device_ptrIjEEEESE_PS5_SF_jNS0_19identity_decomposerENS1_16block_id_wrapperIjLb0EEEEE10hipError_tT1_PNSt15iterator_traitsISK_E10value_typeET2_T3_PNSL_ISQ_E10value_typeET4_T5_PSV_SW_PNS1_23onesweep_lookback_stateEbbT6_jjT7_P12ihipStream_tbENKUlT_T0_SK_SP_E_clISE_PjSF_SF_EEDaS13_S14_SK_SP_EUlS13_E_NS1_11comp_targetILNS1_3genE5ELNS1_11target_archE942ELNS1_3gpuE9ELNS1_3repE0EEENS1_47radix_sort_onesweep_sort_config_static_selectorELNS0_4arch9wavefront6targetE1EEEvSK_, .Lfunc_end1139-_ZN7rocprim17ROCPRIM_400000_NS6detail17trampoline_kernelINS0_14default_configENS1_35radix_sort_onesweep_config_selectorIjNS0_10empty_typeEEEZZNS1_29radix_sort_onesweep_iterationIS3_Lb0EN6thrust23THRUST_200600_302600_NS6detail15normal_iteratorINS9_10device_ptrIjEEEESE_PS5_SF_jNS0_19identity_decomposerENS1_16block_id_wrapperIjLb0EEEEE10hipError_tT1_PNSt15iterator_traitsISK_E10value_typeET2_T3_PNSL_ISQ_E10value_typeET4_T5_PSV_SW_PNS1_23onesweep_lookback_stateEbbT6_jjT7_P12ihipStream_tbENKUlT_T0_SK_SP_E_clISE_PjSF_SF_EEDaS13_S14_SK_SP_EUlS13_E_NS1_11comp_targetILNS1_3genE5ELNS1_11target_archE942ELNS1_3gpuE9ELNS1_3repE0EEENS1_47radix_sort_onesweep_sort_config_static_selectorELNS0_4arch9wavefront6targetE1EEEvSK_
                                        ; -- End function
	.section	.AMDGPU.csdata,"",@progbits
; Kernel info:
; codeLenInByte = 0
; NumSgprs: 4
; NumVgprs: 0
; NumAgprs: 0
; TotalNumVgprs: 0
; ScratchSize: 0
; MemoryBound: 0
; FloatMode: 240
; IeeeMode: 1
; LDSByteSize: 0 bytes/workgroup (compile time only)
; SGPRBlocks: 0
; VGPRBlocks: 0
; NumSGPRsForWavesPerEU: 4
; NumVGPRsForWavesPerEU: 1
; AccumOffset: 4
; Occupancy: 8
; WaveLimiterHint : 0
; COMPUTE_PGM_RSRC2:SCRATCH_EN: 0
; COMPUTE_PGM_RSRC2:USER_SGPR: 6
; COMPUTE_PGM_RSRC2:TRAP_HANDLER: 0
; COMPUTE_PGM_RSRC2:TGID_X_EN: 1
; COMPUTE_PGM_RSRC2:TGID_Y_EN: 0
; COMPUTE_PGM_RSRC2:TGID_Z_EN: 0
; COMPUTE_PGM_RSRC2:TIDIG_COMP_CNT: 0
; COMPUTE_PGM_RSRC3_GFX90A:ACCUM_OFFSET: 0
; COMPUTE_PGM_RSRC3_GFX90A:TG_SPLIT: 0
	.section	.text._ZN7rocprim17ROCPRIM_400000_NS6detail17trampoline_kernelINS0_14default_configENS1_35radix_sort_onesweep_config_selectorIjNS0_10empty_typeEEEZZNS1_29radix_sort_onesweep_iterationIS3_Lb0EN6thrust23THRUST_200600_302600_NS6detail15normal_iteratorINS9_10device_ptrIjEEEESE_PS5_SF_jNS0_19identity_decomposerENS1_16block_id_wrapperIjLb0EEEEE10hipError_tT1_PNSt15iterator_traitsISK_E10value_typeET2_T3_PNSL_ISQ_E10value_typeET4_T5_PSV_SW_PNS1_23onesweep_lookback_stateEbbT6_jjT7_P12ihipStream_tbENKUlT_T0_SK_SP_E_clISE_PjSF_SF_EEDaS13_S14_SK_SP_EUlS13_E_NS1_11comp_targetILNS1_3genE2ELNS1_11target_archE906ELNS1_3gpuE6ELNS1_3repE0EEENS1_47radix_sort_onesweep_sort_config_static_selectorELNS0_4arch9wavefront6targetE1EEEvSK_,"axG",@progbits,_ZN7rocprim17ROCPRIM_400000_NS6detail17trampoline_kernelINS0_14default_configENS1_35radix_sort_onesweep_config_selectorIjNS0_10empty_typeEEEZZNS1_29radix_sort_onesweep_iterationIS3_Lb0EN6thrust23THRUST_200600_302600_NS6detail15normal_iteratorINS9_10device_ptrIjEEEESE_PS5_SF_jNS0_19identity_decomposerENS1_16block_id_wrapperIjLb0EEEEE10hipError_tT1_PNSt15iterator_traitsISK_E10value_typeET2_T3_PNSL_ISQ_E10value_typeET4_T5_PSV_SW_PNS1_23onesweep_lookback_stateEbbT6_jjT7_P12ihipStream_tbENKUlT_T0_SK_SP_E_clISE_PjSF_SF_EEDaS13_S14_SK_SP_EUlS13_E_NS1_11comp_targetILNS1_3genE2ELNS1_11target_archE906ELNS1_3gpuE6ELNS1_3repE0EEENS1_47radix_sort_onesweep_sort_config_static_selectorELNS0_4arch9wavefront6targetE1EEEvSK_,comdat
	.protected	_ZN7rocprim17ROCPRIM_400000_NS6detail17trampoline_kernelINS0_14default_configENS1_35radix_sort_onesweep_config_selectorIjNS0_10empty_typeEEEZZNS1_29radix_sort_onesweep_iterationIS3_Lb0EN6thrust23THRUST_200600_302600_NS6detail15normal_iteratorINS9_10device_ptrIjEEEESE_PS5_SF_jNS0_19identity_decomposerENS1_16block_id_wrapperIjLb0EEEEE10hipError_tT1_PNSt15iterator_traitsISK_E10value_typeET2_T3_PNSL_ISQ_E10value_typeET4_T5_PSV_SW_PNS1_23onesweep_lookback_stateEbbT6_jjT7_P12ihipStream_tbENKUlT_T0_SK_SP_E_clISE_PjSF_SF_EEDaS13_S14_SK_SP_EUlS13_E_NS1_11comp_targetILNS1_3genE2ELNS1_11target_archE906ELNS1_3gpuE6ELNS1_3repE0EEENS1_47radix_sort_onesweep_sort_config_static_selectorELNS0_4arch9wavefront6targetE1EEEvSK_ ; -- Begin function _ZN7rocprim17ROCPRIM_400000_NS6detail17trampoline_kernelINS0_14default_configENS1_35radix_sort_onesweep_config_selectorIjNS0_10empty_typeEEEZZNS1_29radix_sort_onesweep_iterationIS3_Lb0EN6thrust23THRUST_200600_302600_NS6detail15normal_iteratorINS9_10device_ptrIjEEEESE_PS5_SF_jNS0_19identity_decomposerENS1_16block_id_wrapperIjLb0EEEEE10hipError_tT1_PNSt15iterator_traitsISK_E10value_typeET2_T3_PNSL_ISQ_E10value_typeET4_T5_PSV_SW_PNS1_23onesweep_lookback_stateEbbT6_jjT7_P12ihipStream_tbENKUlT_T0_SK_SP_E_clISE_PjSF_SF_EEDaS13_S14_SK_SP_EUlS13_E_NS1_11comp_targetILNS1_3genE2ELNS1_11target_archE906ELNS1_3gpuE6ELNS1_3repE0EEENS1_47radix_sort_onesweep_sort_config_static_selectorELNS0_4arch9wavefront6targetE1EEEvSK_
	.globl	_ZN7rocprim17ROCPRIM_400000_NS6detail17trampoline_kernelINS0_14default_configENS1_35radix_sort_onesweep_config_selectorIjNS0_10empty_typeEEEZZNS1_29radix_sort_onesweep_iterationIS3_Lb0EN6thrust23THRUST_200600_302600_NS6detail15normal_iteratorINS9_10device_ptrIjEEEESE_PS5_SF_jNS0_19identity_decomposerENS1_16block_id_wrapperIjLb0EEEEE10hipError_tT1_PNSt15iterator_traitsISK_E10value_typeET2_T3_PNSL_ISQ_E10value_typeET4_T5_PSV_SW_PNS1_23onesweep_lookback_stateEbbT6_jjT7_P12ihipStream_tbENKUlT_T0_SK_SP_E_clISE_PjSF_SF_EEDaS13_S14_SK_SP_EUlS13_E_NS1_11comp_targetILNS1_3genE2ELNS1_11target_archE906ELNS1_3gpuE6ELNS1_3repE0EEENS1_47radix_sort_onesweep_sort_config_static_selectorELNS0_4arch9wavefront6targetE1EEEvSK_
	.p2align	8
	.type	_ZN7rocprim17ROCPRIM_400000_NS6detail17trampoline_kernelINS0_14default_configENS1_35radix_sort_onesweep_config_selectorIjNS0_10empty_typeEEEZZNS1_29radix_sort_onesweep_iterationIS3_Lb0EN6thrust23THRUST_200600_302600_NS6detail15normal_iteratorINS9_10device_ptrIjEEEESE_PS5_SF_jNS0_19identity_decomposerENS1_16block_id_wrapperIjLb0EEEEE10hipError_tT1_PNSt15iterator_traitsISK_E10value_typeET2_T3_PNSL_ISQ_E10value_typeET4_T5_PSV_SW_PNS1_23onesweep_lookback_stateEbbT6_jjT7_P12ihipStream_tbENKUlT_T0_SK_SP_E_clISE_PjSF_SF_EEDaS13_S14_SK_SP_EUlS13_E_NS1_11comp_targetILNS1_3genE2ELNS1_11target_archE906ELNS1_3gpuE6ELNS1_3repE0EEENS1_47radix_sort_onesweep_sort_config_static_selectorELNS0_4arch9wavefront6targetE1EEEvSK_,@function
_ZN7rocprim17ROCPRIM_400000_NS6detail17trampoline_kernelINS0_14default_configENS1_35radix_sort_onesweep_config_selectorIjNS0_10empty_typeEEEZZNS1_29radix_sort_onesweep_iterationIS3_Lb0EN6thrust23THRUST_200600_302600_NS6detail15normal_iteratorINS9_10device_ptrIjEEEESE_PS5_SF_jNS0_19identity_decomposerENS1_16block_id_wrapperIjLb0EEEEE10hipError_tT1_PNSt15iterator_traitsISK_E10value_typeET2_T3_PNSL_ISQ_E10value_typeET4_T5_PSV_SW_PNS1_23onesweep_lookback_stateEbbT6_jjT7_P12ihipStream_tbENKUlT_T0_SK_SP_E_clISE_PjSF_SF_EEDaS13_S14_SK_SP_EUlS13_E_NS1_11comp_targetILNS1_3genE2ELNS1_11target_archE906ELNS1_3gpuE6ELNS1_3repE0EEENS1_47radix_sort_onesweep_sort_config_static_selectorELNS0_4arch9wavefront6targetE1EEEvSK_: ; @_ZN7rocprim17ROCPRIM_400000_NS6detail17trampoline_kernelINS0_14default_configENS1_35radix_sort_onesweep_config_selectorIjNS0_10empty_typeEEEZZNS1_29radix_sort_onesweep_iterationIS3_Lb0EN6thrust23THRUST_200600_302600_NS6detail15normal_iteratorINS9_10device_ptrIjEEEESE_PS5_SF_jNS0_19identity_decomposerENS1_16block_id_wrapperIjLb0EEEEE10hipError_tT1_PNSt15iterator_traitsISK_E10value_typeET2_T3_PNSL_ISQ_E10value_typeET4_T5_PSV_SW_PNS1_23onesweep_lookback_stateEbbT6_jjT7_P12ihipStream_tbENKUlT_T0_SK_SP_E_clISE_PjSF_SF_EEDaS13_S14_SK_SP_EUlS13_E_NS1_11comp_targetILNS1_3genE2ELNS1_11target_archE906ELNS1_3gpuE6ELNS1_3repE0EEENS1_47radix_sort_onesweep_sort_config_static_selectorELNS0_4arch9wavefront6targetE1EEEvSK_
; %bb.0:
	.section	.rodata,"a",@progbits
	.p2align	6, 0x0
	.amdhsa_kernel _ZN7rocprim17ROCPRIM_400000_NS6detail17trampoline_kernelINS0_14default_configENS1_35radix_sort_onesweep_config_selectorIjNS0_10empty_typeEEEZZNS1_29radix_sort_onesweep_iterationIS3_Lb0EN6thrust23THRUST_200600_302600_NS6detail15normal_iteratorINS9_10device_ptrIjEEEESE_PS5_SF_jNS0_19identity_decomposerENS1_16block_id_wrapperIjLb0EEEEE10hipError_tT1_PNSt15iterator_traitsISK_E10value_typeET2_T3_PNSL_ISQ_E10value_typeET4_T5_PSV_SW_PNS1_23onesweep_lookback_stateEbbT6_jjT7_P12ihipStream_tbENKUlT_T0_SK_SP_E_clISE_PjSF_SF_EEDaS13_S14_SK_SP_EUlS13_E_NS1_11comp_targetILNS1_3genE2ELNS1_11target_archE906ELNS1_3gpuE6ELNS1_3repE0EEENS1_47radix_sort_onesweep_sort_config_static_selectorELNS0_4arch9wavefront6targetE1EEEvSK_
		.amdhsa_group_segment_fixed_size 0
		.amdhsa_private_segment_fixed_size 0
		.amdhsa_kernarg_size 88
		.amdhsa_user_sgpr_count 6
		.amdhsa_user_sgpr_private_segment_buffer 1
		.amdhsa_user_sgpr_dispatch_ptr 0
		.amdhsa_user_sgpr_queue_ptr 0
		.amdhsa_user_sgpr_kernarg_segment_ptr 1
		.amdhsa_user_sgpr_dispatch_id 0
		.amdhsa_user_sgpr_flat_scratch_init 0
		.amdhsa_user_sgpr_kernarg_preload_length 0
		.amdhsa_user_sgpr_kernarg_preload_offset 0
		.amdhsa_user_sgpr_private_segment_size 0
		.amdhsa_uses_dynamic_stack 0
		.amdhsa_system_sgpr_private_segment_wavefront_offset 0
		.amdhsa_system_sgpr_workgroup_id_x 1
		.amdhsa_system_sgpr_workgroup_id_y 0
		.amdhsa_system_sgpr_workgroup_id_z 0
		.amdhsa_system_sgpr_workgroup_info 0
		.amdhsa_system_vgpr_workitem_id 0
		.amdhsa_next_free_vgpr 1
		.amdhsa_next_free_sgpr 0
		.amdhsa_accum_offset 4
		.amdhsa_reserve_vcc 0
		.amdhsa_reserve_flat_scratch 0
		.amdhsa_float_round_mode_32 0
		.amdhsa_float_round_mode_16_64 0
		.amdhsa_float_denorm_mode_32 3
		.amdhsa_float_denorm_mode_16_64 3
		.amdhsa_dx10_clamp 1
		.amdhsa_ieee_mode 1
		.amdhsa_fp16_overflow 0
		.amdhsa_tg_split 0
		.amdhsa_exception_fp_ieee_invalid_op 0
		.amdhsa_exception_fp_denorm_src 0
		.amdhsa_exception_fp_ieee_div_zero 0
		.amdhsa_exception_fp_ieee_overflow 0
		.amdhsa_exception_fp_ieee_underflow 0
		.amdhsa_exception_fp_ieee_inexact 0
		.amdhsa_exception_int_div_zero 0
	.end_amdhsa_kernel
	.section	.text._ZN7rocprim17ROCPRIM_400000_NS6detail17trampoline_kernelINS0_14default_configENS1_35radix_sort_onesweep_config_selectorIjNS0_10empty_typeEEEZZNS1_29radix_sort_onesweep_iterationIS3_Lb0EN6thrust23THRUST_200600_302600_NS6detail15normal_iteratorINS9_10device_ptrIjEEEESE_PS5_SF_jNS0_19identity_decomposerENS1_16block_id_wrapperIjLb0EEEEE10hipError_tT1_PNSt15iterator_traitsISK_E10value_typeET2_T3_PNSL_ISQ_E10value_typeET4_T5_PSV_SW_PNS1_23onesweep_lookback_stateEbbT6_jjT7_P12ihipStream_tbENKUlT_T0_SK_SP_E_clISE_PjSF_SF_EEDaS13_S14_SK_SP_EUlS13_E_NS1_11comp_targetILNS1_3genE2ELNS1_11target_archE906ELNS1_3gpuE6ELNS1_3repE0EEENS1_47radix_sort_onesweep_sort_config_static_selectorELNS0_4arch9wavefront6targetE1EEEvSK_,"axG",@progbits,_ZN7rocprim17ROCPRIM_400000_NS6detail17trampoline_kernelINS0_14default_configENS1_35radix_sort_onesweep_config_selectorIjNS0_10empty_typeEEEZZNS1_29radix_sort_onesweep_iterationIS3_Lb0EN6thrust23THRUST_200600_302600_NS6detail15normal_iteratorINS9_10device_ptrIjEEEESE_PS5_SF_jNS0_19identity_decomposerENS1_16block_id_wrapperIjLb0EEEEE10hipError_tT1_PNSt15iterator_traitsISK_E10value_typeET2_T3_PNSL_ISQ_E10value_typeET4_T5_PSV_SW_PNS1_23onesweep_lookback_stateEbbT6_jjT7_P12ihipStream_tbENKUlT_T0_SK_SP_E_clISE_PjSF_SF_EEDaS13_S14_SK_SP_EUlS13_E_NS1_11comp_targetILNS1_3genE2ELNS1_11target_archE906ELNS1_3gpuE6ELNS1_3repE0EEENS1_47radix_sort_onesweep_sort_config_static_selectorELNS0_4arch9wavefront6targetE1EEEvSK_,comdat
.Lfunc_end1140:
	.size	_ZN7rocprim17ROCPRIM_400000_NS6detail17trampoline_kernelINS0_14default_configENS1_35radix_sort_onesweep_config_selectorIjNS0_10empty_typeEEEZZNS1_29radix_sort_onesweep_iterationIS3_Lb0EN6thrust23THRUST_200600_302600_NS6detail15normal_iteratorINS9_10device_ptrIjEEEESE_PS5_SF_jNS0_19identity_decomposerENS1_16block_id_wrapperIjLb0EEEEE10hipError_tT1_PNSt15iterator_traitsISK_E10value_typeET2_T3_PNSL_ISQ_E10value_typeET4_T5_PSV_SW_PNS1_23onesweep_lookback_stateEbbT6_jjT7_P12ihipStream_tbENKUlT_T0_SK_SP_E_clISE_PjSF_SF_EEDaS13_S14_SK_SP_EUlS13_E_NS1_11comp_targetILNS1_3genE2ELNS1_11target_archE906ELNS1_3gpuE6ELNS1_3repE0EEENS1_47radix_sort_onesweep_sort_config_static_selectorELNS0_4arch9wavefront6targetE1EEEvSK_, .Lfunc_end1140-_ZN7rocprim17ROCPRIM_400000_NS6detail17trampoline_kernelINS0_14default_configENS1_35radix_sort_onesweep_config_selectorIjNS0_10empty_typeEEEZZNS1_29radix_sort_onesweep_iterationIS3_Lb0EN6thrust23THRUST_200600_302600_NS6detail15normal_iteratorINS9_10device_ptrIjEEEESE_PS5_SF_jNS0_19identity_decomposerENS1_16block_id_wrapperIjLb0EEEEE10hipError_tT1_PNSt15iterator_traitsISK_E10value_typeET2_T3_PNSL_ISQ_E10value_typeET4_T5_PSV_SW_PNS1_23onesweep_lookback_stateEbbT6_jjT7_P12ihipStream_tbENKUlT_T0_SK_SP_E_clISE_PjSF_SF_EEDaS13_S14_SK_SP_EUlS13_E_NS1_11comp_targetILNS1_3genE2ELNS1_11target_archE906ELNS1_3gpuE6ELNS1_3repE0EEENS1_47radix_sort_onesweep_sort_config_static_selectorELNS0_4arch9wavefront6targetE1EEEvSK_
                                        ; -- End function
	.section	.AMDGPU.csdata,"",@progbits
; Kernel info:
; codeLenInByte = 0
; NumSgprs: 4
; NumVgprs: 0
; NumAgprs: 0
; TotalNumVgprs: 0
; ScratchSize: 0
; MemoryBound: 0
; FloatMode: 240
; IeeeMode: 1
; LDSByteSize: 0 bytes/workgroup (compile time only)
; SGPRBlocks: 0
; VGPRBlocks: 0
; NumSGPRsForWavesPerEU: 4
; NumVGPRsForWavesPerEU: 1
; AccumOffset: 4
; Occupancy: 8
; WaveLimiterHint : 0
; COMPUTE_PGM_RSRC2:SCRATCH_EN: 0
; COMPUTE_PGM_RSRC2:USER_SGPR: 6
; COMPUTE_PGM_RSRC2:TRAP_HANDLER: 0
; COMPUTE_PGM_RSRC2:TGID_X_EN: 1
; COMPUTE_PGM_RSRC2:TGID_Y_EN: 0
; COMPUTE_PGM_RSRC2:TGID_Z_EN: 0
; COMPUTE_PGM_RSRC2:TIDIG_COMP_CNT: 0
; COMPUTE_PGM_RSRC3_GFX90A:ACCUM_OFFSET: 0
; COMPUTE_PGM_RSRC3_GFX90A:TG_SPLIT: 0
	.section	.text._ZN7rocprim17ROCPRIM_400000_NS6detail17trampoline_kernelINS0_14default_configENS1_35radix_sort_onesweep_config_selectorIjNS0_10empty_typeEEEZZNS1_29radix_sort_onesweep_iterationIS3_Lb0EN6thrust23THRUST_200600_302600_NS6detail15normal_iteratorINS9_10device_ptrIjEEEESE_PS5_SF_jNS0_19identity_decomposerENS1_16block_id_wrapperIjLb0EEEEE10hipError_tT1_PNSt15iterator_traitsISK_E10value_typeET2_T3_PNSL_ISQ_E10value_typeET4_T5_PSV_SW_PNS1_23onesweep_lookback_stateEbbT6_jjT7_P12ihipStream_tbENKUlT_T0_SK_SP_E_clISE_PjSF_SF_EEDaS13_S14_SK_SP_EUlS13_E_NS1_11comp_targetILNS1_3genE4ELNS1_11target_archE910ELNS1_3gpuE8ELNS1_3repE0EEENS1_47radix_sort_onesweep_sort_config_static_selectorELNS0_4arch9wavefront6targetE1EEEvSK_,"axG",@progbits,_ZN7rocprim17ROCPRIM_400000_NS6detail17trampoline_kernelINS0_14default_configENS1_35radix_sort_onesweep_config_selectorIjNS0_10empty_typeEEEZZNS1_29radix_sort_onesweep_iterationIS3_Lb0EN6thrust23THRUST_200600_302600_NS6detail15normal_iteratorINS9_10device_ptrIjEEEESE_PS5_SF_jNS0_19identity_decomposerENS1_16block_id_wrapperIjLb0EEEEE10hipError_tT1_PNSt15iterator_traitsISK_E10value_typeET2_T3_PNSL_ISQ_E10value_typeET4_T5_PSV_SW_PNS1_23onesweep_lookback_stateEbbT6_jjT7_P12ihipStream_tbENKUlT_T0_SK_SP_E_clISE_PjSF_SF_EEDaS13_S14_SK_SP_EUlS13_E_NS1_11comp_targetILNS1_3genE4ELNS1_11target_archE910ELNS1_3gpuE8ELNS1_3repE0EEENS1_47radix_sort_onesweep_sort_config_static_selectorELNS0_4arch9wavefront6targetE1EEEvSK_,comdat
	.protected	_ZN7rocprim17ROCPRIM_400000_NS6detail17trampoline_kernelINS0_14default_configENS1_35radix_sort_onesweep_config_selectorIjNS0_10empty_typeEEEZZNS1_29radix_sort_onesweep_iterationIS3_Lb0EN6thrust23THRUST_200600_302600_NS6detail15normal_iteratorINS9_10device_ptrIjEEEESE_PS5_SF_jNS0_19identity_decomposerENS1_16block_id_wrapperIjLb0EEEEE10hipError_tT1_PNSt15iterator_traitsISK_E10value_typeET2_T3_PNSL_ISQ_E10value_typeET4_T5_PSV_SW_PNS1_23onesweep_lookback_stateEbbT6_jjT7_P12ihipStream_tbENKUlT_T0_SK_SP_E_clISE_PjSF_SF_EEDaS13_S14_SK_SP_EUlS13_E_NS1_11comp_targetILNS1_3genE4ELNS1_11target_archE910ELNS1_3gpuE8ELNS1_3repE0EEENS1_47radix_sort_onesweep_sort_config_static_selectorELNS0_4arch9wavefront6targetE1EEEvSK_ ; -- Begin function _ZN7rocprim17ROCPRIM_400000_NS6detail17trampoline_kernelINS0_14default_configENS1_35radix_sort_onesweep_config_selectorIjNS0_10empty_typeEEEZZNS1_29radix_sort_onesweep_iterationIS3_Lb0EN6thrust23THRUST_200600_302600_NS6detail15normal_iteratorINS9_10device_ptrIjEEEESE_PS5_SF_jNS0_19identity_decomposerENS1_16block_id_wrapperIjLb0EEEEE10hipError_tT1_PNSt15iterator_traitsISK_E10value_typeET2_T3_PNSL_ISQ_E10value_typeET4_T5_PSV_SW_PNS1_23onesweep_lookback_stateEbbT6_jjT7_P12ihipStream_tbENKUlT_T0_SK_SP_E_clISE_PjSF_SF_EEDaS13_S14_SK_SP_EUlS13_E_NS1_11comp_targetILNS1_3genE4ELNS1_11target_archE910ELNS1_3gpuE8ELNS1_3repE0EEENS1_47radix_sort_onesweep_sort_config_static_selectorELNS0_4arch9wavefront6targetE1EEEvSK_
	.globl	_ZN7rocprim17ROCPRIM_400000_NS6detail17trampoline_kernelINS0_14default_configENS1_35radix_sort_onesweep_config_selectorIjNS0_10empty_typeEEEZZNS1_29radix_sort_onesweep_iterationIS3_Lb0EN6thrust23THRUST_200600_302600_NS6detail15normal_iteratorINS9_10device_ptrIjEEEESE_PS5_SF_jNS0_19identity_decomposerENS1_16block_id_wrapperIjLb0EEEEE10hipError_tT1_PNSt15iterator_traitsISK_E10value_typeET2_T3_PNSL_ISQ_E10value_typeET4_T5_PSV_SW_PNS1_23onesweep_lookback_stateEbbT6_jjT7_P12ihipStream_tbENKUlT_T0_SK_SP_E_clISE_PjSF_SF_EEDaS13_S14_SK_SP_EUlS13_E_NS1_11comp_targetILNS1_3genE4ELNS1_11target_archE910ELNS1_3gpuE8ELNS1_3repE0EEENS1_47radix_sort_onesweep_sort_config_static_selectorELNS0_4arch9wavefront6targetE1EEEvSK_
	.p2align	8
	.type	_ZN7rocprim17ROCPRIM_400000_NS6detail17trampoline_kernelINS0_14default_configENS1_35radix_sort_onesweep_config_selectorIjNS0_10empty_typeEEEZZNS1_29radix_sort_onesweep_iterationIS3_Lb0EN6thrust23THRUST_200600_302600_NS6detail15normal_iteratorINS9_10device_ptrIjEEEESE_PS5_SF_jNS0_19identity_decomposerENS1_16block_id_wrapperIjLb0EEEEE10hipError_tT1_PNSt15iterator_traitsISK_E10value_typeET2_T3_PNSL_ISQ_E10value_typeET4_T5_PSV_SW_PNS1_23onesweep_lookback_stateEbbT6_jjT7_P12ihipStream_tbENKUlT_T0_SK_SP_E_clISE_PjSF_SF_EEDaS13_S14_SK_SP_EUlS13_E_NS1_11comp_targetILNS1_3genE4ELNS1_11target_archE910ELNS1_3gpuE8ELNS1_3repE0EEENS1_47radix_sort_onesweep_sort_config_static_selectorELNS0_4arch9wavefront6targetE1EEEvSK_,@function
_ZN7rocprim17ROCPRIM_400000_NS6detail17trampoline_kernelINS0_14default_configENS1_35radix_sort_onesweep_config_selectorIjNS0_10empty_typeEEEZZNS1_29radix_sort_onesweep_iterationIS3_Lb0EN6thrust23THRUST_200600_302600_NS6detail15normal_iteratorINS9_10device_ptrIjEEEESE_PS5_SF_jNS0_19identity_decomposerENS1_16block_id_wrapperIjLb0EEEEE10hipError_tT1_PNSt15iterator_traitsISK_E10value_typeET2_T3_PNSL_ISQ_E10value_typeET4_T5_PSV_SW_PNS1_23onesweep_lookback_stateEbbT6_jjT7_P12ihipStream_tbENKUlT_T0_SK_SP_E_clISE_PjSF_SF_EEDaS13_S14_SK_SP_EUlS13_E_NS1_11comp_targetILNS1_3genE4ELNS1_11target_archE910ELNS1_3gpuE8ELNS1_3repE0EEENS1_47radix_sort_onesweep_sort_config_static_selectorELNS0_4arch9wavefront6targetE1EEEvSK_: ; @_ZN7rocprim17ROCPRIM_400000_NS6detail17trampoline_kernelINS0_14default_configENS1_35radix_sort_onesweep_config_selectorIjNS0_10empty_typeEEEZZNS1_29radix_sort_onesweep_iterationIS3_Lb0EN6thrust23THRUST_200600_302600_NS6detail15normal_iteratorINS9_10device_ptrIjEEEESE_PS5_SF_jNS0_19identity_decomposerENS1_16block_id_wrapperIjLb0EEEEE10hipError_tT1_PNSt15iterator_traitsISK_E10value_typeET2_T3_PNSL_ISQ_E10value_typeET4_T5_PSV_SW_PNS1_23onesweep_lookback_stateEbbT6_jjT7_P12ihipStream_tbENKUlT_T0_SK_SP_E_clISE_PjSF_SF_EEDaS13_S14_SK_SP_EUlS13_E_NS1_11comp_targetILNS1_3genE4ELNS1_11target_archE910ELNS1_3gpuE8ELNS1_3repE0EEENS1_47radix_sort_onesweep_sort_config_static_selectorELNS0_4arch9wavefront6targetE1EEEvSK_
; %bb.0:
	s_load_dwordx4 s[16:19], s[4:5], 0x44
	s_load_dwordx2 s[24:25], s[4:5], 0x38
	s_load_dwordx4 s[20:23], s[4:5], 0x0
	s_load_dwordx4 s[12:15], s[4:5], 0x28
	s_mul_i32 s26, s6, 0x3000
	s_waitcnt lgkmcnt(0)
	s_cmp_ge_u32 s6, s18
	v_mbcnt_lo_u32_b32 v1, -1, 0
	s_cbranch_scc0 .LBB1141_79
; %bb.1:
	s_load_dword s7, s[4:5], 0x20
	s_mul_i32 s2, s18, 0xffffd000
	s_mov_b32 s27, 0
	v_and_b32_e32 v2, 0x3ff, v0
	s_lshl_b64 s[0:1], s[26:27], 2
	s_waitcnt lgkmcnt(0)
	s_add_i32 s7, s7, s2
	v_mbcnt_hi_u32_b32 v8, -1, v1
	s_add_u32 s0, s20, s0
	v_and_b32_e32 v3, 63, v8
	v_and_b32_e32 v4, 0x3c0, v2
	s_addc_u32 s1, s21, s1
	v_mul_u32_u24_e32 v6, 12, v4
	v_lshlrev_b32_e32 v4, 2, v3
	v_mov_b32_e32 v5, s1
	v_add_co_u32_e32 v4, vcc, s0, v4
	v_addc_co_u32_e32 v5, vcc, 0, v5, vcc
	v_lshlrev_b32_e32 v7, 2, v6
	v_add_co_u32_e32 v4, vcc, v4, v7
	v_addc_co_u32_e32 v5, vcc, 0, v5, vcc
	v_or_b32_e32 v6, v3, v6
	v_cmp_gt_u32_e32 vcc, s7, v6
	v_mov_b32_e32 v3, -1
	v_mov_b32_e32 v10, -1
	s_and_saveexec_b64 s[0:1], vcc
	s_cbranch_execz .LBB1141_3
; %bb.2:
	global_load_dword v10, v[4:5], off
.LBB1141_3:
	s_or_b64 exec, exec, s[0:1]
	v_or_b32_e32 v7, 64, v6
	v_cmp_gt_u32_e32 vcc, s7, v7
	v_mov_b32_e32 v11, -1
	s_and_saveexec_b64 s[0:1], vcc
	s_cbranch_execz .LBB1141_5
; %bb.4:
	global_load_dword v11, v[4:5], off offset:256
.LBB1141_5:
	s_or_b64 exec, exec, s[0:1]
	v_or_b32_e32 v7, 0x80, v6
	v_cmp_gt_u32_e32 vcc, s7, v7
	s_and_saveexec_b64 s[0:1], vcc
	s_cbranch_execz .LBB1141_7
; %bb.6:
	global_load_dword v3, v[4:5], off offset:512
.LBB1141_7:
	s_or_b64 exec, exec, s[0:1]
	v_or_b32_e32 v7, 0xc0, v6
	v_cmp_gt_u32_e32 vcc, s7, v7
	v_mov_b32_e32 v12, -1
	v_mov_b32_e32 v13, -1
	s_and_saveexec_b64 s[0:1], vcc
	s_cbranch_execz .LBB1141_9
; %bb.8:
	global_load_dword v13, v[4:5], off offset:768
.LBB1141_9:
	s_or_b64 exec, exec, s[0:1]
	v_add_u32_e32 v7, 0x100, v6
	v_cmp_gt_u32_e32 vcc, s7, v7
	s_and_saveexec_b64 s[0:1], vcc
	s_cbranch_execz .LBB1141_11
; %bb.10:
	global_load_dword v12, v[4:5], off offset:1024
.LBB1141_11:
	s_or_b64 exec, exec, s[0:1]
	v_add_u32_e32 v7, 0x140, v6
	v_cmp_gt_u32_e32 vcc, s7, v7
	v_mov_b32_e32 v14, -1
	v_mov_b32_e32 v15, -1
	s_and_saveexec_b64 s[0:1], vcc
	s_cbranch_execz .LBB1141_13
; %bb.12:
	global_load_dword v15, v[4:5], off offset:1280
.LBB1141_13:
	s_or_b64 exec, exec, s[0:1]
	v_add_u32_e32 v7, 0x180, v6
	v_cmp_gt_u32_e32 vcc, s7, v7
	s_and_saveexec_b64 s[0:1], vcc
	s_cbranch_execz .LBB1141_15
; %bb.14:
	global_load_dword v14, v[4:5], off offset:1536
.LBB1141_15:
	s_or_b64 exec, exec, s[0:1]
	v_add_u32_e32 v7, 0x1c0, v6
	;; [unrolled: 18-line block ×4, first 2 shown]
	v_cmp_gt_u32_e32 vcc, s7, v6
	v_mov_b32_e32 v20, -1
	s_and_saveexec_b64 s[0:1], vcc
	s_cbranch_execz .LBB1141_25
; %bb.24:
	global_load_dword v20, v[4:5], off offset:2816
.LBB1141_25:
	s_or_b64 exec, exec, s[0:1]
	s_load_dword s0, s[4:5], 0x64
	s_load_dword s27, s[4:5], 0x58
	s_add_u32 s1, s4, 0x58
	s_addc_u32 s2, s5, 0
	v_mov_b32_e32 v4, 0
	s_waitcnt lgkmcnt(0)
	s_lshr_b32 s3, s0, 16
	s_cmp_lt_u32 s6, s27
	s_cselect_b32 s0, 12, 18
	s_add_u32 s0, s1, s0
	s_addc_u32 s1, s2, 0
	global_load_ushort v6, v4, s[0:1]
	s_lshl_b32 s0, -1, s17
	s_waitcnt vmcnt(1)
	v_lshrrev_b32_e32 v21, s16, v10
	s_not_b32 s28, s0
	v_and_b32_e32 v21, s28, v21
	v_and_b32_e32 v23, 1, v21
	v_bfe_u32 v5, v0, 10, 10
	v_bfe_u32 v7, v0, 20, 10
	v_add_co_u32_e32 v24, vcc, -1, v23
	v_mad_u32_u24 v7, v7, s3, v5
	v_lshlrev_b32_e32 v5, 30, v21
	v_addc_co_u32_e64 v25, s[0:1], 0, -1, vcc
	v_cmp_ne_u32_e32 vcc, 0, v23
	v_cmp_gt_i64_e64 s[0:1], 0, v[4:5]
	v_not_b32_e32 v23, v5
	v_lshlrev_b32_e32 v5, 29, v21
	v_xor_b32_e32 v25, vcc_hi, v25
	v_xor_b32_e32 v24, vcc_lo, v24
	v_ashrrev_i32_e32 v23, 31, v23
	v_cmp_gt_i64_e32 vcc, 0, v[4:5]
	v_not_b32_e32 v26, v5
	v_lshlrev_b32_e32 v5, 28, v21
	v_and_b32_e32 v25, exec_hi, v25
	v_and_b32_e32 v24, exec_lo, v24
	v_xor_b32_e32 v27, s1, v23
	v_xor_b32_e32 v23, s0, v23
	v_ashrrev_i32_e32 v26, 31, v26
	v_cmp_gt_i64_e64 s[0:1], 0, v[4:5]
	v_not_b32_e32 v28, v5
	v_lshlrev_b32_e32 v5, 27, v21
	v_and_b32_e32 v25, v25, v27
	v_and_b32_e32 v23, v24, v23
	v_xor_b32_e32 v24, vcc_hi, v26
	v_xor_b32_e32 v26, vcc_lo, v26
	v_ashrrev_i32_e32 v27, 31, v28
	v_cmp_gt_i64_e32 vcc, 0, v[4:5]
	v_not_b32_e32 v28, v5
	v_lshlrev_b32_e32 v5, 26, v21
	v_and_b32_e32 v24, v25, v24
	v_and_b32_e32 v23, v23, v26
	v_xor_b32_e32 v25, s1, v27
	v_xor_b32_e32 v26, s0, v27
	v_ashrrev_i32_e32 v27, 31, v28
	v_cmp_gt_i64_e64 s[0:1], 0, v[4:5]
	v_not_b32_e32 v28, v5
	v_lshlrev_b32_e32 v5, 25, v21
	v_and_b32_e32 v24, v24, v25
	v_and_b32_e32 v23, v23, v26
	v_xor_b32_e32 v25, vcc_hi, v27
	v_xor_b32_e32 v26, vcc_lo, v27
	v_ashrrev_i32_e32 v27, 31, v28
	v_cmp_gt_i64_e32 vcc, 0, v[4:5]
	v_not_b32_e32 v28, v5
	v_lshlrev_b32_e32 v5, 24, v21
	v_lshl_add_u32 v22, v21, 4, v21
	v_and_b32_e32 v21, v24, v25
	v_and_b32_e32 v23, v23, v26
	v_xor_b32_e32 v24, s1, v27
	v_xor_b32_e32 v25, s0, v27
	v_ashrrev_i32_e32 v26, 31, v28
	v_cmp_gt_i64_e64 s[0:1], 0, v[4:5]
	v_not_b32_e32 v5, v5
	v_and_b32_e32 v21, v21, v24
	v_and_b32_e32 v23, v23, v25
	v_xor_b32_e32 v24, vcc_hi, v26
	v_xor_b32_e32 v25, vcc_lo, v26
	v_ashrrev_i32_e32 v5, 31, v5
	v_and_b32_e32 v21, v21, v24
	v_and_b32_e32 v23, v23, v25
	v_mul_u32_u24_e32 v9, 5, v2
	v_lshlrev_b32_e32 v9, 2, v9
	ds_write2_b32 v9, v4, v4 offset0:16 offset1:17
	ds_write2_b32 v9, v4, v4 offset0:18 offset1:19
	ds_write_b32 v9, v4 offset:80
	s_waitcnt lgkmcnt(0)
	s_barrier
	s_waitcnt lgkmcnt(0)
	; wave barrier
	s_waitcnt vmcnt(0)
	v_mad_u64_u32 v[6:7], s[2:3], v7, v6, v[2:3]
	v_lshrrev_b32_e32 v32, 6, v6
	v_xor_b32_e32 v6, s1, v5
	v_xor_b32_e32 v5, s0, v5
	v_and_b32_e32 v7, v21, v6
	v_and_b32_e32 v6, v23, v5
	v_mbcnt_lo_u32_b32 v5, v6, 0
	v_mbcnt_hi_u32_b32 v21, v7, v5
	v_cmp_eq_u32_e32 vcc, 0, v21
	v_cmp_ne_u64_e64 s[0:1], 0, v[6:7]
	v_add_lshl_u32 v25, v32, v22, 2
	s_and_b64 s[2:3], s[0:1], vcc
	s_and_saveexec_b64 s[0:1], s[2:3]
	s_cbranch_execz .LBB1141_27
; %bb.26:
	v_bcnt_u32_b32 v5, v6, 0
	v_bcnt_u32_b32 v5, v7, v5
	ds_write_b32 v25, v5 offset:64
.LBB1141_27:
	s_or_b64 exec, exec, s[0:1]
	v_lshrrev_b32_e32 v5, s16, v11
	v_and_b32_e32 v6, s28, v5
	v_lshl_add_u32 v5, v6, 4, v6
	v_add_lshl_u32 v26, v32, v5, 2
	v_and_b32_e32 v5, 1, v6
	v_add_co_u32_e32 v7, vcc, -1, v5
	v_addc_co_u32_e64 v23, s[0:1], 0, -1, vcc
	v_cmp_ne_u32_e32 vcc, 0, v5
	v_xor_b32_e32 v5, vcc_hi, v23
	v_and_b32_e32 v23, exec_hi, v5
	v_lshlrev_b32_e32 v5, 30, v6
	v_xor_b32_e32 v7, vcc_lo, v7
	v_cmp_gt_i64_e32 vcc, 0, v[4:5]
	v_not_b32_e32 v5, v5
	v_ashrrev_i32_e32 v5, 31, v5
	v_and_b32_e32 v7, exec_lo, v7
	v_xor_b32_e32 v24, vcc_hi, v5
	v_xor_b32_e32 v5, vcc_lo, v5
	v_and_b32_e32 v7, v7, v5
	v_lshlrev_b32_e32 v5, 29, v6
	v_cmp_gt_i64_e32 vcc, 0, v[4:5]
	v_not_b32_e32 v5, v5
	v_ashrrev_i32_e32 v5, 31, v5
	v_and_b32_e32 v23, v23, v24
	v_xor_b32_e32 v24, vcc_hi, v5
	v_xor_b32_e32 v5, vcc_lo, v5
	v_and_b32_e32 v7, v7, v5
	v_lshlrev_b32_e32 v5, 28, v6
	v_cmp_gt_i64_e32 vcc, 0, v[4:5]
	v_not_b32_e32 v5, v5
	v_ashrrev_i32_e32 v5, 31, v5
	v_and_b32_e32 v23, v23, v24
	;; [unrolled: 8-line block ×5, first 2 shown]
	v_xor_b32_e32 v24, vcc_hi, v5
	v_xor_b32_e32 v5, vcc_lo, v5
	v_and_b32_e32 v7, v7, v5
	v_lshlrev_b32_e32 v5, 24, v6
	v_cmp_gt_i64_e32 vcc, 0, v[4:5]
	v_not_b32_e32 v4, v5
	v_ashrrev_i32_e32 v4, 31, v4
	v_xor_b32_e32 v5, vcc_hi, v4
	v_xor_b32_e32 v4, vcc_lo, v4
	; wave barrier
	ds_read_b32 v22, v26 offset:64
	v_and_b32_e32 v23, v23, v24
	v_and_b32_e32 v4, v7, v4
	v_and_b32_e32 v5, v23, v5
	v_mbcnt_lo_u32_b32 v6, v4, 0
	v_mbcnt_hi_u32_b32 v23, v5, v6
	v_cmp_eq_u32_e32 vcc, 0, v23
	v_cmp_ne_u64_e64 s[0:1], 0, v[4:5]
	s_and_b64 s[2:3], s[0:1], vcc
	; wave barrier
	s_and_saveexec_b64 s[0:1], s[2:3]
	s_cbranch_execz .LBB1141_29
; %bb.28:
	v_bcnt_u32_b32 v4, v4, 0
	v_bcnt_u32_b32 v4, v5, v4
	s_waitcnt lgkmcnt(0)
	v_add_u32_e32 v4, v22, v4
	ds_write_b32 v26, v4 offset:64
.LBB1141_29:
	s_or_b64 exec, exec, s[0:1]
	v_lshrrev_b32_e32 v4, s16, v3
	v_and_b32_e32 v6, s28, v4
	v_and_b32_e32 v5, 1, v6
	v_add_co_u32_e32 v7, vcc, -1, v5
	v_addc_co_u32_e64 v27, s[0:1], 0, -1, vcc
	v_cmp_ne_u32_e32 vcc, 0, v5
	v_lshl_add_u32 v4, v6, 4, v6
	v_xor_b32_e32 v5, vcc_hi, v27
	v_add_lshl_u32 v29, v32, v4, 2
	v_mov_b32_e32 v4, 0
	v_and_b32_e32 v27, exec_hi, v5
	v_lshlrev_b32_e32 v5, 30, v6
	v_xor_b32_e32 v7, vcc_lo, v7
	v_cmp_gt_i64_e32 vcc, 0, v[4:5]
	v_not_b32_e32 v5, v5
	v_ashrrev_i32_e32 v5, 31, v5
	v_and_b32_e32 v7, exec_lo, v7
	v_xor_b32_e32 v28, vcc_hi, v5
	v_xor_b32_e32 v5, vcc_lo, v5
	v_and_b32_e32 v7, v7, v5
	v_lshlrev_b32_e32 v5, 29, v6
	v_cmp_gt_i64_e32 vcc, 0, v[4:5]
	v_not_b32_e32 v5, v5
	v_ashrrev_i32_e32 v5, 31, v5
	v_and_b32_e32 v27, v27, v28
	v_xor_b32_e32 v28, vcc_hi, v5
	v_xor_b32_e32 v5, vcc_lo, v5
	v_and_b32_e32 v7, v7, v5
	v_lshlrev_b32_e32 v5, 28, v6
	v_cmp_gt_i64_e32 vcc, 0, v[4:5]
	v_not_b32_e32 v5, v5
	v_ashrrev_i32_e32 v5, 31, v5
	v_and_b32_e32 v27, v27, v28
	;; [unrolled: 8-line block ×5, first 2 shown]
	v_xor_b32_e32 v28, vcc_hi, v5
	v_xor_b32_e32 v5, vcc_lo, v5
	v_and_b32_e32 v27, v27, v28
	v_and_b32_e32 v28, v7, v5
	v_lshlrev_b32_e32 v5, 24, v6
	v_cmp_gt_i64_e32 vcc, 0, v[4:5]
	v_not_b32_e32 v5, v5
	v_ashrrev_i32_e32 v5, 31, v5
	v_xor_b32_e32 v6, vcc_hi, v5
	v_xor_b32_e32 v5, vcc_lo, v5
	; wave barrier
	ds_read_b32 v24, v29 offset:64
	v_and_b32_e32 v7, v27, v6
	v_and_b32_e32 v6, v28, v5
	v_mbcnt_lo_u32_b32 v5, v6, 0
	v_mbcnt_hi_u32_b32 v27, v7, v5
	v_cmp_eq_u32_e32 vcc, 0, v27
	v_cmp_ne_u64_e64 s[0:1], 0, v[6:7]
	s_and_b64 s[2:3], s[0:1], vcc
	; wave barrier
	s_and_saveexec_b64 s[0:1], s[2:3]
	s_cbranch_execz .LBB1141_31
; %bb.30:
	v_bcnt_u32_b32 v5, v6, 0
	v_bcnt_u32_b32 v5, v7, v5
	s_waitcnt lgkmcnt(0)
	v_add_u32_e32 v5, v24, v5
	ds_write_b32 v29, v5 offset:64
.LBB1141_31:
	s_or_b64 exec, exec, s[0:1]
	v_lshrrev_b32_e32 v5, s16, v13
	v_and_b32_e32 v6, s28, v5
	v_lshl_add_u32 v5, v6, 4, v6
	v_add_lshl_u32 v33, v32, v5, 2
	v_and_b32_e32 v5, 1, v6
	v_add_co_u32_e32 v7, vcc, -1, v5
	v_addc_co_u32_e64 v30, s[0:1], 0, -1, vcc
	v_cmp_ne_u32_e32 vcc, 0, v5
	v_xor_b32_e32 v5, vcc_hi, v30
	v_and_b32_e32 v30, exec_hi, v5
	v_lshlrev_b32_e32 v5, 30, v6
	v_xor_b32_e32 v7, vcc_lo, v7
	v_cmp_gt_i64_e32 vcc, 0, v[4:5]
	v_not_b32_e32 v5, v5
	v_ashrrev_i32_e32 v5, 31, v5
	v_and_b32_e32 v7, exec_lo, v7
	v_xor_b32_e32 v31, vcc_hi, v5
	v_xor_b32_e32 v5, vcc_lo, v5
	v_and_b32_e32 v7, v7, v5
	v_lshlrev_b32_e32 v5, 29, v6
	v_cmp_gt_i64_e32 vcc, 0, v[4:5]
	v_not_b32_e32 v5, v5
	v_ashrrev_i32_e32 v5, 31, v5
	v_and_b32_e32 v30, v30, v31
	v_xor_b32_e32 v31, vcc_hi, v5
	v_xor_b32_e32 v5, vcc_lo, v5
	v_and_b32_e32 v7, v7, v5
	v_lshlrev_b32_e32 v5, 28, v6
	v_cmp_gt_i64_e32 vcc, 0, v[4:5]
	v_not_b32_e32 v5, v5
	v_ashrrev_i32_e32 v5, 31, v5
	v_and_b32_e32 v30, v30, v31
	;; [unrolled: 8-line block ×5, first 2 shown]
	v_xor_b32_e32 v31, vcc_hi, v5
	v_xor_b32_e32 v5, vcc_lo, v5
	v_and_b32_e32 v7, v7, v5
	v_lshlrev_b32_e32 v5, 24, v6
	v_cmp_gt_i64_e32 vcc, 0, v[4:5]
	v_not_b32_e32 v4, v5
	v_ashrrev_i32_e32 v4, 31, v4
	v_xor_b32_e32 v5, vcc_hi, v4
	v_xor_b32_e32 v4, vcc_lo, v4
	; wave barrier
	ds_read_b32 v28, v33 offset:64
	v_and_b32_e32 v30, v30, v31
	v_and_b32_e32 v4, v7, v4
	;; [unrolled: 1-line block ×3, first 2 shown]
	v_mbcnt_lo_u32_b32 v6, v4, 0
	v_mbcnt_hi_u32_b32 v30, v5, v6
	v_cmp_eq_u32_e32 vcc, 0, v30
	v_cmp_ne_u64_e64 s[0:1], 0, v[4:5]
	s_and_b64 s[2:3], s[0:1], vcc
	; wave barrier
	s_and_saveexec_b64 s[0:1], s[2:3]
	s_cbranch_execz .LBB1141_33
; %bb.32:
	v_bcnt_u32_b32 v4, v4, 0
	v_bcnt_u32_b32 v4, v5, v4
	s_waitcnt lgkmcnt(0)
	v_add_u32_e32 v4, v28, v4
	ds_write_b32 v33, v4 offset:64
.LBB1141_33:
	s_or_b64 exec, exec, s[0:1]
	v_lshrrev_b32_e32 v4, s16, v12
	v_and_b32_e32 v6, s28, v4
	v_and_b32_e32 v5, 1, v6
	v_add_co_u32_e32 v7, vcc, -1, v5
	v_addc_co_u32_e64 v34, s[0:1], 0, -1, vcc
	v_cmp_ne_u32_e32 vcc, 0, v5
	v_lshl_add_u32 v4, v6, 4, v6
	v_xor_b32_e32 v5, vcc_hi, v34
	v_add_lshl_u32 v36, v32, v4, 2
	v_mov_b32_e32 v4, 0
	v_and_b32_e32 v34, exec_hi, v5
	v_lshlrev_b32_e32 v5, 30, v6
	v_xor_b32_e32 v7, vcc_lo, v7
	v_cmp_gt_i64_e32 vcc, 0, v[4:5]
	v_not_b32_e32 v5, v5
	v_ashrrev_i32_e32 v5, 31, v5
	v_and_b32_e32 v7, exec_lo, v7
	v_xor_b32_e32 v35, vcc_hi, v5
	v_xor_b32_e32 v5, vcc_lo, v5
	v_and_b32_e32 v7, v7, v5
	v_lshlrev_b32_e32 v5, 29, v6
	v_cmp_gt_i64_e32 vcc, 0, v[4:5]
	v_not_b32_e32 v5, v5
	v_ashrrev_i32_e32 v5, 31, v5
	v_and_b32_e32 v34, v34, v35
	v_xor_b32_e32 v35, vcc_hi, v5
	v_xor_b32_e32 v5, vcc_lo, v5
	v_and_b32_e32 v7, v7, v5
	v_lshlrev_b32_e32 v5, 28, v6
	v_cmp_gt_i64_e32 vcc, 0, v[4:5]
	v_not_b32_e32 v5, v5
	v_ashrrev_i32_e32 v5, 31, v5
	v_and_b32_e32 v34, v34, v35
	;; [unrolled: 8-line block ×5, first 2 shown]
	v_xor_b32_e32 v35, vcc_hi, v5
	v_xor_b32_e32 v5, vcc_lo, v5
	v_and_b32_e32 v34, v34, v35
	v_and_b32_e32 v35, v7, v5
	v_lshlrev_b32_e32 v5, 24, v6
	v_cmp_gt_i64_e32 vcc, 0, v[4:5]
	v_not_b32_e32 v5, v5
	v_ashrrev_i32_e32 v5, 31, v5
	v_xor_b32_e32 v6, vcc_hi, v5
	v_xor_b32_e32 v5, vcc_lo, v5
	; wave barrier
	ds_read_b32 v31, v36 offset:64
	v_and_b32_e32 v7, v34, v6
	v_and_b32_e32 v6, v35, v5
	v_mbcnt_lo_u32_b32 v5, v6, 0
	v_mbcnt_hi_u32_b32 v34, v7, v5
	v_cmp_eq_u32_e32 vcc, 0, v34
	v_cmp_ne_u64_e64 s[0:1], 0, v[6:7]
	s_and_b64 s[2:3], s[0:1], vcc
	; wave barrier
	s_and_saveexec_b64 s[0:1], s[2:3]
	s_cbranch_execz .LBB1141_35
; %bb.34:
	v_bcnt_u32_b32 v5, v6, 0
	v_bcnt_u32_b32 v5, v7, v5
	s_waitcnt lgkmcnt(0)
	v_add_u32_e32 v5, v31, v5
	ds_write_b32 v36, v5 offset:64
.LBB1141_35:
	s_or_b64 exec, exec, s[0:1]
	v_lshrrev_b32_e32 v5, s16, v15
	v_and_b32_e32 v6, s28, v5
	v_lshl_add_u32 v5, v6, 4, v6
	v_add_lshl_u32 v39, v32, v5, 2
	v_and_b32_e32 v5, 1, v6
	v_add_co_u32_e32 v7, vcc, -1, v5
	v_addc_co_u32_e64 v37, s[0:1], 0, -1, vcc
	v_cmp_ne_u32_e32 vcc, 0, v5
	v_xor_b32_e32 v5, vcc_hi, v37
	v_and_b32_e32 v37, exec_hi, v5
	v_lshlrev_b32_e32 v5, 30, v6
	v_xor_b32_e32 v7, vcc_lo, v7
	v_cmp_gt_i64_e32 vcc, 0, v[4:5]
	v_not_b32_e32 v5, v5
	v_ashrrev_i32_e32 v5, 31, v5
	v_and_b32_e32 v7, exec_lo, v7
	v_xor_b32_e32 v38, vcc_hi, v5
	v_xor_b32_e32 v5, vcc_lo, v5
	v_and_b32_e32 v7, v7, v5
	v_lshlrev_b32_e32 v5, 29, v6
	v_cmp_gt_i64_e32 vcc, 0, v[4:5]
	v_not_b32_e32 v5, v5
	v_ashrrev_i32_e32 v5, 31, v5
	v_and_b32_e32 v37, v37, v38
	v_xor_b32_e32 v38, vcc_hi, v5
	v_xor_b32_e32 v5, vcc_lo, v5
	v_and_b32_e32 v7, v7, v5
	v_lshlrev_b32_e32 v5, 28, v6
	v_cmp_gt_i64_e32 vcc, 0, v[4:5]
	v_not_b32_e32 v5, v5
	v_ashrrev_i32_e32 v5, 31, v5
	v_and_b32_e32 v37, v37, v38
	;; [unrolled: 8-line block ×5, first 2 shown]
	v_xor_b32_e32 v38, vcc_hi, v5
	v_xor_b32_e32 v5, vcc_lo, v5
	v_and_b32_e32 v7, v7, v5
	v_lshlrev_b32_e32 v5, 24, v6
	v_cmp_gt_i64_e32 vcc, 0, v[4:5]
	v_not_b32_e32 v4, v5
	v_ashrrev_i32_e32 v4, 31, v4
	v_xor_b32_e32 v5, vcc_hi, v4
	v_xor_b32_e32 v4, vcc_lo, v4
	; wave barrier
	ds_read_b32 v35, v39 offset:64
	v_and_b32_e32 v37, v37, v38
	v_and_b32_e32 v4, v7, v4
	;; [unrolled: 1-line block ×3, first 2 shown]
	v_mbcnt_lo_u32_b32 v6, v4, 0
	v_mbcnt_hi_u32_b32 v37, v5, v6
	v_cmp_eq_u32_e32 vcc, 0, v37
	v_cmp_ne_u64_e64 s[0:1], 0, v[4:5]
	s_and_b64 s[2:3], s[0:1], vcc
	; wave barrier
	s_and_saveexec_b64 s[0:1], s[2:3]
	s_cbranch_execz .LBB1141_37
; %bb.36:
	v_bcnt_u32_b32 v4, v4, 0
	v_bcnt_u32_b32 v4, v5, v4
	s_waitcnt lgkmcnt(0)
	v_add_u32_e32 v4, v35, v4
	ds_write_b32 v39, v4 offset:64
.LBB1141_37:
	s_or_b64 exec, exec, s[0:1]
	v_lshrrev_b32_e32 v4, s16, v14
	v_and_b32_e32 v6, s28, v4
	v_and_b32_e32 v5, 1, v6
	v_add_co_u32_e32 v7, vcc, -1, v5
	v_addc_co_u32_e64 v40, s[0:1], 0, -1, vcc
	v_cmp_ne_u32_e32 vcc, 0, v5
	v_lshl_add_u32 v4, v6, 4, v6
	v_xor_b32_e32 v5, vcc_hi, v40
	v_add_lshl_u32 v42, v32, v4, 2
	v_mov_b32_e32 v4, 0
	v_and_b32_e32 v40, exec_hi, v5
	v_lshlrev_b32_e32 v5, 30, v6
	v_xor_b32_e32 v7, vcc_lo, v7
	v_cmp_gt_i64_e32 vcc, 0, v[4:5]
	v_not_b32_e32 v5, v5
	v_ashrrev_i32_e32 v5, 31, v5
	v_and_b32_e32 v7, exec_lo, v7
	v_xor_b32_e32 v41, vcc_hi, v5
	v_xor_b32_e32 v5, vcc_lo, v5
	v_and_b32_e32 v7, v7, v5
	v_lshlrev_b32_e32 v5, 29, v6
	v_cmp_gt_i64_e32 vcc, 0, v[4:5]
	v_not_b32_e32 v5, v5
	v_ashrrev_i32_e32 v5, 31, v5
	v_and_b32_e32 v40, v40, v41
	v_xor_b32_e32 v41, vcc_hi, v5
	v_xor_b32_e32 v5, vcc_lo, v5
	v_and_b32_e32 v7, v7, v5
	v_lshlrev_b32_e32 v5, 28, v6
	v_cmp_gt_i64_e32 vcc, 0, v[4:5]
	v_not_b32_e32 v5, v5
	v_ashrrev_i32_e32 v5, 31, v5
	v_and_b32_e32 v40, v40, v41
	;; [unrolled: 8-line block ×5, first 2 shown]
	v_xor_b32_e32 v41, vcc_hi, v5
	v_xor_b32_e32 v5, vcc_lo, v5
	v_and_b32_e32 v40, v40, v41
	v_and_b32_e32 v41, v7, v5
	v_lshlrev_b32_e32 v5, 24, v6
	v_cmp_gt_i64_e32 vcc, 0, v[4:5]
	v_not_b32_e32 v5, v5
	v_ashrrev_i32_e32 v5, 31, v5
	v_xor_b32_e32 v6, vcc_hi, v5
	v_xor_b32_e32 v5, vcc_lo, v5
	; wave barrier
	ds_read_b32 v38, v42 offset:64
	v_and_b32_e32 v7, v40, v6
	v_and_b32_e32 v6, v41, v5
	v_mbcnt_lo_u32_b32 v5, v6, 0
	v_mbcnt_hi_u32_b32 v40, v7, v5
	v_cmp_eq_u32_e32 vcc, 0, v40
	v_cmp_ne_u64_e64 s[0:1], 0, v[6:7]
	s_and_b64 s[2:3], s[0:1], vcc
	; wave barrier
	s_and_saveexec_b64 s[0:1], s[2:3]
	s_cbranch_execz .LBB1141_39
; %bb.38:
	v_bcnt_u32_b32 v5, v6, 0
	v_bcnt_u32_b32 v5, v7, v5
	s_waitcnt lgkmcnt(0)
	v_add_u32_e32 v5, v38, v5
	ds_write_b32 v42, v5 offset:64
.LBB1141_39:
	s_or_b64 exec, exec, s[0:1]
	v_lshrrev_b32_e32 v5, s16, v17
	v_and_b32_e32 v6, s28, v5
	v_lshl_add_u32 v5, v6, 4, v6
	v_add_lshl_u32 v45, v32, v5, 2
	v_and_b32_e32 v5, 1, v6
	v_add_co_u32_e32 v7, vcc, -1, v5
	v_addc_co_u32_e64 v43, s[0:1], 0, -1, vcc
	v_cmp_ne_u32_e32 vcc, 0, v5
	v_xor_b32_e32 v5, vcc_hi, v43
	v_and_b32_e32 v43, exec_hi, v5
	v_lshlrev_b32_e32 v5, 30, v6
	v_xor_b32_e32 v7, vcc_lo, v7
	v_cmp_gt_i64_e32 vcc, 0, v[4:5]
	v_not_b32_e32 v5, v5
	v_ashrrev_i32_e32 v5, 31, v5
	v_and_b32_e32 v7, exec_lo, v7
	v_xor_b32_e32 v44, vcc_hi, v5
	v_xor_b32_e32 v5, vcc_lo, v5
	v_and_b32_e32 v7, v7, v5
	v_lshlrev_b32_e32 v5, 29, v6
	v_cmp_gt_i64_e32 vcc, 0, v[4:5]
	v_not_b32_e32 v5, v5
	v_ashrrev_i32_e32 v5, 31, v5
	v_and_b32_e32 v43, v43, v44
	v_xor_b32_e32 v44, vcc_hi, v5
	v_xor_b32_e32 v5, vcc_lo, v5
	v_and_b32_e32 v7, v7, v5
	v_lshlrev_b32_e32 v5, 28, v6
	v_cmp_gt_i64_e32 vcc, 0, v[4:5]
	v_not_b32_e32 v5, v5
	v_ashrrev_i32_e32 v5, 31, v5
	v_and_b32_e32 v43, v43, v44
	;; [unrolled: 8-line block ×5, first 2 shown]
	v_xor_b32_e32 v44, vcc_hi, v5
	v_xor_b32_e32 v5, vcc_lo, v5
	v_and_b32_e32 v7, v7, v5
	v_lshlrev_b32_e32 v5, 24, v6
	v_cmp_gt_i64_e32 vcc, 0, v[4:5]
	v_not_b32_e32 v4, v5
	v_ashrrev_i32_e32 v4, 31, v4
	v_xor_b32_e32 v5, vcc_hi, v4
	v_xor_b32_e32 v4, vcc_lo, v4
	; wave barrier
	ds_read_b32 v41, v45 offset:64
	v_and_b32_e32 v43, v43, v44
	v_and_b32_e32 v4, v7, v4
	;; [unrolled: 1-line block ×3, first 2 shown]
	v_mbcnt_lo_u32_b32 v6, v4, 0
	v_mbcnt_hi_u32_b32 v43, v5, v6
	v_cmp_eq_u32_e32 vcc, 0, v43
	v_cmp_ne_u64_e64 s[0:1], 0, v[4:5]
	s_and_b64 s[2:3], s[0:1], vcc
	; wave barrier
	s_and_saveexec_b64 s[0:1], s[2:3]
	s_cbranch_execz .LBB1141_41
; %bb.40:
	v_bcnt_u32_b32 v4, v4, 0
	v_bcnt_u32_b32 v4, v5, v4
	s_waitcnt lgkmcnt(0)
	v_add_u32_e32 v4, v41, v4
	ds_write_b32 v45, v4 offset:64
.LBB1141_41:
	s_or_b64 exec, exec, s[0:1]
	v_lshrrev_b32_e32 v4, s16, v16
	v_and_b32_e32 v6, s28, v4
	v_and_b32_e32 v5, 1, v6
	v_add_co_u32_e32 v7, vcc, -1, v5
	v_addc_co_u32_e64 v46, s[0:1], 0, -1, vcc
	v_cmp_ne_u32_e32 vcc, 0, v5
	v_lshl_add_u32 v4, v6, 4, v6
	v_xor_b32_e32 v5, vcc_hi, v46
	v_add_lshl_u32 v48, v32, v4, 2
	v_mov_b32_e32 v4, 0
	v_and_b32_e32 v46, exec_hi, v5
	v_lshlrev_b32_e32 v5, 30, v6
	v_xor_b32_e32 v7, vcc_lo, v7
	v_cmp_gt_i64_e32 vcc, 0, v[4:5]
	v_not_b32_e32 v5, v5
	v_ashrrev_i32_e32 v5, 31, v5
	v_and_b32_e32 v7, exec_lo, v7
	v_xor_b32_e32 v47, vcc_hi, v5
	v_xor_b32_e32 v5, vcc_lo, v5
	v_and_b32_e32 v7, v7, v5
	v_lshlrev_b32_e32 v5, 29, v6
	v_cmp_gt_i64_e32 vcc, 0, v[4:5]
	v_not_b32_e32 v5, v5
	v_ashrrev_i32_e32 v5, 31, v5
	v_and_b32_e32 v46, v46, v47
	v_xor_b32_e32 v47, vcc_hi, v5
	v_xor_b32_e32 v5, vcc_lo, v5
	v_and_b32_e32 v7, v7, v5
	v_lshlrev_b32_e32 v5, 28, v6
	v_cmp_gt_i64_e32 vcc, 0, v[4:5]
	v_not_b32_e32 v5, v5
	v_ashrrev_i32_e32 v5, 31, v5
	v_and_b32_e32 v46, v46, v47
	;; [unrolled: 8-line block ×5, first 2 shown]
	v_xor_b32_e32 v47, vcc_hi, v5
	v_xor_b32_e32 v5, vcc_lo, v5
	v_and_b32_e32 v46, v46, v47
	v_and_b32_e32 v47, v7, v5
	v_lshlrev_b32_e32 v5, 24, v6
	v_cmp_gt_i64_e32 vcc, 0, v[4:5]
	v_not_b32_e32 v5, v5
	v_ashrrev_i32_e32 v5, 31, v5
	v_xor_b32_e32 v6, vcc_hi, v5
	v_xor_b32_e32 v5, vcc_lo, v5
	; wave barrier
	ds_read_b32 v44, v48 offset:64
	v_and_b32_e32 v7, v46, v6
	v_and_b32_e32 v6, v47, v5
	v_mbcnt_lo_u32_b32 v5, v6, 0
	v_mbcnt_hi_u32_b32 v46, v7, v5
	v_cmp_eq_u32_e32 vcc, 0, v46
	v_cmp_ne_u64_e64 s[0:1], 0, v[6:7]
	s_and_b64 s[2:3], s[0:1], vcc
	; wave barrier
	s_and_saveexec_b64 s[0:1], s[2:3]
	s_cbranch_execz .LBB1141_43
; %bb.42:
	v_bcnt_u32_b32 v5, v6, 0
	v_bcnt_u32_b32 v5, v7, v5
	s_waitcnt lgkmcnt(0)
	v_add_u32_e32 v5, v44, v5
	ds_write_b32 v48, v5 offset:64
.LBB1141_43:
	s_or_b64 exec, exec, s[0:1]
	v_lshrrev_b32_e32 v5, s16, v19
	v_and_b32_e32 v6, s28, v5
	v_lshl_add_u32 v5, v6, 4, v6
	v_add_lshl_u32 v51, v32, v5, 2
	v_and_b32_e32 v5, 1, v6
	v_add_co_u32_e32 v7, vcc, -1, v5
	v_addc_co_u32_e64 v49, s[0:1], 0, -1, vcc
	v_cmp_ne_u32_e32 vcc, 0, v5
	v_xor_b32_e32 v5, vcc_hi, v49
	v_and_b32_e32 v49, exec_hi, v5
	v_lshlrev_b32_e32 v5, 30, v6
	v_xor_b32_e32 v7, vcc_lo, v7
	v_cmp_gt_i64_e32 vcc, 0, v[4:5]
	v_not_b32_e32 v5, v5
	v_ashrrev_i32_e32 v5, 31, v5
	v_and_b32_e32 v7, exec_lo, v7
	v_xor_b32_e32 v50, vcc_hi, v5
	v_xor_b32_e32 v5, vcc_lo, v5
	v_and_b32_e32 v7, v7, v5
	v_lshlrev_b32_e32 v5, 29, v6
	v_cmp_gt_i64_e32 vcc, 0, v[4:5]
	v_not_b32_e32 v5, v5
	v_ashrrev_i32_e32 v5, 31, v5
	v_and_b32_e32 v49, v49, v50
	v_xor_b32_e32 v50, vcc_hi, v5
	v_xor_b32_e32 v5, vcc_lo, v5
	v_and_b32_e32 v7, v7, v5
	v_lshlrev_b32_e32 v5, 28, v6
	v_cmp_gt_i64_e32 vcc, 0, v[4:5]
	v_not_b32_e32 v5, v5
	v_ashrrev_i32_e32 v5, 31, v5
	v_and_b32_e32 v49, v49, v50
	;; [unrolled: 8-line block ×5, first 2 shown]
	v_xor_b32_e32 v50, vcc_hi, v5
	v_xor_b32_e32 v5, vcc_lo, v5
	v_and_b32_e32 v7, v7, v5
	v_lshlrev_b32_e32 v5, 24, v6
	v_cmp_gt_i64_e32 vcc, 0, v[4:5]
	v_not_b32_e32 v4, v5
	v_ashrrev_i32_e32 v4, 31, v4
	v_xor_b32_e32 v5, vcc_hi, v4
	v_xor_b32_e32 v4, vcc_lo, v4
	; wave barrier
	ds_read_b32 v47, v51 offset:64
	v_and_b32_e32 v49, v49, v50
	v_and_b32_e32 v4, v7, v4
	;; [unrolled: 1-line block ×3, first 2 shown]
	v_mbcnt_lo_u32_b32 v6, v4, 0
	v_mbcnt_hi_u32_b32 v49, v5, v6
	v_cmp_eq_u32_e32 vcc, 0, v49
	v_cmp_ne_u64_e64 s[0:1], 0, v[4:5]
	s_and_b64 s[2:3], s[0:1], vcc
	; wave barrier
	s_and_saveexec_b64 s[0:1], s[2:3]
	s_cbranch_execz .LBB1141_45
; %bb.44:
	v_bcnt_u32_b32 v4, v4, 0
	v_bcnt_u32_b32 v4, v5, v4
	s_waitcnt lgkmcnt(0)
	v_add_u32_e32 v4, v47, v4
	ds_write_b32 v51, v4 offset:64
.LBB1141_45:
	s_or_b64 exec, exec, s[0:1]
	v_lshrrev_b32_e32 v4, s16, v18
	v_and_b32_e32 v6, s28, v4
	v_and_b32_e32 v5, 1, v6
	v_add_co_u32_e32 v7, vcc, -1, v5
	v_addc_co_u32_e64 v52, s[0:1], 0, -1, vcc
	v_cmp_ne_u32_e32 vcc, 0, v5
	v_lshl_add_u32 v4, v6, 4, v6
	v_xor_b32_e32 v5, vcc_hi, v52
	v_add_lshl_u32 v54, v32, v4, 2
	v_mov_b32_e32 v4, 0
	v_and_b32_e32 v52, exec_hi, v5
	v_lshlrev_b32_e32 v5, 30, v6
	v_xor_b32_e32 v7, vcc_lo, v7
	v_cmp_gt_i64_e32 vcc, 0, v[4:5]
	v_not_b32_e32 v5, v5
	v_ashrrev_i32_e32 v5, 31, v5
	v_and_b32_e32 v7, exec_lo, v7
	v_xor_b32_e32 v53, vcc_hi, v5
	v_xor_b32_e32 v5, vcc_lo, v5
	v_and_b32_e32 v7, v7, v5
	v_lshlrev_b32_e32 v5, 29, v6
	v_cmp_gt_i64_e32 vcc, 0, v[4:5]
	v_not_b32_e32 v5, v5
	v_ashrrev_i32_e32 v5, 31, v5
	v_and_b32_e32 v52, v52, v53
	v_xor_b32_e32 v53, vcc_hi, v5
	v_xor_b32_e32 v5, vcc_lo, v5
	v_and_b32_e32 v7, v7, v5
	v_lshlrev_b32_e32 v5, 28, v6
	v_cmp_gt_i64_e32 vcc, 0, v[4:5]
	v_not_b32_e32 v5, v5
	v_ashrrev_i32_e32 v5, 31, v5
	v_and_b32_e32 v52, v52, v53
	;; [unrolled: 8-line block ×5, first 2 shown]
	v_xor_b32_e32 v53, vcc_hi, v5
	v_xor_b32_e32 v5, vcc_lo, v5
	v_and_b32_e32 v52, v52, v53
	v_and_b32_e32 v53, v7, v5
	v_lshlrev_b32_e32 v5, 24, v6
	v_cmp_gt_i64_e32 vcc, 0, v[4:5]
	v_not_b32_e32 v5, v5
	v_ashrrev_i32_e32 v5, 31, v5
	v_xor_b32_e32 v6, vcc_hi, v5
	v_xor_b32_e32 v5, vcc_lo, v5
	; wave barrier
	ds_read_b32 v50, v54 offset:64
	v_and_b32_e32 v7, v52, v6
	v_and_b32_e32 v6, v53, v5
	v_mbcnt_lo_u32_b32 v5, v6, 0
	v_mbcnt_hi_u32_b32 v52, v7, v5
	v_cmp_eq_u32_e32 vcc, 0, v52
	v_cmp_ne_u64_e64 s[0:1], 0, v[6:7]
	s_and_b64 s[2:3], s[0:1], vcc
	; wave barrier
	s_and_saveexec_b64 s[0:1], s[2:3]
	s_cbranch_execz .LBB1141_47
; %bb.46:
	v_bcnt_u32_b32 v5, v6, 0
	v_bcnt_u32_b32 v5, v7, v5
	s_waitcnt lgkmcnt(0)
	v_add_u32_e32 v5, v50, v5
	ds_write_b32 v54, v5 offset:64
.LBB1141_47:
	s_or_b64 exec, exec, s[0:1]
	v_lshrrev_b32_e32 v5, s16, v20
	v_and_b32_e32 v6, s28, v5
	v_lshl_add_u32 v5, v6, 4, v6
	v_add_lshl_u32 v56, v32, v5, 2
	v_and_b32_e32 v5, 1, v6
	v_add_co_u32_e32 v7, vcc, -1, v5
	v_addc_co_u32_e64 v32, s[0:1], 0, -1, vcc
	v_cmp_ne_u32_e32 vcc, 0, v5
	v_xor_b32_e32 v5, vcc_hi, v32
	v_and_b32_e32 v32, exec_hi, v5
	v_lshlrev_b32_e32 v5, 30, v6
	v_xor_b32_e32 v7, vcc_lo, v7
	v_cmp_gt_i64_e32 vcc, 0, v[4:5]
	v_not_b32_e32 v5, v5
	v_ashrrev_i32_e32 v5, 31, v5
	v_and_b32_e32 v7, exec_lo, v7
	v_xor_b32_e32 v55, vcc_hi, v5
	v_xor_b32_e32 v5, vcc_lo, v5
	v_and_b32_e32 v7, v7, v5
	v_lshlrev_b32_e32 v5, 29, v6
	v_cmp_gt_i64_e32 vcc, 0, v[4:5]
	v_not_b32_e32 v5, v5
	v_ashrrev_i32_e32 v5, 31, v5
	v_and_b32_e32 v32, v32, v55
	v_xor_b32_e32 v55, vcc_hi, v5
	v_xor_b32_e32 v5, vcc_lo, v5
	v_and_b32_e32 v7, v7, v5
	v_lshlrev_b32_e32 v5, 28, v6
	v_cmp_gt_i64_e32 vcc, 0, v[4:5]
	v_not_b32_e32 v5, v5
	v_ashrrev_i32_e32 v5, 31, v5
	v_and_b32_e32 v32, v32, v55
	;; [unrolled: 8-line block ×5, first 2 shown]
	v_xor_b32_e32 v55, vcc_hi, v5
	v_xor_b32_e32 v5, vcc_lo, v5
	v_and_b32_e32 v7, v7, v5
	v_lshlrev_b32_e32 v5, 24, v6
	v_cmp_gt_i64_e32 vcc, 0, v[4:5]
	v_not_b32_e32 v4, v5
	v_ashrrev_i32_e32 v4, 31, v4
	v_xor_b32_e32 v5, vcc_hi, v4
	v_xor_b32_e32 v4, vcc_lo, v4
	; wave barrier
	ds_read_b32 v53, v56 offset:64
	v_and_b32_e32 v32, v32, v55
	v_and_b32_e32 v4, v7, v4
	;; [unrolled: 1-line block ×3, first 2 shown]
	v_mbcnt_lo_u32_b32 v6, v4, 0
	v_mbcnt_hi_u32_b32 v55, v5, v6
	v_cmp_eq_u32_e32 vcc, 0, v55
	v_cmp_ne_u64_e64 s[0:1], 0, v[4:5]
	v_add_u32_e32 v57, 64, v9
	s_and_b64 s[2:3], s[0:1], vcc
	; wave barrier
	s_and_saveexec_b64 s[0:1], s[2:3]
	s_cbranch_execz .LBB1141_49
; %bb.48:
	v_bcnt_u32_b32 v4, v4, 0
	v_bcnt_u32_b32 v4, v5, v4
	s_waitcnt lgkmcnt(0)
	v_add_u32_e32 v4, v53, v4
	ds_write_b32 v56, v4 offset:64
.LBB1141_49:
	s_or_b64 exec, exec, s[0:1]
	; wave barrier
	s_waitcnt lgkmcnt(0)
	s_barrier
	ds_read2_b32 v[6:7], v9 offset0:16 offset1:17
	ds_read2_b32 v[4:5], v57 offset0:2 offset1:3
	ds_read_b32 v32, v57 offset:16
	v_cmp_lt_u32_e64 s[10:11], 31, v8
	s_waitcnt lgkmcnt(1)
	v_add3_u32 v58, v7, v6, v4
	s_waitcnt lgkmcnt(0)
	v_add3_u32 v32, v58, v5, v32
	v_and_b32_e32 v58, 15, v8
	v_cmp_eq_u32_e32 vcc, 0, v58
	v_mov_b32_dpp v59, v32 row_shr:1 row_mask:0xf bank_mask:0xf
	v_cndmask_b32_e64 v59, v59, 0, vcc
	v_add_u32_e32 v32, v59, v32
	v_cmp_lt_u32_e64 s[0:1], 1, v58
	v_cmp_lt_u32_e64 s[2:3], 3, v58
	v_mov_b32_dpp v59, v32 row_shr:2 row_mask:0xf bank_mask:0xf
	v_cndmask_b32_e64 v59, 0, v59, s[0:1]
	v_add_u32_e32 v32, v32, v59
	v_cmp_lt_u32_e64 s[8:9], 7, v58
	s_nop 0
	v_mov_b32_dpp v59, v32 row_shr:4 row_mask:0xf bank_mask:0xf
	v_cndmask_b32_e64 v59, 0, v59, s[2:3]
	v_add_u32_e32 v32, v32, v59
	s_nop 1
	v_mov_b32_dpp v59, v32 row_shr:8 row_mask:0xf bank_mask:0xf
	v_cndmask_b32_e64 v58, 0, v59, s[8:9]
	v_add_u32_e32 v32, v32, v58
	v_bfe_i32 v59, v8, 4, 1
	s_nop 0
	v_mov_b32_dpp v58, v32 row_bcast:15 row_mask:0xf bank_mask:0xf
	v_and_b32_e32 v58, v59, v58
	v_add_u32_e32 v32, v32, v58
	v_lshrrev_b32_e32 v59, 6, v2
	s_nop 0
	v_mov_b32_dpp v58, v32 row_bcast:31 row_mask:0xf bank_mask:0xf
	v_cndmask_b32_e64 v58, 0, v58, s[10:11]
	v_add_u32_e32 v58, v32, v58
	v_and_b32_e32 v32, 63, v2
	v_cmp_eq_u32_e64 s[10:11], 63, v32
	s_and_saveexec_b64 s[18:19], s[10:11]
	s_cbranch_execz .LBB1141_51
; %bb.50:
	v_lshlrev_b32_e32 v32, 2, v59
	ds_write_b32 v32, v58
.LBB1141_51:
	s_or_b64 exec, exec, s[18:19]
	v_cmp_gt_u32_e64 s[10:11], 16, v2
	v_lshlrev_b32_e32 v32, 2, v2
	s_waitcnt lgkmcnt(0)
	s_barrier
	s_and_saveexec_b64 s[18:19], s[10:11]
	s_cbranch_execz .LBB1141_53
; %bb.52:
	ds_read_b32 v60, v32
	s_waitcnt lgkmcnt(0)
	s_nop 0
	v_mov_b32_dpp v61, v60 row_shr:1 row_mask:0xf bank_mask:0xf
	v_cndmask_b32_e64 v61, v61, 0, vcc
	v_add_u32_e32 v60, v61, v60
	s_nop 1
	v_mov_b32_dpp v61, v60 row_shr:2 row_mask:0xf bank_mask:0xf
	v_cndmask_b32_e64 v61, 0, v61, s[0:1]
	v_add_u32_e32 v60, v60, v61
	s_nop 1
	v_mov_b32_dpp v61, v60 row_shr:4 row_mask:0xf bank_mask:0xf
	v_cndmask_b32_e64 v61, 0, v61, s[2:3]
	;; [unrolled: 4-line block ×3, first 2 shown]
	v_add_u32_e32 v60, v60, v61
	ds_write_b32 v32, v60
.LBB1141_53:
	s_or_b64 exec, exec, s[18:19]
	v_cmp_lt_u32_e32 vcc, 63, v2
	v_mov_b32_e32 v60, 0
	s_waitcnt lgkmcnt(0)
	s_barrier
	s_and_saveexec_b64 s[0:1], vcc
	s_cbranch_execz .LBB1141_55
; %bb.54:
	v_lshl_add_u32 v59, v59, 2, -4
	ds_read_b32 v60, v59
.LBB1141_55:
	s_or_b64 exec, exec, s[0:1]
	v_add_u32_e32 v59, -1, v8
	v_and_b32_e32 v61, 64, v8
	v_cmp_lt_i32_e32 vcc, v59, v61
	v_cndmask_b32_e32 v59, v59, v8, vcc
	s_waitcnt lgkmcnt(0)
	v_add_u32_e32 v58, v60, v58
	v_lshlrev_b32_e32 v59, 2, v59
	ds_bpermute_b32 v58, v59, v58
	v_cmp_eq_u32_e32 vcc, 0, v8
	s_movk_i32 s0, 0x100
	s_waitcnt lgkmcnt(0)
	v_cndmask_b32_e32 v8, v58, v60, vcc
	v_cmp_ne_u32_e32 vcc, 0, v2
	v_cndmask_b32_e32 v8, 0, v8, vcc
	v_add_u32_e32 v6, v8, v6
	v_add_u32_e32 v7, v6, v7
	;; [unrolled: 1-line block ×4, first 2 shown]
	ds_write2_b32 v9, v8, v6 offset0:16 offset1:17
	ds_write2_b32 v57, v7, v4 offset0:2 offset1:3
	ds_write_b32 v57, v5 offset:16
	s_waitcnt lgkmcnt(0)
	s_barrier
	ds_read_b32 v61, v25 offset:64
	ds_read_b32 v57, v26 offset:64
	;; [unrolled: 1-line block ×12, first 2 shown]
	v_cmp_gt_u32_e32 vcc, s0, v2
                                        ; implicit-def: $vgpr25
                                        ; implicit-def: $vgpr26
	s_and_saveexec_b64 s[2:3], vcc
	s_cbranch_execz .LBB1141_59
; %bb.56:
	v_mul_u32_u24_e32 v4, 17, v2
	v_lshlrev_b32_e32 v5, 2, v4
	ds_read_b32 v25, v5 offset:64
	s_movk_i32 s0, 0xff
	v_cmp_ne_u32_e64 s[0:1], s0, v2
	v_mov_b32_e32 v4, 0x3000
	s_and_saveexec_b64 s[8:9], s[0:1]
	s_cbranch_execz .LBB1141_58
; %bb.57:
	ds_read_b32 v4, v5 offset:132
.LBB1141_58:
	s_or_b64 exec, exec, s[8:9]
	s_waitcnt lgkmcnt(0)
	v_sub_u32_e32 v26, v4, v25
.LBB1141_59:
	s_or_b64 exec, exec, s[2:3]
	s_waitcnt lgkmcnt(0)
	s_barrier
	s_and_saveexec_b64 s[2:3], vcc
	s_cbranch_execz .LBB1141_69
; %bb.60:
	v_lshl_or_b32 v4, s6, 8, v2
	v_mov_b32_e32 v5, 0
	v_lshlrev_b64 v[6:7], 2, v[4:5]
	v_mov_b32_e32 v51, s25
	v_add_co_u32_e64 v6, s[0:1], s24, v6
	v_addc_co_u32_e64 v7, s[0:1], v51, v7, s[0:1]
	v_or_b32_e32 v4, 2.0, v26
	s_mov_b64 s[8:9], 0
	s_brev_b32 s29, 1
	s_mov_b32 s30, s6
	v_mov_b32_e32 v54, 0
	global_store_dword v[6:7], v4, off
                                        ; implicit-def: $sgpr0_sgpr1
	s_branch .LBB1141_62
.LBB1141_61:                            ;   in Loop: Header=BB1141_62 Depth=1
	s_or_b64 exec, exec, s[10:11]
	v_and_b32_e32 v8, 0x3fffffff, v56
	v_add_u32_e32 v54, v8, v54
	v_cmp_eq_u32_e64 s[0:1], s29, v4
	s_and_b64 s[10:11], exec, s[0:1]
	s_or_b64 s[8:9], s[10:11], s[8:9]
	s_andn2_b64 exec, exec, s[8:9]
	s_cbranch_execz .LBB1141_68
.LBB1141_62:                            ; =>This Loop Header: Depth=1
                                        ;     Child Loop BB1141_65 Depth 2
	s_or_b64 s[0:1], s[0:1], exec
	s_cmp_eq_u32 s30, 0
	s_cbranch_scc1 .LBB1141_67
; %bb.63:                               ;   in Loop: Header=BB1141_62 Depth=1
	s_add_i32 s30, s30, -1
	v_lshl_or_b32 v4, s30, 8, v2
	v_lshlrev_b64 v[8:9], 2, v[4:5]
	v_add_co_u32_e64 v8, s[0:1], s24, v8
	v_addc_co_u32_e64 v9, s[0:1], v51, v9, s[0:1]
	global_load_dword v56, v[8:9], off glc
	s_waitcnt vmcnt(0)
	v_and_b32_e32 v4, -2.0, v56
	v_cmp_eq_u32_e64 s[0:1], 0, v4
	s_and_saveexec_b64 s[10:11], s[0:1]
	s_cbranch_execz .LBB1141_61
; %bb.64:                               ;   in Loop: Header=BB1141_62 Depth=1
	s_mov_b64 s[18:19], 0
.LBB1141_65:                            ;   Parent Loop BB1141_62 Depth=1
                                        ; =>  This Inner Loop Header: Depth=2
	global_load_dword v56, v[8:9], off glc
	s_waitcnt vmcnt(0)
	v_and_b32_e32 v4, -2.0, v56
	v_cmp_ne_u32_e64 s[0:1], 0, v4
	s_or_b64 s[18:19], s[0:1], s[18:19]
	s_andn2_b64 exec, exec, s[18:19]
	s_cbranch_execnz .LBB1141_65
; %bb.66:                               ;   in Loop: Header=BB1141_62 Depth=1
	s_or_b64 exec, exec, s[18:19]
	s_branch .LBB1141_61
.LBB1141_67:                            ;   in Loop: Header=BB1141_62 Depth=1
                                        ; implicit-def: $sgpr30
	s_and_b64 s[10:11], exec, s[0:1]
	s_or_b64 s[8:9], s[10:11], s[8:9]
	s_andn2_b64 exec, exec, s[8:9]
	s_cbranch_execnz .LBB1141_62
.LBB1141_68:
	s_or_b64 exec, exec, s[8:9]
	v_add_u32_e32 v4, v54, v26
	v_or_b32_e32 v4, 0x80000000, v4
	global_store_dword v[6:7], v4, off
	global_load_dword v4, v32, s[12:13]
	v_sub_u32_e32 v5, v54, v25
	s_waitcnt vmcnt(0)
	v_add_u32_e32 v4, v5, v4
	ds_write_b32 v32, v4
.LBB1141_69:
	s_or_b64 exec, exec, s[2:3]
	v_add_u32_e32 v6, v61, v21
	s_movk_i32 s8, 0x400
	v_add_u32_e32 v7, 0x400, v32
	v_add3_u32 v8, v55, v48, v53
	v_add3_u32 v9, v52, v45, v50
	;; [unrolled: 1-line block ×11, first 2 shown]
	s_mov_b32 s9, 0
	v_mov_b32_e32 v5, 0
	s_movk_i32 s10, 0x800
	s_movk_i32 s11, 0xc00
	s_mov_b32 s18, 0
	s_branch .LBB1141_71
.LBB1141_70:                            ;   in Loop: Header=BB1141_71 Depth=1
	s_or_b64 exec, exec, s[2:3]
	s_addk_i32 s18, 0x1000
	s_addk_i32 s9, 0xf000
	s_cmpk_eq_i32 s9, 0xd000
	s_barrier
	s_cbranch_scc1 .LBB1141_80
.LBB1141_71:                            ; =>This Inner Loop Header: Depth=1
	v_add_u32_e32 v4, s9, v6
	v_min_u32_e32 v4, 0x1000, v4
	v_lshlrev_b32_e32 v4, 2, v4
	ds_write_b32 v4, v10 offset:1024
	v_add_u32_e32 v4, s9, v22
	v_min_u32_e32 v4, 0x1000, v4
	v_lshlrev_b32_e32 v4, 2, v4
	ds_write_b32 v4, v11 offset:1024
	;; [unrolled: 4-line block ×11, first 2 shown]
	v_add_u32_e32 v4, s9, v8
	v_min_u32_e32 v4, 0x1000, v4
	v_add_u32_e32 v23, s18, v2
	v_lshlrev_b32_e32 v4, 2, v4
	v_cmp_gt_u32_e64 s[0:1], s7, v23
	ds_write_b32 v4, v20 offset:1024
	s_waitcnt lgkmcnt(0)
	s_barrier
	s_and_saveexec_b64 s[2:3], s[0:1]
	s_cbranch_execz .LBB1141_73
; %bb.72:                               ;   in Loop: Header=BB1141_71 Depth=1
	ds_read_b32 v27, v32 offset:1024
	v_mov_b32_e32 v30, s23
	s_waitcnt lgkmcnt(0)
	v_lshrrev_b32_e32 v4, s16, v27
	v_and_b32_e32 v4, s28, v4
	v_lshlrev_b32_e32 v4, 2, v4
	ds_read_b32 v4, v4
	s_waitcnt lgkmcnt(0)
	v_add_u32_e32 v4, v23, v4
	v_lshlrev_b64 v[38:39], 2, v[4:5]
	v_add_co_u32_e64 v38, s[0:1], s22, v38
	v_addc_co_u32_e64 v39, s[0:1], v30, v39, s[0:1]
	global_store_dword v[38:39], v27, off
.LBB1141_73:                            ;   in Loop: Header=BB1141_71 Depth=1
	s_or_b64 exec, exec, s[2:3]
	v_add_u32_e32 v4, 0x400, v23
	v_cmp_gt_u32_e64 s[0:1], s7, v4
	s_and_saveexec_b64 s[2:3], s[0:1]
	s_cbranch_execz .LBB1141_75
; %bb.74:                               ;   in Loop: Header=BB1141_71 Depth=1
	ds_read_b32 v27, v7 offset:4096
	v_mov_b32_e32 v30, s23
	s_waitcnt lgkmcnt(0)
	v_lshrrev_b32_e32 v4, s16, v27
	v_and_b32_e32 v4, s28, v4
	v_lshlrev_b32_e32 v4, 2, v4
	ds_read_b32 v4, v4
	s_waitcnt lgkmcnt(0)
	v_add3_u32 v4, v23, v4, s8
	v_lshlrev_b64 v[38:39], 2, v[4:5]
	v_add_co_u32_e64 v38, s[0:1], s22, v38
	v_addc_co_u32_e64 v39, s[0:1], v30, v39, s[0:1]
	global_store_dword v[38:39], v27, off
.LBB1141_75:                            ;   in Loop: Header=BB1141_71 Depth=1
	s_or_b64 exec, exec, s[2:3]
	v_add_u32_e32 v4, 0x800, v23
	v_cmp_gt_u32_e64 s[0:1], s7, v4
	s_and_saveexec_b64 s[2:3], s[0:1]
	s_cbranch_execz .LBB1141_77
; %bb.76:                               ;   in Loop: Header=BB1141_71 Depth=1
	ds_read_b32 v27, v7 offset:8192
	v_mov_b32_e32 v30, s23
	s_waitcnt lgkmcnt(0)
	v_lshrrev_b32_e32 v4, s16, v27
	v_and_b32_e32 v4, s28, v4
	v_lshlrev_b32_e32 v4, 2, v4
	ds_read_b32 v4, v4
	s_waitcnt lgkmcnt(0)
	v_add3_u32 v4, v23, v4, s10
	v_lshlrev_b64 v[38:39], 2, v[4:5]
	v_add_co_u32_e64 v38, s[0:1], s22, v38
	v_addc_co_u32_e64 v39, s[0:1], v30, v39, s[0:1]
	global_store_dword v[38:39], v27, off
.LBB1141_77:                            ;   in Loop: Header=BB1141_71 Depth=1
	s_or_b64 exec, exec, s[2:3]
	v_add_u32_e32 v4, 0xc00, v23
	v_cmp_gt_u32_e64 s[0:1], s7, v4
	s_and_saveexec_b64 s[2:3], s[0:1]
	s_cbranch_execz .LBB1141_70
; %bb.78:                               ;   in Loop: Header=BB1141_71 Depth=1
	ds_read_b32 v27, v7 offset:12288
	v_mov_b32_e32 v30, s23
	s_waitcnt lgkmcnt(0)
	v_lshrrev_b32_e32 v4, s16, v27
	v_and_b32_e32 v4, s28, v4
	v_lshlrev_b32_e32 v4, 2, v4
	ds_read_b32 v4, v4
	s_waitcnt lgkmcnt(0)
	v_add3_u32 v4, v23, v4, s11
	v_lshlrev_b64 v[38:39], 2, v[4:5]
	v_add_co_u32_e64 v38, s[0:1], s22, v38
	v_addc_co_u32_e64 v39, s[0:1], v30, v39, s[0:1]
	global_store_dword v[38:39], v27, off
	s_branch .LBB1141_70
.LBB1141_79:
	s_mov_b64 s[10:11], 0
                                        ; implicit-def: $vgpr4
                                        ; implicit-def: $vgpr2
	s_cbranch_execnz .LBB1141_83
	s_branch .LBB1141_132
.LBB1141_80:
	s_add_i32 s27, s27, -1
	s_cmp_eq_u32 s27, s6
	s_cselect_b64 s[0:1], -1, 0
	s_and_b64 s[2:3], vcc, s[0:1]
	s_mov_b64 s[0:1], 0
	s_mov_b64 s[10:11], 0
                                        ; implicit-def: $vgpr4
	s_and_saveexec_b64 s[8:9], s[2:3]
	s_xor_b64 s[2:3], exec, s[8:9]
; %bb.81:
	s_mov_b64 s[10:11], exec
	v_add_u32_e32 v4, v25, v26
; %bb.82:
	s_or_b64 exec, exec, s[2:3]
	s_and_b64 vcc, exec, s[0:1]
	s_cbranch_vccz .LBB1141_132
.LBB1141_83:
	s_mov_b32 s27, 0
	v_mbcnt_hi_u32_b32 v6, -1, v1
	s_lshl_b64 s[0:1], s[26:27], 2
	v_and_b32_e32 v1, 63, v6
	s_add_u32 s0, s20, s0
	v_lshlrev_b32_e32 v1, 2, v1
	v_add_co_u32_e32 v1, vcc, s0, v1
	s_load_dword s7, s[4:5], 0x58
	s_load_dword s0, s[4:5], 0x64
	v_and_b32_e32 v2, 0x3ff, v0
	s_addc_u32 s1, s21, s1
	v_and_b32_e32 v3, 0x3c0, v2
	v_mul_u32_u24_e32 v3, 12, v3
	v_mov_b32_e32 v5, s1
	s_add_u32 s1, s4, 0x58
	v_addc_co_u32_e32 v5, vcc, 0, v5, vcc
	v_lshlrev_b32_e32 v3, 2, v3
	s_addc_u32 s2, s5, 0
	s_waitcnt lgkmcnt(0)
	s_lshr_b32 s3, s0, 16
	v_add_co_u32_e32 v20, vcc, v1, v3
	s_cmp_lt_u32 s6, s7
	v_addc_co_u32_e32 v21, vcc, 0, v5, vcc
	s_cselect_b32 s0, 12, 18
	global_load_dword v3, v[20:21], off
	s_add_u32 s0, s1, s0
	v_mov_b32_e32 v4, 0
	s_addc_u32 s1, s2, 0
	global_load_ushort v1, v4, s[0:1]
	v_mul_u32_u24_e32 v7, 5, v2
	v_lshlrev_b32_e32 v7, 2, v7
	ds_write2_b32 v7, v4, v4 offset0:16 offset1:17
	ds_write2_b32 v7, v4, v4 offset0:18 offset1:19
	ds_write_b32 v7, v4 offset:80
	global_load_dword v8, v[20:21], off offset:256
	global_load_dword v9, v[20:21], off offset:512
	;; [unrolled: 1-line block ×11, first 2 shown]
	v_bfe_u32 v5, v0, 10, 10
	v_bfe_u32 v0, v0, 20, 10
	s_lshl_b32 s0, -1, s17
	v_mad_u32_u24 v0, v0, s3, v5
	s_not_b32 s17, s0
	s_waitcnt lgkmcnt(0)
	s_barrier
	s_waitcnt lgkmcnt(0)
	; wave barrier
	s_waitcnt vmcnt(12)
	v_lshrrev_b32_e32 v5, s16, v3
	v_and_b32_e32 v19, s17, v5
	v_and_b32_e32 v21, 1, v19
	v_lshlrev_b32_e32 v5, 30, v19
	s_waitcnt vmcnt(11)
	v_mad_u64_u32 v[0:1], s[0:1], v0, v1, v[2:3]
	v_add_co_u32_e32 v1, vcc, -1, v21
	v_addc_co_u32_e64 v22, s[0:1], 0, -1, vcc
	v_cmp_ne_u32_e32 vcc, 0, v21
	v_cmp_gt_i64_e64 s[0:1], 0, v[4:5]
	v_not_b32_e32 v21, v5
	v_lshlrev_b32_e32 v5, 29, v19
	v_lshl_add_u32 v20, v19, 4, v19
	v_lshrrev_b32_e32 v28, 6, v0
	v_xor_b32_e32 v0, vcc_hi, v22
	v_xor_b32_e32 v1, vcc_lo, v1
	v_ashrrev_i32_e32 v21, 31, v21
	v_cmp_gt_i64_e32 vcc, 0, v[4:5]
	v_not_b32_e32 v23, v5
	v_lshlrev_b32_e32 v5, 28, v19
	v_add_lshl_u32 v22, v28, v20, 2
	v_and_b32_e32 v0, exec_hi, v0
	v_and_b32_e32 v1, exec_lo, v1
	v_xor_b32_e32 v20, s1, v21
	v_xor_b32_e32 v21, s0, v21
	v_ashrrev_i32_e32 v23, 31, v23
	v_cmp_gt_i64_e64 s[0:1], 0, v[4:5]
	v_not_b32_e32 v5, v5
	v_and_b32_e32 v0, v0, v20
	v_and_b32_e32 v1, v1, v21
	v_xor_b32_e32 v20, vcc_hi, v23
	v_xor_b32_e32 v21, vcc_lo, v23
	v_ashrrev_i32_e32 v5, 31, v5
	v_and_b32_e32 v0, v0, v20
	v_and_b32_e32 v1, v1, v21
	v_xor_b32_e32 v20, s1, v5
	v_xor_b32_e32 v5, s0, v5
	v_and_b32_e32 v1, v1, v5
	v_lshlrev_b32_e32 v5, 27, v19
	v_cmp_gt_i64_e32 vcc, 0, v[4:5]
	v_not_b32_e32 v5, v5
	v_ashrrev_i32_e32 v5, 31, v5
	v_and_b32_e32 v0, v0, v20
	v_xor_b32_e32 v20, vcc_hi, v5
	v_xor_b32_e32 v5, vcc_lo, v5
	v_and_b32_e32 v1, v1, v5
	v_lshlrev_b32_e32 v5, 26, v19
	v_cmp_gt_i64_e32 vcc, 0, v[4:5]
	v_not_b32_e32 v5, v5
	v_ashrrev_i32_e32 v5, 31, v5
	v_and_b32_e32 v0, v0, v20
	v_xor_b32_e32 v20, vcc_hi, v5
	v_xor_b32_e32 v5, vcc_lo, v5
	v_and_b32_e32 v1, v1, v5
	v_lshlrev_b32_e32 v5, 25, v19
	v_cmp_gt_i64_e32 vcc, 0, v[4:5]
	v_not_b32_e32 v5, v5
	v_ashrrev_i32_e32 v5, 31, v5
	v_and_b32_e32 v0, v0, v20
	v_xor_b32_e32 v20, vcc_hi, v5
	v_xor_b32_e32 v5, vcc_lo, v5
	v_and_b32_e32 v0, v0, v20
	v_and_b32_e32 v20, v1, v5
	v_lshlrev_b32_e32 v5, 24, v19
	v_not_b32_e32 v1, v5
	v_cmp_gt_i64_e32 vcc, 0, v[4:5]
	v_ashrrev_i32_e32 v1, 31, v1
	v_xor_b32_e32 v5, vcc_hi, v1
	v_xor_b32_e32 v19, vcc_lo, v1
	v_and_b32_e32 v1, v0, v5
	v_and_b32_e32 v0, v20, v19
	v_mbcnt_lo_u32_b32 v5, v0, 0
	v_mbcnt_hi_u32_b32 v19, v1, v5
	v_cmp_eq_u32_e32 vcc, 0, v19
	v_cmp_ne_u64_e64 s[0:1], 0, v[0:1]
	s_and_b64 s[2:3], s[0:1], vcc
	s_and_saveexec_b64 s[0:1], s[2:3]
	s_cbranch_execz .LBB1141_85
; %bb.84:
	v_bcnt_u32_b32 v0, v0, 0
	v_bcnt_u32_b32 v0, v1, v0
	ds_write_b32 v22, v0 offset:64
.LBB1141_85:
	s_or_b64 exec, exec, s[0:1]
	s_waitcnt vmcnt(10)
	v_lshrrev_b32_e32 v0, s16, v8
	v_and_b32_e32 v0, s17, v0
	v_lshl_add_u32 v1, v0, 4, v0
	v_add_lshl_u32 v24, v28, v1, 2
	v_and_b32_e32 v1, 1, v0
	v_add_co_u32_e32 v5, vcc, -1, v1
	v_addc_co_u32_e64 v21, s[0:1], 0, -1, vcc
	v_cmp_ne_u32_e32 vcc, 0, v1
	v_xor_b32_e32 v5, vcc_lo, v5
	v_xor_b32_e32 v1, vcc_hi, v21
	v_and_b32_e32 v21, exec_lo, v5
	v_lshlrev_b32_e32 v5, 30, v0
	v_cmp_gt_i64_e32 vcc, 0, v[4:5]
	v_not_b32_e32 v5, v5
	v_ashrrev_i32_e32 v5, 31, v5
	v_xor_b32_e32 v23, vcc_hi, v5
	v_xor_b32_e32 v5, vcc_lo, v5
	v_and_b32_e32 v21, v21, v5
	v_lshlrev_b32_e32 v5, 29, v0
	v_cmp_gt_i64_e32 vcc, 0, v[4:5]
	v_not_b32_e32 v5, v5
	v_and_b32_e32 v1, exec_hi, v1
	v_ashrrev_i32_e32 v5, 31, v5
	v_and_b32_e32 v1, v1, v23
	v_xor_b32_e32 v23, vcc_hi, v5
	v_xor_b32_e32 v5, vcc_lo, v5
	v_and_b32_e32 v21, v21, v5
	v_lshlrev_b32_e32 v5, 28, v0
	v_cmp_gt_i64_e32 vcc, 0, v[4:5]
	v_not_b32_e32 v5, v5
	v_ashrrev_i32_e32 v5, 31, v5
	v_and_b32_e32 v1, v1, v23
	v_xor_b32_e32 v23, vcc_hi, v5
	v_xor_b32_e32 v5, vcc_lo, v5
	v_and_b32_e32 v21, v21, v5
	v_lshlrev_b32_e32 v5, 27, v0
	v_cmp_gt_i64_e32 vcc, 0, v[4:5]
	v_not_b32_e32 v5, v5
	;; [unrolled: 8-line block ×4, first 2 shown]
	v_ashrrev_i32_e32 v5, 31, v5
	v_and_b32_e32 v1, v1, v23
	v_xor_b32_e32 v23, vcc_hi, v5
	v_xor_b32_e32 v5, vcc_lo, v5
	v_and_b32_e32 v21, v21, v5
	v_lshlrev_b32_e32 v5, 24, v0
	v_not_b32_e32 v0, v5
	v_cmp_gt_i64_e32 vcc, 0, v[4:5]
	v_ashrrev_i32_e32 v0, 31, v0
	v_xor_b32_e32 v4, vcc_hi, v0
	v_xor_b32_e32 v0, vcc_lo, v0
	; wave barrier
	ds_read_b32 v20, v24 offset:64
	v_and_b32_e32 v1, v1, v23
	v_and_b32_e32 v0, v21, v0
	v_and_b32_e32 v1, v1, v4
	v_mbcnt_lo_u32_b32 v4, v0, 0
	v_mbcnt_hi_u32_b32 v21, v1, v4
	v_cmp_eq_u32_e32 vcc, 0, v21
	v_cmp_ne_u64_e64 s[0:1], 0, v[0:1]
	s_and_b64 s[2:3], s[0:1], vcc
	; wave barrier
	s_and_saveexec_b64 s[0:1], s[2:3]
	s_cbranch_execz .LBB1141_87
; %bb.86:
	v_bcnt_u32_b32 v0, v0, 0
	v_bcnt_u32_b32 v0, v1, v0
	s_waitcnt lgkmcnt(0)
	v_add_u32_e32 v0, v20, v0
	ds_write_b32 v24, v0 offset:64
.LBB1141_87:
	s_or_b64 exec, exec, s[0:1]
	s_waitcnt vmcnt(9)
	v_lshrrev_b32_e32 v0, s16, v9
	v_and_b32_e32 v4, s17, v0
	v_and_b32_e32 v1, 1, v4
	v_add_co_u32_e32 v5, vcc, -1, v1
	v_addc_co_u32_e64 v25, s[0:1], 0, -1, vcc
	v_cmp_ne_u32_e32 vcc, 0, v1
	v_lshl_add_u32 v0, v4, 4, v4
	v_xor_b32_e32 v1, vcc_hi, v25
	v_add_lshl_u32 v27, v28, v0, 2
	v_mov_b32_e32 v0, 0
	v_and_b32_e32 v25, exec_hi, v1
	v_lshlrev_b32_e32 v1, 30, v4
	v_xor_b32_e32 v5, vcc_lo, v5
	v_cmp_gt_i64_e32 vcc, 0, v[0:1]
	v_not_b32_e32 v1, v1
	v_ashrrev_i32_e32 v1, 31, v1
	v_and_b32_e32 v5, exec_lo, v5
	v_xor_b32_e32 v26, vcc_hi, v1
	v_xor_b32_e32 v1, vcc_lo, v1
	v_and_b32_e32 v5, v5, v1
	v_lshlrev_b32_e32 v1, 29, v4
	v_cmp_gt_i64_e32 vcc, 0, v[0:1]
	v_not_b32_e32 v1, v1
	v_ashrrev_i32_e32 v1, 31, v1
	v_and_b32_e32 v25, v25, v26
	v_xor_b32_e32 v26, vcc_hi, v1
	v_xor_b32_e32 v1, vcc_lo, v1
	v_and_b32_e32 v5, v5, v1
	v_lshlrev_b32_e32 v1, 28, v4
	v_cmp_gt_i64_e32 vcc, 0, v[0:1]
	v_not_b32_e32 v1, v1
	v_ashrrev_i32_e32 v1, 31, v1
	v_and_b32_e32 v25, v25, v26
	;; [unrolled: 8-line block ×5, first 2 shown]
	v_xor_b32_e32 v26, vcc_hi, v1
	v_xor_b32_e32 v1, vcc_lo, v1
	v_and_b32_e32 v25, v25, v26
	v_and_b32_e32 v26, v5, v1
	v_lshlrev_b32_e32 v1, 24, v4
	v_cmp_gt_i64_e32 vcc, 0, v[0:1]
	v_not_b32_e32 v1, v1
	v_ashrrev_i32_e32 v1, 31, v1
	v_xor_b32_e32 v4, vcc_hi, v1
	v_xor_b32_e32 v1, vcc_lo, v1
	; wave barrier
	ds_read_b32 v23, v27 offset:64
	v_and_b32_e32 v5, v25, v4
	v_and_b32_e32 v4, v26, v1
	v_mbcnt_lo_u32_b32 v1, v4, 0
	v_mbcnt_hi_u32_b32 v25, v5, v1
	v_cmp_eq_u32_e32 vcc, 0, v25
	v_cmp_ne_u64_e64 s[0:1], 0, v[4:5]
	s_and_b64 s[2:3], s[0:1], vcc
	; wave barrier
	s_and_saveexec_b64 s[0:1], s[2:3]
	s_cbranch_execz .LBB1141_89
; %bb.88:
	v_bcnt_u32_b32 v1, v4, 0
	v_bcnt_u32_b32 v1, v5, v1
	s_waitcnt lgkmcnt(0)
	v_add_u32_e32 v1, v23, v1
	ds_write_b32 v27, v1 offset:64
.LBB1141_89:
	s_or_b64 exec, exec, s[0:1]
	s_waitcnt vmcnt(8)
	v_lshrrev_b32_e32 v1, s16, v10
	v_and_b32_e32 v4, s17, v1
	v_lshl_add_u32 v1, v4, 4, v4
	v_add_lshl_u32 v31, v28, v1, 2
	v_and_b32_e32 v1, 1, v4
	v_add_co_u32_e32 v5, vcc, -1, v1
	v_addc_co_u32_e64 v29, s[0:1], 0, -1, vcc
	v_cmp_ne_u32_e32 vcc, 0, v1
	v_xor_b32_e32 v1, vcc_hi, v29
	v_and_b32_e32 v29, exec_hi, v1
	v_lshlrev_b32_e32 v1, 30, v4
	v_xor_b32_e32 v5, vcc_lo, v5
	v_cmp_gt_i64_e32 vcc, 0, v[0:1]
	v_not_b32_e32 v1, v1
	v_ashrrev_i32_e32 v1, 31, v1
	v_and_b32_e32 v5, exec_lo, v5
	v_xor_b32_e32 v30, vcc_hi, v1
	v_xor_b32_e32 v1, vcc_lo, v1
	v_and_b32_e32 v5, v5, v1
	v_lshlrev_b32_e32 v1, 29, v4
	v_cmp_gt_i64_e32 vcc, 0, v[0:1]
	v_not_b32_e32 v1, v1
	v_ashrrev_i32_e32 v1, 31, v1
	v_and_b32_e32 v29, v29, v30
	v_xor_b32_e32 v30, vcc_hi, v1
	v_xor_b32_e32 v1, vcc_lo, v1
	v_and_b32_e32 v5, v5, v1
	v_lshlrev_b32_e32 v1, 28, v4
	v_cmp_gt_i64_e32 vcc, 0, v[0:1]
	v_not_b32_e32 v1, v1
	v_ashrrev_i32_e32 v1, 31, v1
	v_and_b32_e32 v29, v29, v30
	;; [unrolled: 8-line block ×5, first 2 shown]
	v_xor_b32_e32 v30, vcc_hi, v1
	v_xor_b32_e32 v1, vcc_lo, v1
	v_and_b32_e32 v5, v5, v1
	v_lshlrev_b32_e32 v1, 24, v4
	v_cmp_gt_i64_e32 vcc, 0, v[0:1]
	v_not_b32_e32 v0, v1
	v_ashrrev_i32_e32 v0, 31, v0
	v_xor_b32_e32 v1, vcc_hi, v0
	v_xor_b32_e32 v0, vcc_lo, v0
	; wave barrier
	ds_read_b32 v26, v31 offset:64
	v_and_b32_e32 v29, v29, v30
	v_and_b32_e32 v0, v5, v0
	;; [unrolled: 1-line block ×3, first 2 shown]
	v_mbcnt_lo_u32_b32 v4, v0, 0
	v_mbcnt_hi_u32_b32 v29, v1, v4
	v_cmp_eq_u32_e32 vcc, 0, v29
	v_cmp_ne_u64_e64 s[0:1], 0, v[0:1]
	s_and_b64 s[2:3], s[0:1], vcc
	; wave barrier
	s_and_saveexec_b64 s[0:1], s[2:3]
	s_cbranch_execz .LBB1141_91
; %bb.90:
	v_bcnt_u32_b32 v0, v0, 0
	v_bcnt_u32_b32 v0, v1, v0
	s_waitcnt lgkmcnt(0)
	v_add_u32_e32 v0, v26, v0
	ds_write_b32 v31, v0 offset:64
.LBB1141_91:
	s_or_b64 exec, exec, s[0:1]
	s_waitcnt vmcnt(7)
	v_lshrrev_b32_e32 v0, s16, v11
	v_and_b32_e32 v4, s17, v0
	v_and_b32_e32 v1, 1, v4
	v_add_co_u32_e32 v5, vcc, -1, v1
	v_addc_co_u32_e64 v32, s[0:1], 0, -1, vcc
	v_cmp_ne_u32_e32 vcc, 0, v1
	v_lshl_add_u32 v0, v4, 4, v4
	v_xor_b32_e32 v1, vcc_hi, v32
	v_add_lshl_u32 v34, v28, v0, 2
	v_mov_b32_e32 v0, 0
	v_and_b32_e32 v32, exec_hi, v1
	v_lshlrev_b32_e32 v1, 30, v4
	v_xor_b32_e32 v5, vcc_lo, v5
	v_cmp_gt_i64_e32 vcc, 0, v[0:1]
	v_not_b32_e32 v1, v1
	v_ashrrev_i32_e32 v1, 31, v1
	v_and_b32_e32 v5, exec_lo, v5
	v_xor_b32_e32 v33, vcc_hi, v1
	v_xor_b32_e32 v1, vcc_lo, v1
	v_and_b32_e32 v5, v5, v1
	v_lshlrev_b32_e32 v1, 29, v4
	v_cmp_gt_i64_e32 vcc, 0, v[0:1]
	v_not_b32_e32 v1, v1
	v_ashrrev_i32_e32 v1, 31, v1
	v_and_b32_e32 v32, v32, v33
	v_xor_b32_e32 v33, vcc_hi, v1
	v_xor_b32_e32 v1, vcc_lo, v1
	v_and_b32_e32 v5, v5, v1
	v_lshlrev_b32_e32 v1, 28, v4
	v_cmp_gt_i64_e32 vcc, 0, v[0:1]
	v_not_b32_e32 v1, v1
	v_ashrrev_i32_e32 v1, 31, v1
	v_and_b32_e32 v32, v32, v33
	;; [unrolled: 8-line block ×5, first 2 shown]
	v_xor_b32_e32 v33, vcc_hi, v1
	v_xor_b32_e32 v1, vcc_lo, v1
	v_and_b32_e32 v32, v32, v33
	v_and_b32_e32 v33, v5, v1
	v_lshlrev_b32_e32 v1, 24, v4
	v_cmp_gt_i64_e32 vcc, 0, v[0:1]
	v_not_b32_e32 v1, v1
	v_ashrrev_i32_e32 v1, 31, v1
	v_xor_b32_e32 v4, vcc_hi, v1
	v_xor_b32_e32 v1, vcc_lo, v1
	; wave barrier
	ds_read_b32 v30, v34 offset:64
	v_and_b32_e32 v5, v32, v4
	v_and_b32_e32 v4, v33, v1
	v_mbcnt_lo_u32_b32 v1, v4, 0
	v_mbcnt_hi_u32_b32 v32, v5, v1
	v_cmp_eq_u32_e32 vcc, 0, v32
	v_cmp_ne_u64_e64 s[0:1], 0, v[4:5]
	s_and_b64 s[2:3], s[0:1], vcc
	; wave barrier
	s_and_saveexec_b64 s[0:1], s[2:3]
	s_cbranch_execz .LBB1141_93
; %bb.92:
	v_bcnt_u32_b32 v1, v4, 0
	v_bcnt_u32_b32 v1, v5, v1
	s_waitcnt lgkmcnt(0)
	v_add_u32_e32 v1, v30, v1
	ds_write_b32 v34, v1 offset:64
.LBB1141_93:
	s_or_b64 exec, exec, s[0:1]
	s_waitcnt vmcnt(6)
	v_lshrrev_b32_e32 v1, s16, v12
	v_and_b32_e32 v4, s17, v1
	v_lshl_add_u32 v1, v4, 4, v4
	v_add_lshl_u32 v37, v28, v1, 2
	v_and_b32_e32 v1, 1, v4
	v_add_co_u32_e32 v5, vcc, -1, v1
	v_addc_co_u32_e64 v35, s[0:1], 0, -1, vcc
	v_cmp_ne_u32_e32 vcc, 0, v1
	v_xor_b32_e32 v1, vcc_hi, v35
	v_and_b32_e32 v35, exec_hi, v1
	v_lshlrev_b32_e32 v1, 30, v4
	v_xor_b32_e32 v5, vcc_lo, v5
	v_cmp_gt_i64_e32 vcc, 0, v[0:1]
	v_not_b32_e32 v1, v1
	v_ashrrev_i32_e32 v1, 31, v1
	v_and_b32_e32 v5, exec_lo, v5
	v_xor_b32_e32 v36, vcc_hi, v1
	v_xor_b32_e32 v1, vcc_lo, v1
	v_and_b32_e32 v5, v5, v1
	v_lshlrev_b32_e32 v1, 29, v4
	v_cmp_gt_i64_e32 vcc, 0, v[0:1]
	v_not_b32_e32 v1, v1
	v_ashrrev_i32_e32 v1, 31, v1
	v_and_b32_e32 v35, v35, v36
	v_xor_b32_e32 v36, vcc_hi, v1
	v_xor_b32_e32 v1, vcc_lo, v1
	v_and_b32_e32 v5, v5, v1
	v_lshlrev_b32_e32 v1, 28, v4
	v_cmp_gt_i64_e32 vcc, 0, v[0:1]
	v_not_b32_e32 v1, v1
	v_ashrrev_i32_e32 v1, 31, v1
	v_and_b32_e32 v35, v35, v36
	v_xor_b32_e32 v36, vcc_hi, v1
	v_xor_b32_e32 v1, vcc_lo, v1
	v_and_b32_e32 v5, v5, v1
	v_lshlrev_b32_e32 v1, 27, v4
	v_cmp_gt_i64_e32 vcc, 0, v[0:1]
	v_not_b32_e32 v1, v1
	v_ashrrev_i32_e32 v1, 31, v1
	v_and_b32_e32 v35, v35, v36
	v_xor_b32_e32 v36, vcc_hi, v1
	v_xor_b32_e32 v1, vcc_lo, v1
	v_and_b32_e32 v5, v5, v1
	v_lshlrev_b32_e32 v1, 26, v4
	v_cmp_gt_i64_e32 vcc, 0, v[0:1]
	v_not_b32_e32 v1, v1
	v_ashrrev_i32_e32 v1, 31, v1
	v_and_b32_e32 v35, v35, v36
	v_xor_b32_e32 v36, vcc_hi, v1
	v_xor_b32_e32 v1, vcc_lo, v1
	v_and_b32_e32 v5, v5, v1
	v_lshlrev_b32_e32 v1, 25, v4
	v_cmp_gt_i64_e32 vcc, 0, v[0:1]
	v_not_b32_e32 v1, v1
	v_ashrrev_i32_e32 v1, 31, v1
	v_and_b32_e32 v35, v35, v36
	v_xor_b32_e32 v36, vcc_hi, v1
	v_xor_b32_e32 v1, vcc_lo, v1
	v_and_b32_e32 v5, v5, v1
	v_lshlrev_b32_e32 v1, 24, v4
	v_cmp_gt_i64_e32 vcc, 0, v[0:1]
	v_not_b32_e32 v0, v1
	v_ashrrev_i32_e32 v0, 31, v0
	v_xor_b32_e32 v1, vcc_hi, v0
	v_xor_b32_e32 v0, vcc_lo, v0
	; wave barrier
	ds_read_b32 v33, v37 offset:64
	v_and_b32_e32 v35, v35, v36
	v_and_b32_e32 v0, v5, v0
	;; [unrolled: 1-line block ×3, first 2 shown]
	v_mbcnt_lo_u32_b32 v4, v0, 0
	v_mbcnt_hi_u32_b32 v35, v1, v4
	v_cmp_eq_u32_e32 vcc, 0, v35
	v_cmp_ne_u64_e64 s[0:1], 0, v[0:1]
	s_and_b64 s[2:3], s[0:1], vcc
	; wave barrier
	s_and_saveexec_b64 s[0:1], s[2:3]
	s_cbranch_execz .LBB1141_95
; %bb.94:
	v_bcnt_u32_b32 v0, v0, 0
	v_bcnt_u32_b32 v0, v1, v0
	s_waitcnt lgkmcnt(0)
	v_add_u32_e32 v0, v33, v0
	ds_write_b32 v37, v0 offset:64
.LBB1141_95:
	s_or_b64 exec, exec, s[0:1]
	s_waitcnt vmcnt(5)
	v_lshrrev_b32_e32 v0, s16, v13
	v_and_b32_e32 v4, s17, v0
	v_and_b32_e32 v1, 1, v4
	v_add_co_u32_e32 v5, vcc, -1, v1
	v_addc_co_u32_e64 v38, s[0:1], 0, -1, vcc
	v_cmp_ne_u32_e32 vcc, 0, v1
	v_lshl_add_u32 v0, v4, 4, v4
	v_xor_b32_e32 v1, vcc_hi, v38
	v_add_lshl_u32 v40, v28, v0, 2
	v_mov_b32_e32 v0, 0
	v_and_b32_e32 v38, exec_hi, v1
	v_lshlrev_b32_e32 v1, 30, v4
	v_xor_b32_e32 v5, vcc_lo, v5
	v_cmp_gt_i64_e32 vcc, 0, v[0:1]
	v_not_b32_e32 v1, v1
	v_ashrrev_i32_e32 v1, 31, v1
	v_and_b32_e32 v5, exec_lo, v5
	v_xor_b32_e32 v39, vcc_hi, v1
	v_xor_b32_e32 v1, vcc_lo, v1
	v_and_b32_e32 v5, v5, v1
	v_lshlrev_b32_e32 v1, 29, v4
	v_cmp_gt_i64_e32 vcc, 0, v[0:1]
	v_not_b32_e32 v1, v1
	v_ashrrev_i32_e32 v1, 31, v1
	v_and_b32_e32 v38, v38, v39
	v_xor_b32_e32 v39, vcc_hi, v1
	v_xor_b32_e32 v1, vcc_lo, v1
	v_and_b32_e32 v5, v5, v1
	v_lshlrev_b32_e32 v1, 28, v4
	v_cmp_gt_i64_e32 vcc, 0, v[0:1]
	v_not_b32_e32 v1, v1
	v_ashrrev_i32_e32 v1, 31, v1
	v_and_b32_e32 v38, v38, v39
	;; [unrolled: 8-line block ×5, first 2 shown]
	v_xor_b32_e32 v39, vcc_hi, v1
	v_xor_b32_e32 v1, vcc_lo, v1
	v_and_b32_e32 v38, v38, v39
	v_and_b32_e32 v39, v5, v1
	v_lshlrev_b32_e32 v1, 24, v4
	v_cmp_gt_i64_e32 vcc, 0, v[0:1]
	v_not_b32_e32 v1, v1
	v_ashrrev_i32_e32 v1, 31, v1
	v_xor_b32_e32 v4, vcc_hi, v1
	v_xor_b32_e32 v1, vcc_lo, v1
	; wave barrier
	ds_read_b32 v36, v40 offset:64
	v_and_b32_e32 v5, v38, v4
	v_and_b32_e32 v4, v39, v1
	v_mbcnt_lo_u32_b32 v1, v4, 0
	v_mbcnt_hi_u32_b32 v38, v5, v1
	v_cmp_eq_u32_e32 vcc, 0, v38
	v_cmp_ne_u64_e64 s[0:1], 0, v[4:5]
	s_and_b64 s[2:3], s[0:1], vcc
	; wave barrier
	s_and_saveexec_b64 s[0:1], s[2:3]
	s_cbranch_execz .LBB1141_97
; %bb.96:
	v_bcnt_u32_b32 v1, v4, 0
	v_bcnt_u32_b32 v1, v5, v1
	s_waitcnt lgkmcnt(0)
	v_add_u32_e32 v1, v36, v1
	ds_write_b32 v40, v1 offset:64
.LBB1141_97:
	s_or_b64 exec, exec, s[0:1]
	s_waitcnt vmcnt(4)
	v_lshrrev_b32_e32 v1, s16, v14
	v_and_b32_e32 v4, s17, v1
	v_lshl_add_u32 v1, v4, 4, v4
	v_add_lshl_u32 v43, v28, v1, 2
	v_and_b32_e32 v1, 1, v4
	v_add_co_u32_e32 v5, vcc, -1, v1
	v_addc_co_u32_e64 v41, s[0:1], 0, -1, vcc
	v_cmp_ne_u32_e32 vcc, 0, v1
	v_xor_b32_e32 v1, vcc_hi, v41
	v_and_b32_e32 v41, exec_hi, v1
	v_lshlrev_b32_e32 v1, 30, v4
	v_xor_b32_e32 v5, vcc_lo, v5
	v_cmp_gt_i64_e32 vcc, 0, v[0:1]
	v_not_b32_e32 v1, v1
	v_ashrrev_i32_e32 v1, 31, v1
	v_and_b32_e32 v5, exec_lo, v5
	v_xor_b32_e32 v42, vcc_hi, v1
	v_xor_b32_e32 v1, vcc_lo, v1
	v_and_b32_e32 v5, v5, v1
	v_lshlrev_b32_e32 v1, 29, v4
	v_cmp_gt_i64_e32 vcc, 0, v[0:1]
	v_not_b32_e32 v1, v1
	v_ashrrev_i32_e32 v1, 31, v1
	v_and_b32_e32 v41, v41, v42
	v_xor_b32_e32 v42, vcc_hi, v1
	v_xor_b32_e32 v1, vcc_lo, v1
	v_and_b32_e32 v5, v5, v1
	v_lshlrev_b32_e32 v1, 28, v4
	v_cmp_gt_i64_e32 vcc, 0, v[0:1]
	v_not_b32_e32 v1, v1
	v_ashrrev_i32_e32 v1, 31, v1
	v_and_b32_e32 v41, v41, v42
	;; [unrolled: 8-line block ×5, first 2 shown]
	v_xor_b32_e32 v42, vcc_hi, v1
	v_xor_b32_e32 v1, vcc_lo, v1
	v_and_b32_e32 v5, v5, v1
	v_lshlrev_b32_e32 v1, 24, v4
	v_cmp_gt_i64_e32 vcc, 0, v[0:1]
	v_not_b32_e32 v0, v1
	v_ashrrev_i32_e32 v0, 31, v0
	v_xor_b32_e32 v1, vcc_hi, v0
	v_xor_b32_e32 v0, vcc_lo, v0
	; wave barrier
	ds_read_b32 v39, v43 offset:64
	v_and_b32_e32 v41, v41, v42
	v_and_b32_e32 v0, v5, v0
	;; [unrolled: 1-line block ×3, first 2 shown]
	v_mbcnt_lo_u32_b32 v4, v0, 0
	v_mbcnt_hi_u32_b32 v41, v1, v4
	v_cmp_eq_u32_e32 vcc, 0, v41
	v_cmp_ne_u64_e64 s[0:1], 0, v[0:1]
	s_and_b64 s[2:3], s[0:1], vcc
	; wave barrier
	s_and_saveexec_b64 s[0:1], s[2:3]
	s_cbranch_execz .LBB1141_99
; %bb.98:
	v_bcnt_u32_b32 v0, v0, 0
	v_bcnt_u32_b32 v0, v1, v0
	s_waitcnt lgkmcnt(0)
	v_add_u32_e32 v0, v39, v0
	ds_write_b32 v43, v0 offset:64
.LBB1141_99:
	s_or_b64 exec, exec, s[0:1]
	s_waitcnt vmcnt(3)
	v_lshrrev_b32_e32 v0, s16, v15
	v_and_b32_e32 v4, s17, v0
	v_and_b32_e32 v1, 1, v4
	v_add_co_u32_e32 v5, vcc, -1, v1
	v_addc_co_u32_e64 v44, s[0:1], 0, -1, vcc
	v_cmp_ne_u32_e32 vcc, 0, v1
	v_lshl_add_u32 v0, v4, 4, v4
	v_xor_b32_e32 v1, vcc_hi, v44
	v_add_lshl_u32 v46, v28, v0, 2
	v_mov_b32_e32 v0, 0
	v_and_b32_e32 v44, exec_hi, v1
	v_lshlrev_b32_e32 v1, 30, v4
	v_xor_b32_e32 v5, vcc_lo, v5
	v_cmp_gt_i64_e32 vcc, 0, v[0:1]
	v_not_b32_e32 v1, v1
	v_ashrrev_i32_e32 v1, 31, v1
	v_and_b32_e32 v5, exec_lo, v5
	v_xor_b32_e32 v45, vcc_hi, v1
	v_xor_b32_e32 v1, vcc_lo, v1
	v_and_b32_e32 v5, v5, v1
	v_lshlrev_b32_e32 v1, 29, v4
	v_cmp_gt_i64_e32 vcc, 0, v[0:1]
	v_not_b32_e32 v1, v1
	v_ashrrev_i32_e32 v1, 31, v1
	v_and_b32_e32 v44, v44, v45
	v_xor_b32_e32 v45, vcc_hi, v1
	v_xor_b32_e32 v1, vcc_lo, v1
	v_and_b32_e32 v5, v5, v1
	v_lshlrev_b32_e32 v1, 28, v4
	v_cmp_gt_i64_e32 vcc, 0, v[0:1]
	v_not_b32_e32 v1, v1
	v_ashrrev_i32_e32 v1, 31, v1
	v_and_b32_e32 v44, v44, v45
	;; [unrolled: 8-line block ×5, first 2 shown]
	v_xor_b32_e32 v45, vcc_hi, v1
	v_xor_b32_e32 v1, vcc_lo, v1
	v_and_b32_e32 v44, v44, v45
	v_and_b32_e32 v45, v5, v1
	v_lshlrev_b32_e32 v1, 24, v4
	v_cmp_gt_i64_e32 vcc, 0, v[0:1]
	v_not_b32_e32 v1, v1
	v_ashrrev_i32_e32 v1, 31, v1
	v_xor_b32_e32 v4, vcc_hi, v1
	v_xor_b32_e32 v1, vcc_lo, v1
	; wave barrier
	ds_read_b32 v42, v46 offset:64
	v_and_b32_e32 v5, v44, v4
	v_and_b32_e32 v4, v45, v1
	v_mbcnt_lo_u32_b32 v1, v4, 0
	v_mbcnt_hi_u32_b32 v44, v5, v1
	v_cmp_eq_u32_e32 vcc, 0, v44
	v_cmp_ne_u64_e64 s[0:1], 0, v[4:5]
	s_and_b64 s[2:3], s[0:1], vcc
	; wave barrier
	s_and_saveexec_b64 s[0:1], s[2:3]
	s_cbranch_execz .LBB1141_101
; %bb.100:
	v_bcnt_u32_b32 v1, v4, 0
	v_bcnt_u32_b32 v1, v5, v1
	s_waitcnt lgkmcnt(0)
	v_add_u32_e32 v1, v42, v1
	ds_write_b32 v46, v1 offset:64
.LBB1141_101:
	s_or_b64 exec, exec, s[0:1]
	s_waitcnt vmcnt(2)
	v_lshrrev_b32_e32 v1, s16, v16
	v_and_b32_e32 v4, s17, v1
	v_lshl_add_u32 v1, v4, 4, v4
	v_add_lshl_u32 v49, v28, v1, 2
	v_and_b32_e32 v1, 1, v4
	v_add_co_u32_e32 v5, vcc, -1, v1
	v_addc_co_u32_e64 v47, s[0:1], 0, -1, vcc
	v_cmp_ne_u32_e32 vcc, 0, v1
	v_xor_b32_e32 v1, vcc_hi, v47
	v_and_b32_e32 v47, exec_hi, v1
	v_lshlrev_b32_e32 v1, 30, v4
	v_xor_b32_e32 v5, vcc_lo, v5
	v_cmp_gt_i64_e32 vcc, 0, v[0:1]
	v_not_b32_e32 v1, v1
	v_ashrrev_i32_e32 v1, 31, v1
	v_and_b32_e32 v5, exec_lo, v5
	v_xor_b32_e32 v48, vcc_hi, v1
	v_xor_b32_e32 v1, vcc_lo, v1
	v_and_b32_e32 v5, v5, v1
	v_lshlrev_b32_e32 v1, 29, v4
	v_cmp_gt_i64_e32 vcc, 0, v[0:1]
	v_not_b32_e32 v1, v1
	v_ashrrev_i32_e32 v1, 31, v1
	v_and_b32_e32 v47, v47, v48
	v_xor_b32_e32 v48, vcc_hi, v1
	v_xor_b32_e32 v1, vcc_lo, v1
	v_and_b32_e32 v5, v5, v1
	v_lshlrev_b32_e32 v1, 28, v4
	v_cmp_gt_i64_e32 vcc, 0, v[0:1]
	v_not_b32_e32 v1, v1
	v_ashrrev_i32_e32 v1, 31, v1
	v_and_b32_e32 v47, v47, v48
	;; [unrolled: 8-line block ×5, first 2 shown]
	v_xor_b32_e32 v48, vcc_hi, v1
	v_xor_b32_e32 v1, vcc_lo, v1
	v_and_b32_e32 v5, v5, v1
	v_lshlrev_b32_e32 v1, 24, v4
	v_cmp_gt_i64_e32 vcc, 0, v[0:1]
	v_not_b32_e32 v0, v1
	v_ashrrev_i32_e32 v0, 31, v0
	v_xor_b32_e32 v1, vcc_hi, v0
	v_xor_b32_e32 v0, vcc_lo, v0
	; wave barrier
	ds_read_b32 v45, v49 offset:64
	v_and_b32_e32 v47, v47, v48
	v_and_b32_e32 v0, v5, v0
	v_and_b32_e32 v1, v47, v1
	v_mbcnt_lo_u32_b32 v4, v0, 0
	v_mbcnt_hi_u32_b32 v47, v1, v4
	v_cmp_eq_u32_e32 vcc, 0, v47
	v_cmp_ne_u64_e64 s[0:1], 0, v[0:1]
	s_and_b64 s[2:3], s[0:1], vcc
	; wave barrier
	s_and_saveexec_b64 s[0:1], s[2:3]
	s_cbranch_execz .LBB1141_103
; %bb.102:
	v_bcnt_u32_b32 v0, v0, 0
	v_bcnt_u32_b32 v0, v1, v0
	s_waitcnt lgkmcnt(0)
	v_add_u32_e32 v0, v45, v0
	ds_write_b32 v49, v0 offset:64
.LBB1141_103:
	s_or_b64 exec, exec, s[0:1]
	s_waitcnt vmcnt(1)
	v_lshrrev_b32_e32 v0, s16, v17
	v_and_b32_e32 v4, s17, v0
	v_and_b32_e32 v1, 1, v4
	v_add_co_u32_e32 v5, vcc, -1, v1
	v_addc_co_u32_e64 v50, s[0:1], 0, -1, vcc
	v_cmp_ne_u32_e32 vcc, 0, v1
	v_lshl_add_u32 v0, v4, 4, v4
	v_xor_b32_e32 v1, vcc_hi, v50
	v_add_lshl_u32 v52, v28, v0, 2
	v_mov_b32_e32 v0, 0
	v_and_b32_e32 v50, exec_hi, v1
	v_lshlrev_b32_e32 v1, 30, v4
	v_xor_b32_e32 v5, vcc_lo, v5
	v_cmp_gt_i64_e32 vcc, 0, v[0:1]
	v_not_b32_e32 v1, v1
	v_ashrrev_i32_e32 v1, 31, v1
	v_and_b32_e32 v5, exec_lo, v5
	v_xor_b32_e32 v51, vcc_hi, v1
	v_xor_b32_e32 v1, vcc_lo, v1
	v_and_b32_e32 v5, v5, v1
	v_lshlrev_b32_e32 v1, 29, v4
	v_cmp_gt_i64_e32 vcc, 0, v[0:1]
	v_not_b32_e32 v1, v1
	v_ashrrev_i32_e32 v1, 31, v1
	v_and_b32_e32 v50, v50, v51
	v_xor_b32_e32 v51, vcc_hi, v1
	v_xor_b32_e32 v1, vcc_lo, v1
	v_and_b32_e32 v5, v5, v1
	v_lshlrev_b32_e32 v1, 28, v4
	v_cmp_gt_i64_e32 vcc, 0, v[0:1]
	v_not_b32_e32 v1, v1
	v_ashrrev_i32_e32 v1, 31, v1
	v_and_b32_e32 v50, v50, v51
	;; [unrolled: 8-line block ×5, first 2 shown]
	v_xor_b32_e32 v51, vcc_hi, v1
	v_xor_b32_e32 v1, vcc_lo, v1
	v_and_b32_e32 v50, v50, v51
	v_and_b32_e32 v51, v5, v1
	v_lshlrev_b32_e32 v1, 24, v4
	v_cmp_gt_i64_e32 vcc, 0, v[0:1]
	v_not_b32_e32 v1, v1
	v_ashrrev_i32_e32 v1, 31, v1
	v_xor_b32_e32 v4, vcc_hi, v1
	v_xor_b32_e32 v1, vcc_lo, v1
	; wave barrier
	ds_read_b32 v48, v52 offset:64
	v_and_b32_e32 v5, v50, v4
	v_and_b32_e32 v4, v51, v1
	v_mbcnt_lo_u32_b32 v1, v4, 0
	v_mbcnt_hi_u32_b32 v50, v5, v1
	v_cmp_eq_u32_e32 vcc, 0, v50
	v_cmp_ne_u64_e64 s[0:1], 0, v[4:5]
	s_and_b64 s[2:3], s[0:1], vcc
	; wave barrier
	s_and_saveexec_b64 s[0:1], s[2:3]
	s_cbranch_execz .LBB1141_105
; %bb.104:
	v_bcnt_u32_b32 v1, v4, 0
	v_bcnt_u32_b32 v1, v5, v1
	s_waitcnt lgkmcnt(0)
	v_add_u32_e32 v1, v48, v1
	ds_write_b32 v52, v1 offset:64
.LBB1141_105:
	s_or_b64 exec, exec, s[0:1]
	s_waitcnt vmcnt(0)
	v_lshrrev_b32_e32 v1, s16, v18
	v_and_b32_e32 v4, s17, v1
	v_lshl_add_u32 v1, v4, 4, v4
	v_add_lshl_u32 v54, v28, v1, 2
	v_and_b32_e32 v1, 1, v4
	v_add_co_u32_e32 v5, vcc, -1, v1
	v_addc_co_u32_e64 v28, s[0:1], 0, -1, vcc
	v_cmp_ne_u32_e32 vcc, 0, v1
	v_xor_b32_e32 v1, vcc_hi, v28
	v_and_b32_e32 v28, exec_hi, v1
	v_lshlrev_b32_e32 v1, 30, v4
	v_xor_b32_e32 v5, vcc_lo, v5
	v_cmp_gt_i64_e32 vcc, 0, v[0:1]
	v_not_b32_e32 v1, v1
	v_ashrrev_i32_e32 v1, 31, v1
	v_and_b32_e32 v5, exec_lo, v5
	v_xor_b32_e32 v53, vcc_hi, v1
	v_xor_b32_e32 v1, vcc_lo, v1
	v_and_b32_e32 v5, v5, v1
	v_lshlrev_b32_e32 v1, 29, v4
	v_cmp_gt_i64_e32 vcc, 0, v[0:1]
	v_not_b32_e32 v1, v1
	v_ashrrev_i32_e32 v1, 31, v1
	v_and_b32_e32 v28, v28, v53
	v_xor_b32_e32 v53, vcc_hi, v1
	v_xor_b32_e32 v1, vcc_lo, v1
	v_and_b32_e32 v5, v5, v1
	v_lshlrev_b32_e32 v1, 28, v4
	v_cmp_gt_i64_e32 vcc, 0, v[0:1]
	v_not_b32_e32 v1, v1
	v_ashrrev_i32_e32 v1, 31, v1
	v_and_b32_e32 v28, v28, v53
	;; [unrolled: 8-line block ×5, first 2 shown]
	v_xor_b32_e32 v53, vcc_hi, v1
	v_xor_b32_e32 v1, vcc_lo, v1
	v_and_b32_e32 v5, v5, v1
	v_lshlrev_b32_e32 v1, 24, v4
	v_cmp_gt_i64_e32 vcc, 0, v[0:1]
	v_not_b32_e32 v0, v1
	v_ashrrev_i32_e32 v0, 31, v0
	v_xor_b32_e32 v1, vcc_hi, v0
	v_xor_b32_e32 v0, vcc_lo, v0
	; wave barrier
	ds_read_b32 v51, v54 offset:64
	v_and_b32_e32 v28, v28, v53
	v_and_b32_e32 v0, v5, v0
	;; [unrolled: 1-line block ×3, first 2 shown]
	v_mbcnt_lo_u32_b32 v4, v0, 0
	v_mbcnt_hi_u32_b32 v53, v1, v4
	v_cmp_eq_u32_e32 vcc, 0, v53
	v_cmp_ne_u64_e64 s[0:1], 0, v[0:1]
	v_add_u32_e32 v55, 64, v7
	s_and_b64 s[2:3], s[0:1], vcc
	; wave barrier
	s_and_saveexec_b64 s[0:1], s[2:3]
	s_cbranch_execz .LBB1141_107
; %bb.106:
	v_bcnt_u32_b32 v0, v0, 0
	v_bcnt_u32_b32 v0, v1, v0
	s_waitcnt lgkmcnt(0)
	v_add_u32_e32 v0, v51, v0
	ds_write_b32 v54, v0 offset:64
.LBB1141_107:
	s_or_b64 exec, exec, s[0:1]
	; wave barrier
	s_waitcnt lgkmcnt(0)
	s_barrier
	ds_read2_b32 v[4:5], v7 offset0:16 offset1:17
	ds_read2_b32 v[0:1], v55 offset0:2 offset1:3
	ds_read_b32 v28, v55 offset:16
	v_cmp_lt_u32_e64 s[8:9], 31, v6
	s_waitcnt lgkmcnt(1)
	v_add3_u32 v56, v5, v4, v0
	s_waitcnt lgkmcnt(0)
	v_add3_u32 v28, v56, v1, v28
	v_and_b32_e32 v56, 15, v6
	v_cmp_eq_u32_e32 vcc, 0, v56
	v_mov_b32_dpp v57, v28 row_shr:1 row_mask:0xf bank_mask:0xf
	v_cndmask_b32_e64 v57, v57, 0, vcc
	v_add_u32_e32 v28, v57, v28
	v_cmp_lt_u32_e64 s[0:1], 1, v56
	v_cmp_lt_u32_e64 s[2:3], 3, v56
	v_mov_b32_dpp v57, v28 row_shr:2 row_mask:0xf bank_mask:0xf
	v_cndmask_b32_e64 v57, 0, v57, s[0:1]
	v_add_u32_e32 v28, v28, v57
	v_cmp_lt_u32_e64 s[4:5], 7, v56
	s_nop 0
	v_mov_b32_dpp v57, v28 row_shr:4 row_mask:0xf bank_mask:0xf
	v_cndmask_b32_e64 v57, 0, v57, s[2:3]
	v_add_u32_e32 v28, v28, v57
	s_nop 1
	v_mov_b32_dpp v57, v28 row_shr:8 row_mask:0xf bank_mask:0xf
	v_cndmask_b32_e64 v56, 0, v57, s[4:5]
	v_add_u32_e32 v28, v28, v56
	v_bfe_i32 v57, v6, 4, 1
	s_nop 0
	v_mov_b32_dpp v56, v28 row_bcast:15 row_mask:0xf bank_mask:0xf
	v_and_b32_e32 v56, v57, v56
	v_add_u32_e32 v28, v28, v56
	v_lshrrev_b32_e32 v57, 6, v2
	s_nop 0
	v_mov_b32_dpp v56, v28 row_bcast:31 row_mask:0xf bank_mask:0xf
	v_cndmask_b32_e64 v56, 0, v56, s[8:9]
	v_add_u32_e32 v56, v28, v56
	v_and_b32_e32 v28, 63, v2
	v_cmp_eq_u32_e64 s[8:9], 63, v28
	s_and_saveexec_b64 s[18:19], s[8:9]
	s_cbranch_execz .LBB1141_109
; %bb.108:
	v_lshlrev_b32_e32 v28, 2, v57
	ds_write_b32 v28, v56
.LBB1141_109:
	s_or_b64 exec, exec, s[18:19]
	v_cmp_gt_u32_e64 s[8:9], 16, v2
	v_lshlrev_b32_e32 v28, 2, v2
	s_waitcnt lgkmcnt(0)
	s_barrier
	s_and_saveexec_b64 s[18:19], s[8:9]
	s_cbranch_execz .LBB1141_111
; %bb.110:
	ds_read_b32 v58, v28
	s_waitcnt lgkmcnt(0)
	s_nop 0
	v_mov_b32_dpp v59, v58 row_shr:1 row_mask:0xf bank_mask:0xf
	v_cndmask_b32_e64 v59, v59, 0, vcc
	v_add_u32_e32 v58, v59, v58
	s_nop 1
	v_mov_b32_dpp v59, v58 row_shr:2 row_mask:0xf bank_mask:0xf
	v_cndmask_b32_e64 v59, 0, v59, s[0:1]
	v_add_u32_e32 v58, v58, v59
	s_nop 1
	v_mov_b32_dpp v59, v58 row_shr:4 row_mask:0xf bank_mask:0xf
	v_cndmask_b32_e64 v59, 0, v59, s[2:3]
	;; [unrolled: 4-line block ×3, first 2 shown]
	v_add_u32_e32 v58, v58, v59
	ds_write_b32 v28, v58
.LBB1141_111:
	s_or_b64 exec, exec, s[18:19]
	v_cmp_lt_u32_e32 vcc, 63, v2
	v_mov_b32_e32 v58, 0
	s_waitcnt lgkmcnt(0)
	s_barrier
	s_and_saveexec_b64 s[0:1], vcc
	s_cbranch_execz .LBB1141_113
; %bb.112:
	v_lshl_add_u32 v57, v57, 2, -4
	ds_read_b32 v58, v57
.LBB1141_113:
	s_or_b64 exec, exec, s[0:1]
	v_add_u32_e32 v57, -1, v6
	v_and_b32_e32 v59, 64, v6
	v_cmp_lt_i32_e32 vcc, v57, v59
	v_cndmask_b32_e32 v57, v57, v6, vcc
	s_waitcnt lgkmcnt(0)
	v_add_u32_e32 v56, v58, v56
	v_lshlrev_b32_e32 v57, 2, v57
	ds_bpermute_b32 v56, v57, v56
	v_cmp_eq_u32_e32 vcc, 0, v6
	s_movk_i32 s0, 0x100
	s_waitcnt lgkmcnt(0)
	v_cndmask_b32_e32 v6, v56, v58, vcc
	v_cmp_ne_u32_e32 vcc, 0, v2
	v_cndmask_b32_e32 v6, 0, v6, vcc
	v_add_u32_e32 v4, v6, v4
	v_add_u32_e32 v5, v4, v5
	;; [unrolled: 1-line block ×4, first 2 shown]
	ds_write2_b32 v7, v6, v4 offset0:16 offset1:17
	ds_write2_b32 v55, v5, v0 offset0:2 offset1:3
	ds_write_b32 v55, v1 offset:16
	s_waitcnt lgkmcnt(0)
	s_barrier
	ds_read_b32 v59, v22 offset:64
	ds_read_b32 v55, v24 offset:64
	;; [unrolled: 1-line block ×12, first 2 shown]
	v_cmp_gt_u32_e32 vcc, s0, v2
                                        ; implicit-def: $vgpr22
                                        ; implicit-def: $vgpr24
	s_and_saveexec_b64 s[2:3], vcc
	s_cbranch_execz .LBB1141_117
; %bb.114:
	v_mul_u32_u24_e32 v0, 17, v2
	v_lshlrev_b32_e32 v1, 2, v0
	ds_read_b32 v22, v1 offset:64
	s_movk_i32 s0, 0xff
	v_cmp_ne_u32_e64 s[0:1], s0, v2
	v_mov_b32_e32 v0, 0x3000
	s_and_saveexec_b64 s[4:5], s[0:1]
	s_cbranch_execz .LBB1141_116
; %bb.115:
	ds_read_b32 v0, v1 offset:132
.LBB1141_116:
	s_or_b64 exec, exec, s[4:5]
	s_waitcnt lgkmcnt(0)
	v_sub_u32_e32 v24, v0, v22
.LBB1141_117:
	s_or_b64 exec, exec, s[2:3]
	s_waitcnt lgkmcnt(0)
	s_barrier
	s_and_saveexec_b64 s[2:3], vcc
	s_cbranch_execz .LBB1141_127
; %bb.118:
	v_lshl_or_b32 v0, s6, 8, v2
	v_mov_b32_e32 v1, 0
	v_lshlrev_b64 v[4:5], 2, v[0:1]
	v_mov_b32_e32 v49, s25
	v_add_co_u32_e64 v4, s[0:1], s24, v4
	v_addc_co_u32_e64 v5, s[0:1], v49, v5, s[0:1]
	v_or_b32_e32 v0, 2.0, v24
	s_mov_b64 s[4:5], 0
	s_brev_b32 s20, 1
	s_mov_b32 s21, s6
	v_mov_b32_e32 v52, 0
	global_store_dword v[4:5], v0, off
                                        ; implicit-def: $sgpr0_sgpr1
	s_branch .LBB1141_121
.LBB1141_119:                           ;   in Loop: Header=BB1141_121 Depth=1
	s_or_b64 exec, exec, s[18:19]
.LBB1141_120:                           ;   in Loop: Header=BB1141_121 Depth=1
	s_or_b64 exec, exec, s[8:9]
	v_and_b32_e32 v6, 0x3fffffff, v54
	v_add_u32_e32 v52, v6, v52
	v_cmp_eq_u32_e64 s[0:1], s20, v0
	s_and_b64 s[8:9], exec, s[0:1]
	s_or_b64 s[4:5], s[8:9], s[4:5]
	s_andn2_b64 exec, exec, s[4:5]
	s_cbranch_execz .LBB1141_126
.LBB1141_121:                           ; =>This Loop Header: Depth=1
                                        ;     Child Loop BB1141_124 Depth 2
	s_or_b64 s[0:1], s[0:1], exec
	s_cmp_eq_u32 s21, 0
	s_cbranch_scc1 .LBB1141_125
; %bb.122:                              ;   in Loop: Header=BB1141_121 Depth=1
	s_add_i32 s21, s21, -1
	v_lshl_or_b32 v0, s21, 8, v2
	v_lshlrev_b64 v[6:7], 2, v[0:1]
	v_add_co_u32_e64 v6, s[0:1], s24, v6
	v_addc_co_u32_e64 v7, s[0:1], v49, v7, s[0:1]
	global_load_dword v54, v[6:7], off glc
	s_waitcnt vmcnt(0)
	v_and_b32_e32 v0, -2.0, v54
	v_cmp_eq_u32_e64 s[0:1], 0, v0
	s_and_saveexec_b64 s[8:9], s[0:1]
	s_cbranch_execz .LBB1141_120
; %bb.123:                              ;   in Loop: Header=BB1141_121 Depth=1
	s_mov_b64 s[18:19], 0
.LBB1141_124:                           ;   Parent Loop BB1141_121 Depth=1
                                        ; =>  This Inner Loop Header: Depth=2
	global_load_dword v54, v[6:7], off glc
	s_waitcnt vmcnt(0)
	v_and_b32_e32 v0, -2.0, v54
	v_cmp_ne_u32_e64 s[0:1], 0, v0
	s_or_b64 s[18:19], s[0:1], s[18:19]
	s_andn2_b64 exec, exec, s[18:19]
	s_cbranch_execnz .LBB1141_124
	s_branch .LBB1141_119
.LBB1141_125:                           ;   in Loop: Header=BB1141_121 Depth=1
                                        ; implicit-def: $sgpr21
	s_and_b64 s[8:9], exec, s[0:1]
	s_or_b64 s[4:5], s[8:9], s[4:5]
	s_andn2_b64 exec, exec, s[4:5]
	s_cbranch_execnz .LBB1141_121
.LBB1141_126:
	s_or_b64 exec, exec, s[4:5]
	v_add_u32_e32 v0, v52, v24
	v_or_b32_e32 v0, 0x80000000, v0
	global_store_dword v[4:5], v0, off
	global_load_dword v0, v28, s[12:13]
	v_sub_u32_e32 v1, v52, v22
	s_waitcnt vmcnt(0)
	v_add_u32_e32 v0, v1, v0
	ds_write_b32 v28, v0
.LBB1141_127:
	s_or_b64 exec, exec, s[2:3]
	v_add_u32_e32 v4, v59, v19
	s_movk_i32 s2, 0x400
	v_add_u32_e32 v5, 0x400, v28
	v_add3_u32 v6, v53, v46, v51
	v_add3_u32 v7, v50, v43, v48
	v_add3_u32 v19, v47, v40, v45
	v_add3_u32 v27, v44, v27, v42
	v_add3_u32 v31, v41, v31, v39
	v_add3_u32 v34, v38, v34, v36
	v_add3_u32 v33, v35, v37, v33
	v_add3_u32 v30, v32, v58, v30
	v_add3_u32 v26, v29, v57, v26
	v_add3_u32 v23, v25, v56, v23
	v_add3_u32 v20, v21, v55, v20
	s_mov_b32 s3, 0
	v_mov_b32_e32 v21, s23
	s_movk_i32 s4, 0x800
	s_movk_i32 s5, 0xc00
	v_mov_b32_e32 v1, 0
	v_mov_b32_e32 v25, v2
.LBB1141_128:                           ; =>This Inner Loop Header: Depth=1
	v_add_u32_e32 v0, s3, v4
	v_add_u32_e32 v29, s3, v20
	;; [unrolled: 1-line block ×12, first 2 shown]
	v_min_u32_e32 v0, 0x1000, v0
	v_min_u32_e32 v29, 0x1000, v29
	;; [unrolled: 1-line block ×12, first 2 shown]
	v_lshlrev_b32_e32 v0, 2, v0
	v_lshlrev_b32_e32 v29, 2, v29
	;; [unrolled: 1-line block ×12, first 2 shown]
	ds_write_b32 v0, v3 offset:1024
	ds_write_b32 v29, v8 offset:1024
	;; [unrolled: 1-line block ×12, first 2 shown]
	s_waitcnt lgkmcnt(0)
	s_barrier
	ds_read_b32 v29, v28 offset:1024
	ds_read2st64_b32 v[36:37], v5 offset0:16 offset1:32
	s_addk_i32 s3, 0xf000
	s_cmpk_lg_i32 s3, 0xd000
	s_waitcnt lgkmcnt(1)
	v_lshrrev_b32_e32 v0, s16, v29
	s_waitcnt lgkmcnt(0)
	v_lshrrev_b32_e32 v32, s16, v36
	v_lshrrev_b32_e32 v35, s16, v37
	v_and_b32_e32 v0, s17, v0
	v_and_b32_e32 v32, s17, v32
	;; [unrolled: 1-line block ×3, first 2 shown]
	v_lshlrev_b32_e32 v0, 2, v0
	v_lshlrev_b32_e32 v32, 2, v32
	;; [unrolled: 1-line block ×3, first 2 shown]
	ds_read_b32 v32, v32
	ds_read_b32 v35, v35
	;; [unrolled: 1-line block ×3, first 2 shown]
	ds_read_b32 v42, v5 offset:12288
	s_waitcnt lgkmcnt(1)
	v_add_u32_e32 v0, v25, v0
	v_lshlrev_b64 v[38:39], 2, v[0:1]
	s_waitcnt lgkmcnt(0)
	v_lshrrev_b32_e32 v40, s16, v42
	v_add3_u32 v0, v25, v32, s2
	v_add_co_u32_e64 v38, s[0:1], s22, v38
	v_and_b32_e32 v32, s17, v40
	v_addc_co_u32_e64 v39, s[0:1], v21, v39, s[0:1]
	v_lshlrev_b64 v[40:41], 2, v[0:1]
	v_add3_u32 v0, v25, v35, s4
	v_lshlrev_b32_e32 v32, 2, v32
	global_store_dword v[38:39], v29, off
	v_add_co_u32_e64 v38, s[0:1], s22, v40
	v_addc_co_u32_e64 v39, s[0:1], v21, v41, s[0:1]
	v_lshlrev_b64 v[40:41], 2, v[0:1]
	ds_read_b32 v0, v32
	global_store_dword v[38:39], v36, off
	v_add_co_u32_e64 v38, s[0:1], s22, v40
	v_addc_co_u32_e64 v39, s[0:1], v21, v41, s[0:1]
	s_waitcnt lgkmcnt(0)
	v_add3_u32 v0, v25, v0, s5
	global_store_dword v[38:39], v37, off
	v_lshlrev_b64 v[36:37], 2, v[0:1]
	v_add_co_u32_e64 v36, s[0:1], s22, v36
	v_add_u32_e32 v25, 0x1000, v25
	v_addc_co_u32_e64 v37, s[0:1], v21, v37, s[0:1]
	global_store_dword v[36:37], v42, off
	s_barrier
	s_cbranch_scc1 .LBB1141_128
; %bb.129:
	s_add_i32 s7, s7, -1
	s_cmp_eq_u32 s7, s6
	s_cselect_b64 s[0:1], -1, 0
	s_and_b64 s[2:3], vcc, s[0:1]
                                        ; implicit-def: $vgpr4
	s_and_saveexec_b64 s[0:1], s[2:3]
; %bb.130:
	v_add_u32_e32 v4, v22, v24
	s_or_b64 s[10:11], s[10:11], exec
; %bb.131:
	s_or_b64 exec, exec, s[0:1]
.LBB1141_132:
	s_and_saveexec_b64 s[0:1], s[10:11]
	s_cbranch_execnz .LBB1141_134
; %bb.133:
	s_endpgm
.LBB1141_134:
	v_mov_b32_e32 v3, 0
	v_lshlrev_b32_e32 v5, 2, v2
	v_lshlrev_b64 v[0:1], 2, v[2:3]
	ds_read_b32 v3, v5
	v_mov_b32_e32 v2, s15
	v_add_co_u32_e32 v0, vcc, s14, v0
	v_addc_co_u32_e32 v1, vcc, v2, v1, vcc
	s_waitcnt lgkmcnt(0)
	v_add_u32_e32 v2, v3, v4
	global_store_dword v[0:1], v2, off
	s_endpgm
	.section	.rodata,"a",@progbits
	.p2align	6, 0x0
	.amdhsa_kernel _ZN7rocprim17ROCPRIM_400000_NS6detail17trampoline_kernelINS0_14default_configENS1_35radix_sort_onesweep_config_selectorIjNS0_10empty_typeEEEZZNS1_29radix_sort_onesweep_iterationIS3_Lb0EN6thrust23THRUST_200600_302600_NS6detail15normal_iteratorINS9_10device_ptrIjEEEESE_PS5_SF_jNS0_19identity_decomposerENS1_16block_id_wrapperIjLb0EEEEE10hipError_tT1_PNSt15iterator_traitsISK_E10value_typeET2_T3_PNSL_ISQ_E10value_typeET4_T5_PSV_SW_PNS1_23onesweep_lookback_stateEbbT6_jjT7_P12ihipStream_tbENKUlT_T0_SK_SP_E_clISE_PjSF_SF_EEDaS13_S14_SK_SP_EUlS13_E_NS1_11comp_targetILNS1_3genE4ELNS1_11target_archE910ELNS1_3gpuE8ELNS1_3repE0EEENS1_47radix_sort_onesweep_sort_config_static_selectorELNS0_4arch9wavefront6targetE1EEEvSK_
		.amdhsa_group_segment_fixed_size 20552
		.amdhsa_private_segment_fixed_size 0
		.amdhsa_kernarg_size 344
		.amdhsa_user_sgpr_count 6
		.amdhsa_user_sgpr_private_segment_buffer 1
		.amdhsa_user_sgpr_dispatch_ptr 0
		.amdhsa_user_sgpr_queue_ptr 0
		.amdhsa_user_sgpr_kernarg_segment_ptr 1
		.amdhsa_user_sgpr_dispatch_id 0
		.amdhsa_user_sgpr_flat_scratch_init 0
		.amdhsa_user_sgpr_kernarg_preload_length 0
		.amdhsa_user_sgpr_kernarg_preload_offset 0
		.amdhsa_user_sgpr_private_segment_size 0
		.amdhsa_uses_dynamic_stack 0
		.amdhsa_system_sgpr_private_segment_wavefront_offset 0
		.amdhsa_system_sgpr_workgroup_id_x 1
		.amdhsa_system_sgpr_workgroup_id_y 0
		.amdhsa_system_sgpr_workgroup_id_z 0
		.amdhsa_system_sgpr_workgroup_info 0
		.amdhsa_system_vgpr_workitem_id 2
		.amdhsa_next_free_vgpr 62
		.amdhsa_next_free_sgpr 31
		.amdhsa_accum_offset 64
		.amdhsa_reserve_vcc 1
		.amdhsa_reserve_flat_scratch 0
		.amdhsa_float_round_mode_32 0
		.amdhsa_float_round_mode_16_64 0
		.amdhsa_float_denorm_mode_32 3
		.amdhsa_float_denorm_mode_16_64 3
		.amdhsa_dx10_clamp 1
		.amdhsa_ieee_mode 1
		.amdhsa_fp16_overflow 0
		.amdhsa_tg_split 0
		.amdhsa_exception_fp_ieee_invalid_op 0
		.amdhsa_exception_fp_denorm_src 0
		.amdhsa_exception_fp_ieee_div_zero 0
		.amdhsa_exception_fp_ieee_overflow 0
		.amdhsa_exception_fp_ieee_underflow 0
		.amdhsa_exception_fp_ieee_inexact 0
		.amdhsa_exception_int_div_zero 0
	.end_amdhsa_kernel
	.section	.text._ZN7rocprim17ROCPRIM_400000_NS6detail17trampoline_kernelINS0_14default_configENS1_35radix_sort_onesweep_config_selectorIjNS0_10empty_typeEEEZZNS1_29radix_sort_onesweep_iterationIS3_Lb0EN6thrust23THRUST_200600_302600_NS6detail15normal_iteratorINS9_10device_ptrIjEEEESE_PS5_SF_jNS0_19identity_decomposerENS1_16block_id_wrapperIjLb0EEEEE10hipError_tT1_PNSt15iterator_traitsISK_E10value_typeET2_T3_PNSL_ISQ_E10value_typeET4_T5_PSV_SW_PNS1_23onesweep_lookback_stateEbbT6_jjT7_P12ihipStream_tbENKUlT_T0_SK_SP_E_clISE_PjSF_SF_EEDaS13_S14_SK_SP_EUlS13_E_NS1_11comp_targetILNS1_3genE4ELNS1_11target_archE910ELNS1_3gpuE8ELNS1_3repE0EEENS1_47radix_sort_onesweep_sort_config_static_selectorELNS0_4arch9wavefront6targetE1EEEvSK_,"axG",@progbits,_ZN7rocprim17ROCPRIM_400000_NS6detail17trampoline_kernelINS0_14default_configENS1_35radix_sort_onesweep_config_selectorIjNS0_10empty_typeEEEZZNS1_29radix_sort_onesweep_iterationIS3_Lb0EN6thrust23THRUST_200600_302600_NS6detail15normal_iteratorINS9_10device_ptrIjEEEESE_PS5_SF_jNS0_19identity_decomposerENS1_16block_id_wrapperIjLb0EEEEE10hipError_tT1_PNSt15iterator_traitsISK_E10value_typeET2_T3_PNSL_ISQ_E10value_typeET4_T5_PSV_SW_PNS1_23onesweep_lookback_stateEbbT6_jjT7_P12ihipStream_tbENKUlT_T0_SK_SP_E_clISE_PjSF_SF_EEDaS13_S14_SK_SP_EUlS13_E_NS1_11comp_targetILNS1_3genE4ELNS1_11target_archE910ELNS1_3gpuE8ELNS1_3repE0EEENS1_47radix_sort_onesweep_sort_config_static_selectorELNS0_4arch9wavefront6targetE1EEEvSK_,comdat
.Lfunc_end1141:
	.size	_ZN7rocprim17ROCPRIM_400000_NS6detail17trampoline_kernelINS0_14default_configENS1_35radix_sort_onesweep_config_selectorIjNS0_10empty_typeEEEZZNS1_29radix_sort_onesweep_iterationIS3_Lb0EN6thrust23THRUST_200600_302600_NS6detail15normal_iteratorINS9_10device_ptrIjEEEESE_PS5_SF_jNS0_19identity_decomposerENS1_16block_id_wrapperIjLb0EEEEE10hipError_tT1_PNSt15iterator_traitsISK_E10value_typeET2_T3_PNSL_ISQ_E10value_typeET4_T5_PSV_SW_PNS1_23onesweep_lookback_stateEbbT6_jjT7_P12ihipStream_tbENKUlT_T0_SK_SP_E_clISE_PjSF_SF_EEDaS13_S14_SK_SP_EUlS13_E_NS1_11comp_targetILNS1_3genE4ELNS1_11target_archE910ELNS1_3gpuE8ELNS1_3repE0EEENS1_47radix_sort_onesweep_sort_config_static_selectorELNS0_4arch9wavefront6targetE1EEEvSK_, .Lfunc_end1141-_ZN7rocprim17ROCPRIM_400000_NS6detail17trampoline_kernelINS0_14default_configENS1_35radix_sort_onesweep_config_selectorIjNS0_10empty_typeEEEZZNS1_29radix_sort_onesweep_iterationIS3_Lb0EN6thrust23THRUST_200600_302600_NS6detail15normal_iteratorINS9_10device_ptrIjEEEESE_PS5_SF_jNS0_19identity_decomposerENS1_16block_id_wrapperIjLb0EEEEE10hipError_tT1_PNSt15iterator_traitsISK_E10value_typeET2_T3_PNSL_ISQ_E10value_typeET4_T5_PSV_SW_PNS1_23onesweep_lookback_stateEbbT6_jjT7_P12ihipStream_tbENKUlT_T0_SK_SP_E_clISE_PjSF_SF_EEDaS13_S14_SK_SP_EUlS13_E_NS1_11comp_targetILNS1_3genE4ELNS1_11target_archE910ELNS1_3gpuE8ELNS1_3repE0EEENS1_47radix_sort_onesweep_sort_config_static_selectorELNS0_4arch9wavefront6targetE1EEEvSK_
                                        ; -- End function
	.section	.AMDGPU.csdata,"",@progbits
; Kernel info:
; codeLenInByte = 13916
; NumSgprs: 35
; NumVgprs: 62
; NumAgprs: 0
; TotalNumVgprs: 62
; ScratchSize: 0
; MemoryBound: 0
; FloatMode: 240
; IeeeMode: 1
; LDSByteSize: 20552 bytes/workgroup (compile time only)
; SGPRBlocks: 4
; VGPRBlocks: 7
; NumSGPRsForWavesPerEU: 35
; NumVGPRsForWavesPerEU: 62
; AccumOffset: 64
; Occupancy: 8
; WaveLimiterHint : 1
; COMPUTE_PGM_RSRC2:SCRATCH_EN: 0
; COMPUTE_PGM_RSRC2:USER_SGPR: 6
; COMPUTE_PGM_RSRC2:TRAP_HANDLER: 0
; COMPUTE_PGM_RSRC2:TGID_X_EN: 1
; COMPUTE_PGM_RSRC2:TGID_Y_EN: 0
; COMPUTE_PGM_RSRC2:TGID_Z_EN: 0
; COMPUTE_PGM_RSRC2:TIDIG_COMP_CNT: 2
; COMPUTE_PGM_RSRC3_GFX90A:ACCUM_OFFSET: 15
; COMPUTE_PGM_RSRC3_GFX90A:TG_SPLIT: 0
	.section	.text._ZN7rocprim17ROCPRIM_400000_NS6detail17trampoline_kernelINS0_14default_configENS1_35radix_sort_onesweep_config_selectorIjNS0_10empty_typeEEEZZNS1_29radix_sort_onesweep_iterationIS3_Lb0EN6thrust23THRUST_200600_302600_NS6detail15normal_iteratorINS9_10device_ptrIjEEEESE_PS5_SF_jNS0_19identity_decomposerENS1_16block_id_wrapperIjLb0EEEEE10hipError_tT1_PNSt15iterator_traitsISK_E10value_typeET2_T3_PNSL_ISQ_E10value_typeET4_T5_PSV_SW_PNS1_23onesweep_lookback_stateEbbT6_jjT7_P12ihipStream_tbENKUlT_T0_SK_SP_E_clISE_PjSF_SF_EEDaS13_S14_SK_SP_EUlS13_E_NS1_11comp_targetILNS1_3genE3ELNS1_11target_archE908ELNS1_3gpuE7ELNS1_3repE0EEENS1_47radix_sort_onesweep_sort_config_static_selectorELNS0_4arch9wavefront6targetE1EEEvSK_,"axG",@progbits,_ZN7rocprim17ROCPRIM_400000_NS6detail17trampoline_kernelINS0_14default_configENS1_35radix_sort_onesweep_config_selectorIjNS0_10empty_typeEEEZZNS1_29radix_sort_onesweep_iterationIS3_Lb0EN6thrust23THRUST_200600_302600_NS6detail15normal_iteratorINS9_10device_ptrIjEEEESE_PS5_SF_jNS0_19identity_decomposerENS1_16block_id_wrapperIjLb0EEEEE10hipError_tT1_PNSt15iterator_traitsISK_E10value_typeET2_T3_PNSL_ISQ_E10value_typeET4_T5_PSV_SW_PNS1_23onesweep_lookback_stateEbbT6_jjT7_P12ihipStream_tbENKUlT_T0_SK_SP_E_clISE_PjSF_SF_EEDaS13_S14_SK_SP_EUlS13_E_NS1_11comp_targetILNS1_3genE3ELNS1_11target_archE908ELNS1_3gpuE7ELNS1_3repE0EEENS1_47radix_sort_onesweep_sort_config_static_selectorELNS0_4arch9wavefront6targetE1EEEvSK_,comdat
	.protected	_ZN7rocprim17ROCPRIM_400000_NS6detail17trampoline_kernelINS0_14default_configENS1_35radix_sort_onesweep_config_selectorIjNS0_10empty_typeEEEZZNS1_29radix_sort_onesweep_iterationIS3_Lb0EN6thrust23THRUST_200600_302600_NS6detail15normal_iteratorINS9_10device_ptrIjEEEESE_PS5_SF_jNS0_19identity_decomposerENS1_16block_id_wrapperIjLb0EEEEE10hipError_tT1_PNSt15iterator_traitsISK_E10value_typeET2_T3_PNSL_ISQ_E10value_typeET4_T5_PSV_SW_PNS1_23onesweep_lookback_stateEbbT6_jjT7_P12ihipStream_tbENKUlT_T0_SK_SP_E_clISE_PjSF_SF_EEDaS13_S14_SK_SP_EUlS13_E_NS1_11comp_targetILNS1_3genE3ELNS1_11target_archE908ELNS1_3gpuE7ELNS1_3repE0EEENS1_47radix_sort_onesweep_sort_config_static_selectorELNS0_4arch9wavefront6targetE1EEEvSK_ ; -- Begin function _ZN7rocprim17ROCPRIM_400000_NS6detail17trampoline_kernelINS0_14default_configENS1_35radix_sort_onesweep_config_selectorIjNS0_10empty_typeEEEZZNS1_29radix_sort_onesweep_iterationIS3_Lb0EN6thrust23THRUST_200600_302600_NS6detail15normal_iteratorINS9_10device_ptrIjEEEESE_PS5_SF_jNS0_19identity_decomposerENS1_16block_id_wrapperIjLb0EEEEE10hipError_tT1_PNSt15iterator_traitsISK_E10value_typeET2_T3_PNSL_ISQ_E10value_typeET4_T5_PSV_SW_PNS1_23onesweep_lookback_stateEbbT6_jjT7_P12ihipStream_tbENKUlT_T0_SK_SP_E_clISE_PjSF_SF_EEDaS13_S14_SK_SP_EUlS13_E_NS1_11comp_targetILNS1_3genE3ELNS1_11target_archE908ELNS1_3gpuE7ELNS1_3repE0EEENS1_47radix_sort_onesweep_sort_config_static_selectorELNS0_4arch9wavefront6targetE1EEEvSK_
	.globl	_ZN7rocprim17ROCPRIM_400000_NS6detail17trampoline_kernelINS0_14default_configENS1_35radix_sort_onesweep_config_selectorIjNS0_10empty_typeEEEZZNS1_29radix_sort_onesweep_iterationIS3_Lb0EN6thrust23THRUST_200600_302600_NS6detail15normal_iteratorINS9_10device_ptrIjEEEESE_PS5_SF_jNS0_19identity_decomposerENS1_16block_id_wrapperIjLb0EEEEE10hipError_tT1_PNSt15iterator_traitsISK_E10value_typeET2_T3_PNSL_ISQ_E10value_typeET4_T5_PSV_SW_PNS1_23onesweep_lookback_stateEbbT6_jjT7_P12ihipStream_tbENKUlT_T0_SK_SP_E_clISE_PjSF_SF_EEDaS13_S14_SK_SP_EUlS13_E_NS1_11comp_targetILNS1_3genE3ELNS1_11target_archE908ELNS1_3gpuE7ELNS1_3repE0EEENS1_47radix_sort_onesweep_sort_config_static_selectorELNS0_4arch9wavefront6targetE1EEEvSK_
	.p2align	8
	.type	_ZN7rocprim17ROCPRIM_400000_NS6detail17trampoline_kernelINS0_14default_configENS1_35radix_sort_onesweep_config_selectorIjNS0_10empty_typeEEEZZNS1_29radix_sort_onesweep_iterationIS3_Lb0EN6thrust23THRUST_200600_302600_NS6detail15normal_iteratorINS9_10device_ptrIjEEEESE_PS5_SF_jNS0_19identity_decomposerENS1_16block_id_wrapperIjLb0EEEEE10hipError_tT1_PNSt15iterator_traitsISK_E10value_typeET2_T3_PNSL_ISQ_E10value_typeET4_T5_PSV_SW_PNS1_23onesweep_lookback_stateEbbT6_jjT7_P12ihipStream_tbENKUlT_T0_SK_SP_E_clISE_PjSF_SF_EEDaS13_S14_SK_SP_EUlS13_E_NS1_11comp_targetILNS1_3genE3ELNS1_11target_archE908ELNS1_3gpuE7ELNS1_3repE0EEENS1_47radix_sort_onesweep_sort_config_static_selectorELNS0_4arch9wavefront6targetE1EEEvSK_,@function
_ZN7rocprim17ROCPRIM_400000_NS6detail17trampoline_kernelINS0_14default_configENS1_35radix_sort_onesweep_config_selectorIjNS0_10empty_typeEEEZZNS1_29radix_sort_onesweep_iterationIS3_Lb0EN6thrust23THRUST_200600_302600_NS6detail15normal_iteratorINS9_10device_ptrIjEEEESE_PS5_SF_jNS0_19identity_decomposerENS1_16block_id_wrapperIjLb0EEEEE10hipError_tT1_PNSt15iterator_traitsISK_E10value_typeET2_T3_PNSL_ISQ_E10value_typeET4_T5_PSV_SW_PNS1_23onesweep_lookback_stateEbbT6_jjT7_P12ihipStream_tbENKUlT_T0_SK_SP_E_clISE_PjSF_SF_EEDaS13_S14_SK_SP_EUlS13_E_NS1_11comp_targetILNS1_3genE3ELNS1_11target_archE908ELNS1_3gpuE7ELNS1_3repE0EEENS1_47radix_sort_onesweep_sort_config_static_selectorELNS0_4arch9wavefront6targetE1EEEvSK_: ; @_ZN7rocprim17ROCPRIM_400000_NS6detail17trampoline_kernelINS0_14default_configENS1_35radix_sort_onesweep_config_selectorIjNS0_10empty_typeEEEZZNS1_29radix_sort_onesweep_iterationIS3_Lb0EN6thrust23THRUST_200600_302600_NS6detail15normal_iteratorINS9_10device_ptrIjEEEESE_PS5_SF_jNS0_19identity_decomposerENS1_16block_id_wrapperIjLb0EEEEE10hipError_tT1_PNSt15iterator_traitsISK_E10value_typeET2_T3_PNSL_ISQ_E10value_typeET4_T5_PSV_SW_PNS1_23onesweep_lookback_stateEbbT6_jjT7_P12ihipStream_tbENKUlT_T0_SK_SP_E_clISE_PjSF_SF_EEDaS13_S14_SK_SP_EUlS13_E_NS1_11comp_targetILNS1_3genE3ELNS1_11target_archE908ELNS1_3gpuE7ELNS1_3repE0EEENS1_47radix_sort_onesweep_sort_config_static_selectorELNS0_4arch9wavefront6targetE1EEEvSK_
; %bb.0:
	.section	.rodata,"a",@progbits
	.p2align	6, 0x0
	.amdhsa_kernel _ZN7rocprim17ROCPRIM_400000_NS6detail17trampoline_kernelINS0_14default_configENS1_35radix_sort_onesweep_config_selectorIjNS0_10empty_typeEEEZZNS1_29radix_sort_onesweep_iterationIS3_Lb0EN6thrust23THRUST_200600_302600_NS6detail15normal_iteratorINS9_10device_ptrIjEEEESE_PS5_SF_jNS0_19identity_decomposerENS1_16block_id_wrapperIjLb0EEEEE10hipError_tT1_PNSt15iterator_traitsISK_E10value_typeET2_T3_PNSL_ISQ_E10value_typeET4_T5_PSV_SW_PNS1_23onesweep_lookback_stateEbbT6_jjT7_P12ihipStream_tbENKUlT_T0_SK_SP_E_clISE_PjSF_SF_EEDaS13_S14_SK_SP_EUlS13_E_NS1_11comp_targetILNS1_3genE3ELNS1_11target_archE908ELNS1_3gpuE7ELNS1_3repE0EEENS1_47radix_sort_onesweep_sort_config_static_selectorELNS0_4arch9wavefront6targetE1EEEvSK_
		.amdhsa_group_segment_fixed_size 0
		.amdhsa_private_segment_fixed_size 0
		.amdhsa_kernarg_size 88
		.amdhsa_user_sgpr_count 6
		.amdhsa_user_sgpr_private_segment_buffer 1
		.amdhsa_user_sgpr_dispatch_ptr 0
		.amdhsa_user_sgpr_queue_ptr 0
		.amdhsa_user_sgpr_kernarg_segment_ptr 1
		.amdhsa_user_sgpr_dispatch_id 0
		.amdhsa_user_sgpr_flat_scratch_init 0
		.amdhsa_user_sgpr_kernarg_preload_length 0
		.amdhsa_user_sgpr_kernarg_preload_offset 0
		.amdhsa_user_sgpr_private_segment_size 0
		.amdhsa_uses_dynamic_stack 0
		.amdhsa_system_sgpr_private_segment_wavefront_offset 0
		.amdhsa_system_sgpr_workgroup_id_x 1
		.amdhsa_system_sgpr_workgroup_id_y 0
		.amdhsa_system_sgpr_workgroup_id_z 0
		.amdhsa_system_sgpr_workgroup_info 0
		.amdhsa_system_vgpr_workitem_id 0
		.amdhsa_next_free_vgpr 1
		.amdhsa_next_free_sgpr 0
		.amdhsa_accum_offset 4
		.amdhsa_reserve_vcc 0
		.amdhsa_reserve_flat_scratch 0
		.amdhsa_float_round_mode_32 0
		.amdhsa_float_round_mode_16_64 0
		.amdhsa_float_denorm_mode_32 3
		.amdhsa_float_denorm_mode_16_64 3
		.amdhsa_dx10_clamp 1
		.amdhsa_ieee_mode 1
		.amdhsa_fp16_overflow 0
		.amdhsa_tg_split 0
		.amdhsa_exception_fp_ieee_invalid_op 0
		.amdhsa_exception_fp_denorm_src 0
		.amdhsa_exception_fp_ieee_div_zero 0
		.amdhsa_exception_fp_ieee_overflow 0
		.amdhsa_exception_fp_ieee_underflow 0
		.amdhsa_exception_fp_ieee_inexact 0
		.amdhsa_exception_int_div_zero 0
	.end_amdhsa_kernel
	.section	.text._ZN7rocprim17ROCPRIM_400000_NS6detail17trampoline_kernelINS0_14default_configENS1_35radix_sort_onesweep_config_selectorIjNS0_10empty_typeEEEZZNS1_29radix_sort_onesweep_iterationIS3_Lb0EN6thrust23THRUST_200600_302600_NS6detail15normal_iteratorINS9_10device_ptrIjEEEESE_PS5_SF_jNS0_19identity_decomposerENS1_16block_id_wrapperIjLb0EEEEE10hipError_tT1_PNSt15iterator_traitsISK_E10value_typeET2_T3_PNSL_ISQ_E10value_typeET4_T5_PSV_SW_PNS1_23onesweep_lookback_stateEbbT6_jjT7_P12ihipStream_tbENKUlT_T0_SK_SP_E_clISE_PjSF_SF_EEDaS13_S14_SK_SP_EUlS13_E_NS1_11comp_targetILNS1_3genE3ELNS1_11target_archE908ELNS1_3gpuE7ELNS1_3repE0EEENS1_47radix_sort_onesweep_sort_config_static_selectorELNS0_4arch9wavefront6targetE1EEEvSK_,"axG",@progbits,_ZN7rocprim17ROCPRIM_400000_NS6detail17trampoline_kernelINS0_14default_configENS1_35radix_sort_onesweep_config_selectorIjNS0_10empty_typeEEEZZNS1_29radix_sort_onesweep_iterationIS3_Lb0EN6thrust23THRUST_200600_302600_NS6detail15normal_iteratorINS9_10device_ptrIjEEEESE_PS5_SF_jNS0_19identity_decomposerENS1_16block_id_wrapperIjLb0EEEEE10hipError_tT1_PNSt15iterator_traitsISK_E10value_typeET2_T3_PNSL_ISQ_E10value_typeET4_T5_PSV_SW_PNS1_23onesweep_lookback_stateEbbT6_jjT7_P12ihipStream_tbENKUlT_T0_SK_SP_E_clISE_PjSF_SF_EEDaS13_S14_SK_SP_EUlS13_E_NS1_11comp_targetILNS1_3genE3ELNS1_11target_archE908ELNS1_3gpuE7ELNS1_3repE0EEENS1_47radix_sort_onesweep_sort_config_static_selectorELNS0_4arch9wavefront6targetE1EEEvSK_,comdat
.Lfunc_end1142:
	.size	_ZN7rocprim17ROCPRIM_400000_NS6detail17trampoline_kernelINS0_14default_configENS1_35radix_sort_onesweep_config_selectorIjNS0_10empty_typeEEEZZNS1_29radix_sort_onesweep_iterationIS3_Lb0EN6thrust23THRUST_200600_302600_NS6detail15normal_iteratorINS9_10device_ptrIjEEEESE_PS5_SF_jNS0_19identity_decomposerENS1_16block_id_wrapperIjLb0EEEEE10hipError_tT1_PNSt15iterator_traitsISK_E10value_typeET2_T3_PNSL_ISQ_E10value_typeET4_T5_PSV_SW_PNS1_23onesweep_lookback_stateEbbT6_jjT7_P12ihipStream_tbENKUlT_T0_SK_SP_E_clISE_PjSF_SF_EEDaS13_S14_SK_SP_EUlS13_E_NS1_11comp_targetILNS1_3genE3ELNS1_11target_archE908ELNS1_3gpuE7ELNS1_3repE0EEENS1_47radix_sort_onesweep_sort_config_static_selectorELNS0_4arch9wavefront6targetE1EEEvSK_, .Lfunc_end1142-_ZN7rocprim17ROCPRIM_400000_NS6detail17trampoline_kernelINS0_14default_configENS1_35radix_sort_onesweep_config_selectorIjNS0_10empty_typeEEEZZNS1_29radix_sort_onesweep_iterationIS3_Lb0EN6thrust23THRUST_200600_302600_NS6detail15normal_iteratorINS9_10device_ptrIjEEEESE_PS5_SF_jNS0_19identity_decomposerENS1_16block_id_wrapperIjLb0EEEEE10hipError_tT1_PNSt15iterator_traitsISK_E10value_typeET2_T3_PNSL_ISQ_E10value_typeET4_T5_PSV_SW_PNS1_23onesweep_lookback_stateEbbT6_jjT7_P12ihipStream_tbENKUlT_T0_SK_SP_E_clISE_PjSF_SF_EEDaS13_S14_SK_SP_EUlS13_E_NS1_11comp_targetILNS1_3genE3ELNS1_11target_archE908ELNS1_3gpuE7ELNS1_3repE0EEENS1_47radix_sort_onesweep_sort_config_static_selectorELNS0_4arch9wavefront6targetE1EEEvSK_
                                        ; -- End function
	.section	.AMDGPU.csdata,"",@progbits
; Kernel info:
; codeLenInByte = 0
; NumSgprs: 4
; NumVgprs: 0
; NumAgprs: 0
; TotalNumVgprs: 0
; ScratchSize: 0
; MemoryBound: 0
; FloatMode: 240
; IeeeMode: 1
; LDSByteSize: 0 bytes/workgroup (compile time only)
; SGPRBlocks: 0
; VGPRBlocks: 0
; NumSGPRsForWavesPerEU: 4
; NumVGPRsForWavesPerEU: 1
; AccumOffset: 4
; Occupancy: 8
; WaveLimiterHint : 0
; COMPUTE_PGM_RSRC2:SCRATCH_EN: 0
; COMPUTE_PGM_RSRC2:USER_SGPR: 6
; COMPUTE_PGM_RSRC2:TRAP_HANDLER: 0
; COMPUTE_PGM_RSRC2:TGID_X_EN: 1
; COMPUTE_PGM_RSRC2:TGID_Y_EN: 0
; COMPUTE_PGM_RSRC2:TGID_Z_EN: 0
; COMPUTE_PGM_RSRC2:TIDIG_COMP_CNT: 0
; COMPUTE_PGM_RSRC3_GFX90A:ACCUM_OFFSET: 0
; COMPUTE_PGM_RSRC3_GFX90A:TG_SPLIT: 0
	.section	.text._ZN7rocprim17ROCPRIM_400000_NS6detail17trampoline_kernelINS0_14default_configENS1_35radix_sort_onesweep_config_selectorIjNS0_10empty_typeEEEZZNS1_29radix_sort_onesweep_iterationIS3_Lb0EN6thrust23THRUST_200600_302600_NS6detail15normal_iteratorINS9_10device_ptrIjEEEESE_PS5_SF_jNS0_19identity_decomposerENS1_16block_id_wrapperIjLb0EEEEE10hipError_tT1_PNSt15iterator_traitsISK_E10value_typeET2_T3_PNSL_ISQ_E10value_typeET4_T5_PSV_SW_PNS1_23onesweep_lookback_stateEbbT6_jjT7_P12ihipStream_tbENKUlT_T0_SK_SP_E_clISE_PjSF_SF_EEDaS13_S14_SK_SP_EUlS13_E_NS1_11comp_targetILNS1_3genE10ELNS1_11target_archE1201ELNS1_3gpuE5ELNS1_3repE0EEENS1_47radix_sort_onesweep_sort_config_static_selectorELNS0_4arch9wavefront6targetE1EEEvSK_,"axG",@progbits,_ZN7rocprim17ROCPRIM_400000_NS6detail17trampoline_kernelINS0_14default_configENS1_35radix_sort_onesweep_config_selectorIjNS0_10empty_typeEEEZZNS1_29radix_sort_onesweep_iterationIS3_Lb0EN6thrust23THRUST_200600_302600_NS6detail15normal_iteratorINS9_10device_ptrIjEEEESE_PS5_SF_jNS0_19identity_decomposerENS1_16block_id_wrapperIjLb0EEEEE10hipError_tT1_PNSt15iterator_traitsISK_E10value_typeET2_T3_PNSL_ISQ_E10value_typeET4_T5_PSV_SW_PNS1_23onesweep_lookback_stateEbbT6_jjT7_P12ihipStream_tbENKUlT_T0_SK_SP_E_clISE_PjSF_SF_EEDaS13_S14_SK_SP_EUlS13_E_NS1_11comp_targetILNS1_3genE10ELNS1_11target_archE1201ELNS1_3gpuE5ELNS1_3repE0EEENS1_47radix_sort_onesweep_sort_config_static_selectorELNS0_4arch9wavefront6targetE1EEEvSK_,comdat
	.protected	_ZN7rocprim17ROCPRIM_400000_NS6detail17trampoline_kernelINS0_14default_configENS1_35radix_sort_onesweep_config_selectorIjNS0_10empty_typeEEEZZNS1_29radix_sort_onesweep_iterationIS3_Lb0EN6thrust23THRUST_200600_302600_NS6detail15normal_iteratorINS9_10device_ptrIjEEEESE_PS5_SF_jNS0_19identity_decomposerENS1_16block_id_wrapperIjLb0EEEEE10hipError_tT1_PNSt15iterator_traitsISK_E10value_typeET2_T3_PNSL_ISQ_E10value_typeET4_T5_PSV_SW_PNS1_23onesweep_lookback_stateEbbT6_jjT7_P12ihipStream_tbENKUlT_T0_SK_SP_E_clISE_PjSF_SF_EEDaS13_S14_SK_SP_EUlS13_E_NS1_11comp_targetILNS1_3genE10ELNS1_11target_archE1201ELNS1_3gpuE5ELNS1_3repE0EEENS1_47radix_sort_onesweep_sort_config_static_selectorELNS0_4arch9wavefront6targetE1EEEvSK_ ; -- Begin function _ZN7rocprim17ROCPRIM_400000_NS6detail17trampoline_kernelINS0_14default_configENS1_35radix_sort_onesweep_config_selectorIjNS0_10empty_typeEEEZZNS1_29radix_sort_onesweep_iterationIS3_Lb0EN6thrust23THRUST_200600_302600_NS6detail15normal_iteratorINS9_10device_ptrIjEEEESE_PS5_SF_jNS0_19identity_decomposerENS1_16block_id_wrapperIjLb0EEEEE10hipError_tT1_PNSt15iterator_traitsISK_E10value_typeET2_T3_PNSL_ISQ_E10value_typeET4_T5_PSV_SW_PNS1_23onesweep_lookback_stateEbbT6_jjT7_P12ihipStream_tbENKUlT_T0_SK_SP_E_clISE_PjSF_SF_EEDaS13_S14_SK_SP_EUlS13_E_NS1_11comp_targetILNS1_3genE10ELNS1_11target_archE1201ELNS1_3gpuE5ELNS1_3repE0EEENS1_47radix_sort_onesweep_sort_config_static_selectorELNS0_4arch9wavefront6targetE1EEEvSK_
	.globl	_ZN7rocprim17ROCPRIM_400000_NS6detail17trampoline_kernelINS0_14default_configENS1_35radix_sort_onesweep_config_selectorIjNS0_10empty_typeEEEZZNS1_29radix_sort_onesweep_iterationIS3_Lb0EN6thrust23THRUST_200600_302600_NS6detail15normal_iteratorINS9_10device_ptrIjEEEESE_PS5_SF_jNS0_19identity_decomposerENS1_16block_id_wrapperIjLb0EEEEE10hipError_tT1_PNSt15iterator_traitsISK_E10value_typeET2_T3_PNSL_ISQ_E10value_typeET4_T5_PSV_SW_PNS1_23onesweep_lookback_stateEbbT6_jjT7_P12ihipStream_tbENKUlT_T0_SK_SP_E_clISE_PjSF_SF_EEDaS13_S14_SK_SP_EUlS13_E_NS1_11comp_targetILNS1_3genE10ELNS1_11target_archE1201ELNS1_3gpuE5ELNS1_3repE0EEENS1_47radix_sort_onesweep_sort_config_static_selectorELNS0_4arch9wavefront6targetE1EEEvSK_
	.p2align	8
	.type	_ZN7rocprim17ROCPRIM_400000_NS6detail17trampoline_kernelINS0_14default_configENS1_35radix_sort_onesweep_config_selectorIjNS0_10empty_typeEEEZZNS1_29radix_sort_onesweep_iterationIS3_Lb0EN6thrust23THRUST_200600_302600_NS6detail15normal_iteratorINS9_10device_ptrIjEEEESE_PS5_SF_jNS0_19identity_decomposerENS1_16block_id_wrapperIjLb0EEEEE10hipError_tT1_PNSt15iterator_traitsISK_E10value_typeET2_T3_PNSL_ISQ_E10value_typeET4_T5_PSV_SW_PNS1_23onesweep_lookback_stateEbbT6_jjT7_P12ihipStream_tbENKUlT_T0_SK_SP_E_clISE_PjSF_SF_EEDaS13_S14_SK_SP_EUlS13_E_NS1_11comp_targetILNS1_3genE10ELNS1_11target_archE1201ELNS1_3gpuE5ELNS1_3repE0EEENS1_47radix_sort_onesweep_sort_config_static_selectorELNS0_4arch9wavefront6targetE1EEEvSK_,@function
_ZN7rocprim17ROCPRIM_400000_NS6detail17trampoline_kernelINS0_14default_configENS1_35radix_sort_onesweep_config_selectorIjNS0_10empty_typeEEEZZNS1_29radix_sort_onesweep_iterationIS3_Lb0EN6thrust23THRUST_200600_302600_NS6detail15normal_iteratorINS9_10device_ptrIjEEEESE_PS5_SF_jNS0_19identity_decomposerENS1_16block_id_wrapperIjLb0EEEEE10hipError_tT1_PNSt15iterator_traitsISK_E10value_typeET2_T3_PNSL_ISQ_E10value_typeET4_T5_PSV_SW_PNS1_23onesweep_lookback_stateEbbT6_jjT7_P12ihipStream_tbENKUlT_T0_SK_SP_E_clISE_PjSF_SF_EEDaS13_S14_SK_SP_EUlS13_E_NS1_11comp_targetILNS1_3genE10ELNS1_11target_archE1201ELNS1_3gpuE5ELNS1_3repE0EEENS1_47radix_sort_onesweep_sort_config_static_selectorELNS0_4arch9wavefront6targetE1EEEvSK_: ; @_ZN7rocprim17ROCPRIM_400000_NS6detail17trampoline_kernelINS0_14default_configENS1_35radix_sort_onesweep_config_selectorIjNS0_10empty_typeEEEZZNS1_29radix_sort_onesweep_iterationIS3_Lb0EN6thrust23THRUST_200600_302600_NS6detail15normal_iteratorINS9_10device_ptrIjEEEESE_PS5_SF_jNS0_19identity_decomposerENS1_16block_id_wrapperIjLb0EEEEE10hipError_tT1_PNSt15iterator_traitsISK_E10value_typeET2_T3_PNSL_ISQ_E10value_typeET4_T5_PSV_SW_PNS1_23onesweep_lookback_stateEbbT6_jjT7_P12ihipStream_tbENKUlT_T0_SK_SP_E_clISE_PjSF_SF_EEDaS13_S14_SK_SP_EUlS13_E_NS1_11comp_targetILNS1_3genE10ELNS1_11target_archE1201ELNS1_3gpuE5ELNS1_3repE0EEENS1_47radix_sort_onesweep_sort_config_static_selectorELNS0_4arch9wavefront6targetE1EEEvSK_
; %bb.0:
	.section	.rodata,"a",@progbits
	.p2align	6, 0x0
	.amdhsa_kernel _ZN7rocprim17ROCPRIM_400000_NS6detail17trampoline_kernelINS0_14default_configENS1_35radix_sort_onesweep_config_selectorIjNS0_10empty_typeEEEZZNS1_29radix_sort_onesweep_iterationIS3_Lb0EN6thrust23THRUST_200600_302600_NS6detail15normal_iteratorINS9_10device_ptrIjEEEESE_PS5_SF_jNS0_19identity_decomposerENS1_16block_id_wrapperIjLb0EEEEE10hipError_tT1_PNSt15iterator_traitsISK_E10value_typeET2_T3_PNSL_ISQ_E10value_typeET4_T5_PSV_SW_PNS1_23onesweep_lookback_stateEbbT6_jjT7_P12ihipStream_tbENKUlT_T0_SK_SP_E_clISE_PjSF_SF_EEDaS13_S14_SK_SP_EUlS13_E_NS1_11comp_targetILNS1_3genE10ELNS1_11target_archE1201ELNS1_3gpuE5ELNS1_3repE0EEENS1_47radix_sort_onesweep_sort_config_static_selectorELNS0_4arch9wavefront6targetE1EEEvSK_
		.amdhsa_group_segment_fixed_size 0
		.amdhsa_private_segment_fixed_size 0
		.amdhsa_kernarg_size 88
		.amdhsa_user_sgpr_count 6
		.amdhsa_user_sgpr_private_segment_buffer 1
		.amdhsa_user_sgpr_dispatch_ptr 0
		.amdhsa_user_sgpr_queue_ptr 0
		.amdhsa_user_sgpr_kernarg_segment_ptr 1
		.amdhsa_user_sgpr_dispatch_id 0
		.amdhsa_user_sgpr_flat_scratch_init 0
		.amdhsa_user_sgpr_kernarg_preload_length 0
		.amdhsa_user_sgpr_kernarg_preload_offset 0
		.amdhsa_user_sgpr_private_segment_size 0
		.amdhsa_uses_dynamic_stack 0
		.amdhsa_system_sgpr_private_segment_wavefront_offset 0
		.amdhsa_system_sgpr_workgroup_id_x 1
		.amdhsa_system_sgpr_workgroup_id_y 0
		.amdhsa_system_sgpr_workgroup_id_z 0
		.amdhsa_system_sgpr_workgroup_info 0
		.amdhsa_system_vgpr_workitem_id 0
		.amdhsa_next_free_vgpr 1
		.amdhsa_next_free_sgpr 0
		.amdhsa_accum_offset 4
		.amdhsa_reserve_vcc 0
		.amdhsa_reserve_flat_scratch 0
		.amdhsa_float_round_mode_32 0
		.amdhsa_float_round_mode_16_64 0
		.amdhsa_float_denorm_mode_32 3
		.amdhsa_float_denorm_mode_16_64 3
		.amdhsa_dx10_clamp 1
		.amdhsa_ieee_mode 1
		.amdhsa_fp16_overflow 0
		.amdhsa_tg_split 0
		.amdhsa_exception_fp_ieee_invalid_op 0
		.amdhsa_exception_fp_denorm_src 0
		.amdhsa_exception_fp_ieee_div_zero 0
		.amdhsa_exception_fp_ieee_overflow 0
		.amdhsa_exception_fp_ieee_underflow 0
		.amdhsa_exception_fp_ieee_inexact 0
		.amdhsa_exception_int_div_zero 0
	.end_amdhsa_kernel
	.section	.text._ZN7rocprim17ROCPRIM_400000_NS6detail17trampoline_kernelINS0_14default_configENS1_35radix_sort_onesweep_config_selectorIjNS0_10empty_typeEEEZZNS1_29radix_sort_onesweep_iterationIS3_Lb0EN6thrust23THRUST_200600_302600_NS6detail15normal_iteratorINS9_10device_ptrIjEEEESE_PS5_SF_jNS0_19identity_decomposerENS1_16block_id_wrapperIjLb0EEEEE10hipError_tT1_PNSt15iterator_traitsISK_E10value_typeET2_T3_PNSL_ISQ_E10value_typeET4_T5_PSV_SW_PNS1_23onesweep_lookback_stateEbbT6_jjT7_P12ihipStream_tbENKUlT_T0_SK_SP_E_clISE_PjSF_SF_EEDaS13_S14_SK_SP_EUlS13_E_NS1_11comp_targetILNS1_3genE10ELNS1_11target_archE1201ELNS1_3gpuE5ELNS1_3repE0EEENS1_47radix_sort_onesweep_sort_config_static_selectorELNS0_4arch9wavefront6targetE1EEEvSK_,"axG",@progbits,_ZN7rocprim17ROCPRIM_400000_NS6detail17trampoline_kernelINS0_14default_configENS1_35radix_sort_onesweep_config_selectorIjNS0_10empty_typeEEEZZNS1_29radix_sort_onesweep_iterationIS3_Lb0EN6thrust23THRUST_200600_302600_NS6detail15normal_iteratorINS9_10device_ptrIjEEEESE_PS5_SF_jNS0_19identity_decomposerENS1_16block_id_wrapperIjLb0EEEEE10hipError_tT1_PNSt15iterator_traitsISK_E10value_typeET2_T3_PNSL_ISQ_E10value_typeET4_T5_PSV_SW_PNS1_23onesweep_lookback_stateEbbT6_jjT7_P12ihipStream_tbENKUlT_T0_SK_SP_E_clISE_PjSF_SF_EEDaS13_S14_SK_SP_EUlS13_E_NS1_11comp_targetILNS1_3genE10ELNS1_11target_archE1201ELNS1_3gpuE5ELNS1_3repE0EEENS1_47radix_sort_onesweep_sort_config_static_selectorELNS0_4arch9wavefront6targetE1EEEvSK_,comdat
.Lfunc_end1143:
	.size	_ZN7rocprim17ROCPRIM_400000_NS6detail17trampoline_kernelINS0_14default_configENS1_35radix_sort_onesweep_config_selectorIjNS0_10empty_typeEEEZZNS1_29radix_sort_onesweep_iterationIS3_Lb0EN6thrust23THRUST_200600_302600_NS6detail15normal_iteratorINS9_10device_ptrIjEEEESE_PS5_SF_jNS0_19identity_decomposerENS1_16block_id_wrapperIjLb0EEEEE10hipError_tT1_PNSt15iterator_traitsISK_E10value_typeET2_T3_PNSL_ISQ_E10value_typeET4_T5_PSV_SW_PNS1_23onesweep_lookback_stateEbbT6_jjT7_P12ihipStream_tbENKUlT_T0_SK_SP_E_clISE_PjSF_SF_EEDaS13_S14_SK_SP_EUlS13_E_NS1_11comp_targetILNS1_3genE10ELNS1_11target_archE1201ELNS1_3gpuE5ELNS1_3repE0EEENS1_47radix_sort_onesweep_sort_config_static_selectorELNS0_4arch9wavefront6targetE1EEEvSK_, .Lfunc_end1143-_ZN7rocprim17ROCPRIM_400000_NS6detail17trampoline_kernelINS0_14default_configENS1_35radix_sort_onesweep_config_selectorIjNS0_10empty_typeEEEZZNS1_29radix_sort_onesweep_iterationIS3_Lb0EN6thrust23THRUST_200600_302600_NS6detail15normal_iteratorINS9_10device_ptrIjEEEESE_PS5_SF_jNS0_19identity_decomposerENS1_16block_id_wrapperIjLb0EEEEE10hipError_tT1_PNSt15iterator_traitsISK_E10value_typeET2_T3_PNSL_ISQ_E10value_typeET4_T5_PSV_SW_PNS1_23onesweep_lookback_stateEbbT6_jjT7_P12ihipStream_tbENKUlT_T0_SK_SP_E_clISE_PjSF_SF_EEDaS13_S14_SK_SP_EUlS13_E_NS1_11comp_targetILNS1_3genE10ELNS1_11target_archE1201ELNS1_3gpuE5ELNS1_3repE0EEENS1_47radix_sort_onesweep_sort_config_static_selectorELNS0_4arch9wavefront6targetE1EEEvSK_
                                        ; -- End function
	.section	.AMDGPU.csdata,"",@progbits
; Kernel info:
; codeLenInByte = 0
; NumSgprs: 4
; NumVgprs: 0
; NumAgprs: 0
; TotalNumVgprs: 0
; ScratchSize: 0
; MemoryBound: 0
; FloatMode: 240
; IeeeMode: 1
; LDSByteSize: 0 bytes/workgroup (compile time only)
; SGPRBlocks: 0
; VGPRBlocks: 0
; NumSGPRsForWavesPerEU: 4
; NumVGPRsForWavesPerEU: 1
; AccumOffset: 4
; Occupancy: 8
; WaveLimiterHint : 0
; COMPUTE_PGM_RSRC2:SCRATCH_EN: 0
; COMPUTE_PGM_RSRC2:USER_SGPR: 6
; COMPUTE_PGM_RSRC2:TRAP_HANDLER: 0
; COMPUTE_PGM_RSRC2:TGID_X_EN: 1
; COMPUTE_PGM_RSRC2:TGID_Y_EN: 0
; COMPUTE_PGM_RSRC2:TGID_Z_EN: 0
; COMPUTE_PGM_RSRC2:TIDIG_COMP_CNT: 0
; COMPUTE_PGM_RSRC3_GFX90A:ACCUM_OFFSET: 0
; COMPUTE_PGM_RSRC3_GFX90A:TG_SPLIT: 0
	.section	.text._ZN7rocprim17ROCPRIM_400000_NS6detail17trampoline_kernelINS0_14default_configENS1_35radix_sort_onesweep_config_selectorIjNS0_10empty_typeEEEZZNS1_29radix_sort_onesweep_iterationIS3_Lb0EN6thrust23THRUST_200600_302600_NS6detail15normal_iteratorINS9_10device_ptrIjEEEESE_PS5_SF_jNS0_19identity_decomposerENS1_16block_id_wrapperIjLb0EEEEE10hipError_tT1_PNSt15iterator_traitsISK_E10value_typeET2_T3_PNSL_ISQ_E10value_typeET4_T5_PSV_SW_PNS1_23onesweep_lookback_stateEbbT6_jjT7_P12ihipStream_tbENKUlT_T0_SK_SP_E_clISE_PjSF_SF_EEDaS13_S14_SK_SP_EUlS13_E_NS1_11comp_targetILNS1_3genE9ELNS1_11target_archE1100ELNS1_3gpuE3ELNS1_3repE0EEENS1_47radix_sort_onesweep_sort_config_static_selectorELNS0_4arch9wavefront6targetE1EEEvSK_,"axG",@progbits,_ZN7rocprim17ROCPRIM_400000_NS6detail17trampoline_kernelINS0_14default_configENS1_35radix_sort_onesweep_config_selectorIjNS0_10empty_typeEEEZZNS1_29radix_sort_onesweep_iterationIS3_Lb0EN6thrust23THRUST_200600_302600_NS6detail15normal_iteratorINS9_10device_ptrIjEEEESE_PS5_SF_jNS0_19identity_decomposerENS1_16block_id_wrapperIjLb0EEEEE10hipError_tT1_PNSt15iterator_traitsISK_E10value_typeET2_T3_PNSL_ISQ_E10value_typeET4_T5_PSV_SW_PNS1_23onesweep_lookback_stateEbbT6_jjT7_P12ihipStream_tbENKUlT_T0_SK_SP_E_clISE_PjSF_SF_EEDaS13_S14_SK_SP_EUlS13_E_NS1_11comp_targetILNS1_3genE9ELNS1_11target_archE1100ELNS1_3gpuE3ELNS1_3repE0EEENS1_47radix_sort_onesweep_sort_config_static_selectorELNS0_4arch9wavefront6targetE1EEEvSK_,comdat
	.protected	_ZN7rocprim17ROCPRIM_400000_NS6detail17trampoline_kernelINS0_14default_configENS1_35radix_sort_onesweep_config_selectorIjNS0_10empty_typeEEEZZNS1_29radix_sort_onesweep_iterationIS3_Lb0EN6thrust23THRUST_200600_302600_NS6detail15normal_iteratorINS9_10device_ptrIjEEEESE_PS5_SF_jNS0_19identity_decomposerENS1_16block_id_wrapperIjLb0EEEEE10hipError_tT1_PNSt15iterator_traitsISK_E10value_typeET2_T3_PNSL_ISQ_E10value_typeET4_T5_PSV_SW_PNS1_23onesweep_lookback_stateEbbT6_jjT7_P12ihipStream_tbENKUlT_T0_SK_SP_E_clISE_PjSF_SF_EEDaS13_S14_SK_SP_EUlS13_E_NS1_11comp_targetILNS1_3genE9ELNS1_11target_archE1100ELNS1_3gpuE3ELNS1_3repE0EEENS1_47radix_sort_onesweep_sort_config_static_selectorELNS0_4arch9wavefront6targetE1EEEvSK_ ; -- Begin function _ZN7rocprim17ROCPRIM_400000_NS6detail17trampoline_kernelINS0_14default_configENS1_35radix_sort_onesweep_config_selectorIjNS0_10empty_typeEEEZZNS1_29radix_sort_onesweep_iterationIS3_Lb0EN6thrust23THRUST_200600_302600_NS6detail15normal_iteratorINS9_10device_ptrIjEEEESE_PS5_SF_jNS0_19identity_decomposerENS1_16block_id_wrapperIjLb0EEEEE10hipError_tT1_PNSt15iterator_traitsISK_E10value_typeET2_T3_PNSL_ISQ_E10value_typeET4_T5_PSV_SW_PNS1_23onesweep_lookback_stateEbbT6_jjT7_P12ihipStream_tbENKUlT_T0_SK_SP_E_clISE_PjSF_SF_EEDaS13_S14_SK_SP_EUlS13_E_NS1_11comp_targetILNS1_3genE9ELNS1_11target_archE1100ELNS1_3gpuE3ELNS1_3repE0EEENS1_47radix_sort_onesweep_sort_config_static_selectorELNS0_4arch9wavefront6targetE1EEEvSK_
	.globl	_ZN7rocprim17ROCPRIM_400000_NS6detail17trampoline_kernelINS0_14default_configENS1_35radix_sort_onesweep_config_selectorIjNS0_10empty_typeEEEZZNS1_29radix_sort_onesweep_iterationIS3_Lb0EN6thrust23THRUST_200600_302600_NS6detail15normal_iteratorINS9_10device_ptrIjEEEESE_PS5_SF_jNS0_19identity_decomposerENS1_16block_id_wrapperIjLb0EEEEE10hipError_tT1_PNSt15iterator_traitsISK_E10value_typeET2_T3_PNSL_ISQ_E10value_typeET4_T5_PSV_SW_PNS1_23onesweep_lookback_stateEbbT6_jjT7_P12ihipStream_tbENKUlT_T0_SK_SP_E_clISE_PjSF_SF_EEDaS13_S14_SK_SP_EUlS13_E_NS1_11comp_targetILNS1_3genE9ELNS1_11target_archE1100ELNS1_3gpuE3ELNS1_3repE0EEENS1_47radix_sort_onesweep_sort_config_static_selectorELNS0_4arch9wavefront6targetE1EEEvSK_
	.p2align	8
	.type	_ZN7rocprim17ROCPRIM_400000_NS6detail17trampoline_kernelINS0_14default_configENS1_35radix_sort_onesweep_config_selectorIjNS0_10empty_typeEEEZZNS1_29radix_sort_onesweep_iterationIS3_Lb0EN6thrust23THRUST_200600_302600_NS6detail15normal_iteratorINS9_10device_ptrIjEEEESE_PS5_SF_jNS0_19identity_decomposerENS1_16block_id_wrapperIjLb0EEEEE10hipError_tT1_PNSt15iterator_traitsISK_E10value_typeET2_T3_PNSL_ISQ_E10value_typeET4_T5_PSV_SW_PNS1_23onesweep_lookback_stateEbbT6_jjT7_P12ihipStream_tbENKUlT_T0_SK_SP_E_clISE_PjSF_SF_EEDaS13_S14_SK_SP_EUlS13_E_NS1_11comp_targetILNS1_3genE9ELNS1_11target_archE1100ELNS1_3gpuE3ELNS1_3repE0EEENS1_47radix_sort_onesweep_sort_config_static_selectorELNS0_4arch9wavefront6targetE1EEEvSK_,@function
_ZN7rocprim17ROCPRIM_400000_NS6detail17trampoline_kernelINS0_14default_configENS1_35radix_sort_onesweep_config_selectorIjNS0_10empty_typeEEEZZNS1_29radix_sort_onesweep_iterationIS3_Lb0EN6thrust23THRUST_200600_302600_NS6detail15normal_iteratorINS9_10device_ptrIjEEEESE_PS5_SF_jNS0_19identity_decomposerENS1_16block_id_wrapperIjLb0EEEEE10hipError_tT1_PNSt15iterator_traitsISK_E10value_typeET2_T3_PNSL_ISQ_E10value_typeET4_T5_PSV_SW_PNS1_23onesweep_lookback_stateEbbT6_jjT7_P12ihipStream_tbENKUlT_T0_SK_SP_E_clISE_PjSF_SF_EEDaS13_S14_SK_SP_EUlS13_E_NS1_11comp_targetILNS1_3genE9ELNS1_11target_archE1100ELNS1_3gpuE3ELNS1_3repE0EEENS1_47radix_sort_onesweep_sort_config_static_selectorELNS0_4arch9wavefront6targetE1EEEvSK_: ; @_ZN7rocprim17ROCPRIM_400000_NS6detail17trampoline_kernelINS0_14default_configENS1_35radix_sort_onesweep_config_selectorIjNS0_10empty_typeEEEZZNS1_29radix_sort_onesweep_iterationIS3_Lb0EN6thrust23THRUST_200600_302600_NS6detail15normal_iteratorINS9_10device_ptrIjEEEESE_PS5_SF_jNS0_19identity_decomposerENS1_16block_id_wrapperIjLb0EEEEE10hipError_tT1_PNSt15iterator_traitsISK_E10value_typeET2_T3_PNSL_ISQ_E10value_typeET4_T5_PSV_SW_PNS1_23onesweep_lookback_stateEbbT6_jjT7_P12ihipStream_tbENKUlT_T0_SK_SP_E_clISE_PjSF_SF_EEDaS13_S14_SK_SP_EUlS13_E_NS1_11comp_targetILNS1_3genE9ELNS1_11target_archE1100ELNS1_3gpuE3ELNS1_3repE0EEENS1_47radix_sort_onesweep_sort_config_static_selectorELNS0_4arch9wavefront6targetE1EEEvSK_
; %bb.0:
	.section	.rodata,"a",@progbits
	.p2align	6, 0x0
	.amdhsa_kernel _ZN7rocprim17ROCPRIM_400000_NS6detail17trampoline_kernelINS0_14default_configENS1_35radix_sort_onesweep_config_selectorIjNS0_10empty_typeEEEZZNS1_29radix_sort_onesweep_iterationIS3_Lb0EN6thrust23THRUST_200600_302600_NS6detail15normal_iteratorINS9_10device_ptrIjEEEESE_PS5_SF_jNS0_19identity_decomposerENS1_16block_id_wrapperIjLb0EEEEE10hipError_tT1_PNSt15iterator_traitsISK_E10value_typeET2_T3_PNSL_ISQ_E10value_typeET4_T5_PSV_SW_PNS1_23onesweep_lookback_stateEbbT6_jjT7_P12ihipStream_tbENKUlT_T0_SK_SP_E_clISE_PjSF_SF_EEDaS13_S14_SK_SP_EUlS13_E_NS1_11comp_targetILNS1_3genE9ELNS1_11target_archE1100ELNS1_3gpuE3ELNS1_3repE0EEENS1_47radix_sort_onesweep_sort_config_static_selectorELNS0_4arch9wavefront6targetE1EEEvSK_
		.amdhsa_group_segment_fixed_size 0
		.amdhsa_private_segment_fixed_size 0
		.amdhsa_kernarg_size 88
		.amdhsa_user_sgpr_count 6
		.amdhsa_user_sgpr_private_segment_buffer 1
		.amdhsa_user_sgpr_dispatch_ptr 0
		.amdhsa_user_sgpr_queue_ptr 0
		.amdhsa_user_sgpr_kernarg_segment_ptr 1
		.amdhsa_user_sgpr_dispatch_id 0
		.amdhsa_user_sgpr_flat_scratch_init 0
		.amdhsa_user_sgpr_kernarg_preload_length 0
		.amdhsa_user_sgpr_kernarg_preload_offset 0
		.amdhsa_user_sgpr_private_segment_size 0
		.amdhsa_uses_dynamic_stack 0
		.amdhsa_system_sgpr_private_segment_wavefront_offset 0
		.amdhsa_system_sgpr_workgroup_id_x 1
		.amdhsa_system_sgpr_workgroup_id_y 0
		.amdhsa_system_sgpr_workgroup_id_z 0
		.amdhsa_system_sgpr_workgroup_info 0
		.amdhsa_system_vgpr_workitem_id 0
		.amdhsa_next_free_vgpr 1
		.amdhsa_next_free_sgpr 0
		.amdhsa_accum_offset 4
		.amdhsa_reserve_vcc 0
		.amdhsa_reserve_flat_scratch 0
		.amdhsa_float_round_mode_32 0
		.amdhsa_float_round_mode_16_64 0
		.amdhsa_float_denorm_mode_32 3
		.amdhsa_float_denorm_mode_16_64 3
		.amdhsa_dx10_clamp 1
		.amdhsa_ieee_mode 1
		.amdhsa_fp16_overflow 0
		.amdhsa_tg_split 0
		.amdhsa_exception_fp_ieee_invalid_op 0
		.amdhsa_exception_fp_denorm_src 0
		.amdhsa_exception_fp_ieee_div_zero 0
		.amdhsa_exception_fp_ieee_overflow 0
		.amdhsa_exception_fp_ieee_underflow 0
		.amdhsa_exception_fp_ieee_inexact 0
		.amdhsa_exception_int_div_zero 0
	.end_amdhsa_kernel
	.section	.text._ZN7rocprim17ROCPRIM_400000_NS6detail17trampoline_kernelINS0_14default_configENS1_35radix_sort_onesweep_config_selectorIjNS0_10empty_typeEEEZZNS1_29radix_sort_onesweep_iterationIS3_Lb0EN6thrust23THRUST_200600_302600_NS6detail15normal_iteratorINS9_10device_ptrIjEEEESE_PS5_SF_jNS0_19identity_decomposerENS1_16block_id_wrapperIjLb0EEEEE10hipError_tT1_PNSt15iterator_traitsISK_E10value_typeET2_T3_PNSL_ISQ_E10value_typeET4_T5_PSV_SW_PNS1_23onesweep_lookback_stateEbbT6_jjT7_P12ihipStream_tbENKUlT_T0_SK_SP_E_clISE_PjSF_SF_EEDaS13_S14_SK_SP_EUlS13_E_NS1_11comp_targetILNS1_3genE9ELNS1_11target_archE1100ELNS1_3gpuE3ELNS1_3repE0EEENS1_47radix_sort_onesweep_sort_config_static_selectorELNS0_4arch9wavefront6targetE1EEEvSK_,"axG",@progbits,_ZN7rocprim17ROCPRIM_400000_NS6detail17trampoline_kernelINS0_14default_configENS1_35radix_sort_onesweep_config_selectorIjNS0_10empty_typeEEEZZNS1_29radix_sort_onesweep_iterationIS3_Lb0EN6thrust23THRUST_200600_302600_NS6detail15normal_iteratorINS9_10device_ptrIjEEEESE_PS5_SF_jNS0_19identity_decomposerENS1_16block_id_wrapperIjLb0EEEEE10hipError_tT1_PNSt15iterator_traitsISK_E10value_typeET2_T3_PNSL_ISQ_E10value_typeET4_T5_PSV_SW_PNS1_23onesweep_lookback_stateEbbT6_jjT7_P12ihipStream_tbENKUlT_T0_SK_SP_E_clISE_PjSF_SF_EEDaS13_S14_SK_SP_EUlS13_E_NS1_11comp_targetILNS1_3genE9ELNS1_11target_archE1100ELNS1_3gpuE3ELNS1_3repE0EEENS1_47radix_sort_onesweep_sort_config_static_selectorELNS0_4arch9wavefront6targetE1EEEvSK_,comdat
.Lfunc_end1144:
	.size	_ZN7rocprim17ROCPRIM_400000_NS6detail17trampoline_kernelINS0_14default_configENS1_35radix_sort_onesweep_config_selectorIjNS0_10empty_typeEEEZZNS1_29radix_sort_onesweep_iterationIS3_Lb0EN6thrust23THRUST_200600_302600_NS6detail15normal_iteratorINS9_10device_ptrIjEEEESE_PS5_SF_jNS0_19identity_decomposerENS1_16block_id_wrapperIjLb0EEEEE10hipError_tT1_PNSt15iterator_traitsISK_E10value_typeET2_T3_PNSL_ISQ_E10value_typeET4_T5_PSV_SW_PNS1_23onesweep_lookback_stateEbbT6_jjT7_P12ihipStream_tbENKUlT_T0_SK_SP_E_clISE_PjSF_SF_EEDaS13_S14_SK_SP_EUlS13_E_NS1_11comp_targetILNS1_3genE9ELNS1_11target_archE1100ELNS1_3gpuE3ELNS1_3repE0EEENS1_47radix_sort_onesweep_sort_config_static_selectorELNS0_4arch9wavefront6targetE1EEEvSK_, .Lfunc_end1144-_ZN7rocprim17ROCPRIM_400000_NS6detail17trampoline_kernelINS0_14default_configENS1_35radix_sort_onesweep_config_selectorIjNS0_10empty_typeEEEZZNS1_29radix_sort_onesweep_iterationIS3_Lb0EN6thrust23THRUST_200600_302600_NS6detail15normal_iteratorINS9_10device_ptrIjEEEESE_PS5_SF_jNS0_19identity_decomposerENS1_16block_id_wrapperIjLb0EEEEE10hipError_tT1_PNSt15iterator_traitsISK_E10value_typeET2_T3_PNSL_ISQ_E10value_typeET4_T5_PSV_SW_PNS1_23onesweep_lookback_stateEbbT6_jjT7_P12ihipStream_tbENKUlT_T0_SK_SP_E_clISE_PjSF_SF_EEDaS13_S14_SK_SP_EUlS13_E_NS1_11comp_targetILNS1_3genE9ELNS1_11target_archE1100ELNS1_3gpuE3ELNS1_3repE0EEENS1_47radix_sort_onesweep_sort_config_static_selectorELNS0_4arch9wavefront6targetE1EEEvSK_
                                        ; -- End function
	.section	.AMDGPU.csdata,"",@progbits
; Kernel info:
; codeLenInByte = 0
; NumSgprs: 4
; NumVgprs: 0
; NumAgprs: 0
; TotalNumVgprs: 0
; ScratchSize: 0
; MemoryBound: 0
; FloatMode: 240
; IeeeMode: 1
; LDSByteSize: 0 bytes/workgroup (compile time only)
; SGPRBlocks: 0
; VGPRBlocks: 0
; NumSGPRsForWavesPerEU: 4
; NumVGPRsForWavesPerEU: 1
; AccumOffset: 4
; Occupancy: 8
; WaveLimiterHint : 0
; COMPUTE_PGM_RSRC2:SCRATCH_EN: 0
; COMPUTE_PGM_RSRC2:USER_SGPR: 6
; COMPUTE_PGM_RSRC2:TRAP_HANDLER: 0
; COMPUTE_PGM_RSRC2:TGID_X_EN: 1
; COMPUTE_PGM_RSRC2:TGID_Y_EN: 0
; COMPUTE_PGM_RSRC2:TGID_Z_EN: 0
; COMPUTE_PGM_RSRC2:TIDIG_COMP_CNT: 0
; COMPUTE_PGM_RSRC3_GFX90A:ACCUM_OFFSET: 0
; COMPUTE_PGM_RSRC3_GFX90A:TG_SPLIT: 0
	.section	.text._ZN7rocprim17ROCPRIM_400000_NS6detail17trampoline_kernelINS0_14default_configENS1_35radix_sort_onesweep_config_selectorIjNS0_10empty_typeEEEZZNS1_29radix_sort_onesweep_iterationIS3_Lb0EN6thrust23THRUST_200600_302600_NS6detail15normal_iteratorINS9_10device_ptrIjEEEESE_PS5_SF_jNS0_19identity_decomposerENS1_16block_id_wrapperIjLb0EEEEE10hipError_tT1_PNSt15iterator_traitsISK_E10value_typeET2_T3_PNSL_ISQ_E10value_typeET4_T5_PSV_SW_PNS1_23onesweep_lookback_stateEbbT6_jjT7_P12ihipStream_tbENKUlT_T0_SK_SP_E_clISE_PjSF_SF_EEDaS13_S14_SK_SP_EUlS13_E_NS1_11comp_targetILNS1_3genE8ELNS1_11target_archE1030ELNS1_3gpuE2ELNS1_3repE0EEENS1_47radix_sort_onesweep_sort_config_static_selectorELNS0_4arch9wavefront6targetE1EEEvSK_,"axG",@progbits,_ZN7rocprim17ROCPRIM_400000_NS6detail17trampoline_kernelINS0_14default_configENS1_35radix_sort_onesweep_config_selectorIjNS0_10empty_typeEEEZZNS1_29radix_sort_onesweep_iterationIS3_Lb0EN6thrust23THRUST_200600_302600_NS6detail15normal_iteratorINS9_10device_ptrIjEEEESE_PS5_SF_jNS0_19identity_decomposerENS1_16block_id_wrapperIjLb0EEEEE10hipError_tT1_PNSt15iterator_traitsISK_E10value_typeET2_T3_PNSL_ISQ_E10value_typeET4_T5_PSV_SW_PNS1_23onesweep_lookback_stateEbbT6_jjT7_P12ihipStream_tbENKUlT_T0_SK_SP_E_clISE_PjSF_SF_EEDaS13_S14_SK_SP_EUlS13_E_NS1_11comp_targetILNS1_3genE8ELNS1_11target_archE1030ELNS1_3gpuE2ELNS1_3repE0EEENS1_47radix_sort_onesweep_sort_config_static_selectorELNS0_4arch9wavefront6targetE1EEEvSK_,comdat
	.protected	_ZN7rocprim17ROCPRIM_400000_NS6detail17trampoline_kernelINS0_14default_configENS1_35radix_sort_onesweep_config_selectorIjNS0_10empty_typeEEEZZNS1_29radix_sort_onesweep_iterationIS3_Lb0EN6thrust23THRUST_200600_302600_NS6detail15normal_iteratorINS9_10device_ptrIjEEEESE_PS5_SF_jNS0_19identity_decomposerENS1_16block_id_wrapperIjLb0EEEEE10hipError_tT1_PNSt15iterator_traitsISK_E10value_typeET2_T3_PNSL_ISQ_E10value_typeET4_T5_PSV_SW_PNS1_23onesweep_lookback_stateEbbT6_jjT7_P12ihipStream_tbENKUlT_T0_SK_SP_E_clISE_PjSF_SF_EEDaS13_S14_SK_SP_EUlS13_E_NS1_11comp_targetILNS1_3genE8ELNS1_11target_archE1030ELNS1_3gpuE2ELNS1_3repE0EEENS1_47radix_sort_onesweep_sort_config_static_selectorELNS0_4arch9wavefront6targetE1EEEvSK_ ; -- Begin function _ZN7rocprim17ROCPRIM_400000_NS6detail17trampoline_kernelINS0_14default_configENS1_35radix_sort_onesweep_config_selectorIjNS0_10empty_typeEEEZZNS1_29radix_sort_onesweep_iterationIS3_Lb0EN6thrust23THRUST_200600_302600_NS6detail15normal_iteratorINS9_10device_ptrIjEEEESE_PS5_SF_jNS0_19identity_decomposerENS1_16block_id_wrapperIjLb0EEEEE10hipError_tT1_PNSt15iterator_traitsISK_E10value_typeET2_T3_PNSL_ISQ_E10value_typeET4_T5_PSV_SW_PNS1_23onesweep_lookback_stateEbbT6_jjT7_P12ihipStream_tbENKUlT_T0_SK_SP_E_clISE_PjSF_SF_EEDaS13_S14_SK_SP_EUlS13_E_NS1_11comp_targetILNS1_3genE8ELNS1_11target_archE1030ELNS1_3gpuE2ELNS1_3repE0EEENS1_47radix_sort_onesweep_sort_config_static_selectorELNS0_4arch9wavefront6targetE1EEEvSK_
	.globl	_ZN7rocprim17ROCPRIM_400000_NS6detail17trampoline_kernelINS0_14default_configENS1_35radix_sort_onesweep_config_selectorIjNS0_10empty_typeEEEZZNS1_29radix_sort_onesweep_iterationIS3_Lb0EN6thrust23THRUST_200600_302600_NS6detail15normal_iteratorINS9_10device_ptrIjEEEESE_PS5_SF_jNS0_19identity_decomposerENS1_16block_id_wrapperIjLb0EEEEE10hipError_tT1_PNSt15iterator_traitsISK_E10value_typeET2_T3_PNSL_ISQ_E10value_typeET4_T5_PSV_SW_PNS1_23onesweep_lookback_stateEbbT6_jjT7_P12ihipStream_tbENKUlT_T0_SK_SP_E_clISE_PjSF_SF_EEDaS13_S14_SK_SP_EUlS13_E_NS1_11comp_targetILNS1_3genE8ELNS1_11target_archE1030ELNS1_3gpuE2ELNS1_3repE0EEENS1_47radix_sort_onesweep_sort_config_static_selectorELNS0_4arch9wavefront6targetE1EEEvSK_
	.p2align	8
	.type	_ZN7rocprim17ROCPRIM_400000_NS6detail17trampoline_kernelINS0_14default_configENS1_35radix_sort_onesweep_config_selectorIjNS0_10empty_typeEEEZZNS1_29radix_sort_onesweep_iterationIS3_Lb0EN6thrust23THRUST_200600_302600_NS6detail15normal_iteratorINS9_10device_ptrIjEEEESE_PS5_SF_jNS0_19identity_decomposerENS1_16block_id_wrapperIjLb0EEEEE10hipError_tT1_PNSt15iterator_traitsISK_E10value_typeET2_T3_PNSL_ISQ_E10value_typeET4_T5_PSV_SW_PNS1_23onesweep_lookback_stateEbbT6_jjT7_P12ihipStream_tbENKUlT_T0_SK_SP_E_clISE_PjSF_SF_EEDaS13_S14_SK_SP_EUlS13_E_NS1_11comp_targetILNS1_3genE8ELNS1_11target_archE1030ELNS1_3gpuE2ELNS1_3repE0EEENS1_47radix_sort_onesweep_sort_config_static_selectorELNS0_4arch9wavefront6targetE1EEEvSK_,@function
_ZN7rocprim17ROCPRIM_400000_NS6detail17trampoline_kernelINS0_14default_configENS1_35radix_sort_onesweep_config_selectorIjNS0_10empty_typeEEEZZNS1_29radix_sort_onesweep_iterationIS3_Lb0EN6thrust23THRUST_200600_302600_NS6detail15normal_iteratorINS9_10device_ptrIjEEEESE_PS5_SF_jNS0_19identity_decomposerENS1_16block_id_wrapperIjLb0EEEEE10hipError_tT1_PNSt15iterator_traitsISK_E10value_typeET2_T3_PNSL_ISQ_E10value_typeET4_T5_PSV_SW_PNS1_23onesweep_lookback_stateEbbT6_jjT7_P12ihipStream_tbENKUlT_T0_SK_SP_E_clISE_PjSF_SF_EEDaS13_S14_SK_SP_EUlS13_E_NS1_11comp_targetILNS1_3genE8ELNS1_11target_archE1030ELNS1_3gpuE2ELNS1_3repE0EEENS1_47radix_sort_onesweep_sort_config_static_selectorELNS0_4arch9wavefront6targetE1EEEvSK_: ; @_ZN7rocprim17ROCPRIM_400000_NS6detail17trampoline_kernelINS0_14default_configENS1_35radix_sort_onesweep_config_selectorIjNS0_10empty_typeEEEZZNS1_29radix_sort_onesweep_iterationIS3_Lb0EN6thrust23THRUST_200600_302600_NS6detail15normal_iteratorINS9_10device_ptrIjEEEESE_PS5_SF_jNS0_19identity_decomposerENS1_16block_id_wrapperIjLb0EEEEE10hipError_tT1_PNSt15iterator_traitsISK_E10value_typeET2_T3_PNSL_ISQ_E10value_typeET4_T5_PSV_SW_PNS1_23onesweep_lookback_stateEbbT6_jjT7_P12ihipStream_tbENKUlT_T0_SK_SP_E_clISE_PjSF_SF_EEDaS13_S14_SK_SP_EUlS13_E_NS1_11comp_targetILNS1_3genE8ELNS1_11target_archE1030ELNS1_3gpuE2ELNS1_3repE0EEENS1_47radix_sort_onesweep_sort_config_static_selectorELNS0_4arch9wavefront6targetE1EEEvSK_
; %bb.0:
	.section	.rodata,"a",@progbits
	.p2align	6, 0x0
	.amdhsa_kernel _ZN7rocprim17ROCPRIM_400000_NS6detail17trampoline_kernelINS0_14default_configENS1_35radix_sort_onesweep_config_selectorIjNS0_10empty_typeEEEZZNS1_29radix_sort_onesweep_iterationIS3_Lb0EN6thrust23THRUST_200600_302600_NS6detail15normal_iteratorINS9_10device_ptrIjEEEESE_PS5_SF_jNS0_19identity_decomposerENS1_16block_id_wrapperIjLb0EEEEE10hipError_tT1_PNSt15iterator_traitsISK_E10value_typeET2_T3_PNSL_ISQ_E10value_typeET4_T5_PSV_SW_PNS1_23onesweep_lookback_stateEbbT6_jjT7_P12ihipStream_tbENKUlT_T0_SK_SP_E_clISE_PjSF_SF_EEDaS13_S14_SK_SP_EUlS13_E_NS1_11comp_targetILNS1_3genE8ELNS1_11target_archE1030ELNS1_3gpuE2ELNS1_3repE0EEENS1_47radix_sort_onesweep_sort_config_static_selectorELNS0_4arch9wavefront6targetE1EEEvSK_
		.amdhsa_group_segment_fixed_size 0
		.amdhsa_private_segment_fixed_size 0
		.amdhsa_kernarg_size 88
		.amdhsa_user_sgpr_count 6
		.amdhsa_user_sgpr_private_segment_buffer 1
		.amdhsa_user_sgpr_dispatch_ptr 0
		.amdhsa_user_sgpr_queue_ptr 0
		.amdhsa_user_sgpr_kernarg_segment_ptr 1
		.amdhsa_user_sgpr_dispatch_id 0
		.amdhsa_user_sgpr_flat_scratch_init 0
		.amdhsa_user_sgpr_kernarg_preload_length 0
		.amdhsa_user_sgpr_kernarg_preload_offset 0
		.amdhsa_user_sgpr_private_segment_size 0
		.amdhsa_uses_dynamic_stack 0
		.amdhsa_system_sgpr_private_segment_wavefront_offset 0
		.amdhsa_system_sgpr_workgroup_id_x 1
		.amdhsa_system_sgpr_workgroup_id_y 0
		.amdhsa_system_sgpr_workgroup_id_z 0
		.amdhsa_system_sgpr_workgroup_info 0
		.amdhsa_system_vgpr_workitem_id 0
		.amdhsa_next_free_vgpr 1
		.amdhsa_next_free_sgpr 0
		.amdhsa_accum_offset 4
		.amdhsa_reserve_vcc 0
		.amdhsa_reserve_flat_scratch 0
		.amdhsa_float_round_mode_32 0
		.amdhsa_float_round_mode_16_64 0
		.amdhsa_float_denorm_mode_32 3
		.amdhsa_float_denorm_mode_16_64 3
		.amdhsa_dx10_clamp 1
		.amdhsa_ieee_mode 1
		.amdhsa_fp16_overflow 0
		.amdhsa_tg_split 0
		.amdhsa_exception_fp_ieee_invalid_op 0
		.amdhsa_exception_fp_denorm_src 0
		.amdhsa_exception_fp_ieee_div_zero 0
		.amdhsa_exception_fp_ieee_overflow 0
		.amdhsa_exception_fp_ieee_underflow 0
		.amdhsa_exception_fp_ieee_inexact 0
		.amdhsa_exception_int_div_zero 0
	.end_amdhsa_kernel
	.section	.text._ZN7rocprim17ROCPRIM_400000_NS6detail17trampoline_kernelINS0_14default_configENS1_35radix_sort_onesweep_config_selectorIjNS0_10empty_typeEEEZZNS1_29radix_sort_onesweep_iterationIS3_Lb0EN6thrust23THRUST_200600_302600_NS6detail15normal_iteratorINS9_10device_ptrIjEEEESE_PS5_SF_jNS0_19identity_decomposerENS1_16block_id_wrapperIjLb0EEEEE10hipError_tT1_PNSt15iterator_traitsISK_E10value_typeET2_T3_PNSL_ISQ_E10value_typeET4_T5_PSV_SW_PNS1_23onesweep_lookback_stateEbbT6_jjT7_P12ihipStream_tbENKUlT_T0_SK_SP_E_clISE_PjSF_SF_EEDaS13_S14_SK_SP_EUlS13_E_NS1_11comp_targetILNS1_3genE8ELNS1_11target_archE1030ELNS1_3gpuE2ELNS1_3repE0EEENS1_47radix_sort_onesweep_sort_config_static_selectorELNS0_4arch9wavefront6targetE1EEEvSK_,"axG",@progbits,_ZN7rocprim17ROCPRIM_400000_NS6detail17trampoline_kernelINS0_14default_configENS1_35radix_sort_onesweep_config_selectorIjNS0_10empty_typeEEEZZNS1_29radix_sort_onesweep_iterationIS3_Lb0EN6thrust23THRUST_200600_302600_NS6detail15normal_iteratorINS9_10device_ptrIjEEEESE_PS5_SF_jNS0_19identity_decomposerENS1_16block_id_wrapperIjLb0EEEEE10hipError_tT1_PNSt15iterator_traitsISK_E10value_typeET2_T3_PNSL_ISQ_E10value_typeET4_T5_PSV_SW_PNS1_23onesweep_lookback_stateEbbT6_jjT7_P12ihipStream_tbENKUlT_T0_SK_SP_E_clISE_PjSF_SF_EEDaS13_S14_SK_SP_EUlS13_E_NS1_11comp_targetILNS1_3genE8ELNS1_11target_archE1030ELNS1_3gpuE2ELNS1_3repE0EEENS1_47radix_sort_onesweep_sort_config_static_selectorELNS0_4arch9wavefront6targetE1EEEvSK_,comdat
.Lfunc_end1145:
	.size	_ZN7rocprim17ROCPRIM_400000_NS6detail17trampoline_kernelINS0_14default_configENS1_35radix_sort_onesweep_config_selectorIjNS0_10empty_typeEEEZZNS1_29radix_sort_onesweep_iterationIS3_Lb0EN6thrust23THRUST_200600_302600_NS6detail15normal_iteratorINS9_10device_ptrIjEEEESE_PS5_SF_jNS0_19identity_decomposerENS1_16block_id_wrapperIjLb0EEEEE10hipError_tT1_PNSt15iterator_traitsISK_E10value_typeET2_T3_PNSL_ISQ_E10value_typeET4_T5_PSV_SW_PNS1_23onesweep_lookback_stateEbbT6_jjT7_P12ihipStream_tbENKUlT_T0_SK_SP_E_clISE_PjSF_SF_EEDaS13_S14_SK_SP_EUlS13_E_NS1_11comp_targetILNS1_3genE8ELNS1_11target_archE1030ELNS1_3gpuE2ELNS1_3repE0EEENS1_47radix_sort_onesweep_sort_config_static_selectorELNS0_4arch9wavefront6targetE1EEEvSK_, .Lfunc_end1145-_ZN7rocprim17ROCPRIM_400000_NS6detail17trampoline_kernelINS0_14default_configENS1_35radix_sort_onesweep_config_selectorIjNS0_10empty_typeEEEZZNS1_29radix_sort_onesweep_iterationIS3_Lb0EN6thrust23THRUST_200600_302600_NS6detail15normal_iteratorINS9_10device_ptrIjEEEESE_PS5_SF_jNS0_19identity_decomposerENS1_16block_id_wrapperIjLb0EEEEE10hipError_tT1_PNSt15iterator_traitsISK_E10value_typeET2_T3_PNSL_ISQ_E10value_typeET4_T5_PSV_SW_PNS1_23onesweep_lookback_stateEbbT6_jjT7_P12ihipStream_tbENKUlT_T0_SK_SP_E_clISE_PjSF_SF_EEDaS13_S14_SK_SP_EUlS13_E_NS1_11comp_targetILNS1_3genE8ELNS1_11target_archE1030ELNS1_3gpuE2ELNS1_3repE0EEENS1_47radix_sort_onesweep_sort_config_static_selectorELNS0_4arch9wavefront6targetE1EEEvSK_
                                        ; -- End function
	.section	.AMDGPU.csdata,"",@progbits
; Kernel info:
; codeLenInByte = 0
; NumSgprs: 4
; NumVgprs: 0
; NumAgprs: 0
; TotalNumVgprs: 0
; ScratchSize: 0
; MemoryBound: 0
; FloatMode: 240
; IeeeMode: 1
; LDSByteSize: 0 bytes/workgroup (compile time only)
; SGPRBlocks: 0
; VGPRBlocks: 0
; NumSGPRsForWavesPerEU: 4
; NumVGPRsForWavesPerEU: 1
; AccumOffset: 4
; Occupancy: 8
; WaveLimiterHint : 0
; COMPUTE_PGM_RSRC2:SCRATCH_EN: 0
; COMPUTE_PGM_RSRC2:USER_SGPR: 6
; COMPUTE_PGM_RSRC2:TRAP_HANDLER: 0
; COMPUTE_PGM_RSRC2:TGID_X_EN: 1
; COMPUTE_PGM_RSRC2:TGID_Y_EN: 0
; COMPUTE_PGM_RSRC2:TGID_Z_EN: 0
; COMPUTE_PGM_RSRC2:TIDIG_COMP_CNT: 0
; COMPUTE_PGM_RSRC3_GFX90A:ACCUM_OFFSET: 0
; COMPUTE_PGM_RSRC3_GFX90A:TG_SPLIT: 0
	.section	.text._ZN7rocprim17ROCPRIM_400000_NS6detail17trampoline_kernelINS0_14default_configENS1_35radix_sort_onesweep_config_selectorIjNS0_10empty_typeEEEZZNS1_29radix_sort_onesweep_iterationIS3_Lb0EN6thrust23THRUST_200600_302600_NS6detail15normal_iteratorINS9_10device_ptrIjEEEESE_PS5_SF_jNS0_19identity_decomposerENS1_16block_id_wrapperIjLb0EEEEE10hipError_tT1_PNSt15iterator_traitsISK_E10value_typeET2_T3_PNSL_ISQ_E10value_typeET4_T5_PSV_SW_PNS1_23onesweep_lookback_stateEbbT6_jjT7_P12ihipStream_tbENKUlT_T0_SK_SP_E_clIPjSE_SF_SF_EEDaS13_S14_SK_SP_EUlS13_E_NS1_11comp_targetILNS1_3genE0ELNS1_11target_archE4294967295ELNS1_3gpuE0ELNS1_3repE0EEENS1_47radix_sort_onesweep_sort_config_static_selectorELNS0_4arch9wavefront6targetE1EEEvSK_,"axG",@progbits,_ZN7rocprim17ROCPRIM_400000_NS6detail17trampoline_kernelINS0_14default_configENS1_35radix_sort_onesweep_config_selectorIjNS0_10empty_typeEEEZZNS1_29radix_sort_onesweep_iterationIS3_Lb0EN6thrust23THRUST_200600_302600_NS6detail15normal_iteratorINS9_10device_ptrIjEEEESE_PS5_SF_jNS0_19identity_decomposerENS1_16block_id_wrapperIjLb0EEEEE10hipError_tT1_PNSt15iterator_traitsISK_E10value_typeET2_T3_PNSL_ISQ_E10value_typeET4_T5_PSV_SW_PNS1_23onesweep_lookback_stateEbbT6_jjT7_P12ihipStream_tbENKUlT_T0_SK_SP_E_clIPjSE_SF_SF_EEDaS13_S14_SK_SP_EUlS13_E_NS1_11comp_targetILNS1_3genE0ELNS1_11target_archE4294967295ELNS1_3gpuE0ELNS1_3repE0EEENS1_47radix_sort_onesweep_sort_config_static_selectorELNS0_4arch9wavefront6targetE1EEEvSK_,comdat
	.protected	_ZN7rocprim17ROCPRIM_400000_NS6detail17trampoline_kernelINS0_14default_configENS1_35radix_sort_onesweep_config_selectorIjNS0_10empty_typeEEEZZNS1_29radix_sort_onesweep_iterationIS3_Lb0EN6thrust23THRUST_200600_302600_NS6detail15normal_iteratorINS9_10device_ptrIjEEEESE_PS5_SF_jNS0_19identity_decomposerENS1_16block_id_wrapperIjLb0EEEEE10hipError_tT1_PNSt15iterator_traitsISK_E10value_typeET2_T3_PNSL_ISQ_E10value_typeET4_T5_PSV_SW_PNS1_23onesweep_lookback_stateEbbT6_jjT7_P12ihipStream_tbENKUlT_T0_SK_SP_E_clIPjSE_SF_SF_EEDaS13_S14_SK_SP_EUlS13_E_NS1_11comp_targetILNS1_3genE0ELNS1_11target_archE4294967295ELNS1_3gpuE0ELNS1_3repE0EEENS1_47radix_sort_onesweep_sort_config_static_selectorELNS0_4arch9wavefront6targetE1EEEvSK_ ; -- Begin function _ZN7rocprim17ROCPRIM_400000_NS6detail17trampoline_kernelINS0_14default_configENS1_35radix_sort_onesweep_config_selectorIjNS0_10empty_typeEEEZZNS1_29radix_sort_onesweep_iterationIS3_Lb0EN6thrust23THRUST_200600_302600_NS6detail15normal_iteratorINS9_10device_ptrIjEEEESE_PS5_SF_jNS0_19identity_decomposerENS1_16block_id_wrapperIjLb0EEEEE10hipError_tT1_PNSt15iterator_traitsISK_E10value_typeET2_T3_PNSL_ISQ_E10value_typeET4_T5_PSV_SW_PNS1_23onesweep_lookback_stateEbbT6_jjT7_P12ihipStream_tbENKUlT_T0_SK_SP_E_clIPjSE_SF_SF_EEDaS13_S14_SK_SP_EUlS13_E_NS1_11comp_targetILNS1_3genE0ELNS1_11target_archE4294967295ELNS1_3gpuE0ELNS1_3repE0EEENS1_47radix_sort_onesweep_sort_config_static_selectorELNS0_4arch9wavefront6targetE1EEEvSK_
	.globl	_ZN7rocprim17ROCPRIM_400000_NS6detail17trampoline_kernelINS0_14default_configENS1_35radix_sort_onesweep_config_selectorIjNS0_10empty_typeEEEZZNS1_29radix_sort_onesweep_iterationIS3_Lb0EN6thrust23THRUST_200600_302600_NS6detail15normal_iteratorINS9_10device_ptrIjEEEESE_PS5_SF_jNS0_19identity_decomposerENS1_16block_id_wrapperIjLb0EEEEE10hipError_tT1_PNSt15iterator_traitsISK_E10value_typeET2_T3_PNSL_ISQ_E10value_typeET4_T5_PSV_SW_PNS1_23onesweep_lookback_stateEbbT6_jjT7_P12ihipStream_tbENKUlT_T0_SK_SP_E_clIPjSE_SF_SF_EEDaS13_S14_SK_SP_EUlS13_E_NS1_11comp_targetILNS1_3genE0ELNS1_11target_archE4294967295ELNS1_3gpuE0ELNS1_3repE0EEENS1_47radix_sort_onesweep_sort_config_static_selectorELNS0_4arch9wavefront6targetE1EEEvSK_
	.p2align	8
	.type	_ZN7rocprim17ROCPRIM_400000_NS6detail17trampoline_kernelINS0_14default_configENS1_35radix_sort_onesweep_config_selectorIjNS0_10empty_typeEEEZZNS1_29radix_sort_onesweep_iterationIS3_Lb0EN6thrust23THRUST_200600_302600_NS6detail15normal_iteratorINS9_10device_ptrIjEEEESE_PS5_SF_jNS0_19identity_decomposerENS1_16block_id_wrapperIjLb0EEEEE10hipError_tT1_PNSt15iterator_traitsISK_E10value_typeET2_T3_PNSL_ISQ_E10value_typeET4_T5_PSV_SW_PNS1_23onesweep_lookback_stateEbbT6_jjT7_P12ihipStream_tbENKUlT_T0_SK_SP_E_clIPjSE_SF_SF_EEDaS13_S14_SK_SP_EUlS13_E_NS1_11comp_targetILNS1_3genE0ELNS1_11target_archE4294967295ELNS1_3gpuE0ELNS1_3repE0EEENS1_47radix_sort_onesweep_sort_config_static_selectorELNS0_4arch9wavefront6targetE1EEEvSK_,@function
_ZN7rocprim17ROCPRIM_400000_NS6detail17trampoline_kernelINS0_14default_configENS1_35radix_sort_onesweep_config_selectorIjNS0_10empty_typeEEEZZNS1_29radix_sort_onesweep_iterationIS3_Lb0EN6thrust23THRUST_200600_302600_NS6detail15normal_iteratorINS9_10device_ptrIjEEEESE_PS5_SF_jNS0_19identity_decomposerENS1_16block_id_wrapperIjLb0EEEEE10hipError_tT1_PNSt15iterator_traitsISK_E10value_typeET2_T3_PNSL_ISQ_E10value_typeET4_T5_PSV_SW_PNS1_23onesweep_lookback_stateEbbT6_jjT7_P12ihipStream_tbENKUlT_T0_SK_SP_E_clIPjSE_SF_SF_EEDaS13_S14_SK_SP_EUlS13_E_NS1_11comp_targetILNS1_3genE0ELNS1_11target_archE4294967295ELNS1_3gpuE0ELNS1_3repE0EEENS1_47radix_sort_onesweep_sort_config_static_selectorELNS0_4arch9wavefront6targetE1EEEvSK_: ; @_ZN7rocprim17ROCPRIM_400000_NS6detail17trampoline_kernelINS0_14default_configENS1_35radix_sort_onesweep_config_selectorIjNS0_10empty_typeEEEZZNS1_29radix_sort_onesweep_iterationIS3_Lb0EN6thrust23THRUST_200600_302600_NS6detail15normal_iteratorINS9_10device_ptrIjEEEESE_PS5_SF_jNS0_19identity_decomposerENS1_16block_id_wrapperIjLb0EEEEE10hipError_tT1_PNSt15iterator_traitsISK_E10value_typeET2_T3_PNSL_ISQ_E10value_typeET4_T5_PSV_SW_PNS1_23onesweep_lookback_stateEbbT6_jjT7_P12ihipStream_tbENKUlT_T0_SK_SP_E_clIPjSE_SF_SF_EEDaS13_S14_SK_SP_EUlS13_E_NS1_11comp_targetILNS1_3genE0ELNS1_11target_archE4294967295ELNS1_3gpuE0ELNS1_3repE0EEENS1_47radix_sort_onesweep_sort_config_static_selectorELNS0_4arch9wavefront6targetE1EEEvSK_
; %bb.0:
	.section	.rodata,"a",@progbits
	.p2align	6, 0x0
	.amdhsa_kernel _ZN7rocprim17ROCPRIM_400000_NS6detail17trampoline_kernelINS0_14default_configENS1_35radix_sort_onesweep_config_selectorIjNS0_10empty_typeEEEZZNS1_29radix_sort_onesweep_iterationIS3_Lb0EN6thrust23THRUST_200600_302600_NS6detail15normal_iteratorINS9_10device_ptrIjEEEESE_PS5_SF_jNS0_19identity_decomposerENS1_16block_id_wrapperIjLb0EEEEE10hipError_tT1_PNSt15iterator_traitsISK_E10value_typeET2_T3_PNSL_ISQ_E10value_typeET4_T5_PSV_SW_PNS1_23onesweep_lookback_stateEbbT6_jjT7_P12ihipStream_tbENKUlT_T0_SK_SP_E_clIPjSE_SF_SF_EEDaS13_S14_SK_SP_EUlS13_E_NS1_11comp_targetILNS1_3genE0ELNS1_11target_archE4294967295ELNS1_3gpuE0ELNS1_3repE0EEENS1_47radix_sort_onesweep_sort_config_static_selectorELNS0_4arch9wavefront6targetE1EEEvSK_
		.amdhsa_group_segment_fixed_size 0
		.amdhsa_private_segment_fixed_size 0
		.amdhsa_kernarg_size 88
		.amdhsa_user_sgpr_count 6
		.amdhsa_user_sgpr_private_segment_buffer 1
		.amdhsa_user_sgpr_dispatch_ptr 0
		.amdhsa_user_sgpr_queue_ptr 0
		.amdhsa_user_sgpr_kernarg_segment_ptr 1
		.amdhsa_user_sgpr_dispatch_id 0
		.amdhsa_user_sgpr_flat_scratch_init 0
		.amdhsa_user_sgpr_kernarg_preload_length 0
		.amdhsa_user_sgpr_kernarg_preload_offset 0
		.amdhsa_user_sgpr_private_segment_size 0
		.amdhsa_uses_dynamic_stack 0
		.amdhsa_system_sgpr_private_segment_wavefront_offset 0
		.amdhsa_system_sgpr_workgroup_id_x 1
		.amdhsa_system_sgpr_workgroup_id_y 0
		.amdhsa_system_sgpr_workgroup_id_z 0
		.amdhsa_system_sgpr_workgroup_info 0
		.amdhsa_system_vgpr_workitem_id 0
		.amdhsa_next_free_vgpr 1
		.amdhsa_next_free_sgpr 0
		.amdhsa_accum_offset 4
		.amdhsa_reserve_vcc 0
		.amdhsa_reserve_flat_scratch 0
		.amdhsa_float_round_mode_32 0
		.amdhsa_float_round_mode_16_64 0
		.amdhsa_float_denorm_mode_32 3
		.amdhsa_float_denorm_mode_16_64 3
		.amdhsa_dx10_clamp 1
		.amdhsa_ieee_mode 1
		.amdhsa_fp16_overflow 0
		.amdhsa_tg_split 0
		.amdhsa_exception_fp_ieee_invalid_op 0
		.amdhsa_exception_fp_denorm_src 0
		.amdhsa_exception_fp_ieee_div_zero 0
		.amdhsa_exception_fp_ieee_overflow 0
		.amdhsa_exception_fp_ieee_underflow 0
		.amdhsa_exception_fp_ieee_inexact 0
		.amdhsa_exception_int_div_zero 0
	.end_amdhsa_kernel
	.section	.text._ZN7rocprim17ROCPRIM_400000_NS6detail17trampoline_kernelINS0_14default_configENS1_35radix_sort_onesweep_config_selectorIjNS0_10empty_typeEEEZZNS1_29radix_sort_onesweep_iterationIS3_Lb0EN6thrust23THRUST_200600_302600_NS6detail15normal_iteratorINS9_10device_ptrIjEEEESE_PS5_SF_jNS0_19identity_decomposerENS1_16block_id_wrapperIjLb0EEEEE10hipError_tT1_PNSt15iterator_traitsISK_E10value_typeET2_T3_PNSL_ISQ_E10value_typeET4_T5_PSV_SW_PNS1_23onesweep_lookback_stateEbbT6_jjT7_P12ihipStream_tbENKUlT_T0_SK_SP_E_clIPjSE_SF_SF_EEDaS13_S14_SK_SP_EUlS13_E_NS1_11comp_targetILNS1_3genE0ELNS1_11target_archE4294967295ELNS1_3gpuE0ELNS1_3repE0EEENS1_47radix_sort_onesweep_sort_config_static_selectorELNS0_4arch9wavefront6targetE1EEEvSK_,"axG",@progbits,_ZN7rocprim17ROCPRIM_400000_NS6detail17trampoline_kernelINS0_14default_configENS1_35radix_sort_onesweep_config_selectorIjNS0_10empty_typeEEEZZNS1_29radix_sort_onesweep_iterationIS3_Lb0EN6thrust23THRUST_200600_302600_NS6detail15normal_iteratorINS9_10device_ptrIjEEEESE_PS5_SF_jNS0_19identity_decomposerENS1_16block_id_wrapperIjLb0EEEEE10hipError_tT1_PNSt15iterator_traitsISK_E10value_typeET2_T3_PNSL_ISQ_E10value_typeET4_T5_PSV_SW_PNS1_23onesweep_lookback_stateEbbT6_jjT7_P12ihipStream_tbENKUlT_T0_SK_SP_E_clIPjSE_SF_SF_EEDaS13_S14_SK_SP_EUlS13_E_NS1_11comp_targetILNS1_3genE0ELNS1_11target_archE4294967295ELNS1_3gpuE0ELNS1_3repE0EEENS1_47radix_sort_onesweep_sort_config_static_selectorELNS0_4arch9wavefront6targetE1EEEvSK_,comdat
.Lfunc_end1146:
	.size	_ZN7rocprim17ROCPRIM_400000_NS6detail17trampoline_kernelINS0_14default_configENS1_35radix_sort_onesweep_config_selectorIjNS0_10empty_typeEEEZZNS1_29radix_sort_onesweep_iterationIS3_Lb0EN6thrust23THRUST_200600_302600_NS6detail15normal_iteratorINS9_10device_ptrIjEEEESE_PS5_SF_jNS0_19identity_decomposerENS1_16block_id_wrapperIjLb0EEEEE10hipError_tT1_PNSt15iterator_traitsISK_E10value_typeET2_T3_PNSL_ISQ_E10value_typeET4_T5_PSV_SW_PNS1_23onesweep_lookback_stateEbbT6_jjT7_P12ihipStream_tbENKUlT_T0_SK_SP_E_clIPjSE_SF_SF_EEDaS13_S14_SK_SP_EUlS13_E_NS1_11comp_targetILNS1_3genE0ELNS1_11target_archE4294967295ELNS1_3gpuE0ELNS1_3repE0EEENS1_47radix_sort_onesweep_sort_config_static_selectorELNS0_4arch9wavefront6targetE1EEEvSK_, .Lfunc_end1146-_ZN7rocprim17ROCPRIM_400000_NS6detail17trampoline_kernelINS0_14default_configENS1_35radix_sort_onesweep_config_selectorIjNS0_10empty_typeEEEZZNS1_29radix_sort_onesweep_iterationIS3_Lb0EN6thrust23THRUST_200600_302600_NS6detail15normal_iteratorINS9_10device_ptrIjEEEESE_PS5_SF_jNS0_19identity_decomposerENS1_16block_id_wrapperIjLb0EEEEE10hipError_tT1_PNSt15iterator_traitsISK_E10value_typeET2_T3_PNSL_ISQ_E10value_typeET4_T5_PSV_SW_PNS1_23onesweep_lookback_stateEbbT6_jjT7_P12ihipStream_tbENKUlT_T0_SK_SP_E_clIPjSE_SF_SF_EEDaS13_S14_SK_SP_EUlS13_E_NS1_11comp_targetILNS1_3genE0ELNS1_11target_archE4294967295ELNS1_3gpuE0ELNS1_3repE0EEENS1_47radix_sort_onesweep_sort_config_static_selectorELNS0_4arch9wavefront6targetE1EEEvSK_
                                        ; -- End function
	.section	.AMDGPU.csdata,"",@progbits
; Kernel info:
; codeLenInByte = 0
; NumSgprs: 4
; NumVgprs: 0
; NumAgprs: 0
; TotalNumVgprs: 0
; ScratchSize: 0
; MemoryBound: 0
; FloatMode: 240
; IeeeMode: 1
; LDSByteSize: 0 bytes/workgroup (compile time only)
; SGPRBlocks: 0
; VGPRBlocks: 0
; NumSGPRsForWavesPerEU: 4
; NumVGPRsForWavesPerEU: 1
; AccumOffset: 4
; Occupancy: 8
; WaveLimiterHint : 0
; COMPUTE_PGM_RSRC2:SCRATCH_EN: 0
; COMPUTE_PGM_RSRC2:USER_SGPR: 6
; COMPUTE_PGM_RSRC2:TRAP_HANDLER: 0
; COMPUTE_PGM_RSRC2:TGID_X_EN: 1
; COMPUTE_PGM_RSRC2:TGID_Y_EN: 0
; COMPUTE_PGM_RSRC2:TGID_Z_EN: 0
; COMPUTE_PGM_RSRC2:TIDIG_COMP_CNT: 0
; COMPUTE_PGM_RSRC3_GFX90A:ACCUM_OFFSET: 0
; COMPUTE_PGM_RSRC3_GFX90A:TG_SPLIT: 0
	.section	.text._ZN7rocprim17ROCPRIM_400000_NS6detail17trampoline_kernelINS0_14default_configENS1_35radix_sort_onesweep_config_selectorIjNS0_10empty_typeEEEZZNS1_29radix_sort_onesweep_iterationIS3_Lb0EN6thrust23THRUST_200600_302600_NS6detail15normal_iteratorINS9_10device_ptrIjEEEESE_PS5_SF_jNS0_19identity_decomposerENS1_16block_id_wrapperIjLb0EEEEE10hipError_tT1_PNSt15iterator_traitsISK_E10value_typeET2_T3_PNSL_ISQ_E10value_typeET4_T5_PSV_SW_PNS1_23onesweep_lookback_stateEbbT6_jjT7_P12ihipStream_tbENKUlT_T0_SK_SP_E_clIPjSE_SF_SF_EEDaS13_S14_SK_SP_EUlS13_E_NS1_11comp_targetILNS1_3genE6ELNS1_11target_archE950ELNS1_3gpuE13ELNS1_3repE0EEENS1_47radix_sort_onesweep_sort_config_static_selectorELNS0_4arch9wavefront6targetE1EEEvSK_,"axG",@progbits,_ZN7rocprim17ROCPRIM_400000_NS6detail17trampoline_kernelINS0_14default_configENS1_35radix_sort_onesweep_config_selectorIjNS0_10empty_typeEEEZZNS1_29radix_sort_onesweep_iterationIS3_Lb0EN6thrust23THRUST_200600_302600_NS6detail15normal_iteratorINS9_10device_ptrIjEEEESE_PS5_SF_jNS0_19identity_decomposerENS1_16block_id_wrapperIjLb0EEEEE10hipError_tT1_PNSt15iterator_traitsISK_E10value_typeET2_T3_PNSL_ISQ_E10value_typeET4_T5_PSV_SW_PNS1_23onesweep_lookback_stateEbbT6_jjT7_P12ihipStream_tbENKUlT_T0_SK_SP_E_clIPjSE_SF_SF_EEDaS13_S14_SK_SP_EUlS13_E_NS1_11comp_targetILNS1_3genE6ELNS1_11target_archE950ELNS1_3gpuE13ELNS1_3repE0EEENS1_47radix_sort_onesweep_sort_config_static_selectorELNS0_4arch9wavefront6targetE1EEEvSK_,comdat
	.protected	_ZN7rocprim17ROCPRIM_400000_NS6detail17trampoline_kernelINS0_14default_configENS1_35radix_sort_onesweep_config_selectorIjNS0_10empty_typeEEEZZNS1_29radix_sort_onesweep_iterationIS3_Lb0EN6thrust23THRUST_200600_302600_NS6detail15normal_iteratorINS9_10device_ptrIjEEEESE_PS5_SF_jNS0_19identity_decomposerENS1_16block_id_wrapperIjLb0EEEEE10hipError_tT1_PNSt15iterator_traitsISK_E10value_typeET2_T3_PNSL_ISQ_E10value_typeET4_T5_PSV_SW_PNS1_23onesweep_lookback_stateEbbT6_jjT7_P12ihipStream_tbENKUlT_T0_SK_SP_E_clIPjSE_SF_SF_EEDaS13_S14_SK_SP_EUlS13_E_NS1_11comp_targetILNS1_3genE6ELNS1_11target_archE950ELNS1_3gpuE13ELNS1_3repE0EEENS1_47radix_sort_onesweep_sort_config_static_selectorELNS0_4arch9wavefront6targetE1EEEvSK_ ; -- Begin function _ZN7rocprim17ROCPRIM_400000_NS6detail17trampoline_kernelINS0_14default_configENS1_35radix_sort_onesweep_config_selectorIjNS0_10empty_typeEEEZZNS1_29radix_sort_onesweep_iterationIS3_Lb0EN6thrust23THRUST_200600_302600_NS6detail15normal_iteratorINS9_10device_ptrIjEEEESE_PS5_SF_jNS0_19identity_decomposerENS1_16block_id_wrapperIjLb0EEEEE10hipError_tT1_PNSt15iterator_traitsISK_E10value_typeET2_T3_PNSL_ISQ_E10value_typeET4_T5_PSV_SW_PNS1_23onesweep_lookback_stateEbbT6_jjT7_P12ihipStream_tbENKUlT_T0_SK_SP_E_clIPjSE_SF_SF_EEDaS13_S14_SK_SP_EUlS13_E_NS1_11comp_targetILNS1_3genE6ELNS1_11target_archE950ELNS1_3gpuE13ELNS1_3repE0EEENS1_47radix_sort_onesweep_sort_config_static_selectorELNS0_4arch9wavefront6targetE1EEEvSK_
	.globl	_ZN7rocprim17ROCPRIM_400000_NS6detail17trampoline_kernelINS0_14default_configENS1_35radix_sort_onesweep_config_selectorIjNS0_10empty_typeEEEZZNS1_29radix_sort_onesweep_iterationIS3_Lb0EN6thrust23THRUST_200600_302600_NS6detail15normal_iteratorINS9_10device_ptrIjEEEESE_PS5_SF_jNS0_19identity_decomposerENS1_16block_id_wrapperIjLb0EEEEE10hipError_tT1_PNSt15iterator_traitsISK_E10value_typeET2_T3_PNSL_ISQ_E10value_typeET4_T5_PSV_SW_PNS1_23onesweep_lookback_stateEbbT6_jjT7_P12ihipStream_tbENKUlT_T0_SK_SP_E_clIPjSE_SF_SF_EEDaS13_S14_SK_SP_EUlS13_E_NS1_11comp_targetILNS1_3genE6ELNS1_11target_archE950ELNS1_3gpuE13ELNS1_3repE0EEENS1_47radix_sort_onesweep_sort_config_static_selectorELNS0_4arch9wavefront6targetE1EEEvSK_
	.p2align	8
	.type	_ZN7rocprim17ROCPRIM_400000_NS6detail17trampoline_kernelINS0_14default_configENS1_35radix_sort_onesweep_config_selectorIjNS0_10empty_typeEEEZZNS1_29radix_sort_onesweep_iterationIS3_Lb0EN6thrust23THRUST_200600_302600_NS6detail15normal_iteratorINS9_10device_ptrIjEEEESE_PS5_SF_jNS0_19identity_decomposerENS1_16block_id_wrapperIjLb0EEEEE10hipError_tT1_PNSt15iterator_traitsISK_E10value_typeET2_T3_PNSL_ISQ_E10value_typeET4_T5_PSV_SW_PNS1_23onesweep_lookback_stateEbbT6_jjT7_P12ihipStream_tbENKUlT_T0_SK_SP_E_clIPjSE_SF_SF_EEDaS13_S14_SK_SP_EUlS13_E_NS1_11comp_targetILNS1_3genE6ELNS1_11target_archE950ELNS1_3gpuE13ELNS1_3repE0EEENS1_47radix_sort_onesweep_sort_config_static_selectorELNS0_4arch9wavefront6targetE1EEEvSK_,@function
_ZN7rocprim17ROCPRIM_400000_NS6detail17trampoline_kernelINS0_14default_configENS1_35radix_sort_onesweep_config_selectorIjNS0_10empty_typeEEEZZNS1_29radix_sort_onesweep_iterationIS3_Lb0EN6thrust23THRUST_200600_302600_NS6detail15normal_iteratorINS9_10device_ptrIjEEEESE_PS5_SF_jNS0_19identity_decomposerENS1_16block_id_wrapperIjLb0EEEEE10hipError_tT1_PNSt15iterator_traitsISK_E10value_typeET2_T3_PNSL_ISQ_E10value_typeET4_T5_PSV_SW_PNS1_23onesweep_lookback_stateEbbT6_jjT7_P12ihipStream_tbENKUlT_T0_SK_SP_E_clIPjSE_SF_SF_EEDaS13_S14_SK_SP_EUlS13_E_NS1_11comp_targetILNS1_3genE6ELNS1_11target_archE950ELNS1_3gpuE13ELNS1_3repE0EEENS1_47radix_sort_onesweep_sort_config_static_selectorELNS0_4arch9wavefront6targetE1EEEvSK_: ; @_ZN7rocprim17ROCPRIM_400000_NS6detail17trampoline_kernelINS0_14default_configENS1_35radix_sort_onesweep_config_selectorIjNS0_10empty_typeEEEZZNS1_29radix_sort_onesweep_iterationIS3_Lb0EN6thrust23THRUST_200600_302600_NS6detail15normal_iteratorINS9_10device_ptrIjEEEESE_PS5_SF_jNS0_19identity_decomposerENS1_16block_id_wrapperIjLb0EEEEE10hipError_tT1_PNSt15iterator_traitsISK_E10value_typeET2_T3_PNSL_ISQ_E10value_typeET4_T5_PSV_SW_PNS1_23onesweep_lookback_stateEbbT6_jjT7_P12ihipStream_tbENKUlT_T0_SK_SP_E_clIPjSE_SF_SF_EEDaS13_S14_SK_SP_EUlS13_E_NS1_11comp_targetILNS1_3genE6ELNS1_11target_archE950ELNS1_3gpuE13ELNS1_3repE0EEENS1_47radix_sort_onesweep_sort_config_static_selectorELNS0_4arch9wavefront6targetE1EEEvSK_
; %bb.0:
	.section	.rodata,"a",@progbits
	.p2align	6, 0x0
	.amdhsa_kernel _ZN7rocprim17ROCPRIM_400000_NS6detail17trampoline_kernelINS0_14default_configENS1_35radix_sort_onesweep_config_selectorIjNS0_10empty_typeEEEZZNS1_29radix_sort_onesweep_iterationIS3_Lb0EN6thrust23THRUST_200600_302600_NS6detail15normal_iteratorINS9_10device_ptrIjEEEESE_PS5_SF_jNS0_19identity_decomposerENS1_16block_id_wrapperIjLb0EEEEE10hipError_tT1_PNSt15iterator_traitsISK_E10value_typeET2_T3_PNSL_ISQ_E10value_typeET4_T5_PSV_SW_PNS1_23onesweep_lookback_stateEbbT6_jjT7_P12ihipStream_tbENKUlT_T0_SK_SP_E_clIPjSE_SF_SF_EEDaS13_S14_SK_SP_EUlS13_E_NS1_11comp_targetILNS1_3genE6ELNS1_11target_archE950ELNS1_3gpuE13ELNS1_3repE0EEENS1_47radix_sort_onesweep_sort_config_static_selectorELNS0_4arch9wavefront6targetE1EEEvSK_
		.amdhsa_group_segment_fixed_size 0
		.amdhsa_private_segment_fixed_size 0
		.amdhsa_kernarg_size 88
		.amdhsa_user_sgpr_count 6
		.amdhsa_user_sgpr_private_segment_buffer 1
		.amdhsa_user_sgpr_dispatch_ptr 0
		.amdhsa_user_sgpr_queue_ptr 0
		.amdhsa_user_sgpr_kernarg_segment_ptr 1
		.amdhsa_user_sgpr_dispatch_id 0
		.amdhsa_user_sgpr_flat_scratch_init 0
		.amdhsa_user_sgpr_kernarg_preload_length 0
		.amdhsa_user_sgpr_kernarg_preload_offset 0
		.amdhsa_user_sgpr_private_segment_size 0
		.amdhsa_uses_dynamic_stack 0
		.amdhsa_system_sgpr_private_segment_wavefront_offset 0
		.amdhsa_system_sgpr_workgroup_id_x 1
		.amdhsa_system_sgpr_workgroup_id_y 0
		.amdhsa_system_sgpr_workgroup_id_z 0
		.amdhsa_system_sgpr_workgroup_info 0
		.amdhsa_system_vgpr_workitem_id 0
		.amdhsa_next_free_vgpr 1
		.amdhsa_next_free_sgpr 0
		.amdhsa_accum_offset 4
		.amdhsa_reserve_vcc 0
		.amdhsa_reserve_flat_scratch 0
		.amdhsa_float_round_mode_32 0
		.amdhsa_float_round_mode_16_64 0
		.amdhsa_float_denorm_mode_32 3
		.amdhsa_float_denorm_mode_16_64 3
		.amdhsa_dx10_clamp 1
		.amdhsa_ieee_mode 1
		.amdhsa_fp16_overflow 0
		.amdhsa_tg_split 0
		.amdhsa_exception_fp_ieee_invalid_op 0
		.amdhsa_exception_fp_denorm_src 0
		.amdhsa_exception_fp_ieee_div_zero 0
		.amdhsa_exception_fp_ieee_overflow 0
		.amdhsa_exception_fp_ieee_underflow 0
		.amdhsa_exception_fp_ieee_inexact 0
		.amdhsa_exception_int_div_zero 0
	.end_amdhsa_kernel
	.section	.text._ZN7rocprim17ROCPRIM_400000_NS6detail17trampoline_kernelINS0_14default_configENS1_35radix_sort_onesweep_config_selectorIjNS0_10empty_typeEEEZZNS1_29radix_sort_onesweep_iterationIS3_Lb0EN6thrust23THRUST_200600_302600_NS6detail15normal_iteratorINS9_10device_ptrIjEEEESE_PS5_SF_jNS0_19identity_decomposerENS1_16block_id_wrapperIjLb0EEEEE10hipError_tT1_PNSt15iterator_traitsISK_E10value_typeET2_T3_PNSL_ISQ_E10value_typeET4_T5_PSV_SW_PNS1_23onesweep_lookback_stateEbbT6_jjT7_P12ihipStream_tbENKUlT_T0_SK_SP_E_clIPjSE_SF_SF_EEDaS13_S14_SK_SP_EUlS13_E_NS1_11comp_targetILNS1_3genE6ELNS1_11target_archE950ELNS1_3gpuE13ELNS1_3repE0EEENS1_47radix_sort_onesweep_sort_config_static_selectorELNS0_4arch9wavefront6targetE1EEEvSK_,"axG",@progbits,_ZN7rocprim17ROCPRIM_400000_NS6detail17trampoline_kernelINS0_14default_configENS1_35radix_sort_onesweep_config_selectorIjNS0_10empty_typeEEEZZNS1_29radix_sort_onesweep_iterationIS3_Lb0EN6thrust23THRUST_200600_302600_NS6detail15normal_iteratorINS9_10device_ptrIjEEEESE_PS5_SF_jNS0_19identity_decomposerENS1_16block_id_wrapperIjLb0EEEEE10hipError_tT1_PNSt15iterator_traitsISK_E10value_typeET2_T3_PNSL_ISQ_E10value_typeET4_T5_PSV_SW_PNS1_23onesweep_lookback_stateEbbT6_jjT7_P12ihipStream_tbENKUlT_T0_SK_SP_E_clIPjSE_SF_SF_EEDaS13_S14_SK_SP_EUlS13_E_NS1_11comp_targetILNS1_3genE6ELNS1_11target_archE950ELNS1_3gpuE13ELNS1_3repE0EEENS1_47radix_sort_onesweep_sort_config_static_selectorELNS0_4arch9wavefront6targetE1EEEvSK_,comdat
.Lfunc_end1147:
	.size	_ZN7rocprim17ROCPRIM_400000_NS6detail17trampoline_kernelINS0_14default_configENS1_35radix_sort_onesweep_config_selectorIjNS0_10empty_typeEEEZZNS1_29radix_sort_onesweep_iterationIS3_Lb0EN6thrust23THRUST_200600_302600_NS6detail15normal_iteratorINS9_10device_ptrIjEEEESE_PS5_SF_jNS0_19identity_decomposerENS1_16block_id_wrapperIjLb0EEEEE10hipError_tT1_PNSt15iterator_traitsISK_E10value_typeET2_T3_PNSL_ISQ_E10value_typeET4_T5_PSV_SW_PNS1_23onesweep_lookback_stateEbbT6_jjT7_P12ihipStream_tbENKUlT_T0_SK_SP_E_clIPjSE_SF_SF_EEDaS13_S14_SK_SP_EUlS13_E_NS1_11comp_targetILNS1_3genE6ELNS1_11target_archE950ELNS1_3gpuE13ELNS1_3repE0EEENS1_47radix_sort_onesweep_sort_config_static_selectorELNS0_4arch9wavefront6targetE1EEEvSK_, .Lfunc_end1147-_ZN7rocprim17ROCPRIM_400000_NS6detail17trampoline_kernelINS0_14default_configENS1_35radix_sort_onesweep_config_selectorIjNS0_10empty_typeEEEZZNS1_29radix_sort_onesweep_iterationIS3_Lb0EN6thrust23THRUST_200600_302600_NS6detail15normal_iteratorINS9_10device_ptrIjEEEESE_PS5_SF_jNS0_19identity_decomposerENS1_16block_id_wrapperIjLb0EEEEE10hipError_tT1_PNSt15iterator_traitsISK_E10value_typeET2_T3_PNSL_ISQ_E10value_typeET4_T5_PSV_SW_PNS1_23onesweep_lookback_stateEbbT6_jjT7_P12ihipStream_tbENKUlT_T0_SK_SP_E_clIPjSE_SF_SF_EEDaS13_S14_SK_SP_EUlS13_E_NS1_11comp_targetILNS1_3genE6ELNS1_11target_archE950ELNS1_3gpuE13ELNS1_3repE0EEENS1_47radix_sort_onesweep_sort_config_static_selectorELNS0_4arch9wavefront6targetE1EEEvSK_
                                        ; -- End function
	.section	.AMDGPU.csdata,"",@progbits
; Kernel info:
; codeLenInByte = 0
; NumSgprs: 4
; NumVgprs: 0
; NumAgprs: 0
; TotalNumVgprs: 0
; ScratchSize: 0
; MemoryBound: 0
; FloatMode: 240
; IeeeMode: 1
; LDSByteSize: 0 bytes/workgroup (compile time only)
; SGPRBlocks: 0
; VGPRBlocks: 0
; NumSGPRsForWavesPerEU: 4
; NumVGPRsForWavesPerEU: 1
; AccumOffset: 4
; Occupancy: 8
; WaveLimiterHint : 0
; COMPUTE_PGM_RSRC2:SCRATCH_EN: 0
; COMPUTE_PGM_RSRC2:USER_SGPR: 6
; COMPUTE_PGM_RSRC2:TRAP_HANDLER: 0
; COMPUTE_PGM_RSRC2:TGID_X_EN: 1
; COMPUTE_PGM_RSRC2:TGID_Y_EN: 0
; COMPUTE_PGM_RSRC2:TGID_Z_EN: 0
; COMPUTE_PGM_RSRC2:TIDIG_COMP_CNT: 0
; COMPUTE_PGM_RSRC3_GFX90A:ACCUM_OFFSET: 0
; COMPUTE_PGM_RSRC3_GFX90A:TG_SPLIT: 0
	.section	.text._ZN7rocprim17ROCPRIM_400000_NS6detail17trampoline_kernelINS0_14default_configENS1_35radix_sort_onesweep_config_selectorIjNS0_10empty_typeEEEZZNS1_29radix_sort_onesweep_iterationIS3_Lb0EN6thrust23THRUST_200600_302600_NS6detail15normal_iteratorINS9_10device_ptrIjEEEESE_PS5_SF_jNS0_19identity_decomposerENS1_16block_id_wrapperIjLb0EEEEE10hipError_tT1_PNSt15iterator_traitsISK_E10value_typeET2_T3_PNSL_ISQ_E10value_typeET4_T5_PSV_SW_PNS1_23onesweep_lookback_stateEbbT6_jjT7_P12ihipStream_tbENKUlT_T0_SK_SP_E_clIPjSE_SF_SF_EEDaS13_S14_SK_SP_EUlS13_E_NS1_11comp_targetILNS1_3genE5ELNS1_11target_archE942ELNS1_3gpuE9ELNS1_3repE0EEENS1_47radix_sort_onesweep_sort_config_static_selectorELNS0_4arch9wavefront6targetE1EEEvSK_,"axG",@progbits,_ZN7rocprim17ROCPRIM_400000_NS6detail17trampoline_kernelINS0_14default_configENS1_35radix_sort_onesweep_config_selectorIjNS0_10empty_typeEEEZZNS1_29radix_sort_onesweep_iterationIS3_Lb0EN6thrust23THRUST_200600_302600_NS6detail15normal_iteratorINS9_10device_ptrIjEEEESE_PS5_SF_jNS0_19identity_decomposerENS1_16block_id_wrapperIjLb0EEEEE10hipError_tT1_PNSt15iterator_traitsISK_E10value_typeET2_T3_PNSL_ISQ_E10value_typeET4_T5_PSV_SW_PNS1_23onesweep_lookback_stateEbbT6_jjT7_P12ihipStream_tbENKUlT_T0_SK_SP_E_clIPjSE_SF_SF_EEDaS13_S14_SK_SP_EUlS13_E_NS1_11comp_targetILNS1_3genE5ELNS1_11target_archE942ELNS1_3gpuE9ELNS1_3repE0EEENS1_47radix_sort_onesweep_sort_config_static_selectorELNS0_4arch9wavefront6targetE1EEEvSK_,comdat
	.protected	_ZN7rocprim17ROCPRIM_400000_NS6detail17trampoline_kernelINS0_14default_configENS1_35radix_sort_onesweep_config_selectorIjNS0_10empty_typeEEEZZNS1_29radix_sort_onesweep_iterationIS3_Lb0EN6thrust23THRUST_200600_302600_NS6detail15normal_iteratorINS9_10device_ptrIjEEEESE_PS5_SF_jNS0_19identity_decomposerENS1_16block_id_wrapperIjLb0EEEEE10hipError_tT1_PNSt15iterator_traitsISK_E10value_typeET2_T3_PNSL_ISQ_E10value_typeET4_T5_PSV_SW_PNS1_23onesweep_lookback_stateEbbT6_jjT7_P12ihipStream_tbENKUlT_T0_SK_SP_E_clIPjSE_SF_SF_EEDaS13_S14_SK_SP_EUlS13_E_NS1_11comp_targetILNS1_3genE5ELNS1_11target_archE942ELNS1_3gpuE9ELNS1_3repE0EEENS1_47radix_sort_onesweep_sort_config_static_selectorELNS0_4arch9wavefront6targetE1EEEvSK_ ; -- Begin function _ZN7rocprim17ROCPRIM_400000_NS6detail17trampoline_kernelINS0_14default_configENS1_35radix_sort_onesweep_config_selectorIjNS0_10empty_typeEEEZZNS1_29radix_sort_onesweep_iterationIS3_Lb0EN6thrust23THRUST_200600_302600_NS6detail15normal_iteratorINS9_10device_ptrIjEEEESE_PS5_SF_jNS0_19identity_decomposerENS1_16block_id_wrapperIjLb0EEEEE10hipError_tT1_PNSt15iterator_traitsISK_E10value_typeET2_T3_PNSL_ISQ_E10value_typeET4_T5_PSV_SW_PNS1_23onesweep_lookback_stateEbbT6_jjT7_P12ihipStream_tbENKUlT_T0_SK_SP_E_clIPjSE_SF_SF_EEDaS13_S14_SK_SP_EUlS13_E_NS1_11comp_targetILNS1_3genE5ELNS1_11target_archE942ELNS1_3gpuE9ELNS1_3repE0EEENS1_47radix_sort_onesweep_sort_config_static_selectorELNS0_4arch9wavefront6targetE1EEEvSK_
	.globl	_ZN7rocprim17ROCPRIM_400000_NS6detail17trampoline_kernelINS0_14default_configENS1_35radix_sort_onesweep_config_selectorIjNS0_10empty_typeEEEZZNS1_29radix_sort_onesweep_iterationIS3_Lb0EN6thrust23THRUST_200600_302600_NS6detail15normal_iteratorINS9_10device_ptrIjEEEESE_PS5_SF_jNS0_19identity_decomposerENS1_16block_id_wrapperIjLb0EEEEE10hipError_tT1_PNSt15iterator_traitsISK_E10value_typeET2_T3_PNSL_ISQ_E10value_typeET4_T5_PSV_SW_PNS1_23onesweep_lookback_stateEbbT6_jjT7_P12ihipStream_tbENKUlT_T0_SK_SP_E_clIPjSE_SF_SF_EEDaS13_S14_SK_SP_EUlS13_E_NS1_11comp_targetILNS1_3genE5ELNS1_11target_archE942ELNS1_3gpuE9ELNS1_3repE0EEENS1_47radix_sort_onesweep_sort_config_static_selectorELNS0_4arch9wavefront6targetE1EEEvSK_
	.p2align	8
	.type	_ZN7rocprim17ROCPRIM_400000_NS6detail17trampoline_kernelINS0_14default_configENS1_35radix_sort_onesweep_config_selectorIjNS0_10empty_typeEEEZZNS1_29radix_sort_onesweep_iterationIS3_Lb0EN6thrust23THRUST_200600_302600_NS6detail15normal_iteratorINS9_10device_ptrIjEEEESE_PS5_SF_jNS0_19identity_decomposerENS1_16block_id_wrapperIjLb0EEEEE10hipError_tT1_PNSt15iterator_traitsISK_E10value_typeET2_T3_PNSL_ISQ_E10value_typeET4_T5_PSV_SW_PNS1_23onesweep_lookback_stateEbbT6_jjT7_P12ihipStream_tbENKUlT_T0_SK_SP_E_clIPjSE_SF_SF_EEDaS13_S14_SK_SP_EUlS13_E_NS1_11comp_targetILNS1_3genE5ELNS1_11target_archE942ELNS1_3gpuE9ELNS1_3repE0EEENS1_47radix_sort_onesweep_sort_config_static_selectorELNS0_4arch9wavefront6targetE1EEEvSK_,@function
_ZN7rocprim17ROCPRIM_400000_NS6detail17trampoline_kernelINS0_14default_configENS1_35radix_sort_onesweep_config_selectorIjNS0_10empty_typeEEEZZNS1_29radix_sort_onesweep_iterationIS3_Lb0EN6thrust23THRUST_200600_302600_NS6detail15normal_iteratorINS9_10device_ptrIjEEEESE_PS5_SF_jNS0_19identity_decomposerENS1_16block_id_wrapperIjLb0EEEEE10hipError_tT1_PNSt15iterator_traitsISK_E10value_typeET2_T3_PNSL_ISQ_E10value_typeET4_T5_PSV_SW_PNS1_23onesweep_lookback_stateEbbT6_jjT7_P12ihipStream_tbENKUlT_T0_SK_SP_E_clIPjSE_SF_SF_EEDaS13_S14_SK_SP_EUlS13_E_NS1_11comp_targetILNS1_3genE5ELNS1_11target_archE942ELNS1_3gpuE9ELNS1_3repE0EEENS1_47radix_sort_onesweep_sort_config_static_selectorELNS0_4arch9wavefront6targetE1EEEvSK_: ; @_ZN7rocprim17ROCPRIM_400000_NS6detail17trampoline_kernelINS0_14default_configENS1_35radix_sort_onesweep_config_selectorIjNS0_10empty_typeEEEZZNS1_29radix_sort_onesweep_iterationIS3_Lb0EN6thrust23THRUST_200600_302600_NS6detail15normal_iteratorINS9_10device_ptrIjEEEESE_PS5_SF_jNS0_19identity_decomposerENS1_16block_id_wrapperIjLb0EEEEE10hipError_tT1_PNSt15iterator_traitsISK_E10value_typeET2_T3_PNSL_ISQ_E10value_typeET4_T5_PSV_SW_PNS1_23onesweep_lookback_stateEbbT6_jjT7_P12ihipStream_tbENKUlT_T0_SK_SP_E_clIPjSE_SF_SF_EEDaS13_S14_SK_SP_EUlS13_E_NS1_11comp_targetILNS1_3genE5ELNS1_11target_archE942ELNS1_3gpuE9ELNS1_3repE0EEENS1_47radix_sort_onesweep_sort_config_static_selectorELNS0_4arch9wavefront6targetE1EEEvSK_
; %bb.0:
	.section	.rodata,"a",@progbits
	.p2align	6, 0x0
	.amdhsa_kernel _ZN7rocprim17ROCPRIM_400000_NS6detail17trampoline_kernelINS0_14default_configENS1_35radix_sort_onesweep_config_selectorIjNS0_10empty_typeEEEZZNS1_29radix_sort_onesweep_iterationIS3_Lb0EN6thrust23THRUST_200600_302600_NS6detail15normal_iteratorINS9_10device_ptrIjEEEESE_PS5_SF_jNS0_19identity_decomposerENS1_16block_id_wrapperIjLb0EEEEE10hipError_tT1_PNSt15iterator_traitsISK_E10value_typeET2_T3_PNSL_ISQ_E10value_typeET4_T5_PSV_SW_PNS1_23onesweep_lookback_stateEbbT6_jjT7_P12ihipStream_tbENKUlT_T0_SK_SP_E_clIPjSE_SF_SF_EEDaS13_S14_SK_SP_EUlS13_E_NS1_11comp_targetILNS1_3genE5ELNS1_11target_archE942ELNS1_3gpuE9ELNS1_3repE0EEENS1_47radix_sort_onesweep_sort_config_static_selectorELNS0_4arch9wavefront6targetE1EEEvSK_
		.amdhsa_group_segment_fixed_size 0
		.amdhsa_private_segment_fixed_size 0
		.amdhsa_kernarg_size 88
		.amdhsa_user_sgpr_count 6
		.amdhsa_user_sgpr_private_segment_buffer 1
		.amdhsa_user_sgpr_dispatch_ptr 0
		.amdhsa_user_sgpr_queue_ptr 0
		.amdhsa_user_sgpr_kernarg_segment_ptr 1
		.amdhsa_user_sgpr_dispatch_id 0
		.amdhsa_user_sgpr_flat_scratch_init 0
		.amdhsa_user_sgpr_kernarg_preload_length 0
		.amdhsa_user_sgpr_kernarg_preload_offset 0
		.amdhsa_user_sgpr_private_segment_size 0
		.amdhsa_uses_dynamic_stack 0
		.amdhsa_system_sgpr_private_segment_wavefront_offset 0
		.amdhsa_system_sgpr_workgroup_id_x 1
		.amdhsa_system_sgpr_workgroup_id_y 0
		.amdhsa_system_sgpr_workgroup_id_z 0
		.amdhsa_system_sgpr_workgroup_info 0
		.amdhsa_system_vgpr_workitem_id 0
		.amdhsa_next_free_vgpr 1
		.amdhsa_next_free_sgpr 0
		.amdhsa_accum_offset 4
		.amdhsa_reserve_vcc 0
		.amdhsa_reserve_flat_scratch 0
		.amdhsa_float_round_mode_32 0
		.amdhsa_float_round_mode_16_64 0
		.amdhsa_float_denorm_mode_32 3
		.amdhsa_float_denorm_mode_16_64 3
		.amdhsa_dx10_clamp 1
		.amdhsa_ieee_mode 1
		.amdhsa_fp16_overflow 0
		.amdhsa_tg_split 0
		.amdhsa_exception_fp_ieee_invalid_op 0
		.amdhsa_exception_fp_denorm_src 0
		.amdhsa_exception_fp_ieee_div_zero 0
		.amdhsa_exception_fp_ieee_overflow 0
		.amdhsa_exception_fp_ieee_underflow 0
		.amdhsa_exception_fp_ieee_inexact 0
		.amdhsa_exception_int_div_zero 0
	.end_amdhsa_kernel
	.section	.text._ZN7rocprim17ROCPRIM_400000_NS6detail17trampoline_kernelINS0_14default_configENS1_35radix_sort_onesweep_config_selectorIjNS0_10empty_typeEEEZZNS1_29radix_sort_onesweep_iterationIS3_Lb0EN6thrust23THRUST_200600_302600_NS6detail15normal_iteratorINS9_10device_ptrIjEEEESE_PS5_SF_jNS0_19identity_decomposerENS1_16block_id_wrapperIjLb0EEEEE10hipError_tT1_PNSt15iterator_traitsISK_E10value_typeET2_T3_PNSL_ISQ_E10value_typeET4_T5_PSV_SW_PNS1_23onesweep_lookback_stateEbbT6_jjT7_P12ihipStream_tbENKUlT_T0_SK_SP_E_clIPjSE_SF_SF_EEDaS13_S14_SK_SP_EUlS13_E_NS1_11comp_targetILNS1_3genE5ELNS1_11target_archE942ELNS1_3gpuE9ELNS1_3repE0EEENS1_47radix_sort_onesweep_sort_config_static_selectorELNS0_4arch9wavefront6targetE1EEEvSK_,"axG",@progbits,_ZN7rocprim17ROCPRIM_400000_NS6detail17trampoline_kernelINS0_14default_configENS1_35radix_sort_onesweep_config_selectorIjNS0_10empty_typeEEEZZNS1_29radix_sort_onesweep_iterationIS3_Lb0EN6thrust23THRUST_200600_302600_NS6detail15normal_iteratorINS9_10device_ptrIjEEEESE_PS5_SF_jNS0_19identity_decomposerENS1_16block_id_wrapperIjLb0EEEEE10hipError_tT1_PNSt15iterator_traitsISK_E10value_typeET2_T3_PNSL_ISQ_E10value_typeET4_T5_PSV_SW_PNS1_23onesweep_lookback_stateEbbT6_jjT7_P12ihipStream_tbENKUlT_T0_SK_SP_E_clIPjSE_SF_SF_EEDaS13_S14_SK_SP_EUlS13_E_NS1_11comp_targetILNS1_3genE5ELNS1_11target_archE942ELNS1_3gpuE9ELNS1_3repE0EEENS1_47radix_sort_onesweep_sort_config_static_selectorELNS0_4arch9wavefront6targetE1EEEvSK_,comdat
.Lfunc_end1148:
	.size	_ZN7rocprim17ROCPRIM_400000_NS6detail17trampoline_kernelINS0_14default_configENS1_35radix_sort_onesweep_config_selectorIjNS0_10empty_typeEEEZZNS1_29radix_sort_onesweep_iterationIS3_Lb0EN6thrust23THRUST_200600_302600_NS6detail15normal_iteratorINS9_10device_ptrIjEEEESE_PS5_SF_jNS0_19identity_decomposerENS1_16block_id_wrapperIjLb0EEEEE10hipError_tT1_PNSt15iterator_traitsISK_E10value_typeET2_T3_PNSL_ISQ_E10value_typeET4_T5_PSV_SW_PNS1_23onesweep_lookback_stateEbbT6_jjT7_P12ihipStream_tbENKUlT_T0_SK_SP_E_clIPjSE_SF_SF_EEDaS13_S14_SK_SP_EUlS13_E_NS1_11comp_targetILNS1_3genE5ELNS1_11target_archE942ELNS1_3gpuE9ELNS1_3repE0EEENS1_47radix_sort_onesweep_sort_config_static_selectorELNS0_4arch9wavefront6targetE1EEEvSK_, .Lfunc_end1148-_ZN7rocprim17ROCPRIM_400000_NS6detail17trampoline_kernelINS0_14default_configENS1_35radix_sort_onesweep_config_selectorIjNS0_10empty_typeEEEZZNS1_29radix_sort_onesweep_iterationIS3_Lb0EN6thrust23THRUST_200600_302600_NS6detail15normal_iteratorINS9_10device_ptrIjEEEESE_PS5_SF_jNS0_19identity_decomposerENS1_16block_id_wrapperIjLb0EEEEE10hipError_tT1_PNSt15iterator_traitsISK_E10value_typeET2_T3_PNSL_ISQ_E10value_typeET4_T5_PSV_SW_PNS1_23onesweep_lookback_stateEbbT6_jjT7_P12ihipStream_tbENKUlT_T0_SK_SP_E_clIPjSE_SF_SF_EEDaS13_S14_SK_SP_EUlS13_E_NS1_11comp_targetILNS1_3genE5ELNS1_11target_archE942ELNS1_3gpuE9ELNS1_3repE0EEENS1_47radix_sort_onesweep_sort_config_static_selectorELNS0_4arch9wavefront6targetE1EEEvSK_
                                        ; -- End function
	.section	.AMDGPU.csdata,"",@progbits
; Kernel info:
; codeLenInByte = 0
; NumSgprs: 4
; NumVgprs: 0
; NumAgprs: 0
; TotalNumVgprs: 0
; ScratchSize: 0
; MemoryBound: 0
; FloatMode: 240
; IeeeMode: 1
; LDSByteSize: 0 bytes/workgroup (compile time only)
; SGPRBlocks: 0
; VGPRBlocks: 0
; NumSGPRsForWavesPerEU: 4
; NumVGPRsForWavesPerEU: 1
; AccumOffset: 4
; Occupancy: 8
; WaveLimiterHint : 0
; COMPUTE_PGM_RSRC2:SCRATCH_EN: 0
; COMPUTE_PGM_RSRC2:USER_SGPR: 6
; COMPUTE_PGM_RSRC2:TRAP_HANDLER: 0
; COMPUTE_PGM_RSRC2:TGID_X_EN: 1
; COMPUTE_PGM_RSRC2:TGID_Y_EN: 0
; COMPUTE_PGM_RSRC2:TGID_Z_EN: 0
; COMPUTE_PGM_RSRC2:TIDIG_COMP_CNT: 0
; COMPUTE_PGM_RSRC3_GFX90A:ACCUM_OFFSET: 0
; COMPUTE_PGM_RSRC3_GFX90A:TG_SPLIT: 0
	.section	.text._ZN7rocprim17ROCPRIM_400000_NS6detail17trampoline_kernelINS0_14default_configENS1_35radix_sort_onesweep_config_selectorIjNS0_10empty_typeEEEZZNS1_29radix_sort_onesweep_iterationIS3_Lb0EN6thrust23THRUST_200600_302600_NS6detail15normal_iteratorINS9_10device_ptrIjEEEESE_PS5_SF_jNS0_19identity_decomposerENS1_16block_id_wrapperIjLb0EEEEE10hipError_tT1_PNSt15iterator_traitsISK_E10value_typeET2_T3_PNSL_ISQ_E10value_typeET4_T5_PSV_SW_PNS1_23onesweep_lookback_stateEbbT6_jjT7_P12ihipStream_tbENKUlT_T0_SK_SP_E_clIPjSE_SF_SF_EEDaS13_S14_SK_SP_EUlS13_E_NS1_11comp_targetILNS1_3genE2ELNS1_11target_archE906ELNS1_3gpuE6ELNS1_3repE0EEENS1_47radix_sort_onesweep_sort_config_static_selectorELNS0_4arch9wavefront6targetE1EEEvSK_,"axG",@progbits,_ZN7rocprim17ROCPRIM_400000_NS6detail17trampoline_kernelINS0_14default_configENS1_35radix_sort_onesweep_config_selectorIjNS0_10empty_typeEEEZZNS1_29radix_sort_onesweep_iterationIS3_Lb0EN6thrust23THRUST_200600_302600_NS6detail15normal_iteratorINS9_10device_ptrIjEEEESE_PS5_SF_jNS0_19identity_decomposerENS1_16block_id_wrapperIjLb0EEEEE10hipError_tT1_PNSt15iterator_traitsISK_E10value_typeET2_T3_PNSL_ISQ_E10value_typeET4_T5_PSV_SW_PNS1_23onesweep_lookback_stateEbbT6_jjT7_P12ihipStream_tbENKUlT_T0_SK_SP_E_clIPjSE_SF_SF_EEDaS13_S14_SK_SP_EUlS13_E_NS1_11comp_targetILNS1_3genE2ELNS1_11target_archE906ELNS1_3gpuE6ELNS1_3repE0EEENS1_47radix_sort_onesweep_sort_config_static_selectorELNS0_4arch9wavefront6targetE1EEEvSK_,comdat
	.protected	_ZN7rocprim17ROCPRIM_400000_NS6detail17trampoline_kernelINS0_14default_configENS1_35radix_sort_onesweep_config_selectorIjNS0_10empty_typeEEEZZNS1_29radix_sort_onesweep_iterationIS3_Lb0EN6thrust23THRUST_200600_302600_NS6detail15normal_iteratorINS9_10device_ptrIjEEEESE_PS5_SF_jNS0_19identity_decomposerENS1_16block_id_wrapperIjLb0EEEEE10hipError_tT1_PNSt15iterator_traitsISK_E10value_typeET2_T3_PNSL_ISQ_E10value_typeET4_T5_PSV_SW_PNS1_23onesweep_lookback_stateEbbT6_jjT7_P12ihipStream_tbENKUlT_T0_SK_SP_E_clIPjSE_SF_SF_EEDaS13_S14_SK_SP_EUlS13_E_NS1_11comp_targetILNS1_3genE2ELNS1_11target_archE906ELNS1_3gpuE6ELNS1_3repE0EEENS1_47radix_sort_onesweep_sort_config_static_selectorELNS0_4arch9wavefront6targetE1EEEvSK_ ; -- Begin function _ZN7rocprim17ROCPRIM_400000_NS6detail17trampoline_kernelINS0_14default_configENS1_35radix_sort_onesweep_config_selectorIjNS0_10empty_typeEEEZZNS1_29radix_sort_onesweep_iterationIS3_Lb0EN6thrust23THRUST_200600_302600_NS6detail15normal_iteratorINS9_10device_ptrIjEEEESE_PS5_SF_jNS0_19identity_decomposerENS1_16block_id_wrapperIjLb0EEEEE10hipError_tT1_PNSt15iterator_traitsISK_E10value_typeET2_T3_PNSL_ISQ_E10value_typeET4_T5_PSV_SW_PNS1_23onesweep_lookback_stateEbbT6_jjT7_P12ihipStream_tbENKUlT_T0_SK_SP_E_clIPjSE_SF_SF_EEDaS13_S14_SK_SP_EUlS13_E_NS1_11comp_targetILNS1_3genE2ELNS1_11target_archE906ELNS1_3gpuE6ELNS1_3repE0EEENS1_47radix_sort_onesweep_sort_config_static_selectorELNS0_4arch9wavefront6targetE1EEEvSK_
	.globl	_ZN7rocprim17ROCPRIM_400000_NS6detail17trampoline_kernelINS0_14default_configENS1_35radix_sort_onesweep_config_selectorIjNS0_10empty_typeEEEZZNS1_29radix_sort_onesweep_iterationIS3_Lb0EN6thrust23THRUST_200600_302600_NS6detail15normal_iteratorINS9_10device_ptrIjEEEESE_PS5_SF_jNS0_19identity_decomposerENS1_16block_id_wrapperIjLb0EEEEE10hipError_tT1_PNSt15iterator_traitsISK_E10value_typeET2_T3_PNSL_ISQ_E10value_typeET4_T5_PSV_SW_PNS1_23onesweep_lookback_stateEbbT6_jjT7_P12ihipStream_tbENKUlT_T0_SK_SP_E_clIPjSE_SF_SF_EEDaS13_S14_SK_SP_EUlS13_E_NS1_11comp_targetILNS1_3genE2ELNS1_11target_archE906ELNS1_3gpuE6ELNS1_3repE0EEENS1_47radix_sort_onesweep_sort_config_static_selectorELNS0_4arch9wavefront6targetE1EEEvSK_
	.p2align	8
	.type	_ZN7rocprim17ROCPRIM_400000_NS6detail17trampoline_kernelINS0_14default_configENS1_35radix_sort_onesweep_config_selectorIjNS0_10empty_typeEEEZZNS1_29radix_sort_onesweep_iterationIS3_Lb0EN6thrust23THRUST_200600_302600_NS6detail15normal_iteratorINS9_10device_ptrIjEEEESE_PS5_SF_jNS0_19identity_decomposerENS1_16block_id_wrapperIjLb0EEEEE10hipError_tT1_PNSt15iterator_traitsISK_E10value_typeET2_T3_PNSL_ISQ_E10value_typeET4_T5_PSV_SW_PNS1_23onesweep_lookback_stateEbbT6_jjT7_P12ihipStream_tbENKUlT_T0_SK_SP_E_clIPjSE_SF_SF_EEDaS13_S14_SK_SP_EUlS13_E_NS1_11comp_targetILNS1_3genE2ELNS1_11target_archE906ELNS1_3gpuE6ELNS1_3repE0EEENS1_47radix_sort_onesweep_sort_config_static_selectorELNS0_4arch9wavefront6targetE1EEEvSK_,@function
_ZN7rocprim17ROCPRIM_400000_NS6detail17trampoline_kernelINS0_14default_configENS1_35radix_sort_onesweep_config_selectorIjNS0_10empty_typeEEEZZNS1_29radix_sort_onesweep_iterationIS3_Lb0EN6thrust23THRUST_200600_302600_NS6detail15normal_iteratorINS9_10device_ptrIjEEEESE_PS5_SF_jNS0_19identity_decomposerENS1_16block_id_wrapperIjLb0EEEEE10hipError_tT1_PNSt15iterator_traitsISK_E10value_typeET2_T3_PNSL_ISQ_E10value_typeET4_T5_PSV_SW_PNS1_23onesweep_lookback_stateEbbT6_jjT7_P12ihipStream_tbENKUlT_T0_SK_SP_E_clIPjSE_SF_SF_EEDaS13_S14_SK_SP_EUlS13_E_NS1_11comp_targetILNS1_3genE2ELNS1_11target_archE906ELNS1_3gpuE6ELNS1_3repE0EEENS1_47radix_sort_onesweep_sort_config_static_selectorELNS0_4arch9wavefront6targetE1EEEvSK_: ; @_ZN7rocprim17ROCPRIM_400000_NS6detail17trampoline_kernelINS0_14default_configENS1_35radix_sort_onesweep_config_selectorIjNS0_10empty_typeEEEZZNS1_29radix_sort_onesweep_iterationIS3_Lb0EN6thrust23THRUST_200600_302600_NS6detail15normal_iteratorINS9_10device_ptrIjEEEESE_PS5_SF_jNS0_19identity_decomposerENS1_16block_id_wrapperIjLb0EEEEE10hipError_tT1_PNSt15iterator_traitsISK_E10value_typeET2_T3_PNSL_ISQ_E10value_typeET4_T5_PSV_SW_PNS1_23onesweep_lookback_stateEbbT6_jjT7_P12ihipStream_tbENKUlT_T0_SK_SP_E_clIPjSE_SF_SF_EEDaS13_S14_SK_SP_EUlS13_E_NS1_11comp_targetILNS1_3genE2ELNS1_11target_archE906ELNS1_3gpuE6ELNS1_3repE0EEENS1_47radix_sort_onesweep_sort_config_static_selectorELNS0_4arch9wavefront6targetE1EEEvSK_
; %bb.0:
	.section	.rodata,"a",@progbits
	.p2align	6, 0x0
	.amdhsa_kernel _ZN7rocprim17ROCPRIM_400000_NS6detail17trampoline_kernelINS0_14default_configENS1_35radix_sort_onesweep_config_selectorIjNS0_10empty_typeEEEZZNS1_29radix_sort_onesweep_iterationIS3_Lb0EN6thrust23THRUST_200600_302600_NS6detail15normal_iteratorINS9_10device_ptrIjEEEESE_PS5_SF_jNS0_19identity_decomposerENS1_16block_id_wrapperIjLb0EEEEE10hipError_tT1_PNSt15iterator_traitsISK_E10value_typeET2_T3_PNSL_ISQ_E10value_typeET4_T5_PSV_SW_PNS1_23onesweep_lookback_stateEbbT6_jjT7_P12ihipStream_tbENKUlT_T0_SK_SP_E_clIPjSE_SF_SF_EEDaS13_S14_SK_SP_EUlS13_E_NS1_11comp_targetILNS1_3genE2ELNS1_11target_archE906ELNS1_3gpuE6ELNS1_3repE0EEENS1_47radix_sort_onesweep_sort_config_static_selectorELNS0_4arch9wavefront6targetE1EEEvSK_
		.amdhsa_group_segment_fixed_size 0
		.amdhsa_private_segment_fixed_size 0
		.amdhsa_kernarg_size 88
		.amdhsa_user_sgpr_count 6
		.amdhsa_user_sgpr_private_segment_buffer 1
		.amdhsa_user_sgpr_dispatch_ptr 0
		.amdhsa_user_sgpr_queue_ptr 0
		.amdhsa_user_sgpr_kernarg_segment_ptr 1
		.amdhsa_user_sgpr_dispatch_id 0
		.amdhsa_user_sgpr_flat_scratch_init 0
		.amdhsa_user_sgpr_kernarg_preload_length 0
		.amdhsa_user_sgpr_kernarg_preload_offset 0
		.amdhsa_user_sgpr_private_segment_size 0
		.amdhsa_uses_dynamic_stack 0
		.amdhsa_system_sgpr_private_segment_wavefront_offset 0
		.amdhsa_system_sgpr_workgroup_id_x 1
		.amdhsa_system_sgpr_workgroup_id_y 0
		.amdhsa_system_sgpr_workgroup_id_z 0
		.amdhsa_system_sgpr_workgroup_info 0
		.amdhsa_system_vgpr_workitem_id 0
		.amdhsa_next_free_vgpr 1
		.amdhsa_next_free_sgpr 0
		.amdhsa_accum_offset 4
		.amdhsa_reserve_vcc 0
		.amdhsa_reserve_flat_scratch 0
		.amdhsa_float_round_mode_32 0
		.amdhsa_float_round_mode_16_64 0
		.amdhsa_float_denorm_mode_32 3
		.amdhsa_float_denorm_mode_16_64 3
		.amdhsa_dx10_clamp 1
		.amdhsa_ieee_mode 1
		.amdhsa_fp16_overflow 0
		.amdhsa_tg_split 0
		.amdhsa_exception_fp_ieee_invalid_op 0
		.amdhsa_exception_fp_denorm_src 0
		.amdhsa_exception_fp_ieee_div_zero 0
		.amdhsa_exception_fp_ieee_overflow 0
		.amdhsa_exception_fp_ieee_underflow 0
		.amdhsa_exception_fp_ieee_inexact 0
		.amdhsa_exception_int_div_zero 0
	.end_amdhsa_kernel
	.section	.text._ZN7rocprim17ROCPRIM_400000_NS6detail17trampoline_kernelINS0_14default_configENS1_35radix_sort_onesweep_config_selectorIjNS0_10empty_typeEEEZZNS1_29radix_sort_onesweep_iterationIS3_Lb0EN6thrust23THRUST_200600_302600_NS6detail15normal_iteratorINS9_10device_ptrIjEEEESE_PS5_SF_jNS0_19identity_decomposerENS1_16block_id_wrapperIjLb0EEEEE10hipError_tT1_PNSt15iterator_traitsISK_E10value_typeET2_T3_PNSL_ISQ_E10value_typeET4_T5_PSV_SW_PNS1_23onesweep_lookback_stateEbbT6_jjT7_P12ihipStream_tbENKUlT_T0_SK_SP_E_clIPjSE_SF_SF_EEDaS13_S14_SK_SP_EUlS13_E_NS1_11comp_targetILNS1_3genE2ELNS1_11target_archE906ELNS1_3gpuE6ELNS1_3repE0EEENS1_47radix_sort_onesweep_sort_config_static_selectorELNS0_4arch9wavefront6targetE1EEEvSK_,"axG",@progbits,_ZN7rocprim17ROCPRIM_400000_NS6detail17trampoline_kernelINS0_14default_configENS1_35radix_sort_onesweep_config_selectorIjNS0_10empty_typeEEEZZNS1_29radix_sort_onesweep_iterationIS3_Lb0EN6thrust23THRUST_200600_302600_NS6detail15normal_iteratorINS9_10device_ptrIjEEEESE_PS5_SF_jNS0_19identity_decomposerENS1_16block_id_wrapperIjLb0EEEEE10hipError_tT1_PNSt15iterator_traitsISK_E10value_typeET2_T3_PNSL_ISQ_E10value_typeET4_T5_PSV_SW_PNS1_23onesweep_lookback_stateEbbT6_jjT7_P12ihipStream_tbENKUlT_T0_SK_SP_E_clIPjSE_SF_SF_EEDaS13_S14_SK_SP_EUlS13_E_NS1_11comp_targetILNS1_3genE2ELNS1_11target_archE906ELNS1_3gpuE6ELNS1_3repE0EEENS1_47radix_sort_onesweep_sort_config_static_selectorELNS0_4arch9wavefront6targetE1EEEvSK_,comdat
.Lfunc_end1149:
	.size	_ZN7rocprim17ROCPRIM_400000_NS6detail17trampoline_kernelINS0_14default_configENS1_35radix_sort_onesweep_config_selectorIjNS0_10empty_typeEEEZZNS1_29radix_sort_onesweep_iterationIS3_Lb0EN6thrust23THRUST_200600_302600_NS6detail15normal_iteratorINS9_10device_ptrIjEEEESE_PS5_SF_jNS0_19identity_decomposerENS1_16block_id_wrapperIjLb0EEEEE10hipError_tT1_PNSt15iterator_traitsISK_E10value_typeET2_T3_PNSL_ISQ_E10value_typeET4_T5_PSV_SW_PNS1_23onesweep_lookback_stateEbbT6_jjT7_P12ihipStream_tbENKUlT_T0_SK_SP_E_clIPjSE_SF_SF_EEDaS13_S14_SK_SP_EUlS13_E_NS1_11comp_targetILNS1_3genE2ELNS1_11target_archE906ELNS1_3gpuE6ELNS1_3repE0EEENS1_47radix_sort_onesweep_sort_config_static_selectorELNS0_4arch9wavefront6targetE1EEEvSK_, .Lfunc_end1149-_ZN7rocprim17ROCPRIM_400000_NS6detail17trampoline_kernelINS0_14default_configENS1_35radix_sort_onesweep_config_selectorIjNS0_10empty_typeEEEZZNS1_29radix_sort_onesweep_iterationIS3_Lb0EN6thrust23THRUST_200600_302600_NS6detail15normal_iteratorINS9_10device_ptrIjEEEESE_PS5_SF_jNS0_19identity_decomposerENS1_16block_id_wrapperIjLb0EEEEE10hipError_tT1_PNSt15iterator_traitsISK_E10value_typeET2_T3_PNSL_ISQ_E10value_typeET4_T5_PSV_SW_PNS1_23onesweep_lookback_stateEbbT6_jjT7_P12ihipStream_tbENKUlT_T0_SK_SP_E_clIPjSE_SF_SF_EEDaS13_S14_SK_SP_EUlS13_E_NS1_11comp_targetILNS1_3genE2ELNS1_11target_archE906ELNS1_3gpuE6ELNS1_3repE0EEENS1_47radix_sort_onesweep_sort_config_static_selectorELNS0_4arch9wavefront6targetE1EEEvSK_
                                        ; -- End function
	.section	.AMDGPU.csdata,"",@progbits
; Kernel info:
; codeLenInByte = 0
; NumSgprs: 4
; NumVgprs: 0
; NumAgprs: 0
; TotalNumVgprs: 0
; ScratchSize: 0
; MemoryBound: 0
; FloatMode: 240
; IeeeMode: 1
; LDSByteSize: 0 bytes/workgroup (compile time only)
; SGPRBlocks: 0
; VGPRBlocks: 0
; NumSGPRsForWavesPerEU: 4
; NumVGPRsForWavesPerEU: 1
; AccumOffset: 4
; Occupancy: 8
; WaveLimiterHint : 0
; COMPUTE_PGM_RSRC2:SCRATCH_EN: 0
; COMPUTE_PGM_RSRC2:USER_SGPR: 6
; COMPUTE_PGM_RSRC2:TRAP_HANDLER: 0
; COMPUTE_PGM_RSRC2:TGID_X_EN: 1
; COMPUTE_PGM_RSRC2:TGID_Y_EN: 0
; COMPUTE_PGM_RSRC2:TGID_Z_EN: 0
; COMPUTE_PGM_RSRC2:TIDIG_COMP_CNT: 0
; COMPUTE_PGM_RSRC3_GFX90A:ACCUM_OFFSET: 0
; COMPUTE_PGM_RSRC3_GFX90A:TG_SPLIT: 0
	.section	.text._ZN7rocprim17ROCPRIM_400000_NS6detail17trampoline_kernelINS0_14default_configENS1_35radix_sort_onesweep_config_selectorIjNS0_10empty_typeEEEZZNS1_29radix_sort_onesweep_iterationIS3_Lb0EN6thrust23THRUST_200600_302600_NS6detail15normal_iteratorINS9_10device_ptrIjEEEESE_PS5_SF_jNS0_19identity_decomposerENS1_16block_id_wrapperIjLb0EEEEE10hipError_tT1_PNSt15iterator_traitsISK_E10value_typeET2_T3_PNSL_ISQ_E10value_typeET4_T5_PSV_SW_PNS1_23onesweep_lookback_stateEbbT6_jjT7_P12ihipStream_tbENKUlT_T0_SK_SP_E_clIPjSE_SF_SF_EEDaS13_S14_SK_SP_EUlS13_E_NS1_11comp_targetILNS1_3genE4ELNS1_11target_archE910ELNS1_3gpuE8ELNS1_3repE0EEENS1_47radix_sort_onesweep_sort_config_static_selectorELNS0_4arch9wavefront6targetE1EEEvSK_,"axG",@progbits,_ZN7rocprim17ROCPRIM_400000_NS6detail17trampoline_kernelINS0_14default_configENS1_35radix_sort_onesweep_config_selectorIjNS0_10empty_typeEEEZZNS1_29radix_sort_onesweep_iterationIS3_Lb0EN6thrust23THRUST_200600_302600_NS6detail15normal_iteratorINS9_10device_ptrIjEEEESE_PS5_SF_jNS0_19identity_decomposerENS1_16block_id_wrapperIjLb0EEEEE10hipError_tT1_PNSt15iterator_traitsISK_E10value_typeET2_T3_PNSL_ISQ_E10value_typeET4_T5_PSV_SW_PNS1_23onesweep_lookback_stateEbbT6_jjT7_P12ihipStream_tbENKUlT_T0_SK_SP_E_clIPjSE_SF_SF_EEDaS13_S14_SK_SP_EUlS13_E_NS1_11comp_targetILNS1_3genE4ELNS1_11target_archE910ELNS1_3gpuE8ELNS1_3repE0EEENS1_47radix_sort_onesweep_sort_config_static_selectorELNS0_4arch9wavefront6targetE1EEEvSK_,comdat
	.protected	_ZN7rocprim17ROCPRIM_400000_NS6detail17trampoline_kernelINS0_14default_configENS1_35radix_sort_onesweep_config_selectorIjNS0_10empty_typeEEEZZNS1_29radix_sort_onesweep_iterationIS3_Lb0EN6thrust23THRUST_200600_302600_NS6detail15normal_iteratorINS9_10device_ptrIjEEEESE_PS5_SF_jNS0_19identity_decomposerENS1_16block_id_wrapperIjLb0EEEEE10hipError_tT1_PNSt15iterator_traitsISK_E10value_typeET2_T3_PNSL_ISQ_E10value_typeET4_T5_PSV_SW_PNS1_23onesweep_lookback_stateEbbT6_jjT7_P12ihipStream_tbENKUlT_T0_SK_SP_E_clIPjSE_SF_SF_EEDaS13_S14_SK_SP_EUlS13_E_NS1_11comp_targetILNS1_3genE4ELNS1_11target_archE910ELNS1_3gpuE8ELNS1_3repE0EEENS1_47radix_sort_onesweep_sort_config_static_selectorELNS0_4arch9wavefront6targetE1EEEvSK_ ; -- Begin function _ZN7rocprim17ROCPRIM_400000_NS6detail17trampoline_kernelINS0_14default_configENS1_35radix_sort_onesweep_config_selectorIjNS0_10empty_typeEEEZZNS1_29radix_sort_onesweep_iterationIS3_Lb0EN6thrust23THRUST_200600_302600_NS6detail15normal_iteratorINS9_10device_ptrIjEEEESE_PS5_SF_jNS0_19identity_decomposerENS1_16block_id_wrapperIjLb0EEEEE10hipError_tT1_PNSt15iterator_traitsISK_E10value_typeET2_T3_PNSL_ISQ_E10value_typeET4_T5_PSV_SW_PNS1_23onesweep_lookback_stateEbbT6_jjT7_P12ihipStream_tbENKUlT_T0_SK_SP_E_clIPjSE_SF_SF_EEDaS13_S14_SK_SP_EUlS13_E_NS1_11comp_targetILNS1_3genE4ELNS1_11target_archE910ELNS1_3gpuE8ELNS1_3repE0EEENS1_47radix_sort_onesweep_sort_config_static_selectorELNS0_4arch9wavefront6targetE1EEEvSK_
	.globl	_ZN7rocprim17ROCPRIM_400000_NS6detail17trampoline_kernelINS0_14default_configENS1_35radix_sort_onesweep_config_selectorIjNS0_10empty_typeEEEZZNS1_29radix_sort_onesweep_iterationIS3_Lb0EN6thrust23THRUST_200600_302600_NS6detail15normal_iteratorINS9_10device_ptrIjEEEESE_PS5_SF_jNS0_19identity_decomposerENS1_16block_id_wrapperIjLb0EEEEE10hipError_tT1_PNSt15iterator_traitsISK_E10value_typeET2_T3_PNSL_ISQ_E10value_typeET4_T5_PSV_SW_PNS1_23onesweep_lookback_stateEbbT6_jjT7_P12ihipStream_tbENKUlT_T0_SK_SP_E_clIPjSE_SF_SF_EEDaS13_S14_SK_SP_EUlS13_E_NS1_11comp_targetILNS1_3genE4ELNS1_11target_archE910ELNS1_3gpuE8ELNS1_3repE0EEENS1_47radix_sort_onesweep_sort_config_static_selectorELNS0_4arch9wavefront6targetE1EEEvSK_
	.p2align	8
	.type	_ZN7rocprim17ROCPRIM_400000_NS6detail17trampoline_kernelINS0_14default_configENS1_35radix_sort_onesweep_config_selectorIjNS0_10empty_typeEEEZZNS1_29radix_sort_onesweep_iterationIS3_Lb0EN6thrust23THRUST_200600_302600_NS6detail15normal_iteratorINS9_10device_ptrIjEEEESE_PS5_SF_jNS0_19identity_decomposerENS1_16block_id_wrapperIjLb0EEEEE10hipError_tT1_PNSt15iterator_traitsISK_E10value_typeET2_T3_PNSL_ISQ_E10value_typeET4_T5_PSV_SW_PNS1_23onesweep_lookback_stateEbbT6_jjT7_P12ihipStream_tbENKUlT_T0_SK_SP_E_clIPjSE_SF_SF_EEDaS13_S14_SK_SP_EUlS13_E_NS1_11comp_targetILNS1_3genE4ELNS1_11target_archE910ELNS1_3gpuE8ELNS1_3repE0EEENS1_47radix_sort_onesweep_sort_config_static_selectorELNS0_4arch9wavefront6targetE1EEEvSK_,@function
_ZN7rocprim17ROCPRIM_400000_NS6detail17trampoline_kernelINS0_14default_configENS1_35radix_sort_onesweep_config_selectorIjNS0_10empty_typeEEEZZNS1_29radix_sort_onesweep_iterationIS3_Lb0EN6thrust23THRUST_200600_302600_NS6detail15normal_iteratorINS9_10device_ptrIjEEEESE_PS5_SF_jNS0_19identity_decomposerENS1_16block_id_wrapperIjLb0EEEEE10hipError_tT1_PNSt15iterator_traitsISK_E10value_typeET2_T3_PNSL_ISQ_E10value_typeET4_T5_PSV_SW_PNS1_23onesweep_lookback_stateEbbT6_jjT7_P12ihipStream_tbENKUlT_T0_SK_SP_E_clIPjSE_SF_SF_EEDaS13_S14_SK_SP_EUlS13_E_NS1_11comp_targetILNS1_3genE4ELNS1_11target_archE910ELNS1_3gpuE8ELNS1_3repE0EEENS1_47radix_sort_onesweep_sort_config_static_selectorELNS0_4arch9wavefront6targetE1EEEvSK_: ; @_ZN7rocprim17ROCPRIM_400000_NS6detail17trampoline_kernelINS0_14default_configENS1_35radix_sort_onesweep_config_selectorIjNS0_10empty_typeEEEZZNS1_29radix_sort_onesweep_iterationIS3_Lb0EN6thrust23THRUST_200600_302600_NS6detail15normal_iteratorINS9_10device_ptrIjEEEESE_PS5_SF_jNS0_19identity_decomposerENS1_16block_id_wrapperIjLb0EEEEE10hipError_tT1_PNSt15iterator_traitsISK_E10value_typeET2_T3_PNSL_ISQ_E10value_typeET4_T5_PSV_SW_PNS1_23onesweep_lookback_stateEbbT6_jjT7_P12ihipStream_tbENKUlT_T0_SK_SP_E_clIPjSE_SF_SF_EEDaS13_S14_SK_SP_EUlS13_E_NS1_11comp_targetILNS1_3genE4ELNS1_11target_archE910ELNS1_3gpuE8ELNS1_3repE0EEENS1_47radix_sort_onesweep_sort_config_static_selectorELNS0_4arch9wavefront6targetE1EEEvSK_
; %bb.0:
	s_load_dwordx4 s[16:19], s[4:5], 0x44
	s_load_dwordx2 s[24:25], s[4:5], 0x38
	s_load_dwordx4 s[20:23], s[4:5], 0x0
	s_load_dwordx4 s[12:15], s[4:5], 0x28
	s_mul_i32 s26, s6, 0x3000
	s_waitcnt lgkmcnt(0)
	s_cmp_ge_u32 s6, s18
	v_mbcnt_lo_u32_b32 v1, -1, 0
	s_cbranch_scc0 .LBB1150_79
; %bb.1:
	s_load_dword s7, s[4:5], 0x20
	s_mul_i32 s2, s18, 0xffffd000
	s_mov_b32 s27, 0
	v_and_b32_e32 v2, 0x3ff, v0
	s_lshl_b64 s[0:1], s[26:27], 2
	s_waitcnt lgkmcnt(0)
	s_add_i32 s7, s7, s2
	v_mbcnt_hi_u32_b32 v8, -1, v1
	s_add_u32 s0, s20, s0
	v_and_b32_e32 v3, 63, v8
	v_and_b32_e32 v4, 0x3c0, v2
	s_addc_u32 s1, s21, s1
	v_mul_u32_u24_e32 v6, 12, v4
	v_lshlrev_b32_e32 v4, 2, v3
	v_mov_b32_e32 v5, s1
	v_add_co_u32_e32 v4, vcc, s0, v4
	v_addc_co_u32_e32 v5, vcc, 0, v5, vcc
	v_lshlrev_b32_e32 v7, 2, v6
	v_add_co_u32_e32 v4, vcc, v4, v7
	v_addc_co_u32_e32 v5, vcc, 0, v5, vcc
	v_or_b32_e32 v6, v3, v6
	v_cmp_gt_u32_e32 vcc, s7, v6
	v_mov_b32_e32 v3, -1
	v_mov_b32_e32 v10, -1
	s_and_saveexec_b64 s[0:1], vcc
	s_cbranch_execz .LBB1150_3
; %bb.2:
	global_load_dword v10, v[4:5], off
.LBB1150_3:
	s_or_b64 exec, exec, s[0:1]
	v_or_b32_e32 v7, 64, v6
	v_cmp_gt_u32_e32 vcc, s7, v7
	v_mov_b32_e32 v11, -1
	s_and_saveexec_b64 s[0:1], vcc
	s_cbranch_execz .LBB1150_5
; %bb.4:
	global_load_dword v11, v[4:5], off offset:256
.LBB1150_5:
	s_or_b64 exec, exec, s[0:1]
	v_or_b32_e32 v7, 0x80, v6
	v_cmp_gt_u32_e32 vcc, s7, v7
	s_and_saveexec_b64 s[0:1], vcc
	s_cbranch_execz .LBB1150_7
; %bb.6:
	global_load_dword v3, v[4:5], off offset:512
.LBB1150_7:
	s_or_b64 exec, exec, s[0:1]
	v_or_b32_e32 v7, 0xc0, v6
	v_cmp_gt_u32_e32 vcc, s7, v7
	v_mov_b32_e32 v12, -1
	v_mov_b32_e32 v13, -1
	s_and_saveexec_b64 s[0:1], vcc
	s_cbranch_execz .LBB1150_9
; %bb.8:
	global_load_dword v13, v[4:5], off offset:768
.LBB1150_9:
	s_or_b64 exec, exec, s[0:1]
	v_add_u32_e32 v7, 0x100, v6
	v_cmp_gt_u32_e32 vcc, s7, v7
	s_and_saveexec_b64 s[0:1], vcc
	s_cbranch_execz .LBB1150_11
; %bb.10:
	global_load_dword v12, v[4:5], off offset:1024
.LBB1150_11:
	s_or_b64 exec, exec, s[0:1]
	v_add_u32_e32 v7, 0x140, v6
	v_cmp_gt_u32_e32 vcc, s7, v7
	v_mov_b32_e32 v14, -1
	v_mov_b32_e32 v15, -1
	s_and_saveexec_b64 s[0:1], vcc
	s_cbranch_execz .LBB1150_13
; %bb.12:
	global_load_dword v15, v[4:5], off offset:1280
.LBB1150_13:
	s_or_b64 exec, exec, s[0:1]
	v_add_u32_e32 v7, 0x180, v6
	v_cmp_gt_u32_e32 vcc, s7, v7
	s_and_saveexec_b64 s[0:1], vcc
	s_cbranch_execz .LBB1150_15
; %bb.14:
	global_load_dword v14, v[4:5], off offset:1536
.LBB1150_15:
	s_or_b64 exec, exec, s[0:1]
	v_add_u32_e32 v7, 0x1c0, v6
	;; [unrolled: 18-line block ×4, first 2 shown]
	v_cmp_gt_u32_e32 vcc, s7, v6
	v_mov_b32_e32 v20, -1
	s_and_saveexec_b64 s[0:1], vcc
	s_cbranch_execz .LBB1150_25
; %bb.24:
	global_load_dword v20, v[4:5], off offset:2816
.LBB1150_25:
	s_or_b64 exec, exec, s[0:1]
	s_load_dword s0, s[4:5], 0x64
	s_load_dword s27, s[4:5], 0x58
	s_add_u32 s1, s4, 0x58
	s_addc_u32 s2, s5, 0
	v_mov_b32_e32 v4, 0
	s_waitcnt lgkmcnt(0)
	s_lshr_b32 s3, s0, 16
	s_cmp_lt_u32 s6, s27
	s_cselect_b32 s0, 12, 18
	s_add_u32 s0, s1, s0
	s_addc_u32 s1, s2, 0
	global_load_ushort v6, v4, s[0:1]
	s_lshl_b32 s0, -1, s17
	s_waitcnt vmcnt(1)
	v_lshrrev_b32_e32 v21, s16, v10
	s_not_b32 s28, s0
	v_and_b32_e32 v21, s28, v21
	v_and_b32_e32 v23, 1, v21
	v_bfe_u32 v5, v0, 10, 10
	v_bfe_u32 v7, v0, 20, 10
	v_add_co_u32_e32 v24, vcc, -1, v23
	v_mad_u32_u24 v7, v7, s3, v5
	v_lshlrev_b32_e32 v5, 30, v21
	v_addc_co_u32_e64 v25, s[0:1], 0, -1, vcc
	v_cmp_ne_u32_e32 vcc, 0, v23
	v_cmp_gt_i64_e64 s[0:1], 0, v[4:5]
	v_not_b32_e32 v23, v5
	v_lshlrev_b32_e32 v5, 29, v21
	v_xor_b32_e32 v25, vcc_hi, v25
	v_xor_b32_e32 v24, vcc_lo, v24
	v_ashrrev_i32_e32 v23, 31, v23
	v_cmp_gt_i64_e32 vcc, 0, v[4:5]
	v_not_b32_e32 v26, v5
	v_lshlrev_b32_e32 v5, 28, v21
	v_and_b32_e32 v25, exec_hi, v25
	v_and_b32_e32 v24, exec_lo, v24
	v_xor_b32_e32 v27, s1, v23
	v_xor_b32_e32 v23, s0, v23
	v_ashrrev_i32_e32 v26, 31, v26
	v_cmp_gt_i64_e64 s[0:1], 0, v[4:5]
	v_not_b32_e32 v28, v5
	v_lshlrev_b32_e32 v5, 27, v21
	v_and_b32_e32 v25, v25, v27
	v_and_b32_e32 v23, v24, v23
	v_xor_b32_e32 v24, vcc_hi, v26
	v_xor_b32_e32 v26, vcc_lo, v26
	v_ashrrev_i32_e32 v27, 31, v28
	v_cmp_gt_i64_e32 vcc, 0, v[4:5]
	v_not_b32_e32 v28, v5
	v_lshlrev_b32_e32 v5, 26, v21
	v_and_b32_e32 v24, v25, v24
	v_and_b32_e32 v23, v23, v26
	v_xor_b32_e32 v25, s1, v27
	v_xor_b32_e32 v26, s0, v27
	v_ashrrev_i32_e32 v27, 31, v28
	v_cmp_gt_i64_e64 s[0:1], 0, v[4:5]
	v_not_b32_e32 v28, v5
	v_lshlrev_b32_e32 v5, 25, v21
	v_and_b32_e32 v24, v24, v25
	v_and_b32_e32 v23, v23, v26
	v_xor_b32_e32 v25, vcc_hi, v27
	v_xor_b32_e32 v26, vcc_lo, v27
	v_ashrrev_i32_e32 v27, 31, v28
	v_cmp_gt_i64_e32 vcc, 0, v[4:5]
	v_not_b32_e32 v28, v5
	v_lshlrev_b32_e32 v5, 24, v21
	v_lshl_add_u32 v22, v21, 4, v21
	v_and_b32_e32 v21, v24, v25
	v_and_b32_e32 v23, v23, v26
	v_xor_b32_e32 v24, s1, v27
	v_xor_b32_e32 v25, s0, v27
	v_ashrrev_i32_e32 v26, 31, v28
	v_cmp_gt_i64_e64 s[0:1], 0, v[4:5]
	v_not_b32_e32 v5, v5
	v_and_b32_e32 v21, v21, v24
	v_and_b32_e32 v23, v23, v25
	v_xor_b32_e32 v24, vcc_hi, v26
	v_xor_b32_e32 v25, vcc_lo, v26
	v_ashrrev_i32_e32 v5, 31, v5
	v_and_b32_e32 v21, v21, v24
	v_and_b32_e32 v23, v23, v25
	v_mul_u32_u24_e32 v9, 5, v2
	v_lshlrev_b32_e32 v9, 2, v9
	ds_write2_b32 v9, v4, v4 offset0:16 offset1:17
	ds_write2_b32 v9, v4, v4 offset0:18 offset1:19
	ds_write_b32 v9, v4 offset:80
	s_waitcnt lgkmcnt(0)
	s_barrier
	s_waitcnt lgkmcnt(0)
	; wave barrier
	s_waitcnt vmcnt(0)
	v_mad_u64_u32 v[6:7], s[2:3], v7, v6, v[2:3]
	v_lshrrev_b32_e32 v32, 6, v6
	v_xor_b32_e32 v6, s1, v5
	v_xor_b32_e32 v5, s0, v5
	v_and_b32_e32 v7, v21, v6
	v_and_b32_e32 v6, v23, v5
	v_mbcnt_lo_u32_b32 v5, v6, 0
	v_mbcnt_hi_u32_b32 v21, v7, v5
	v_cmp_eq_u32_e32 vcc, 0, v21
	v_cmp_ne_u64_e64 s[0:1], 0, v[6:7]
	v_add_lshl_u32 v25, v32, v22, 2
	s_and_b64 s[2:3], s[0:1], vcc
	s_and_saveexec_b64 s[0:1], s[2:3]
	s_cbranch_execz .LBB1150_27
; %bb.26:
	v_bcnt_u32_b32 v5, v6, 0
	v_bcnt_u32_b32 v5, v7, v5
	ds_write_b32 v25, v5 offset:64
.LBB1150_27:
	s_or_b64 exec, exec, s[0:1]
	v_lshrrev_b32_e32 v5, s16, v11
	v_and_b32_e32 v6, s28, v5
	v_lshl_add_u32 v5, v6, 4, v6
	v_add_lshl_u32 v26, v32, v5, 2
	v_and_b32_e32 v5, 1, v6
	v_add_co_u32_e32 v7, vcc, -1, v5
	v_addc_co_u32_e64 v23, s[0:1], 0, -1, vcc
	v_cmp_ne_u32_e32 vcc, 0, v5
	v_xor_b32_e32 v5, vcc_hi, v23
	v_and_b32_e32 v23, exec_hi, v5
	v_lshlrev_b32_e32 v5, 30, v6
	v_xor_b32_e32 v7, vcc_lo, v7
	v_cmp_gt_i64_e32 vcc, 0, v[4:5]
	v_not_b32_e32 v5, v5
	v_ashrrev_i32_e32 v5, 31, v5
	v_and_b32_e32 v7, exec_lo, v7
	v_xor_b32_e32 v24, vcc_hi, v5
	v_xor_b32_e32 v5, vcc_lo, v5
	v_and_b32_e32 v7, v7, v5
	v_lshlrev_b32_e32 v5, 29, v6
	v_cmp_gt_i64_e32 vcc, 0, v[4:5]
	v_not_b32_e32 v5, v5
	v_ashrrev_i32_e32 v5, 31, v5
	v_and_b32_e32 v23, v23, v24
	v_xor_b32_e32 v24, vcc_hi, v5
	v_xor_b32_e32 v5, vcc_lo, v5
	v_and_b32_e32 v7, v7, v5
	v_lshlrev_b32_e32 v5, 28, v6
	v_cmp_gt_i64_e32 vcc, 0, v[4:5]
	v_not_b32_e32 v5, v5
	v_ashrrev_i32_e32 v5, 31, v5
	v_and_b32_e32 v23, v23, v24
	;; [unrolled: 8-line block ×5, first 2 shown]
	v_xor_b32_e32 v24, vcc_hi, v5
	v_xor_b32_e32 v5, vcc_lo, v5
	v_and_b32_e32 v7, v7, v5
	v_lshlrev_b32_e32 v5, 24, v6
	v_cmp_gt_i64_e32 vcc, 0, v[4:5]
	v_not_b32_e32 v4, v5
	v_ashrrev_i32_e32 v4, 31, v4
	v_xor_b32_e32 v5, vcc_hi, v4
	v_xor_b32_e32 v4, vcc_lo, v4
	; wave barrier
	ds_read_b32 v22, v26 offset:64
	v_and_b32_e32 v23, v23, v24
	v_and_b32_e32 v4, v7, v4
	;; [unrolled: 1-line block ×3, first 2 shown]
	v_mbcnt_lo_u32_b32 v6, v4, 0
	v_mbcnt_hi_u32_b32 v23, v5, v6
	v_cmp_eq_u32_e32 vcc, 0, v23
	v_cmp_ne_u64_e64 s[0:1], 0, v[4:5]
	s_and_b64 s[2:3], s[0:1], vcc
	; wave barrier
	s_and_saveexec_b64 s[0:1], s[2:3]
	s_cbranch_execz .LBB1150_29
; %bb.28:
	v_bcnt_u32_b32 v4, v4, 0
	v_bcnt_u32_b32 v4, v5, v4
	s_waitcnt lgkmcnt(0)
	v_add_u32_e32 v4, v22, v4
	ds_write_b32 v26, v4 offset:64
.LBB1150_29:
	s_or_b64 exec, exec, s[0:1]
	v_lshrrev_b32_e32 v4, s16, v3
	v_and_b32_e32 v6, s28, v4
	v_and_b32_e32 v5, 1, v6
	v_add_co_u32_e32 v7, vcc, -1, v5
	v_addc_co_u32_e64 v27, s[0:1], 0, -1, vcc
	v_cmp_ne_u32_e32 vcc, 0, v5
	v_lshl_add_u32 v4, v6, 4, v6
	v_xor_b32_e32 v5, vcc_hi, v27
	v_add_lshl_u32 v29, v32, v4, 2
	v_mov_b32_e32 v4, 0
	v_and_b32_e32 v27, exec_hi, v5
	v_lshlrev_b32_e32 v5, 30, v6
	v_xor_b32_e32 v7, vcc_lo, v7
	v_cmp_gt_i64_e32 vcc, 0, v[4:5]
	v_not_b32_e32 v5, v5
	v_ashrrev_i32_e32 v5, 31, v5
	v_and_b32_e32 v7, exec_lo, v7
	v_xor_b32_e32 v28, vcc_hi, v5
	v_xor_b32_e32 v5, vcc_lo, v5
	v_and_b32_e32 v7, v7, v5
	v_lshlrev_b32_e32 v5, 29, v6
	v_cmp_gt_i64_e32 vcc, 0, v[4:5]
	v_not_b32_e32 v5, v5
	v_ashrrev_i32_e32 v5, 31, v5
	v_and_b32_e32 v27, v27, v28
	v_xor_b32_e32 v28, vcc_hi, v5
	v_xor_b32_e32 v5, vcc_lo, v5
	v_and_b32_e32 v7, v7, v5
	v_lshlrev_b32_e32 v5, 28, v6
	v_cmp_gt_i64_e32 vcc, 0, v[4:5]
	v_not_b32_e32 v5, v5
	v_ashrrev_i32_e32 v5, 31, v5
	v_and_b32_e32 v27, v27, v28
	;; [unrolled: 8-line block ×5, first 2 shown]
	v_xor_b32_e32 v28, vcc_hi, v5
	v_xor_b32_e32 v5, vcc_lo, v5
	v_and_b32_e32 v27, v27, v28
	v_and_b32_e32 v28, v7, v5
	v_lshlrev_b32_e32 v5, 24, v6
	v_cmp_gt_i64_e32 vcc, 0, v[4:5]
	v_not_b32_e32 v5, v5
	v_ashrrev_i32_e32 v5, 31, v5
	v_xor_b32_e32 v6, vcc_hi, v5
	v_xor_b32_e32 v5, vcc_lo, v5
	; wave barrier
	ds_read_b32 v24, v29 offset:64
	v_and_b32_e32 v7, v27, v6
	v_and_b32_e32 v6, v28, v5
	v_mbcnt_lo_u32_b32 v5, v6, 0
	v_mbcnt_hi_u32_b32 v27, v7, v5
	v_cmp_eq_u32_e32 vcc, 0, v27
	v_cmp_ne_u64_e64 s[0:1], 0, v[6:7]
	s_and_b64 s[2:3], s[0:1], vcc
	; wave barrier
	s_and_saveexec_b64 s[0:1], s[2:3]
	s_cbranch_execz .LBB1150_31
; %bb.30:
	v_bcnt_u32_b32 v5, v6, 0
	v_bcnt_u32_b32 v5, v7, v5
	s_waitcnt lgkmcnt(0)
	v_add_u32_e32 v5, v24, v5
	ds_write_b32 v29, v5 offset:64
.LBB1150_31:
	s_or_b64 exec, exec, s[0:1]
	v_lshrrev_b32_e32 v5, s16, v13
	v_and_b32_e32 v6, s28, v5
	v_lshl_add_u32 v5, v6, 4, v6
	v_add_lshl_u32 v33, v32, v5, 2
	v_and_b32_e32 v5, 1, v6
	v_add_co_u32_e32 v7, vcc, -1, v5
	v_addc_co_u32_e64 v30, s[0:1], 0, -1, vcc
	v_cmp_ne_u32_e32 vcc, 0, v5
	v_xor_b32_e32 v5, vcc_hi, v30
	v_and_b32_e32 v30, exec_hi, v5
	v_lshlrev_b32_e32 v5, 30, v6
	v_xor_b32_e32 v7, vcc_lo, v7
	v_cmp_gt_i64_e32 vcc, 0, v[4:5]
	v_not_b32_e32 v5, v5
	v_ashrrev_i32_e32 v5, 31, v5
	v_and_b32_e32 v7, exec_lo, v7
	v_xor_b32_e32 v31, vcc_hi, v5
	v_xor_b32_e32 v5, vcc_lo, v5
	v_and_b32_e32 v7, v7, v5
	v_lshlrev_b32_e32 v5, 29, v6
	v_cmp_gt_i64_e32 vcc, 0, v[4:5]
	v_not_b32_e32 v5, v5
	v_ashrrev_i32_e32 v5, 31, v5
	v_and_b32_e32 v30, v30, v31
	v_xor_b32_e32 v31, vcc_hi, v5
	v_xor_b32_e32 v5, vcc_lo, v5
	v_and_b32_e32 v7, v7, v5
	v_lshlrev_b32_e32 v5, 28, v6
	v_cmp_gt_i64_e32 vcc, 0, v[4:5]
	v_not_b32_e32 v5, v5
	v_ashrrev_i32_e32 v5, 31, v5
	v_and_b32_e32 v30, v30, v31
	;; [unrolled: 8-line block ×5, first 2 shown]
	v_xor_b32_e32 v31, vcc_hi, v5
	v_xor_b32_e32 v5, vcc_lo, v5
	v_and_b32_e32 v7, v7, v5
	v_lshlrev_b32_e32 v5, 24, v6
	v_cmp_gt_i64_e32 vcc, 0, v[4:5]
	v_not_b32_e32 v4, v5
	v_ashrrev_i32_e32 v4, 31, v4
	v_xor_b32_e32 v5, vcc_hi, v4
	v_xor_b32_e32 v4, vcc_lo, v4
	; wave barrier
	ds_read_b32 v28, v33 offset:64
	v_and_b32_e32 v30, v30, v31
	v_and_b32_e32 v4, v7, v4
	;; [unrolled: 1-line block ×3, first 2 shown]
	v_mbcnt_lo_u32_b32 v6, v4, 0
	v_mbcnt_hi_u32_b32 v30, v5, v6
	v_cmp_eq_u32_e32 vcc, 0, v30
	v_cmp_ne_u64_e64 s[0:1], 0, v[4:5]
	s_and_b64 s[2:3], s[0:1], vcc
	; wave barrier
	s_and_saveexec_b64 s[0:1], s[2:3]
	s_cbranch_execz .LBB1150_33
; %bb.32:
	v_bcnt_u32_b32 v4, v4, 0
	v_bcnt_u32_b32 v4, v5, v4
	s_waitcnt lgkmcnt(0)
	v_add_u32_e32 v4, v28, v4
	ds_write_b32 v33, v4 offset:64
.LBB1150_33:
	s_or_b64 exec, exec, s[0:1]
	v_lshrrev_b32_e32 v4, s16, v12
	v_and_b32_e32 v6, s28, v4
	v_and_b32_e32 v5, 1, v6
	v_add_co_u32_e32 v7, vcc, -1, v5
	v_addc_co_u32_e64 v34, s[0:1], 0, -1, vcc
	v_cmp_ne_u32_e32 vcc, 0, v5
	v_lshl_add_u32 v4, v6, 4, v6
	v_xor_b32_e32 v5, vcc_hi, v34
	v_add_lshl_u32 v36, v32, v4, 2
	v_mov_b32_e32 v4, 0
	v_and_b32_e32 v34, exec_hi, v5
	v_lshlrev_b32_e32 v5, 30, v6
	v_xor_b32_e32 v7, vcc_lo, v7
	v_cmp_gt_i64_e32 vcc, 0, v[4:5]
	v_not_b32_e32 v5, v5
	v_ashrrev_i32_e32 v5, 31, v5
	v_and_b32_e32 v7, exec_lo, v7
	v_xor_b32_e32 v35, vcc_hi, v5
	v_xor_b32_e32 v5, vcc_lo, v5
	v_and_b32_e32 v7, v7, v5
	v_lshlrev_b32_e32 v5, 29, v6
	v_cmp_gt_i64_e32 vcc, 0, v[4:5]
	v_not_b32_e32 v5, v5
	v_ashrrev_i32_e32 v5, 31, v5
	v_and_b32_e32 v34, v34, v35
	v_xor_b32_e32 v35, vcc_hi, v5
	v_xor_b32_e32 v5, vcc_lo, v5
	v_and_b32_e32 v7, v7, v5
	v_lshlrev_b32_e32 v5, 28, v6
	v_cmp_gt_i64_e32 vcc, 0, v[4:5]
	v_not_b32_e32 v5, v5
	v_ashrrev_i32_e32 v5, 31, v5
	v_and_b32_e32 v34, v34, v35
	v_xor_b32_e32 v35, vcc_hi, v5
	v_xor_b32_e32 v5, vcc_lo, v5
	v_and_b32_e32 v7, v7, v5
	v_lshlrev_b32_e32 v5, 27, v6
	v_cmp_gt_i64_e32 vcc, 0, v[4:5]
	v_not_b32_e32 v5, v5
	v_ashrrev_i32_e32 v5, 31, v5
	v_and_b32_e32 v34, v34, v35
	v_xor_b32_e32 v35, vcc_hi, v5
	v_xor_b32_e32 v5, vcc_lo, v5
	v_and_b32_e32 v7, v7, v5
	v_lshlrev_b32_e32 v5, 26, v6
	v_cmp_gt_i64_e32 vcc, 0, v[4:5]
	v_not_b32_e32 v5, v5
	v_ashrrev_i32_e32 v5, 31, v5
	v_and_b32_e32 v34, v34, v35
	v_xor_b32_e32 v35, vcc_hi, v5
	v_xor_b32_e32 v5, vcc_lo, v5
	v_and_b32_e32 v7, v7, v5
	v_lshlrev_b32_e32 v5, 25, v6
	v_cmp_gt_i64_e32 vcc, 0, v[4:5]
	v_not_b32_e32 v5, v5
	v_ashrrev_i32_e32 v5, 31, v5
	v_and_b32_e32 v34, v34, v35
	v_xor_b32_e32 v35, vcc_hi, v5
	v_xor_b32_e32 v5, vcc_lo, v5
	v_and_b32_e32 v34, v34, v35
	v_and_b32_e32 v35, v7, v5
	v_lshlrev_b32_e32 v5, 24, v6
	v_cmp_gt_i64_e32 vcc, 0, v[4:5]
	v_not_b32_e32 v5, v5
	v_ashrrev_i32_e32 v5, 31, v5
	v_xor_b32_e32 v6, vcc_hi, v5
	v_xor_b32_e32 v5, vcc_lo, v5
	; wave barrier
	ds_read_b32 v31, v36 offset:64
	v_and_b32_e32 v7, v34, v6
	v_and_b32_e32 v6, v35, v5
	v_mbcnt_lo_u32_b32 v5, v6, 0
	v_mbcnt_hi_u32_b32 v34, v7, v5
	v_cmp_eq_u32_e32 vcc, 0, v34
	v_cmp_ne_u64_e64 s[0:1], 0, v[6:7]
	s_and_b64 s[2:3], s[0:1], vcc
	; wave barrier
	s_and_saveexec_b64 s[0:1], s[2:3]
	s_cbranch_execz .LBB1150_35
; %bb.34:
	v_bcnt_u32_b32 v5, v6, 0
	v_bcnt_u32_b32 v5, v7, v5
	s_waitcnt lgkmcnt(0)
	v_add_u32_e32 v5, v31, v5
	ds_write_b32 v36, v5 offset:64
.LBB1150_35:
	s_or_b64 exec, exec, s[0:1]
	v_lshrrev_b32_e32 v5, s16, v15
	v_and_b32_e32 v6, s28, v5
	v_lshl_add_u32 v5, v6, 4, v6
	v_add_lshl_u32 v39, v32, v5, 2
	v_and_b32_e32 v5, 1, v6
	v_add_co_u32_e32 v7, vcc, -1, v5
	v_addc_co_u32_e64 v37, s[0:1], 0, -1, vcc
	v_cmp_ne_u32_e32 vcc, 0, v5
	v_xor_b32_e32 v5, vcc_hi, v37
	v_and_b32_e32 v37, exec_hi, v5
	v_lshlrev_b32_e32 v5, 30, v6
	v_xor_b32_e32 v7, vcc_lo, v7
	v_cmp_gt_i64_e32 vcc, 0, v[4:5]
	v_not_b32_e32 v5, v5
	v_ashrrev_i32_e32 v5, 31, v5
	v_and_b32_e32 v7, exec_lo, v7
	v_xor_b32_e32 v38, vcc_hi, v5
	v_xor_b32_e32 v5, vcc_lo, v5
	v_and_b32_e32 v7, v7, v5
	v_lshlrev_b32_e32 v5, 29, v6
	v_cmp_gt_i64_e32 vcc, 0, v[4:5]
	v_not_b32_e32 v5, v5
	v_ashrrev_i32_e32 v5, 31, v5
	v_and_b32_e32 v37, v37, v38
	v_xor_b32_e32 v38, vcc_hi, v5
	v_xor_b32_e32 v5, vcc_lo, v5
	v_and_b32_e32 v7, v7, v5
	v_lshlrev_b32_e32 v5, 28, v6
	v_cmp_gt_i64_e32 vcc, 0, v[4:5]
	v_not_b32_e32 v5, v5
	v_ashrrev_i32_e32 v5, 31, v5
	v_and_b32_e32 v37, v37, v38
	;; [unrolled: 8-line block ×5, first 2 shown]
	v_xor_b32_e32 v38, vcc_hi, v5
	v_xor_b32_e32 v5, vcc_lo, v5
	v_and_b32_e32 v7, v7, v5
	v_lshlrev_b32_e32 v5, 24, v6
	v_cmp_gt_i64_e32 vcc, 0, v[4:5]
	v_not_b32_e32 v4, v5
	v_ashrrev_i32_e32 v4, 31, v4
	v_xor_b32_e32 v5, vcc_hi, v4
	v_xor_b32_e32 v4, vcc_lo, v4
	; wave barrier
	ds_read_b32 v35, v39 offset:64
	v_and_b32_e32 v37, v37, v38
	v_and_b32_e32 v4, v7, v4
	;; [unrolled: 1-line block ×3, first 2 shown]
	v_mbcnt_lo_u32_b32 v6, v4, 0
	v_mbcnt_hi_u32_b32 v37, v5, v6
	v_cmp_eq_u32_e32 vcc, 0, v37
	v_cmp_ne_u64_e64 s[0:1], 0, v[4:5]
	s_and_b64 s[2:3], s[0:1], vcc
	; wave barrier
	s_and_saveexec_b64 s[0:1], s[2:3]
	s_cbranch_execz .LBB1150_37
; %bb.36:
	v_bcnt_u32_b32 v4, v4, 0
	v_bcnt_u32_b32 v4, v5, v4
	s_waitcnt lgkmcnt(0)
	v_add_u32_e32 v4, v35, v4
	ds_write_b32 v39, v4 offset:64
.LBB1150_37:
	s_or_b64 exec, exec, s[0:1]
	v_lshrrev_b32_e32 v4, s16, v14
	v_and_b32_e32 v6, s28, v4
	v_and_b32_e32 v5, 1, v6
	v_add_co_u32_e32 v7, vcc, -1, v5
	v_addc_co_u32_e64 v40, s[0:1], 0, -1, vcc
	v_cmp_ne_u32_e32 vcc, 0, v5
	v_lshl_add_u32 v4, v6, 4, v6
	v_xor_b32_e32 v5, vcc_hi, v40
	v_add_lshl_u32 v42, v32, v4, 2
	v_mov_b32_e32 v4, 0
	v_and_b32_e32 v40, exec_hi, v5
	v_lshlrev_b32_e32 v5, 30, v6
	v_xor_b32_e32 v7, vcc_lo, v7
	v_cmp_gt_i64_e32 vcc, 0, v[4:5]
	v_not_b32_e32 v5, v5
	v_ashrrev_i32_e32 v5, 31, v5
	v_and_b32_e32 v7, exec_lo, v7
	v_xor_b32_e32 v41, vcc_hi, v5
	v_xor_b32_e32 v5, vcc_lo, v5
	v_and_b32_e32 v7, v7, v5
	v_lshlrev_b32_e32 v5, 29, v6
	v_cmp_gt_i64_e32 vcc, 0, v[4:5]
	v_not_b32_e32 v5, v5
	v_ashrrev_i32_e32 v5, 31, v5
	v_and_b32_e32 v40, v40, v41
	v_xor_b32_e32 v41, vcc_hi, v5
	v_xor_b32_e32 v5, vcc_lo, v5
	v_and_b32_e32 v7, v7, v5
	v_lshlrev_b32_e32 v5, 28, v6
	v_cmp_gt_i64_e32 vcc, 0, v[4:5]
	v_not_b32_e32 v5, v5
	v_ashrrev_i32_e32 v5, 31, v5
	v_and_b32_e32 v40, v40, v41
	;; [unrolled: 8-line block ×5, first 2 shown]
	v_xor_b32_e32 v41, vcc_hi, v5
	v_xor_b32_e32 v5, vcc_lo, v5
	v_and_b32_e32 v40, v40, v41
	v_and_b32_e32 v41, v7, v5
	v_lshlrev_b32_e32 v5, 24, v6
	v_cmp_gt_i64_e32 vcc, 0, v[4:5]
	v_not_b32_e32 v5, v5
	v_ashrrev_i32_e32 v5, 31, v5
	v_xor_b32_e32 v6, vcc_hi, v5
	v_xor_b32_e32 v5, vcc_lo, v5
	; wave barrier
	ds_read_b32 v38, v42 offset:64
	v_and_b32_e32 v7, v40, v6
	v_and_b32_e32 v6, v41, v5
	v_mbcnt_lo_u32_b32 v5, v6, 0
	v_mbcnt_hi_u32_b32 v40, v7, v5
	v_cmp_eq_u32_e32 vcc, 0, v40
	v_cmp_ne_u64_e64 s[0:1], 0, v[6:7]
	s_and_b64 s[2:3], s[0:1], vcc
	; wave barrier
	s_and_saveexec_b64 s[0:1], s[2:3]
	s_cbranch_execz .LBB1150_39
; %bb.38:
	v_bcnt_u32_b32 v5, v6, 0
	v_bcnt_u32_b32 v5, v7, v5
	s_waitcnt lgkmcnt(0)
	v_add_u32_e32 v5, v38, v5
	ds_write_b32 v42, v5 offset:64
.LBB1150_39:
	s_or_b64 exec, exec, s[0:1]
	v_lshrrev_b32_e32 v5, s16, v17
	v_and_b32_e32 v6, s28, v5
	v_lshl_add_u32 v5, v6, 4, v6
	v_add_lshl_u32 v45, v32, v5, 2
	v_and_b32_e32 v5, 1, v6
	v_add_co_u32_e32 v7, vcc, -1, v5
	v_addc_co_u32_e64 v43, s[0:1], 0, -1, vcc
	v_cmp_ne_u32_e32 vcc, 0, v5
	v_xor_b32_e32 v5, vcc_hi, v43
	v_and_b32_e32 v43, exec_hi, v5
	v_lshlrev_b32_e32 v5, 30, v6
	v_xor_b32_e32 v7, vcc_lo, v7
	v_cmp_gt_i64_e32 vcc, 0, v[4:5]
	v_not_b32_e32 v5, v5
	v_ashrrev_i32_e32 v5, 31, v5
	v_and_b32_e32 v7, exec_lo, v7
	v_xor_b32_e32 v44, vcc_hi, v5
	v_xor_b32_e32 v5, vcc_lo, v5
	v_and_b32_e32 v7, v7, v5
	v_lshlrev_b32_e32 v5, 29, v6
	v_cmp_gt_i64_e32 vcc, 0, v[4:5]
	v_not_b32_e32 v5, v5
	v_ashrrev_i32_e32 v5, 31, v5
	v_and_b32_e32 v43, v43, v44
	v_xor_b32_e32 v44, vcc_hi, v5
	v_xor_b32_e32 v5, vcc_lo, v5
	v_and_b32_e32 v7, v7, v5
	v_lshlrev_b32_e32 v5, 28, v6
	v_cmp_gt_i64_e32 vcc, 0, v[4:5]
	v_not_b32_e32 v5, v5
	v_ashrrev_i32_e32 v5, 31, v5
	v_and_b32_e32 v43, v43, v44
	;; [unrolled: 8-line block ×5, first 2 shown]
	v_xor_b32_e32 v44, vcc_hi, v5
	v_xor_b32_e32 v5, vcc_lo, v5
	v_and_b32_e32 v7, v7, v5
	v_lshlrev_b32_e32 v5, 24, v6
	v_cmp_gt_i64_e32 vcc, 0, v[4:5]
	v_not_b32_e32 v4, v5
	v_ashrrev_i32_e32 v4, 31, v4
	v_xor_b32_e32 v5, vcc_hi, v4
	v_xor_b32_e32 v4, vcc_lo, v4
	; wave barrier
	ds_read_b32 v41, v45 offset:64
	v_and_b32_e32 v43, v43, v44
	v_and_b32_e32 v4, v7, v4
	;; [unrolled: 1-line block ×3, first 2 shown]
	v_mbcnt_lo_u32_b32 v6, v4, 0
	v_mbcnt_hi_u32_b32 v43, v5, v6
	v_cmp_eq_u32_e32 vcc, 0, v43
	v_cmp_ne_u64_e64 s[0:1], 0, v[4:5]
	s_and_b64 s[2:3], s[0:1], vcc
	; wave barrier
	s_and_saveexec_b64 s[0:1], s[2:3]
	s_cbranch_execz .LBB1150_41
; %bb.40:
	v_bcnt_u32_b32 v4, v4, 0
	v_bcnt_u32_b32 v4, v5, v4
	s_waitcnt lgkmcnt(0)
	v_add_u32_e32 v4, v41, v4
	ds_write_b32 v45, v4 offset:64
.LBB1150_41:
	s_or_b64 exec, exec, s[0:1]
	v_lshrrev_b32_e32 v4, s16, v16
	v_and_b32_e32 v6, s28, v4
	v_and_b32_e32 v5, 1, v6
	v_add_co_u32_e32 v7, vcc, -1, v5
	v_addc_co_u32_e64 v46, s[0:1], 0, -1, vcc
	v_cmp_ne_u32_e32 vcc, 0, v5
	v_lshl_add_u32 v4, v6, 4, v6
	v_xor_b32_e32 v5, vcc_hi, v46
	v_add_lshl_u32 v48, v32, v4, 2
	v_mov_b32_e32 v4, 0
	v_and_b32_e32 v46, exec_hi, v5
	v_lshlrev_b32_e32 v5, 30, v6
	v_xor_b32_e32 v7, vcc_lo, v7
	v_cmp_gt_i64_e32 vcc, 0, v[4:5]
	v_not_b32_e32 v5, v5
	v_ashrrev_i32_e32 v5, 31, v5
	v_and_b32_e32 v7, exec_lo, v7
	v_xor_b32_e32 v47, vcc_hi, v5
	v_xor_b32_e32 v5, vcc_lo, v5
	v_and_b32_e32 v7, v7, v5
	v_lshlrev_b32_e32 v5, 29, v6
	v_cmp_gt_i64_e32 vcc, 0, v[4:5]
	v_not_b32_e32 v5, v5
	v_ashrrev_i32_e32 v5, 31, v5
	v_and_b32_e32 v46, v46, v47
	v_xor_b32_e32 v47, vcc_hi, v5
	v_xor_b32_e32 v5, vcc_lo, v5
	v_and_b32_e32 v7, v7, v5
	v_lshlrev_b32_e32 v5, 28, v6
	v_cmp_gt_i64_e32 vcc, 0, v[4:5]
	v_not_b32_e32 v5, v5
	v_ashrrev_i32_e32 v5, 31, v5
	v_and_b32_e32 v46, v46, v47
	;; [unrolled: 8-line block ×5, first 2 shown]
	v_xor_b32_e32 v47, vcc_hi, v5
	v_xor_b32_e32 v5, vcc_lo, v5
	v_and_b32_e32 v46, v46, v47
	v_and_b32_e32 v47, v7, v5
	v_lshlrev_b32_e32 v5, 24, v6
	v_cmp_gt_i64_e32 vcc, 0, v[4:5]
	v_not_b32_e32 v5, v5
	v_ashrrev_i32_e32 v5, 31, v5
	v_xor_b32_e32 v6, vcc_hi, v5
	v_xor_b32_e32 v5, vcc_lo, v5
	; wave barrier
	ds_read_b32 v44, v48 offset:64
	v_and_b32_e32 v7, v46, v6
	v_and_b32_e32 v6, v47, v5
	v_mbcnt_lo_u32_b32 v5, v6, 0
	v_mbcnt_hi_u32_b32 v46, v7, v5
	v_cmp_eq_u32_e32 vcc, 0, v46
	v_cmp_ne_u64_e64 s[0:1], 0, v[6:7]
	s_and_b64 s[2:3], s[0:1], vcc
	; wave barrier
	s_and_saveexec_b64 s[0:1], s[2:3]
	s_cbranch_execz .LBB1150_43
; %bb.42:
	v_bcnt_u32_b32 v5, v6, 0
	v_bcnt_u32_b32 v5, v7, v5
	s_waitcnt lgkmcnt(0)
	v_add_u32_e32 v5, v44, v5
	ds_write_b32 v48, v5 offset:64
.LBB1150_43:
	s_or_b64 exec, exec, s[0:1]
	v_lshrrev_b32_e32 v5, s16, v19
	v_and_b32_e32 v6, s28, v5
	v_lshl_add_u32 v5, v6, 4, v6
	v_add_lshl_u32 v51, v32, v5, 2
	v_and_b32_e32 v5, 1, v6
	v_add_co_u32_e32 v7, vcc, -1, v5
	v_addc_co_u32_e64 v49, s[0:1], 0, -1, vcc
	v_cmp_ne_u32_e32 vcc, 0, v5
	v_xor_b32_e32 v5, vcc_hi, v49
	v_and_b32_e32 v49, exec_hi, v5
	v_lshlrev_b32_e32 v5, 30, v6
	v_xor_b32_e32 v7, vcc_lo, v7
	v_cmp_gt_i64_e32 vcc, 0, v[4:5]
	v_not_b32_e32 v5, v5
	v_ashrrev_i32_e32 v5, 31, v5
	v_and_b32_e32 v7, exec_lo, v7
	v_xor_b32_e32 v50, vcc_hi, v5
	v_xor_b32_e32 v5, vcc_lo, v5
	v_and_b32_e32 v7, v7, v5
	v_lshlrev_b32_e32 v5, 29, v6
	v_cmp_gt_i64_e32 vcc, 0, v[4:5]
	v_not_b32_e32 v5, v5
	v_ashrrev_i32_e32 v5, 31, v5
	v_and_b32_e32 v49, v49, v50
	v_xor_b32_e32 v50, vcc_hi, v5
	v_xor_b32_e32 v5, vcc_lo, v5
	v_and_b32_e32 v7, v7, v5
	v_lshlrev_b32_e32 v5, 28, v6
	v_cmp_gt_i64_e32 vcc, 0, v[4:5]
	v_not_b32_e32 v5, v5
	v_ashrrev_i32_e32 v5, 31, v5
	v_and_b32_e32 v49, v49, v50
	v_xor_b32_e32 v50, vcc_hi, v5
	v_xor_b32_e32 v5, vcc_lo, v5
	v_and_b32_e32 v7, v7, v5
	v_lshlrev_b32_e32 v5, 27, v6
	v_cmp_gt_i64_e32 vcc, 0, v[4:5]
	v_not_b32_e32 v5, v5
	v_ashrrev_i32_e32 v5, 31, v5
	v_and_b32_e32 v49, v49, v50
	v_xor_b32_e32 v50, vcc_hi, v5
	v_xor_b32_e32 v5, vcc_lo, v5
	v_and_b32_e32 v7, v7, v5
	v_lshlrev_b32_e32 v5, 26, v6
	v_cmp_gt_i64_e32 vcc, 0, v[4:5]
	v_not_b32_e32 v5, v5
	v_ashrrev_i32_e32 v5, 31, v5
	v_and_b32_e32 v49, v49, v50
	v_xor_b32_e32 v50, vcc_hi, v5
	v_xor_b32_e32 v5, vcc_lo, v5
	v_and_b32_e32 v7, v7, v5
	v_lshlrev_b32_e32 v5, 25, v6
	v_cmp_gt_i64_e32 vcc, 0, v[4:5]
	v_not_b32_e32 v5, v5
	v_ashrrev_i32_e32 v5, 31, v5
	v_and_b32_e32 v49, v49, v50
	v_xor_b32_e32 v50, vcc_hi, v5
	v_xor_b32_e32 v5, vcc_lo, v5
	v_and_b32_e32 v7, v7, v5
	v_lshlrev_b32_e32 v5, 24, v6
	v_cmp_gt_i64_e32 vcc, 0, v[4:5]
	v_not_b32_e32 v4, v5
	v_ashrrev_i32_e32 v4, 31, v4
	v_xor_b32_e32 v5, vcc_hi, v4
	v_xor_b32_e32 v4, vcc_lo, v4
	; wave barrier
	ds_read_b32 v47, v51 offset:64
	v_and_b32_e32 v49, v49, v50
	v_and_b32_e32 v4, v7, v4
	;; [unrolled: 1-line block ×3, first 2 shown]
	v_mbcnt_lo_u32_b32 v6, v4, 0
	v_mbcnt_hi_u32_b32 v49, v5, v6
	v_cmp_eq_u32_e32 vcc, 0, v49
	v_cmp_ne_u64_e64 s[0:1], 0, v[4:5]
	s_and_b64 s[2:3], s[0:1], vcc
	; wave barrier
	s_and_saveexec_b64 s[0:1], s[2:3]
	s_cbranch_execz .LBB1150_45
; %bb.44:
	v_bcnt_u32_b32 v4, v4, 0
	v_bcnt_u32_b32 v4, v5, v4
	s_waitcnt lgkmcnt(0)
	v_add_u32_e32 v4, v47, v4
	ds_write_b32 v51, v4 offset:64
.LBB1150_45:
	s_or_b64 exec, exec, s[0:1]
	v_lshrrev_b32_e32 v4, s16, v18
	v_and_b32_e32 v6, s28, v4
	v_and_b32_e32 v5, 1, v6
	v_add_co_u32_e32 v7, vcc, -1, v5
	v_addc_co_u32_e64 v52, s[0:1], 0, -1, vcc
	v_cmp_ne_u32_e32 vcc, 0, v5
	v_lshl_add_u32 v4, v6, 4, v6
	v_xor_b32_e32 v5, vcc_hi, v52
	v_add_lshl_u32 v54, v32, v4, 2
	v_mov_b32_e32 v4, 0
	v_and_b32_e32 v52, exec_hi, v5
	v_lshlrev_b32_e32 v5, 30, v6
	v_xor_b32_e32 v7, vcc_lo, v7
	v_cmp_gt_i64_e32 vcc, 0, v[4:5]
	v_not_b32_e32 v5, v5
	v_ashrrev_i32_e32 v5, 31, v5
	v_and_b32_e32 v7, exec_lo, v7
	v_xor_b32_e32 v53, vcc_hi, v5
	v_xor_b32_e32 v5, vcc_lo, v5
	v_and_b32_e32 v7, v7, v5
	v_lshlrev_b32_e32 v5, 29, v6
	v_cmp_gt_i64_e32 vcc, 0, v[4:5]
	v_not_b32_e32 v5, v5
	v_ashrrev_i32_e32 v5, 31, v5
	v_and_b32_e32 v52, v52, v53
	v_xor_b32_e32 v53, vcc_hi, v5
	v_xor_b32_e32 v5, vcc_lo, v5
	v_and_b32_e32 v7, v7, v5
	v_lshlrev_b32_e32 v5, 28, v6
	v_cmp_gt_i64_e32 vcc, 0, v[4:5]
	v_not_b32_e32 v5, v5
	v_ashrrev_i32_e32 v5, 31, v5
	v_and_b32_e32 v52, v52, v53
	;; [unrolled: 8-line block ×5, first 2 shown]
	v_xor_b32_e32 v53, vcc_hi, v5
	v_xor_b32_e32 v5, vcc_lo, v5
	v_and_b32_e32 v52, v52, v53
	v_and_b32_e32 v53, v7, v5
	v_lshlrev_b32_e32 v5, 24, v6
	v_cmp_gt_i64_e32 vcc, 0, v[4:5]
	v_not_b32_e32 v5, v5
	v_ashrrev_i32_e32 v5, 31, v5
	v_xor_b32_e32 v6, vcc_hi, v5
	v_xor_b32_e32 v5, vcc_lo, v5
	; wave barrier
	ds_read_b32 v50, v54 offset:64
	v_and_b32_e32 v7, v52, v6
	v_and_b32_e32 v6, v53, v5
	v_mbcnt_lo_u32_b32 v5, v6, 0
	v_mbcnt_hi_u32_b32 v52, v7, v5
	v_cmp_eq_u32_e32 vcc, 0, v52
	v_cmp_ne_u64_e64 s[0:1], 0, v[6:7]
	s_and_b64 s[2:3], s[0:1], vcc
	; wave barrier
	s_and_saveexec_b64 s[0:1], s[2:3]
	s_cbranch_execz .LBB1150_47
; %bb.46:
	v_bcnt_u32_b32 v5, v6, 0
	v_bcnt_u32_b32 v5, v7, v5
	s_waitcnt lgkmcnt(0)
	v_add_u32_e32 v5, v50, v5
	ds_write_b32 v54, v5 offset:64
.LBB1150_47:
	s_or_b64 exec, exec, s[0:1]
	v_lshrrev_b32_e32 v5, s16, v20
	v_and_b32_e32 v6, s28, v5
	v_lshl_add_u32 v5, v6, 4, v6
	v_add_lshl_u32 v56, v32, v5, 2
	v_and_b32_e32 v5, 1, v6
	v_add_co_u32_e32 v7, vcc, -1, v5
	v_addc_co_u32_e64 v32, s[0:1], 0, -1, vcc
	v_cmp_ne_u32_e32 vcc, 0, v5
	v_xor_b32_e32 v5, vcc_hi, v32
	v_and_b32_e32 v32, exec_hi, v5
	v_lshlrev_b32_e32 v5, 30, v6
	v_xor_b32_e32 v7, vcc_lo, v7
	v_cmp_gt_i64_e32 vcc, 0, v[4:5]
	v_not_b32_e32 v5, v5
	v_ashrrev_i32_e32 v5, 31, v5
	v_and_b32_e32 v7, exec_lo, v7
	v_xor_b32_e32 v55, vcc_hi, v5
	v_xor_b32_e32 v5, vcc_lo, v5
	v_and_b32_e32 v7, v7, v5
	v_lshlrev_b32_e32 v5, 29, v6
	v_cmp_gt_i64_e32 vcc, 0, v[4:5]
	v_not_b32_e32 v5, v5
	v_ashrrev_i32_e32 v5, 31, v5
	v_and_b32_e32 v32, v32, v55
	v_xor_b32_e32 v55, vcc_hi, v5
	v_xor_b32_e32 v5, vcc_lo, v5
	v_and_b32_e32 v7, v7, v5
	v_lshlrev_b32_e32 v5, 28, v6
	v_cmp_gt_i64_e32 vcc, 0, v[4:5]
	v_not_b32_e32 v5, v5
	v_ashrrev_i32_e32 v5, 31, v5
	v_and_b32_e32 v32, v32, v55
	;; [unrolled: 8-line block ×5, first 2 shown]
	v_xor_b32_e32 v55, vcc_hi, v5
	v_xor_b32_e32 v5, vcc_lo, v5
	v_and_b32_e32 v7, v7, v5
	v_lshlrev_b32_e32 v5, 24, v6
	v_cmp_gt_i64_e32 vcc, 0, v[4:5]
	v_not_b32_e32 v4, v5
	v_ashrrev_i32_e32 v4, 31, v4
	v_xor_b32_e32 v5, vcc_hi, v4
	v_xor_b32_e32 v4, vcc_lo, v4
	; wave barrier
	ds_read_b32 v53, v56 offset:64
	v_and_b32_e32 v32, v32, v55
	v_and_b32_e32 v4, v7, v4
	;; [unrolled: 1-line block ×3, first 2 shown]
	v_mbcnt_lo_u32_b32 v6, v4, 0
	v_mbcnt_hi_u32_b32 v55, v5, v6
	v_cmp_eq_u32_e32 vcc, 0, v55
	v_cmp_ne_u64_e64 s[0:1], 0, v[4:5]
	v_add_u32_e32 v57, 64, v9
	s_and_b64 s[2:3], s[0:1], vcc
	; wave barrier
	s_and_saveexec_b64 s[0:1], s[2:3]
	s_cbranch_execz .LBB1150_49
; %bb.48:
	v_bcnt_u32_b32 v4, v4, 0
	v_bcnt_u32_b32 v4, v5, v4
	s_waitcnt lgkmcnt(0)
	v_add_u32_e32 v4, v53, v4
	ds_write_b32 v56, v4 offset:64
.LBB1150_49:
	s_or_b64 exec, exec, s[0:1]
	; wave barrier
	s_waitcnt lgkmcnt(0)
	s_barrier
	ds_read2_b32 v[6:7], v9 offset0:16 offset1:17
	ds_read2_b32 v[4:5], v57 offset0:2 offset1:3
	ds_read_b32 v32, v57 offset:16
	v_cmp_lt_u32_e64 s[10:11], 31, v8
	s_waitcnt lgkmcnt(1)
	v_add3_u32 v58, v7, v6, v4
	s_waitcnt lgkmcnt(0)
	v_add3_u32 v32, v58, v5, v32
	v_and_b32_e32 v58, 15, v8
	v_cmp_eq_u32_e32 vcc, 0, v58
	v_mov_b32_dpp v59, v32 row_shr:1 row_mask:0xf bank_mask:0xf
	v_cndmask_b32_e64 v59, v59, 0, vcc
	v_add_u32_e32 v32, v59, v32
	v_cmp_lt_u32_e64 s[0:1], 1, v58
	v_cmp_lt_u32_e64 s[2:3], 3, v58
	v_mov_b32_dpp v59, v32 row_shr:2 row_mask:0xf bank_mask:0xf
	v_cndmask_b32_e64 v59, 0, v59, s[0:1]
	v_add_u32_e32 v32, v32, v59
	v_cmp_lt_u32_e64 s[8:9], 7, v58
	s_nop 0
	v_mov_b32_dpp v59, v32 row_shr:4 row_mask:0xf bank_mask:0xf
	v_cndmask_b32_e64 v59, 0, v59, s[2:3]
	v_add_u32_e32 v32, v32, v59
	s_nop 1
	v_mov_b32_dpp v59, v32 row_shr:8 row_mask:0xf bank_mask:0xf
	v_cndmask_b32_e64 v58, 0, v59, s[8:9]
	v_add_u32_e32 v32, v32, v58
	v_bfe_i32 v59, v8, 4, 1
	s_nop 0
	v_mov_b32_dpp v58, v32 row_bcast:15 row_mask:0xf bank_mask:0xf
	v_and_b32_e32 v58, v59, v58
	v_add_u32_e32 v32, v32, v58
	v_lshrrev_b32_e32 v59, 6, v2
	s_nop 0
	v_mov_b32_dpp v58, v32 row_bcast:31 row_mask:0xf bank_mask:0xf
	v_cndmask_b32_e64 v58, 0, v58, s[10:11]
	v_add_u32_e32 v58, v32, v58
	v_and_b32_e32 v32, 63, v2
	v_cmp_eq_u32_e64 s[10:11], 63, v32
	s_and_saveexec_b64 s[18:19], s[10:11]
	s_cbranch_execz .LBB1150_51
; %bb.50:
	v_lshlrev_b32_e32 v32, 2, v59
	ds_write_b32 v32, v58
.LBB1150_51:
	s_or_b64 exec, exec, s[18:19]
	v_cmp_gt_u32_e64 s[10:11], 16, v2
	v_lshlrev_b32_e32 v32, 2, v2
	s_waitcnt lgkmcnt(0)
	s_barrier
	s_and_saveexec_b64 s[18:19], s[10:11]
	s_cbranch_execz .LBB1150_53
; %bb.52:
	ds_read_b32 v60, v32
	s_waitcnt lgkmcnt(0)
	s_nop 0
	v_mov_b32_dpp v61, v60 row_shr:1 row_mask:0xf bank_mask:0xf
	v_cndmask_b32_e64 v61, v61, 0, vcc
	v_add_u32_e32 v60, v61, v60
	s_nop 1
	v_mov_b32_dpp v61, v60 row_shr:2 row_mask:0xf bank_mask:0xf
	v_cndmask_b32_e64 v61, 0, v61, s[0:1]
	v_add_u32_e32 v60, v60, v61
	s_nop 1
	v_mov_b32_dpp v61, v60 row_shr:4 row_mask:0xf bank_mask:0xf
	v_cndmask_b32_e64 v61, 0, v61, s[2:3]
	v_add_u32_e32 v60, v60, v61
	s_nop 1
	v_mov_b32_dpp v61, v60 row_shr:8 row_mask:0xf bank_mask:0xf
	v_cndmask_b32_e64 v61, 0, v61, s[8:9]
	v_add_u32_e32 v60, v60, v61
	ds_write_b32 v32, v60
.LBB1150_53:
	s_or_b64 exec, exec, s[18:19]
	v_cmp_lt_u32_e32 vcc, 63, v2
	v_mov_b32_e32 v60, 0
	s_waitcnt lgkmcnt(0)
	s_barrier
	s_and_saveexec_b64 s[0:1], vcc
	s_cbranch_execz .LBB1150_55
; %bb.54:
	v_lshl_add_u32 v59, v59, 2, -4
	ds_read_b32 v60, v59
.LBB1150_55:
	s_or_b64 exec, exec, s[0:1]
	v_add_u32_e32 v59, -1, v8
	v_and_b32_e32 v61, 64, v8
	v_cmp_lt_i32_e32 vcc, v59, v61
	v_cndmask_b32_e32 v59, v59, v8, vcc
	s_waitcnt lgkmcnt(0)
	v_add_u32_e32 v58, v60, v58
	v_lshlrev_b32_e32 v59, 2, v59
	ds_bpermute_b32 v58, v59, v58
	v_cmp_eq_u32_e32 vcc, 0, v8
	s_movk_i32 s0, 0x100
	s_waitcnt lgkmcnt(0)
	v_cndmask_b32_e32 v8, v58, v60, vcc
	v_cmp_ne_u32_e32 vcc, 0, v2
	v_cndmask_b32_e32 v8, 0, v8, vcc
	v_add_u32_e32 v6, v8, v6
	v_add_u32_e32 v7, v6, v7
	;; [unrolled: 1-line block ×4, first 2 shown]
	ds_write2_b32 v9, v8, v6 offset0:16 offset1:17
	ds_write2_b32 v57, v7, v4 offset0:2 offset1:3
	ds_write_b32 v57, v5 offset:16
	s_waitcnt lgkmcnt(0)
	s_barrier
	ds_read_b32 v61, v25 offset:64
	ds_read_b32 v57, v26 offset:64
	;; [unrolled: 1-line block ×12, first 2 shown]
	v_cmp_gt_u32_e32 vcc, s0, v2
                                        ; implicit-def: $vgpr25
                                        ; implicit-def: $vgpr26
	s_and_saveexec_b64 s[2:3], vcc
	s_cbranch_execz .LBB1150_59
; %bb.56:
	v_mul_u32_u24_e32 v4, 17, v2
	v_lshlrev_b32_e32 v5, 2, v4
	ds_read_b32 v25, v5 offset:64
	s_movk_i32 s0, 0xff
	v_cmp_ne_u32_e64 s[0:1], s0, v2
	v_mov_b32_e32 v4, 0x3000
	s_and_saveexec_b64 s[8:9], s[0:1]
	s_cbranch_execz .LBB1150_58
; %bb.57:
	ds_read_b32 v4, v5 offset:132
.LBB1150_58:
	s_or_b64 exec, exec, s[8:9]
	s_waitcnt lgkmcnt(0)
	v_sub_u32_e32 v26, v4, v25
.LBB1150_59:
	s_or_b64 exec, exec, s[2:3]
	s_waitcnt lgkmcnt(0)
	s_barrier
	s_and_saveexec_b64 s[2:3], vcc
	s_cbranch_execz .LBB1150_69
; %bb.60:
	v_lshl_or_b32 v4, s6, 8, v2
	v_mov_b32_e32 v5, 0
	v_lshlrev_b64 v[6:7], 2, v[4:5]
	v_mov_b32_e32 v51, s25
	v_add_co_u32_e64 v6, s[0:1], s24, v6
	v_addc_co_u32_e64 v7, s[0:1], v51, v7, s[0:1]
	v_or_b32_e32 v4, 2.0, v26
	s_mov_b64 s[8:9], 0
	s_brev_b32 s29, 1
	s_mov_b32 s30, s6
	v_mov_b32_e32 v54, 0
	global_store_dword v[6:7], v4, off
                                        ; implicit-def: $sgpr0_sgpr1
	s_branch .LBB1150_62
.LBB1150_61:                            ;   in Loop: Header=BB1150_62 Depth=1
	s_or_b64 exec, exec, s[10:11]
	v_and_b32_e32 v8, 0x3fffffff, v56
	v_add_u32_e32 v54, v8, v54
	v_cmp_eq_u32_e64 s[0:1], s29, v4
	s_and_b64 s[10:11], exec, s[0:1]
	s_or_b64 s[8:9], s[10:11], s[8:9]
	s_andn2_b64 exec, exec, s[8:9]
	s_cbranch_execz .LBB1150_68
.LBB1150_62:                            ; =>This Loop Header: Depth=1
                                        ;     Child Loop BB1150_65 Depth 2
	s_or_b64 s[0:1], s[0:1], exec
	s_cmp_eq_u32 s30, 0
	s_cbranch_scc1 .LBB1150_67
; %bb.63:                               ;   in Loop: Header=BB1150_62 Depth=1
	s_add_i32 s30, s30, -1
	v_lshl_or_b32 v4, s30, 8, v2
	v_lshlrev_b64 v[8:9], 2, v[4:5]
	v_add_co_u32_e64 v8, s[0:1], s24, v8
	v_addc_co_u32_e64 v9, s[0:1], v51, v9, s[0:1]
	global_load_dword v56, v[8:9], off glc
	s_waitcnt vmcnt(0)
	v_and_b32_e32 v4, -2.0, v56
	v_cmp_eq_u32_e64 s[0:1], 0, v4
	s_and_saveexec_b64 s[10:11], s[0:1]
	s_cbranch_execz .LBB1150_61
; %bb.64:                               ;   in Loop: Header=BB1150_62 Depth=1
	s_mov_b64 s[18:19], 0
.LBB1150_65:                            ;   Parent Loop BB1150_62 Depth=1
                                        ; =>  This Inner Loop Header: Depth=2
	global_load_dword v56, v[8:9], off glc
	s_waitcnt vmcnt(0)
	v_and_b32_e32 v4, -2.0, v56
	v_cmp_ne_u32_e64 s[0:1], 0, v4
	s_or_b64 s[18:19], s[0:1], s[18:19]
	s_andn2_b64 exec, exec, s[18:19]
	s_cbranch_execnz .LBB1150_65
; %bb.66:                               ;   in Loop: Header=BB1150_62 Depth=1
	s_or_b64 exec, exec, s[18:19]
	s_branch .LBB1150_61
.LBB1150_67:                            ;   in Loop: Header=BB1150_62 Depth=1
                                        ; implicit-def: $sgpr30
	s_and_b64 s[10:11], exec, s[0:1]
	s_or_b64 s[8:9], s[10:11], s[8:9]
	s_andn2_b64 exec, exec, s[8:9]
	s_cbranch_execnz .LBB1150_62
.LBB1150_68:
	s_or_b64 exec, exec, s[8:9]
	v_add_u32_e32 v4, v54, v26
	v_or_b32_e32 v4, 0x80000000, v4
	global_store_dword v[6:7], v4, off
	global_load_dword v4, v32, s[12:13]
	v_sub_u32_e32 v5, v54, v25
	s_waitcnt vmcnt(0)
	v_add_u32_e32 v4, v5, v4
	ds_write_b32 v32, v4
.LBB1150_69:
	s_or_b64 exec, exec, s[2:3]
	v_add_u32_e32 v6, v61, v21
	s_movk_i32 s8, 0x400
	v_add_u32_e32 v7, 0x400, v32
	v_add3_u32 v8, v55, v48, v53
	v_add3_u32 v9, v52, v45, v50
	;; [unrolled: 1-line block ×11, first 2 shown]
	s_mov_b32 s9, 0
	v_mov_b32_e32 v5, 0
	s_movk_i32 s10, 0x800
	s_movk_i32 s11, 0xc00
	s_mov_b32 s18, 0
	s_branch .LBB1150_71
.LBB1150_70:                            ;   in Loop: Header=BB1150_71 Depth=1
	s_or_b64 exec, exec, s[2:3]
	s_addk_i32 s18, 0x1000
	s_addk_i32 s9, 0xf000
	s_cmpk_eq_i32 s9, 0xd000
	s_barrier
	s_cbranch_scc1 .LBB1150_80
.LBB1150_71:                            ; =>This Inner Loop Header: Depth=1
	v_add_u32_e32 v4, s9, v6
	v_min_u32_e32 v4, 0x1000, v4
	v_lshlrev_b32_e32 v4, 2, v4
	ds_write_b32 v4, v10 offset:1024
	v_add_u32_e32 v4, s9, v22
	v_min_u32_e32 v4, 0x1000, v4
	v_lshlrev_b32_e32 v4, 2, v4
	ds_write_b32 v4, v11 offset:1024
	;; [unrolled: 4-line block ×11, first 2 shown]
	v_add_u32_e32 v4, s9, v8
	v_min_u32_e32 v4, 0x1000, v4
	v_add_u32_e32 v23, s18, v2
	v_lshlrev_b32_e32 v4, 2, v4
	v_cmp_gt_u32_e64 s[0:1], s7, v23
	ds_write_b32 v4, v20 offset:1024
	s_waitcnt lgkmcnt(0)
	s_barrier
	s_and_saveexec_b64 s[2:3], s[0:1]
	s_cbranch_execz .LBB1150_73
; %bb.72:                               ;   in Loop: Header=BB1150_71 Depth=1
	ds_read_b32 v27, v32 offset:1024
	v_mov_b32_e32 v30, s23
	s_waitcnt lgkmcnt(0)
	v_lshrrev_b32_e32 v4, s16, v27
	v_and_b32_e32 v4, s28, v4
	v_lshlrev_b32_e32 v4, 2, v4
	ds_read_b32 v4, v4
	s_waitcnt lgkmcnt(0)
	v_add_u32_e32 v4, v23, v4
	v_lshlrev_b64 v[38:39], 2, v[4:5]
	v_add_co_u32_e64 v38, s[0:1], s22, v38
	v_addc_co_u32_e64 v39, s[0:1], v30, v39, s[0:1]
	global_store_dword v[38:39], v27, off
.LBB1150_73:                            ;   in Loop: Header=BB1150_71 Depth=1
	s_or_b64 exec, exec, s[2:3]
	v_add_u32_e32 v4, 0x400, v23
	v_cmp_gt_u32_e64 s[0:1], s7, v4
	s_and_saveexec_b64 s[2:3], s[0:1]
	s_cbranch_execz .LBB1150_75
; %bb.74:                               ;   in Loop: Header=BB1150_71 Depth=1
	ds_read_b32 v27, v7 offset:4096
	v_mov_b32_e32 v30, s23
	s_waitcnt lgkmcnt(0)
	v_lshrrev_b32_e32 v4, s16, v27
	v_and_b32_e32 v4, s28, v4
	v_lshlrev_b32_e32 v4, 2, v4
	ds_read_b32 v4, v4
	s_waitcnt lgkmcnt(0)
	v_add3_u32 v4, v23, v4, s8
	v_lshlrev_b64 v[38:39], 2, v[4:5]
	v_add_co_u32_e64 v38, s[0:1], s22, v38
	v_addc_co_u32_e64 v39, s[0:1], v30, v39, s[0:1]
	global_store_dword v[38:39], v27, off
.LBB1150_75:                            ;   in Loop: Header=BB1150_71 Depth=1
	s_or_b64 exec, exec, s[2:3]
	v_add_u32_e32 v4, 0x800, v23
	v_cmp_gt_u32_e64 s[0:1], s7, v4
	s_and_saveexec_b64 s[2:3], s[0:1]
	s_cbranch_execz .LBB1150_77
; %bb.76:                               ;   in Loop: Header=BB1150_71 Depth=1
	ds_read_b32 v27, v7 offset:8192
	v_mov_b32_e32 v30, s23
	s_waitcnt lgkmcnt(0)
	v_lshrrev_b32_e32 v4, s16, v27
	v_and_b32_e32 v4, s28, v4
	v_lshlrev_b32_e32 v4, 2, v4
	ds_read_b32 v4, v4
	s_waitcnt lgkmcnt(0)
	v_add3_u32 v4, v23, v4, s10
	v_lshlrev_b64 v[38:39], 2, v[4:5]
	v_add_co_u32_e64 v38, s[0:1], s22, v38
	v_addc_co_u32_e64 v39, s[0:1], v30, v39, s[0:1]
	global_store_dword v[38:39], v27, off
.LBB1150_77:                            ;   in Loop: Header=BB1150_71 Depth=1
	s_or_b64 exec, exec, s[2:3]
	v_add_u32_e32 v4, 0xc00, v23
	v_cmp_gt_u32_e64 s[0:1], s7, v4
	s_and_saveexec_b64 s[2:3], s[0:1]
	s_cbranch_execz .LBB1150_70
; %bb.78:                               ;   in Loop: Header=BB1150_71 Depth=1
	ds_read_b32 v27, v7 offset:12288
	v_mov_b32_e32 v30, s23
	s_waitcnt lgkmcnt(0)
	v_lshrrev_b32_e32 v4, s16, v27
	v_and_b32_e32 v4, s28, v4
	v_lshlrev_b32_e32 v4, 2, v4
	ds_read_b32 v4, v4
	s_waitcnt lgkmcnt(0)
	v_add3_u32 v4, v23, v4, s11
	v_lshlrev_b64 v[38:39], 2, v[4:5]
	v_add_co_u32_e64 v38, s[0:1], s22, v38
	v_addc_co_u32_e64 v39, s[0:1], v30, v39, s[0:1]
	global_store_dword v[38:39], v27, off
	s_branch .LBB1150_70
.LBB1150_79:
	s_mov_b64 s[10:11], 0
                                        ; implicit-def: $vgpr4
                                        ; implicit-def: $vgpr2
	s_cbranch_execnz .LBB1150_83
	s_branch .LBB1150_132
.LBB1150_80:
	s_add_i32 s27, s27, -1
	s_cmp_eq_u32 s27, s6
	s_cselect_b64 s[0:1], -1, 0
	s_and_b64 s[2:3], vcc, s[0:1]
	s_mov_b64 s[0:1], 0
	s_mov_b64 s[10:11], 0
                                        ; implicit-def: $vgpr4
	s_and_saveexec_b64 s[8:9], s[2:3]
	s_xor_b64 s[2:3], exec, s[8:9]
; %bb.81:
	s_mov_b64 s[10:11], exec
	v_add_u32_e32 v4, v25, v26
; %bb.82:
	s_or_b64 exec, exec, s[2:3]
	s_and_b64 vcc, exec, s[0:1]
	s_cbranch_vccz .LBB1150_132
.LBB1150_83:
	s_mov_b32 s27, 0
	v_mbcnt_hi_u32_b32 v6, -1, v1
	s_lshl_b64 s[0:1], s[26:27], 2
	v_and_b32_e32 v1, 63, v6
	s_add_u32 s0, s20, s0
	v_lshlrev_b32_e32 v1, 2, v1
	v_add_co_u32_e32 v1, vcc, s0, v1
	s_load_dword s7, s[4:5], 0x58
	s_load_dword s0, s[4:5], 0x64
	v_and_b32_e32 v2, 0x3ff, v0
	s_addc_u32 s1, s21, s1
	v_and_b32_e32 v3, 0x3c0, v2
	v_mul_u32_u24_e32 v3, 12, v3
	v_mov_b32_e32 v5, s1
	s_add_u32 s1, s4, 0x58
	v_addc_co_u32_e32 v5, vcc, 0, v5, vcc
	v_lshlrev_b32_e32 v3, 2, v3
	s_addc_u32 s2, s5, 0
	s_waitcnt lgkmcnt(0)
	s_lshr_b32 s3, s0, 16
	v_add_co_u32_e32 v20, vcc, v1, v3
	s_cmp_lt_u32 s6, s7
	v_addc_co_u32_e32 v21, vcc, 0, v5, vcc
	s_cselect_b32 s0, 12, 18
	global_load_dword v3, v[20:21], off
	s_add_u32 s0, s1, s0
	v_mov_b32_e32 v4, 0
	s_addc_u32 s1, s2, 0
	global_load_ushort v1, v4, s[0:1]
	v_mul_u32_u24_e32 v7, 5, v2
	v_lshlrev_b32_e32 v7, 2, v7
	ds_write2_b32 v7, v4, v4 offset0:16 offset1:17
	ds_write2_b32 v7, v4, v4 offset0:18 offset1:19
	ds_write_b32 v7, v4 offset:80
	global_load_dword v8, v[20:21], off offset:256
	global_load_dword v9, v[20:21], off offset:512
	;; [unrolled: 1-line block ×11, first 2 shown]
	v_bfe_u32 v5, v0, 10, 10
	v_bfe_u32 v0, v0, 20, 10
	s_lshl_b32 s0, -1, s17
	v_mad_u32_u24 v0, v0, s3, v5
	s_not_b32 s17, s0
	s_waitcnt lgkmcnt(0)
	s_barrier
	s_waitcnt lgkmcnt(0)
	; wave barrier
	s_waitcnt vmcnt(12)
	v_lshrrev_b32_e32 v5, s16, v3
	v_and_b32_e32 v19, s17, v5
	v_and_b32_e32 v21, 1, v19
	v_lshlrev_b32_e32 v5, 30, v19
	s_waitcnt vmcnt(11)
	v_mad_u64_u32 v[0:1], s[0:1], v0, v1, v[2:3]
	v_add_co_u32_e32 v1, vcc, -1, v21
	v_addc_co_u32_e64 v22, s[0:1], 0, -1, vcc
	v_cmp_ne_u32_e32 vcc, 0, v21
	v_cmp_gt_i64_e64 s[0:1], 0, v[4:5]
	v_not_b32_e32 v21, v5
	v_lshlrev_b32_e32 v5, 29, v19
	v_lshl_add_u32 v20, v19, 4, v19
	v_lshrrev_b32_e32 v28, 6, v0
	v_xor_b32_e32 v0, vcc_hi, v22
	v_xor_b32_e32 v1, vcc_lo, v1
	v_ashrrev_i32_e32 v21, 31, v21
	v_cmp_gt_i64_e32 vcc, 0, v[4:5]
	v_not_b32_e32 v23, v5
	v_lshlrev_b32_e32 v5, 28, v19
	v_add_lshl_u32 v22, v28, v20, 2
	v_and_b32_e32 v0, exec_hi, v0
	v_and_b32_e32 v1, exec_lo, v1
	v_xor_b32_e32 v20, s1, v21
	v_xor_b32_e32 v21, s0, v21
	v_ashrrev_i32_e32 v23, 31, v23
	v_cmp_gt_i64_e64 s[0:1], 0, v[4:5]
	v_not_b32_e32 v5, v5
	v_and_b32_e32 v0, v0, v20
	v_and_b32_e32 v1, v1, v21
	v_xor_b32_e32 v20, vcc_hi, v23
	v_xor_b32_e32 v21, vcc_lo, v23
	v_ashrrev_i32_e32 v5, 31, v5
	v_and_b32_e32 v0, v0, v20
	v_and_b32_e32 v1, v1, v21
	v_xor_b32_e32 v20, s1, v5
	v_xor_b32_e32 v5, s0, v5
	v_and_b32_e32 v1, v1, v5
	v_lshlrev_b32_e32 v5, 27, v19
	v_cmp_gt_i64_e32 vcc, 0, v[4:5]
	v_not_b32_e32 v5, v5
	v_ashrrev_i32_e32 v5, 31, v5
	v_and_b32_e32 v0, v0, v20
	v_xor_b32_e32 v20, vcc_hi, v5
	v_xor_b32_e32 v5, vcc_lo, v5
	v_and_b32_e32 v1, v1, v5
	v_lshlrev_b32_e32 v5, 26, v19
	v_cmp_gt_i64_e32 vcc, 0, v[4:5]
	v_not_b32_e32 v5, v5
	v_ashrrev_i32_e32 v5, 31, v5
	v_and_b32_e32 v0, v0, v20
	v_xor_b32_e32 v20, vcc_hi, v5
	v_xor_b32_e32 v5, vcc_lo, v5
	;; [unrolled: 8-line block ×3, first 2 shown]
	v_and_b32_e32 v0, v0, v20
	v_and_b32_e32 v20, v1, v5
	v_lshlrev_b32_e32 v5, 24, v19
	v_not_b32_e32 v1, v5
	v_cmp_gt_i64_e32 vcc, 0, v[4:5]
	v_ashrrev_i32_e32 v1, 31, v1
	v_xor_b32_e32 v5, vcc_hi, v1
	v_xor_b32_e32 v19, vcc_lo, v1
	v_and_b32_e32 v1, v0, v5
	v_and_b32_e32 v0, v20, v19
	v_mbcnt_lo_u32_b32 v5, v0, 0
	v_mbcnt_hi_u32_b32 v19, v1, v5
	v_cmp_eq_u32_e32 vcc, 0, v19
	v_cmp_ne_u64_e64 s[0:1], 0, v[0:1]
	s_and_b64 s[2:3], s[0:1], vcc
	s_and_saveexec_b64 s[0:1], s[2:3]
	s_cbranch_execz .LBB1150_85
; %bb.84:
	v_bcnt_u32_b32 v0, v0, 0
	v_bcnt_u32_b32 v0, v1, v0
	ds_write_b32 v22, v0 offset:64
.LBB1150_85:
	s_or_b64 exec, exec, s[0:1]
	s_waitcnt vmcnt(10)
	v_lshrrev_b32_e32 v0, s16, v8
	v_and_b32_e32 v0, s17, v0
	v_lshl_add_u32 v1, v0, 4, v0
	v_add_lshl_u32 v24, v28, v1, 2
	v_and_b32_e32 v1, 1, v0
	v_add_co_u32_e32 v5, vcc, -1, v1
	v_addc_co_u32_e64 v21, s[0:1], 0, -1, vcc
	v_cmp_ne_u32_e32 vcc, 0, v1
	v_xor_b32_e32 v5, vcc_lo, v5
	v_xor_b32_e32 v1, vcc_hi, v21
	v_and_b32_e32 v21, exec_lo, v5
	v_lshlrev_b32_e32 v5, 30, v0
	v_cmp_gt_i64_e32 vcc, 0, v[4:5]
	v_not_b32_e32 v5, v5
	v_ashrrev_i32_e32 v5, 31, v5
	v_xor_b32_e32 v23, vcc_hi, v5
	v_xor_b32_e32 v5, vcc_lo, v5
	v_and_b32_e32 v21, v21, v5
	v_lshlrev_b32_e32 v5, 29, v0
	v_cmp_gt_i64_e32 vcc, 0, v[4:5]
	v_not_b32_e32 v5, v5
	v_and_b32_e32 v1, exec_hi, v1
	v_ashrrev_i32_e32 v5, 31, v5
	v_and_b32_e32 v1, v1, v23
	v_xor_b32_e32 v23, vcc_hi, v5
	v_xor_b32_e32 v5, vcc_lo, v5
	v_and_b32_e32 v21, v21, v5
	v_lshlrev_b32_e32 v5, 28, v0
	v_cmp_gt_i64_e32 vcc, 0, v[4:5]
	v_not_b32_e32 v5, v5
	v_ashrrev_i32_e32 v5, 31, v5
	v_and_b32_e32 v1, v1, v23
	v_xor_b32_e32 v23, vcc_hi, v5
	v_xor_b32_e32 v5, vcc_lo, v5
	v_and_b32_e32 v21, v21, v5
	v_lshlrev_b32_e32 v5, 27, v0
	v_cmp_gt_i64_e32 vcc, 0, v[4:5]
	v_not_b32_e32 v5, v5
	;; [unrolled: 8-line block ×4, first 2 shown]
	v_ashrrev_i32_e32 v5, 31, v5
	v_and_b32_e32 v1, v1, v23
	v_xor_b32_e32 v23, vcc_hi, v5
	v_xor_b32_e32 v5, vcc_lo, v5
	v_and_b32_e32 v21, v21, v5
	v_lshlrev_b32_e32 v5, 24, v0
	v_not_b32_e32 v0, v5
	v_cmp_gt_i64_e32 vcc, 0, v[4:5]
	v_ashrrev_i32_e32 v0, 31, v0
	v_xor_b32_e32 v4, vcc_hi, v0
	v_xor_b32_e32 v0, vcc_lo, v0
	; wave barrier
	ds_read_b32 v20, v24 offset:64
	v_and_b32_e32 v1, v1, v23
	v_and_b32_e32 v0, v21, v0
	;; [unrolled: 1-line block ×3, first 2 shown]
	v_mbcnt_lo_u32_b32 v4, v0, 0
	v_mbcnt_hi_u32_b32 v21, v1, v4
	v_cmp_eq_u32_e32 vcc, 0, v21
	v_cmp_ne_u64_e64 s[0:1], 0, v[0:1]
	s_and_b64 s[2:3], s[0:1], vcc
	; wave barrier
	s_and_saveexec_b64 s[0:1], s[2:3]
	s_cbranch_execz .LBB1150_87
; %bb.86:
	v_bcnt_u32_b32 v0, v0, 0
	v_bcnt_u32_b32 v0, v1, v0
	s_waitcnt lgkmcnt(0)
	v_add_u32_e32 v0, v20, v0
	ds_write_b32 v24, v0 offset:64
.LBB1150_87:
	s_or_b64 exec, exec, s[0:1]
	s_waitcnt vmcnt(9)
	v_lshrrev_b32_e32 v0, s16, v9
	v_and_b32_e32 v4, s17, v0
	v_and_b32_e32 v1, 1, v4
	v_add_co_u32_e32 v5, vcc, -1, v1
	v_addc_co_u32_e64 v25, s[0:1], 0, -1, vcc
	v_cmp_ne_u32_e32 vcc, 0, v1
	v_lshl_add_u32 v0, v4, 4, v4
	v_xor_b32_e32 v1, vcc_hi, v25
	v_add_lshl_u32 v27, v28, v0, 2
	v_mov_b32_e32 v0, 0
	v_and_b32_e32 v25, exec_hi, v1
	v_lshlrev_b32_e32 v1, 30, v4
	v_xor_b32_e32 v5, vcc_lo, v5
	v_cmp_gt_i64_e32 vcc, 0, v[0:1]
	v_not_b32_e32 v1, v1
	v_ashrrev_i32_e32 v1, 31, v1
	v_and_b32_e32 v5, exec_lo, v5
	v_xor_b32_e32 v26, vcc_hi, v1
	v_xor_b32_e32 v1, vcc_lo, v1
	v_and_b32_e32 v5, v5, v1
	v_lshlrev_b32_e32 v1, 29, v4
	v_cmp_gt_i64_e32 vcc, 0, v[0:1]
	v_not_b32_e32 v1, v1
	v_ashrrev_i32_e32 v1, 31, v1
	v_and_b32_e32 v25, v25, v26
	v_xor_b32_e32 v26, vcc_hi, v1
	v_xor_b32_e32 v1, vcc_lo, v1
	v_and_b32_e32 v5, v5, v1
	v_lshlrev_b32_e32 v1, 28, v4
	v_cmp_gt_i64_e32 vcc, 0, v[0:1]
	v_not_b32_e32 v1, v1
	v_ashrrev_i32_e32 v1, 31, v1
	v_and_b32_e32 v25, v25, v26
	;; [unrolled: 8-line block ×5, first 2 shown]
	v_xor_b32_e32 v26, vcc_hi, v1
	v_xor_b32_e32 v1, vcc_lo, v1
	v_and_b32_e32 v25, v25, v26
	v_and_b32_e32 v26, v5, v1
	v_lshlrev_b32_e32 v1, 24, v4
	v_cmp_gt_i64_e32 vcc, 0, v[0:1]
	v_not_b32_e32 v1, v1
	v_ashrrev_i32_e32 v1, 31, v1
	v_xor_b32_e32 v4, vcc_hi, v1
	v_xor_b32_e32 v1, vcc_lo, v1
	; wave barrier
	ds_read_b32 v23, v27 offset:64
	v_and_b32_e32 v5, v25, v4
	v_and_b32_e32 v4, v26, v1
	v_mbcnt_lo_u32_b32 v1, v4, 0
	v_mbcnt_hi_u32_b32 v25, v5, v1
	v_cmp_eq_u32_e32 vcc, 0, v25
	v_cmp_ne_u64_e64 s[0:1], 0, v[4:5]
	s_and_b64 s[2:3], s[0:1], vcc
	; wave barrier
	s_and_saveexec_b64 s[0:1], s[2:3]
	s_cbranch_execz .LBB1150_89
; %bb.88:
	v_bcnt_u32_b32 v1, v4, 0
	v_bcnt_u32_b32 v1, v5, v1
	s_waitcnt lgkmcnt(0)
	v_add_u32_e32 v1, v23, v1
	ds_write_b32 v27, v1 offset:64
.LBB1150_89:
	s_or_b64 exec, exec, s[0:1]
	s_waitcnt vmcnt(8)
	v_lshrrev_b32_e32 v1, s16, v10
	v_and_b32_e32 v4, s17, v1
	v_lshl_add_u32 v1, v4, 4, v4
	v_add_lshl_u32 v31, v28, v1, 2
	v_and_b32_e32 v1, 1, v4
	v_add_co_u32_e32 v5, vcc, -1, v1
	v_addc_co_u32_e64 v29, s[0:1], 0, -1, vcc
	v_cmp_ne_u32_e32 vcc, 0, v1
	v_xor_b32_e32 v1, vcc_hi, v29
	v_and_b32_e32 v29, exec_hi, v1
	v_lshlrev_b32_e32 v1, 30, v4
	v_xor_b32_e32 v5, vcc_lo, v5
	v_cmp_gt_i64_e32 vcc, 0, v[0:1]
	v_not_b32_e32 v1, v1
	v_ashrrev_i32_e32 v1, 31, v1
	v_and_b32_e32 v5, exec_lo, v5
	v_xor_b32_e32 v30, vcc_hi, v1
	v_xor_b32_e32 v1, vcc_lo, v1
	v_and_b32_e32 v5, v5, v1
	v_lshlrev_b32_e32 v1, 29, v4
	v_cmp_gt_i64_e32 vcc, 0, v[0:1]
	v_not_b32_e32 v1, v1
	v_ashrrev_i32_e32 v1, 31, v1
	v_and_b32_e32 v29, v29, v30
	v_xor_b32_e32 v30, vcc_hi, v1
	v_xor_b32_e32 v1, vcc_lo, v1
	v_and_b32_e32 v5, v5, v1
	v_lshlrev_b32_e32 v1, 28, v4
	v_cmp_gt_i64_e32 vcc, 0, v[0:1]
	v_not_b32_e32 v1, v1
	v_ashrrev_i32_e32 v1, 31, v1
	v_and_b32_e32 v29, v29, v30
	v_xor_b32_e32 v30, vcc_hi, v1
	v_xor_b32_e32 v1, vcc_lo, v1
	v_and_b32_e32 v5, v5, v1
	v_lshlrev_b32_e32 v1, 27, v4
	v_cmp_gt_i64_e32 vcc, 0, v[0:1]
	v_not_b32_e32 v1, v1
	v_ashrrev_i32_e32 v1, 31, v1
	v_and_b32_e32 v29, v29, v30
	v_xor_b32_e32 v30, vcc_hi, v1
	v_xor_b32_e32 v1, vcc_lo, v1
	v_and_b32_e32 v5, v5, v1
	v_lshlrev_b32_e32 v1, 26, v4
	v_cmp_gt_i64_e32 vcc, 0, v[0:1]
	v_not_b32_e32 v1, v1
	v_ashrrev_i32_e32 v1, 31, v1
	v_and_b32_e32 v29, v29, v30
	v_xor_b32_e32 v30, vcc_hi, v1
	v_xor_b32_e32 v1, vcc_lo, v1
	v_and_b32_e32 v5, v5, v1
	v_lshlrev_b32_e32 v1, 25, v4
	v_cmp_gt_i64_e32 vcc, 0, v[0:1]
	v_not_b32_e32 v1, v1
	v_ashrrev_i32_e32 v1, 31, v1
	v_and_b32_e32 v29, v29, v30
	v_xor_b32_e32 v30, vcc_hi, v1
	v_xor_b32_e32 v1, vcc_lo, v1
	v_and_b32_e32 v5, v5, v1
	v_lshlrev_b32_e32 v1, 24, v4
	v_cmp_gt_i64_e32 vcc, 0, v[0:1]
	v_not_b32_e32 v0, v1
	v_ashrrev_i32_e32 v0, 31, v0
	v_xor_b32_e32 v1, vcc_hi, v0
	v_xor_b32_e32 v0, vcc_lo, v0
	; wave barrier
	ds_read_b32 v26, v31 offset:64
	v_and_b32_e32 v29, v29, v30
	v_and_b32_e32 v0, v5, v0
	;; [unrolled: 1-line block ×3, first 2 shown]
	v_mbcnt_lo_u32_b32 v4, v0, 0
	v_mbcnt_hi_u32_b32 v29, v1, v4
	v_cmp_eq_u32_e32 vcc, 0, v29
	v_cmp_ne_u64_e64 s[0:1], 0, v[0:1]
	s_and_b64 s[2:3], s[0:1], vcc
	; wave barrier
	s_and_saveexec_b64 s[0:1], s[2:3]
	s_cbranch_execz .LBB1150_91
; %bb.90:
	v_bcnt_u32_b32 v0, v0, 0
	v_bcnt_u32_b32 v0, v1, v0
	s_waitcnt lgkmcnt(0)
	v_add_u32_e32 v0, v26, v0
	ds_write_b32 v31, v0 offset:64
.LBB1150_91:
	s_or_b64 exec, exec, s[0:1]
	s_waitcnt vmcnt(7)
	v_lshrrev_b32_e32 v0, s16, v11
	v_and_b32_e32 v4, s17, v0
	v_and_b32_e32 v1, 1, v4
	v_add_co_u32_e32 v5, vcc, -1, v1
	v_addc_co_u32_e64 v32, s[0:1], 0, -1, vcc
	v_cmp_ne_u32_e32 vcc, 0, v1
	v_lshl_add_u32 v0, v4, 4, v4
	v_xor_b32_e32 v1, vcc_hi, v32
	v_add_lshl_u32 v34, v28, v0, 2
	v_mov_b32_e32 v0, 0
	v_and_b32_e32 v32, exec_hi, v1
	v_lshlrev_b32_e32 v1, 30, v4
	v_xor_b32_e32 v5, vcc_lo, v5
	v_cmp_gt_i64_e32 vcc, 0, v[0:1]
	v_not_b32_e32 v1, v1
	v_ashrrev_i32_e32 v1, 31, v1
	v_and_b32_e32 v5, exec_lo, v5
	v_xor_b32_e32 v33, vcc_hi, v1
	v_xor_b32_e32 v1, vcc_lo, v1
	v_and_b32_e32 v5, v5, v1
	v_lshlrev_b32_e32 v1, 29, v4
	v_cmp_gt_i64_e32 vcc, 0, v[0:1]
	v_not_b32_e32 v1, v1
	v_ashrrev_i32_e32 v1, 31, v1
	v_and_b32_e32 v32, v32, v33
	v_xor_b32_e32 v33, vcc_hi, v1
	v_xor_b32_e32 v1, vcc_lo, v1
	v_and_b32_e32 v5, v5, v1
	v_lshlrev_b32_e32 v1, 28, v4
	v_cmp_gt_i64_e32 vcc, 0, v[0:1]
	v_not_b32_e32 v1, v1
	v_ashrrev_i32_e32 v1, 31, v1
	v_and_b32_e32 v32, v32, v33
	;; [unrolled: 8-line block ×5, first 2 shown]
	v_xor_b32_e32 v33, vcc_hi, v1
	v_xor_b32_e32 v1, vcc_lo, v1
	v_and_b32_e32 v32, v32, v33
	v_and_b32_e32 v33, v5, v1
	v_lshlrev_b32_e32 v1, 24, v4
	v_cmp_gt_i64_e32 vcc, 0, v[0:1]
	v_not_b32_e32 v1, v1
	v_ashrrev_i32_e32 v1, 31, v1
	v_xor_b32_e32 v4, vcc_hi, v1
	v_xor_b32_e32 v1, vcc_lo, v1
	; wave barrier
	ds_read_b32 v30, v34 offset:64
	v_and_b32_e32 v5, v32, v4
	v_and_b32_e32 v4, v33, v1
	v_mbcnt_lo_u32_b32 v1, v4, 0
	v_mbcnt_hi_u32_b32 v32, v5, v1
	v_cmp_eq_u32_e32 vcc, 0, v32
	v_cmp_ne_u64_e64 s[0:1], 0, v[4:5]
	s_and_b64 s[2:3], s[0:1], vcc
	; wave barrier
	s_and_saveexec_b64 s[0:1], s[2:3]
	s_cbranch_execz .LBB1150_93
; %bb.92:
	v_bcnt_u32_b32 v1, v4, 0
	v_bcnt_u32_b32 v1, v5, v1
	s_waitcnt lgkmcnt(0)
	v_add_u32_e32 v1, v30, v1
	ds_write_b32 v34, v1 offset:64
.LBB1150_93:
	s_or_b64 exec, exec, s[0:1]
	s_waitcnt vmcnt(6)
	v_lshrrev_b32_e32 v1, s16, v12
	v_and_b32_e32 v4, s17, v1
	v_lshl_add_u32 v1, v4, 4, v4
	v_add_lshl_u32 v37, v28, v1, 2
	v_and_b32_e32 v1, 1, v4
	v_add_co_u32_e32 v5, vcc, -1, v1
	v_addc_co_u32_e64 v35, s[0:1], 0, -1, vcc
	v_cmp_ne_u32_e32 vcc, 0, v1
	v_xor_b32_e32 v1, vcc_hi, v35
	v_and_b32_e32 v35, exec_hi, v1
	v_lshlrev_b32_e32 v1, 30, v4
	v_xor_b32_e32 v5, vcc_lo, v5
	v_cmp_gt_i64_e32 vcc, 0, v[0:1]
	v_not_b32_e32 v1, v1
	v_ashrrev_i32_e32 v1, 31, v1
	v_and_b32_e32 v5, exec_lo, v5
	v_xor_b32_e32 v36, vcc_hi, v1
	v_xor_b32_e32 v1, vcc_lo, v1
	v_and_b32_e32 v5, v5, v1
	v_lshlrev_b32_e32 v1, 29, v4
	v_cmp_gt_i64_e32 vcc, 0, v[0:1]
	v_not_b32_e32 v1, v1
	v_ashrrev_i32_e32 v1, 31, v1
	v_and_b32_e32 v35, v35, v36
	v_xor_b32_e32 v36, vcc_hi, v1
	v_xor_b32_e32 v1, vcc_lo, v1
	v_and_b32_e32 v5, v5, v1
	v_lshlrev_b32_e32 v1, 28, v4
	v_cmp_gt_i64_e32 vcc, 0, v[0:1]
	v_not_b32_e32 v1, v1
	v_ashrrev_i32_e32 v1, 31, v1
	v_and_b32_e32 v35, v35, v36
	;; [unrolled: 8-line block ×5, first 2 shown]
	v_xor_b32_e32 v36, vcc_hi, v1
	v_xor_b32_e32 v1, vcc_lo, v1
	v_and_b32_e32 v5, v5, v1
	v_lshlrev_b32_e32 v1, 24, v4
	v_cmp_gt_i64_e32 vcc, 0, v[0:1]
	v_not_b32_e32 v0, v1
	v_ashrrev_i32_e32 v0, 31, v0
	v_xor_b32_e32 v1, vcc_hi, v0
	v_xor_b32_e32 v0, vcc_lo, v0
	; wave barrier
	ds_read_b32 v33, v37 offset:64
	v_and_b32_e32 v35, v35, v36
	v_and_b32_e32 v0, v5, v0
	;; [unrolled: 1-line block ×3, first 2 shown]
	v_mbcnt_lo_u32_b32 v4, v0, 0
	v_mbcnt_hi_u32_b32 v35, v1, v4
	v_cmp_eq_u32_e32 vcc, 0, v35
	v_cmp_ne_u64_e64 s[0:1], 0, v[0:1]
	s_and_b64 s[2:3], s[0:1], vcc
	; wave barrier
	s_and_saveexec_b64 s[0:1], s[2:3]
	s_cbranch_execz .LBB1150_95
; %bb.94:
	v_bcnt_u32_b32 v0, v0, 0
	v_bcnt_u32_b32 v0, v1, v0
	s_waitcnt lgkmcnt(0)
	v_add_u32_e32 v0, v33, v0
	ds_write_b32 v37, v0 offset:64
.LBB1150_95:
	s_or_b64 exec, exec, s[0:1]
	s_waitcnt vmcnt(5)
	v_lshrrev_b32_e32 v0, s16, v13
	v_and_b32_e32 v4, s17, v0
	v_and_b32_e32 v1, 1, v4
	v_add_co_u32_e32 v5, vcc, -1, v1
	v_addc_co_u32_e64 v38, s[0:1], 0, -1, vcc
	v_cmp_ne_u32_e32 vcc, 0, v1
	v_lshl_add_u32 v0, v4, 4, v4
	v_xor_b32_e32 v1, vcc_hi, v38
	v_add_lshl_u32 v40, v28, v0, 2
	v_mov_b32_e32 v0, 0
	v_and_b32_e32 v38, exec_hi, v1
	v_lshlrev_b32_e32 v1, 30, v4
	v_xor_b32_e32 v5, vcc_lo, v5
	v_cmp_gt_i64_e32 vcc, 0, v[0:1]
	v_not_b32_e32 v1, v1
	v_ashrrev_i32_e32 v1, 31, v1
	v_and_b32_e32 v5, exec_lo, v5
	v_xor_b32_e32 v39, vcc_hi, v1
	v_xor_b32_e32 v1, vcc_lo, v1
	v_and_b32_e32 v5, v5, v1
	v_lshlrev_b32_e32 v1, 29, v4
	v_cmp_gt_i64_e32 vcc, 0, v[0:1]
	v_not_b32_e32 v1, v1
	v_ashrrev_i32_e32 v1, 31, v1
	v_and_b32_e32 v38, v38, v39
	v_xor_b32_e32 v39, vcc_hi, v1
	v_xor_b32_e32 v1, vcc_lo, v1
	v_and_b32_e32 v5, v5, v1
	v_lshlrev_b32_e32 v1, 28, v4
	v_cmp_gt_i64_e32 vcc, 0, v[0:1]
	v_not_b32_e32 v1, v1
	v_ashrrev_i32_e32 v1, 31, v1
	v_and_b32_e32 v38, v38, v39
	;; [unrolled: 8-line block ×5, first 2 shown]
	v_xor_b32_e32 v39, vcc_hi, v1
	v_xor_b32_e32 v1, vcc_lo, v1
	v_and_b32_e32 v38, v38, v39
	v_and_b32_e32 v39, v5, v1
	v_lshlrev_b32_e32 v1, 24, v4
	v_cmp_gt_i64_e32 vcc, 0, v[0:1]
	v_not_b32_e32 v1, v1
	v_ashrrev_i32_e32 v1, 31, v1
	v_xor_b32_e32 v4, vcc_hi, v1
	v_xor_b32_e32 v1, vcc_lo, v1
	; wave barrier
	ds_read_b32 v36, v40 offset:64
	v_and_b32_e32 v5, v38, v4
	v_and_b32_e32 v4, v39, v1
	v_mbcnt_lo_u32_b32 v1, v4, 0
	v_mbcnt_hi_u32_b32 v38, v5, v1
	v_cmp_eq_u32_e32 vcc, 0, v38
	v_cmp_ne_u64_e64 s[0:1], 0, v[4:5]
	s_and_b64 s[2:3], s[0:1], vcc
	; wave barrier
	s_and_saveexec_b64 s[0:1], s[2:3]
	s_cbranch_execz .LBB1150_97
; %bb.96:
	v_bcnt_u32_b32 v1, v4, 0
	v_bcnt_u32_b32 v1, v5, v1
	s_waitcnt lgkmcnt(0)
	v_add_u32_e32 v1, v36, v1
	ds_write_b32 v40, v1 offset:64
.LBB1150_97:
	s_or_b64 exec, exec, s[0:1]
	s_waitcnt vmcnt(4)
	v_lshrrev_b32_e32 v1, s16, v14
	v_and_b32_e32 v4, s17, v1
	v_lshl_add_u32 v1, v4, 4, v4
	v_add_lshl_u32 v43, v28, v1, 2
	v_and_b32_e32 v1, 1, v4
	v_add_co_u32_e32 v5, vcc, -1, v1
	v_addc_co_u32_e64 v41, s[0:1], 0, -1, vcc
	v_cmp_ne_u32_e32 vcc, 0, v1
	v_xor_b32_e32 v1, vcc_hi, v41
	v_and_b32_e32 v41, exec_hi, v1
	v_lshlrev_b32_e32 v1, 30, v4
	v_xor_b32_e32 v5, vcc_lo, v5
	v_cmp_gt_i64_e32 vcc, 0, v[0:1]
	v_not_b32_e32 v1, v1
	v_ashrrev_i32_e32 v1, 31, v1
	v_and_b32_e32 v5, exec_lo, v5
	v_xor_b32_e32 v42, vcc_hi, v1
	v_xor_b32_e32 v1, vcc_lo, v1
	v_and_b32_e32 v5, v5, v1
	v_lshlrev_b32_e32 v1, 29, v4
	v_cmp_gt_i64_e32 vcc, 0, v[0:1]
	v_not_b32_e32 v1, v1
	v_ashrrev_i32_e32 v1, 31, v1
	v_and_b32_e32 v41, v41, v42
	v_xor_b32_e32 v42, vcc_hi, v1
	v_xor_b32_e32 v1, vcc_lo, v1
	v_and_b32_e32 v5, v5, v1
	v_lshlrev_b32_e32 v1, 28, v4
	v_cmp_gt_i64_e32 vcc, 0, v[0:1]
	v_not_b32_e32 v1, v1
	v_ashrrev_i32_e32 v1, 31, v1
	v_and_b32_e32 v41, v41, v42
	;; [unrolled: 8-line block ×5, first 2 shown]
	v_xor_b32_e32 v42, vcc_hi, v1
	v_xor_b32_e32 v1, vcc_lo, v1
	v_and_b32_e32 v5, v5, v1
	v_lshlrev_b32_e32 v1, 24, v4
	v_cmp_gt_i64_e32 vcc, 0, v[0:1]
	v_not_b32_e32 v0, v1
	v_ashrrev_i32_e32 v0, 31, v0
	v_xor_b32_e32 v1, vcc_hi, v0
	v_xor_b32_e32 v0, vcc_lo, v0
	; wave barrier
	ds_read_b32 v39, v43 offset:64
	v_and_b32_e32 v41, v41, v42
	v_and_b32_e32 v0, v5, v0
	;; [unrolled: 1-line block ×3, first 2 shown]
	v_mbcnt_lo_u32_b32 v4, v0, 0
	v_mbcnt_hi_u32_b32 v41, v1, v4
	v_cmp_eq_u32_e32 vcc, 0, v41
	v_cmp_ne_u64_e64 s[0:1], 0, v[0:1]
	s_and_b64 s[2:3], s[0:1], vcc
	; wave barrier
	s_and_saveexec_b64 s[0:1], s[2:3]
	s_cbranch_execz .LBB1150_99
; %bb.98:
	v_bcnt_u32_b32 v0, v0, 0
	v_bcnt_u32_b32 v0, v1, v0
	s_waitcnt lgkmcnt(0)
	v_add_u32_e32 v0, v39, v0
	ds_write_b32 v43, v0 offset:64
.LBB1150_99:
	s_or_b64 exec, exec, s[0:1]
	s_waitcnt vmcnt(3)
	v_lshrrev_b32_e32 v0, s16, v15
	v_and_b32_e32 v4, s17, v0
	v_and_b32_e32 v1, 1, v4
	v_add_co_u32_e32 v5, vcc, -1, v1
	v_addc_co_u32_e64 v44, s[0:1], 0, -1, vcc
	v_cmp_ne_u32_e32 vcc, 0, v1
	v_lshl_add_u32 v0, v4, 4, v4
	v_xor_b32_e32 v1, vcc_hi, v44
	v_add_lshl_u32 v46, v28, v0, 2
	v_mov_b32_e32 v0, 0
	v_and_b32_e32 v44, exec_hi, v1
	v_lshlrev_b32_e32 v1, 30, v4
	v_xor_b32_e32 v5, vcc_lo, v5
	v_cmp_gt_i64_e32 vcc, 0, v[0:1]
	v_not_b32_e32 v1, v1
	v_ashrrev_i32_e32 v1, 31, v1
	v_and_b32_e32 v5, exec_lo, v5
	v_xor_b32_e32 v45, vcc_hi, v1
	v_xor_b32_e32 v1, vcc_lo, v1
	v_and_b32_e32 v5, v5, v1
	v_lshlrev_b32_e32 v1, 29, v4
	v_cmp_gt_i64_e32 vcc, 0, v[0:1]
	v_not_b32_e32 v1, v1
	v_ashrrev_i32_e32 v1, 31, v1
	v_and_b32_e32 v44, v44, v45
	v_xor_b32_e32 v45, vcc_hi, v1
	v_xor_b32_e32 v1, vcc_lo, v1
	v_and_b32_e32 v5, v5, v1
	v_lshlrev_b32_e32 v1, 28, v4
	v_cmp_gt_i64_e32 vcc, 0, v[0:1]
	v_not_b32_e32 v1, v1
	v_ashrrev_i32_e32 v1, 31, v1
	v_and_b32_e32 v44, v44, v45
	;; [unrolled: 8-line block ×5, first 2 shown]
	v_xor_b32_e32 v45, vcc_hi, v1
	v_xor_b32_e32 v1, vcc_lo, v1
	v_and_b32_e32 v44, v44, v45
	v_and_b32_e32 v45, v5, v1
	v_lshlrev_b32_e32 v1, 24, v4
	v_cmp_gt_i64_e32 vcc, 0, v[0:1]
	v_not_b32_e32 v1, v1
	v_ashrrev_i32_e32 v1, 31, v1
	v_xor_b32_e32 v4, vcc_hi, v1
	v_xor_b32_e32 v1, vcc_lo, v1
	; wave barrier
	ds_read_b32 v42, v46 offset:64
	v_and_b32_e32 v5, v44, v4
	v_and_b32_e32 v4, v45, v1
	v_mbcnt_lo_u32_b32 v1, v4, 0
	v_mbcnt_hi_u32_b32 v44, v5, v1
	v_cmp_eq_u32_e32 vcc, 0, v44
	v_cmp_ne_u64_e64 s[0:1], 0, v[4:5]
	s_and_b64 s[2:3], s[0:1], vcc
	; wave barrier
	s_and_saveexec_b64 s[0:1], s[2:3]
	s_cbranch_execz .LBB1150_101
; %bb.100:
	v_bcnt_u32_b32 v1, v4, 0
	v_bcnt_u32_b32 v1, v5, v1
	s_waitcnt lgkmcnt(0)
	v_add_u32_e32 v1, v42, v1
	ds_write_b32 v46, v1 offset:64
.LBB1150_101:
	s_or_b64 exec, exec, s[0:1]
	s_waitcnt vmcnt(2)
	v_lshrrev_b32_e32 v1, s16, v16
	v_and_b32_e32 v4, s17, v1
	v_lshl_add_u32 v1, v4, 4, v4
	v_add_lshl_u32 v49, v28, v1, 2
	v_and_b32_e32 v1, 1, v4
	v_add_co_u32_e32 v5, vcc, -1, v1
	v_addc_co_u32_e64 v47, s[0:1], 0, -1, vcc
	v_cmp_ne_u32_e32 vcc, 0, v1
	v_xor_b32_e32 v1, vcc_hi, v47
	v_and_b32_e32 v47, exec_hi, v1
	v_lshlrev_b32_e32 v1, 30, v4
	v_xor_b32_e32 v5, vcc_lo, v5
	v_cmp_gt_i64_e32 vcc, 0, v[0:1]
	v_not_b32_e32 v1, v1
	v_ashrrev_i32_e32 v1, 31, v1
	v_and_b32_e32 v5, exec_lo, v5
	v_xor_b32_e32 v48, vcc_hi, v1
	v_xor_b32_e32 v1, vcc_lo, v1
	v_and_b32_e32 v5, v5, v1
	v_lshlrev_b32_e32 v1, 29, v4
	v_cmp_gt_i64_e32 vcc, 0, v[0:1]
	v_not_b32_e32 v1, v1
	v_ashrrev_i32_e32 v1, 31, v1
	v_and_b32_e32 v47, v47, v48
	v_xor_b32_e32 v48, vcc_hi, v1
	v_xor_b32_e32 v1, vcc_lo, v1
	v_and_b32_e32 v5, v5, v1
	v_lshlrev_b32_e32 v1, 28, v4
	v_cmp_gt_i64_e32 vcc, 0, v[0:1]
	v_not_b32_e32 v1, v1
	v_ashrrev_i32_e32 v1, 31, v1
	v_and_b32_e32 v47, v47, v48
	;; [unrolled: 8-line block ×5, first 2 shown]
	v_xor_b32_e32 v48, vcc_hi, v1
	v_xor_b32_e32 v1, vcc_lo, v1
	v_and_b32_e32 v5, v5, v1
	v_lshlrev_b32_e32 v1, 24, v4
	v_cmp_gt_i64_e32 vcc, 0, v[0:1]
	v_not_b32_e32 v0, v1
	v_ashrrev_i32_e32 v0, 31, v0
	v_xor_b32_e32 v1, vcc_hi, v0
	v_xor_b32_e32 v0, vcc_lo, v0
	; wave barrier
	ds_read_b32 v45, v49 offset:64
	v_and_b32_e32 v47, v47, v48
	v_and_b32_e32 v0, v5, v0
	;; [unrolled: 1-line block ×3, first 2 shown]
	v_mbcnt_lo_u32_b32 v4, v0, 0
	v_mbcnt_hi_u32_b32 v47, v1, v4
	v_cmp_eq_u32_e32 vcc, 0, v47
	v_cmp_ne_u64_e64 s[0:1], 0, v[0:1]
	s_and_b64 s[2:3], s[0:1], vcc
	; wave barrier
	s_and_saveexec_b64 s[0:1], s[2:3]
	s_cbranch_execz .LBB1150_103
; %bb.102:
	v_bcnt_u32_b32 v0, v0, 0
	v_bcnt_u32_b32 v0, v1, v0
	s_waitcnt lgkmcnt(0)
	v_add_u32_e32 v0, v45, v0
	ds_write_b32 v49, v0 offset:64
.LBB1150_103:
	s_or_b64 exec, exec, s[0:1]
	s_waitcnt vmcnt(1)
	v_lshrrev_b32_e32 v0, s16, v17
	v_and_b32_e32 v4, s17, v0
	v_and_b32_e32 v1, 1, v4
	v_add_co_u32_e32 v5, vcc, -1, v1
	v_addc_co_u32_e64 v50, s[0:1], 0, -1, vcc
	v_cmp_ne_u32_e32 vcc, 0, v1
	v_lshl_add_u32 v0, v4, 4, v4
	v_xor_b32_e32 v1, vcc_hi, v50
	v_add_lshl_u32 v52, v28, v0, 2
	v_mov_b32_e32 v0, 0
	v_and_b32_e32 v50, exec_hi, v1
	v_lshlrev_b32_e32 v1, 30, v4
	v_xor_b32_e32 v5, vcc_lo, v5
	v_cmp_gt_i64_e32 vcc, 0, v[0:1]
	v_not_b32_e32 v1, v1
	v_ashrrev_i32_e32 v1, 31, v1
	v_and_b32_e32 v5, exec_lo, v5
	v_xor_b32_e32 v51, vcc_hi, v1
	v_xor_b32_e32 v1, vcc_lo, v1
	v_and_b32_e32 v5, v5, v1
	v_lshlrev_b32_e32 v1, 29, v4
	v_cmp_gt_i64_e32 vcc, 0, v[0:1]
	v_not_b32_e32 v1, v1
	v_ashrrev_i32_e32 v1, 31, v1
	v_and_b32_e32 v50, v50, v51
	v_xor_b32_e32 v51, vcc_hi, v1
	v_xor_b32_e32 v1, vcc_lo, v1
	v_and_b32_e32 v5, v5, v1
	v_lshlrev_b32_e32 v1, 28, v4
	v_cmp_gt_i64_e32 vcc, 0, v[0:1]
	v_not_b32_e32 v1, v1
	v_ashrrev_i32_e32 v1, 31, v1
	v_and_b32_e32 v50, v50, v51
	;; [unrolled: 8-line block ×5, first 2 shown]
	v_xor_b32_e32 v51, vcc_hi, v1
	v_xor_b32_e32 v1, vcc_lo, v1
	v_and_b32_e32 v50, v50, v51
	v_and_b32_e32 v51, v5, v1
	v_lshlrev_b32_e32 v1, 24, v4
	v_cmp_gt_i64_e32 vcc, 0, v[0:1]
	v_not_b32_e32 v1, v1
	v_ashrrev_i32_e32 v1, 31, v1
	v_xor_b32_e32 v4, vcc_hi, v1
	v_xor_b32_e32 v1, vcc_lo, v1
	; wave barrier
	ds_read_b32 v48, v52 offset:64
	v_and_b32_e32 v5, v50, v4
	v_and_b32_e32 v4, v51, v1
	v_mbcnt_lo_u32_b32 v1, v4, 0
	v_mbcnt_hi_u32_b32 v50, v5, v1
	v_cmp_eq_u32_e32 vcc, 0, v50
	v_cmp_ne_u64_e64 s[0:1], 0, v[4:5]
	s_and_b64 s[2:3], s[0:1], vcc
	; wave barrier
	s_and_saveexec_b64 s[0:1], s[2:3]
	s_cbranch_execz .LBB1150_105
; %bb.104:
	v_bcnt_u32_b32 v1, v4, 0
	v_bcnt_u32_b32 v1, v5, v1
	s_waitcnt lgkmcnt(0)
	v_add_u32_e32 v1, v48, v1
	ds_write_b32 v52, v1 offset:64
.LBB1150_105:
	s_or_b64 exec, exec, s[0:1]
	s_waitcnt vmcnt(0)
	v_lshrrev_b32_e32 v1, s16, v18
	v_and_b32_e32 v4, s17, v1
	v_lshl_add_u32 v1, v4, 4, v4
	v_add_lshl_u32 v54, v28, v1, 2
	v_and_b32_e32 v1, 1, v4
	v_add_co_u32_e32 v5, vcc, -1, v1
	v_addc_co_u32_e64 v28, s[0:1], 0, -1, vcc
	v_cmp_ne_u32_e32 vcc, 0, v1
	v_xor_b32_e32 v1, vcc_hi, v28
	v_and_b32_e32 v28, exec_hi, v1
	v_lshlrev_b32_e32 v1, 30, v4
	v_xor_b32_e32 v5, vcc_lo, v5
	v_cmp_gt_i64_e32 vcc, 0, v[0:1]
	v_not_b32_e32 v1, v1
	v_ashrrev_i32_e32 v1, 31, v1
	v_and_b32_e32 v5, exec_lo, v5
	v_xor_b32_e32 v53, vcc_hi, v1
	v_xor_b32_e32 v1, vcc_lo, v1
	v_and_b32_e32 v5, v5, v1
	v_lshlrev_b32_e32 v1, 29, v4
	v_cmp_gt_i64_e32 vcc, 0, v[0:1]
	v_not_b32_e32 v1, v1
	v_ashrrev_i32_e32 v1, 31, v1
	v_and_b32_e32 v28, v28, v53
	v_xor_b32_e32 v53, vcc_hi, v1
	v_xor_b32_e32 v1, vcc_lo, v1
	v_and_b32_e32 v5, v5, v1
	v_lshlrev_b32_e32 v1, 28, v4
	v_cmp_gt_i64_e32 vcc, 0, v[0:1]
	v_not_b32_e32 v1, v1
	v_ashrrev_i32_e32 v1, 31, v1
	v_and_b32_e32 v28, v28, v53
	;; [unrolled: 8-line block ×5, first 2 shown]
	v_xor_b32_e32 v53, vcc_hi, v1
	v_xor_b32_e32 v1, vcc_lo, v1
	v_and_b32_e32 v5, v5, v1
	v_lshlrev_b32_e32 v1, 24, v4
	v_cmp_gt_i64_e32 vcc, 0, v[0:1]
	v_not_b32_e32 v0, v1
	v_ashrrev_i32_e32 v0, 31, v0
	v_xor_b32_e32 v1, vcc_hi, v0
	v_xor_b32_e32 v0, vcc_lo, v0
	; wave barrier
	ds_read_b32 v51, v54 offset:64
	v_and_b32_e32 v28, v28, v53
	v_and_b32_e32 v0, v5, v0
	;; [unrolled: 1-line block ×3, first 2 shown]
	v_mbcnt_lo_u32_b32 v4, v0, 0
	v_mbcnt_hi_u32_b32 v53, v1, v4
	v_cmp_eq_u32_e32 vcc, 0, v53
	v_cmp_ne_u64_e64 s[0:1], 0, v[0:1]
	v_add_u32_e32 v55, 64, v7
	s_and_b64 s[2:3], s[0:1], vcc
	; wave barrier
	s_and_saveexec_b64 s[0:1], s[2:3]
	s_cbranch_execz .LBB1150_107
; %bb.106:
	v_bcnt_u32_b32 v0, v0, 0
	v_bcnt_u32_b32 v0, v1, v0
	s_waitcnt lgkmcnt(0)
	v_add_u32_e32 v0, v51, v0
	ds_write_b32 v54, v0 offset:64
.LBB1150_107:
	s_or_b64 exec, exec, s[0:1]
	; wave barrier
	s_waitcnt lgkmcnt(0)
	s_barrier
	ds_read2_b32 v[4:5], v7 offset0:16 offset1:17
	ds_read2_b32 v[0:1], v55 offset0:2 offset1:3
	ds_read_b32 v28, v55 offset:16
	v_cmp_lt_u32_e64 s[8:9], 31, v6
	s_waitcnt lgkmcnt(1)
	v_add3_u32 v56, v5, v4, v0
	s_waitcnt lgkmcnt(0)
	v_add3_u32 v28, v56, v1, v28
	v_and_b32_e32 v56, 15, v6
	v_cmp_eq_u32_e32 vcc, 0, v56
	v_mov_b32_dpp v57, v28 row_shr:1 row_mask:0xf bank_mask:0xf
	v_cndmask_b32_e64 v57, v57, 0, vcc
	v_add_u32_e32 v28, v57, v28
	v_cmp_lt_u32_e64 s[0:1], 1, v56
	v_cmp_lt_u32_e64 s[2:3], 3, v56
	v_mov_b32_dpp v57, v28 row_shr:2 row_mask:0xf bank_mask:0xf
	v_cndmask_b32_e64 v57, 0, v57, s[0:1]
	v_add_u32_e32 v28, v28, v57
	v_cmp_lt_u32_e64 s[4:5], 7, v56
	s_nop 0
	v_mov_b32_dpp v57, v28 row_shr:4 row_mask:0xf bank_mask:0xf
	v_cndmask_b32_e64 v57, 0, v57, s[2:3]
	v_add_u32_e32 v28, v28, v57
	s_nop 1
	v_mov_b32_dpp v57, v28 row_shr:8 row_mask:0xf bank_mask:0xf
	v_cndmask_b32_e64 v56, 0, v57, s[4:5]
	v_add_u32_e32 v28, v28, v56
	v_bfe_i32 v57, v6, 4, 1
	s_nop 0
	v_mov_b32_dpp v56, v28 row_bcast:15 row_mask:0xf bank_mask:0xf
	v_and_b32_e32 v56, v57, v56
	v_add_u32_e32 v28, v28, v56
	v_lshrrev_b32_e32 v57, 6, v2
	s_nop 0
	v_mov_b32_dpp v56, v28 row_bcast:31 row_mask:0xf bank_mask:0xf
	v_cndmask_b32_e64 v56, 0, v56, s[8:9]
	v_add_u32_e32 v56, v28, v56
	v_and_b32_e32 v28, 63, v2
	v_cmp_eq_u32_e64 s[8:9], 63, v28
	s_and_saveexec_b64 s[18:19], s[8:9]
	s_cbranch_execz .LBB1150_109
; %bb.108:
	v_lshlrev_b32_e32 v28, 2, v57
	ds_write_b32 v28, v56
.LBB1150_109:
	s_or_b64 exec, exec, s[18:19]
	v_cmp_gt_u32_e64 s[8:9], 16, v2
	v_lshlrev_b32_e32 v28, 2, v2
	s_waitcnt lgkmcnt(0)
	s_barrier
	s_and_saveexec_b64 s[18:19], s[8:9]
	s_cbranch_execz .LBB1150_111
; %bb.110:
	ds_read_b32 v58, v28
	s_waitcnt lgkmcnt(0)
	s_nop 0
	v_mov_b32_dpp v59, v58 row_shr:1 row_mask:0xf bank_mask:0xf
	v_cndmask_b32_e64 v59, v59, 0, vcc
	v_add_u32_e32 v58, v59, v58
	s_nop 1
	v_mov_b32_dpp v59, v58 row_shr:2 row_mask:0xf bank_mask:0xf
	v_cndmask_b32_e64 v59, 0, v59, s[0:1]
	v_add_u32_e32 v58, v58, v59
	s_nop 1
	v_mov_b32_dpp v59, v58 row_shr:4 row_mask:0xf bank_mask:0xf
	v_cndmask_b32_e64 v59, 0, v59, s[2:3]
	;; [unrolled: 4-line block ×3, first 2 shown]
	v_add_u32_e32 v58, v58, v59
	ds_write_b32 v28, v58
.LBB1150_111:
	s_or_b64 exec, exec, s[18:19]
	v_cmp_lt_u32_e32 vcc, 63, v2
	v_mov_b32_e32 v58, 0
	s_waitcnt lgkmcnt(0)
	s_barrier
	s_and_saveexec_b64 s[0:1], vcc
	s_cbranch_execz .LBB1150_113
; %bb.112:
	v_lshl_add_u32 v57, v57, 2, -4
	ds_read_b32 v58, v57
.LBB1150_113:
	s_or_b64 exec, exec, s[0:1]
	v_add_u32_e32 v57, -1, v6
	v_and_b32_e32 v59, 64, v6
	v_cmp_lt_i32_e32 vcc, v57, v59
	v_cndmask_b32_e32 v57, v57, v6, vcc
	s_waitcnt lgkmcnt(0)
	v_add_u32_e32 v56, v58, v56
	v_lshlrev_b32_e32 v57, 2, v57
	ds_bpermute_b32 v56, v57, v56
	v_cmp_eq_u32_e32 vcc, 0, v6
	s_movk_i32 s0, 0x100
	s_waitcnt lgkmcnt(0)
	v_cndmask_b32_e32 v6, v56, v58, vcc
	v_cmp_ne_u32_e32 vcc, 0, v2
	v_cndmask_b32_e32 v6, 0, v6, vcc
	v_add_u32_e32 v4, v6, v4
	v_add_u32_e32 v5, v4, v5
	;; [unrolled: 1-line block ×4, first 2 shown]
	ds_write2_b32 v7, v6, v4 offset0:16 offset1:17
	ds_write2_b32 v55, v5, v0 offset0:2 offset1:3
	ds_write_b32 v55, v1 offset:16
	s_waitcnt lgkmcnt(0)
	s_barrier
	ds_read_b32 v59, v22 offset:64
	ds_read_b32 v55, v24 offset:64
	;; [unrolled: 1-line block ×12, first 2 shown]
	v_cmp_gt_u32_e32 vcc, s0, v2
                                        ; implicit-def: $vgpr22
                                        ; implicit-def: $vgpr24
	s_and_saveexec_b64 s[2:3], vcc
	s_cbranch_execz .LBB1150_117
; %bb.114:
	v_mul_u32_u24_e32 v0, 17, v2
	v_lshlrev_b32_e32 v1, 2, v0
	ds_read_b32 v22, v1 offset:64
	s_movk_i32 s0, 0xff
	v_cmp_ne_u32_e64 s[0:1], s0, v2
	v_mov_b32_e32 v0, 0x3000
	s_and_saveexec_b64 s[4:5], s[0:1]
	s_cbranch_execz .LBB1150_116
; %bb.115:
	ds_read_b32 v0, v1 offset:132
.LBB1150_116:
	s_or_b64 exec, exec, s[4:5]
	s_waitcnt lgkmcnt(0)
	v_sub_u32_e32 v24, v0, v22
.LBB1150_117:
	s_or_b64 exec, exec, s[2:3]
	s_waitcnt lgkmcnt(0)
	s_barrier
	s_and_saveexec_b64 s[2:3], vcc
	s_cbranch_execz .LBB1150_127
; %bb.118:
	v_lshl_or_b32 v0, s6, 8, v2
	v_mov_b32_e32 v1, 0
	v_lshlrev_b64 v[4:5], 2, v[0:1]
	v_mov_b32_e32 v49, s25
	v_add_co_u32_e64 v4, s[0:1], s24, v4
	v_addc_co_u32_e64 v5, s[0:1], v49, v5, s[0:1]
	v_or_b32_e32 v0, 2.0, v24
	s_mov_b64 s[4:5], 0
	s_brev_b32 s20, 1
	s_mov_b32 s21, s6
	v_mov_b32_e32 v52, 0
	global_store_dword v[4:5], v0, off
                                        ; implicit-def: $sgpr0_sgpr1
	s_branch .LBB1150_121
.LBB1150_119:                           ;   in Loop: Header=BB1150_121 Depth=1
	s_or_b64 exec, exec, s[18:19]
.LBB1150_120:                           ;   in Loop: Header=BB1150_121 Depth=1
	s_or_b64 exec, exec, s[8:9]
	v_and_b32_e32 v6, 0x3fffffff, v54
	v_add_u32_e32 v52, v6, v52
	v_cmp_eq_u32_e64 s[0:1], s20, v0
	s_and_b64 s[8:9], exec, s[0:1]
	s_or_b64 s[4:5], s[8:9], s[4:5]
	s_andn2_b64 exec, exec, s[4:5]
	s_cbranch_execz .LBB1150_126
.LBB1150_121:                           ; =>This Loop Header: Depth=1
                                        ;     Child Loop BB1150_124 Depth 2
	s_or_b64 s[0:1], s[0:1], exec
	s_cmp_eq_u32 s21, 0
	s_cbranch_scc1 .LBB1150_125
; %bb.122:                              ;   in Loop: Header=BB1150_121 Depth=1
	s_add_i32 s21, s21, -1
	v_lshl_or_b32 v0, s21, 8, v2
	v_lshlrev_b64 v[6:7], 2, v[0:1]
	v_add_co_u32_e64 v6, s[0:1], s24, v6
	v_addc_co_u32_e64 v7, s[0:1], v49, v7, s[0:1]
	global_load_dword v54, v[6:7], off glc
	s_waitcnt vmcnt(0)
	v_and_b32_e32 v0, -2.0, v54
	v_cmp_eq_u32_e64 s[0:1], 0, v0
	s_and_saveexec_b64 s[8:9], s[0:1]
	s_cbranch_execz .LBB1150_120
; %bb.123:                              ;   in Loop: Header=BB1150_121 Depth=1
	s_mov_b64 s[18:19], 0
.LBB1150_124:                           ;   Parent Loop BB1150_121 Depth=1
                                        ; =>  This Inner Loop Header: Depth=2
	global_load_dword v54, v[6:7], off glc
	s_waitcnt vmcnt(0)
	v_and_b32_e32 v0, -2.0, v54
	v_cmp_ne_u32_e64 s[0:1], 0, v0
	s_or_b64 s[18:19], s[0:1], s[18:19]
	s_andn2_b64 exec, exec, s[18:19]
	s_cbranch_execnz .LBB1150_124
	s_branch .LBB1150_119
.LBB1150_125:                           ;   in Loop: Header=BB1150_121 Depth=1
                                        ; implicit-def: $sgpr21
	s_and_b64 s[8:9], exec, s[0:1]
	s_or_b64 s[4:5], s[8:9], s[4:5]
	s_andn2_b64 exec, exec, s[4:5]
	s_cbranch_execnz .LBB1150_121
.LBB1150_126:
	s_or_b64 exec, exec, s[4:5]
	v_add_u32_e32 v0, v52, v24
	v_or_b32_e32 v0, 0x80000000, v0
	global_store_dword v[4:5], v0, off
	global_load_dword v0, v28, s[12:13]
	v_sub_u32_e32 v1, v52, v22
	s_waitcnt vmcnt(0)
	v_add_u32_e32 v0, v1, v0
	ds_write_b32 v28, v0
.LBB1150_127:
	s_or_b64 exec, exec, s[2:3]
	v_add_u32_e32 v4, v59, v19
	s_movk_i32 s2, 0x400
	v_add_u32_e32 v5, 0x400, v28
	v_add3_u32 v6, v53, v46, v51
	v_add3_u32 v7, v50, v43, v48
	v_add3_u32 v19, v47, v40, v45
	v_add3_u32 v27, v44, v27, v42
	v_add3_u32 v31, v41, v31, v39
	v_add3_u32 v34, v38, v34, v36
	v_add3_u32 v33, v35, v37, v33
	v_add3_u32 v30, v32, v58, v30
	v_add3_u32 v26, v29, v57, v26
	v_add3_u32 v23, v25, v56, v23
	v_add3_u32 v20, v21, v55, v20
	s_mov_b32 s3, 0
	v_mov_b32_e32 v21, s23
	s_movk_i32 s4, 0x800
	s_movk_i32 s5, 0xc00
	v_mov_b32_e32 v1, 0
	v_mov_b32_e32 v25, v2
.LBB1150_128:                           ; =>This Inner Loop Header: Depth=1
	v_add_u32_e32 v0, s3, v4
	v_add_u32_e32 v29, s3, v20
	;; [unrolled: 1-line block ×12, first 2 shown]
	v_min_u32_e32 v0, 0x1000, v0
	v_min_u32_e32 v29, 0x1000, v29
	;; [unrolled: 1-line block ×12, first 2 shown]
	v_lshlrev_b32_e32 v0, 2, v0
	v_lshlrev_b32_e32 v29, 2, v29
	;; [unrolled: 1-line block ×12, first 2 shown]
	ds_write_b32 v0, v3 offset:1024
	ds_write_b32 v29, v8 offset:1024
	;; [unrolled: 1-line block ×12, first 2 shown]
	s_waitcnt lgkmcnt(0)
	s_barrier
	ds_read_b32 v29, v28 offset:1024
	ds_read2st64_b32 v[36:37], v5 offset0:16 offset1:32
	s_addk_i32 s3, 0xf000
	s_cmpk_lg_i32 s3, 0xd000
	s_waitcnt lgkmcnt(1)
	v_lshrrev_b32_e32 v0, s16, v29
	s_waitcnt lgkmcnt(0)
	v_lshrrev_b32_e32 v32, s16, v36
	v_lshrrev_b32_e32 v35, s16, v37
	v_and_b32_e32 v0, s17, v0
	v_and_b32_e32 v32, s17, v32
	;; [unrolled: 1-line block ×3, first 2 shown]
	v_lshlrev_b32_e32 v0, 2, v0
	v_lshlrev_b32_e32 v32, 2, v32
	;; [unrolled: 1-line block ×3, first 2 shown]
	ds_read_b32 v32, v32
	ds_read_b32 v35, v35
	;; [unrolled: 1-line block ×3, first 2 shown]
	ds_read_b32 v42, v5 offset:12288
	s_waitcnt lgkmcnt(1)
	v_add_u32_e32 v0, v25, v0
	v_lshlrev_b64 v[38:39], 2, v[0:1]
	s_waitcnt lgkmcnt(0)
	v_lshrrev_b32_e32 v40, s16, v42
	v_add3_u32 v0, v25, v32, s2
	v_add_co_u32_e64 v38, s[0:1], s22, v38
	v_and_b32_e32 v32, s17, v40
	v_addc_co_u32_e64 v39, s[0:1], v21, v39, s[0:1]
	v_lshlrev_b64 v[40:41], 2, v[0:1]
	v_add3_u32 v0, v25, v35, s4
	v_lshlrev_b32_e32 v32, 2, v32
	global_store_dword v[38:39], v29, off
	v_add_co_u32_e64 v38, s[0:1], s22, v40
	v_addc_co_u32_e64 v39, s[0:1], v21, v41, s[0:1]
	v_lshlrev_b64 v[40:41], 2, v[0:1]
	ds_read_b32 v0, v32
	global_store_dword v[38:39], v36, off
	v_add_co_u32_e64 v38, s[0:1], s22, v40
	v_addc_co_u32_e64 v39, s[0:1], v21, v41, s[0:1]
	s_waitcnt lgkmcnt(0)
	v_add3_u32 v0, v25, v0, s5
	global_store_dword v[38:39], v37, off
	v_lshlrev_b64 v[36:37], 2, v[0:1]
	v_add_co_u32_e64 v36, s[0:1], s22, v36
	v_add_u32_e32 v25, 0x1000, v25
	v_addc_co_u32_e64 v37, s[0:1], v21, v37, s[0:1]
	global_store_dword v[36:37], v42, off
	s_barrier
	s_cbranch_scc1 .LBB1150_128
; %bb.129:
	s_add_i32 s7, s7, -1
	s_cmp_eq_u32 s7, s6
	s_cselect_b64 s[0:1], -1, 0
	s_and_b64 s[2:3], vcc, s[0:1]
                                        ; implicit-def: $vgpr4
	s_and_saveexec_b64 s[0:1], s[2:3]
; %bb.130:
	v_add_u32_e32 v4, v22, v24
	s_or_b64 s[10:11], s[10:11], exec
; %bb.131:
	s_or_b64 exec, exec, s[0:1]
.LBB1150_132:
	s_and_saveexec_b64 s[0:1], s[10:11]
	s_cbranch_execnz .LBB1150_134
; %bb.133:
	s_endpgm
.LBB1150_134:
	v_mov_b32_e32 v3, 0
	v_lshlrev_b32_e32 v5, 2, v2
	v_lshlrev_b64 v[0:1], 2, v[2:3]
	ds_read_b32 v3, v5
	v_mov_b32_e32 v2, s15
	v_add_co_u32_e32 v0, vcc, s14, v0
	v_addc_co_u32_e32 v1, vcc, v2, v1, vcc
	s_waitcnt lgkmcnt(0)
	v_add_u32_e32 v2, v3, v4
	global_store_dword v[0:1], v2, off
	s_endpgm
	.section	.rodata,"a",@progbits
	.p2align	6, 0x0
	.amdhsa_kernel _ZN7rocprim17ROCPRIM_400000_NS6detail17trampoline_kernelINS0_14default_configENS1_35radix_sort_onesweep_config_selectorIjNS0_10empty_typeEEEZZNS1_29radix_sort_onesweep_iterationIS3_Lb0EN6thrust23THRUST_200600_302600_NS6detail15normal_iteratorINS9_10device_ptrIjEEEESE_PS5_SF_jNS0_19identity_decomposerENS1_16block_id_wrapperIjLb0EEEEE10hipError_tT1_PNSt15iterator_traitsISK_E10value_typeET2_T3_PNSL_ISQ_E10value_typeET4_T5_PSV_SW_PNS1_23onesweep_lookback_stateEbbT6_jjT7_P12ihipStream_tbENKUlT_T0_SK_SP_E_clIPjSE_SF_SF_EEDaS13_S14_SK_SP_EUlS13_E_NS1_11comp_targetILNS1_3genE4ELNS1_11target_archE910ELNS1_3gpuE8ELNS1_3repE0EEENS1_47radix_sort_onesweep_sort_config_static_selectorELNS0_4arch9wavefront6targetE1EEEvSK_
		.amdhsa_group_segment_fixed_size 20552
		.amdhsa_private_segment_fixed_size 0
		.amdhsa_kernarg_size 344
		.amdhsa_user_sgpr_count 6
		.amdhsa_user_sgpr_private_segment_buffer 1
		.amdhsa_user_sgpr_dispatch_ptr 0
		.amdhsa_user_sgpr_queue_ptr 0
		.amdhsa_user_sgpr_kernarg_segment_ptr 1
		.amdhsa_user_sgpr_dispatch_id 0
		.amdhsa_user_sgpr_flat_scratch_init 0
		.amdhsa_user_sgpr_kernarg_preload_length 0
		.amdhsa_user_sgpr_kernarg_preload_offset 0
		.amdhsa_user_sgpr_private_segment_size 0
		.amdhsa_uses_dynamic_stack 0
		.amdhsa_system_sgpr_private_segment_wavefront_offset 0
		.amdhsa_system_sgpr_workgroup_id_x 1
		.amdhsa_system_sgpr_workgroup_id_y 0
		.amdhsa_system_sgpr_workgroup_id_z 0
		.amdhsa_system_sgpr_workgroup_info 0
		.amdhsa_system_vgpr_workitem_id 2
		.amdhsa_next_free_vgpr 62
		.amdhsa_next_free_sgpr 31
		.amdhsa_accum_offset 64
		.amdhsa_reserve_vcc 1
		.amdhsa_reserve_flat_scratch 0
		.amdhsa_float_round_mode_32 0
		.amdhsa_float_round_mode_16_64 0
		.amdhsa_float_denorm_mode_32 3
		.amdhsa_float_denorm_mode_16_64 3
		.amdhsa_dx10_clamp 1
		.amdhsa_ieee_mode 1
		.amdhsa_fp16_overflow 0
		.amdhsa_tg_split 0
		.amdhsa_exception_fp_ieee_invalid_op 0
		.amdhsa_exception_fp_denorm_src 0
		.amdhsa_exception_fp_ieee_div_zero 0
		.amdhsa_exception_fp_ieee_overflow 0
		.amdhsa_exception_fp_ieee_underflow 0
		.amdhsa_exception_fp_ieee_inexact 0
		.amdhsa_exception_int_div_zero 0
	.end_amdhsa_kernel
	.section	.text._ZN7rocprim17ROCPRIM_400000_NS6detail17trampoline_kernelINS0_14default_configENS1_35radix_sort_onesweep_config_selectorIjNS0_10empty_typeEEEZZNS1_29radix_sort_onesweep_iterationIS3_Lb0EN6thrust23THRUST_200600_302600_NS6detail15normal_iteratorINS9_10device_ptrIjEEEESE_PS5_SF_jNS0_19identity_decomposerENS1_16block_id_wrapperIjLb0EEEEE10hipError_tT1_PNSt15iterator_traitsISK_E10value_typeET2_T3_PNSL_ISQ_E10value_typeET4_T5_PSV_SW_PNS1_23onesweep_lookback_stateEbbT6_jjT7_P12ihipStream_tbENKUlT_T0_SK_SP_E_clIPjSE_SF_SF_EEDaS13_S14_SK_SP_EUlS13_E_NS1_11comp_targetILNS1_3genE4ELNS1_11target_archE910ELNS1_3gpuE8ELNS1_3repE0EEENS1_47radix_sort_onesweep_sort_config_static_selectorELNS0_4arch9wavefront6targetE1EEEvSK_,"axG",@progbits,_ZN7rocprim17ROCPRIM_400000_NS6detail17trampoline_kernelINS0_14default_configENS1_35radix_sort_onesweep_config_selectorIjNS0_10empty_typeEEEZZNS1_29radix_sort_onesweep_iterationIS3_Lb0EN6thrust23THRUST_200600_302600_NS6detail15normal_iteratorINS9_10device_ptrIjEEEESE_PS5_SF_jNS0_19identity_decomposerENS1_16block_id_wrapperIjLb0EEEEE10hipError_tT1_PNSt15iterator_traitsISK_E10value_typeET2_T3_PNSL_ISQ_E10value_typeET4_T5_PSV_SW_PNS1_23onesweep_lookback_stateEbbT6_jjT7_P12ihipStream_tbENKUlT_T0_SK_SP_E_clIPjSE_SF_SF_EEDaS13_S14_SK_SP_EUlS13_E_NS1_11comp_targetILNS1_3genE4ELNS1_11target_archE910ELNS1_3gpuE8ELNS1_3repE0EEENS1_47radix_sort_onesweep_sort_config_static_selectorELNS0_4arch9wavefront6targetE1EEEvSK_,comdat
.Lfunc_end1150:
	.size	_ZN7rocprim17ROCPRIM_400000_NS6detail17trampoline_kernelINS0_14default_configENS1_35radix_sort_onesweep_config_selectorIjNS0_10empty_typeEEEZZNS1_29radix_sort_onesweep_iterationIS3_Lb0EN6thrust23THRUST_200600_302600_NS6detail15normal_iteratorINS9_10device_ptrIjEEEESE_PS5_SF_jNS0_19identity_decomposerENS1_16block_id_wrapperIjLb0EEEEE10hipError_tT1_PNSt15iterator_traitsISK_E10value_typeET2_T3_PNSL_ISQ_E10value_typeET4_T5_PSV_SW_PNS1_23onesweep_lookback_stateEbbT6_jjT7_P12ihipStream_tbENKUlT_T0_SK_SP_E_clIPjSE_SF_SF_EEDaS13_S14_SK_SP_EUlS13_E_NS1_11comp_targetILNS1_3genE4ELNS1_11target_archE910ELNS1_3gpuE8ELNS1_3repE0EEENS1_47radix_sort_onesweep_sort_config_static_selectorELNS0_4arch9wavefront6targetE1EEEvSK_, .Lfunc_end1150-_ZN7rocprim17ROCPRIM_400000_NS6detail17trampoline_kernelINS0_14default_configENS1_35radix_sort_onesweep_config_selectorIjNS0_10empty_typeEEEZZNS1_29radix_sort_onesweep_iterationIS3_Lb0EN6thrust23THRUST_200600_302600_NS6detail15normal_iteratorINS9_10device_ptrIjEEEESE_PS5_SF_jNS0_19identity_decomposerENS1_16block_id_wrapperIjLb0EEEEE10hipError_tT1_PNSt15iterator_traitsISK_E10value_typeET2_T3_PNSL_ISQ_E10value_typeET4_T5_PSV_SW_PNS1_23onesweep_lookback_stateEbbT6_jjT7_P12ihipStream_tbENKUlT_T0_SK_SP_E_clIPjSE_SF_SF_EEDaS13_S14_SK_SP_EUlS13_E_NS1_11comp_targetILNS1_3genE4ELNS1_11target_archE910ELNS1_3gpuE8ELNS1_3repE0EEENS1_47radix_sort_onesweep_sort_config_static_selectorELNS0_4arch9wavefront6targetE1EEEvSK_
                                        ; -- End function
	.section	.AMDGPU.csdata,"",@progbits
; Kernel info:
; codeLenInByte = 13916
; NumSgprs: 35
; NumVgprs: 62
; NumAgprs: 0
; TotalNumVgprs: 62
; ScratchSize: 0
; MemoryBound: 0
; FloatMode: 240
; IeeeMode: 1
; LDSByteSize: 20552 bytes/workgroup (compile time only)
; SGPRBlocks: 4
; VGPRBlocks: 7
; NumSGPRsForWavesPerEU: 35
; NumVGPRsForWavesPerEU: 62
; AccumOffset: 64
; Occupancy: 8
; WaveLimiterHint : 1
; COMPUTE_PGM_RSRC2:SCRATCH_EN: 0
; COMPUTE_PGM_RSRC2:USER_SGPR: 6
; COMPUTE_PGM_RSRC2:TRAP_HANDLER: 0
; COMPUTE_PGM_RSRC2:TGID_X_EN: 1
; COMPUTE_PGM_RSRC2:TGID_Y_EN: 0
; COMPUTE_PGM_RSRC2:TGID_Z_EN: 0
; COMPUTE_PGM_RSRC2:TIDIG_COMP_CNT: 2
; COMPUTE_PGM_RSRC3_GFX90A:ACCUM_OFFSET: 15
; COMPUTE_PGM_RSRC3_GFX90A:TG_SPLIT: 0
	.section	.text._ZN7rocprim17ROCPRIM_400000_NS6detail17trampoline_kernelINS0_14default_configENS1_35radix_sort_onesweep_config_selectorIjNS0_10empty_typeEEEZZNS1_29radix_sort_onesweep_iterationIS3_Lb0EN6thrust23THRUST_200600_302600_NS6detail15normal_iteratorINS9_10device_ptrIjEEEESE_PS5_SF_jNS0_19identity_decomposerENS1_16block_id_wrapperIjLb0EEEEE10hipError_tT1_PNSt15iterator_traitsISK_E10value_typeET2_T3_PNSL_ISQ_E10value_typeET4_T5_PSV_SW_PNS1_23onesweep_lookback_stateEbbT6_jjT7_P12ihipStream_tbENKUlT_T0_SK_SP_E_clIPjSE_SF_SF_EEDaS13_S14_SK_SP_EUlS13_E_NS1_11comp_targetILNS1_3genE3ELNS1_11target_archE908ELNS1_3gpuE7ELNS1_3repE0EEENS1_47radix_sort_onesweep_sort_config_static_selectorELNS0_4arch9wavefront6targetE1EEEvSK_,"axG",@progbits,_ZN7rocprim17ROCPRIM_400000_NS6detail17trampoline_kernelINS0_14default_configENS1_35radix_sort_onesweep_config_selectorIjNS0_10empty_typeEEEZZNS1_29radix_sort_onesweep_iterationIS3_Lb0EN6thrust23THRUST_200600_302600_NS6detail15normal_iteratorINS9_10device_ptrIjEEEESE_PS5_SF_jNS0_19identity_decomposerENS1_16block_id_wrapperIjLb0EEEEE10hipError_tT1_PNSt15iterator_traitsISK_E10value_typeET2_T3_PNSL_ISQ_E10value_typeET4_T5_PSV_SW_PNS1_23onesweep_lookback_stateEbbT6_jjT7_P12ihipStream_tbENKUlT_T0_SK_SP_E_clIPjSE_SF_SF_EEDaS13_S14_SK_SP_EUlS13_E_NS1_11comp_targetILNS1_3genE3ELNS1_11target_archE908ELNS1_3gpuE7ELNS1_3repE0EEENS1_47radix_sort_onesweep_sort_config_static_selectorELNS0_4arch9wavefront6targetE1EEEvSK_,comdat
	.protected	_ZN7rocprim17ROCPRIM_400000_NS6detail17trampoline_kernelINS0_14default_configENS1_35radix_sort_onesweep_config_selectorIjNS0_10empty_typeEEEZZNS1_29radix_sort_onesweep_iterationIS3_Lb0EN6thrust23THRUST_200600_302600_NS6detail15normal_iteratorINS9_10device_ptrIjEEEESE_PS5_SF_jNS0_19identity_decomposerENS1_16block_id_wrapperIjLb0EEEEE10hipError_tT1_PNSt15iterator_traitsISK_E10value_typeET2_T3_PNSL_ISQ_E10value_typeET4_T5_PSV_SW_PNS1_23onesweep_lookback_stateEbbT6_jjT7_P12ihipStream_tbENKUlT_T0_SK_SP_E_clIPjSE_SF_SF_EEDaS13_S14_SK_SP_EUlS13_E_NS1_11comp_targetILNS1_3genE3ELNS1_11target_archE908ELNS1_3gpuE7ELNS1_3repE0EEENS1_47radix_sort_onesweep_sort_config_static_selectorELNS0_4arch9wavefront6targetE1EEEvSK_ ; -- Begin function _ZN7rocprim17ROCPRIM_400000_NS6detail17trampoline_kernelINS0_14default_configENS1_35radix_sort_onesweep_config_selectorIjNS0_10empty_typeEEEZZNS1_29radix_sort_onesweep_iterationIS3_Lb0EN6thrust23THRUST_200600_302600_NS6detail15normal_iteratorINS9_10device_ptrIjEEEESE_PS5_SF_jNS0_19identity_decomposerENS1_16block_id_wrapperIjLb0EEEEE10hipError_tT1_PNSt15iterator_traitsISK_E10value_typeET2_T3_PNSL_ISQ_E10value_typeET4_T5_PSV_SW_PNS1_23onesweep_lookback_stateEbbT6_jjT7_P12ihipStream_tbENKUlT_T0_SK_SP_E_clIPjSE_SF_SF_EEDaS13_S14_SK_SP_EUlS13_E_NS1_11comp_targetILNS1_3genE3ELNS1_11target_archE908ELNS1_3gpuE7ELNS1_3repE0EEENS1_47radix_sort_onesweep_sort_config_static_selectorELNS0_4arch9wavefront6targetE1EEEvSK_
	.globl	_ZN7rocprim17ROCPRIM_400000_NS6detail17trampoline_kernelINS0_14default_configENS1_35radix_sort_onesweep_config_selectorIjNS0_10empty_typeEEEZZNS1_29radix_sort_onesweep_iterationIS3_Lb0EN6thrust23THRUST_200600_302600_NS6detail15normal_iteratorINS9_10device_ptrIjEEEESE_PS5_SF_jNS0_19identity_decomposerENS1_16block_id_wrapperIjLb0EEEEE10hipError_tT1_PNSt15iterator_traitsISK_E10value_typeET2_T3_PNSL_ISQ_E10value_typeET4_T5_PSV_SW_PNS1_23onesweep_lookback_stateEbbT6_jjT7_P12ihipStream_tbENKUlT_T0_SK_SP_E_clIPjSE_SF_SF_EEDaS13_S14_SK_SP_EUlS13_E_NS1_11comp_targetILNS1_3genE3ELNS1_11target_archE908ELNS1_3gpuE7ELNS1_3repE0EEENS1_47radix_sort_onesweep_sort_config_static_selectorELNS0_4arch9wavefront6targetE1EEEvSK_
	.p2align	8
	.type	_ZN7rocprim17ROCPRIM_400000_NS6detail17trampoline_kernelINS0_14default_configENS1_35radix_sort_onesweep_config_selectorIjNS0_10empty_typeEEEZZNS1_29radix_sort_onesweep_iterationIS3_Lb0EN6thrust23THRUST_200600_302600_NS6detail15normal_iteratorINS9_10device_ptrIjEEEESE_PS5_SF_jNS0_19identity_decomposerENS1_16block_id_wrapperIjLb0EEEEE10hipError_tT1_PNSt15iterator_traitsISK_E10value_typeET2_T3_PNSL_ISQ_E10value_typeET4_T5_PSV_SW_PNS1_23onesweep_lookback_stateEbbT6_jjT7_P12ihipStream_tbENKUlT_T0_SK_SP_E_clIPjSE_SF_SF_EEDaS13_S14_SK_SP_EUlS13_E_NS1_11comp_targetILNS1_3genE3ELNS1_11target_archE908ELNS1_3gpuE7ELNS1_3repE0EEENS1_47radix_sort_onesweep_sort_config_static_selectorELNS0_4arch9wavefront6targetE1EEEvSK_,@function
_ZN7rocprim17ROCPRIM_400000_NS6detail17trampoline_kernelINS0_14default_configENS1_35radix_sort_onesweep_config_selectorIjNS0_10empty_typeEEEZZNS1_29radix_sort_onesweep_iterationIS3_Lb0EN6thrust23THRUST_200600_302600_NS6detail15normal_iteratorINS9_10device_ptrIjEEEESE_PS5_SF_jNS0_19identity_decomposerENS1_16block_id_wrapperIjLb0EEEEE10hipError_tT1_PNSt15iterator_traitsISK_E10value_typeET2_T3_PNSL_ISQ_E10value_typeET4_T5_PSV_SW_PNS1_23onesweep_lookback_stateEbbT6_jjT7_P12ihipStream_tbENKUlT_T0_SK_SP_E_clIPjSE_SF_SF_EEDaS13_S14_SK_SP_EUlS13_E_NS1_11comp_targetILNS1_3genE3ELNS1_11target_archE908ELNS1_3gpuE7ELNS1_3repE0EEENS1_47radix_sort_onesweep_sort_config_static_selectorELNS0_4arch9wavefront6targetE1EEEvSK_: ; @_ZN7rocprim17ROCPRIM_400000_NS6detail17trampoline_kernelINS0_14default_configENS1_35radix_sort_onesweep_config_selectorIjNS0_10empty_typeEEEZZNS1_29radix_sort_onesweep_iterationIS3_Lb0EN6thrust23THRUST_200600_302600_NS6detail15normal_iteratorINS9_10device_ptrIjEEEESE_PS5_SF_jNS0_19identity_decomposerENS1_16block_id_wrapperIjLb0EEEEE10hipError_tT1_PNSt15iterator_traitsISK_E10value_typeET2_T3_PNSL_ISQ_E10value_typeET4_T5_PSV_SW_PNS1_23onesweep_lookback_stateEbbT6_jjT7_P12ihipStream_tbENKUlT_T0_SK_SP_E_clIPjSE_SF_SF_EEDaS13_S14_SK_SP_EUlS13_E_NS1_11comp_targetILNS1_3genE3ELNS1_11target_archE908ELNS1_3gpuE7ELNS1_3repE0EEENS1_47radix_sort_onesweep_sort_config_static_selectorELNS0_4arch9wavefront6targetE1EEEvSK_
; %bb.0:
	.section	.rodata,"a",@progbits
	.p2align	6, 0x0
	.amdhsa_kernel _ZN7rocprim17ROCPRIM_400000_NS6detail17trampoline_kernelINS0_14default_configENS1_35radix_sort_onesweep_config_selectorIjNS0_10empty_typeEEEZZNS1_29radix_sort_onesweep_iterationIS3_Lb0EN6thrust23THRUST_200600_302600_NS6detail15normal_iteratorINS9_10device_ptrIjEEEESE_PS5_SF_jNS0_19identity_decomposerENS1_16block_id_wrapperIjLb0EEEEE10hipError_tT1_PNSt15iterator_traitsISK_E10value_typeET2_T3_PNSL_ISQ_E10value_typeET4_T5_PSV_SW_PNS1_23onesweep_lookback_stateEbbT6_jjT7_P12ihipStream_tbENKUlT_T0_SK_SP_E_clIPjSE_SF_SF_EEDaS13_S14_SK_SP_EUlS13_E_NS1_11comp_targetILNS1_3genE3ELNS1_11target_archE908ELNS1_3gpuE7ELNS1_3repE0EEENS1_47radix_sort_onesweep_sort_config_static_selectorELNS0_4arch9wavefront6targetE1EEEvSK_
		.amdhsa_group_segment_fixed_size 0
		.amdhsa_private_segment_fixed_size 0
		.amdhsa_kernarg_size 88
		.amdhsa_user_sgpr_count 6
		.amdhsa_user_sgpr_private_segment_buffer 1
		.amdhsa_user_sgpr_dispatch_ptr 0
		.amdhsa_user_sgpr_queue_ptr 0
		.amdhsa_user_sgpr_kernarg_segment_ptr 1
		.amdhsa_user_sgpr_dispatch_id 0
		.amdhsa_user_sgpr_flat_scratch_init 0
		.amdhsa_user_sgpr_kernarg_preload_length 0
		.amdhsa_user_sgpr_kernarg_preload_offset 0
		.amdhsa_user_sgpr_private_segment_size 0
		.amdhsa_uses_dynamic_stack 0
		.amdhsa_system_sgpr_private_segment_wavefront_offset 0
		.amdhsa_system_sgpr_workgroup_id_x 1
		.amdhsa_system_sgpr_workgroup_id_y 0
		.amdhsa_system_sgpr_workgroup_id_z 0
		.amdhsa_system_sgpr_workgroup_info 0
		.amdhsa_system_vgpr_workitem_id 0
		.amdhsa_next_free_vgpr 1
		.amdhsa_next_free_sgpr 0
		.amdhsa_accum_offset 4
		.amdhsa_reserve_vcc 0
		.amdhsa_reserve_flat_scratch 0
		.amdhsa_float_round_mode_32 0
		.amdhsa_float_round_mode_16_64 0
		.amdhsa_float_denorm_mode_32 3
		.amdhsa_float_denorm_mode_16_64 3
		.amdhsa_dx10_clamp 1
		.amdhsa_ieee_mode 1
		.amdhsa_fp16_overflow 0
		.amdhsa_tg_split 0
		.amdhsa_exception_fp_ieee_invalid_op 0
		.amdhsa_exception_fp_denorm_src 0
		.amdhsa_exception_fp_ieee_div_zero 0
		.amdhsa_exception_fp_ieee_overflow 0
		.amdhsa_exception_fp_ieee_underflow 0
		.amdhsa_exception_fp_ieee_inexact 0
		.amdhsa_exception_int_div_zero 0
	.end_amdhsa_kernel
	.section	.text._ZN7rocprim17ROCPRIM_400000_NS6detail17trampoline_kernelINS0_14default_configENS1_35radix_sort_onesweep_config_selectorIjNS0_10empty_typeEEEZZNS1_29radix_sort_onesweep_iterationIS3_Lb0EN6thrust23THRUST_200600_302600_NS6detail15normal_iteratorINS9_10device_ptrIjEEEESE_PS5_SF_jNS0_19identity_decomposerENS1_16block_id_wrapperIjLb0EEEEE10hipError_tT1_PNSt15iterator_traitsISK_E10value_typeET2_T3_PNSL_ISQ_E10value_typeET4_T5_PSV_SW_PNS1_23onesweep_lookback_stateEbbT6_jjT7_P12ihipStream_tbENKUlT_T0_SK_SP_E_clIPjSE_SF_SF_EEDaS13_S14_SK_SP_EUlS13_E_NS1_11comp_targetILNS1_3genE3ELNS1_11target_archE908ELNS1_3gpuE7ELNS1_3repE0EEENS1_47radix_sort_onesweep_sort_config_static_selectorELNS0_4arch9wavefront6targetE1EEEvSK_,"axG",@progbits,_ZN7rocprim17ROCPRIM_400000_NS6detail17trampoline_kernelINS0_14default_configENS1_35radix_sort_onesweep_config_selectorIjNS0_10empty_typeEEEZZNS1_29radix_sort_onesweep_iterationIS3_Lb0EN6thrust23THRUST_200600_302600_NS6detail15normal_iteratorINS9_10device_ptrIjEEEESE_PS5_SF_jNS0_19identity_decomposerENS1_16block_id_wrapperIjLb0EEEEE10hipError_tT1_PNSt15iterator_traitsISK_E10value_typeET2_T3_PNSL_ISQ_E10value_typeET4_T5_PSV_SW_PNS1_23onesweep_lookback_stateEbbT6_jjT7_P12ihipStream_tbENKUlT_T0_SK_SP_E_clIPjSE_SF_SF_EEDaS13_S14_SK_SP_EUlS13_E_NS1_11comp_targetILNS1_3genE3ELNS1_11target_archE908ELNS1_3gpuE7ELNS1_3repE0EEENS1_47radix_sort_onesweep_sort_config_static_selectorELNS0_4arch9wavefront6targetE1EEEvSK_,comdat
.Lfunc_end1151:
	.size	_ZN7rocprim17ROCPRIM_400000_NS6detail17trampoline_kernelINS0_14default_configENS1_35radix_sort_onesweep_config_selectorIjNS0_10empty_typeEEEZZNS1_29radix_sort_onesweep_iterationIS3_Lb0EN6thrust23THRUST_200600_302600_NS6detail15normal_iteratorINS9_10device_ptrIjEEEESE_PS5_SF_jNS0_19identity_decomposerENS1_16block_id_wrapperIjLb0EEEEE10hipError_tT1_PNSt15iterator_traitsISK_E10value_typeET2_T3_PNSL_ISQ_E10value_typeET4_T5_PSV_SW_PNS1_23onesweep_lookback_stateEbbT6_jjT7_P12ihipStream_tbENKUlT_T0_SK_SP_E_clIPjSE_SF_SF_EEDaS13_S14_SK_SP_EUlS13_E_NS1_11comp_targetILNS1_3genE3ELNS1_11target_archE908ELNS1_3gpuE7ELNS1_3repE0EEENS1_47radix_sort_onesweep_sort_config_static_selectorELNS0_4arch9wavefront6targetE1EEEvSK_, .Lfunc_end1151-_ZN7rocprim17ROCPRIM_400000_NS6detail17trampoline_kernelINS0_14default_configENS1_35radix_sort_onesweep_config_selectorIjNS0_10empty_typeEEEZZNS1_29radix_sort_onesweep_iterationIS3_Lb0EN6thrust23THRUST_200600_302600_NS6detail15normal_iteratorINS9_10device_ptrIjEEEESE_PS5_SF_jNS0_19identity_decomposerENS1_16block_id_wrapperIjLb0EEEEE10hipError_tT1_PNSt15iterator_traitsISK_E10value_typeET2_T3_PNSL_ISQ_E10value_typeET4_T5_PSV_SW_PNS1_23onesweep_lookback_stateEbbT6_jjT7_P12ihipStream_tbENKUlT_T0_SK_SP_E_clIPjSE_SF_SF_EEDaS13_S14_SK_SP_EUlS13_E_NS1_11comp_targetILNS1_3genE3ELNS1_11target_archE908ELNS1_3gpuE7ELNS1_3repE0EEENS1_47radix_sort_onesweep_sort_config_static_selectorELNS0_4arch9wavefront6targetE1EEEvSK_
                                        ; -- End function
	.section	.AMDGPU.csdata,"",@progbits
; Kernel info:
; codeLenInByte = 0
; NumSgprs: 4
; NumVgprs: 0
; NumAgprs: 0
; TotalNumVgprs: 0
; ScratchSize: 0
; MemoryBound: 0
; FloatMode: 240
; IeeeMode: 1
; LDSByteSize: 0 bytes/workgroup (compile time only)
; SGPRBlocks: 0
; VGPRBlocks: 0
; NumSGPRsForWavesPerEU: 4
; NumVGPRsForWavesPerEU: 1
; AccumOffset: 4
; Occupancy: 8
; WaveLimiterHint : 0
; COMPUTE_PGM_RSRC2:SCRATCH_EN: 0
; COMPUTE_PGM_RSRC2:USER_SGPR: 6
; COMPUTE_PGM_RSRC2:TRAP_HANDLER: 0
; COMPUTE_PGM_RSRC2:TGID_X_EN: 1
; COMPUTE_PGM_RSRC2:TGID_Y_EN: 0
; COMPUTE_PGM_RSRC2:TGID_Z_EN: 0
; COMPUTE_PGM_RSRC2:TIDIG_COMP_CNT: 0
; COMPUTE_PGM_RSRC3_GFX90A:ACCUM_OFFSET: 0
; COMPUTE_PGM_RSRC3_GFX90A:TG_SPLIT: 0
	.section	.text._ZN7rocprim17ROCPRIM_400000_NS6detail17trampoline_kernelINS0_14default_configENS1_35radix_sort_onesweep_config_selectorIjNS0_10empty_typeEEEZZNS1_29radix_sort_onesweep_iterationIS3_Lb0EN6thrust23THRUST_200600_302600_NS6detail15normal_iteratorINS9_10device_ptrIjEEEESE_PS5_SF_jNS0_19identity_decomposerENS1_16block_id_wrapperIjLb0EEEEE10hipError_tT1_PNSt15iterator_traitsISK_E10value_typeET2_T3_PNSL_ISQ_E10value_typeET4_T5_PSV_SW_PNS1_23onesweep_lookback_stateEbbT6_jjT7_P12ihipStream_tbENKUlT_T0_SK_SP_E_clIPjSE_SF_SF_EEDaS13_S14_SK_SP_EUlS13_E_NS1_11comp_targetILNS1_3genE10ELNS1_11target_archE1201ELNS1_3gpuE5ELNS1_3repE0EEENS1_47radix_sort_onesweep_sort_config_static_selectorELNS0_4arch9wavefront6targetE1EEEvSK_,"axG",@progbits,_ZN7rocprim17ROCPRIM_400000_NS6detail17trampoline_kernelINS0_14default_configENS1_35radix_sort_onesweep_config_selectorIjNS0_10empty_typeEEEZZNS1_29radix_sort_onesweep_iterationIS3_Lb0EN6thrust23THRUST_200600_302600_NS6detail15normal_iteratorINS9_10device_ptrIjEEEESE_PS5_SF_jNS0_19identity_decomposerENS1_16block_id_wrapperIjLb0EEEEE10hipError_tT1_PNSt15iterator_traitsISK_E10value_typeET2_T3_PNSL_ISQ_E10value_typeET4_T5_PSV_SW_PNS1_23onesweep_lookback_stateEbbT6_jjT7_P12ihipStream_tbENKUlT_T0_SK_SP_E_clIPjSE_SF_SF_EEDaS13_S14_SK_SP_EUlS13_E_NS1_11comp_targetILNS1_3genE10ELNS1_11target_archE1201ELNS1_3gpuE5ELNS1_3repE0EEENS1_47radix_sort_onesweep_sort_config_static_selectorELNS0_4arch9wavefront6targetE1EEEvSK_,comdat
	.protected	_ZN7rocprim17ROCPRIM_400000_NS6detail17trampoline_kernelINS0_14default_configENS1_35radix_sort_onesweep_config_selectorIjNS0_10empty_typeEEEZZNS1_29radix_sort_onesweep_iterationIS3_Lb0EN6thrust23THRUST_200600_302600_NS6detail15normal_iteratorINS9_10device_ptrIjEEEESE_PS5_SF_jNS0_19identity_decomposerENS1_16block_id_wrapperIjLb0EEEEE10hipError_tT1_PNSt15iterator_traitsISK_E10value_typeET2_T3_PNSL_ISQ_E10value_typeET4_T5_PSV_SW_PNS1_23onesweep_lookback_stateEbbT6_jjT7_P12ihipStream_tbENKUlT_T0_SK_SP_E_clIPjSE_SF_SF_EEDaS13_S14_SK_SP_EUlS13_E_NS1_11comp_targetILNS1_3genE10ELNS1_11target_archE1201ELNS1_3gpuE5ELNS1_3repE0EEENS1_47radix_sort_onesweep_sort_config_static_selectorELNS0_4arch9wavefront6targetE1EEEvSK_ ; -- Begin function _ZN7rocprim17ROCPRIM_400000_NS6detail17trampoline_kernelINS0_14default_configENS1_35radix_sort_onesweep_config_selectorIjNS0_10empty_typeEEEZZNS1_29radix_sort_onesweep_iterationIS3_Lb0EN6thrust23THRUST_200600_302600_NS6detail15normal_iteratorINS9_10device_ptrIjEEEESE_PS5_SF_jNS0_19identity_decomposerENS1_16block_id_wrapperIjLb0EEEEE10hipError_tT1_PNSt15iterator_traitsISK_E10value_typeET2_T3_PNSL_ISQ_E10value_typeET4_T5_PSV_SW_PNS1_23onesweep_lookback_stateEbbT6_jjT7_P12ihipStream_tbENKUlT_T0_SK_SP_E_clIPjSE_SF_SF_EEDaS13_S14_SK_SP_EUlS13_E_NS1_11comp_targetILNS1_3genE10ELNS1_11target_archE1201ELNS1_3gpuE5ELNS1_3repE0EEENS1_47radix_sort_onesweep_sort_config_static_selectorELNS0_4arch9wavefront6targetE1EEEvSK_
	.globl	_ZN7rocprim17ROCPRIM_400000_NS6detail17trampoline_kernelINS0_14default_configENS1_35radix_sort_onesweep_config_selectorIjNS0_10empty_typeEEEZZNS1_29radix_sort_onesweep_iterationIS3_Lb0EN6thrust23THRUST_200600_302600_NS6detail15normal_iteratorINS9_10device_ptrIjEEEESE_PS5_SF_jNS0_19identity_decomposerENS1_16block_id_wrapperIjLb0EEEEE10hipError_tT1_PNSt15iterator_traitsISK_E10value_typeET2_T3_PNSL_ISQ_E10value_typeET4_T5_PSV_SW_PNS1_23onesweep_lookback_stateEbbT6_jjT7_P12ihipStream_tbENKUlT_T0_SK_SP_E_clIPjSE_SF_SF_EEDaS13_S14_SK_SP_EUlS13_E_NS1_11comp_targetILNS1_3genE10ELNS1_11target_archE1201ELNS1_3gpuE5ELNS1_3repE0EEENS1_47radix_sort_onesweep_sort_config_static_selectorELNS0_4arch9wavefront6targetE1EEEvSK_
	.p2align	8
	.type	_ZN7rocprim17ROCPRIM_400000_NS6detail17trampoline_kernelINS0_14default_configENS1_35radix_sort_onesweep_config_selectorIjNS0_10empty_typeEEEZZNS1_29radix_sort_onesweep_iterationIS3_Lb0EN6thrust23THRUST_200600_302600_NS6detail15normal_iteratorINS9_10device_ptrIjEEEESE_PS5_SF_jNS0_19identity_decomposerENS1_16block_id_wrapperIjLb0EEEEE10hipError_tT1_PNSt15iterator_traitsISK_E10value_typeET2_T3_PNSL_ISQ_E10value_typeET4_T5_PSV_SW_PNS1_23onesweep_lookback_stateEbbT6_jjT7_P12ihipStream_tbENKUlT_T0_SK_SP_E_clIPjSE_SF_SF_EEDaS13_S14_SK_SP_EUlS13_E_NS1_11comp_targetILNS1_3genE10ELNS1_11target_archE1201ELNS1_3gpuE5ELNS1_3repE0EEENS1_47radix_sort_onesweep_sort_config_static_selectorELNS0_4arch9wavefront6targetE1EEEvSK_,@function
_ZN7rocprim17ROCPRIM_400000_NS6detail17trampoline_kernelINS0_14default_configENS1_35radix_sort_onesweep_config_selectorIjNS0_10empty_typeEEEZZNS1_29radix_sort_onesweep_iterationIS3_Lb0EN6thrust23THRUST_200600_302600_NS6detail15normal_iteratorINS9_10device_ptrIjEEEESE_PS5_SF_jNS0_19identity_decomposerENS1_16block_id_wrapperIjLb0EEEEE10hipError_tT1_PNSt15iterator_traitsISK_E10value_typeET2_T3_PNSL_ISQ_E10value_typeET4_T5_PSV_SW_PNS1_23onesweep_lookback_stateEbbT6_jjT7_P12ihipStream_tbENKUlT_T0_SK_SP_E_clIPjSE_SF_SF_EEDaS13_S14_SK_SP_EUlS13_E_NS1_11comp_targetILNS1_3genE10ELNS1_11target_archE1201ELNS1_3gpuE5ELNS1_3repE0EEENS1_47radix_sort_onesweep_sort_config_static_selectorELNS0_4arch9wavefront6targetE1EEEvSK_: ; @_ZN7rocprim17ROCPRIM_400000_NS6detail17trampoline_kernelINS0_14default_configENS1_35radix_sort_onesweep_config_selectorIjNS0_10empty_typeEEEZZNS1_29radix_sort_onesweep_iterationIS3_Lb0EN6thrust23THRUST_200600_302600_NS6detail15normal_iteratorINS9_10device_ptrIjEEEESE_PS5_SF_jNS0_19identity_decomposerENS1_16block_id_wrapperIjLb0EEEEE10hipError_tT1_PNSt15iterator_traitsISK_E10value_typeET2_T3_PNSL_ISQ_E10value_typeET4_T5_PSV_SW_PNS1_23onesweep_lookback_stateEbbT6_jjT7_P12ihipStream_tbENKUlT_T0_SK_SP_E_clIPjSE_SF_SF_EEDaS13_S14_SK_SP_EUlS13_E_NS1_11comp_targetILNS1_3genE10ELNS1_11target_archE1201ELNS1_3gpuE5ELNS1_3repE0EEENS1_47radix_sort_onesweep_sort_config_static_selectorELNS0_4arch9wavefront6targetE1EEEvSK_
; %bb.0:
	.section	.rodata,"a",@progbits
	.p2align	6, 0x0
	.amdhsa_kernel _ZN7rocprim17ROCPRIM_400000_NS6detail17trampoline_kernelINS0_14default_configENS1_35radix_sort_onesweep_config_selectorIjNS0_10empty_typeEEEZZNS1_29radix_sort_onesweep_iterationIS3_Lb0EN6thrust23THRUST_200600_302600_NS6detail15normal_iteratorINS9_10device_ptrIjEEEESE_PS5_SF_jNS0_19identity_decomposerENS1_16block_id_wrapperIjLb0EEEEE10hipError_tT1_PNSt15iterator_traitsISK_E10value_typeET2_T3_PNSL_ISQ_E10value_typeET4_T5_PSV_SW_PNS1_23onesweep_lookback_stateEbbT6_jjT7_P12ihipStream_tbENKUlT_T0_SK_SP_E_clIPjSE_SF_SF_EEDaS13_S14_SK_SP_EUlS13_E_NS1_11comp_targetILNS1_3genE10ELNS1_11target_archE1201ELNS1_3gpuE5ELNS1_3repE0EEENS1_47radix_sort_onesweep_sort_config_static_selectorELNS0_4arch9wavefront6targetE1EEEvSK_
		.amdhsa_group_segment_fixed_size 0
		.amdhsa_private_segment_fixed_size 0
		.amdhsa_kernarg_size 88
		.amdhsa_user_sgpr_count 6
		.amdhsa_user_sgpr_private_segment_buffer 1
		.amdhsa_user_sgpr_dispatch_ptr 0
		.amdhsa_user_sgpr_queue_ptr 0
		.amdhsa_user_sgpr_kernarg_segment_ptr 1
		.amdhsa_user_sgpr_dispatch_id 0
		.amdhsa_user_sgpr_flat_scratch_init 0
		.amdhsa_user_sgpr_kernarg_preload_length 0
		.amdhsa_user_sgpr_kernarg_preload_offset 0
		.amdhsa_user_sgpr_private_segment_size 0
		.amdhsa_uses_dynamic_stack 0
		.amdhsa_system_sgpr_private_segment_wavefront_offset 0
		.amdhsa_system_sgpr_workgroup_id_x 1
		.amdhsa_system_sgpr_workgroup_id_y 0
		.amdhsa_system_sgpr_workgroup_id_z 0
		.amdhsa_system_sgpr_workgroup_info 0
		.amdhsa_system_vgpr_workitem_id 0
		.amdhsa_next_free_vgpr 1
		.amdhsa_next_free_sgpr 0
		.amdhsa_accum_offset 4
		.amdhsa_reserve_vcc 0
		.amdhsa_reserve_flat_scratch 0
		.amdhsa_float_round_mode_32 0
		.amdhsa_float_round_mode_16_64 0
		.amdhsa_float_denorm_mode_32 3
		.amdhsa_float_denorm_mode_16_64 3
		.amdhsa_dx10_clamp 1
		.amdhsa_ieee_mode 1
		.amdhsa_fp16_overflow 0
		.amdhsa_tg_split 0
		.amdhsa_exception_fp_ieee_invalid_op 0
		.amdhsa_exception_fp_denorm_src 0
		.amdhsa_exception_fp_ieee_div_zero 0
		.amdhsa_exception_fp_ieee_overflow 0
		.amdhsa_exception_fp_ieee_underflow 0
		.amdhsa_exception_fp_ieee_inexact 0
		.amdhsa_exception_int_div_zero 0
	.end_amdhsa_kernel
	.section	.text._ZN7rocprim17ROCPRIM_400000_NS6detail17trampoline_kernelINS0_14default_configENS1_35radix_sort_onesweep_config_selectorIjNS0_10empty_typeEEEZZNS1_29radix_sort_onesweep_iterationIS3_Lb0EN6thrust23THRUST_200600_302600_NS6detail15normal_iteratorINS9_10device_ptrIjEEEESE_PS5_SF_jNS0_19identity_decomposerENS1_16block_id_wrapperIjLb0EEEEE10hipError_tT1_PNSt15iterator_traitsISK_E10value_typeET2_T3_PNSL_ISQ_E10value_typeET4_T5_PSV_SW_PNS1_23onesweep_lookback_stateEbbT6_jjT7_P12ihipStream_tbENKUlT_T0_SK_SP_E_clIPjSE_SF_SF_EEDaS13_S14_SK_SP_EUlS13_E_NS1_11comp_targetILNS1_3genE10ELNS1_11target_archE1201ELNS1_3gpuE5ELNS1_3repE0EEENS1_47radix_sort_onesweep_sort_config_static_selectorELNS0_4arch9wavefront6targetE1EEEvSK_,"axG",@progbits,_ZN7rocprim17ROCPRIM_400000_NS6detail17trampoline_kernelINS0_14default_configENS1_35radix_sort_onesweep_config_selectorIjNS0_10empty_typeEEEZZNS1_29radix_sort_onesweep_iterationIS3_Lb0EN6thrust23THRUST_200600_302600_NS6detail15normal_iteratorINS9_10device_ptrIjEEEESE_PS5_SF_jNS0_19identity_decomposerENS1_16block_id_wrapperIjLb0EEEEE10hipError_tT1_PNSt15iterator_traitsISK_E10value_typeET2_T3_PNSL_ISQ_E10value_typeET4_T5_PSV_SW_PNS1_23onesweep_lookback_stateEbbT6_jjT7_P12ihipStream_tbENKUlT_T0_SK_SP_E_clIPjSE_SF_SF_EEDaS13_S14_SK_SP_EUlS13_E_NS1_11comp_targetILNS1_3genE10ELNS1_11target_archE1201ELNS1_3gpuE5ELNS1_3repE0EEENS1_47radix_sort_onesweep_sort_config_static_selectorELNS0_4arch9wavefront6targetE1EEEvSK_,comdat
.Lfunc_end1152:
	.size	_ZN7rocprim17ROCPRIM_400000_NS6detail17trampoline_kernelINS0_14default_configENS1_35radix_sort_onesweep_config_selectorIjNS0_10empty_typeEEEZZNS1_29radix_sort_onesweep_iterationIS3_Lb0EN6thrust23THRUST_200600_302600_NS6detail15normal_iteratorINS9_10device_ptrIjEEEESE_PS5_SF_jNS0_19identity_decomposerENS1_16block_id_wrapperIjLb0EEEEE10hipError_tT1_PNSt15iterator_traitsISK_E10value_typeET2_T3_PNSL_ISQ_E10value_typeET4_T5_PSV_SW_PNS1_23onesweep_lookback_stateEbbT6_jjT7_P12ihipStream_tbENKUlT_T0_SK_SP_E_clIPjSE_SF_SF_EEDaS13_S14_SK_SP_EUlS13_E_NS1_11comp_targetILNS1_3genE10ELNS1_11target_archE1201ELNS1_3gpuE5ELNS1_3repE0EEENS1_47radix_sort_onesweep_sort_config_static_selectorELNS0_4arch9wavefront6targetE1EEEvSK_, .Lfunc_end1152-_ZN7rocprim17ROCPRIM_400000_NS6detail17trampoline_kernelINS0_14default_configENS1_35radix_sort_onesweep_config_selectorIjNS0_10empty_typeEEEZZNS1_29radix_sort_onesweep_iterationIS3_Lb0EN6thrust23THRUST_200600_302600_NS6detail15normal_iteratorINS9_10device_ptrIjEEEESE_PS5_SF_jNS0_19identity_decomposerENS1_16block_id_wrapperIjLb0EEEEE10hipError_tT1_PNSt15iterator_traitsISK_E10value_typeET2_T3_PNSL_ISQ_E10value_typeET4_T5_PSV_SW_PNS1_23onesweep_lookback_stateEbbT6_jjT7_P12ihipStream_tbENKUlT_T0_SK_SP_E_clIPjSE_SF_SF_EEDaS13_S14_SK_SP_EUlS13_E_NS1_11comp_targetILNS1_3genE10ELNS1_11target_archE1201ELNS1_3gpuE5ELNS1_3repE0EEENS1_47radix_sort_onesweep_sort_config_static_selectorELNS0_4arch9wavefront6targetE1EEEvSK_
                                        ; -- End function
	.section	.AMDGPU.csdata,"",@progbits
; Kernel info:
; codeLenInByte = 0
; NumSgprs: 4
; NumVgprs: 0
; NumAgprs: 0
; TotalNumVgprs: 0
; ScratchSize: 0
; MemoryBound: 0
; FloatMode: 240
; IeeeMode: 1
; LDSByteSize: 0 bytes/workgroup (compile time only)
; SGPRBlocks: 0
; VGPRBlocks: 0
; NumSGPRsForWavesPerEU: 4
; NumVGPRsForWavesPerEU: 1
; AccumOffset: 4
; Occupancy: 8
; WaveLimiterHint : 0
; COMPUTE_PGM_RSRC2:SCRATCH_EN: 0
; COMPUTE_PGM_RSRC2:USER_SGPR: 6
; COMPUTE_PGM_RSRC2:TRAP_HANDLER: 0
; COMPUTE_PGM_RSRC2:TGID_X_EN: 1
; COMPUTE_PGM_RSRC2:TGID_Y_EN: 0
; COMPUTE_PGM_RSRC2:TGID_Z_EN: 0
; COMPUTE_PGM_RSRC2:TIDIG_COMP_CNT: 0
; COMPUTE_PGM_RSRC3_GFX90A:ACCUM_OFFSET: 0
; COMPUTE_PGM_RSRC3_GFX90A:TG_SPLIT: 0
	.section	.text._ZN7rocprim17ROCPRIM_400000_NS6detail17trampoline_kernelINS0_14default_configENS1_35radix_sort_onesweep_config_selectorIjNS0_10empty_typeEEEZZNS1_29radix_sort_onesweep_iterationIS3_Lb0EN6thrust23THRUST_200600_302600_NS6detail15normal_iteratorINS9_10device_ptrIjEEEESE_PS5_SF_jNS0_19identity_decomposerENS1_16block_id_wrapperIjLb0EEEEE10hipError_tT1_PNSt15iterator_traitsISK_E10value_typeET2_T3_PNSL_ISQ_E10value_typeET4_T5_PSV_SW_PNS1_23onesweep_lookback_stateEbbT6_jjT7_P12ihipStream_tbENKUlT_T0_SK_SP_E_clIPjSE_SF_SF_EEDaS13_S14_SK_SP_EUlS13_E_NS1_11comp_targetILNS1_3genE9ELNS1_11target_archE1100ELNS1_3gpuE3ELNS1_3repE0EEENS1_47radix_sort_onesweep_sort_config_static_selectorELNS0_4arch9wavefront6targetE1EEEvSK_,"axG",@progbits,_ZN7rocprim17ROCPRIM_400000_NS6detail17trampoline_kernelINS0_14default_configENS1_35radix_sort_onesweep_config_selectorIjNS0_10empty_typeEEEZZNS1_29radix_sort_onesweep_iterationIS3_Lb0EN6thrust23THRUST_200600_302600_NS6detail15normal_iteratorINS9_10device_ptrIjEEEESE_PS5_SF_jNS0_19identity_decomposerENS1_16block_id_wrapperIjLb0EEEEE10hipError_tT1_PNSt15iterator_traitsISK_E10value_typeET2_T3_PNSL_ISQ_E10value_typeET4_T5_PSV_SW_PNS1_23onesweep_lookback_stateEbbT6_jjT7_P12ihipStream_tbENKUlT_T0_SK_SP_E_clIPjSE_SF_SF_EEDaS13_S14_SK_SP_EUlS13_E_NS1_11comp_targetILNS1_3genE9ELNS1_11target_archE1100ELNS1_3gpuE3ELNS1_3repE0EEENS1_47radix_sort_onesweep_sort_config_static_selectorELNS0_4arch9wavefront6targetE1EEEvSK_,comdat
	.protected	_ZN7rocprim17ROCPRIM_400000_NS6detail17trampoline_kernelINS0_14default_configENS1_35radix_sort_onesweep_config_selectorIjNS0_10empty_typeEEEZZNS1_29radix_sort_onesweep_iterationIS3_Lb0EN6thrust23THRUST_200600_302600_NS6detail15normal_iteratorINS9_10device_ptrIjEEEESE_PS5_SF_jNS0_19identity_decomposerENS1_16block_id_wrapperIjLb0EEEEE10hipError_tT1_PNSt15iterator_traitsISK_E10value_typeET2_T3_PNSL_ISQ_E10value_typeET4_T5_PSV_SW_PNS1_23onesweep_lookback_stateEbbT6_jjT7_P12ihipStream_tbENKUlT_T0_SK_SP_E_clIPjSE_SF_SF_EEDaS13_S14_SK_SP_EUlS13_E_NS1_11comp_targetILNS1_3genE9ELNS1_11target_archE1100ELNS1_3gpuE3ELNS1_3repE0EEENS1_47radix_sort_onesweep_sort_config_static_selectorELNS0_4arch9wavefront6targetE1EEEvSK_ ; -- Begin function _ZN7rocprim17ROCPRIM_400000_NS6detail17trampoline_kernelINS0_14default_configENS1_35radix_sort_onesweep_config_selectorIjNS0_10empty_typeEEEZZNS1_29radix_sort_onesweep_iterationIS3_Lb0EN6thrust23THRUST_200600_302600_NS6detail15normal_iteratorINS9_10device_ptrIjEEEESE_PS5_SF_jNS0_19identity_decomposerENS1_16block_id_wrapperIjLb0EEEEE10hipError_tT1_PNSt15iterator_traitsISK_E10value_typeET2_T3_PNSL_ISQ_E10value_typeET4_T5_PSV_SW_PNS1_23onesweep_lookback_stateEbbT6_jjT7_P12ihipStream_tbENKUlT_T0_SK_SP_E_clIPjSE_SF_SF_EEDaS13_S14_SK_SP_EUlS13_E_NS1_11comp_targetILNS1_3genE9ELNS1_11target_archE1100ELNS1_3gpuE3ELNS1_3repE0EEENS1_47radix_sort_onesweep_sort_config_static_selectorELNS0_4arch9wavefront6targetE1EEEvSK_
	.globl	_ZN7rocprim17ROCPRIM_400000_NS6detail17trampoline_kernelINS0_14default_configENS1_35radix_sort_onesweep_config_selectorIjNS0_10empty_typeEEEZZNS1_29radix_sort_onesweep_iterationIS3_Lb0EN6thrust23THRUST_200600_302600_NS6detail15normal_iteratorINS9_10device_ptrIjEEEESE_PS5_SF_jNS0_19identity_decomposerENS1_16block_id_wrapperIjLb0EEEEE10hipError_tT1_PNSt15iterator_traitsISK_E10value_typeET2_T3_PNSL_ISQ_E10value_typeET4_T5_PSV_SW_PNS1_23onesweep_lookback_stateEbbT6_jjT7_P12ihipStream_tbENKUlT_T0_SK_SP_E_clIPjSE_SF_SF_EEDaS13_S14_SK_SP_EUlS13_E_NS1_11comp_targetILNS1_3genE9ELNS1_11target_archE1100ELNS1_3gpuE3ELNS1_3repE0EEENS1_47radix_sort_onesweep_sort_config_static_selectorELNS0_4arch9wavefront6targetE1EEEvSK_
	.p2align	8
	.type	_ZN7rocprim17ROCPRIM_400000_NS6detail17trampoline_kernelINS0_14default_configENS1_35radix_sort_onesweep_config_selectorIjNS0_10empty_typeEEEZZNS1_29radix_sort_onesweep_iterationIS3_Lb0EN6thrust23THRUST_200600_302600_NS6detail15normal_iteratorINS9_10device_ptrIjEEEESE_PS5_SF_jNS0_19identity_decomposerENS1_16block_id_wrapperIjLb0EEEEE10hipError_tT1_PNSt15iterator_traitsISK_E10value_typeET2_T3_PNSL_ISQ_E10value_typeET4_T5_PSV_SW_PNS1_23onesweep_lookback_stateEbbT6_jjT7_P12ihipStream_tbENKUlT_T0_SK_SP_E_clIPjSE_SF_SF_EEDaS13_S14_SK_SP_EUlS13_E_NS1_11comp_targetILNS1_3genE9ELNS1_11target_archE1100ELNS1_3gpuE3ELNS1_3repE0EEENS1_47radix_sort_onesweep_sort_config_static_selectorELNS0_4arch9wavefront6targetE1EEEvSK_,@function
_ZN7rocprim17ROCPRIM_400000_NS6detail17trampoline_kernelINS0_14default_configENS1_35radix_sort_onesweep_config_selectorIjNS0_10empty_typeEEEZZNS1_29radix_sort_onesweep_iterationIS3_Lb0EN6thrust23THRUST_200600_302600_NS6detail15normal_iteratorINS9_10device_ptrIjEEEESE_PS5_SF_jNS0_19identity_decomposerENS1_16block_id_wrapperIjLb0EEEEE10hipError_tT1_PNSt15iterator_traitsISK_E10value_typeET2_T3_PNSL_ISQ_E10value_typeET4_T5_PSV_SW_PNS1_23onesweep_lookback_stateEbbT6_jjT7_P12ihipStream_tbENKUlT_T0_SK_SP_E_clIPjSE_SF_SF_EEDaS13_S14_SK_SP_EUlS13_E_NS1_11comp_targetILNS1_3genE9ELNS1_11target_archE1100ELNS1_3gpuE3ELNS1_3repE0EEENS1_47radix_sort_onesweep_sort_config_static_selectorELNS0_4arch9wavefront6targetE1EEEvSK_: ; @_ZN7rocprim17ROCPRIM_400000_NS6detail17trampoline_kernelINS0_14default_configENS1_35radix_sort_onesweep_config_selectorIjNS0_10empty_typeEEEZZNS1_29radix_sort_onesweep_iterationIS3_Lb0EN6thrust23THRUST_200600_302600_NS6detail15normal_iteratorINS9_10device_ptrIjEEEESE_PS5_SF_jNS0_19identity_decomposerENS1_16block_id_wrapperIjLb0EEEEE10hipError_tT1_PNSt15iterator_traitsISK_E10value_typeET2_T3_PNSL_ISQ_E10value_typeET4_T5_PSV_SW_PNS1_23onesweep_lookback_stateEbbT6_jjT7_P12ihipStream_tbENKUlT_T0_SK_SP_E_clIPjSE_SF_SF_EEDaS13_S14_SK_SP_EUlS13_E_NS1_11comp_targetILNS1_3genE9ELNS1_11target_archE1100ELNS1_3gpuE3ELNS1_3repE0EEENS1_47radix_sort_onesweep_sort_config_static_selectorELNS0_4arch9wavefront6targetE1EEEvSK_
; %bb.0:
	.section	.rodata,"a",@progbits
	.p2align	6, 0x0
	.amdhsa_kernel _ZN7rocprim17ROCPRIM_400000_NS6detail17trampoline_kernelINS0_14default_configENS1_35radix_sort_onesweep_config_selectorIjNS0_10empty_typeEEEZZNS1_29radix_sort_onesweep_iterationIS3_Lb0EN6thrust23THRUST_200600_302600_NS6detail15normal_iteratorINS9_10device_ptrIjEEEESE_PS5_SF_jNS0_19identity_decomposerENS1_16block_id_wrapperIjLb0EEEEE10hipError_tT1_PNSt15iterator_traitsISK_E10value_typeET2_T3_PNSL_ISQ_E10value_typeET4_T5_PSV_SW_PNS1_23onesweep_lookback_stateEbbT6_jjT7_P12ihipStream_tbENKUlT_T0_SK_SP_E_clIPjSE_SF_SF_EEDaS13_S14_SK_SP_EUlS13_E_NS1_11comp_targetILNS1_3genE9ELNS1_11target_archE1100ELNS1_3gpuE3ELNS1_3repE0EEENS1_47radix_sort_onesweep_sort_config_static_selectorELNS0_4arch9wavefront6targetE1EEEvSK_
		.amdhsa_group_segment_fixed_size 0
		.amdhsa_private_segment_fixed_size 0
		.amdhsa_kernarg_size 88
		.amdhsa_user_sgpr_count 6
		.amdhsa_user_sgpr_private_segment_buffer 1
		.amdhsa_user_sgpr_dispatch_ptr 0
		.amdhsa_user_sgpr_queue_ptr 0
		.amdhsa_user_sgpr_kernarg_segment_ptr 1
		.amdhsa_user_sgpr_dispatch_id 0
		.amdhsa_user_sgpr_flat_scratch_init 0
		.amdhsa_user_sgpr_kernarg_preload_length 0
		.amdhsa_user_sgpr_kernarg_preload_offset 0
		.amdhsa_user_sgpr_private_segment_size 0
		.amdhsa_uses_dynamic_stack 0
		.amdhsa_system_sgpr_private_segment_wavefront_offset 0
		.amdhsa_system_sgpr_workgroup_id_x 1
		.amdhsa_system_sgpr_workgroup_id_y 0
		.amdhsa_system_sgpr_workgroup_id_z 0
		.amdhsa_system_sgpr_workgroup_info 0
		.amdhsa_system_vgpr_workitem_id 0
		.amdhsa_next_free_vgpr 1
		.amdhsa_next_free_sgpr 0
		.amdhsa_accum_offset 4
		.amdhsa_reserve_vcc 0
		.amdhsa_reserve_flat_scratch 0
		.amdhsa_float_round_mode_32 0
		.amdhsa_float_round_mode_16_64 0
		.amdhsa_float_denorm_mode_32 3
		.amdhsa_float_denorm_mode_16_64 3
		.amdhsa_dx10_clamp 1
		.amdhsa_ieee_mode 1
		.amdhsa_fp16_overflow 0
		.amdhsa_tg_split 0
		.amdhsa_exception_fp_ieee_invalid_op 0
		.amdhsa_exception_fp_denorm_src 0
		.amdhsa_exception_fp_ieee_div_zero 0
		.amdhsa_exception_fp_ieee_overflow 0
		.amdhsa_exception_fp_ieee_underflow 0
		.amdhsa_exception_fp_ieee_inexact 0
		.amdhsa_exception_int_div_zero 0
	.end_amdhsa_kernel
	.section	.text._ZN7rocprim17ROCPRIM_400000_NS6detail17trampoline_kernelINS0_14default_configENS1_35radix_sort_onesweep_config_selectorIjNS0_10empty_typeEEEZZNS1_29radix_sort_onesweep_iterationIS3_Lb0EN6thrust23THRUST_200600_302600_NS6detail15normal_iteratorINS9_10device_ptrIjEEEESE_PS5_SF_jNS0_19identity_decomposerENS1_16block_id_wrapperIjLb0EEEEE10hipError_tT1_PNSt15iterator_traitsISK_E10value_typeET2_T3_PNSL_ISQ_E10value_typeET4_T5_PSV_SW_PNS1_23onesweep_lookback_stateEbbT6_jjT7_P12ihipStream_tbENKUlT_T0_SK_SP_E_clIPjSE_SF_SF_EEDaS13_S14_SK_SP_EUlS13_E_NS1_11comp_targetILNS1_3genE9ELNS1_11target_archE1100ELNS1_3gpuE3ELNS1_3repE0EEENS1_47radix_sort_onesweep_sort_config_static_selectorELNS0_4arch9wavefront6targetE1EEEvSK_,"axG",@progbits,_ZN7rocprim17ROCPRIM_400000_NS6detail17trampoline_kernelINS0_14default_configENS1_35radix_sort_onesweep_config_selectorIjNS0_10empty_typeEEEZZNS1_29radix_sort_onesweep_iterationIS3_Lb0EN6thrust23THRUST_200600_302600_NS6detail15normal_iteratorINS9_10device_ptrIjEEEESE_PS5_SF_jNS0_19identity_decomposerENS1_16block_id_wrapperIjLb0EEEEE10hipError_tT1_PNSt15iterator_traitsISK_E10value_typeET2_T3_PNSL_ISQ_E10value_typeET4_T5_PSV_SW_PNS1_23onesweep_lookback_stateEbbT6_jjT7_P12ihipStream_tbENKUlT_T0_SK_SP_E_clIPjSE_SF_SF_EEDaS13_S14_SK_SP_EUlS13_E_NS1_11comp_targetILNS1_3genE9ELNS1_11target_archE1100ELNS1_3gpuE3ELNS1_3repE0EEENS1_47radix_sort_onesweep_sort_config_static_selectorELNS0_4arch9wavefront6targetE1EEEvSK_,comdat
.Lfunc_end1153:
	.size	_ZN7rocprim17ROCPRIM_400000_NS6detail17trampoline_kernelINS0_14default_configENS1_35radix_sort_onesweep_config_selectorIjNS0_10empty_typeEEEZZNS1_29radix_sort_onesweep_iterationIS3_Lb0EN6thrust23THRUST_200600_302600_NS6detail15normal_iteratorINS9_10device_ptrIjEEEESE_PS5_SF_jNS0_19identity_decomposerENS1_16block_id_wrapperIjLb0EEEEE10hipError_tT1_PNSt15iterator_traitsISK_E10value_typeET2_T3_PNSL_ISQ_E10value_typeET4_T5_PSV_SW_PNS1_23onesweep_lookback_stateEbbT6_jjT7_P12ihipStream_tbENKUlT_T0_SK_SP_E_clIPjSE_SF_SF_EEDaS13_S14_SK_SP_EUlS13_E_NS1_11comp_targetILNS1_3genE9ELNS1_11target_archE1100ELNS1_3gpuE3ELNS1_3repE0EEENS1_47radix_sort_onesweep_sort_config_static_selectorELNS0_4arch9wavefront6targetE1EEEvSK_, .Lfunc_end1153-_ZN7rocprim17ROCPRIM_400000_NS6detail17trampoline_kernelINS0_14default_configENS1_35radix_sort_onesweep_config_selectorIjNS0_10empty_typeEEEZZNS1_29radix_sort_onesweep_iterationIS3_Lb0EN6thrust23THRUST_200600_302600_NS6detail15normal_iteratorINS9_10device_ptrIjEEEESE_PS5_SF_jNS0_19identity_decomposerENS1_16block_id_wrapperIjLb0EEEEE10hipError_tT1_PNSt15iterator_traitsISK_E10value_typeET2_T3_PNSL_ISQ_E10value_typeET4_T5_PSV_SW_PNS1_23onesweep_lookback_stateEbbT6_jjT7_P12ihipStream_tbENKUlT_T0_SK_SP_E_clIPjSE_SF_SF_EEDaS13_S14_SK_SP_EUlS13_E_NS1_11comp_targetILNS1_3genE9ELNS1_11target_archE1100ELNS1_3gpuE3ELNS1_3repE0EEENS1_47radix_sort_onesweep_sort_config_static_selectorELNS0_4arch9wavefront6targetE1EEEvSK_
                                        ; -- End function
	.section	.AMDGPU.csdata,"",@progbits
; Kernel info:
; codeLenInByte = 0
; NumSgprs: 4
; NumVgprs: 0
; NumAgprs: 0
; TotalNumVgprs: 0
; ScratchSize: 0
; MemoryBound: 0
; FloatMode: 240
; IeeeMode: 1
; LDSByteSize: 0 bytes/workgroup (compile time only)
; SGPRBlocks: 0
; VGPRBlocks: 0
; NumSGPRsForWavesPerEU: 4
; NumVGPRsForWavesPerEU: 1
; AccumOffset: 4
; Occupancy: 8
; WaveLimiterHint : 0
; COMPUTE_PGM_RSRC2:SCRATCH_EN: 0
; COMPUTE_PGM_RSRC2:USER_SGPR: 6
; COMPUTE_PGM_RSRC2:TRAP_HANDLER: 0
; COMPUTE_PGM_RSRC2:TGID_X_EN: 1
; COMPUTE_PGM_RSRC2:TGID_Y_EN: 0
; COMPUTE_PGM_RSRC2:TGID_Z_EN: 0
; COMPUTE_PGM_RSRC2:TIDIG_COMP_CNT: 0
; COMPUTE_PGM_RSRC3_GFX90A:ACCUM_OFFSET: 0
; COMPUTE_PGM_RSRC3_GFX90A:TG_SPLIT: 0
	.section	.text._ZN7rocprim17ROCPRIM_400000_NS6detail17trampoline_kernelINS0_14default_configENS1_35radix_sort_onesweep_config_selectorIjNS0_10empty_typeEEEZZNS1_29radix_sort_onesweep_iterationIS3_Lb0EN6thrust23THRUST_200600_302600_NS6detail15normal_iteratorINS9_10device_ptrIjEEEESE_PS5_SF_jNS0_19identity_decomposerENS1_16block_id_wrapperIjLb0EEEEE10hipError_tT1_PNSt15iterator_traitsISK_E10value_typeET2_T3_PNSL_ISQ_E10value_typeET4_T5_PSV_SW_PNS1_23onesweep_lookback_stateEbbT6_jjT7_P12ihipStream_tbENKUlT_T0_SK_SP_E_clIPjSE_SF_SF_EEDaS13_S14_SK_SP_EUlS13_E_NS1_11comp_targetILNS1_3genE8ELNS1_11target_archE1030ELNS1_3gpuE2ELNS1_3repE0EEENS1_47radix_sort_onesweep_sort_config_static_selectorELNS0_4arch9wavefront6targetE1EEEvSK_,"axG",@progbits,_ZN7rocprim17ROCPRIM_400000_NS6detail17trampoline_kernelINS0_14default_configENS1_35radix_sort_onesweep_config_selectorIjNS0_10empty_typeEEEZZNS1_29radix_sort_onesweep_iterationIS3_Lb0EN6thrust23THRUST_200600_302600_NS6detail15normal_iteratorINS9_10device_ptrIjEEEESE_PS5_SF_jNS0_19identity_decomposerENS1_16block_id_wrapperIjLb0EEEEE10hipError_tT1_PNSt15iterator_traitsISK_E10value_typeET2_T3_PNSL_ISQ_E10value_typeET4_T5_PSV_SW_PNS1_23onesweep_lookback_stateEbbT6_jjT7_P12ihipStream_tbENKUlT_T0_SK_SP_E_clIPjSE_SF_SF_EEDaS13_S14_SK_SP_EUlS13_E_NS1_11comp_targetILNS1_3genE8ELNS1_11target_archE1030ELNS1_3gpuE2ELNS1_3repE0EEENS1_47radix_sort_onesweep_sort_config_static_selectorELNS0_4arch9wavefront6targetE1EEEvSK_,comdat
	.protected	_ZN7rocprim17ROCPRIM_400000_NS6detail17trampoline_kernelINS0_14default_configENS1_35radix_sort_onesweep_config_selectorIjNS0_10empty_typeEEEZZNS1_29radix_sort_onesweep_iterationIS3_Lb0EN6thrust23THRUST_200600_302600_NS6detail15normal_iteratorINS9_10device_ptrIjEEEESE_PS5_SF_jNS0_19identity_decomposerENS1_16block_id_wrapperIjLb0EEEEE10hipError_tT1_PNSt15iterator_traitsISK_E10value_typeET2_T3_PNSL_ISQ_E10value_typeET4_T5_PSV_SW_PNS1_23onesweep_lookback_stateEbbT6_jjT7_P12ihipStream_tbENKUlT_T0_SK_SP_E_clIPjSE_SF_SF_EEDaS13_S14_SK_SP_EUlS13_E_NS1_11comp_targetILNS1_3genE8ELNS1_11target_archE1030ELNS1_3gpuE2ELNS1_3repE0EEENS1_47radix_sort_onesweep_sort_config_static_selectorELNS0_4arch9wavefront6targetE1EEEvSK_ ; -- Begin function _ZN7rocprim17ROCPRIM_400000_NS6detail17trampoline_kernelINS0_14default_configENS1_35radix_sort_onesweep_config_selectorIjNS0_10empty_typeEEEZZNS1_29radix_sort_onesweep_iterationIS3_Lb0EN6thrust23THRUST_200600_302600_NS6detail15normal_iteratorINS9_10device_ptrIjEEEESE_PS5_SF_jNS0_19identity_decomposerENS1_16block_id_wrapperIjLb0EEEEE10hipError_tT1_PNSt15iterator_traitsISK_E10value_typeET2_T3_PNSL_ISQ_E10value_typeET4_T5_PSV_SW_PNS1_23onesweep_lookback_stateEbbT6_jjT7_P12ihipStream_tbENKUlT_T0_SK_SP_E_clIPjSE_SF_SF_EEDaS13_S14_SK_SP_EUlS13_E_NS1_11comp_targetILNS1_3genE8ELNS1_11target_archE1030ELNS1_3gpuE2ELNS1_3repE0EEENS1_47radix_sort_onesweep_sort_config_static_selectorELNS0_4arch9wavefront6targetE1EEEvSK_
	.globl	_ZN7rocprim17ROCPRIM_400000_NS6detail17trampoline_kernelINS0_14default_configENS1_35radix_sort_onesweep_config_selectorIjNS0_10empty_typeEEEZZNS1_29radix_sort_onesweep_iterationIS3_Lb0EN6thrust23THRUST_200600_302600_NS6detail15normal_iteratorINS9_10device_ptrIjEEEESE_PS5_SF_jNS0_19identity_decomposerENS1_16block_id_wrapperIjLb0EEEEE10hipError_tT1_PNSt15iterator_traitsISK_E10value_typeET2_T3_PNSL_ISQ_E10value_typeET4_T5_PSV_SW_PNS1_23onesweep_lookback_stateEbbT6_jjT7_P12ihipStream_tbENKUlT_T0_SK_SP_E_clIPjSE_SF_SF_EEDaS13_S14_SK_SP_EUlS13_E_NS1_11comp_targetILNS1_3genE8ELNS1_11target_archE1030ELNS1_3gpuE2ELNS1_3repE0EEENS1_47radix_sort_onesweep_sort_config_static_selectorELNS0_4arch9wavefront6targetE1EEEvSK_
	.p2align	8
	.type	_ZN7rocprim17ROCPRIM_400000_NS6detail17trampoline_kernelINS0_14default_configENS1_35radix_sort_onesweep_config_selectorIjNS0_10empty_typeEEEZZNS1_29radix_sort_onesweep_iterationIS3_Lb0EN6thrust23THRUST_200600_302600_NS6detail15normal_iteratorINS9_10device_ptrIjEEEESE_PS5_SF_jNS0_19identity_decomposerENS1_16block_id_wrapperIjLb0EEEEE10hipError_tT1_PNSt15iterator_traitsISK_E10value_typeET2_T3_PNSL_ISQ_E10value_typeET4_T5_PSV_SW_PNS1_23onesweep_lookback_stateEbbT6_jjT7_P12ihipStream_tbENKUlT_T0_SK_SP_E_clIPjSE_SF_SF_EEDaS13_S14_SK_SP_EUlS13_E_NS1_11comp_targetILNS1_3genE8ELNS1_11target_archE1030ELNS1_3gpuE2ELNS1_3repE0EEENS1_47radix_sort_onesweep_sort_config_static_selectorELNS0_4arch9wavefront6targetE1EEEvSK_,@function
_ZN7rocprim17ROCPRIM_400000_NS6detail17trampoline_kernelINS0_14default_configENS1_35radix_sort_onesweep_config_selectorIjNS0_10empty_typeEEEZZNS1_29radix_sort_onesweep_iterationIS3_Lb0EN6thrust23THRUST_200600_302600_NS6detail15normal_iteratorINS9_10device_ptrIjEEEESE_PS5_SF_jNS0_19identity_decomposerENS1_16block_id_wrapperIjLb0EEEEE10hipError_tT1_PNSt15iterator_traitsISK_E10value_typeET2_T3_PNSL_ISQ_E10value_typeET4_T5_PSV_SW_PNS1_23onesweep_lookback_stateEbbT6_jjT7_P12ihipStream_tbENKUlT_T0_SK_SP_E_clIPjSE_SF_SF_EEDaS13_S14_SK_SP_EUlS13_E_NS1_11comp_targetILNS1_3genE8ELNS1_11target_archE1030ELNS1_3gpuE2ELNS1_3repE0EEENS1_47radix_sort_onesweep_sort_config_static_selectorELNS0_4arch9wavefront6targetE1EEEvSK_: ; @_ZN7rocprim17ROCPRIM_400000_NS6detail17trampoline_kernelINS0_14default_configENS1_35radix_sort_onesweep_config_selectorIjNS0_10empty_typeEEEZZNS1_29radix_sort_onesweep_iterationIS3_Lb0EN6thrust23THRUST_200600_302600_NS6detail15normal_iteratorINS9_10device_ptrIjEEEESE_PS5_SF_jNS0_19identity_decomposerENS1_16block_id_wrapperIjLb0EEEEE10hipError_tT1_PNSt15iterator_traitsISK_E10value_typeET2_T3_PNSL_ISQ_E10value_typeET4_T5_PSV_SW_PNS1_23onesweep_lookback_stateEbbT6_jjT7_P12ihipStream_tbENKUlT_T0_SK_SP_E_clIPjSE_SF_SF_EEDaS13_S14_SK_SP_EUlS13_E_NS1_11comp_targetILNS1_3genE8ELNS1_11target_archE1030ELNS1_3gpuE2ELNS1_3repE0EEENS1_47radix_sort_onesweep_sort_config_static_selectorELNS0_4arch9wavefront6targetE1EEEvSK_
; %bb.0:
	.section	.rodata,"a",@progbits
	.p2align	6, 0x0
	.amdhsa_kernel _ZN7rocprim17ROCPRIM_400000_NS6detail17trampoline_kernelINS0_14default_configENS1_35radix_sort_onesweep_config_selectorIjNS0_10empty_typeEEEZZNS1_29radix_sort_onesweep_iterationIS3_Lb0EN6thrust23THRUST_200600_302600_NS6detail15normal_iteratorINS9_10device_ptrIjEEEESE_PS5_SF_jNS0_19identity_decomposerENS1_16block_id_wrapperIjLb0EEEEE10hipError_tT1_PNSt15iterator_traitsISK_E10value_typeET2_T3_PNSL_ISQ_E10value_typeET4_T5_PSV_SW_PNS1_23onesweep_lookback_stateEbbT6_jjT7_P12ihipStream_tbENKUlT_T0_SK_SP_E_clIPjSE_SF_SF_EEDaS13_S14_SK_SP_EUlS13_E_NS1_11comp_targetILNS1_3genE8ELNS1_11target_archE1030ELNS1_3gpuE2ELNS1_3repE0EEENS1_47radix_sort_onesweep_sort_config_static_selectorELNS0_4arch9wavefront6targetE1EEEvSK_
		.amdhsa_group_segment_fixed_size 0
		.amdhsa_private_segment_fixed_size 0
		.amdhsa_kernarg_size 88
		.amdhsa_user_sgpr_count 6
		.amdhsa_user_sgpr_private_segment_buffer 1
		.amdhsa_user_sgpr_dispatch_ptr 0
		.amdhsa_user_sgpr_queue_ptr 0
		.amdhsa_user_sgpr_kernarg_segment_ptr 1
		.amdhsa_user_sgpr_dispatch_id 0
		.amdhsa_user_sgpr_flat_scratch_init 0
		.amdhsa_user_sgpr_kernarg_preload_length 0
		.amdhsa_user_sgpr_kernarg_preload_offset 0
		.amdhsa_user_sgpr_private_segment_size 0
		.amdhsa_uses_dynamic_stack 0
		.amdhsa_system_sgpr_private_segment_wavefront_offset 0
		.amdhsa_system_sgpr_workgroup_id_x 1
		.amdhsa_system_sgpr_workgroup_id_y 0
		.amdhsa_system_sgpr_workgroup_id_z 0
		.amdhsa_system_sgpr_workgroup_info 0
		.amdhsa_system_vgpr_workitem_id 0
		.amdhsa_next_free_vgpr 1
		.amdhsa_next_free_sgpr 0
		.amdhsa_accum_offset 4
		.amdhsa_reserve_vcc 0
		.amdhsa_reserve_flat_scratch 0
		.amdhsa_float_round_mode_32 0
		.amdhsa_float_round_mode_16_64 0
		.amdhsa_float_denorm_mode_32 3
		.amdhsa_float_denorm_mode_16_64 3
		.amdhsa_dx10_clamp 1
		.amdhsa_ieee_mode 1
		.amdhsa_fp16_overflow 0
		.amdhsa_tg_split 0
		.amdhsa_exception_fp_ieee_invalid_op 0
		.amdhsa_exception_fp_denorm_src 0
		.amdhsa_exception_fp_ieee_div_zero 0
		.amdhsa_exception_fp_ieee_overflow 0
		.amdhsa_exception_fp_ieee_underflow 0
		.amdhsa_exception_fp_ieee_inexact 0
		.amdhsa_exception_int_div_zero 0
	.end_amdhsa_kernel
	.section	.text._ZN7rocprim17ROCPRIM_400000_NS6detail17trampoline_kernelINS0_14default_configENS1_35radix_sort_onesweep_config_selectorIjNS0_10empty_typeEEEZZNS1_29radix_sort_onesweep_iterationIS3_Lb0EN6thrust23THRUST_200600_302600_NS6detail15normal_iteratorINS9_10device_ptrIjEEEESE_PS5_SF_jNS0_19identity_decomposerENS1_16block_id_wrapperIjLb0EEEEE10hipError_tT1_PNSt15iterator_traitsISK_E10value_typeET2_T3_PNSL_ISQ_E10value_typeET4_T5_PSV_SW_PNS1_23onesweep_lookback_stateEbbT6_jjT7_P12ihipStream_tbENKUlT_T0_SK_SP_E_clIPjSE_SF_SF_EEDaS13_S14_SK_SP_EUlS13_E_NS1_11comp_targetILNS1_3genE8ELNS1_11target_archE1030ELNS1_3gpuE2ELNS1_3repE0EEENS1_47radix_sort_onesweep_sort_config_static_selectorELNS0_4arch9wavefront6targetE1EEEvSK_,"axG",@progbits,_ZN7rocprim17ROCPRIM_400000_NS6detail17trampoline_kernelINS0_14default_configENS1_35radix_sort_onesweep_config_selectorIjNS0_10empty_typeEEEZZNS1_29radix_sort_onesweep_iterationIS3_Lb0EN6thrust23THRUST_200600_302600_NS6detail15normal_iteratorINS9_10device_ptrIjEEEESE_PS5_SF_jNS0_19identity_decomposerENS1_16block_id_wrapperIjLb0EEEEE10hipError_tT1_PNSt15iterator_traitsISK_E10value_typeET2_T3_PNSL_ISQ_E10value_typeET4_T5_PSV_SW_PNS1_23onesweep_lookback_stateEbbT6_jjT7_P12ihipStream_tbENKUlT_T0_SK_SP_E_clIPjSE_SF_SF_EEDaS13_S14_SK_SP_EUlS13_E_NS1_11comp_targetILNS1_3genE8ELNS1_11target_archE1030ELNS1_3gpuE2ELNS1_3repE0EEENS1_47radix_sort_onesweep_sort_config_static_selectorELNS0_4arch9wavefront6targetE1EEEvSK_,comdat
.Lfunc_end1154:
	.size	_ZN7rocprim17ROCPRIM_400000_NS6detail17trampoline_kernelINS0_14default_configENS1_35radix_sort_onesweep_config_selectorIjNS0_10empty_typeEEEZZNS1_29radix_sort_onesweep_iterationIS3_Lb0EN6thrust23THRUST_200600_302600_NS6detail15normal_iteratorINS9_10device_ptrIjEEEESE_PS5_SF_jNS0_19identity_decomposerENS1_16block_id_wrapperIjLb0EEEEE10hipError_tT1_PNSt15iterator_traitsISK_E10value_typeET2_T3_PNSL_ISQ_E10value_typeET4_T5_PSV_SW_PNS1_23onesweep_lookback_stateEbbT6_jjT7_P12ihipStream_tbENKUlT_T0_SK_SP_E_clIPjSE_SF_SF_EEDaS13_S14_SK_SP_EUlS13_E_NS1_11comp_targetILNS1_3genE8ELNS1_11target_archE1030ELNS1_3gpuE2ELNS1_3repE0EEENS1_47radix_sort_onesweep_sort_config_static_selectorELNS0_4arch9wavefront6targetE1EEEvSK_, .Lfunc_end1154-_ZN7rocprim17ROCPRIM_400000_NS6detail17trampoline_kernelINS0_14default_configENS1_35radix_sort_onesweep_config_selectorIjNS0_10empty_typeEEEZZNS1_29radix_sort_onesweep_iterationIS3_Lb0EN6thrust23THRUST_200600_302600_NS6detail15normal_iteratorINS9_10device_ptrIjEEEESE_PS5_SF_jNS0_19identity_decomposerENS1_16block_id_wrapperIjLb0EEEEE10hipError_tT1_PNSt15iterator_traitsISK_E10value_typeET2_T3_PNSL_ISQ_E10value_typeET4_T5_PSV_SW_PNS1_23onesweep_lookback_stateEbbT6_jjT7_P12ihipStream_tbENKUlT_T0_SK_SP_E_clIPjSE_SF_SF_EEDaS13_S14_SK_SP_EUlS13_E_NS1_11comp_targetILNS1_3genE8ELNS1_11target_archE1030ELNS1_3gpuE2ELNS1_3repE0EEENS1_47radix_sort_onesweep_sort_config_static_selectorELNS0_4arch9wavefront6targetE1EEEvSK_
                                        ; -- End function
	.section	.AMDGPU.csdata,"",@progbits
; Kernel info:
; codeLenInByte = 0
; NumSgprs: 4
; NumVgprs: 0
; NumAgprs: 0
; TotalNumVgprs: 0
; ScratchSize: 0
; MemoryBound: 0
; FloatMode: 240
; IeeeMode: 1
; LDSByteSize: 0 bytes/workgroup (compile time only)
; SGPRBlocks: 0
; VGPRBlocks: 0
; NumSGPRsForWavesPerEU: 4
; NumVGPRsForWavesPerEU: 1
; AccumOffset: 4
; Occupancy: 8
; WaveLimiterHint : 0
; COMPUTE_PGM_RSRC2:SCRATCH_EN: 0
; COMPUTE_PGM_RSRC2:USER_SGPR: 6
; COMPUTE_PGM_RSRC2:TRAP_HANDLER: 0
; COMPUTE_PGM_RSRC2:TGID_X_EN: 1
; COMPUTE_PGM_RSRC2:TGID_Y_EN: 0
; COMPUTE_PGM_RSRC2:TGID_Z_EN: 0
; COMPUTE_PGM_RSRC2:TIDIG_COMP_CNT: 0
; COMPUTE_PGM_RSRC3_GFX90A:ACCUM_OFFSET: 0
; COMPUTE_PGM_RSRC3_GFX90A:TG_SPLIT: 0
	.section	.text._ZN6thrust23THRUST_200600_302600_NS11hip_rocprim14__parallel_for6kernelILj256ENS1_20__uninitialized_copy7functorINS0_6detail15normal_iteratorINS0_10device_ptrItEEEENS7_INS0_7pointerItNS1_3tagENS0_11use_defaultESD_EEEEEElLj1EEEvT0_T1_SI_,"axG",@progbits,_ZN6thrust23THRUST_200600_302600_NS11hip_rocprim14__parallel_for6kernelILj256ENS1_20__uninitialized_copy7functorINS0_6detail15normal_iteratorINS0_10device_ptrItEEEENS7_INS0_7pointerItNS1_3tagENS0_11use_defaultESD_EEEEEElLj1EEEvT0_T1_SI_,comdat
	.protected	_ZN6thrust23THRUST_200600_302600_NS11hip_rocprim14__parallel_for6kernelILj256ENS1_20__uninitialized_copy7functorINS0_6detail15normal_iteratorINS0_10device_ptrItEEEENS7_INS0_7pointerItNS1_3tagENS0_11use_defaultESD_EEEEEElLj1EEEvT0_T1_SI_ ; -- Begin function _ZN6thrust23THRUST_200600_302600_NS11hip_rocprim14__parallel_for6kernelILj256ENS1_20__uninitialized_copy7functorINS0_6detail15normal_iteratorINS0_10device_ptrItEEEENS7_INS0_7pointerItNS1_3tagENS0_11use_defaultESD_EEEEEElLj1EEEvT0_T1_SI_
	.globl	_ZN6thrust23THRUST_200600_302600_NS11hip_rocprim14__parallel_for6kernelILj256ENS1_20__uninitialized_copy7functorINS0_6detail15normal_iteratorINS0_10device_ptrItEEEENS7_INS0_7pointerItNS1_3tagENS0_11use_defaultESD_EEEEEElLj1EEEvT0_T1_SI_
	.p2align	8
	.type	_ZN6thrust23THRUST_200600_302600_NS11hip_rocprim14__parallel_for6kernelILj256ENS1_20__uninitialized_copy7functorINS0_6detail15normal_iteratorINS0_10device_ptrItEEEENS7_INS0_7pointerItNS1_3tagENS0_11use_defaultESD_EEEEEElLj1EEEvT0_T1_SI_,@function
_ZN6thrust23THRUST_200600_302600_NS11hip_rocprim14__parallel_for6kernelILj256ENS1_20__uninitialized_copy7functorINS0_6detail15normal_iteratorINS0_10device_ptrItEEEENS7_INS0_7pointerItNS1_3tagENS0_11use_defaultESD_EEEEEElLj1EEEvT0_T1_SI_: ; @_ZN6thrust23THRUST_200600_302600_NS11hip_rocprim14__parallel_for6kernelILj256ENS1_20__uninitialized_copy7functorINS0_6detail15normal_iteratorINS0_10device_ptrItEEEENS7_INS0_7pointerItNS1_3tagENS0_11use_defaultESD_EEEEEElLj1EEEvT0_T1_SI_
; %bb.0:
	s_load_dwordx8 s[8:15], s[4:5], 0x0
	s_lshl_b32 s0, s6, 8
	v_mov_b32_e32 v2, 0x100
	v_mov_b32_e32 v3, 0
	s_waitcnt lgkmcnt(0)
	s_add_u32 s6, s0, s14
	s_addc_u32 s7, 0, s15
	s_sub_u32 s0, s12, s6
	s_subb_u32 s1, s13, s7
	v_cmp_lt_i64_e32 vcc, s[0:1], v[2:3]
	s_and_b64 s[2:3], vcc, exec
	s_cselect_b32 s0, s0, 0x100
	s_cmpk_lg_i32 s0, 0x100
	s_cbranch_scc0 .LBB1155_4
; %bb.1:
	v_cmp_gt_u32_e32 vcc, s0, v0
	s_mov_b64 s[2:3], 0
	s_mov_b64 s[0:1], 0
                                        ; implicit-def: $vgpr2_vgpr3
                                        ; implicit-def: $vgpr4_vgpr5
	s_and_saveexec_b64 s[4:5], vcc
	s_xor_b64 s[4:5], exec, s[4:5]
; %bb.2:
	v_mov_b32_e32 v1, s7
	v_add_co_u32_e32 v2, vcc, s6, v0
	v_addc_co_u32_e32 v3, vcc, 0, v1, vcc
	v_lshlrev_b64 v[4:5], 1, v[2:3]
	v_mov_b32_e32 v1, s11
	v_add_co_u32_e32 v2, vcc, s10, v4
	v_addc_co_u32_e32 v3, vcc, v1, v5, vcc
	v_mov_b32_e32 v1, s9
	v_add_co_u32_e32 v4, vcc, s8, v4
	s_mov_b64 s[0:1], exec
	v_addc_co_u32_e32 v5, vcc, v1, v5, vcc
; %bb.3:
	s_or_b64 exec, exec, s[4:5]
	s_and_b64 vcc, exec, s[2:3]
	s_cbranch_vccnz .LBB1155_5
	s_branch .LBB1155_6
.LBB1155_4:
	s_mov_b64 s[0:1], 0
                                        ; implicit-def: $vgpr2_vgpr3
                                        ; implicit-def: $vgpr4_vgpr5
	s_cbranch_execz .LBB1155_6
.LBB1155_5:
	v_mov_b32_e32 v1, s7
	v_add_co_u32_e32 v0, vcc, s6, v0
	v_addc_co_u32_e32 v1, vcc, 0, v1, vcc
	v_lshlrev_b64 v[0:1], 1, v[0:1]
	v_mov_b32_e32 v2, s9
	v_add_co_u32_e32 v4, vcc, s8, v0
	v_addc_co_u32_e32 v5, vcc, v2, v1, vcc
	v_mov_b32_e32 v3, s11
	v_add_co_u32_e32 v2, vcc, s10, v0
	v_addc_co_u32_e32 v3, vcc, v3, v1, vcc
	s_or_b64 s[0:1], s[0:1], exec
.LBB1155_6:
	s_and_saveexec_b64 s[2:3], s[0:1]
	s_cbranch_execnz .LBB1155_8
; %bb.7:
	s_endpgm
.LBB1155_8:
	flat_load_ushort v0, v[4:5]
	s_waitcnt vmcnt(0) lgkmcnt(0)
	flat_store_short v[2:3], v0
	s_endpgm
	.section	.rodata,"a",@progbits
	.p2align	6, 0x0
	.amdhsa_kernel _ZN6thrust23THRUST_200600_302600_NS11hip_rocprim14__parallel_for6kernelILj256ENS1_20__uninitialized_copy7functorINS0_6detail15normal_iteratorINS0_10device_ptrItEEEENS7_INS0_7pointerItNS1_3tagENS0_11use_defaultESD_EEEEEElLj1EEEvT0_T1_SI_
		.amdhsa_group_segment_fixed_size 0
		.amdhsa_private_segment_fixed_size 0
		.amdhsa_kernarg_size 32
		.amdhsa_user_sgpr_count 6
		.amdhsa_user_sgpr_private_segment_buffer 1
		.amdhsa_user_sgpr_dispatch_ptr 0
		.amdhsa_user_sgpr_queue_ptr 0
		.amdhsa_user_sgpr_kernarg_segment_ptr 1
		.amdhsa_user_sgpr_dispatch_id 0
		.amdhsa_user_sgpr_flat_scratch_init 0
		.amdhsa_user_sgpr_kernarg_preload_length 0
		.amdhsa_user_sgpr_kernarg_preload_offset 0
		.amdhsa_user_sgpr_private_segment_size 0
		.amdhsa_uses_dynamic_stack 0
		.amdhsa_system_sgpr_private_segment_wavefront_offset 0
		.amdhsa_system_sgpr_workgroup_id_x 1
		.amdhsa_system_sgpr_workgroup_id_y 0
		.amdhsa_system_sgpr_workgroup_id_z 0
		.amdhsa_system_sgpr_workgroup_info 0
		.amdhsa_system_vgpr_workitem_id 0
		.amdhsa_next_free_vgpr 6
		.amdhsa_next_free_sgpr 16
		.amdhsa_accum_offset 8
		.amdhsa_reserve_vcc 1
		.amdhsa_reserve_flat_scratch 0
		.amdhsa_float_round_mode_32 0
		.amdhsa_float_round_mode_16_64 0
		.amdhsa_float_denorm_mode_32 3
		.amdhsa_float_denorm_mode_16_64 3
		.amdhsa_dx10_clamp 1
		.amdhsa_ieee_mode 1
		.amdhsa_fp16_overflow 0
		.amdhsa_tg_split 0
		.amdhsa_exception_fp_ieee_invalid_op 0
		.amdhsa_exception_fp_denorm_src 0
		.amdhsa_exception_fp_ieee_div_zero 0
		.amdhsa_exception_fp_ieee_overflow 0
		.amdhsa_exception_fp_ieee_underflow 0
		.amdhsa_exception_fp_ieee_inexact 0
		.amdhsa_exception_int_div_zero 0
	.end_amdhsa_kernel
	.section	.text._ZN6thrust23THRUST_200600_302600_NS11hip_rocprim14__parallel_for6kernelILj256ENS1_20__uninitialized_copy7functorINS0_6detail15normal_iteratorINS0_10device_ptrItEEEENS7_INS0_7pointerItNS1_3tagENS0_11use_defaultESD_EEEEEElLj1EEEvT0_T1_SI_,"axG",@progbits,_ZN6thrust23THRUST_200600_302600_NS11hip_rocprim14__parallel_for6kernelILj256ENS1_20__uninitialized_copy7functorINS0_6detail15normal_iteratorINS0_10device_ptrItEEEENS7_INS0_7pointerItNS1_3tagENS0_11use_defaultESD_EEEEEElLj1EEEvT0_T1_SI_,comdat
.Lfunc_end1155:
	.size	_ZN6thrust23THRUST_200600_302600_NS11hip_rocprim14__parallel_for6kernelILj256ENS1_20__uninitialized_copy7functorINS0_6detail15normal_iteratorINS0_10device_ptrItEEEENS7_INS0_7pointerItNS1_3tagENS0_11use_defaultESD_EEEEEElLj1EEEvT0_T1_SI_, .Lfunc_end1155-_ZN6thrust23THRUST_200600_302600_NS11hip_rocprim14__parallel_for6kernelILj256ENS1_20__uninitialized_copy7functorINS0_6detail15normal_iteratorINS0_10device_ptrItEEEENS7_INS0_7pointerItNS1_3tagENS0_11use_defaultESD_EEEEEElLj1EEEvT0_T1_SI_
                                        ; -- End function
	.section	.AMDGPU.csdata,"",@progbits
; Kernel info:
; codeLenInByte = 244
; NumSgprs: 20
; NumVgprs: 6
; NumAgprs: 0
; TotalNumVgprs: 6
; ScratchSize: 0
; MemoryBound: 0
; FloatMode: 240
; IeeeMode: 1
; LDSByteSize: 0 bytes/workgroup (compile time only)
; SGPRBlocks: 2
; VGPRBlocks: 0
; NumSGPRsForWavesPerEU: 20
; NumVGPRsForWavesPerEU: 6
; AccumOffset: 8
; Occupancy: 8
; WaveLimiterHint : 0
; COMPUTE_PGM_RSRC2:SCRATCH_EN: 0
; COMPUTE_PGM_RSRC2:USER_SGPR: 6
; COMPUTE_PGM_RSRC2:TRAP_HANDLER: 0
; COMPUTE_PGM_RSRC2:TGID_X_EN: 1
; COMPUTE_PGM_RSRC2:TGID_Y_EN: 0
; COMPUTE_PGM_RSRC2:TGID_Z_EN: 0
; COMPUTE_PGM_RSRC2:TIDIG_COMP_CNT: 0
; COMPUTE_PGM_RSRC3_GFX90A:ACCUM_OFFSET: 1
; COMPUTE_PGM_RSRC3_GFX90A:TG_SPLIT: 0
	.section	.text._ZN7rocprim17ROCPRIM_400000_NS6detail17trampoline_kernelINS0_14default_configENS1_25partition_config_selectorILNS1_17partition_subalgoE3EtNS0_10empty_typeEbEEZZNS1_14partition_implILS5_3ELb0ES3_jN6thrust23THRUST_200600_302600_NS6detail15normal_iteratorINSA_7pointerItNSA_11hip_rocprim3tagENSA_11use_defaultESG_EEEEPS6_SJ_NS0_5tupleIJPtSJ_EEENSK_IJSJ_SJ_EEES6_PlJ7is_evenItEEEE10hipError_tPvRmT3_T4_T5_T6_T7_T9_mT8_P12ihipStream_tbDpT10_ENKUlT_T0_E_clISt17integral_constantIbLb0EES1A_EEDaS15_S16_EUlS15_E_NS1_11comp_targetILNS1_3genE0ELNS1_11target_archE4294967295ELNS1_3gpuE0ELNS1_3repE0EEENS1_30default_config_static_selectorELNS0_4arch9wavefront6targetE1EEEvT1_,"axG",@progbits,_ZN7rocprim17ROCPRIM_400000_NS6detail17trampoline_kernelINS0_14default_configENS1_25partition_config_selectorILNS1_17partition_subalgoE3EtNS0_10empty_typeEbEEZZNS1_14partition_implILS5_3ELb0ES3_jN6thrust23THRUST_200600_302600_NS6detail15normal_iteratorINSA_7pointerItNSA_11hip_rocprim3tagENSA_11use_defaultESG_EEEEPS6_SJ_NS0_5tupleIJPtSJ_EEENSK_IJSJ_SJ_EEES6_PlJ7is_evenItEEEE10hipError_tPvRmT3_T4_T5_T6_T7_T9_mT8_P12ihipStream_tbDpT10_ENKUlT_T0_E_clISt17integral_constantIbLb0EES1A_EEDaS15_S16_EUlS15_E_NS1_11comp_targetILNS1_3genE0ELNS1_11target_archE4294967295ELNS1_3gpuE0ELNS1_3repE0EEENS1_30default_config_static_selectorELNS0_4arch9wavefront6targetE1EEEvT1_,comdat
	.protected	_ZN7rocprim17ROCPRIM_400000_NS6detail17trampoline_kernelINS0_14default_configENS1_25partition_config_selectorILNS1_17partition_subalgoE3EtNS0_10empty_typeEbEEZZNS1_14partition_implILS5_3ELb0ES3_jN6thrust23THRUST_200600_302600_NS6detail15normal_iteratorINSA_7pointerItNSA_11hip_rocprim3tagENSA_11use_defaultESG_EEEEPS6_SJ_NS0_5tupleIJPtSJ_EEENSK_IJSJ_SJ_EEES6_PlJ7is_evenItEEEE10hipError_tPvRmT3_T4_T5_T6_T7_T9_mT8_P12ihipStream_tbDpT10_ENKUlT_T0_E_clISt17integral_constantIbLb0EES1A_EEDaS15_S16_EUlS15_E_NS1_11comp_targetILNS1_3genE0ELNS1_11target_archE4294967295ELNS1_3gpuE0ELNS1_3repE0EEENS1_30default_config_static_selectorELNS0_4arch9wavefront6targetE1EEEvT1_ ; -- Begin function _ZN7rocprim17ROCPRIM_400000_NS6detail17trampoline_kernelINS0_14default_configENS1_25partition_config_selectorILNS1_17partition_subalgoE3EtNS0_10empty_typeEbEEZZNS1_14partition_implILS5_3ELb0ES3_jN6thrust23THRUST_200600_302600_NS6detail15normal_iteratorINSA_7pointerItNSA_11hip_rocprim3tagENSA_11use_defaultESG_EEEEPS6_SJ_NS0_5tupleIJPtSJ_EEENSK_IJSJ_SJ_EEES6_PlJ7is_evenItEEEE10hipError_tPvRmT3_T4_T5_T6_T7_T9_mT8_P12ihipStream_tbDpT10_ENKUlT_T0_E_clISt17integral_constantIbLb0EES1A_EEDaS15_S16_EUlS15_E_NS1_11comp_targetILNS1_3genE0ELNS1_11target_archE4294967295ELNS1_3gpuE0ELNS1_3repE0EEENS1_30default_config_static_selectorELNS0_4arch9wavefront6targetE1EEEvT1_
	.globl	_ZN7rocprim17ROCPRIM_400000_NS6detail17trampoline_kernelINS0_14default_configENS1_25partition_config_selectorILNS1_17partition_subalgoE3EtNS0_10empty_typeEbEEZZNS1_14partition_implILS5_3ELb0ES3_jN6thrust23THRUST_200600_302600_NS6detail15normal_iteratorINSA_7pointerItNSA_11hip_rocprim3tagENSA_11use_defaultESG_EEEEPS6_SJ_NS0_5tupleIJPtSJ_EEENSK_IJSJ_SJ_EEES6_PlJ7is_evenItEEEE10hipError_tPvRmT3_T4_T5_T6_T7_T9_mT8_P12ihipStream_tbDpT10_ENKUlT_T0_E_clISt17integral_constantIbLb0EES1A_EEDaS15_S16_EUlS15_E_NS1_11comp_targetILNS1_3genE0ELNS1_11target_archE4294967295ELNS1_3gpuE0ELNS1_3repE0EEENS1_30default_config_static_selectorELNS0_4arch9wavefront6targetE1EEEvT1_
	.p2align	8
	.type	_ZN7rocprim17ROCPRIM_400000_NS6detail17trampoline_kernelINS0_14default_configENS1_25partition_config_selectorILNS1_17partition_subalgoE3EtNS0_10empty_typeEbEEZZNS1_14partition_implILS5_3ELb0ES3_jN6thrust23THRUST_200600_302600_NS6detail15normal_iteratorINSA_7pointerItNSA_11hip_rocprim3tagENSA_11use_defaultESG_EEEEPS6_SJ_NS0_5tupleIJPtSJ_EEENSK_IJSJ_SJ_EEES6_PlJ7is_evenItEEEE10hipError_tPvRmT3_T4_T5_T6_T7_T9_mT8_P12ihipStream_tbDpT10_ENKUlT_T0_E_clISt17integral_constantIbLb0EES1A_EEDaS15_S16_EUlS15_E_NS1_11comp_targetILNS1_3genE0ELNS1_11target_archE4294967295ELNS1_3gpuE0ELNS1_3repE0EEENS1_30default_config_static_selectorELNS0_4arch9wavefront6targetE1EEEvT1_,@function
_ZN7rocprim17ROCPRIM_400000_NS6detail17trampoline_kernelINS0_14default_configENS1_25partition_config_selectorILNS1_17partition_subalgoE3EtNS0_10empty_typeEbEEZZNS1_14partition_implILS5_3ELb0ES3_jN6thrust23THRUST_200600_302600_NS6detail15normal_iteratorINSA_7pointerItNSA_11hip_rocprim3tagENSA_11use_defaultESG_EEEEPS6_SJ_NS0_5tupleIJPtSJ_EEENSK_IJSJ_SJ_EEES6_PlJ7is_evenItEEEE10hipError_tPvRmT3_T4_T5_T6_T7_T9_mT8_P12ihipStream_tbDpT10_ENKUlT_T0_E_clISt17integral_constantIbLb0EES1A_EEDaS15_S16_EUlS15_E_NS1_11comp_targetILNS1_3genE0ELNS1_11target_archE4294967295ELNS1_3gpuE0ELNS1_3repE0EEENS1_30default_config_static_selectorELNS0_4arch9wavefront6targetE1EEEvT1_: ; @_ZN7rocprim17ROCPRIM_400000_NS6detail17trampoline_kernelINS0_14default_configENS1_25partition_config_selectorILNS1_17partition_subalgoE3EtNS0_10empty_typeEbEEZZNS1_14partition_implILS5_3ELb0ES3_jN6thrust23THRUST_200600_302600_NS6detail15normal_iteratorINSA_7pointerItNSA_11hip_rocprim3tagENSA_11use_defaultESG_EEEEPS6_SJ_NS0_5tupleIJPtSJ_EEENSK_IJSJ_SJ_EEES6_PlJ7is_evenItEEEE10hipError_tPvRmT3_T4_T5_T6_T7_T9_mT8_P12ihipStream_tbDpT10_ENKUlT_T0_E_clISt17integral_constantIbLb0EES1A_EEDaS15_S16_EUlS15_E_NS1_11comp_targetILNS1_3genE0ELNS1_11target_archE4294967295ELNS1_3gpuE0ELNS1_3repE0EEENS1_30default_config_static_selectorELNS0_4arch9wavefront6targetE1EEEvT1_
; %bb.0:
	.section	.rodata,"a",@progbits
	.p2align	6, 0x0
	.amdhsa_kernel _ZN7rocprim17ROCPRIM_400000_NS6detail17trampoline_kernelINS0_14default_configENS1_25partition_config_selectorILNS1_17partition_subalgoE3EtNS0_10empty_typeEbEEZZNS1_14partition_implILS5_3ELb0ES3_jN6thrust23THRUST_200600_302600_NS6detail15normal_iteratorINSA_7pointerItNSA_11hip_rocprim3tagENSA_11use_defaultESG_EEEEPS6_SJ_NS0_5tupleIJPtSJ_EEENSK_IJSJ_SJ_EEES6_PlJ7is_evenItEEEE10hipError_tPvRmT3_T4_T5_T6_T7_T9_mT8_P12ihipStream_tbDpT10_ENKUlT_T0_E_clISt17integral_constantIbLb0EES1A_EEDaS15_S16_EUlS15_E_NS1_11comp_targetILNS1_3genE0ELNS1_11target_archE4294967295ELNS1_3gpuE0ELNS1_3repE0EEENS1_30default_config_static_selectorELNS0_4arch9wavefront6targetE1EEEvT1_
		.amdhsa_group_segment_fixed_size 0
		.amdhsa_private_segment_fixed_size 0
		.amdhsa_kernarg_size 120
		.amdhsa_user_sgpr_count 6
		.amdhsa_user_sgpr_private_segment_buffer 1
		.amdhsa_user_sgpr_dispatch_ptr 0
		.amdhsa_user_sgpr_queue_ptr 0
		.amdhsa_user_sgpr_kernarg_segment_ptr 1
		.amdhsa_user_sgpr_dispatch_id 0
		.amdhsa_user_sgpr_flat_scratch_init 0
		.amdhsa_user_sgpr_kernarg_preload_length 0
		.amdhsa_user_sgpr_kernarg_preload_offset 0
		.amdhsa_user_sgpr_private_segment_size 0
		.amdhsa_uses_dynamic_stack 0
		.amdhsa_system_sgpr_private_segment_wavefront_offset 0
		.amdhsa_system_sgpr_workgroup_id_x 1
		.amdhsa_system_sgpr_workgroup_id_y 0
		.amdhsa_system_sgpr_workgroup_id_z 0
		.amdhsa_system_sgpr_workgroup_info 0
		.amdhsa_system_vgpr_workitem_id 0
		.amdhsa_next_free_vgpr 1
		.amdhsa_next_free_sgpr 0
		.amdhsa_accum_offset 4
		.amdhsa_reserve_vcc 0
		.amdhsa_reserve_flat_scratch 0
		.amdhsa_float_round_mode_32 0
		.amdhsa_float_round_mode_16_64 0
		.amdhsa_float_denorm_mode_32 3
		.amdhsa_float_denorm_mode_16_64 3
		.amdhsa_dx10_clamp 1
		.amdhsa_ieee_mode 1
		.amdhsa_fp16_overflow 0
		.amdhsa_tg_split 0
		.amdhsa_exception_fp_ieee_invalid_op 0
		.amdhsa_exception_fp_denorm_src 0
		.amdhsa_exception_fp_ieee_div_zero 0
		.amdhsa_exception_fp_ieee_overflow 0
		.amdhsa_exception_fp_ieee_underflow 0
		.amdhsa_exception_fp_ieee_inexact 0
		.amdhsa_exception_int_div_zero 0
	.end_amdhsa_kernel
	.section	.text._ZN7rocprim17ROCPRIM_400000_NS6detail17trampoline_kernelINS0_14default_configENS1_25partition_config_selectorILNS1_17partition_subalgoE3EtNS0_10empty_typeEbEEZZNS1_14partition_implILS5_3ELb0ES3_jN6thrust23THRUST_200600_302600_NS6detail15normal_iteratorINSA_7pointerItNSA_11hip_rocprim3tagENSA_11use_defaultESG_EEEEPS6_SJ_NS0_5tupleIJPtSJ_EEENSK_IJSJ_SJ_EEES6_PlJ7is_evenItEEEE10hipError_tPvRmT3_T4_T5_T6_T7_T9_mT8_P12ihipStream_tbDpT10_ENKUlT_T0_E_clISt17integral_constantIbLb0EES1A_EEDaS15_S16_EUlS15_E_NS1_11comp_targetILNS1_3genE0ELNS1_11target_archE4294967295ELNS1_3gpuE0ELNS1_3repE0EEENS1_30default_config_static_selectorELNS0_4arch9wavefront6targetE1EEEvT1_,"axG",@progbits,_ZN7rocprim17ROCPRIM_400000_NS6detail17trampoline_kernelINS0_14default_configENS1_25partition_config_selectorILNS1_17partition_subalgoE3EtNS0_10empty_typeEbEEZZNS1_14partition_implILS5_3ELb0ES3_jN6thrust23THRUST_200600_302600_NS6detail15normal_iteratorINSA_7pointerItNSA_11hip_rocprim3tagENSA_11use_defaultESG_EEEEPS6_SJ_NS0_5tupleIJPtSJ_EEENSK_IJSJ_SJ_EEES6_PlJ7is_evenItEEEE10hipError_tPvRmT3_T4_T5_T6_T7_T9_mT8_P12ihipStream_tbDpT10_ENKUlT_T0_E_clISt17integral_constantIbLb0EES1A_EEDaS15_S16_EUlS15_E_NS1_11comp_targetILNS1_3genE0ELNS1_11target_archE4294967295ELNS1_3gpuE0ELNS1_3repE0EEENS1_30default_config_static_selectorELNS0_4arch9wavefront6targetE1EEEvT1_,comdat
.Lfunc_end1156:
	.size	_ZN7rocprim17ROCPRIM_400000_NS6detail17trampoline_kernelINS0_14default_configENS1_25partition_config_selectorILNS1_17partition_subalgoE3EtNS0_10empty_typeEbEEZZNS1_14partition_implILS5_3ELb0ES3_jN6thrust23THRUST_200600_302600_NS6detail15normal_iteratorINSA_7pointerItNSA_11hip_rocprim3tagENSA_11use_defaultESG_EEEEPS6_SJ_NS0_5tupleIJPtSJ_EEENSK_IJSJ_SJ_EEES6_PlJ7is_evenItEEEE10hipError_tPvRmT3_T4_T5_T6_T7_T9_mT8_P12ihipStream_tbDpT10_ENKUlT_T0_E_clISt17integral_constantIbLb0EES1A_EEDaS15_S16_EUlS15_E_NS1_11comp_targetILNS1_3genE0ELNS1_11target_archE4294967295ELNS1_3gpuE0ELNS1_3repE0EEENS1_30default_config_static_selectorELNS0_4arch9wavefront6targetE1EEEvT1_, .Lfunc_end1156-_ZN7rocprim17ROCPRIM_400000_NS6detail17trampoline_kernelINS0_14default_configENS1_25partition_config_selectorILNS1_17partition_subalgoE3EtNS0_10empty_typeEbEEZZNS1_14partition_implILS5_3ELb0ES3_jN6thrust23THRUST_200600_302600_NS6detail15normal_iteratorINSA_7pointerItNSA_11hip_rocprim3tagENSA_11use_defaultESG_EEEEPS6_SJ_NS0_5tupleIJPtSJ_EEENSK_IJSJ_SJ_EEES6_PlJ7is_evenItEEEE10hipError_tPvRmT3_T4_T5_T6_T7_T9_mT8_P12ihipStream_tbDpT10_ENKUlT_T0_E_clISt17integral_constantIbLb0EES1A_EEDaS15_S16_EUlS15_E_NS1_11comp_targetILNS1_3genE0ELNS1_11target_archE4294967295ELNS1_3gpuE0ELNS1_3repE0EEENS1_30default_config_static_selectorELNS0_4arch9wavefront6targetE1EEEvT1_
                                        ; -- End function
	.section	.AMDGPU.csdata,"",@progbits
; Kernel info:
; codeLenInByte = 0
; NumSgprs: 4
; NumVgprs: 0
; NumAgprs: 0
; TotalNumVgprs: 0
; ScratchSize: 0
; MemoryBound: 0
; FloatMode: 240
; IeeeMode: 1
; LDSByteSize: 0 bytes/workgroup (compile time only)
; SGPRBlocks: 0
; VGPRBlocks: 0
; NumSGPRsForWavesPerEU: 4
; NumVGPRsForWavesPerEU: 1
; AccumOffset: 4
; Occupancy: 8
; WaveLimiterHint : 0
; COMPUTE_PGM_RSRC2:SCRATCH_EN: 0
; COMPUTE_PGM_RSRC2:USER_SGPR: 6
; COMPUTE_PGM_RSRC2:TRAP_HANDLER: 0
; COMPUTE_PGM_RSRC2:TGID_X_EN: 1
; COMPUTE_PGM_RSRC2:TGID_Y_EN: 0
; COMPUTE_PGM_RSRC2:TGID_Z_EN: 0
; COMPUTE_PGM_RSRC2:TIDIG_COMP_CNT: 0
; COMPUTE_PGM_RSRC3_GFX90A:ACCUM_OFFSET: 0
; COMPUTE_PGM_RSRC3_GFX90A:TG_SPLIT: 0
	.section	.text._ZN7rocprim17ROCPRIM_400000_NS6detail17trampoline_kernelINS0_14default_configENS1_25partition_config_selectorILNS1_17partition_subalgoE3EtNS0_10empty_typeEbEEZZNS1_14partition_implILS5_3ELb0ES3_jN6thrust23THRUST_200600_302600_NS6detail15normal_iteratorINSA_7pointerItNSA_11hip_rocprim3tagENSA_11use_defaultESG_EEEEPS6_SJ_NS0_5tupleIJPtSJ_EEENSK_IJSJ_SJ_EEES6_PlJ7is_evenItEEEE10hipError_tPvRmT3_T4_T5_T6_T7_T9_mT8_P12ihipStream_tbDpT10_ENKUlT_T0_E_clISt17integral_constantIbLb0EES1A_EEDaS15_S16_EUlS15_E_NS1_11comp_targetILNS1_3genE5ELNS1_11target_archE942ELNS1_3gpuE9ELNS1_3repE0EEENS1_30default_config_static_selectorELNS0_4arch9wavefront6targetE1EEEvT1_,"axG",@progbits,_ZN7rocprim17ROCPRIM_400000_NS6detail17trampoline_kernelINS0_14default_configENS1_25partition_config_selectorILNS1_17partition_subalgoE3EtNS0_10empty_typeEbEEZZNS1_14partition_implILS5_3ELb0ES3_jN6thrust23THRUST_200600_302600_NS6detail15normal_iteratorINSA_7pointerItNSA_11hip_rocprim3tagENSA_11use_defaultESG_EEEEPS6_SJ_NS0_5tupleIJPtSJ_EEENSK_IJSJ_SJ_EEES6_PlJ7is_evenItEEEE10hipError_tPvRmT3_T4_T5_T6_T7_T9_mT8_P12ihipStream_tbDpT10_ENKUlT_T0_E_clISt17integral_constantIbLb0EES1A_EEDaS15_S16_EUlS15_E_NS1_11comp_targetILNS1_3genE5ELNS1_11target_archE942ELNS1_3gpuE9ELNS1_3repE0EEENS1_30default_config_static_selectorELNS0_4arch9wavefront6targetE1EEEvT1_,comdat
	.protected	_ZN7rocprim17ROCPRIM_400000_NS6detail17trampoline_kernelINS0_14default_configENS1_25partition_config_selectorILNS1_17partition_subalgoE3EtNS0_10empty_typeEbEEZZNS1_14partition_implILS5_3ELb0ES3_jN6thrust23THRUST_200600_302600_NS6detail15normal_iteratorINSA_7pointerItNSA_11hip_rocprim3tagENSA_11use_defaultESG_EEEEPS6_SJ_NS0_5tupleIJPtSJ_EEENSK_IJSJ_SJ_EEES6_PlJ7is_evenItEEEE10hipError_tPvRmT3_T4_T5_T6_T7_T9_mT8_P12ihipStream_tbDpT10_ENKUlT_T0_E_clISt17integral_constantIbLb0EES1A_EEDaS15_S16_EUlS15_E_NS1_11comp_targetILNS1_3genE5ELNS1_11target_archE942ELNS1_3gpuE9ELNS1_3repE0EEENS1_30default_config_static_selectorELNS0_4arch9wavefront6targetE1EEEvT1_ ; -- Begin function _ZN7rocprim17ROCPRIM_400000_NS6detail17trampoline_kernelINS0_14default_configENS1_25partition_config_selectorILNS1_17partition_subalgoE3EtNS0_10empty_typeEbEEZZNS1_14partition_implILS5_3ELb0ES3_jN6thrust23THRUST_200600_302600_NS6detail15normal_iteratorINSA_7pointerItNSA_11hip_rocprim3tagENSA_11use_defaultESG_EEEEPS6_SJ_NS0_5tupleIJPtSJ_EEENSK_IJSJ_SJ_EEES6_PlJ7is_evenItEEEE10hipError_tPvRmT3_T4_T5_T6_T7_T9_mT8_P12ihipStream_tbDpT10_ENKUlT_T0_E_clISt17integral_constantIbLb0EES1A_EEDaS15_S16_EUlS15_E_NS1_11comp_targetILNS1_3genE5ELNS1_11target_archE942ELNS1_3gpuE9ELNS1_3repE0EEENS1_30default_config_static_selectorELNS0_4arch9wavefront6targetE1EEEvT1_
	.globl	_ZN7rocprim17ROCPRIM_400000_NS6detail17trampoline_kernelINS0_14default_configENS1_25partition_config_selectorILNS1_17partition_subalgoE3EtNS0_10empty_typeEbEEZZNS1_14partition_implILS5_3ELb0ES3_jN6thrust23THRUST_200600_302600_NS6detail15normal_iteratorINSA_7pointerItNSA_11hip_rocprim3tagENSA_11use_defaultESG_EEEEPS6_SJ_NS0_5tupleIJPtSJ_EEENSK_IJSJ_SJ_EEES6_PlJ7is_evenItEEEE10hipError_tPvRmT3_T4_T5_T6_T7_T9_mT8_P12ihipStream_tbDpT10_ENKUlT_T0_E_clISt17integral_constantIbLb0EES1A_EEDaS15_S16_EUlS15_E_NS1_11comp_targetILNS1_3genE5ELNS1_11target_archE942ELNS1_3gpuE9ELNS1_3repE0EEENS1_30default_config_static_selectorELNS0_4arch9wavefront6targetE1EEEvT1_
	.p2align	8
	.type	_ZN7rocprim17ROCPRIM_400000_NS6detail17trampoline_kernelINS0_14default_configENS1_25partition_config_selectorILNS1_17partition_subalgoE3EtNS0_10empty_typeEbEEZZNS1_14partition_implILS5_3ELb0ES3_jN6thrust23THRUST_200600_302600_NS6detail15normal_iteratorINSA_7pointerItNSA_11hip_rocprim3tagENSA_11use_defaultESG_EEEEPS6_SJ_NS0_5tupleIJPtSJ_EEENSK_IJSJ_SJ_EEES6_PlJ7is_evenItEEEE10hipError_tPvRmT3_T4_T5_T6_T7_T9_mT8_P12ihipStream_tbDpT10_ENKUlT_T0_E_clISt17integral_constantIbLb0EES1A_EEDaS15_S16_EUlS15_E_NS1_11comp_targetILNS1_3genE5ELNS1_11target_archE942ELNS1_3gpuE9ELNS1_3repE0EEENS1_30default_config_static_selectorELNS0_4arch9wavefront6targetE1EEEvT1_,@function
_ZN7rocprim17ROCPRIM_400000_NS6detail17trampoline_kernelINS0_14default_configENS1_25partition_config_selectorILNS1_17partition_subalgoE3EtNS0_10empty_typeEbEEZZNS1_14partition_implILS5_3ELb0ES3_jN6thrust23THRUST_200600_302600_NS6detail15normal_iteratorINSA_7pointerItNSA_11hip_rocprim3tagENSA_11use_defaultESG_EEEEPS6_SJ_NS0_5tupleIJPtSJ_EEENSK_IJSJ_SJ_EEES6_PlJ7is_evenItEEEE10hipError_tPvRmT3_T4_T5_T6_T7_T9_mT8_P12ihipStream_tbDpT10_ENKUlT_T0_E_clISt17integral_constantIbLb0EES1A_EEDaS15_S16_EUlS15_E_NS1_11comp_targetILNS1_3genE5ELNS1_11target_archE942ELNS1_3gpuE9ELNS1_3repE0EEENS1_30default_config_static_selectorELNS0_4arch9wavefront6targetE1EEEvT1_: ; @_ZN7rocprim17ROCPRIM_400000_NS6detail17trampoline_kernelINS0_14default_configENS1_25partition_config_selectorILNS1_17partition_subalgoE3EtNS0_10empty_typeEbEEZZNS1_14partition_implILS5_3ELb0ES3_jN6thrust23THRUST_200600_302600_NS6detail15normal_iteratorINSA_7pointerItNSA_11hip_rocprim3tagENSA_11use_defaultESG_EEEEPS6_SJ_NS0_5tupleIJPtSJ_EEENSK_IJSJ_SJ_EEES6_PlJ7is_evenItEEEE10hipError_tPvRmT3_T4_T5_T6_T7_T9_mT8_P12ihipStream_tbDpT10_ENKUlT_T0_E_clISt17integral_constantIbLb0EES1A_EEDaS15_S16_EUlS15_E_NS1_11comp_targetILNS1_3genE5ELNS1_11target_archE942ELNS1_3gpuE9ELNS1_3repE0EEENS1_30default_config_static_selectorELNS0_4arch9wavefront6targetE1EEEvT1_
; %bb.0:
	.section	.rodata,"a",@progbits
	.p2align	6, 0x0
	.amdhsa_kernel _ZN7rocprim17ROCPRIM_400000_NS6detail17trampoline_kernelINS0_14default_configENS1_25partition_config_selectorILNS1_17partition_subalgoE3EtNS0_10empty_typeEbEEZZNS1_14partition_implILS5_3ELb0ES3_jN6thrust23THRUST_200600_302600_NS6detail15normal_iteratorINSA_7pointerItNSA_11hip_rocprim3tagENSA_11use_defaultESG_EEEEPS6_SJ_NS0_5tupleIJPtSJ_EEENSK_IJSJ_SJ_EEES6_PlJ7is_evenItEEEE10hipError_tPvRmT3_T4_T5_T6_T7_T9_mT8_P12ihipStream_tbDpT10_ENKUlT_T0_E_clISt17integral_constantIbLb0EES1A_EEDaS15_S16_EUlS15_E_NS1_11comp_targetILNS1_3genE5ELNS1_11target_archE942ELNS1_3gpuE9ELNS1_3repE0EEENS1_30default_config_static_selectorELNS0_4arch9wavefront6targetE1EEEvT1_
		.amdhsa_group_segment_fixed_size 0
		.amdhsa_private_segment_fixed_size 0
		.amdhsa_kernarg_size 120
		.amdhsa_user_sgpr_count 6
		.amdhsa_user_sgpr_private_segment_buffer 1
		.amdhsa_user_sgpr_dispatch_ptr 0
		.amdhsa_user_sgpr_queue_ptr 0
		.amdhsa_user_sgpr_kernarg_segment_ptr 1
		.amdhsa_user_sgpr_dispatch_id 0
		.amdhsa_user_sgpr_flat_scratch_init 0
		.amdhsa_user_sgpr_kernarg_preload_length 0
		.amdhsa_user_sgpr_kernarg_preload_offset 0
		.amdhsa_user_sgpr_private_segment_size 0
		.amdhsa_uses_dynamic_stack 0
		.amdhsa_system_sgpr_private_segment_wavefront_offset 0
		.amdhsa_system_sgpr_workgroup_id_x 1
		.amdhsa_system_sgpr_workgroup_id_y 0
		.amdhsa_system_sgpr_workgroup_id_z 0
		.amdhsa_system_sgpr_workgroup_info 0
		.amdhsa_system_vgpr_workitem_id 0
		.amdhsa_next_free_vgpr 1
		.amdhsa_next_free_sgpr 0
		.amdhsa_accum_offset 4
		.amdhsa_reserve_vcc 0
		.amdhsa_reserve_flat_scratch 0
		.amdhsa_float_round_mode_32 0
		.amdhsa_float_round_mode_16_64 0
		.amdhsa_float_denorm_mode_32 3
		.amdhsa_float_denorm_mode_16_64 3
		.amdhsa_dx10_clamp 1
		.amdhsa_ieee_mode 1
		.amdhsa_fp16_overflow 0
		.amdhsa_tg_split 0
		.amdhsa_exception_fp_ieee_invalid_op 0
		.amdhsa_exception_fp_denorm_src 0
		.amdhsa_exception_fp_ieee_div_zero 0
		.amdhsa_exception_fp_ieee_overflow 0
		.amdhsa_exception_fp_ieee_underflow 0
		.amdhsa_exception_fp_ieee_inexact 0
		.amdhsa_exception_int_div_zero 0
	.end_amdhsa_kernel
	.section	.text._ZN7rocprim17ROCPRIM_400000_NS6detail17trampoline_kernelINS0_14default_configENS1_25partition_config_selectorILNS1_17partition_subalgoE3EtNS0_10empty_typeEbEEZZNS1_14partition_implILS5_3ELb0ES3_jN6thrust23THRUST_200600_302600_NS6detail15normal_iteratorINSA_7pointerItNSA_11hip_rocprim3tagENSA_11use_defaultESG_EEEEPS6_SJ_NS0_5tupleIJPtSJ_EEENSK_IJSJ_SJ_EEES6_PlJ7is_evenItEEEE10hipError_tPvRmT3_T4_T5_T6_T7_T9_mT8_P12ihipStream_tbDpT10_ENKUlT_T0_E_clISt17integral_constantIbLb0EES1A_EEDaS15_S16_EUlS15_E_NS1_11comp_targetILNS1_3genE5ELNS1_11target_archE942ELNS1_3gpuE9ELNS1_3repE0EEENS1_30default_config_static_selectorELNS0_4arch9wavefront6targetE1EEEvT1_,"axG",@progbits,_ZN7rocprim17ROCPRIM_400000_NS6detail17trampoline_kernelINS0_14default_configENS1_25partition_config_selectorILNS1_17partition_subalgoE3EtNS0_10empty_typeEbEEZZNS1_14partition_implILS5_3ELb0ES3_jN6thrust23THRUST_200600_302600_NS6detail15normal_iteratorINSA_7pointerItNSA_11hip_rocprim3tagENSA_11use_defaultESG_EEEEPS6_SJ_NS0_5tupleIJPtSJ_EEENSK_IJSJ_SJ_EEES6_PlJ7is_evenItEEEE10hipError_tPvRmT3_T4_T5_T6_T7_T9_mT8_P12ihipStream_tbDpT10_ENKUlT_T0_E_clISt17integral_constantIbLb0EES1A_EEDaS15_S16_EUlS15_E_NS1_11comp_targetILNS1_3genE5ELNS1_11target_archE942ELNS1_3gpuE9ELNS1_3repE0EEENS1_30default_config_static_selectorELNS0_4arch9wavefront6targetE1EEEvT1_,comdat
.Lfunc_end1157:
	.size	_ZN7rocprim17ROCPRIM_400000_NS6detail17trampoline_kernelINS0_14default_configENS1_25partition_config_selectorILNS1_17partition_subalgoE3EtNS0_10empty_typeEbEEZZNS1_14partition_implILS5_3ELb0ES3_jN6thrust23THRUST_200600_302600_NS6detail15normal_iteratorINSA_7pointerItNSA_11hip_rocprim3tagENSA_11use_defaultESG_EEEEPS6_SJ_NS0_5tupleIJPtSJ_EEENSK_IJSJ_SJ_EEES6_PlJ7is_evenItEEEE10hipError_tPvRmT3_T4_T5_T6_T7_T9_mT8_P12ihipStream_tbDpT10_ENKUlT_T0_E_clISt17integral_constantIbLb0EES1A_EEDaS15_S16_EUlS15_E_NS1_11comp_targetILNS1_3genE5ELNS1_11target_archE942ELNS1_3gpuE9ELNS1_3repE0EEENS1_30default_config_static_selectorELNS0_4arch9wavefront6targetE1EEEvT1_, .Lfunc_end1157-_ZN7rocprim17ROCPRIM_400000_NS6detail17trampoline_kernelINS0_14default_configENS1_25partition_config_selectorILNS1_17partition_subalgoE3EtNS0_10empty_typeEbEEZZNS1_14partition_implILS5_3ELb0ES3_jN6thrust23THRUST_200600_302600_NS6detail15normal_iteratorINSA_7pointerItNSA_11hip_rocprim3tagENSA_11use_defaultESG_EEEEPS6_SJ_NS0_5tupleIJPtSJ_EEENSK_IJSJ_SJ_EEES6_PlJ7is_evenItEEEE10hipError_tPvRmT3_T4_T5_T6_T7_T9_mT8_P12ihipStream_tbDpT10_ENKUlT_T0_E_clISt17integral_constantIbLb0EES1A_EEDaS15_S16_EUlS15_E_NS1_11comp_targetILNS1_3genE5ELNS1_11target_archE942ELNS1_3gpuE9ELNS1_3repE0EEENS1_30default_config_static_selectorELNS0_4arch9wavefront6targetE1EEEvT1_
                                        ; -- End function
	.section	.AMDGPU.csdata,"",@progbits
; Kernel info:
; codeLenInByte = 0
; NumSgprs: 4
; NumVgprs: 0
; NumAgprs: 0
; TotalNumVgprs: 0
; ScratchSize: 0
; MemoryBound: 0
; FloatMode: 240
; IeeeMode: 1
; LDSByteSize: 0 bytes/workgroup (compile time only)
; SGPRBlocks: 0
; VGPRBlocks: 0
; NumSGPRsForWavesPerEU: 4
; NumVGPRsForWavesPerEU: 1
; AccumOffset: 4
; Occupancy: 8
; WaveLimiterHint : 0
; COMPUTE_PGM_RSRC2:SCRATCH_EN: 0
; COMPUTE_PGM_RSRC2:USER_SGPR: 6
; COMPUTE_PGM_RSRC2:TRAP_HANDLER: 0
; COMPUTE_PGM_RSRC2:TGID_X_EN: 1
; COMPUTE_PGM_RSRC2:TGID_Y_EN: 0
; COMPUTE_PGM_RSRC2:TGID_Z_EN: 0
; COMPUTE_PGM_RSRC2:TIDIG_COMP_CNT: 0
; COMPUTE_PGM_RSRC3_GFX90A:ACCUM_OFFSET: 0
; COMPUTE_PGM_RSRC3_GFX90A:TG_SPLIT: 0
	.section	.text._ZN7rocprim17ROCPRIM_400000_NS6detail17trampoline_kernelINS0_14default_configENS1_25partition_config_selectorILNS1_17partition_subalgoE3EtNS0_10empty_typeEbEEZZNS1_14partition_implILS5_3ELb0ES3_jN6thrust23THRUST_200600_302600_NS6detail15normal_iteratorINSA_7pointerItNSA_11hip_rocprim3tagENSA_11use_defaultESG_EEEEPS6_SJ_NS0_5tupleIJPtSJ_EEENSK_IJSJ_SJ_EEES6_PlJ7is_evenItEEEE10hipError_tPvRmT3_T4_T5_T6_T7_T9_mT8_P12ihipStream_tbDpT10_ENKUlT_T0_E_clISt17integral_constantIbLb0EES1A_EEDaS15_S16_EUlS15_E_NS1_11comp_targetILNS1_3genE4ELNS1_11target_archE910ELNS1_3gpuE8ELNS1_3repE0EEENS1_30default_config_static_selectorELNS0_4arch9wavefront6targetE1EEEvT1_,"axG",@progbits,_ZN7rocprim17ROCPRIM_400000_NS6detail17trampoline_kernelINS0_14default_configENS1_25partition_config_selectorILNS1_17partition_subalgoE3EtNS0_10empty_typeEbEEZZNS1_14partition_implILS5_3ELb0ES3_jN6thrust23THRUST_200600_302600_NS6detail15normal_iteratorINSA_7pointerItNSA_11hip_rocprim3tagENSA_11use_defaultESG_EEEEPS6_SJ_NS0_5tupleIJPtSJ_EEENSK_IJSJ_SJ_EEES6_PlJ7is_evenItEEEE10hipError_tPvRmT3_T4_T5_T6_T7_T9_mT8_P12ihipStream_tbDpT10_ENKUlT_T0_E_clISt17integral_constantIbLb0EES1A_EEDaS15_S16_EUlS15_E_NS1_11comp_targetILNS1_3genE4ELNS1_11target_archE910ELNS1_3gpuE8ELNS1_3repE0EEENS1_30default_config_static_selectorELNS0_4arch9wavefront6targetE1EEEvT1_,comdat
	.protected	_ZN7rocprim17ROCPRIM_400000_NS6detail17trampoline_kernelINS0_14default_configENS1_25partition_config_selectorILNS1_17partition_subalgoE3EtNS0_10empty_typeEbEEZZNS1_14partition_implILS5_3ELb0ES3_jN6thrust23THRUST_200600_302600_NS6detail15normal_iteratorINSA_7pointerItNSA_11hip_rocprim3tagENSA_11use_defaultESG_EEEEPS6_SJ_NS0_5tupleIJPtSJ_EEENSK_IJSJ_SJ_EEES6_PlJ7is_evenItEEEE10hipError_tPvRmT3_T4_T5_T6_T7_T9_mT8_P12ihipStream_tbDpT10_ENKUlT_T0_E_clISt17integral_constantIbLb0EES1A_EEDaS15_S16_EUlS15_E_NS1_11comp_targetILNS1_3genE4ELNS1_11target_archE910ELNS1_3gpuE8ELNS1_3repE0EEENS1_30default_config_static_selectorELNS0_4arch9wavefront6targetE1EEEvT1_ ; -- Begin function _ZN7rocprim17ROCPRIM_400000_NS6detail17trampoline_kernelINS0_14default_configENS1_25partition_config_selectorILNS1_17partition_subalgoE3EtNS0_10empty_typeEbEEZZNS1_14partition_implILS5_3ELb0ES3_jN6thrust23THRUST_200600_302600_NS6detail15normal_iteratorINSA_7pointerItNSA_11hip_rocprim3tagENSA_11use_defaultESG_EEEEPS6_SJ_NS0_5tupleIJPtSJ_EEENSK_IJSJ_SJ_EEES6_PlJ7is_evenItEEEE10hipError_tPvRmT3_T4_T5_T6_T7_T9_mT8_P12ihipStream_tbDpT10_ENKUlT_T0_E_clISt17integral_constantIbLb0EES1A_EEDaS15_S16_EUlS15_E_NS1_11comp_targetILNS1_3genE4ELNS1_11target_archE910ELNS1_3gpuE8ELNS1_3repE0EEENS1_30default_config_static_selectorELNS0_4arch9wavefront6targetE1EEEvT1_
	.globl	_ZN7rocprim17ROCPRIM_400000_NS6detail17trampoline_kernelINS0_14default_configENS1_25partition_config_selectorILNS1_17partition_subalgoE3EtNS0_10empty_typeEbEEZZNS1_14partition_implILS5_3ELb0ES3_jN6thrust23THRUST_200600_302600_NS6detail15normal_iteratorINSA_7pointerItNSA_11hip_rocprim3tagENSA_11use_defaultESG_EEEEPS6_SJ_NS0_5tupleIJPtSJ_EEENSK_IJSJ_SJ_EEES6_PlJ7is_evenItEEEE10hipError_tPvRmT3_T4_T5_T6_T7_T9_mT8_P12ihipStream_tbDpT10_ENKUlT_T0_E_clISt17integral_constantIbLb0EES1A_EEDaS15_S16_EUlS15_E_NS1_11comp_targetILNS1_3genE4ELNS1_11target_archE910ELNS1_3gpuE8ELNS1_3repE0EEENS1_30default_config_static_selectorELNS0_4arch9wavefront6targetE1EEEvT1_
	.p2align	8
	.type	_ZN7rocprim17ROCPRIM_400000_NS6detail17trampoline_kernelINS0_14default_configENS1_25partition_config_selectorILNS1_17partition_subalgoE3EtNS0_10empty_typeEbEEZZNS1_14partition_implILS5_3ELb0ES3_jN6thrust23THRUST_200600_302600_NS6detail15normal_iteratorINSA_7pointerItNSA_11hip_rocprim3tagENSA_11use_defaultESG_EEEEPS6_SJ_NS0_5tupleIJPtSJ_EEENSK_IJSJ_SJ_EEES6_PlJ7is_evenItEEEE10hipError_tPvRmT3_T4_T5_T6_T7_T9_mT8_P12ihipStream_tbDpT10_ENKUlT_T0_E_clISt17integral_constantIbLb0EES1A_EEDaS15_S16_EUlS15_E_NS1_11comp_targetILNS1_3genE4ELNS1_11target_archE910ELNS1_3gpuE8ELNS1_3repE0EEENS1_30default_config_static_selectorELNS0_4arch9wavefront6targetE1EEEvT1_,@function
_ZN7rocprim17ROCPRIM_400000_NS6detail17trampoline_kernelINS0_14default_configENS1_25partition_config_selectorILNS1_17partition_subalgoE3EtNS0_10empty_typeEbEEZZNS1_14partition_implILS5_3ELb0ES3_jN6thrust23THRUST_200600_302600_NS6detail15normal_iteratorINSA_7pointerItNSA_11hip_rocprim3tagENSA_11use_defaultESG_EEEEPS6_SJ_NS0_5tupleIJPtSJ_EEENSK_IJSJ_SJ_EEES6_PlJ7is_evenItEEEE10hipError_tPvRmT3_T4_T5_T6_T7_T9_mT8_P12ihipStream_tbDpT10_ENKUlT_T0_E_clISt17integral_constantIbLb0EES1A_EEDaS15_S16_EUlS15_E_NS1_11comp_targetILNS1_3genE4ELNS1_11target_archE910ELNS1_3gpuE8ELNS1_3repE0EEENS1_30default_config_static_selectorELNS0_4arch9wavefront6targetE1EEEvT1_: ; @_ZN7rocprim17ROCPRIM_400000_NS6detail17trampoline_kernelINS0_14default_configENS1_25partition_config_selectorILNS1_17partition_subalgoE3EtNS0_10empty_typeEbEEZZNS1_14partition_implILS5_3ELb0ES3_jN6thrust23THRUST_200600_302600_NS6detail15normal_iteratorINSA_7pointerItNSA_11hip_rocprim3tagENSA_11use_defaultESG_EEEEPS6_SJ_NS0_5tupleIJPtSJ_EEENSK_IJSJ_SJ_EEES6_PlJ7is_evenItEEEE10hipError_tPvRmT3_T4_T5_T6_T7_T9_mT8_P12ihipStream_tbDpT10_ENKUlT_T0_E_clISt17integral_constantIbLb0EES1A_EEDaS15_S16_EUlS15_E_NS1_11comp_targetILNS1_3genE4ELNS1_11target_archE910ELNS1_3gpuE8ELNS1_3repE0EEENS1_30default_config_static_selectorELNS0_4arch9wavefront6targetE1EEEvT1_
; %bb.0:
	s_load_dwordx4 s[20:23], s[4:5], 0x8
	s_load_dwordx4 s[24:27], s[4:5], 0x48
	s_load_dwordx2 s[28:29], s[4:5], 0x58
	s_load_dword s2, s[4:5], 0x70
	s_mul_i32 s30, s6, 0x1400
	s_waitcnt lgkmcnt(0)
	s_lshl_b64 s[0:1], s[22:23], 1
	s_add_u32 s7, s20, s0
	s_addc_u32 s8, s21, s1
	s_mul_i32 s0, s2, 0x1400
	s_add_i32 s1, s0, s22
	s_sub_i32 s33, s28, s1
	s_add_i32 s3, s2, -1
	s_addk_i32 s33, 0x1400
	s_add_u32 s0, s22, s0
	s_addc_u32 s1, s23, 0
	s_cmp_eq_u32 s6, s3
	s_load_dwordx2 s[34:35], s[26:27], 0x0
	v_pk_mov_b32 v[2:3], s[28:29], s[28:29] op_sel:[0,1]
	s_cselect_b64 s[26:27], -1, 0
	s_cmp_lg_u32 s6, s3
	s_mov_b32 s31, 0
	v_cmp_lt_u64_e32 vcc, s[0:1], v[2:3]
	s_cselect_b64 s[0:1], -1, 0
	s_or_b64 s[2:3], s[0:1], vcc
	s_lshl_b64 s[0:1], s[30:31], 1
	s_add_u32 s7, s7, s0
	s_addc_u32 s10, s8, s1
	s_mov_b64 s[0:1], -1
	s_and_b64 vcc, exec, s[2:3]
	v_lshlrev_b32_e32 v1, 1, v0
	s_cbranch_vccz .LBB1158_2
; %bb.1:
	v_mov_b32_e32 v3, s10
	v_add_co_u32_e32 v2, vcc, s7, v1
	v_addc_co_u32_e32 v3, vcc, 0, v3, vcc
	v_add_co_u32_e32 v4, vcc, 0x1000, v2
	v_addc_co_u32_e32 v5, vcc, 0, v3, vcc
	flat_load_ushort v6, v[2:3]
	flat_load_ushort v7, v[2:3] offset:512
	flat_load_ushort v8, v[2:3] offset:1024
	;; [unrolled: 1-line block ×7, first 2 shown]
	v_add_co_u32_e32 v2, vcc, 0x2000, v2
	v_addc_co_u32_e32 v3, vcc, 0, v3, vcc
	flat_load_ushort v14, v[4:5]
	flat_load_ushort v15, v[4:5] offset:512
	flat_load_ushort v16, v[4:5] offset:1024
	;; [unrolled: 1-line block ×7, first 2 shown]
	s_nop 0
	flat_load_ushort v4, v[2:3]
	flat_load_ushort v5, v[2:3] offset:512
	flat_load_ushort v22, v[2:3] offset:1024
	;; [unrolled: 1-line block ×3, first 2 shown]
	s_mov_b64 s[0:1], 0
	s_waitcnt vmcnt(0) lgkmcnt(0)
	ds_write_b16 v1, v6
	ds_write_b16 v1, v7 offset:512
	ds_write_b16 v1, v8 offset:1024
	;; [unrolled: 1-line block ×19, first 2 shown]
	s_waitcnt lgkmcnt(0)
	s_barrier
.LBB1158_2:
	s_andn2_b64 vcc, exec, s[0:1]
	v_cmp_gt_u32_e64 s[0:1], s33, v0
	s_cbranch_vccnz .LBB1158_44
; %bb.3:
                                        ; implicit-def: $vgpr2
	s_and_saveexec_b64 s[8:9], s[0:1]
	s_cbranch_execz .LBB1158_5
; %bb.4:
	v_mov_b32_e32 v3, s10
	v_add_co_u32_e32 v2, vcc, s7, v1
	v_addc_co_u32_e32 v3, vcc, 0, v3, vcc
	flat_load_ushort v2, v[2:3]
.LBB1158_5:
	s_or_b64 exec, exec, s[8:9]
	v_or_b32_e32 v3, 0x100, v0
	v_cmp_gt_u32_e32 vcc, s33, v3
                                        ; implicit-def: $vgpr3
	s_and_saveexec_b64 s[0:1], vcc
	s_cbranch_execz .LBB1158_7
; %bb.6:
	v_mov_b32_e32 v3, s10
	v_add_co_u32_e32 v4, vcc, s7, v1
	v_addc_co_u32_e32 v5, vcc, 0, v3, vcc
	flat_load_ushort v3, v[4:5] offset:512
.LBB1158_7:
	s_or_b64 exec, exec, s[0:1]
	v_or_b32_e32 v4, 0x200, v0
	v_cmp_gt_u32_e32 vcc, s33, v4
                                        ; implicit-def: $vgpr4
	s_and_saveexec_b64 s[0:1], vcc
	s_cbranch_execz .LBB1158_9
; %bb.8:
	v_mov_b32_e32 v5, s10
	v_add_co_u32_e32 v4, vcc, s7, v1
	v_addc_co_u32_e32 v5, vcc, 0, v5, vcc
	flat_load_ushort v4, v[4:5] offset:1024
.LBB1158_9:
	s_or_b64 exec, exec, s[0:1]
	v_or_b32_e32 v5, 0x300, v0
	v_cmp_gt_u32_e32 vcc, s33, v5
                                        ; implicit-def: $vgpr5
	s_and_saveexec_b64 s[0:1], vcc
	s_cbranch_execz .LBB1158_11
; %bb.10:
	v_mov_b32_e32 v5, s10
	v_add_co_u32_e32 v6, vcc, s7, v1
	v_addc_co_u32_e32 v7, vcc, 0, v5, vcc
	flat_load_ushort v5, v[6:7] offset:1536
.LBB1158_11:
	s_or_b64 exec, exec, s[0:1]
	v_or_b32_e32 v6, 0x400, v0
	v_cmp_gt_u32_e32 vcc, s33, v6
                                        ; implicit-def: $vgpr6
	s_and_saveexec_b64 s[0:1], vcc
	s_cbranch_execz .LBB1158_13
; %bb.12:
	v_mov_b32_e32 v7, s10
	v_add_co_u32_e32 v6, vcc, s7, v1
	v_addc_co_u32_e32 v7, vcc, 0, v7, vcc
	flat_load_ushort v6, v[6:7] offset:2048
.LBB1158_13:
	s_or_b64 exec, exec, s[0:1]
	v_or_b32_e32 v7, 0x500, v0
	v_cmp_gt_u32_e32 vcc, s33, v7
                                        ; implicit-def: $vgpr7
	s_and_saveexec_b64 s[0:1], vcc
	s_cbranch_execz .LBB1158_15
; %bb.14:
	v_mov_b32_e32 v7, s10
	v_add_co_u32_e32 v8, vcc, s7, v1
	v_addc_co_u32_e32 v9, vcc, 0, v7, vcc
	flat_load_ushort v7, v[8:9] offset:2560
.LBB1158_15:
	s_or_b64 exec, exec, s[0:1]
	v_or_b32_e32 v8, 0x600, v0
	v_cmp_gt_u32_e32 vcc, s33, v8
                                        ; implicit-def: $vgpr8
	s_and_saveexec_b64 s[0:1], vcc
	s_cbranch_execz .LBB1158_17
; %bb.16:
	v_mov_b32_e32 v9, s10
	v_add_co_u32_e32 v8, vcc, s7, v1
	v_addc_co_u32_e32 v9, vcc, 0, v9, vcc
	flat_load_ushort v8, v[8:9] offset:3072
.LBB1158_17:
	s_or_b64 exec, exec, s[0:1]
	v_or_b32_e32 v9, 0x700, v0
	v_cmp_gt_u32_e32 vcc, s33, v9
                                        ; implicit-def: $vgpr9
	s_and_saveexec_b64 s[0:1], vcc
	s_cbranch_execz .LBB1158_19
; %bb.18:
	v_mov_b32_e32 v9, s10
	v_add_co_u32_e32 v10, vcc, s7, v1
	v_addc_co_u32_e32 v11, vcc, 0, v9, vcc
	flat_load_ushort v9, v[10:11] offset:3584
.LBB1158_19:
	s_or_b64 exec, exec, s[0:1]
	v_or_b32_e32 v11, 0x800, v0
	v_cmp_gt_u32_e32 vcc, s33, v11
                                        ; implicit-def: $vgpr10
	s_and_saveexec_b64 s[0:1], vcc
	s_cbranch_execz .LBB1158_21
; %bb.20:
	v_lshlrev_b32_e32 v10, 1, v11
	v_mov_b32_e32 v11, s10
	v_add_co_u32_e32 v10, vcc, s7, v10
	v_addc_co_u32_e32 v11, vcc, 0, v11, vcc
	flat_load_ushort v10, v[10:11]
.LBB1158_21:
	s_or_b64 exec, exec, s[0:1]
	v_or_b32_e32 v12, 0x900, v0
	v_cmp_gt_u32_e32 vcc, s33, v12
                                        ; implicit-def: $vgpr11
	s_and_saveexec_b64 s[0:1], vcc
	s_cbranch_execz .LBB1158_23
; %bb.22:
	v_lshlrev_b32_e32 v11, 1, v12
	v_mov_b32_e32 v13, s10
	v_add_co_u32_e32 v12, vcc, s7, v11
	v_addc_co_u32_e32 v13, vcc, 0, v13, vcc
	flat_load_ushort v11, v[12:13]
.LBB1158_23:
	s_or_b64 exec, exec, s[0:1]
	v_or_b32_e32 v13, 0xa00, v0
	v_cmp_gt_u32_e32 vcc, s33, v13
                                        ; implicit-def: $vgpr12
	s_and_saveexec_b64 s[0:1], vcc
	s_cbranch_execz .LBB1158_25
; %bb.24:
	v_lshlrev_b32_e32 v12, 1, v13
	v_mov_b32_e32 v13, s10
	v_add_co_u32_e32 v12, vcc, s7, v12
	v_addc_co_u32_e32 v13, vcc, 0, v13, vcc
	flat_load_ushort v12, v[12:13]
.LBB1158_25:
	s_or_b64 exec, exec, s[0:1]
	v_or_b32_e32 v14, 0xb00, v0
	v_cmp_gt_u32_e32 vcc, s33, v14
                                        ; implicit-def: $vgpr13
	s_and_saveexec_b64 s[0:1], vcc
	s_cbranch_execz .LBB1158_27
; %bb.26:
	v_lshlrev_b32_e32 v13, 1, v14
	v_mov_b32_e32 v15, s10
	v_add_co_u32_e32 v14, vcc, s7, v13
	v_addc_co_u32_e32 v15, vcc, 0, v15, vcc
	flat_load_ushort v13, v[14:15]
.LBB1158_27:
	s_or_b64 exec, exec, s[0:1]
	v_or_b32_e32 v15, 0xc00, v0
	v_cmp_gt_u32_e32 vcc, s33, v15
                                        ; implicit-def: $vgpr14
	s_and_saveexec_b64 s[0:1], vcc
	s_cbranch_execz .LBB1158_29
; %bb.28:
	v_lshlrev_b32_e32 v14, 1, v15
	v_mov_b32_e32 v15, s10
	v_add_co_u32_e32 v14, vcc, s7, v14
	v_addc_co_u32_e32 v15, vcc, 0, v15, vcc
	flat_load_ushort v14, v[14:15]
.LBB1158_29:
	s_or_b64 exec, exec, s[0:1]
	v_or_b32_e32 v16, 0xd00, v0
	v_cmp_gt_u32_e32 vcc, s33, v16
                                        ; implicit-def: $vgpr15
	s_and_saveexec_b64 s[0:1], vcc
	s_cbranch_execz .LBB1158_31
; %bb.30:
	v_lshlrev_b32_e32 v15, 1, v16
	v_mov_b32_e32 v17, s10
	v_add_co_u32_e32 v16, vcc, s7, v15
	v_addc_co_u32_e32 v17, vcc, 0, v17, vcc
	flat_load_ushort v15, v[16:17]
.LBB1158_31:
	s_or_b64 exec, exec, s[0:1]
	v_or_b32_e32 v17, 0xe00, v0
	v_cmp_gt_u32_e32 vcc, s33, v17
                                        ; implicit-def: $vgpr16
	s_and_saveexec_b64 s[0:1], vcc
	s_cbranch_execz .LBB1158_33
; %bb.32:
	v_lshlrev_b32_e32 v16, 1, v17
	v_mov_b32_e32 v17, s10
	v_add_co_u32_e32 v16, vcc, s7, v16
	v_addc_co_u32_e32 v17, vcc, 0, v17, vcc
	flat_load_ushort v16, v[16:17]
.LBB1158_33:
	s_or_b64 exec, exec, s[0:1]
	v_or_b32_e32 v18, 0xf00, v0
	v_cmp_gt_u32_e32 vcc, s33, v18
                                        ; implicit-def: $vgpr17
	s_and_saveexec_b64 s[0:1], vcc
	s_cbranch_execz .LBB1158_35
; %bb.34:
	v_lshlrev_b32_e32 v17, 1, v18
	v_mov_b32_e32 v19, s10
	v_add_co_u32_e32 v18, vcc, s7, v17
	v_addc_co_u32_e32 v19, vcc, 0, v19, vcc
	flat_load_ushort v17, v[18:19]
.LBB1158_35:
	s_or_b64 exec, exec, s[0:1]
	v_or_b32_e32 v19, 0x1000, v0
	v_cmp_gt_u32_e32 vcc, s33, v19
                                        ; implicit-def: $vgpr18
	s_and_saveexec_b64 s[0:1], vcc
	s_cbranch_execz .LBB1158_37
; %bb.36:
	v_lshlrev_b32_e32 v18, 1, v19
	v_mov_b32_e32 v19, s10
	v_add_co_u32_e32 v18, vcc, s7, v18
	v_addc_co_u32_e32 v19, vcc, 0, v19, vcc
	flat_load_ushort v18, v[18:19]
.LBB1158_37:
	s_or_b64 exec, exec, s[0:1]
	v_or_b32_e32 v20, 0x1100, v0
	v_cmp_gt_u32_e32 vcc, s33, v20
                                        ; implicit-def: $vgpr19
	s_and_saveexec_b64 s[0:1], vcc
	s_cbranch_execz .LBB1158_39
; %bb.38:
	v_lshlrev_b32_e32 v19, 1, v20
	v_mov_b32_e32 v21, s10
	v_add_co_u32_e32 v20, vcc, s7, v19
	v_addc_co_u32_e32 v21, vcc, 0, v21, vcc
	flat_load_ushort v19, v[20:21]
.LBB1158_39:
	s_or_b64 exec, exec, s[0:1]
	v_or_b32_e32 v21, 0x1200, v0
	v_cmp_gt_u32_e32 vcc, s33, v21
                                        ; implicit-def: $vgpr20
	s_and_saveexec_b64 s[0:1], vcc
	s_cbranch_execz .LBB1158_41
; %bb.40:
	v_lshlrev_b32_e32 v20, 1, v21
	v_mov_b32_e32 v21, s10
	v_add_co_u32_e32 v20, vcc, s7, v20
	v_addc_co_u32_e32 v21, vcc, 0, v21, vcc
	flat_load_ushort v20, v[20:21]
.LBB1158_41:
	s_or_b64 exec, exec, s[0:1]
	v_or_b32_e32 v22, 0x1300, v0
	v_cmp_gt_u32_e32 vcc, s33, v22
                                        ; implicit-def: $vgpr21
	s_and_saveexec_b64 s[0:1], vcc
	s_cbranch_execz .LBB1158_43
; %bb.42:
	v_lshlrev_b32_e32 v21, 1, v22
	v_mov_b32_e32 v23, s10
	v_add_co_u32_e32 v22, vcc, s7, v21
	v_addc_co_u32_e32 v23, vcc, 0, v23, vcc
	flat_load_ushort v21, v[22:23]
.LBB1158_43:
	s_or_b64 exec, exec, s[0:1]
	s_waitcnt vmcnt(0) lgkmcnt(0)
	ds_write_b16 v1, v2
	ds_write_b16 v1, v3 offset:512
	ds_write_b16 v1, v4 offset:1024
	;; [unrolled: 1-line block ×19, first 2 shown]
	s_waitcnt lgkmcnt(0)
	s_barrier
.LBB1158_44:
	v_mul_u32_u24_e32 v31, 20, v0
	v_lshlrev_b32_e32 v6, 1, v31
	s_waitcnt lgkmcnt(0)
	ds_read_b64 v[12:13], v6 offset:32
	ds_read2_b64 v[2:5], v6 offset0:2 offset1:3
	ds_read2_b64 v[6:9], v6 offset1:1
	v_cndmask_b32_e64 v10, 0, 1, s[2:3]
	v_cmp_ne_u32_e64 s[0:1], 1, v10
	s_waitcnt lgkmcnt(2)
	v_lshrrev_b32_e32 v23, 16, v12
	v_lshrrev_b32_e32 v22, 16, v13
	s_waitcnt lgkmcnt(1)
	v_lshrrev_b32_e32 v27, 16, v2
	v_lshrrev_b32_e32 v26, 16, v3
	;; [unrolled: 1-line block ×4, first 2 shown]
	s_waitcnt lgkmcnt(0)
	v_lshrrev_b32_e32 v32, 16, v6
	v_lshrrev_b32_e32 v30, 16, v7
	;; [unrolled: 1-line block ×4, first 2 shown]
	s_andn2_b64 vcc, exec, s[2:3]
	v_xor_b32_e32 v62, -1, v6
	v_xor_b32_e32 v61, -1, v32
	;; [unrolled: 1-line block ×20, first 2 shown]
	s_barrier
	s_cbranch_vccnz .LBB1158_46
; %bb.45:
	v_and_b32_e32 v52, 1, v62
	v_and_b32_e32 v51, 1, v61
	;; [unrolled: 1-line block ×20, first 2 shown]
	s_load_dwordx2 s[36:37], s[4:5], 0x68
	s_cbranch_execz .LBB1158_47
	s_branch .LBB1158_48
.LBB1158_46:
                                        ; implicit-def: $vgpr52
                                        ; implicit-def: $vgpr51
                                        ; implicit-def: $vgpr50
                                        ; implicit-def: $vgpr49
                                        ; implicit-def: $vgpr48
                                        ; implicit-def: $vgpr47
                                        ; implicit-def: $vgpr46
                                        ; implicit-def: $vgpr45
                                        ; implicit-def: $vgpr44
                                        ; implicit-def: $vgpr43
                                        ; implicit-def: $vgpr42
                                        ; implicit-def: $vgpr41
                                        ; implicit-def: $vgpr40
                                        ; implicit-def: $vgpr39
                                        ; implicit-def: $vgpr38
                                        ; implicit-def: $vgpr37
                                        ; implicit-def: $vgpr36
                                        ; implicit-def: $vgpr35
                                        ; implicit-def: $vgpr33
                                        ; implicit-def: $vgpr34
	s_load_dwordx2 s[36:37], s[4:5], 0x68
.LBB1158_47:
	v_or_b32_e32 v42, 1, v31
	v_cmp_gt_u32_e32 vcc, s33, v31
	v_or_b32_e32 v43, 2, v31
	v_cndmask_b32_e64 v47, 0, 1, vcc
	v_cmp_gt_u32_e32 vcc, s33, v42
	v_or_b32_e32 v44, 3, v31
	v_cndmask_b32_e64 v42, 0, 1, vcc
	v_cmp_gt_u32_e32 vcc, s33, v43
	v_add_u32_e32 v45, 4, v31
	v_and_b32_e32 v51, v42, v61
	v_cndmask_b32_e64 v42, 0, 1, vcc
	v_cmp_gt_u32_e32 vcc, s33, v44
	v_add_u32_e32 v46, 5, v31
	v_and_b32_e32 v50, v42, v60
	v_cndmask_b32_e64 v42, 0, 1, vcc
	v_cmp_gt_u32_e32 vcc, s33, v45
	v_add_u32_e32 v63, 6, v31
	v_and_b32_e32 v49, v42, v59
	v_cndmask_b32_e64 v42, 0, 1, vcc
	v_cmp_gt_u32_e32 vcc, s33, v46
	v_add_u32_e32 v64, 7, v31
	v_and_b32_e32 v48, v42, v58
	v_cndmask_b32_e64 v42, 0, 1, vcc
	v_cmp_gt_u32_e32 vcc, s33, v63
	v_add_u32_e32 v65, 8, v31
	v_and_b32_e32 v52, v47, v62
	v_and_b32_e32 v47, v42, v57
	v_cndmask_b32_e64 v42, 0, 1, vcc
	v_cmp_gt_u32_e32 vcc, s33, v64
	v_add_u32_e32 v66, 9, v31
	v_and_b32_e32 v46, v42, v56
	v_cndmask_b32_e64 v42, 0, 1, vcc
	v_cmp_gt_u32_e32 vcc, s33, v65
	v_add_u32_e32 v67, 10, v31
	;; [unrolled: 4-line block ×11, first 2 shown]
	v_and_b32_e32 v36, v16, v15
	v_cndmask_b32_e64 v15, 0, 1, vcc
	v_cmp_gt_u32_e32 vcc, s33, v33
	v_and_b32_e32 v35, v15, v14
	v_cndmask_b32_e64 v14, 0, 1, vcc
	v_cmp_gt_u32_e32 vcc, s33, v34
	v_and_b32_e32 v33, v14, v11
	v_cndmask_b32_e64 v11, 0, 1, vcc
	v_and_b32_e32 v34, v11, v10
.LBB1158_48:
	v_and_b32_e32 v69, 0xff, v36
	v_and_b32_e32 v70, 0xff, v35
	v_add_u32_sdwa v10, v33, v34 dst_sel:DWORD dst_unused:UNUSED_PAD src0_sel:BYTE_0 src1_sel:BYTE_0
	v_and_b32_e32 v67, 0xff, v38
	v_and_b32_e32 v68, 0xff, v37
	v_add3_u32 v10, v10, v70, v69
	v_and_b32_e32 v65, 0xff, v40
	v_and_b32_e32 v66, 0xff, v39
	v_add3_u32 v10, v10, v68, v67
	;; [unrolled: 3-line block ×8, first 2 shown]
	v_add3_u32 v73, v10, v54, v53
	v_mbcnt_lo_u32_b32 v10, -1, 0
	v_mbcnt_hi_u32_b32 v71, -1, v10
	v_and_b32_e32 v10, 15, v71
	v_cmp_eq_u32_e64 s[16:17], 0, v10
	v_cmp_lt_u32_e64 s[14:15], 1, v10
	v_cmp_lt_u32_e64 s[12:13], 3, v10
	;; [unrolled: 1-line block ×3, first 2 shown]
	v_and_b32_e32 v10, 16, v71
	v_cmp_eq_u32_e64 s[8:9], 0, v10
	v_or_b32_e32 v10, 63, v0
	s_cmp_lg_u32 s6, 0
	v_cmp_lt_u32_e64 s[2:3], 31, v71
	v_lshrrev_b32_e32 v72, 6, v0
	v_cmp_eq_u32_e64 s[20:21], v10, v0
	s_cbranch_scc0 .LBB1158_75
; %bb.49:
	v_mov_b32_dpp v10, v73 row_shr:1 row_mask:0xf bank_mask:0xf
	v_cndmask_b32_e64 v10, v10, 0, s[16:17]
	v_add_u32_e32 v10, v10, v73
	s_nop 1
	v_mov_b32_dpp v11, v10 row_shr:2 row_mask:0xf bank_mask:0xf
	v_cndmask_b32_e64 v11, 0, v11, s[14:15]
	v_add_u32_e32 v10, v10, v11
	s_nop 1
	;; [unrolled: 4-line block ×4, first 2 shown]
	v_mov_b32_dpp v11, v10 row_bcast:15 row_mask:0xf bank_mask:0xf
	v_cndmask_b32_e64 v11, v11, 0, s[8:9]
	v_add_u32_e32 v10, v10, v11
	s_nop 1
	v_mov_b32_dpp v11, v10 row_bcast:31 row_mask:0xf bank_mask:0xf
	v_cndmask_b32_e64 v11, 0, v11, s[2:3]
	v_add_u32_e32 v10, v10, v11
	s_and_saveexec_b64 s[18:19], s[20:21]
	s_cbranch_execz .LBB1158_51
; %bb.50:
	v_lshlrev_b32_e32 v11, 2, v72
	ds_write_b32 v11, v10
.LBB1158_51:
	s_or_b64 exec, exec, s[18:19]
	v_cmp_gt_u32_e32 vcc, 4, v0
	s_waitcnt lgkmcnt(0)
	s_barrier
	s_and_saveexec_b64 s[18:19], vcc
	s_cbranch_execz .LBB1158_53
; %bb.52:
	v_lshlrev_b32_e32 v11, 2, v0
	ds_read_b32 v14, v11
	v_and_b32_e32 v15, 3, v71
	v_cmp_ne_u32_e32 vcc, 0, v15
	s_waitcnt lgkmcnt(0)
	v_mov_b32_dpp v16, v14 row_shr:1 row_mask:0xf bank_mask:0xf
	v_cndmask_b32_e32 v16, 0, v16, vcc
	v_add_u32_e32 v14, v16, v14
	v_cmp_lt_u32_e32 vcc, 1, v15
	s_nop 0
	v_mov_b32_dpp v16, v14 row_shr:2 row_mask:0xf bank_mask:0xf
	v_cndmask_b32_e32 v15, 0, v16, vcc
	v_add_u32_e32 v14, v14, v15
	ds_write_b32 v11, v14
.LBB1158_53:
	s_or_b64 exec, exec, s[18:19]
	v_cmp_gt_u32_e32 vcc, 64, v0
	v_cmp_lt_u32_e64 s[18:19], 63, v0
	s_waitcnt lgkmcnt(0)
	s_barrier
	s_waitcnt lgkmcnt(0)
                                        ; implicit-def: $vgpr74
	s_and_saveexec_b64 s[38:39], s[18:19]
	s_cbranch_execz .LBB1158_55
; %bb.54:
	v_lshl_add_u32 v11, v72, 2, -4
	ds_read_b32 v74, v11
	s_waitcnt lgkmcnt(0)
	v_add_u32_e32 v10, v74, v10
.LBB1158_55:
	s_or_b64 exec, exec, s[38:39]
	v_add_u32_e32 v11, -1, v71
	v_and_b32_e32 v14, 64, v71
	v_cmp_lt_i32_e64 s[18:19], v11, v14
	v_cndmask_b32_e64 v11, v11, v71, s[18:19]
	v_lshlrev_b32_e32 v11, 2, v11
	ds_bpermute_b32 v75, v11, v10
	v_cmp_eq_u32_e64 s[18:19], 0, v71
	s_and_saveexec_b64 s[38:39], vcc
	s_cbranch_execz .LBB1158_74
; %bb.56:
	v_mov_b32_e32 v19, 0
	ds_read_b32 v10, v19 offset:12
	s_and_saveexec_b64 s[40:41], s[18:19]
	s_cbranch_execz .LBB1158_58
; %bb.57:
	s_add_i32 s42, s6, 64
	s_mov_b32 s43, 0
	s_lshl_b64 s[42:43], s[42:43], 3
	s_add_u32 s42, s36, s42
	v_mov_b32_e32 v11, 1
	s_addc_u32 s43, s37, s43
	s_waitcnt lgkmcnt(0)
	global_store_dwordx2 v19, v[10:11], s[42:43]
.LBB1158_58:
	s_or_b64 exec, exec, s[40:41]
	v_xad_u32 v14, v71, -1, s6
	v_add_u32_e32 v18, 64, v14
	v_lshlrev_b64 v[16:17], 3, v[18:19]
	v_mov_b32_e32 v11, s37
	v_add_co_u32_e32 v20, vcc, s36, v16
	v_addc_co_u32_e32 v21, vcc, v11, v17, vcc
	global_load_dwordx2 v[16:17], v[20:21], off glc
	s_waitcnt vmcnt(0)
	v_cmp_eq_u16_sdwa s[42:43], v17, v19 src0_sel:BYTE_0 src1_sel:DWORD
	s_and_saveexec_b64 s[40:41], s[42:43]
	s_cbranch_execz .LBB1158_62
; %bb.59:
	s_mov_b64 s[42:43], 0
	v_mov_b32_e32 v11, 0
.LBB1158_60:                            ; =>This Inner Loop Header: Depth=1
	global_load_dwordx2 v[16:17], v[20:21], off glc
	s_waitcnt vmcnt(0)
	v_cmp_ne_u16_sdwa s[44:45], v17, v11 src0_sel:BYTE_0 src1_sel:DWORD
	s_or_b64 s[42:43], s[44:45], s[42:43]
	s_andn2_b64 exec, exec, s[42:43]
	s_cbranch_execnz .LBB1158_60
; %bb.61:
	s_or_b64 exec, exec, s[42:43]
.LBB1158_62:
	s_or_b64 exec, exec, s[40:41]
	v_and_b32_e32 v77, 63, v71
	v_mov_b32_e32 v76, 2
	v_cmp_ne_u32_e32 vcc, 63, v77
	v_cmp_eq_u16_sdwa s[40:41], v17, v76 src0_sel:BYTE_0 src1_sel:DWORD
	v_lshlrev_b64 v[18:19], v71, -1
	v_addc_co_u32_e32 v20, vcc, 0, v71, vcc
	v_and_b32_e32 v11, s41, v19
	v_lshlrev_b32_e32 v78, 2, v20
	v_or_b32_e32 v11, 0x80000000, v11
	ds_bpermute_b32 v20, v78, v16
	v_and_b32_e32 v15, s40, v18
	v_ffbl_b32_e32 v11, v11
	v_add_u32_e32 v11, 32, v11
	v_ffbl_b32_e32 v15, v15
	v_min_u32_e32 v11, v15, v11
	v_cmp_lt_u32_e32 vcc, v77, v11
	s_waitcnt lgkmcnt(0)
	v_cndmask_b32_e32 v15, 0, v20, vcc
	v_cmp_gt_u32_e32 vcc, 62, v77
	v_add_u32_e32 v15, v15, v16
	v_cndmask_b32_e64 v16, 0, 1, vcc
	v_lshlrev_b32_e32 v16, 1, v16
	v_add_lshl_u32 v79, v16, v71, 2
	ds_bpermute_b32 v16, v79, v15
	v_add_u32_e32 v80, 2, v77
	v_cmp_le_u32_e32 vcc, v80, v11
	v_add_u32_e32 v82, 4, v77
	v_add_u32_e32 v84, 8, v77
	s_waitcnt lgkmcnt(0)
	v_cndmask_b32_e32 v16, 0, v16, vcc
	v_cmp_gt_u32_e32 vcc, 60, v77
	v_add_u32_e32 v15, v15, v16
	v_cndmask_b32_e64 v16, 0, 1, vcc
	v_lshlrev_b32_e32 v16, 2, v16
	v_add_lshl_u32 v81, v16, v71, 2
	ds_bpermute_b32 v16, v81, v15
	v_cmp_le_u32_e32 vcc, v82, v11
	v_add_u32_e32 v86, 16, v77
	v_add_u32_e32 v88, 32, v77
	s_waitcnt lgkmcnt(0)
	v_cndmask_b32_e32 v16, 0, v16, vcc
	v_cmp_gt_u32_e32 vcc, 56, v77
	v_add_u32_e32 v15, v15, v16
	v_cndmask_b32_e64 v16, 0, 1, vcc
	v_lshlrev_b32_e32 v16, 3, v16
	v_add_lshl_u32 v83, v16, v71, 2
	ds_bpermute_b32 v16, v83, v15
	v_cmp_le_u32_e32 vcc, v84, v11
	s_waitcnt lgkmcnt(0)
	v_cndmask_b32_e32 v16, 0, v16, vcc
	v_cmp_gt_u32_e32 vcc, 48, v77
	v_add_u32_e32 v15, v15, v16
	v_cndmask_b32_e64 v16, 0, 1, vcc
	v_lshlrev_b32_e32 v16, 4, v16
	v_add_lshl_u32 v85, v16, v71, 2
	ds_bpermute_b32 v16, v85, v15
	v_cmp_le_u32_e32 vcc, v86, v11
	;; [unrolled: 9-line block ×3, first 2 shown]
	s_waitcnt lgkmcnt(0)
	v_cndmask_b32_e32 v11, 0, v16, vcc
	v_add_u32_e32 v16, v15, v11
	v_mov_b32_e32 v15, 0
	s_branch .LBB1158_64
.LBB1158_63:                            ;   in Loop: Header=BB1158_64 Depth=1
	s_or_b64 exec, exec, s[40:41]
	v_cmp_eq_u16_sdwa s[40:41], v17, v76 src0_sel:BYTE_0 src1_sel:DWORD
	v_and_b32_e32 v20, s41, v19
	v_or_b32_e32 v20, 0x80000000, v20
	ds_bpermute_b32 v89, v78, v16
	v_and_b32_e32 v21, s40, v18
	v_ffbl_b32_e32 v20, v20
	v_add_u32_e32 v20, 32, v20
	v_ffbl_b32_e32 v21, v21
	v_min_u32_e32 v20, v21, v20
	v_cmp_lt_u32_e32 vcc, v77, v20
	s_waitcnt lgkmcnt(0)
	v_cndmask_b32_e32 v21, 0, v89, vcc
	v_add_u32_e32 v16, v21, v16
	ds_bpermute_b32 v21, v79, v16
	v_cmp_le_u32_e32 vcc, v80, v20
	v_subrev_u32_e32 v14, 64, v14
	s_waitcnt lgkmcnt(0)
	v_cndmask_b32_e32 v21, 0, v21, vcc
	v_add_u32_e32 v16, v16, v21
	ds_bpermute_b32 v21, v81, v16
	v_cmp_le_u32_e32 vcc, v82, v20
	s_waitcnt lgkmcnt(0)
	v_cndmask_b32_e32 v21, 0, v21, vcc
	v_add_u32_e32 v16, v16, v21
	ds_bpermute_b32 v21, v83, v16
	v_cmp_le_u32_e32 vcc, v84, v20
	s_waitcnt lgkmcnt(0)
	v_cndmask_b32_e32 v21, 0, v21, vcc
	v_add_u32_e32 v16, v16, v21
	ds_bpermute_b32 v21, v85, v16
	v_cmp_le_u32_e32 vcc, v86, v20
	s_waitcnt lgkmcnt(0)
	v_cndmask_b32_e32 v21, 0, v21, vcc
	v_add_u32_e32 v16, v16, v21
	ds_bpermute_b32 v21, v87, v16
	v_cmp_le_u32_e32 vcc, v88, v20
	s_waitcnt lgkmcnt(0)
	v_cndmask_b32_e32 v20, 0, v21, vcc
	v_add3_u32 v16, v20, v11, v16
.LBB1158_64:                            ; =>This Loop Header: Depth=1
                                        ;     Child Loop BB1158_67 Depth 2
	v_cmp_ne_u16_sdwa s[40:41], v17, v76 src0_sel:BYTE_0 src1_sel:DWORD
	v_cndmask_b32_e64 v11, 0, 1, s[40:41]
	;;#ASMSTART
	;;#ASMEND
	v_cmp_ne_u32_e32 vcc, 0, v11
	s_cmp_lg_u64 vcc, exec
	v_mov_b32_e32 v11, v16
	s_cbranch_scc1 .LBB1158_69
; %bb.65:                               ;   in Loop: Header=BB1158_64 Depth=1
	v_lshlrev_b64 v[16:17], 3, v[14:15]
	v_mov_b32_e32 v21, s37
	v_add_co_u32_e32 v20, vcc, s36, v16
	v_addc_co_u32_e32 v21, vcc, v21, v17, vcc
	global_load_dwordx2 v[16:17], v[20:21], off glc
	s_waitcnt vmcnt(0)
	v_cmp_eq_u16_sdwa s[42:43], v17, v15 src0_sel:BYTE_0 src1_sel:DWORD
	s_and_saveexec_b64 s[40:41], s[42:43]
	s_cbranch_execz .LBB1158_63
; %bb.66:                               ;   in Loop: Header=BB1158_64 Depth=1
	s_mov_b64 s[42:43], 0
.LBB1158_67:                            ;   Parent Loop BB1158_64 Depth=1
                                        ; =>  This Inner Loop Header: Depth=2
	global_load_dwordx2 v[16:17], v[20:21], off glc
	s_waitcnt vmcnt(0)
	v_cmp_ne_u16_sdwa s[44:45], v17, v15 src0_sel:BYTE_0 src1_sel:DWORD
	s_or_b64 s[42:43], s[44:45], s[42:43]
	s_andn2_b64 exec, exec, s[42:43]
	s_cbranch_execnz .LBB1158_67
; %bb.68:                               ;   in Loop: Header=BB1158_64 Depth=1
	s_or_b64 exec, exec, s[42:43]
	s_branch .LBB1158_63
.LBB1158_69:                            ;   in Loop: Header=BB1158_64 Depth=1
                                        ; implicit-def: $vgpr16
                                        ; implicit-def: $vgpr17
	s_cbranch_execz .LBB1158_64
; %bb.70:
	s_and_saveexec_b64 s[40:41], s[18:19]
	s_cbranch_execz .LBB1158_72
; %bb.71:
	s_add_i32 s6, s6, 64
	s_mov_b32 s7, 0
	s_lshl_b64 s[6:7], s[6:7], 3
	s_add_u32 s6, s36, s6
	v_add_u32_e32 v14, v11, v10
	v_mov_b32_e32 v15, 2
	s_addc_u32 s7, s37, s7
	v_mov_b32_e32 v16, 0
	global_store_dwordx2 v16, v[14:15], s[6:7]
	ds_write_b64 v16, v[10:11] offset:10240
.LBB1158_72:
	s_or_b64 exec, exec, s[40:41]
	v_cmp_eq_u32_e32 vcc, 0, v0
	s_and_b64 exec, exec, vcc
	s_cbranch_execz .LBB1158_74
; %bb.73:
	v_mov_b32_e32 v10, 0
	ds_write_b32 v10, v11 offset:12
.LBB1158_74:
	s_or_b64 exec, exec, s[38:39]
	v_mov_b32_e32 v10, 0
	s_waitcnt lgkmcnt(0)
	s_barrier
	ds_read_b32 v15, v10 offset:12
	s_waitcnt lgkmcnt(0)
	s_barrier
	ds_read_b64 v[10:11], v10 offset:10240
	v_cndmask_b32_e64 v14, v75, v74, s[18:19]
	v_cmp_ne_u32_e32 vcc, 0, v0
	v_cndmask_b32_e32 v14, 0, v14, vcc
	v_add_u32_e32 v14, v15, v14
	s_load_dwordx2 s[4:5], s[4:5], 0x28
	s_branch .LBB1158_85
.LBB1158_75:
                                        ; implicit-def: $vgpr11
                                        ; implicit-def: $vgpr14
	s_load_dwordx2 s[4:5], s[4:5], 0x28
	s_cbranch_execz .LBB1158_85
; %bb.76:
	s_waitcnt lgkmcnt(0)
	v_mov_b32_dpp v10, v73 row_shr:1 row_mask:0xf bank_mask:0xf
	v_cndmask_b32_e64 v10, v10, 0, s[16:17]
	v_add_u32_e32 v10, v10, v73
	s_nop 1
	v_mov_b32_dpp v11, v10 row_shr:2 row_mask:0xf bank_mask:0xf
	v_cndmask_b32_e64 v11, 0, v11, s[14:15]
	v_add_u32_e32 v10, v10, v11
	s_nop 1
	v_mov_b32_dpp v11, v10 row_shr:4 row_mask:0xf bank_mask:0xf
	v_cndmask_b32_e64 v11, 0, v11, s[12:13]
	v_add_u32_e32 v10, v10, v11
	s_nop 1
	v_mov_b32_dpp v11, v10 row_shr:8 row_mask:0xf bank_mask:0xf
	v_cndmask_b32_e64 v11, 0, v11, s[10:11]
	v_add_u32_e32 v10, v10, v11
	s_nop 1
	v_mov_b32_dpp v11, v10 row_bcast:15 row_mask:0xf bank_mask:0xf
	v_cndmask_b32_e64 v11, v11, 0, s[8:9]
	v_add_u32_e32 v10, v10, v11
	s_nop 1
	v_mov_b32_dpp v11, v10 row_bcast:31 row_mask:0xf bank_mask:0xf
	v_cndmask_b32_e64 v11, 0, v11, s[2:3]
	v_add_u32_e32 v10, v10, v11
	s_and_saveexec_b64 s[2:3], s[20:21]
	s_cbranch_execz .LBB1158_78
; %bb.77:
	v_lshlrev_b32_e32 v11, 2, v72
	ds_write_b32 v11, v10
.LBB1158_78:
	s_or_b64 exec, exec, s[2:3]
	v_cmp_gt_u32_e32 vcc, 4, v0
	s_waitcnt lgkmcnt(0)
	s_barrier
	s_and_saveexec_b64 s[2:3], vcc
	s_cbranch_execz .LBB1158_80
; %bb.79:
	v_lshlrev_b32_e32 v11, 2, v0
	ds_read_b32 v14, v11
	v_and_b32_e32 v15, 3, v71
	v_cmp_ne_u32_e32 vcc, 0, v15
	s_waitcnt lgkmcnt(0)
	v_mov_b32_dpp v16, v14 row_shr:1 row_mask:0xf bank_mask:0xf
	v_cndmask_b32_e32 v16, 0, v16, vcc
	v_add_u32_e32 v14, v16, v14
	v_cmp_lt_u32_e32 vcc, 1, v15
	s_nop 0
	v_mov_b32_dpp v16, v14 row_shr:2 row_mask:0xf bank_mask:0xf
	v_cndmask_b32_e32 v15, 0, v16, vcc
	v_add_u32_e32 v14, v14, v15
	ds_write_b32 v11, v14
.LBB1158_80:
	s_or_b64 exec, exec, s[2:3]
	v_cmp_lt_u32_e32 vcc, 63, v0
	v_mov_b32_e32 v11, 0
	v_mov_b32_e32 v14, 0
	s_waitcnt lgkmcnt(0)
	s_barrier
	s_and_saveexec_b64 s[2:3], vcc
	s_cbranch_execz .LBB1158_82
; %bb.81:
	v_lshl_add_u32 v14, v72, 2, -4
	ds_read_b32 v14, v14
.LBB1158_82:
	s_or_b64 exec, exec, s[2:3]
	v_add_u32_e32 v15, -1, v71
	v_and_b32_e32 v16, 64, v71
	v_cmp_lt_i32_e32 vcc, v15, v16
	v_cndmask_b32_e32 v15, v15, v71, vcc
	s_waitcnt lgkmcnt(0)
	v_add_u32_e32 v10, v14, v10
	v_lshlrev_b32_e32 v15, 2, v15
	ds_bpermute_b32 v15, v15, v10
	ds_read_b32 v10, v11 offset:12
	v_cmp_eq_u32_e32 vcc, 0, v0
	s_and_saveexec_b64 s[2:3], vcc
	s_cbranch_execz .LBB1158_84
; %bb.83:
	v_mov_b32_e32 v16, 0
	v_mov_b32_e32 v11, 2
	s_waitcnt lgkmcnt(0)
	global_store_dwordx2 v16, v[10:11], s[36:37] offset:512
.LBB1158_84:
	s_or_b64 exec, exec, s[2:3]
	v_cmp_eq_u32_e64 s[2:3], 0, v71
	s_waitcnt lgkmcnt(1)
	v_cndmask_b32_e64 v14, v15, v14, s[2:3]
	v_mov_b32_e32 v11, 0
	v_cndmask_b32_e64 v14, v14, 0, vcc
	s_waitcnt lgkmcnt(0)
	s_barrier
.LBB1158_85:
	v_add_u32_e32 v15, v14, v53
	v_add_u32_e32 v16, v15, v54
	;; [unrolled: 1-line block ×11, first 2 shown]
	s_waitcnt lgkmcnt(0)
	v_add_u32_e32 v31, v10, v31
	v_sub_u32_e32 v14, v14, v11
	v_and_b32_e32 v52, 1, v52
	v_add_u32_e32 v57, v56, v64
	v_sub_u32_e32 v64, v31, v14
	v_cmp_eq_u32_e32 vcc, 1, v52
	v_cndmask_b32_e32 v14, v64, v14, vcc
	v_lshlrev_b32_e32 v14, 1, v14
	ds_write_b16 v14, v6
	v_sub_u32_e32 v6, v15, v11
	v_sub_u32_e32 v14, v31, v6
	v_and_b32_e32 v15, 1, v51
	v_add_u32_e32 v14, 1, v14
	v_cmp_eq_u32_e32 vcc, 1, v15
	v_cndmask_b32_e32 v6, v14, v6, vcc
	v_lshlrev_b32_e32 v6, 1, v6
	ds_write_b16 v6, v32
	v_sub_u32_e32 v6, v16, v11
	v_sub_u32_e32 v14, v31, v6
	v_and_b32_e32 v15, 1, v50
	v_add_u32_e32 v14, 2, v14
	;; [unrolled: 8-line block ×12, first 2 shown]
	v_cmp_eq_u32_e32 vcc, 1, v6
	v_cndmask_b32_e32 v2, v3, v2, vcc
	v_add_u32_e32 v58, v57, v65
	v_lshlrev_b32_e32 v2, 1, v2
	ds_write_b16 v2, v4
	v_sub_u32_e32 v2, v58, v11
	v_sub_u32_e32 v3, v31, v2
	v_and_b32_e32 v4, 1, v39
	v_add_u32_e32 v3, 13, v3
	v_cmp_eq_u32_e32 vcc, 1, v4
	v_cndmask_b32_e32 v2, v3, v2, vcc
	v_add_u32_e32 v59, v58, v66
	v_lshlrev_b32_e32 v2, 1, v2
	ds_write_b16 v2, v25
	v_sub_u32_e32 v2, v59, v11
	v_sub_u32_e32 v3, v31, v2
	v_and_b32_e32 v4, 1, v38
	v_add_u32_e32 v3, 14, v3
	;; [unrolled: 9-line block ×6, first 2 shown]
	v_cmp_eq_u32_e32 vcc, 1, v4
	v_cndmask_b32_e32 v2, v3, v2, vcc
	v_lshlrev_b32_e32 v2, 1, v2
	ds_write_b16 v2, v13
	v_sub_u32_sdwa v2, v33, v11 dst_sel:DWORD dst_unused:UNUSED_PAD src0_sel:BYTE_0 src1_sel:DWORD
	v_add_u32_e32 v2, v63, v2
	v_sub_u32_e32 v3, v31, v2
	v_and_b32_e32 v4, 1, v34
	v_add_u32_e32 v3, 19, v3
	v_cmp_eq_u32_e32 vcc, 1, v4
	v_cndmask_b32_e32 v2, v3, v2, vcc
	v_lshlrev_b32_e32 v2, 1, v2
	ds_write_b16 v2, v22
	s_waitcnt lgkmcnt(0)
	s_barrier
	ds_read_u16 v47, v1
	ds_read_u16 v45, v1 offset:512
	ds_read_u16 v43, v1 offset:1024
	;; [unrolled: 1-line block ×15, first 2 shown]
	s_add_u32 s2, s22, s30
	ds_read_u16 v15, v1 offset:8192
	ds_read_u16 v13, v1 offset:8704
	;; [unrolled: 1-line block ×4, first 2 shown]
	s_addc_u32 s3, s23, 0
	v_mov_b32_e32 v2, s35
	v_add_co_u32_e32 v1, vcc, s34, v11
	s_sub_u32 s2, s28, s2
	v_addc_co_u32_e32 v4, vcc, 0, v2, vcc
	s_subb_u32 s3, s29, s3
	v_mov_b32_e32 v2, s3
	v_add_co_u32_e32 v3, vcc, s2, v10
	v_addc_co_u32_e32 v2, vcc, 0, v2, vcc
	s_and_b64 vcc, exec, s[0:1]
	v_add_co_u32_e64 v7, s[0:1], v3, v1
	v_or_b32_e32 v46, 0x100, v0
	v_or_b32_e32 v44, 0x200, v0
	v_or_b32_e32 v42, 0x300, v0
	v_or_b32_e32 v40, 0x400, v0
	v_or_b32_e32 v38, 0x500, v0
	v_or_b32_e32 v36, 0x600, v0
	v_or_b32_e32 v34, 0x700, v0
	v_or_b32_e32 v32, 0x800, v0
	v_or_b32_e32 v30, 0x900, v0
	v_or_b32_e32 v28, 0xa00, v0
	v_or_b32_e32 v26, 0xb00, v0
	v_or_b32_e32 v24, 0xc00, v0
	v_or_b32_e32 v22, 0xd00, v0
	v_or_b32_e32 v20, 0xe00, v0
	v_or_b32_e32 v18, 0xf00, v0
	v_or_b32_e32 v16, 0x1000, v0
	v_or_b32_e32 v14, 0x1100, v0
	v_or_b32_e32 v12, 0x1200, v0
	v_or_b32_e32 v6, 0x1300, v0
	v_addc_co_u32_e64 v8, s[0:1], v2, v4, s[0:1]
	s_cbranch_vccnz .LBB1158_167
; %bb.86:
	v_cmp_ge_u32_e32 vcc, v0, v10
                                        ; implicit-def: $vgpr2_vgpr3
	s_and_saveexec_b64 s[0:1], vcc
	s_xor_b64 s[0:1], exec, s[0:1]
; %bb.87:
	v_not_b32_e32 v2, v0
	v_ashrrev_i32_e32 v3, 31, v2
	v_add_co_u32_e32 v2, vcc, v7, v2
	v_addc_co_u32_e32 v3, vcc, v8, v3, vcc
; %bb.88:
	s_andn2_saveexec_b64 s[0:1], s[0:1]
; %bb.89:
	v_add_co_u32_e32 v2, vcc, v1, v0
	v_addc_co_u32_e32 v3, vcc, 0, v4, vcc
; %bb.90:
	s_or_b64 exec, exec, s[0:1]
	v_lshlrev_b64 v[2:3], 1, v[2:3]
	v_mov_b32_e32 v11, s5
	v_add_co_u32_e32 v2, vcc, s4, v2
	v_addc_co_u32_e32 v3, vcc, v11, v3, vcc
	v_cmp_ge_u32_e32 vcc, v46, v10
	s_waitcnt lgkmcnt(14)
	global_store_short v[2:3], v47, off
                                        ; implicit-def: $vgpr2_vgpr3
	s_and_saveexec_b64 s[0:1], vcc
	s_xor_b64 s[0:1], exec, s[0:1]
; %bb.91:
	v_xor_b32_e32 v2, 0xfffffeff, v0
	v_ashrrev_i32_e32 v3, 31, v2
	v_add_co_u32_e32 v2, vcc, v7, v2
	v_addc_co_u32_e32 v3, vcc, v8, v3, vcc
; %bb.92:
	s_andn2_saveexec_b64 s[0:1], s[0:1]
; %bb.93:
	v_add_co_u32_e32 v2, vcc, v1, v46
	v_addc_co_u32_e32 v3, vcc, 0, v4, vcc
; %bb.94:
	s_or_b64 exec, exec, s[0:1]
	v_lshlrev_b64 v[2:3], 1, v[2:3]
	v_mov_b32_e32 v11, s5
	v_add_co_u32_e32 v2, vcc, s4, v2
	v_addc_co_u32_e32 v3, vcc, v11, v3, vcc
	v_cmp_ge_u32_e32 vcc, v44, v10
	global_store_short v[2:3], v45, off
                                        ; implicit-def: $vgpr2_vgpr3
	s_and_saveexec_b64 s[0:1], vcc
	s_xor_b64 s[0:1], exec, s[0:1]
; %bb.95:
	v_xor_b32_e32 v2, 0xfffffdff, v0
	v_ashrrev_i32_e32 v3, 31, v2
	v_add_co_u32_e32 v2, vcc, v7, v2
	v_addc_co_u32_e32 v3, vcc, v8, v3, vcc
; %bb.96:
	s_andn2_saveexec_b64 s[0:1], s[0:1]
; %bb.97:
	v_add_co_u32_e32 v2, vcc, v1, v44
	v_addc_co_u32_e32 v3, vcc, 0, v4, vcc
; %bb.98:
	s_or_b64 exec, exec, s[0:1]
	v_lshlrev_b64 v[2:3], 1, v[2:3]
	v_mov_b32_e32 v11, s5
	v_add_co_u32_e32 v2, vcc, s4, v2
	v_addc_co_u32_e32 v3, vcc, v11, v3, vcc
	v_cmp_ge_u32_e32 vcc, v42, v10
	;; [unrolled: 21-line block ×6, first 2 shown]
	s_waitcnt lgkmcnt(13)
	global_store_short v[2:3], v35, off
                                        ; implicit-def: $vgpr2_vgpr3
	s_and_saveexec_b64 s[0:1], vcc
	s_xor_b64 s[0:1], exec, s[0:1]
; %bb.115:
	v_xor_b32_e32 v2, 0xfffff8ff, v0
	v_ashrrev_i32_e32 v3, 31, v2
	v_add_co_u32_e32 v2, vcc, v7, v2
	v_addc_co_u32_e32 v3, vcc, v8, v3, vcc
; %bb.116:
	s_andn2_saveexec_b64 s[0:1], s[0:1]
; %bb.117:
	v_add_co_u32_e32 v2, vcc, v1, v34
	v_addc_co_u32_e32 v3, vcc, 0, v4, vcc
; %bb.118:
	s_or_b64 exec, exec, s[0:1]
	v_lshlrev_b64 v[2:3], 1, v[2:3]
	v_mov_b32_e32 v11, s5
	v_add_co_u32_e32 v2, vcc, s4, v2
	v_addc_co_u32_e32 v3, vcc, v11, v3, vcc
	v_cmp_ge_u32_e32 vcc, v32, v10
	s_waitcnt lgkmcnt(12)
	global_store_short v[2:3], v33, off
                                        ; implicit-def: $vgpr2_vgpr3
	s_and_saveexec_b64 s[0:1], vcc
	s_xor_b64 s[0:1], exec, s[0:1]
; %bb.119:
	v_xor_b32_e32 v2, 0xfffff7ff, v0
	v_ashrrev_i32_e32 v3, 31, v2
	v_add_co_u32_e32 v2, vcc, v7, v2
	v_addc_co_u32_e32 v3, vcc, v8, v3, vcc
; %bb.120:
	s_andn2_saveexec_b64 s[0:1], s[0:1]
; %bb.121:
	v_add_co_u32_e32 v2, vcc, v1, v32
	v_addc_co_u32_e32 v3, vcc, 0, v4, vcc
; %bb.122:
	s_or_b64 exec, exec, s[0:1]
	v_lshlrev_b64 v[2:3], 1, v[2:3]
	v_mov_b32_e32 v11, s5
	v_add_co_u32_e32 v2, vcc, s4, v2
	v_addc_co_u32_e32 v3, vcc, v11, v3, vcc
	v_cmp_ge_u32_e32 vcc, v30, v10
	;; [unrolled: 22-line block ×12, first 2 shown]
	s_waitcnt lgkmcnt(1)
	global_store_short v[2:3], v9, off
                                        ; implicit-def: $vgpr2_vgpr3
	s_and_saveexec_b64 s[0:1], vcc
	s_xor_b64 s[0:1], exec, s[0:1]
; %bb.163:
	v_xor_b32_e32 v2, 0xffffecff, v0
	v_ashrrev_i32_e32 v3, 31, v2
	v_add_co_u32_e32 v2, vcc, v7, v2
	v_addc_co_u32_e32 v3, vcc, v8, v3, vcc
; %bb.164:
	s_andn2_saveexec_b64 s[0:1], s[0:1]
; %bb.165:
	v_add_co_u32_e32 v2, vcc, v1, v6
	v_addc_co_u32_e32 v3, vcc, 0, v4, vcc
; %bb.166:
	s_or_b64 exec, exec, s[0:1]
	s_mov_b64 s[0:1], -1
	s_branch .LBB1158_289
.LBB1158_167:
	s_mov_b64 s[0:1], 0
                                        ; implicit-def: $vgpr2_vgpr3
	s_cbranch_execz .LBB1158_289
; %bb.168:
	v_cmp_gt_u32_e32 vcc, s33, v0
	s_and_saveexec_b64 s[2:3], vcc
	s_cbranch_execz .LBB1158_224
; %bb.169:
	v_cmp_ge_u32_e32 vcc, v0, v10
                                        ; implicit-def: $vgpr2_vgpr3
	s_and_saveexec_b64 s[6:7], vcc
	s_xor_b64 s[6:7], exec, s[6:7]
; %bb.170:
	v_not_b32_e32 v2, v0
	v_ashrrev_i32_e32 v3, 31, v2
	v_add_co_u32_e32 v2, vcc, v7, v2
	v_addc_co_u32_e32 v3, vcc, v8, v3, vcc
; %bb.171:
	s_andn2_saveexec_b64 s[6:7], s[6:7]
; %bb.172:
	v_add_co_u32_e32 v2, vcc, v1, v0
	v_addc_co_u32_e32 v3, vcc, 0, v4, vcc
; %bb.173:
	s_or_b64 exec, exec, s[6:7]
	v_lshlrev_b64 v[2:3], 1, v[2:3]
	v_mov_b32_e32 v11, s5
	v_add_co_u32_e32 v2, vcc, s4, v2
	v_addc_co_u32_e32 v3, vcc, v11, v3, vcc
	s_waitcnt lgkmcnt(14)
	global_store_short v[2:3], v47, off
	s_or_b64 exec, exec, s[2:3]
	v_cmp_gt_u32_e32 vcc, s33, v46
	s_and_saveexec_b64 s[2:3], vcc
	s_cbranch_execnz .LBB1158_225
.LBB1158_174:
	s_or_b64 exec, exec, s[2:3]
	v_cmp_gt_u32_e32 vcc, s33, v44
	s_and_saveexec_b64 s[2:3], vcc
	s_cbranch_execz .LBB1158_230
.LBB1158_175:
	v_cmp_ge_u32_e32 vcc, v44, v10
                                        ; implicit-def: $vgpr2_vgpr3
	s_and_saveexec_b64 s[6:7], vcc
	s_xor_b64 s[6:7], exec, s[6:7]
; %bb.176:
	v_xor_b32_e32 v2, 0xfffffdff, v0
	v_ashrrev_i32_e32 v3, 31, v2
	v_add_co_u32_e32 v2, vcc, v7, v2
	v_addc_co_u32_e32 v3, vcc, v8, v3, vcc
                                        ; implicit-def: $vgpr44
; %bb.177:
	s_andn2_saveexec_b64 s[6:7], s[6:7]
; %bb.178:
	v_add_co_u32_e32 v2, vcc, v1, v44
	v_addc_co_u32_e32 v3, vcc, 0, v4, vcc
; %bb.179:
	s_or_b64 exec, exec, s[6:7]
	v_lshlrev_b64 v[2:3], 1, v[2:3]
	v_mov_b32_e32 v11, s5
	v_add_co_u32_e32 v2, vcc, s4, v2
	v_addc_co_u32_e32 v3, vcc, v11, v3, vcc
	s_waitcnt lgkmcnt(14)
	global_store_short v[2:3], v43, off
	s_or_b64 exec, exec, s[2:3]
	v_cmp_gt_u32_e32 vcc, s33, v42
	s_and_saveexec_b64 s[2:3], vcc
	s_cbranch_execnz .LBB1158_231
.LBB1158_180:
	s_or_b64 exec, exec, s[2:3]
	v_cmp_gt_u32_e32 vcc, s33, v40
	s_and_saveexec_b64 s[2:3], vcc
	s_cbranch_execz .LBB1158_236
.LBB1158_181:
	v_cmp_ge_u32_e32 vcc, v40, v10
                                        ; implicit-def: $vgpr2_vgpr3
	s_and_saveexec_b64 s[6:7], vcc
	s_xor_b64 s[6:7], exec, s[6:7]
; %bb.182:
	v_xor_b32_e32 v2, 0xfffffbff, v0
	v_ashrrev_i32_e32 v3, 31, v2
	v_add_co_u32_e32 v2, vcc, v7, v2
	v_addc_co_u32_e32 v3, vcc, v8, v3, vcc
                                        ; implicit-def: $vgpr40
; %bb.183:
	s_andn2_saveexec_b64 s[6:7], s[6:7]
; %bb.184:
	v_add_co_u32_e32 v2, vcc, v1, v40
	v_addc_co_u32_e32 v3, vcc, 0, v4, vcc
; %bb.185:
	s_or_b64 exec, exec, s[6:7]
	v_lshlrev_b64 v[2:3], 1, v[2:3]
	v_mov_b32_e32 v11, s5
	v_add_co_u32_e32 v2, vcc, s4, v2
	v_addc_co_u32_e32 v3, vcc, v11, v3, vcc
	s_waitcnt lgkmcnt(14)
	global_store_short v[2:3], v39, off
	s_or_b64 exec, exec, s[2:3]
	v_cmp_gt_u32_e32 vcc, s33, v38
	s_and_saveexec_b64 s[2:3], vcc
	s_cbranch_execnz .LBB1158_237
.LBB1158_186:
	s_or_b64 exec, exec, s[2:3]
	v_cmp_gt_u32_e32 vcc, s33, v36
	s_and_saveexec_b64 s[2:3], vcc
	s_cbranch_execz .LBB1158_242
.LBB1158_187:
	v_cmp_ge_u32_e32 vcc, v36, v10
                                        ; implicit-def: $vgpr2_vgpr3
	s_and_saveexec_b64 s[6:7], vcc
	s_xor_b64 s[6:7], exec, s[6:7]
; %bb.188:
	v_xor_b32_e32 v2, 0xfffff9ff, v0
	v_ashrrev_i32_e32 v3, 31, v2
	v_add_co_u32_e32 v2, vcc, v7, v2
	v_addc_co_u32_e32 v3, vcc, v8, v3, vcc
                                        ; implicit-def: $vgpr36
; %bb.189:
	s_andn2_saveexec_b64 s[6:7], s[6:7]
; %bb.190:
	v_add_co_u32_e32 v2, vcc, v1, v36
	v_addc_co_u32_e32 v3, vcc, 0, v4, vcc
; %bb.191:
	s_or_b64 exec, exec, s[6:7]
	v_lshlrev_b64 v[2:3], 1, v[2:3]
	v_mov_b32_e32 v11, s5
	v_add_co_u32_e32 v2, vcc, s4, v2
	v_addc_co_u32_e32 v3, vcc, v11, v3, vcc
	s_waitcnt lgkmcnt(13)
	global_store_short v[2:3], v35, off
	s_or_b64 exec, exec, s[2:3]
	v_cmp_gt_u32_e32 vcc, s33, v34
	s_and_saveexec_b64 s[2:3], vcc
	s_cbranch_execnz .LBB1158_243
.LBB1158_192:
	s_or_b64 exec, exec, s[2:3]
	v_cmp_gt_u32_e32 vcc, s33, v32
	s_and_saveexec_b64 s[2:3], vcc
	s_cbranch_execz .LBB1158_248
.LBB1158_193:
	v_cmp_ge_u32_e32 vcc, v32, v10
                                        ; implicit-def: $vgpr2_vgpr3
	s_and_saveexec_b64 s[6:7], vcc
	s_xor_b64 s[6:7], exec, s[6:7]
; %bb.194:
	v_xor_b32_e32 v2, 0xfffff7ff, v0
	v_ashrrev_i32_e32 v3, 31, v2
	v_add_co_u32_e32 v2, vcc, v7, v2
	v_addc_co_u32_e32 v3, vcc, v8, v3, vcc
                                        ; implicit-def: $vgpr32
; %bb.195:
	s_andn2_saveexec_b64 s[6:7], s[6:7]
; %bb.196:
	v_add_co_u32_e32 v2, vcc, v1, v32
	v_addc_co_u32_e32 v3, vcc, 0, v4, vcc
; %bb.197:
	s_or_b64 exec, exec, s[6:7]
	v_lshlrev_b64 v[2:3], 1, v[2:3]
	v_mov_b32_e32 v11, s5
	v_add_co_u32_e32 v2, vcc, s4, v2
	v_addc_co_u32_e32 v3, vcc, v11, v3, vcc
	s_waitcnt lgkmcnt(11)
	global_store_short v[2:3], v31, off
	s_or_b64 exec, exec, s[2:3]
	v_cmp_gt_u32_e32 vcc, s33, v30
	s_and_saveexec_b64 s[2:3], vcc
	s_cbranch_execnz .LBB1158_249
.LBB1158_198:
	s_or_b64 exec, exec, s[2:3]
	v_cmp_gt_u32_e32 vcc, s33, v28
	s_and_saveexec_b64 s[2:3], vcc
	s_cbranch_execz .LBB1158_254
.LBB1158_199:
	v_cmp_ge_u32_e32 vcc, v28, v10
                                        ; implicit-def: $vgpr2_vgpr3
	s_and_saveexec_b64 s[6:7], vcc
	s_xor_b64 s[6:7], exec, s[6:7]
; %bb.200:
	v_xor_b32_e32 v2, 0xfffff5ff, v0
	v_ashrrev_i32_e32 v3, 31, v2
	v_add_co_u32_e32 v2, vcc, v7, v2
	v_addc_co_u32_e32 v3, vcc, v8, v3, vcc
                                        ; implicit-def: $vgpr28
; %bb.201:
	s_andn2_saveexec_b64 s[6:7], s[6:7]
; %bb.202:
	v_add_co_u32_e32 v2, vcc, v1, v28
	v_addc_co_u32_e32 v3, vcc, 0, v4, vcc
; %bb.203:
	s_or_b64 exec, exec, s[6:7]
	v_lshlrev_b64 v[2:3], 1, v[2:3]
	v_mov_b32_e32 v11, s5
	v_add_co_u32_e32 v2, vcc, s4, v2
	v_addc_co_u32_e32 v3, vcc, v11, v3, vcc
	s_waitcnt lgkmcnt(9)
	global_store_short v[2:3], v27, off
	s_or_b64 exec, exec, s[2:3]
	v_cmp_gt_u32_e32 vcc, s33, v26
	s_and_saveexec_b64 s[2:3], vcc
	s_cbranch_execnz .LBB1158_255
.LBB1158_204:
	s_or_b64 exec, exec, s[2:3]
	v_cmp_gt_u32_e32 vcc, s33, v24
	s_and_saveexec_b64 s[2:3], vcc
	s_cbranch_execz .LBB1158_260
.LBB1158_205:
	v_cmp_ge_u32_e32 vcc, v24, v10
                                        ; implicit-def: $vgpr2_vgpr3
	s_and_saveexec_b64 s[6:7], vcc
	s_xor_b64 s[6:7], exec, s[6:7]
; %bb.206:
	v_xor_b32_e32 v2, 0xfffff3ff, v0
	v_ashrrev_i32_e32 v3, 31, v2
	v_add_co_u32_e32 v2, vcc, v7, v2
	v_addc_co_u32_e32 v3, vcc, v8, v3, vcc
                                        ; implicit-def: $vgpr24
; %bb.207:
	s_andn2_saveexec_b64 s[6:7], s[6:7]
; %bb.208:
	v_add_co_u32_e32 v2, vcc, v1, v24
	v_addc_co_u32_e32 v3, vcc, 0, v4, vcc
; %bb.209:
	s_or_b64 exec, exec, s[6:7]
	v_lshlrev_b64 v[2:3], 1, v[2:3]
	v_mov_b32_e32 v11, s5
	v_add_co_u32_e32 v2, vcc, s4, v2
	v_addc_co_u32_e32 v3, vcc, v11, v3, vcc
	s_waitcnt lgkmcnt(7)
	global_store_short v[2:3], v23, off
	s_or_b64 exec, exec, s[2:3]
	v_cmp_gt_u32_e32 vcc, s33, v22
	s_and_saveexec_b64 s[2:3], vcc
	s_cbranch_execnz .LBB1158_261
.LBB1158_210:
	s_or_b64 exec, exec, s[2:3]
	v_cmp_gt_u32_e32 vcc, s33, v20
	s_and_saveexec_b64 s[2:3], vcc
	s_cbranch_execz .LBB1158_266
.LBB1158_211:
	v_cmp_ge_u32_e32 vcc, v20, v10
                                        ; implicit-def: $vgpr2_vgpr3
	s_and_saveexec_b64 s[6:7], vcc
	s_xor_b64 s[6:7], exec, s[6:7]
; %bb.212:
	v_xor_b32_e32 v2, 0xfffff1ff, v0
	v_ashrrev_i32_e32 v3, 31, v2
	v_add_co_u32_e32 v2, vcc, v7, v2
	v_addc_co_u32_e32 v3, vcc, v8, v3, vcc
                                        ; implicit-def: $vgpr20
; %bb.213:
	s_andn2_saveexec_b64 s[6:7], s[6:7]
; %bb.214:
	v_add_co_u32_e32 v2, vcc, v1, v20
	v_addc_co_u32_e32 v3, vcc, 0, v4, vcc
; %bb.215:
	s_or_b64 exec, exec, s[6:7]
	v_lshlrev_b64 v[2:3], 1, v[2:3]
	v_mov_b32_e32 v11, s5
	v_add_co_u32_e32 v2, vcc, s4, v2
	v_addc_co_u32_e32 v3, vcc, v11, v3, vcc
	s_waitcnt lgkmcnt(5)
	global_store_short v[2:3], v19, off
	s_or_b64 exec, exec, s[2:3]
	v_cmp_gt_u32_e32 vcc, s33, v18
	s_and_saveexec_b64 s[2:3], vcc
	s_cbranch_execnz .LBB1158_267
.LBB1158_216:
	s_or_b64 exec, exec, s[2:3]
	v_cmp_gt_u32_e32 vcc, s33, v16
	s_and_saveexec_b64 s[2:3], vcc
	s_cbranch_execz .LBB1158_272
.LBB1158_217:
	v_cmp_ge_u32_e32 vcc, v16, v10
                                        ; implicit-def: $vgpr2_vgpr3
	s_and_saveexec_b64 s[6:7], vcc
	s_xor_b64 s[6:7], exec, s[6:7]
; %bb.218:
	v_xor_b32_e32 v2, 0xffffefff, v0
	v_ashrrev_i32_e32 v3, 31, v2
	v_add_co_u32_e32 v2, vcc, v7, v2
	v_addc_co_u32_e32 v3, vcc, v8, v3, vcc
                                        ; implicit-def: $vgpr16
; %bb.219:
	s_andn2_saveexec_b64 s[6:7], s[6:7]
; %bb.220:
	v_add_co_u32_e32 v2, vcc, v1, v16
	v_addc_co_u32_e32 v3, vcc, 0, v4, vcc
; %bb.221:
	s_or_b64 exec, exec, s[6:7]
	v_lshlrev_b64 v[2:3], 1, v[2:3]
	v_mov_b32_e32 v11, s5
	v_add_co_u32_e32 v2, vcc, s4, v2
	v_addc_co_u32_e32 v3, vcc, v11, v3, vcc
	s_waitcnt lgkmcnt(3)
	global_store_short v[2:3], v15, off
	s_or_b64 exec, exec, s[2:3]
	v_cmp_gt_u32_e32 vcc, s33, v14
	s_and_saveexec_b64 s[2:3], vcc
	s_cbranch_execnz .LBB1158_273
.LBB1158_222:
	s_or_b64 exec, exec, s[2:3]
	v_cmp_gt_u32_e32 vcc, s33, v12
	s_and_saveexec_b64 s[2:3], vcc
	s_cbranch_execnz .LBB1158_278
.LBB1158_223:
	s_or_b64 exec, exec, s[2:3]
	v_cmp_gt_u32_e32 vcc, s33, v6
                                        ; implicit-def: $vgpr2_vgpr3
	s_and_saveexec_b64 s[2:3], vcc
	s_cbranch_execz .LBB1158_288
	s_branch .LBB1158_283
.LBB1158_224:
	s_or_b64 exec, exec, s[2:3]
	v_cmp_gt_u32_e32 vcc, s33, v46
	s_and_saveexec_b64 s[2:3], vcc
	s_cbranch_execz .LBB1158_174
.LBB1158_225:
	v_cmp_ge_u32_e32 vcc, v46, v10
                                        ; implicit-def: $vgpr2_vgpr3
	s_and_saveexec_b64 s[6:7], vcc
	s_xor_b64 s[6:7], exec, s[6:7]
; %bb.226:
	v_xor_b32_e32 v2, 0xfffffeff, v0
	v_ashrrev_i32_e32 v3, 31, v2
	v_add_co_u32_e32 v2, vcc, v7, v2
	v_addc_co_u32_e32 v3, vcc, v8, v3, vcc
                                        ; implicit-def: $vgpr46
; %bb.227:
	s_andn2_saveexec_b64 s[6:7], s[6:7]
; %bb.228:
	v_add_co_u32_e32 v2, vcc, v1, v46
	v_addc_co_u32_e32 v3, vcc, 0, v4, vcc
; %bb.229:
	s_or_b64 exec, exec, s[6:7]
	v_lshlrev_b64 v[2:3], 1, v[2:3]
	v_mov_b32_e32 v11, s5
	v_add_co_u32_e32 v2, vcc, s4, v2
	v_addc_co_u32_e32 v3, vcc, v11, v3, vcc
	s_waitcnt lgkmcnt(14)
	global_store_short v[2:3], v45, off
	s_or_b64 exec, exec, s[2:3]
	v_cmp_gt_u32_e32 vcc, s33, v44
	s_and_saveexec_b64 s[2:3], vcc
	s_cbranch_execnz .LBB1158_175
.LBB1158_230:
	s_or_b64 exec, exec, s[2:3]
	v_cmp_gt_u32_e32 vcc, s33, v42
	s_and_saveexec_b64 s[2:3], vcc
	s_cbranch_execz .LBB1158_180
.LBB1158_231:
	v_cmp_ge_u32_e32 vcc, v42, v10
                                        ; implicit-def: $vgpr2_vgpr3
	s_and_saveexec_b64 s[6:7], vcc
	s_xor_b64 s[6:7], exec, s[6:7]
; %bb.232:
	v_xor_b32_e32 v2, 0xfffffcff, v0
	v_ashrrev_i32_e32 v3, 31, v2
	v_add_co_u32_e32 v2, vcc, v7, v2
	v_addc_co_u32_e32 v3, vcc, v8, v3, vcc
                                        ; implicit-def: $vgpr42
; %bb.233:
	s_andn2_saveexec_b64 s[6:7], s[6:7]
; %bb.234:
	v_add_co_u32_e32 v2, vcc, v1, v42
	v_addc_co_u32_e32 v3, vcc, 0, v4, vcc
; %bb.235:
	s_or_b64 exec, exec, s[6:7]
	v_lshlrev_b64 v[2:3], 1, v[2:3]
	v_mov_b32_e32 v11, s5
	v_add_co_u32_e32 v2, vcc, s4, v2
	v_addc_co_u32_e32 v3, vcc, v11, v3, vcc
	s_waitcnt lgkmcnt(14)
	global_store_short v[2:3], v41, off
	s_or_b64 exec, exec, s[2:3]
	v_cmp_gt_u32_e32 vcc, s33, v40
	s_and_saveexec_b64 s[2:3], vcc
	s_cbranch_execnz .LBB1158_181
.LBB1158_236:
	s_or_b64 exec, exec, s[2:3]
	v_cmp_gt_u32_e32 vcc, s33, v38
	s_and_saveexec_b64 s[2:3], vcc
	s_cbranch_execz .LBB1158_186
.LBB1158_237:
	v_cmp_ge_u32_e32 vcc, v38, v10
                                        ; implicit-def: $vgpr2_vgpr3
	s_and_saveexec_b64 s[6:7], vcc
	s_xor_b64 s[6:7], exec, s[6:7]
; %bb.238:
	v_xor_b32_e32 v2, 0xfffffaff, v0
	v_ashrrev_i32_e32 v3, 31, v2
	v_add_co_u32_e32 v2, vcc, v7, v2
	v_addc_co_u32_e32 v3, vcc, v8, v3, vcc
                                        ; implicit-def: $vgpr38
; %bb.239:
	s_andn2_saveexec_b64 s[6:7], s[6:7]
; %bb.240:
	v_add_co_u32_e32 v2, vcc, v1, v38
	v_addc_co_u32_e32 v3, vcc, 0, v4, vcc
; %bb.241:
	s_or_b64 exec, exec, s[6:7]
	v_lshlrev_b64 v[2:3], 1, v[2:3]
	v_mov_b32_e32 v11, s5
	v_add_co_u32_e32 v2, vcc, s4, v2
	v_addc_co_u32_e32 v3, vcc, v11, v3, vcc
	s_waitcnt lgkmcnt(14)
	global_store_short v[2:3], v37, off
	s_or_b64 exec, exec, s[2:3]
	v_cmp_gt_u32_e32 vcc, s33, v36
	s_and_saveexec_b64 s[2:3], vcc
	s_cbranch_execnz .LBB1158_187
.LBB1158_242:
	s_or_b64 exec, exec, s[2:3]
	v_cmp_gt_u32_e32 vcc, s33, v34
	s_and_saveexec_b64 s[2:3], vcc
	s_cbranch_execz .LBB1158_192
.LBB1158_243:
	v_cmp_ge_u32_e32 vcc, v34, v10
                                        ; implicit-def: $vgpr2_vgpr3
	s_and_saveexec_b64 s[6:7], vcc
	s_xor_b64 s[6:7], exec, s[6:7]
; %bb.244:
	v_xor_b32_e32 v2, 0xfffff8ff, v0
	v_ashrrev_i32_e32 v3, 31, v2
	v_add_co_u32_e32 v2, vcc, v7, v2
	v_addc_co_u32_e32 v3, vcc, v8, v3, vcc
                                        ; implicit-def: $vgpr34
; %bb.245:
	s_andn2_saveexec_b64 s[6:7], s[6:7]
; %bb.246:
	v_add_co_u32_e32 v2, vcc, v1, v34
	v_addc_co_u32_e32 v3, vcc, 0, v4, vcc
; %bb.247:
	s_or_b64 exec, exec, s[6:7]
	v_lshlrev_b64 v[2:3], 1, v[2:3]
	v_mov_b32_e32 v11, s5
	v_add_co_u32_e32 v2, vcc, s4, v2
	v_addc_co_u32_e32 v3, vcc, v11, v3, vcc
	s_waitcnt lgkmcnt(12)
	global_store_short v[2:3], v33, off
	s_or_b64 exec, exec, s[2:3]
	v_cmp_gt_u32_e32 vcc, s33, v32
	s_and_saveexec_b64 s[2:3], vcc
	s_cbranch_execnz .LBB1158_193
.LBB1158_248:
	s_or_b64 exec, exec, s[2:3]
	v_cmp_gt_u32_e32 vcc, s33, v30
	s_and_saveexec_b64 s[2:3], vcc
	s_cbranch_execz .LBB1158_198
.LBB1158_249:
	v_cmp_ge_u32_e32 vcc, v30, v10
                                        ; implicit-def: $vgpr2_vgpr3
	s_and_saveexec_b64 s[6:7], vcc
	s_xor_b64 s[6:7], exec, s[6:7]
; %bb.250:
	v_xor_b32_e32 v2, 0xfffff6ff, v0
	v_ashrrev_i32_e32 v3, 31, v2
	v_add_co_u32_e32 v2, vcc, v7, v2
	v_addc_co_u32_e32 v3, vcc, v8, v3, vcc
                                        ; implicit-def: $vgpr30
; %bb.251:
	s_andn2_saveexec_b64 s[6:7], s[6:7]
; %bb.252:
	v_add_co_u32_e32 v2, vcc, v1, v30
	v_addc_co_u32_e32 v3, vcc, 0, v4, vcc
; %bb.253:
	s_or_b64 exec, exec, s[6:7]
	v_lshlrev_b64 v[2:3], 1, v[2:3]
	v_mov_b32_e32 v11, s5
	v_add_co_u32_e32 v2, vcc, s4, v2
	v_addc_co_u32_e32 v3, vcc, v11, v3, vcc
	s_waitcnt lgkmcnt(10)
	global_store_short v[2:3], v29, off
	s_or_b64 exec, exec, s[2:3]
	v_cmp_gt_u32_e32 vcc, s33, v28
	s_and_saveexec_b64 s[2:3], vcc
	s_cbranch_execnz .LBB1158_199
.LBB1158_254:
	s_or_b64 exec, exec, s[2:3]
	v_cmp_gt_u32_e32 vcc, s33, v26
	s_and_saveexec_b64 s[2:3], vcc
	s_cbranch_execz .LBB1158_204
.LBB1158_255:
	v_cmp_ge_u32_e32 vcc, v26, v10
                                        ; implicit-def: $vgpr2_vgpr3
	s_and_saveexec_b64 s[6:7], vcc
	s_xor_b64 s[6:7], exec, s[6:7]
; %bb.256:
	v_xor_b32_e32 v2, 0xfffff4ff, v0
	v_ashrrev_i32_e32 v3, 31, v2
	v_add_co_u32_e32 v2, vcc, v7, v2
	v_addc_co_u32_e32 v3, vcc, v8, v3, vcc
                                        ; implicit-def: $vgpr26
; %bb.257:
	s_andn2_saveexec_b64 s[6:7], s[6:7]
; %bb.258:
	v_add_co_u32_e32 v2, vcc, v1, v26
	v_addc_co_u32_e32 v3, vcc, 0, v4, vcc
; %bb.259:
	s_or_b64 exec, exec, s[6:7]
	v_lshlrev_b64 v[2:3], 1, v[2:3]
	v_mov_b32_e32 v11, s5
	v_add_co_u32_e32 v2, vcc, s4, v2
	v_addc_co_u32_e32 v3, vcc, v11, v3, vcc
	s_waitcnt lgkmcnt(8)
	global_store_short v[2:3], v25, off
	s_or_b64 exec, exec, s[2:3]
	v_cmp_gt_u32_e32 vcc, s33, v24
	s_and_saveexec_b64 s[2:3], vcc
	s_cbranch_execnz .LBB1158_205
.LBB1158_260:
	s_or_b64 exec, exec, s[2:3]
	v_cmp_gt_u32_e32 vcc, s33, v22
	s_and_saveexec_b64 s[2:3], vcc
	s_cbranch_execz .LBB1158_210
.LBB1158_261:
	v_cmp_ge_u32_e32 vcc, v22, v10
                                        ; implicit-def: $vgpr2_vgpr3
	s_and_saveexec_b64 s[6:7], vcc
	s_xor_b64 s[6:7], exec, s[6:7]
; %bb.262:
	v_xor_b32_e32 v2, 0xfffff2ff, v0
	v_ashrrev_i32_e32 v3, 31, v2
	v_add_co_u32_e32 v2, vcc, v7, v2
	v_addc_co_u32_e32 v3, vcc, v8, v3, vcc
                                        ; implicit-def: $vgpr22
; %bb.263:
	s_andn2_saveexec_b64 s[6:7], s[6:7]
; %bb.264:
	v_add_co_u32_e32 v2, vcc, v1, v22
	v_addc_co_u32_e32 v3, vcc, 0, v4, vcc
; %bb.265:
	s_or_b64 exec, exec, s[6:7]
	v_lshlrev_b64 v[2:3], 1, v[2:3]
	v_mov_b32_e32 v11, s5
	v_add_co_u32_e32 v2, vcc, s4, v2
	v_addc_co_u32_e32 v3, vcc, v11, v3, vcc
	s_waitcnt lgkmcnt(6)
	global_store_short v[2:3], v21, off
	s_or_b64 exec, exec, s[2:3]
	v_cmp_gt_u32_e32 vcc, s33, v20
	s_and_saveexec_b64 s[2:3], vcc
	s_cbranch_execnz .LBB1158_211
.LBB1158_266:
	s_or_b64 exec, exec, s[2:3]
	v_cmp_gt_u32_e32 vcc, s33, v18
	s_and_saveexec_b64 s[2:3], vcc
	s_cbranch_execz .LBB1158_216
.LBB1158_267:
	v_cmp_ge_u32_e32 vcc, v18, v10
                                        ; implicit-def: $vgpr2_vgpr3
	s_and_saveexec_b64 s[6:7], vcc
	s_xor_b64 s[6:7], exec, s[6:7]
; %bb.268:
	v_xor_b32_e32 v2, 0xfffff0ff, v0
	v_ashrrev_i32_e32 v3, 31, v2
	v_add_co_u32_e32 v2, vcc, v7, v2
	v_addc_co_u32_e32 v3, vcc, v8, v3, vcc
                                        ; implicit-def: $vgpr18
; %bb.269:
	s_andn2_saveexec_b64 s[6:7], s[6:7]
; %bb.270:
	v_add_co_u32_e32 v2, vcc, v1, v18
	v_addc_co_u32_e32 v3, vcc, 0, v4, vcc
; %bb.271:
	s_or_b64 exec, exec, s[6:7]
	v_lshlrev_b64 v[2:3], 1, v[2:3]
	v_mov_b32_e32 v11, s5
	v_add_co_u32_e32 v2, vcc, s4, v2
	v_addc_co_u32_e32 v3, vcc, v11, v3, vcc
	s_waitcnt lgkmcnt(4)
	global_store_short v[2:3], v17, off
	s_or_b64 exec, exec, s[2:3]
	v_cmp_gt_u32_e32 vcc, s33, v16
	s_and_saveexec_b64 s[2:3], vcc
	s_cbranch_execnz .LBB1158_217
.LBB1158_272:
	s_or_b64 exec, exec, s[2:3]
	v_cmp_gt_u32_e32 vcc, s33, v14
	s_and_saveexec_b64 s[2:3], vcc
	s_cbranch_execz .LBB1158_222
.LBB1158_273:
	v_cmp_ge_u32_e32 vcc, v14, v10
                                        ; implicit-def: $vgpr2_vgpr3
	s_and_saveexec_b64 s[6:7], vcc
	s_xor_b64 s[6:7], exec, s[6:7]
; %bb.274:
	v_xor_b32_e32 v2, 0xffffeeff, v0
	v_ashrrev_i32_e32 v3, 31, v2
	v_add_co_u32_e32 v2, vcc, v7, v2
	v_addc_co_u32_e32 v3, vcc, v8, v3, vcc
                                        ; implicit-def: $vgpr14
; %bb.275:
	s_andn2_saveexec_b64 s[6:7], s[6:7]
; %bb.276:
	v_add_co_u32_e32 v2, vcc, v1, v14
	v_addc_co_u32_e32 v3, vcc, 0, v4, vcc
; %bb.277:
	s_or_b64 exec, exec, s[6:7]
	v_lshlrev_b64 v[2:3], 1, v[2:3]
	v_mov_b32_e32 v11, s5
	v_add_co_u32_e32 v2, vcc, s4, v2
	v_addc_co_u32_e32 v3, vcc, v11, v3, vcc
	s_waitcnt lgkmcnt(2)
	global_store_short v[2:3], v13, off
	s_or_b64 exec, exec, s[2:3]
	v_cmp_gt_u32_e32 vcc, s33, v12
	s_and_saveexec_b64 s[2:3], vcc
	s_cbranch_execz .LBB1158_223
.LBB1158_278:
	v_cmp_ge_u32_e32 vcc, v12, v10
                                        ; implicit-def: $vgpr2_vgpr3
	s_and_saveexec_b64 s[6:7], vcc
	s_xor_b64 s[6:7], exec, s[6:7]
; %bb.279:
	v_xor_b32_e32 v2, 0xffffedff, v0
	v_ashrrev_i32_e32 v3, 31, v2
	v_add_co_u32_e32 v2, vcc, v7, v2
	v_addc_co_u32_e32 v3, vcc, v8, v3, vcc
                                        ; implicit-def: $vgpr12
; %bb.280:
	s_andn2_saveexec_b64 s[6:7], s[6:7]
; %bb.281:
	v_add_co_u32_e32 v2, vcc, v1, v12
	v_addc_co_u32_e32 v3, vcc, 0, v4, vcc
; %bb.282:
	s_or_b64 exec, exec, s[6:7]
	v_lshlrev_b64 v[2:3], 1, v[2:3]
	v_mov_b32_e32 v11, s5
	v_add_co_u32_e32 v2, vcc, s4, v2
	v_addc_co_u32_e32 v3, vcc, v11, v3, vcc
	s_waitcnt lgkmcnt(1)
	global_store_short v[2:3], v9, off
	s_or_b64 exec, exec, s[2:3]
	v_cmp_gt_u32_e32 vcc, s33, v6
                                        ; implicit-def: $vgpr2_vgpr3
	s_and_saveexec_b64 s[2:3], vcc
	s_cbranch_execz .LBB1158_288
.LBB1158_283:
	v_cmp_ge_u32_e32 vcc, v6, v10
                                        ; implicit-def: $vgpr2_vgpr3
	s_and_saveexec_b64 s[6:7], vcc
	s_xor_b64 s[6:7], exec, s[6:7]
; %bb.284:
	v_xor_b32_e32 v2, 0xffffecff, v0
	v_ashrrev_i32_e32 v3, 31, v2
	v_add_co_u32_e32 v2, vcc, v7, v2
	v_addc_co_u32_e32 v3, vcc, v8, v3, vcc
                                        ; implicit-def: $vgpr6
; %bb.285:
	s_andn2_saveexec_b64 s[6:7], s[6:7]
; %bb.286:
	v_add_co_u32_e32 v2, vcc, v1, v6
	v_addc_co_u32_e32 v3, vcc, 0, v4, vcc
; %bb.287:
	s_or_b64 exec, exec, s[6:7]
	s_or_b64 s[0:1], s[0:1], exec
.LBB1158_288:
	s_or_b64 exec, exec, s[2:3]
.LBB1158_289:
	s_and_saveexec_b64 s[2:3], s[0:1]
	s_cbranch_execz .LBB1158_291
; %bb.290:
	v_lshlrev_b64 v[2:3], 1, v[2:3]
	v_mov_b32_e32 v6, s5
	v_add_co_u32_e32 v2, vcc, s4, v2
	v_addc_co_u32_e32 v3, vcc, v6, v3, vcc
	s_waitcnt lgkmcnt(0)
	global_store_short v[2:3], v5, off
.LBB1158_291:
	s_or_b64 exec, exec, s[2:3]
	v_cmp_eq_u32_e32 vcc, 0, v0
	s_and_b64 s[0:1], vcc, s[26:27]
	s_and_saveexec_b64 s[2:3], s[0:1]
	s_cbranch_execz .LBB1158_293
; %bb.292:
	v_add_co_u32_e32 v0, vcc, v1, v10
	v_mov_b32_e32 v2, 0
	v_addc_co_u32_e32 v1, vcc, 0, v4, vcc
	global_store_dwordx2 v2, v[0:1], s[24:25]
.LBB1158_293:
	s_endpgm
	.section	.rodata,"a",@progbits
	.p2align	6, 0x0
	.amdhsa_kernel _ZN7rocprim17ROCPRIM_400000_NS6detail17trampoline_kernelINS0_14default_configENS1_25partition_config_selectorILNS1_17partition_subalgoE3EtNS0_10empty_typeEbEEZZNS1_14partition_implILS5_3ELb0ES3_jN6thrust23THRUST_200600_302600_NS6detail15normal_iteratorINSA_7pointerItNSA_11hip_rocprim3tagENSA_11use_defaultESG_EEEEPS6_SJ_NS0_5tupleIJPtSJ_EEENSK_IJSJ_SJ_EEES6_PlJ7is_evenItEEEE10hipError_tPvRmT3_T4_T5_T6_T7_T9_mT8_P12ihipStream_tbDpT10_ENKUlT_T0_E_clISt17integral_constantIbLb0EES1A_EEDaS15_S16_EUlS15_E_NS1_11comp_targetILNS1_3genE4ELNS1_11target_archE910ELNS1_3gpuE8ELNS1_3repE0EEENS1_30default_config_static_selectorELNS0_4arch9wavefront6targetE1EEEvT1_
		.amdhsa_group_segment_fixed_size 10248
		.amdhsa_private_segment_fixed_size 0
		.amdhsa_kernarg_size 120
		.amdhsa_user_sgpr_count 6
		.amdhsa_user_sgpr_private_segment_buffer 1
		.amdhsa_user_sgpr_dispatch_ptr 0
		.amdhsa_user_sgpr_queue_ptr 0
		.amdhsa_user_sgpr_kernarg_segment_ptr 1
		.amdhsa_user_sgpr_dispatch_id 0
		.amdhsa_user_sgpr_flat_scratch_init 0
		.amdhsa_user_sgpr_kernarg_preload_length 0
		.amdhsa_user_sgpr_kernarg_preload_offset 0
		.amdhsa_user_sgpr_private_segment_size 0
		.amdhsa_uses_dynamic_stack 0
		.amdhsa_system_sgpr_private_segment_wavefront_offset 0
		.amdhsa_system_sgpr_workgroup_id_x 1
		.amdhsa_system_sgpr_workgroup_id_y 0
		.amdhsa_system_sgpr_workgroup_id_z 0
		.amdhsa_system_sgpr_workgroup_info 0
		.amdhsa_system_vgpr_workitem_id 0
		.amdhsa_next_free_vgpr 90
		.amdhsa_next_free_sgpr 46
		.amdhsa_accum_offset 92
		.amdhsa_reserve_vcc 1
		.amdhsa_reserve_flat_scratch 0
		.amdhsa_float_round_mode_32 0
		.amdhsa_float_round_mode_16_64 0
		.amdhsa_float_denorm_mode_32 3
		.amdhsa_float_denorm_mode_16_64 3
		.amdhsa_dx10_clamp 1
		.amdhsa_ieee_mode 1
		.amdhsa_fp16_overflow 0
		.amdhsa_tg_split 0
		.amdhsa_exception_fp_ieee_invalid_op 0
		.amdhsa_exception_fp_denorm_src 0
		.amdhsa_exception_fp_ieee_div_zero 0
		.amdhsa_exception_fp_ieee_overflow 0
		.amdhsa_exception_fp_ieee_underflow 0
		.amdhsa_exception_fp_ieee_inexact 0
		.amdhsa_exception_int_div_zero 0
	.end_amdhsa_kernel
	.section	.text._ZN7rocprim17ROCPRIM_400000_NS6detail17trampoline_kernelINS0_14default_configENS1_25partition_config_selectorILNS1_17partition_subalgoE3EtNS0_10empty_typeEbEEZZNS1_14partition_implILS5_3ELb0ES3_jN6thrust23THRUST_200600_302600_NS6detail15normal_iteratorINSA_7pointerItNSA_11hip_rocprim3tagENSA_11use_defaultESG_EEEEPS6_SJ_NS0_5tupleIJPtSJ_EEENSK_IJSJ_SJ_EEES6_PlJ7is_evenItEEEE10hipError_tPvRmT3_T4_T5_T6_T7_T9_mT8_P12ihipStream_tbDpT10_ENKUlT_T0_E_clISt17integral_constantIbLb0EES1A_EEDaS15_S16_EUlS15_E_NS1_11comp_targetILNS1_3genE4ELNS1_11target_archE910ELNS1_3gpuE8ELNS1_3repE0EEENS1_30default_config_static_selectorELNS0_4arch9wavefront6targetE1EEEvT1_,"axG",@progbits,_ZN7rocprim17ROCPRIM_400000_NS6detail17trampoline_kernelINS0_14default_configENS1_25partition_config_selectorILNS1_17partition_subalgoE3EtNS0_10empty_typeEbEEZZNS1_14partition_implILS5_3ELb0ES3_jN6thrust23THRUST_200600_302600_NS6detail15normal_iteratorINSA_7pointerItNSA_11hip_rocprim3tagENSA_11use_defaultESG_EEEEPS6_SJ_NS0_5tupleIJPtSJ_EEENSK_IJSJ_SJ_EEES6_PlJ7is_evenItEEEE10hipError_tPvRmT3_T4_T5_T6_T7_T9_mT8_P12ihipStream_tbDpT10_ENKUlT_T0_E_clISt17integral_constantIbLb0EES1A_EEDaS15_S16_EUlS15_E_NS1_11comp_targetILNS1_3genE4ELNS1_11target_archE910ELNS1_3gpuE8ELNS1_3repE0EEENS1_30default_config_static_selectorELNS0_4arch9wavefront6targetE1EEEvT1_,comdat
.Lfunc_end1158:
	.size	_ZN7rocprim17ROCPRIM_400000_NS6detail17trampoline_kernelINS0_14default_configENS1_25partition_config_selectorILNS1_17partition_subalgoE3EtNS0_10empty_typeEbEEZZNS1_14partition_implILS5_3ELb0ES3_jN6thrust23THRUST_200600_302600_NS6detail15normal_iteratorINSA_7pointerItNSA_11hip_rocprim3tagENSA_11use_defaultESG_EEEEPS6_SJ_NS0_5tupleIJPtSJ_EEENSK_IJSJ_SJ_EEES6_PlJ7is_evenItEEEE10hipError_tPvRmT3_T4_T5_T6_T7_T9_mT8_P12ihipStream_tbDpT10_ENKUlT_T0_E_clISt17integral_constantIbLb0EES1A_EEDaS15_S16_EUlS15_E_NS1_11comp_targetILNS1_3genE4ELNS1_11target_archE910ELNS1_3gpuE8ELNS1_3repE0EEENS1_30default_config_static_selectorELNS0_4arch9wavefront6targetE1EEEvT1_, .Lfunc_end1158-_ZN7rocprim17ROCPRIM_400000_NS6detail17trampoline_kernelINS0_14default_configENS1_25partition_config_selectorILNS1_17partition_subalgoE3EtNS0_10empty_typeEbEEZZNS1_14partition_implILS5_3ELb0ES3_jN6thrust23THRUST_200600_302600_NS6detail15normal_iteratorINSA_7pointerItNSA_11hip_rocprim3tagENSA_11use_defaultESG_EEEEPS6_SJ_NS0_5tupleIJPtSJ_EEENSK_IJSJ_SJ_EEES6_PlJ7is_evenItEEEE10hipError_tPvRmT3_T4_T5_T6_T7_T9_mT8_P12ihipStream_tbDpT10_ENKUlT_T0_E_clISt17integral_constantIbLb0EES1A_EEDaS15_S16_EUlS15_E_NS1_11comp_targetILNS1_3genE4ELNS1_11target_archE910ELNS1_3gpuE8ELNS1_3repE0EEENS1_30default_config_static_selectorELNS0_4arch9wavefront6targetE1EEEvT1_
                                        ; -- End function
	.section	.AMDGPU.csdata,"",@progbits
; Kernel info:
; codeLenInByte = 9508
; NumSgprs: 50
; NumVgprs: 90
; NumAgprs: 0
; TotalNumVgprs: 90
; ScratchSize: 0
; MemoryBound: 0
; FloatMode: 240
; IeeeMode: 1
; LDSByteSize: 10248 bytes/workgroup (compile time only)
; SGPRBlocks: 6
; VGPRBlocks: 11
; NumSGPRsForWavesPerEU: 50
; NumVGPRsForWavesPerEU: 90
; AccumOffset: 92
; Occupancy: 5
; WaveLimiterHint : 1
; COMPUTE_PGM_RSRC2:SCRATCH_EN: 0
; COMPUTE_PGM_RSRC2:USER_SGPR: 6
; COMPUTE_PGM_RSRC2:TRAP_HANDLER: 0
; COMPUTE_PGM_RSRC2:TGID_X_EN: 1
; COMPUTE_PGM_RSRC2:TGID_Y_EN: 0
; COMPUTE_PGM_RSRC2:TGID_Z_EN: 0
; COMPUTE_PGM_RSRC2:TIDIG_COMP_CNT: 0
; COMPUTE_PGM_RSRC3_GFX90A:ACCUM_OFFSET: 22
; COMPUTE_PGM_RSRC3_GFX90A:TG_SPLIT: 0
	.section	.text._ZN7rocprim17ROCPRIM_400000_NS6detail17trampoline_kernelINS0_14default_configENS1_25partition_config_selectorILNS1_17partition_subalgoE3EtNS0_10empty_typeEbEEZZNS1_14partition_implILS5_3ELb0ES3_jN6thrust23THRUST_200600_302600_NS6detail15normal_iteratorINSA_7pointerItNSA_11hip_rocprim3tagENSA_11use_defaultESG_EEEEPS6_SJ_NS0_5tupleIJPtSJ_EEENSK_IJSJ_SJ_EEES6_PlJ7is_evenItEEEE10hipError_tPvRmT3_T4_T5_T6_T7_T9_mT8_P12ihipStream_tbDpT10_ENKUlT_T0_E_clISt17integral_constantIbLb0EES1A_EEDaS15_S16_EUlS15_E_NS1_11comp_targetILNS1_3genE3ELNS1_11target_archE908ELNS1_3gpuE7ELNS1_3repE0EEENS1_30default_config_static_selectorELNS0_4arch9wavefront6targetE1EEEvT1_,"axG",@progbits,_ZN7rocprim17ROCPRIM_400000_NS6detail17trampoline_kernelINS0_14default_configENS1_25partition_config_selectorILNS1_17partition_subalgoE3EtNS0_10empty_typeEbEEZZNS1_14partition_implILS5_3ELb0ES3_jN6thrust23THRUST_200600_302600_NS6detail15normal_iteratorINSA_7pointerItNSA_11hip_rocprim3tagENSA_11use_defaultESG_EEEEPS6_SJ_NS0_5tupleIJPtSJ_EEENSK_IJSJ_SJ_EEES6_PlJ7is_evenItEEEE10hipError_tPvRmT3_T4_T5_T6_T7_T9_mT8_P12ihipStream_tbDpT10_ENKUlT_T0_E_clISt17integral_constantIbLb0EES1A_EEDaS15_S16_EUlS15_E_NS1_11comp_targetILNS1_3genE3ELNS1_11target_archE908ELNS1_3gpuE7ELNS1_3repE0EEENS1_30default_config_static_selectorELNS0_4arch9wavefront6targetE1EEEvT1_,comdat
	.protected	_ZN7rocprim17ROCPRIM_400000_NS6detail17trampoline_kernelINS0_14default_configENS1_25partition_config_selectorILNS1_17partition_subalgoE3EtNS0_10empty_typeEbEEZZNS1_14partition_implILS5_3ELb0ES3_jN6thrust23THRUST_200600_302600_NS6detail15normal_iteratorINSA_7pointerItNSA_11hip_rocprim3tagENSA_11use_defaultESG_EEEEPS6_SJ_NS0_5tupleIJPtSJ_EEENSK_IJSJ_SJ_EEES6_PlJ7is_evenItEEEE10hipError_tPvRmT3_T4_T5_T6_T7_T9_mT8_P12ihipStream_tbDpT10_ENKUlT_T0_E_clISt17integral_constantIbLb0EES1A_EEDaS15_S16_EUlS15_E_NS1_11comp_targetILNS1_3genE3ELNS1_11target_archE908ELNS1_3gpuE7ELNS1_3repE0EEENS1_30default_config_static_selectorELNS0_4arch9wavefront6targetE1EEEvT1_ ; -- Begin function _ZN7rocprim17ROCPRIM_400000_NS6detail17trampoline_kernelINS0_14default_configENS1_25partition_config_selectorILNS1_17partition_subalgoE3EtNS0_10empty_typeEbEEZZNS1_14partition_implILS5_3ELb0ES3_jN6thrust23THRUST_200600_302600_NS6detail15normal_iteratorINSA_7pointerItNSA_11hip_rocprim3tagENSA_11use_defaultESG_EEEEPS6_SJ_NS0_5tupleIJPtSJ_EEENSK_IJSJ_SJ_EEES6_PlJ7is_evenItEEEE10hipError_tPvRmT3_T4_T5_T6_T7_T9_mT8_P12ihipStream_tbDpT10_ENKUlT_T0_E_clISt17integral_constantIbLb0EES1A_EEDaS15_S16_EUlS15_E_NS1_11comp_targetILNS1_3genE3ELNS1_11target_archE908ELNS1_3gpuE7ELNS1_3repE0EEENS1_30default_config_static_selectorELNS0_4arch9wavefront6targetE1EEEvT1_
	.globl	_ZN7rocprim17ROCPRIM_400000_NS6detail17trampoline_kernelINS0_14default_configENS1_25partition_config_selectorILNS1_17partition_subalgoE3EtNS0_10empty_typeEbEEZZNS1_14partition_implILS5_3ELb0ES3_jN6thrust23THRUST_200600_302600_NS6detail15normal_iteratorINSA_7pointerItNSA_11hip_rocprim3tagENSA_11use_defaultESG_EEEEPS6_SJ_NS0_5tupleIJPtSJ_EEENSK_IJSJ_SJ_EEES6_PlJ7is_evenItEEEE10hipError_tPvRmT3_T4_T5_T6_T7_T9_mT8_P12ihipStream_tbDpT10_ENKUlT_T0_E_clISt17integral_constantIbLb0EES1A_EEDaS15_S16_EUlS15_E_NS1_11comp_targetILNS1_3genE3ELNS1_11target_archE908ELNS1_3gpuE7ELNS1_3repE0EEENS1_30default_config_static_selectorELNS0_4arch9wavefront6targetE1EEEvT1_
	.p2align	8
	.type	_ZN7rocprim17ROCPRIM_400000_NS6detail17trampoline_kernelINS0_14default_configENS1_25partition_config_selectorILNS1_17partition_subalgoE3EtNS0_10empty_typeEbEEZZNS1_14partition_implILS5_3ELb0ES3_jN6thrust23THRUST_200600_302600_NS6detail15normal_iteratorINSA_7pointerItNSA_11hip_rocprim3tagENSA_11use_defaultESG_EEEEPS6_SJ_NS0_5tupleIJPtSJ_EEENSK_IJSJ_SJ_EEES6_PlJ7is_evenItEEEE10hipError_tPvRmT3_T4_T5_T6_T7_T9_mT8_P12ihipStream_tbDpT10_ENKUlT_T0_E_clISt17integral_constantIbLb0EES1A_EEDaS15_S16_EUlS15_E_NS1_11comp_targetILNS1_3genE3ELNS1_11target_archE908ELNS1_3gpuE7ELNS1_3repE0EEENS1_30default_config_static_selectorELNS0_4arch9wavefront6targetE1EEEvT1_,@function
_ZN7rocprim17ROCPRIM_400000_NS6detail17trampoline_kernelINS0_14default_configENS1_25partition_config_selectorILNS1_17partition_subalgoE3EtNS0_10empty_typeEbEEZZNS1_14partition_implILS5_3ELb0ES3_jN6thrust23THRUST_200600_302600_NS6detail15normal_iteratorINSA_7pointerItNSA_11hip_rocprim3tagENSA_11use_defaultESG_EEEEPS6_SJ_NS0_5tupleIJPtSJ_EEENSK_IJSJ_SJ_EEES6_PlJ7is_evenItEEEE10hipError_tPvRmT3_T4_T5_T6_T7_T9_mT8_P12ihipStream_tbDpT10_ENKUlT_T0_E_clISt17integral_constantIbLb0EES1A_EEDaS15_S16_EUlS15_E_NS1_11comp_targetILNS1_3genE3ELNS1_11target_archE908ELNS1_3gpuE7ELNS1_3repE0EEENS1_30default_config_static_selectorELNS0_4arch9wavefront6targetE1EEEvT1_: ; @_ZN7rocprim17ROCPRIM_400000_NS6detail17trampoline_kernelINS0_14default_configENS1_25partition_config_selectorILNS1_17partition_subalgoE3EtNS0_10empty_typeEbEEZZNS1_14partition_implILS5_3ELb0ES3_jN6thrust23THRUST_200600_302600_NS6detail15normal_iteratorINSA_7pointerItNSA_11hip_rocprim3tagENSA_11use_defaultESG_EEEEPS6_SJ_NS0_5tupleIJPtSJ_EEENSK_IJSJ_SJ_EEES6_PlJ7is_evenItEEEE10hipError_tPvRmT3_T4_T5_T6_T7_T9_mT8_P12ihipStream_tbDpT10_ENKUlT_T0_E_clISt17integral_constantIbLb0EES1A_EEDaS15_S16_EUlS15_E_NS1_11comp_targetILNS1_3genE3ELNS1_11target_archE908ELNS1_3gpuE7ELNS1_3repE0EEENS1_30default_config_static_selectorELNS0_4arch9wavefront6targetE1EEEvT1_
; %bb.0:
	.section	.rodata,"a",@progbits
	.p2align	6, 0x0
	.amdhsa_kernel _ZN7rocprim17ROCPRIM_400000_NS6detail17trampoline_kernelINS0_14default_configENS1_25partition_config_selectorILNS1_17partition_subalgoE3EtNS0_10empty_typeEbEEZZNS1_14partition_implILS5_3ELb0ES3_jN6thrust23THRUST_200600_302600_NS6detail15normal_iteratorINSA_7pointerItNSA_11hip_rocprim3tagENSA_11use_defaultESG_EEEEPS6_SJ_NS0_5tupleIJPtSJ_EEENSK_IJSJ_SJ_EEES6_PlJ7is_evenItEEEE10hipError_tPvRmT3_T4_T5_T6_T7_T9_mT8_P12ihipStream_tbDpT10_ENKUlT_T0_E_clISt17integral_constantIbLb0EES1A_EEDaS15_S16_EUlS15_E_NS1_11comp_targetILNS1_3genE3ELNS1_11target_archE908ELNS1_3gpuE7ELNS1_3repE0EEENS1_30default_config_static_selectorELNS0_4arch9wavefront6targetE1EEEvT1_
		.amdhsa_group_segment_fixed_size 0
		.amdhsa_private_segment_fixed_size 0
		.amdhsa_kernarg_size 120
		.amdhsa_user_sgpr_count 6
		.amdhsa_user_sgpr_private_segment_buffer 1
		.amdhsa_user_sgpr_dispatch_ptr 0
		.amdhsa_user_sgpr_queue_ptr 0
		.amdhsa_user_sgpr_kernarg_segment_ptr 1
		.amdhsa_user_sgpr_dispatch_id 0
		.amdhsa_user_sgpr_flat_scratch_init 0
		.amdhsa_user_sgpr_kernarg_preload_length 0
		.amdhsa_user_sgpr_kernarg_preload_offset 0
		.amdhsa_user_sgpr_private_segment_size 0
		.amdhsa_uses_dynamic_stack 0
		.amdhsa_system_sgpr_private_segment_wavefront_offset 0
		.amdhsa_system_sgpr_workgroup_id_x 1
		.amdhsa_system_sgpr_workgroup_id_y 0
		.amdhsa_system_sgpr_workgroup_id_z 0
		.amdhsa_system_sgpr_workgroup_info 0
		.amdhsa_system_vgpr_workitem_id 0
		.amdhsa_next_free_vgpr 1
		.amdhsa_next_free_sgpr 0
		.amdhsa_accum_offset 4
		.amdhsa_reserve_vcc 0
		.amdhsa_reserve_flat_scratch 0
		.amdhsa_float_round_mode_32 0
		.amdhsa_float_round_mode_16_64 0
		.amdhsa_float_denorm_mode_32 3
		.amdhsa_float_denorm_mode_16_64 3
		.amdhsa_dx10_clamp 1
		.amdhsa_ieee_mode 1
		.amdhsa_fp16_overflow 0
		.amdhsa_tg_split 0
		.amdhsa_exception_fp_ieee_invalid_op 0
		.amdhsa_exception_fp_denorm_src 0
		.amdhsa_exception_fp_ieee_div_zero 0
		.amdhsa_exception_fp_ieee_overflow 0
		.amdhsa_exception_fp_ieee_underflow 0
		.amdhsa_exception_fp_ieee_inexact 0
		.amdhsa_exception_int_div_zero 0
	.end_amdhsa_kernel
	.section	.text._ZN7rocprim17ROCPRIM_400000_NS6detail17trampoline_kernelINS0_14default_configENS1_25partition_config_selectorILNS1_17partition_subalgoE3EtNS0_10empty_typeEbEEZZNS1_14partition_implILS5_3ELb0ES3_jN6thrust23THRUST_200600_302600_NS6detail15normal_iteratorINSA_7pointerItNSA_11hip_rocprim3tagENSA_11use_defaultESG_EEEEPS6_SJ_NS0_5tupleIJPtSJ_EEENSK_IJSJ_SJ_EEES6_PlJ7is_evenItEEEE10hipError_tPvRmT3_T4_T5_T6_T7_T9_mT8_P12ihipStream_tbDpT10_ENKUlT_T0_E_clISt17integral_constantIbLb0EES1A_EEDaS15_S16_EUlS15_E_NS1_11comp_targetILNS1_3genE3ELNS1_11target_archE908ELNS1_3gpuE7ELNS1_3repE0EEENS1_30default_config_static_selectorELNS0_4arch9wavefront6targetE1EEEvT1_,"axG",@progbits,_ZN7rocprim17ROCPRIM_400000_NS6detail17trampoline_kernelINS0_14default_configENS1_25partition_config_selectorILNS1_17partition_subalgoE3EtNS0_10empty_typeEbEEZZNS1_14partition_implILS5_3ELb0ES3_jN6thrust23THRUST_200600_302600_NS6detail15normal_iteratorINSA_7pointerItNSA_11hip_rocprim3tagENSA_11use_defaultESG_EEEEPS6_SJ_NS0_5tupleIJPtSJ_EEENSK_IJSJ_SJ_EEES6_PlJ7is_evenItEEEE10hipError_tPvRmT3_T4_T5_T6_T7_T9_mT8_P12ihipStream_tbDpT10_ENKUlT_T0_E_clISt17integral_constantIbLb0EES1A_EEDaS15_S16_EUlS15_E_NS1_11comp_targetILNS1_3genE3ELNS1_11target_archE908ELNS1_3gpuE7ELNS1_3repE0EEENS1_30default_config_static_selectorELNS0_4arch9wavefront6targetE1EEEvT1_,comdat
.Lfunc_end1159:
	.size	_ZN7rocprim17ROCPRIM_400000_NS6detail17trampoline_kernelINS0_14default_configENS1_25partition_config_selectorILNS1_17partition_subalgoE3EtNS0_10empty_typeEbEEZZNS1_14partition_implILS5_3ELb0ES3_jN6thrust23THRUST_200600_302600_NS6detail15normal_iteratorINSA_7pointerItNSA_11hip_rocprim3tagENSA_11use_defaultESG_EEEEPS6_SJ_NS0_5tupleIJPtSJ_EEENSK_IJSJ_SJ_EEES6_PlJ7is_evenItEEEE10hipError_tPvRmT3_T4_T5_T6_T7_T9_mT8_P12ihipStream_tbDpT10_ENKUlT_T0_E_clISt17integral_constantIbLb0EES1A_EEDaS15_S16_EUlS15_E_NS1_11comp_targetILNS1_3genE3ELNS1_11target_archE908ELNS1_3gpuE7ELNS1_3repE0EEENS1_30default_config_static_selectorELNS0_4arch9wavefront6targetE1EEEvT1_, .Lfunc_end1159-_ZN7rocprim17ROCPRIM_400000_NS6detail17trampoline_kernelINS0_14default_configENS1_25partition_config_selectorILNS1_17partition_subalgoE3EtNS0_10empty_typeEbEEZZNS1_14partition_implILS5_3ELb0ES3_jN6thrust23THRUST_200600_302600_NS6detail15normal_iteratorINSA_7pointerItNSA_11hip_rocprim3tagENSA_11use_defaultESG_EEEEPS6_SJ_NS0_5tupleIJPtSJ_EEENSK_IJSJ_SJ_EEES6_PlJ7is_evenItEEEE10hipError_tPvRmT3_T4_T5_T6_T7_T9_mT8_P12ihipStream_tbDpT10_ENKUlT_T0_E_clISt17integral_constantIbLb0EES1A_EEDaS15_S16_EUlS15_E_NS1_11comp_targetILNS1_3genE3ELNS1_11target_archE908ELNS1_3gpuE7ELNS1_3repE0EEENS1_30default_config_static_selectorELNS0_4arch9wavefront6targetE1EEEvT1_
                                        ; -- End function
	.section	.AMDGPU.csdata,"",@progbits
; Kernel info:
; codeLenInByte = 0
; NumSgprs: 4
; NumVgprs: 0
; NumAgprs: 0
; TotalNumVgprs: 0
; ScratchSize: 0
; MemoryBound: 0
; FloatMode: 240
; IeeeMode: 1
; LDSByteSize: 0 bytes/workgroup (compile time only)
; SGPRBlocks: 0
; VGPRBlocks: 0
; NumSGPRsForWavesPerEU: 4
; NumVGPRsForWavesPerEU: 1
; AccumOffset: 4
; Occupancy: 8
; WaveLimiterHint : 0
; COMPUTE_PGM_RSRC2:SCRATCH_EN: 0
; COMPUTE_PGM_RSRC2:USER_SGPR: 6
; COMPUTE_PGM_RSRC2:TRAP_HANDLER: 0
; COMPUTE_PGM_RSRC2:TGID_X_EN: 1
; COMPUTE_PGM_RSRC2:TGID_Y_EN: 0
; COMPUTE_PGM_RSRC2:TGID_Z_EN: 0
; COMPUTE_PGM_RSRC2:TIDIG_COMP_CNT: 0
; COMPUTE_PGM_RSRC3_GFX90A:ACCUM_OFFSET: 0
; COMPUTE_PGM_RSRC3_GFX90A:TG_SPLIT: 0
	.section	.text._ZN7rocprim17ROCPRIM_400000_NS6detail17trampoline_kernelINS0_14default_configENS1_25partition_config_selectorILNS1_17partition_subalgoE3EtNS0_10empty_typeEbEEZZNS1_14partition_implILS5_3ELb0ES3_jN6thrust23THRUST_200600_302600_NS6detail15normal_iteratorINSA_7pointerItNSA_11hip_rocprim3tagENSA_11use_defaultESG_EEEEPS6_SJ_NS0_5tupleIJPtSJ_EEENSK_IJSJ_SJ_EEES6_PlJ7is_evenItEEEE10hipError_tPvRmT3_T4_T5_T6_T7_T9_mT8_P12ihipStream_tbDpT10_ENKUlT_T0_E_clISt17integral_constantIbLb0EES1A_EEDaS15_S16_EUlS15_E_NS1_11comp_targetILNS1_3genE2ELNS1_11target_archE906ELNS1_3gpuE6ELNS1_3repE0EEENS1_30default_config_static_selectorELNS0_4arch9wavefront6targetE1EEEvT1_,"axG",@progbits,_ZN7rocprim17ROCPRIM_400000_NS6detail17trampoline_kernelINS0_14default_configENS1_25partition_config_selectorILNS1_17partition_subalgoE3EtNS0_10empty_typeEbEEZZNS1_14partition_implILS5_3ELb0ES3_jN6thrust23THRUST_200600_302600_NS6detail15normal_iteratorINSA_7pointerItNSA_11hip_rocprim3tagENSA_11use_defaultESG_EEEEPS6_SJ_NS0_5tupleIJPtSJ_EEENSK_IJSJ_SJ_EEES6_PlJ7is_evenItEEEE10hipError_tPvRmT3_T4_T5_T6_T7_T9_mT8_P12ihipStream_tbDpT10_ENKUlT_T0_E_clISt17integral_constantIbLb0EES1A_EEDaS15_S16_EUlS15_E_NS1_11comp_targetILNS1_3genE2ELNS1_11target_archE906ELNS1_3gpuE6ELNS1_3repE0EEENS1_30default_config_static_selectorELNS0_4arch9wavefront6targetE1EEEvT1_,comdat
	.protected	_ZN7rocprim17ROCPRIM_400000_NS6detail17trampoline_kernelINS0_14default_configENS1_25partition_config_selectorILNS1_17partition_subalgoE3EtNS0_10empty_typeEbEEZZNS1_14partition_implILS5_3ELb0ES3_jN6thrust23THRUST_200600_302600_NS6detail15normal_iteratorINSA_7pointerItNSA_11hip_rocprim3tagENSA_11use_defaultESG_EEEEPS6_SJ_NS0_5tupleIJPtSJ_EEENSK_IJSJ_SJ_EEES6_PlJ7is_evenItEEEE10hipError_tPvRmT3_T4_T5_T6_T7_T9_mT8_P12ihipStream_tbDpT10_ENKUlT_T0_E_clISt17integral_constantIbLb0EES1A_EEDaS15_S16_EUlS15_E_NS1_11comp_targetILNS1_3genE2ELNS1_11target_archE906ELNS1_3gpuE6ELNS1_3repE0EEENS1_30default_config_static_selectorELNS0_4arch9wavefront6targetE1EEEvT1_ ; -- Begin function _ZN7rocprim17ROCPRIM_400000_NS6detail17trampoline_kernelINS0_14default_configENS1_25partition_config_selectorILNS1_17partition_subalgoE3EtNS0_10empty_typeEbEEZZNS1_14partition_implILS5_3ELb0ES3_jN6thrust23THRUST_200600_302600_NS6detail15normal_iteratorINSA_7pointerItNSA_11hip_rocprim3tagENSA_11use_defaultESG_EEEEPS6_SJ_NS0_5tupleIJPtSJ_EEENSK_IJSJ_SJ_EEES6_PlJ7is_evenItEEEE10hipError_tPvRmT3_T4_T5_T6_T7_T9_mT8_P12ihipStream_tbDpT10_ENKUlT_T0_E_clISt17integral_constantIbLb0EES1A_EEDaS15_S16_EUlS15_E_NS1_11comp_targetILNS1_3genE2ELNS1_11target_archE906ELNS1_3gpuE6ELNS1_3repE0EEENS1_30default_config_static_selectorELNS0_4arch9wavefront6targetE1EEEvT1_
	.globl	_ZN7rocprim17ROCPRIM_400000_NS6detail17trampoline_kernelINS0_14default_configENS1_25partition_config_selectorILNS1_17partition_subalgoE3EtNS0_10empty_typeEbEEZZNS1_14partition_implILS5_3ELb0ES3_jN6thrust23THRUST_200600_302600_NS6detail15normal_iteratorINSA_7pointerItNSA_11hip_rocprim3tagENSA_11use_defaultESG_EEEEPS6_SJ_NS0_5tupleIJPtSJ_EEENSK_IJSJ_SJ_EEES6_PlJ7is_evenItEEEE10hipError_tPvRmT3_T4_T5_T6_T7_T9_mT8_P12ihipStream_tbDpT10_ENKUlT_T0_E_clISt17integral_constantIbLb0EES1A_EEDaS15_S16_EUlS15_E_NS1_11comp_targetILNS1_3genE2ELNS1_11target_archE906ELNS1_3gpuE6ELNS1_3repE0EEENS1_30default_config_static_selectorELNS0_4arch9wavefront6targetE1EEEvT1_
	.p2align	8
	.type	_ZN7rocprim17ROCPRIM_400000_NS6detail17trampoline_kernelINS0_14default_configENS1_25partition_config_selectorILNS1_17partition_subalgoE3EtNS0_10empty_typeEbEEZZNS1_14partition_implILS5_3ELb0ES3_jN6thrust23THRUST_200600_302600_NS6detail15normal_iteratorINSA_7pointerItNSA_11hip_rocprim3tagENSA_11use_defaultESG_EEEEPS6_SJ_NS0_5tupleIJPtSJ_EEENSK_IJSJ_SJ_EEES6_PlJ7is_evenItEEEE10hipError_tPvRmT3_T4_T5_T6_T7_T9_mT8_P12ihipStream_tbDpT10_ENKUlT_T0_E_clISt17integral_constantIbLb0EES1A_EEDaS15_S16_EUlS15_E_NS1_11comp_targetILNS1_3genE2ELNS1_11target_archE906ELNS1_3gpuE6ELNS1_3repE0EEENS1_30default_config_static_selectorELNS0_4arch9wavefront6targetE1EEEvT1_,@function
_ZN7rocprim17ROCPRIM_400000_NS6detail17trampoline_kernelINS0_14default_configENS1_25partition_config_selectorILNS1_17partition_subalgoE3EtNS0_10empty_typeEbEEZZNS1_14partition_implILS5_3ELb0ES3_jN6thrust23THRUST_200600_302600_NS6detail15normal_iteratorINSA_7pointerItNSA_11hip_rocprim3tagENSA_11use_defaultESG_EEEEPS6_SJ_NS0_5tupleIJPtSJ_EEENSK_IJSJ_SJ_EEES6_PlJ7is_evenItEEEE10hipError_tPvRmT3_T4_T5_T6_T7_T9_mT8_P12ihipStream_tbDpT10_ENKUlT_T0_E_clISt17integral_constantIbLb0EES1A_EEDaS15_S16_EUlS15_E_NS1_11comp_targetILNS1_3genE2ELNS1_11target_archE906ELNS1_3gpuE6ELNS1_3repE0EEENS1_30default_config_static_selectorELNS0_4arch9wavefront6targetE1EEEvT1_: ; @_ZN7rocprim17ROCPRIM_400000_NS6detail17trampoline_kernelINS0_14default_configENS1_25partition_config_selectorILNS1_17partition_subalgoE3EtNS0_10empty_typeEbEEZZNS1_14partition_implILS5_3ELb0ES3_jN6thrust23THRUST_200600_302600_NS6detail15normal_iteratorINSA_7pointerItNSA_11hip_rocprim3tagENSA_11use_defaultESG_EEEEPS6_SJ_NS0_5tupleIJPtSJ_EEENSK_IJSJ_SJ_EEES6_PlJ7is_evenItEEEE10hipError_tPvRmT3_T4_T5_T6_T7_T9_mT8_P12ihipStream_tbDpT10_ENKUlT_T0_E_clISt17integral_constantIbLb0EES1A_EEDaS15_S16_EUlS15_E_NS1_11comp_targetILNS1_3genE2ELNS1_11target_archE906ELNS1_3gpuE6ELNS1_3repE0EEENS1_30default_config_static_selectorELNS0_4arch9wavefront6targetE1EEEvT1_
; %bb.0:
	.section	.rodata,"a",@progbits
	.p2align	6, 0x0
	.amdhsa_kernel _ZN7rocprim17ROCPRIM_400000_NS6detail17trampoline_kernelINS0_14default_configENS1_25partition_config_selectorILNS1_17partition_subalgoE3EtNS0_10empty_typeEbEEZZNS1_14partition_implILS5_3ELb0ES3_jN6thrust23THRUST_200600_302600_NS6detail15normal_iteratorINSA_7pointerItNSA_11hip_rocprim3tagENSA_11use_defaultESG_EEEEPS6_SJ_NS0_5tupleIJPtSJ_EEENSK_IJSJ_SJ_EEES6_PlJ7is_evenItEEEE10hipError_tPvRmT3_T4_T5_T6_T7_T9_mT8_P12ihipStream_tbDpT10_ENKUlT_T0_E_clISt17integral_constantIbLb0EES1A_EEDaS15_S16_EUlS15_E_NS1_11comp_targetILNS1_3genE2ELNS1_11target_archE906ELNS1_3gpuE6ELNS1_3repE0EEENS1_30default_config_static_selectorELNS0_4arch9wavefront6targetE1EEEvT1_
		.amdhsa_group_segment_fixed_size 0
		.amdhsa_private_segment_fixed_size 0
		.amdhsa_kernarg_size 120
		.amdhsa_user_sgpr_count 6
		.amdhsa_user_sgpr_private_segment_buffer 1
		.amdhsa_user_sgpr_dispatch_ptr 0
		.amdhsa_user_sgpr_queue_ptr 0
		.amdhsa_user_sgpr_kernarg_segment_ptr 1
		.amdhsa_user_sgpr_dispatch_id 0
		.amdhsa_user_sgpr_flat_scratch_init 0
		.amdhsa_user_sgpr_kernarg_preload_length 0
		.amdhsa_user_sgpr_kernarg_preload_offset 0
		.amdhsa_user_sgpr_private_segment_size 0
		.amdhsa_uses_dynamic_stack 0
		.amdhsa_system_sgpr_private_segment_wavefront_offset 0
		.amdhsa_system_sgpr_workgroup_id_x 1
		.amdhsa_system_sgpr_workgroup_id_y 0
		.amdhsa_system_sgpr_workgroup_id_z 0
		.amdhsa_system_sgpr_workgroup_info 0
		.amdhsa_system_vgpr_workitem_id 0
		.amdhsa_next_free_vgpr 1
		.amdhsa_next_free_sgpr 0
		.amdhsa_accum_offset 4
		.amdhsa_reserve_vcc 0
		.amdhsa_reserve_flat_scratch 0
		.amdhsa_float_round_mode_32 0
		.amdhsa_float_round_mode_16_64 0
		.amdhsa_float_denorm_mode_32 3
		.amdhsa_float_denorm_mode_16_64 3
		.amdhsa_dx10_clamp 1
		.amdhsa_ieee_mode 1
		.amdhsa_fp16_overflow 0
		.amdhsa_tg_split 0
		.amdhsa_exception_fp_ieee_invalid_op 0
		.amdhsa_exception_fp_denorm_src 0
		.amdhsa_exception_fp_ieee_div_zero 0
		.amdhsa_exception_fp_ieee_overflow 0
		.amdhsa_exception_fp_ieee_underflow 0
		.amdhsa_exception_fp_ieee_inexact 0
		.amdhsa_exception_int_div_zero 0
	.end_amdhsa_kernel
	.section	.text._ZN7rocprim17ROCPRIM_400000_NS6detail17trampoline_kernelINS0_14default_configENS1_25partition_config_selectorILNS1_17partition_subalgoE3EtNS0_10empty_typeEbEEZZNS1_14partition_implILS5_3ELb0ES3_jN6thrust23THRUST_200600_302600_NS6detail15normal_iteratorINSA_7pointerItNSA_11hip_rocprim3tagENSA_11use_defaultESG_EEEEPS6_SJ_NS0_5tupleIJPtSJ_EEENSK_IJSJ_SJ_EEES6_PlJ7is_evenItEEEE10hipError_tPvRmT3_T4_T5_T6_T7_T9_mT8_P12ihipStream_tbDpT10_ENKUlT_T0_E_clISt17integral_constantIbLb0EES1A_EEDaS15_S16_EUlS15_E_NS1_11comp_targetILNS1_3genE2ELNS1_11target_archE906ELNS1_3gpuE6ELNS1_3repE0EEENS1_30default_config_static_selectorELNS0_4arch9wavefront6targetE1EEEvT1_,"axG",@progbits,_ZN7rocprim17ROCPRIM_400000_NS6detail17trampoline_kernelINS0_14default_configENS1_25partition_config_selectorILNS1_17partition_subalgoE3EtNS0_10empty_typeEbEEZZNS1_14partition_implILS5_3ELb0ES3_jN6thrust23THRUST_200600_302600_NS6detail15normal_iteratorINSA_7pointerItNSA_11hip_rocprim3tagENSA_11use_defaultESG_EEEEPS6_SJ_NS0_5tupleIJPtSJ_EEENSK_IJSJ_SJ_EEES6_PlJ7is_evenItEEEE10hipError_tPvRmT3_T4_T5_T6_T7_T9_mT8_P12ihipStream_tbDpT10_ENKUlT_T0_E_clISt17integral_constantIbLb0EES1A_EEDaS15_S16_EUlS15_E_NS1_11comp_targetILNS1_3genE2ELNS1_11target_archE906ELNS1_3gpuE6ELNS1_3repE0EEENS1_30default_config_static_selectorELNS0_4arch9wavefront6targetE1EEEvT1_,comdat
.Lfunc_end1160:
	.size	_ZN7rocprim17ROCPRIM_400000_NS6detail17trampoline_kernelINS0_14default_configENS1_25partition_config_selectorILNS1_17partition_subalgoE3EtNS0_10empty_typeEbEEZZNS1_14partition_implILS5_3ELb0ES3_jN6thrust23THRUST_200600_302600_NS6detail15normal_iteratorINSA_7pointerItNSA_11hip_rocprim3tagENSA_11use_defaultESG_EEEEPS6_SJ_NS0_5tupleIJPtSJ_EEENSK_IJSJ_SJ_EEES6_PlJ7is_evenItEEEE10hipError_tPvRmT3_T4_T5_T6_T7_T9_mT8_P12ihipStream_tbDpT10_ENKUlT_T0_E_clISt17integral_constantIbLb0EES1A_EEDaS15_S16_EUlS15_E_NS1_11comp_targetILNS1_3genE2ELNS1_11target_archE906ELNS1_3gpuE6ELNS1_3repE0EEENS1_30default_config_static_selectorELNS0_4arch9wavefront6targetE1EEEvT1_, .Lfunc_end1160-_ZN7rocprim17ROCPRIM_400000_NS6detail17trampoline_kernelINS0_14default_configENS1_25partition_config_selectorILNS1_17partition_subalgoE3EtNS0_10empty_typeEbEEZZNS1_14partition_implILS5_3ELb0ES3_jN6thrust23THRUST_200600_302600_NS6detail15normal_iteratorINSA_7pointerItNSA_11hip_rocprim3tagENSA_11use_defaultESG_EEEEPS6_SJ_NS0_5tupleIJPtSJ_EEENSK_IJSJ_SJ_EEES6_PlJ7is_evenItEEEE10hipError_tPvRmT3_T4_T5_T6_T7_T9_mT8_P12ihipStream_tbDpT10_ENKUlT_T0_E_clISt17integral_constantIbLb0EES1A_EEDaS15_S16_EUlS15_E_NS1_11comp_targetILNS1_3genE2ELNS1_11target_archE906ELNS1_3gpuE6ELNS1_3repE0EEENS1_30default_config_static_selectorELNS0_4arch9wavefront6targetE1EEEvT1_
                                        ; -- End function
	.section	.AMDGPU.csdata,"",@progbits
; Kernel info:
; codeLenInByte = 0
; NumSgprs: 4
; NumVgprs: 0
; NumAgprs: 0
; TotalNumVgprs: 0
; ScratchSize: 0
; MemoryBound: 0
; FloatMode: 240
; IeeeMode: 1
; LDSByteSize: 0 bytes/workgroup (compile time only)
; SGPRBlocks: 0
; VGPRBlocks: 0
; NumSGPRsForWavesPerEU: 4
; NumVGPRsForWavesPerEU: 1
; AccumOffset: 4
; Occupancy: 8
; WaveLimiterHint : 0
; COMPUTE_PGM_RSRC2:SCRATCH_EN: 0
; COMPUTE_PGM_RSRC2:USER_SGPR: 6
; COMPUTE_PGM_RSRC2:TRAP_HANDLER: 0
; COMPUTE_PGM_RSRC2:TGID_X_EN: 1
; COMPUTE_PGM_RSRC2:TGID_Y_EN: 0
; COMPUTE_PGM_RSRC2:TGID_Z_EN: 0
; COMPUTE_PGM_RSRC2:TIDIG_COMP_CNT: 0
; COMPUTE_PGM_RSRC3_GFX90A:ACCUM_OFFSET: 0
; COMPUTE_PGM_RSRC3_GFX90A:TG_SPLIT: 0
	.section	.text._ZN7rocprim17ROCPRIM_400000_NS6detail17trampoline_kernelINS0_14default_configENS1_25partition_config_selectorILNS1_17partition_subalgoE3EtNS0_10empty_typeEbEEZZNS1_14partition_implILS5_3ELb0ES3_jN6thrust23THRUST_200600_302600_NS6detail15normal_iteratorINSA_7pointerItNSA_11hip_rocprim3tagENSA_11use_defaultESG_EEEEPS6_SJ_NS0_5tupleIJPtSJ_EEENSK_IJSJ_SJ_EEES6_PlJ7is_evenItEEEE10hipError_tPvRmT3_T4_T5_T6_T7_T9_mT8_P12ihipStream_tbDpT10_ENKUlT_T0_E_clISt17integral_constantIbLb0EES1A_EEDaS15_S16_EUlS15_E_NS1_11comp_targetILNS1_3genE10ELNS1_11target_archE1200ELNS1_3gpuE4ELNS1_3repE0EEENS1_30default_config_static_selectorELNS0_4arch9wavefront6targetE1EEEvT1_,"axG",@progbits,_ZN7rocprim17ROCPRIM_400000_NS6detail17trampoline_kernelINS0_14default_configENS1_25partition_config_selectorILNS1_17partition_subalgoE3EtNS0_10empty_typeEbEEZZNS1_14partition_implILS5_3ELb0ES3_jN6thrust23THRUST_200600_302600_NS6detail15normal_iteratorINSA_7pointerItNSA_11hip_rocprim3tagENSA_11use_defaultESG_EEEEPS6_SJ_NS0_5tupleIJPtSJ_EEENSK_IJSJ_SJ_EEES6_PlJ7is_evenItEEEE10hipError_tPvRmT3_T4_T5_T6_T7_T9_mT8_P12ihipStream_tbDpT10_ENKUlT_T0_E_clISt17integral_constantIbLb0EES1A_EEDaS15_S16_EUlS15_E_NS1_11comp_targetILNS1_3genE10ELNS1_11target_archE1200ELNS1_3gpuE4ELNS1_3repE0EEENS1_30default_config_static_selectorELNS0_4arch9wavefront6targetE1EEEvT1_,comdat
	.protected	_ZN7rocprim17ROCPRIM_400000_NS6detail17trampoline_kernelINS0_14default_configENS1_25partition_config_selectorILNS1_17partition_subalgoE3EtNS0_10empty_typeEbEEZZNS1_14partition_implILS5_3ELb0ES3_jN6thrust23THRUST_200600_302600_NS6detail15normal_iteratorINSA_7pointerItNSA_11hip_rocprim3tagENSA_11use_defaultESG_EEEEPS6_SJ_NS0_5tupleIJPtSJ_EEENSK_IJSJ_SJ_EEES6_PlJ7is_evenItEEEE10hipError_tPvRmT3_T4_T5_T6_T7_T9_mT8_P12ihipStream_tbDpT10_ENKUlT_T0_E_clISt17integral_constantIbLb0EES1A_EEDaS15_S16_EUlS15_E_NS1_11comp_targetILNS1_3genE10ELNS1_11target_archE1200ELNS1_3gpuE4ELNS1_3repE0EEENS1_30default_config_static_selectorELNS0_4arch9wavefront6targetE1EEEvT1_ ; -- Begin function _ZN7rocprim17ROCPRIM_400000_NS6detail17trampoline_kernelINS0_14default_configENS1_25partition_config_selectorILNS1_17partition_subalgoE3EtNS0_10empty_typeEbEEZZNS1_14partition_implILS5_3ELb0ES3_jN6thrust23THRUST_200600_302600_NS6detail15normal_iteratorINSA_7pointerItNSA_11hip_rocprim3tagENSA_11use_defaultESG_EEEEPS6_SJ_NS0_5tupleIJPtSJ_EEENSK_IJSJ_SJ_EEES6_PlJ7is_evenItEEEE10hipError_tPvRmT3_T4_T5_T6_T7_T9_mT8_P12ihipStream_tbDpT10_ENKUlT_T0_E_clISt17integral_constantIbLb0EES1A_EEDaS15_S16_EUlS15_E_NS1_11comp_targetILNS1_3genE10ELNS1_11target_archE1200ELNS1_3gpuE4ELNS1_3repE0EEENS1_30default_config_static_selectorELNS0_4arch9wavefront6targetE1EEEvT1_
	.globl	_ZN7rocprim17ROCPRIM_400000_NS6detail17trampoline_kernelINS0_14default_configENS1_25partition_config_selectorILNS1_17partition_subalgoE3EtNS0_10empty_typeEbEEZZNS1_14partition_implILS5_3ELb0ES3_jN6thrust23THRUST_200600_302600_NS6detail15normal_iteratorINSA_7pointerItNSA_11hip_rocprim3tagENSA_11use_defaultESG_EEEEPS6_SJ_NS0_5tupleIJPtSJ_EEENSK_IJSJ_SJ_EEES6_PlJ7is_evenItEEEE10hipError_tPvRmT3_T4_T5_T6_T7_T9_mT8_P12ihipStream_tbDpT10_ENKUlT_T0_E_clISt17integral_constantIbLb0EES1A_EEDaS15_S16_EUlS15_E_NS1_11comp_targetILNS1_3genE10ELNS1_11target_archE1200ELNS1_3gpuE4ELNS1_3repE0EEENS1_30default_config_static_selectorELNS0_4arch9wavefront6targetE1EEEvT1_
	.p2align	8
	.type	_ZN7rocprim17ROCPRIM_400000_NS6detail17trampoline_kernelINS0_14default_configENS1_25partition_config_selectorILNS1_17partition_subalgoE3EtNS0_10empty_typeEbEEZZNS1_14partition_implILS5_3ELb0ES3_jN6thrust23THRUST_200600_302600_NS6detail15normal_iteratorINSA_7pointerItNSA_11hip_rocprim3tagENSA_11use_defaultESG_EEEEPS6_SJ_NS0_5tupleIJPtSJ_EEENSK_IJSJ_SJ_EEES6_PlJ7is_evenItEEEE10hipError_tPvRmT3_T4_T5_T6_T7_T9_mT8_P12ihipStream_tbDpT10_ENKUlT_T0_E_clISt17integral_constantIbLb0EES1A_EEDaS15_S16_EUlS15_E_NS1_11comp_targetILNS1_3genE10ELNS1_11target_archE1200ELNS1_3gpuE4ELNS1_3repE0EEENS1_30default_config_static_selectorELNS0_4arch9wavefront6targetE1EEEvT1_,@function
_ZN7rocprim17ROCPRIM_400000_NS6detail17trampoline_kernelINS0_14default_configENS1_25partition_config_selectorILNS1_17partition_subalgoE3EtNS0_10empty_typeEbEEZZNS1_14partition_implILS5_3ELb0ES3_jN6thrust23THRUST_200600_302600_NS6detail15normal_iteratorINSA_7pointerItNSA_11hip_rocprim3tagENSA_11use_defaultESG_EEEEPS6_SJ_NS0_5tupleIJPtSJ_EEENSK_IJSJ_SJ_EEES6_PlJ7is_evenItEEEE10hipError_tPvRmT3_T4_T5_T6_T7_T9_mT8_P12ihipStream_tbDpT10_ENKUlT_T0_E_clISt17integral_constantIbLb0EES1A_EEDaS15_S16_EUlS15_E_NS1_11comp_targetILNS1_3genE10ELNS1_11target_archE1200ELNS1_3gpuE4ELNS1_3repE0EEENS1_30default_config_static_selectorELNS0_4arch9wavefront6targetE1EEEvT1_: ; @_ZN7rocprim17ROCPRIM_400000_NS6detail17trampoline_kernelINS0_14default_configENS1_25partition_config_selectorILNS1_17partition_subalgoE3EtNS0_10empty_typeEbEEZZNS1_14partition_implILS5_3ELb0ES3_jN6thrust23THRUST_200600_302600_NS6detail15normal_iteratorINSA_7pointerItNSA_11hip_rocprim3tagENSA_11use_defaultESG_EEEEPS6_SJ_NS0_5tupleIJPtSJ_EEENSK_IJSJ_SJ_EEES6_PlJ7is_evenItEEEE10hipError_tPvRmT3_T4_T5_T6_T7_T9_mT8_P12ihipStream_tbDpT10_ENKUlT_T0_E_clISt17integral_constantIbLb0EES1A_EEDaS15_S16_EUlS15_E_NS1_11comp_targetILNS1_3genE10ELNS1_11target_archE1200ELNS1_3gpuE4ELNS1_3repE0EEENS1_30default_config_static_selectorELNS0_4arch9wavefront6targetE1EEEvT1_
; %bb.0:
	.section	.rodata,"a",@progbits
	.p2align	6, 0x0
	.amdhsa_kernel _ZN7rocprim17ROCPRIM_400000_NS6detail17trampoline_kernelINS0_14default_configENS1_25partition_config_selectorILNS1_17partition_subalgoE3EtNS0_10empty_typeEbEEZZNS1_14partition_implILS5_3ELb0ES3_jN6thrust23THRUST_200600_302600_NS6detail15normal_iteratorINSA_7pointerItNSA_11hip_rocprim3tagENSA_11use_defaultESG_EEEEPS6_SJ_NS0_5tupleIJPtSJ_EEENSK_IJSJ_SJ_EEES6_PlJ7is_evenItEEEE10hipError_tPvRmT3_T4_T5_T6_T7_T9_mT8_P12ihipStream_tbDpT10_ENKUlT_T0_E_clISt17integral_constantIbLb0EES1A_EEDaS15_S16_EUlS15_E_NS1_11comp_targetILNS1_3genE10ELNS1_11target_archE1200ELNS1_3gpuE4ELNS1_3repE0EEENS1_30default_config_static_selectorELNS0_4arch9wavefront6targetE1EEEvT1_
		.amdhsa_group_segment_fixed_size 0
		.amdhsa_private_segment_fixed_size 0
		.amdhsa_kernarg_size 120
		.amdhsa_user_sgpr_count 6
		.amdhsa_user_sgpr_private_segment_buffer 1
		.amdhsa_user_sgpr_dispatch_ptr 0
		.amdhsa_user_sgpr_queue_ptr 0
		.amdhsa_user_sgpr_kernarg_segment_ptr 1
		.amdhsa_user_sgpr_dispatch_id 0
		.amdhsa_user_sgpr_flat_scratch_init 0
		.amdhsa_user_sgpr_kernarg_preload_length 0
		.amdhsa_user_sgpr_kernarg_preload_offset 0
		.amdhsa_user_sgpr_private_segment_size 0
		.amdhsa_uses_dynamic_stack 0
		.amdhsa_system_sgpr_private_segment_wavefront_offset 0
		.amdhsa_system_sgpr_workgroup_id_x 1
		.amdhsa_system_sgpr_workgroup_id_y 0
		.amdhsa_system_sgpr_workgroup_id_z 0
		.amdhsa_system_sgpr_workgroup_info 0
		.amdhsa_system_vgpr_workitem_id 0
		.amdhsa_next_free_vgpr 1
		.amdhsa_next_free_sgpr 0
		.amdhsa_accum_offset 4
		.amdhsa_reserve_vcc 0
		.amdhsa_reserve_flat_scratch 0
		.amdhsa_float_round_mode_32 0
		.amdhsa_float_round_mode_16_64 0
		.amdhsa_float_denorm_mode_32 3
		.amdhsa_float_denorm_mode_16_64 3
		.amdhsa_dx10_clamp 1
		.amdhsa_ieee_mode 1
		.amdhsa_fp16_overflow 0
		.amdhsa_tg_split 0
		.amdhsa_exception_fp_ieee_invalid_op 0
		.amdhsa_exception_fp_denorm_src 0
		.amdhsa_exception_fp_ieee_div_zero 0
		.amdhsa_exception_fp_ieee_overflow 0
		.amdhsa_exception_fp_ieee_underflow 0
		.amdhsa_exception_fp_ieee_inexact 0
		.amdhsa_exception_int_div_zero 0
	.end_amdhsa_kernel
	.section	.text._ZN7rocprim17ROCPRIM_400000_NS6detail17trampoline_kernelINS0_14default_configENS1_25partition_config_selectorILNS1_17partition_subalgoE3EtNS0_10empty_typeEbEEZZNS1_14partition_implILS5_3ELb0ES3_jN6thrust23THRUST_200600_302600_NS6detail15normal_iteratorINSA_7pointerItNSA_11hip_rocprim3tagENSA_11use_defaultESG_EEEEPS6_SJ_NS0_5tupleIJPtSJ_EEENSK_IJSJ_SJ_EEES6_PlJ7is_evenItEEEE10hipError_tPvRmT3_T4_T5_T6_T7_T9_mT8_P12ihipStream_tbDpT10_ENKUlT_T0_E_clISt17integral_constantIbLb0EES1A_EEDaS15_S16_EUlS15_E_NS1_11comp_targetILNS1_3genE10ELNS1_11target_archE1200ELNS1_3gpuE4ELNS1_3repE0EEENS1_30default_config_static_selectorELNS0_4arch9wavefront6targetE1EEEvT1_,"axG",@progbits,_ZN7rocprim17ROCPRIM_400000_NS6detail17trampoline_kernelINS0_14default_configENS1_25partition_config_selectorILNS1_17partition_subalgoE3EtNS0_10empty_typeEbEEZZNS1_14partition_implILS5_3ELb0ES3_jN6thrust23THRUST_200600_302600_NS6detail15normal_iteratorINSA_7pointerItNSA_11hip_rocprim3tagENSA_11use_defaultESG_EEEEPS6_SJ_NS0_5tupleIJPtSJ_EEENSK_IJSJ_SJ_EEES6_PlJ7is_evenItEEEE10hipError_tPvRmT3_T4_T5_T6_T7_T9_mT8_P12ihipStream_tbDpT10_ENKUlT_T0_E_clISt17integral_constantIbLb0EES1A_EEDaS15_S16_EUlS15_E_NS1_11comp_targetILNS1_3genE10ELNS1_11target_archE1200ELNS1_3gpuE4ELNS1_3repE0EEENS1_30default_config_static_selectorELNS0_4arch9wavefront6targetE1EEEvT1_,comdat
.Lfunc_end1161:
	.size	_ZN7rocprim17ROCPRIM_400000_NS6detail17trampoline_kernelINS0_14default_configENS1_25partition_config_selectorILNS1_17partition_subalgoE3EtNS0_10empty_typeEbEEZZNS1_14partition_implILS5_3ELb0ES3_jN6thrust23THRUST_200600_302600_NS6detail15normal_iteratorINSA_7pointerItNSA_11hip_rocprim3tagENSA_11use_defaultESG_EEEEPS6_SJ_NS0_5tupleIJPtSJ_EEENSK_IJSJ_SJ_EEES6_PlJ7is_evenItEEEE10hipError_tPvRmT3_T4_T5_T6_T7_T9_mT8_P12ihipStream_tbDpT10_ENKUlT_T0_E_clISt17integral_constantIbLb0EES1A_EEDaS15_S16_EUlS15_E_NS1_11comp_targetILNS1_3genE10ELNS1_11target_archE1200ELNS1_3gpuE4ELNS1_3repE0EEENS1_30default_config_static_selectorELNS0_4arch9wavefront6targetE1EEEvT1_, .Lfunc_end1161-_ZN7rocprim17ROCPRIM_400000_NS6detail17trampoline_kernelINS0_14default_configENS1_25partition_config_selectorILNS1_17partition_subalgoE3EtNS0_10empty_typeEbEEZZNS1_14partition_implILS5_3ELb0ES3_jN6thrust23THRUST_200600_302600_NS6detail15normal_iteratorINSA_7pointerItNSA_11hip_rocprim3tagENSA_11use_defaultESG_EEEEPS6_SJ_NS0_5tupleIJPtSJ_EEENSK_IJSJ_SJ_EEES6_PlJ7is_evenItEEEE10hipError_tPvRmT3_T4_T5_T6_T7_T9_mT8_P12ihipStream_tbDpT10_ENKUlT_T0_E_clISt17integral_constantIbLb0EES1A_EEDaS15_S16_EUlS15_E_NS1_11comp_targetILNS1_3genE10ELNS1_11target_archE1200ELNS1_3gpuE4ELNS1_3repE0EEENS1_30default_config_static_selectorELNS0_4arch9wavefront6targetE1EEEvT1_
                                        ; -- End function
	.section	.AMDGPU.csdata,"",@progbits
; Kernel info:
; codeLenInByte = 0
; NumSgprs: 4
; NumVgprs: 0
; NumAgprs: 0
; TotalNumVgprs: 0
; ScratchSize: 0
; MemoryBound: 0
; FloatMode: 240
; IeeeMode: 1
; LDSByteSize: 0 bytes/workgroup (compile time only)
; SGPRBlocks: 0
; VGPRBlocks: 0
; NumSGPRsForWavesPerEU: 4
; NumVGPRsForWavesPerEU: 1
; AccumOffset: 4
; Occupancy: 8
; WaveLimiterHint : 0
; COMPUTE_PGM_RSRC2:SCRATCH_EN: 0
; COMPUTE_PGM_RSRC2:USER_SGPR: 6
; COMPUTE_PGM_RSRC2:TRAP_HANDLER: 0
; COMPUTE_PGM_RSRC2:TGID_X_EN: 1
; COMPUTE_PGM_RSRC2:TGID_Y_EN: 0
; COMPUTE_PGM_RSRC2:TGID_Z_EN: 0
; COMPUTE_PGM_RSRC2:TIDIG_COMP_CNT: 0
; COMPUTE_PGM_RSRC3_GFX90A:ACCUM_OFFSET: 0
; COMPUTE_PGM_RSRC3_GFX90A:TG_SPLIT: 0
	.section	.text._ZN7rocprim17ROCPRIM_400000_NS6detail17trampoline_kernelINS0_14default_configENS1_25partition_config_selectorILNS1_17partition_subalgoE3EtNS0_10empty_typeEbEEZZNS1_14partition_implILS5_3ELb0ES3_jN6thrust23THRUST_200600_302600_NS6detail15normal_iteratorINSA_7pointerItNSA_11hip_rocprim3tagENSA_11use_defaultESG_EEEEPS6_SJ_NS0_5tupleIJPtSJ_EEENSK_IJSJ_SJ_EEES6_PlJ7is_evenItEEEE10hipError_tPvRmT3_T4_T5_T6_T7_T9_mT8_P12ihipStream_tbDpT10_ENKUlT_T0_E_clISt17integral_constantIbLb0EES1A_EEDaS15_S16_EUlS15_E_NS1_11comp_targetILNS1_3genE9ELNS1_11target_archE1100ELNS1_3gpuE3ELNS1_3repE0EEENS1_30default_config_static_selectorELNS0_4arch9wavefront6targetE1EEEvT1_,"axG",@progbits,_ZN7rocprim17ROCPRIM_400000_NS6detail17trampoline_kernelINS0_14default_configENS1_25partition_config_selectorILNS1_17partition_subalgoE3EtNS0_10empty_typeEbEEZZNS1_14partition_implILS5_3ELb0ES3_jN6thrust23THRUST_200600_302600_NS6detail15normal_iteratorINSA_7pointerItNSA_11hip_rocprim3tagENSA_11use_defaultESG_EEEEPS6_SJ_NS0_5tupleIJPtSJ_EEENSK_IJSJ_SJ_EEES6_PlJ7is_evenItEEEE10hipError_tPvRmT3_T4_T5_T6_T7_T9_mT8_P12ihipStream_tbDpT10_ENKUlT_T0_E_clISt17integral_constantIbLb0EES1A_EEDaS15_S16_EUlS15_E_NS1_11comp_targetILNS1_3genE9ELNS1_11target_archE1100ELNS1_3gpuE3ELNS1_3repE0EEENS1_30default_config_static_selectorELNS0_4arch9wavefront6targetE1EEEvT1_,comdat
	.protected	_ZN7rocprim17ROCPRIM_400000_NS6detail17trampoline_kernelINS0_14default_configENS1_25partition_config_selectorILNS1_17partition_subalgoE3EtNS0_10empty_typeEbEEZZNS1_14partition_implILS5_3ELb0ES3_jN6thrust23THRUST_200600_302600_NS6detail15normal_iteratorINSA_7pointerItNSA_11hip_rocprim3tagENSA_11use_defaultESG_EEEEPS6_SJ_NS0_5tupleIJPtSJ_EEENSK_IJSJ_SJ_EEES6_PlJ7is_evenItEEEE10hipError_tPvRmT3_T4_T5_T6_T7_T9_mT8_P12ihipStream_tbDpT10_ENKUlT_T0_E_clISt17integral_constantIbLb0EES1A_EEDaS15_S16_EUlS15_E_NS1_11comp_targetILNS1_3genE9ELNS1_11target_archE1100ELNS1_3gpuE3ELNS1_3repE0EEENS1_30default_config_static_selectorELNS0_4arch9wavefront6targetE1EEEvT1_ ; -- Begin function _ZN7rocprim17ROCPRIM_400000_NS6detail17trampoline_kernelINS0_14default_configENS1_25partition_config_selectorILNS1_17partition_subalgoE3EtNS0_10empty_typeEbEEZZNS1_14partition_implILS5_3ELb0ES3_jN6thrust23THRUST_200600_302600_NS6detail15normal_iteratorINSA_7pointerItNSA_11hip_rocprim3tagENSA_11use_defaultESG_EEEEPS6_SJ_NS0_5tupleIJPtSJ_EEENSK_IJSJ_SJ_EEES6_PlJ7is_evenItEEEE10hipError_tPvRmT3_T4_T5_T6_T7_T9_mT8_P12ihipStream_tbDpT10_ENKUlT_T0_E_clISt17integral_constantIbLb0EES1A_EEDaS15_S16_EUlS15_E_NS1_11comp_targetILNS1_3genE9ELNS1_11target_archE1100ELNS1_3gpuE3ELNS1_3repE0EEENS1_30default_config_static_selectorELNS0_4arch9wavefront6targetE1EEEvT1_
	.globl	_ZN7rocprim17ROCPRIM_400000_NS6detail17trampoline_kernelINS0_14default_configENS1_25partition_config_selectorILNS1_17partition_subalgoE3EtNS0_10empty_typeEbEEZZNS1_14partition_implILS5_3ELb0ES3_jN6thrust23THRUST_200600_302600_NS6detail15normal_iteratorINSA_7pointerItNSA_11hip_rocprim3tagENSA_11use_defaultESG_EEEEPS6_SJ_NS0_5tupleIJPtSJ_EEENSK_IJSJ_SJ_EEES6_PlJ7is_evenItEEEE10hipError_tPvRmT3_T4_T5_T6_T7_T9_mT8_P12ihipStream_tbDpT10_ENKUlT_T0_E_clISt17integral_constantIbLb0EES1A_EEDaS15_S16_EUlS15_E_NS1_11comp_targetILNS1_3genE9ELNS1_11target_archE1100ELNS1_3gpuE3ELNS1_3repE0EEENS1_30default_config_static_selectorELNS0_4arch9wavefront6targetE1EEEvT1_
	.p2align	8
	.type	_ZN7rocprim17ROCPRIM_400000_NS6detail17trampoline_kernelINS0_14default_configENS1_25partition_config_selectorILNS1_17partition_subalgoE3EtNS0_10empty_typeEbEEZZNS1_14partition_implILS5_3ELb0ES3_jN6thrust23THRUST_200600_302600_NS6detail15normal_iteratorINSA_7pointerItNSA_11hip_rocprim3tagENSA_11use_defaultESG_EEEEPS6_SJ_NS0_5tupleIJPtSJ_EEENSK_IJSJ_SJ_EEES6_PlJ7is_evenItEEEE10hipError_tPvRmT3_T4_T5_T6_T7_T9_mT8_P12ihipStream_tbDpT10_ENKUlT_T0_E_clISt17integral_constantIbLb0EES1A_EEDaS15_S16_EUlS15_E_NS1_11comp_targetILNS1_3genE9ELNS1_11target_archE1100ELNS1_3gpuE3ELNS1_3repE0EEENS1_30default_config_static_selectorELNS0_4arch9wavefront6targetE1EEEvT1_,@function
_ZN7rocprim17ROCPRIM_400000_NS6detail17trampoline_kernelINS0_14default_configENS1_25partition_config_selectorILNS1_17partition_subalgoE3EtNS0_10empty_typeEbEEZZNS1_14partition_implILS5_3ELb0ES3_jN6thrust23THRUST_200600_302600_NS6detail15normal_iteratorINSA_7pointerItNSA_11hip_rocprim3tagENSA_11use_defaultESG_EEEEPS6_SJ_NS0_5tupleIJPtSJ_EEENSK_IJSJ_SJ_EEES6_PlJ7is_evenItEEEE10hipError_tPvRmT3_T4_T5_T6_T7_T9_mT8_P12ihipStream_tbDpT10_ENKUlT_T0_E_clISt17integral_constantIbLb0EES1A_EEDaS15_S16_EUlS15_E_NS1_11comp_targetILNS1_3genE9ELNS1_11target_archE1100ELNS1_3gpuE3ELNS1_3repE0EEENS1_30default_config_static_selectorELNS0_4arch9wavefront6targetE1EEEvT1_: ; @_ZN7rocprim17ROCPRIM_400000_NS6detail17trampoline_kernelINS0_14default_configENS1_25partition_config_selectorILNS1_17partition_subalgoE3EtNS0_10empty_typeEbEEZZNS1_14partition_implILS5_3ELb0ES3_jN6thrust23THRUST_200600_302600_NS6detail15normal_iteratorINSA_7pointerItNSA_11hip_rocprim3tagENSA_11use_defaultESG_EEEEPS6_SJ_NS0_5tupleIJPtSJ_EEENSK_IJSJ_SJ_EEES6_PlJ7is_evenItEEEE10hipError_tPvRmT3_T4_T5_T6_T7_T9_mT8_P12ihipStream_tbDpT10_ENKUlT_T0_E_clISt17integral_constantIbLb0EES1A_EEDaS15_S16_EUlS15_E_NS1_11comp_targetILNS1_3genE9ELNS1_11target_archE1100ELNS1_3gpuE3ELNS1_3repE0EEENS1_30default_config_static_selectorELNS0_4arch9wavefront6targetE1EEEvT1_
; %bb.0:
	.section	.rodata,"a",@progbits
	.p2align	6, 0x0
	.amdhsa_kernel _ZN7rocprim17ROCPRIM_400000_NS6detail17trampoline_kernelINS0_14default_configENS1_25partition_config_selectorILNS1_17partition_subalgoE3EtNS0_10empty_typeEbEEZZNS1_14partition_implILS5_3ELb0ES3_jN6thrust23THRUST_200600_302600_NS6detail15normal_iteratorINSA_7pointerItNSA_11hip_rocprim3tagENSA_11use_defaultESG_EEEEPS6_SJ_NS0_5tupleIJPtSJ_EEENSK_IJSJ_SJ_EEES6_PlJ7is_evenItEEEE10hipError_tPvRmT3_T4_T5_T6_T7_T9_mT8_P12ihipStream_tbDpT10_ENKUlT_T0_E_clISt17integral_constantIbLb0EES1A_EEDaS15_S16_EUlS15_E_NS1_11comp_targetILNS1_3genE9ELNS1_11target_archE1100ELNS1_3gpuE3ELNS1_3repE0EEENS1_30default_config_static_selectorELNS0_4arch9wavefront6targetE1EEEvT1_
		.amdhsa_group_segment_fixed_size 0
		.amdhsa_private_segment_fixed_size 0
		.amdhsa_kernarg_size 120
		.amdhsa_user_sgpr_count 6
		.amdhsa_user_sgpr_private_segment_buffer 1
		.amdhsa_user_sgpr_dispatch_ptr 0
		.amdhsa_user_sgpr_queue_ptr 0
		.amdhsa_user_sgpr_kernarg_segment_ptr 1
		.amdhsa_user_sgpr_dispatch_id 0
		.amdhsa_user_sgpr_flat_scratch_init 0
		.amdhsa_user_sgpr_kernarg_preload_length 0
		.amdhsa_user_sgpr_kernarg_preload_offset 0
		.amdhsa_user_sgpr_private_segment_size 0
		.amdhsa_uses_dynamic_stack 0
		.amdhsa_system_sgpr_private_segment_wavefront_offset 0
		.amdhsa_system_sgpr_workgroup_id_x 1
		.amdhsa_system_sgpr_workgroup_id_y 0
		.amdhsa_system_sgpr_workgroup_id_z 0
		.amdhsa_system_sgpr_workgroup_info 0
		.amdhsa_system_vgpr_workitem_id 0
		.amdhsa_next_free_vgpr 1
		.amdhsa_next_free_sgpr 0
		.amdhsa_accum_offset 4
		.amdhsa_reserve_vcc 0
		.amdhsa_reserve_flat_scratch 0
		.amdhsa_float_round_mode_32 0
		.amdhsa_float_round_mode_16_64 0
		.amdhsa_float_denorm_mode_32 3
		.amdhsa_float_denorm_mode_16_64 3
		.amdhsa_dx10_clamp 1
		.amdhsa_ieee_mode 1
		.amdhsa_fp16_overflow 0
		.amdhsa_tg_split 0
		.amdhsa_exception_fp_ieee_invalid_op 0
		.amdhsa_exception_fp_denorm_src 0
		.amdhsa_exception_fp_ieee_div_zero 0
		.amdhsa_exception_fp_ieee_overflow 0
		.amdhsa_exception_fp_ieee_underflow 0
		.amdhsa_exception_fp_ieee_inexact 0
		.amdhsa_exception_int_div_zero 0
	.end_amdhsa_kernel
	.section	.text._ZN7rocprim17ROCPRIM_400000_NS6detail17trampoline_kernelINS0_14default_configENS1_25partition_config_selectorILNS1_17partition_subalgoE3EtNS0_10empty_typeEbEEZZNS1_14partition_implILS5_3ELb0ES3_jN6thrust23THRUST_200600_302600_NS6detail15normal_iteratorINSA_7pointerItNSA_11hip_rocprim3tagENSA_11use_defaultESG_EEEEPS6_SJ_NS0_5tupleIJPtSJ_EEENSK_IJSJ_SJ_EEES6_PlJ7is_evenItEEEE10hipError_tPvRmT3_T4_T5_T6_T7_T9_mT8_P12ihipStream_tbDpT10_ENKUlT_T0_E_clISt17integral_constantIbLb0EES1A_EEDaS15_S16_EUlS15_E_NS1_11comp_targetILNS1_3genE9ELNS1_11target_archE1100ELNS1_3gpuE3ELNS1_3repE0EEENS1_30default_config_static_selectorELNS0_4arch9wavefront6targetE1EEEvT1_,"axG",@progbits,_ZN7rocprim17ROCPRIM_400000_NS6detail17trampoline_kernelINS0_14default_configENS1_25partition_config_selectorILNS1_17partition_subalgoE3EtNS0_10empty_typeEbEEZZNS1_14partition_implILS5_3ELb0ES3_jN6thrust23THRUST_200600_302600_NS6detail15normal_iteratorINSA_7pointerItNSA_11hip_rocprim3tagENSA_11use_defaultESG_EEEEPS6_SJ_NS0_5tupleIJPtSJ_EEENSK_IJSJ_SJ_EEES6_PlJ7is_evenItEEEE10hipError_tPvRmT3_T4_T5_T6_T7_T9_mT8_P12ihipStream_tbDpT10_ENKUlT_T0_E_clISt17integral_constantIbLb0EES1A_EEDaS15_S16_EUlS15_E_NS1_11comp_targetILNS1_3genE9ELNS1_11target_archE1100ELNS1_3gpuE3ELNS1_3repE0EEENS1_30default_config_static_selectorELNS0_4arch9wavefront6targetE1EEEvT1_,comdat
.Lfunc_end1162:
	.size	_ZN7rocprim17ROCPRIM_400000_NS6detail17trampoline_kernelINS0_14default_configENS1_25partition_config_selectorILNS1_17partition_subalgoE3EtNS0_10empty_typeEbEEZZNS1_14partition_implILS5_3ELb0ES3_jN6thrust23THRUST_200600_302600_NS6detail15normal_iteratorINSA_7pointerItNSA_11hip_rocprim3tagENSA_11use_defaultESG_EEEEPS6_SJ_NS0_5tupleIJPtSJ_EEENSK_IJSJ_SJ_EEES6_PlJ7is_evenItEEEE10hipError_tPvRmT3_T4_T5_T6_T7_T9_mT8_P12ihipStream_tbDpT10_ENKUlT_T0_E_clISt17integral_constantIbLb0EES1A_EEDaS15_S16_EUlS15_E_NS1_11comp_targetILNS1_3genE9ELNS1_11target_archE1100ELNS1_3gpuE3ELNS1_3repE0EEENS1_30default_config_static_selectorELNS0_4arch9wavefront6targetE1EEEvT1_, .Lfunc_end1162-_ZN7rocprim17ROCPRIM_400000_NS6detail17trampoline_kernelINS0_14default_configENS1_25partition_config_selectorILNS1_17partition_subalgoE3EtNS0_10empty_typeEbEEZZNS1_14partition_implILS5_3ELb0ES3_jN6thrust23THRUST_200600_302600_NS6detail15normal_iteratorINSA_7pointerItNSA_11hip_rocprim3tagENSA_11use_defaultESG_EEEEPS6_SJ_NS0_5tupleIJPtSJ_EEENSK_IJSJ_SJ_EEES6_PlJ7is_evenItEEEE10hipError_tPvRmT3_T4_T5_T6_T7_T9_mT8_P12ihipStream_tbDpT10_ENKUlT_T0_E_clISt17integral_constantIbLb0EES1A_EEDaS15_S16_EUlS15_E_NS1_11comp_targetILNS1_3genE9ELNS1_11target_archE1100ELNS1_3gpuE3ELNS1_3repE0EEENS1_30default_config_static_selectorELNS0_4arch9wavefront6targetE1EEEvT1_
                                        ; -- End function
	.section	.AMDGPU.csdata,"",@progbits
; Kernel info:
; codeLenInByte = 0
; NumSgprs: 4
; NumVgprs: 0
; NumAgprs: 0
; TotalNumVgprs: 0
; ScratchSize: 0
; MemoryBound: 0
; FloatMode: 240
; IeeeMode: 1
; LDSByteSize: 0 bytes/workgroup (compile time only)
; SGPRBlocks: 0
; VGPRBlocks: 0
; NumSGPRsForWavesPerEU: 4
; NumVGPRsForWavesPerEU: 1
; AccumOffset: 4
; Occupancy: 8
; WaveLimiterHint : 0
; COMPUTE_PGM_RSRC2:SCRATCH_EN: 0
; COMPUTE_PGM_RSRC2:USER_SGPR: 6
; COMPUTE_PGM_RSRC2:TRAP_HANDLER: 0
; COMPUTE_PGM_RSRC2:TGID_X_EN: 1
; COMPUTE_PGM_RSRC2:TGID_Y_EN: 0
; COMPUTE_PGM_RSRC2:TGID_Z_EN: 0
; COMPUTE_PGM_RSRC2:TIDIG_COMP_CNT: 0
; COMPUTE_PGM_RSRC3_GFX90A:ACCUM_OFFSET: 0
; COMPUTE_PGM_RSRC3_GFX90A:TG_SPLIT: 0
	.section	.text._ZN7rocprim17ROCPRIM_400000_NS6detail17trampoline_kernelINS0_14default_configENS1_25partition_config_selectorILNS1_17partition_subalgoE3EtNS0_10empty_typeEbEEZZNS1_14partition_implILS5_3ELb0ES3_jN6thrust23THRUST_200600_302600_NS6detail15normal_iteratorINSA_7pointerItNSA_11hip_rocprim3tagENSA_11use_defaultESG_EEEEPS6_SJ_NS0_5tupleIJPtSJ_EEENSK_IJSJ_SJ_EEES6_PlJ7is_evenItEEEE10hipError_tPvRmT3_T4_T5_T6_T7_T9_mT8_P12ihipStream_tbDpT10_ENKUlT_T0_E_clISt17integral_constantIbLb0EES1A_EEDaS15_S16_EUlS15_E_NS1_11comp_targetILNS1_3genE8ELNS1_11target_archE1030ELNS1_3gpuE2ELNS1_3repE0EEENS1_30default_config_static_selectorELNS0_4arch9wavefront6targetE1EEEvT1_,"axG",@progbits,_ZN7rocprim17ROCPRIM_400000_NS6detail17trampoline_kernelINS0_14default_configENS1_25partition_config_selectorILNS1_17partition_subalgoE3EtNS0_10empty_typeEbEEZZNS1_14partition_implILS5_3ELb0ES3_jN6thrust23THRUST_200600_302600_NS6detail15normal_iteratorINSA_7pointerItNSA_11hip_rocprim3tagENSA_11use_defaultESG_EEEEPS6_SJ_NS0_5tupleIJPtSJ_EEENSK_IJSJ_SJ_EEES6_PlJ7is_evenItEEEE10hipError_tPvRmT3_T4_T5_T6_T7_T9_mT8_P12ihipStream_tbDpT10_ENKUlT_T0_E_clISt17integral_constantIbLb0EES1A_EEDaS15_S16_EUlS15_E_NS1_11comp_targetILNS1_3genE8ELNS1_11target_archE1030ELNS1_3gpuE2ELNS1_3repE0EEENS1_30default_config_static_selectorELNS0_4arch9wavefront6targetE1EEEvT1_,comdat
	.protected	_ZN7rocprim17ROCPRIM_400000_NS6detail17trampoline_kernelINS0_14default_configENS1_25partition_config_selectorILNS1_17partition_subalgoE3EtNS0_10empty_typeEbEEZZNS1_14partition_implILS5_3ELb0ES3_jN6thrust23THRUST_200600_302600_NS6detail15normal_iteratorINSA_7pointerItNSA_11hip_rocprim3tagENSA_11use_defaultESG_EEEEPS6_SJ_NS0_5tupleIJPtSJ_EEENSK_IJSJ_SJ_EEES6_PlJ7is_evenItEEEE10hipError_tPvRmT3_T4_T5_T6_T7_T9_mT8_P12ihipStream_tbDpT10_ENKUlT_T0_E_clISt17integral_constantIbLb0EES1A_EEDaS15_S16_EUlS15_E_NS1_11comp_targetILNS1_3genE8ELNS1_11target_archE1030ELNS1_3gpuE2ELNS1_3repE0EEENS1_30default_config_static_selectorELNS0_4arch9wavefront6targetE1EEEvT1_ ; -- Begin function _ZN7rocprim17ROCPRIM_400000_NS6detail17trampoline_kernelINS0_14default_configENS1_25partition_config_selectorILNS1_17partition_subalgoE3EtNS0_10empty_typeEbEEZZNS1_14partition_implILS5_3ELb0ES3_jN6thrust23THRUST_200600_302600_NS6detail15normal_iteratorINSA_7pointerItNSA_11hip_rocprim3tagENSA_11use_defaultESG_EEEEPS6_SJ_NS0_5tupleIJPtSJ_EEENSK_IJSJ_SJ_EEES6_PlJ7is_evenItEEEE10hipError_tPvRmT3_T4_T5_T6_T7_T9_mT8_P12ihipStream_tbDpT10_ENKUlT_T0_E_clISt17integral_constantIbLb0EES1A_EEDaS15_S16_EUlS15_E_NS1_11comp_targetILNS1_3genE8ELNS1_11target_archE1030ELNS1_3gpuE2ELNS1_3repE0EEENS1_30default_config_static_selectorELNS0_4arch9wavefront6targetE1EEEvT1_
	.globl	_ZN7rocprim17ROCPRIM_400000_NS6detail17trampoline_kernelINS0_14default_configENS1_25partition_config_selectorILNS1_17partition_subalgoE3EtNS0_10empty_typeEbEEZZNS1_14partition_implILS5_3ELb0ES3_jN6thrust23THRUST_200600_302600_NS6detail15normal_iteratorINSA_7pointerItNSA_11hip_rocprim3tagENSA_11use_defaultESG_EEEEPS6_SJ_NS0_5tupleIJPtSJ_EEENSK_IJSJ_SJ_EEES6_PlJ7is_evenItEEEE10hipError_tPvRmT3_T4_T5_T6_T7_T9_mT8_P12ihipStream_tbDpT10_ENKUlT_T0_E_clISt17integral_constantIbLb0EES1A_EEDaS15_S16_EUlS15_E_NS1_11comp_targetILNS1_3genE8ELNS1_11target_archE1030ELNS1_3gpuE2ELNS1_3repE0EEENS1_30default_config_static_selectorELNS0_4arch9wavefront6targetE1EEEvT1_
	.p2align	8
	.type	_ZN7rocprim17ROCPRIM_400000_NS6detail17trampoline_kernelINS0_14default_configENS1_25partition_config_selectorILNS1_17partition_subalgoE3EtNS0_10empty_typeEbEEZZNS1_14partition_implILS5_3ELb0ES3_jN6thrust23THRUST_200600_302600_NS6detail15normal_iteratorINSA_7pointerItNSA_11hip_rocprim3tagENSA_11use_defaultESG_EEEEPS6_SJ_NS0_5tupleIJPtSJ_EEENSK_IJSJ_SJ_EEES6_PlJ7is_evenItEEEE10hipError_tPvRmT3_T4_T5_T6_T7_T9_mT8_P12ihipStream_tbDpT10_ENKUlT_T0_E_clISt17integral_constantIbLb0EES1A_EEDaS15_S16_EUlS15_E_NS1_11comp_targetILNS1_3genE8ELNS1_11target_archE1030ELNS1_3gpuE2ELNS1_3repE0EEENS1_30default_config_static_selectorELNS0_4arch9wavefront6targetE1EEEvT1_,@function
_ZN7rocprim17ROCPRIM_400000_NS6detail17trampoline_kernelINS0_14default_configENS1_25partition_config_selectorILNS1_17partition_subalgoE3EtNS0_10empty_typeEbEEZZNS1_14partition_implILS5_3ELb0ES3_jN6thrust23THRUST_200600_302600_NS6detail15normal_iteratorINSA_7pointerItNSA_11hip_rocprim3tagENSA_11use_defaultESG_EEEEPS6_SJ_NS0_5tupleIJPtSJ_EEENSK_IJSJ_SJ_EEES6_PlJ7is_evenItEEEE10hipError_tPvRmT3_T4_T5_T6_T7_T9_mT8_P12ihipStream_tbDpT10_ENKUlT_T0_E_clISt17integral_constantIbLb0EES1A_EEDaS15_S16_EUlS15_E_NS1_11comp_targetILNS1_3genE8ELNS1_11target_archE1030ELNS1_3gpuE2ELNS1_3repE0EEENS1_30default_config_static_selectorELNS0_4arch9wavefront6targetE1EEEvT1_: ; @_ZN7rocprim17ROCPRIM_400000_NS6detail17trampoline_kernelINS0_14default_configENS1_25partition_config_selectorILNS1_17partition_subalgoE3EtNS0_10empty_typeEbEEZZNS1_14partition_implILS5_3ELb0ES3_jN6thrust23THRUST_200600_302600_NS6detail15normal_iteratorINSA_7pointerItNSA_11hip_rocprim3tagENSA_11use_defaultESG_EEEEPS6_SJ_NS0_5tupleIJPtSJ_EEENSK_IJSJ_SJ_EEES6_PlJ7is_evenItEEEE10hipError_tPvRmT3_T4_T5_T6_T7_T9_mT8_P12ihipStream_tbDpT10_ENKUlT_T0_E_clISt17integral_constantIbLb0EES1A_EEDaS15_S16_EUlS15_E_NS1_11comp_targetILNS1_3genE8ELNS1_11target_archE1030ELNS1_3gpuE2ELNS1_3repE0EEENS1_30default_config_static_selectorELNS0_4arch9wavefront6targetE1EEEvT1_
; %bb.0:
	.section	.rodata,"a",@progbits
	.p2align	6, 0x0
	.amdhsa_kernel _ZN7rocprim17ROCPRIM_400000_NS6detail17trampoline_kernelINS0_14default_configENS1_25partition_config_selectorILNS1_17partition_subalgoE3EtNS0_10empty_typeEbEEZZNS1_14partition_implILS5_3ELb0ES3_jN6thrust23THRUST_200600_302600_NS6detail15normal_iteratorINSA_7pointerItNSA_11hip_rocprim3tagENSA_11use_defaultESG_EEEEPS6_SJ_NS0_5tupleIJPtSJ_EEENSK_IJSJ_SJ_EEES6_PlJ7is_evenItEEEE10hipError_tPvRmT3_T4_T5_T6_T7_T9_mT8_P12ihipStream_tbDpT10_ENKUlT_T0_E_clISt17integral_constantIbLb0EES1A_EEDaS15_S16_EUlS15_E_NS1_11comp_targetILNS1_3genE8ELNS1_11target_archE1030ELNS1_3gpuE2ELNS1_3repE0EEENS1_30default_config_static_selectorELNS0_4arch9wavefront6targetE1EEEvT1_
		.amdhsa_group_segment_fixed_size 0
		.amdhsa_private_segment_fixed_size 0
		.amdhsa_kernarg_size 120
		.amdhsa_user_sgpr_count 6
		.amdhsa_user_sgpr_private_segment_buffer 1
		.amdhsa_user_sgpr_dispatch_ptr 0
		.amdhsa_user_sgpr_queue_ptr 0
		.amdhsa_user_sgpr_kernarg_segment_ptr 1
		.amdhsa_user_sgpr_dispatch_id 0
		.amdhsa_user_sgpr_flat_scratch_init 0
		.amdhsa_user_sgpr_kernarg_preload_length 0
		.amdhsa_user_sgpr_kernarg_preload_offset 0
		.amdhsa_user_sgpr_private_segment_size 0
		.amdhsa_uses_dynamic_stack 0
		.amdhsa_system_sgpr_private_segment_wavefront_offset 0
		.amdhsa_system_sgpr_workgroup_id_x 1
		.amdhsa_system_sgpr_workgroup_id_y 0
		.amdhsa_system_sgpr_workgroup_id_z 0
		.amdhsa_system_sgpr_workgroup_info 0
		.amdhsa_system_vgpr_workitem_id 0
		.amdhsa_next_free_vgpr 1
		.amdhsa_next_free_sgpr 0
		.amdhsa_accum_offset 4
		.amdhsa_reserve_vcc 0
		.amdhsa_reserve_flat_scratch 0
		.amdhsa_float_round_mode_32 0
		.amdhsa_float_round_mode_16_64 0
		.amdhsa_float_denorm_mode_32 3
		.amdhsa_float_denorm_mode_16_64 3
		.amdhsa_dx10_clamp 1
		.amdhsa_ieee_mode 1
		.amdhsa_fp16_overflow 0
		.amdhsa_tg_split 0
		.amdhsa_exception_fp_ieee_invalid_op 0
		.amdhsa_exception_fp_denorm_src 0
		.amdhsa_exception_fp_ieee_div_zero 0
		.amdhsa_exception_fp_ieee_overflow 0
		.amdhsa_exception_fp_ieee_underflow 0
		.amdhsa_exception_fp_ieee_inexact 0
		.amdhsa_exception_int_div_zero 0
	.end_amdhsa_kernel
	.section	.text._ZN7rocprim17ROCPRIM_400000_NS6detail17trampoline_kernelINS0_14default_configENS1_25partition_config_selectorILNS1_17partition_subalgoE3EtNS0_10empty_typeEbEEZZNS1_14partition_implILS5_3ELb0ES3_jN6thrust23THRUST_200600_302600_NS6detail15normal_iteratorINSA_7pointerItNSA_11hip_rocprim3tagENSA_11use_defaultESG_EEEEPS6_SJ_NS0_5tupleIJPtSJ_EEENSK_IJSJ_SJ_EEES6_PlJ7is_evenItEEEE10hipError_tPvRmT3_T4_T5_T6_T7_T9_mT8_P12ihipStream_tbDpT10_ENKUlT_T0_E_clISt17integral_constantIbLb0EES1A_EEDaS15_S16_EUlS15_E_NS1_11comp_targetILNS1_3genE8ELNS1_11target_archE1030ELNS1_3gpuE2ELNS1_3repE0EEENS1_30default_config_static_selectorELNS0_4arch9wavefront6targetE1EEEvT1_,"axG",@progbits,_ZN7rocprim17ROCPRIM_400000_NS6detail17trampoline_kernelINS0_14default_configENS1_25partition_config_selectorILNS1_17partition_subalgoE3EtNS0_10empty_typeEbEEZZNS1_14partition_implILS5_3ELb0ES3_jN6thrust23THRUST_200600_302600_NS6detail15normal_iteratorINSA_7pointerItNSA_11hip_rocprim3tagENSA_11use_defaultESG_EEEEPS6_SJ_NS0_5tupleIJPtSJ_EEENSK_IJSJ_SJ_EEES6_PlJ7is_evenItEEEE10hipError_tPvRmT3_T4_T5_T6_T7_T9_mT8_P12ihipStream_tbDpT10_ENKUlT_T0_E_clISt17integral_constantIbLb0EES1A_EEDaS15_S16_EUlS15_E_NS1_11comp_targetILNS1_3genE8ELNS1_11target_archE1030ELNS1_3gpuE2ELNS1_3repE0EEENS1_30default_config_static_selectorELNS0_4arch9wavefront6targetE1EEEvT1_,comdat
.Lfunc_end1163:
	.size	_ZN7rocprim17ROCPRIM_400000_NS6detail17trampoline_kernelINS0_14default_configENS1_25partition_config_selectorILNS1_17partition_subalgoE3EtNS0_10empty_typeEbEEZZNS1_14partition_implILS5_3ELb0ES3_jN6thrust23THRUST_200600_302600_NS6detail15normal_iteratorINSA_7pointerItNSA_11hip_rocprim3tagENSA_11use_defaultESG_EEEEPS6_SJ_NS0_5tupleIJPtSJ_EEENSK_IJSJ_SJ_EEES6_PlJ7is_evenItEEEE10hipError_tPvRmT3_T4_T5_T6_T7_T9_mT8_P12ihipStream_tbDpT10_ENKUlT_T0_E_clISt17integral_constantIbLb0EES1A_EEDaS15_S16_EUlS15_E_NS1_11comp_targetILNS1_3genE8ELNS1_11target_archE1030ELNS1_3gpuE2ELNS1_3repE0EEENS1_30default_config_static_selectorELNS0_4arch9wavefront6targetE1EEEvT1_, .Lfunc_end1163-_ZN7rocprim17ROCPRIM_400000_NS6detail17trampoline_kernelINS0_14default_configENS1_25partition_config_selectorILNS1_17partition_subalgoE3EtNS0_10empty_typeEbEEZZNS1_14partition_implILS5_3ELb0ES3_jN6thrust23THRUST_200600_302600_NS6detail15normal_iteratorINSA_7pointerItNSA_11hip_rocprim3tagENSA_11use_defaultESG_EEEEPS6_SJ_NS0_5tupleIJPtSJ_EEENSK_IJSJ_SJ_EEES6_PlJ7is_evenItEEEE10hipError_tPvRmT3_T4_T5_T6_T7_T9_mT8_P12ihipStream_tbDpT10_ENKUlT_T0_E_clISt17integral_constantIbLb0EES1A_EEDaS15_S16_EUlS15_E_NS1_11comp_targetILNS1_3genE8ELNS1_11target_archE1030ELNS1_3gpuE2ELNS1_3repE0EEENS1_30default_config_static_selectorELNS0_4arch9wavefront6targetE1EEEvT1_
                                        ; -- End function
	.section	.AMDGPU.csdata,"",@progbits
; Kernel info:
; codeLenInByte = 0
; NumSgprs: 4
; NumVgprs: 0
; NumAgprs: 0
; TotalNumVgprs: 0
; ScratchSize: 0
; MemoryBound: 0
; FloatMode: 240
; IeeeMode: 1
; LDSByteSize: 0 bytes/workgroup (compile time only)
; SGPRBlocks: 0
; VGPRBlocks: 0
; NumSGPRsForWavesPerEU: 4
; NumVGPRsForWavesPerEU: 1
; AccumOffset: 4
; Occupancy: 8
; WaveLimiterHint : 0
; COMPUTE_PGM_RSRC2:SCRATCH_EN: 0
; COMPUTE_PGM_RSRC2:USER_SGPR: 6
; COMPUTE_PGM_RSRC2:TRAP_HANDLER: 0
; COMPUTE_PGM_RSRC2:TGID_X_EN: 1
; COMPUTE_PGM_RSRC2:TGID_Y_EN: 0
; COMPUTE_PGM_RSRC2:TGID_Z_EN: 0
; COMPUTE_PGM_RSRC2:TIDIG_COMP_CNT: 0
; COMPUTE_PGM_RSRC3_GFX90A:ACCUM_OFFSET: 0
; COMPUTE_PGM_RSRC3_GFX90A:TG_SPLIT: 0
	.section	.text._ZN7rocprim17ROCPRIM_400000_NS6detail17trampoline_kernelINS0_14default_configENS1_25partition_config_selectorILNS1_17partition_subalgoE3EtNS0_10empty_typeEbEEZZNS1_14partition_implILS5_3ELb0ES3_jN6thrust23THRUST_200600_302600_NS6detail15normal_iteratorINSA_7pointerItNSA_11hip_rocprim3tagENSA_11use_defaultESG_EEEEPS6_SJ_NS0_5tupleIJPtSJ_EEENSK_IJSJ_SJ_EEES6_PlJ7is_evenItEEEE10hipError_tPvRmT3_T4_T5_T6_T7_T9_mT8_P12ihipStream_tbDpT10_ENKUlT_T0_E_clISt17integral_constantIbLb1EES1A_EEDaS15_S16_EUlS15_E_NS1_11comp_targetILNS1_3genE0ELNS1_11target_archE4294967295ELNS1_3gpuE0ELNS1_3repE0EEENS1_30default_config_static_selectorELNS0_4arch9wavefront6targetE1EEEvT1_,"axG",@progbits,_ZN7rocprim17ROCPRIM_400000_NS6detail17trampoline_kernelINS0_14default_configENS1_25partition_config_selectorILNS1_17partition_subalgoE3EtNS0_10empty_typeEbEEZZNS1_14partition_implILS5_3ELb0ES3_jN6thrust23THRUST_200600_302600_NS6detail15normal_iteratorINSA_7pointerItNSA_11hip_rocprim3tagENSA_11use_defaultESG_EEEEPS6_SJ_NS0_5tupleIJPtSJ_EEENSK_IJSJ_SJ_EEES6_PlJ7is_evenItEEEE10hipError_tPvRmT3_T4_T5_T6_T7_T9_mT8_P12ihipStream_tbDpT10_ENKUlT_T0_E_clISt17integral_constantIbLb1EES1A_EEDaS15_S16_EUlS15_E_NS1_11comp_targetILNS1_3genE0ELNS1_11target_archE4294967295ELNS1_3gpuE0ELNS1_3repE0EEENS1_30default_config_static_selectorELNS0_4arch9wavefront6targetE1EEEvT1_,comdat
	.protected	_ZN7rocprim17ROCPRIM_400000_NS6detail17trampoline_kernelINS0_14default_configENS1_25partition_config_selectorILNS1_17partition_subalgoE3EtNS0_10empty_typeEbEEZZNS1_14partition_implILS5_3ELb0ES3_jN6thrust23THRUST_200600_302600_NS6detail15normal_iteratorINSA_7pointerItNSA_11hip_rocprim3tagENSA_11use_defaultESG_EEEEPS6_SJ_NS0_5tupleIJPtSJ_EEENSK_IJSJ_SJ_EEES6_PlJ7is_evenItEEEE10hipError_tPvRmT3_T4_T5_T6_T7_T9_mT8_P12ihipStream_tbDpT10_ENKUlT_T0_E_clISt17integral_constantIbLb1EES1A_EEDaS15_S16_EUlS15_E_NS1_11comp_targetILNS1_3genE0ELNS1_11target_archE4294967295ELNS1_3gpuE0ELNS1_3repE0EEENS1_30default_config_static_selectorELNS0_4arch9wavefront6targetE1EEEvT1_ ; -- Begin function _ZN7rocprim17ROCPRIM_400000_NS6detail17trampoline_kernelINS0_14default_configENS1_25partition_config_selectorILNS1_17partition_subalgoE3EtNS0_10empty_typeEbEEZZNS1_14partition_implILS5_3ELb0ES3_jN6thrust23THRUST_200600_302600_NS6detail15normal_iteratorINSA_7pointerItNSA_11hip_rocprim3tagENSA_11use_defaultESG_EEEEPS6_SJ_NS0_5tupleIJPtSJ_EEENSK_IJSJ_SJ_EEES6_PlJ7is_evenItEEEE10hipError_tPvRmT3_T4_T5_T6_T7_T9_mT8_P12ihipStream_tbDpT10_ENKUlT_T0_E_clISt17integral_constantIbLb1EES1A_EEDaS15_S16_EUlS15_E_NS1_11comp_targetILNS1_3genE0ELNS1_11target_archE4294967295ELNS1_3gpuE0ELNS1_3repE0EEENS1_30default_config_static_selectorELNS0_4arch9wavefront6targetE1EEEvT1_
	.globl	_ZN7rocprim17ROCPRIM_400000_NS6detail17trampoline_kernelINS0_14default_configENS1_25partition_config_selectorILNS1_17partition_subalgoE3EtNS0_10empty_typeEbEEZZNS1_14partition_implILS5_3ELb0ES3_jN6thrust23THRUST_200600_302600_NS6detail15normal_iteratorINSA_7pointerItNSA_11hip_rocprim3tagENSA_11use_defaultESG_EEEEPS6_SJ_NS0_5tupleIJPtSJ_EEENSK_IJSJ_SJ_EEES6_PlJ7is_evenItEEEE10hipError_tPvRmT3_T4_T5_T6_T7_T9_mT8_P12ihipStream_tbDpT10_ENKUlT_T0_E_clISt17integral_constantIbLb1EES1A_EEDaS15_S16_EUlS15_E_NS1_11comp_targetILNS1_3genE0ELNS1_11target_archE4294967295ELNS1_3gpuE0ELNS1_3repE0EEENS1_30default_config_static_selectorELNS0_4arch9wavefront6targetE1EEEvT1_
	.p2align	8
	.type	_ZN7rocprim17ROCPRIM_400000_NS6detail17trampoline_kernelINS0_14default_configENS1_25partition_config_selectorILNS1_17partition_subalgoE3EtNS0_10empty_typeEbEEZZNS1_14partition_implILS5_3ELb0ES3_jN6thrust23THRUST_200600_302600_NS6detail15normal_iteratorINSA_7pointerItNSA_11hip_rocprim3tagENSA_11use_defaultESG_EEEEPS6_SJ_NS0_5tupleIJPtSJ_EEENSK_IJSJ_SJ_EEES6_PlJ7is_evenItEEEE10hipError_tPvRmT3_T4_T5_T6_T7_T9_mT8_P12ihipStream_tbDpT10_ENKUlT_T0_E_clISt17integral_constantIbLb1EES1A_EEDaS15_S16_EUlS15_E_NS1_11comp_targetILNS1_3genE0ELNS1_11target_archE4294967295ELNS1_3gpuE0ELNS1_3repE0EEENS1_30default_config_static_selectorELNS0_4arch9wavefront6targetE1EEEvT1_,@function
_ZN7rocprim17ROCPRIM_400000_NS6detail17trampoline_kernelINS0_14default_configENS1_25partition_config_selectorILNS1_17partition_subalgoE3EtNS0_10empty_typeEbEEZZNS1_14partition_implILS5_3ELb0ES3_jN6thrust23THRUST_200600_302600_NS6detail15normal_iteratorINSA_7pointerItNSA_11hip_rocprim3tagENSA_11use_defaultESG_EEEEPS6_SJ_NS0_5tupleIJPtSJ_EEENSK_IJSJ_SJ_EEES6_PlJ7is_evenItEEEE10hipError_tPvRmT3_T4_T5_T6_T7_T9_mT8_P12ihipStream_tbDpT10_ENKUlT_T0_E_clISt17integral_constantIbLb1EES1A_EEDaS15_S16_EUlS15_E_NS1_11comp_targetILNS1_3genE0ELNS1_11target_archE4294967295ELNS1_3gpuE0ELNS1_3repE0EEENS1_30default_config_static_selectorELNS0_4arch9wavefront6targetE1EEEvT1_: ; @_ZN7rocprim17ROCPRIM_400000_NS6detail17trampoline_kernelINS0_14default_configENS1_25partition_config_selectorILNS1_17partition_subalgoE3EtNS0_10empty_typeEbEEZZNS1_14partition_implILS5_3ELb0ES3_jN6thrust23THRUST_200600_302600_NS6detail15normal_iteratorINSA_7pointerItNSA_11hip_rocprim3tagENSA_11use_defaultESG_EEEEPS6_SJ_NS0_5tupleIJPtSJ_EEENSK_IJSJ_SJ_EEES6_PlJ7is_evenItEEEE10hipError_tPvRmT3_T4_T5_T6_T7_T9_mT8_P12ihipStream_tbDpT10_ENKUlT_T0_E_clISt17integral_constantIbLb1EES1A_EEDaS15_S16_EUlS15_E_NS1_11comp_targetILNS1_3genE0ELNS1_11target_archE4294967295ELNS1_3gpuE0ELNS1_3repE0EEENS1_30default_config_static_selectorELNS0_4arch9wavefront6targetE1EEEvT1_
; %bb.0:
	.section	.rodata,"a",@progbits
	.p2align	6, 0x0
	.amdhsa_kernel _ZN7rocprim17ROCPRIM_400000_NS6detail17trampoline_kernelINS0_14default_configENS1_25partition_config_selectorILNS1_17partition_subalgoE3EtNS0_10empty_typeEbEEZZNS1_14partition_implILS5_3ELb0ES3_jN6thrust23THRUST_200600_302600_NS6detail15normal_iteratorINSA_7pointerItNSA_11hip_rocprim3tagENSA_11use_defaultESG_EEEEPS6_SJ_NS0_5tupleIJPtSJ_EEENSK_IJSJ_SJ_EEES6_PlJ7is_evenItEEEE10hipError_tPvRmT3_T4_T5_T6_T7_T9_mT8_P12ihipStream_tbDpT10_ENKUlT_T0_E_clISt17integral_constantIbLb1EES1A_EEDaS15_S16_EUlS15_E_NS1_11comp_targetILNS1_3genE0ELNS1_11target_archE4294967295ELNS1_3gpuE0ELNS1_3repE0EEENS1_30default_config_static_selectorELNS0_4arch9wavefront6targetE1EEEvT1_
		.amdhsa_group_segment_fixed_size 0
		.amdhsa_private_segment_fixed_size 0
		.amdhsa_kernarg_size 136
		.amdhsa_user_sgpr_count 6
		.amdhsa_user_sgpr_private_segment_buffer 1
		.amdhsa_user_sgpr_dispatch_ptr 0
		.amdhsa_user_sgpr_queue_ptr 0
		.amdhsa_user_sgpr_kernarg_segment_ptr 1
		.amdhsa_user_sgpr_dispatch_id 0
		.amdhsa_user_sgpr_flat_scratch_init 0
		.amdhsa_user_sgpr_kernarg_preload_length 0
		.amdhsa_user_sgpr_kernarg_preload_offset 0
		.amdhsa_user_sgpr_private_segment_size 0
		.amdhsa_uses_dynamic_stack 0
		.amdhsa_system_sgpr_private_segment_wavefront_offset 0
		.amdhsa_system_sgpr_workgroup_id_x 1
		.amdhsa_system_sgpr_workgroup_id_y 0
		.amdhsa_system_sgpr_workgroup_id_z 0
		.amdhsa_system_sgpr_workgroup_info 0
		.amdhsa_system_vgpr_workitem_id 0
		.amdhsa_next_free_vgpr 1
		.amdhsa_next_free_sgpr 0
		.amdhsa_accum_offset 4
		.amdhsa_reserve_vcc 0
		.amdhsa_reserve_flat_scratch 0
		.amdhsa_float_round_mode_32 0
		.amdhsa_float_round_mode_16_64 0
		.amdhsa_float_denorm_mode_32 3
		.amdhsa_float_denorm_mode_16_64 3
		.amdhsa_dx10_clamp 1
		.amdhsa_ieee_mode 1
		.amdhsa_fp16_overflow 0
		.amdhsa_tg_split 0
		.amdhsa_exception_fp_ieee_invalid_op 0
		.amdhsa_exception_fp_denorm_src 0
		.amdhsa_exception_fp_ieee_div_zero 0
		.amdhsa_exception_fp_ieee_overflow 0
		.amdhsa_exception_fp_ieee_underflow 0
		.amdhsa_exception_fp_ieee_inexact 0
		.amdhsa_exception_int_div_zero 0
	.end_amdhsa_kernel
	.section	.text._ZN7rocprim17ROCPRIM_400000_NS6detail17trampoline_kernelINS0_14default_configENS1_25partition_config_selectorILNS1_17partition_subalgoE3EtNS0_10empty_typeEbEEZZNS1_14partition_implILS5_3ELb0ES3_jN6thrust23THRUST_200600_302600_NS6detail15normal_iteratorINSA_7pointerItNSA_11hip_rocprim3tagENSA_11use_defaultESG_EEEEPS6_SJ_NS0_5tupleIJPtSJ_EEENSK_IJSJ_SJ_EEES6_PlJ7is_evenItEEEE10hipError_tPvRmT3_T4_T5_T6_T7_T9_mT8_P12ihipStream_tbDpT10_ENKUlT_T0_E_clISt17integral_constantIbLb1EES1A_EEDaS15_S16_EUlS15_E_NS1_11comp_targetILNS1_3genE0ELNS1_11target_archE4294967295ELNS1_3gpuE0ELNS1_3repE0EEENS1_30default_config_static_selectorELNS0_4arch9wavefront6targetE1EEEvT1_,"axG",@progbits,_ZN7rocprim17ROCPRIM_400000_NS6detail17trampoline_kernelINS0_14default_configENS1_25partition_config_selectorILNS1_17partition_subalgoE3EtNS0_10empty_typeEbEEZZNS1_14partition_implILS5_3ELb0ES3_jN6thrust23THRUST_200600_302600_NS6detail15normal_iteratorINSA_7pointerItNSA_11hip_rocprim3tagENSA_11use_defaultESG_EEEEPS6_SJ_NS0_5tupleIJPtSJ_EEENSK_IJSJ_SJ_EEES6_PlJ7is_evenItEEEE10hipError_tPvRmT3_T4_T5_T6_T7_T9_mT8_P12ihipStream_tbDpT10_ENKUlT_T0_E_clISt17integral_constantIbLb1EES1A_EEDaS15_S16_EUlS15_E_NS1_11comp_targetILNS1_3genE0ELNS1_11target_archE4294967295ELNS1_3gpuE0ELNS1_3repE0EEENS1_30default_config_static_selectorELNS0_4arch9wavefront6targetE1EEEvT1_,comdat
.Lfunc_end1164:
	.size	_ZN7rocprim17ROCPRIM_400000_NS6detail17trampoline_kernelINS0_14default_configENS1_25partition_config_selectorILNS1_17partition_subalgoE3EtNS0_10empty_typeEbEEZZNS1_14partition_implILS5_3ELb0ES3_jN6thrust23THRUST_200600_302600_NS6detail15normal_iteratorINSA_7pointerItNSA_11hip_rocprim3tagENSA_11use_defaultESG_EEEEPS6_SJ_NS0_5tupleIJPtSJ_EEENSK_IJSJ_SJ_EEES6_PlJ7is_evenItEEEE10hipError_tPvRmT3_T4_T5_T6_T7_T9_mT8_P12ihipStream_tbDpT10_ENKUlT_T0_E_clISt17integral_constantIbLb1EES1A_EEDaS15_S16_EUlS15_E_NS1_11comp_targetILNS1_3genE0ELNS1_11target_archE4294967295ELNS1_3gpuE0ELNS1_3repE0EEENS1_30default_config_static_selectorELNS0_4arch9wavefront6targetE1EEEvT1_, .Lfunc_end1164-_ZN7rocprim17ROCPRIM_400000_NS6detail17trampoline_kernelINS0_14default_configENS1_25partition_config_selectorILNS1_17partition_subalgoE3EtNS0_10empty_typeEbEEZZNS1_14partition_implILS5_3ELb0ES3_jN6thrust23THRUST_200600_302600_NS6detail15normal_iteratorINSA_7pointerItNSA_11hip_rocprim3tagENSA_11use_defaultESG_EEEEPS6_SJ_NS0_5tupleIJPtSJ_EEENSK_IJSJ_SJ_EEES6_PlJ7is_evenItEEEE10hipError_tPvRmT3_T4_T5_T6_T7_T9_mT8_P12ihipStream_tbDpT10_ENKUlT_T0_E_clISt17integral_constantIbLb1EES1A_EEDaS15_S16_EUlS15_E_NS1_11comp_targetILNS1_3genE0ELNS1_11target_archE4294967295ELNS1_3gpuE0ELNS1_3repE0EEENS1_30default_config_static_selectorELNS0_4arch9wavefront6targetE1EEEvT1_
                                        ; -- End function
	.section	.AMDGPU.csdata,"",@progbits
; Kernel info:
; codeLenInByte = 0
; NumSgprs: 4
; NumVgprs: 0
; NumAgprs: 0
; TotalNumVgprs: 0
; ScratchSize: 0
; MemoryBound: 0
; FloatMode: 240
; IeeeMode: 1
; LDSByteSize: 0 bytes/workgroup (compile time only)
; SGPRBlocks: 0
; VGPRBlocks: 0
; NumSGPRsForWavesPerEU: 4
; NumVGPRsForWavesPerEU: 1
; AccumOffset: 4
; Occupancy: 8
; WaveLimiterHint : 0
; COMPUTE_PGM_RSRC2:SCRATCH_EN: 0
; COMPUTE_PGM_RSRC2:USER_SGPR: 6
; COMPUTE_PGM_RSRC2:TRAP_HANDLER: 0
; COMPUTE_PGM_RSRC2:TGID_X_EN: 1
; COMPUTE_PGM_RSRC2:TGID_Y_EN: 0
; COMPUTE_PGM_RSRC2:TGID_Z_EN: 0
; COMPUTE_PGM_RSRC2:TIDIG_COMP_CNT: 0
; COMPUTE_PGM_RSRC3_GFX90A:ACCUM_OFFSET: 0
; COMPUTE_PGM_RSRC3_GFX90A:TG_SPLIT: 0
	.section	.text._ZN7rocprim17ROCPRIM_400000_NS6detail17trampoline_kernelINS0_14default_configENS1_25partition_config_selectorILNS1_17partition_subalgoE3EtNS0_10empty_typeEbEEZZNS1_14partition_implILS5_3ELb0ES3_jN6thrust23THRUST_200600_302600_NS6detail15normal_iteratorINSA_7pointerItNSA_11hip_rocprim3tagENSA_11use_defaultESG_EEEEPS6_SJ_NS0_5tupleIJPtSJ_EEENSK_IJSJ_SJ_EEES6_PlJ7is_evenItEEEE10hipError_tPvRmT3_T4_T5_T6_T7_T9_mT8_P12ihipStream_tbDpT10_ENKUlT_T0_E_clISt17integral_constantIbLb1EES1A_EEDaS15_S16_EUlS15_E_NS1_11comp_targetILNS1_3genE5ELNS1_11target_archE942ELNS1_3gpuE9ELNS1_3repE0EEENS1_30default_config_static_selectorELNS0_4arch9wavefront6targetE1EEEvT1_,"axG",@progbits,_ZN7rocprim17ROCPRIM_400000_NS6detail17trampoline_kernelINS0_14default_configENS1_25partition_config_selectorILNS1_17partition_subalgoE3EtNS0_10empty_typeEbEEZZNS1_14partition_implILS5_3ELb0ES3_jN6thrust23THRUST_200600_302600_NS6detail15normal_iteratorINSA_7pointerItNSA_11hip_rocprim3tagENSA_11use_defaultESG_EEEEPS6_SJ_NS0_5tupleIJPtSJ_EEENSK_IJSJ_SJ_EEES6_PlJ7is_evenItEEEE10hipError_tPvRmT3_T4_T5_T6_T7_T9_mT8_P12ihipStream_tbDpT10_ENKUlT_T0_E_clISt17integral_constantIbLb1EES1A_EEDaS15_S16_EUlS15_E_NS1_11comp_targetILNS1_3genE5ELNS1_11target_archE942ELNS1_3gpuE9ELNS1_3repE0EEENS1_30default_config_static_selectorELNS0_4arch9wavefront6targetE1EEEvT1_,comdat
	.protected	_ZN7rocprim17ROCPRIM_400000_NS6detail17trampoline_kernelINS0_14default_configENS1_25partition_config_selectorILNS1_17partition_subalgoE3EtNS0_10empty_typeEbEEZZNS1_14partition_implILS5_3ELb0ES3_jN6thrust23THRUST_200600_302600_NS6detail15normal_iteratorINSA_7pointerItNSA_11hip_rocprim3tagENSA_11use_defaultESG_EEEEPS6_SJ_NS0_5tupleIJPtSJ_EEENSK_IJSJ_SJ_EEES6_PlJ7is_evenItEEEE10hipError_tPvRmT3_T4_T5_T6_T7_T9_mT8_P12ihipStream_tbDpT10_ENKUlT_T0_E_clISt17integral_constantIbLb1EES1A_EEDaS15_S16_EUlS15_E_NS1_11comp_targetILNS1_3genE5ELNS1_11target_archE942ELNS1_3gpuE9ELNS1_3repE0EEENS1_30default_config_static_selectorELNS0_4arch9wavefront6targetE1EEEvT1_ ; -- Begin function _ZN7rocprim17ROCPRIM_400000_NS6detail17trampoline_kernelINS0_14default_configENS1_25partition_config_selectorILNS1_17partition_subalgoE3EtNS0_10empty_typeEbEEZZNS1_14partition_implILS5_3ELb0ES3_jN6thrust23THRUST_200600_302600_NS6detail15normal_iteratorINSA_7pointerItNSA_11hip_rocprim3tagENSA_11use_defaultESG_EEEEPS6_SJ_NS0_5tupleIJPtSJ_EEENSK_IJSJ_SJ_EEES6_PlJ7is_evenItEEEE10hipError_tPvRmT3_T4_T5_T6_T7_T9_mT8_P12ihipStream_tbDpT10_ENKUlT_T0_E_clISt17integral_constantIbLb1EES1A_EEDaS15_S16_EUlS15_E_NS1_11comp_targetILNS1_3genE5ELNS1_11target_archE942ELNS1_3gpuE9ELNS1_3repE0EEENS1_30default_config_static_selectorELNS0_4arch9wavefront6targetE1EEEvT1_
	.globl	_ZN7rocprim17ROCPRIM_400000_NS6detail17trampoline_kernelINS0_14default_configENS1_25partition_config_selectorILNS1_17partition_subalgoE3EtNS0_10empty_typeEbEEZZNS1_14partition_implILS5_3ELb0ES3_jN6thrust23THRUST_200600_302600_NS6detail15normal_iteratorINSA_7pointerItNSA_11hip_rocprim3tagENSA_11use_defaultESG_EEEEPS6_SJ_NS0_5tupleIJPtSJ_EEENSK_IJSJ_SJ_EEES6_PlJ7is_evenItEEEE10hipError_tPvRmT3_T4_T5_T6_T7_T9_mT8_P12ihipStream_tbDpT10_ENKUlT_T0_E_clISt17integral_constantIbLb1EES1A_EEDaS15_S16_EUlS15_E_NS1_11comp_targetILNS1_3genE5ELNS1_11target_archE942ELNS1_3gpuE9ELNS1_3repE0EEENS1_30default_config_static_selectorELNS0_4arch9wavefront6targetE1EEEvT1_
	.p2align	8
	.type	_ZN7rocprim17ROCPRIM_400000_NS6detail17trampoline_kernelINS0_14default_configENS1_25partition_config_selectorILNS1_17partition_subalgoE3EtNS0_10empty_typeEbEEZZNS1_14partition_implILS5_3ELb0ES3_jN6thrust23THRUST_200600_302600_NS6detail15normal_iteratorINSA_7pointerItNSA_11hip_rocprim3tagENSA_11use_defaultESG_EEEEPS6_SJ_NS0_5tupleIJPtSJ_EEENSK_IJSJ_SJ_EEES6_PlJ7is_evenItEEEE10hipError_tPvRmT3_T4_T5_T6_T7_T9_mT8_P12ihipStream_tbDpT10_ENKUlT_T0_E_clISt17integral_constantIbLb1EES1A_EEDaS15_S16_EUlS15_E_NS1_11comp_targetILNS1_3genE5ELNS1_11target_archE942ELNS1_3gpuE9ELNS1_3repE0EEENS1_30default_config_static_selectorELNS0_4arch9wavefront6targetE1EEEvT1_,@function
_ZN7rocprim17ROCPRIM_400000_NS6detail17trampoline_kernelINS0_14default_configENS1_25partition_config_selectorILNS1_17partition_subalgoE3EtNS0_10empty_typeEbEEZZNS1_14partition_implILS5_3ELb0ES3_jN6thrust23THRUST_200600_302600_NS6detail15normal_iteratorINSA_7pointerItNSA_11hip_rocprim3tagENSA_11use_defaultESG_EEEEPS6_SJ_NS0_5tupleIJPtSJ_EEENSK_IJSJ_SJ_EEES6_PlJ7is_evenItEEEE10hipError_tPvRmT3_T4_T5_T6_T7_T9_mT8_P12ihipStream_tbDpT10_ENKUlT_T0_E_clISt17integral_constantIbLb1EES1A_EEDaS15_S16_EUlS15_E_NS1_11comp_targetILNS1_3genE5ELNS1_11target_archE942ELNS1_3gpuE9ELNS1_3repE0EEENS1_30default_config_static_selectorELNS0_4arch9wavefront6targetE1EEEvT1_: ; @_ZN7rocprim17ROCPRIM_400000_NS6detail17trampoline_kernelINS0_14default_configENS1_25partition_config_selectorILNS1_17partition_subalgoE3EtNS0_10empty_typeEbEEZZNS1_14partition_implILS5_3ELb0ES3_jN6thrust23THRUST_200600_302600_NS6detail15normal_iteratorINSA_7pointerItNSA_11hip_rocprim3tagENSA_11use_defaultESG_EEEEPS6_SJ_NS0_5tupleIJPtSJ_EEENSK_IJSJ_SJ_EEES6_PlJ7is_evenItEEEE10hipError_tPvRmT3_T4_T5_T6_T7_T9_mT8_P12ihipStream_tbDpT10_ENKUlT_T0_E_clISt17integral_constantIbLb1EES1A_EEDaS15_S16_EUlS15_E_NS1_11comp_targetILNS1_3genE5ELNS1_11target_archE942ELNS1_3gpuE9ELNS1_3repE0EEENS1_30default_config_static_selectorELNS0_4arch9wavefront6targetE1EEEvT1_
; %bb.0:
	.section	.rodata,"a",@progbits
	.p2align	6, 0x0
	.amdhsa_kernel _ZN7rocprim17ROCPRIM_400000_NS6detail17trampoline_kernelINS0_14default_configENS1_25partition_config_selectorILNS1_17partition_subalgoE3EtNS0_10empty_typeEbEEZZNS1_14partition_implILS5_3ELb0ES3_jN6thrust23THRUST_200600_302600_NS6detail15normal_iteratorINSA_7pointerItNSA_11hip_rocprim3tagENSA_11use_defaultESG_EEEEPS6_SJ_NS0_5tupleIJPtSJ_EEENSK_IJSJ_SJ_EEES6_PlJ7is_evenItEEEE10hipError_tPvRmT3_T4_T5_T6_T7_T9_mT8_P12ihipStream_tbDpT10_ENKUlT_T0_E_clISt17integral_constantIbLb1EES1A_EEDaS15_S16_EUlS15_E_NS1_11comp_targetILNS1_3genE5ELNS1_11target_archE942ELNS1_3gpuE9ELNS1_3repE0EEENS1_30default_config_static_selectorELNS0_4arch9wavefront6targetE1EEEvT1_
		.amdhsa_group_segment_fixed_size 0
		.amdhsa_private_segment_fixed_size 0
		.amdhsa_kernarg_size 136
		.amdhsa_user_sgpr_count 6
		.amdhsa_user_sgpr_private_segment_buffer 1
		.amdhsa_user_sgpr_dispatch_ptr 0
		.amdhsa_user_sgpr_queue_ptr 0
		.amdhsa_user_sgpr_kernarg_segment_ptr 1
		.amdhsa_user_sgpr_dispatch_id 0
		.amdhsa_user_sgpr_flat_scratch_init 0
		.amdhsa_user_sgpr_kernarg_preload_length 0
		.amdhsa_user_sgpr_kernarg_preload_offset 0
		.amdhsa_user_sgpr_private_segment_size 0
		.amdhsa_uses_dynamic_stack 0
		.amdhsa_system_sgpr_private_segment_wavefront_offset 0
		.amdhsa_system_sgpr_workgroup_id_x 1
		.amdhsa_system_sgpr_workgroup_id_y 0
		.amdhsa_system_sgpr_workgroup_id_z 0
		.amdhsa_system_sgpr_workgroup_info 0
		.amdhsa_system_vgpr_workitem_id 0
		.amdhsa_next_free_vgpr 1
		.amdhsa_next_free_sgpr 0
		.amdhsa_accum_offset 4
		.amdhsa_reserve_vcc 0
		.amdhsa_reserve_flat_scratch 0
		.amdhsa_float_round_mode_32 0
		.amdhsa_float_round_mode_16_64 0
		.amdhsa_float_denorm_mode_32 3
		.amdhsa_float_denorm_mode_16_64 3
		.amdhsa_dx10_clamp 1
		.amdhsa_ieee_mode 1
		.amdhsa_fp16_overflow 0
		.amdhsa_tg_split 0
		.amdhsa_exception_fp_ieee_invalid_op 0
		.amdhsa_exception_fp_denorm_src 0
		.amdhsa_exception_fp_ieee_div_zero 0
		.amdhsa_exception_fp_ieee_overflow 0
		.amdhsa_exception_fp_ieee_underflow 0
		.amdhsa_exception_fp_ieee_inexact 0
		.amdhsa_exception_int_div_zero 0
	.end_amdhsa_kernel
	.section	.text._ZN7rocprim17ROCPRIM_400000_NS6detail17trampoline_kernelINS0_14default_configENS1_25partition_config_selectorILNS1_17partition_subalgoE3EtNS0_10empty_typeEbEEZZNS1_14partition_implILS5_3ELb0ES3_jN6thrust23THRUST_200600_302600_NS6detail15normal_iteratorINSA_7pointerItNSA_11hip_rocprim3tagENSA_11use_defaultESG_EEEEPS6_SJ_NS0_5tupleIJPtSJ_EEENSK_IJSJ_SJ_EEES6_PlJ7is_evenItEEEE10hipError_tPvRmT3_T4_T5_T6_T7_T9_mT8_P12ihipStream_tbDpT10_ENKUlT_T0_E_clISt17integral_constantIbLb1EES1A_EEDaS15_S16_EUlS15_E_NS1_11comp_targetILNS1_3genE5ELNS1_11target_archE942ELNS1_3gpuE9ELNS1_3repE0EEENS1_30default_config_static_selectorELNS0_4arch9wavefront6targetE1EEEvT1_,"axG",@progbits,_ZN7rocprim17ROCPRIM_400000_NS6detail17trampoline_kernelINS0_14default_configENS1_25partition_config_selectorILNS1_17partition_subalgoE3EtNS0_10empty_typeEbEEZZNS1_14partition_implILS5_3ELb0ES3_jN6thrust23THRUST_200600_302600_NS6detail15normal_iteratorINSA_7pointerItNSA_11hip_rocprim3tagENSA_11use_defaultESG_EEEEPS6_SJ_NS0_5tupleIJPtSJ_EEENSK_IJSJ_SJ_EEES6_PlJ7is_evenItEEEE10hipError_tPvRmT3_T4_T5_T6_T7_T9_mT8_P12ihipStream_tbDpT10_ENKUlT_T0_E_clISt17integral_constantIbLb1EES1A_EEDaS15_S16_EUlS15_E_NS1_11comp_targetILNS1_3genE5ELNS1_11target_archE942ELNS1_3gpuE9ELNS1_3repE0EEENS1_30default_config_static_selectorELNS0_4arch9wavefront6targetE1EEEvT1_,comdat
.Lfunc_end1165:
	.size	_ZN7rocprim17ROCPRIM_400000_NS6detail17trampoline_kernelINS0_14default_configENS1_25partition_config_selectorILNS1_17partition_subalgoE3EtNS0_10empty_typeEbEEZZNS1_14partition_implILS5_3ELb0ES3_jN6thrust23THRUST_200600_302600_NS6detail15normal_iteratorINSA_7pointerItNSA_11hip_rocprim3tagENSA_11use_defaultESG_EEEEPS6_SJ_NS0_5tupleIJPtSJ_EEENSK_IJSJ_SJ_EEES6_PlJ7is_evenItEEEE10hipError_tPvRmT3_T4_T5_T6_T7_T9_mT8_P12ihipStream_tbDpT10_ENKUlT_T0_E_clISt17integral_constantIbLb1EES1A_EEDaS15_S16_EUlS15_E_NS1_11comp_targetILNS1_3genE5ELNS1_11target_archE942ELNS1_3gpuE9ELNS1_3repE0EEENS1_30default_config_static_selectorELNS0_4arch9wavefront6targetE1EEEvT1_, .Lfunc_end1165-_ZN7rocprim17ROCPRIM_400000_NS6detail17trampoline_kernelINS0_14default_configENS1_25partition_config_selectorILNS1_17partition_subalgoE3EtNS0_10empty_typeEbEEZZNS1_14partition_implILS5_3ELb0ES3_jN6thrust23THRUST_200600_302600_NS6detail15normal_iteratorINSA_7pointerItNSA_11hip_rocprim3tagENSA_11use_defaultESG_EEEEPS6_SJ_NS0_5tupleIJPtSJ_EEENSK_IJSJ_SJ_EEES6_PlJ7is_evenItEEEE10hipError_tPvRmT3_T4_T5_T6_T7_T9_mT8_P12ihipStream_tbDpT10_ENKUlT_T0_E_clISt17integral_constantIbLb1EES1A_EEDaS15_S16_EUlS15_E_NS1_11comp_targetILNS1_3genE5ELNS1_11target_archE942ELNS1_3gpuE9ELNS1_3repE0EEENS1_30default_config_static_selectorELNS0_4arch9wavefront6targetE1EEEvT1_
                                        ; -- End function
	.section	.AMDGPU.csdata,"",@progbits
; Kernel info:
; codeLenInByte = 0
; NumSgprs: 4
; NumVgprs: 0
; NumAgprs: 0
; TotalNumVgprs: 0
; ScratchSize: 0
; MemoryBound: 0
; FloatMode: 240
; IeeeMode: 1
; LDSByteSize: 0 bytes/workgroup (compile time only)
; SGPRBlocks: 0
; VGPRBlocks: 0
; NumSGPRsForWavesPerEU: 4
; NumVGPRsForWavesPerEU: 1
; AccumOffset: 4
; Occupancy: 8
; WaveLimiterHint : 0
; COMPUTE_PGM_RSRC2:SCRATCH_EN: 0
; COMPUTE_PGM_RSRC2:USER_SGPR: 6
; COMPUTE_PGM_RSRC2:TRAP_HANDLER: 0
; COMPUTE_PGM_RSRC2:TGID_X_EN: 1
; COMPUTE_PGM_RSRC2:TGID_Y_EN: 0
; COMPUTE_PGM_RSRC2:TGID_Z_EN: 0
; COMPUTE_PGM_RSRC2:TIDIG_COMP_CNT: 0
; COMPUTE_PGM_RSRC3_GFX90A:ACCUM_OFFSET: 0
; COMPUTE_PGM_RSRC3_GFX90A:TG_SPLIT: 0
	.section	.text._ZN7rocprim17ROCPRIM_400000_NS6detail17trampoline_kernelINS0_14default_configENS1_25partition_config_selectorILNS1_17partition_subalgoE3EtNS0_10empty_typeEbEEZZNS1_14partition_implILS5_3ELb0ES3_jN6thrust23THRUST_200600_302600_NS6detail15normal_iteratorINSA_7pointerItNSA_11hip_rocprim3tagENSA_11use_defaultESG_EEEEPS6_SJ_NS0_5tupleIJPtSJ_EEENSK_IJSJ_SJ_EEES6_PlJ7is_evenItEEEE10hipError_tPvRmT3_T4_T5_T6_T7_T9_mT8_P12ihipStream_tbDpT10_ENKUlT_T0_E_clISt17integral_constantIbLb1EES1A_EEDaS15_S16_EUlS15_E_NS1_11comp_targetILNS1_3genE4ELNS1_11target_archE910ELNS1_3gpuE8ELNS1_3repE0EEENS1_30default_config_static_selectorELNS0_4arch9wavefront6targetE1EEEvT1_,"axG",@progbits,_ZN7rocprim17ROCPRIM_400000_NS6detail17trampoline_kernelINS0_14default_configENS1_25partition_config_selectorILNS1_17partition_subalgoE3EtNS0_10empty_typeEbEEZZNS1_14partition_implILS5_3ELb0ES3_jN6thrust23THRUST_200600_302600_NS6detail15normal_iteratorINSA_7pointerItNSA_11hip_rocprim3tagENSA_11use_defaultESG_EEEEPS6_SJ_NS0_5tupleIJPtSJ_EEENSK_IJSJ_SJ_EEES6_PlJ7is_evenItEEEE10hipError_tPvRmT3_T4_T5_T6_T7_T9_mT8_P12ihipStream_tbDpT10_ENKUlT_T0_E_clISt17integral_constantIbLb1EES1A_EEDaS15_S16_EUlS15_E_NS1_11comp_targetILNS1_3genE4ELNS1_11target_archE910ELNS1_3gpuE8ELNS1_3repE0EEENS1_30default_config_static_selectorELNS0_4arch9wavefront6targetE1EEEvT1_,comdat
	.protected	_ZN7rocprim17ROCPRIM_400000_NS6detail17trampoline_kernelINS0_14default_configENS1_25partition_config_selectorILNS1_17partition_subalgoE3EtNS0_10empty_typeEbEEZZNS1_14partition_implILS5_3ELb0ES3_jN6thrust23THRUST_200600_302600_NS6detail15normal_iteratorINSA_7pointerItNSA_11hip_rocprim3tagENSA_11use_defaultESG_EEEEPS6_SJ_NS0_5tupleIJPtSJ_EEENSK_IJSJ_SJ_EEES6_PlJ7is_evenItEEEE10hipError_tPvRmT3_T4_T5_T6_T7_T9_mT8_P12ihipStream_tbDpT10_ENKUlT_T0_E_clISt17integral_constantIbLb1EES1A_EEDaS15_S16_EUlS15_E_NS1_11comp_targetILNS1_3genE4ELNS1_11target_archE910ELNS1_3gpuE8ELNS1_3repE0EEENS1_30default_config_static_selectorELNS0_4arch9wavefront6targetE1EEEvT1_ ; -- Begin function _ZN7rocprim17ROCPRIM_400000_NS6detail17trampoline_kernelINS0_14default_configENS1_25partition_config_selectorILNS1_17partition_subalgoE3EtNS0_10empty_typeEbEEZZNS1_14partition_implILS5_3ELb0ES3_jN6thrust23THRUST_200600_302600_NS6detail15normal_iteratorINSA_7pointerItNSA_11hip_rocprim3tagENSA_11use_defaultESG_EEEEPS6_SJ_NS0_5tupleIJPtSJ_EEENSK_IJSJ_SJ_EEES6_PlJ7is_evenItEEEE10hipError_tPvRmT3_T4_T5_T6_T7_T9_mT8_P12ihipStream_tbDpT10_ENKUlT_T0_E_clISt17integral_constantIbLb1EES1A_EEDaS15_S16_EUlS15_E_NS1_11comp_targetILNS1_3genE4ELNS1_11target_archE910ELNS1_3gpuE8ELNS1_3repE0EEENS1_30default_config_static_selectorELNS0_4arch9wavefront6targetE1EEEvT1_
	.globl	_ZN7rocprim17ROCPRIM_400000_NS6detail17trampoline_kernelINS0_14default_configENS1_25partition_config_selectorILNS1_17partition_subalgoE3EtNS0_10empty_typeEbEEZZNS1_14partition_implILS5_3ELb0ES3_jN6thrust23THRUST_200600_302600_NS6detail15normal_iteratorINSA_7pointerItNSA_11hip_rocprim3tagENSA_11use_defaultESG_EEEEPS6_SJ_NS0_5tupleIJPtSJ_EEENSK_IJSJ_SJ_EEES6_PlJ7is_evenItEEEE10hipError_tPvRmT3_T4_T5_T6_T7_T9_mT8_P12ihipStream_tbDpT10_ENKUlT_T0_E_clISt17integral_constantIbLb1EES1A_EEDaS15_S16_EUlS15_E_NS1_11comp_targetILNS1_3genE4ELNS1_11target_archE910ELNS1_3gpuE8ELNS1_3repE0EEENS1_30default_config_static_selectorELNS0_4arch9wavefront6targetE1EEEvT1_
	.p2align	8
	.type	_ZN7rocprim17ROCPRIM_400000_NS6detail17trampoline_kernelINS0_14default_configENS1_25partition_config_selectorILNS1_17partition_subalgoE3EtNS0_10empty_typeEbEEZZNS1_14partition_implILS5_3ELb0ES3_jN6thrust23THRUST_200600_302600_NS6detail15normal_iteratorINSA_7pointerItNSA_11hip_rocprim3tagENSA_11use_defaultESG_EEEEPS6_SJ_NS0_5tupleIJPtSJ_EEENSK_IJSJ_SJ_EEES6_PlJ7is_evenItEEEE10hipError_tPvRmT3_T4_T5_T6_T7_T9_mT8_P12ihipStream_tbDpT10_ENKUlT_T0_E_clISt17integral_constantIbLb1EES1A_EEDaS15_S16_EUlS15_E_NS1_11comp_targetILNS1_3genE4ELNS1_11target_archE910ELNS1_3gpuE8ELNS1_3repE0EEENS1_30default_config_static_selectorELNS0_4arch9wavefront6targetE1EEEvT1_,@function
_ZN7rocprim17ROCPRIM_400000_NS6detail17trampoline_kernelINS0_14default_configENS1_25partition_config_selectorILNS1_17partition_subalgoE3EtNS0_10empty_typeEbEEZZNS1_14partition_implILS5_3ELb0ES3_jN6thrust23THRUST_200600_302600_NS6detail15normal_iteratorINSA_7pointerItNSA_11hip_rocprim3tagENSA_11use_defaultESG_EEEEPS6_SJ_NS0_5tupleIJPtSJ_EEENSK_IJSJ_SJ_EEES6_PlJ7is_evenItEEEE10hipError_tPvRmT3_T4_T5_T6_T7_T9_mT8_P12ihipStream_tbDpT10_ENKUlT_T0_E_clISt17integral_constantIbLb1EES1A_EEDaS15_S16_EUlS15_E_NS1_11comp_targetILNS1_3genE4ELNS1_11target_archE910ELNS1_3gpuE8ELNS1_3repE0EEENS1_30default_config_static_selectorELNS0_4arch9wavefront6targetE1EEEvT1_: ; @_ZN7rocprim17ROCPRIM_400000_NS6detail17trampoline_kernelINS0_14default_configENS1_25partition_config_selectorILNS1_17partition_subalgoE3EtNS0_10empty_typeEbEEZZNS1_14partition_implILS5_3ELb0ES3_jN6thrust23THRUST_200600_302600_NS6detail15normal_iteratorINSA_7pointerItNSA_11hip_rocprim3tagENSA_11use_defaultESG_EEEEPS6_SJ_NS0_5tupleIJPtSJ_EEENSK_IJSJ_SJ_EEES6_PlJ7is_evenItEEEE10hipError_tPvRmT3_T4_T5_T6_T7_T9_mT8_P12ihipStream_tbDpT10_ENKUlT_T0_E_clISt17integral_constantIbLb1EES1A_EEDaS15_S16_EUlS15_E_NS1_11comp_targetILNS1_3genE4ELNS1_11target_archE910ELNS1_3gpuE8ELNS1_3repE0EEENS1_30default_config_static_selectorELNS0_4arch9wavefront6targetE1EEEvT1_
; %bb.0:
	s_load_dwordx2 s[28:29], s[4:5], 0x28
	s_load_dwordx4 s[20:23], s[4:5], 0x48
	s_load_dwordx2 s[30:31], s[4:5], 0x58
	s_load_dwordx2 s[34:35], s[4:5], 0x68
	v_cmp_eq_u32_e64 s[0:1], 0, v0
	s_and_saveexec_b64 s[2:3], s[0:1]
	s_cbranch_execz .LBB1166_4
; %bb.1:
	s_mov_b64 s[8:9], exec
	v_mbcnt_lo_u32_b32 v1, s8, 0
	v_mbcnt_hi_u32_b32 v1, s9, v1
	v_cmp_eq_u32_e32 vcc, 0, v1
                                        ; implicit-def: $vgpr2
	s_and_saveexec_b64 s[6:7], vcc
	s_cbranch_execz .LBB1166_3
; %bb.2:
	s_load_dwordx2 s[10:11], s[4:5], 0x78
	s_bcnt1_i32_b64 s8, s[8:9]
	v_mov_b32_e32 v2, 0
	v_mov_b32_e32 v3, s8
	s_waitcnt lgkmcnt(0)
	global_atomic_add v2, v2, v3, s[10:11] glc
.LBB1166_3:
	s_or_b64 exec, exec, s[6:7]
	s_waitcnt vmcnt(0)
	v_readfirstlane_b32 s6, v2
	v_add_u32_e32 v1, s6, v1
	v_mov_b32_e32 v2, 0
	ds_write_b32 v2, v1
.LBB1166_4:
	s_or_b64 exec, exec, s[2:3]
	v_mov_b32_e32 v13, 0
	s_load_dwordx4 s[24:27], s[4:5], 0x8
	s_load_dword s2, s[4:5], 0x70
	s_waitcnt lgkmcnt(0)
	s_barrier
	ds_read_b32 v1, v13
	s_waitcnt lgkmcnt(0)
	s_barrier
	global_load_dwordx2 v[14:15], v13, s[22:23]
	s_lshl_b64 s[4:5], s[26:27], 1
	s_add_u32 s6, s24, s4
	s_addc_u32 s7, s25, s5
	s_movk_i32 s3, 0x1400
	s_add_i32 s4, s2, -1
	s_mulk_i32 s2, 0x1400
	v_mul_lo_u32 v12, v1, s3
	s_add_i32 s3, s2, s26
	s_sub_i32 s33, s30, s3
	s_addk_i32 s33, 0x1400
	s_add_u32 s2, s26, s2
	v_readfirstlane_b32 s40, v1
	s_addc_u32 s3, s27, 0
	s_cmp_eq_u32 s40, s4
	v_pk_mov_b32 v[2:3], s[30:31], s[30:31] op_sel:[0,1]
	s_cselect_b64 s[22:23], -1, 0
	s_cmp_lg_u32 s40, s4
	v_cmp_lt_u64_e32 vcc, s[2:3], v[2:3]
	s_cselect_b64 s[2:3], -1, 0
	v_lshlrev_b64 v[2:3], 1, v[12:13]
	s_or_b64 s[4:5], vcc, s[2:3]
	v_mov_b32_e32 v1, s7
	v_add_co_u32_e32 v2, vcc, s6, v2
	v_addc_co_u32_e32 v3, vcc, v1, v3, vcc
	s_mov_b64 s[2:3], -1
	s_and_b64 vcc, exec, s[4:5]
	v_lshlrev_b32_e32 v1, 1, v0
	s_cbranch_vccz .LBB1166_6
; %bb.5:
	v_add_co_u32_e32 v4, vcc, v2, v1
	v_addc_co_u32_e32 v5, vcc, 0, v3, vcc
	v_add_co_u32_e32 v6, vcc, 0x1000, v4
	v_addc_co_u32_e32 v7, vcc, 0, v5, vcc
	flat_load_ushort v8, v[4:5]
	flat_load_ushort v9, v[4:5] offset:512
	flat_load_ushort v10, v[4:5] offset:1024
	;; [unrolled: 1-line block ×7, first 2 shown]
	v_add_co_u32_e32 v4, vcc, 0x2000, v4
	v_addc_co_u32_e32 v5, vcc, 0, v5, vcc
	flat_load_ushort v19, v[6:7]
	flat_load_ushort v20, v[6:7] offset:512
	flat_load_ushort v21, v[6:7] offset:1024
	;; [unrolled: 1-line block ×7, first 2 shown]
	s_nop 0
	flat_load_ushort v6, v[4:5]
	flat_load_ushort v7, v[4:5] offset:512
	flat_load_ushort v27, v[4:5] offset:1024
	;; [unrolled: 1-line block ×3, first 2 shown]
	s_mov_b64 s[2:3], 0
	s_waitcnt vmcnt(0) lgkmcnt(0)
	ds_write_b16 v1, v8
	ds_write_b16 v1, v9 offset:512
	ds_write_b16 v1, v10 offset:1024
	;; [unrolled: 1-line block ×19, first 2 shown]
	s_waitcnt lgkmcnt(0)
	s_barrier
.LBB1166_6:
	s_andn2_b64 vcc, exec, s[2:3]
	v_cmp_gt_u32_e64 s[2:3], s33, v0
	s_cbranch_vccnz .LBB1166_48
; %bb.7:
                                        ; implicit-def: $vgpr4
	s_and_saveexec_b64 s[6:7], s[2:3]
	s_cbranch_execz .LBB1166_9
; %bb.8:
	v_add_co_u32_e32 v4, vcc, v2, v1
	v_addc_co_u32_e32 v5, vcc, 0, v3, vcc
	flat_load_ushort v4, v[4:5]
.LBB1166_9:
	s_or_b64 exec, exec, s[6:7]
	v_or_b32_e32 v5, 0x100, v0
	v_cmp_gt_u32_e32 vcc, s33, v5
                                        ; implicit-def: $vgpr5
	s_and_saveexec_b64 s[2:3], vcc
	s_cbranch_execz .LBB1166_11
; %bb.10:
	v_add_co_u32_e32 v6, vcc, v2, v1
	v_addc_co_u32_e32 v7, vcc, 0, v3, vcc
	flat_load_ushort v5, v[6:7] offset:512
.LBB1166_11:
	s_or_b64 exec, exec, s[2:3]
	v_or_b32_e32 v6, 0x200, v0
	v_cmp_gt_u32_e32 vcc, s33, v6
                                        ; implicit-def: $vgpr6
	s_and_saveexec_b64 s[2:3], vcc
	s_cbranch_execz .LBB1166_13
; %bb.12:
	v_add_co_u32_e32 v6, vcc, v2, v1
	v_addc_co_u32_e32 v7, vcc, 0, v3, vcc
	flat_load_ushort v6, v[6:7] offset:1024
.LBB1166_13:
	s_or_b64 exec, exec, s[2:3]
	v_or_b32_e32 v7, 0x300, v0
	v_cmp_gt_u32_e32 vcc, s33, v7
                                        ; implicit-def: $vgpr7
	s_and_saveexec_b64 s[2:3], vcc
	s_cbranch_execz .LBB1166_15
; %bb.14:
	v_add_co_u32_e32 v8, vcc, v2, v1
	v_addc_co_u32_e32 v9, vcc, 0, v3, vcc
	flat_load_ushort v7, v[8:9] offset:1536
.LBB1166_15:
	s_or_b64 exec, exec, s[2:3]
	v_or_b32_e32 v8, 0x400, v0
	v_cmp_gt_u32_e32 vcc, s33, v8
                                        ; implicit-def: $vgpr8
	s_and_saveexec_b64 s[2:3], vcc
	s_cbranch_execz .LBB1166_17
; %bb.16:
	v_add_co_u32_e32 v8, vcc, v2, v1
	v_addc_co_u32_e32 v9, vcc, 0, v3, vcc
	flat_load_ushort v8, v[8:9] offset:2048
.LBB1166_17:
	s_or_b64 exec, exec, s[2:3]
	v_or_b32_e32 v9, 0x500, v0
	v_cmp_gt_u32_e32 vcc, s33, v9
                                        ; implicit-def: $vgpr9
	s_and_saveexec_b64 s[2:3], vcc
	s_cbranch_execz .LBB1166_19
; %bb.18:
	v_add_co_u32_e32 v10, vcc, v2, v1
	v_addc_co_u32_e32 v11, vcc, 0, v3, vcc
	flat_load_ushort v9, v[10:11] offset:2560
.LBB1166_19:
	s_or_b64 exec, exec, s[2:3]
	v_or_b32_e32 v10, 0x600, v0
	v_cmp_gt_u32_e32 vcc, s33, v10
                                        ; implicit-def: $vgpr10
	s_and_saveexec_b64 s[2:3], vcc
	s_cbranch_execz .LBB1166_21
; %bb.20:
	v_add_co_u32_e32 v10, vcc, v2, v1
	v_addc_co_u32_e32 v11, vcc, 0, v3, vcc
	flat_load_ushort v10, v[10:11] offset:3072
.LBB1166_21:
	s_or_b64 exec, exec, s[2:3]
	v_or_b32_e32 v11, 0x700, v0
	v_cmp_gt_u32_e32 vcc, s33, v11
                                        ; implicit-def: $vgpr11
	s_and_saveexec_b64 s[2:3], vcc
	s_cbranch_execz .LBB1166_23
; %bb.22:
	v_add_co_u32_e32 v16, vcc, v2, v1
	v_addc_co_u32_e32 v17, vcc, 0, v3, vcc
	flat_load_ushort v11, v[16:17] offset:3584
.LBB1166_23:
	s_or_b64 exec, exec, s[2:3]
	v_or_b32_e32 v16, 0x800, v0
	v_cmp_gt_u32_e32 vcc, s33, v16
                                        ; implicit-def: $vgpr13
	s_and_saveexec_b64 s[2:3], vcc
	s_cbranch_execz .LBB1166_25
; %bb.24:
	v_lshlrev_b32_e32 v13, 1, v16
	v_add_co_u32_e32 v16, vcc, v2, v13
	v_addc_co_u32_e32 v17, vcc, 0, v3, vcc
	flat_load_ushort v13, v[16:17]
.LBB1166_25:
	s_or_b64 exec, exec, s[2:3]
	v_or_b32_e32 v17, 0x900, v0
	v_cmp_gt_u32_e32 vcc, s33, v17
                                        ; implicit-def: $vgpr16
	s_and_saveexec_b64 s[2:3], vcc
	s_cbranch_execz .LBB1166_27
; %bb.26:
	v_lshlrev_b32_e32 v16, 1, v17
	v_add_co_u32_e32 v16, vcc, v2, v16
	v_addc_co_u32_e32 v17, vcc, 0, v3, vcc
	flat_load_ushort v16, v[16:17]
.LBB1166_27:
	s_or_b64 exec, exec, s[2:3]
	v_or_b32_e32 v18, 0xa00, v0
	v_cmp_gt_u32_e32 vcc, s33, v18
                                        ; implicit-def: $vgpr17
	s_and_saveexec_b64 s[2:3], vcc
	s_cbranch_execz .LBB1166_29
; %bb.28:
	v_lshlrev_b32_e32 v17, 1, v18
	v_add_co_u32_e32 v18, vcc, v2, v17
	v_addc_co_u32_e32 v19, vcc, 0, v3, vcc
	flat_load_ushort v17, v[18:19]
.LBB1166_29:
	s_or_b64 exec, exec, s[2:3]
	v_or_b32_e32 v19, 0xb00, v0
	v_cmp_gt_u32_e32 vcc, s33, v19
                                        ; implicit-def: $vgpr18
	s_and_saveexec_b64 s[2:3], vcc
	s_cbranch_execz .LBB1166_31
; %bb.30:
	v_lshlrev_b32_e32 v18, 1, v19
	v_add_co_u32_e32 v18, vcc, v2, v18
	v_addc_co_u32_e32 v19, vcc, 0, v3, vcc
	flat_load_ushort v18, v[18:19]
.LBB1166_31:
	s_or_b64 exec, exec, s[2:3]
	v_or_b32_e32 v20, 0xc00, v0
	v_cmp_gt_u32_e32 vcc, s33, v20
                                        ; implicit-def: $vgpr19
	s_and_saveexec_b64 s[2:3], vcc
	s_cbranch_execz .LBB1166_33
; %bb.32:
	v_lshlrev_b32_e32 v19, 1, v20
	v_add_co_u32_e32 v20, vcc, v2, v19
	v_addc_co_u32_e32 v21, vcc, 0, v3, vcc
	flat_load_ushort v19, v[20:21]
.LBB1166_33:
	s_or_b64 exec, exec, s[2:3]
	v_or_b32_e32 v21, 0xd00, v0
	v_cmp_gt_u32_e32 vcc, s33, v21
                                        ; implicit-def: $vgpr20
	s_and_saveexec_b64 s[2:3], vcc
	s_cbranch_execz .LBB1166_35
; %bb.34:
	v_lshlrev_b32_e32 v20, 1, v21
	v_add_co_u32_e32 v20, vcc, v2, v20
	v_addc_co_u32_e32 v21, vcc, 0, v3, vcc
	flat_load_ushort v20, v[20:21]
.LBB1166_35:
	s_or_b64 exec, exec, s[2:3]
	v_or_b32_e32 v22, 0xe00, v0
	v_cmp_gt_u32_e32 vcc, s33, v22
                                        ; implicit-def: $vgpr21
	s_and_saveexec_b64 s[2:3], vcc
	s_cbranch_execz .LBB1166_37
; %bb.36:
	v_lshlrev_b32_e32 v21, 1, v22
	v_add_co_u32_e32 v22, vcc, v2, v21
	v_addc_co_u32_e32 v23, vcc, 0, v3, vcc
	flat_load_ushort v21, v[22:23]
.LBB1166_37:
	s_or_b64 exec, exec, s[2:3]
	v_or_b32_e32 v23, 0xf00, v0
	v_cmp_gt_u32_e32 vcc, s33, v23
                                        ; implicit-def: $vgpr22
	s_and_saveexec_b64 s[2:3], vcc
	s_cbranch_execz .LBB1166_39
; %bb.38:
	v_lshlrev_b32_e32 v22, 1, v23
	v_add_co_u32_e32 v22, vcc, v2, v22
	v_addc_co_u32_e32 v23, vcc, 0, v3, vcc
	flat_load_ushort v22, v[22:23]
.LBB1166_39:
	s_or_b64 exec, exec, s[2:3]
	v_or_b32_e32 v24, 0x1000, v0
	v_cmp_gt_u32_e32 vcc, s33, v24
                                        ; implicit-def: $vgpr23
	s_and_saveexec_b64 s[2:3], vcc
	s_cbranch_execz .LBB1166_41
; %bb.40:
	v_lshlrev_b32_e32 v23, 1, v24
	v_add_co_u32_e32 v24, vcc, v2, v23
	v_addc_co_u32_e32 v25, vcc, 0, v3, vcc
	flat_load_ushort v23, v[24:25]
.LBB1166_41:
	s_or_b64 exec, exec, s[2:3]
	v_or_b32_e32 v25, 0x1100, v0
	v_cmp_gt_u32_e32 vcc, s33, v25
                                        ; implicit-def: $vgpr24
	s_and_saveexec_b64 s[2:3], vcc
	s_cbranch_execz .LBB1166_43
; %bb.42:
	v_lshlrev_b32_e32 v24, 1, v25
	v_add_co_u32_e32 v24, vcc, v2, v24
	v_addc_co_u32_e32 v25, vcc, 0, v3, vcc
	flat_load_ushort v24, v[24:25]
.LBB1166_43:
	s_or_b64 exec, exec, s[2:3]
	v_or_b32_e32 v26, 0x1200, v0
	v_cmp_gt_u32_e32 vcc, s33, v26
                                        ; implicit-def: $vgpr25
	s_and_saveexec_b64 s[2:3], vcc
	s_cbranch_execz .LBB1166_45
; %bb.44:
	v_lshlrev_b32_e32 v25, 1, v26
	v_add_co_u32_e32 v26, vcc, v2, v25
	v_addc_co_u32_e32 v27, vcc, 0, v3, vcc
	flat_load_ushort v25, v[26:27]
.LBB1166_45:
	s_or_b64 exec, exec, s[2:3]
	v_or_b32_e32 v27, 0x1300, v0
	v_cmp_gt_u32_e32 vcc, s33, v27
                                        ; implicit-def: $vgpr26
	s_and_saveexec_b64 s[2:3], vcc
	s_cbranch_execz .LBB1166_47
; %bb.46:
	v_lshlrev_b32_e32 v26, 1, v27
	v_add_co_u32_e32 v2, vcc, v2, v26
	v_addc_co_u32_e32 v3, vcc, 0, v3, vcc
	flat_load_ushort v26, v[2:3]
.LBB1166_47:
	s_or_b64 exec, exec, s[2:3]
	s_waitcnt vmcnt(0) lgkmcnt(0)
	ds_write_b16 v1, v4
	ds_write_b16 v1, v5 offset:512
	ds_write_b16 v1, v6 offset:1024
	;; [unrolled: 1-line block ×19, first 2 shown]
	s_waitcnt lgkmcnt(0)
	s_barrier
.LBB1166_48:
	v_mul_u32_u24_e32 v34, 20, v0
	v_lshlrev_b32_e32 v6, 1, v34
	ds_read_b64 v[16:17], v6 offset:32
	ds_read2_b64 v[2:5], v6 offset0:2 offset1:3
	ds_read2_b64 v[6:9], v6 offset1:1
	v_cndmask_b32_e64 v10, 0, 1, s[4:5]
	v_cmp_ne_u32_e64 s[2:3], 1, v10
	s_waitcnt lgkmcnt(2)
	v_lshrrev_b32_e32 v26, 16, v16
	v_lshrrev_b32_e32 v13, 16, v17
	s_waitcnt lgkmcnt(1)
	v_lshrrev_b32_e32 v30, 16, v2
	v_lshrrev_b32_e32 v29, 16, v3
	;; [unrolled: 1-line block ×4, first 2 shown]
	s_waitcnt lgkmcnt(0)
	v_lshrrev_b32_e32 v35, 16, v6
	v_lshrrev_b32_e32 v33, 16, v7
	;; [unrolled: 1-line block ×4, first 2 shown]
	s_andn2_b64 vcc, exec, s[4:5]
	v_xor_b32_e32 v65, -1, v6
	v_xor_b32_e32 v64, -1, v35
	;; [unrolled: 1-line block ×20, first 2 shown]
	s_barrier
	s_cbranch_vccnz .LBB1166_50
; %bb.49:
	v_and_b32_e32 v55, 1, v65
	v_and_b32_e32 v54, 1, v64
	;; [unrolled: 1-line block ×20, first 2 shown]
	s_cbranch_execz .LBB1166_51
	s_branch .LBB1166_52
.LBB1166_50:
                                        ; implicit-def: $vgpr55
                                        ; implicit-def: $vgpr54
                                        ; implicit-def: $vgpr53
                                        ; implicit-def: $vgpr52
                                        ; implicit-def: $vgpr51
                                        ; implicit-def: $vgpr50
                                        ; implicit-def: $vgpr49
                                        ; implicit-def: $vgpr48
                                        ; implicit-def: $vgpr47
                                        ; implicit-def: $vgpr46
                                        ; implicit-def: $vgpr45
                                        ; implicit-def: $vgpr44
                                        ; implicit-def: $vgpr43
                                        ; implicit-def: $vgpr42
                                        ; implicit-def: $vgpr41
                                        ; implicit-def: $vgpr40
                                        ; implicit-def: $vgpr39
                                        ; implicit-def: $vgpr38
                                        ; implicit-def: $vgpr36
                                        ; implicit-def: $vgpr37
.LBB1166_51:
	v_or_b32_e32 v45, 1, v34
	v_cmp_gt_u32_e32 vcc, s33, v34
	v_or_b32_e32 v46, 2, v34
	v_cndmask_b32_e64 v50, 0, 1, vcc
	v_cmp_gt_u32_e32 vcc, s33, v45
	v_or_b32_e32 v47, 3, v34
	v_cndmask_b32_e64 v45, 0, 1, vcc
	v_cmp_gt_u32_e32 vcc, s33, v46
	v_add_u32_e32 v48, 4, v34
	v_and_b32_e32 v54, v45, v64
	v_cndmask_b32_e64 v45, 0, 1, vcc
	v_cmp_gt_u32_e32 vcc, s33, v47
	v_add_u32_e32 v49, 5, v34
	v_and_b32_e32 v53, v45, v63
	;; [unrolled: 4-line block ×5, first 2 shown]
	v_and_b32_e32 v50, v45, v60
	v_cndmask_b32_e64 v45, 0, 1, vcc
	v_cmp_gt_u32_e32 vcc, s33, v67
	v_add_u32_e32 v69, 9, v34
	v_and_b32_e32 v49, v45, v59
	v_cndmask_b32_e64 v45, 0, 1, vcc
	v_cmp_gt_u32_e32 vcc, s33, v68
	v_add_u32_e32 v70, 10, v34
	;; [unrolled: 4-line block ×11, first 2 shown]
	v_and_b32_e32 v39, v20, v19
	v_cndmask_b32_e64 v19, 0, 1, vcc
	v_cmp_gt_u32_e32 vcc, s33, v36
	v_and_b32_e32 v38, v19, v18
	v_cndmask_b32_e64 v18, 0, 1, vcc
	v_cmp_gt_u32_e32 vcc, s33, v37
	v_and_b32_e32 v36, v18, v11
	v_cndmask_b32_e64 v11, 0, 1, vcc
	v_and_b32_e32 v37, v11, v10
.LBB1166_52:
	v_and_b32_e32 v72, 0xff, v39
	v_and_b32_e32 v73, 0xff, v38
	v_add_u32_sdwa v10, v36, v37 dst_sel:DWORD dst_unused:UNUSED_PAD src0_sel:BYTE_0 src1_sel:BYTE_0
	v_and_b32_e32 v70, 0xff, v41
	v_and_b32_e32 v71, 0xff, v40
	v_add3_u32 v10, v10, v73, v72
	v_and_b32_e32 v68, 0xff, v43
	v_and_b32_e32 v69, 0xff, v42
	v_add3_u32 v10, v10, v71, v70
	;; [unrolled: 3-line block ×8, first 2 shown]
	v_add3_u32 v76, v10, v57, v56
	v_mbcnt_lo_u32_b32 v10, -1, 0
	v_mbcnt_hi_u32_b32 v74, -1, v10
	v_and_b32_e32 v10, 15, v74
	v_cmp_eq_u32_e64 s[16:17], 0, v10
	v_cmp_lt_u32_e64 s[14:15], 1, v10
	v_cmp_lt_u32_e64 s[12:13], 3, v10
	;; [unrolled: 1-line block ×3, first 2 shown]
	v_and_b32_e32 v10, 16, v74
	v_cmp_eq_u32_e64 s[8:9], 0, v10
	v_or_b32_e32 v10, 63, v0
	s_cmp_lg_u32 s40, 0
	v_cmp_lt_u32_e64 s[4:5], 31, v74
	v_lshrrev_b32_e32 v75, 6, v0
	v_cmp_eq_u32_e64 s[6:7], v10, v0
	s_cbranch_scc0 .LBB1166_83
; %bb.53:
	v_mov_b32_dpp v10, v76 row_shr:1 row_mask:0xf bank_mask:0xf
	v_cndmask_b32_e64 v10, v10, 0, s[16:17]
	v_add_u32_e32 v10, v10, v76
	s_nop 1
	v_mov_b32_dpp v11, v10 row_shr:2 row_mask:0xf bank_mask:0xf
	v_cndmask_b32_e64 v11, 0, v11, s[14:15]
	v_add_u32_e32 v10, v10, v11
	s_nop 1
	;; [unrolled: 4-line block ×4, first 2 shown]
	v_mov_b32_dpp v11, v10 row_bcast:15 row_mask:0xf bank_mask:0xf
	v_cndmask_b32_e64 v11, v11, 0, s[8:9]
	v_add_u32_e32 v10, v10, v11
	s_nop 1
	v_mov_b32_dpp v11, v10 row_bcast:31 row_mask:0xf bank_mask:0xf
	v_cndmask_b32_e64 v11, 0, v11, s[4:5]
	v_add_u32_e32 v10, v10, v11
	s_and_saveexec_b64 s[18:19], s[6:7]
	s_cbranch_execz .LBB1166_55
; %bb.54:
	v_lshlrev_b32_e32 v11, 2, v75
	ds_write_b32 v11, v10
.LBB1166_55:
	s_or_b64 exec, exec, s[18:19]
	v_cmp_gt_u32_e32 vcc, 4, v0
	s_waitcnt lgkmcnt(0)
	s_barrier
	s_and_saveexec_b64 s[18:19], vcc
	s_cbranch_execz .LBB1166_57
; %bb.56:
	v_lshlrev_b32_e32 v11, 2, v0
	ds_read_b32 v18, v11
	v_and_b32_e32 v19, 3, v74
	v_cmp_ne_u32_e32 vcc, 0, v19
	s_waitcnt lgkmcnt(0)
	v_mov_b32_dpp v20, v18 row_shr:1 row_mask:0xf bank_mask:0xf
	v_cndmask_b32_e32 v20, 0, v20, vcc
	v_add_u32_e32 v18, v20, v18
	v_cmp_lt_u32_e32 vcc, 1, v19
	s_nop 0
	v_mov_b32_dpp v20, v18 row_shr:2 row_mask:0xf bank_mask:0xf
	v_cndmask_b32_e32 v19, 0, v20, vcc
	v_add_u32_e32 v18, v18, v19
	ds_write_b32 v11, v18
.LBB1166_57:
	s_or_b64 exec, exec, s[18:19]
	v_cmp_gt_u32_e32 vcc, 64, v0
	v_cmp_lt_u32_e64 s[18:19], 63, v0
	s_waitcnt lgkmcnt(0)
	s_barrier
	s_waitcnt lgkmcnt(0)
                                        ; implicit-def: $vgpr77
	s_and_saveexec_b64 s[24:25], s[18:19]
	s_cbranch_execz .LBB1166_59
; %bb.58:
	v_lshl_add_u32 v11, v75, 2, -4
	ds_read_b32 v77, v11
	s_waitcnt lgkmcnt(0)
	v_add_u32_e32 v10, v77, v10
.LBB1166_59:
	s_or_b64 exec, exec, s[24:25]
	v_add_u32_e32 v11, -1, v74
	v_and_b32_e32 v18, 64, v74
	v_cmp_lt_i32_e64 s[18:19], v11, v18
	v_cndmask_b32_e64 v11, v11, v74, s[18:19]
	v_lshlrev_b32_e32 v11, 2, v11
	ds_bpermute_b32 v78, v11, v10
	v_cmp_eq_u32_e64 s[18:19], 0, v74
	s_and_saveexec_b64 s[24:25], vcc
	s_cbranch_execz .LBB1166_82
; %bb.60:
	v_mov_b32_e32 v25, 0
	ds_read_b32 v10, v25 offset:12
	s_and_saveexec_b64 s[36:37], s[18:19]
	s_cbranch_execz .LBB1166_62
; %bb.61:
	s_add_i32 s38, s40, 64
	s_mov_b32 s39, 0
	s_lshl_b64 s[38:39], s[38:39], 3
	s_add_u32 s38, s34, s38
	v_mov_b32_e32 v11, 1
	s_addc_u32 s39, s35, s39
	s_waitcnt lgkmcnt(0)
	global_store_dwordx2 v25, v[10:11], s[38:39]
.LBB1166_62:
	s_or_b64 exec, exec, s[36:37]
	v_xad_u32 v18, v74, -1, s40
	v_add_u32_e32 v24, 64, v18
	v_lshlrev_b64 v[20:21], 3, v[24:25]
	v_mov_b32_e32 v11, s35
	v_add_co_u32_e32 v20, vcc, s34, v20
	v_addc_co_u32_e32 v21, vcc, v11, v21, vcc
	global_load_dwordx2 v[22:23], v[20:21], off glc
	s_waitcnt vmcnt(0)
	v_cmp_eq_u16_sdwa s[38:39], v23, v25 src0_sel:BYTE_0 src1_sel:DWORD
	s_and_saveexec_b64 s[36:37], s[38:39]
	s_cbranch_execz .LBB1166_68
; %bb.63:
	s_mov_b32 s41, 1
	s_mov_b64 s[38:39], 0
	v_mov_b32_e32 v11, 0
.LBB1166_64:                            ; =>This Loop Header: Depth=1
                                        ;     Child Loop BB1166_65 Depth 2
	s_max_u32 s42, s41, 1
.LBB1166_65:                            ;   Parent Loop BB1166_64 Depth=1
                                        ; =>  This Inner Loop Header: Depth=2
	s_add_i32 s42, s42, -1
	s_cmp_eq_u32 s42, 0
	s_sleep 1
	s_cbranch_scc0 .LBB1166_65
; %bb.66:                               ;   in Loop: Header=BB1166_64 Depth=1
	global_load_dwordx2 v[22:23], v[20:21], off glc
	s_cmp_lt_u32 s41, 32
	s_cselect_b64 s[42:43], -1, 0
	s_cmp_lg_u64 s[42:43], 0
	s_addc_u32 s41, s41, 0
	s_waitcnt vmcnt(0)
	v_cmp_ne_u16_sdwa s[42:43], v23, v11 src0_sel:BYTE_0 src1_sel:DWORD
	s_or_b64 s[38:39], s[42:43], s[38:39]
	s_andn2_b64 exec, exec, s[38:39]
	s_cbranch_execnz .LBB1166_64
; %bb.67:
	s_or_b64 exec, exec, s[38:39]
.LBB1166_68:
	s_or_b64 exec, exec, s[36:37]
	v_and_b32_e32 v80, 63, v74
	v_mov_b32_e32 v79, 2
	v_cmp_ne_u32_e32 vcc, 63, v80
	v_cmp_eq_u16_sdwa s[36:37], v23, v79 src0_sel:BYTE_0 src1_sel:DWORD
	v_lshlrev_b64 v[20:21], v74, -1
	v_addc_co_u32_e32 v24, vcc, 0, v74, vcc
	v_and_b32_e32 v11, s37, v21
	v_lshlrev_b32_e32 v81, 2, v24
	v_or_b32_e32 v11, 0x80000000, v11
	ds_bpermute_b32 v24, v81, v22
	v_and_b32_e32 v19, s36, v20
	v_ffbl_b32_e32 v11, v11
	v_add_u32_e32 v11, 32, v11
	v_ffbl_b32_e32 v19, v19
	v_min_u32_e32 v11, v19, v11
	v_cmp_lt_u32_e32 vcc, v80, v11
	s_waitcnt lgkmcnt(0)
	v_cndmask_b32_e32 v19, 0, v24, vcc
	v_cmp_gt_u32_e32 vcc, 62, v80
	v_add_u32_e32 v19, v19, v22
	v_cndmask_b32_e64 v22, 0, 1, vcc
	v_lshlrev_b32_e32 v22, 1, v22
	v_add_lshl_u32 v82, v22, v74, 2
	ds_bpermute_b32 v22, v82, v19
	v_add_u32_e32 v83, 2, v80
	v_cmp_le_u32_e32 vcc, v83, v11
	v_add_u32_e32 v85, 4, v80
	v_add_u32_e32 v87, 8, v80
	s_waitcnt lgkmcnt(0)
	v_cndmask_b32_e32 v22, 0, v22, vcc
	v_cmp_gt_u32_e32 vcc, 60, v80
	v_add_u32_e32 v19, v19, v22
	v_cndmask_b32_e64 v22, 0, 1, vcc
	v_lshlrev_b32_e32 v22, 2, v22
	v_add_lshl_u32 v84, v22, v74, 2
	ds_bpermute_b32 v22, v84, v19
	v_cmp_le_u32_e32 vcc, v85, v11
	v_add_u32_e32 v89, 16, v80
	v_add_u32_e32 v91, 32, v80
	s_waitcnt lgkmcnt(0)
	v_cndmask_b32_e32 v22, 0, v22, vcc
	v_cmp_gt_u32_e32 vcc, 56, v80
	v_add_u32_e32 v19, v19, v22
	v_cndmask_b32_e64 v22, 0, 1, vcc
	v_lshlrev_b32_e32 v22, 3, v22
	v_add_lshl_u32 v86, v22, v74, 2
	ds_bpermute_b32 v22, v86, v19
	v_cmp_le_u32_e32 vcc, v87, v11
	s_waitcnt lgkmcnt(0)
	v_cndmask_b32_e32 v22, 0, v22, vcc
	v_cmp_gt_u32_e32 vcc, 48, v80
	v_add_u32_e32 v19, v19, v22
	v_cndmask_b32_e64 v22, 0, 1, vcc
	v_lshlrev_b32_e32 v22, 4, v22
	v_add_lshl_u32 v88, v22, v74, 2
	ds_bpermute_b32 v22, v88, v19
	v_cmp_le_u32_e32 vcc, v89, v11
	;; [unrolled: 9-line block ×3, first 2 shown]
	s_waitcnt lgkmcnt(0)
	v_cndmask_b32_e32 v11, 0, v22, vcc
	v_add_u32_e32 v22, v19, v11
	v_mov_b32_e32 v19, 0
	s_branch .LBB1166_70
.LBB1166_69:                            ;   in Loop: Header=BB1166_70 Depth=1
	s_or_b64 exec, exec, s[36:37]
	v_cmp_eq_u16_sdwa s[36:37], v23, v79 src0_sel:BYTE_0 src1_sel:DWORD
	v_and_b32_e32 v24, s37, v21
	v_or_b32_e32 v24, 0x80000000, v24
	ds_bpermute_b32 v92, v81, v22
	v_and_b32_e32 v25, s36, v20
	v_ffbl_b32_e32 v24, v24
	v_add_u32_e32 v24, 32, v24
	v_ffbl_b32_e32 v25, v25
	v_min_u32_e32 v24, v25, v24
	v_cmp_lt_u32_e32 vcc, v80, v24
	s_waitcnt lgkmcnt(0)
	v_cndmask_b32_e32 v25, 0, v92, vcc
	v_add_u32_e32 v22, v25, v22
	ds_bpermute_b32 v25, v82, v22
	v_cmp_le_u32_e32 vcc, v83, v24
	v_subrev_u32_e32 v18, 64, v18
	s_waitcnt lgkmcnt(0)
	v_cndmask_b32_e32 v25, 0, v25, vcc
	v_add_u32_e32 v22, v22, v25
	ds_bpermute_b32 v25, v84, v22
	v_cmp_le_u32_e32 vcc, v85, v24
	s_waitcnt lgkmcnt(0)
	v_cndmask_b32_e32 v25, 0, v25, vcc
	v_add_u32_e32 v22, v22, v25
	ds_bpermute_b32 v25, v86, v22
	v_cmp_le_u32_e32 vcc, v87, v24
	;; [unrolled: 5-line block ×4, first 2 shown]
	s_waitcnt lgkmcnt(0)
	v_cndmask_b32_e32 v24, 0, v25, vcc
	v_add3_u32 v22, v24, v11, v22
.LBB1166_70:                            ; =>This Loop Header: Depth=1
                                        ;     Child Loop BB1166_73 Depth 2
                                        ;       Child Loop BB1166_74 Depth 3
	v_cmp_ne_u16_sdwa s[36:37], v23, v79 src0_sel:BYTE_0 src1_sel:DWORD
	v_cndmask_b32_e64 v11, 0, 1, s[36:37]
	;;#ASMSTART
	;;#ASMEND
	v_cmp_ne_u32_e32 vcc, 0, v11
	s_cmp_lg_u64 vcc, exec
	v_mov_b32_e32 v11, v22
	s_cbranch_scc1 .LBB1166_77
; %bb.71:                               ;   in Loop: Header=BB1166_70 Depth=1
	v_lshlrev_b64 v[22:23], 3, v[18:19]
	v_mov_b32_e32 v25, s35
	v_add_co_u32_e32 v24, vcc, s34, v22
	v_addc_co_u32_e32 v25, vcc, v25, v23, vcc
	global_load_dwordx2 v[22:23], v[24:25], off glc
	s_waitcnt vmcnt(0)
	v_cmp_eq_u16_sdwa s[38:39], v23, v19 src0_sel:BYTE_0 src1_sel:DWORD
	s_and_saveexec_b64 s[36:37], s[38:39]
	s_cbranch_execz .LBB1166_69
; %bb.72:                               ;   in Loop: Header=BB1166_70 Depth=1
	s_mov_b32 s41, 1
	s_mov_b64 s[38:39], 0
.LBB1166_73:                            ;   Parent Loop BB1166_70 Depth=1
                                        ; =>  This Loop Header: Depth=2
                                        ;       Child Loop BB1166_74 Depth 3
	s_max_u32 s42, s41, 1
.LBB1166_74:                            ;   Parent Loop BB1166_70 Depth=1
                                        ;     Parent Loop BB1166_73 Depth=2
                                        ; =>    This Inner Loop Header: Depth=3
	s_add_i32 s42, s42, -1
	s_cmp_eq_u32 s42, 0
	s_sleep 1
	s_cbranch_scc0 .LBB1166_74
; %bb.75:                               ;   in Loop: Header=BB1166_73 Depth=2
	global_load_dwordx2 v[22:23], v[24:25], off glc
	s_cmp_lt_u32 s41, 32
	s_cselect_b64 s[42:43], -1, 0
	s_cmp_lg_u64 s[42:43], 0
	s_addc_u32 s41, s41, 0
	s_waitcnt vmcnt(0)
	v_cmp_ne_u16_sdwa s[42:43], v23, v19 src0_sel:BYTE_0 src1_sel:DWORD
	s_or_b64 s[38:39], s[42:43], s[38:39]
	s_andn2_b64 exec, exec, s[38:39]
	s_cbranch_execnz .LBB1166_73
; %bb.76:                               ;   in Loop: Header=BB1166_70 Depth=1
	s_or_b64 exec, exec, s[38:39]
	s_branch .LBB1166_69
.LBB1166_77:                            ;   in Loop: Header=BB1166_70 Depth=1
                                        ; implicit-def: $vgpr22
                                        ; implicit-def: $vgpr23
	s_cbranch_execz .LBB1166_70
; %bb.78:
	s_and_saveexec_b64 s[36:37], s[18:19]
	s_cbranch_execz .LBB1166_80
; %bb.79:
	s_add_i32 s38, s40, 64
	s_mov_b32 s39, 0
	s_lshl_b64 s[38:39], s[38:39], 3
	s_add_u32 s38, s34, s38
	v_add_u32_e32 v18, v11, v10
	v_mov_b32_e32 v19, 2
	s_addc_u32 s39, s35, s39
	v_mov_b32_e32 v20, 0
	global_store_dwordx2 v20, v[18:19], s[38:39]
	ds_write_b64 v20, v[10:11] offset:10240
.LBB1166_80:
	s_or_b64 exec, exec, s[36:37]
	s_and_b64 exec, exec, s[0:1]
	s_cbranch_execz .LBB1166_82
; %bb.81:
	v_mov_b32_e32 v10, 0
	ds_write_b32 v10, v11 offset:12
.LBB1166_82:
	s_or_b64 exec, exec, s[24:25]
	v_mov_b32_e32 v10, 0
	s_waitcnt lgkmcnt(0)
	s_barrier
	ds_read_b32 v18, v10 offset:12
	s_waitcnt lgkmcnt(0)
	s_barrier
	ds_read_b64 v[10:11], v10 offset:10240
	v_cndmask_b32_e64 v19, v78, v77, s[18:19]
	v_cndmask_b32_e64 v19, v19, 0, s[0:1]
	v_add_u32_e32 v18, v18, v19
	s_branch .LBB1166_93
.LBB1166_83:
                                        ; implicit-def: $vgpr11
                                        ; implicit-def: $vgpr18
	s_cbranch_execz .LBB1166_93
; %bb.84:
	s_waitcnt lgkmcnt(0)
	v_mov_b32_dpp v10, v76 row_shr:1 row_mask:0xf bank_mask:0xf
	v_cndmask_b32_e64 v10, v10, 0, s[16:17]
	v_add_u32_e32 v10, v10, v76
	s_nop 1
	v_mov_b32_dpp v11, v10 row_shr:2 row_mask:0xf bank_mask:0xf
	v_cndmask_b32_e64 v11, 0, v11, s[14:15]
	v_add_u32_e32 v10, v10, v11
	s_nop 1
	v_mov_b32_dpp v11, v10 row_shr:4 row_mask:0xf bank_mask:0xf
	v_cndmask_b32_e64 v11, 0, v11, s[12:13]
	v_add_u32_e32 v10, v10, v11
	s_nop 1
	v_mov_b32_dpp v11, v10 row_shr:8 row_mask:0xf bank_mask:0xf
	v_cndmask_b32_e64 v11, 0, v11, s[10:11]
	v_add_u32_e32 v10, v10, v11
	s_nop 1
	v_mov_b32_dpp v11, v10 row_bcast:15 row_mask:0xf bank_mask:0xf
	v_cndmask_b32_e64 v11, v11, 0, s[8:9]
	v_add_u32_e32 v10, v10, v11
	s_nop 1
	v_mov_b32_dpp v11, v10 row_bcast:31 row_mask:0xf bank_mask:0xf
	v_cndmask_b32_e64 v11, 0, v11, s[4:5]
	v_add_u32_e32 v10, v10, v11
	s_and_saveexec_b64 s[4:5], s[6:7]
	s_cbranch_execz .LBB1166_86
; %bb.85:
	v_lshlrev_b32_e32 v11, 2, v75
	ds_write_b32 v11, v10
.LBB1166_86:
	s_or_b64 exec, exec, s[4:5]
	v_cmp_gt_u32_e32 vcc, 4, v0
	s_waitcnt lgkmcnt(0)
	s_barrier
	s_and_saveexec_b64 s[4:5], vcc
	s_cbranch_execz .LBB1166_88
; %bb.87:
	v_lshlrev_b32_e32 v11, 2, v0
	ds_read_b32 v18, v11
	v_and_b32_e32 v19, 3, v74
	v_cmp_ne_u32_e32 vcc, 0, v19
	s_waitcnt lgkmcnt(0)
	v_mov_b32_dpp v20, v18 row_shr:1 row_mask:0xf bank_mask:0xf
	v_cndmask_b32_e32 v20, 0, v20, vcc
	v_add_u32_e32 v18, v20, v18
	v_cmp_lt_u32_e32 vcc, 1, v19
	s_nop 0
	v_mov_b32_dpp v20, v18 row_shr:2 row_mask:0xf bank_mask:0xf
	v_cndmask_b32_e32 v19, 0, v20, vcc
	v_add_u32_e32 v18, v18, v19
	ds_write_b32 v11, v18
.LBB1166_88:
	s_or_b64 exec, exec, s[4:5]
	v_cmp_lt_u32_e32 vcc, 63, v0
	v_mov_b32_e32 v11, 0
	v_mov_b32_e32 v18, 0
	s_waitcnt lgkmcnt(0)
	s_barrier
	s_and_saveexec_b64 s[4:5], vcc
	s_cbranch_execz .LBB1166_90
; %bb.89:
	v_lshl_add_u32 v18, v75, 2, -4
	ds_read_b32 v18, v18
.LBB1166_90:
	s_or_b64 exec, exec, s[4:5]
	v_add_u32_e32 v19, -1, v74
	v_and_b32_e32 v20, 64, v74
	v_cmp_lt_i32_e32 vcc, v19, v20
	v_cndmask_b32_e32 v19, v19, v74, vcc
	s_waitcnt lgkmcnt(0)
	v_add_u32_e32 v10, v18, v10
	v_lshlrev_b32_e32 v19, 2, v19
	ds_bpermute_b32 v19, v19, v10
	ds_read_b32 v10, v11 offset:12
	s_and_saveexec_b64 s[4:5], s[0:1]
	s_cbranch_execz .LBB1166_92
; %bb.91:
	v_mov_b32_e32 v20, 0
	v_mov_b32_e32 v11, 2
	s_waitcnt lgkmcnt(0)
	global_store_dwordx2 v20, v[10:11], s[34:35] offset:512
.LBB1166_92:
	s_or_b64 exec, exec, s[4:5]
	v_cmp_eq_u32_e32 vcc, 0, v74
	s_waitcnt lgkmcnt(1)
	v_cndmask_b32_e32 v18, v19, v18, vcc
	v_mov_b32_e32 v11, 0
	v_cndmask_b32_e64 v18, v18, 0, s[0:1]
	s_waitcnt lgkmcnt(0)
	s_barrier
.LBB1166_93:
	v_add_u32_e32 v19, v18, v56
	v_add_u32_e32 v20, v19, v57
	;; [unrolled: 1-line block ×11, first 2 shown]
	s_waitcnt lgkmcnt(0)
	v_add_u32_e32 v34, v10, v34
	v_sub_u32_e32 v18, v18, v11
	v_and_b32_e32 v55, 1, v55
	v_add_u32_e32 v60, v59, v67
	v_sub_u32_e32 v67, v34, v18
	v_cmp_eq_u32_e32 vcc, 1, v55
	v_cndmask_b32_e32 v18, v67, v18, vcc
	v_lshlrev_b32_e32 v18, 1, v18
	ds_write_b16 v18, v6
	v_sub_u32_e32 v6, v19, v11
	v_sub_u32_e32 v18, v34, v6
	v_and_b32_e32 v19, 1, v54
	v_add_u32_e32 v18, 1, v18
	v_cmp_eq_u32_e32 vcc, 1, v19
	v_cndmask_b32_e32 v6, v18, v6, vcc
	v_lshlrev_b32_e32 v6, 1, v6
	ds_write_b16 v6, v35
	v_sub_u32_e32 v6, v20, v11
	v_sub_u32_e32 v18, v34, v6
	v_and_b32_e32 v19, 1, v53
	v_add_u32_e32 v18, 2, v18
	v_cmp_eq_u32_e32 vcc, 1, v19
	v_cndmask_b32_e32 v6, v18, v6, vcc
	v_lshlrev_b32_e32 v6, 1, v6
	ds_write_b16 v6, v7
	v_sub_u32_e32 v6, v21, v11
	v_sub_u32_e32 v7, v34, v6
	v_and_b32_e32 v18, 1, v52
	v_add_u32_e32 v7, 3, v7
	v_cmp_eq_u32_e32 vcc, 1, v18
	v_cndmask_b32_e32 v6, v7, v6, vcc
	v_lshlrev_b32_e32 v6, 1, v6
	ds_write_b16 v6, v33
	v_sub_u32_e32 v6, v22, v11
	v_sub_u32_e32 v7, v34, v6
	v_and_b32_e32 v18, 1, v51
	v_add_u32_e32 v7, 4, v7
	v_cmp_eq_u32_e32 vcc, 1, v18
	v_cndmask_b32_e32 v6, v7, v6, vcc
	v_lshlrev_b32_e32 v6, 1, v6
	ds_write_b16 v6, v8
	v_sub_u32_e32 v6, v23, v11
	v_sub_u32_e32 v7, v34, v6
	v_and_b32_e32 v8, 1, v50
	v_add_u32_e32 v7, 5, v7
	v_cmp_eq_u32_e32 vcc, 1, v8
	v_cndmask_b32_e32 v6, v7, v6, vcc
	v_lshlrev_b32_e32 v6, 1, v6
	ds_write_b16 v6, v32
	v_sub_u32_e32 v6, v24, v11
	v_sub_u32_e32 v7, v34, v6
	v_and_b32_e32 v8, 1, v49
	v_add_u32_e32 v7, 6, v7
	v_cmp_eq_u32_e32 vcc, 1, v8
	v_cndmask_b32_e32 v6, v7, v6, vcc
	v_lshlrev_b32_e32 v6, 1, v6
	ds_write_b16 v6, v9
	v_sub_u32_e32 v6, v25, v11
	v_sub_u32_e32 v7, v34, v6
	v_and_b32_e32 v8, 1, v48
	v_add_u32_e32 v7, 7, v7
	v_cmp_eq_u32_e32 vcc, 1, v8
	v_cndmask_b32_e32 v6, v7, v6, vcc
	v_lshlrev_b32_e32 v6, 1, v6
	ds_write_b16 v6, v31
	v_sub_u32_e32 v6, v56, v11
	v_sub_u32_e32 v7, v34, v6
	v_and_b32_e32 v8, 1, v47
	v_add_u32_e32 v7, 8, v7
	v_cmp_eq_u32_e32 vcc, 1, v8
	v_cndmask_b32_e32 v6, v7, v6, vcc
	v_lshlrev_b32_e32 v6, 1, v6
	ds_write_b16 v6, v2
	v_sub_u32_e32 v2, v57, v11
	v_sub_u32_e32 v6, v34, v2
	v_and_b32_e32 v7, 1, v46
	v_add_u32_e32 v6, 9, v6
	v_cmp_eq_u32_e32 vcc, 1, v7
	v_cndmask_b32_e32 v2, v6, v2, vcc
	v_lshlrev_b32_e32 v2, 1, v2
	ds_write_b16 v2, v30
	v_sub_u32_e32 v2, v58, v11
	v_sub_u32_e32 v6, v34, v2
	v_and_b32_e32 v7, 1, v45
	v_add_u32_e32 v6, 10, v6
	v_cmp_eq_u32_e32 vcc, 1, v7
	v_cndmask_b32_e32 v2, v6, v2, vcc
	v_lshlrev_b32_e32 v2, 1, v2
	ds_write_b16 v2, v3
	v_sub_u32_e32 v2, v59, v11
	v_sub_u32_e32 v3, v34, v2
	v_and_b32_e32 v6, 1, v44
	v_add_u32_e32 v3, 11, v3
	v_cmp_eq_u32_e32 vcc, 1, v6
	v_cndmask_b32_e32 v2, v3, v2, vcc
	v_lshlrev_b32_e32 v2, 1, v2
	ds_write_b16 v2, v29
	v_sub_u32_e32 v2, v60, v11
	v_sub_u32_e32 v3, v34, v2
	v_and_b32_e32 v6, 1, v43
	v_add_u32_e32 v3, 12, v3
	v_cmp_eq_u32_e32 vcc, 1, v6
	v_cndmask_b32_e32 v2, v3, v2, vcc
	v_add_u32_e32 v61, v60, v68
	v_lshlrev_b32_e32 v2, 1, v2
	ds_write_b16 v2, v4
	v_sub_u32_e32 v2, v61, v11
	v_sub_u32_e32 v3, v34, v2
	v_and_b32_e32 v4, 1, v42
	v_add_u32_e32 v3, 13, v3
	v_cmp_eq_u32_e32 vcc, 1, v4
	v_cndmask_b32_e32 v2, v3, v2, vcc
	v_add_u32_e32 v62, v61, v69
	v_lshlrev_b32_e32 v2, 1, v2
	ds_write_b16 v2, v28
	v_sub_u32_e32 v2, v62, v11
	v_sub_u32_e32 v3, v34, v2
	v_and_b32_e32 v4, 1, v41
	v_add_u32_e32 v3, 14, v3
	;; [unrolled: 9-line block ×6, first 2 shown]
	v_cmp_eq_u32_e32 vcc, 1, v4
	v_cndmask_b32_e32 v2, v3, v2, vcc
	v_lshlrev_b32_e32 v2, 1, v2
	ds_write_b16 v2, v17
	v_sub_u32_sdwa v2, v36, v11 dst_sel:DWORD dst_unused:UNUSED_PAD src0_sel:BYTE_0 src1_sel:DWORD
	v_add_u32_e32 v2, v66, v2
	v_sub_u32_e32 v3, v34, v2
	v_and_b32_e32 v4, 1, v37
	v_add_u32_e32 v3, 19, v3
	v_cmp_eq_u32_e32 vcc, 1, v4
	v_cndmask_b32_e32 v2, v3, v2, vcc
	v_lshlrev_b32_e32 v2, 1, v2
	ds_write_b16 v2, v13
	s_waitcnt lgkmcnt(0)
	s_barrier
	ds_read_u16 v50, v1
	ds_read_u16 v48, v1 offset:512
	ds_read_u16 v46, v1 offset:1024
	;; [unrolled: 1-line block ×19, first 2 shown]
	s_waitcnt vmcnt(0)
	v_add_co_u32_e32 v1, vcc, v14, v11
	v_addc_co_u32_e32 v4, vcc, 0, v15, vcc
	v_mov_b32_e32 v2, s27
	v_add_co_u32_e32 v3, vcc, s26, v12
	v_addc_co_u32_e32 v2, vcc, 0, v2, vcc
	v_mov_b32_e32 v7, s31
	v_sub_co_u32_e32 v3, vcc, s30, v3
	v_subb_co_u32_e32 v2, vcc, v7, v2, vcc
	v_add_co_u32_e32 v3, vcc, v3, v10
	v_addc_co_u32_e32 v2, vcc, 0, v2, vcc
	s_and_b64 vcc, exec, s[2:3]
	v_add_co_u32_e64 v7, s[2:3], v3, v1
	v_or_b32_e32 v49, 0x100, v0
	v_or_b32_e32 v47, 0x200, v0
	;; [unrolled: 1-line block ×19, first 2 shown]
	v_addc_co_u32_e64 v8, s[2:3], v2, v4, s[2:3]
	s_cbranch_vccnz .LBB1166_178
; %bb.94:
	v_cmp_ge_u32_e32 vcc, v0, v10
                                        ; implicit-def: $vgpr2_vgpr3
	s_and_saveexec_b64 s[2:3], vcc
	s_xor_b64 s[2:3], exec, s[2:3]
; %bb.95:
	v_not_b32_e32 v2, v0
	v_ashrrev_i32_e32 v3, 31, v2
	v_add_co_u32_e32 v2, vcc, v7, v2
	v_addc_co_u32_e32 v3, vcc, v8, v3, vcc
; %bb.96:
	s_andn2_saveexec_b64 s[2:3], s[2:3]
; %bb.97:
	v_add_co_u32_e32 v2, vcc, v1, v0
	v_addc_co_u32_e32 v3, vcc, 0, v4, vcc
; %bb.98:
	s_or_b64 exec, exec, s[2:3]
	v_lshlrev_b64 v[2:3], 1, v[2:3]
	v_mov_b32_e32 v11, s29
	v_add_co_u32_e32 v2, vcc, s28, v2
	v_addc_co_u32_e32 v3, vcc, v11, v3, vcc
	v_cmp_ge_u32_e32 vcc, v49, v10
	s_waitcnt lgkmcnt(14)
	global_store_short v[2:3], v50, off
                                        ; implicit-def: $vgpr2_vgpr3
	s_and_saveexec_b64 s[2:3], vcc
	s_xor_b64 s[2:3], exec, s[2:3]
; %bb.99:
	v_xor_b32_e32 v2, 0xfffffeff, v0
	v_ashrrev_i32_e32 v3, 31, v2
	v_add_co_u32_e32 v2, vcc, v7, v2
	v_addc_co_u32_e32 v3, vcc, v8, v3, vcc
; %bb.100:
	s_andn2_saveexec_b64 s[2:3], s[2:3]
; %bb.101:
	v_add_co_u32_e32 v2, vcc, v1, v49
	v_addc_co_u32_e32 v3, vcc, 0, v4, vcc
; %bb.102:
	s_or_b64 exec, exec, s[2:3]
	v_lshlrev_b64 v[2:3], 1, v[2:3]
	v_mov_b32_e32 v11, s29
	v_add_co_u32_e32 v2, vcc, s28, v2
	v_addc_co_u32_e32 v3, vcc, v11, v3, vcc
	v_cmp_ge_u32_e32 vcc, v47, v10
	global_store_short v[2:3], v48, off
                                        ; implicit-def: $vgpr2_vgpr3
	s_and_saveexec_b64 s[2:3], vcc
	s_xor_b64 s[2:3], exec, s[2:3]
; %bb.103:
	v_xor_b32_e32 v2, 0xfffffdff, v0
	v_ashrrev_i32_e32 v3, 31, v2
	v_add_co_u32_e32 v2, vcc, v7, v2
	v_addc_co_u32_e32 v3, vcc, v8, v3, vcc
; %bb.104:
	s_andn2_saveexec_b64 s[2:3], s[2:3]
; %bb.105:
	v_add_co_u32_e32 v2, vcc, v1, v47
	v_addc_co_u32_e32 v3, vcc, 0, v4, vcc
; %bb.106:
	s_or_b64 exec, exec, s[2:3]
	v_lshlrev_b64 v[2:3], 1, v[2:3]
	v_mov_b32_e32 v11, s29
	v_add_co_u32_e32 v2, vcc, s28, v2
	v_addc_co_u32_e32 v3, vcc, v11, v3, vcc
	v_cmp_ge_u32_e32 vcc, v45, v10
	global_store_short v[2:3], v46, off
                                        ; implicit-def: $vgpr2_vgpr3
	s_and_saveexec_b64 s[2:3], vcc
	s_xor_b64 s[2:3], exec, s[2:3]
; %bb.107:
	v_xor_b32_e32 v2, 0xfffffcff, v0
	v_ashrrev_i32_e32 v3, 31, v2
	v_add_co_u32_e32 v2, vcc, v7, v2
	v_addc_co_u32_e32 v3, vcc, v8, v3, vcc
; %bb.108:
	s_andn2_saveexec_b64 s[2:3], s[2:3]
; %bb.109:
	v_add_co_u32_e32 v2, vcc, v1, v45
	v_addc_co_u32_e32 v3, vcc, 0, v4, vcc
; %bb.110:
	s_or_b64 exec, exec, s[2:3]
	v_lshlrev_b64 v[2:3], 1, v[2:3]
	v_mov_b32_e32 v11, s29
	v_add_co_u32_e32 v2, vcc, s28, v2
	v_addc_co_u32_e32 v3, vcc, v11, v3, vcc
	v_cmp_ge_u32_e32 vcc, v43, v10
	global_store_short v[2:3], v44, off
                                        ; implicit-def: $vgpr2_vgpr3
	s_and_saveexec_b64 s[2:3], vcc
	s_xor_b64 s[2:3], exec, s[2:3]
; %bb.111:
	v_xor_b32_e32 v2, 0xfffffbff, v0
	v_ashrrev_i32_e32 v3, 31, v2
	v_add_co_u32_e32 v2, vcc, v7, v2
	v_addc_co_u32_e32 v3, vcc, v8, v3, vcc
; %bb.112:
	s_andn2_saveexec_b64 s[2:3], s[2:3]
; %bb.113:
	v_add_co_u32_e32 v2, vcc, v1, v43
	v_addc_co_u32_e32 v3, vcc, 0, v4, vcc
; %bb.114:
	s_or_b64 exec, exec, s[2:3]
	v_lshlrev_b64 v[2:3], 1, v[2:3]
	v_mov_b32_e32 v11, s29
	v_add_co_u32_e32 v2, vcc, s28, v2
	v_addc_co_u32_e32 v3, vcc, v11, v3, vcc
	v_cmp_ge_u32_e32 vcc, v41, v10
	global_store_short v[2:3], v42, off
                                        ; implicit-def: $vgpr2_vgpr3
	s_and_saveexec_b64 s[2:3], vcc
	s_xor_b64 s[2:3], exec, s[2:3]
; %bb.115:
	v_xor_b32_e32 v2, 0xfffffaff, v0
	v_ashrrev_i32_e32 v3, 31, v2
	v_add_co_u32_e32 v2, vcc, v7, v2
	v_addc_co_u32_e32 v3, vcc, v8, v3, vcc
; %bb.116:
	s_andn2_saveexec_b64 s[2:3], s[2:3]
; %bb.117:
	v_add_co_u32_e32 v2, vcc, v1, v41
	v_addc_co_u32_e32 v3, vcc, 0, v4, vcc
; %bb.118:
	s_or_b64 exec, exec, s[2:3]
	v_lshlrev_b64 v[2:3], 1, v[2:3]
	v_mov_b32_e32 v11, s29
	v_add_co_u32_e32 v2, vcc, s28, v2
	v_addc_co_u32_e32 v3, vcc, v11, v3, vcc
	v_cmp_ge_u32_e32 vcc, v39, v10
	global_store_short v[2:3], v40, off
                                        ; implicit-def: $vgpr2_vgpr3
	s_and_saveexec_b64 s[2:3], vcc
	s_xor_b64 s[2:3], exec, s[2:3]
; %bb.119:
	v_xor_b32_e32 v2, 0xfffff9ff, v0
	v_ashrrev_i32_e32 v3, 31, v2
	v_add_co_u32_e32 v2, vcc, v7, v2
	v_addc_co_u32_e32 v3, vcc, v8, v3, vcc
; %bb.120:
	s_andn2_saveexec_b64 s[2:3], s[2:3]
; %bb.121:
	v_add_co_u32_e32 v2, vcc, v1, v39
	v_addc_co_u32_e32 v3, vcc, 0, v4, vcc
; %bb.122:
	s_or_b64 exec, exec, s[2:3]
	v_lshlrev_b64 v[2:3], 1, v[2:3]
	v_mov_b32_e32 v11, s29
	v_add_co_u32_e32 v2, vcc, s28, v2
	v_addc_co_u32_e32 v3, vcc, v11, v3, vcc
	v_cmp_ge_u32_e32 vcc, v37, v10
	s_waitcnt lgkmcnt(13)
	global_store_short v[2:3], v38, off
                                        ; implicit-def: $vgpr2_vgpr3
	s_and_saveexec_b64 s[2:3], vcc
	s_xor_b64 s[2:3], exec, s[2:3]
; %bb.123:
	v_xor_b32_e32 v2, 0xfffff8ff, v0
	v_ashrrev_i32_e32 v3, 31, v2
	v_add_co_u32_e32 v2, vcc, v7, v2
	v_addc_co_u32_e32 v3, vcc, v8, v3, vcc
; %bb.124:
	s_andn2_saveexec_b64 s[2:3], s[2:3]
; %bb.125:
	v_add_co_u32_e32 v2, vcc, v1, v37
	v_addc_co_u32_e32 v3, vcc, 0, v4, vcc
; %bb.126:
	s_or_b64 exec, exec, s[2:3]
	v_lshlrev_b64 v[2:3], 1, v[2:3]
	v_mov_b32_e32 v11, s29
	v_add_co_u32_e32 v2, vcc, s28, v2
	v_addc_co_u32_e32 v3, vcc, v11, v3, vcc
	v_cmp_ge_u32_e32 vcc, v35, v10
	s_waitcnt lgkmcnt(12)
	global_store_short v[2:3], v36, off
                                        ; implicit-def: $vgpr2_vgpr3
	s_and_saveexec_b64 s[2:3], vcc
	s_xor_b64 s[2:3], exec, s[2:3]
; %bb.127:
	v_xor_b32_e32 v2, 0xfffff7ff, v0
	v_ashrrev_i32_e32 v3, 31, v2
	v_add_co_u32_e32 v2, vcc, v7, v2
	v_addc_co_u32_e32 v3, vcc, v8, v3, vcc
; %bb.128:
	s_andn2_saveexec_b64 s[2:3], s[2:3]
; %bb.129:
	v_add_co_u32_e32 v2, vcc, v1, v35
	v_addc_co_u32_e32 v3, vcc, 0, v4, vcc
; %bb.130:
	s_or_b64 exec, exec, s[2:3]
	v_lshlrev_b64 v[2:3], 1, v[2:3]
	v_mov_b32_e32 v11, s29
	v_add_co_u32_e32 v2, vcc, s28, v2
	v_addc_co_u32_e32 v3, vcc, v11, v3, vcc
	v_cmp_ge_u32_e32 vcc, v33, v10
	;; [unrolled: 22-line block ×12, first 2 shown]
	s_waitcnt lgkmcnt(1)
	global_store_short v[2:3], v9, off
                                        ; implicit-def: $vgpr2_vgpr3
	s_and_saveexec_b64 s[2:3], vcc
	s_xor_b64 s[2:3], exec, s[2:3]
; %bb.171:
	v_xor_b32_e32 v2, 0xffffecff, v0
	v_ashrrev_i32_e32 v3, 31, v2
	v_add_co_u32_e32 v2, vcc, v7, v2
	v_addc_co_u32_e32 v3, vcc, v8, v3, vcc
; %bb.172:
	s_andn2_saveexec_b64 s[2:3], s[2:3]
; %bb.173:
	v_add_co_u32_e32 v2, vcc, v1, v6
	v_addc_co_u32_e32 v3, vcc, 0, v4, vcc
; %bb.174:
	s_or_b64 exec, exec, s[2:3]
	s_mov_b64 s[2:3], -1
.LBB1166_175:
	s_and_saveexec_b64 s[4:5], s[2:3]
	s_cbranch_execz .LBB1166_236
.LBB1166_176:
	v_lshlrev_b64 v[2:3], 1, v[2:3]
	v_mov_b32_e32 v0, s29
	v_add_co_u32_e32 v2, vcc, s28, v2
	v_addc_co_u32_e32 v3, vcc, v0, v3, vcc
	s_waitcnt lgkmcnt(0)
	global_store_short v[2:3], v5, off
	s_or_b64 exec, exec, s[4:5]
	s_and_b64 s[0:1], s[0:1], s[22:23]
	s_and_saveexec_b64 s[2:3], s[0:1]
	s_cbranch_execnz .LBB1166_237
.LBB1166_177:
	s_endpgm
.LBB1166_178:
	s_mov_b64 s[2:3], 0
                                        ; implicit-def: $vgpr2_vgpr3
	s_cbranch_execz .LBB1166_175
; %bb.179:
	v_cmp_gt_u32_e32 vcc, s33, v0
	s_and_saveexec_b64 s[4:5], vcc
	s_cbranch_execz .LBB1166_238
; %bb.180:
	v_cmp_ge_u32_e32 vcc, v0, v10
                                        ; implicit-def: $vgpr2_vgpr3
	s_and_saveexec_b64 s[6:7], vcc
	s_xor_b64 s[6:7], exec, s[6:7]
; %bb.181:
	v_not_b32_e32 v2, v0
	v_ashrrev_i32_e32 v3, 31, v2
	v_add_co_u32_e32 v2, vcc, v7, v2
	v_addc_co_u32_e32 v3, vcc, v8, v3, vcc
; %bb.182:
	s_andn2_saveexec_b64 s[6:7], s[6:7]
; %bb.183:
	v_add_co_u32_e32 v2, vcc, v1, v0
	v_addc_co_u32_e32 v3, vcc, 0, v4, vcc
; %bb.184:
	s_or_b64 exec, exec, s[6:7]
	v_lshlrev_b64 v[2:3], 1, v[2:3]
	v_mov_b32_e32 v11, s29
	v_add_co_u32_e32 v2, vcc, s28, v2
	v_addc_co_u32_e32 v3, vcc, v11, v3, vcc
	s_waitcnt lgkmcnt(14)
	global_store_short v[2:3], v50, off
	s_or_b64 exec, exec, s[4:5]
	v_cmp_gt_u32_e32 vcc, s33, v49
	s_and_saveexec_b64 s[4:5], vcc
	s_cbranch_execnz .LBB1166_239
.LBB1166_185:
	s_or_b64 exec, exec, s[4:5]
	v_cmp_gt_u32_e32 vcc, s33, v47
	s_and_saveexec_b64 s[4:5], vcc
	s_cbranch_execz .LBB1166_244
.LBB1166_186:
	v_cmp_ge_u32_e32 vcc, v47, v10
                                        ; implicit-def: $vgpr2_vgpr3
	s_and_saveexec_b64 s[6:7], vcc
	s_xor_b64 s[6:7], exec, s[6:7]
; %bb.187:
	v_xor_b32_e32 v2, 0xfffffdff, v0
	v_ashrrev_i32_e32 v3, 31, v2
	v_add_co_u32_e32 v2, vcc, v7, v2
	v_addc_co_u32_e32 v3, vcc, v8, v3, vcc
                                        ; implicit-def: $vgpr47
; %bb.188:
	s_andn2_saveexec_b64 s[6:7], s[6:7]
; %bb.189:
	v_add_co_u32_e32 v2, vcc, v1, v47
	v_addc_co_u32_e32 v3, vcc, 0, v4, vcc
; %bb.190:
	s_or_b64 exec, exec, s[6:7]
	v_lshlrev_b64 v[2:3], 1, v[2:3]
	v_mov_b32_e32 v11, s29
	v_add_co_u32_e32 v2, vcc, s28, v2
	v_addc_co_u32_e32 v3, vcc, v11, v3, vcc
	s_waitcnt lgkmcnt(14)
	global_store_short v[2:3], v46, off
	s_or_b64 exec, exec, s[4:5]
	v_cmp_gt_u32_e32 vcc, s33, v45
	s_and_saveexec_b64 s[4:5], vcc
	s_cbranch_execnz .LBB1166_245
.LBB1166_191:
	s_or_b64 exec, exec, s[4:5]
	v_cmp_gt_u32_e32 vcc, s33, v43
	s_and_saveexec_b64 s[4:5], vcc
	s_cbranch_execz .LBB1166_250
.LBB1166_192:
	v_cmp_ge_u32_e32 vcc, v43, v10
                                        ; implicit-def: $vgpr2_vgpr3
	s_and_saveexec_b64 s[6:7], vcc
	s_xor_b64 s[6:7], exec, s[6:7]
; %bb.193:
	v_xor_b32_e32 v2, 0xfffffbff, v0
	v_ashrrev_i32_e32 v3, 31, v2
	v_add_co_u32_e32 v2, vcc, v7, v2
	v_addc_co_u32_e32 v3, vcc, v8, v3, vcc
                                        ; implicit-def: $vgpr43
; %bb.194:
	s_andn2_saveexec_b64 s[6:7], s[6:7]
; %bb.195:
	v_add_co_u32_e32 v2, vcc, v1, v43
	v_addc_co_u32_e32 v3, vcc, 0, v4, vcc
; %bb.196:
	s_or_b64 exec, exec, s[6:7]
	v_lshlrev_b64 v[2:3], 1, v[2:3]
	v_mov_b32_e32 v11, s29
	v_add_co_u32_e32 v2, vcc, s28, v2
	v_addc_co_u32_e32 v3, vcc, v11, v3, vcc
	s_waitcnt lgkmcnt(14)
	global_store_short v[2:3], v42, off
	s_or_b64 exec, exec, s[4:5]
	v_cmp_gt_u32_e32 vcc, s33, v41
	s_and_saveexec_b64 s[4:5], vcc
	s_cbranch_execnz .LBB1166_251
.LBB1166_197:
	s_or_b64 exec, exec, s[4:5]
	v_cmp_gt_u32_e32 vcc, s33, v39
	s_and_saveexec_b64 s[4:5], vcc
	s_cbranch_execz .LBB1166_256
.LBB1166_198:
	v_cmp_ge_u32_e32 vcc, v39, v10
                                        ; implicit-def: $vgpr2_vgpr3
	s_and_saveexec_b64 s[6:7], vcc
	s_xor_b64 s[6:7], exec, s[6:7]
; %bb.199:
	v_xor_b32_e32 v2, 0xfffff9ff, v0
	v_ashrrev_i32_e32 v3, 31, v2
	v_add_co_u32_e32 v2, vcc, v7, v2
	v_addc_co_u32_e32 v3, vcc, v8, v3, vcc
                                        ; implicit-def: $vgpr39
; %bb.200:
	s_andn2_saveexec_b64 s[6:7], s[6:7]
; %bb.201:
	v_add_co_u32_e32 v2, vcc, v1, v39
	v_addc_co_u32_e32 v3, vcc, 0, v4, vcc
; %bb.202:
	s_or_b64 exec, exec, s[6:7]
	v_lshlrev_b64 v[2:3], 1, v[2:3]
	v_mov_b32_e32 v11, s29
	v_add_co_u32_e32 v2, vcc, s28, v2
	v_addc_co_u32_e32 v3, vcc, v11, v3, vcc
	s_waitcnt lgkmcnt(13)
	global_store_short v[2:3], v38, off
	s_or_b64 exec, exec, s[4:5]
	v_cmp_gt_u32_e32 vcc, s33, v37
	s_and_saveexec_b64 s[4:5], vcc
	s_cbranch_execnz .LBB1166_257
.LBB1166_203:
	s_or_b64 exec, exec, s[4:5]
	v_cmp_gt_u32_e32 vcc, s33, v35
	s_and_saveexec_b64 s[4:5], vcc
	s_cbranch_execz .LBB1166_262
.LBB1166_204:
	v_cmp_ge_u32_e32 vcc, v35, v10
                                        ; implicit-def: $vgpr2_vgpr3
	s_and_saveexec_b64 s[6:7], vcc
	s_xor_b64 s[6:7], exec, s[6:7]
; %bb.205:
	v_xor_b32_e32 v2, 0xfffff7ff, v0
	v_ashrrev_i32_e32 v3, 31, v2
	v_add_co_u32_e32 v2, vcc, v7, v2
	v_addc_co_u32_e32 v3, vcc, v8, v3, vcc
                                        ; implicit-def: $vgpr35
; %bb.206:
	s_andn2_saveexec_b64 s[6:7], s[6:7]
; %bb.207:
	v_add_co_u32_e32 v2, vcc, v1, v35
	v_addc_co_u32_e32 v3, vcc, 0, v4, vcc
; %bb.208:
	s_or_b64 exec, exec, s[6:7]
	v_lshlrev_b64 v[2:3], 1, v[2:3]
	v_mov_b32_e32 v11, s29
	v_add_co_u32_e32 v2, vcc, s28, v2
	v_addc_co_u32_e32 v3, vcc, v11, v3, vcc
	s_waitcnt lgkmcnt(11)
	global_store_short v[2:3], v34, off
	s_or_b64 exec, exec, s[4:5]
	v_cmp_gt_u32_e32 vcc, s33, v33
	s_and_saveexec_b64 s[4:5], vcc
	s_cbranch_execnz .LBB1166_263
.LBB1166_209:
	s_or_b64 exec, exec, s[4:5]
	v_cmp_gt_u32_e32 vcc, s33, v31
	s_and_saveexec_b64 s[4:5], vcc
	s_cbranch_execz .LBB1166_268
.LBB1166_210:
	v_cmp_ge_u32_e32 vcc, v31, v10
                                        ; implicit-def: $vgpr2_vgpr3
	s_and_saveexec_b64 s[6:7], vcc
	s_xor_b64 s[6:7], exec, s[6:7]
; %bb.211:
	v_xor_b32_e32 v2, 0xfffff5ff, v0
	v_ashrrev_i32_e32 v3, 31, v2
	v_add_co_u32_e32 v2, vcc, v7, v2
	v_addc_co_u32_e32 v3, vcc, v8, v3, vcc
                                        ; implicit-def: $vgpr31
; %bb.212:
	s_andn2_saveexec_b64 s[6:7], s[6:7]
; %bb.213:
	v_add_co_u32_e32 v2, vcc, v1, v31
	v_addc_co_u32_e32 v3, vcc, 0, v4, vcc
; %bb.214:
	s_or_b64 exec, exec, s[6:7]
	v_lshlrev_b64 v[2:3], 1, v[2:3]
	v_mov_b32_e32 v11, s29
	v_add_co_u32_e32 v2, vcc, s28, v2
	v_addc_co_u32_e32 v3, vcc, v11, v3, vcc
	s_waitcnt lgkmcnt(9)
	global_store_short v[2:3], v30, off
	s_or_b64 exec, exec, s[4:5]
	v_cmp_gt_u32_e32 vcc, s33, v29
	s_and_saveexec_b64 s[4:5], vcc
	s_cbranch_execnz .LBB1166_269
.LBB1166_215:
	s_or_b64 exec, exec, s[4:5]
	v_cmp_gt_u32_e32 vcc, s33, v27
	s_and_saveexec_b64 s[4:5], vcc
	s_cbranch_execz .LBB1166_274
.LBB1166_216:
	v_cmp_ge_u32_e32 vcc, v27, v10
                                        ; implicit-def: $vgpr2_vgpr3
	s_and_saveexec_b64 s[6:7], vcc
	s_xor_b64 s[6:7], exec, s[6:7]
; %bb.217:
	v_xor_b32_e32 v2, 0xfffff3ff, v0
	v_ashrrev_i32_e32 v3, 31, v2
	v_add_co_u32_e32 v2, vcc, v7, v2
	v_addc_co_u32_e32 v3, vcc, v8, v3, vcc
                                        ; implicit-def: $vgpr27
; %bb.218:
	s_andn2_saveexec_b64 s[6:7], s[6:7]
; %bb.219:
	v_add_co_u32_e32 v2, vcc, v1, v27
	v_addc_co_u32_e32 v3, vcc, 0, v4, vcc
; %bb.220:
	s_or_b64 exec, exec, s[6:7]
	v_lshlrev_b64 v[2:3], 1, v[2:3]
	v_mov_b32_e32 v11, s29
	v_add_co_u32_e32 v2, vcc, s28, v2
	v_addc_co_u32_e32 v3, vcc, v11, v3, vcc
	s_waitcnt lgkmcnt(7)
	global_store_short v[2:3], v26, off
	s_or_b64 exec, exec, s[4:5]
	v_cmp_gt_u32_e32 vcc, s33, v25
	s_and_saveexec_b64 s[4:5], vcc
	s_cbranch_execnz .LBB1166_275
.LBB1166_221:
	s_or_b64 exec, exec, s[4:5]
	v_cmp_gt_u32_e32 vcc, s33, v23
	s_and_saveexec_b64 s[4:5], vcc
	s_cbranch_execz .LBB1166_280
.LBB1166_222:
	v_cmp_ge_u32_e32 vcc, v23, v10
                                        ; implicit-def: $vgpr2_vgpr3
	s_and_saveexec_b64 s[6:7], vcc
	s_xor_b64 s[6:7], exec, s[6:7]
; %bb.223:
	v_xor_b32_e32 v2, 0xfffff1ff, v0
	v_ashrrev_i32_e32 v3, 31, v2
	v_add_co_u32_e32 v2, vcc, v7, v2
	v_addc_co_u32_e32 v3, vcc, v8, v3, vcc
                                        ; implicit-def: $vgpr23
; %bb.224:
	s_andn2_saveexec_b64 s[6:7], s[6:7]
; %bb.225:
	v_add_co_u32_e32 v2, vcc, v1, v23
	v_addc_co_u32_e32 v3, vcc, 0, v4, vcc
; %bb.226:
	s_or_b64 exec, exec, s[6:7]
	v_lshlrev_b64 v[2:3], 1, v[2:3]
	v_mov_b32_e32 v11, s29
	v_add_co_u32_e32 v2, vcc, s28, v2
	v_addc_co_u32_e32 v3, vcc, v11, v3, vcc
	s_waitcnt lgkmcnt(5)
	global_store_short v[2:3], v22, off
	s_or_b64 exec, exec, s[4:5]
	v_cmp_gt_u32_e32 vcc, s33, v21
	s_and_saveexec_b64 s[4:5], vcc
	s_cbranch_execnz .LBB1166_281
.LBB1166_227:
	s_or_b64 exec, exec, s[4:5]
	v_cmp_gt_u32_e32 vcc, s33, v19
	s_and_saveexec_b64 s[4:5], vcc
	s_cbranch_execz .LBB1166_286
.LBB1166_228:
	v_cmp_ge_u32_e32 vcc, v19, v10
                                        ; implicit-def: $vgpr2_vgpr3
	s_and_saveexec_b64 s[6:7], vcc
	s_xor_b64 s[6:7], exec, s[6:7]
; %bb.229:
	v_xor_b32_e32 v2, 0xffffefff, v0
	v_ashrrev_i32_e32 v3, 31, v2
	v_add_co_u32_e32 v2, vcc, v7, v2
	v_addc_co_u32_e32 v3, vcc, v8, v3, vcc
                                        ; implicit-def: $vgpr19
; %bb.230:
	s_andn2_saveexec_b64 s[6:7], s[6:7]
; %bb.231:
	v_add_co_u32_e32 v2, vcc, v1, v19
	v_addc_co_u32_e32 v3, vcc, 0, v4, vcc
; %bb.232:
	s_or_b64 exec, exec, s[6:7]
	v_lshlrev_b64 v[2:3], 1, v[2:3]
	v_mov_b32_e32 v11, s29
	v_add_co_u32_e32 v2, vcc, s28, v2
	v_addc_co_u32_e32 v3, vcc, v11, v3, vcc
	s_waitcnt lgkmcnt(3)
	global_store_short v[2:3], v18, off
	s_or_b64 exec, exec, s[4:5]
	v_cmp_gt_u32_e32 vcc, s33, v17
	s_and_saveexec_b64 s[4:5], vcc
	s_cbranch_execnz .LBB1166_287
.LBB1166_233:
	s_or_b64 exec, exec, s[4:5]
	v_cmp_gt_u32_e32 vcc, s33, v13
	s_and_saveexec_b64 s[4:5], vcc
	s_cbranch_execnz .LBB1166_292
.LBB1166_234:
	s_or_b64 exec, exec, s[4:5]
	v_cmp_gt_u32_e32 vcc, s33, v6
                                        ; implicit-def: $vgpr2_vgpr3
	s_and_saveexec_b64 s[4:5], vcc
	s_cbranch_execnz .LBB1166_297
.LBB1166_235:
	s_or_b64 exec, exec, s[4:5]
	s_and_saveexec_b64 s[4:5], s[2:3]
	s_cbranch_execnz .LBB1166_176
.LBB1166_236:
	s_or_b64 exec, exec, s[4:5]
	s_and_b64 s[0:1], s[0:1], s[22:23]
	s_and_saveexec_b64 s[2:3], s[0:1]
	s_cbranch_execz .LBB1166_177
.LBB1166_237:
	v_add_co_u32_e32 v0, vcc, v1, v10
	v_mov_b32_e32 v2, 0
	v_addc_co_u32_e32 v1, vcc, 0, v4, vcc
	global_store_dwordx2 v2, v[0:1], s[20:21]
	s_endpgm
.LBB1166_238:
	s_or_b64 exec, exec, s[4:5]
	v_cmp_gt_u32_e32 vcc, s33, v49
	s_and_saveexec_b64 s[4:5], vcc
	s_cbranch_execz .LBB1166_185
.LBB1166_239:
	v_cmp_ge_u32_e32 vcc, v49, v10
                                        ; implicit-def: $vgpr2_vgpr3
	s_and_saveexec_b64 s[6:7], vcc
	s_xor_b64 s[6:7], exec, s[6:7]
; %bb.240:
	v_xor_b32_e32 v2, 0xfffffeff, v0
	v_ashrrev_i32_e32 v3, 31, v2
	v_add_co_u32_e32 v2, vcc, v7, v2
	v_addc_co_u32_e32 v3, vcc, v8, v3, vcc
                                        ; implicit-def: $vgpr49
; %bb.241:
	s_andn2_saveexec_b64 s[6:7], s[6:7]
; %bb.242:
	v_add_co_u32_e32 v2, vcc, v1, v49
	v_addc_co_u32_e32 v3, vcc, 0, v4, vcc
; %bb.243:
	s_or_b64 exec, exec, s[6:7]
	v_lshlrev_b64 v[2:3], 1, v[2:3]
	v_mov_b32_e32 v11, s29
	v_add_co_u32_e32 v2, vcc, s28, v2
	v_addc_co_u32_e32 v3, vcc, v11, v3, vcc
	s_waitcnt lgkmcnt(14)
	global_store_short v[2:3], v48, off
	s_or_b64 exec, exec, s[4:5]
	v_cmp_gt_u32_e32 vcc, s33, v47
	s_and_saveexec_b64 s[4:5], vcc
	s_cbranch_execnz .LBB1166_186
.LBB1166_244:
	s_or_b64 exec, exec, s[4:5]
	v_cmp_gt_u32_e32 vcc, s33, v45
	s_and_saveexec_b64 s[4:5], vcc
	s_cbranch_execz .LBB1166_191
.LBB1166_245:
	v_cmp_ge_u32_e32 vcc, v45, v10
                                        ; implicit-def: $vgpr2_vgpr3
	s_and_saveexec_b64 s[6:7], vcc
	s_xor_b64 s[6:7], exec, s[6:7]
; %bb.246:
	v_xor_b32_e32 v2, 0xfffffcff, v0
	v_ashrrev_i32_e32 v3, 31, v2
	v_add_co_u32_e32 v2, vcc, v7, v2
	v_addc_co_u32_e32 v3, vcc, v8, v3, vcc
                                        ; implicit-def: $vgpr45
; %bb.247:
	s_andn2_saveexec_b64 s[6:7], s[6:7]
; %bb.248:
	v_add_co_u32_e32 v2, vcc, v1, v45
	v_addc_co_u32_e32 v3, vcc, 0, v4, vcc
; %bb.249:
	s_or_b64 exec, exec, s[6:7]
	v_lshlrev_b64 v[2:3], 1, v[2:3]
	v_mov_b32_e32 v11, s29
	v_add_co_u32_e32 v2, vcc, s28, v2
	v_addc_co_u32_e32 v3, vcc, v11, v3, vcc
	s_waitcnt lgkmcnt(14)
	global_store_short v[2:3], v44, off
	s_or_b64 exec, exec, s[4:5]
	v_cmp_gt_u32_e32 vcc, s33, v43
	s_and_saveexec_b64 s[4:5], vcc
	s_cbranch_execnz .LBB1166_192
.LBB1166_250:
	s_or_b64 exec, exec, s[4:5]
	v_cmp_gt_u32_e32 vcc, s33, v41
	s_and_saveexec_b64 s[4:5], vcc
	s_cbranch_execz .LBB1166_197
.LBB1166_251:
	v_cmp_ge_u32_e32 vcc, v41, v10
                                        ; implicit-def: $vgpr2_vgpr3
	s_and_saveexec_b64 s[6:7], vcc
	s_xor_b64 s[6:7], exec, s[6:7]
; %bb.252:
	v_xor_b32_e32 v2, 0xfffffaff, v0
	v_ashrrev_i32_e32 v3, 31, v2
	v_add_co_u32_e32 v2, vcc, v7, v2
	v_addc_co_u32_e32 v3, vcc, v8, v3, vcc
                                        ; implicit-def: $vgpr41
; %bb.253:
	s_andn2_saveexec_b64 s[6:7], s[6:7]
; %bb.254:
	v_add_co_u32_e32 v2, vcc, v1, v41
	v_addc_co_u32_e32 v3, vcc, 0, v4, vcc
; %bb.255:
	s_or_b64 exec, exec, s[6:7]
	v_lshlrev_b64 v[2:3], 1, v[2:3]
	v_mov_b32_e32 v11, s29
	v_add_co_u32_e32 v2, vcc, s28, v2
	v_addc_co_u32_e32 v3, vcc, v11, v3, vcc
	s_waitcnt lgkmcnt(14)
	global_store_short v[2:3], v40, off
	s_or_b64 exec, exec, s[4:5]
	v_cmp_gt_u32_e32 vcc, s33, v39
	s_and_saveexec_b64 s[4:5], vcc
	s_cbranch_execnz .LBB1166_198
.LBB1166_256:
	s_or_b64 exec, exec, s[4:5]
	v_cmp_gt_u32_e32 vcc, s33, v37
	s_and_saveexec_b64 s[4:5], vcc
	s_cbranch_execz .LBB1166_203
.LBB1166_257:
	v_cmp_ge_u32_e32 vcc, v37, v10
                                        ; implicit-def: $vgpr2_vgpr3
	s_and_saveexec_b64 s[6:7], vcc
	s_xor_b64 s[6:7], exec, s[6:7]
; %bb.258:
	v_xor_b32_e32 v2, 0xfffff8ff, v0
	v_ashrrev_i32_e32 v3, 31, v2
	v_add_co_u32_e32 v2, vcc, v7, v2
	v_addc_co_u32_e32 v3, vcc, v8, v3, vcc
                                        ; implicit-def: $vgpr37
; %bb.259:
	s_andn2_saveexec_b64 s[6:7], s[6:7]
; %bb.260:
	v_add_co_u32_e32 v2, vcc, v1, v37
	v_addc_co_u32_e32 v3, vcc, 0, v4, vcc
; %bb.261:
	s_or_b64 exec, exec, s[6:7]
	v_lshlrev_b64 v[2:3], 1, v[2:3]
	v_mov_b32_e32 v11, s29
	v_add_co_u32_e32 v2, vcc, s28, v2
	v_addc_co_u32_e32 v3, vcc, v11, v3, vcc
	s_waitcnt lgkmcnt(12)
	global_store_short v[2:3], v36, off
	s_or_b64 exec, exec, s[4:5]
	v_cmp_gt_u32_e32 vcc, s33, v35
	s_and_saveexec_b64 s[4:5], vcc
	s_cbranch_execnz .LBB1166_204
.LBB1166_262:
	s_or_b64 exec, exec, s[4:5]
	v_cmp_gt_u32_e32 vcc, s33, v33
	s_and_saveexec_b64 s[4:5], vcc
	s_cbranch_execz .LBB1166_209
.LBB1166_263:
	v_cmp_ge_u32_e32 vcc, v33, v10
                                        ; implicit-def: $vgpr2_vgpr3
	s_and_saveexec_b64 s[6:7], vcc
	s_xor_b64 s[6:7], exec, s[6:7]
; %bb.264:
	v_xor_b32_e32 v2, 0xfffff6ff, v0
	v_ashrrev_i32_e32 v3, 31, v2
	v_add_co_u32_e32 v2, vcc, v7, v2
	v_addc_co_u32_e32 v3, vcc, v8, v3, vcc
                                        ; implicit-def: $vgpr33
; %bb.265:
	s_andn2_saveexec_b64 s[6:7], s[6:7]
; %bb.266:
	v_add_co_u32_e32 v2, vcc, v1, v33
	v_addc_co_u32_e32 v3, vcc, 0, v4, vcc
; %bb.267:
	s_or_b64 exec, exec, s[6:7]
	v_lshlrev_b64 v[2:3], 1, v[2:3]
	v_mov_b32_e32 v11, s29
	v_add_co_u32_e32 v2, vcc, s28, v2
	v_addc_co_u32_e32 v3, vcc, v11, v3, vcc
	s_waitcnt lgkmcnt(10)
	global_store_short v[2:3], v32, off
	s_or_b64 exec, exec, s[4:5]
	v_cmp_gt_u32_e32 vcc, s33, v31
	s_and_saveexec_b64 s[4:5], vcc
	s_cbranch_execnz .LBB1166_210
.LBB1166_268:
	s_or_b64 exec, exec, s[4:5]
	v_cmp_gt_u32_e32 vcc, s33, v29
	s_and_saveexec_b64 s[4:5], vcc
	s_cbranch_execz .LBB1166_215
.LBB1166_269:
	v_cmp_ge_u32_e32 vcc, v29, v10
                                        ; implicit-def: $vgpr2_vgpr3
	s_and_saveexec_b64 s[6:7], vcc
	s_xor_b64 s[6:7], exec, s[6:7]
; %bb.270:
	v_xor_b32_e32 v2, 0xfffff4ff, v0
	v_ashrrev_i32_e32 v3, 31, v2
	v_add_co_u32_e32 v2, vcc, v7, v2
	v_addc_co_u32_e32 v3, vcc, v8, v3, vcc
                                        ; implicit-def: $vgpr29
; %bb.271:
	s_andn2_saveexec_b64 s[6:7], s[6:7]
; %bb.272:
	v_add_co_u32_e32 v2, vcc, v1, v29
	v_addc_co_u32_e32 v3, vcc, 0, v4, vcc
; %bb.273:
	s_or_b64 exec, exec, s[6:7]
	v_lshlrev_b64 v[2:3], 1, v[2:3]
	v_mov_b32_e32 v11, s29
	v_add_co_u32_e32 v2, vcc, s28, v2
	v_addc_co_u32_e32 v3, vcc, v11, v3, vcc
	s_waitcnt lgkmcnt(8)
	global_store_short v[2:3], v28, off
	s_or_b64 exec, exec, s[4:5]
	v_cmp_gt_u32_e32 vcc, s33, v27
	s_and_saveexec_b64 s[4:5], vcc
	s_cbranch_execnz .LBB1166_216
.LBB1166_274:
	s_or_b64 exec, exec, s[4:5]
	v_cmp_gt_u32_e32 vcc, s33, v25
	s_and_saveexec_b64 s[4:5], vcc
	s_cbranch_execz .LBB1166_221
.LBB1166_275:
	v_cmp_ge_u32_e32 vcc, v25, v10
                                        ; implicit-def: $vgpr2_vgpr3
	s_and_saveexec_b64 s[6:7], vcc
	s_xor_b64 s[6:7], exec, s[6:7]
; %bb.276:
	v_xor_b32_e32 v2, 0xfffff2ff, v0
	v_ashrrev_i32_e32 v3, 31, v2
	v_add_co_u32_e32 v2, vcc, v7, v2
	v_addc_co_u32_e32 v3, vcc, v8, v3, vcc
                                        ; implicit-def: $vgpr25
; %bb.277:
	s_andn2_saveexec_b64 s[6:7], s[6:7]
; %bb.278:
	v_add_co_u32_e32 v2, vcc, v1, v25
	v_addc_co_u32_e32 v3, vcc, 0, v4, vcc
; %bb.279:
	s_or_b64 exec, exec, s[6:7]
	v_lshlrev_b64 v[2:3], 1, v[2:3]
	v_mov_b32_e32 v11, s29
	v_add_co_u32_e32 v2, vcc, s28, v2
	v_addc_co_u32_e32 v3, vcc, v11, v3, vcc
	s_waitcnt lgkmcnt(6)
	global_store_short v[2:3], v24, off
	s_or_b64 exec, exec, s[4:5]
	v_cmp_gt_u32_e32 vcc, s33, v23
	s_and_saveexec_b64 s[4:5], vcc
	s_cbranch_execnz .LBB1166_222
.LBB1166_280:
	s_or_b64 exec, exec, s[4:5]
	v_cmp_gt_u32_e32 vcc, s33, v21
	s_and_saveexec_b64 s[4:5], vcc
	s_cbranch_execz .LBB1166_227
.LBB1166_281:
	v_cmp_ge_u32_e32 vcc, v21, v10
                                        ; implicit-def: $vgpr2_vgpr3
	s_and_saveexec_b64 s[6:7], vcc
	s_xor_b64 s[6:7], exec, s[6:7]
; %bb.282:
	v_xor_b32_e32 v2, 0xfffff0ff, v0
	v_ashrrev_i32_e32 v3, 31, v2
	v_add_co_u32_e32 v2, vcc, v7, v2
	v_addc_co_u32_e32 v3, vcc, v8, v3, vcc
                                        ; implicit-def: $vgpr21
; %bb.283:
	s_andn2_saveexec_b64 s[6:7], s[6:7]
; %bb.284:
	v_add_co_u32_e32 v2, vcc, v1, v21
	v_addc_co_u32_e32 v3, vcc, 0, v4, vcc
; %bb.285:
	s_or_b64 exec, exec, s[6:7]
	v_lshlrev_b64 v[2:3], 1, v[2:3]
	v_mov_b32_e32 v11, s29
	v_add_co_u32_e32 v2, vcc, s28, v2
	v_addc_co_u32_e32 v3, vcc, v11, v3, vcc
	s_waitcnt lgkmcnt(4)
	global_store_short v[2:3], v20, off
	s_or_b64 exec, exec, s[4:5]
	v_cmp_gt_u32_e32 vcc, s33, v19
	s_and_saveexec_b64 s[4:5], vcc
	s_cbranch_execnz .LBB1166_228
.LBB1166_286:
	s_or_b64 exec, exec, s[4:5]
	v_cmp_gt_u32_e32 vcc, s33, v17
	s_and_saveexec_b64 s[4:5], vcc
	s_cbranch_execz .LBB1166_233
.LBB1166_287:
	v_cmp_ge_u32_e32 vcc, v17, v10
                                        ; implicit-def: $vgpr2_vgpr3
	s_and_saveexec_b64 s[6:7], vcc
	s_xor_b64 s[6:7], exec, s[6:7]
; %bb.288:
	v_xor_b32_e32 v2, 0xffffeeff, v0
	v_ashrrev_i32_e32 v3, 31, v2
	v_add_co_u32_e32 v2, vcc, v7, v2
	v_addc_co_u32_e32 v3, vcc, v8, v3, vcc
                                        ; implicit-def: $vgpr17
; %bb.289:
	s_andn2_saveexec_b64 s[6:7], s[6:7]
; %bb.290:
	v_add_co_u32_e32 v2, vcc, v1, v17
	v_addc_co_u32_e32 v3, vcc, 0, v4, vcc
; %bb.291:
	s_or_b64 exec, exec, s[6:7]
	v_lshlrev_b64 v[2:3], 1, v[2:3]
	v_mov_b32_e32 v11, s29
	v_add_co_u32_e32 v2, vcc, s28, v2
	v_addc_co_u32_e32 v3, vcc, v11, v3, vcc
	s_waitcnt lgkmcnt(2)
	global_store_short v[2:3], v16, off
	s_or_b64 exec, exec, s[4:5]
	v_cmp_gt_u32_e32 vcc, s33, v13
	s_and_saveexec_b64 s[4:5], vcc
	s_cbranch_execz .LBB1166_234
.LBB1166_292:
	v_cmp_ge_u32_e32 vcc, v13, v10
                                        ; implicit-def: $vgpr2_vgpr3
	s_and_saveexec_b64 s[6:7], vcc
	s_xor_b64 s[6:7], exec, s[6:7]
; %bb.293:
	v_xor_b32_e32 v2, 0xffffedff, v0
	v_ashrrev_i32_e32 v3, 31, v2
	v_add_co_u32_e32 v2, vcc, v7, v2
	v_addc_co_u32_e32 v3, vcc, v8, v3, vcc
                                        ; implicit-def: $vgpr13
; %bb.294:
	s_andn2_saveexec_b64 s[6:7], s[6:7]
; %bb.295:
	v_add_co_u32_e32 v2, vcc, v1, v13
	v_addc_co_u32_e32 v3, vcc, 0, v4, vcc
; %bb.296:
	s_or_b64 exec, exec, s[6:7]
	v_lshlrev_b64 v[2:3], 1, v[2:3]
	v_mov_b32_e32 v11, s29
	v_add_co_u32_e32 v2, vcc, s28, v2
	v_addc_co_u32_e32 v3, vcc, v11, v3, vcc
	s_waitcnt lgkmcnt(1)
	global_store_short v[2:3], v9, off
	s_or_b64 exec, exec, s[4:5]
	v_cmp_gt_u32_e32 vcc, s33, v6
                                        ; implicit-def: $vgpr2_vgpr3
	s_and_saveexec_b64 s[4:5], vcc
	s_cbranch_execz .LBB1166_235
.LBB1166_297:
	v_cmp_ge_u32_e32 vcc, v6, v10
                                        ; implicit-def: $vgpr2_vgpr3
	s_and_saveexec_b64 s[6:7], vcc
	s_xor_b64 s[6:7], exec, s[6:7]
; %bb.298:
	v_xor_b32_e32 v0, 0xffffecff, v0
	v_ashrrev_i32_e32 v3, 31, v0
	v_add_co_u32_e32 v2, vcc, v7, v0
	v_addc_co_u32_e32 v3, vcc, v8, v3, vcc
                                        ; implicit-def: $vgpr6
; %bb.299:
	s_andn2_saveexec_b64 s[6:7], s[6:7]
; %bb.300:
	v_add_co_u32_e32 v2, vcc, v1, v6
	v_addc_co_u32_e32 v3, vcc, 0, v4, vcc
; %bb.301:
	s_or_b64 exec, exec, s[6:7]
	s_or_b64 s[2:3], s[2:3], exec
	s_or_b64 exec, exec, s[4:5]
	s_and_saveexec_b64 s[4:5], s[2:3]
	s_cbranch_execnz .LBB1166_176
	s_branch .LBB1166_236
	.section	.rodata,"a",@progbits
	.p2align	6, 0x0
	.amdhsa_kernel _ZN7rocprim17ROCPRIM_400000_NS6detail17trampoline_kernelINS0_14default_configENS1_25partition_config_selectorILNS1_17partition_subalgoE3EtNS0_10empty_typeEbEEZZNS1_14partition_implILS5_3ELb0ES3_jN6thrust23THRUST_200600_302600_NS6detail15normal_iteratorINSA_7pointerItNSA_11hip_rocprim3tagENSA_11use_defaultESG_EEEEPS6_SJ_NS0_5tupleIJPtSJ_EEENSK_IJSJ_SJ_EEES6_PlJ7is_evenItEEEE10hipError_tPvRmT3_T4_T5_T6_T7_T9_mT8_P12ihipStream_tbDpT10_ENKUlT_T0_E_clISt17integral_constantIbLb1EES1A_EEDaS15_S16_EUlS15_E_NS1_11comp_targetILNS1_3genE4ELNS1_11target_archE910ELNS1_3gpuE8ELNS1_3repE0EEENS1_30default_config_static_selectorELNS0_4arch9wavefront6targetE1EEEvT1_
		.amdhsa_group_segment_fixed_size 10248
		.amdhsa_private_segment_fixed_size 0
		.amdhsa_kernarg_size 136
		.amdhsa_user_sgpr_count 6
		.amdhsa_user_sgpr_private_segment_buffer 1
		.amdhsa_user_sgpr_dispatch_ptr 0
		.amdhsa_user_sgpr_queue_ptr 0
		.amdhsa_user_sgpr_kernarg_segment_ptr 1
		.amdhsa_user_sgpr_dispatch_id 0
		.amdhsa_user_sgpr_flat_scratch_init 0
		.amdhsa_user_sgpr_kernarg_preload_length 0
		.amdhsa_user_sgpr_kernarg_preload_offset 0
		.amdhsa_user_sgpr_private_segment_size 0
		.amdhsa_uses_dynamic_stack 0
		.amdhsa_system_sgpr_private_segment_wavefront_offset 0
		.amdhsa_system_sgpr_workgroup_id_x 1
		.amdhsa_system_sgpr_workgroup_id_y 0
		.amdhsa_system_sgpr_workgroup_id_z 0
		.amdhsa_system_sgpr_workgroup_info 0
		.amdhsa_system_vgpr_workitem_id 0
		.amdhsa_next_free_vgpr 93
		.amdhsa_next_free_sgpr 44
		.amdhsa_accum_offset 96
		.amdhsa_reserve_vcc 1
		.amdhsa_reserve_flat_scratch 0
		.amdhsa_float_round_mode_32 0
		.amdhsa_float_round_mode_16_64 0
		.amdhsa_float_denorm_mode_32 3
		.amdhsa_float_denorm_mode_16_64 3
		.amdhsa_dx10_clamp 1
		.amdhsa_ieee_mode 1
		.amdhsa_fp16_overflow 0
		.amdhsa_tg_split 0
		.amdhsa_exception_fp_ieee_invalid_op 0
		.amdhsa_exception_fp_denorm_src 0
		.amdhsa_exception_fp_ieee_div_zero 0
		.amdhsa_exception_fp_ieee_overflow 0
		.amdhsa_exception_fp_ieee_underflow 0
		.amdhsa_exception_fp_ieee_inexact 0
		.amdhsa_exception_int_div_zero 0
	.end_amdhsa_kernel
	.section	.text._ZN7rocprim17ROCPRIM_400000_NS6detail17trampoline_kernelINS0_14default_configENS1_25partition_config_selectorILNS1_17partition_subalgoE3EtNS0_10empty_typeEbEEZZNS1_14partition_implILS5_3ELb0ES3_jN6thrust23THRUST_200600_302600_NS6detail15normal_iteratorINSA_7pointerItNSA_11hip_rocprim3tagENSA_11use_defaultESG_EEEEPS6_SJ_NS0_5tupleIJPtSJ_EEENSK_IJSJ_SJ_EEES6_PlJ7is_evenItEEEE10hipError_tPvRmT3_T4_T5_T6_T7_T9_mT8_P12ihipStream_tbDpT10_ENKUlT_T0_E_clISt17integral_constantIbLb1EES1A_EEDaS15_S16_EUlS15_E_NS1_11comp_targetILNS1_3genE4ELNS1_11target_archE910ELNS1_3gpuE8ELNS1_3repE0EEENS1_30default_config_static_selectorELNS0_4arch9wavefront6targetE1EEEvT1_,"axG",@progbits,_ZN7rocprim17ROCPRIM_400000_NS6detail17trampoline_kernelINS0_14default_configENS1_25partition_config_selectorILNS1_17partition_subalgoE3EtNS0_10empty_typeEbEEZZNS1_14partition_implILS5_3ELb0ES3_jN6thrust23THRUST_200600_302600_NS6detail15normal_iteratorINSA_7pointerItNSA_11hip_rocprim3tagENSA_11use_defaultESG_EEEEPS6_SJ_NS0_5tupleIJPtSJ_EEENSK_IJSJ_SJ_EEES6_PlJ7is_evenItEEEE10hipError_tPvRmT3_T4_T5_T6_T7_T9_mT8_P12ihipStream_tbDpT10_ENKUlT_T0_E_clISt17integral_constantIbLb1EES1A_EEDaS15_S16_EUlS15_E_NS1_11comp_targetILNS1_3genE4ELNS1_11target_archE910ELNS1_3gpuE8ELNS1_3repE0EEENS1_30default_config_static_selectorELNS0_4arch9wavefront6targetE1EEEvT1_,comdat
.Lfunc_end1166:
	.size	_ZN7rocprim17ROCPRIM_400000_NS6detail17trampoline_kernelINS0_14default_configENS1_25partition_config_selectorILNS1_17partition_subalgoE3EtNS0_10empty_typeEbEEZZNS1_14partition_implILS5_3ELb0ES3_jN6thrust23THRUST_200600_302600_NS6detail15normal_iteratorINSA_7pointerItNSA_11hip_rocprim3tagENSA_11use_defaultESG_EEEEPS6_SJ_NS0_5tupleIJPtSJ_EEENSK_IJSJ_SJ_EEES6_PlJ7is_evenItEEEE10hipError_tPvRmT3_T4_T5_T6_T7_T9_mT8_P12ihipStream_tbDpT10_ENKUlT_T0_E_clISt17integral_constantIbLb1EES1A_EEDaS15_S16_EUlS15_E_NS1_11comp_targetILNS1_3genE4ELNS1_11target_archE910ELNS1_3gpuE8ELNS1_3repE0EEENS1_30default_config_static_selectorELNS0_4arch9wavefront6targetE1EEEvT1_, .Lfunc_end1166-_ZN7rocprim17ROCPRIM_400000_NS6detail17trampoline_kernelINS0_14default_configENS1_25partition_config_selectorILNS1_17partition_subalgoE3EtNS0_10empty_typeEbEEZZNS1_14partition_implILS5_3ELb0ES3_jN6thrust23THRUST_200600_302600_NS6detail15normal_iteratorINSA_7pointerItNSA_11hip_rocprim3tagENSA_11use_defaultESG_EEEEPS6_SJ_NS0_5tupleIJPtSJ_EEENSK_IJSJ_SJ_EEES6_PlJ7is_evenItEEEE10hipError_tPvRmT3_T4_T5_T6_T7_T9_mT8_P12ihipStream_tbDpT10_ENKUlT_T0_E_clISt17integral_constantIbLb1EES1A_EEDaS15_S16_EUlS15_E_NS1_11comp_targetILNS1_3genE4ELNS1_11target_archE910ELNS1_3gpuE8ELNS1_3repE0EEENS1_30default_config_static_selectorELNS0_4arch9wavefront6targetE1EEEvT1_
                                        ; -- End function
	.section	.AMDGPU.csdata,"",@progbits
; Kernel info:
; codeLenInByte = 9648
; NumSgprs: 48
; NumVgprs: 93
; NumAgprs: 0
; TotalNumVgprs: 93
; ScratchSize: 0
; MemoryBound: 0
; FloatMode: 240
; IeeeMode: 1
; LDSByteSize: 10248 bytes/workgroup (compile time only)
; SGPRBlocks: 5
; VGPRBlocks: 11
; NumSGPRsForWavesPerEU: 48
; NumVGPRsForWavesPerEU: 93
; AccumOffset: 96
; Occupancy: 5
; WaveLimiterHint : 1
; COMPUTE_PGM_RSRC2:SCRATCH_EN: 0
; COMPUTE_PGM_RSRC2:USER_SGPR: 6
; COMPUTE_PGM_RSRC2:TRAP_HANDLER: 0
; COMPUTE_PGM_RSRC2:TGID_X_EN: 1
; COMPUTE_PGM_RSRC2:TGID_Y_EN: 0
; COMPUTE_PGM_RSRC2:TGID_Z_EN: 0
; COMPUTE_PGM_RSRC2:TIDIG_COMP_CNT: 0
; COMPUTE_PGM_RSRC3_GFX90A:ACCUM_OFFSET: 23
; COMPUTE_PGM_RSRC3_GFX90A:TG_SPLIT: 0
	.section	.text._ZN7rocprim17ROCPRIM_400000_NS6detail17trampoline_kernelINS0_14default_configENS1_25partition_config_selectorILNS1_17partition_subalgoE3EtNS0_10empty_typeEbEEZZNS1_14partition_implILS5_3ELb0ES3_jN6thrust23THRUST_200600_302600_NS6detail15normal_iteratorINSA_7pointerItNSA_11hip_rocprim3tagENSA_11use_defaultESG_EEEEPS6_SJ_NS0_5tupleIJPtSJ_EEENSK_IJSJ_SJ_EEES6_PlJ7is_evenItEEEE10hipError_tPvRmT3_T4_T5_T6_T7_T9_mT8_P12ihipStream_tbDpT10_ENKUlT_T0_E_clISt17integral_constantIbLb1EES1A_EEDaS15_S16_EUlS15_E_NS1_11comp_targetILNS1_3genE3ELNS1_11target_archE908ELNS1_3gpuE7ELNS1_3repE0EEENS1_30default_config_static_selectorELNS0_4arch9wavefront6targetE1EEEvT1_,"axG",@progbits,_ZN7rocprim17ROCPRIM_400000_NS6detail17trampoline_kernelINS0_14default_configENS1_25partition_config_selectorILNS1_17partition_subalgoE3EtNS0_10empty_typeEbEEZZNS1_14partition_implILS5_3ELb0ES3_jN6thrust23THRUST_200600_302600_NS6detail15normal_iteratorINSA_7pointerItNSA_11hip_rocprim3tagENSA_11use_defaultESG_EEEEPS6_SJ_NS0_5tupleIJPtSJ_EEENSK_IJSJ_SJ_EEES6_PlJ7is_evenItEEEE10hipError_tPvRmT3_T4_T5_T6_T7_T9_mT8_P12ihipStream_tbDpT10_ENKUlT_T0_E_clISt17integral_constantIbLb1EES1A_EEDaS15_S16_EUlS15_E_NS1_11comp_targetILNS1_3genE3ELNS1_11target_archE908ELNS1_3gpuE7ELNS1_3repE0EEENS1_30default_config_static_selectorELNS0_4arch9wavefront6targetE1EEEvT1_,comdat
	.protected	_ZN7rocprim17ROCPRIM_400000_NS6detail17trampoline_kernelINS0_14default_configENS1_25partition_config_selectorILNS1_17partition_subalgoE3EtNS0_10empty_typeEbEEZZNS1_14partition_implILS5_3ELb0ES3_jN6thrust23THRUST_200600_302600_NS6detail15normal_iteratorINSA_7pointerItNSA_11hip_rocprim3tagENSA_11use_defaultESG_EEEEPS6_SJ_NS0_5tupleIJPtSJ_EEENSK_IJSJ_SJ_EEES6_PlJ7is_evenItEEEE10hipError_tPvRmT3_T4_T5_T6_T7_T9_mT8_P12ihipStream_tbDpT10_ENKUlT_T0_E_clISt17integral_constantIbLb1EES1A_EEDaS15_S16_EUlS15_E_NS1_11comp_targetILNS1_3genE3ELNS1_11target_archE908ELNS1_3gpuE7ELNS1_3repE0EEENS1_30default_config_static_selectorELNS0_4arch9wavefront6targetE1EEEvT1_ ; -- Begin function _ZN7rocprim17ROCPRIM_400000_NS6detail17trampoline_kernelINS0_14default_configENS1_25partition_config_selectorILNS1_17partition_subalgoE3EtNS0_10empty_typeEbEEZZNS1_14partition_implILS5_3ELb0ES3_jN6thrust23THRUST_200600_302600_NS6detail15normal_iteratorINSA_7pointerItNSA_11hip_rocprim3tagENSA_11use_defaultESG_EEEEPS6_SJ_NS0_5tupleIJPtSJ_EEENSK_IJSJ_SJ_EEES6_PlJ7is_evenItEEEE10hipError_tPvRmT3_T4_T5_T6_T7_T9_mT8_P12ihipStream_tbDpT10_ENKUlT_T0_E_clISt17integral_constantIbLb1EES1A_EEDaS15_S16_EUlS15_E_NS1_11comp_targetILNS1_3genE3ELNS1_11target_archE908ELNS1_3gpuE7ELNS1_3repE0EEENS1_30default_config_static_selectorELNS0_4arch9wavefront6targetE1EEEvT1_
	.globl	_ZN7rocprim17ROCPRIM_400000_NS6detail17trampoline_kernelINS0_14default_configENS1_25partition_config_selectorILNS1_17partition_subalgoE3EtNS0_10empty_typeEbEEZZNS1_14partition_implILS5_3ELb0ES3_jN6thrust23THRUST_200600_302600_NS6detail15normal_iteratorINSA_7pointerItNSA_11hip_rocprim3tagENSA_11use_defaultESG_EEEEPS6_SJ_NS0_5tupleIJPtSJ_EEENSK_IJSJ_SJ_EEES6_PlJ7is_evenItEEEE10hipError_tPvRmT3_T4_T5_T6_T7_T9_mT8_P12ihipStream_tbDpT10_ENKUlT_T0_E_clISt17integral_constantIbLb1EES1A_EEDaS15_S16_EUlS15_E_NS1_11comp_targetILNS1_3genE3ELNS1_11target_archE908ELNS1_3gpuE7ELNS1_3repE0EEENS1_30default_config_static_selectorELNS0_4arch9wavefront6targetE1EEEvT1_
	.p2align	8
	.type	_ZN7rocprim17ROCPRIM_400000_NS6detail17trampoline_kernelINS0_14default_configENS1_25partition_config_selectorILNS1_17partition_subalgoE3EtNS0_10empty_typeEbEEZZNS1_14partition_implILS5_3ELb0ES3_jN6thrust23THRUST_200600_302600_NS6detail15normal_iteratorINSA_7pointerItNSA_11hip_rocprim3tagENSA_11use_defaultESG_EEEEPS6_SJ_NS0_5tupleIJPtSJ_EEENSK_IJSJ_SJ_EEES6_PlJ7is_evenItEEEE10hipError_tPvRmT3_T4_T5_T6_T7_T9_mT8_P12ihipStream_tbDpT10_ENKUlT_T0_E_clISt17integral_constantIbLb1EES1A_EEDaS15_S16_EUlS15_E_NS1_11comp_targetILNS1_3genE3ELNS1_11target_archE908ELNS1_3gpuE7ELNS1_3repE0EEENS1_30default_config_static_selectorELNS0_4arch9wavefront6targetE1EEEvT1_,@function
_ZN7rocprim17ROCPRIM_400000_NS6detail17trampoline_kernelINS0_14default_configENS1_25partition_config_selectorILNS1_17partition_subalgoE3EtNS0_10empty_typeEbEEZZNS1_14partition_implILS5_3ELb0ES3_jN6thrust23THRUST_200600_302600_NS6detail15normal_iteratorINSA_7pointerItNSA_11hip_rocprim3tagENSA_11use_defaultESG_EEEEPS6_SJ_NS0_5tupleIJPtSJ_EEENSK_IJSJ_SJ_EEES6_PlJ7is_evenItEEEE10hipError_tPvRmT3_T4_T5_T6_T7_T9_mT8_P12ihipStream_tbDpT10_ENKUlT_T0_E_clISt17integral_constantIbLb1EES1A_EEDaS15_S16_EUlS15_E_NS1_11comp_targetILNS1_3genE3ELNS1_11target_archE908ELNS1_3gpuE7ELNS1_3repE0EEENS1_30default_config_static_selectorELNS0_4arch9wavefront6targetE1EEEvT1_: ; @_ZN7rocprim17ROCPRIM_400000_NS6detail17trampoline_kernelINS0_14default_configENS1_25partition_config_selectorILNS1_17partition_subalgoE3EtNS0_10empty_typeEbEEZZNS1_14partition_implILS5_3ELb0ES3_jN6thrust23THRUST_200600_302600_NS6detail15normal_iteratorINSA_7pointerItNSA_11hip_rocprim3tagENSA_11use_defaultESG_EEEEPS6_SJ_NS0_5tupleIJPtSJ_EEENSK_IJSJ_SJ_EEES6_PlJ7is_evenItEEEE10hipError_tPvRmT3_T4_T5_T6_T7_T9_mT8_P12ihipStream_tbDpT10_ENKUlT_T0_E_clISt17integral_constantIbLb1EES1A_EEDaS15_S16_EUlS15_E_NS1_11comp_targetILNS1_3genE3ELNS1_11target_archE908ELNS1_3gpuE7ELNS1_3repE0EEENS1_30default_config_static_selectorELNS0_4arch9wavefront6targetE1EEEvT1_
; %bb.0:
	.section	.rodata,"a",@progbits
	.p2align	6, 0x0
	.amdhsa_kernel _ZN7rocprim17ROCPRIM_400000_NS6detail17trampoline_kernelINS0_14default_configENS1_25partition_config_selectorILNS1_17partition_subalgoE3EtNS0_10empty_typeEbEEZZNS1_14partition_implILS5_3ELb0ES3_jN6thrust23THRUST_200600_302600_NS6detail15normal_iteratorINSA_7pointerItNSA_11hip_rocprim3tagENSA_11use_defaultESG_EEEEPS6_SJ_NS0_5tupleIJPtSJ_EEENSK_IJSJ_SJ_EEES6_PlJ7is_evenItEEEE10hipError_tPvRmT3_T4_T5_T6_T7_T9_mT8_P12ihipStream_tbDpT10_ENKUlT_T0_E_clISt17integral_constantIbLb1EES1A_EEDaS15_S16_EUlS15_E_NS1_11comp_targetILNS1_3genE3ELNS1_11target_archE908ELNS1_3gpuE7ELNS1_3repE0EEENS1_30default_config_static_selectorELNS0_4arch9wavefront6targetE1EEEvT1_
		.amdhsa_group_segment_fixed_size 0
		.amdhsa_private_segment_fixed_size 0
		.amdhsa_kernarg_size 136
		.amdhsa_user_sgpr_count 6
		.amdhsa_user_sgpr_private_segment_buffer 1
		.amdhsa_user_sgpr_dispatch_ptr 0
		.amdhsa_user_sgpr_queue_ptr 0
		.amdhsa_user_sgpr_kernarg_segment_ptr 1
		.amdhsa_user_sgpr_dispatch_id 0
		.amdhsa_user_sgpr_flat_scratch_init 0
		.amdhsa_user_sgpr_kernarg_preload_length 0
		.amdhsa_user_sgpr_kernarg_preload_offset 0
		.amdhsa_user_sgpr_private_segment_size 0
		.amdhsa_uses_dynamic_stack 0
		.amdhsa_system_sgpr_private_segment_wavefront_offset 0
		.amdhsa_system_sgpr_workgroup_id_x 1
		.amdhsa_system_sgpr_workgroup_id_y 0
		.amdhsa_system_sgpr_workgroup_id_z 0
		.amdhsa_system_sgpr_workgroup_info 0
		.amdhsa_system_vgpr_workitem_id 0
		.amdhsa_next_free_vgpr 1
		.amdhsa_next_free_sgpr 0
		.amdhsa_accum_offset 4
		.amdhsa_reserve_vcc 0
		.amdhsa_reserve_flat_scratch 0
		.amdhsa_float_round_mode_32 0
		.amdhsa_float_round_mode_16_64 0
		.amdhsa_float_denorm_mode_32 3
		.amdhsa_float_denorm_mode_16_64 3
		.amdhsa_dx10_clamp 1
		.amdhsa_ieee_mode 1
		.amdhsa_fp16_overflow 0
		.amdhsa_tg_split 0
		.amdhsa_exception_fp_ieee_invalid_op 0
		.amdhsa_exception_fp_denorm_src 0
		.amdhsa_exception_fp_ieee_div_zero 0
		.amdhsa_exception_fp_ieee_overflow 0
		.amdhsa_exception_fp_ieee_underflow 0
		.amdhsa_exception_fp_ieee_inexact 0
		.amdhsa_exception_int_div_zero 0
	.end_amdhsa_kernel
	.section	.text._ZN7rocprim17ROCPRIM_400000_NS6detail17trampoline_kernelINS0_14default_configENS1_25partition_config_selectorILNS1_17partition_subalgoE3EtNS0_10empty_typeEbEEZZNS1_14partition_implILS5_3ELb0ES3_jN6thrust23THRUST_200600_302600_NS6detail15normal_iteratorINSA_7pointerItNSA_11hip_rocprim3tagENSA_11use_defaultESG_EEEEPS6_SJ_NS0_5tupleIJPtSJ_EEENSK_IJSJ_SJ_EEES6_PlJ7is_evenItEEEE10hipError_tPvRmT3_T4_T5_T6_T7_T9_mT8_P12ihipStream_tbDpT10_ENKUlT_T0_E_clISt17integral_constantIbLb1EES1A_EEDaS15_S16_EUlS15_E_NS1_11comp_targetILNS1_3genE3ELNS1_11target_archE908ELNS1_3gpuE7ELNS1_3repE0EEENS1_30default_config_static_selectorELNS0_4arch9wavefront6targetE1EEEvT1_,"axG",@progbits,_ZN7rocprim17ROCPRIM_400000_NS6detail17trampoline_kernelINS0_14default_configENS1_25partition_config_selectorILNS1_17partition_subalgoE3EtNS0_10empty_typeEbEEZZNS1_14partition_implILS5_3ELb0ES3_jN6thrust23THRUST_200600_302600_NS6detail15normal_iteratorINSA_7pointerItNSA_11hip_rocprim3tagENSA_11use_defaultESG_EEEEPS6_SJ_NS0_5tupleIJPtSJ_EEENSK_IJSJ_SJ_EEES6_PlJ7is_evenItEEEE10hipError_tPvRmT3_T4_T5_T6_T7_T9_mT8_P12ihipStream_tbDpT10_ENKUlT_T0_E_clISt17integral_constantIbLb1EES1A_EEDaS15_S16_EUlS15_E_NS1_11comp_targetILNS1_3genE3ELNS1_11target_archE908ELNS1_3gpuE7ELNS1_3repE0EEENS1_30default_config_static_selectorELNS0_4arch9wavefront6targetE1EEEvT1_,comdat
.Lfunc_end1167:
	.size	_ZN7rocprim17ROCPRIM_400000_NS6detail17trampoline_kernelINS0_14default_configENS1_25partition_config_selectorILNS1_17partition_subalgoE3EtNS0_10empty_typeEbEEZZNS1_14partition_implILS5_3ELb0ES3_jN6thrust23THRUST_200600_302600_NS6detail15normal_iteratorINSA_7pointerItNSA_11hip_rocprim3tagENSA_11use_defaultESG_EEEEPS6_SJ_NS0_5tupleIJPtSJ_EEENSK_IJSJ_SJ_EEES6_PlJ7is_evenItEEEE10hipError_tPvRmT3_T4_T5_T6_T7_T9_mT8_P12ihipStream_tbDpT10_ENKUlT_T0_E_clISt17integral_constantIbLb1EES1A_EEDaS15_S16_EUlS15_E_NS1_11comp_targetILNS1_3genE3ELNS1_11target_archE908ELNS1_3gpuE7ELNS1_3repE0EEENS1_30default_config_static_selectorELNS0_4arch9wavefront6targetE1EEEvT1_, .Lfunc_end1167-_ZN7rocprim17ROCPRIM_400000_NS6detail17trampoline_kernelINS0_14default_configENS1_25partition_config_selectorILNS1_17partition_subalgoE3EtNS0_10empty_typeEbEEZZNS1_14partition_implILS5_3ELb0ES3_jN6thrust23THRUST_200600_302600_NS6detail15normal_iteratorINSA_7pointerItNSA_11hip_rocprim3tagENSA_11use_defaultESG_EEEEPS6_SJ_NS0_5tupleIJPtSJ_EEENSK_IJSJ_SJ_EEES6_PlJ7is_evenItEEEE10hipError_tPvRmT3_T4_T5_T6_T7_T9_mT8_P12ihipStream_tbDpT10_ENKUlT_T0_E_clISt17integral_constantIbLb1EES1A_EEDaS15_S16_EUlS15_E_NS1_11comp_targetILNS1_3genE3ELNS1_11target_archE908ELNS1_3gpuE7ELNS1_3repE0EEENS1_30default_config_static_selectorELNS0_4arch9wavefront6targetE1EEEvT1_
                                        ; -- End function
	.section	.AMDGPU.csdata,"",@progbits
; Kernel info:
; codeLenInByte = 0
; NumSgprs: 4
; NumVgprs: 0
; NumAgprs: 0
; TotalNumVgprs: 0
; ScratchSize: 0
; MemoryBound: 0
; FloatMode: 240
; IeeeMode: 1
; LDSByteSize: 0 bytes/workgroup (compile time only)
; SGPRBlocks: 0
; VGPRBlocks: 0
; NumSGPRsForWavesPerEU: 4
; NumVGPRsForWavesPerEU: 1
; AccumOffset: 4
; Occupancy: 8
; WaveLimiterHint : 0
; COMPUTE_PGM_RSRC2:SCRATCH_EN: 0
; COMPUTE_PGM_RSRC2:USER_SGPR: 6
; COMPUTE_PGM_RSRC2:TRAP_HANDLER: 0
; COMPUTE_PGM_RSRC2:TGID_X_EN: 1
; COMPUTE_PGM_RSRC2:TGID_Y_EN: 0
; COMPUTE_PGM_RSRC2:TGID_Z_EN: 0
; COMPUTE_PGM_RSRC2:TIDIG_COMP_CNT: 0
; COMPUTE_PGM_RSRC3_GFX90A:ACCUM_OFFSET: 0
; COMPUTE_PGM_RSRC3_GFX90A:TG_SPLIT: 0
	.section	.text._ZN7rocprim17ROCPRIM_400000_NS6detail17trampoline_kernelINS0_14default_configENS1_25partition_config_selectorILNS1_17partition_subalgoE3EtNS0_10empty_typeEbEEZZNS1_14partition_implILS5_3ELb0ES3_jN6thrust23THRUST_200600_302600_NS6detail15normal_iteratorINSA_7pointerItNSA_11hip_rocprim3tagENSA_11use_defaultESG_EEEEPS6_SJ_NS0_5tupleIJPtSJ_EEENSK_IJSJ_SJ_EEES6_PlJ7is_evenItEEEE10hipError_tPvRmT3_T4_T5_T6_T7_T9_mT8_P12ihipStream_tbDpT10_ENKUlT_T0_E_clISt17integral_constantIbLb1EES1A_EEDaS15_S16_EUlS15_E_NS1_11comp_targetILNS1_3genE2ELNS1_11target_archE906ELNS1_3gpuE6ELNS1_3repE0EEENS1_30default_config_static_selectorELNS0_4arch9wavefront6targetE1EEEvT1_,"axG",@progbits,_ZN7rocprim17ROCPRIM_400000_NS6detail17trampoline_kernelINS0_14default_configENS1_25partition_config_selectorILNS1_17partition_subalgoE3EtNS0_10empty_typeEbEEZZNS1_14partition_implILS5_3ELb0ES3_jN6thrust23THRUST_200600_302600_NS6detail15normal_iteratorINSA_7pointerItNSA_11hip_rocprim3tagENSA_11use_defaultESG_EEEEPS6_SJ_NS0_5tupleIJPtSJ_EEENSK_IJSJ_SJ_EEES6_PlJ7is_evenItEEEE10hipError_tPvRmT3_T4_T5_T6_T7_T9_mT8_P12ihipStream_tbDpT10_ENKUlT_T0_E_clISt17integral_constantIbLb1EES1A_EEDaS15_S16_EUlS15_E_NS1_11comp_targetILNS1_3genE2ELNS1_11target_archE906ELNS1_3gpuE6ELNS1_3repE0EEENS1_30default_config_static_selectorELNS0_4arch9wavefront6targetE1EEEvT1_,comdat
	.protected	_ZN7rocprim17ROCPRIM_400000_NS6detail17trampoline_kernelINS0_14default_configENS1_25partition_config_selectorILNS1_17partition_subalgoE3EtNS0_10empty_typeEbEEZZNS1_14partition_implILS5_3ELb0ES3_jN6thrust23THRUST_200600_302600_NS6detail15normal_iteratorINSA_7pointerItNSA_11hip_rocprim3tagENSA_11use_defaultESG_EEEEPS6_SJ_NS0_5tupleIJPtSJ_EEENSK_IJSJ_SJ_EEES6_PlJ7is_evenItEEEE10hipError_tPvRmT3_T4_T5_T6_T7_T9_mT8_P12ihipStream_tbDpT10_ENKUlT_T0_E_clISt17integral_constantIbLb1EES1A_EEDaS15_S16_EUlS15_E_NS1_11comp_targetILNS1_3genE2ELNS1_11target_archE906ELNS1_3gpuE6ELNS1_3repE0EEENS1_30default_config_static_selectorELNS0_4arch9wavefront6targetE1EEEvT1_ ; -- Begin function _ZN7rocprim17ROCPRIM_400000_NS6detail17trampoline_kernelINS0_14default_configENS1_25partition_config_selectorILNS1_17partition_subalgoE3EtNS0_10empty_typeEbEEZZNS1_14partition_implILS5_3ELb0ES3_jN6thrust23THRUST_200600_302600_NS6detail15normal_iteratorINSA_7pointerItNSA_11hip_rocprim3tagENSA_11use_defaultESG_EEEEPS6_SJ_NS0_5tupleIJPtSJ_EEENSK_IJSJ_SJ_EEES6_PlJ7is_evenItEEEE10hipError_tPvRmT3_T4_T5_T6_T7_T9_mT8_P12ihipStream_tbDpT10_ENKUlT_T0_E_clISt17integral_constantIbLb1EES1A_EEDaS15_S16_EUlS15_E_NS1_11comp_targetILNS1_3genE2ELNS1_11target_archE906ELNS1_3gpuE6ELNS1_3repE0EEENS1_30default_config_static_selectorELNS0_4arch9wavefront6targetE1EEEvT1_
	.globl	_ZN7rocprim17ROCPRIM_400000_NS6detail17trampoline_kernelINS0_14default_configENS1_25partition_config_selectorILNS1_17partition_subalgoE3EtNS0_10empty_typeEbEEZZNS1_14partition_implILS5_3ELb0ES3_jN6thrust23THRUST_200600_302600_NS6detail15normal_iteratorINSA_7pointerItNSA_11hip_rocprim3tagENSA_11use_defaultESG_EEEEPS6_SJ_NS0_5tupleIJPtSJ_EEENSK_IJSJ_SJ_EEES6_PlJ7is_evenItEEEE10hipError_tPvRmT3_T4_T5_T6_T7_T9_mT8_P12ihipStream_tbDpT10_ENKUlT_T0_E_clISt17integral_constantIbLb1EES1A_EEDaS15_S16_EUlS15_E_NS1_11comp_targetILNS1_3genE2ELNS1_11target_archE906ELNS1_3gpuE6ELNS1_3repE0EEENS1_30default_config_static_selectorELNS0_4arch9wavefront6targetE1EEEvT1_
	.p2align	8
	.type	_ZN7rocprim17ROCPRIM_400000_NS6detail17trampoline_kernelINS0_14default_configENS1_25partition_config_selectorILNS1_17partition_subalgoE3EtNS0_10empty_typeEbEEZZNS1_14partition_implILS5_3ELb0ES3_jN6thrust23THRUST_200600_302600_NS6detail15normal_iteratorINSA_7pointerItNSA_11hip_rocprim3tagENSA_11use_defaultESG_EEEEPS6_SJ_NS0_5tupleIJPtSJ_EEENSK_IJSJ_SJ_EEES6_PlJ7is_evenItEEEE10hipError_tPvRmT3_T4_T5_T6_T7_T9_mT8_P12ihipStream_tbDpT10_ENKUlT_T0_E_clISt17integral_constantIbLb1EES1A_EEDaS15_S16_EUlS15_E_NS1_11comp_targetILNS1_3genE2ELNS1_11target_archE906ELNS1_3gpuE6ELNS1_3repE0EEENS1_30default_config_static_selectorELNS0_4arch9wavefront6targetE1EEEvT1_,@function
_ZN7rocprim17ROCPRIM_400000_NS6detail17trampoline_kernelINS0_14default_configENS1_25partition_config_selectorILNS1_17partition_subalgoE3EtNS0_10empty_typeEbEEZZNS1_14partition_implILS5_3ELb0ES3_jN6thrust23THRUST_200600_302600_NS6detail15normal_iteratorINSA_7pointerItNSA_11hip_rocprim3tagENSA_11use_defaultESG_EEEEPS6_SJ_NS0_5tupleIJPtSJ_EEENSK_IJSJ_SJ_EEES6_PlJ7is_evenItEEEE10hipError_tPvRmT3_T4_T5_T6_T7_T9_mT8_P12ihipStream_tbDpT10_ENKUlT_T0_E_clISt17integral_constantIbLb1EES1A_EEDaS15_S16_EUlS15_E_NS1_11comp_targetILNS1_3genE2ELNS1_11target_archE906ELNS1_3gpuE6ELNS1_3repE0EEENS1_30default_config_static_selectorELNS0_4arch9wavefront6targetE1EEEvT1_: ; @_ZN7rocprim17ROCPRIM_400000_NS6detail17trampoline_kernelINS0_14default_configENS1_25partition_config_selectorILNS1_17partition_subalgoE3EtNS0_10empty_typeEbEEZZNS1_14partition_implILS5_3ELb0ES3_jN6thrust23THRUST_200600_302600_NS6detail15normal_iteratorINSA_7pointerItNSA_11hip_rocprim3tagENSA_11use_defaultESG_EEEEPS6_SJ_NS0_5tupleIJPtSJ_EEENSK_IJSJ_SJ_EEES6_PlJ7is_evenItEEEE10hipError_tPvRmT3_T4_T5_T6_T7_T9_mT8_P12ihipStream_tbDpT10_ENKUlT_T0_E_clISt17integral_constantIbLb1EES1A_EEDaS15_S16_EUlS15_E_NS1_11comp_targetILNS1_3genE2ELNS1_11target_archE906ELNS1_3gpuE6ELNS1_3repE0EEENS1_30default_config_static_selectorELNS0_4arch9wavefront6targetE1EEEvT1_
; %bb.0:
	.section	.rodata,"a",@progbits
	.p2align	6, 0x0
	.amdhsa_kernel _ZN7rocprim17ROCPRIM_400000_NS6detail17trampoline_kernelINS0_14default_configENS1_25partition_config_selectorILNS1_17partition_subalgoE3EtNS0_10empty_typeEbEEZZNS1_14partition_implILS5_3ELb0ES3_jN6thrust23THRUST_200600_302600_NS6detail15normal_iteratorINSA_7pointerItNSA_11hip_rocprim3tagENSA_11use_defaultESG_EEEEPS6_SJ_NS0_5tupleIJPtSJ_EEENSK_IJSJ_SJ_EEES6_PlJ7is_evenItEEEE10hipError_tPvRmT3_T4_T5_T6_T7_T9_mT8_P12ihipStream_tbDpT10_ENKUlT_T0_E_clISt17integral_constantIbLb1EES1A_EEDaS15_S16_EUlS15_E_NS1_11comp_targetILNS1_3genE2ELNS1_11target_archE906ELNS1_3gpuE6ELNS1_3repE0EEENS1_30default_config_static_selectorELNS0_4arch9wavefront6targetE1EEEvT1_
		.amdhsa_group_segment_fixed_size 0
		.amdhsa_private_segment_fixed_size 0
		.amdhsa_kernarg_size 136
		.amdhsa_user_sgpr_count 6
		.amdhsa_user_sgpr_private_segment_buffer 1
		.amdhsa_user_sgpr_dispatch_ptr 0
		.amdhsa_user_sgpr_queue_ptr 0
		.amdhsa_user_sgpr_kernarg_segment_ptr 1
		.amdhsa_user_sgpr_dispatch_id 0
		.amdhsa_user_sgpr_flat_scratch_init 0
		.amdhsa_user_sgpr_kernarg_preload_length 0
		.amdhsa_user_sgpr_kernarg_preload_offset 0
		.amdhsa_user_sgpr_private_segment_size 0
		.amdhsa_uses_dynamic_stack 0
		.amdhsa_system_sgpr_private_segment_wavefront_offset 0
		.amdhsa_system_sgpr_workgroup_id_x 1
		.amdhsa_system_sgpr_workgroup_id_y 0
		.amdhsa_system_sgpr_workgroup_id_z 0
		.amdhsa_system_sgpr_workgroup_info 0
		.amdhsa_system_vgpr_workitem_id 0
		.amdhsa_next_free_vgpr 1
		.amdhsa_next_free_sgpr 0
		.amdhsa_accum_offset 4
		.amdhsa_reserve_vcc 0
		.amdhsa_reserve_flat_scratch 0
		.amdhsa_float_round_mode_32 0
		.amdhsa_float_round_mode_16_64 0
		.amdhsa_float_denorm_mode_32 3
		.amdhsa_float_denorm_mode_16_64 3
		.amdhsa_dx10_clamp 1
		.amdhsa_ieee_mode 1
		.amdhsa_fp16_overflow 0
		.amdhsa_tg_split 0
		.amdhsa_exception_fp_ieee_invalid_op 0
		.amdhsa_exception_fp_denorm_src 0
		.amdhsa_exception_fp_ieee_div_zero 0
		.amdhsa_exception_fp_ieee_overflow 0
		.amdhsa_exception_fp_ieee_underflow 0
		.amdhsa_exception_fp_ieee_inexact 0
		.amdhsa_exception_int_div_zero 0
	.end_amdhsa_kernel
	.section	.text._ZN7rocprim17ROCPRIM_400000_NS6detail17trampoline_kernelINS0_14default_configENS1_25partition_config_selectorILNS1_17partition_subalgoE3EtNS0_10empty_typeEbEEZZNS1_14partition_implILS5_3ELb0ES3_jN6thrust23THRUST_200600_302600_NS6detail15normal_iteratorINSA_7pointerItNSA_11hip_rocprim3tagENSA_11use_defaultESG_EEEEPS6_SJ_NS0_5tupleIJPtSJ_EEENSK_IJSJ_SJ_EEES6_PlJ7is_evenItEEEE10hipError_tPvRmT3_T4_T5_T6_T7_T9_mT8_P12ihipStream_tbDpT10_ENKUlT_T0_E_clISt17integral_constantIbLb1EES1A_EEDaS15_S16_EUlS15_E_NS1_11comp_targetILNS1_3genE2ELNS1_11target_archE906ELNS1_3gpuE6ELNS1_3repE0EEENS1_30default_config_static_selectorELNS0_4arch9wavefront6targetE1EEEvT1_,"axG",@progbits,_ZN7rocprim17ROCPRIM_400000_NS6detail17trampoline_kernelINS0_14default_configENS1_25partition_config_selectorILNS1_17partition_subalgoE3EtNS0_10empty_typeEbEEZZNS1_14partition_implILS5_3ELb0ES3_jN6thrust23THRUST_200600_302600_NS6detail15normal_iteratorINSA_7pointerItNSA_11hip_rocprim3tagENSA_11use_defaultESG_EEEEPS6_SJ_NS0_5tupleIJPtSJ_EEENSK_IJSJ_SJ_EEES6_PlJ7is_evenItEEEE10hipError_tPvRmT3_T4_T5_T6_T7_T9_mT8_P12ihipStream_tbDpT10_ENKUlT_T0_E_clISt17integral_constantIbLb1EES1A_EEDaS15_S16_EUlS15_E_NS1_11comp_targetILNS1_3genE2ELNS1_11target_archE906ELNS1_3gpuE6ELNS1_3repE0EEENS1_30default_config_static_selectorELNS0_4arch9wavefront6targetE1EEEvT1_,comdat
.Lfunc_end1168:
	.size	_ZN7rocprim17ROCPRIM_400000_NS6detail17trampoline_kernelINS0_14default_configENS1_25partition_config_selectorILNS1_17partition_subalgoE3EtNS0_10empty_typeEbEEZZNS1_14partition_implILS5_3ELb0ES3_jN6thrust23THRUST_200600_302600_NS6detail15normal_iteratorINSA_7pointerItNSA_11hip_rocprim3tagENSA_11use_defaultESG_EEEEPS6_SJ_NS0_5tupleIJPtSJ_EEENSK_IJSJ_SJ_EEES6_PlJ7is_evenItEEEE10hipError_tPvRmT3_T4_T5_T6_T7_T9_mT8_P12ihipStream_tbDpT10_ENKUlT_T0_E_clISt17integral_constantIbLb1EES1A_EEDaS15_S16_EUlS15_E_NS1_11comp_targetILNS1_3genE2ELNS1_11target_archE906ELNS1_3gpuE6ELNS1_3repE0EEENS1_30default_config_static_selectorELNS0_4arch9wavefront6targetE1EEEvT1_, .Lfunc_end1168-_ZN7rocprim17ROCPRIM_400000_NS6detail17trampoline_kernelINS0_14default_configENS1_25partition_config_selectorILNS1_17partition_subalgoE3EtNS0_10empty_typeEbEEZZNS1_14partition_implILS5_3ELb0ES3_jN6thrust23THRUST_200600_302600_NS6detail15normal_iteratorINSA_7pointerItNSA_11hip_rocprim3tagENSA_11use_defaultESG_EEEEPS6_SJ_NS0_5tupleIJPtSJ_EEENSK_IJSJ_SJ_EEES6_PlJ7is_evenItEEEE10hipError_tPvRmT3_T4_T5_T6_T7_T9_mT8_P12ihipStream_tbDpT10_ENKUlT_T0_E_clISt17integral_constantIbLb1EES1A_EEDaS15_S16_EUlS15_E_NS1_11comp_targetILNS1_3genE2ELNS1_11target_archE906ELNS1_3gpuE6ELNS1_3repE0EEENS1_30default_config_static_selectorELNS0_4arch9wavefront6targetE1EEEvT1_
                                        ; -- End function
	.section	.AMDGPU.csdata,"",@progbits
; Kernel info:
; codeLenInByte = 0
; NumSgprs: 4
; NumVgprs: 0
; NumAgprs: 0
; TotalNumVgprs: 0
; ScratchSize: 0
; MemoryBound: 0
; FloatMode: 240
; IeeeMode: 1
; LDSByteSize: 0 bytes/workgroup (compile time only)
; SGPRBlocks: 0
; VGPRBlocks: 0
; NumSGPRsForWavesPerEU: 4
; NumVGPRsForWavesPerEU: 1
; AccumOffset: 4
; Occupancy: 8
; WaveLimiterHint : 0
; COMPUTE_PGM_RSRC2:SCRATCH_EN: 0
; COMPUTE_PGM_RSRC2:USER_SGPR: 6
; COMPUTE_PGM_RSRC2:TRAP_HANDLER: 0
; COMPUTE_PGM_RSRC2:TGID_X_EN: 1
; COMPUTE_PGM_RSRC2:TGID_Y_EN: 0
; COMPUTE_PGM_RSRC2:TGID_Z_EN: 0
; COMPUTE_PGM_RSRC2:TIDIG_COMP_CNT: 0
; COMPUTE_PGM_RSRC3_GFX90A:ACCUM_OFFSET: 0
; COMPUTE_PGM_RSRC3_GFX90A:TG_SPLIT: 0
	.section	.text._ZN7rocprim17ROCPRIM_400000_NS6detail17trampoline_kernelINS0_14default_configENS1_25partition_config_selectorILNS1_17partition_subalgoE3EtNS0_10empty_typeEbEEZZNS1_14partition_implILS5_3ELb0ES3_jN6thrust23THRUST_200600_302600_NS6detail15normal_iteratorINSA_7pointerItNSA_11hip_rocprim3tagENSA_11use_defaultESG_EEEEPS6_SJ_NS0_5tupleIJPtSJ_EEENSK_IJSJ_SJ_EEES6_PlJ7is_evenItEEEE10hipError_tPvRmT3_T4_T5_T6_T7_T9_mT8_P12ihipStream_tbDpT10_ENKUlT_T0_E_clISt17integral_constantIbLb1EES1A_EEDaS15_S16_EUlS15_E_NS1_11comp_targetILNS1_3genE10ELNS1_11target_archE1200ELNS1_3gpuE4ELNS1_3repE0EEENS1_30default_config_static_selectorELNS0_4arch9wavefront6targetE1EEEvT1_,"axG",@progbits,_ZN7rocprim17ROCPRIM_400000_NS6detail17trampoline_kernelINS0_14default_configENS1_25partition_config_selectorILNS1_17partition_subalgoE3EtNS0_10empty_typeEbEEZZNS1_14partition_implILS5_3ELb0ES3_jN6thrust23THRUST_200600_302600_NS6detail15normal_iteratorINSA_7pointerItNSA_11hip_rocprim3tagENSA_11use_defaultESG_EEEEPS6_SJ_NS0_5tupleIJPtSJ_EEENSK_IJSJ_SJ_EEES6_PlJ7is_evenItEEEE10hipError_tPvRmT3_T4_T5_T6_T7_T9_mT8_P12ihipStream_tbDpT10_ENKUlT_T0_E_clISt17integral_constantIbLb1EES1A_EEDaS15_S16_EUlS15_E_NS1_11comp_targetILNS1_3genE10ELNS1_11target_archE1200ELNS1_3gpuE4ELNS1_3repE0EEENS1_30default_config_static_selectorELNS0_4arch9wavefront6targetE1EEEvT1_,comdat
	.protected	_ZN7rocprim17ROCPRIM_400000_NS6detail17trampoline_kernelINS0_14default_configENS1_25partition_config_selectorILNS1_17partition_subalgoE3EtNS0_10empty_typeEbEEZZNS1_14partition_implILS5_3ELb0ES3_jN6thrust23THRUST_200600_302600_NS6detail15normal_iteratorINSA_7pointerItNSA_11hip_rocprim3tagENSA_11use_defaultESG_EEEEPS6_SJ_NS0_5tupleIJPtSJ_EEENSK_IJSJ_SJ_EEES6_PlJ7is_evenItEEEE10hipError_tPvRmT3_T4_T5_T6_T7_T9_mT8_P12ihipStream_tbDpT10_ENKUlT_T0_E_clISt17integral_constantIbLb1EES1A_EEDaS15_S16_EUlS15_E_NS1_11comp_targetILNS1_3genE10ELNS1_11target_archE1200ELNS1_3gpuE4ELNS1_3repE0EEENS1_30default_config_static_selectorELNS0_4arch9wavefront6targetE1EEEvT1_ ; -- Begin function _ZN7rocprim17ROCPRIM_400000_NS6detail17trampoline_kernelINS0_14default_configENS1_25partition_config_selectorILNS1_17partition_subalgoE3EtNS0_10empty_typeEbEEZZNS1_14partition_implILS5_3ELb0ES3_jN6thrust23THRUST_200600_302600_NS6detail15normal_iteratorINSA_7pointerItNSA_11hip_rocprim3tagENSA_11use_defaultESG_EEEEPS6_SJ_NS0_5tupleIJPtSJ_EEENSK_IJSJ_SJ_EEES6_PlJ7is_evenItEEEE10hipError_tPvRmT3_T4_T5_T6_T7_T9_mT8_P12ihipStream_tbDpT10_ENKUlT_T0_E_clISt17integral_constantIbLb1EES1A_EEDaS15_S16_EUlS15_E_NS1_11comp_targetILNS1_3genE10ELNS1_11target_archE1200ELNS1_3gpuE4ELNS1_3repE0EEENS1_30default_config_static_selectorELNS0_4arch9wavefront6targetE1EEEvT1_
	.globl	_ZN7rocprim17ROCPRIM_400000_NS6detail17trampoline_kernelINS0_14default_configENS1_25partition_config_selectorILNS1_17partition_subalgoE3EtNS0_10empty_typeEbEEZZNS1_14partition_implILS5_3ELb0ES3_jN6thrust23THRUST_200600_302600_NS6detail15normal_iteratorINSA_7pointerItNSA_11hip_rocprim3tagENSA_11use_defaultESG_EEEEPS6_SJ_NS0_5tupleIJPtSJ_EEENSK_IJSJ_SJ_EEES6_PlJ7is_evenItEEEE10hipError_tPvRmT3_T4_T5_T6_T7_T9_mT8_P12ihipStream_tbDpT10_ENKUlT_T0_E_clISt17integral_constantIbLb1EES1A_EEDaS15_S16_EUlS15_E_NS1_11comp_targetILNS1_3genE10ELNS1_11target_archE1200ELNS1_3gpuE4ELNS1_3repE0EEENS1_30default_config_static_selectorELNS0_4arch9wavefront6targetE1EEEvT1_
	.p2align	8
	.type	_ZN7rocprim17ROCPRIM_400000_NS6detail17trampoline_kernelINS0_14default_configENS1_25partition_config_selectorILNS1_17partition_subalgoE3EtNS0_10empty_typeEbEEZZNS1_14partition_implILS5_3ELb0ES3_jN6thrust23THRUST_200600_302600_NS6detail15normal_iteratorINSA_7pointerItNSA_11hip_rocprim3tagENSA_11use_defaultESG_EEEEPS6_SJ_NS0_5tupleIJPtSJ_EEENSK_IJSJ_SJ_EEES6_PlJ7is_evenItEEEE10hipError_tPvRmT3_T4_T5_T6_T7_T9_mT8_P12ihipStream_tbDpT10_ENKUlT_T0_E_clISt17integral_constantIbLb1EES1A_EEDaS15_S16_EUlS15_E_NS1_11comp_targetILNS1_3genE10ELNS1_11target_archE1200ELNS1_3gpuE4ELNS1_3repE0EEENS1_30default_config_static_selectorELNS0_4arch9wavefront6targetE1EEEvT1_,@function
_ZN7rocprim17ROCPRIM_400000_NS6detail17trampoline_kernelINS0_14default_configENS1_25partition_config_selectorILNS1_17partition_subalgoE3EtNS0_10empty_typeEbEEZZNS1_14partition_implILS5_3ELb0ES3_jN6thrust23THRUST_200600_302600_NS6detail15normal_iteratorINSA_7pointerItNSA_11hip_rocprim3tagENSA_11use_defaultESG_EEEEPS6_SJ_NS0_5tupleIJPtSJ_EEENSK_IJSJ_SJ_EEES6_PlJ7is_evenItEEEE10hipError_tPvRmT3_T4_T5_T6_T7_T9_mT8_P12ihipStream_tbDpT10_ENKUlT_T0_E_clISt17integral_constantIbLb1EES1A_EEDaS15_S16_EUlS15_E_NS1_11comp_targetILNS1_3genE10ELNS1_11target_archE1200ELNS1_3gpuE4ELNS1_3repE0EEENS1_30default_config_static_selectorELNS0_4arch9wavefront6targetE1EEEvT1_: ; @_ZN7rocprim17ROCPRIM_400000_NS6detail17trampoline_kernelINS0_14default_configENS1_25partition_config_selectorILNS1_17partition_subalgoE3EtNS0_10empty_typeEbEEZZNS1_14partition_implILS5_3ELb0ES3_jN6thrust23THRUST_200600_302600_NS6detail15normal_iteratorINSA_7pointerItNSA_11hip_rocprim3tagENSA_11use_defaultESG_EEEEPS6_SJ_NS0_5tupleIJPtSJ_EEENSK_IJSJ_SJ_EEES6_PlJ7is_evenItEEEE10hipError_tPvRmT3_T4_T5_T6_T7_T9_mT8_P12ihipStream_tbDpT10_ENKUlT_T0_E_clISt17integral_constantIbLb1EES1A_EEDaS15_S16_EUlS15_E_NS1_11comp_targetILNS1_3genE10ELNS1_11target_archE1200ELNS1_3gpuE4ELNS1_3repE0EEENS1_30default_config_static_selectorELNS0_4arch9wavefront6targetE1EEEvT1_
; %bb.0:
	.section	.rodata,"a",@progbits
	.p2align	6, 0x0
	.amdhsa_kernel _ZN7rocprim17ROCPRIM_400000_NS6detail17trampoline_kernelINS0_14default_configENS1_25partition_config_selectorILNS1_17partition_subalgoE3EtNS0_10empty_typeEbEEZZNS1_14partition_implILS5_3ELb0ES3_jN6thrust23THRUST_200600_302600_NS6detail15normal_iteratorINSA_7pointerItNSA_11hip_rocprim3tagENSA_11use_defaultESG_EEEEPS6_SJ_NS0_5tupleIJPtSJ_EEENSK_IJSJ_SJ_EEES6_PlJ7is_evenItEEEE10hipError_tPvRmT3_T4_T5_T6_T7_T9_mT8_P12ihipStream_tbDpT10_ENKUlT_T0_E_clISt17integral_constantIbLb1EES1A_EEDaS15_S16_EUlS15_E_NS1_11comp_targetILNS1_3genE10ELNS1_11target_archE1200ELNS1_3gpuE4ELNS1_3repE0EEENS1_30default_config_static_selectorELNS0_4arch9wavefront6targetE1EEEvT1_
		.amdhsa_group_segment_fixed_size 0
		.amdhsa_private_segment_fixed_size 0
		.amdhsa_kernarg_size 136
		.amdhsa_user_sgpr_count 6
		.amdhsa_user_sgpr_private_segment_buffer 1
		.amdhsa_user_sgpr_dispatch_ptr 0
		.amdhsa_user_sgpr_queue_ptr 0
		.amdhsa_user_sgpr_kernarg_segment_ptr 1
		.amdhsa_user_sgpr_dispatch_id 0
		.amdhsa_user_sgpr_flat_scratch_init 0
		.amdhsa_user_sgpr_kernarg_preload_length 0
		.amdhsa_user_sgpr_kernarg_preload_offset 0
		.amdhsa_user_sgpr_private_segment_size 0
		.amdhsa_uses_dynamic_stack 0
		.amdhsa_system_sgpr_private_segment_wavefront_offset 0
		.amdhsa_system_sgpr_workgroup_id_x 1
		.amdhsa_system_sgpr_workgroup_id_y 0
		.amdhsa_system_sgpr_workgroup_id_z 0
		.amdhsa_system_sgpr_workgroup_info 0
		.amdhsa_system_vgpr_workitem_id 0
		.amdhsa_next_free_vgpr 1
		.amdhsa_next_free_sgpr 0
		.amdhsa_accum_offset 4
		.amdhsa_reserve_vcc 0
		.amdhsa_reserve_flat_scratch 0
		.amdhsa_float_round_mode_32 0
		.amdhsa_float_round_mode_16_64 0
		.amdhsa_float_denorm_mode_32 3
		.amdhsa_float_denorm_mode_16_64 3
		.amdhsa_dx10_clamp 1
		.amdhsa_ieee_mode 1
		.amdhsa_fp16_overflow 0
		.amdhsa_tg_split 0
		.amdhsa_exception_fp_ieee_invalid_op 0
		.amdhsa_exception_fp_denorm_src 0
		.amdhsa_exception_fp_ieee_div_zero 0
		.amdhsa_exception_fp_ieee_overflow 0
		.amdhsa_exception_fp_ieee_underflow 0
		.amdhsa_exception_fp_ieee_inexact 0
		.amdhsa_exception_int_div_zero 0
	.end_amdhsa_kernel
	.section	.text._ZN7rocprim17ROCPRIM_400000_NS6detail17trampoline_kernelINS0_14default_configENS1_25partition_config_selectorILNS1_17partition_subalgoE3EtNS0_10empty_typeEbEEZZNS1_14partition_implILS5_3ELb0ES3_jN6thrust23THRUST_200600_302600_NS6detail15normal_iteratorINSA_7pointerItNSA_11hip_rocprim3tagENSA_11use_defaultESG_EEEEPS6_SJ_NS0_5tupleIJPtSJ_EEENSK_IJSJ_SJ_EEES6_PlJ7is_evenItEEEE10hipError_tPvRmT3_T4_T5_T6_T7_T9_mT8_P12ihipStream_tbDpT10_ENKUlT_T0_E_clISt17integral_constantIbLb1EES1A_EEDaS15_S16_EUlS15_E_NS1_11comp_targetILNS1_3genE10ELNS1_11target_archE1200ELNS1_3gpuE4ELNS1_3repE0EEENS1_30default_config_static_selectorELNS0_4arch9wavefront6targetE1EEEvT1_,"axG",@progbits,_ZN7rocprim17ROCPRIM_400000_NS6detail17trampoline_kernelINS0_14default_configENS1_25partition_config_selectorILNS1_17partition_subalgoE3EtNS0_10empty_typeEbEEZZNS1_14partition_implILS5_3ELb0ES3_jN6thrust23THRUST_200600_302600_NS6detail15normal_iteratorINSA_7pointerItNSA_11hip_rocprim3tagENSA_11use_defaultESG_EEEEPS6_SJ_NS0_5tupleIJPtSJ_EEENSK_IJSJ_SJ_EEES6_PlJ7is_evenItEEEE10hipError_tPvRmT3_T4_T5_T6_T7_T9_mT8_P12ihipStream_tbDpT10_ENKUlT_T0_E_clISt17integral_constantIbLb1EES1A_EEDaS15_S16_EUlS15_E_NS1_11comp_targetILNS1_3genE10ELNS1_11target_archE1200ELNS1_3gpuE4ELNS1_3repE0EEENS1_30default_config_static_selectorELNS0_4arch9wavefront6targetE1EEEvT1_,comdat
.Lfunc_end1169:
	.size	_ZN7rocprim17ROCPRIM_400000_NS6detail17trampoline_kernelINS0_14default_configENS1_25partition_config_selectorILNS1_17partition_subalgoE3EtNS0_10empty_typeEbEEZZNS1_14partition_implILS5_3ELb0ES3_jN6thrust23THRUST_200600_302600_NS6detail15normal_iteratorINSA_7pointerItNSA_11hip_rocprim3tagENSA_11use_defaultESG_EEEEPS6_SJ_NS0_5tupleIJPtSJ_EEENSK_IJSJ_SJ_EEES6_PlJ7is_evenItEEEE10hipError_tPvRmT3_T4_T5_T6_T7_T9_mT8_P12ihipStream_tbDpT10_ENKUlT_T0_E_clISt17integral_constantIbLb1EES1A_EEDaS15_S16_EUlS15_E_NS1_11comp_targetILNS1_3genE10ELNS1_11target_archE1200ELNS1_3gpuE4ELNS1_3repE0EEENS1_30default_config_static_selectorELNS0_4arch9wavefront6targetE1EEEvT1_, .Lfunc_end1169-_ZN7rocprim17ROCPRIM_400000_NS6detail17trampoline_kernelINS0_14default_configENS1_25partition_config_selectorILNS1_17partition_subalgoE3EtNS0_10empty_typeEbEEZZNS1_14partition_implILS5_3ELb0ES3_jN6thrust23THRUST_200600_302600_NS6detail15normal_iteratorINSA_7pointerItNSA_11hip_rocprim3tagENSA_11use_defaultESG_EEEEPS6_SJ_NS0_5tupleIJPtSJ_EEENSK_IJSJ_SJ_EEES6_PlJ7is_evenItEEEE10hipError_tPvRmT3_T4_T5_T6_T7_T9_mT8_P12ihipStream_tbDpT10_ENKUlT_T0_E_clISt17integral_constantIbLb1EES1A_EEDaS15_S16_EUlS15_E_NS1_11comp_targetILNS1_3genE10ELNS1_11target_archE1200ELNS1_3gpuE4ELNS1_3repE0EEENS1_30default_config_static_selectorELNS0_4arch9wavefront6targetE1EEEvT1_
                                        ; -- End function
	.section	.AMDGPU.csdata,"",@progbits
; Kernel info:
; codeLenInByte = 0
; NumSgprs: 4
; NumVgprs: 0
; NumAgprs: 0
; TotalNumVgprs: 0
; ScratchSize: 0
; MemoryBound: 0
; FloatMode: 240
; IeeeMode: 1
; LDSByteSize: 0 bytes/workgroup (compile time only)
; SGPRBlocks: 0
; VGPRBlocks: 0
; NumSGPRsForWavesPerEU: 4
; NumVGPRsForWavesPerEU: 1
; AccumOffset: 4
; Occupancy: 8
; WaveLimiterHint : 0
; COMPUTE_PGM_RSRC2:SCRATCH_EN: 0
; COMPUTE_PGM_RSRC2:USER_SGPR: 6
; COMPUTE_PGM_RSRC2:TRAP_HANDLER: 0
; COMPUTE_PGM_RSRC2:TGID_X_EN: 1
; COMPUTE_PGM_RSRC2:TGID_Y_EN: 0
; COMPUTE_PGM_RSRC2:TGID_Z_EN: 0
; COMPUTE_PGM_RSRC2:TIDIG_COMP_CNT: 0
; COMPUTE_PGM_RSRC3_GFX90A:ACCUM_OFFSET: 0
; COMPUTE_PGM_RSRC3_GFX90A:TG_SPLIT: 0
	.section	.text._ZN7rocprim17ROCPRIM_400000_NS6detail17trampoline_kernelINS0_14default_configENS1_25partition_config_selectorILNS1_17partition_subalgoE3EtNS0_10empty_typeEbEEZZNS1_14partition_implILS5_3ELb0ES3_jN6thrust23THRUST_200600_302600_NS6detail15normal_iteratorINSA_7pointerItNSA_11hip_rocprim3tagENSA_11use_defaultESG_EEEEPS6_SJ_NS0_5tupleIJPtSJ_EEENSK_IJSJ_SJ_EEES6_PlJ7is_evenItEEEE10hipError_tPvRmT3_T4_T5_T6_T7_T9_mT8_P12ihipStream_tbDpT10_ENKUlT_T0_E_clISt17integral_constantIbLb1EES1A_EEDaS15_S16_EUlS15_E_NS1_11comp_targetILNS1_3genE9ELNS1_11target_archE1100ELNS1_3gpuE3ELNS1_3repE0EEENS1_30default_config_static_selectorELNS0_4arch9wavefront6targetE1EEEvT1_,"axG",@progbits,_ZN7rocprim17ROCPRIM_400000_NS6detail17trampoline_kernelINS0_14default_configENS1_25partition_config_selectorILNS1_17partition_subalgoE3EtNS0_10empty_typeEbEEZZNS1_14partition_implILS5_3ELb0ES3_jN6thrust23THRUST_200600_302600_NS6detail15normal_iteratorINSA_7pointerItNSA_11hip_rocprim3tagENSA_11use_defaultESG_EEEEPS6_SJ_NS0_5tupleIJPtSJ_EEENSK_IJSJ_SJ_EEES6_PlJ7is_evenItEEEE10hipError_tPvRmT3_T4_T5_T6_T7_T9_mT8_P12ihipStream_tbDpT10_ENKUlT_T0_E_clISt17integral_constantIbLb1EES1A_EEDaS15_S16_EUlS15_E_NS1_11comp_targetILNS1_3genE9ELNS1_11target_archE1100ELNS1_3gpuE3ELNS1_3repE0EEENS1_30default_config_static_selectorELNS0_4arch9wavefront6targetE1EEEvT1_,comdat
	.protected	_ZN7rocprim17ROCPRIM_400000_NS6detail17trampoline_kernelINS0_14default_configENS1_25partition_config_selectorILNS1_17partition_subalgoE3EtNS0_10empty_typeEbEEZZNS1_14partition_implILS5_3ELb0ES3_jN6thrust23THRUST_200600_302600_NS6detail15normal_iteratorINSA_7pointerItNSA_11hip_rocprim3tagENSA_11use_defaultESG_EEEEPS6_SJ_NS0_5tupleIJPtSJ_EEENSK_IJSJ_SJ_EEES6_PlJ7is_evenItEEEE10hipError_tPvRmT3_T4_T5_T6_T7_T9_mT8_P12ihipStream_tbDpT10_ENKUlT_T0_E_clISt17integral_constantIbLb1EES1A_EEDaS15_S16_EUlS15_E_NS1_11comp_targetILNS1_3genE9ELNS1_11target_archE1100ELNS1_3gpuE3ELNS1_3repE0EEENS1_30default_config_static_selectorELNS0_4arch9wavefront6targetE1EEEvT1_ ; -- Begin function _ZN7rocprim17ROCPRIM_400000_NS6detail17trampoline_kernelINS0_14default_configENS1_25partition_config_selectorILNS1_17partition_subalgoE3EtNS0_10empty_typeEbEEZZNS1_14partition_implILS5_3ELb0ES3_jN6thrust23THRUST_200600_302600_NS6detail15normal_iteratorINSA_7pointerItNSA_11hip_rocprim3tagENSA_11use_defaultESG_EEEEPS6_SJ_NS0_5tupleIJPtSJ_EEENSK_IJSJ_SJ_EEES6_PlJ7is_evenItEEEE10hipError_tPvRmT3_T4_T5_T6_T7_T9_mT8_P12ihipStream_tbDpT10_ENKUlT_T0_E_clISt17integral_constantIbLb1EES1A_EEDaS15_S16_EUlS15_E_NS1_11comp_targetILNS1_3genE9ELNS1_11target_archE1100ELNS1_3gpuE3ELNS1_3repE0EEENS1_30default_config_static_selectorELNS0_4arch9wavefront6targetE1EEEvT1_
	.globl	_ZN7rocprim17ROCPRIM_400000_NS6detail17trampoline_kernelINS0_14default_configENS1_25partition_config_selectorILNS1_17partition_subalgoE3EtNS0_10empty_typeEbEEZZNS1_14partition_implILS5_3ELb0ES3_jN6thrust23THRUST_200600_302600_NS6detail15normal_iteratorINSA_7pointerItNSA_11hip_rocprim3tagENSA_11use_defaultESG_EEEEPS6_SJ_NS0_5tupleIJPtSJ_EEENSK_IJSJ_SJ_EEES6_PlJ7is_evenItEEEE10hipError_tPvRmT3_T4_T5_T6_T7_T9_mT8_P12ihipStream_tbDpT10_ENKUlT_T0_E_clISt17integral_constantIbLb1EES1A_EEDaS15_S16_EUlS15_E_NS1_11comp_targetILNS1_3genE9ELNS1_11target_archE1100ELNS1_3gpuE3ELNS1_3repE0EEENS1_30default_config_static_selectorELNS0_4arch9wavefront6targetE1EEEvT1_
	.p2align	8
	.type	_ZN7rocprim17ROCPRIM_400000_NS6detail17trampoline_kernelINS0_14default_configENS1_25partition_config_selectorILNS1_17partition_subalgoE3EtNS0_10empty_typeEbEEZZNS1_14partition_implILS5_3ELb0ES3_jN6thrust23THRUST_200600_302600_NS6detail15normal_iteratorINSA_7pointerItNSA_11hip_rocprim3tagENSA_11use_defaultESG_EEEEPS6_SJ_NS0_5tupleIJPtSJ_EEENSK_IJSJ_SJ_EEES6_PlJ7is_evenItEEEE10hipError_tPvRmT3_T4_T5_T6_T7_T9_mT8_P12ihipStream_tbDpT10_ENKUlT_T0_E_clISt17integral_constantIbLb1EES1A_EEDaS15_S16_EUlS15_E_NS1_11comp_targetILNS1_3genE9ELNS1_11target_archE1100ELNS1_3gpuE3ELNS1_3repE0EEENS1_30default_config_static_selectorELNS0_4arch9wavefront6targetE1EEEvT1_,@function
_ZN7rocprim17ROCPRIM_400000_NS6detail17trampoline_kernelINS0_14default_configENS1_25partition_config_selectorILNS1_17partition_subalgoE3EtNS0_10empty_typeEbEEZZNS1_14partition_implILS5_3ELb0ES3_jN6thrust23THRUST_200600_302600_NS6detail15normal_iteratorINSA_7pointerItNSA_11hip_rocprim3tagENSA_11use_defaultESG_EEEEPS6_SJ_NS0_5tupleIJPtSJ_EEENSK_IJSJ_SJ_EEES6_PlJ7is_evenItEEEE10hipError_tPvRmT3_T4_T5_T6_T7_T9_mT8_P12ihipStream_tbDpT10_ENKUlT_T0_E_clISt17integral_constantIbLb1EES1A_EEDaS15_S16_EUlS15_E_NS1_11comp_targetILNS1_3genE9ELNS1_11target_archE1100ELNS1_3gpuE3ELNS1_3repE0EEENS1_30default_config_static_selectorELNS0_4arch9wavefront6targetE1EEEvT1_: ; @_ZN7rocprim17ROCPRIM_400000_NS6detail17trampoline_kernelINS0_14default_configENS1_25partition_config_selectorILNS1_17partition_subalgoE3EtNS0_10empty_typeEbEEZZNS1_14partition_implILS5_3ELb0ES3_jN6thrust23THRUST_200600_302600_NS6detail15normal_iteratorINSA_7pointerItNSA_11hip_rocprim3tagENSA_11use_defaultESG_EEEEPS6_SJ_NS0_5tupleIJPtSJ_EEENSK_IJSJ_SJ_EEES6_PlJ7is_evenItEEEE10hipError_tPvRmT3_T4_T5_T6_T7_T9_mT8_P12ihipStream_tbDpT10_ENKUlT_T0_E_clISt17integral_constantIbLb1EES1A_EEDaS15_S16_EUlS15_E_NS1_11comp_targetILNS1_3genE9ELNS1_11target_archE1100ELNS1_3gpuE3ELNS1_3repE0EEENS1_30default_config_static_selectorELNS0_4arch9wavefront6targetE1EEEvT1_
; %bb.0:
	.section	.rodata,"a",@progbits
	.p2align	6, 0x0
	.amdhsa_kernel _ZN7rocprim17ROCPRIM_400000_NS6detail17trampoline_kernelINS0_14default_configENS1_25partition_config_selectorILNS1_17partition_subalgoE3EtNS0_10empty_typeEbEEZZNS1_14partition_implILS5_3ELb0ES3_jN6thrust23THRUST_200600_302600_NS6detail15normal_iteratorINSA_7pointerItNSA_11hip_rocprim3tagENSA_11use_defaultESG_EEEEPS6_SJ_NS0_5tupleIJPtSJ_EEENSK_IJSJ_SJ_EEES6_PlJ7is_evenItEEEE10hipError_tPvRmT3_T4_T5_T6_T7_T9_mT8_P12ihipStream_tbDpT10_ENKUlT_T0_E_clISt17integral_constantIbLb1EES1A_EEDaS15_S16_EUlS15_E_NS1_11comp_targetILNS1_3genE9ELNS1_11target_archE1100ELNS1_3gpuE3ELNS1_3repE0EEENS1_30default_config_static_selectorELNS0_4arch9wavefront6targetE1EEEvT1_
		.amdhsa_group_segment_fixed_size 0
		.amdhsa_private_segment_fixed_size 0
		.amdhsa_kernarg_size 136
		.amdhsa_user_sgpr_count 6
		.amdhsa_user_sgpr_private_segment_buffer 1
		.amdhsa_user_sgpr_dispatch_ptr 0
		.amdhsa_user_sgpr_queue_ptr 0
		.amdhsa_user_sgpr_kernarg_segment_ptr 1
		.amdhsa_user_sgpr_dispatch_id 0
		.amdhsa_user_sgpr_flat_scratch_init 0
		.amdhsa_user_sgpr_kernarg_preload_length 0
		.amdhsa_user_sgpr_kernarg_preload_offset 0
		.amdhsa_user_sgpr_private_segment_size 0
		.amdhsa_uses_dynamic_stack 0
		.amdhsa_system_sgpr_private_segment_wavefront_offset 0
		.amdhsa_system_sgpr_workgroup_id_x 1
		.amdhsa_system_sgpr_workgroup_id_y 0
		.amdhsa_system_sgpr_workgroup_id_z 0
		.amdhsa_system_sgpr_workgroup_info 0
		.amdhsa_system_vgpr_workitem_id 0
		.amdhsa_next_free_vgpr 1
		.amdhsa_next_free_sgpr 0
		.amdhsa_accum_offset 4
		.amdhsa_reserve_vcc 0
		.amdhsa_reserve_flat_scratch 0
		.amdhsa_float_round_mode_32 0
		.amdhsa_float_round_mode_16_64 0
		.amdhsa_float_denorm_mode_32 3
		.amdhsa_float_denorm_mode_16_64 3
		.amdhsa_dx10_clamp 1
		.amdhsa_ieee_mode 1
		.amdhsa_fp16_overflow 0
		.amdhsa_tg_split 0
		.amdhsa_exception_fp_ieee_invalid_op 0
		.amdhsa_exception_fp_denorm_src 0
		.amdhsa_exception_fp_ieee_div_zero 0
		.amdhsa_exception_fp_ieee_overflow 0
		.amdhsa_exception_fp_ieee_underflow 0
		.amdhsa_exception_fp_ieee_inexact 0
		.amdhsa_exception_int_div_zero 0
	.end_amdhsa_kernel
	.section	.text._ZN7rocprim17ROCPRIM_400000_NS6detail17trampoline_kernelINS0_14default_configENS1_25partition_config_selectorILNS1_17partition_subalgoE3EtNS0_10empty_typeEbEEZZNS1_14partition_implILS5_3ELb0ES3_jN6thrust23THRUST_200600_302600_NS6detail15normal_iteratorINSA_7pointerItNSA_11hip_rocprim3tagENSA_11use_defaultESG_EEEEPS6_SJ_NS0_5tupleIJPtSJ_EEENSK_IJSJ_SJ_EEES6_PlJ7is_evenItEEEE10hipError_tPvRmT3_T4_T5_T6_T7_T9_mT8_P12ihipStream_tbDpT10_ENKUlT_T0_E_clISt17integral_constantIbLb1EES1A_EEDaS15_S16_EUlS15_E_NS1_11comp_targetILNS1_3genE9ELNS1_11target_archE1100ELNS1_3gpuE3ELNS1_3repE0EEENS1_30default_config_static_selectorELNS0_4arch9wavefront6targetE1EEEvT1_,"axG",@progbits,_ZN7rocprim17ROCPRIM_400000_NS6detail17trampoline_kernelINS0_14default_configENS1_25partition_config_selectorILNS1_17partition_subalgoE3EtNS0_10empty_typeEbEEZZNS1_14partition_implILS5_3ELb0ES3_jN6thrust23THRUST_200600_302600_NS6detail15normal_iteratorINSA_7pointerItNSA_11hip_rocprim3tagENSA_11use_defaultESG_EEEEPS6_SJ_NS0_5tupleIJPtSJ_EEENSK_IJSJ_SJ_EEES6_PlJ7is_evenItEEEE10hipError_tPvRmT3_T4_T5_T6_T7_T9_mT8_P12ihipStream_tbDpT10_ENKUlT_T0_E_clISt17integral_constantIbLb1EES1A_EEDaS15_S16_EUlS15_E_NS1_11comp_targetILNS1_3genE9ELNS1_11target_archE1100ELNS1_3gpuE3ELNS1_3repE0EEENS1_30default_config_static_selectorELNS0_4arch9wavefront6targetE1EEEvT1_,comdat
.Lfunc_end1170:
	.size	_ZN7rocprim17ROCPRIM_400000_NS6detail17trampoline_kernelINS0_14default_configENS1_25partition_config_selectorILNS1_17partition_subalgoE3EtNS0_10empty_typeEbEEZZNS1_14partition_implILS5_3ELb0ES3_jN6thrust23THRUST_200600_302600_NS6detail15normal_iteratorINSA_7pointerItNSA_11hip_rocprim3tagENSA_11use_defaultESG_EEEEPS6_SJ_NS0_5tupleIJPtSJ_EEENSK_IJSJ_SJ_EEES6_PlJ7is_evenItEEEE10hipError_tPvRmT3_T4_T5_T6_T7_T9_mT8_P12ihipStream_tbDpT10_ENKUlT_T0_E_clISt17integral_constantIbLb1EES1A_EEDaS15_S16_EUlS15_E_NS1_11comp_targetILNS1_3genE9ELNS1_11target_archE1100ELNS1_3gpuE3ELNS1_3repE0EEENS1_30default_config_static_selectorELNS0_4arch9wavefront6targetE1EEEvT1_, .Lfunc_end1170-_ZN7rocprim17ROCPRIM_400000_NS6detail17trampoline_kernelINS0_14default_configENS1_25partition_config_selectorILNS1_17partition_subalgoE3EtNS0_10empty_typeEbEEZZNS1_14partition_implILS5_3ELb0ES3_jN6thrust23THRUST_200600_302600_NS6detail15normal_iteratorINSA_7pointerItNSA_11hip_rocprim3tagENSA_11use_defaultESG_EEEEPS6_SJ_NS0_5tupleIJPtSJ_EEENSK_IJSJ_SJ_EEES6_PlJ7is_evenItEEEE10hipError_tPvRmT3_T4_T5_T6_T7_T9_mT8_P12ihipStream_tbDpT10_ENKUlT_T0_E_clISt17integral_constantIbLb1EES1A_EEDaS15_S16_EUlS15_E_NS1_11comp_targetILNS1_3genE9ELNS1_11target_archE1100ELNS1_3gpuE3ELNS1_3repE0EEENS1_30default_config_static_selectorELNS0_4arch9wavefront6targetE1EEEvT1_
                                        ; -- End function
	.section	.AMDGPU.csdata,"",@progbits
; Kernel info:
; codeLenInByte = 0
; NumSgprs: 4
; NumVgprs: 0
; NumAgprs: 0
; TotalNumVgprs: 0
; ScratchSize: 0
; MemoryBound: 0
; FloatMode: 240
; IeeeMode: 1
; LDSByteSize: 0 bytes/workgroup (compile time only)
; SGPRBlocks: 0
; VGPRBlocks: 0
; NumSGPRsForWavesPerEU: 4
; NumVGPRsForWavesPerEU: 1
; AccumOffset: 4
; Occupancy: 8
; WaveLimiterHint : 0
; COMPUTE_PGM_RSRC2:SCRATCH_EN: 0
; COMPUTE_PGM_RSRC2:USER_SGPR: 6
; COMPUTE_PGM_RSRC2:TRAP_HANDLER: 0
; COMPUTE_PGM_RSRC2:TGID_X_EN: 1
; COMPUTE_PGM_RSRC2:TGID_Y_EN: 0
; COMPUTE_PGM_RSRC2:TGID_Z_EN: 0
; COMPUTE_PGM_RSRC2:TIDIG_COMP_CNT: 0
; COMPUTE_PGM_RSRC3_GFX90A:ACCUM_OFFSET: 0
; COMPUTE_PGM_RSRC3_GFX90A:TG_SPLIT: 0
	.section	.text._ZN7rocprim17ROCPRIM_400000_NS6detail17trampoline_kernelINS0_14default_configENS1_25partition_config_selectorILNS1_17partition_subalgoE3EtNS0_10empty_typeEbEEZZNS1_14partition_implILS5_3ELb0ES3_jN6thrust23THRUST_200600_302600_NS6detail15normal_iteratorINSA_7pointerItNSA_11hip_rocprim3tagENSA_11use_defaultESG_EEEEPS6_SJ_NS0_5tupleIJPtSJ_EEENSK_IJSJ_SJ_EEES6_PlJ7is_evenItEEEE10hipError_tPvRmT3_T4_T5_T6_T7_T9_mT8_P12ihipStream_tbDpT10_ENKUlT_T0_E_clISt17integral_constantIbLb1EES1A_EEDaS15_S16_EUlS15_E_NS1_11comp_targetILNS1_3genE8ELNS1_11target_archE1030ELNS1_3gpuE2ELNS1_3repE0EEENS1_30default_config_static_selectorELNS0_4arch9wavefront6targetE1EEEvT1_,"axG",@progbits,_ZN7rocprim17ROCPRIM_400000_NS6detail17trampoline_kernelINS0_14default_configENS1_25partition_config_selectorILNS1_17partition_subalgoE3EtNS0_10empty_typeEbEEZZNS1_14partition_implILS5_3ELb0ES3_jN6thrust23THRUST_200600_302600_NS6detail15normal_iteratorINSA_7pointerItNSA_11hip_rocprim3tagENSA_11use_defaultESG_EEEEPS6_SJ_NS0_5tupleIJPtSJ_EEENSK_IJSJ_SJ_EEES6_PlJ7is_evenItEEEE10hipError_tPvRmT3_T4_T5_T6_T7_T9_mT8_P12ihipStream_tbDpT10_ENKUlT_T0_E_clISt17integral_constantIbLb1EES1A_EEDaS15_S16_EUlS15_E_NS1_11comp_targetILNS1_3genE8ELNS1_11target_archE1030ELNS1_3gpuE2ELNS1_3repE0EEENS1_30default_config_static_selectorELNS0_4arch9wavefront6targetE1EEEvT1_,comdat
	.protected	_ZN7rocprim17ROCPRIM_400000_NS6detail17trampoline_kernelINS0_14default_configENS1_25partition_config_selectorILNS1_17partition_subalgoE3EtNS0_10empty_typeEbEEZZNS1_14partition_implILS5_3ELb0ES3_jN6thrust23THRUST_200600_302600_NS6detail15normal_iteratorINSA_7pointerItNSA_11hip_rocprim3tagENSA_11use_defaultESG_EEEEPS6_SJ_NS0_5tupleIJPtSJ_EEENSK_IJSJ_SJ_EEES6_PlJ7is_evenItEEEE10hipError_tPvRmT3_T4_T5_T6_T7_T9_mT8_P12ihipStream_tbDpT10_ENKUlT_T0_E_clISt17integral_constantIbLb1EES1A_EEDaS15_S16_EUlS15_E_NS1_11comp_targetILNS1_3genE8ELNS1_11target_archE1030ELNS1_3gpuE2ELNS1_3repE0EEENS1_30default_config_static_selectorELNS0_4arch9wavefront6targetE1EEEvT1_ ; -- Begin function _ZN7rocprim17ROCPRIM_400000_NS6detail17trampoline_kernelINS0_14default_configENS1_25partition_config_selectorILNS1_17partition_subalgoE3EtNS0_10empty_typeEbEEZZNS1_14partition_implILS5_3ELb0ES3_jN6thrust23THRUST_200600_302600_NS6detail15normal_iteratorINSA_7pointerItNSA_11hip_rocprim3tagENSA_11use_defaultESG_EEEEPS6_SJ_NS0_5tupleIJPtSJ_EEENSK_IJSJ_SJ_EEES6_PlJ7is_evenItEEEE10hipError_tPvRmT3_T4_T5_T6_T7_T9_mT8_P12ihipStream_tbDpT10_ENKUlT_T0_E_clISt17integral_constantIbLb1EES1A_EEDaS15_S16_EUlS15_E_NS1_11comp_targetILNS1_3genE8ELNS1_11target_archE1030ELNS1_3gpuE2ELNS1_3repE0EEENS1_30default_config_static_selectorELNS0_4arch9wavefront6targetE1EEEvT1_
	.globl	_ZN7rocprim17ROCPRIM_400000_NS6detail17trampoline_kernelINS0_14default_configENS1_25partition_config_selectorILNS1_17partition_subalgoE3EtNS0_10empty_typeEbEEZZNS1_14partition_implILS5_3ELb0ES3_jN6thrust23THRUST_200600_302600_NS6detail15normal_iteratorINSA_7pointerItNSA_11hip_rocprim3tagENSA_11use_defaultESG_EEEEPS6_SJ_NS0_5tupleIJPtSJ_EEENSK_IJSJ_SJ_EEES6_PlJ7is_evenItEEEE10hipError_tPvRmT3_T4_T5_T6_T7_T9_mT8_P12ihipStream_tbDpT10_ENKUlT_T0_E_clISt17integral_constantIbLb1EES1A_EEDaS15_S16_EUlS15_E_NS1_11comp_targetILNS1_3genE8ELNS1_11target_archE1030ELNS1_3gpuE2ELNS1_3repE0EEENS1_30default_config_static_selectorELNS0_4arch9wavefront6targetE1EEEvT1_
	.p2align	8
	.type	_ZN7rocprim17ROCPRIM_400000_NS6detail17trampoline_kernelINS0_14default_configENS1_25partition_config_selectorILNS1_17partition_subalgoE3EtNS0_10empty_typeEbEEZZNS1_14partition_implILS5_3ELb0ES3_jN6thrust23THRUST_200600_302600_NS6detail15normal_iteratorINSA_7pointerItNSA_11hip_rocprim3tagENSA_11use_defaultESG_EEEEPS6_SJ_NS0_5tupleIJPtSJ_EEENSK_IJSJ_SJ_EEES6_PlJ7is_evenItEEEE10hipError_tPvRmT3_T4_T5_T6_T7_T9_mT8_P12ihipStream_tbDpT10_ENKUlT_T0_E_clISt17integral_constantIbLb1EES1A_EEDaS15_S16_EUlS15_E_NS1_11comp_targetILNS1_3genE8ELNS1_11target_archE1030ELNS1_3gpuE2ELNS1_3repE0EEENS1_30default_config_static_selectorELNS0_4arch9wavefront6targetE1EEEvT1_,@function
_ZN7rocprim17ROCPRIM_400000_NS6detail17trampoline_kernelINS0_14default_configENS1_25partition_config_selectorILNS1_17partition_subalgoE3EtNS0_10empty_typeEbEEZZNS1_14partition_implILS5_3ELb0ES3_jN6thrust23THRUST_200600_302600_NS6detail15normal_iteratorINSA_7pointerItNSA_11hip_rocprim3tagENSA_11use_defaultESG_EEEEPS6_SJ_NS0_5tupleIJPtSJ_EEENSK_IJSJ_SJ_EEES6_PlJ7is_evenItEEEE10hipError_tPvRmT3_T4_T5_T6_T7_T9_mT8_P12ihipStream_tbDpT10_ENKUlT_T0_E_clISt17integral_constantIbLb1EES1A_EEDaS15_S16_EUlS15_E_NS1_11comp_targetILNS1_3genE8ELNS1_11target_archE1030ELNS1_3gpuE2ELNS1_3repE0EEENS1_30default_config_static_selectorELNS0_4arch9wavefront6targetE1EEEvT1_: ; @_ZN7rocprim17ROCPRIM_400000_NS6detail17trampoline_kernelINS0_14default_configENS1_25partition_config_selectorILNS1_17partition_subalgoE3EtNS0_10empty_typeEbEEZZNS1_14partition_implILS5_3ELb0ES3_jN6thrust23THRUST_200600_302600_NS6detail15normal_iteratorINSA_7pointerItNSA_11hip_rocprim3tagENSA_11use_defaultESG_EEEEPS6_SJ_NS0_5tupleIJPtSJ_EEENSK_IJSJ_SJ_EEES6_PlJ7is_evenItEEEE10hipError_tPvRmT3_T4_T5_T6_T7_T9_mT8_P12ihipStream_tbDpT10_ENKUlT_T0_E_clISt17integral_constantIbLb1EES1A_EEDaS15_S16_EUlS15_E_NS1_11comp_targetILNS1_3genE8ELNS1_11target_archE1030ELNS1_3gpuE2ELNS1_3repE0EEENS1_30default_config_static_selectorELNS0_4arch9wavefront6targetE1EEEvT1_
; %bb.0:
	.section	.rodata,"a",@progbits
	.p2align	6, 0x0
	.amdhsa_kernel _ZN7rocprim17ROCPRIM_400000_NS6detail17trampoline_kernelINS0_14default_configENS1_25partition_config_selectorILNS1_17partition_subalgoE3EtNS0_10empty_typeEbEEZZNS1_14partition_implILS5_3ELb0ES3_jN6thrust23THRUST_200600_302600_NS6detail15normal_iteratorINSA_7pointerItNSA_11hip_rocprim3tagENSA_11use_defaultESG_EEEEPS6_SJ_NS0_5tupleIJPtSJ_EEENSK_IJSJ_SJ_EEES6_PlJ7is_evenItEEEE10hipError_tPvRmT3_T4_T5_T6_T7_T9_mT8_P12ihipStream_tbDpT10_ENKUlT_T0_E_clISt17integral_constantIbLb1EES1A_EEDaS15_S16_EUlS15_E_NS1_11comp_targetILNS1_3genE8ELNS1_11target_archE1030ELNS1_3gpuE2ELNS1_3repE0EEENS1_30default_config_static_selectorELNS0_4arch9wavefront6targetE1EEEvT1_
		.amdhsa_group_segment_fixed_size 0
		.amdhsa_private_segment_fixed_size 0
		.amdhsa_kernarg_size 136
		.amdhsa_user_sgpr_count 6
		.amdhsa_user_sgpr_private_segment_buffer 1
		.amdhsa_user_sgpr_dispatch_ptr 0
		.amdhsa_user_sgpr_queue_ptr 0
		.amdhsa_user_sgpr_kernarg_segment_ptr 1
		.amdhsa_user_sgpr_dispatch_id 0
		.amdhsa_user_sgpr_flat_scratch_init 0
		.amdhsa_user_sgpr_kernarg_preload_length 0
		.amdhsa_user_sgpr_kernarg_preload_offset 0
		.amdhsa_user_sgpr_private_segment_size 0
		.amdhsa_uses_dynamic_stack 0
		.amdhsa_system_sgpr_private_segment_wavefront_offset 0
		.amdhsa_system_sgpr_workgroup_id_x 1
		.amdhsa_system_sgpr_workgroup_id_y 0
		.amdhsa_system_sgpr_workgroup_id_z 0
		.amdhsa_system_sgpr_workgroup_info 0
		.amdhsa_system_vgpr_workitem_id 0
		.amdhsa_next_free_vgpr 1
		.amdhsa_next_free_sgpr 0
		.amdhsa_accum_offset 4
		.amdhsa_reserve_vcc 0
		.amdhsa_reserve_flat_scratch 0
		.amdhsa_float_round_mode_32 0
		.amdhsa_float_round_mode_16_64 0
		.amdhsa_float_denorm_mode_32 3
		.amdhsa_float_denorm_mode_16_64 3
		.amdhsa_dx10_clamp 1
		.amdhsa_ieee_mode 1
		.amdhsa_fp16_overflow 0
		.amdhsa_tg_split 0
		.amdhsa_exception_fp_ieee_invalid_op 0
		.amdhsa_exception_fp_denorm_src 0
		.amdhsa_exception_fp_ieee_div_zero 0
		.amdhsa_exception_fp_ieee_overflow 0
		.amdhsa_exception_fp_ieee_underflow 0
		.amdhsa_exception_fp_ieee_inexact 0
		.amdhsa_exception_int_div_zero 0
	.end_amdhsa_kernel
	.section	.text._ZN7rocprim17ROCPRIM_400000_NS6detail17trampoline_kernelINS0_14default_configENS1_25partition_config_selectorILNS1_17partition_subalgoE3EtNS0_10empty_typeEbEEZZNS1_14partition_implILS5_3ELb0ES3_jN6thrust23THRUST_200600_302600_NS6detail15normal_iteratorINSA_7pointerItNSA_11hip_rocprim3tagENSA_11use_defaultESG_EEEEPS6_SJ_NS0_5tupleIJPtSJ_EEENSK_IJSJ_SJ_EEES6_PlJ7is_evenItEEEE10hipError_tPvRmT3_T4_T5_T6_T7_T9_mT8_P12ihipStream_tbDpT10_ENKUlT_T0_E_clISt17integral_constantIbLb1EES1A_EEDaS15_S16_EUlS15_E_NS1_11comp_targetILNS1_3genE8ELNS1_11target_archE1030ELNS1_3gpuE2ELNS1_3repE0EEENS1_30default_config_static_selectorELNS0_4arch9wavefront6targetE1EEEvT1_,"axG",@progbits,_ZN7rocprim17ROCPRIM_400000_NS6detail17trampoline_kernelINS0_14default_configENS1_25partition_config_selectorILNS1_17partition_subalgoE3EtNS0_10empty_typeEbEEZZNS1_14partition_implILS5_3ELb0ES3_jN6thrust23THRUST_200600_302600_NS6detail15normal_iteratorINSA_7pointerItNSA_11hip_rocprim3tagENSA_11use_defaultESG_EEEEPS6_SJ_NS0_5tupleIJPtSJ_EEENSK_IJSJ_SJ_EEES6_PlJ7is_evenItEEEE10hipError_tPvRmT3_T4_T5_T6_T7_T9_mT8_P12ihipStream_tbDpT10_ENKUlT_T0_E_clISt17integral_constantIbLb1EES1A_EEDaS15_S16_EUlS15_E_NS1_11comp_targetILNS1_3genE8ELNS1_11target_archE1030ELNS1_3gpuE2ELNS1_3repE0EEENS1_30default_config_static_selectorELNS0_4arch9wavefront6targetE1EEEvT1_,comdat
.Lfunc_end1171:
	.size	_ZN7rocprim17ROCPRIM_400000_NS6detail17trampoline_kernelINS0_14default_configENS1_25partition_config_selectorILNS1_17partition_subalgoE3EtNS0_10empty_typeEbEEZZNS1_14partition_implILS5_3ELb0ES3_jN6thrust23THRUST_200600_302600_NS6detail15normal_iteratorINSA_7pointerItNSA_11hip_rocprim3tagENSA_11use_defaultESG_EEEEPS6_SJ_NS0_5tupleIJPtSJ_EEENSK_IJSJ_SJ_EEES6_PlJ7is_evenItEEEE10hipError_tPvRmT3_T4_T5_T6_T7_T9_mT8_P12ihipStream_tbDpT10_ENKUlT_T0_E_clISt17integral_constantIbLb1EES1A_EEDaS15_S16_EUlS15_E_NS1_11comp_targetILNS1_3genE8ELNS1_11target_archE1030ELNS1_3gpuE2ELNS1_3repE0EEENS1_30default_config_static_selectorELNS0_4arch9wavefront6targetE1EEEvT1_, .Lfunc_end1171-_ZN7rocprim17ROCPRIM_400000_NS6detail17trampoline_kernelINS0_14default_configENS1_25partition_config_selectorILNS1_17partition_subalgoE3EtNS0_10empty_typeEbEEZZNS1_14partition_implILS5_3ELb0ES3_jN6thrust23THRUST_200600_302600_NS6detail15normal_iteratorINSA_7pointerItNSA_11hip_rocprim3tagENSA_11use_defaultESG_EEEEPS6_SJ_NS0_5tupleIJPtSJ_EEENSK_IJSJ_SJ_EEES6_PlJ7is_evenItEEEE10hipError_tPvRmT3_T4_T5_T6_T7_T9_mT8_P12ihipStream_tbDpT10_ENKUlT_T0_E_clISt17integral_constantIbLb1EES1A_EEDaS15_S16_EUlS15_E_NS1_11comp_targetILNS1_3genE8ELNS1_11target_archE1030ELNS1_3gpuE2ELNS1_3repE0EEENS1_30default_config_static_selectorELNS0_4arch9wavefront6targetE1EEEvT1_
                                        ; -- End function
	.section	.AMDGPU.csdata,"",@progbits
; Kernel info:
; codeLenInByte = 0
; NumSgprs: 4
; NumVgprs: 0
; NumAgprs: 0
; TotalNumVgprs: 0
; ScratchSize: 0
; MemoryBound: 0
; FloatMode: 240
; IeeeMode: 1
; LDSByteSize: 0 bytes/workgroup (compile time only)
; SGPRBlocks: 0
; VGPRBlocks: 0
; NumSGPRsForWavesPerEU: 4
; NumVGPRsForWavesPerEU: 1
; AccumOffset: 4
; Occupancy: 8
; WaveLimiterHint : 0
; COMPUTE_PGM_RSRC2:SCRATCH_EN: 0
; COMPUTE_PGM_RSRC2:USER_SGPR: 6
; COMPUTE_PGM_RSRC2:TRAP_HANDLER: 0
; COMPUTE_PGM_RSRC2:TGID_X_EN: 1
; COMPUTE_PGM_RSRC2:TGID_Y_EN: 0
; COMPUTE_PGM_RSRC2:TGID_Z_EN: 0
; COMPUTE_PGM_RSRC2:TIDIG_COMP_CNT: 0
; COMPUTE_PGM_RSRC3_GFX90A:ACCUM_OFFSET: 0
; COMPUTE_PGM_RSRC3_GFX90A:TG_SPLIT: 0
	.section	.text._ZN7rocprim17ROCPRIM_400000_NS6detail17trampoline_kernelINS0_14default_configENS1_25partition_config_selectorILNS1_17partition_subalgoE3EtNS0_10empty_typeEbEEZZNS1_14partition_implILS5_3ELb0ES3_jN6thrust23THRUST_200600_302600_NS6detail15normal_iteratorINSA_7pointerItNSA_11hip_rocprim3tagENSA_11use_defaultESG_EEEEPS6_SJ_NS0_5tupleIJPtSJ_EEENSK_IJSJ_SJ_EEES6_PlJ7is_evenItEEEE10hipError_tPvRmT3_T4_T5_T6_T7_T9_mT8_P12ihipStream_tbDpT10_ENKUlT_T0_E_clISt17integral_constantIbLb1EES19_IbLb0EEEEDaS15_S16_EUlS15_E_NS1_11comp_targetILNS1_3genE0ELNS1_11target_archE4294967295ELNS1_3gpuE0ELNS1_3repE0EEENS1_30default_config_static_selectorELNS0_4arch9wavefront6targetE1EEEvT1_,"axG",@progbits,_ZN7rocprim17ROCPRIM_400000_NS6detail17trampoline_kernelINS0_14default_configENS1_25partition_config_selectorILNS1_17partition_subalgoE3EtNS0_10empty_typeEbEEZZNS1_14partition_implILS5_3ELb0ES3_jN6thrust23THRUST_200600_302600_NS6detail15normal_iteratorINSA_7pointerItNSA_11hip_rocprim3tagENSA_11use_defaultESG_EEEEPS6_SJ_NS0_5tupleIJPtSJ_EEENSK_IJSJ_SJ_EEES6_PlJ7is_evenItEEEE10hipError_tPvRmT3_T4_T5_T6_T7_T9_mT8_P12ihipStream_tbDpT10_ENKUlT_T0_E_clISt17integral_constantIbLb1EES19_IbLb0EEEEDaS15_S16_EUlS15_E_NS1_11comp_targetILNS1_3genE0ELNS1_11target_archE4294967295ELNS1_3gpuE0ELNS1_3repE0EEENS1_30default_config_static_selectorELNS0_4arch9wavefront6targetE1EEEvT1_,comdat
	.protected	_ZN7rocprim17ROCPRIM_400000_NS6detail17trampoline_kernelINS0_14default_configENS1_25partition_config_selectorILNS1_17partition_subalgoE3EtNS0_10empty_typeEbEEZZNS1_14partition_implILS5_3ELb0ES3_jN6thrust23THRUST_200600_302600_NS6detail15normal_iteratorINSA_7pointerItNSA_11hip_rocprim3tagENSA_11use_defaultESG_EEEEPS6_SJ_NS0_5tupleIJPtSJ_EEENSK_IJSJ_SJ_EEES6_PlJ7is_evenItEEEE10hipError_tPvRmT3_T4_T5_T6_T7_T9_mT8_P12ihipStream_tbDpT10_ENKUlT_T0_E_clISt17integral_constantIbLb1EES19_IbLb0EEEEDaS15_S16_EUlS15_E_NS1_11comp_targetILNS1_3genE0ELNS1_11target_archE4294967295ELNS1_3gpuE0ELNS1_3repE0EEENS1_30default_config_static_selectorELNS0_4arch9wavefront6targetE1EEEvT1_ ; -- Begin function _ZN7rocprim17ROCPRIM_400000_NS6detail17trampoline_kernelINS0_14default_configENS1_25partition_config_selectorILNS1_17partition_subalgoE3EtNS0_10empty_typeEbEEZZNS1_14partition_implILS5_3ELb0ES3_jN6thrust23THRUST_200600_302600_NS6detail15normal_iteratorINSA_7pointerItNSA_11hip_rocprim3tagENSA_11use_defaultESG_EEEEPS6_SJ_NS0_5tupleIJPtSJ_EEENSK_IJSJ_SJ_EEES6_PlJ7is_evenItEEEE10hipError_tPvRmT3_T4_T5_T6_T7_T9_mT8_P12ihipStream_tbDpT10_ENKUlT_T0_E_clISt17integral_constantIbLb1EES19_IbLb0EEEEDaS15_S16_EUlS15_E_NS1_11comp_targetILNS1_3genE0ELNS1_11target_archE4294967295ELNS1_3gpuE0ELNS1_3repE0EEENS1_30default_config_static_selectorELNS0_4arch9wavefront6targetE1EEEvT1_
	.globl	_ZN7rocprim17ROCPRIM_400000_NS6detail17trampoline_kernelINS0_14default_configENS1_25partition_config_selectorILNS1_17partition_subalgoE3EtNS0_10empty_typeEbEEZZNS1_14partition_implILS5_3ELb0ES3_jN6thrust23THRUST_200600_302600_NS6detail15normal_iteratorINSA_7pointerItNSA_11hip_rocprim3tagENSA_11use_defaultESG_EEEEPS6_SJ_NS0_5tupleIJPtSJ_EEENSK_IJSJ_SJ_EEES6_PlJ7is_evenItEEEE10hipError_tPvRmT3_T4_T5_T6_T7_T9_mT8_P12ihipStream_tbDpT10_ENKUlT_T0_E_clISt17integral_constantIbLb1EES19_IbLb0EEEEDaS15_S16_EUlS15_E_NS1_11comp_targetILNS1_3genE0ELNS1_11target_archE4294967295ELNS1_3gpuE0ELNS1_3repE0EEENS1_30default_config_static_selectorELNS0_4arch9wavefront6targetE1EEEvT1_
	.p2align	8
	.type	_ZN7rocprim17ROCPRIM_400000_NS6detail17trampoline_kernelINS0_14default_configENS1_25partition_config_selectorILNS1_17partition_subalgoE3EtNS0_10empty_typeEbEEZZNS1_14partition_implILS5_3ELb0ES3_jN6thrust23THRUST_200600_302600_NS6detail15normal_iteratorINSA_7pointerItNSA_11hip_rocprim3tagENSA_11use_defaultESG_EEEEPS6_SJ_NS0_5tupleIJPtSJ_EEENSK_IJSJ_SJ_EEES6_PlJ7is_evenItEEEE10hipError_tPvRmT3_T4_T5_T6_T7_T9_mT8_P12ihipStream_tbDpT10_ENKUlT_T0_E_clISt17integral_constantIbLb1EES19_IbLb0EEEEDaS15_S16_EUlS15_E_NS1_11comp_targetILNS1_3genE0ELNS1_11target_archE4294967295ELNS1_3gpuE0ELNS1_3repE0EEENS1_30default_config_static_selectorELNS0_4arch9wavefront6targetE1EEEvT1_,@function
_ZN7rocprim17ROCPRIM_400000_NS6detail17trampoline_kernelINS0_14default_configENS1_25partition_config_selectorILNS1_17partition_subalgoE3EtNS0_10empty_typeEbEEZZNS1_14partition_implILS5_3ELb0ES3_jN6thrust23THRUST_200600_302600_NS6detail15normal_iteratorINSA_7pointerItNSA_11hip_rocprim3tagENSA_11use_defaultESG_EEEEPS6_SJ_NS0_5tupleIJPtSJ_EEENSK_IJSJ_SJ_EEES6_PlJ7is_evenItEEEE10hipError_tPvRmT3_T4_T5_T6_T7_T9_mT8_P12ihipStream_tbDpT10_ENKUlT_T0_E_clISt17integral_constantIbLb1EES19_IbLb0EEEEDaS15_S16_EUlS15_E_NS1_11comp_targetILNS1_3genE0ELNS1_11target_archE4294967295ELNS1_3gpuE0ELNS1_3repE0EEENS1_30default_config_static_selectorELNS0_4arch9wavefront6targetE1EEEvT1_: ; @_ZN7rocprim17ROCPRIM_400000_NS6detail17trampoline_kernelINS0_14default_configENS1_25partition_config_selectorILNS1_17partition_subalgoE3EtNS0_10empty_typeEbEEZZNS1_14partition_implILS5_3ELb0ES3_jN6thrust23THRUST_200600_302600_NS6detail15normal_iteratorINSA_7pointerItNSA_11hip_rocprim3tagENSA_11use_defaultESG_EEEEPS6_SJ_NS0_5tupleIJPtSJ_EEENSK_IJSJ_SJ_EEES6_PlJ7is_evenItEEEE10hipError_tPvRmT3_T4_T5_T6_T7_T9_mT8_P12ihipStream_tbDpT10_ENKUlT_T0_E_clISt17integral_constantIbLb1EES19_IbLb0EEEEDaS15_S16_EUlS15_E_NS1_11comp_targetILNS1_3genE0ELNS1_11target_archE4294967295ELNS1_3gpuE0ELNS1_3repE0EEENS1_30default_config_static_selectorELNS0_4arch9wavefront6targetE1EEEvT1_
; %bb.0:
	.section	.rodata,"a",@progbits
	.p2align	6, 0x0
	.amdhsa_kernel _ZN7rocprim17ROCPRIM_400000_NS6detail17trampoline_kernelINS0_14default_configENS1_25partition_config_selectorILNS1_17partition_subalgoE3EtNS0_10empty_typeEbEEZZNS1_14partition_implILS5_3ELb0ES3_jN6thrust23THRUST_200600_302600_NS6detail15normal_iteratorINSA_7pointerItNSA_11hip_rocprim3tagENSA_11use_defaultESG_EEEEPS6_SJ_NS0_5tupleIJPtSJ_EEENSK_IJSJ_SJ_EEES6_PlJ7is_evenItEEEE10hipError_tPvRmT3_T4_T5_T6_T7_T9_mT8_P12ihipStream_tbDpT10_ENKUlT_T0_E_clISt17integral_constantIbLb1EES19_IbLb0EEEEDaS15_S16_EUlS15_E_NS1_11comp_targetILNS1_3genE0ELNS1_11target_archE4294967295ELNS1_3gpuE0ELNS1_3repE0EEENS1_30default_config_static_selectorELNS0_4arch9wavefront6targetE1EEEvT1_
		.amdhsa_group_segment_fixed_size 0
		.amdhsa_private_segment_fixed_size 0
		.amdhsa_kernarg_size 120
		.amdhsa_user_sgpr_count 6
		.amdhsa_user_sgpr_private_segment_buffer 1
		.amdhsa_user_sgpr_dispatch_ptr 0
		.amdhsa_user_sgpr_queue_ptr 0
		.amdhsa_user_sgpr_kernarg_segment_ptr 1
		.amdhsa_user_sgpr_dispatch_id 0
		.amdhsa_user_sgpr_flat_scratch_init 0
		.amdhsa_user_sgpr_kernarg_preload_length 0
		.amdhsa_user_sgpr_kernarg_preload_offset 0
		.amdhsa_user_sgpr_private_segment_size 0
		.amdhsa_uses_dynamic_stack 0
		.amdhsa_system_sgpr_private_segment_wavefront_offset 0
		.amdhsa_system_sgpr_workgroup_id_x 1
		.amdhsa_system_sgpr_workgroup_id_y 0
		.amdhsa_system_sgpr_workgroup_id_z 0
		.amdhsa_system_sgpr_workgroup_info 0
		.amdhsa_system_vgpr_workitem_id 0
		.amdhsa_next_free_vgpr 1
		.amdhsa_next_free_sgpr 0
		.amdhsa_accum_offset 4
		.amdhsa_reserve_vcc 0
		.amdhsa_reserve_flat_scratch 0
		.amdhsa_float_round_mode_32 0
		.amdhsa_float_round_mode_16_64 0
		.amdhsa_float_denorm_mode_32 3
		.amdhsa_float_denorm_mode_16_64 3
		.amdhsa_dx10_clamp 1
		.amdhsa_ieee_mode 1
		.amdhsa_fp16_overflow 0
		.amdhsa_tg_split 0
		.amdhsa_exception_fp_ieee_invalid_op 0
		.amdhsa_exception_fp_denorm_src 0
		.amdhsa_exception_fp_ieee_div_zero 0
		.amdhsa_exception_fp_ieee_overflow 0
		.amdhsa_exception_fp_ieee_underflow 0
		.amdhsa_exception_fp_ieee_inexact 0
		.amdhsa_exception_int_div_zero 0
	.end_amdhsa_kernel
	.section	.text._ZN7rocprim17ROCPRIM_400000_NS6detail17trampoline_kernelINS0_14default_configENS1_25partition_config_selectorILNS1_17partition_subalgoE3EtNS0_10empty_typeEbEEZZNS1_14partition_implILS5_3ELb0ES3_jN6thrust23THRUST_200600_302600_NS6detail15normal_iteratorINSA_7pointerItNSA_11hip_rocprim3tagENSA_11use_defaultESG_EEEEPS6_SJ_NS0_5tupleIJPtSJ_EEENSK_IJSJ_SJ_EEES6_PlJ7is_evenItEEEE10hipError_tPvRmT3_T4_T5_T6_T7_T9_mT8_P12ihipStream_tbDpT10_ENKUlT_T0_E_clISt17integral_constantIbLb1EES19_IbLb0EEEEDaS15_S16_EUlS15_E_NS1_11comp_targetILNS1_3genE0ELNS1_11target_archE4294967295ELNS1_3gpuE0ELNS1_3repE0EEENS1_30default_config_static_selectorELNS0_4arch9wavefront6targetE1EEEvT1_,"axG",@progbits,_ZN7rocprim17ROCPRIM_400000_NS6detail17trampoline_kernelINS0_14default_configENS1_25partition_config_selectorILNS1_17partition_subalgoE3EtNS0_10empty_typeEbEEZZNS1_14partition_implILS5_3ELb0ES3_jN6thrust23THRUST_200600_302600_NS6detail15normal_iteratorINSA_7pointerItNSA_11hip_rocprim3tagENSA_11use_defaultESG_EEEEPS6_SJ_NS0_5tupleIJPtSJ_EEENSK_IJSJ_SJ_EEES6_PlJ7is_evenItEEEE10hipError_tPvRmT3_T4_T5_T6_T7_T9_mT8_P12ihipStream_tbDpT10_ENKUlT_T0_E_clISt17integral_constantIbLb1EES19_IbLb0EEEEDaS15_S16_EUlS15_E_NS1_11comp_targetILNS1_3genE0ELNS1_11target_archE4294967295ELNS1_3gpuE0ELNS1_3repE0EEENS1_30default_config_static_selectorELNS0_4arch9wavefront6targetE1EEEvT1_,comdat
.Lfunc_end1172:
	.size	_ZN7rocprim17ROCPRIM_400000_NS6detail17trampoline_kernelINS0_14default_configENS1_25partition_config_selectorILNS1_17partition_subalgoE3EtNS0_10empty_typeEbEEZZNS1_14partition_implILS5_3ELb0ES3_jN6thrust23THRUST_200600_302600_NS6detail15normal_iteratorINSA_7pointerItNSA_11hip_rocprim3tagENSA_11use_defaultESG_EEEEPS6_SJ_NS0_5tupleIJPtSJ_EEENSK_IJSJ_SJ_EEES6_PlJ7is_evenItEEEE10hipError_tPvRmT3_T4_T5_T6_T7_T9_mT8_P12ihipStream_tbDpT10_ENKUlT_T0_E_clISt17integral_constantIbLb1EES19_IbLb0EEEEDaS15_S16_EUlS15_E_NS1_11comp_targetILNS1_3genE0ELNS1_11target_archE4294967295ELNS1_3gpuE0ELNS1_3repE0EEENS1_30default_config_static_selectorELNS0_4arch9wavefront6targetE1EEEvT1_, .Lfunc_end1172-_ZN7rocprim17ROCPRIM_400000_NS6detail17trampoline_kernelINS0_14default_configENS1_25partition_config_selectorILNS1_17partition_subalgoE3EtNS0_10empty_typeEbEEZZNS1_14partition_implILS5_3ELb0ES3_jN6thrust23THRUST_200600_302600_NS6detail15normal_iteratorINSA_7pointerItNSA_11hip_rocprim3tagENSA_11use_defaultESG_EEEEPS6_SJ_NS0_5tupleIJPtSJ_EEENSK_IJSJ_SJ_EEES6_PlJ7is_evenItEEEE10hipError_tPvRmT3_T4_T5_T6_T7_T9_mT8_P12ihipStream_tbDpT10_ENKUlT_T0_E_clISt17integral_constantIbLb1EES19_IbLb0EEEEDaS15_S16_EUlS15_E_NS1_11comp_targetILNS1_3genE0ELNS1_11target_archE4294967295ELNS1_3gpuE0ELNS1_3repE0EEENS1_30default_config_static_selectorELNS0_4arch9wavefront6targetE1EEEvT1_
                                        ; -- End function
	.section	.AMDGPU.csdata,"",@progbits
; Kernel info:
; codeLenInByte = 0
; NumSgprs: 4
; NumVgprs: 0
; NumAgprs: 0
; TotalNumVgprs: 0
; ScratchSize: 0
; MemoryBound: 0
; FloatMode: 240
; IeeeMode: 1
; LDSByteSize: 0 bytes/workgroup (compile time only)
; SGPRBlocks: 0
; VGPRBlocks: 0
; NumSGPRsForWavesPerEU: 4
; NumVGPRsForWavesPerEU: 1
; AccumOffset: 4
; Occupancy: 8
; WaveLimiterHint : 0
; COMPUTE_PGM_RSRC2:SCRATCH_EN: 0
; COMPUTE_PGM_RSRC2:USER_SGPR: 6
; COMPUTE_PGM_RSRC2:TRAP_HANDLER: 0
; COMPUTE_PGM_RSRC2:TGID_X_EN: 1
; COMPUTE_PGM_RSRC2:TGID_Y_EN: 0
; COMPUTE_PGM_RSRC2:TGID_Z_EN: 0
; COMPUTE_PGM_RSRC2:TIDIG_COMP_CNT: 0
; COMPUTE_PGM_RSRC3_GFX90A:ACCUM_OFFSET: 0
; COMPUTE_PGM_RSRC3_GFX90A:TG_SPLIT: 0
	.section	.text._ZN7rocprim17ROCPRIM_400000_NS6detail17trampoline_kernelINS0_14default_configENS1_25partition_config_selectorILNS1_17partition_subalgoE3EtNS0_10empty_typeEbEEZZNS1_14partition_implILS5_3ELb0ES3_jN6thrust23THRUST_200600_302600_NS6detail15normal_iteratorINSA_7pointerItNSA_11hip_rocprim3tagENSA_11use_defaultESG_EEEEPS6_SJ_NS0_5tupleIJPtSJ_EEENSK_IJSJ_SJ_EEES6_PlJ7is_evenItEEEE10hipError_tPvRmT3_T4_T5_T6_T7_T9_mT8_P12ihipStream_tbDpT10_ENKUlT_T0_E_clISt17integral_constantIbLb1EES19_IbLb0EEEEDaS15_S16_EUlS15_E_NS1_11comp_targetILNS1_3genE5ELNS1_11target_archE942ELNS1_3gpuE9ELNS1_3repE0EEENS1_30default_config_static_selectorELNS0_4arch9wavefront6targetE1EEEvT1_,"axG",@progbits,_ZN7rocprim17ROCPRIM_400000_NS6detail17trampoline_kernelINS0_14default_configENS1_25partition_config_selectorILNS1_17partition_subalgoE3EtNS0_10empty_typeEbEEZZNS1_14partition_implILS5_3ELb0ES3_jN6thrust23THRUST_200600_302600_NS6detail15normal_iteratorINSA_7pointerItNSA_11hip_rocprim3tagENSA_11use_defaultESG_EEEEPS6_SJ_NS0_5tupleIJPtSJ_EEENSK_IJSJ_SJ_EEES6_PlJ7is_evenItEEEE10hipError_tPvRmT3_T4_T5_T6_T7_T9_mT8_P12ihipStream_tbDpT10_ENKUlT_T0_E_clISt17integral_constantIbLb1EES19_IbLb0EEEEDaS15_S16_EUlS15_E_NS1_11comp_targetILNS1_3genE5ELNS1_11target_archE942ELNS1_3gpuE9ELNS1_3repE0EEENS1_30default_config_static_selectorELNS0_4arch9wavefront6targetE1EEEvT1_,comdat
	.protected	_ZN7rocprim17ROCPRIM_400000_NS6detail17trampoline_kernelINS0_14default_configENS1_25partition_config_selectorILNS1_17partition_subalgoE3EtNS0_10empty_typeEbEEZZNS1_14partition_implILS5_3ELb0ES3_jN6thrust23THRUST_200600_302600_NS6detail15normal_iteratorINSA_7pointerItNSA_11hip_rocprim3tagENSA_11use_defaultESG_EEEEPS6_SJ_NS0_5tupleIJPtSJ_EEENSK_IJSJ_SJ_EEES6_PlJ7is_evenItEEEE10hipError_tPvRmT3_T4_T5_T6_T7_T9_mT8_P12ihipStream_tbDpT10_ENKUlT_T0_E_clISt17integral_constantIbLb1EES19_IbLb0EEEEDaS15_S16_EUlS15_E_NS1_11comp_targetILNS1_3genE5ELNS1_11target_archE942ELNS1_3gpuE9ELNS1_3repE0EEENS1_30default_config_static_selectorELNS0_4arch9wavefront6targetE1EEEvT1_ ; -- Begin function _ZN7rocprim17ROCPRIM_400000_NS6detail17trampoline_kernelINS0_14default_configENS1_25partition_config_selectorILNS1_17partition_subalgoE3EtNS0_10empty_typeEbEEZZNS1_14partition_implILS5_3ELb0ES3_jN6thrust23THRUST_200600_302600_NS6detail15normal_iteratorINSA_7pointerItNSA_11hip_rocprim3tagENSA_11use_defaultESG_EEEEPS6_SJ_NS0_5tupleIJPtSJ_EEENSK_IJSJ_SJ_EEES6_PlJ7is_evenItEEEE10hipError_tPvRmT3_T4_T5_T6_T7_T9_mT8_P12ihipStream_tbDpT10_ENKUlT_T0_E_clISt17integral_constantIbLb1EES19_IbLb0EEEEDaS15_S16_EUlS15_E_NS1_11comp_targetILNS1_3genE5ELNS1_11target_archE942ELNS1_3gpuE9ELNS1_3repE0EEENS1_30default_config_static_selectorELNS0_4arch9wavefront6targetE1EEEvT1_
	.globl	_ZN7rocprim17ROCPRIM_400000_NS6detail17trampoline_kernelINS0_14default_configENS1_25partition_config_selectorILNS1_17partition_subalgoE3EtNS0_10empty_typeEbEEZZNS1_14partition_implILS5_3ELb0ES3_jN6thrust23THRUST_200600_302600_NS6detail15normal_iteratorINSA_7pointerItNSA_11hip_rocprim3tagENSA_11use_defaultESG_EEEEPS6_SJ_NS0_5tupleIJPtSJ_EEENSK_IJSJ_SJ_EEES6_PlJ7is_evenItEEEE10hipError_tPvRmT3_T4_T5_T6_T7_T9_mT8_P12ihipStream_tbDpT10_ENKUlT_T0_E_clISt17integral_constantIbLb1EES19_IbLb0EEEEDaS15_S16_EUlS15_E_NS1_11comp_targetILNS1_3genE5ELNS1_11target_archE942ELNS1_3gpuE9ELNS1_3repE0EEENS1_30default_config_static_selectorELNS0_4arch9wavefront6targetE1EEEvT1_
	.p2align	8
	.type	_ZN7rocprim17ROCPRIM_400000_NS6detail17trampoline_kernelINS0_14default_configENS1_25partition_config_selectorILNS1_17partition_subalgoE3EtNS0_10empty_typeEbEEZZNS1_14partition_implILS5_3ELb0ES3_jN6thrust23THRUST_200600_302600_NS6detail15normal_iteratorINSA_7pointerItNSA_11hip_rocprim3tagENSA_11use_defaultESG_EEEEPS6_SJ_NS0_5tupleIJPtSJ_EEENSK_IJSJ_SJ_EEES6_PlJ7is_evenItEEEE10hipError_tPvRmT3_T4_T5_T6_T7_T9_mT8_P12ihipStream_tbDpT10_ENKUlT_T0_E_clISt17integral_constantIbLb1EES19_IbLb0EEEEDaS15_S16_EUlS15_E_NS1_11comp_targetILNS1_3genE5ELNS1_11target_archE942ELNS1_3gpuE9ELNS1_3repE0EEENS1_30default_config_static_selectorELNS0_4arch9wavefront6targetE1EEEvT1_,@function
_ZN7rocprim17ROCPRIM_400000_NS6detail17trampoline_kernelINS0_14default_configENS1_25partition_config_selectorILNS1_17partition_subalgoE3EtNS0_10empty_typeEbEEZZNS1_14partition_implILS5_3ELb0ES3_jN6thrust23THRUST_200600_302600_NS6detail15normal_iteratorINSA_7pointerItNSA_11hip_rocprim3tagENSA_11use_defaultESG_EEEEPS6_SJ_NS0_5tupleIJPtSJ_EEENSK_IJSJ_SJ_EEES6_PlJ7is_evenItEEEE10hipError_tPvRmT3_T4_T5_T6_T7_T9_mT8_P12ihipStream_tbDpT10_ENKUlT_T0_E_clISt17integral_constantIbLb1EES19_IbLb0EEEEDaS15_S16_EUlS15_E_NS1_11comp_targetILNS1_3genE5ELNS1_11target_archE942ELNS1_3gpuE9ELNS1_3repE0EEENS1_30default_config_static_selectorELNS0_4arch9wavefront6targetE1EEEvT1_: ; @_ZN7rocprim17ROCPRIM_400000_NS6detail17trampoline_kernelINS0_14default_configENS1_25partition_config_selectorILNS1_17partition_subalgoE3EtNS0_10empty_typeEbEEZZNS1_14partition_implILS5_3ELb0ES3_jN6thrust23THRUST_200600_302600_NS6detail15normal_iteratorINSA_7pointerItNSA_11hip_rocprim3tagENSA_11use_defaultESG_EEEEPS6_SJ_NS0_5tupleIJPtSJ_EEENSK_IJSJ_SJ_EEES6_PlJ7is_evenItEEEE10hipError_tPvRmT3_T4_T5_T6_T7_T9_mT8_P12ihipStream_tbDpT10_ENKUlT_T0_E_clISt17integral_constantIbLb1EES19_IbLb0EEEEDaS15_S16_EUlS15_E_NS1_11comp_targetILNS1_3genE5ELNS1_11target_archE942ELNS1_3gpuE9ELNS1_3repE0EEENS1_30default_config_static_selectorELNS0_4arch9wavefront6targetE1EEEvT1_
; %bb.0:
	.section	.rodata,"a",@progbits
	.p2align	6, 0x0
	.amdhsa_kernel _ZN7rocprim17ROCPRIM_400000_NS6detail17trampoline_kernelINS0_14default_configENS1_25partition_config_selectorILNS1_17partition_subalgoE3EtNS0_10empty_typeEbEEZZNS1_14partition_implILS5_3ELb0ES3_jN6thrust23THRUST_200600_302600_NS6detail15normal_iteratorINSA_7pointerItNSA_11hip_rocprim3tagENSA_11use_defaultESG_EEEEPS6_SJ_NS0_5tupleIJPtSJ_EEENSK_IJSJ_SJ_EEES6_PlJ7is_evenItEEEE10hipError_tPvRmT3_T4_T5_T6_T7_T9_mT8_P12ihipStream_tbDpT10_ENKUlT_T0_E_clISt17integral_constantIbLb1EES19_IbLb0EEEEDaS15_S16_EUlS15_E_NS1_11comp_targetILNS1_3genE5ELNS1_11target_archE942ELNS1_3gpuE9ELNS1_3repE0EEENS1_30default_config_static_selectorELNS0_4arch9wavefront6targetE1EEEvT1_
		.amdhsa_group_segment_fixed_size 0
		.amdhsa_private_segment_fixed_size 0
		.amdhsa_kernarg_size 120
		.amdhsa_user_sgpr_count 6
		.amdhsa_user_sgpr_private_segment_buffer 1
		.amdhsa_user_sgpr_dispatch_ptr 0
		.amdhsa_user_sgpr_queue_ptr 0
		.amdhsa_user_sgpr_kernarg_segment_ptr 1
		.amdhsa_user_sgpr_dispatch_id 0
		.amdhsa_user_sgpr_flat_scratch_init 0
		.amdhsa_user_sgpr_kernarg_preload_length 0
		.amdhsa_user_sgpr_kernarg_preload_offset 0
		.amdhsa_user_sgpr_private_segment_size 0
		.amdhsa_uses_dynamic_stack 0
		.amdhsa_system_sgpr_private_segment_wavefront_offset 0
		.amdhsa_system_sgpr_workgroup_id_x 1
		.amdhsa_system_sgpr_workgroup_id_y 0
		.amdhsa_system_sgpr_workgroup_id_z 0
		.amdhsa_system_sgpr_workgroup_info 0
		.amdhsa_system_vgpr_workitem_id 0
		.amdhsa_next_free_vgpr 1
		.amdhsa_next_free_sgpr 0
		.amdhsa_accum_offset 4
		.amdhsa_reserve_vcc 0
		.amdhsa_reserve_flat_scratch 0
		.amdhsa_float_round_mode_32 0
		.amdhsa_float_round_mode_16_64 0
		.amdhsa_float_denorm_mode_32 3
		.amdhsa_float_denorm_mode_16_64 3
		.amdhsa_dx10_clamp 1
		.amdhsa_ieee_mode 1
		.amdhsa_fp16_overflow 0
		.amdhsa_tg_split 0
		.amdhsa_exception_fp_ieee_invalid_op 0
		.amdhsa_exception_fp_denorm_src 0
		.amdhsa_exception_fp_ieee_div_zero 0
		.amdhsa_exception_fp_ieee_overflow 0
		.amdhsa_exception_fp_ieee_underflow 0
		.amdhsa_exception_fp_ieee_inexact 0
		.amdhsa_exception_int_div_zero 0
	.end_amdhsa_kernel
	.section	.text._ZN7rocprim17ROCPRIM_400000_NS6detail17trampoline_kernelINS0_14default_configENS1_25partition_config_selectorILNS1_17partition_subalgoE3EtNS0_10empty_typeEbEEZZNS1_14partition_implILS5_3ELb0ES3_jN6thrust23THRUST_200600_302600_NS6detail15normal_iteratorINSA_7pointerItNSA_11hip_rocprim3tagENSA_11use_defaultESG_EEEEPS6_SJ_NS0_5tupleIJPtSJ_EEENSK_IJSJ_SJ_EEES6_PlJ7is_evenItEEEE10hipError_tPvRmT3_T4_T5_T6_T7_T9_mT8_P12ihipStream_tbDpT10_ENKUlT_T0_E_clISt17integral_constantIbLb1EES19_IbLb0EEEEDaS15_S16_EUlS15_E_NS1_11comp_targetILNS1_3genE5ELNS1_11target_archE942ELNS1_3gpuE9ELNS1_3repE0EEENS1_30default_config_static_selectorELNS0_4arch9wavefront6targetE1EEEvT1_,"axG",@progbits,_ZN7rocprim17ROCPRIM_400000_NS6detail17trampoline_kernelINS0_14default_configENS1_25partition_config_selectorILNS1_17partition_subalgoE3EtNS0_10empty_typeEbEEZZNS1_14partition_implILS5_3ELb0ES3_jN6thrust23THRUST_200600_302600_NS6detail15normal_iteratorINSA_7pointerItNSA_11hip_rocprim3tagENSA_11use_defaultESG_EEEEPS6_SJ_NS0_5tupleIJPtSJ_EEENSK_IJSJ_SJ_EEES6_PlJ7is_evenItEEEE10hipError_tPvRmT3_T4_T5_T6_T7_T9_mT8_P12ihipStream_tbDpT10_ENKUlT_T0_E_clISt17integral_constantIbLb1EES19_IbLb0EEEEDaS15_S16_EUlS15_E_NS1_11comp_targetILNS1_3genE5ELNS1_11target_archE942ELNS1_3gpuE9ELNS1_3repE0EEENS1_30default_config_static_selectorELNS0_4arch9wavefront6targetE1EEEvT1_,comdat
.Lfunc_end1173:
	.size	_ZN7rocprim17ROCPRIM_400000_NS6detail17trampoline_kernelINS0_14default_configENS1_25partition_config_selectorILNS1_17partition_subalgoE3EtNS0_10empty_typeEbEEZZNS1_14partition_implILS5_3ELb0ES3_jN6thrust23THRUST_200600_302600_NS6detail15normal_iteratorINSA_7pointerItNSA_11hip_rocprim3tagENSA_11use_defaultESG_EEEEPS6_SJ_NS0_5tupleIJPtSJ_EEENSK_IJSJ_SJ_EEES6_PlJ7is_evenItEEEE10hipError_tPvRmT3_T4_T5_T6_T7_T9_mT8_P12ihipStream_tbDpT10_ENKUlT_T0_E_clISt17integral_constantIbLb1EES19_IbLb0EEEEDaS15_S16_EUlS15_E_NS1_11comp_targetILNS1_3genE5ELNS1_11target_archE942ELNS1_3gpuE9ELNS1_3repE0EEENS1_30default_config_static_selectorELNS0_4arch9wavefront6targetE1EEEvT1_, .Lfunc_end1173-_ZN7rocprim17ROCPRIM_400000_NS6detail17trampoline_kernelINS0_14default_configENS1_25partition_config_selectorILNS1_17partition_subalgoE3EtNS0_10empty_typeEbEEZZNS1_14partition_implILS5_3ELb0ES3_jN6thrust23THRUST_200600_302600_NS6detail15normal_iteratorINSA_7pointerItNSA_11hip_rocprim3tagENSA_11use_defaultESG_EEEEPS6_SJ_NS0_5tupleIJPtSJ_EEENSK_IJSJ_SJ_EEES6_PlJ7is_evenItEEEE10hipError_tPvRmT3_T4_T5_T6_T7_T9_mT8_P12ihipStream_tbDpT10_ENKUlT_T0_E_clISt17integral_constantIbLb1EES19_IbLb0EEEEDaS15_S16_EUlS15_E_NS1_11comp_targetILNS1_3genE5ELNS1_11target_archE942ELNS1_3gpuE9ELNS1_3repE0EEENS1_30default_config_static_selectorELNS0_4arch9wavefront6targetE1EEEvT1_
                                        ; -- End function
	.section	.AMDGPU.csdata,"",@progbits
; Kernel info:
; codeLenInByte = 0
; NumSgprs: 4
; NumVgprs: 0
; NumAgprs: 0
; TotalNumVgprs: 0
; ScratchSize: 0
; MemoryBound: 0
; FloatMode: 240
; IeeeMode: 1
; LDSByteSize: 0 bytes/workgroup (compile time only)
; SGPRBlocks: 0
; VGPRBlocks: 0
; NumSGPRsForWavesPerEU: 4
; NumVGPRsForWavesPerEU: 1
; AccumOffset: 4
; Occupancy: 8
; WaveLimiterHint : 0
; COMPUTE_PGM_RSRC2:SCRATCH_EN: 0
; COMPUTE_PGM_RSRC2:USER_SGPR: 6
; COMPUTE_PGM_RSRC2:TRAP_HANDLER: 0
; COMPUTE_PGM_RSRC2:TGID_X_EN: 1
; COMPUTE_PGM_RSRC2:TGID_Y_EN: 0
; COMPUTE_PGM_RSRC2:TGID_Z_EN: 0
; COMPUTE_PGM_RSRC2:TIDIG_COMP_CNT: 0
; COMPUTE_PGM_RSRC3_GFX90A:ACCUM_OFFSET: 0
; COMPUTE_PGM_RSRC3_GFX90A:TG_SPLIT: 0
	.section	.text._ZN7rocprim17ROCPRIM_400000_NS6detail17trampoline_kernelINS0_14default_configENS1_25partition_config_selectorILNS1_17partition_subalgoE3EtNS0_10empty_typeEbEEZZNS1_14partition_implILS5_3ELb0ES3_jN6thrust23THRUST_200600_302600_NS6detail15normal_iteratorINSA_7pointerItNSA_11hip_rocprim3tagENSA_11use_defaultESG_EEEEPS6_SJ_NS0_5tupleIJPtSJ_EEENSK_IJSJ_SJ_EEES6_PlJ7is_evenItEEEE10hipError_tPvRmT3_T4_T5_T6_T7_T9_mT8_P12ihipStream_tbDpT10_ENKUlT_T0_E_clISt17integral_constantIbLb1EES19_IbLb0EEEEDaS15_S16_EUlS15_E_NS1_11comp_targetILNS1_3genE4ELNS1_11target_archE910ELNS1_3gpuE8ELNS1_3repE0EEENS1_30default_config_static_selectorELNS0_4arch9wavefront6targetE1EEEvT1_,"axG",@progbits,_ZN7rocprim17ROCPRIM_400000_NS6detail17trampoline_kernelINS0_14default_configENS1_25partition_config_selectorILNS1_17partition_subalgoE3EtNS0_10empty_typeEbEEZZNS1_14partition_implILS5_3ELb0ES3_jN6thrust23THRUST_200600_302600_NS6detail15normal_iteratorINSA_7pointerItNSA_11hip_rocprim3tagENSA_11use_defaultESG_EEEEPS6_SJ_NS0_5tupleIJPtSJ_EEENSK_IJSJ_SJ_EEES6_PlJ7is_evenItEEEE10hipError_tPvRmT3_T4_T5_T6_T7_T9_mT8_P12ihipStream_tbDpT10_ENKUlT_T0_E_clISt17integral_constantIbLb1EES19_IbLb0EEEEDaS15_S16_EUlS15_E_NS1_11comp_targetILNS1_3genE4ELNS1_11target_archE910ELNS1_3gpuE8ELNS1_3repE0EEENS1_30default_config_static_selectorELNS0_4arch9wavefront6targetE1EEEvT1_,comdat
	.protected	_ZN7rocprim17ROCPRIM_400000_NS6detail17trampoline_kernelINS0_14default_configENS1_25partition_config_selectorILNS1_17partition_subalgoE3EtNS0_10empty_typeEbEEZZNS1_14partition_implILS5_3ELb0ES3_jN6thrust23THRUST_200600_302600_NS6detail15normal_iteratorINSA_7pointerItNSA_11hip_rocprim3tagENSA_11use_defaultESG_EEEEPS6_SJ_NS0_5tupleIJPtSJ_EEENSK_IJSJ_SJ_EEES6_PlJ7is_evenItEEEE10hipError_tPvRmT3_T4_T5_T6_T7_T9_mT8_P12ihipStream_tbDpT10_ENKUlT_T0_E_clISt17integral_constantIbLb1EES19_IbLb0EEEEDaS15_S16_EUlS15_E_NS1_11comp_targetILNS1_3genE4ELNS1_11target_archE910ELNS1_3gpuE8ELNS1_3repE0EEENS1_30default_config_static_selectorELNS0_4arch9wavefront6targetE1EEEvT1_ ; -- Begin function _ZN7rocprim17ROCPRIM_400000_NS6detail17trampoline_kernelINS0_14default_configENS1_25partition_config_selectorILNS1_17partition_subalgoE3EtNS0_10empty_typeEbEEZZNS1_14partition_implILS5_3ELb0ES3_jN6thrust23THRUST_200600_302600_NS6detail15normal_iteratorINSA_7pointerItNSA_11hip_rocprim3tagENSA_11use_defaultESG_EEEEPS6_SJ_NS0_5tupleIJPtSJ_EEENSK_IJSJ_SJ_EEES6_PlJ7is_evenItEEEE10hipError_tPvRmT3_T4_T5_T6_T7_T9_mT8_P12ihipStream_tbDpT10_ENKUlT_T0_E_clISt17integral_constantIbLb1EES19_IbLb0EEEEDaS15_S16_EUlS15_E_NS1_11comp_targetILNS1_3genE4ELNS1_11target_archE910ELNS1_3gpuE8ELNS1_3repE0EEENS1_30default_config_static_selectorELNS0_4arch9wavefront6targetE1EEEvT1_
	.globl	_ZN7rocprim17ROCPRIM_400000_NS6detail17trampoline_kernelINS0_14default_configENS1_25partition_config_selectorILNS1_17partition_subalgoE3EtNS0_10empty_typeEbEEZZNS1_14partition_implILS5_3ELb0ES3_jN6thrust23THRUST_200600_302600_NS6detail15normal_iteratorINSA_7pointerItNSA_11hip_rocprim3tagENSA_11use_defaultESG_EEEEPS6_SJ_NS0_5tupleIJPtSJ_EEENSK_IJSJ_SJ_EEES6_PlJ7is_evenItEEEE10hipError_tPvRmT3_T4_T5_T6_T7_T9_mT8_P12ihipStream_tbDpT10_ENKUlT_T0_E_clISt17integral_constantIbLb1EES19_IbLb0EEEEDaS15_S16_EUlS15_E_NS1_11comp_targetILNS1_3genE4ELNS1_11target_archE910ELNS1_3gpuE8ELNS1_3repE0EEENS1_30default_config_static_selectorELNS0_4arch9wavefront6targetE1EEEvT1_
	.p2align	8
	.type	_ZN7rocprim17ROCPRIM_400000_NS6detail17trampoline_kernelINS0_14default_configENS1_25partition_config_selectorILNS1_17partition_subalgoE3EtNS0_10empty_typeEbEEZZNS1_14partition_implILS5_3ELb0ES3_jN6thrust23THRUST_200600_302600_NS6detail15normal_iteratorINSA_7pointerItNSA_11hip_rocprim3tagENSA_11use_defaultESG_EEEEPS6_SJ_NS0_5tupleIJPtSJ_EEENSK_IJSJ_SJ_EEES6_PlJ7is_evenItEEEE10hipError_tPvRmT3_T4_T5_T6_T7_T9_mT8_P12ihipStream_tbDpT10_ENKUlT_T0_E_clISt17integral_constantIbLb1EES19_IbLb0EEEEDaS15_S16_EUlS15_E_NS1_11comp_targetILNS1_3genE4ELNS1_11target_archE910ELNS1_3gpuE8ELNS1_3repE0EEENS1_30default_config_static_selectorELNS0_4arch9wavefront6targetE1EEEvT1_,@function
_ZN7rocprim17ROCPRIM_400000_NS6detail17trampoline_kernelINS0_14default_configENS1_25partition_config_selectorILNS1_17partition_subalgoE3EtNS0_10empty_typeEbEEZZNS1_14partition_implILS5_3ELb0ES3_jN6thrust23THRUST_200600_302600_NS6detail15normal_iteratorINSA_7pointerItNSA_11hip_rocprim3tagENSA_11use_defaultESG_EEEEPS6_SJ_NS0_5tupleIJPtSJ_EEENSK_IJSJ_SJ_EEES6_PlJ7is_evenItEEEE10hipError_tPvRmT3_T4_T5_T6_T7_T9_mT8_P12ihipStream_tbDpT10_ENKUlT_T0_E_clISt17integral_constantIbLb1EES19_IbLb0EEEEDaS15_S16_EUlS15_E_NS1_11comp_targetILNS1_3genE4ELNS1_11target_archE910ELNS1_3gpuE8ELNS1_3repE0EEENS1_30default_config_static_selectorELNS0_4arch9wavefront6targetE1EEEvT1_: ; @_ZN7rocprim17ROCPRIM_400000_NS6detail17trampoline_kernelINS0_14default_configENS1_25partition_config_selectorILNS1_17partition_subalgoE3EtNS0_10empty_typeEbEEZZNS1_14partition_implILS5_3ELb0ES3_jN6thrust23THRUST_200600_302600_NS6detail15normal_iteratorINSA_7pointerItNSA_11hip_rocprim3tagENSA_11use_defaultESG_EEEEPS6_SJ_NS0_5tupleIJPtSJ_EEENSK_IJSJ_SJ_EEES6_PlJ7is_evenItEEEE10hipError_tPvRmT3_T4_T5_T6_T7_T9_mT8_P12ihipStream_tbDpT10_ENKUlT_T0_E_clISt17integral_constantIbLb1EES19_IbLb0EEEEDaS15_S16_EUlS15_E_NS1_11comp_targetILNS1_3genE4ELNS1_11target_archE910ELNS1_3gpuE8ELNS1_3repE0EEENS1_30default_config_static_selectorELNS0_4arch9wavefront6targetE1EEEvT1_
; %bb.0:
	s_load_dwordx4 s[20:23], s[4:5], 0x8
	s_load_dwordx4 s[24:27], s[4:5], 0x48
	s_load_dwordx2 s[28:29], s[4:5], 0x58
	s_load_dword s2, s[4:5], 0x70
	s_mul_i32 s30, s6, 0x1400
	s_waitcnt lgkmcnt(0)
	s_lshl_b64 s[0:1], s[22:23], 1
	s_add_u32 s7, s20, s0
	s_addc_u32 s8, s21, s1
	s_mul_i32 s0, s2, 0x1400
	s_add_i32 s1, s0, s22
	s_sub_i32 s33, s28, s1
	s_add_i32 s3, s2, -1
	s_addk_i32 s33, 0x1400
	s_add_u32 s0, s22, s0
	s_addc_u32 s1, s23, 0
	s_cmp_eq_u32 s6, s3
	s_load_dwordx2 s[34:35], s[26:27], 0x0
	v_pk_mov_b32 v[2:3], s[28:29], s[28:29] op_sel:[0,1]
	s_cselect_b64 s[26:27], -1, 0
	s_cmp_lg_u32 s6, s3
	s_mov_b32 s31, 0
	v_cmp_lt_u64_e32 vcc, s[0:1], v[2:3]
	s_cselect_b64 s[0:1], -1, 0
	s_or_b64 s[2:3], s[0:1], vcc
	s_lshl_b64 s[0:1], s[30:31], 1
	s_add_u32 s7, s7, s0
	s_addc_u32 s10, s8, s1
	s_mov_b64 s[0:1], -1
	s_and_b64 vcc, exec, s[2:3]
	v_lshlrev_b32_e32 v1, 1, v0
	s_cbranch_vccz .LBB1174_2
; %bb.1:
	v_mov_b32_e32 v3, s10
	v_add_co_u32_e32 v2, vcc, s7, v1
	v_addc_co_u32_e32 v3, vcc, 0, v3, vcc
	v_add_co_u32_e32 v4, vcc, 0x1000, v2
	v_addc_co_u32_e32 v5, vcc, 0, v3, vcc
	flat_load_ushort v6, v[2:3]
	flat_load_ushort v7, v[2:3] offset:512
	flat_load_ushort v8, v[2:3] offset:1024
	;; [unrolled: 1-line block ×7, first 2 shown]
	v_add_co_u32_e32 v2, vcc, 0x2000, v2
	v_addc_co_u32_e32 v3, vcc, 0, v3, vcc
	flat_load_ushort v14, v[4:5]
	flat_load_ushort v15, v[4:5] offset:512
	flat_load_ushort v16, v[4:5] offset:1024
	;; [unrolled: 1-line block ×7, first 2 shown]
	s_nop 0
	flat_load_ushort v4, v[2:3]
	flat_load_ushort v5, v[2:3] offset:512
	flat_load_ushort v22, v[2:3] offset:1024
	;; [unrolled: 1-line block ×3, first 2 shown]
	s_mov_b64 s[0:1], 0
	s_waitcnt vmcnt(0) lgkmcnt(0)
	ds_write_b16 v1, v6
	ds_write_b16 v1, v7 offset:512
	ds_write_b16 v1, v8 offset:1024
	;; [unrolled: 1-line block ×19, first 2 shown]
	s_waitcnt lgkmcnt(0)
	s_barrier
.LBB1174_2:
	s_andn2_b64 vcc, exec, s[0:1]
	v_cmp_gt_u32_e64 s[0:1], s33, v0
	s_cbranch_vccnz .LBB1174_44
; %bb.3:
                                        ; implicit-def: $vgpr2
	s_and_saveexec_b64 s[8:9], s[0:1]
	s_cbranch_execz .LBB1174_5
; %bb.4:
	v_mov_b32_e32 v3, s10
	v_add_co_u32_e32 v2, vcc, s7, v1
	v_addc_co_u32_e32 v3, vcc, 0, v3, vcc
	flat_load_ushort v2, v[2:3]
.LBB1174_5:
	s_or_b64 exec, exec, s[8:9]
	v_or_b32_e32 v3, 0x100, v0
	v_cmp_gt_u32_e32 vcc, s33, v3
                                        ; implicit-def: $vgpr3
	s_and_saveexec_b64 s[0:1], vcc
	s_cbranch_execz .LBB1174_7
; %bb.6:
	v_mov_b32_e32 v3, s10
	v_add_co_u32_e32 v4, vcc, s7, v1
	v_addc_co_u32_e32 v5, vcc, 0, v3, vcc
	flat_load_ushort v3, v[4:5] offset:512
.LBB1174_7:
	s_or_b64 exec, exec, s[0:1]
	v_or_b32_e32 v4, 0x200, v0
	v_cmp_gt_u32_e32 vcc, s33, v4
                                        ; implicit-def: $vgpr4
	s_and_saveexec_b64 s[0:1], vcc
	s_cbranch_execz .LBB1174_9
; %bb.8:
	v_mov_b32_e32 v5, s10
	v_add_co_u32_e32 v4, vcc, s7, v1
	v_addc_co_u32_e32 v5, vcc, 0, v5, vcc
	flat_load_ushort v4, v[4:5] offset:1024
.LBB1174_9:
	s_or_b64 exec, exec, s[0:1]
	v_or_b32_e32 v5, 0x300, v0
	v_cmp_gt_u32_e32 vcc, s33, v5
                                        ; implicit-def: $vgpr5
	s_and_saveexec_b64 s[0:1], vcc
	s_cbranch_execz .LBB1174_11
; %bb.10:
	v_mov_b32_e32 v5, s10
	v_add_co_u32_e32 v6, vcc, s7, v1
	v_addc_co_u32_e32 v7, vcc, 0, v5, vcc
	flat_load_ushort v5, v[6:7] offset:1536
.LBB1174_11:
	s_or_b64 exec, exec, s[0:1]
	v_or_b32_e32 v6, 0x400, v0
	v_cmp_gt_u32_e32 vcc, s33, v6
                                        ; implicit-def: $vgpr6
	s_and_saveexec_b64 s[0:1], vcc
	s_cbranch_execz .LBB1174_13
; %bb.12:
	v_mov_b32_e32 v7, s10
	v_add_co_u32_e32 v6, vcc, s7, v1
	v_addc_co_u32_e32 v7, vcc, 0, v7, vcc
	flat_load_ushort v6, v[6:7] offset:2048
.LBB1174_13:
	s_or_b64 exec, exec, s[0:1]
	v_or_b32_e32 v7, 0x500, v0
	v_cmp_gt_u32_e32 vcc, s33, v7
                                        ; implicit-def: $vgpr7
	s_and_saveexec_b64 s[0:1], vcc
	s_cbranch_execz .LBB1174_15
; %bb.14:
	v_mov_b32_e32 v7, s10
	v_add_co_u32_e32 v8, vcc, s7, v1
	v_addc_co_u32_e32 v9, vcc, 0, v7, vcc
	flat_load_ushort v7, v[8:9] offset:2560
.LBB1174_15:
	s_or_b64 exec, exec, s[0:1]
	v_or_b32_e32 v8, 0x600, v0
	v_cmp_gt_u32_e32 vcc, s33, v8
                                        ; implicit-def: $vgpr8
	s_and_saveexec_b64 s[0:1], vcc
	s_cbranch_execz .LBB1174_17
; %bb.16:
	v_mov_b32_e32 v9, s10
	v_add_co_u32_e32 v8, vcc, s7, v1
	v_addc_co_u32_e32 v9, vcc, 0, v9, vcc
	flat_load_ushort v8, v[8:9] offset:3072
.LBB1174_17:
	s_or_b64 exec, exec, s[0:1]
	v_or_b32_e32 v9, 0x700, v0
	v_cmp_gt_u32_e32 vcc, s33, v9
                                        ; implicit-def: $vgpr9
	s_and_saveexec_b64 s[0:1], vcc
	s_cbranch_execz .LBB1174_19
; %bb.18:
	v_mov_b32_e32 v9, s10
	v_add_co_u32_e32 v10, vcc, s7, v1
	v_addc_co_u32_e32 v11, vcc, 0, v9, vcc
	flat_load_ushort v9, v[10:11] offset:3584
.LBB1174_19:
	s_or_b64 exec, exec, s[0:1]
	v_or_b32_e32 v11, 0x800, v0
	v_cmp_gt_u32_e32 vcc, s33, v11
                                        ; implicit-def: $vgpr10
	s_and_saveexec_b64 s[0:1], vcc
	s_cbranch_execz .LBB1174_21
; %bb.20:
	v_lshlrev_b32_e32 v10, 1, v11
	v_mov_b32_e32 v11, s10
	v_add_co_u32_e32 v10, vcc, s7, v10
	v_addc_co_u32_e32 v11, vcc, 0, v11, vcc
	flat_load_ushort v10, v[10:11]
.LBB1174_21:
	s_or_b64 exec, exec, s[0:1]
	v_or_b32_e32 v12, 0x900, v0
	v_cmp_gt_u32_e32 vcc, s33, v12
                                        ; implicit-def: $vgpr11
	s_and_saveexec_b64 s[0:1], vcc
	s_cbranch_execz .LBB1174_23
; %bb.22:
	v_lshlrev_b32_e32 v11, 1, v12
	v_mov_b32_e32 v13, s10
	v_add_co_u32_e32 v12, vcc, s7, v11
	v_addc_co_u32_e32 v13, vcc, 0, v13, vcc
	flat_load_ushort v11, v[12:13]
.LBB1174_23:
	s_or_b64 exec, exec, s[0:1]
	v_or_b32_e32 v13, 0xa00, v0
	v_cmp_gt_u32_e32 vcc, s33, v13
                                        ; implicit-def: $vgpr12
	s_and_saveexec_b64 s[0:1], vcc
	s_cbranch_execz .LBB1174_25
; %bb.24:
	v_lshlrev_b32_e32 v12, 1, v13
	v_mov_b32_e32 v13, s10
	v_add_co_u32_e32 v12, vcc, s7, v12
	v_addc_co_u32_e32 v13, vcc, 0, v13, vcc
	flat_load_ushort v12, v[12:13]
.LBB1174_25:
	s_or_b64 exec, exec, s[0:1]
	v_or_b32_e32 v14, 0xb00, v0
	v_cmp_gt_u32_e32 vcc, s33, v14
                                        ; implicit-def: $vgpr13
	s_and_saveexec_b64 s[0:1], vcc
	s_cbranch_execz .LBB1174_27
; %bb.26:
	v_lshlrev_b32_e32 v13, 1, v14
	v_mov_b32_e32 v15, s10
	v_add_co_u32_e32 v14, vcc, s7, v13
	v_addc_co_u32_e32 v15, vcc, 0, v15, vcc
	flat_load_ushort v13, v[14:15]
.LBB1174_27:
	s_or_b64 exec, exec, s[0:1]
	v_or_b32_e32 v15, 0xc00, v0
	v_cmp_gt_u32_e32 vcc, s33, v15
                                        ; implicit-def: $vgpr14
	s_and_saveexec_b64 s[0:1], vcc
	s_cbranch_execz .LBB1174_29
; %bb.28:
	v_lshlrev_b32_e32 v14, 1, v15
	v_mov_b32_e32 v15, s10
	v_add_co_u32_e32 v14, vcc, s7, v14
	v_addc_co_u32_e32 v15, vcc, 0, v15, vcc
	flat_load_ushort v14, v[14:15]
.LBB1174_29:
	s_or_b64 exec, exec, s[0:1]
	v_or_b32_e32 v16, 0xd00, v0
	v_cmp_gt_u32_e32 vcc, s33, v16
                                        ; implicit-def: $vgpr15
	s_and_saveexec_b64 s[0:1], vcc
	s_cbranch_execz .LBB1174_31
; %bb.30:
	v_lshlrev_b32_e32 v15, 1, v16
	v_mov_b32_e32 v17, s10
	v_add_co_u32_e32 v16, vcc, s7, v15
	v_addc_co_u32_e32 v17, vcc, 0, v17, vcc
	flat_load_ushort v15, v[16:17]
.LBB1174_31:
	s_or_b64 exec, exec, s[0:1]
	v_or_b32_e32 v17, 0xe00, v0
	v_cmp_gt_u32_e32 vcc, s33, v17
                                        ; implicit-def: $vgpr16
	s_and_saveexec_b64 s[0:1], vcc
	s_cbranch_execz .LBB1174_33
; %bb.32:
	v_lshlrev_b32_e32 v16, 1, v17
	v_mov_b32_e32 v17, s10
	v_add_co_u32_e32 v16, vcc, s7, v16
	v_addc_co_u32_e32 v17, vcc, 0, v17, vcc
	flat_load_ushort v16, v[16:17]
.LBB1174_33:
	s_or_b64 exec, exec, s[0:1]
	v_or_b32_e32 v18, 0xf00, v0
	v_cmp_gt_u32_e32 vcc, s33, v18
                                        ; implicit-def: $vgpr17
	s_and_saveexec_b64 s[0:1], vcc
	s_cbranch_execz .LBB1174_35
; %bb.34:
	v_lshlrev_b32_e32 v17, 1, v18
	v_mov_b32_e32 v19, s10
	v_add_co_u32_e32 v18, vcc, s7, v17
	v_addc_co_u32_e32 v19, vcc, 0, v19, vcc
	flat_load_ushort v17, v[18:19]
.LBB1174_35:
	s_or_b64 exec, exec, s[0:1]
	v_or_b32_e32 v19, 0x1000, v0
	v_cmp_gt_u32_e32 vcc, s33, v19
                                        ; implicit-def: $vgpr18
	s_and_saveexec_b64 s[0:1], vcc
	s_cbranch_execz .LBB1174_37
; %bb.36:
	v_lshlrev_b32_e32 v18, 1, v19
	v_mov_b32_e32 v19, s10
	v_add_co_u32_e32 v18, vcc, s7, v18
	v_addc_co_u32_e32 v19, vcc, 0, v19, vcc
	flat_load_ushort v18, v[18:19]
.LBB1174_37:
	s_or_b64 exec, exec, s[0:1]
	v_or_b32_e32 v20, 0x1100, v0
	v_cmp_gt_u32_e32 vcc, s33, v20
                                        ; implicit-def: $vgpr19
	s_and_saveexec_b64 s[0:1], vcc
	s_cbranch_execz .LBB1174_39
; %bb.38:
	v_lshlrev_b32_e32 v19, 1, v20
	v_mov_b32_e32 v21, s10
	v_add_co_u32_e32 v20, vcc, s7, v19
	v_addc_co_u32_e32 v21, vcc, 0, v21, vcc
	flat_load_ushort v19, v[20:21]
.LBB1174_39:
	s_or_b64 exec, exec, s[0:1]
	v_or_b32_e32 v21, 0x1200, v0
	v_cmp_gt_u32_e32 vcc, s33, v21
                                        ; implicit-def: $vgpr20
	s_and_saveexec_b64 s[0:1], vcc
	s_cbranch_execz .LBB1174_41
; %bb.40:
	v_lshlrev_b32_e32 v20, 1, v21
	v_mov_b32_e32 v21, s10
	v_add_co_u32_e32 v20, vcc, s7, v20
	v_addc_co_u32_e32 v21, vcc, 0, v21, vcc
	flat_load_ushort v20, v[20:21]
.LBB1174_41:
	s_or_b64 exec, exec, s[0:1]
	v_or_b32_e32 v22, 0x1300, v0
	v_cmp_gt_u32_e32 vcc, s33, v22
                                        ; implicit-def: $vgpr21
	s_and_saveexec_b64 s[0:1], vcc
	s_cbranch_execz .LBB1174_43
; %bb.42:
	v_lshlrev_b32_e32 v21, 1, v22
	v_mov_b32_e32 v23, s10
	v_add_co_u32_e32 v22, vcc, s7, v21
	v_addc_co_u32_e32 v23, vcc, 0, v23, vcc
	flat_load_ushort v21, v[22:23]
.LBB1174_43:
	s_or_b64 exec, exec, s[0:1]
	s_waitcnt vmcnt(0) lgkmcnt(0)
	ds_write_b16 v1, v2
	ds_write_b16 v1, v3 offset:512
	ds_write_b16 v1, v4 offset:1024
	;; [unrolled: 1-line block ×19, first 2 shown]
	s_waitcnt lgkmcnt(0)
	s_barrier
.LBB1174_44:
	v_mul_u32_u24_e32 v31, 20, v0
	v_lshlrev_b32_e32 v6, 1, v31
	s_waitcnt lgkmcnt(0)
	ds_read_b64 v[12:13], v6 offset:32
	ds_read2_b64 v[2:5], v6 offset0:2 offset1:3
	ds_read2_b64 v[6:9], v6 offset1:1
	v_cndmask_b32_e64 v10, 0, 1, s[2:3]
	v_cmp_ne_u32_e64 s[0:1], 1, v10
	s_waitcnt lgkmcnt(2)
	v_lshrrev_b32_e32 v23, 16, v12
	v_lshrrev_b32_e32 v22, 16, v13
	s_waitcnt lgkmcnt(1)
	v_lshrrev_b32_e32 v27, 16, v2
	v_lshrrev_b32_e32 v26, 16, v3
	;; [unrolled: 1-line block ×4, first 2 shown]
	s_waitcnt lgkmcnt(0)
	v_lshrrev_b32_e32 v32, 16, v6
	v_lshrrev_b32_e32 v30, 16, v7
	;; [unrolled: 1-line block ×4, first 2 shown]
	s_andn2_b64 vcc, exec, s[2:3]
	v_xor_b32_e32 v62, -1, v6
	v_xor_b32_e32 v61, -1, v32
	;; [unrolled: 1-line block ×20, first 2 shown]
	s_barrier
	s_cbranch_vccnz .LBB1174_46
; %bb.45:
	v_and_b32_e32 v52, 1, v62
	v_and_b32_e32 v51, 1, v61
	;; [unrolled: 1-line block ×20, first 2 shown]
	s_load_dwordx2 s[36:37], s[4:5], 0x68
	s_cbranch_execz .LBB1174_47
	s_branch .LBB1174_48
.LBB1174_46:
                                        ; implicit-def: $vgpr52
                                        ; implicit-def: $vgpr51
                                        ; implicit-def: $vgpr50
                                        ; implicit-def: $vgpr49
                                        ; implicit-def: $vgpr48
                                        ; implicit-def: $vgpr47
                                        ; implicit-def: $vgpr46
                                        ; implicit-def: $vgpr45
                                        ; implicit-def: $vgpr44
                                        ; implicit-def: $vgpr43
                                        ; implicit-def: $vgpr42
                                        ; implicit-def: $vgpr41
                                        ; implicit-def: $vgpr40
                                        ; implicit-def: $vgpr39
                                        ; implicit-def: $vgpr38
                                        ; implicit-def: $vgpr37
                                        ; implicit-def: $vgpr36
                                        ; implicit-def: $vgpr35
                                        ; implicit-def: $vgpr33
                                        ; implicit-def: $vgpr34
	s_load_dwordx2 s[36:37], s[4:5], 0x68
.LBB1174_47:
	v_or_b32_e32 v42, 1, v31
	v_cmp_gt_u32_e32 vcc, s33, v31
	v_or_b32_e32 v43, 2, v31
	v_cndmask_b32_e64 v47, 0, 1, vcc
	v_cmp_gt_u32_e32 vcc, s33, v42
	v_or_b32_e32 v44, 3, v31
	v_cndmask_b32_e64 v42, 0, 1, vcc
	v_cmp_gt_u32_e32 vcc, s33, v43
	v_add_u32_e32 v45, 4, v31
	v_and_b32_e32 v51, v42, v61
	v_cndmask_b32_e64 v42, 0, 1, vcc
	v_cmp_gt_u32_e32 vcc, s33, v44
	v_add_u32_e32 v46, 5, v31
	v_and_b32_e32 v50, v42, v60
	;; [unrolled: 4-line block ×5, first 2 shown]
	v_and_b32_e32 v47, v42, v57
	v_cndmask_b32_e64 v42, 0, 1, vcc
	v_cmp_gt_u32_e32 vcc, s33, v64
	v_add_u32_e32 v66, 9, v31
	v_and_b32_e32 v46, v42, v56
	v_cndmask_b32_e64 v42, 0, 1, vcc
	v_cmp_gt_u32_e32 vcc, s33, v65
	v_add_u32_e32 v67, 10, v31
	;; [unrolled: 4-line block ×11, first 2 shown]
	v_and_b32_e32 v36, v16, v15
	v_cndmask_b32_e64 v15, 0, 1, vcc
	v_cmp_gt_u32_e32 vcc, s33, v33
	v_and_b32_e32 v35, v15, v14
	v_cndmask_b32_e64 v14, 0, 1, vcc
	v_cmp_gt_u32_e32 vcc, s33, v34
	v_and_b32_e32 v33, v14, v11
	v_cndmask_b32_e64 v11, 0, 1, vcc
	v_and_b32_e32 v34, v11, v10
.LBB1174_48:
	v_and_b32_e32 v69, 0xff, v36
	v_and_b32_e32 v70, 0xff, v35
	v_add_u32_sdwa v10, v33, v34 dst_sel:DWORD dst_unused:UNUSED_PAD src0_sel:BYTE_0 src1_sel:BYTE_0
	v_and_b32_e32 v67, 0xff, v38
	v_and_b32_e32 v68, 0xff, v37
	v_add3_u32 v10, v10, v70, v69
	v_and_b32_e32 v65, 0xff, v40
	v_and_b32_e32 v66, 0xff, v39
	v_add3_u32 v10, v10, v68, v67
	;; [unrolled: 3-line block ×8, first 2 shown]
	v_add3_u32 v73, v10, v54, v53
	v_mbcnt_lo_u32_b32 v10, -1, 0
	v_mbcnt_hi_u32_b32 v71, -1, v10
	v_and_b32_e32 v10, 15, v71
	v_cmp_eq_u32_e64 s[16:17], 0, v10
	v_cmp_lt_u32_e64 s[14:15], 1, v10
	v_cmp_lt_u32_e64 s[12:13], 3, v10
	;; [unrolled: 1-line block ×3, first 2 shown]
	v_and_b32_e32 v10, 16, v71
	v_cmp_eq_u32_e64 s[8:9], 0, v10
	v_or_b32_e32 v10, 63, v0
	s_cmp_lg_u32 s6, 0
	v_cmp_lt_u32_e64 s[2:3], 31, v71
	v_lshrrev_b32_e32 v72, 6, v0
	v_cmp_eq_u32_e64 s[20:21], v10, v0
	s_cbranch_scc0 .LBB1174_79
; %bb.49:
	v_mov_b32_dpp v10, v73 row_shr:1 row_mask:0xf bank_mask:0xf
	v_cndmask_b32_e64 v10, v10, 0, s[16:17]
	v_add_u32_e32 v10, v10, v73
	s_nop 1
	v_mov_b32_dpp v11, v10 row_shr:2 row_mask:0xf bank_mask:0xf
	v_cndmask_b32_e64 v11, 0, v11, s[14:15]
	v_add_u32_e32 v10, v10, v11
	s_nop 1
	;; [unrolled: 4-line block ×4, first 2 shown]
	v_mov_b32_dpp v11, v10 row_bcast:15 row_mask:0xf bank_mask:0xf
	v_cndmask_b32_e64 v11, v11, 0, s[8:9]
	v_add_u32_e32 v10, v10, v11
	s_nop 1
	v_mov_b32_dpp v11, v10 row_bcast:31 row_mask:0xf bank_mask:0xf
	v_cndmask_b32_e64 v11, 0, v11, s[2:3]
	v_add_u32_e32 v10, v10, v11
	s_and_saveexec_b64 s[18:19], s[20:21]
	s_cbranch_execz .LBB1174_51
; %bb.50:
	v_lshlrev_b32_e32 v11, 2, v72
	ds_write_b32 v11, v10
.LBB1174_51:
	s_or_b64 exec, exec, s[18:19]
	v_cmp_gt_u32_e32 vcc, 4, v0
	s_waitcnt lgkmcnt(0)
	s_barrier
	s_and_saveexec_b64 s[18:19], vcc
	s_cbranch_execz .LBB1174_53
; %bb.52:
	v_lshlrev_b32_e32 v11, 2, v0
	ds_read_b32 v14, v11
	v_and_b32_e32 v15, 3, v71
	v_cmp_ne_u32_e32 vcc, 0, v15
	s_waitcnt lgkmcnt(0)
	v_mov_b32_dpp v16, v14 row_shr:1 row_mask:0xf bank_mask:0xf
	v_cndmask_b32_e32 v16, 0, v16, vcc
	v_add_u32_e32 v14, v16, v14
	v_cmp_lt_u32_e32 vcc, 1, v15
	s_nop 0
	v_mov_b32_dpp v16, v14 row_shr:2 row_mask:0xf bank_mask:0xf
	v_cndmask_b32_e32 v15, 0, v16, vcc
	v_add_u32_e32 v14, v14, v15
	ds_write_b32 v11, v14
.LBB1174_53:
	s_or_b64 exec, exec, s[18:19]
	v_cmp_gt_u32_e32 vcc, 64, v0
	v_cmp_lt_u32_e64 s[18:19], 63, v0
	s_waitcnt lgkmcnt(0)
	s_barrier
	s_waitcnt lgkmcnt(0)
                                        ; implicit-def: $vgpr74
	s_and_saveexec_b64 s[38:39], s[18:19]
	s_cbranch_execz .LBB1174_55
; %bb.54:
	v_lshl_add_u32 v11, v72, 2, -4
	ds_read_b32 v74, v11
	s_waitcnt lgkmcnt(0)
	v_add_u32_e32 v10, v74, v10
.LBB1174_55:
	s_or_b64 exec, exec, s[38:39]
	v_add_u32_e32 v11, -1, v71
	v_and_b32_e32 v14, 64, v71
	v_cmp_lt_i32_e64 s[18:19], v11, v14
	v_cndmask_b32_e64 v11, v11, v71, s[18:19]
	v_lshlrev_b32_e32 v11, 2, v11
	ds_bpermute_b32 v75, v11, v10
	v_cmp_eq_u32_e64 s[18:19], 0, v71
	s_and_saveexec_b64 s[38:39], vcc
	s_cbranch_execz .LBB1174_78
; %bb.56:
	v_mov_b32_e32 v21, 0
	ds_read_b32 v10, v21 offset:12
	s_and_saveexec_b64 s[40:41], s[18:19]
	s_cbranch_execz .LBB1174_58
; %bb.57:
	s_add_i32 s42, s6, 64
	s_mov_b32 s43, 0
	s_lshl_b64 s[42:43], s[42:43], 3
	s_add_u32 s42, s36, s42
	v_mov_b32_e32 v11, 1
	s_addc_u32 s43, s37, s43
	s_waitcnt lgkmcnt(0)
	global_store_dwordx2 v21, v[10:11], s[42:43]
.LBB1174_58:
	s_or_b64 exec, exec, s[40:41]
	v_xad_u32 v14, v71, -1, s6
	v_add_u32_e32 v20, 64, v14
	v_lshlrev_b64 v[16:17], 3, v[20:21]
	v_mov_b32_e32 v11, s37
	v_add_co_u32_e32 v16, vcc, s36, v16
	v_addc_co_u32_e32 v17, vcc, v11, v17, vcc
	global_load_dwordx2 v[18:19], v[16:17], off glc
	s_waitcnt vmcnt(0)
	v_cmp_eq_u16_sdwa s[42:43], v19, v21 src0_sel:BYTE_0 src1_sel:DWORD
	s_and_saveexec_b64 s[40:41], s[42:43]
	s_cbranch_execz .LBB1174_64
; %bb.59:
	s_mov_b32 s7, 1
	s_mov_b64 s[42:43], 0
	v_mov_b32_e32 v11, 0
.LBB1174_60:                            ; =>This Loop Header: Depth=1
                                        ;     Child Loop BB1174_61 Depth 2
	s_max_u32 s31, s7, 1
.LBB1174_61:                            ;   Parent Loop BB1174_60 Depth=1
                                        ; =>  This Inner Loop Header: Depth=2
	s_add_i32 s31, s31, -1
	s_cmp_eq_u32 s31, 0
	s_sleep 1
	s_cbranch_scc0 .LBB1174_61
; %bb.62:                               ;   in Loop: Header=BB1174_60 Depth=1
	global_load_dwordx2 v[18:19], v[16:17], off glc
	s_cmp_lt_u32 s7, 32
	s_cselect_b64 s[44:45], -1, 0
	s_cmp_lg_u64 s[44:45], 0
	s_addc_u32 s7, s7, 0
	s_waitcnt vmcnt(0)
	v_cmp_ne_u16_sdwa s[44:45], v19, v11 src0_sel:BYTE_0 src1_sel:DWORD
	s_or_b64 s[42:43], s[44:45], s[42:43]
	s_andn2_b64 exec, exec, s[42:43]
	s_cbranch_execnz .LBB1174_60
; %bb.63:
	s_or_b64 exec, exec, s[42:43]
.LBB1174_64:
	s_or_b64 exec, exec, s[40:41]
	v_and_b32_e32 v77, 63, v71
	v_mov_b32_e32 v76, 2
	v_cmp_ne_u32_e32 vcc, 63, v77
	v_cmp_eq_u16_sdwa s[40:41], v19, v76 src0_sel:BYTE_0 src1_sel:DWORD
	v_lshlrev_b64 v[16:17], v71, -1
	v_addc_co_u32_e32 v20, vcc, 0, v71, vcc
	v_and_b32_e32 v11, s41, v17
	v_lshlrev_b32_e32 v78, 2, v20
	v_or_b32_e32 v11, 0x80000000, v11
	ds_bpermute_b32 v20, v78, v18
	v_and_b32_e32 v15, s40, v16
	v_ffbl_b32_e32 v11, v11
	v_add_u32_e32 v11, 32, v11
	v_ffbl_b32_e32 v15, v15
	v_min_u32_e32 v11, v15, v11
	v_cmp_lt_u32_e32 vcc, v77, v11
	s_waitcnt lgkmcnt(0)
	v_cndmask_b32_e32 v15, 0, v20, vcc
	v_cmp_gt_u32_e32 vcc, 62, v77
	v_add_u32_e32 v15, v15, v18
	v_cndmask_b32_e64 v18, 0, 1, vcc
	v_lshlrev_b32_e32 v18, 1, v18
	v_add_lshl_u32 v79, v18, v71, 2
	ds_bpermute_b32 v18, v79, v15
	v_add_u32_e32 v80, 2, v77
	v_cmp_le_u32_e32 vcc, v80, v11
	v_add_u32_e32 v82, 4, v77
	v_add_u32_e32 v84, 8, v77
	s_waitcnt lgkmcnt(0)
	v_cndmask_b32_e32 v18, 0, v18, vcc
	v_cmp_gt_u32_e32 vcc, 60, v77
	v_add_u32_e32 v15, v15, v18
	v_cndmask_b32_e64 v18, 0, 1, vcc
	v_lshlrev_b32_e32 v18, 2, v18
	v_add_lshl_u32 v81, v18, v71, 2
	ds_bpermute_b32 v18, v81, v15
	v_cmp_le_u32_e32 vcc, v82, v11
	v_add_u32_e32 v86, 16, v77
	v_add_u32_e32 v88, 32, v77
	s_waitcnt lgkmcnt(0)
	v_cndmask_b32_e32 v18, 0, v18, vcc
	v_cmp_gt_u32_e32 vcc, 56, v77
	v_add_u32_e32 v15, v15, v18
	v_cndmask_b32_e64 v18, 0, 1, vcc
	v_lshlrev_b32_e32 v18, 3, v18
	v_add_lshl_u32 v83, v18, v71, 2
	ds_bpermute_b32 v18, v83, v15
	v_cmp_le_u32_e32 vcc, v84, v11
	s_waitcnt lgkmcnt(0)
	v_cndmask_b32_e32 v18, 0, v18, vcc
	v_cmp_gt_u32_e32 vcc, 48, v77
	v_add_u32_e32 v15, v15, v18
	v_cndmask_b32_e64 v18, 0, 1, vcc
	v_lshlrev_b32_e32 v18, 4, v18
	v_add_lshl_u32 v85, v18, v71, 2
	ds_bpermute_b32 v18, v85, v15
	v_cmp_le_u32_e32 vcc, v86, v11
	;; [unrolled: 9-line block ×3, first 2 shown]
	s_waitcnt lgkmcnt(0)
	v_cndmask_b32_e32 v11, 0, v18, vcc
	v_add_u32_e32 v18, v15, v11
	v_mov_b32_e32 v15, 0
	s_branch .LBB1174_66
.LBB1174_65:                            ;   in Loop: Header=BB1174_66 Depth=1
	s_or_b64 exec, exec, s[40:41]
	v_cmp_eq_u16_sdwa s[40:41], v19, v76 src0_sel:BYTE_0 src1_sel:DWORD
	v_and_b32_e32 v20, s41, v17
	v_or_b32_e32 v20, 0x80000000, v20
	ds_bpermute_b32 v89, v78, v18
	v_and_b32_e32 v21, s40, v16
	v_ffbl_b32_e32 v20, v20
	v_add_u32_e32 v20, 32, v20
	v_ffbl_b32_e32 v21, v21
	v_min_u32_e32 v20, v21, v20
	v_cmp_lt_u32_e32 vcc, v77, v20
	s_waitcnt lgkmcnt(0)
	v_cndmask_b32_e32 v21, 0, v89, vcc
	v_add_u32_e32 v18, v21, v18
	ds_bpermute_b32 v21, v79, v18
	v_cmp_le_u32_e32 vcc, v80, v20
	v_subrev_u32_e32 v14, 64, v14
	s_waitcnt lgkmcnt(0)
	v_cndmask_b32_e32 v21, 0, v21, vcc
	v_add_u32_e32 v18, v18, v21
	ds_bpermute_b32 v21, v81, v18
	v_cmp_le_u32_e32 vcc, v82, v20
	s_waitcnt lgkmcnt(0)
	v_cndmask_b32_e32 v21, 0, v21, vcc
	v_add_u32_e32 v18, v18, v21
	ds_bpermute_b32 v21, v83, v18
	v_cmp_le_u32_e32 vcc, v84, v20
	;; [unrolled: 5-line block ×4, first 2 shown]
	s_waitcnt lgkmcnt(0)
	v_cndmask_b32_e32 v20, 0, v21, vcc
	v_add3_u32 v18, v20, v11, v18
.LBB1174_66:                            ; =>This Loop Header: Depth=1
                                        ;     Child Loop BB1174_69 Depth 2
                                        ;       Child Loop BB1174_70 Depth 3
	v_cmp_ne_u16_sdwa s[40:41], v19, v76 src0_sel:BYTE_0 src1_sel:DWORD
	v_cndmask_b32_e64 v11, 0, 1, s[40:41]
	;;#ASMSTART
	;;#ASMEND
	v_cmp_ne_u32_e32 vcc, 0, v11
	s_cmp_lg_u64 vcc, exec
	v_mov_b32_e32 v11, v18
	s_cbranch_scc1 .LBB1174_73
; %bb.67:                               ;   in Loop: Header=BB1174_66 Depth=1
	v_lshlrev_b64 v[18:19], 3, v[14:15]
	v_mov_b32_e32 v21, s37
	v_add_co_u32_e32 v20, vcc, s36, v18
	v_addc_co_u32_e32 v21, vcc, v21, v19, vcc
	global_load_dwordx2 v[18:19], v[20:21], off glc
	s_waitcnt vmcnt(0)
	v_cmp_eq_u16_sdwa s[42:43], v19, v15 src0_sel:BYTE_0 src1_sel:DWORD
	s_and_saveexec_b64 s[40:41], s[42:43]
	s_cbranch_execz .LBB1174_65
; %bb.68:                               ;   in Loop: Header=BB1174_66 Depth=1
	s_mov_b32 s7, 1
	s_mov_b64 s[42:43], 0
.LBB1174_69:                            ;   Parent Loop BB1174_66 Depth=1
                                        ; =>  This Loop Header: Depth=2
                                        ;       Child Loop BB1174_70 Depth 3
	s_max_u32 s31, s7, 1
.LBB1174_70:                            ;   Parent Loop BB1174_66 Depth=1
                                        ;     Parent Loop BB1174_69 Depth=2
                                        ; =>    This Inner Loop Header: Depth=3
	s_add_i32 s31, s31, -1
	s_cmp_eq_u32 s31, 0
	s_sleep 1
	s_cbranch_scc0 .LBB1174_70
; %bb.71:                               ;   in Loop: Header=BB1174_69 Depth=2
	global_load_dwordx2 v[18:19], v[20:21], off glc
	s_cmp_lt_u32 s7, 32
	s_cselect_b64 s[44:45], -1, 0
	s_cmp_lg_u64 s[44:45], 0
	s_addc_u32 s7, s7, 0
	s_waitcnt vmcnt(0)
	v_cmp_ne_u16_sdwa s[44:45], v19, v15 src0_sel:BYTE_0 src1_sel:DWORD
	s_or_b64 s[42:43], s[44:45], s[42:43]
	s_andn2_b64 exec, exec, s[42:43]
	s_cbranch_execnz .LBB1174_69
; %bb.72:                               ;   in Loop: Header=BB1174_66 Depth=1
	s_or_b64 exec, exec, s[42:43]
	s_branch .LBB1174_65
.LBB1174_73:                            ;   in Loop: Header=BB1174_66 Depth=1
                                        ; implicit-def: $vgpr18
                                        ; implicit-def: $vgpr19
	s_cbranch_execz .LBB1174_66
; %bb.74:
	s_and_saveexec_b64 s[40:41], s[18:19]
	s_cbranch_execz .LBB1174_76
; %bb.75:
	s_add_i32 s6, s6, 64
	s_mov_b32 s7, 0
	s_lshl_b64 s[6:7], s[6:7], 3
	s_add_u32 s6, s36, s6
	v_add_u32_e32 v14, v11, v10
	v_mov_b32_e32 v15, 2
	s_addc_u32 s7, s37, s7
	v_mov_b32_e32 v16, 0
	global_store_dwordx2 v16, v[14:15], s[6:7]
	ds_write_b64 v16, v[10:11] offset:10240
.LBB1174_76:
	s_or_b64 exec, exec, s[40:41]
	v_cmp_eq_u32_e32 vcc, 0, v0
	s_and_b64 exec, exec, vcc
	s_cbranch_execz .LBB1174_78
; %bb.77:
	v_mov_b32_e32 v10, 0
	ds_write_b32 v10, v11 offset:12
.LBB1174_78:
	s_or_b64 exec, exec, s[38:39]
	v_mov_b32_e32 v10, 0
	s_waitcnt lgkmcnt(0)
	s_barrier
	ds_read_b32 v15, v10 offset:12
	s_waitcnt lgkmcnt(0)
	s_barrier
	ds_read_b64 v[10:11], v10 offset:10240
	v_cndmask_b32_e64 v14, v75, v74, s[18:19]
	v_cmp_ne_u32_e32 vcc, 0, v0
	v_cndmask_b32_e32 v14, 0, v14, vcc
	v_add_u32_e32 v14, v15, v14
	s_load_dwordx2 s[4:5], s[4:5], 0x28
	s_branch .LBB1174_89
.LBB1174_79:
                                        ; implicit-def: $vgpr11
                                        ; implicit-def: $vgpr14
	s_load_dwordx2 s[4:5], s[4:5], 0x28
	s_cbranch_execz .LBB1174_89
; %bb.80:
	s_waitcnt lgkmcnt(0)
	v_mov_b32_dpp v10, v73 row_shr:1 row_mask:0xf bank_mask:0xf
	v_cndmask_b32_e64 v10, v10, 0, s[16:17]
	v_add_u32_e32 v10, v10, v73
	s_nop 1
	v_mov_b32_dpp v11, v10 row_shr:2 row_mask:0xf bank_mask:0xf
	v_cndmask_b32_e64 v11, 0, v11, s[14:15]
	v_add_u32_e32 v10, v10, v11
	s_nop 1
	;; [unrolled: 4-line block ×4, first 2 shown]
	v_mov_b32_dpp v11, v10 row_bcast:15 row_mask:0xf bank_mask:0xf
	v_cndmask_b32_e64 v11, v11, 0, s[8:9]
	v_add_u32_e32 v10, v10, v11
	s_nop 1
	v_mov_b32_dpp v11, v10 row_bcast:31 row_mask:0xf bank_mask:0xf
	v_cndmask_b32_e64 v11, 0, v11, s[2:3]
	v_add_u32_e32 v10, v10, v11
	s_and_saveexec_b64 s[2:3], s[20:21]
	s_cbranch_execz .LBB1174_82
; %bb.81:
	v_lshlrev_b32_e32 v11, 2, v72
	ds_write_b32 v11, v10
.LBB1174_82:
	s_or_b64 exec, exec, s[2:3]
	v_cmp_gt_u32_e32 vcc, 4, v0
	s_waitcnt lgkmcnt(0)
	s_barrier
	s_and_saveexec_b64 s[2:3], vcc
	s_cbranch_execz .LBB1174_84
; %bb.83:
	v_lshlrev_b32_e32 v11, 2, v0
	ds_read_b32 v14, v11
	v_and_b32_e32 v15, 3, v71
	v_cmp_ne_u32_e32 vcc, 0, v15
	s_waitcnt lgkmcnt(0)
	v_mov_b32_dpp v16, v14 row_shr:1 row_mask:0xf bank_mask:0xf
	v_cndmask_b32_e32 v16, 0, v16, vcc
	v_add_u32_e32 v14, v16, v14
	v_cmp_lt_u32_e32 vcc, 1, v15
	s_nop 0
	v_mov_b32_dpp v16, v14 row_shr:2 row_mask:0xf bank_mask:0xf
	v_cndmask_b32_e32 v15, 0, v16, vcc
	v_add_u32_e32 v14, v14, v15
	ds_write_b32 v11, v14
.LBB1174_84:
	s_or_b64 exec, exec, s[2:3]
	v_cmp_lt_u32_e32 vcc, 63, v0
	v_mov_b32_e32 v11, 0
	v_mov_b32_e32 v14, 0
	s_waitcnt lgkmcnt(0)
	s_barrier
	s_and_saveexec_b64 s[2:3], vcc
	s_cbranch_execz .LBB1174_86
; %bb.85:
	v_lshl_add_u32 v14, v72, 2, -4
	ds_read_b32 v14, v14
.LBB1174_86:
	s_or_b64 exec, exec, s[2:3]
	v_add_u32_e32 v15, -1, v71
	v_and_b32_e32 v16, 64, v71
	v_cmp_lt_i32_e32 vcc, v15, v16
	v_cndmask_b32_e32 v15, v15, v71, vcc
	s_waitcnt lgkmcnt(0)
	v_add_u32_e32 v10, v14, v10
	v_lshlrev_b32_e32 v15, 2, v15
	ds_bpermute_b32 v15, v15, v10
	ds_read_b32 v10, v11 offset:12
	v_cmp_eq_u32_e32 vcc, 0, v0
	s_and_saveexec_b64 s[2:3], vcc
	s_cbranch_execz .LBB1174_88
; %bb.87:
	v_mov_b32_e32 v16, 0
	v_mov_b32_e32 v11, 2
	s_waitcnt lgkmcnt(0)
	global_store_dwordx2 v16, v[10:11], s[36:37] offset:512
.LBB1174_88:
	s_or_b64 exec, exec, s[2:3]
	v_cmp_eq_u32_e64 s[2:3], 0, v71
	s_waitcnt lgkmcnt(1)
	v_cndmask_b32_e64 v14, v15, v14, s[2:3]
	v_mov_b32_e32 v11, 0
	v_cndmask_b32_e64 v14, v14, 0, vcc
	s_waitcnt lgkmcnt(0)
	s_barrier
.LBB1174_89:
	v_add_u32_e32 v15, v14, v53
	v_add_u32_e32 v16, v15, v54
	;; [unrolled: 1-line block ×11, first 2 shown]
	s_waitcnt lgkmcnt(0)
	v_add_u32_e32 v31, v10, v31
	v_sub_u32_e32 v14, v14, v11
	v_and_b32_e32 v52, 1, v52
	v_add_u32_e32 v57, v56, v64
	v_sub_u32_e32 v64, v31, v14
	v_cmp_eq_u32_e32 vcc, 1, v52
	v_cndmask_b32_e32 v14, v64, v14, vcc
	v_lshlrev_b32_e32 v14, 1, v14
	ds_write_b16 v14, v6
	v_sub_u32_e32 v6, v15, v11
	v_sub_u32_e32 v14, v31, v6
	v_and_b32_e32 v15, 1, v51
	v_add_u32_e32 v14, 1, v14
	v_cmp_eq_u32_e32 vcc, 1, v15
	v_cndmask_b32_e32 v6, v14, v6, vcc
	v_lshlrev_b32_e32 v6, 1, v6
	ds_write_b16 v6, v32
	v_sub_u32_e32 v6, v16, v11
	v_sub_u32_e32 v14, v31, v6
	v_and_b32_e32 v15, 1, v50
	v_add_u32_e32 v14, 2, v14
	;; [unrolled: 8-line block ×12, first 2 shown]
	v_cmp_eq_u32_e32 vcc, 1, v6
	v_cndmask_b32_e32 v2, v3, v2, vcc
	v_add_u32_e32 v58, v57, v65
	v_lshlrev_b32_e32 v2, 1, v2
	ds_write_b16 v2, v4
	v_sub_u32_e32 v2, v58, v11
	v_sub_u32_e32 v3, v31, v2
	v_and_b32_e32 v4, 1, v39
	v_add_u32_e32 v3, 13, v3
	v_cmp_eq_u32_e32 vcc, 1, v4
	v_cndmask_b32_e32 v2, v3, v2, vcc
	v_add_u32_e32 v59, v58, v66
	v_lshlrev_b32_e32 v2, 1, v2
	ds_write_b16 v2, v25
	v_sub_u32_e32 v2, v59, v11
	v_sub_u32_e32 v3, v31, v2
	v_and_b32_e32 v4, 1, v38
	v_add_u32_e32 v3, 14, v3
	;; [unrolled: 9-line block ×6, first 2 shown]
	v_cmp_eq_u32_e32 vcc, 1, v4
	v_cndmask_b32_e32 v2, v3, v2, vcc
	v_lshlrev_b32_e32 v2, 1, v2
	ds_write_b16 v2, v13
	v_sub_u32_sdwa v2, v33, v11 dst_sel:DWORD dst_unused:UNUSED_PAD src0_sel:BYTE_0 src1_sel:DWORD
	v_add_u32_e32 v2, v63, v2
	v_sub_u32_e32 v3, v31, v2
	v_and_b32_e32 v4, 1, v34
	v_add_u32_e32 v3, 19, v3
	v_cmp_eq_u32_e32 vcc, 1, v4
	v_cndmask_b32_e32 v2, v3, v2, vcc
	v_lshlrev_b32_e32 v2, 1, v2
	ds_write_b16 v2, v22
	s_waitcnt lgkmcnt(0)
	s_barrier
	ds_read_u16 v47, v1
	ds_read_u16 v45, v1 offset:512
	ds_read_u16 v43, v1 offset:1024
	;; [unrolled: 1-line block ×15, first 2 shown]
	s_add_u32 s2, s22, s30
	ds_read_u16 v15, v1 offset:8192
	ds_read_u16 v13, v1 offset:8704
	;; [unrolled: 1-line block ×4, first 2 shown]
	s_addc_u32 s3, s23, 0
	v_mov_b32_e32 v2, s35
	v_add_co_u32_e32 v1, vcc, s34, v11
	s_sub_u32 s2, s28, s2
	v_addc_co_u32_e32 v4, vcc, 0, v2, vcc
	s_subb_u32 s3, s29, s3
	v_mov_b32_e32 v2, s3
	v_add_co_u32_e32 v3, vcc, s2, v10
	v_addc_co_u32_e32 v2, vcc, 0, v2, vcc
	s_and_b64 vcc, exec, s[0:1]
	v_add_co_u32_e64 v7, s[0:1], v3, v1
	v_or_b32_e32 v46, 0x100, v0
	v_or_b32_e32 v44, 0x200, v0
	;; [unrolled: 1-line block ×19, first 2 shown]
	v_addc_co_u32_e64 v8, s[0:1], v2, v4, s[0:1]
	s_cbranch_vccnz .LBB1174_171
; %bb.90:
	v_cmp_ge_u32_e32 vcc, v0, v10
                                        ; implicit-def: $vgpr2_vgpr3
	s_and_saveexec_b64 s[0:1], vcc
	s_xor_b64 s[0:1], exec, s[0:1]
; %bb.91:
	v_not_b32_e32 v2, v0
	v_ashrrev_i32_e32 v3, 31, v2
	v_add_co_u32_e32 v2, vcc, v7, v2
	v_addc_co_u32_e32 v3, vcc, v8, v3, vcc
; %bb.92:
	s_andn2_saveexec_b64 s[0:1], s[0:1]
; %bb.93:
	v_add_co_u32_e32 v2, vcc, v1, v0
	v_addc_co_u32_e32 v3, vcc, 0, v4, vcc
; %bb.94:
	s_or_b64 exec, exec, s[0:1]
	v_lshlrev_b64 v[2:3], 1, v[2:3]
	v_mov_b32_e32 v11, s5
	v_add_co_u32_e32 v2, vcc, s4, v2
	v_addc_co_u32_e32 v3, vcc, v11, v3, vcc
	v_cmp_ge_u32_e32 vcc, v46, v10
	s_waitcnt lgkmcnt(14)
	global_store_short v[2:3], v47, off
                                        ; implicit-def: $vgpr2_vgpr3
	s_and_saveexec_b64 s[0:1], vcc
	s_xor_b64 s[0:1], exec, s[0:1]
; %bb.95:
	v_xor_b32_e32 v2, 0xfffffeff, v0
	v_ashrrev_i32_e32 v3, 31, v2
	v_add_co_u32_e32 v2, vcc, v7, v2
	v_addc_co_u32_e32 v3, vcc, v8, v3, vcc
; %bb.96:
	s_andn2_saveexec_b64 s[0:1], s[0:1]
; %bb.97:
	v_add_co_u32_e32 v2, vcc, v1, v46
	v_addc_co_u32_e32 v3, vcc, 0, v4, vcc
; %bb.98:
	s_or_b64 exec, exec, s[0:1]
	v_lshlrev_b64 v[2:3], 1, v[2:3]
	v_mov_b32_e32 v11, s5
	v_add_co_u32_e32 v2, vcc, s4, v2
	v_addc_co_u32_e32 v3, vcc, v11, v3, vcc
	v_cmp_ge_u32_e32 vcc, v44, v10
	global_store_short v[2:3], v45, off
                                        ; implicit-def: $vgpr2_vgpr3
	s_and_saveexec_b64 s[0:1], vcc
	s_xor_b64 s[0:1], exec, s[0:1]
; %bb.99:
	v_xor_b32_e32 v2, 0xfffffdff, v0
	v_ashrrev_i32_e32 v3, 31, v2
	v_add_co_u32_e32 v2, vcc, v7, v2
	v_addc_co_u32_e32 v3, vcc, v8, v3, vcc
; %bb.100:
	s_andn2_saveexec_b64 s[0:1], s[0:1]
; %bb.101:
	v_add_co_u32_e32 v2, vcc, v1, v44
	v_addc_co_u32_e32 v3, vcc, 0, v4, vcc
; %bb.102:
	s_or_b64 exec, exec, s[0:1]
	v_lshlrev_b64 v[2:3], 1, v[2:3]
	v_mov_b32_e32 v11, s5
	v_add_co_u32_e32 v2, vcc, s4, v2
	v_addc_co_u32_e32 v3, vcc, v11, v3, vcc
	v_cmp_ge_u32_e32 vcc, v42, v10
	;; [unrolled: 21-line block ×6, first 2 shown]
	s_waitcnt lgkmcnt(13)
	global_store_short v[2:3], v35, off
                                        ; implicit-def: $vgpr2_vgpr3
	s_and_saveexec_b64 s[0:1], vcc
	s_xor_b64 s[0:1], exec, s[0:1]
; %bb.119:
	v_xor_b32_e32 v2, 0xfffff8ff, v0
	v_ashrrev_i32_e32 v3, 31, v2
	v_add_co_u32_e32 v2, vcc, v7, v2
	v_addc_co_u32_e32 v3, vcc, v8, v3, vcc
; %bb.120:
	s_andn2_saveexec_b64 s[0:1], s[0:1]
; %bb.121:
	v_add_co_u32_e32 v2, vcc, v1, v34
	v_addc_co_u32_e32 v3, vcc, 0, v4, vcc
; %bb.122:
	s_or_b64 exec, exec, s[0:1]
	v_lshlrev_b64 v[2:3], 1, v[2:3]
	v_mov_b32_e32 v11, s5
	v_add_co_u32_e32 v2, vcc, s4, v2
	v_addc_co_u32_e32 v3, vcc, v11, v3, vcc
	v_cmp_ge_u32_e32 vcc, v32, v10
	s_waitcnt lgkmcnt(12)
	global_store_short v[2:3], v33, off
                                        ; implicit-def: $vgpr2_vgpr3
	s_and_saveexec_b64 s[0:1], vcc
	s_xor_b64 s[0:1], exec, s[0:1]
; %bb.123:
	v_xor_b32_e32 v2, 0xfffff7ff, v0
	v_ashrrev_i32_e32 v3, 31, v2
	v_add_co_u32_e32 v2, vcc, v7, v2
	v_addc_co_u32_e32 v3, vcc, v8, v3, vcc
; %bb.124:
	s_andn2_saveexec_b64 s[0:1], s[0:1]
; %bb.125:
	v_add_co_u32_e32 v2, vcc, v1, v32
	v_addc_co_u32_e32 v3, vcc, 0, v4, vcc
; %bb.126:
	s_or_b64 exec, exec, s[0:1]
	v_lshlrev_b64 v[2:3], 1, v[2:3]
	v_mov_b32_e32 v11, s5
	v_add_co_u32_e32 v2, vcc, s4, v2
	v_addc_co_u32_e32 v3, vcc, v11, v3, vcc
	v_cmp_ge_u32_e32 vcc, v30, v10
	;; [unrolled: 22-line block ×12, first 2 shown]
	s_waitcnt lgkmcnt(1)
	global_store_short v[2:3], v9, off
                                        ; implicit-def: $vgpr2_vgpr3
	s_and_saveexec_b64 s[0:1], vcc
	s_xor_b64 s[0:1], exec, s[0:1]
; %bb.167:
	v_xor_b32_e32 v2, 0xffffecff, v0
	v_ashrrev_i32_e32 v3, 31, v2
	v_add_co_u32_e32 v2, vcc, v7, v2
	v_addc_co_u32_e32 v3, vcc, v8, v3, vcc
; %bb.168:
	s_andn2_saveexec_b64 s[0:1], s[0:1]
; %bb.169:
	v_add_co_u32_e32 v2, vcc, v1, v6
	v_addc_co_u32_e32 v3, vcc, 0, v4, vcc
; %bb.170:
	s_or_b64 exec, exec, s[0:1]
	s_mov_b64 s[0:1], -1
	s_branch .LBB1174_293
.LBB1174_171:
	s_mov_b64 s[0:1], 0
                                        ; implicit-def: $vgpr2_vgpr3
	s_cbranch_execz .LBB1174_293
; %bb.172:
	v_cmp_gt_u32_e32 vcc, s33, v0
	s_and_saveexec_b64 s[2:3], vcc
	s_cbranch_execz .LBB1174_228
; %bb.173:
	v_cmp_ge_u32_e32 vcc, v0, v10
                                        ; implicit-def: $vgpr2_vgpr3
	s_and_saveexec_b64 s[6:7], vcc
	s_xor_b64 s[6:7], exec, s[6:7]
; %bb.174:
	v_not_b32_e32 v2, v0
	v_ashrrev_i32_e32 v3, 31, v2
	v_add_co_u32_e32 v2, vcc, v7, v2
	v_addc_co_u32_e32 v3, vcc, v8, v3, vcc
; %bb.175:
	s_andn2_saveexec_b64 s[6:7], s[6:7]
; %bb.176:
	v_add_co_u32_e32 v2, vcc, v1, v0
	v_addc_co_u32_e32 v3, vcc, 0, v4, vcc
; %bb.177:
	s_or_b64 exec, exec, s[6:7]
	v_lshlrev_b64 v[2:3], 1, v[2:3]
	v_mov_b32_e32 v11, s5
	v_add_co_u32_e32 v2, vcc, s4, v2
	v_addc_co_u32_e32 v3, vcc, v11, v3, vcc
	s_waitcnt lgkmcnt(14)
	global_store_short v[2:3], v47, off
	s_or_b64 exec, exec, s[2:3]
	v_cmp_gt_u32_e32 vcc, s33, v46
	s_and_saveexec_b64 s[2:3], vcc
	s_cbranch_execnz .LBB1174_229
.LBB1174_178:
	s_or_b64 exec, exec, s[2:3]
	v_cmp_gt_u32_e32 vcc, s33, v44
	s_and_saveexec_b64 s[2:3], vcc
	s_cbranch_execz .LBB1174_234
.LBB1174_179:
	v_cmp_ge_u32_e32 vcc, v44, v10
                                        ; implicit-def: $vgpr2_vgpr3
	s_and_saveexec_b64 s[6:7], vcc
	s_xor_b64 s[6:7], exec, s[6:7]
; %bb.180:
	v_xor_b32_e32 v2, 0xfffffdff, v0
	v_ashrrev_i32_e32 v3, 31, v2
	v_add_co_u32_e32 v2, vcc, v7, v2
	v_addc_co_u32_e32 v3, vcc, v8, v3, vcc
                                        ; implicit-def: $vgpr44
; %bb.181:
	s_andn2_saveexec_b64 s[6:7], s[6:7]
; %bb.182:
	v_add_co_u32_e32 v2, vcc, v1, v44
	v_addc_co_u32_e32 v3, vcc, 0, v4, vcc
; %bb.183:
	s_or_b64 exec, exec, s[6:7]
	v_lshlrev_b64 v[2:3], 1, v[2:3]
	v_mov_b32_e32 v11, s5
	v_add_co_u32_e32 v2, vcc, s4, v2
	v_addc_co_u32_e32 v3, vcc, v11, v3, vcc
	s_waitcnt lgkmcnt(14)
	global_store_short v[2:3], v43, off
	s_or_b64 exec, exec, s[2:3]
	v_cmp_gt_u32_e32 vcc, s33, v42
	s_and_saveexec_b64 s[2:3], vcc
	s_cbranch_execnz .LBB1174_235
.LBB1174_184:
	s_or_b64 exec, exec, s[2:3]
	v_cmp_gt_u32_e32 vcc, s33, v40
	s_and_saveexec_b64 s[2:3], vcc
	s_cbranch_execz .LBB1174_240
.LBB1174_185:
	v_cmp_ge_u32_e32 vcc, v40, v10
                                        ; implicit-def: $vgpr2_vgpr3
	s_and_saveexec_b64 s[6:7], vcc
	s_xor_b64 s[6:7], exec, s[6:7]
; %bb.186:
	v_xor_b32_e32 v2, 0xfffffbff, v0
	v_ashrrev_i32_e32 v3, 31, v2
	v_add_co_u32_e32 v2, vcc, v7, v2
	v_addc_co_u32_e32 v3, vcc, v8, v3, vcc
                                        ; implicit-def: $vgpr40
; %bb.187:
	s_andn2_saveexec_b64 s[6:7], s[6:7]
; %bb.188:
	v_add_co_u32_e32 v2, vcc, v1, v40
	v_addc_co_u32_e32 v3, vcc, 0, v4, vcc
; %bb.189:
	s_or_b64 exec, exec, s[6:7]
	v_lshlrev_b64 v[2:3], 1, v[2:3]
	v_mov_b32_e32 v11, s5
	v_add_co_u32_e32 v2, vcc, s4, v2
	v_addc_co_u32_e32 v3, vcc, v11, v3, vcc
	s_waitcnt lgkmcnt(14)
	global_store_short v[2:3], v39, off
	s_or_b64 exec, exec, s[2:3]
	v_cmp_gt_u32_e32 vcc, s33, v38
	s_and_saveexec_b64 s[2:3], vcc
	s_cbranch_execnz .LBB1174_241
.LBB1174_190:
	s_or_b64 exec, exec, s[2:3]
	v_cmp_gt_u32_e32 vcc, s33, v36
	s_and_saveexec_b64 s[2:3], vcc
	s_cbranch_execz .LBB1174_246
.LBB1174_191:
	v_cmp_ge_u32_e32 vcc, v36, v10
                                        ; implicit-def: $vgpr2_vgpr3
	s_and_saveexec_b64 s[6:7], vcc
	s_xor_b64 s[6:7], exec, s[6:7]
; %bb.192:
	v_xor_b32_e32 v2, 0xfffff9ff, v0
	v_ashrrev_i32_e32 v3, 31, v2
	v_add_co_u32_e32 v2, vcc, v7, v2
	v_addc_co_u32_e32 v3, vcc, v8, v3, vcc
                                        ; implicit-def: $vgpr36
; %bb.193:
	s_andn2_saveexec_b64 s[6:7], s[6:7]
; %bb.194:
	v_add_co_u32_e32 v2, vcc, v1, v36
	v_addc_co_u32_e32 v3, vcc, 0, v4, vcc
; %bb.195:
	s_or_b64 exec, exec, s[6:7]
	v_lshlrev_b64 v[2:3], 1, v[2:3]
	v_mov_b32_e32 v11, s5
	v_add_co_u32_e32 v2, vcc, s4, v2
	v_addc_co_u32_e32 v3, vcc, v11, v3, vcc
	s_waitcnt lgkmcnt(13)
	global_store_short v[2:3], v35, off
	s_or_b64 exec, exec, s[2:3]
	v_cmp_gt_u32_e32 vcc, s33, v34
	s_and_saveexec_b64 s[2:3], vcc
	s_cbranch_execnz .LBB1174_247
.LBB1174_196:
	s_or_b64 exec, exec, s[2:3]
	v_cmp_gt_u32_e32 vcc, s33, v32
	s_and_saveexec_b64 s[2:3], vcc
	s_cbranch_execz .LBB1174_252
.LBB1174_197:
	v_cmp_ge_u32_e32 vcc, v32, v10
                                        ; implicit-def: $vgpr2_vgpr3
	s_and_saveexec_b64 s[6:7], vcc
	s_xor_b64 s[6:7], exec, s[6:7]
; %bb.198:
	v_xor_b32_e32 v2, 0xfffff7ff, v0
	v_ashrrev_i32_e32 v3, 31, v2
	v_add_co_u32_e32 v2, vcc, v7, v2
	v_addc_co_u32_e32 v3, vcc, v8, v3, vcc
                                        ; implicit-def: $vgpr32
; %bb.199:
	s_andn2_saveexec_b64 s[6:7], s[6:7]
; %bb.200:
	v_add_co_u32_e32 v2, vcc, v1, v32
	v_addc_co_u32_e32 v3, vcc, 0, v4, vcc
; %bb.201:
	s_or_b64 exec, exec, s[6:7]
	v_lshlrev_b64 v[2:3], 1, v[2:3]
	v_mov_b32_e32 v11, s5
	v_add_co_u32_e32 v2, vcc, s4, v2
	v_addc_co_u32_e32 v3, vcc, v11, v3, vcc
	s_waitcnt lgkmcnt(11)
	global_store_short v[2:3], v31, off
	s_or_b64 exec, exec, s[2:3]
	v_cmp_gt_u32_e32 vcc, s33, v30
	s_and_saveexec_b64 s[2:3], vcc
	s_cbranch_execnz .LBB1174_253
.LBB1174_202:
	s_or_b64 exec, exec, s[2:3]
	v_cmp_gt_u32_e32 vcc, s33, v28
	s_and_saveexec_b64 s[2:3], vcc
	s_cbranch_execz .LBB1174_258
.LBB1174_203:
	v_cmp_ge_u32_e32 vcc, v28, v10
                                        ; implicit-def: $vgpr2_vgpr3
	s_and_saveexec_b64 s[6:7], vcc
	s_xor_b64 s[6:7], exec, s[6:7]
; %bb.204:
	v_xor_b32_e32 v2, 0xfffff5ff, v0
	v_ashrrev_i32_e32 v3, 31, v2
	v_add_co_u32_e32 v2, vcc, v7, v2
	v_addc_co_u32_e32 v3, vcc, v8, v3, vcc
                                        ; implicit-def: $vgpr28
; %bb.205:
	s_andn2_saveexec_b64 s[6:7], s[6:7]
; %bb.206:
	v_add_co_u32_e32 v2, vcc, v1, v28
	v_addc_co_u32_e32 v3, vcc, 0, v4, vcc
; %bb.207:
	s_or_b64 exec, exec, s[6:7]
	v_lshlrev_b64 v[2:3], 1, v[2:3]
	v_mov_b32_e32 v11, s5
	v_add_co_u32_e32 v2, vcc, s4, v2
	v_addc_co_u32_e32 v3, vcc, v11, v3, vcc
	s_waitcnt lgkmcnt(9)
	global_store_short v[2:3], v27, off
	s_or_b64 exec, exec, s[2:3]
	v_cmp_gt_u32_e32 vcc, s33, v26
	s_and_saveexec_b64 s[2:3], vcc
	s_cbranch_execnz .LBB1174_259
.LBB1174_208:
	s_or_b64 exec, exec, s[2:3]
	v_cmp_gt_u32_e32 vcc, s33, v24
	s_and_saveexec_b64 s[2:3], vcc
	s_cbranch_execz .LBB1174_264
.LBB1174_209:
	v_cmp_ge_u32_e32 vcc, v24, v10
                                        ; implicit-def: $vgpr2_vgpr3
	s_and_saveexec_b64 s[6:7], vcc
	s_xor_b64 s[6:7], exec, s[6:7]
; %bb.210:
	v_xor_b32_e32 v2, 0xfffff3ff, v0
	v_ashrrev_i32_e32 v3, 31, v2
	v_add_co_u32_e32 v2, vcc, v7, v2
	v_addc_co_u32_e32 v3, vcc, v8, v3, vcc
                                        ; implicit-def: $vgpr24
; %bb.211:
	s_andn2_saveexec_b64 s[6:7], s[6:7]
; %bb.212:
	v_add_co_u32_e32 v2, vcc, v1, v24
	v_addc_co_u32_e32 v3, vcc, 0, v4, vcc
; %bb.213:
	s_or_b64 exec, exec, s[6:7]
	v_lshlrev_b64 v[2:3], 1, v[2:3]
	v_mov_b32_e32 v11, s5
	v_add_co_u32_e32 v2, vcc, s4, v2
	v_addc_co_u32_e32 v3, vcc, v11, v3, vcc
	s_waitcnt lgkmcnt(7)
	global_store_short v[2:3], v23, off
	s_or_b64 exec, exec, s[2:3]
	v_cmp_gt_u32_e32 vcc, s33, v22
	s_and_saveexec_b64 s[2:3], vcc
	s_cbranch_execnz .LBB1174_265
.LBB1174_214:
	s_or_b64 exec, exec, s[2:3]
	v_cmp_gt_u32_e32 vcc, s33, v20
	s_and_saveexec_b64 s[2:3], vcc
	s_cbranch_execz .LBB1174_270
.LBB1174_215:
	v_cmp_ge_u32_e32 vcc, v20, v10
                                        ; implicit-def: $vgpr2_vgpr3
	s_and_saveexec_b64 s[6:7], vcc
	s_xor_b64 s[6:7], exec, s[6:7]
; %bb.216:
	v_xor_b32_e32 v2, 0xfffff1ff, v0
	v_ashrrev_i32_e32 v3, 31, v2
	v_add_co_u32_e32 v2, vcc, v7, v2
	v_addc_co_u32_e32 v3, vcc, v8, v3, vcc
                                        ; implicit-def: $vgpr20
; %bb.217:
	s_andn2_saveexec_b64 s[6:7], s[6:7]
; %bb.218:
	v_add_co_u32_e32 v2, vcc, v1, v20
	v_addc_co_u32_e32 v3, vcc, 0, v4, vcc
; %bb.219:
	s_or_b64 exec, exec, s[6:7]
	v_lshlrev_b64 v[2:3], 1, v[2:3]
	v_mov_b32_e32 v11, s5
	v_add_co_u32_e32 v2, vcc, s4, v2
	v_addc_co_u32_e32 v3, vcc, v11, v3, vcc
	s_waitcnt lgkmcnt(5)
	global_store_short v[2:3], v19, off
	s_or_b64 exec, exec, s[2:3]
	v_cmp_gt_u32_e32 vcc, s33, v18
	s_and_saveexec_b64 s[2:3], vcc
	s_cbranch_execnz .LBB1174_271
.LBB1174_220:
	s_or_b64 exec, exec, s[2:3]
	v_cmp_gt_u32_e32 vcc, s33, v16
	s_and_saveexec_b64 s[2:3], vcc
	s_cbranch_execz .LBB1174_276
.LBB1174_221:
	v_cmp_ge_u32_e32 vcc, v16, v10
                                        ; implicit-def: $vgpr2_vgpr3
	s_and_saveexec_b64 s[6:7], vcc
	s_xor_b64 s[6:7], exec, s[6:7]
; %bb.222:
	v_xor_b32_e32 v2, 0xffffefff, v0
	v_ashrrev_i32_e32 v3, 31, v2
	v_add_co_u32_e32 v2, vcc, v7, v2
	v_addc_co_u32_e32 v3, vcc, v8, v3, vcc
                                        ; implicit-def: $vgpr16
; %bb.223:
	s_andn2_saveexec_b64 s[6:7], s[6:7]
; %bb.224:
	v_add_co_u32_e32 v2, vcc, v1, v16
	v_addc_co_u32_e32 v3, vcc, 0, v4, vcc
; %bb.225:
	s_or_b64 exec, exec, s[6:7]
	v_lshlrev_b64 v[2:3], 1, v[2:3]
	v_mov_b32_e32 v11, s5
	v_add_co_u32_e32 v2, vcc, s4, v2
	v_addc_co_u32_e32 v3, vcc, v11, v3, vcc
	s_waitcnt lgkmcnt(3)
	global_store_short v[2:3], v15, off
	s_or_b64 exec, exec, s[2:3]
	v_cmp_gt_u32_e32 vcc, s33, v14
	s_and_saveexec_b64 s[2:3], vcc
	s_cbranch_execnz .LBB1174_277
.LBB1174_226:
	s_or_b64 exec, exec, s[2:3]
	v_cmp_gt_u32_e32 vcc, s33, v12
	s_and_saveexec_b64 s[2:3], vcc
	s_cbranch_execnz .LBB1174_282
.LBB1174_227:
	s_or_b64 exec, exec, s[2:3]
	v_cmp_gt_u32_e32 vcc, s33, v6
                                        ; implicit-def: $vgpr2_vgpr3
	s_and_saveexec_b64 s[2:3], vcc
	s_cbranch_execz .LBB1174_292
	s_branch .LBB1174_287
.LBB1174_228:
	s_or_b64 exec, exec, s[2:3]
	v_cmp_gt_u32_e32 vcc, s33, v46
	s_and_saveexec_b64 s[2:3], vcc
	s_cbranch_execz .LBB1174_178
.LBB1174_229:
	v_cmp_ge_u32_e32 vcc, v46, v10
                                        ; implicit-def: $vgpr2_vgpr3
	s_and_saveexec_b64 s[6:7], vcc
	s_xor_b64 s[6:7], exec, s[6:7]
; %bb.230:
	v_xor_b32_e32 v2, 0xfffffeff, v0
	v_ashrrev_i32_e32 v3, 31, v2
	v_add_co_u32_e32 v2, vcc, v7, v2
	v_addc_co_u32_e32 v3, vcc, v8, v3, vcc
                                        ; implicit-def: $vgpr46
; %bb.231:
	s_andn2_saveexec_b64 s[6:7], s[6:7]
; %bb.232:
	v_add_co_u32_e32 v2, vcc, v1, v46
	v_addc_co_u32_e32 v3, vcc, 0, v4, vcc
; %bb.233:
	s_or_b64 exec, exec, s[6:7]
	v_lshlrev_b64 v[2:3], 1, v[2:3]
	v_mov_b32_e32 v11, s5
	v_add_co_u32_e32 v2, vcc, s4, v2
	v_addc_co_u32_e32 v3, vcc, v11, v3, vcc
	s_waitcnt lgkmcnt(14)
	global_store_short v[2:3], v45, off
	s_or_b64 exec, exec, s[2:3]
	v_cmp_gt_u32_e32 vcc, s33, v44
	s_and_saveexec_b64 s[2:3], vcc
	s_cbranch_execnz .LBB1174_179
.LBB1174_234:
	s_or_b64 exec, exec, s[2:3]
	v_cmp_gt_u32_e32 vcc, s33, v42
	s_and_saveexec_b64 s[2:3], vcc
	s_cbranch_execz .LBB1174_184
.LBB1174_235:
	v_cmp_ge_u32_e32 vcc, v42, v10
                                        ; implicit-def: $vgpr2_vgpr3
	s_and_saveexec_b64 s[6:7], vcc
	s_xor_b64 s[6:7], exec, s[6:7]
; %bb.236:
	v_xor_b32_e32 v2, 0xfffffcff, v0
	v_ashrrev_i32_e32 v3, 31, v2
	v_add_co_u32_e32 v2, vcc, v7, v2
	v_addc_co_u32_e32 v3, vcc, v8, v3, vcc
                                        ; implicit-def: $vgpr42
; %bb.237:
	s_andn2_saveexec_b64 s[6:7], s[6:7]
; %bb.238:
	v_add_co_u32_e32 v2, vcc, v1, v42
	v_addc_co_u32_e32 v3, vcc, 0, v4, vcc
; %bb.239:
	s_or_b64 exec, exec, s[6:7]
	v_lshlrev_b64 v[2:3], 1, v[2:3]
	v_mov_b32_e32 v11, s5
	v_add_co_u32_e32 v2, vcc, s4, v2
	v_addc_co_u32_e32 v3, vcc, v11, v3, vcc
	s_waitcnt lgkmcnt(14)
	global_store_short v[2:3], v41, off
	s_or_b64 exec, exec, s[2:3]
	v_cmp_gt_u32_e32 vcc, s33, v40
	s_and_saveexec_b64 s[2:3], vcc
	s_cbranch_execnz .LBB1174_185
.LBB1174_240:
	s_or_b64 exec, exec, s[2:3]
	v_cmp_gt_u32_e32 vcc, s33, v38
	s_and_saveexec_b64 s[2:3], vcc
	s_cbranch_execz .LBB1174_190
.LBB1174_241:
	v_cmp_ge_u32_e32 vcc, v38, v10
                                        ; implicit-def: $vgpr2_vgpr3
	s_and_saveexec_b64 s[6:7], vcc
	s_xor_b64 s[6:7], exec, s[6:7]
; %bb.242:
	v_xor_b32_e32 v2, 0xfffffaff, v0
	v_ashrrev_i32_e32 v3, 31, v2
	v_add_co_u32_e32 v2, vcc, v7, v2
	v_addc_co_u32_e32 v3, vcc, v8, v3, vcc
                                        ; implicit-def: $vgpr38
; %bb.243:
	s_andn2_saveexec_b64 s[6:7], s[6:7]
; %bb.244:
	v_add_co_u32_e32 v2, vcc, v1, v38
	v_addc_co_u32_e32 v3, vcc, 0, v4, vcc
; %bb.245:
	s_or_b64 exec, exec, s[6:7]
	v_lshlrev_b64 v[2:3], 1, v[2:3]
	v_mov_b32_e32 v11, s5
	v_add_co_u32_e32 v2, vcc, s4, v2
	v_addc_co_u32_e32 v3, vcc, v11, v3, vcc
	s_waitcnt lgkmcnt(14)
	global_store_short v[2:3], v37, off
	s_or_b64 exec, exec, s[2:3]
	v_cmp_gt_u32_e32 vcc, s33, v36
	s_and_saveexec_b64 s[2:3], vcc
	s_cbranch_execnz .LBB1174_191
.LBB1174_246:
	s_or_b64 exec, exec, s[2:3]
	v_cmp_gt_u32_e32 vcc, s33, v34
	s_and_saveexec_b64 s[2:3], vcc
	s_cbranch_execz .LBB1174_196
.LBB1174_247:
	v_cmp_ge_u32_e32 vcc, v34, v10
                                        ; implicit-def: $vgpr2_vgpr3
	s_and_saveexec_b64 s[6:7], vcc
	s_xor_b64 s[6:7], exec, s[6:7]
; %bb.248:
	v_xor_b32_e32 v2, 0xfffff8ff, v0
	v_ashrrev_i32_e32 v3, 31, v2
	v_add_co_u32_e32 v2, vcc, v7, v2
	v_addc_co_u32_e32 v3, vcc, v8, v3, vcc
                                        ; implicit-def: $vgpr34
; %bb.249:
	s_andn2_saveexec_b64 s[6:7], s[6:7]
; %bb.250:
	v_add_co_u32_e32 v2, vcc, v1, v34
	v_addc_co_u32_e32 v3, vcc, 0, v4, vcc
; %bb.251:
	s_or_b64 exec, exec, s[6:7]
	v_lshlrev_b64 v[2:3], 1, v[2:3]
	v_mov_b32_e32 v11, s5
	v_add_co_u32_e32 v2, vcc, s4, v2
	v_addc_co_u32_e32 v3, vcc, v11, v3, vcc
	s_waitcnt lgkmcnt(12)
	global_store_short v[2:3], v33, off
	s_or_b64 exec, exec, s[2:3]
	v_cmp_gt_u32_e32 vcc, s33, v32
	s_and_saveexec_b64 s[2:3], vcc
	s_cbranch_execnz .LBB1174_197
.LBB1174_252:
	s_or_b64 exec, exec, s[2:3]
	v_cmp_gt_u32_e32 vcc, s33, v30
	s_and_saveexec_b64 s[2:3], vcc
	s_cbranch_execz .LBB1174_202
.LBB1174_253:
	v_cmp_ge_u32_e32 vcc, v30, v10
                                        ; implicit-def: $vgpr2_vgpr3
	s_and_saveexec_b64 s[6:7], vcc
	s_xor_b64 s[6:7], exec, s[6:7]
; %bb.254:
	v_xor_b32_e32 v2, 0xfffff6ff, v0
	v_ashrrev_i32_e32 v3, 31, v2
	v_add_co_u32_e32 v2, vcc, v7, v2
	v_addc_co_u32_e32 v3, vcc, v8, v3, vcc
                                        ; implicit-def: $vgpr30
; %bb.255:
	s_andn2_saveexec_b64 s[6:7], s[6:7]
; %bb.256:
	v_add_co_u32_e32 v2, vcc, v1, v30
	v_addc_co_u32_e32 v3, vcc, 0, v4, vcc
; %bb.257:
	s_or_b64 exec, exec, s[6:7]
	v_lshlrev_b64 v[2:3], 1, v[2:3]
	v_mov_b32_e32 v11, s5
	v_add_co_u32_e32 v2, vcc, s4, v2
	v_addc_co_u32_e32 v3, vcc, v11, v3, vcc
	s_waitcnt lgkmcnt(10)
	global_store_short v[2:3], v29, off
	s_or_b64 exec, exec, s[2:3]
	v_cmp_gt_u32_e32 vcc, s33, v28
	s_and_saveexec_b64 s[2:3], vcc
	s_cbranch_execnz .LBB1174_203
.LBB1174_258:
	s_or_b64 exec, exec, s[2:3]
	v_cmp_gt_u32_e32 vcc, s33, v26
	s_and_saveexec_b64 s[2:3], vcc
	s_cbranch_execz .LBB1174_208
.LBB1174_259:
	v_cmp_ge_u32_e32 vcc, v26, v10
                                        ; implicit-def: $vgpr2_vgpr3
	s_and_saveexec_b64 s[6:7], vcc
	s_xor_b64 s[6:7], exec, s[6:7]
; %bb.260:
	v_xor_b32_e32 v2, 0xfffff4ff, v0
	v_ashrrev_i32_e32 v3, 31, v2
	v_add_co_u32_e32 v2, vcc, v7, v2
	v_addc_co_u32_e32 v3, vcc, v8, v3, vcc
                                        ; implicit-def: $vgpr26
; %bb.261:
	s_andn2_saveexec_b64 s[6:7], s[6:7]
; %bb.262:
	v_add_co_u32_e32 v2, vcc, v1, v26
	v_addc_co_u32_e32 v3, vcc, 0, v4, vcc
; %bb.263:
	s_or_b64 exec, exec, s[6:7]
	v_lshlrev_b64 v[2:3], 1, v[2:3]
	v_mov_b32_e32 v11, s5
	v_add_co_u32_e32 v2, vcc, s4, v2
	v_addc_co_u32_e32 v3, vcc, v11, v3, vcc
	s_waitcnt lgkmcnt(8)
	global_store_short v[2:3], v25, off
	s_or_b64 exec, exec, s[2:3]
	v_cmp_gt_u32_e32 vcc, s33, v24
	s_and_saveexec_b64 s[2:3], vcc
	s_cbranch_execnz .LBB1174_209
.LBB1174_264:
	s_or_b64 exec, exec, s[2:3]
	v_cmp_gt_u32_e32 vcc, s33, v22
	s_and_saveexec_b64 s[2:3], vcc
	s_cbranch_execz .LBB1174_214
.LBB1174_265:
	v_cmp_ge_u32_e32 vcc, v22, v10
                                        ; implicit-def: $vgpr2_vgpr3
	s_and_saveexec_b64 s[6:7], vcc
	s_xor_b64 s[6:7], exec, s[6:7]
; %bb.266:
	v_xor_b32_e32 v2, 0xfffff2ff, v0
	v_ashrrev_i32_e32 v3, 31, v2
	v_add_co_u32_e32 v2, vcc, v7, v2
	v_addc_co_u32_e32 v3, vcc, v8, v3, vcc
                                        ; implicit-def: $vgpr22
; %bb.267:
	s_andn2_saveexec_b64 s[6:7], s[6:7]
; %bb.268:
	v_add_co_u32_e32 v2, vcc, v1, v22
	v_addc_co_u32_e32 v3, vcc, 0, v4, vcc
; %bb.269:
	s_or_b64 exec, exec, s[6:7]
	v_lshlrev_b64 v[2:3], 1, v[2:3]
	v_mov_b32_e32 v11, s5
	v_add_co_u32_e32 v2, vcc, s4, v2
	v_addc_co_u32_e32 v3, vcc, v11, v3, vcc
	s_waitcnt lgkmcnt(6)
	global_store_short v[2:3], v21, off
	s_or_b64 exec, exec, s[2:3]
	v_cmp_gt_u32_e32 vcc, s33, v20
	s_and_saveexec_b64 s[2:3], vcc
	s_cbranch_execnz .LBB1174_215
.LBB1174_270:
	s_or_b64 exec, exec, s[2:3]
	v_cmp_gt_u32_e32 vcc, s33, v18
	s_and_saveexec_b64 s[2:3], vcc
	s_cbranch_execz .LBB1174_220
.LBB1174_271:
	v_cmp_ge_u32_e32 vcc, v18, v10
                                        ; implicit-def: $vgpr2_vgpr3
	s_and_saveexec_b64 s[6:7], vcc
	s_xor_b64 s[6:7], exec, s[6:7]
; %bb.272:
	v_xor_b32_e32 v2, 0xfffff0ff, v0
	v_ashrrev_i32_e32 v3, 31, v2
	v_add_co_u32_e32 v2, vcc, v7, v2
	v_addc_co_u32_e32 v3, vcc, v8, v3, vcc
                                        ; implicit-def: $vgpr18
; %bb.273:
	s_andn2_saveexec_b64 s[6:7], s[6:7]
; %bb.274:
	v_add_co_u32_e32 v2, vcc, v1, v18
	v_addc_co_u32_e32 v3, vcc, 0, v4, vcc
; %bb.275:
	s_or_b64 exec, exec, s[6:7]
	v_lshlrev_b64 v[2:3], 1, v[2:3]
	v_mov_b32_e32 v11, s5
	v_add_co_u32_e32 v2, vcc, s4, v2
	v_addc_co_u32_e32 v3, vcc, v11, v3, vcc
	s_waitcnt lgkmcnt(4)
	global_store_short v[2:3], v17, off
	s_or_b64 exec, exec, s[2:3]
	v_cmp_gt_u32_e32 vcc, s33, v16
	s_and_saveexec_b64 s[2:3], vcc
	s_cbranch_execnz .LBB1174_221
.LBB1174_276:
	s_or_b64 exec, exec, s[2:3]
	v_cmp_gt_u32_e32 vcc, s33, v14
	s_and_saveexec_b64 s[2:3], vcc
	s_cbranch_execz .LBB1174_226
.LBB1174_277:
	v_cmp_ge_u32_e32 vcc, v14, v10
                                        ; implicit-def: $vgpr2_vgpr3
	s_and_saveexec_b64 s[6:7], vcc
	s_xor_b64 s[6:7], exec, s[6:7]
; %bb.278:
	v_xor_b32_e32 v2, 0xffffeeff, v0
	v_ashrrev_i32_e32 v3, 31, v2
	v_add_co_u32_e32 v2, vcc, v7, v2
	v_addc_co_u32_e32 v3, vcc, v8, v3, vcc
                                        ; implicit-def: $vgpr14
; %bb.279:
	s_andn2_saveexec_b64 s[6:7], s[6:7]
; %bb.280:
	v_add_co_u32_e32 v2, vcc, v1, v14
	v_addc_co_u32_e32 v3, vcc, 0, v4, vcc
; %bb.281:
	s_or_b64 exec, exec, s[6:7]
	v_lshlrev_b64 v[2:3], 1, v[2:3]
	v_mov_b32_e32 v11, s5
	v_add_co_u32_e32 v2, vcc, s4, v2
	v_addc_co_u32_e32 v3, vcc, v11, v3, vcc
	s_waitcnt lgkmcnt(2)
	global_store_short v[2:3], v13, off
	s_or_b64 exec, exec, s[2:3]
	v_cmp_gt_u32_e32 vcc, s33, v12
	s_and_saveexec_b64 s[2:3], vcc
	s_cbranch_execz .LBB1174_227
.LBB1174_282:
	v_cmp_ge_u32_e32 vcc, v12, v10
                                        ; implicit-def: $vgpr2_vgpr3
	s_and_saveexec_b64 s[6:7], vcc
	s_xor_b64 s[6:7], exec, s[6:7]
; %bb.283:
	v_xor_b32_e32 v2, 0xffffedff, v0
	v_ashrrev_i32_e32 v3, 31, v2
	v_add_co_u32_e32 v2, vcc, v7, v2
	v_addc_co_u32_e32 v3, vcc, v8, v3, vcc
                                        ; implicit-def: $vgpr12
; %bb.284:
	s_andn2_saveexec_b64 s[6:7], s[6:7]
; %bb.285:
	v_add_co_u32_e32 v2, vcc, v1, v12
	v_addc_co_u32_e32 v3, vcc, 0, v4, vcc
; %bb.286:
	s_or_b64 exec, exec, s[6:7]
	v_lshlrev_b64 v[2:3], 1, v[2:3]
	v_mov_b32_e32 v11, s5
	v_add_co_u32_e32 v2, vcc, s4, v2
	v_addc_co_u32_e32 v3, vcc, v11, v3, vcc
	s_waitcnt lgkmcnt(1)
	global_store_short v[2:3], v9, off
	s_or_b64 exec, exec, s[2:3]
	v_cmp_gt_u32_e32 vcc, s33, v6
                                        ; implicit-def: $vgpr2_vgpr3
	s_and_saveexec_b64 s[2:3], vcc
	s_cbranch_execz .LBB1174_292
.LBB1174_287:
	v_cmp_ge_u32_e32 vcc, v6, v10
                                        ; implicit-def: $vgpr2_vgpr3
	s_and_saveexec_b64 s[6:7], vcc
	s_xor_b64 s[6:7], exec, s[6:7]
; %bb.288:
	v_xor_b32_e32 v2, 0xffffecff, v0
	v_ashrrev_i32_e32 v3, 31, v2
	v_add_co_u32_e32 v2, vcc, v7, v2
	v_addc_co_u32_e32 v3, vcc, v8, v3, vcc
                                        ; implicit-def: $vgpr6
; %bb.289:
	s_andn2_saveexec_b64 s[6:7], s[6:7]
; %bb.290:
	v_add_co_u32_e32 v2, vcc, v1, v6
	v_addc_co_u32_e32 v3, vcc, 0, v4, vcc
; %bb.291:
	s_or_b64 exec, exec, s[6:7]
	s_or_b64 s[0:1], s[0:1], exec
.LBB1174_292:
	s_or_b64 exec, exec, s[2:3]
.LBB1174_293:
	s_and_saveexec_b64 s[2:3], s[0:1]
	s_cbranch_execz .LBB1174_295
; %bb.294:
	v_lshlrev_b64 v[2:3], 1, v[2:3]
	v_mov_b32_e32 v6, s5
	v_add_co_u32_e32 v2, vcc, s4, v2
	v_addc_co_u32_e32 v3, vcc, v6, v3, vcc
	s_waitcnt lgkmcnt(0)
	global_store_short v[2:3], v5, off
.LBB1174_295:
	s_or_b64 exec, exec, s[2:3]
	v_cmp_eq_u32_e32 vcc, 0, v0
	s_and_b64 s[0:1], vcc, s[26:27]
	s_and_saveexec_b64 s[2:3], s[0:1]
	s_cbranch_execz .LBB1174_297
; %bb.296:
	v_add_co_u32_e32 v0, vcc, v1, v10
	v_mov_b32_e32 v2, 0
	v_addc_co_u32_e32 v1, vcc, 0, v4, vcc
	global_store_dwordx2 v2, v[0:1], s[24:25]
.LBB1174_297:
	s_endpgm
	.section	.rodata,"a",@progbits
	.p2align	6, 0x0
	.amdhsa_kernel _ZN7rocprim17ROCPRIM_400000_NS6detail17trampoline_kernelINS0_14default_configENS1_25partition_config_selectorILNS1_17partition_subalgoE3EtNS0_10empty_typeEbEEZZNS1_14partition_implILS5_3ELb0ES3_jN6thrust23THRUST_200600_302600_NS6detail15normal_iteratorINSA_7pointerItNSA_11hip_rocprim3tagENSA_11use_defaultESG_EEEEPS6_SJ_NS0_5tupleIJPtSJ_EEENSK_IJSJ_SJ_EEES6_PlJ7is_evenItEEEE10hipError_tPvRmT3_T4_T5_T6_T7_T9_mT8_P12ihipStream_tbDpT10_ENKUlT_T0_E_clISt17integral_constantIbLb1EES19_IbLb0EEEEDaS15_S16_EUlS15_E_NS1_11comp_targetILNS1_3genE4ELNS1_11target_archE910ELNS1_3gpuE8ELNS1_3repE0EEENS1_30default_config_static_selectorELNS0_4arch9wavefront6targetE1EEEvT1_
		.amdhsa_group_segment_fixed_size 10248
		.amdhsa_private_segment_fixed_size 0
		.amdhsa_kernarg_size 120
		.amdhsa_user_sgpr_count 6
		.amdhsa_user_sgpr_private_segment_buffer 1
		.amdhsa_user_sgpr_dispatch_ptr 0
		.amdhsa_user_sgpr_queue_ptr 0
		.amdhsa_user_sgpr_kernarg_segment_ptr 1
		.amdhsa_user_sgpr_dispatch_id 0
		.amdhsa_user_sgpr_flat_scratch_init 0
		.amdhsa_user_sgpr_kernarg_preload_length 0
		.amdhsa_user_sgpr_kernarg_preload_offset 0
		.amdhsa_user_sgpr_private_segment_size 0
		.amdhsa_uses_dynamic_stack 0
		.amdhsa_system_sgpr_private_segment_wavefront_offset 0
		.amdhsa_system_sgpr_workgroup_id_x 1
		.amdhsa_system_sgpr_workgroup_id_y 0
		.amdhsa_system_sgpr_workgroup_id_z 0
		.amdhsa_system_sgpr_workgroup_info 0
		.amdhsa_system_vgpr_workitem_id 0
		.amdhsa_next_free_vgpr 90
		.amdhsa_next_free_sgpr 46
		.amdhsa_accum_offset 92
		.amdhsa_reserve_vcc 1
		.amdhsa_reserve_flat_scratch 0
		.amdhsa_float_round_mode_32 0
		.amdhsa_float_round_mode_16_64 0
		.amdhsa_float_denorm_mode_32 3
		.amdhsa_float_denorm_mode_16_64 3
		.amdhsa_dx10_clamp 1
		.amdhsa_ieee_mode 1
		.amdhsa_fp16_overflow 0
		.amdhsa_tg_split 0
		.amdhsa_exception_fp_ieee_invalid_op 0
		.amdhsa_exception_fp_denorm_src 0
		.amdhsa_exception_fp_ieee_div_zero 0
		.amdhsa_exception_fp_ieee_overflow 0
		.amdhsa_exception_fp_ieee_underflow 0
		.amdhsa_exception_fp_ieee_inexact 0
		.amdhsa_exception_int_div_zero 0
	.end_amdhsa_kernel
	.section	.text._ZN7rocprim17ROCPRIM_400000_NS6detail17trampoline_kernelINS0_14default_configENS1_25partition_config_selectorILNS1_17partition_subalgoE3EtNS0_10empty_typeEbEEZZNS1_14partition_implILS5_3ELb0ES3_jN6thrust23THRUST_200600_302600_NS6detail15normal_iteratorINSA_7pointerItNSA_11hip_rocprim3tagENSA_11use_defaultESG_EEEEPS6_SJ_NS0_5tupleIJPtSJ_EEENSK_IJSJ_SJ_EEES6_PlJ7is_evenItEEEE10hipError_tPvRmT3_T4_T5_T6_T7_T9_mT8_P12ihipStream_tbDpT10_ENKUlT_T0_E_clISt17integral_constantIbLb1EES19_IbLb0EEEEDaS15_S16_EUlS15_E_NS1_11comp_targetILNS1_3genE4ELNS1_11target_archE910ELNS1_3gpuE8ELNS1_3repE0EEENS1_30default_config_static_selectorELNS0_4arch9wavefront6targetE1EEEvT1_,"axG",@progbits,_ZN7rocprim17ROCPRIM_400000_NS6detail17trampoline_kernelINS0_14default_configENS1_25partition_config_selectorILNS1_17partition_subalgoE3EtNS0_10empty_typeEbEEZZNS1_14partition_implILS5_3ELb0ES3_jN6thrust23THRUST_200600_302600_NS6detail15normal_iteratorINSA_7pointerItNSA_11hip_rocprim3tagENSA_11use_defaultESG_EEEEPS6_SJ_NS0_5tupleIJPtSJ_EEENSK_IJSJ_SJ_EEES6_PlJ7is_evenItEEEE10hipError_tPvRmT3_T4_T5_T6_T7_T9_mT8_P12ihipStream_tbDpT10_ENKUlT_T0_E_clISt17integral_constantIbLb1EES19_IbLb0EEEEDaS15_S16_EUlS15_E_NS1_11comp_targetILNS1_3genE4ELNS1_11target_archE910ELNS1_3gpuE8ELNS1_3repE0EEENS1_30default_config_static_selectorELNS0_4arch9wavefront6targetE1EEEvT1_,comdat
.Lfunc_end1174:
	.size	_ZN7rocprim17ROCPRIM_400000_NS6detail17trampoline_kernelINS0_14default_configENS1_25partition_config_selectorILNS1_17partition_subalgoE3EtNS0_10empty_typeEbEEZZNS1_14partition_implILS5_3ELb0ES3_jN6thrust23THRUST_200600_302600_NS6detail15normal_iteratorINSA_7pointerItNSA_11hip_rocprim3tagENSA_11use_defaultESG_EEEEPS6_SJ_NS0_5tupleIJPtSJ_EEENSK_IJSJ_SJ_EEES6_PlJ7is_evenItEEEE10hipError_tPvRmT3_T4_T5_T6_T7_T9_mT8_P12ihipStream_tbDpT10_ENKUlT_T0_E_clISt17integral_constantIbLb1EES19_IbLb0EEEEDaS15_S16_EUlS15_E_NS1_11comp_targetILNS1_3genE4ELNS1_11target_archE910ELNS1_3gpuE8ELNS1_3repE0EEENS1_30default_config_static_selectorELNS0_4arch9wavefront6targetE1EEEvT1_, .Lfunc_end1174-_ZN7rocprim17ROCPRIM_400000_NS6detail17trampoline_kernelINS0_14default_configENS1_25partition_config_selectorILNS1_17partition_subalgoE3EtNS0_10empty_typeEbEEZZNS1_14partition_implILS5_3ELb0ES3_jN6thrust23THRUST_200600_302600_NS6detail15normal_iteratorINSA_7pointerItNSA_11hip_rocprim3tagENSA_11use_defaultESG_EEEEPS6_SJ_NS0_5tupleIJPtSJ_EEENSK_IJSJ_SJ_EEES6_PlJ7is_evenItEEEE10hipError_tPvRmT3_T4_T5_T6_T7_T9_mT8_P12ihipStream_tbDpT10_ENKUlT_T0_E_clISt17integral_constantIbLb1EES19_IbLb0EEEEDaS15_S16_EUlS15_E_NS1_11comp_targetILNS1_3genE4ELNS1_11target_archE910ELNS1_3gpuE8ELNS1_3repE0EEENS1_30default_config_static_selectorELNS0_4arch9wavefront6targetE1EEEvT1_
                                        ; -- End function
	.section	.AMDGPU.csdata,"",@progbits
; Kernel info:
; codeLenInByte = 9588
; NumSgprs: 50
; NumVgprs: 90
; NumAgprs: 0
; TotalNumVgprs: 90
; ScratchSize: 0
; MemoryBound: 0
; FloatMode: 240
; IeeeMode: 1
; LDSByteSize: 10248 bytes/workgroup (compile time only)
; SGPRBlocks: 6
; VGPRBlocks: 11
; NumSGPRsForWavesPerEU: 50
; NumVGPRsForWavesPerEU: 90
; AccumOffset: 92
; Occupancy: 5
; WaveLimiterHint : 1
; COMPUTE_PGM_RSRC2:SCRATCH_EN: 0
; COMPUTE_PGM_RSRC2:USER_SGPR: 6
; COMPUTE_PGM_RSRC2:TRAP_HANDLER: 0
; COMPUTE_PGM_RSRC2:TGID_X_EN: 1
; COMPUTE_PGM_RSRC2:TGID_Y_EN: 0
; COMPUTE_PGM_RSRC2:TGID_Z_EN: 0
; COMPUTE_PGM_RSRC2:TIDIG_COMP_CNT: 0
; COMPUTE_PGM_RSRC3_GFX90A:ACCUM_OFFSET: 22
; COMPUTE_PGM_RSRC3_GFX90A:TG_SPLIT: 0
	.section	.text._ZN7rocprim17ROCPRIM_400000_NS6detail17trampoline_kernelINS0_14default_configENS1_25partition_config_selectorILNS1_17partition_subalgoE3EtNS0_10empty_typeEbEEZZNS1_14partition_implILS5_3ELb0ES3_jN6thrust23THRUST_200600_302600_NS6detail15normal_iteratorINSA_7pointerItNSA_11hip_rocprim3tagENSA_11use_defaultESG_EEEEPS6_SJ_NS0_5tupleIJPtSJ_EEENSK_IJSJ_SJ_EEES6_PlJ7is_evenItEEEE10hipError_tPvRmT3_T4_T5_T6_T7_T9_mT8_P12ihipStream_tbDpT10_ENKUlT_T0_E_clISt17integral_constantIbLb1EES19_IbLb0EEEEDaS15_S16_EUlS15_E_NS1_11comp_targetILNS1_3genE3ELNS1_11target_archE908ELNS1_3gpuE7ELNS1_3repE0EEENS1_30default_config_static_selectorELNS0_4arch9wavefront6targetE1EEEvT1_,"axG",@progbits,_ZN7rocprim17ROCPRIM_400000_NS6detail17trampoline_kernelINS0_14default_configENS1_25partition_config_selectorILNS1_17partition_subalgoE3EtNS0_10empty_typeEbEEZZNS1_14partition_implILS5_3ELb0ES3_jN6thrust23THRUST_200600_302600_NS6detail15normal_iteratorINSA_7pointerItNSA_11hip_rocprim3tagENSA_11use_defaultESG_EEEEPS6_SJ_NS0_5tupleIJPtSJ_EEENSK_IJSJ_SJ_EEES6_PlJ7is_evenItEEEE10hipError_tPvRmT3_T4_T5_T6_T7_T9_mT8_P12ihipStream_tbDpT10_ENKUlT_T0_E_clISt17integral_constantIbLb1EES19_IbLb0EEEEDaS15_S16_EUlS15_E_NS1_11comp_targetILNS1_3genE3ELNS1_11target_archE908ELNS1_3gpuE7ELNS1_3repE0EEENS1_30default_config_static_selectorELNS0_4arch9wavefront6targetE1EEEvT1_,comdat
	.protected	_ZN7rocprim17ROCPRIM_400000_NS6detail17trampoline_kernelINS0_14default_configENS1_25partition_config_selectorILNS1_17partition_subalgoE3EtNS0_10empty_typeEbEEZZNS1_14partition_implILS5_3ELb0ES3_jN6thrust23THRUST_200600_302600_NS6detail15normal_iteratorINSA_7pointerItNSA_11hip_rocprim3tagENSA_11use_defaultESG_EEEEPS6_SJ_NS0_5tupleIJPtSJ_EEENSK_IJSJ_SJ_EEES6_PlJ7is_evenItEEEE10hipError_tPvRmT3_T4_T5_T6_T7_T9_mT8_P12ihipStream_tbDpT10_ENKUlT_T0_E_clISt17integral_constantIbLb1EES19_IbLb0EEEEDaS15_S16_EUlS15_E_NS1_11comp_targetILNS1_3genE3ELNS1_11target_archE908ELNS1_3gpuE7ELNS1_3repE0EEENS1_30default_config_static_selectorELNS0_4arch9wavefront6targetE1EEEvT1_ ; -- Begin function _ZN7rocprim17ROCPRIM_400000_NS6detail17trampoline_kernelINS0_14default_configENS1_25partition_config_selectorILNS1_17partition_subalgoE3EtNS0_10empty_typeEbEEZZNS1_14partition_implILS5_3ELb0ES3_jN6thrust23THRUST_200600_302600_NS6detail15normal_iteratorINSA_7pointerItNSA_11hip_rocprim3tagENSA_11use_defaultESG_EEEEPS6_SJ_NS0_5tupleIJPtSJ_EEENSK_IJSJ_SJ_EEES6_PlJ7is_evenItEEEE10hipError_tPvRmT3_T4_T5_T6_T7_T9_mT8_P12ihipStream_tbDpT10_ENKUlT_T0_E_clISt17integral_constantIbLb1EES19_IbLb0EEEEDaS15_S16_EUlS15_E_NS1_11comp_targetILNS1_3genE3ELNS1_11target_archE908ELNS1_3gpuE7ELNS1_3repE0EEENS1_30default_config_static_selectorELNS0_4arch9wavefront6targetE1EEEvT1_
	.globl	_ZN7rocprim17ROCPRIM_400000_NS6detail17trampoline_kernelINS0_14default_configENS1_25partition_config_selectorILNS1_17partition_subalgoE3EtNS0_10empty_typeEbEEZZNS1_14partition_implILS5_3ELb0ES3_jN6thrust23THRUST_200600_302600_NS6detail15normal_iteratorINSA_7pointerItNSA_11hip_rocprim3tagENSA_11use_defaultESG_EEEEPS6_SJ_NS0_5tupleIJPtSJ_EEENSK_IJSJ_SJ_EEES6_PlJ7is_evenItEEEE10hipError_tPvRmT3_T4_T5_T6_T7_T9_mT8_P12ihipStream_tbDpT10_ENKUlT_T0_E_clISt17integral_constantIbLb1EES19_IbLb0EEEEDaS15_S16_EUlS15_E_NS1_11comp_targetILNS1_3genE3ELNS1_11target_archE908ELNS1_3gpuE7ELNS1_3repE0EEENS1_30default_config_static_selectorELNS0_4arch9wavefront6targetE1EEEvT1_
	.p2align	8
	.type	_ZN7rocprim17ROCPRIM_400000_NS6detail17trampoline_kernelINS0_14default_configENS1_25partition_config_selectorILNS1_17partition_subalgoE3EtNS0_10empty_typeEbEEZZNS1_14partition_implILS5_3ELb0ES3_jN6thrust23THRUST_200600_302600_NS6detail15normal_iteratorINSA_7pointerItNSA_11hip_rocprim3tagENSA_11use_defaultESG_EEEEPS6_SJ_NS0_5tupleIJPtSJ_EEENSK_IJSJ_SJ_EEES6_PlJ7is_evenItEEEE10hipError_tPvRmT3_T4_T5_T6_T7_T9_mT8_P12ihipStream_tbDpT10_ENKUlT_T0_E_clISt17integral_constantIbLb1EES19_IbLb0EEEEDaS15_S16_EUlS15_E_NS1_11comp_targetILNS1_3genE3ELNS1_11target_archE908ELNS1_3gpuE7ELNS1_3repE0EEENS1_30default_config_static_selectorELNS0_4arch9wavefront6targetE1EEEvT1_,@function
_ZN7rocprim17ROCPRIM_400000_NS6detail17trampoline_kernelINS0_14default_configENS1_25partition_config_selectorILNS1_17partition_subalgoE3EtNS0_10empty_typeEbEEZZNS1_14partition_implILS5_3ELb0ES3_jN6thrust23THRUST_200600_302600_NS6detail15normal_iteratorINSA_7pointerItNSA_11hip_rocprim3tagENSA_11use_defaultESG_EEEEPS6_SJ_NS0_5tupleIJPtSJ_EEENSK_IJSJ_SJ_EEES6_PlJ7is_evenItEEEE10hipError_tPvRmT3_T4_T5_T6_T7_T9_mT8_P12ihipStream_tbDpT10_ENKUlT_T0_E_clISt17integral_constantIbLb1EES19_IbLb0EEEEDaS15_S16_EUlS15_E_NS1_11comp_targetILNS1_3genE3ELNS1_11target_archE908ELNS1_3gpuE7ELNS1_3repE0EEENS1_30default_config_static_selectorELNS0_4arch9wavefront6targetE1EEEvT1_: ; @_ZN7rocprim17ROCPRIM_400000_NS6detail17trampoline_kernelINS0_14default_configENS1_25partition_config_selectorILNS1_17partition_subalgoE3EtNS0_10empty_typeEbEEZZNS1_14partition_implILS5_3ELb0ES3_jN6thrust23THRUST_200600_302600_NS6detail15normal_iteratorINSA_7pointerItNSA_11hip_rocprim3tagENSA_11use_defaultESG_EEEEPS6_SJ_NS0_5tupleIJPtSJ_EEENSK_IJSJ_SJ_EEES6_PlJ7is_evenItEEEE10hipError_tPvRmT3_T4_T5_T6_T7_T9_mT8_P12ihipStream_tbDpT10_ENKUlT_T0_E_clISt17integral_constantIbLb1EES19_IbLb0EEEEDaS15_S16_EUlS15_E_NS1_11comp_targetILNS1_3genE3ELNS1_11target_archE908ELNS1_3gpuE7ELNS1_3repE0EEENS1_30default_config_static_selectorELNS0_4arch9wavefront6targetE1EEEvT1_
; %bb.0:
	.section	.rodata,"a",@progbits
	.p2align	6, 0x0
	.amdhsa_kernel _ZN7rocprim17ROCPRIM_400000_NS6detail17trampoline_kernelINS0_14default_configENS1_25partition_config_selectorILNS1_17partition_subalgoE3EtNS0_10empty_typeEbEEZZNS1_14partition_implILS5_3ELb0ES3_jN6thrust23THRUST_200600_302600_NS6detail15normal_iteratorINSA_7pointerItNSA_11hip_rocprim3tagENSA_11use_defaultESG_EEEEPS6_SJ_NS0_5tupleIJPtSJ_EEENSK_IJSJ_SJ_EEES6_PlJ7is_evenItEEEE10hipError_tPvRmT3_T4_T5_T6_T7_T9_mT8_P12ihipStream_tbDpT10_ENKUlT_T0_E_clISt17integral_constantIbLb1EES19_IbLb0EEEEDaS15_S16_EUlS15_E_NS1_11comp_targetILNS1_3genE3ELNS1_11target_archE908ELNS1_3gpuE7ELNS1_3repE0EEENS1_30default_config_static_selectorELNS0_4arch9wavefront6targetE1EEEvT1_
		.amdhsa_group_segment_fixed_size 0
		.amdhsa_private_segment_fixed_size 0
		.amdhsa_kernarg_size 120
		.amdhsa_user_sgpr_count 6
		.amdhsa_user_sgpr_private_segment_buffer 1
		.amdhsa_user_sgpr_dispatch_ptr 0
		.amdhsa_user_sgpr_queue_ptr 0
		.amdhsa_user_sgpr_kernarg_segment_ptr 1
		.amdhsa_user_sgpr_dispatch_id 0
		.amdhsa_user_sgpr_flat_scratch_init 0
		.amdhsa_user_sgpr_kernarg_preload_length 0
		.amdhsa_user_sgpr_kernarg_preload_offset 0
		.amdhsa_user_sgpr_private_segment_size 0
		.amdhsa_uses_dynamic_stack 0
		.amdhsa_system_sgpr_private_segment_wavefront_offset 0
		.amdhsa_system_sgpr_workgroup_id_x 1
		.amdhsa_system_sgpr_workgroup_id_y 0
		.amdhsa_system_sgpr_workgroup_id_z 0
		.amdhsa_system_sgpr_workgroup_info 0
		.amdhsa_system_vgpr_workitem_id 0
		.amdhsa_next_free_vgpr 1
		.amdhsa_next_free_sgpr 0
		.amdhsa_accum_offset 4
		.amdhsa_reserve_vcc 0
		.amdhsa_reserve_flat_scratch 0
		.amdhsa_float_round_mode_32 0
		.amdhsa_float_round_mode_16_64 0
		.amdhsa_float_denorm_mode_32 3
		.amdhsa_float_denorm_mode_16_64 3
		.amdhsa_dx10_clamp 1
		.amdhsa_ieee_mode 1
		.amdhsa_fp16_overflow 0
		.amdhsa_tg_split 0
		.amdhsa_exception_fp_ieee_invalid_op 0
		.amdhsa_exception_fp_denorm_src 0
		.amdhsa_exception_fp_ieee_div_zero 0
		.amdhsa_exception_fp_ieee_overflow 0
		.amdhsa_exception_fp_ieee_underflow 0
		.amdhsa_exception_fp_ieee_inexact 0
		.amdhsa_exception_int_div_zero 0
	.end_amdhsa_kernel
	.section	.text._ZN7rocprim17ROCPRIM_400000_NS6detail17trampoline_kernelINS0_14default_configENS1_25partition_config_selectorILNS1_17partition_subalgoE3EtNS0_10empty_typeEbEEZZNS1_14partition_implILS5_3ELb0ES3_jN6thrust23THRUST_200600_302600_NS6detail15normal_iteratorINSA_7pointerItNSA_11hip_rocprim3tagENSA_11use_defaultESG_EEEEPS6_SJ_NS0_5tupleIJPtSJ_EEENSK_IJSJ_SJ_EEES6_PlJ7is_evenItEEEE10hipError_tPvRmT3_T4_T5_T6_T7_T9_mT8_P12ihipStream_tbDpT10_ENKUlT_T0_E_clISt17integral_constantIbLb1EES19_IbLb0EEEEDaS15_S16_EUlS15_E_NS1_11comp_targetILNS1_3genE3ELNS1_11target_archE908ELNS1_3gpuE7ELNS1_3repE0EEENS1_30default_config_static_selectorELNS0_4arch9wavefront6targetE1EEEvT1_,"axG",@progbits,_ZN7rocprim17ROCPRIM_400000_NS6detail17trampoline_kernelINS0_14default_configENS1_25partition_config_selectorILNS1_17partition_subalgoE3EtNS0_10empty_typeEbEEZZNS1_14partition_implILS5_3ELb0ES3_jN6thrust23THRUST_200600_302600_NS6detail15normal_iteratorINSA_7pointerItNSA_11hip_rocprim3tagENSA_11use_defaultESG_EEEEPS6_SJ_NS0_5tupleIJPtSJ_EEENSK_IJSJ_SJ_EEES6_PlJ7is_evenItEEEE10hipError_tPvRmT3_T4_T5_T6_T7_T9_mT8_P12ihipStream_tbDpT10_ENKUlT_T0_E_clISt17integral_constantIbLb1EES19_IbLb0EEEEDaS15_S16_EUlS15_E_NS1_11comp_targetILNS1_3genE3ELNS1_11target_archE908ELNS1_3gpuE7ELNS1_3repE0EEENS1_30default_config_static_selectorELNS0_4arch9wavefront6targetE1EEEvT1_,comdat
.Lfunc_end1175:
	.size	_ZN7rocprim17ROCPRIM_400000_NS6detail17trampoline_kernelINS0_14default_configENS1_25partition_config_selectorILNS1_17partition_subalgoE3EtNS0_10empty_typeEbEEZZNS1_14partition_implILS5_3ELb0ES3_jN6thrust23THRUST_200600_302600_NS6detail15normal_iteratorINSA_7pointerItNSA_11hip_rocprim3tagENSA_11use_defaultESG_EEEEPS6_SJ_NS0_5tupleIJPtSJ_EEENSK_IJSJ_SJ_EEES6_PlJ7is_evenItEEEE10hipError_tPvRmT3_T4_T5_T6_T7_T9_mT8_P12ihipStream_tbDpT10_ENKUlT_T0_E_clISt17integral_constantIbLb1EES19_IbLb0EEEEDaS15_S16_EUlS15_E_NS1_11comp_targetILNS1_3genE3ELNS1_11target_archE908ELNS1_3gpuE7ELNS1_3repE0EEENS1_30default_config_static_selectorELNS0_4arch9wavefront6targetE1EEEvT1_, .Lfunc_end1175-_ZN7rocprim17ROCPRIM_400000_NS6detail17trampoline_kernelINS0_14default_configENS1_25partition_config_selectorILNS1_17partition_subalgoE3EtNS0_10empty_typeEbEEZZNS1_14partition_implILS5_3ELb0ES3_jN6thrust23THRUST_200600_302600_NS6detail15normal_iteratorINSA_7pointerItNSA_11hip_rocprim3tagENSA_11use_defaultESG_EEEEPS6_SJ_NS0_5tupleIJPtSJ_EEENSK_IJSJ_SJ_EEES6_PlJ7is_evenItEEEE10hipError_tPvRmT3_T4_T5_T6_T7_T9_mT8_P12ihipStream_tbDpT10_ENKUlT_T0_E_clISt17integral_constantIbLb1EES19_IbLb0EEEEDaS15_S16_EUlS15_E_NS1_11comp_targetILNS1_3genE3ELNS1_11target_archE908ELNS1_3gpuE7ELNS1_3repE0EEENS1_30default_config_static_selectorELNS0_4arch9wavefront6targetE1EEEvT1_
                                        ; -- End function
	.section	.AMDGPU.csdata,"",@progbits
; Kernel info:
; codeLenInByte = 0
; NumSgprs: 4
; NumVgprs: 0
; NumAgprs: 0
; TotalNumVgprs: 0
; ScratchSize: 0
; MemoryBound: 0
; FloatMode: 240
; IeeeMode: 1
; LDSByteSize: 0 bytes/workgroup (compile time only)
; SGPRBlocks: 0
; VGPRBlocks: 0
; NumSGPRsForWavesPerEU: 4
; NumVGPRsForWavesPerEU: 1
; AccumOffset: 4
; Occupancy: 8
; WaveLimiterHint : 0
; COMPUTE_PGM_RSRC2:SCRATCH_EN: 0
; COMPUTE_PGM_RSRC2:USER_SGPR: 6
; COMPUTE_PGM_RSRC2:TRAP_HANDLER: 0
; COMPUTE_PGM_RSRC2:TGID_X_EN: 1
; COMPUTE_PGM_RSRC2:TGID_Y_EN: 0
; COMPUTE_PGM_RSRC2:TGID_Z_EN: 0
; COMPUTE_PGM_RSRC2:TIDIG_COMP_CNT: 0
; COMPUTE_PGM_RSRC3_GFX90A:ACCUM_OFFSET: 0
; COMPUTE_PGM_RSRC3_GFX90A:TG_SPLIT: 0
	.section	.text._ZN7rocprim17ROCPRIM_400000_NS6detail17trampoline_kernelINS0_14default_configENS1_25partition_config_selectorILNS1_17partition_subalgoE3EtNS0_10empty_typeEbEEZZNS1_14partition_implILS5_3ELb0ES3_jN6thrust23THRUST_200600_302600_NS6detail15normal_iteratorINSA_7pointerItNSA_11hip_rocprim3tagENSA_11use_defaultESG_EEEEPS6_SJ_NS0_5tupleIJPtSJ_EEENSK_IJSJ_SJ_EEES6_PlJ7is_evenItEEEE10hipError_tPvRmT3_T4_T5_T6_T7_T9_mT8_P12ihipStream_tbDpT10_ENKUlT_T0_E_clISt17integral_constantIbLb1EES19_IbLb0EEEEDaS15_S16_EUlS15_E_NS1_11comp_targetILNS1_3genE2ELNS1_11target_archE906ELNS1_3gpuE6ELNS1_3repE0EEENS1_30default_config_static_selectorELNS0_4arch9wavefront6targetE1EEEvT1_,"axG",@progbits,_ZN7rocprim17ROCPRIM_400000_NS6detail17trampoline_kernelINS0_14default_configENS1_25partition_config_selectorILNS1_17partition_subalgoE3EtNS0_10empty_typeEbEEZZNS1_14partition_implILS5_3ELb0ES3_jN6thrust23THRUST_200600_302600_NS6detail15normal_iteratorINSA_7pointerItNSA_11hip_rocprim3tagENSA_11use_defaultESG_EEEEPS6_SJ_NS0_5tupleIJPtSJ_EEENSK_IJSJ_SJ_EEES6_PlJ7is_evenItEEEE10hipError_tPvRmT3_T4_T5_T6_T7_T9_mT8_P12ihipStream_tbDpT10_ENKUlT_T0_E_clISt17integral_constantIbLb1EES19_IbLb0EEEEDaS15_S16_EUlS15_E_NS1_11comp_targetILNS1_3genE2ELNS1_11target_archE906ELNS1_3gpuE6ELNS1_3repE0EEENS1_30default_config_static_selectorELNS0_4arch9wavefront6targetE1EEEvT1_,comdat
	.protected	_ZN7rocprim17ROCPRIM_400000_NS6detail17trampoline_kernelINS0_14default_configENS1_25partition_config_selectorILNS1_17partition_subalgoE3EtNS0_10empty_typeEbEEZZNS1_14partition_implILS5_3ELb0ES3_jN6thrust23THRUST_200600_302600_NS6detail15normal_iteratorINSA_7pointerItNSA_11hip_rocprim3tagENSA_11use_defaultESG_EEEEPS6_SJ_NS0_5tupleIJPtSJ_EEENSK_IJSJ_SJ_EEES6_PlJ7is_evenItEEEE10hipError_tPvRmT3_T4_T5_T6_T7_T9_mT8_P12ihipStream_tbDpT10_ENKUlT_T0_E_clISt17integral_constantIbLb1EES19_IbLb0EEEEDaS15_S16_EUlS15_E_NS1_11comp_targetILNS1_3genE2ELNS1_11target_archE906ELNS1_3gpuE6ELNS1_3repE0EEENS1_30default_config_static_selectorELNS0_4arch9wavefront6targetE1EEEvT1_ ; -- Begin function _ZN7rocprim17ROCPRIM_400000_NS6detail17trampoline_kernelINS0_14default_configENS1_25partition_config_selectorILNS1_17partition_subalgoE3EtNS0_10empty_typeEbEEZZNS1_14partition_implILS5_3ELb0ES3_jN6thrust23THRUST_200600_302600_NS6detail15normal_iteratorINSA_7pointerItNSA_11hip_rocprim3tagENSA_11use_defaultESG_EEEEPS6_SJ_NS0_5tupleIJPtSJ_EEENSK_IJSJ_SJ_EEES6_PlJ7is_evenItEEEE10hipError_tPvRmT3_T4_T5_T6_T7_T9_mT8_P12ihipStream_tbDpT10_ENKUlT_T0_E_clISt17integral_constantIbLb1EES19_IbLb0EEEEDaS15_S16_EUlS15_E_NS1_11comp_targetILNS1_3genE2ELNS1_11target_archE906ELNS1_3gpuE6ELNS1_3repE0EEENS1_30default_config_static_selectorELNS0_4arch9wavefront6targetE1EEEvT1_
	.globl	_ZN7rocprim17ROCPRIM_400000_NS6detail17trampoline_kernelINS0_14default_configENS1_25partition_config_selectorILNS1_17partition_subalgoE3EtNS0_10empty_typeEbEEZZNS1_14partition_implILS5_3ELb0ES3_jN6thrust23THRUST_200600_302600_NS6detail15normal_iteratorINSA_7pointerItNSA_11hip_rocprim3tagENSA_11use_defaultESG_EEEEPS6_SJ_NS0_5tupleIJPtSJ_EEENSK_IJSJ_SJ_EEES6_PlJ7is_evenItEEEE10hipError_tPvRmT3_T4_T5_T6_T7_T9_mT8_P12ihipStream_tbDpT10_ENKUlT_T0_E_clISt17integral_constantIbLb1EES19_IbLb0EEEEDaS15_S16_EUlS15_E_NS1_11comp_targetILNS1_3genE2ELNS1_11target_archE906ELNS1_3gpuE6ELNS1_3repE0EEENS1_30default_config_static_selectorELNS0_4arch9wavefront6targetE1EEEvT1_
	.p2align	8
	.type	_ZN7rocprim17ROCPRIM_400000_NS6detail17trampoline_kernelINS0_14default_configENS1_25partition_config_selectorILNS1_17partition_subalgoE3EtNS0_10empty_typeEbEEZZNS1_14partition_implILS5_3ELb0ES3_jN6thrust23THRUST_200600_302600_NS6detail15normal_iteratorINSA_7pointerItNSA_11hip_rocprim3tagENSA_11use_defaultESG_EEEEPS6_SJ_NS0_5tupleIJPtSJ_EEENSK_IJSJ_SJ_EEES6_PlJ7is_evenItEEEE10hipError_tPvRmT3_T4_T5_T6_T7_T9_mT8_P12ihipStream_tbDpT10_ENKUlT_T0_E_clISt17integral_constantIbLb1EES19_IbLb0EEEEDaS15_S16_EUlS15_E_NS1_11comp_targetILNS1_3genE2ELNS1_11target_archE906ELNS1_3gpuE6ELNS1_3repE0EEENS1_30default_config_static_selectorELNS0_4arch9wavefront6targetE1EEEvT1_,@function
_ZN7rocprim17ROCPRIM_400000_NS6detail17trampoline_kernelINS0_14default_configENS1_25partition_config_selectorILNS1_17partition_subalgoE3EtNS0_10empty_typeEbEEZZNS1_14partition_implILS5_3ELb0ES3_jN6thrust23THRUST_200600_302600_NS6detail15normal_iteratorINSA_7pointerItNSA_11hip_rocprim3tagENSA_11use_defaultESG_EEEEPS6_SJ_NS0_5tupleIJPtSJ_EEENSK_IJSJ_SJ_EEES6_PlJ7is_evenItEEEE10hipError_tPvRmT3_T4_T5_T6_T7_T9_mT8_P12ihipStream_tbDpT10_ENKUlT_T0_E_clISt17integral_constantIbLb1EES19_IbLb0EEEEDaS15_S16_EUlS15_E_NS1_11comp_targetILNS1_3genE2ELNS1_11target_archE906ELNS1_3gpuE6ELNS1_3repE0EEENS1_30default_config_static_selectorELNS0_4arch9wavefront6targetE1EEEvT1_: ; @_ZN7rocprim17ROCPRIM_400000_NS6detail17trampoline_kernelINS0_14default_configENS1_25partition_config_selectorILNS1_17partition_subalgoE3EtNS0_10empty_typeEbEEZZNS1_14partition_implILS5_3ELb0ES3_jN6thrust23THRUST_200600_302600_NS6detail15normal_iteratorINSA_7pointerItNSA_11hip_rocprim3tagENSA_11use_defaultESG_EEEEPS6_SJ_NS0_5tupleIJPtSJ_EEENSK_IJSJ_SJ_EEES6_PlJ7is_evenItEEEE10hipError_tPvRmT3_T4_T5_T6_T7_T9_mT8_P12ihipStream_tbDpT10_ENKUlT_T0_E_clISt17integral_constantIbLb1EES19_IbLb0EEEEDaS15_S16_EUlS15_E_NS1_11comp_targetILNS1_3genE2ELNS1_11target_archE906ELNS1_3gpuE6ELNS1_3repE0EEENS1_30default_config_static_selectorELNS0_4arch9wavefront6targetE1EEEvT1_
; %bb.0:
	.section	.rodata,"a",@progbits
	.p2align	6, 0x0
	.amdhsa_kernel _ZN7rocprim17ROCPRIM_400000_NS6detail17trampoline_kernelINS0_14default_configENS1_25partition_config_selectorILNS1_17partition_subalgoE3EtNS0_10empty_typeEbEEZZNS1_14partition_implILS5_3ELb0ES3_jN6thrust23THRUST_200600_302600_NS6detail15normal_iteratorINSA_7pointerItNSA_11hip_rocprim3tagENSA_11use_defaultESG_EEEEPS6_SJ_NS0_5tupleIJPtSJ_EEENSK_IJSJ_SJ_EEES6_PlJ7is_evenItEEEE10hipError_tPvRmT3_T4_T5_T6_T7_T9_mT8_P12ihipStream_tbDpT10_ENKUlT_T0_E_clISt17integral_constantIbLb1EES19_IbLb0EEEEDaS15_S16_EUlS15_E_NS1_11comp_targetILNS1_3genE2ELNS1_11target_archE906ELNS1_3gpuE6ELNS1_3repE0EEENS1_30default_config_static_selectorELNS0_4arch9wavefront6targetE1EEEvT1_
		.amdhsa_group_segment_fixed_size 0
		.amdhsa_private_segment_fixed_size 0
		.amdhsa_kernarg_size 120
		.amdhsa_user_sgpr_count 6
		.amdhsa_user_sgpr_private_segment_buffer 1
		.amdhsa_user_sgpr_dispatch_ptr 0
		.amdhsa_user_sgpr_queue_ptr 0
		.amdhsa_user_sgpr_kernarg_segment_ptr 1
		.amdhsa_user_sgpr_dispatch_id 0
		.amdhsa_user_sgpr_flat_scratch_init 0
		.amdhsa_user_sgpr_kernarg_preload_length 0
		.amdhsa_user_sgpr_kernarg_preload_offset 0
		.amdhsa_user_sgpr_private_segment_size 0
		.amdhsa_uses_dynamic_stack 0
		.amdhsa_system_sgpr_private_segment_wavefront_offset 0
		.amdhsa_system_sgpr_workgroup_id_x 1
		.amdhsa_system_sgpr_workgroup_id_y 0
		.amdhsa_system_sgpr_workgroup_id_z 0
		.amdhsa_system_sgpr_workgroup_info 0
		.amdhsa_system_vgpr_workitem_id 0
		.amdhsa_next_free_vgpr 1
		.amdhsa_next_free_sgpr 0
		.amdhsa_accum_offset 4
		.amdhsa_reserve_vcc 0
		.amdhsa_reserve_flat_scratch 0
		.amdhsa_float_round_mode_32 0
		.amdhsa_float_round_mode_16_64 0
		.amdhsa_float_denorm_mode_32 3
		.amdhsa_float_denorm_mode_16_64 3
		.amdhsa_dx10_clamp 1
		.amdhsa_ieee_mode 1
		.amdhsa_fp16_overflow 0
		.amdhsa_tg_split 0
		.amdhsa_exception_fp_ieee_invalid_op 0
		.amdhsa_exception_fp_denorm_src 0
		.amdhsa_exception_fp_ieee_div_zero 0
		.amdhsa_exception_fp_ieee_overflow 0
		.amdhsa_exception_fp_ieee_underflow 0
		.amdhsa_exception_fp_ieee_inexact 0
		.amdhsa_exception_int_div_zero 0
	.end_amdhsa_kernel
	.section	.text._ZN7rocprim17ROCPRIM_400000_NS6detail17trampoline_kernelINS0_14default_configENS1_25partition_config_selectorILNS1_17partition_subalgoE3EtNS0_10empty_typeEbEEZZNS1_14partition_implILS5_3ELb0ES3_jN6thrust23THRUST_200600_302600_NS6detail15normal_iteratorINSA_7pointerItNSA_11hip_rocprim3tagENSA_11use_defaultESG_EEEEPS6_SJ_NS0_5tupleIJPtSJ_EEENSK_IJSJ_SJ_EEES6_PlJ7is_evenItEEEE10hipError_tPvRmT3_T4_T5_T6_T7_T9_mT8_P12ihipStream_tbDpT10_ENKUlT_T0_E_clISt17integral_constantIbLb1EES19_IbLb0EEEEDaS15_S16_EUlS15_E_NS1_11comp_targetILNS1_3genE2ELNS1_11target_archE906ELNS1_3gpuE6ELNS1_3repE0EEENS1_30default_config_static_selectorELNS0_4arch9wavefront6targetE1EEEvT1_,"axG",@progbits,_ZN7rocprim17ROCPRIM_400000_NS6detail17trampoline_kernelINS0_14default_configENS1_25partition_config_selectorILNS1_17partition_subalgoE3EtNS0_10empty_typeEbEEZZNS1_14partition_implILS5_3ELb0ES3_jN6thrust23THRUST_200600_302600_NS6detail15normal_iteratorINSA_7pointerItNSA_11hip_rocprim3tagENSA_11use_defaultESG_EEEEPS6_SJ_NS0_5tupleIJPtSJ_EEENSK_IJSJ_SJ_EEES6_PlJ7is_evenItEEEE10hipError_tPvRmT3_T4_T5_T6_T7_T9_mT8_P12ihipStream_tbDpT10_ENKUlT_T0_E_clISt17integral_constantIbLb1EES19_IbLb0EEEEDaS15_S16_EUlS15_E_NS1_11comp_targetILNS1_3genE2ELNS1_11target_archE906ELNS1_3gpuE6ELNS1_3repE0EEENS1_30default_config_static_selectorELNS0_4arch9wavefront6targetE1EEEvT1_,comdat
.Lfunc_end1176:
	.size	_ZN7rocprim17ROCPRIM_400000_NS6detail17trampoline_kernelINS0_14default_configENS1_25partition_config_selectorILNS1_17partition_subalgoE3EtNS0_10empty_typeEbEEZZNS1_14partition_implILS5_3ELb0ES3_jN6thrust23THRUST_200600_302600_NS6detail15normal_iteratorINSA_7pointerItNSA_11hip_rocprim3tagENSA_11use_defaultESG_EEEEPS6_SJ_NS0_5tupleIJPtSJ_EEENSK_IJSJ_SJ_EEES6_PlJ7is_evenItEEEE10hipError_tPvRmT3_T4_T5_T6_T7_T9_mT8_P12ihipStream_tbDpT10_ENKUlT_T0_E_clISt17integral_constantIbLb1EES19_IbLb0EEEEDaS15_S16_EUlS15_E_NS1_11comp_targetILNS1_3genE2ELNS1_11target_archE906ELNS1_3gpuE6ELNS1_3repE0EEENS1_30default_config_static_selectorELNS0_4arch9wavefront6targetE1EEEvT1_, .Lfunc_end1176-_ZN7rocprim17ROCPRIM_400000_NS6detail17trampoline_kernelINS0_14default_configENS1_25partition_config_selectorILNS1_17partition_subalgoE3EtNS0_10empty_typeEbEEZZNS1_14partition_implILS5_3ELb0ES3_jN6thrust23THRUST_200600_302600_NS6detail15normal_iteratorINSA_7pointerItNSA_11hip_rocprim3tagENSA_11use_defaultESG_EEEEPS6_SJ_NS0_5tupleIJPtSJ_EEENSK_IJSJ_SJ_EEES6_PlJ7is_evenItEEEE10hipError_tPvRmT3_T4_T5_T6_T7_T9_mT8_P12ihipStream_tbDpT10_ENKUlT_T0_E_clISt17integral_constantIbLb1EES19_IbLb0EEEEDaS15_S16_EUlS15_E_NS1_11comp_targetILNS1_3genE2ELNS1_11target_archE906ELNS1_3gpuE6ELNS1_3repE0EEENS1_30default_config_static_selectorELNS0_4arch9wavefront6targetE1EEEvT1_
                                        ; -- End function
	.section	.AMDGPU.csdata,"",@progbits
; Kernel info:
; codeLenInByte = 0
; NumSgprs: 4
; NumVgprs: 0
; NumAgprs: 0
; TotalNumVgprs: 0
; ScratchSize: 0
; MemoryBound: 0
; FloatMode: 240
; IeeeMode: 1
; LDSByteSize: 0 bytes/workgroup (compile time only)
; SGPRBlocks: 0
; VGPRBlocks: 0
; NumSGPRsForWavesPerEU: 4
; NumVGPRsForWavesPerEU: 1
; AccumOffset: 4
; Occupancy: 8
; WaveLimiterHint : 0
; COMPUTE_PGM_RSRC2:SCRATCH_EN: 0
; COMPUTE_PGM_RSRC2:USER_SGPR: 6
; COMPUTE_PGM_RSRC2:TRAP_HANDLER: 0
; COMPUTE_PGM_RSRC2:TGID_X_EN: 1
; COMPUTE_PGM_RSRC2:TGID_Y_EN: 0
; COMPUTE_PGM_RSRC2:TGID_Z_EN: 0
; COMPUTE_PGM_RSRC2:TIDIG_COMP_CNT: 0
; COMPUTE_PGM_RSRC3_GFX90A:ACCUM_OFFSET: 0
; COMPUTE_PGM_RSRC3_GFX90A:TG_SPLIT: 0
	.section	.text._ZN7rocprim17ROCPRIM_400000_NS6detail17trampoline_kernelINS0_14default_configENS1_25partition_config_selectorILNS1_17partition_subalgoE3EtNS0_10empty_typeEbEEZZNS1_14partition_implILS5_3ELb0ES3_jN6thrust23THRUST_200600_302600_NS6detail15normal_iteratorINSA_7pointerItNSA_11hip_rocprim3tagENSA_11use_defaultESG_EEEEPS6_SJ_NS0_5tupleIJPtSJ_EEENSK_IJSJ_SJ_EEES6_PlJ7is_evenItEEEE10hipError_tPvRmT3_T4_T5_T6_T7_T9_mT8_P12ihipStream_tbDpT10_ENKUlT_T0_E_clISt17integral_constantIbLb1EES19_IbLb0EEEEDaS15_S16_EUlS15_E_NS1_11comp_targetILNS1_3genE10ELNS1_11target_archE1200ELNS1_3gpuE4ELNS1_3repE0EEENS1_30default_config_static_selectorELNS0_4arch9wavefront6targetE1EEEvT1_,"axG",@progbits,_ZN7rocprim17ROCPRIM_400000_NS6detail17trampoline_kernelINS0_14default_configENS1_25partition_config_selectorILNS1_17partition_subalgoE3EtNS0_10empty_typeEbEEZZNS1_14partition_implILS5_3ELb0ES3_jN6thrust23THRUST_200600_302600_NS6detail15normal_iteratorINSA_7pointerItNSA_11hip_rocprim3tagENSA_11use_defaultESG_EEEEPS6_SJ_NS0_5tupleIJPtSJ_EEENSK_IJSJ_SJ_EEES6_PlJ7is_evenItEEEE10hipError_tPvRmT3_T4_T5_T6_T7_T9_mT8_P12ihipStream_tbDpT10_ENKUlT_T0_E_clISt17integral_constantIbLb1EES19_IbLb0EEEEDaS15_S16_EUlS15_E_NS1_11comp_targetILNS1_3genE10ELNS1_11target_archE1200ELNS1_3gpuE4ELNS1_3repE0EEENS1_30default_config_static_selectorELNS0_4arch9wavefront6targetE1EEEvT1_,comdat
	.protected	_ZN7rocprim17ROCPRIM_400000_NS6detail17trampoline_kernelINS0_14default_configENS1_25partition_config_selectorILNS1_17partition_subalgoE3EtNS0_10empty_typeEbEEZZNS1_14partition_implILS5_3ELb0ES3_jN6thrust23THRUST_200600_302600_NS6detail15normal_iteratorINSA_7pointerItNSA_11hip_rocprim3tagENSA_11use_defaultESG_EEEEPS6_SJ_NS0_5tupleIJPtSJ_EEENSK_IJSJ_SJ_EEES6_PlJ7is_evenItEEEE10hipError_tPvRmT3_T4_T5_T6_T7_T9_mT8_P12ihipStream_tbDpT10_ENKUlT_T0_E_clISt17integral_constantIbLb1EES19_IbLb0EEEEDaS15_S16_EUlS15_E_NS1_11comp_targetILNS1_3genE10ELNS1_11target_archE1200ELNS1_3gpuE4ELNS1_3repE0EEENS1_30default_config_static_selectorELNS0_4arch9wavefront6targetE1EEEvT1_ ; -- Begin function _ZN7rocprim17ROCPRIM_400000_NS6detail17trampoline_kernelINS0_14default_configENS1_25partition_config_selectorILNS1_17partition_subalgoE3EtNS0_10empty_typeEbEEZZNS1_14partition_implILS5_3ELb0ES3_jN6thrust23THRUST_200600_302600_NS6detail15normal_iteratorINSA_7pointerItNSA_11hip_rocprim3tagENSA_11use_defaultESG_EEEEPS6_SJ_NS0_5tupleIJPtSJ_EEENSK_IJSJ_SJ_EEES6_PlJ7is_evenItEEEE10hipError_tPvRmT3_T4_T5_T6_T7_T9_mT8_P12ihipStream_tbDpT10_ENKUlT_T0_E_clISt17integral_constantIbLb1EES19_IbLb0EEEEDaS15_S16_EUlS15_E_NS1_11comp_targetILNS1_3genE10ELNS1_11target_archE1200ELNS1_3gpuE4ELNS1_3repE0EEENS1_30default_config_static_selectorELNS0_4arch9wavefront6targetE1EEEvT1_
	.globl	_ZN7rocprim17ROCPRIM_400000_NS6detail17trampoline_kernelINS0_14default_configENS1_25partition_config_selectorILNS1_17partition_subalgoE3EtNS0_10empty_typeEbEEZZNS1_14partition_implILS5_3ELb0ES3_jN6thrust23THRUST_200600_302600_NS6detail15normal_iteratorINSA_7pointerItNSA_11hip_rocprim3tagENSA_11use_defaultESG_EEEEPS6_SJ_NS0_5tupleIJPtSJ_EEENSK_IJSJ_SJ_EEES6_PlJ7is_evenItEEEE10hipError_tPvRmT3_T4_T5_T6_T7_T9_mT8_P12ihipStream_tbDpT10_ENKUlT_T0_E_clISt17integral_constantIbLb1EES19_IbLb0EEEEDaS15_S16_EUlS15_E_NS1_11comp_targetILNS1_3genE10ELNS1_11target_archE1200ELNS1_3gpuE4ELNS1_3repE0EEENS1_30default_config_static_selectorELNS0_4arch9wavefront6targetE1EEEvT1_
	.p2align	8
	.type	_ZN7rocprim17ROCPRIM_400000_NS6detail17trampoline_kernelINS0_14default_configENS1_25partition_config_selectorILNS1_17partition_subalgoE3EtNS0_10empty_typeEbEEZZNS1_14partition_implILS5_3ELb0ES3_jN6thrust23THRUST_200600_302600_NS6detail15normal_iteratorINSA_7pointerItNSA_11hip_rocprim3tagENSA_11use_defaultESG_EEEEPS6_SJ_NS0_5tupleIJPtSJ_EEENSK_IJSJ_SJ_EEES6_PlJ7is_evenItEEEE10hipError_tPvRmT3_T4_T5_T6_T7_T9_mT8_P12ihipStream_tbDpT10_ENKUlT_T0_E_clISt17integral_constantIbLb1EES19_IbLb0EEEEDaS15_S16_EUlS15_E_NS1_11comp_targetILNS1_3genE10ELNS1_11target_archE1200ELNS1_3gpuE4ELNS1_3repE0EEENS1_30default_config_static_selectorELNS0_4arch9wavefront6targetE1EEEvT1_,@function
_ZN7rocprim17ROCPRIM_400000_NS6detail17trampoline_kernelINS0_14default_configENS1_25partition_config_selectorILNS1_17partition_subalgoE3EtNS0_10empty_typeEbEEZZNS1_14partition_implILS5_3ELb0ES3_jN6thrust23THRUST_200600_302600_NS6detail15normal_iteratorINSA_7pointerItNSA_11hip_rocprim3tagENSA_11use_defaultESG_EEEEPS6_SJ_NS0_5tupleIJPtSJ_EEENSK_IJSJ_SJ_EEES6_PlJ7is_evenItEEEE10hipError_tPvRmT3_T4_T5_T6_T7_T9_mT8_P12ihipStream_tbDpT10_ENKUlT_T0_E_clISt17integral_constantIbLb1EES19_IbLb0EEEEDaS15_S16_EUlS15_E_NS1_11comp_targetILNS1_3genE10ELNS1_11target_archE1200ELNS1_3gpuE4ELNS1_3repE0EEENS1_30default_config_static_selectorELNS0_4arch9wavefront6targetE1EEEvT1_: ; @_ZN7rocprim17ROCPRIM_400000_NS6detail17trampoline_kernelINS0_14default_configENS1_25partition_config_selectorILNS1_17partition_subalgoE3EtNS0_10empty_typeEbEEZZNS1_14partition_implILS5_3ELb0ES3_jN6thrust23THRUST_200600_302600_NS6detail15normal_iteratorINSA_7pointerItNSA_11hip_rocprim3tagENSA_11use_defaultESG_EEEEPS6_SJ_NS0_5tupleIJPtSJ_EEENSK_IJSJ_SJ_EEES6_PlJ7is_evenItEEEE10hipError_tPvRmT3_T4_T5_T6_T7_T9_mT8_P12ihipStream_tbDpT10_ENKUlT_T0_E_clISt17integral_constantIbLb1EES19_IbLb0EEEEDaS15_S16_EUlS15_E_NS1_11comp_targetILNS1_3genE10ELNS1_11target_archE1200ELNS1_3gpuE4ELNS1_3repE0EEENS1_30default_config_static_selectorELNS0_4arch9wavefront6targetE1EEEvT1_
; %bb.0:
	.section	.rodata,"a",@progbits
	.p2align	6, 0x0
	.amdhsa_kernel _ZN7rocprim17ROCPRIM_400000_NS6detail17trampoline_kernelINS0_14default_configENS1_25partition_config_selectorILNS1_17partition_subalgoE3EtNS0_10empty_typeEbEEZZNS1_14partition_implILS5_3ELb0ES3_jN6thrust23THRUST_200600_302600_NS6detail15normal_iteratorINSA_7pointerItNSA_11hip_rocprim3tagENSA_11use_defaultESG_EEEEPS6_SJ_NS0_5tupleIJPtSJ_EEENSK_IJSJ_SJ_EEES6_PlJ7is_evenItEEEE10hipError_tPvRmT3_T4_T5_T6_T7_T9_mT8_P12ihipStream_tbDpT10_ENKUlT_T0_E_clISt17integral_constantIbLb1EES19_IbLb0EEEEDaS15_S16_EUlS15_E_NS1_11comp_targetILNS1_3genE10ELNS1_11target_archE1200ELNS1_3gpuE4ELNS1_3repE0EEENS1_30default_config_static_selectorELNS0_4arch9wavefront6targetE1EEEvT1_
		.amdhsa_group_segment_fixed_size 0
		.amdhsa_private_segment_fixed_size 0
		.amdhsa_kernarg_size 120
		.amdhsa_user_sgpr_count 6
		.amdhsa_user_sgpr_private_segment_buffer 1
		.amdhsa_user_sgpr_dispatch_ptr 0
		.amdhsa_user_sgpr_queue_ptr 0
		.amdhsa_user_sgpr_kernarg_segment_ptr 1
		.amdhsa_user_sgpr_dispatch_id 0
		.amdhsa_user_sgpr_flat_scratch_init 0
		.amdhsa_user_sgpr_kernarg_preload_length 0
		.amdhsa_user_sgpr_kernarg_preload_offset 0
		.amdhsa_user_sgpr_private_segment_size 0
		.amdhsa_uses_dynamic_stack 0
		.amdhsa_system_sgpr_private_segment_wavefront_offset 0
		.amdhsa_system_sgpr_workgroup_id_x 1
		.amdhsa_system_sgpr_workgroup_id_y 0
		.amdhsa_system_sgpr_workgroup_id_z 0
		.amdhsa_system_sgpr_workgroup_info 0
		.amdhsa_system_vgpr_workitem_id 0
		.amdhsa_next_free_vgpr 1
		.amdhsa_next_free_sgpr 0
		.amdhsa_accum_offset 4
		.amdhsa_reserve_vcc 0
		.amdhsa_reserve_flat_scratch 0
		.amdhsa_float_round_mode_32 0
		.amdhsa_float_round_mode_16_64 0
		.amdhsa_float_denorm_mode_32 3
		.amdhsa_float_denorm_mode_16_64 3
		.amdhsa_dx10_clamp 1
		.amdhsa_ieee_mode 1
		.amdhsa_fp16_overflow 0
		.amdhsa_tg_split 0
		.amdhsa_exception_fp_ieee_invalid_op 0
		.amdhsa_exception_fp_denorm_src 0
		.amdhsa_exception_fp_ieee_div_zero 0
		.amdhsa_exception_fp_ieee_overflow 0
		.amdhsa_exception_fp_ieee_underflow 0
		.amdhsa_exception_fp_ieee_inexact 0
		.amdhsa_exception_int_div_zero 0
	.end_amdhsa_kernel
	.section	.text._ZN7rocprim17ROCPRIM_400000_NS6detail17trampoline_kernelINS0_14default_configENS1_25partition_config_selectorILNS1_17partition_subalgoE3EtNS0_10empty_typeEbEEZZNS1_14partition_implILS5_3ELb0ES3_jN6thrust23THRUST_200600_302600_NS6detail15normal_iteratorINSA_7pointerItNSA_11hip_rocprim3tagENSA_11use_defaultESG_EEEEPS6_SJ_NS0_5tupleIJPtSJ_EEENSK_IJSJ_SJ_EEES6_PlJ7is_evenItEEEE10hipError_tPvRmT3_T4_T5_T6_T7_T9_mT8_P12ihipStream_tbDpT10_ENKUlT_T0_E_clISt17integral_constantIbLb1EES19_IbLb0EEEEDaS15_S16_EUlS15_E_NS1_11comp_targetILNS1_3genE10ELNS1_11target_archE1200ELNS1_3gpuE4ELNS1_3repE0EEENS1_30default_config_static_selectorELNS0_4arch9wavefront6targetE1EEEvT1_,"axG",@progbits,_ZN7rocprim17ROCPRIM_400000_NS6detail17trampoline_kernelINS0_14default_configENS1_25partition_config_selectorILNS1_17partition_subalgoE3EtNS0_10empty_typeEbEEZZNS1_14partition_implILS5_3ELb0ES3_jN6thrust23THRUST_200600_302600_NS6detail15normal_iteratorINSA_7pointerItNSA_11hip_rocprim3tagENSA_11use_defaultESG_EEEEPS6_SJ_NS0_5tupleIJPtSJ_EEENSK_IJSJ_SJ_EEES6_PlJ7is_evenItEEEE10hipError_tPvRmT3_T4_T5_T6_T7_T9_mT8_P12ihipStream_tbDpT10_ENKUlT_T0_E_clISt17integral_constantIbLb1EES19_IbLb0EEEEDaS15_S16_EUlS15_E_NS1_11comp_targetILNS1_3genE10ELNS1_11target_archE1200ELNS1_3gpuE4ELNS1_3repE0EEENS1_30default_config_static_selectorELNS0_4arch9wavefront6targetE1EEEvT1_,comdat
.Lfunc_end1177:
	.size	_ZN7rocprim17ROCPRIM_400000_NS6detail17trampoline_kernelINS0_14default_configENS1_25partition_config_selectorILNS1_17partition_subalgoE3EtNS0_10empty_typeEbEEZZNS1_14partition_implILS5_3ELb0ES3_jN6thrust23THRUST_200600_302600_NS6detail15normal_iteratorINSA_7pointerItNSA_11hip_rocprim3tagENSA_11use_defaultESG_EEEEPS6_SJ_NS0_5tupleIJPtSJ_EEENSK_IJSJ_SJ_EEES6_PlJ7is_evenItEEEE10hipError_tPvRmT3_T4_T5_T6_T7_T9_mT8_P12ihipStream_tbDpT10_ENKUlT_T0_E_clISt17integral_constantIbLb1EES19_IbLb0EEEEDaS15_S16_EUlS15_E_NS1_11comp_targetILNS1_3genE10ELNS1_11target_archE1200ELNS1_3gpuE4ELNS1_3repE0EEENS1_30default_config_static_selectorELNS0_4arch9wavefront6targetE1EEEvT1_, .Lfunc_end1177-_ZN7rocprim17ROCPRIM_400000_NS6detail17trampoline_kernelINS0_14default_configENS1_25partition_config_selectorILNS1_17partition_subalgoE3EtNS0_10empty_typeEbEEZZNS1_14partition_implILS5_3ELb0ES3_jN6thrust23THRUST_200600_302600_NS6detail15normal_iteratorINSA_7pointerItNSA_11hip_rocprim3tagENSA_11use_defaultESG_EEEEPS6_SJ_NS0_5tupleIJPtSJ_EEENSK_IJSJ_SJ_EEES6_PlJ7is_evenItEEEE10hipError_tPvRmT3_T4_T5_T6_T7_T9_mT8_P12ihipStream_tbDpT10_ENKUlT_T0_E_clISt17integral_constantIbLb1EES19_IbLb0EEEEDaS15_S16_EUlS15_E_NS1_11comp_targetILNS1_3genE10ELNS1_11target_archE1200ELNS1_3gpuE4ELNS1_3repE0EEENS1_30default_config_static_selectorELNS0_4arch9wavefront6targetE1EEEvT1_
                                        ; -- End function
	.section	.AMDGPU.csdata,"",@progbits
; Kernel info:
; codeLenInByte = 0
; NumSgprs: 4
; NumVgprs: 0
; NumAgprs: 0
; TotalNumVgprs: 0
; ScratchSize: 0
; MemoryBound: 0
; FloatMode: 240
; IeeeMode: 1
; LDSByteSize: 0 bytes/workgroup (compile time only)
; SGPRBlocks: 0
; VGPRBlocks: 0
; NumSGPRsForWavesPerEU: 4
; NumVGPRsForWavesPerEU: 1
; AccumOffset: 4
; Occupancy: 8
; WaveLimiterHint : 0
; COMPUTE_PGM_RSRC2:SCRATCH_EN: 0
; COMPUTE_PGM_RSRC2:USER_SGPR: 6
; COMPUTE_PGM_RSRC2:TRAP_HANDLER: 0
; COMPUTE_PGM_RSRC2:TGID_X_EN: 1
; COMPUTE_PGM_RSRC2:TGID_Y_EN: 0
; COMPUTE_PGM_RSRC2:TGID_Z_EN: 0
; COMPUTE_PGM_RSRC2:TIDIG_COMP_CNT: 0
; COMPUTE_PGM_RSRC3_GFX90A:ACCUM_OFFSET: 0
; COMPUTE_PGM_RSRC3_GFX90A:TG_SPLIT: 0
	.section	.text._ZN7rocprim17ROCPRIM_400000_NS6detail17trampoline_kernelINS0_14default_configENS1_25partition_config_selectorILNS1_17partition_subalgoE3EtNS0_10empty_typeEbEEZZNS1_14partition_implILS5_3ELb0ES3_jN6thrust23THRUST_200600_302600_NS6detail15normal_iteratorINSA_7pointerItNSA_11hip_rocprim3tagENSA_11use_defaultESG_EEEEPS6_SJ_NS0_5tupleIJPtSJ_EEENSK_IJSJ_SJ_EEES6_PlJ7is_evenItEEEE10hipError_tPvRmT3_T4_T5_T6_T7_T9_mT8_P12ihipStream_tbDpT10_ENKUlT_T0_E_clISt17integral_constantIbLb1EES19_IbLb0EEEEDaS15_S16_EUlS15_E_NS1_11comp_targetILNS1_3genE9ELNS1_11target_archE1100ELNS1_3gpuE3ELNS1_3repE0EEENS1_30default_config_static_selectorELNS0_4arch9wavefront6targetE1EEEvT1_,"axG",@progbits,_ZN7rocprim17ROCPRIM_400000_NS6detail17trampoline_kernelINS0_14default_configENS1_25partition_config_selectorILNS1_17partition_subalgoE3EtNS0_10empty_typeEbEEZZNS1_14partition_implILS5_3ELb0ES3_jN6thrust23THRUST_200600_302600_NS6detail15normal_iteratorINSA_7pointerItNSA_11hip_rocprim3tagENSA_11use_defaultESG_EEEEPS6_SJ_NS0_5tupleIJPtSJ_EEENSK_IJSJ_SJ_EEES6_PlJ7is_evenItEEEE10hipError_tPvRmT3_T4_T5_T6_T7_T9_mT8_P12ihipStream_tbDpT10_ENKUlT_T0_E_clISt17integral_constantIbLb1EES19_IbLb0EEEEDaS15_S16_EUlS15_E_NS1_11comp_targetILNS1_3genE9ELNS1_11target_archE1100ELNS1_3gpuE3ELNS1_3repE0EEENS1_30default_config_static_selectorELNS0_4arch9wavefront6targetE1EEEvT1_,comdat
	.protected	_ZN7rocprim17ROCPRIM_400000_NS6detail17trampoline_kernelINS0_14default_configENS1_25partition_config_selectorILNS1_17partition_subalgoE3EtNS0_10empty_typeEbEEZZNS1_14partition_implILS5_3ELb0ES3_jN6thrust23THRUST_200600_302600_NS6detail15normal_iteratorINSA_7pointerItNSA_11hip_rocprim3tagENSA_11use_defaultESG_EEEEPS6_SJ_NS0_5tupleIJPtSJ_EEENSK_IJSJ_SJ_EEES6_PlJ7is_evenItEEEE10hipError_tPvRmT3_T4_T5_T6_T7_T9_mT8_P12ihipStream_tbDpT10_ENKUlT_T0_E_clISt17integral_constantIbLb1EES19_IbLb0EEEEDaS15_S16_EUlS15_E_NS1_11comp_targetILNS1_3genE9ELNS1_11target_archE1100ELNS1_3gpuE3ELNS1_3repE0EEENS1_30default_config_static_selectorELNS0_4arch9wavefront6targetE1EEEvT1_ ; -- Begin function _ZN7rocprim17ROCPRIM_400000_NS6detail17trampoline_kernelINS0_14default_configENS1_25partition_config_selectorILNS1_17partition_subalgoE3EtNS0_10empty_typeEbEEZZNS1_14partition_implILS5_3ELb0ES3_jN6thrust23THRUST_200600_302600_NS6detail15normal_iteratorINSA_7pointerItNSA_11hip_rocprim3tagENSA_11use_defaultESG_EEEEPS6_SJ_NS0_5tupleIJPtSJ_EEENSK_IJSJ_SJ_EEES6_PlJ7is_evenItEEEE10hipError_tPvRmT3_T4_T5_T6_T7_T9_mT8_P12ihipStream_tbDpT10_ENKUlT_T0_E_clISt17integral_constantIbLb1EES19_IbLb0EEEEDaS15_S16_EUlS15_E_NS1_11comp_targetILNS1_3genE9ELNS1_11target_archE1100ELNS1_3gpuE3ELNS1_3repE0EEENS1_30default_config_static_selectorELNS0_4arch9wavefront6targetE1EEEvT1_
	.globl	_ZN7rocprim17ROCPRIM_400000_NS6detail17trampoline_kernelINS0_14default_configENS1_25partition_config_selectorILNS1_17partition_subalgoE3EtNS0_10empty_typeEbEEZZNS1_14partition_implILS5_3ELb0ES3_jN6thrust23THRUST_200600_302600_NS6detail15normal_iteratorINSA_7pointerItNSA_11hip_rocprim3tagENSA_11use_defaultESG_EEEEPS6_SJ_NS0_5tupleIJPtSJ_EEENSK_IJSJ_SJ_EEES6_PlJ7is_evenItEEEE10hipError_tPvRmT3_T4_T5_T6_T7_T9_mT8_P12ihipStream_tbDpT10_ENKUlT_T0_E_clISt17integral_constantIbLb1EES19_IbLb0EEEEDaS15_S16_EUlS15_E_NS1_11comp_targetILNS1_3genE9ELNS1_11target_archE1100ELNS1_3gpuE3ELNS1_3repE0EEENS1_30default_config_static_selectorELNS0_4arch9wavefront6targetE1EEEvT1_
	.p2align	8
	.type	_ZN7rocprim17ROCPRIM_400000_NS6detail17trampoline_kernelINS0_14default_configENS1_25partition_config_selectorILNS1_17partition_subalgoE3EtNS0_10empty_typeEbEEZZNS1_14partition_implILS5_3ELb0ES3_jN6thrust23THRUST_200600_302600_NS6detail15normal_iteratorINSA_7pointerItNSA_11hip_rocprim3tagENSA_11use_defaultESG_EEEEPS6_SJ_NS0_5tupleIJPtSJ_EEENSK_IJSJ_SJ_EEES6_PlJ7is_evenItEEEE10hipError_tPvRmT3_T4_T5_T6_T7_T9_mT8_P12ihipStream_tbDpT10_ENKUlT_T0_E_clISt17integral_constantIbLb1EES19_IbLb0EEEEDaS15_S16_EUlS15_E_NS1_11comp_targetILNS1_3genE9ELNS1_11target_archE1100ELNS1_3gpuE3ELNS1_3repE0EEENS1_30default_config_static_selectorELNS0_4arch9wavefront6targetE1EEEvT1_,@function
_ZN7rocprim17ROCPRIM_400000_NS6detail17trampoline_kernelINS0_14default_configENS1_25partition_config_selectorILNS1_17partition_subalgoE3EtNS0_10empty_typeEbEEZZNS1_14partition_implILS5_3ELb0ES3_jN6thrust23THRUST_200600_302600_NS6detail15normal_iteratorINSA_7pointerItNSA_11hip_rocprim3tagENSA_11use_defaultESG_EEEEPS6_SJ_NS0_5tupleIJPtSJ_EEENSK_IJSJ_SJ_EEES6_PlJ7is_evenItEEEE10hipError_tPvRmT3_T4_T5_T6_T7_T9_mT8_P12ihipStream_tbDpT10_ENKUlT_T0_E_clISt17integral_constantIbLb1EES19_IbLb0EEEEDaS15_S16_EUlS15_E_NS1_11comp_targetILNS1_3genE9ELNS1_11target_archE1100ELNS1_3gpuE3ELNS1_3repE0EEENS1_30default_config_static_selectorELNS0_4arch9wavefront6targetE1EEEvT1_: ; @_ZN7rocprim17ROCPRIM_400000_NS6detail17trampoline_kernelINS0_14default_configENS1_25partition_config_selectorILNS1_17partition_subalgoE3EtNS0_10empty_typeEbEEZZNS1_14partition_implILS5_3ELb0ES3_jN6thrust23THRUST_200600_302600_NS6detail15normal_iteratorINSA_7pointerItNSA_11hip_rocprim3tagENSA_11use_defaultESG_EEEEPS6_SJ_NS0_5tupleIJPtSJ_EEENSK_IJSJ_SJ_EEES6_PlJ7is_evenItEEEE10hipError_tPvRmT3_T4_T5_T6_T7_T9_mT8_P12ihipStream_tbDpT10_ENKUlT_T0_E_clISt17integral_constantIbLb1EES19_IbLb0EEEEDaS15_S16_EUlS15_E_NS1_11comp_targetILNS1_3genE9ELNS1_11target_archE1100ELNS1_3gpuE3ELNS1_3repE0EEENS1_30default_config_static_selectorELNS0_4arch9wavefront6targetE1EEEvT1_
; %bb.0:
	.section	.rodata,"a",@progbits
	.p2align	6, 0x0
	.amdhsa_kernel _ZN7rocprim17ROCPRIM_400000_NS6detail17trampoline_kernelINS0_14default_configENS1_25partition_config_selectorILNS1_17partition_subalgoE3EtNS0_10empty_typeEbEEZZNS1_14partition_implILS5_3ELb0ES3_jN6thrust23THRUST_200600_302600_NS6detail15normal_iteratorINSA_7pointerItNSA_11hip_rocprim3tagENSA_11use_defaultESG_EEEEPS6_SJ_NS0_5tupleIJPtSJ_EEENSK_IJSJ_SJ_EEES6_PlJ7is_evenItEEEE10hipError_tPvRmT3_T4_T5_T6_T7_T9_mT8_P12ihipStream_tbDpT10_ENKUlT_T0_E_clISt17integral_constantIbLb1EES19_IbLb0EEEEDaS15_S16_EUlS15_E_NS1_11comp_targetILNS1_3genE9ELNS1_11target_archE1100ELNS1_3gpuE3ELNS1_3repE0EEENS1_30default_config_static_selectorELNS0_4arch9wavefront6targetE1EEEvT1_
		.amdhsa_group_segment_fixed_size 0
		.amdhsa_private_segment_fixed_size 0
		.amdhsa_kernarg_size 120
		.amdhsa_user_sgpr_count 6
		.amdhsa_user_sgpr_private_segment_buffer 1
		.amdhsa_user_sgpr_dispatch_ptr 0
		.amdhsa_user_sgpr_queue_ptr 0
		.amdhsa_user_sgpr_kernarg_segment_ptr 1
		.amdhsa_user_sgpr_dispatch_id 0
		.amdhsa_user_sgpr_flat_scratch_init 0
		.amdhsa_user_sgpr_kernarg_preload_length 0
		.amdhsa_user_sgpr_kernarg_preload_offset 0
		.amdhsa_user_sgpr_private_segment_size 0
		.amdhsa_uses_dynamic_stack 0
		.amdhsa_system_sgpr_private_segment_wavefront_offset 0
		.amdhsa_system_sgpr_workgroup_id_x 1
		.amdhsa_system_sgpr_workgroup_id_y 0
		.amdhsa_system_sgpr_workgroup_id_z 0
		.amdhsa_system_sgpr_workgroup_info 0
		.amdhsa_system_vgpr_workitem_id 0
		.amdhsa_next_free_vgpr 1
		.amdhsa_next_free_sgpr 0
		.amdhsa_accum_offset 4
		.amdhsa_reserve_vcc 0
		.amdhsa_reserve_flat_scratch 0
		.amdhsa_float_round_mode_32 0
		.amdhsa_float_round_mode_16_64 0
		.amdhsa_float_denorm_mode_32 3
		.amdhsa_float_denorm_mode_16_64 3
		.amdhsa_dx10_clamp 1
		.amdhsa_ieee_mode 1
		.amdhsa_fp16_overflow 0
		.amdhsa_tg_split 0
		.amdhsa_exception_fp_ieee_invalid_op 0
		.amdhsa_exception_fp_denorm_src 0
		.amdhsa_exception_fp_ieee_div_zero 0
		.amdhsa_exception_fp_ieee_overflow 0
		.amdhsa_exception_fp_ieee_underflow 0
		.amdhsa_exception_fp_ieee_inexact 0
		.amdhsa_exception_int_div_zero 0
	.end_amdhsa_kernel
	.section	.text._ZN7rocprim17ROCPRIM_400000_NS6detail17trampoline_kernelINS0_14default_configENS1_25partition_config_selectorILNS1_17partition_subalgoE3EtNS0_10empty_typeEbEEZZNS1_14partition_implILS5_3ELb0ES3_jN6thrust23THRUST_200600_302600_NS6detail15normal_iteratorINSA_7pointerItNSA_11hip_rocprim3tagENSA_11use_defaultESG_EEEEPS6_SJ_NS0_5tupleIJPtSJ_EEENSK_IJSJ_SJ_EEES6_PlJ7is_evenItEEEE10hipError_tPvRmT3_T4_T5_T6_T7_T9_mT8_P12ihipStream_tbDpT10_ENKUlT_T0_E_clISt17integral_constantIbLb1EES19_IbLb0EEEEDaS15_S16_EUlS15_E_NS1_11comp_targetILNS1_3genE9ELNS1_11target_archE1100ELNS1_3gpuE3ELNS1_3repE0EEENS1_30default_config_static_selectorELNS0_4arch9wavefront6targetE1EEEvT1_,"axG",@progbits,_ZN7rocprim17ROCPRIM_400000_NS6detail17trampoline_kernelINS0_14default_configENS1_25partition_config_selectorILNS1_17partition_subalgoE3EtNS0_10empty_typeEbEEZZNS1_14partition_implILS5_3ELb0ES3_jN6thrust23THRUST_200600_302600_NS6detail15normal_iteratorINSA_7pointerItNSA_11hip_rocprim3tagENSA_11use_defaultESG_EEEEPS6_SJ_NS0_5tupleIJPtSJ_EEENSK_IJSJ_SJ_EEES6_PlJ7is_evenItEEEE10hipError_tPvRmT3_T4_T5_T6_T7_T9_mT8_P12ihipStream_tbDpT10_ENKUlT_T0_E_clISt17integral_constantIbLb1EES19_IbLb0EEEEDaS15_S16_EUlS15_E_NS1_11comp_targetILNS1_3genE9ELNS1_11target_archE1100ELNS1_3gpuE3ELNS1_3repE0EEENS1_30default_config_static_selectorELNS0_4arch9wavefront6targetE1EEEvT1_,comdat
.Lfunc_end1178:
	.size	_ZN7rocprim17ROCPRIM_400000_NS6detail17trampoline_kernelINS0_14default_configENS1_25partition_config_selectorILNS1_17partition_subalgoE3EtNS0_10empty_typeEbEEZZNS1_14partition_implILS5_3ELb0ES3_jN6thrust23THRUST_200600_302600_NS6detail15normal_iteratorINSA_7pointerItNSA_11hip_rocprim3tagENSA_11use_defaultESG_EEEEPS6_SJ_NS0_5tupleIJPtSJ_EEENSK_IJSJ_SJ_EEES6_PlJ7is_evenItEEEE10hipError_tPvRmT3_T4_T5_T6_T7_T9_mT8_P12ihipStream_tbDpT10_ENKUlT_T0_E_clISt17integral_constantIbLb1EES19_IbLb0EEEEDaS15_S16_EUlS15_E_NS1_11comp_targetILNS1_3genE9ELNS1_11target_archE1100ELNS1_3gpuE3ELNS1_3repE0EEENS1_30default_config_static_selectorELNS0_4arch9wavefront6targetE1EEEvT1_, .Lfunc_end1178-_ZN7rocprim17ROCPRIM_400000_NS6detail17trampoline_kernelINS0_14default_configENS1_25partition_config_selectorILNS1_17partition_subalgoE3EtNS0_10empty_typeEbEEZZNS1_14partition_implILS5_3ELb0ES3_jN6thrust23THRUST_200600_302600_NS6detail15normal_iteratorINSA_7pointerItNSA_11hip_rocprim3tagENSA_11use_defaultESG_EEEEPS6_SJ_NS0_5tupleIJPtSJ_EEENSK_IJSJ_SJ_EEES6_PlJ7is_evenItEEEE10hipError_tPvRmT3_T4_T5_T6_T7_T9_mT8_P12ihipStream_tbDpT10_ENKUlT_T0_E_clISt17integral_constantIbLb1EES19_IbLb0EEEEDaS15_S16_EUlS15_E_NS1_11comp_targetILNS1_3genE9ELNS1_11target_archE1100ELNS1_3gpuE3ELNS1_3repE0EEENS1_30default_config_static_selectorELNS0_4arch9wavefront6targetE1EEEvT1_
                                        ; -- End function
	.section	.AMDGPU.csdata,"",@progbits
; Kernel info:
; codeLenInByte = 0
; NumSgprs: 4
; NumVgprs: 0
; NumAgprs: 0
; TotalNumVgprs: 0
; ScratchSize: 0
; MemoryBound: 0
; FloatMode: 240
; IeeeMode: 1
; LDSByteSize: 0 bytes/workgroup (compile time only)
; SGPRBlocks: 0
; VGPRBlocks: 0
; NumSGPRsForWavesPerEU: 4
; NumVGPRsForWavesPerEU: 1
; AccumOffset: 4
; Occupancy: 8
; WaveLimiterHint : 0
; COMPUTE_PGM_RSRC2:SCRATCH_EN: 0
; COMPUTE_PGM_RSRC2:USER_SGPR: 6
; COMPUTE_PGM_RSRC2:TRAP_HANDLER: 0
; COMPUTE_PGM_RSRC2:TGID_X_EN: 1
; COMPUTE_PGM_RSRC2:TGID_Y_EN: 0
; COMPUTE_PGM_RSRC2:TGID_Z_EN: 0
; COMPUTE_PGM_RSRC2:TIDIG_COMP_CNT: 0
; COMPUTE_PGM_RSRC3_GFX90A:ACCUM_OFFSET: 0
; COMPUTE_PGM_RSRC3_GFX90A:TG_SPLIT: 0
	.section	.text._ZN7rocprim17ROCPRIM_400000_NS6detail17trampoline_kernelINS0_14default_configENS1_25partition_config_selectorILNS1_17partition_subalgoE3EtNS0_10empty_typeEbEEZZNS1_14partition_implILS5_3ELb0ES3_jN6thrust23THRUST_200600_302600_NS6detail15normal_iteratorINSA_7pointerItNSA_11hip_rocprim3tagENSA_11use_defaultESG_EEEEPS6_SJ_NS0_5tupleIJPtSJ_EEENSK_IJSJ_SJ_EEES6_PlJ7is_evenItEEEE10hipError_tPvRmT3_T4_T5_T6_T7_T9_mT8_P12ihipStream_tbDpT10_ENKUlT_T0_E_clISt17integral_constantIbLb1EES19_IbLb0EEEEDaS15_S16_EUlS15_E_NS1_11comp_targetILNS1_3genE8ELNS1_11target_archE1030ELNS1_3gpuE2ELNS1_3repE0EEENS1_30default_config_static_selectorELNS0_4arch9wavefront6targetE1EEEvT1_,"axG",@progbits,_ZN7rocprim17ROCPRIM_400000_NS6detail17trampoline_kernelINS0_14default_configENS1_25partition_config_selectorILNS1_17partition_subalgoE3EtNS0_10empty_typeEbEEZZNS1_14partition_implILS5_3ELb0ES3_jN6thrust23THRUST_200600_302600_NS6detail15normal_iteratorINSA_7pointerItNSA_11hip_rocprim3tagENSA_11use_defaultESG_EEEEPS6_SJ_NS0_5tupleIJPtSJ_EEENSK_IJSJ_SJ_EEES6_PlJ7is_evenItEEEE10hipError_tPvRmT3_T4_T5_T6_T7_T9_mT8_P12ihipStream_tbDpT10_ENKUlT_T0_E_clISt17integral_constantIbLb1EES19_IbLb0EEEEDaS15_S16_EUlS15_E_NS1_11comp_targetILNS1_3genE8ELNS1_11target_archE1030ELNS1_3gpuE2ELNS1_3repE0EEENS1_30default_config_static_selectorELNS0_4arch9wavefront6targetE1EEEvT1_,comdat
	.protected	_ZN7rocprim17ROCPRIM_400000_NS6detail17trampoline_kernelINS0_14default_configENS1_25partition_config_selectorILNS1_17partition_subalgoE3EtNS0_10empty_typeEbEEZZNS1_14partition_implILS5_3ELb0ES3_jN6thrust23THRUST_200600_302600_NS6detail15normal_iteratorINSA_7pointerItNSA_11hip_rocprim3tagENSA_11use_defaultESG_EEEEPS6_SJ_NS0_5tupleIJPtSJ_EEENSK_IJSJ_SJ_EEES6_PlJ7is_evenItEEEE10hipError_tPvRmT3_T4_T5_T6_T7_T9_mT8_P12ihipStream_tbDpT10_ENKUlT_T0_E_clISt17integral_constantIbLb1EES19_IbLb0EEEEDaS15_S16_EUlS15_E_NS1_11comp_targetILNS1_3genE8ELNS1_11target_archE1030ELNS1_3gpuE2ELNS1_3repE0EEENS1_30default_config_static_selectorELNS0_4arch9wavefront6targetE1EEEvT1_ ; -- Begin function _ZN7rocprim17ROCPRIM_400000_NS6detail17trampoline_kernelINS0_14default_configENS1_25partition_config_selectorILNS1_17partition_subalgoE3EtNS0_10empty_typeEbEEZZNS1_14partition_implILS5_3ELb0ES3_jN6thrust23THRUST_200600_302600_NS6detail15normal_iteratorINSA_7pointerItNSA_11hip_rocprim3tagENSA_11use_defaultESG_EEEEPS6_SJ_NS0_5tupleIJPtSJ_EEENSK_IJSJ_SJ_EEES6_PlJ7is_evenItEEEE10hipError_tPvRmT3_T4_T5_T6_T7_T9_mT8_P12ihipStream_tbDpT10_ENKUlT_T0_E_clISt17integral_constantIbLb1EES19_IbLb0EEEEDaS15_S16_EUlS15_E_NS1_11comp_targetILNS1_3genE8ELNS1_11target_archE1030ELNS1_3gpuE2ELNS1_3repE0EEENS1_30default_config_static_selectorELNS0_4arch9wavefront6targetE1EEEvT1_
	.globl	_ZN7rocprim17ROCPRIM_400000_NS6detail17trampoline_kernelINS0_14default_configENS1_25partition_config_selectorILNS1_17partition_subalgoE3EtNS0_10empty_typeEbEEZZNS1_14partition_implILS5_3ELb0ES3_jN6thrust23THRUST_200600_302600_NS6detail15normal_iteratorINSA_7pointerItNSA_11hip_rocprim3tagENSA_11use_defaultESG_EEEEPS6_SJ_NS0_5tupleIJPtSJ_EEENSK_IJSJ_SJ_EEES6_PlJ7is_evenItEEEE10hipError_tPvRmT3_T4_T5_T6_T7_T9_mT8_P12ihipStream_tbDpT10_ENKUlT_T0_E_clISt17integral_constantIbLb1EES19_IbLb0EEEEDaS15_S16_EUlS15_E_NS1_11comp_targetILNS1_3genE8ELNS1_11target_archE1030ELNS1_3gpuE2ELNS1_3repE0EEENS1_30default_config_static_selectorELNS0_4arch9wavefront6targetE1EEEvT1_
	.p2align	8
	.type	_ZN7rocprim17ROCPRIM_400000_NS6detail17trampoline_kernelINS0_14default_configENS1_25partition_config_selectorILNS1_17partition_subalgoE3EtNS0_10empty_typeEbEEZZNS1_14partition_implILS5_3ELb0ES3_jN6thrust23THRUST_200600_302600_NS6detail15normal_iteratorINSA_7pointerItNSA_11hip_rocprim3tagENSA_11use_defaultESG_EEEEPS6_SJ_NS0_5tupleIJPtSJ_EEENSK_IJSJ_SJ_EEES6_PlJ7is_evenItEEEE10hipError_tPvRmT3_T4_T5_T6_T7_T9_mT8_P12ihipStream_tbDpT10_ENKUlT_T0_E_clISt17integral_constantIbLb1EES19_IbLb0EEEEDaS15_S16_EUlS15_E_NS1_11comp_targetILNS1_3genE8ELNS1_11target_archE1030ELNS1_3gpuE2ELNS1_3repE0EEENS1_30default_config_static_selectorELNS0_4arch9wavefront6targetE1EEEvT1_,@function
_ZN7rocprim17ROCPRIM_400000_NS6detail17trampoline_kernelINS0_14default_configENS1_25partition_config_selectorILNS1_17partition_subalgoE3EtNS0_10empty_typeEbEEZZNS1_14partition_implILS5_3ELb0ES3_jN6thrust23THRUST_200600_302600_NS6detail15normal_iteratorINSA_7pointerItNSA_11hip_rocprim3tagENSA_11use_defaultESG_EEEEPS6_SJ_NS0_5tupleIJPtSJ_EEENSK_IJSJ_SJ_EEES6_PlJ7is_evenItEEEE10hipError_tPvRmT3_T4_T5_T6_T7_T9_mT8_P12ihipStream_tbDpT10_ENKUlT_T0_E_clISt17integral_constantIbLb1EES19_IbLb0EEEEDaS15_S16_EUlS15_E_NS1_11comp_targetILNS1_3genE8ELNS1_11target_archE1030ELNS1_3gpuE2ELNS1_3repE0EEENS1_30default_config_static_selectorELNS0_4arch9wavefront6targetE1EEEvT1_: ; @_ZN7rocprim17ROCPRIM_400000_NS6detail17trampoline_kernelINS0_14default_configENS1_25partition_config_selectorILNS1_17partition_subalgoE3EtNS0_10empty_typeEbEEZZNS1_14partition_implILS5_3ELb0ES3_jN6thrust23THRUST_200600_302600_NS6detail15normal_iteratorINSA_7pointerItNSA_11hip_rocprim3tagENSA_11use_defaultESG_EEEEPS6_SJ_NS0_5tupleIJPtSJ_EEENSK_IJSJ_SJ_EEES6_PlJ7is_evenItEEEE10hipError_tPvRmT3_T4_T5_T6_T7_T9_mT8_P12ihipStream_tbDpT10_ENKUlT_T0_E_clISt17integral_constantIbLb1EES19_IbLb0EEEEDaS15_S16_EUlS15_E_NS1_11comp_targetILNS1_3genE8ELNS1_11target_archE1030ELNS1_3gpuE2ELNS1_3repE0EEENS1_30default_config_static_selectorELNS0_4arch9wavefront6targetE1EEEvT1_
; %bb.0:
	.section	.rodata,"a",@progbits
	.p2align	6, 0x0
	.amdhsa_kernel _ZN7rocprim17ROCPRIM_400000_NS6detail17trampoline_kernelINS0_14default_configENS1_25partition_config_selectorILNS1_17partition_subalgoE3EtNS0_10empty_typeEbEEZZNS1_14partition_implILS5_3ELb0ES3_jN6thrust23THRUST_200600_302600_NS6detail15normal_iteratorINSA_7pointerItNSA_11hip_rocprim3tagENSA_11use_defaultESG_EEEEPS6_SJ_NS0_5tupleIJPtSJ_EEENSK_IJSJ_SJ_EEES6_PlJ7is_evenItEEEE10hipError_tPvRmT3_T4_T5_T6_T7_T9_mT8_P12ihipStream_tbDpT10_ENKUlT_T0_E_clISt17integral_constantIbLb1EES19_IbLb0EEEEDaS15_S16_EUlS15_E_NS1_11comp_targetILNS1_3genE8ELNS1_11target_archE1030ELNS1_3gpuE2ELNS1_3repE0EEENS1_30default_config_static_selectorELNS0_4arch9wavefront6targetE1EEEvT1_
		.amdhsa_group_segment_fixed_size 0
		.amdhsa_private_segment_fixed_size 0
		.amdhsa_kernarg_size 120
		.amdhsa_user_sgpr_count 6
		.amdhsa_user_sgpr_private_segment_buffer 1
		.amdhsa_user_sgpr_dispatch_ptr 0
		.amdhsa_user_sgpr_queue_ptr 0
		.amdhsa_user_sgpr_kernarg_segment_ptr 1
		.amdhsa_user_sgpr_dispatch_id 0
		.amdhsa_user_sgpr_flat_scratch_init 0
		.amdhsa_user_sgpr_kernarg_preload_length 0
		.amdhsa_user_sgpr_kernarg_preload_offset 0
		.amdhsa_user_sgpr_private_segment_size 0
		.amdhsa_uses_dynamic_stack 0
		.amdhsa_system_sgpr_private_segment_wavefront_offset 0
		.amdhsa_system_sgpr_workgroup_id_x 1
		.amdhsa_system_sgpr_workgroup_id_y 0
		.amdhsa_system_sgpr_workgroup_id_z 0
		.amdhsa_system_sgpr_workgroup_info 0
		.amdhsa_system_vgpr_workitem_id 0
		.amdhsa_next_free_vgpr 1
		.amdhsa_next_free_sgpr 0
		.amdhsa_accum_offset 4
		.amdhsa_reserve_vcc 0
		.amdhsa_reserve_flat_scratch 0
		.amdhsa_float_round_mode_32 0
		.amdhsa_float_round_mode_16_64 0
		.amdhsa_float_denorm_mode_32 3
		.amdhsa_float_denorm_mode_16_64 3
		.amdhsa_dx10_clamp 1
		.amdhsa_ieee_mode 1
		.amdhsa_fp16_overflow 0
		.amdhsa_tg_split 0
		.amdhsa_exception_fp_ieee_invalid_op 0
		.amdhsa_exception_fp_denorm_src 0
		.amdhsa_exception_fp_ieee_div_zero 0
		.amdhsa_exception_fp_ieee_overflow 0
		.amdhsa_exception_fp_ieee_underflow 0
		.amdhsa_exception_fp_ieee_inexact 0
		.amdhsa_exception_int_div_zero 0
	.end_amdhsa_kernel
	.section	.text._ZN7rocprim17ROCPRIM_400000_NS6detail17trampoline_kernelINS0_14default_configENS1_25partition_config_selectorILNS1_17partition_subalgoE3EtNS0_10empty_typeEbEEZZNS1_14partition_implILS5_3ELb0ES3_jN6thrust23THRUST_200600_302600_NS6detail15normal_iteratorINSA_7pointerItNSA_11hip_rocprim3tagENSA_11use_defaultESG_EEEEPS6_SJ_NS0_5tupleIJPtSJ_EEENSK_IJSJ_SJ_EEES6_PlJ7is_evenItEEEE10hipError_tPvRmT3_T4_T5_T6_T7_T9_mT8_P12ihipStream_tbDpT10_ENKUlT_T0_E_clISt17integral_constantIbLb1EES19_IbLb0EEEEDaS15_S16_EUlS15_E_NS1_11comp_targetILNS1_3genE8ELNS1_11target_archE1030ELNS1_3gpuE2ELNS1_3repE0EEENS1_30default_config_static_selectorELNS0_4arch9wavefront6targetE1EEEvT1_,"axG",@progbits,_ZN7rocprim17ROCPRIM_400000_NS6detail17trampoline_kernelINS0_14default_configENS1_25partition_config_selectorILNS1_17partition_subalgoE3EtNS0_10empty_typeEbEEZZNS1_14partition_implILS5_3ELb0ES3_jN6thrust23THRUST_200600_302600_NS6detail15normal_iteratorINSA_7pointerItNSA_11hip_rocprim3tagENSA_11use_defaultESG_EEEEPS6_SJ_NS0_5tupleIJPtSJ_EEENSK_IJSJ_SJ_EEES6_PlJ7is_evenItEEEE10hipError_tPvRmT3_T4_T5_T6_T7_T9_mT8_P12ihipStream_tbDpT10_ENKUlT_T0_E_clISt17integral_constantIbLb1EES19_IbLb0EEEEDaS15_S16_EUlS15_E_NS1_11comp_targetILNS1_3genE8ELNS1_11target_archE1030ELNS1_3gpuE2ELNS1_3repE0EEENS1_30default_config_static_selectorELNS0_4arch9wavefront6targetE1EEEvT1_,comdat
.Lfunc_end1179:
	.size	_ZN7rocprim17ROCPRIM_400000_NS6detail17trampoline_kernelINS0_14default_configENS1_25partition_config_selectorILNS1_17partition_subalgoE3EtNS0_10empty_typeEbEEZZNS1_14partition_implILS5_3ELb0ES3_jN6thrust23THRUST_200600_302600_NS6detail15normal_iteratorINSA_7pointerItNSA_11hip_rocprim3tagENSA_11use_defaultESG_EEEEPS6_SJ_NS0_5tupleIJPtSJ_EEENSK_IJSJ_SJ_EEES6_PlJ7is_evenItEEEE10hipError_tPvRmT3_T4_T5_T6_T7_T9_mT8_P12ihipStream_tbDpT10_ENKUlT_T0_E_clISt17integral_constantIbLb1EES19_IbLb0EEEEDaS15_S16_EUlS15_E_NS1_11comp_targetILNS1_3genE8ELNS1_11target_archE1030ELNS1_3gpuE2ELNS1_3repE0EEENS1_30default_config_static_selectorELNS0_4arch9wavefront6targetE1EEEvT1_, .Lfunc_end1179-_ZN7rocprim17ROCPRIM_400000_NS6detail17trampoline_kernelINS0_14default_configENS1_25partition_config_selectorILNS1_17partition_subalgoE3EtNS0_10empty_typeEbEEZZNS1_14partition_implILS5_3ELb0ES3_jN6thrust23THRUST_200600_302600_NS6detail15normal_iteratorINSA_7pointerItNSA_11hip_rocprim3tagENSA_11use_defaultESG_EEEEPS6_SJ_NS0_5tupleIJPtSJ_EEENSK_IJSJ_SJ_EEES6_PlJ7is_evenItEEEE10hipError_tPvRmT3_T4_T5_T6_T7_T9_mT8_P12ihipStream_tbDpT10_ENKUlT_T0_E_clISt17integral_constantIbLb1EES19_IbLb0EEEEDaS15_S16_EUlS15_E_NS1_11comp_targetILNS1_3genE8ELNS1_11target_archE1030ELNS1_3gpuE2ELNS1_3repE0EEENS1_30default_config_static_selectorELNS0_4arch9wavefront6targetE1EEEvT1_
                                        ; -- End function
	.section	.AMDGPU.csdata,"",@progbits
; Kernel info:
; codeLenInByte = 0
; NumSgprs: 4
; NumVgprs: 0
; NumAgprs: 0
; TotalNumVgprs: 0
; ScratchSize: 0
; MemoryBound: 0
; FloatMode: 240
; IeeeMode: 1
; LDSByteSize: 0 bytes/workgroup (compile time only)
; SGPRBlocks: 0
; VGPRBlocks: 0
; NumSGPRsForWavesPerEU: 4
; NumVGPRsForWavesPerEU: 1
; AccumOffset: 4
; Occupancy: 8
; WaveLimiterHint : 0
; COMPUTE_PGM_RSRC2:SCRATCH_EN: 0
; COMPUTE_PGM_RSRC2:USER_SGPR: 6
; COMPUTE_PGM_RSRC2:TRAP_HANDLER: 0
; COMPUTE_PGM_RSRC2:TGID_X_EN: 1
; COMPUTE_PGM_RSRC2:TGID_Y_EN: 0
; COMPUTE_PGM_RSRC2:TGID_Z_EN: 0
; COMPUTE_PGM_RSRC2:TIDIG_COMP_CNT: 0
; COMPUTE_PGM_RSRC3_GFX90A:ACCUM_OFFSET: 0
; COMPUTE_PGM_RSRC3_GFX90A:TG_SPLIT: 0
	.section	.text._ZN7rocprim17ROCPRIM_400000_NS6detail17trampoline_kernelINS0_14default_configENS1_25partition_config_selectorILNS1_17partition_subalgoE3EtNS0_10empty_typeEbEEZZNS1_14partition_implILS5_3ELb0ES3_jN6thrust23THRUST_200600_302600_NS6detail15normal_iteratorINSA_7pointerItNSA_11hip_rocprim3tagENSA_11use_defaultESG_EEEEPS6_SJ_NS0_5tupleIJPtSJ_EEENSK_IJSJ_SJ_EEES6_PlJ7is_evenItEEEE10hipError_tPvRmT3_T4_T5_T6_T7_T9_mT8_P12ihipStream_tbDpT10_ENKUlT_T0_E_clISt17integral_constantIbLb0EES19_IbLb1EEEEDaS15_S16_EUlS15_E_NS1_11comp_targetILNS1_3genE0ELNS1_11target_archE4294967295ELNS1_3gpuE0ELNS1_3repE0EEENS1_30default_config_static_selectorELNS0_4arch9wavefront6targetE1EEEvT1_,"axG",@progbits,_ZN7rocprim17ROCPRIM_400000_NS6detail17trampoline_kernelINS0_14default_configENS1_25partition_config_selectorILNS1_17partition_subalgoE3EtNS0_10empty_typeEbEEZZNS1_14partition_implILS5_3ELb0ES3_jN6thrust23THRUST_200600_302600_NS6detail15normal_iteratorINSA_7pointerItNSA_11hip_rocprim3tagENSA_11use_defaultESG_EEEEPS6_SJ_NS0_5tupleIJPtSJ_EEENSK_IJSJ_SJ_EEES6_PlJ7is_evenItEEEE10hipError_tPvRmT3_T4_T5_T6_T7_T9_mT8_P12ihipStream_tbDpT10_ENKUlT_T0_E_clISt17integral_constantIbLb0EES19_IbLb1EEEEDaS15_S16_EUlS15_E_NS1_11comp_targetILNS1_3genE0ELNS1_11target_archE4294967295ELNS1_3gpuE0ELNS1_3repE0EEENS1_30default_config_static_selectorELNS0_4arch9wavefront6targetE1EEEvT1_,comdat
	.protected	_ZN7rocprim17ROCPRIM_400000_NS6detail17trampoline_kernelINS0_14default_configENS1_25partition_config_selectorILNS1_17partition_subalgoE3EtNS0_10empty_typeEbEEZZNS1_14partition_implILS5_3ELb0ES3_jN6thrust23THRUST_200600_302600_NS6detail15normal_iteratorINSA_7pointerItNSA_11hip_rocprim3tagENSA_11use_defaultESG_EEEEPS6_SJ_NS0_5tupleIJPtSJ_EEENSK_IJSJ_SJ_EEES6_PlJ7is_evenItEEEE10hipError_tPvRmT3_T4_T5_T6_T7_T9_mT8_P12ihipStream_tbDpT10_ENKUlT_T0_E_clISt17integral_constantIbLb0EES19_IbLb1EEEEDaS15_S16_EUlS15_E_NS1_11comp_targetILNS1_3genE0ELNS1_11target_archE4294967295ELNS1_3gpuE0ELNS1_3repE0EEENS1_30default_config_static_selectorELNS0_4arch9wavefront6targetE1EEEvT1_ ; -- Begin function _ZN7rocprim17ROCPRIM_400000_NS6detail17trampoline_kernelINS0_14default_configENS1_25partition_config_selectorILNS1_17partition_subalgoE3EtNS0_10empty_typeEbEEZZNS1_14partition_implILS5_3ELb0ES3_jN6thrust23THRUST_200600_302600_NS6detail15normal_iteratorINSA_7pointerItNSA_11hip_rocprim3tagENSA_11use_defaultESG_EEEEPS6_SJ_NS0_5tupleIJPtSJ_EEENSK_IJSJ_SJ_EEES6_PlJ7is_evenItEEEE10hipError_tPvRmT3_T4_T5_T6_T7_T9_mT8_P12ihipStream_tbDpT10_ENKUlT_T0_E_clISt17integral_constantIbLb0EES19_IbLb1EEEEDaS15_S16_EUlS15_E_NS1_11comp_targetILNS1_3genE0ELNS1_11target_archE4294967295ELNS1_3gpuE0ELNS1_3repE0EEENS1_30default_config_static_selectorELNS0_4arch9wavefront6targetE1EEEvT1_
	.globl	_ZN7rocprim17ROCPRIM_400000_NS6detail17trampoline_kernelINS0_14default_configENS1_25partition_config_selectorILNS1_17partition_subalgoE3EtNS0_10empty_typeEbEEZZNS1_14partition_implILS5_3ELb0ES3_jN6thrust23THRUST_200600_302600_NS6detail15normal_iteratorINSA_7pointerItNSA_11hip_rocprim3tagENSA_11use_defaultESG_EEEEPS6_SJ_NS0_5tupleIJPtSJ_EEENSK_IJSJ_SJ_EEES6_PlJ7is_evenItEEEE10hipError_tPvRmT3_T4_T5_T6_T7_T9_mT8_P12ihipStream_tbDpT10_ENKUlT_T0_E_clISt17integral_constantIbLb0EES19_IbLb1EEEEDaS15_S16_EUlS15_E_NS1_11comp_targetILNS1_3genE0ELNS1_11target_archE4294967295ELNS1_3gpuE0ELNS1_3repE0EEENS1_30default_config_static_selectorELNS0_4arch9wavefront6targetE1EEEvT1_
	.p2align	8
	.type	_ZN7rocprim17ROCPRIM_400000_NS6detail17trampoline_kernelINS0_14default_configENS1_25partition_config_selectorILNS1_17partition_subalgoE3EtNS0_10empty_typeEbEEZZNS1_14partition_implILS5_3ELb0ES3_jN6thrust23THRUST_200600_302600_NS6detail15normal_iteratorINSA_7pointerItNSA_11hip_rocprim3tagENSA_11use_defaultESG_EEEEPS6_SJ_NS0_5tupleIJPtSJ_EEENSK_IJSJ_SJ_EEES6_PlJ7is_evenItEEEE10hipError_tPvRmT3_T4_T5_T6_T7_T9_mT8_P12ihipStream_tbDpT10_ENKUlT_T0_E_clISt17integral_constantIbLb0EES19_IbLb1EEEEDaS15_S16_EUlS15_E_NS1_11comp_targetILNS1_3genE0ELNS1_11target_archE4294967295ELNS1_3gpuE0ELNS1_3repE0EEENS1_30default_config_static_selectorELNS0_4arch9wavefront6targetE1EEEvT1_,@function
_ZN7rocprim17ROCPRIM_400000_NS6detail17trampoline_kernelINS0_14default_configENS1_25partition_config_selectorILNS1_17partition_subalgoE3EtNS0_10empty_typeEbEEZZNS1_14partition_implILS5_3ELb0ES3_jN6thrust23THRUST_200600_302600_NS6detail15normal_iteratorINSA_7pointerItNSA_11hip_rocprim3tagENSA_11use_defaultESG_EEEEPS6_SJ_NS0_5tupleIJPtSJ_EEENSK_IJSJ_SJ_EEES6_PlJ7is_evenItEEEE10hipError_tPvRmT3_T4_T5_T6_T7_T9_mT8_P12ihipStream_tbDpT10_ENKUlT_T0_E_clISt17integral_constantIbLb0EES19_IbLb1EEEEDaS15_S16_EUlS15_E_NS1_11comp_targetILNS1_3genE0ELNS1_11target_archE4294967295ELNS1_3gpuE0ELNS1_3repE0EEENS1_30default_config_static_selectorELNS0_4arch9wavefront6targetE1EEEvT1_: ; @_ZN7rocprim17ROCPRIM_400000_NS6detail17trampoline_kernelINS0_14default_configENS1_25partition_config_selectorILNS1_17partition_subalgoE3EtNS0_10empty_typeEbEEZZNS1_14partition_implILS5_3ELb0ES3_jN6thrust23THRUST_200600_302600_NS6detail15normal_iteratorINSA_7pointerItNSA_11hip_rocprim3tagENSA_11use_defaultESG_EEEEPS6_SJ_NS0_5tupleIJPtSJ_EEENSK_IJSJ_SJ_EEES6_PlJ7is_evenItEEEE10hipError_tPvRmT3_T4_T5_T6_T7_T9_mT8_P12ihipStream_tbDpT10_ENKUlT_T0_E_clISt17integral_constantIbLb0EES19_IbLb1EEEEDaS15_S16_EUlS15_E_NS1_11comp_targetILNS1_3genE0ELNS1_11target_archE4294967295ELNS1_3gpuE0ELNS1_3repE0EEENS1_30default_config_static_selectorELNS0_4arch9wavefront6targetE1EEEvT1_
; %bb.0:
	.section	.rodata,"a",@progbits
	.p2align	6, 0x0
	.amdhsa_kernel _ZN7rocprim17ROCPRIM_400000_NS6detail17trampoline_kernelINS0_14default_configENS1_25partition_config_selectorILNS1_17partition_subalgoE3EtNS0_10empty_typeEbEEZZNS1_14partition_implILS5_3ELb0ES3_jN6thrust23THRUST_200600_302600_NS6detail15normal_iteratorINSA_7pointerItNSA_11hip_rocprim3tagENSA_11use_defaultESG_EEEEPS6_SJ_NS0_5tupleIJPtSJ_EEENSK_IJSJ_SJ_EEES6_PlJ7is_evenItEEEE10hipError_tPvRmT3_T4_T5_T6_T7_T9_mT8_P12ihipStream_tbDpT10_ENKUlT_T0_E_clISt17integral_constantIbLb0EES19_IbLb1EEEEDaS15_S16_EUlS15_E_NS1_11comp_targetILNS1_3genE0ELNS1_11target_archE4294967295ELNS1_3gpuE0ELNS1_3repE0EEENS1_30default_config_static_selectorELNS0_4arch9wavefront6targetE1EEEvT1_
		.amdhsa_group_segment_fixed_size 0
		.amdhsa_private_segment_fixed_size 0
		.amdhsa_kernarg_size 136
		.amdhsa_user_sgpr_count 6
		.amdhsa_user_sgpr_private_segment_buffer 1
		.amdhsa_user_sgpr_dispatch_ptr 0
		.amdhsa_user_sgpr_queue_ptr 0
		.amdhsa_user_sgpr_kernarg_segment_ptr 1
		.amdhsa_user_sgpr_dispatch_id 0
		.amdhsa_user_sgpr_flat_scratch_init 0
		.amdhsa_user_sgpr_kernarg_preload_length 0
		.amdhsa_user_sgpr_kernarg_preload_offset 0
		.amdhsa_user_sgpr_private_segment_size 0
		.amdhsa_uses_dynamic_stack 0
		.amdhsa_system_sgpr_private_segment_wavefront_offset 0
		.amdhsa_system_sgpr_workgroup_id_x 1
		.amdhsa_system_sgpr_workgroup_id_y 0
		.amdhsa_system_sgpr_workgroup_id_z 0
		.amdhsa_system_sgpr_workgroup_info 0
		.amdhsa_system_vgpr_workitem_id 0
		.amdhsa_next_free_vgpr 1
		.amdhsa_next_free_sgpr 0
		.amdhsa_accum_offset 4
		.amdhsa_reserve_vcc 0
		.amdhsa_reserve_flat_scratch 0
		.amdhsa_float_round_mode_32 0
		.amdhsa_float_round_mode_16_64 0
		.amdhsa_float_denorm_mode_32 3
		.amdhsa_float_denorm_mode_16_64 3
		.amdhsa_dx10_clamp 1
		.amdhsa_ieee_mode 1
		.amdhsa_fp16_overflow 0
		.amdhsa_tg_split 0
		.amdhsa_exception_fp_ieee_invalid_op 0
		.amdhsa_exception_fp_denorm_src 0
		.amdhsa_exception_fp_ieee_div_zero 0
		.amdhsa_exception_fp_ieee_overflow 0
		.amdhsa_exception_fp_ieee_underflow 0
		.amdhsa_exception_fp_ieee_inexact 0
		.amdhsa_exception_int_div_zero 0
	.end_amdhsa_kernel
	.section	.text._ZN7rocprim17ROCPRIM_400000_NS6detail17trampoline_kernelINS0_14default_configENS1_25partition_config_selectorILNS1_17partition_subalgoE3EtNS0_10empty_typeEbEEZZNS1_14partition_implILS5_3ELb0ES3_jN6thrust23THRUST_200600_302600_NS6detail15normal_iteratorINSA_7pointerItNSA_11hip_rocprim3tagENSA_11use_defaultESG_EEEEPS6_SJ_NS0_5tupleIJPtSJ_EEENSK_IJSJ_SJ_EEES6_PlJ7is_evenItEEEE10hipError_tPvRmT3_T4_T5_T6_T7_T9_mT8_P12ihipStream_tbDpT10_ENKUlT_T0_E_clISt17integral_constantIbLb0EES19_IbLb1EEEEDaS15_S16_EUlS15_E_NS1_11comp_targetILNS1_3genE0ELNS1_11target_archE4294967295ELNS1_3gpuE0ELNS1_3repE0EEENS1_30default_config_static_selectorELNS0_4arch9wavefront6targetE1EEEvT1_,"axG",@progbits,_ZN7rocprim17ROCPRIM_400000_NS6detail17trampoline_kernelINS0_14default_configENS1_25partition_config_selectorILNS1_17partition_subalgoE3EtNS0_10empty_typeEbEEZZNS1_14partition_implILS5_3ELb0ES3_jN6thrust23THRUST_200600_302600_NS6detail15normal_iteratorINSA_7pointerItNSA_11hip_rocprim3tagENSA_11use_defaultESG_EEEEPS6_SJ_NS0_5tupleIJPtSJ_EEENSK_IJSJ_SJ_EEES6_PlJ7is_evenItEEEE10hipError_tPvRmT3_T4_T5_T6_T7_T9_mT8_P12ihipStream_tbDpT10_ENKUlT_T0_E_clISt17integral_constantIbLb0EES19_IbLb1EEEEDaS15_S16_EUlS15_E_NS1_11comp_targetILNS1_3genE0ELNS1_11target_archE4294967295ELNS1_3gpuE0ELNS1_3repE0EEENS1_30default_config_static_selectorELNS0_4arch9wavefront6targetE1EEEvT1_,comdat
.Lfunc_end1180:
	.size	_ZN7rocprim17ROCPRIM_400000_NS6detail17trampoline_kernelINS0_14default_configENS1_25partition_config_selectorILNS1_17partition_subalgoE3EtNS0_10empty_typeEbEEZZNS1_14partition_implILS5_3ELb0ES3_jN6thrust23THRUST_200600_302600_NS6detail15normal_iteratorINSA_7pointerItNSA_11hip_rocprim3tagENSA_11use_defaultESG_EEEEPS6_SJ_NS0_5tupleIJPtSJ_EEENSK_IJSJ_SJ_EEES6_PlJ7is_evenItEEEE10hipError_tPvRmT3_T4_T5_T6_T7_T9_mT8_P12ihipStream_tbDpT10_ENKUlT_T0_E_clISt17integral_constantIbLb0EES19_IbLb1EEEEDaS15_S16_EUlS15_E_NS1_11comp_targetILNS1_3genE0ELNS1_11target_archE4294967295ELNS1_3gpuE0ELNS1_3repE0EEENS1_30default_config_static_selectorELNS0_4arch9wavefront6targetE1EEEvT1_, .Lfunc_end1180-_ZN7rocprim17ROCPRIM_400000_NS6detail17trampoline_kernelINS0_14default_configENS1_25partition_config_selectorILNS1_17partition_subalgoE3EtNS0_10empty_typeEbEEZZNS1_14partition_implILS5_3ELb0ES3_jN6thrust23THRUST_200600_302600_NS6detail15normal_iteratorINSA_7pointerItNSA_11hip_rocprim3tagENSA_11use_defaultESG_EEEEPS6_SJ_NS0_5tupleIJPtSJ_EEENSK_IJSJ_SJ_EEES6_PlJ7is_evenItEEEE10hipError_tPvRmT3_T4_T5_T6_T7_T9_mT8_P12ihipStream_tbDpT10_ENKUlT_T0_E_clISt17integral_constantIbLb0EES19_IbLb1EEEEDaS15_S16_EUlS15_E_NS1_11comp_targetILNS1_3genE0ELNS1_11target_archE4294967295ELNS1_3gpuE0ELNS1_3repE0EEENS1_30default_config_static_selectorELNS0_4arch9wavefront6targetE1EEEvT1_
                                        ; -- End function
	.section	.AMDGPU.csdata,"",@progbits
; Kernel info:
; codeLenInByte = 0
; NumSgprs: 4
; NumVgprs: 0
; NumAgprs: 0
; TotalNumVgprs: 0
; ScratchSize: 0
; MemoryBound: 0
; FloatMode: 240
; IeeeMode: 1
; LDSByteSize: 0 bytes/workgroup (compile time only)
; SGPRBlocks: 0
; VGPRBlocks: 0
; NumSGPRsForWavesPerEU: 4
; NumVGPRsForWavesPerEU: 1
; AccumOffset: 4
; Occupancy: 8
; WaveLimiterHint : 0
; COMPUTE_PGM_RSRC2:SCRATCH_EN: 0
; COMPUTE_PGM_RSRC2:USER_SGPR: 6
; COMPUTE_PGM_RSRC2:TRAP_HANDLER: 0
; COMPUTE_PGM_RSRC2:TGID_X_EN: 1
; COMPUTE_PGM_RSRC2:TGID_Y_EN: 0
; COMPUTE_PGM_RSRC2:TGID_Z_EN: 0
; COMPUTE_PGM_RSRC2:TIDIG_COMP_CNT: 0
; COMPUTE_PGM_RSRC3_GFX90A:ACCUM_OFFSET: 0
; COMPUTE_PGM_RSRC3_GFX90A:TG_SPLIT: 0
	.section	.text._ZN7rocprim17ROCPRIM_400000_NS6detail17trampoline_kernelINS0_14default_configENS1_25partition_config_selectorILNS1_17partition_subalgoE3EtNS0_10empty_typeEbEEZZNS1_14partition_implILS5_3ELb0ES3_jN6thrust23THRUST_200600_302600_NS6detail15normal_iteratorINSA_7pointerItNSA_11hip_rocprim3tagENSA_11use_defaultESG_EEEEPS6_SJ_NS0_5tupleIJPtSJ_EEENSK_IJSJ_SJ_EEES6_PlJ7is_evenItEEEE10hipError_tPvRmT3_T4_T5_T6_T7_T9_mT8_P12ihipStream_tbDpT10_ENKUlT_T0_E_clISt17integral_constantIbLb0EES19_IbLb1EEEEDaS15_S16_EUlS15_E_NS1_11comp_targetILNS1_3genE5ELNS1_11target_archE942ELNS1_3gpuE9ELNS1_3repE0EEENS1_30default_config_static_selectorELNS0_4arch9wavefront6targetE1EEEvT1_,"axG",@progbits,_ZN7rocprim17ROCPRIM_400000_NS6detail17trampoline_kernelINS0_14default_configENS1_25partition_config_selectorILNS1_17partition_subalgoE3EtNS0_10empty_typeEbEEZZNS1_14partition_implILS5_3ELb0ES3_jN6thrust23THRUST_200600_302600_NS6detail15normal_iteratorINSA_7pointerItNSA_11hip_rocprim3tagENSA_11use_defaultESG_EEEEPS6_SJ_NS0_5tupleIJPtSJ_EEENSK_IJSJ_SJ_EEES6_PlJ7is_evenItEEEE10hipError_tPvRmT3_T4_T5_T6_T7_T9_mT8_P12ihipStream_tbDpT10_ENKUlT_T0_E_clISt17integral_constantIbLb0EES19_IbLb1EEEEDaS15_S16_EUlS15_E_NS1_11comp_targetILNS1_3genE5ELNS1_11target_archE942ELNS1_3gpuE9ELNS1_3repE0EEENS1_30default_config_static_selectorELNS0_4arch9wavefront6targetE1EEEvT1_,comdat
	.protected	_ZN7rocprim17ROCPRIM_400000_NS6detail17trampoline_kernelINS0_14default_configENS1_25partition_config_selectorILNS1_17partition_subalgoE3EtNS0_10empty_typeEbEEZZNS1_14partition_implILS5_3ELb0ES3_jN6thrust23THRUST_200600_302600_NS6detail15normal_iteratorINSA_7pointerItNSA_11hip_rocprim3tagENSA_11use_defaultESG_EEEEPS6_SJ_NS0_5tupleIJPtSJ_EEENSK_IJSJ_SJ_EEES6_PlJ7is_evenItEEEE10hipError_tPvRmT3_T4_T5_T6_T7_T9_mT8_P12ihipStream_tbDpT10_ENKUlT_T0_E_clISt17integral_constantIbLb0EES19_IbLb1EEEEDaS15_S16_EUlS15_E_NS1_11comp_targetILNS1_3genE5ELNS1_11target_archE942ELNS1_3gpuE9ELNS1_3repE0EEENS1_30default_config_static_selectorELNS0_4arch9wavefront6targetE1EEEvT1_ ; -- Begin function _ZN7rocprim17ROCPRIM_400000_NS6detail17trampoline_kernelINS0_14default_configENS1_25partition_config_selectorILNS1_17partition_subalgoE3EtNS0_10empty_typeEbEEZZNS1_14partition_implILS5_3ELb0ES3_jN6thrust23THRUST_200600_302600_NS6detail15normal_iteratorINSA_7pointerItNSA_11hip_rocprim3tagENSA_11use_defaultESG_EEEEPS6_SJ_NS0_5tupleIJPtSJ_EEENSK_IJSJ_SJ_EEES6_PlJ7is_evenItEEEE10hipError_tPvRmT3_T4_T5_T6_T7_T9_mT8_P12ihipStream_tbDpT10_ENKUlT_T0_E_clISt17integral_constantIbLb0EES19_IbLb1EEEEDaS15_S16_EUlS15_E_NS1_11comp_targetILNS1_3genE5ELNS1_11target_archE942ELNS1_3gpuE9ELNS1_3repE0EEENS1_30default_config_static_selectorELNS0_4arch9wavefront6targetE1EEEvT1_
	.globl	_ZN7rocprim17ROCPRIM_400000_NS6detail17trampoline_kernelINS0_14default_configENS1_25partition_config_selectorILNS1_17partition_subalgoE3EtNS0_10empty_typeEbEEZZNS1_14partition_implILS5_3ELb0ES3_jN6thrust23THRUST_200600_302600_NS6detail15normal_iteratorINSA_7pointerItNSA_11hip_rocprim3tagENSA_11use_defaultESG_EEEEPS6_SJ_NS0_5tupleIJPtSJ_EEENSK_IJSJ_SJ_EEES6_PlJ7is_evenItEEEE10hipError_tPvRmT3_T4_T5_T6_T7_T9_mT8_P12ihipStream_tbDpT10_ENKUlT_T0_E_clISt17integral_constantIbLb0EES19_IbLb1EEEEDaS15_S16_EUlS15_E_NS1_11comp_targetILNS1_3genE5ELNS1_11target_archE942ELNS1_3gpuE9ELNS1_3repE0EEENS1_30default_config_static_selectorELNS0_4arch9wavefront6targetE1EEEvT1_
	.p2align	8
	.type	_ZN7rocprim17ROCPRIM_400000_NS6detail17trampoline_kernelINS0_14default_configENS1_25partition_config_selectorILNS1_17partition_subalgoE3EtNS0_10empty_typeEbEEZZNS1_14partition_implILS5_3ELb0ES3_jN6thrust23THRUST_200600_302600_NS6detail15normal_iteratorINSA_7pointerItNSA_11hip_rocprim3tagENSA_11use_defaultESG_EEEEPS6_SJ_NS0_5tupleIJPtSJ_EEENSK_IJSJ_SJ_EEES6_PlJ7is_evenItEEEE10hipError_tPvRmT3_T4_T5_T6_T7_T9_mT8_P12ihipStream_tbDpT10_ENKUlT_T0_E_clISt17integral_constantIbLb0EES19_IbLb1EEEEDaS15_S16_EUlS15_E_NS1_11comp_targetILNS1_3genE5ELNS1_11target_archE942ELNS1_3gpuE9ELNS1_3repE0EEENS1_30default_config_static_selectorELNS0_4arch9wavefront6targetE1EEEvT1_,@function
_ZN7rocprim17ROCPRIM_400000_NS6detail17trampoline_kernelINS0_14default_configENS1_25partition_config_selectorILNS1_17partition_subalgoE3EtNS0_10empty_typeEbEEZZNS1_14partition_implILS5_3ELb0ES3_jN6thrust23THRUST_200600_302600_NS6detail15normal_iteratorINSA_7pointerItNSA_11hip_rocprim3tagENSA_11use_defaultESG_EEEEPS6_SJ_NS0_5tupleIJPtSJ_EEENSK_IJSJ_SJ_EEES6_PlJ7is_evenItEEEE10hipError_tPvRmT3_T4_T5_T6_T7_T9_mT8_P12ihipStream_tbDpT10_ENKUlT_T0_E_clISt17integral_constantIbLb0EES19_IbLb1EEEEDaS15_S16_EUlS15_E_NS1_11comp_targetILNS1_3genE5ELNS1_11target_archE942ELNS1_3gpuE9ELNS1_3repE0EEENS1_30default_config_static_selectorELNS0_4arch9wavefront6targetE1EEEvT1_: ; @_ZN7rocprim17ROCPRIM_400000_NS6detail17trampoline_kernelINS0_14default_configENS1_25partition_config_selectorILNS1_17partition_subalgoE3EtNS0_10empty_typeEbEEZZNS1_14partition_implILS5_3ELb0ES3_jN6thrust23THRUST_200600_302600_NS6detail15normal_iteratorINSA_7pointerItNSA_11hip_rocprim3tagENSA_11use_defaultESG_EEEEPS6_SJ_NS0_5tupleIJPtSJ_EEENSK_IJSJ_SJ_EEES6_PlJ7is_evenItEEEE10hipError_tPvRmT3_T4_T5_T6_T7_T9_mT8_P12ihipStream_tbDpT10_ENKUlT_T0_E_clISt17integral_constantIbLb0EES19_IbLb1EEEEDaS15_S16_EUlS15_E_NS1_11comp_targetILNS1_3genE5ELNS1_11target_archE942ELNS1_3gpuE9ELNS1_3repE0EEENS1_30default_config_static_selectorELNS0_4arch9wavefront6targetE1EEEvT1_
; %bb.0:
	.section	.rodata,"a",@progbits
	.p2align	6, 0x0
	.amdhsa_kernel _ZN7rocprim17ROCPRIM_400000_NS6detail17trampoline_kernelINS0_14default_configENS1_25partition_config_selectorILNS1_17partition_subalgoE3EtNS0_10empty_typeEbEEZZNS1_14partition_implILS5_3ELb0ES3_jN6thrust23THRUST_200600_302600_NS6detail15normal_iteratorINSA_7pointerItNSA_11hip_rocprim3tagENSA_11use_defaultESG_EEEEPS6_SJ_NS0_5tupleIJPtSJ_EEENSK_IJSJ_SJ_EEES6_PlJ7is_evenItEEEE10hipError_tPvRmT3_T4_T5_T6_T7_T9_mT8_P12ihipStream_tbDpT10_ENKUlT_T0_E_clISt17integral_constantIbLb0EES19_IbLb1EEEEDaS15_S16_EUlS15_E_NS1_11comp_targetILNS1_3genE5ELNS1_11target_archE942ELNS1_3gpuE9ELNS1_3repE0EEENS1_30default_config_static_selectorELNS0_4arch9wavefront6targetE1EEEvT1_
		.amdhsa_group_segment_fixed_size 0
		.amdhsa_private_segment_fixed_size 0
		.amdhsa_kernarg_size 136
		.amdhsa_user_sgpr_count 6
		.amdhsa_user_sgpr_private_segment_buffer 1
		.amdhsa_user_sgpr_dispatch_ptr 0
		.amdhsa_user_sgpr_queue_ptr 0
		.amdhsa_user_sgpr_kernarg_segment_ptr 1
		.amdhsa_user_sgpr_dispatch_id 0
		.amdhsa_user_sgpr_flat_scratch_init 0
		.amdhsa_user_sgpr_kernarg_preload_length 0
		.amdhsa_user_sgpr_kernarg_preload_offset 0
		.amdhsa_user_sgpr_private_segment_size 0
		.amdhsa_uses_dynamic_stack 0
		.amdhsa_system_sgpr_private_segment_wavefront_offset 0
		.amdhsa_system_sgpr_workgroup_id_x 1
		.amdhsa_system_sgpr_workgroup_id_y 0
		.amdhsa_system_sgpr_workgroup_id_z 0
		.amdhsa_system_sgpr_workgroup_info 0
		.amdhsa_system_vgpr_workitem_id 0
		.amdhsa_next_free_vgpr 1
		.amdhsa_next_free_sgpr 0
		.amdhsa_accum_offset 4
		.amdhsa_reserve_vcc 0
		.amdhsa_reserve_flat_scratch 0
		.amdhsa_float_round_mode_32 0
		.amdhsa_float_round_mode_16_64 0
		.amdhsa_float_denorm_mode_32 3
		.amdhsa_float_denorm_mode_16_64 3
		.amdhsa_dx10_clamp 1
		.amdhsa_ieee_mode 1
		.amdhsa_fp16_overflow 0
		.amdhsa_tg_split 0
		.amdhsa_exception_fp_ieee_invalid_op 0
		.amdhsa_exception_fp_denorm_src 0
		.amdhsa_exception_fp_ieee_div_zero 0
		.amdhsa_exception_fp_ieee_overflow 0
		.amdhsa_exception_fp_ieee_underflow 0
		.amdhsa_exception_fp_ieee_inexact 0
		.amdhsa_exception_int_div_zero 0
	.end_amdhsa_kernel
	.section	.text._ZN7rocprim17ROCPRIM_400000_NS6detail17trampoline_kernelINS0_14default_configENS1_25partition_config_selectorILNS1_17partition_subalgoE3EtNS0_10empty_typeEbEEZZNS1_14partition_implILS5_3ELb0ES3_jN6thrust23THRUST_200600_302600_NS6detail15normal_iteratorINSA_7pointerItNSA_11hip_rocprim3tagENSA_11use_defaultESG_EEEEPS6_SJ_NS0_5tupleIJPtSJ_EEENSK_IJSJ_SJ_EEES6_PlJ7is_evenItEEEE10hipError_tPvRmT3_T4_T5_T6_T7_T9_mT8_P12ihipStream_tbDpT10_ENKUlT_T0_E_clISt17integral_constantIbLb0EES19_IbLb1EEEEDaS15_S16_EUlS15_E_NS1_11comp_targetILNS1_3genE5ELNS1_11target_archE942ELNS1_3gpuE9ELNS1_3repE0EEENS1_30default_config_static_selectorELNS0_4arch9wavefront6targetE1EEEvT1_,"axG",@progbits,_ZN7rocprim17ROCPRIM_400000_NS6detail17trampoline_kernelINS0_14default_configENS1_25partition_config_selectorILNS1_17partition_subalgoE3EtNS0_10empty_typeEbEEZZNS1_14partition_implILS5_3ELb0ES3_jN6thrust23THRUST_200600_302600_NS6detail15normal_iteratorINSA_7pointerItNSA_11hip_rocprim3tagENSA_11use_defaultESG_EEEEPS6_SJ_NS0_5tupleIJPtSJ_EEENSK_IJSJ_SJ_EEES6_PlJ7is_evenItEEEE10hipError_tPvRmT3_T4_T5_T6_T7_T9_mT8_P12ihipStream_tbDpT10_ENKUlT_T0_E_clISt17integral_constantIbLb0EES19_IbLb1EEEEDaS15_S16_EUlS15_E_NS1_11comp_targetILNS1_3genE5ELNS1_11target_archE942ELNS1_3gpuE9ELNS1_3repE0EEENS1_30default_config_static_selectorELNS0_4arch9wavefront6targetE1EEEvT1_,comdat
.Lfunc_end1181:
	.size	_ZN7rocprim17ROCPRIM_400000_NS6detail17trampoline_kernelINS0_14default_configENS1_25partition_config_selectorILNS1_17partition_subalgoE3EtNS0_10empty_typeEbEEZZNS1_14partition_implILS5_3ELb0ES3_jN6thrust23THRUST_200600_302600_NS6detail15normal_iteratorINSA_7pointerItNSA_11hip_rocprim3tagENSA_11use_defaultESG_EEEEPS6_SJ_NS0_5tupleIJPtSJ_EEENSK_IJSJ_SJ_EEES6_PlJ7is_evenItEEEE10hipError_tPvRmT3_T4_T5_T6_T7_T9_mT8_P12ihipStream_tbDpT10_ENKUlT_T0_E_clISt17integral_constantIbLb0EES19_IbLb1EEEEDaS15_S16_EUlS15_E_NS1_11comp_targetILNS1_3genE5ELNS1_11target_archE942ELNS1_3gpuE9ELNS1_3repE0EEENS1_30default_config_static_selectorELNS0_4arch9wavefront6targetE1EEEvT1_, .Lfunc_end1181-_ZN7rocprim17ROCPRIM_400000_NS6detail17trampoline_kernelINS0_14default_configENS1_25partition_config_selectorILNS1_17partition_subalgoE3EtNS0_10empty_typeEbEEZZNS1_14partition_implILS5_3ELb0ES3_jN6thrust23THRUST_200600_302600_NS6detail15normal_iteratorINSA_7pointerItNSA_11hip_rocprim3tagENSA_11use_defaultESG_EEEEPS6_SJ_NS0_5tupleIJPtSJ_EEENSK_IJSJ_SJ_EEES6_PlJ7is_evenItEEEE10hipError_tPvRmT3_T4_T5_T6_T7_T9_mT8_P12ihipStream_tbDpT10_ENKUlT_T0_E_clISt17integral_constantIbLb0EES19_IbLb1EEEEDaS15_S16_EUlS15_E_NS1_11comp_targetILNS1_3genE5ELNS1_11target_archE942ELNS1_3gpuE9ELNS1_3repE0EEENS1_30default_config_static_selectorELNS0_4arch9wavefront6targetE1EEEvT1_
                                        ; -- End function
	.section	.AMDGPU.csdata,"",@progbits
; Kernel info:
; codeLenInByte = 0
; NumSgprs: 4
; NumVgprs: 0
; NumAgprs: 0
; TotalNumVgprs: 0
; ScratchSize: 0
; MemoryBound: 0
; FloatMode: 240
; IeeeMode: 1
; LDSByteSize: 0 bytes/workgroup (compile time only)
; SGPRBlocks: 0
; VGPRBlocks: 0
; NumSGPRsForWavesPerEU: 4
; NumVGPRsForWavesPerEU: 1
; AccumOffset: 4
; Occupancy: 8
; WaveLimiterHint : 0
; COMPUTE_PGM_RSRC2:SCRATCH_EN: 0
; COMPUTE_PGM_RSRC2:USER_SGPR: 6
; COMPUTE_PGM_RSRC2:TRAP_HANDLER: 0
; COMPUTE_PGM_RSRC2:TGID_X_EN: 1
; COMPUTE_PGM_RSRC2:TGID_Y_EN: 0
; COMPUTE_PGM_RSRC2:TGID_Z_EN: 0
; COMPUTE_PGM_RSRC2:TIDIG_COMP_CNT: 0
; COMPUTE_PGM_RSRC3_GFX90A:ACCUM_OFFSET: 0
; COMPUTE_PGM_RSRC3_GFX90A:TG_SPLIT: 0
	.section	.text._ZN7rocprim17ROCPRIM_400000_NS6detail17trampoline_kernelINS0_14default_configENS1_25partition_config_selectorILNS1_17partition_subalgoE3EtNS0_10empty_typeEbEEZZNS1_14partition_implILS5_3ELb0ES3_jN6thrust23THRUST_200600_302600_NS6detail15normal_iteratorINSA_7pointerItNSA_11hip_rocprim3tagENSA_11use_defaultESG_EEEEPS6_SJ_NS0_5tupleIJPtSJ_EEENSK_IJSJ_SJ_EEES6_PlJ7is_evenItEEEE10hipError_tPvRmT3_T4_T5_T6_T7_T9_mT8_P12ihipStream_tbDpT10_ENKUlT_T0_E_clISt17integral_constantIbLb0EES19_IbLb1EEEEDaS15_S16_EUlS15_E_NS1_11comp_targetILNS1_3genE4ELNS1_11target_archE910ELNS1_3gpuE8ELNS1_3repE0EEENS1_30default_config_static_selectorELNS0_4arch9wavefront6targetE1EEEvT1_,"axG",@progbits,_ZN7rocprim17ROCPRIM_400000_NS6detail17trampoline_kernelINS0_14default_configENS1_25partition_config_selectorILNS1_17partition_subalgoE3EtNS0_10empty_typeEbEEZZNS1_14partition_implILS5_3ELb0ES3_jN6thrust23THRUST_200600_302600_NS6detail15normal_iteratorINSA_7pointerItNSA_11hip_rocprim3tagENSA_11use_defaultESG_EEEEPS6_SJ_NS0_5tupleIJPtSJ_EEENSK_IJSJ_SJ_EEES6_PlJ7is_evenItEEEE10hipError_tPvRmT3_T4_T5_T6_T7_T9_mT8_P12ihipStream_tbDpT10_ENKUlT_T0_E_clISt17integral_constantIbLb0EES19_IbLb1EEEEDaS15_S16_EUlS15_E_NS1_11comp_targetILNS1_3genE4ELNS1_11target_archE910ELNS1_3gpuE8ELNS1_3repE0EEENS1_30default_config_static_selectorELNS0_4arch9wavefront6targetE1EEEvT1_,comdat
	.protected	_ZN7rocprim17ROCPRIM_400000_NS6detail17trampoline_kernelINS0_14default_configENS1_25partition_config_selectorILNS1_17partition_subalgoE3EtNS0_10empty_typeEbEEZZNS1_14partition_implILS5_3ELb0ES3_jN6thrust23THRUST_200600_302600_NS6detail15normal_iteratorINSA_7pointerItNSA_11hip_rocprim3tagENSA_11use_defaultESG_EEEEPS6_SJ_NS0_5tupleIJPtSJ_EEENSK_IJSJ_SJ_EEES6_PlJ7is_evenItEEEE10hipError_tPvRmT3_T4_T5_T6_T7_T9_mT8_P12ihipStream_tbDpT10_ENKUlT_T0_E_clISt17integral_constantIbLb0EES19_IbLb1EEEEDaS15_S16_EUlS15_E_NS1_11comp_targetILNS1_3genE4ELNS1_11target_archE910ELNS1_3gpuE8ELNS1_3repE0EEENS1_30default_config_static_selectorELNS0_4arch9wavefront6targetE1EEEvT1_ ; -- Begin function _ZN7rocprim17ROCPRIM_400000_NS6detail17trampoline_kernelINS0_14default_configENS1_25partition_config_selectorILNS1_17partition_subalgoE3EtNS0_10empty_typeEbEEZZNS1_14partition_implILS5_3ELb0ES3_jN6thrust23THRUST_200600_302600_NS6detail15normal_iteratorINSA_7pointerItNSA_11hip_rocprim3tagENSA_11use_defaultESG_EEEEPS6_SJ_NS0_5tupleIJPtSJ_EEENSK_IJSJ_SJ_EEES6_PlJ7is_evenItEEEE10hipError_tPvRmT3_T4_T5_T6_T7_T9_mT8_P12ihipStream_tbDpT10_ENKUlT_T0_E_clISt17integral_constantIbLb0EES19_IbLb1EEEEDaS15_S16_EUlS15_E_NS1_11comp_targetILNS1_3genE4ELNS1_11target_archE910ELNS1_3gpuE8ELNS1_3repE0EEENS1_30default_config_static_selectorELNS0_4arch9wavefront6targetE1EEEvT1_
	.globl	_ZN7rocprim17ROCPRIM_400000_NS6detail17trampoline_kernelINS0_14default_configENS1_25partition_config_selectorILNS1_17partition_subalgoE3EtNS0_10empty_typeEbEEZZNS1_14partition_implILS5_3ELb0ES3_jN6thrust23THRUST_200600_302600_NS6detail15normal_iteratorINSA_7pointerItNSA_11hip_rocprim3tagENSA_11use_defaultESG_EEEEPS6_SJ_NS0_5tupleIJPtSJ_EEENSK_IJSJ_SJ_EEES6_PlJ7is_evenItEEEE10hipError_tPvRmT3_T4_T5_T6_T7_T9_mT8_P12ihipStream_tbDpT10_ENKUlT_T0_E_clISt17integral_constantIbLb0EES19_IbLb1EEEEDaS15_S16_EUlS15_E_NS1_11comp_targetILNS1_3genE4ELNS1_11target_archE910ELNS1_3gpuE8ELNS1_3repE0EEENS1_30default_config_static_selectorELNS0_4arch9wavefront6targetE1EEEvT1_
	.p2align	8
	.type	_ZN7rocprim17ROCPRIM_400000_NS6detail17trampoline_kernelINS0_14default_configENS1_25partition_config_selectorILNS1_17partition_subalgoE3EtNS0_10empty_typeEbEEZZNS1_14partition_implILS5_3ELb0ES3_jN6thrust23THRUST_200600_302600_NS6detail15normal_iteratorINSA_7pointerItNSA_11hip_rocprim3tagENSA_11use_defaultESG_EEEEPS6_SJ_NS0_5tupleIJPtSJ_EEENSK_IJSJ_SJ_EEES6_PlJ7is_evenItEEEE10hipError_tPvRmT3_T4_T5_T6_T7_T9_mT8_P12ihipStream_tbDpT10_ENKUlT_T0_E_clISt17integral_constantIbLb0EES19_IbLb1EEEEDaS15_S16_EUlS15_E_NS1_11comp_targetILNS1_3genE4ELNS1_11target_archE910ELNS1_3gpuE8ELNS1_3repE0EEENS1_30default_config_static_selectorELNS0_4arch9wavefront6targetE1EEEvT1_,@function
_ZN7rocprim17ROCPRIM_400000_NS6detail17trampoline_kernelINS0_14default_configENS1_25partition_config_selectorILNS1_17partition_subalgoE3EtNS0_10empty_typeEbEEZZNS1_14partition_implILS5_3ELb0ES3_jN6thrust23THRUST_200600_302600_NS6detail15normal_iteratorINSA_7pointerItNSA_11hip_rocprim3tagENSA_11use_defaultESG_EEEEPS6_SJ_NS0_5tupleIJPtSJ_EEENSK_IJSJ_SJ_EEES6_PlJ7is_evenItEEEE10hipError_tPvRmT3_T4_T5_T6_T7_T9_mT8_P12ihipStream_tbDpT10_ENKUlT_T0_E_clISt17integral_constantIbLb0EES19_IbLb1EEEEDaS15_S16_EUlS15_E_NS1_11comp_targetILNS1_3genE4ELNS1_11target_archE910ELNS1_3gpuE8ELNS1_3repE0EEENS1_30default_config_static_selectorELNS0_4arch9wavefront6targetE1EEEvT1_: ; @_ZN7rocprim17ROCPRIM_400000_NS6detail17trampoline_kernelINS0_14default_configENS1_25partition_config_selectorILNS1_17partition_subalgoE3EtNS0_10empty_typeEbEEZZNS1_14partition_implILS5_3ELb0ES3_jN6thrust23THRUST_200600_302600_NS6detail15normal_iteratorINSA_7pointerItNSA_11hip_rocprim3tagENSA_11use_defaultESG_EEEEPS6_SJ_NS0_5tupleIJPtSJ_EEENSK_IJSJ_SJ_EEES6_PlJ7is_evenItEEEE10hipError_tPvRmT3_T4_T5_T6_T7_T9_mT8_P12ihipStream_tbDpT10_ENKUlT_T0_E_clISt17integral_constantIbLb0EES19_IbLb1EEEEDaS15_S16_EUlS15_E_NS1_11comp_targetILNS1_3genE4ELNS1_11target_archE910ELNS1_3gpuE8ELNS1_3repE0EEENS1_30default_config_static_selectorELNS0_4arch9wavefront6targetE1EEEvT1_
; %bb.0:
	s_load_dwordx2 s[28:29], s[4:5], 0x28
	s_load_dwordx4 s[20:23], s[4:5], 0x48
	s_load_dwordx2 s[30:31], s[4:5], 0x58
	s_load_dwordx2 s[34:35], s[4:5], 0x68
	v_cmp_eq_u32_e64 s[0:1], 0, v0
	s_and_saveexec_b64 s[2:3], s[0:1]
	s_cbranch_execz .LBB1182_4
; %bb.1:
	s_mov_b64 s[8:9], exec
	v_mbcnt_lo_u32_b32 v1, s8, 0
	v_mbcnt_hi_u32_b32 v1, s9, v1
	v_cmp_eq_u32_e32 vcc, 0, v1
                                        ; implicit-def: $vgpr2
	s_and_saveexec_b64 s[6:7], vcc
	s_cbranch_execz .LBB1182_3
; %bb.2:
	s_load_dwordx2 s[10:11], s[4:5], 0x78
	s_bcnt1_i32_b64 s8, s[8:9]
	v_mov_b32_e32 v2, 0
	v_mov_b32_e32 v3, s8
	s_waitcnt lgkmcnt(0)
	global_atomic_add v2, v2, v3, s[10:11] glc
.LBB1182_3:
	s_or_b64 exec, exec, s[6:7]
	s_waitcnt vmcnt(0)
	v_readfirstlane_b32 s6, v2
	v_add_u32_e32 v1, s6, v1
	v_mov_b32_e32 v2, 0
	ds_write_b32 v2, v1
.LBB1182_4:
	s_or_b64 exec, exec, s[2:3]
	v_mov_b32_e32 v13, 0
	s_load_dwordx4 s[24:27], s[4:5], 0x8
	s_load_dword s2, s[4:5], 0x70
	s_waitcnt lgkmcnt(0)
	s_barrier
	ds_read_b32 v1, v13
	s_waitcnt lgkmcnt(0)
	s_barrier
	global_load_dwordx2 v[14:15], v13, s[22:23]
	s_lshl_b64 s[4:5], s[26:27], 1
	s_add_u32 s6, s24, s4
	s_addc_u32 s7, s25, s5
	s_movk_i32 s3, 0x1400
	s_add_i32 s4, s2, -1
	s_mulk_i32 s2, 0x1400
	v_mul_lo_u32 v12, v1, s3
	s_add_i32 s3, s2, s26
	s_sub_i32 s33, s30, s3
	s_addk_i32 s33, 0x1400
	s_add_u32 s2, s26, s2
	v_readfirstlane_b32 s40, v1
	s_addc_u32 s3, s27, 0
	s_cmp_eq_u32 s40, s4
	v_pk_mov_b32 v[2:3], s[30:31], s[30:31] op_sel:[0,1]
	s_cselect_b64 s[22:23], -1, 0
	s_cmp_lg_u32 s40, s4
	v_cmp_lt_u64_e32 vcc, s[2:3], v[2:3]
	s_cselect_b64 s[2:3], -1, 0
	v_lshlrev_b64 v[2:3], 1, v[12:13]
	s_or_b64 s[4:5], vcc, s[2:3]
	v_mov_b32_e32 v1, s7
	v_add_co_u32_e32 v2, vcc, s6, v2
	v_addc_co_u32_e32 v3, vcc, v1, v3, vcc
	s_mov_b64 s[2:3], -1
	s_and_b64 vcc, exec, s[4:5]
	v_lshlrev_b32_e32 v1, 1, v0
	s_cbranch_vccz .LBB1182_6
; %bb.5:
	v_add_co_u32_e32 v4, vcc, v2, v1
	v_addc_co_u32_e32 v5, vcc, 0, v3, vcc
	v_add_co_u32_e32 v6, vcc, 0x1000, v4
	v_addc_co_u32_e32 v7, vcc, 0, v5, vcc
	flat_load_ushort v8, v[4:5]
	flat_load_ushort v9, v[4:5] offset:512
	flat_load_ushort v10, v[4:5] offset:1024
	;; [unrolled: 1-line block ×7, first 2 shown]
	v_add_co_u32_e32 v4, vcc, 0x2000, v4
	v_addc_co_u32_e32 v5, vcc, 0, v5, vcc
	flat_load_ushort v19, v[6:7]
	flat_load_ushort v20, v[6:7] offset:512
	flat_load_ushort v21, v[6:7] offset:1024
	;; [unrolled: 1-line block ×7, first 2 shown]
	s_nop 0
	flat_load_ushort v6, v[4:5]
	flat_load_ushort v7, v[4:5] offset:512
	flat_load_ushort v27, v[4:5] offset:1024
	;; [unrolled: 1-line block ×3, first 2 shown]
	s_mov_b64 s[2:3], 0
	s_waitcnt vmcnt(0) lgkmcnt(0)
	ds_write_b16 v1, v8
	ds_write_b16 v1, v9 offset:512
	ds_write_b16 v1, v10 offset:1024
	;; [unrolled: 1-line block ×19, first 2 shown]
	s_waitcnt lgkmcnt(0)
	s_barrier
.LBB1182_6:
	s_andn2_b64 vcc, exec, s[2:3]
	v_cmp_gt_u32_e64 s[2:3], s33, v0
	s_cbranch_vccnz .LBB1182_48
; %bb.7:
                                        ; implicit-def: $vgpr4
	s_and_saveexec_b64 s[6:7], s[2:3]
	s_cbranch_execz .LBB1182_9
; %bb.8:
	v_add_co_u32_e32 v4, vcc, v2, v1
	v_addc_co_u32_e32 v5, vcc, 0, v3, vcc
	flat_load_ushort v4, v[4:5]
.LBB1182_9:
	s_or_b64 exec, exec, s[6:7]
	v_or_b32_e32 v5, 0x100, v0
	v_cmp_gt_u32_e32 vcc, s33, v5
                                        ; implicit-def: $vgpr5
	s_and_saveexec_b64 s[2:3], vcc
	s_cbranch_execz .LBB1182_11
; %bb.10:
	v_add_co_u32_e32 v6, vcc, v2, v1
	v_addc_co_u32_e32 v7, vcc, 0, v3, vcc
	flat_load_ushort v5, v[6:7] offset:512
.LBB1182_11:
	s_or_b64 exec, exec, s[2:3]
	v_or_b32_e32 v6, 0x200, v0
	v_cmp_gt_u32_e32 vcc, s33, v6
                                        ; implicit-def: $vgpr6
	s_and_saveexec_b64 s[2:3], vcc
	s_cbranch_execz .LBB1182_13
; %bb.12:
	v_add_co_u32_e32 v6, vcc, v2, v1
	v_addc_co_u32_e32 v7, vcc, 0, v3, vcc
	flat_load_ushort v6, v[6:7] offset:1024
.LBB1182_13:
	s_or_b64 exec, exec, s[2:3]
	v_or_b32_e32 v7, 0x300, v0
	v_cmp_gt_u32_e32 vcc, s33, v7
                                        ; implicit-def: $vgpr7
	s_and_saveexec_b64 s[2:3], vcc
	s_cbranch_execz .LBB1182_15
; %bb.14:
	v_add_co_u32_e32 v8, vcc, v2, v1
	v_addc_co_u32_e32 v9, vcc, 0, v3, vcc
	flat_load_ushort v7, v[8:9] offset:1536
.LBB1182_15:
	s_or_b64 exec, exec, s[2:3]
	v_or_b32_e32 v8, 0x400, v0
	v_cmp_gt_u32_e32 vcc, s33, v8
                                        ; implicit-def: $vgpr8
	s_and_saveexec_b64 s[2:3], vcc
	s_cbranch_execz .LBB1182_17
; %bb.16:
	v_add_co_u32_e32 v8, vcc, v2, v1
	v_addc_co_u32_e32 v9, vcc, 0, v3, vcc
	flat_load_ushort v8, v[8:9] offset:2048
.LBB1182_17:
	s_or_b64 exec, exec, s[2:3]
	v_or_b32_e32 v9, 0x500, v0
	v_cmp_gt_u32_e32 vcc, s33, v9
                                        ; implicit-def: $vgpr9
	s_and_saveexec_b64 s[2:3], vcc
	s_cbranch_execz .LBB1182_19
; %bb.18:
	v_add_co_u32_e32 v10, vcc, v2, v1
	v_addc_co_u32_e32 v11, vcc, 0, v3, vcc
	flat_load_ushort v9, v[10:11] offset:2560
.LBB1182_19:
	s_or_b64 exec, exec, s[2:3]
	v_or_b32_e32 v10, 0x600, v0
	v_cmp_gt_u32_e32 vcc, s33, v10
                                        ; implicit-def: $vgpr10
	s_and_saveexec_b64 s[2:3], vcc
	s_cbranch_execz .LBB1182_21
; %bb.20:
	v_add_co_u32_e32 v10, vcc, v2, v1
	v_addc_co_u32_e32 v11, vcc, 0, v3, vcc
	flat_load_ushort v10, v[10:11] offset:3072
.LBB1182_21:
	s_or_b64 exec, exec, s[2:3]
	v_or_b32_e32 v11, 0x700, v0
	v_cmp_gt_u32_e32 vcc, s33, v11
                                        ; implicit-def: $vgpr11
	s_and_saveexec_b64 s[2:3], vcc
	s_cbranch_execz .LBB1182_23
; %bb.22:
	v_add_co_u32_e32 v16, vcc, v2, v1
	v_addc_co_u32_e32 v17, vcc, 0, v3, vcc
	flat_load_ushort v11, v[16:17] offset:3584
.LBB1182_23:
	s_or_b64 exec, exec, s[2:3]
	v_or_b32_e32 v16, 0x800, v0
	v_cmp_gt_u32_e32 vcc, s33, v16
                                        ; implicit-def: $vgpr13
	s_and_saveexec_b64 s[2:3], vcc
	s_cbranch_execz .LBB1182_25
; %bb.24:
	v_lshlrev_b32_e32 v13, 1, v16
	v_add_co_u32_e32 v16, vcc, v2, v13
	v_addc_co_u32_e32 v17, vcc, 0, v3, vcc
	flat_load_ushort v13, v[16:17]
.LBB1182_25:
	s_or_b64 exec, exec, s[2:3]
	v_or_b32_e32 v17, 0x900, v0
	v_cmp_gt_u32_e32 vcc, s33, v17
                                        ; implicit-def: $vgpr16
	s_and_saveexec_b64 s[2:3], vcc
	s_cbranch_execz .LBB1182_27
; %bb.26:
	v_lshlrev_b32_e32 v16, 1, v17
	v_add_co_u32_e32 v16, vcc, v2, v16
	v_addc_co_u32_e32 v17, vcc, 0, v3, vcc
	flat_load_ushort v16, v[16:17]
.LBB1182_27:
	s_or_b64 exec, exec, s[2:3]
	v_or_b32_e32 v18, 0xa00, v0
	v_cmp_gt_u32_e32 vcc, s33, v18
                                        ; implicit-def: $vgpr17
	s_and_saveexec_b64 s[2:3], vcc
	s_cbranch_execz .LBB1182_29
; %bb.28:
	v_lshlrev_b32_e32 v17, 1, v18
	v_add_co_u32_e32 v18, vcc, v2, v17
	v_addc_co_u32_e32 v19, vcc, 0, v3, vcc
	flat_load_ushort v17, v[18:19]
.LBB1182_29:
	s_or_b64 exec, exec, s[2:3]
	v_or_b32_e32 v19, 0xb00, v0
	v_cmp_gt_u32_e32 vcc, s33, v19
                                        ; implicit-def: $vgpr18
	s_and_saveexec_b64 s[2:3], vcc
	s_cbranch_execz .LBB1182_31
; %bb.30:
	v_lshlrev_b32_e32 v18, 1, v19
	v_add_co_u32_e32 v18, vcc, v2, v18
	v_addc_co_u32_e32 v19, vcc, 0, v3, vcc
	flat_load_ushort v18, v[18:19]
.LBB1182_31:
	s_or_b64 exec, exec, s[2:3]
	v_or_b32_e32 v20, 0xc00, v0
	v_cmp_gt_u32_e32 vcc, s33, v20
                                        ; implicit-def: $vgpr19
	s_and_saveexec_b64 s[2:3], vcc
	s_cbranch_execz .LBB1182_33
; %bb.32:
	v_lshlrev_b32_e32 v19, 1, v20
	v_add_co_u32_e32 v20, vcc, v2, v19
	v_addc_co_u32_e32 v21, vcc, 0, v3, vcc
	flat_load_ushort v19, v[20:21]
.LBB1182_33:
	s_or_b64 exec, exec, s[2:3]
	v_or_b32_e32 v21, 0xd00, v0
	v_cmp_gt_u32_e32 vcc, s33, v21
                                        ; implicit-def: $vgpr20
	s_and_saveexec_b64 s[2:3], vcc
	s_cbranch_execz .LBB1182_35
; %bb.34:
	v_lshlrev_b32_e32 v20, 1, v21
	v_add_co_u32_e32 v20, vcc, v2, v20
	v_addc_co_u32_e32 v21, vcc, 0, v3, vcc
	flat_load_ushort v20, v[20:21]
.LBB1182_35:
	s_or_b64 exec, exec, s[2:3]
	v_or_b32_e32 v22, 0xe00, v0
	v_cmp_gt_u32_e32 vcc, s33, v22
                                        ; implicit-def: $vgpr21
	s_and_saveexec_b64 s[2:3], vcc
	s_cbranch_execz .LBB1182_37
; %bb.36:
	v_lshlrev_b32_e32 v21, 1, v22
	v_add_co_u32_e32 v22, vcc, v2, v21
	v_addc_co_u32_e32 v23, vcc, 0, v3, vcc
	flat_load_ushort v21, v[22:23]
.LBB1182_37:
	s_or_b64 exec, exec, s[2:3]
	v_or_b32_e32 v23, 0xf00, v0
	v_cmp_gt_u32_e32 vcc, s33, v23
                                        ; implicit-def: $vgpr22
	s_and_saveexec_b64 s[2:3], vcc
	s_cbranch_execz .LBB1182_39
; %bb.38:
	v_lshlrev_b32_e32 v22, 1, v23
	v_add_co_u32_e32 v22, vcc, v2, v22
	v_addc_co_u32_e32 v23, vcc, 0, v3, vcc
	flat_load_ushort v22, v[22:23]
.LBB1182_39:
	s_or_b64 exec, exec, s[2:3]
	v_or_b32_e32 v24, 0x1000, v0
	v_cmp_gt_u32_e32 vcc, s33, v24
                                        ; implicit-def: $vgpr23
	s_and_saveexec_b64 s[2:3], vcc
	s_cbranch_execz .LBB1182_41
; %bb.40:
	v_lshlrev_b32_e32 v23, 1, v24
	v_add_co_u32_e32 v24, vcc, v2, v23
	v_addc_co_u32_e32 v25, vcc, 0, v3, vcc
	flat_load_ushort v23, v[24:25]
.LBB1182_41:
	s_or_b64 exec, exec, s[2:3]
	v_or_b32_e32 v25, 0x1100, v0
	v_cmp_gt_u32_e32 vcc, s33, v25
                                        ; implicit-def: $vgpr24
	s_and_saveexec_b64 s[2:3], vcc
	s_cbranch_execz .LBB1182_43
; %bb.42:
	v_lshlrev_b32_e32 v24, 1, v25
	v_add_co_u32_e32 v24, vcc, v2, v24
	v_addc_co_u32_e32 v25, vcc, 0, v3, vcc
	flat_load_ushort v24, v[24:25]
.LBB1182_43:
	s_or_b64 exec, exec, s[2:3]
	v_or_b32_e32 v26, 0x1200, v0
	v_cmp_gt_u32_e32 vcc, s33, v26
                                        ; implicit-def: $vgpr25
	s_and_saveexec_b64 s[2:3], vcc
	s_cbranch_execz .LBB1182_45
; %bb.44:
	v_lshlrev_b32_e32 v25, 1, v26
	v_add_co_u32_e32 v26, vcc, v2, v25
	v_addc_co_u32_e32 v27, vcc, 0, v3, vcc
	flat_load_ushort v25, v[26:27]
.LBB1182_45:
	s_or_b64 exec, exec, s[2:3]
	v_or_b32_e32 v27, 0x1300, v0
	v_cmp_gt_u32_e32 vcc, s33, v27
                                        ; implicit-def: $vgpr26
	s_and_saveexec_b64 s[2:3], vcc
	s_cbranch_execz .LBB1182_47
; %bb.46:
	v_lshlrev_b32_e32 v26, 1, v27
	v_add_co_u32_e32 v2, vcc, v2, v26
	v_addc_co_u32_e32 v3, vcc, 0, v3, vcc
	flat_load_ushort v26, v[2:3]
.LBB1182_47:
	s_or_b64 exec, exec, s[2:3]
	s_waitcnt vmcnt(0) lgkmcnt(0)
	ds_write_b16 v1, v4
	ds_write_b16 v1, v5 offset:512
	ds_write_b16 v1, v6 offset:1024
	;; [unrolled: 1-line block ×19, first 2 shown]
	s_waitcnt lgkmcnt(0)
	s_barrier
.LBB1182_48:
	v_mul_u32_u24_e32 v34, 20, v0
	v_lshlrev_b32_e32 v6, 1, v34
	ds_read_b64 v[16:17], v6 offset:32
	ds_read2_b64 v[2:5], v6 offset0:2 offset1:3
	ds_read2_b64 v[6:9], v6 offset1:1
	v_cndmask_b32_e64 v10, 0, 1, s[4:5]
	v_cmp_ne_u32_e64 s[2:3], 1, v10
	s_waitcnt lgkmcnt(2)
	v_lshrrev_b32_e32 v26, 16, v16
	v_lshrrev_b32_e32 v13, 16, v17
	s_waitcnt lgkmcnt(1)
	v_lshrrev_b32_e32 v30, 16, v2
	v_lshrrev_b32_e32 v29, 16, v3
	;; [unrolled: 1-line block ×4, first 2 shown]
	s_waitcnt lgkmcnt(0)
	v_lshrrev_b32_e32 v35, 16, v6
	v_lshrrev_b32_e32 v33, 16, v7
	;; [unrolled: 1-line block ×4, first 2 shown]
	s_andn2_b64 vcc, exec, s[4:5]
	v_xor_b32_e32 v65, -1, v6
	v_xor_b32_e32 v64, -1, v35
	;; [unrolled: 1-line block ×20, first 2 shown]
	s_barrier
	s_cbranch_vccnz .LBB1182_50
; %bb.49:
	v_and_b32_e32 v55, 1, v65
	v_and_b32_e32 v54, 1, v64
	;; [unrolled: 1-line block ×20, first 2 shown]
	s_cbranch_execz .LBB1182_51
	s_branch .LBB1182_52
.LBB1182_50:
                                        ; implicit-def: $vgpr55
                                        ; implicit-def: $vgpr54
                                        ; implicit-def: $vgpr53
                                        ; implicit-def: $vgpr52
                                        ; implicit-def: $vgpr51
                                        ; implicit-def: $vgpr50
                                        ; implicit-def: $vgpr49
                                        ; implicit-def: $vgpr48
                                        ; implicit-def: $vgpr47
                                        ; implicit-def: $vgpr46
                                        ; implicit-def: $vgpr45
                                        ; implicit-def: $vgpr44
                                        ; implicit-def: $vgpr43
                                        ; implicit-def: $vgpr42
                                        ; implicit-def: $vgpr41
                                        ; implicit-def: $vgpr40
                                        ; implicit-def: $vgpr39
                                        ; implicit-def: $vgpr38
                                        ; implicit-def: $vgpr36
                                        ; implicit-def: $vgpr37
.LBB1182_51:
	v_or_b32_e32 v45, 1, v34
	v_cmp_gt_u32_e32 vcc, s33, v34
	v_or_b32_e32 v46, 2, v34
	v_cndmask_b32_e64 v50, 0, 1, vcc
	v_cmp_gt_u32_e32 vcc, s33, v45
	v_or_b32_e32 v47, 3, v34
	v_cndmask_b32_e64 v45, 0, 1, vcc
	v_cmp_gt_u32_e32 vcc, s33, v46
	v_add_u32_e32 v48, 4, v34
	v_and_b32_e32 v54, v45, v64
	v_cndmask_b32_e64 v45, 0, 1, vcc
	v_cmp_gt_u32_e32 vcc, s33, v47
	v_add_u32_e32 v49, 5, v34
	v_and_b32_e32 v53, v45, v63
	;; [unrolled: 4-line block ×5, first 2 shown]
	v_and_b32_e32 v50, v45, v60
	v_cndmask_b32_e64 v45, 0, 1, vcc
	v_cmp_gt_u32_e32 vcc, s33, v67
	v_add_u32_e32 v69, 9, v34
	v_and_b32_e32 v49, v45, v59
	v_cndmask_b32_e64 v45, 0, 1, vcc
	v_cmp_gt_u32_e32 vcc, s33, v68
	v_add_u32_e32 v70, 10, v34
	;; [unrolled: 4-line block ×11, first 2 shown]
	v_and_b32_e32 v39, v20, v19
	v_cndmask_b32_e64 v19, 0, 1, vcc
	v_cmp_gt_u32_e32 vcc, s33, v36
	v_and_b32_e32 v38, v19, v18
	v_cndmask_b32_e64 v18, 0, 1, vcc
	v_cmp_gt_u32_e32 vcc, s33, v37
	v_and_b32_e32 v36, v18, v11
	v_cndmask_b32_e64 v11, 0, 1, vcc
	v_and_b32_e32 v37, v11, v10
.LBB1182_52:
	v_and_b32_e32 v72, 0xff, v39
	v_and_b32_e32 v73, 0xff, v38
	v_add_u32_sdwa v10, v36, v37 dst_sel:DWORD dst_unused:UNUSED_PAD src0_sel:BYTE_0 src1_sel:BYTE_0
	v_and_b32_e32 v70, 0xff, v41
	v_and_b32_e32 v71, 0xff, v40
	v_add3_u32 v10, v10, v73, v72
	v_and_b32_e32 v68, 0xff, v43
	v_and_b32_e32 v69, 0xff, v42
	v_add3_u32 v10, v10, v71, v70
	;; [unrolled: 3-line block ×8, first 2 shown]
	v_add3_u32 v76, v10, v57, v56
	v_mbcnt_lo_u32_b32 v10, -1, 0
	v_mbcnt_hi_u32_b32 v74, -1, v10
	v_and_b32_e32 v10, 15, v74
	v_cmp_eq_u32_e64 s[16:17], 0, v10
	v_cmp_lt_u32_e64 s[14:15], 1, v10
	v_cmp_lt_u32_e64 s[12:13], 3, v10
	;; [unrolled: 1-line block ×3, first 2 shown]
	v_and_b32_e32 v10, 16, v74
	v_cmp_eq_u32_e64 s[8:9], 0, v10
	v_or_b32_e32 v10, 63, v0
	s_cmp_lg_u32 s40, 0
	v_cmp_lt_u32_e64 s[4:5], 31, v74
	v_lshrrev_b32_e32 v75, 6, v0
	v_cmp_eq_u32_e64 s[6:7], v10, v0
	s_cbranch_scc0 .LBB1182_79
; %bb.53:
	v_mov_b32_dpp v10, v76 row_shr:1 row_mask:0xf bank_mask:0xf
	v_cndmask_b32_e64 v10, v10, 0, s[16:17]
	v_add_u32_e32 v10, v10, v76
	s_nop 1
	v_mov_b32_dpp v11, v10 row_shr:2 row_mask:0xf bank_mask:0xf
	v_cndmask_b32_e64 v11, 0, v11, s[14:15]
	v_add_u32_e32 v10, v10, v11
	s_nop 1
	;; [unrolled: 4-line block ×4, first 2 shown]
	v_mov_b32_dpp v11, v10 row_bcast:15 row_mask:0xf bank_mask:0xf
	v_cndmask_b32_e64 v11, v11, 0, s[8:9]
	v_add_u32_e32 v10, v10, v11
	s_nop 1
	v_mov_b32_dpp v11, v10 row_bcast:31 row_mask:0xf bank_mask:0xf
	v_cndmask_b32_e64 v11, 0, v11, s[4:5]
	v_add_u32_e32 v10, v10, v11
	s_and_saveexec_b64 s[18:19], s[6:7]
	s_cbranch_execz .LBB1182_55
; %bb.54:
	v_lshlrev_b32_e32 v11, 2, v75
	ds_write_b32 v11, v10
.LBB1182_55:
	s_or_b64 exec, exec, s[18:19]
	v_cmp_gt_u32_e32 vcc, 4, v0
	s_waitcnt lgkmcnt(0)
	s_barrier
	s_and_saveexec_b64 s[18:19], vcc
	s_cbranch_execz .LBB1182_57
; %bb.56:
	v_lshlrev_b32_e32 v11, 2, v0
	ds_read_b32 v18, v11
	v_and_b32_e32 v19, 3, v74
	v_cmp_ne_u32_e32 vcc, 0, v19
	s_waitcnt lgkmcnt(0)
	v_mov_b32_dpp v20, v18 row_shr:1 row_mask:0xf bank_mask:0xf
	v_cndmask_b32_e32 v20, 0, v20, vcc
	v_add_u32_e32 v18, v20, v18
	v_cmp_lt_u32_e32 vcc, 1, v19
	s_nop 0
	v_mov_b32_dpp v20, v18 row_shr:2 row_mask:0xf bank_mask:0xf
	v_cndmask_b32_e32 v19, 0, v20, vcc
	v_add_u32_e32 v18, v18, v19
	ds_write_b32 v11, v18
.LBB1182_57:
	s_or_b64 exec, exec, s[18:19]
	v_cmp_gt_u32_e32 vcc, 64, v0
	v_cmp_lt_u32_e64 s[18:19], 63, v0
	s_waitcnt lgkmcnt(0)
	s_barrier
	s_waitcnt lgkmcnt(0)
                                        ; implicit-def: $vgpr77
	s_and_saveexec_b64 s[24:25], s[18:19]
	s_cbranch_execz .LBB1182_59
; %bb.58:
	v_lshl_add_u32 v11, v75, 2, -4
	ds_read_b32 v77, v11
	s_waitcnt lgkmcnt(0)
	v_add_u32_e32 v10, v77, v10
.LBB1182_59:
	s_or_b64 exec, exec, s[24:25]
	v_add_u32_e32 v11, -1, v74
	v_and_b32_e32 v18, 64, v74
	v_cmp_lt_i32_e64 s[18:19], v11, v18
	v_cndmask_b32_e64 v11, v11, v74, s[18:19]
	v_lshlrev_b32_e32 v11, 2, v11
	ds_bpermute_b32 v78, v11, v10
	v_cmp_eq_u32_e64 s[18:19], 0, v74
	s_and_saveexec_b64 s[24:25], vcc
	s_cbranch_execz .LBB1182_78
; %bb.60:
	v_mov_b32_e32 v23, 0
	ds_read_b32 v10, v23 offset:12
	s_and_saveexec_b64 s[36:37], s[18:19]
	s_cbranch_execz .LBB1182_62
; %bb.61:
	s_add_i32 s38, s40, 64
	s_mov_b32 s39, 0
	s_lshl_b64 s[38:39], s[38:39], 3
	s_add_u32 s38, s34, s38
	v_mov_b32_e32 v11, 1
	s_addc_u32 s39, s35, s39
	s_waitcnt lgkmcnt(0)
	global_store_dwordx2 v23, v[10:11], s[38:39]
.LBB1182_62:
	s_or_b64 exec, exec, s[36:37]
	v_xad_u32 v18, v74, -1, s40
	v_add_u32_e32 v22, 64, v18
	v_lshlrev_b64 v[20:21], 3, v[22:23]
	v_mov_b32_e32 v11, s35
	v_add_co_u32_e32 v24, vcc, s34, v20
	v_addc_co_u32_e32 v25, vcc, v11, v21, vcc
	global_load_dwordx2 v[20:21], v[24:25], off glc
	s_waitcnt vmcnt(0)
	v_cmp_eq_u16_sdwa s[38:39], v21, v23 src0_sel:BYTE_0 src1_sel:DWORD
	s_and_saveexec_b64 s[36:37], s[38:39]
	s_cbranch_execz .LBB1182_66
; %bb.63:
	s_mov_b64 s[38:39], 0
	v_mov_b32_e32 v11, 0
.LBB1182_64:                            ; =>This Inner Loop Header: Depth=1
	global_load_dwordx2 v[20:21], v[24:25], off glc
	s_waitcnt vmcnt(0)
	v_cmp_ne_u16_sdwa s[42:43], v21, v11 src0_sel:BYTE_0 src1_sel:DWORD
	s_or_b64 s[38:39], s[42:43], s[38:39]
	s_andn2_b64 exec, exec, s[38:39]
	s_cbranch_execnz .LBB1182_64
; %bb.65:
	s_or_b64 exec, exec, s[38:39]
.LBB1182_66:
	s_or_b64 exec, exec, s[36:37]
	v_and_b32_e32 v80, 63, v74
	v_mov_b32_e32 v79, 2
	v_cmp_ne_u32_e32 vcc, 63, v80
	v_cmp_eq_u16_sdwa s[36:37], v21, v79 src0_sel:BYTE_0 src1_sel:DWORD
	v_lshlrev_b64 v[22:23], v74, -1
	v_addc_co_u32_e32 v24, vcc, 0, v74, vcc
	v_and_b32_e32 v11, s37, v23
	v_lshlrev_b32_e32 v81, 2, v24
	v_or_b32_e32 v11, 0x80000000, v11
	ds_bpermute_b32 v24, v81, v20
	v_and_b32_e32 v19, s36, v22
	v_ffbl_b32_e32 v11, v11
	v_add_u32_e32 v11, 32, v11
	v_ffbl_b32_e32 v19, v19
	v_min_u32_e32 v11, v19, v11
	v_cmp_lt_u32_e32 vcc, v80, v11
	s_waitcnt lgkmcnt(0)
	v_cndmask_b32_e32 v19, 0, v24, vcc
	v_cmp_gt_u32_e32 vcc, 62, v80
	v_add_u32_e32 v19, v19, v20
	v_cndmask_b32_e64 v20, 0, 1, vcc
	v_lshlrev_b32_e32 v20, 1, v20
	v_add_lshl_u32 v82, v20, v74, 2
	ds_bpermute_b32 v20, v82, v19
	v_add_u32_e32 v83, 2, v80
	v_cmp_le_u32_e32 vcc, v83, v11
	v_add_u32_e32 v85, 4, v80
	v_add_u32_e32 v87, 8, v80
	s_waitcnt lgkmcnt(0)
	v_cndmask_b32_e32 v20, 0, v20, vcc
	v_cmp_gt_u32_e32 vcc, 60, v80
	v_add_u32_e32 v19, v19, v20
	v_cndmask_b32_e64 v20, 0, 1, vcc
	v_lshlrev_b32_e32 v20, 2, v20
	v_add_lshl_u32 v84, v20, v74, 2
	ds_bpermute_b32 v20, v84, v19
	v_cmp_le_u32_e32 vcc, v85, v11
	v_add_u32_e32 v89, 16, v80
	v_add_u32_e32 v91, 32, v80
	s_waitcnt lgkmcnt(0)
	v_cndmask_b32_e32 v20, 0, v20, vcc
	v_cmp_gt_u32_e32 vcc, 56, v80
	v_add_u32_e32 v19, v19, v20
	v_cndmask_b32_e64 v20, 0, 1, vcc
	v_lshlrev_b32_e32 v20, 3, v20
	v_add_lshl_u32 v86, v20, v74, 2
	ds_bpermute_b32 v20, v86, v19
	v_cmp_le_u32_e32 vcc, v87, v11
	s_waitcnt lgkmcnt(0)
	v_cndmask_b32_e32 v20, 0, v20, vcc
	v_cmp_gt_u32_e32 vcc, 48, v80
	v_add_u32_e32 v19, v19, v20
	v_cndmask_b32_e64 v20, 0, 1, vcc
	v_lshlrev_b32_e32 v20, 4, v20
	v_add_lshl_u32 v88, v20, v74, 2
	ds_bpermute_b32 v20, v88, v19
	v_cmp_le_u32_e32 vcc, v89, v11
	;; [unrolled: 9-line block ×3, first 2 shown]
	s_waitcnt lgkmcnt(0)
	v_cndmask_b32_e32 v11, 0, v20, vcc
	v_add_u32_e32 v20, v19, v11
	v_mov_b32_e32 v19, 0
	s_branch .LBB1182_68
.LBB1182_67:                            ;   in Loop: Header=BB1182_68 Depth=1
	s_or_b64 exec, exec, s[36:37]
	v_cmp_eq_u16_sdwa s[36:37], v21, v79 src0_sel:BYTE_0 src1_sel:DWORD
	v_and_b32_e32 v24, s37, v23
	v_or_b32_e32 v24, 0x80000000, v24
	ds_bpermute_b32 v92, v81, v20
	v_and_b32_e32 v25, s36, v22
	v_ffbl_b32_e32 v24, v24
	v_add_u32_e32 v24, 32, v24
	v_ffbl_b32_e32 v25, v25
	v_min_u32_e32 v24, v25, v24
	v_cmp_lt_u32_e32 vcc, v80, v24
	s_waitcnt lgkmcnt(0)
	v_cndmask_b32_e32 v25, 0, v92, vcc
	v_add_u32_e32 v20, v25, v20
	ds_bpermute_b32 v25, v82, v20
	v_cmp_le_u32_e32 vcc, v83, v24
	v_subrev_u32_e32 v18, 64, v18
	s_waitcnt lgkmcnt(0)
	v_cndmask_b32_e32 v25, 0, v25, vcc
	v_add_u32_e32 v20, v20, v25
	ds_bpermute_b32 v25, v84, v20
	v_cmp_le_u32_e32 vcc, v85, v24
	s_waitcnt lgkmcnt(0)
	v_cndmask_b32_e32 v25, 0, v25, vcc
	v_add_u32_e32 v20, v20, v25
	ds_bpermute_b32 v25, v86, v20
	v_cmp_le_u32_e32 vcc, v87, v24
	;; [unrolled: 5-line block ×4, first 2 shown]
	s_waitcnt lgkmcnt(0)
	v_cndmask_b32_e32 v24, 0, v25, vcc
	v_add3_u32 v20, v24, v11, v20
.LBB1182_68:                            ; =>This Loop Header: Depth=1
                                        ;     Child Loop BB1182_71 Depth 2
	v_cmp_ne_u16_sdwa s[36:37], v21, v79 src0_sel:BYTE_0 src1_sel:DWORD
	v_cndmask_b32_e64 v11, 0, 1, s[36:37]
	;;#ASMSTART
	;;#ASMEND
	v_cmp_ne_u32_e32 vcc, 0, v11
	s_cmp_lg_u64 vcc, exec
	v_mov_b32_e32 v11, v20
	s_cbranch_scc1 .LBB1182_73
; %bb.69:                               ;   in Loop: Header=BB1182_68 Depth=1
	v_lshlrev_b64 v[20:21], 3, v[18:19]
	v_mov_b32_e32 v25, s35
	v_add_co_u32_e32 v24, vcc, s34, v20
	v_addc_co_u32_e32 v25, vcc, v25, v21, vcc
	global_load_dwordx2 v[20:21], v[24:25], off glc
	s_waitcnt vmcnt(0)
	v_cmp_eq_u16_sdwa s[38:39], v21, v19 src0_sel:BYTE_0 src1_sel:DWORD
	s_and_saveexec_b64 s[36:37], s[38:39]
	s_cbranch_execz .LBB1182_67
; %bb.70:                               ;   in Loop: Header=BB1182_68 Depth=1
	s_mov_b64 s[38:39], 0
.LBB1182_71:                            ;   Parent Loop BB1182_68 Depth=1
                                        ; =>  This Inner Loop Header: Depth=2
	global_load_dwordx2 v[20:21], v[24:25], off glc
	s_waitcnt vmcnt(0)
	v_cmp_ne_u16_sdwa s[42:43], v21, v19 src0_sel:BYTE_0 src1_sel:DWORD
	s_or_b64 s[38:39], s[42:43], s[38:39]
	s_andn2_b64 exec, exec, s[38:39]
	s_cbranch_execnz .LBB1182_71
; %bb.72:                               ;   in Loop: Header=BB1182_68 Depth=1
	s_or_b64 exec, exec, s[38:39]
	s_branch .LBB1182_67
.LBB1182_73:                            ;   in Loop: Header=BB1182_68 Depth=1
                                        ; implicit-def: $vgpr20
                                        ; implicit-def: $vgpr21
	s_cbranch_execz .LBB1182_68
; %bb.74:
	s_and_saveexec_b64 s[36:37], s[18:19]
	s_cbranch_execz .LBB1182_76
; %bb.75:
	s_add_i32 s38, s40, 64
	s_mov_b32 s39, 0
	s_lshl_b64 s[38:39], s[38:39], 3
	s_add_u32 s38, s34, s38
	v_add_u32_e32 v18, v11, v10
	v_mov_b32_e32 v19, 2
	s_addc_u32 s39, s35, s39
	v_mov_b32_e32 v20, 0
	global_store_dwordx2 v20, v[18:19], s[38:39]
	ds_write_b64 v20, v[10:11] offset:10240
.LBB1182_76:
	s_or_b64 exec, exec, s[36:37]
	s_and_b64 exec, exec, s[0:1]
	s_cbranch_execz .LBB1182_78
; %bb.77:
	v_mov_b32_e32 v10, 0
	ds_write_b32 v10, v11 offset:12
.LBB1182_78:
	s_or_b64 exec, exec, s[24:25]
	v_mov_b32_e32 v10, 0
	s_waitcnt lgkmcnt(0)
	s_barrier
	ds_read_b32 v18, v10 offset:12
	s_waitcnt lgkmcnt(0)
	s_barrier
	ds_read_b64 v[10:11], v10 offset:10240
	v_cndmask_b32_e64 v19, v78, v77, s[18:19]
	v_cndmask_b32_e64 v19, v19, 0, s[0:1]
	v_add_u32_e32 v18, v18, v19
	s_branch .LBB1182_89
.LBB1182_79:
                                        ; implicit-def: $vgpr11
                                        ; implicit-def: $vgpr18
	s_cbranch_execz .LBB1182_89
; %bb.80:
	s_waitcnt lgkmcnt(0)
	v_mov_b32_dpp v10, v76 row_shr:1 row_mask:0xf bank_mask:0xf
	v_cndmask_b32_e64 v10, v10, 0, s[16:17]
	v_add_u32_e32 v10, v10, v76
	s_nop 1
	v_mov_b32_dpp v11, v10 row_shr:2 row_mask:0xf bank_mask:0xf
	v_cndmask_b32_e64 v11, 0, v11, s[14:15]
	v_add_u32_e32 v10, v10, v11
	s_nop 1
	;; [unrolled: 4-line block ×4, first 2 shown]
	v_mov_b32_dpp v11, v10 row_bcast:15 row_mask:0xf bank_mask:0xf
	v_cndmask_b32_e64 v11, v11, 0, s[8:9]
	v_add_u32_e32 v10, v10, v11
	s_nop 1
	v_mov_b32_dpp v11, v10 row_bcast:31 row_mask:0xf bank_mask:0xf
	v_cndmask_b32_e64 v11, 0, v11, s[4:5]
	v_add_u32_e32 v10, v10, v11
	s_and_saveexec_b64 s[4:5], s[6:7]
	s_cbranch_execz .LBB1182_82
; %bb.81:
	v_lshlrev_b32_e32 v11, 2, v75
	ds_write_b32 v11, v10
.LBB1182_82:
	s_or_b64 exec, exec, s[4:5]
	v_cmp_gt_u32_e32 vcc, 4, v0
	s_waitcnt lgkmcnt(0)
	s_barrier
	s_and_saveexec_b64 s[4:5], vcc
	s_cbranch_execz .LBB1182_84
; %bb.83:
	v_lshlrev_b32_e32 v11, 2, v0
	ds_read_b32 v18, v11
	v_and_b32_e32 v19, 3, v74
	v_cmp_ne_u32_e32 vcc, 0, v19
	s_waitcnt lgkmcnt(0)
	v_mov_b32_dpp v20, v18 row_shr:1 row_mask:0xf bank_mask:0xf
	v_cndmask_b32_e32 v20, 0, v20, vcc
	v_add_u32_e32 v18, v20, v18
	v_cmp_lt_u32_e32 vcc, 1, v19
	s_nop 0
	v_mov_b32_dpp v20, v18 row_shr:2 row_mask:0xf bank_mask:0xf
	v_cndmask_b32_e32 v19, 0, v20, vcc
	v_add_u32_e32 v18, v18, v19
	ds_write_b32 v11, v18
.LBB1182_84:
	s_or_b64 exec, exec, s[4:5]
	v_cmp_lt_u32_e32 vcc, 63, v0
	v_mov_b32_e32 v11, 0
	v_mov_b32_e32 v18, 0
	s_waitcnt lgkmcnt(0)
	s_barrier
	s_and_saveexec_b64 s[4:5], vcc
	s_cbranch_execz .LBB1182_86
; %bb.85:
	v_lshl_add_u32 v18, v75, 2, -4
	ds_read_b32 v18, v18
.LBB1182_86:
	s_or_b64 exec, exec, s[4:5]
	v_add_u32_e32 v19, -1, v74
	v_and_b32_e32 v20, 64, v74
	v_cmp_lt_i32_e32 vcc, v19, v20
	v_cndmask_b32_e32 v19, v19, v74, vcc
	s_waitcnt lgkmcnt(0)
	v_add_u32_e32 v10, v18, v10
	v_lshlrev_b32_e32 v19, 2, v19
	ds_bpermute_b32 v19, v19, v10
	ds_read_b32 v10, v11 offset:12
	s_and_saveexec_b64 s[4:5], s[0:1]
	s_cbranch_execz .LBB1182_88
; %bb.87:
	v_mov_b32_e32 v20, 0
	v_mov_b32_e32 v11, 2
	s_waitcnt lgkmcnt(0)
	global_store_dwordx2 v20, v[10:11], s[34:35] offset:512
.LBB1182_88:
	s_or_b64 exec, exec, s[4:5]
	v_cmp_eq_u32_e32 vcc, 0, v74
	s_waitcnt lgkmcnt(1)
	v_cndmask_b32_e32 v18, v19, v18, vcc
	v_mov_b32_e32 v11, 0
	v_cndmask_b32_e64 v18, v18, 0, s[0:1]
	s_waitcnt lgkmcnt(0)
	s_barrier
.LBB1182_89:
	v_add_u32_e32 v19, v18, v56
	v_add_u32_e32 v20, v19, v57
	;; [unrolled: 1-line block ×11, first 2 shown]
	s_waitcnt lgkmcnt(0)
	v_add_u32_e32 v34, v10, v34
	v_sub_u32_e32 v18, v18, v11
	v_and_b32_e32 v55, 1, v55
	v_add_u32_e32 v60, v59, v67
	v_sub_u32_e32 v67, v34, v18
	v_cmp_eq_u32_e32 vcc, 1, v55
	v_cndmask_b32_e32 v18, v67, v18, vcc
	v_lshlrev_b32_e32 v18, 1, v18
	ds_write_b16 v18, v6
	v_sub_u32_e32 v6, v19, v11
	v_sub_u32_e32 v18, v34, v6
	v_and_b32_e32 v19, 1, v54
	v_add_u32_e32 v18, 1, v18
	v_cmp_eq_u32_e32 vcc, 1, v19
	v_cndmask_b32_e32 v6, v18, v6, vcc
	v_lshlrev_b32_e32 v6, 1, v6
	ds_write_b16 v6, v35
	v_sub_u32_e32 v6, v20, v11
	v_sub_u32_e32 v18, v34, v6
	v_and_b32_e32 v19, 1, v53
	v_add_u32_e32 v18, 2, v18
	;; [unrolled: 8-line block ×12, first 2 shown]
	v_cmp_eq_u32_e32 vcc, 1, v6
	v_cndmask_b32_e32 v2, v3, v2, vcc
	v_add_u32_e32 v61, v60, v68
	v_lshlrev_b32_e32 v2, 1, v2
	ds_write_b16 v2, v4
	v_sub_u32_e32 v2, v61, v11
	v_sub_u32_e32 v3, v34, v2
	v_and_b32_e32 v4, 1, v42
	v_add_u32_e32 v3, 13, v3
	v_cmp_eq_u32_e32 vcc, 1, v4
	v_cndmask_b32_e32 v2, v3, v2, vcc
	v_add_u32_e32 v62, v61, v69
	v_lshlrev_b32_e32 v2, 1, v2
	ds_write_b16 v2, v28
	v_sub_u32_e32 v2, v62, v11
	v_sub_u32_e32 v3, v34, v2
	v_and_b32_e32 v4, 1, v41
	v_add_u32_e32 v3, 14, v3
	v_cmp_eq_u32_e32 vcc, 1, v4
	v_cndmask_b32_e32 v2, v3, v2, vcc
	v_add_u32_e32 v63, v62, v70
	v_lshlrev_b32_e32 v2, 1, v2
	ds_write_b16 v2, v5
	v_sub_u32_e32 v2, v63, v11
	v_sub_u32_e32 v3, v34, v2
	v_and_b32_e32 v4, 1, v40
	v_add_u32_e32 v3, 15, v3
	v_cmp_eq_u32_e32 vcc, 1, v4
	v_cndmask_b32_e32 v2, v3, v2, vcc
	v_add_u32_e32 v64, v63, v71
	v_lshlrev_b32_e32 v2, 1, v2
	ds_write_b16 v2, v27
	v_sub_u32_e32 v2, v64, v11
	v_sub_u32_e32 v3, v34, v2
	v_and_b32_e32 v4, 1, v39
	v_add_u32_e32 v3, 16, v3
	v_cmp_eq_u32_e32 vcc, 1, v4
	v_cndmask_b32_e32 v2, v3, v2, vcc
	v_add_u32_e32 v65, v64, v72
	v_lshlrev_b32_e32 v2, 1, v2
	ds_write_b16 v2, v16
	v_sub_u32_e32 v2, v65, v11
	v_sub_u32_e32 v3, v34, v2
	v_and_b32_e32 v4, 1, v38
	v_add_u32_e32 v3, 17, v3
	v_cmp_eq_u32_e32 vcc, 1, v4
	v_cndmask_b32_e32 v2, v3, v2, vcc
	v_add_u32_e32 v66, v65, v73
	v_lshlrev_b32_e32 v2, 1, v2
	ds_write_b16 v2, v26
	v_sub_u32_e32 v2, v66, v11
	v_sub_u32_e32 v3, v34, v2
	v_and_b32_e32 v4, 1, v36
	v_add_u32_e32 v3, 18, v3
	v_cmp_eq_u32_e32 vcc, 1, v4
	v_cndmask_b32_e32 v2, v3, v2, vcc
	v_lshlrev_b32_e32 v2, 1, v2
	ds_write_b16 v2, v17
	v_sub_u32_sdwa v2, v36, v11 dst_sel:DWORD dst_unused:UNUSED_PAD src0_sel:BYTE_0 src1_sel:DWORD
	v_add_u32_e32 v2, v66, v2
	v_sub_u32_e32 v3, v34, v2
	v_and_b32_e32 v4, 1, v37
	v_add_u32_e32 v3, 19, v3
	v_cmp_eq_u32_e32 vcc, 1, v4
	v_cndmask_b32_e32 v2, v3, v2, vcc
	v_lshlrev_b32_e32 v2, 1, v2
	ds_write_b16 v2, v13
	s_waitcnt lgkmcnt(0)
	s_barrier
	ds_read_u16 v50, v1
	ds_read_u16 v48, v1 offset:512
	ds_read_u16 v46, v1 offset:1024
	;; [unrolled: 1-line block ×19, first 2 shown]
	s_waitcnt vmcnt(0)
	v_add_co_u32_e32 v1, vcc, v14, v11
	v_addc_co_u32_e32 v4, vcc, 0, v15, vcc
	v_mov_b32_e32 v2, s27
	v_add_co_u32_e32 v3, vcc, s26, v12
	v_addc_co_u32_e32 v2, vcc, 0, v2, vcc
	v_mov_b32_e32 v7, s31
	v_sub_co_u32_e32 v3, vcc, s30, v3
	v_subb_co_u32_e32 v2, vcc, v7, v2, vcc
	v_add_co_u32_e32 v3, vcc, v3, v10
	v_addc_co_u32_e32 v2, vcc, 0, v2, vcc
	s_and_b64 vcc, exec, s[2:3]
	v_add_co_u32_e64 v7, s[2:3], v3, v1
	v_or_b32_e32 v49, 0x100, v0
	v_or_b32_e32 v47, 0x200, v0
	;; [unrolled: 1-line block ×19, first 2 shown]
	v_addc_co_u32_e64 v8, s[2:3], v2, v4, s[2:3]
	s_cbranch_vccnz .LBB1182_174
; %bb.90:
	v_cmp_ge_u32_e32 vcc, v0, v10
                                        ; implicit-def: $vgpr2_vgpr3
	s_and_saveexec_b64 s[2:3], vcc
	s_xor_b64 s[2:3], exec, s[2:3]
; %bb.91:
	v_not_b32_e32 v2, v0
	v_ashrrev_i32_e32 v3, 31, v2
	v_add_co_u32_e32 v2, vcc, v7, v2
	v_addc_co_u32_e32 v3, vcc, v8, v3, vcc
; %bb.92:
	s_andn2_saveexec_b64 s[2:3], s[2:3]
; %bb.93:
	v_add_co_u32_e32 v2, vcc, v1, v0
	v_addc_co_u32_e32 v3, vcc, 0, v4, vcc
; %bb.94:
	s_or_b64 exec, exec, s[2:3]
	v_lshlrev_b64 v[2:3], 1, v[2:3]
	v_mov_b32_e32 v11, s29
	v_add_co_u32_e32 v2, vcc, s28, v2
	v_addc_co_u32_e32 v3, vcc, v11, v3, vcc
	v_cmp_ge_u32_e32 vcc, v49, v10
	s_waitcnt lgkmcnt(14)
	global_store_short v[2:3], v50, off
                                        ; implicit-def: $vgpr2_vgpr3
	s_and_saveexec_b64 s[2:3], vcc
	s_xor_b64 s[2:3], exec, s[2:3]
; %bb.95:
	v_xor_b32_e32 v2, 0xfffffeff, v0
	v_ashrrev_i32_e32 v3, 31, v2
	v_add_co_u32_e32 v2, vcc, v7, v2
	v_addc_co_u32_e32 v3, vcc, v8, v3, vcc
; %bb.96:
	s_andn2_saveexec_b64 s[2:3], s[2:3]
; %bb.97:
	v_add_co_u32_e32 v2, vcc, v1, v49
	v_addc_co_u32_e32 v3, vcc, 0, v4, vcc
; %bb.98:
	s_or_b64 exec, exec, s[2:3]
	v_lshlrev_b64 v[2:3], 1, v[2:3]
	v_mov_b32_e32 v11, s29
	v_add_co_u32_e32 v2, vcc, s28, v2
	v_addc_co_u32_e32 v3, vcc, v11, v3, vcc
	v_cmp_ge_u32_e32 vcc, v47, v10
	global_store_short v[2:3], v48, off
                                        ; implicit-def: $vgpr2_vgpr3
	s_and_saveexec_b64 s[2:3], vcc
	s_xor_b64 s[2:3], exec, s[2:3]
; %bb.99:
	v_xor_b32_e32 v2, 0xfffffdff, v0
	v_ashrrev_i32_e32 v3, 31, v2
	v_add_co_u32_e32 v2, vcc, v7, v2
	v_addc_co_u32_e32 v3, vcc, v8, v3, vcc
; %bb.100:
	s_andn2_saveexec_b64 s[2:3], s[2:3]
; %bb.101:
	v_add_co_u32_e32 v2, vcc, v1, v47
	v_addc_co_u32_e32 v3, vcc, 0, v4, vcc
; %bb.102:
	s_or_b64 exec, exec, s[2:3]
	v_lshlrev_b64 v[2:3], 1, v[2:3]
	v_mov_b32_e32 v11, s29
	v_add_co_u32_e32 v2, vcc, s28, v2
	v_addc_co_u32_e32 v3, vcc, v11, v3, vcc
	v_cmp_ge_u32_e32 vcc, v45, v10
	;; [unrolled: 21-line block ×6, first 2 shown]
	s_waitcnt lgkmcnt(13)
	global_store_short v[2:3], v38, off
                                        ; implicit-def: $vgpr2_vgpr3
	s_and_saveexec_b64 s[2:3], vcc
	s_xor_b64 s[2:3], exec, s[2:3]
; %bb.119:
	v_xor_b32_e32 v2, 0xfffff8ff, v0
	v_ashrrev_i32_e32 v3, 31, v2
	v_add_co_u32_e32 v2, vcc, v7, v2
	v_addc_co_u32_e32 v3, vcc, v8, v3, vcc
; %bb.120:
	s_andn2_saveexec_b64 s[2:3], s[2:3]
; %bb.121:
	v_add_co_u32_e32 v2, vcc, v1, v37
	v_addc_co_u32_e32 v3, vcc, 0, v4, vcc
; %bb.122:
	s_or_b64 exec, exec, s[2:3]
	v_lshlrev_b64 v[2:3], 1, v[2:3]
	v_mov_b32_e32 v11, s29
	v_add_co_u32_e32 v2, vcc, s28, v2
	v_addc_co_u32_e32 v3, vcc, v11, v3, vcc
	v_cmp_ge_u32_e32 vcc, v35, v10
	s_waitcnt lgkmcnt(12)
	global_store_short v[2:3], v36, off
                                        ; implicit-def: $vgpr2_vgpr3
	s_and_saveexec_b64 s[2:3], vcc
	s_xor_b64 s[2:3], exec, s[2:3]
; %bb.123:
	v_xor_b32_e32 v2, 0xfffff7ff, v0
	v_ashrrev_i32_e32 v3, 31, v2
	v_add_co_u32_e32 v2, vcc, v7, v2
	v_addc_co_u32_e32 v3, vcc, v8, v3, vcc
; %bb.124:
	s_andn2_saveexec_b64 s[2:3], s[2:3]
; %bb.125:
	v_add_co_u32_e32 v2, vcc, v1, v35
	v_addc_co_u32_e32 v3, vcc, 0, v4, vcc
; %bb.126:
	s_or_b64 exec, exec, s[2:3]
	v_lshlrev_b64 v[2:3], 1, v[2:3]
	v_mov_b32_e32 v11, s29
	v_add_co_u32_e32 v2, vcc, s28, v2
	v_addc_co_u32_e32 v3, vcc, v11, v3, vcc
	v_cmp_ge_u32_e32 vcc, v33, v10
	;; [unrolled: 22-line block ×12, first 2 shown]
	s_waitcnt lgkmcnt(1)
	global_store_short v[2:3], v9, off
                                        ; implicit-def: $vgpr2_vgpr3
	s_and_saveexec_b64 s[2:3], vcc
	s_xor_b64 s[2:3], exec, s[2:3]
; %bb.167:
	v_xor_b32_e32 v2, 0xffffecff, v0
	v_ashrrev_i32_e32 v3, 31, v2
	v_add_co_u32_e32 v2, vcc, v7, v2
	v_addc_co_u32_e32 v3, vcc, v8, v3, vcc
; %bb.168:
	s_andn2_saveexec_b64 s[2:3], s[2:3]
; %bb.169:
	v_add_co_u32_e32 v2, vcc, v1, v6
	v_addc_co_u32_e32 v3, vcc, 0, v4, vcc
; %bb.170:
	s_or_b64 exec, exec, s[2:3]
	s_mov_b64 s[2:3], -1
.LBB1182_171:
	s_and_saveexec_b64 s[4:5], s[2:3]
	s_cbranch_execz .LBB1182_232
.LBB1182_172:
	v_lshlrev_b64 v[2:3], 1, v[2:3]
	v_mov_b32_e32 v0, s29
	v_add_co_u32_e32 v2, vcc, s28, v2
	v_addc_co_u32_e32 v3, vcc, v0, v3, vcc
	s_waitcnt lgkmcnt(0)
	global_store_short v[2:3], v5, off
	s_or_b64 exec, exec, s[4:5]
	s_and_b64 s[0:1], s[0:1], s[22:23]
	s_and_saveexec_b64 s[2:3], s[0:1]
	s_cbranch_execnz .LBB1182_233
.LBB1182_173:
	s_endpgm
.LBB1182_174:
	s_mov_b64 s[2:3], 0
                                        ; implicit-def: $vgpr2_vgpr3
	s_cbranch_execz .LBB1182_171
; %bb.175:
	v_cmp_gt_u32_e32 vcc, s33, v0
	s_and_saveexec_b64 s[4:5], vcc
	s_cbranch_execz .LBB1182_234
; %bb.176:
	v_cmp_ge_u32_e32 vcc, v0, v10
                                        ; implicit-def: $vgpr2_vgpr3
	s_and_saveexec_b64 s[6:7], vcc
	s_xor_b64 s[6:7], exec, s[6:7]
; %bb.177:
	v_not_b32_e32 v2, v0
	v_ashrrev_i32_e32 v3, 31, v2
	v_add_co_u32_e32 v2, vcc, v7, v2
	v_addc_co_u32_e32 v3, vcc, v8, v3, vcc
; %bb.178:
	s_andn2_saveexec_b64 s[6:7], s[6:7]
; %bb.179:
	v_add_co_u32_e32 v2, vcc, v1, v0
	v_addc_co_u32_e32 v3, vcc, 0, v4, vcc
; %bb.180:
	s_or_b64 exec, exec, s[6:7]
	v_lshlrev_b64 v[2:3], 1, v[2:3]
	v_mov_b32_e32 v11, s29
	v_add_co_u32_e32 v2, vcc, s28, v2
	v_addc_co_u32_e32 v3, vcc, v11, v3, vcc
	s_waitcnt lgkmcnt(14)
	global_store_short v[2:3], v50, off
	s_or_b64 exec, exec, s[4:5]
	v_cmp_gt_u32_e32 vcc, s33, v49
	s_and_saveexec_b64 s[4:5], vcc
	s_cbranch_execnz .LBB1182_235
.LBB1182_181:
	s_or_b64 exec, exec, s[4:5]
	v_cmp_gt_u32_e32 vcc, s33, v47
	s_and_saveexec_b64 s[4:5], vcc
	s_cbranch_execz .LBB1182_240
.LBB1182_182:
	v_cmp_ge_u32_e32 vcc, v47, v10
                                        ; implicit-def: $vgpr2_vgpr3
	s_and_saveexec_b64 s[6:7], vcc
	s_xor_b64 s[6:7], exec, s[6:7]
; %bb.183:
	v_xor_b32_e32 v2, 0xfffffdff, v0
	v_ashrrev_i32_e32 v3, 31, v2
	v_add_co_u32_e32 v2, vcc, v7, v2
	v_addc_co_u32_e32 v3, vcc, v8, v3, vcc
                                        ; implicit-def: $vgpr47
; %bb.184:
	s_andn2_saveexec_b64 s[6:7], s[6:7]
; %bb.185:
	v_add_co_u32_e32 v2, vcc, v1, v47
	v_addc_co_u32_e32 v3, vcc, 0, v4, vcc
; %bb.186:
	s_or_b64 exec, exec, s[6:7]
	v_lshlrev_b64 v[2:3], 1, v[2:3]
	v_mov_b32_e32 v11, s29
	v_add_co_u32_e32 v2, vcc, s28, v2
	v_addc_co_u32_e32 v3, vcc, v11, v3, vcc
	s_waitcnt lgkmcnt(14)
	global_store_short v[2:3], v46, off
	s_or_b64 exec, exec, s[4:5]
	v_cmp_gt_u32_e32 vcc, s33, v45
	s_and_saveexec_b64 s[4:5], vcc
	s_cbranch_execnz .LBB1182_241
.LBB1182_187:
	s_or_b64 exec, exec, s[4:5]
	v_cmp_gt_u32_e32 vcc, s33, v43
	s_and_saveexec_b64 s[4:5], vcc
	s_cbranch_execz .LBB1182_246
.LBB1182_188:
	v_cmp_ge_u32_e32 vcc, v43, v10
                                        ; implicit-def: $vgpr2_vgpr3
	s_and_saveexec_b64 s[6:7], vcc
	s_xor_b64 s[6:7], exec, s[6:7]
; %bb.189:
	v_xor_b32_e32 v2, 0xfffffbff, v0
	v_ashrrev_i32_e32 v3, 31, v2
	v_add_co_u32_e32 v2, vcc, v7, v2
	v_addc_co_u32_e32 v3, vcc, v8, v3, vcc
                                        ; implicit-def: $vgpr43
; %bb.190:
	s_andn2_saveexec_b64 s[6:7], s[6:7]
; %bb.191:
	v_add_co_u32_e32 v2, vcc, v1, v43
	v_addc_co_u32_e32 v3, vcc, 0, v4, vcc
; %bb.192:
	s_or_b64 exec, exec, s[6:7]
	v_lshlrev_b64 v[2:3], 1, v[2:3]
	v_mov_b32_e32 v11, s29
	v_add_co_u32_e32 v2, vcc, s28, v2
	v_addc_co_u32_e32 v3, vcc, v11, v3, vcc
	s_waitcnt lgkmcnt(14)
	global_store_short v[2:3], v42, off
	s_or_b64 exec, exec, s[4:5]
	v_cmp_gt_u32_e32 vcc, s33, v41
	s_and_saveexec_b64 s[4:5], vcc
	s_cbranch_execnz .LBB1182_247
.LBB1182_193:
	s_or_b64 exec, exec, s[4:5]
	v_cmp_gt_u32_e32 vcc, s33, v39
	s_and_saveexec_b64 s[4:5], vcc
	s_cbranch_execz .LBB1182_252
.LBB1182_194:
	v_cmp_ge_u32_e32 vcc, v39, v10
                                        ; implicit-def: $vgpr2_vgpr3
	s_and_saveexec_b64 s[6:7], vcc
	s_xor_b64 s[6:7], exec, s[6:7]
; %bb.195:
	v_xor_b32_e32 v2, 0xfffff9ff, v0
	v_ashrrev_i32_e32 v3, 31, v2
	v_add_co_u32_e32 v2, vcc, v7, v2
	v_addc_co_u32_e32 v3, vcc, v8, v3, vcc
                                        ; implicit-def: $vgpr39
; %bb.196:
	s_andn2_saveexec_b64 s[6:7], s[6:7]
; %bb.197:
	v_add_co_u32_e32 v2, vcc, v1, v39
	v_addc_co_u32_e32 v3, vcc, 0, v4, vcc
; %bb.198:
	s_or_b64 exec, exec, s[6:7]
	v_lshlrev_b64 v[2:3], 1, v[2:3]
	v_mov_b32_e32 v11, s29
	v_add_co_u32_e32 v2, vcc, s28, v2
	v_addc_co_u32_e32 v3, vcc, v11, v3, vcc
	s_waitcnt lgkmcnt(13)
	global_store_short v[2:3], v38, off
	s_or_b64 exec, exec, s[4:5]
	v_cmp_gt_u32_e32 vcc, s33, v37
	s_and_saveexec_b64 s[4:5], vcc
	s_cbranch_execnz .LBB1182_253
.LBB1182_199:
	s_or_b64 exec, exec, s[4:5]
	v_cmp_gt_u32_e32 vcc, s33, v35
	s_and_saveexec_b64 s[4:5], vcc
	s_cbranch_execz .LBB1182_258
.LBB1182_200:
	v_cmp_ge_u32_e32 vcc, v35, v10
                                        ; implicit-def: $vgpr2_vgpr3
	s_and_saveexec_b64 s[6:7], vcc
	s_xor_b64 s[6:7], exec, s[6:7]
; %bb.201:
	v_xor_b32_e32 v2, 0xfffff7ff, v0
	v_ashrrev_i32_e32 v3, 31, v2
	v_add_co_u32_e32 v2, vcc, v7, v2
	v_addc_co_u32_e32 v3, vcc, v8, v3, vcc
                                        ; implicit-def: $vgpr35
; %bb.202:
	s_andn2_saveexec_b64 s[6:7], s[6:7]
; %bb.203:
	v_add_co_u32_e32 v2, vcc, v1, v35
	v_addc_co_u32_e32 v3, vcc, 0, v4, vcc
; %bb.204:
	s_or_b64 exec, exec, s[6:7]
	v_lshlrev_b64 v[2:3], 1, v[2:3]
	v_mov_b32_e32 v11, s29
	v_add_co_u32_e32 v2, vcc, s28, v2
	v_addc_co_u32_e32 v3, vcc, v11, v3, vcc
	s_waitcnt lgkmcnt(11)
	global_store_short v[2:3], v34, off
	s_or_b64 exec, exec, s[4:5]
	v_cmp_gt_u32_e32 vcc, s33, v33
	s_and_saveexec_b64 s[4:5], vcc
	s_cbranch_execnz .LBB1182_259
.LBB1182_205:
	s_or_b64 exec, exec, s[4:5]
	v_cmp_gt_u32_e32 vcc, s33, v31
	s_and_saveexec_b64 s[4:5], vcc
	s_cbranch_execz .LBB1182_264
.LBB1182_206:
	v_cmp_ge_u32_e32 vcc, v31, v10
                                        ; implicit-def: $vgpr2_vgpr3
	s_and_saveexec_b64 s[6:7], vcc
	s_xor_b64 s[6:7], exec, s[6:7]
; %bb.207:
	v_xor_b32_e32 v2, 0xfffff5ff, v0
	v_ashrrev_i32_e32 v3, 31, v2
	v_add_co_u32_e32 v2, vcc, v7, v2
	v_addc_co_u32_e32 v3, vcc, v8, v3, vcc
                                        ; implicit-def: $vgpr31
; %bb.208:
	s_andn2_saveexec_b64 s[6:7], s[6:7]
; %bb.209:
	v_add_co_u32_e32 v2, vcc, v1, v31
	v_addc_co_u32_e32 v3, vcc, 0, v4, vcc
; %bb.210:
	s_or_b64 exec, exec, s[6:7]
	v_lshlrev_b64 v[2:3], 1, v[2:3]
	v_mov_b32_e32 v11, s29
	v_add_co_u32_e32 v2, vcc, s28, v2
	v_addc_co_u32_e32 v3, vcc, v11, v3, vcc
	s_waitcnt lgkmcnt(9)
	global_store_short v[2:3], v30, off
	s_or_b64 exec, exec, s[4:5]
	v_cmp_gt_u32_e32 vcc, s33, v29
	s_and_saveexec_b64 s[4:5], vcc
	s_cbranch_execnz .LBB1182_265
.LBB1182_211:
	s_or_b64 exec, exec, s[4:5]
	v_cmp_gt_u32_e32 vcc, s33, v27
	s_and_saveexec_b64 s[4:5], vcc
	s_cbranch_execz .LBB1182_270
.LBB1182_212:
	v_cmp_ge_u32_e32 vcc, v27, v10
                                        ; implicit-def: $vgpr2_vgpr3
	s_and_saveexec_b64 s[6:7], vcc
	s_xor_b64 s[6:7], exec, s[6:7]
; %bb.213:
	v_xor_b32_e32 v2, 0xfffff3ff, v0
	v_ashrrev_i32_e32 v3, 31, v2
	v_add_co_u32_e32 v2, vcc, v7, v2
	v_addc_co_u32_e32 v3, vcc, v8, v3, vcc
                                        ; implicit-def: $vgpr27
; %bb.214:
	s_andn2_saveexec_b64 s[6:7], s[6:7]
; %bb.215:
	v_add_co_u32_e32 v2, vcc, v1, v27
	v_addc_co_u32_e32 v3, vcc, 0, v4, vcc
; %bb.216:
	s_or_b64 exec, exec, s[6:7]
	v_lshlrev_b64 v[2:3], 1, v[2:3]
	v_mov_b32_e32 v11, s29
	v_add_co_u32_e32 v2, vcc, s28, v2
	v_addc_co_u32_e32 v3, vcc, v11, v3, vcc
	s_waitcnt lgkmcnt(7)
	global_store_short v[2:3], v26, off
	s_or_b64 exec, exec, s[4:5]
	v_cmp_gt_u32_e32 vcc, s33, v25
	s_and_saveexec_b64 s[4:5], vcc
	s_cbranch_execnz .LBB1182_271
.LBB1182_217:
	s_or_b64 exec, exec, s[4:5]
	v_cmp_gt_u32_e32 vcc, s33, v23
	s_and_saveexec_b64 s[4:5], vcc
	s_cbranch_execz .LBB1182_276
.LBB1182_218:
	v_cmp_ge_u32_e32 vcc, v23, v10
                                        ; implicit-def: $vgpr2_vgpr3
	s_and_saveexec_b64 s[6:7], vcc
	s_xor_b64 s[6:7], exec, s[6:7]
; %bb.219:
	v_xor_b32_e32 v2, 0xfffff1ff, v0
	v_ashrrev_i32_e32 v3, 31, v2
	v_add_co_u32_e32 v2, vcc, v7, v2
	v_addc_co_u32_e32 v3, vcc, v8, v3, vcc
                                        ; implicit-def: $vgpr23
; %bb.220:
	s_andn2_saveexec_b64 s[6:7], s[6:7]
; %bb.221:
	v_add_co_u32_e32 v2, vcc, v1, v23
	v_addc_co_u32_e32 v3, vcc, 0, v4, vcc
; %bb.222:
	s_or_b64 exec, exec, s[6:7]
	v_lshlrev_b64 v[2:3], 1, v[2:3]
	v_mov_b32_e32 v11, s29
	v_add_co_u32_e32 v2, vcc, s28, v2
	v_addc_co_u32_e32 v3, vcc, v11, v3, vcc
	s_waitcnt lgkmcnt(5)
	global_store_short v[2:3], v22, off
	s_or_b64 exec, exec, s[4:5]
	v_cmp_gt_u32_e32 vcc, s33, v21
	s_and_saveexec_b64 s[4:5], vcc
	s_cbranch_execnz .LBB1182_277
.LBB1182_223:
	s_or_b64 exec, exec, s[4:5]
	v_cmp_gt_u32_e32 vcc, s33, v19
	s_and_saveexec_b64 s[4:5], vcc
	s_cbranch_execz .LBB1182_282
.LBB1182_224:
	v_cmp_ge_u32_e32 vcc, v19, v10
                                        ; implicit-def: $vgpr2_vgpr3
	s_and_saveexec_b64 s[6:7], vcc
	s_xor_b64 s[6:7], exec, s[6:7]
; %bb.225:
	v_xor_b32_e32 v2, 0xffffefff, v0
	v_ashrrev_i32_e32 v3, 31, v2
	v_add_co_u32_e32 v2, vcc, v7, v2
	v_addc_co_u32_e32 v3, vcc, v8, v3, vcc
                                        ; implicit-def: $vgpr19
; %bb.226:
	s_andn2_saveexec_b64 s[6:7], s[6:7]
; %bb.227:
	v_add_co_u32_e32 v2, vcc, v1, v19
	v_addc_co_u32_e32 v3, vcc, 0, v4, vcc
; %bb.228:
	s_or_b64 exec, exec, s[6:7]
	v_lshlrev_b64 v[2:3], 1, v[2:3]
	v_mov_b32_e32 v11, s29
	v_add_co_u32_e32 v2, vcc, s28, v2
	v_addc_co_u32_e32 v3, vcc, v11, v3, vcc
	s_waitcnt lgkmcnt(3)
	global_store_short v[2:3], v18, off
	s_or_b64 exec, exec, s[4:5]
	v_cmp_gt_u32_e32 vcc, s33, v17
	s_and_saveexec_b64 s[4:5], vcc
	s_cbranch_execnz .LBB1182_283
.LBB1182_229:
	s_or_b64 exec, exec, s[4:5]
	v_cmp_gt_u32_e32 vcc, s33, v13
	s_and_saveexec_b64 s[4:5], vcc
	s_cbranch_execnz .LBB1182_288
.LBB1182_230:
	s_or_b64 exec, exec, s[4:5]
	v_cmp_gt_u32_e32 vcc, s33, v6
                                        ; implicit-def: $vgpr2_vgpr3
	s_and_saveexec_b64 s[4:5], vcc
	s_cbranch_execnz .LBB1182_293
.LBB1182_231:
	s_or_b64 exec, exec, s[4:5]
	s_and_saveexec_b64 s[4:5], s[2:3]
	s_cbranch_execnz .LBB1182_172
.LBB1182_232:
	s_or_b64 exec, exec, s[4:5]
	s_and_b64 s[0:1], s[0:1], s[22:23]
	s_and_saveexec_b64 s[2:3], s[0:1]
	s_cbranch_execz .LBB1182_173
.LBB1182_233:
	v_add_co_u32_e32 v0, vcc, v1, v10
	v_mov_b32_e32 v2, 0
	v_addc_co_u32_e32 v1, vcc, 0, v4, vcc
	global_store_dwordx2 v2, v[0:1], s[20:21]
	s_endpgm
.LBB1182_234:
	s_or_b64 exec, exec, s[4:5]
	v_cmp_gt_u32_e32 vcc, s33, v49
	s_and_saveexec_b64 s[4:5], vcc
	s_cbranch_execz .LBB1182_181
.LBB1182_235:
	v_cmp_ge_u32_e32 vcc, v49, v10
                                        ; implicit-def: $vgpr2_vgpr3
	s_and_saveexec_b64 s[6:7], vcc
	s_xor_b64 s[6:7], exec, s[6:7]
; %bb.236:
	v_xor_b32_e32 v2, 0xfffffeff, v0
	v_ashrrev_i32_e32 v3, 31, v2
	v_add_co_u32_e32 v2, vcc, v7, v2
	v_addc_co_u32_e32 v3, vcc, v8, v3, vcc
                                        ; implicit-def: $vgpr49
; %bb.237:
	s_andn2_saveexec_b64 s[6:7], s[6:7]
; %bb.238:
	v_add_co_u32_e32 v2, vcc, v1, v49
	v_addc_co_u32_e32 v3, vcc, 0, v4, vcc
; %bb.239:
	s_or_b64 exec, exec, s[6:7]
	v_lshlrev_b64 v[2:3], 1, v[2:3]
	v_mov_b32_e32 v11, s29
	v_add_co_u32_e32 v2, vcc, s28, v2
	v_addc_co_u32_e32 v3, vcc, v11, v3, vcc
	s_waitcnt lgkmcnt(14)
	global_store_short v[2:3], v48, off
	s_or_b64 exec, exec, s[4:5]
	v_cmp_gt_u32_e32 vcc, s33, v47
	s_and_saveexec_b64 s[4:5], vcc
	s_cbranch_execnz .LBB1182_182
.LBB1182_240:
	s_or_b64 exec, exec, s[4:5]
	v_cmp_gt_u32_e32 vcc, s33, v45
	s_and_saveexec_b64 s[4:5], vcc
	s_cbranch_execz .LBB1182_187
.LBB1182_241:
	v_cmp_ge_u32_e32 vcc, v45, v10
                                        ; implicit-def: $vgpr2_vgpr3
	s_and_saveexec_b64 s[6:7], vcc
	s_xor_b64 s[6:7], exec, s[6:7]
; %bb.242:
	v_xor_b32_e32 v2, 0xfffffcff, v0
	v_ashrrev_i32_e32 v3, 31, v2
	v_add_co_u32_e32 v2, vcc, v7, v2
	v_addc_co_u32_e32 v3, vcc, v8, v3, vcc
                                        ; implicit-def: $vgpr45
; %bb.243:
	s_andn2_saveexec_b64 s[6:7], s[6:7]
; %bb.244:
	v_add_co_u32_e32 v2, vcc, v1, v45
	v_addc_co_u32_e32 v3, vcc, 0, v4, vcc
; %bb.245:
	s_or_b64 exec, exec, s[6:7]
	v_lshlrev_b64 v[2:3], 1, v[2:3]
	v_mov_b32_e32 v11, s29
	v_add_co_u32_e32 v2, vcc, s28, v2
	v_addc_co_u32_e32 v3, vcc, v11, v3, vcc
	s_waitcnt lgkmcnt(14)
	global_store_short v[2:3], v44, off
	s_or_b64 exec, exec, s[4:5]
	v_cmp_gt_u32_e32 vcc, s33, v43
	s_and_saveexec_b64 s[4:5], vcc
	s_cbranch_execnz .LBB1182_188
.LBB1182_246:
	s_or_b64 exec, exec, s[4:5]
	v_cmp_gt_u32_e32 vcc, s33, v41
	s_and_saveexec_b64 s[4:5], vcc
	s_cbranch_execz .LBB1182_193
.LBB1182_247:
	v_cmp_ge_u32_e32 vcc, v41, v10
                                        ; implicit-def: $vgpr2_vgpr3
	s_and_saveexec_b64 s[6:7], vcc
	s_xor_b64 s[6:7], exec, s[6:7]
; %bb.248:
	v_xor_b32_e32 v2, 0xfffffaff, v0
	v_ashrrev_i32_e32 v3, 31, v2
	v_add_co_u32_e32 v2, vcc, v7, v2
	v_addc_co_u32_e32 v3, vcc, v8, v3, vcc
                                        ; implicit-def: $vgpr41
; %bb.249:
	s_andn2_saveexec_b64 s[6:7], s[6:7]
; %bb.250:
	v_add_co_u32_e32 v2, vcc, v1, v41
	v_addc_co_u32_e32 v3, vcc, 0, v4, vcc
; %bb.251:
	s_or_b64 exec, exec, s[6:7]
	v_lshlrev_b64 v[2:3], 1, v[2:3]
	v_mov_b32_e32 v11, s29
	v_add_co_u32_e32 v2, vcc, s28, v2
	v_addc_co_u32_e32 v3, vcc, v11, v3, vcc
	s_waitcnt lgkmcnt(14)
	global_store_short v[2:3], v40, off
	s_or_b64 exec, exec, s[4:5]
	v_cmp_gt_u32_e32 vcc, s33, v39
	s_and_saveexec_b64 s[4:5], vcc
	s_cbranch_execnz .LBB1182_194
.LBB1182_252:
	s_or_b64 exec, exec, s[4:5]
	v_cmp_gt_u32_e32 vcc, s33, v37
	s_and_saveexec_b64 s[4:5], vcc
	s_cbranch_execz .LBB1182_199
.LBB1182_253:
	v_cmp_ge_u32_e32 vcc, v37, v10
                                        ; implicit-def: $vgpr2_vgpr3
	s_and_saveexec_b64 s[6:7], vcc
	s_xor_b64 s[6:7], exec, s[6:7]
; %bb.254:
	v_xor_b32_e32 v2, 0xfffff8ff, v0
	v_ashrrev_i32_e32 v3, 31, v2
	v_add_co_u32_e32 v2, vcc, v7, v2
	v_addc_co_u32_e32 v3, vcc, v8, v3, vcc
                                        ; implicit-def: $vgpr37
; %bb.255:
	s_andn2_saveexec_b64 s[6:7], s[6:7]
; %bb.256:
	v_add_co_u32_e32 v2, vcc, v1, v37
	v_addc_co_u32_e32 v3, vcc, 0, v4, vcc
; %bb.257:
	s_or_b64 exec, exec, s[6:7]
	v_lshlrev_b64 v[2:3], 1, v[2:3]
	v_mov_b32_e32 v11, s29
	v_add_co_u32_e32 v2, vcc, s28, v2
	v_addc_co_u32_e32 v3, vcc, v11, v3, vcc
	s_waitcnt lgkmcnt(12)
	global_store_short v[2:3], v36, off
	s_or_b64 exec, exec, s[4:5]
	v_cmp_gt_u32_e32 vcc, s33, v35
	s_and_saveexec_b64 s[4:5], vcc
	s_cbranch_execnz .LBB1182_200
.LBB1182_258:
	s_or_b64 exec, exec, s[4:5]
	v_cmp_gt_u32_e32 vcc, s33, v33
	s_and_saveexec_b64 s[4:5], vcc
	s_cbranch_execz .LBB1182_205
.LBB1182_259:
	v_cmp_ge_u32_e32 vcc, v33, v10
                                        ; implicit-def: $vgpr2_vgpr3
	s_and_saveexec_b64 s[6:7], vcc
	s_xor_b64 s[6:7], exec, s[6:7]
; %bb.260:
	v_xor_b32_e32 v2, 0xfffff6ff, v0
	v_ashrrev_i32_e32 v3, 31, v2
	v_add_co_u32_e32 v2, vcc, v7, v2
	v_addc_co_u32_e32 v3, vcc, v8, v3, vcc
                                        ; implicit-def: $vgpr33
; %bb.261:
	s_andn2_saveexec_b64 s[6:7], s[6:7]
; %bb.262:
	v_add_co_u32_e32 v2, vcc, v1, v33
	v_addc_co_u32_e32 v3, vcc, 0, v4, vcc
; %bb.263:
	s_or_b64 exec, exec, s[6:7]
	v_lshlrev_b64 v[2:3], 1, v[2:3]
	v_mov_b32_e32 v11, s29
	v_add_co_u32_e32 v2, vcc, s28, v2
	v_addc_co_u32_e32 v3, vcc, v11, v3, vcc
	s_waitcnt lgkmcnt(10)
	global_store_short v[2:3], v32, off
	s_or_b64 exec, exec, s[4:5]
	v_cmp_gt_u32_e32 vcc, s33, v31
	s_and_saveexec_b64 s[4:5], vcc
	s_cbranch_execnz .LBB1182_206
.LBB1182_264:
	s_or_b64 exec, exec, s[4:5]
	v_cmp_gt_u32_e32 vcc, s33, v29
	s_and_saveexec_b64 s[4:5], vcc
	s_cbranch_execz .LBB1182_211
.LBB1182_265:
	v_cmp_ge_u32_e32 vcc, v29, v10
                                        ; implicit-def: $vgpr2_vgpr3
	s_and_saveexec_b64 s[6:7], vcc
	s_xor_b64 s[6:7], exec, s[6:7]
; %bb.266:
	v_xor_b32_e32 v2, 0xfffff4ff, v0
	v_ashrrev_i32_e32 v3, 31, v2
	v_add_co_u32_e32 v2, vcc, v7, v2
	v_addc_co_u32_e32 v3, vcc, v8, v3, vcc
                                        ; implicit-def: $vgpr29
; %bb.267:
	s_andn2_saveexec_b64 s[6:7], s[6:7]
; %bb.268:
	v_add_co_u32_e32 v2, vcc, v1, v29
	v_addc_co_u32_e32 v3, vcc, 0, v4, vcc
; %bb.269:
	s_or_b64 exec, exec, s[6:7]
	v_lshlrev_b64 v[2:3], 1, v[2:3]
	v_mov_b32_e32 v11, s29
	v_add_co_u32_e32 v2, vcc, s28, v2
	v_addc_co_u32_e32 v3, vcc, v11, v3, vcc
	s_waitcnt lgkmcnt(8)
	global_store_short v[2:3], v28, off
	s_or_b64 exec, exec, s[4:5]
	v_cmp_gt_u32_e32 vcc, s33, v27
	s_and_saveexec_b64 s[4:5], vcc
	s_cbranch_execnz .LBB1182_212
.LBB1182_270:
	s_or_b64 exec, exec, s[4:5]
	v_cmp_gt_u32_e32 vcc, s33, v25
	s_and_saveexec_b64 s[4:5], vcc
	s_cbranch_execz .LBB1182_217
.LBB1182_271:
	v_cmp_ge_u32_e32 vcc, v25, v10
                                        ; implicit-def: $vgpr2_vgpr3
	s_and_saveexec_b64 s[6:7], vcc
	s_xor_b64 s[6:7], exec, s[6:7]
; %bb.272:
	v_xor_b32_e32 v2, 0xfffff2ff, v0
	v_ashrrev_i32_e32 v3, 31, v2
	v_add_co_u32_e32 v2, vcc, v7, v2
	v_addc_co_u32_e32 v3, vcc, v8, v3, vcc
                                        ; implicit-def: $vgpr25
; %bb.273:
	s_andn2_saveexec_b64 s[6:7], s[6:7]
; %bb.274:
	v_add_co_u32_e32 v2, vcc, v1, v25
	v_addc_co_u32_e32 v3, vcc, 0, v4, vcc
; %bb.275:
	s_or_b64 exec, exec, s[6:7]
	v_lshlrev_b64 v[2:3], 1, v[2:3]
	v_mov_b32_e32 v11, s29
	v_add_co_u32_e32 v2, vcc, s28, v2
	v_addc_co_u32_e32 v3, vcc, v11, v3, vcc
	s_waitcnt lgkmcnt(6)
	global_store_short v[2:3], v24, off
	s_or_b64 exec, exec, s[4:5]
	v_cmp_gt_u32_e32 vcc, s33, v23
	s_and_saveexec_b64 s[4:5], vcc
	s_cbranch_execnz .LBB1182_218
.LBB1182_276:
	s_or_b64 exec, exec, s[4:5]
	v_cmp_gt_u32_e32 vcc, s33, v21
	s_and_saveexec_b64 s[4:5], vcc
	s_cbranch_execz .LBB1182_223
.LBB1182_277:
	v_cmp_ge_u32_e32 vcc, v21, v10
                                        ; implicit-def: $vgpr2_vgpr3
	s_and_saveexec_b64 s[6:7], vcc
	s_xor_b64 s[6:7], exec, s[6:7]
; %bb.278:
	v_xor_b32_e32 v2, 0xfffff0ff, v0
	v_ashrrev_i32_e32 v3, 31, v2
	v_add_co_u32_e32 v2, vcc, v7, v2
	v_addc_co_u32_e32 v3, vcc, v8, v3, vcc
                                        ; implicit-def: $vgpr21
; %bb.279:
	s_andn2_saveexec_b64 s[6:7], s[6:7]
; %bb.280:
	v_add_co_u32_e32 v2, vcc, v1, v21
	v_addc_co_u32_e32 v3, vcc, 0, v4, vcc
; %bb.281:
	s_or_b64 exec, exec, s[6:7]
	v_lshlrev_b64 v[2:3], 1, v[2:3]
	v_mov_b32_e32 v11, s29
	v_add_co_u32_e32 v2, vcc, s28, v2
	v_addc_co_u32_e32 v3, vcc, v11, v3, vcc
	s_waitcnt lgkmcnt(4)
	global_store_short v[2:3], v20, off
	s_or_b64 exec, exec, s[4:5]
	v_cmp_gt_u32_e32 vcc, s33, v19
	s_and_saveexec_b64 s[4:5], vcc
	s_cbranch_execnz .LBB1182_224
.LBB1182_282:
	s_or_b64 exec, exec, s[4:5]
	v_cmp_gt_u32_e32 vcc, s33, v17
	s_and_saveexec_b64 s[4:5], vcc
	s_cbranch_execz .LBB1182_229
.LBB1182_283:
	v_cmp_ge_u32_e32 vcc, v17, v10
                                        ; implicit-def: $vgpr2_vgpr3
	s_and_saveexec_b64 s[6:7], vcc
	s_xor_b64 s[6:7], exec, s[6:7]
; %bb.284:
	v_xor_b32_e32 v2, 0xffffeeff, v0
	v_ashrrev_i32_e32 v3, 31, v2
	v_add_co_u32_e32 v2, vcc, v7, v2
	v_addc_co_u32_e32 v3, vcc, v8, v3, vcc
                                        ; implicit-def: $vgpr17
; %bb.285:
	s_andn2_saveexec_b64 s[6:7], s[6:7]
; %bb.286:
	v_add_co_u32_e32 v2, vcc, v1, v17
	v_addc_co_u32_e32 v3, vcc, 0, v4, vcc
; %bb.287:
	s_or_b64 exec, exec, s[6:7]
	v_lshlrev_b64 v[2:3], 1, v[2:3]
	v_mov_b32_e32 v11, s29
	v_add_co_u32_e32 v2, vcc, s28, v2
	v_addc_co_u32_e32 v3, vcc, v11, v3, vcc
	s_waitcnt lgkmcnt(2)
	global_store_short v[2:3], v16, off
	s_or_b64 exec, exec, s[4:5]
	v_cmp_gt_u32_e32 vcc, s33, v13
	s_and_saveexec_b64 s[4:5], vcc
	s_cbranch_execz .LBB1182_230
.LBB1182_288:
	v_cmp_ge_u32_e32 vcc, v13, v10
                                        ; implicit-def: $vgpr2_vgpr3
	s_and_saveexec_b64 s[6:7], vcc
	s_xor_b64 s[6:7], exec, s[6:7]
; %bb.289:
	v_xor_b32_e32 v2, 0xffffedff, v0
	v_ashrrev_i32_e32 v3, 31, v2
	v_add_co_u32_e32 v2, vcc, v7, v2
	v_addc_co_u32_e32 v3, vcc, v8, v3, vcc
                                        ; implicit-def: $vgpr13
; %bb.290:
	s_andn2_saveexec_b64 s[6:7], s[6:7]
; %bb.291:
	v_add_co_u32_e32 v2, vcc, v1, v13
	v_addc_co_u32_e32 v3, vcc, 0, v4, vcc
; %bb.292:
	s_or_b64 exec, exec, s[6:7]
	v_lshlrev_b64 v[2:3], 1, v[2:3]
	v_mov_b32_e32 v11, s29
	v_add_co_u32_e32 v2, vcc, s28, v2
	v_addc_co_u32_e32 v3, vcc, v11, v3, vcc
	s_waitcnt lgkmcnt(1)
	global_store_short v[2:3], v9, off
	s_or_b64 exec, exec, s[4:5]
	v_cmp_gt_u32_e32 vcc, s33, v6
                                        ; implicit-def: $vgpr2_vgpr3
	s_and_saveexec_b64 s[4:5], vcc
	s_cbranch_execz .LBB1182_231
.LBB1182_293:
	v_cmp_ge_u32_e32 vcc, v6, v10
                                        ; implicit-def: $vgpr2_vgpr3
	s_and_saveexec_b64 s[6:7], vcc
	s_xor_b64 s[6:7], exec, s[6:7]
; %bb.294:
	v_xor_b32_e32 v0, 0xffffecff, v0
	v_ashrrev_i32_e32 v3, 31, v0
	v_add_co_u32_e32 v2, vcc, v7, v0
	v_addc_co_u32_e32 v3, vcc, v8, v3, vcc
                                        ; implicit-def: $vgpr6
; %bb.295:
	s_andn2_saveexec_b64 s[6:7], s[6:7]
; %bb.296:
	v_add_co_u32_e32 v2, vcc, v1, v6
	v_addc_co_u32_e32 v3, vcc, 0, v4, vcc
; %bb.297:
	s_or_b64 exec, exec, s[6:7]
	s_or_b64 s[2:3], s[2:3], exec
	s_or_b64 exec, exec, s[4:5]
	s_and_saveexec_b64 s[4:5], s[2:3]
	s_cbranch_execnz .LBB1182_172
	s_branch .LBB1182_232
	.section	.rodata,"a",@progbits
	.p2align	6, 0x0
	.amdhsa_kernel _ZN7rocprim17ROCPRIM_400000_NS6detail17trampoline_kernelINS0_14default_configENS1_25partition_config_selectorILNS1_17partition_subalgoE3EtNS0_10empty_typeEbEEZZNS1_14partition_implILS5_3ELb0ES3_jN6thrust23THRUST_200600_302600_NS6detail15normal_iteratorINSA_7pointerItNSA_11hip_rocprim3tagENSA_11use_defaultESG_EEEEPS6_SJ_NS0_5tupleIJPtSJ_EEENSK_IJSJ_SJ_EEES6_PlJ7is_evenItEEEE10hipError_tPvRmT3_T4_T5_T6_T7_T9_mT8_P12ihipStream_tbDpT10_ENKUlT_T0_E_clISt17integral_constantIbLb0EES19_IbLb1EEEEDaS15_S16_EUlS15_E_NS1_11comp_targetILNS1_3genE4ELNS1_11target_archE910ELNS1_3gpuE8ELNS1_3repE0EEENS1_30default_config_static_selectorELNS0_4arch9wavefront6targetE1EEEvT1_
		.amdhsa_group_segment_fixed_size 10248
		.amdhsa_private_segment_fixed_size 0
		.amdhsa_kernarg_size 136
		.amdhsa_user_sgpr_count 6
		.amdhsa_user_sgpr_private_segment_buffer 1
		.amdhsa_user_sgpr_dispatch_ptr 0
		.amdhsa_user_sgpr_queue_ptr 0
		.amdhsa_user_sgpr_kernarg_segment_ptr 1
		.amdhsa_user_sgpr_dispatch_id 0
		.amdhsa_user_sgpr_flat_scratch_init 0
		.amdhsa_user_sgpr_kernarg_preload_length 0
		.amdhsa_user_sgpr_kernarg_preload_offset 0
		.amdhsa_user_sgpr_private_segment_size 0
		.amdhsa_uses_dynamic_stack 0
		.amdhsa_system_sgpr_private_segment_wavefront_offset 0
		.amdhsa_system_sgpr_workgroup_id_x 1
		.amdhsa_system_sgpr_workgroup_id_y 0
		.amdhsa_system_sgpr_workgroup_id_z 0
		.amdhsa_system_sgpr_workgroup_info 0
		.amdhsa_system_vgpr_workitem_id 0
		.amdhsa_next_free_vgpr 93
		.amdhsa_next_free_sgpr 44
		.amdhsa_accum_offset 96
		.amdhsa_reserve_vcc 1
		.amdhsa_reserve_flat_scratch 0
		.amdhsa_float_round_mode_32 0
		.amdhsa_float_round_mode_16_64 0
		.amdhsa_float_denorm_mode_32 3
		.amdhsa_float_denorm_mode_16_64 3
		.amdhsa_dx10_clamp 1
		.amdhsa_ieee_mode 1
		.amdhsa_fp16_overflow 0
		.amdhsa_tg_split 0
		.amdhsa_exception_fp_ieee_invalid_op 0
		.amdhsa_exception_fp_denorm_src 0
		.amdhsa_exception_fp_ieee_div_zero 0
		.amdhsa_exception_fp_ieee_overflow 0
		.amdhsa_exception_fp_ieee_underflow 0
		.amdhsa_exception_fp_ieee_inexact 0
		.amdhsa_exception_int_div_zero 0
	.end_amdhsa_kernel
	.section	.text._ZN7rocprim17ROCPRIM_400000_NS6detail17trampoline_kernelINS0_14default_configENS1_25partition_config_selectorILNS1_17partition_subalgoE3EtNS0_10empty_typeEbEEZZNS1_14partition_implILS5_3ELb0ES3_jN6thrust23THRUST_200600_302600_NS6detail15normal_iteratorINSA_7pointerItNSA_11hip_rocprim3tagENSA_11use_defaultESG_EEEEPS6_SJ_NS0_5tupleIJPtSJ_EEENSK_IJSJ_SJ_EEES6_PlJ7is_evenItEEEE10hipError_tPvRmT3_T4_T5_T6_T7_T9_mT8_P12ihipStream_tbDpT10_ENKUlT_T0_E_clISt17integral_constantIbLb0EES19_IbLb1EEEEDaS15_S16_EUlS15_E_NS1_11comp_targetILNS1_3genE4ELNS1_11target_archE910ELNS1_3gpuE8ELNS1_3repE0EEENS1_30default_config_static_selectorELNS0_4arch9wavefront6targetE1EEEvT1_,"axG",@progbits,_ZN7rocprim17ROCPRIM_400000_NS6detail17trampoline_kernelINS0_14default_configENS1_25partition_config_selectorILNS1_17partition_subalgoE3EtNS0_10empty_typeEbEEZZNS1_14partition_implILS5_3ELb0ES3_jN6thrust23THRUST_200600_302600_NS6detail15normal_iteratorINSA_7pointerItNSA_11hip_rocprim3tagENSA_11use_defaultESG_EEEEPS6_SJ_NS0_5tupleIJPtSJ_EEENSK_IJSJ_SJ_EEES6_PlJ7is_evenItEEEE10hipError_tPvRmT3_T4_T5_T6_T7_T9_mT8_P12ihipStream_tbDpT10_ENKUlT_T0_E_clISt17integral_constantIbLb0EES19_IbLb1EEEEDaS15_S16_EUlS15_E_NS1_11comp_targetILNS1_3genE4ELNS1_11target_archE910ELNS1_3gpuE8ELNS1_3repE0EEENS1_30default_config_static_selectorELNS0_4arch9wavefront6targetE1EEEvT1_,comdat
.Lfunc_end1182:
	.size	_ZN7rocprim17ROCPRIM_400000_NS6detail17trampoline_kernelINS0_14default_configENS1_25partition_config_selectorILNS1_17partition_subalgoE3EtNS0_10empty_typeEbEEZZNS1_14partition_implILS5_3ELb0ES3_jN6thrust23THRUST_200600_302600_NS6detail15normal_iteratorINSA_7pointerItNSA_11hip_rocprim3tagENSA_11use_defaultESG_EEEEPS6_SJ_NS0_5tupleIJPtSJ_EEENSK_IJSJ_SJ_EEES6_PlJ7is_evenItEEEE10hipError_tPvRmT3_T4_T5_T6_T7_T9_mT8_P12ihipStream_tbDpT10_ENKUlT_T0_E_clISt17integral_constantIbLb0EES19_IbLb1EEEEDaS15_S16_EUlS15_E_NS1_11comp_targetILNS1_3genE4ELNS1_11target_archE910ELNS1_3gpuE8ELNS1_3repE0EEENS1_30default_config_static_selectorELNS0_4arch9wavefront6targetE1EEEvT1_, .Lfunc_end1182-_ZN7rocprim17ROCPRIM_400000_NS6detail17trampoline_kernelINS0_14default_configENS1_25partition_config_selectorILNS1_17partition_subalgoE3EtNS0_10empty_typeEbEEZZNS1_14partition_implILS5_3ELb0ES3_jN6thrust23THRUST_200600_302600_NS6detail15normal_iteratorINSA_7pointerItNSA_11hip_rocprim3tagENSA_11use_defaultESG_EEEEPS6_SJ_NS0_5tupleIJPtSJ_EEENSK_IJSJ_SJ_EEES6_PlJ7is_evenItEEEE10hipError_tPvRmT3_T4_T5_T6_T7_T9_mT8_P12ihipStream_tbDpT10_ENKUlT_T0_E_clISt17integral_constantIbLb0EES19_IbLb1EEEEDaS15_S16_EUlS15_E_NS1_11comp_targetILNS1_3genE4ELNS1_11target_archE910ELNS1_3gpuE8ELNS1_3repE0EEENS1_30default_config_static_selectorELNS0_4arch9wavefront6targetE1EEEvT1_
                                        ; -- End function
	.section	.AMDGPU.csdata,"",@progbits
; Kernel info:
; codeLenInByte = 9568
; NumSgprs: 48
; NumVgprs: 93
; NumAgprs: 0
; TotalNumVgprs: 93
; ScratchSize: 0
; MemoryBound: 0
; FloatMode: 240
; IeeeMode: 1
; LDSByteSize: 10248 bytes/workgroup (compile time only)
; SGPRBlocks: 5
; VGPRBlocks: 11
; NumSGPRsForWavesPerEU: 48
; NumVGPRsForWavesPerEU: 93
; AccumOffset: 96
; Occupancy: 5
; WaveLimiterHint : 1
; COMPUTE_PGM_RSRC2:SCRATCH_EN: 0
; COMPUTE_PGM_RSRC2:USER_SGPR: 6
; COMPUTE_PGM_RSRC2:TRAP_HANDLER: 0
; COMPUTE_PGM_RSRC2:TGID_X_EN: 1
; COMPUTE_PGM_RSRC2:TGID_Y_EN: 0
; COMPUTE_PGM_RSRC2:TGID_Z_EN: 0
; COMPUTE_PGM_RSRC2:TIDIG_COMP_CNT: 0
; COMPUTE_PGM_RSRC3_GFX90A:ACCUM_OFFSET: 23
; COMPUTE_PGM_RSRC3_GFX90A:TG_SPLIT: 0
	.section	.text._ZN7rocprim17ROCPRIM_400000_NS6detail17trampoline_kernelINS0_14default_configENS1_25partition_config_selectorILNS1_17partition_subalgoE3EtNS0_10empty_typeEbEEZZNS1_14partition_implILS5_3ELb0ES3_jN6thrust23THRUST_200600_302600_NS6detail15normal_iteratorINSA_7pointerItNSA_11hip_rocprim3tagENSA_11use_defaultESG_EEEEPS6_SJ_NS0_5tupleIJPtSJ_EEENSK_IJSJ_SJ_EEES6_PlJ7is_evenItEEEE10hipError_tPvRmT3_T4_T5_T6_T7_T9_mT8_P12ihipStream_tbDpT10_ENKUlT_T0_E_clISt17integral_constantIbLb0EES19_IbLb1EEEEDaS15_S16_EUlS15_E_NS1_11comp_targetILNS1_3genE3ELNS1_11target_archE908ELNS1_3gpuE7ELNS1_3repE0EEENS1_30default_config_static_selectorELNS0_4arch9wavefront6targetE1EEEvT1_,"axG",@progbits,_ZN7rocprim17ROCPRIM_400000_NS6detail17trampoline_kernelINS0_14default_configENS1_25partition_config_selectorILNS1_17partition_subalgoE3EtNS0_10empty_typeEbEEZZNS1_14partition_implILS5_3ELb0ES3_jN6thrust23THRUST_200600_302600_NS6detail15normal_iteratorINSA_7pointerItNSA_11hip_rocprim3tagENSA_11use_defaultESG_EEEEPS6_SJ_NS0_5tupleIJPtSJ_EEENSK_IJSJ_SJ_EEES6_PlJ7is_evenItEEEE10hipError_tPvRmT3_T4_T5_T6_T7_T9_mT8_P12ihipStream_tbDpT10_ENKUlT_T0_E_clISt17integral_constantIbLb0EES19_IbLb1EEEEDaS15_S16_EUlS15_E_NS1_11comp_targetILNS1_3genE3ELNS1_11target_archE908ELNS1_3gpuE7ELNS1_3repE0EEENS1_30default_config_static_selectorELNS0_4arch9wavefront6targetE1EEEvT1_,comdat
	.protected	_ZN7rocprim17ROCPRIM_400000_NS6detail17trampoline_kernelINS0_14default_configENS1_25partition_config_selectorILNS1_17partition_subalgoE3EtNS0_10empty_typeEbEEZZNS1_14partition_implILS5_3ELb0ES3_jN6thrust23THRUST_200600_302600_NS6detail15normal_iteratorINSA_7pointerItNSA_11hip_rocprim3tagENSA_11use_defaultESG_EEEEPS6_SJ_NS0_5tupleIJPtSJ_EEENSK_IJSJ_SJ_EEES6_PlJ7is_evenItEEEE10hipError_tPvRmT3_T4_T5_T6_T7_T9_mT8_P12ihipStream_tbDpT10_ENKUlT_T0_E_clISt17integral_constantIbLb0EES19_IbLb1EEEEDaS15_S16_EUlS15_E_NS1_11comp_targetILNS1_3genE3ELNS1_11target_archE908ELNS1_3gpuE7ELNS1_3repE0EEENS1_30default_config_static_selectorELNS0_4arch9wavefront6targetE1EEEvT1_ ; -- Begin function _ZN7rocprim17ROCPRIM_400000_NS6detail17trampoline_kernelINS0_14default_configENS1_25partition_config_selectorILNS1_17partition_subalgoE3EtNS0_10empty_typeEbEEZZNS1_14partition_implILS5_3ELb0ES3_jN6thrust23THRUST_200600_302600_NS6detail15normal_iteratorINSA_7pointerItNSA_11hip_rocprim3tagENSA_11use_defaultESG_EEEEPS6_SJ_NS0_5tupleIJPtSJ_EEENSK_IJSJ_SJ_EEES6_PlJ7is_evenItEEEE10hipError_tPvRmT3_T4_T5_T6_T7_T9_mT8_P12ihipStream_tbDpT10_ENKUlT_T0_E_clISt17integral_constantIbLb0EES19_IbLb1EEEEDaS15_S16_EUlS15_E_NS1_11comp_targetILNS1_3genE3ELNS1_11target_archE908ELNS1_3gpuE7ELNS1_3repE0EEENS1_30default_config_static_selectorELNS0_4arch9wavefront6targetE1EEEvT1_
	.globl	_ZN7rocprim17ROCPRIM_400000_NS6detail17trampoline_kernelINS0_14default_configENS1_25partition_config_selectorILNS1_17partition_subalgoE3EtNS0_10empty_typeEbEEZZNS1_14partition_implILS5_3ELb0ES3_jN6thrust23THRUST_200600_302600_NS6detail15normal_iteratorINSA_7pointerItNSA_11hip_rocprim3tagENSA_11use_defaultESG_EEEEPS6_SJ_NS0_5tupleIJPtSJ_EEENSK_IJSJ_SJ_EEES6_PlJ7is_evenItEEEE10hipError_tPvRmT3_T4_T5_T6_T7_T9_mT8_P12ihipStream_tbDpT10_ENKUlT_T0_E_clISt17integral_constantIbLb0EES19_IbLb1EEEEDaS15_S16_EUlS15_E_NS1_11comp_targetILNS1_3genE3ELNS1_11target_archE908ELNS1_3gpuE7ELNS1_3repE0EEENS1_30default_config_static_selectorELNS0_4arch9wavefront6targetE1EEEvT1_
	.p2align	8
	.type	_ZN7rocprim17ROCPRIM_400000_NS6detail17trampoline_kernelINS0_14default_configENS1_25partition_config_selectorILNS1_17partition_subalgoE3EtNS0_10empty_typeEbEEZZNS1_14partition_implILS5_3ELb0ES3_jN6thrust23THRUST_200600_302600_NS6detail15normal_iteratorINSA_7pointerItNSA_11hip_rocprim3tagENSA_11use_defaultESG_EEEEPS6_SJ_NS0_5tupleIJPtSJ_EEENSK_IJSJ_SJ_EEES6_PlJ7is_evenItEEEE10hipError_tPvRmT3_T4_T5_T6_T7_T9_mT8_P12ihipStream_tbDpT10_ENKUlT_T0_E_clISt17integral_constantIbLb0EES19_IbLb1EEEEDaS15_S16_EUlS15_E_NS1_11comp_targetILNS1_3genE3ELNS1_11target_archE908ELNS1_3gpuE7ELNS1_3repE0EEENS1_30default_config_static_selectorELNS0_4arch9wavefront6targetE1EEEvT1_,@function
_ZN7rocprim17ROCPRIM_400000_NS6detail17trampoline_kernelINS0_14default_configENS1_25partition_config_selectorILNS1_17partition_subalgoE3EtNS0_10empty_typeEbEEZZNS1_14partition_implILS5_3ELb0ES3_jN6thrust23THRUST_200600_302600_NS6detail15normal_iteratorINSA_7pointerItNSA_11hip_rocprim3tagENSA_11use_defaultESG_EEEEPS6_SJ_NS0_5tupleIJPtSJ_EEENSK_IJSJ_SJ_EEES6_PlJ7is_evenItEEEE10hipError_tPvRmT3_T4_T5_T6_T7_T9_mT8_P12ihipStream_tbDpT10_ENKUlT_T0_E_clISt17integral_constantIbLb0EES19_IbLb1EEEEDaS15_S16_EUlS15_E_NS1_11comp_targetILNS1_3genE3ELNS1_11target_archE908ELNS1_3gpuE7ELNS1_3repE0EEENS1_30default_config_static_selectorELNS0_4arch9wavefront6targetE1EEEvT1_: ; @_ZN7rocprim17ROCPRIM_400000_NS6detail17trampoline_kernelINS0_14default_configENS1_25partition_config_selectorILNS1_17partition_subalgoE3EtNS0_10empty_typeEbEEZZNS1_14partition_implILS5_3ELb0ES3_jN6thrust23THRUST_200600_302600_NS6detail15normal_iteratorINSA_7pointerItNSA_11hip_rocprim3tagENSA_11use_defaultESG_EEEEPS6_SJ_NS0_5tupleIJPtSJ_EEENSK_IJSJ_SJ_EEES6_PlJ7is_evenItEEEE10hipError_tPvRmT3_T4_T5_T6_T7_T9_mT8_P12ihipStream_tbDpT10_ENKUlT_T0_E_clISt17integral_constantIbLb0EES19_IbLb1EEEEDaS15_S16_EUlS15_E_NS1_11comp_targetILNS1_3genE3ELNS1_11target_archE908ELNS1_3gpuE7ELNS1_3repE0EEENS1_30default_config_static_selectorELNS0_4arch9wavefront6targetE1EEEvT1_
; %bb.0:
	.section	.rodata,"a",@progbits
	.p2align	6, 0x0
	.amdhsa_kernel _ZN7rocprim17ROCPRIM_400000_NS6detail17trampoline_kernelINS0_14default_configENS1_25partition_config_selectorILNS1_17partition_subalgoE3EtNS0_10empty_typeEbEEZZNS1_14partition_implILS5_3ELb0ES3_jN6thrust23THRUST_200600_302600_NS6detail15normal_iteratorINSA_7pointerItNSA_11hip_rocprim3tagENSA_11use_defaultESG_EEEEPS6_SJ_NS0_5tupleIJPtSJ_EEENSK_IJSJ_SJ_EEES6_PlJ7is_evenItEEEE10hipError_tPvRmT3_T4_T5_T6_T7_T9_mT8_P12ihipStream_tbDpT10_ENKUlT_T0_E_clISt17integral_constantIbLb0EES19_IbLb1EEEEDaS15_S16_EUlS15_E_NS1_11comp_targetILNS1_3genE3ELNS1_11target_archE908ELNS1_3gpuE7ELNS1_3repE0EEENS1_30default_config_static_selectorELNS0_4arch9wavefront6targetE1EEEvT1_
		.amdhsa_group_segment_fixed_size 0
		.amdhsa_private_segment_fixed_size 0
		.amdhsa_kernarg_size 136
		.amdhsa_user_sgpr_count 6
		.amdhsa_user_sgpr_private_segment_buffer 1
		.amdhsa_user_sgpr_dispatch_ptr 0
		.amdhsa_user_sgpr_queue_ptr 0
		.amdhsa_user_sgpr_kernarg_segment_ptr 1
		.amdhsa_user_sgpr_dispatch_id 0
		.amdhsa_user_sgpr_flat_scratch_init 0
		.amdhsa_user_sgpr_kernarg_preload_length 0
		.amdhsa_user_sgpr_kernarg_preload_offset 0
		.amdhsa_user_sgpr_private_segment_size 0
		.amdhsa_uses_dynamic_stack 0
		.amdhsa_system_sgpr_private_segment_wavefront_offset 0
		.amdhsa_system_sgpr_workgroup_id_x 1
		.amdhsa_system_sgpr_workgroup_id_y 0
		.amdhsa_system_sgpr_workgroup_id_z 0
		.amdhsa_system_sgpr_workgroup_info 0
		.amdhsa_system_vgpr_workitem_id 0
		.amdhsa_next_free_vgpr 1
		.amdhsa_next_free_sgpr 0
		.amdhsa_accum_offset 4
		.amdhsa_reserve_vcc 0
		.amdhsa_reserve_flat_scratch 0
		.amdhsa_float_round_mode_32 0
		.amdhsa_float_round_mode_16_64 0
		.amdhsa_float_denorm_mode_32 3
		.amdhsa_float_denorm_mode_16_64 3
		.amdhsa_dx10_clamp 1
		.amdhsa_ieee_mode 1
		.amdhsa_fp16_overflow 0
		.amdhsa_tg_split 0
		.amdhsa_exception_fp_ieee_invalid_op 0
		.amdhsa_exception_fp_denorm_src 0
		.amdhsa_exception_fp_ieee_div_zero 0
		.amdhsa_exception_fp_ieee_overflow 0
		.amdhsa_exception_fp_ieee_underflow 0
		.amdhsa_exception_fp_ieee_inexact 0
		.amdhsa_exception_int_div_zero 0
	.end_amdhsa_kernel
	.section	.text._ZN7rocprim17ROCPRIM_400000_NS6detail17trampoline_kernelINS0_14default_configENS1_25partition_config_selectorILNS1_17partition_subalgoE3EtNS0_10empty_typeEbEEZZNS1_14partition_implILS5_3ELb0ES3_jN6thrust23THRUST_200600_302600_NS6detail15normal_iteratorINSA_7pointerItNSA_11hip_rocprim3tagENSA_11use_defaultESG_EEEEPS6_SJ_NS0_5tupleIJPtSJ_EEENSK_IJSJ_SJ_EEES6_PlJ7is_evenItEEEE10hipError_tPvRmT3_T4_T5_T6_T7_T9_mT8_P12ihipStream_tbDpT10_ENKUlT_T0_E_clISt17integral_constantIbLb0EES19_IbLb1EEEEDaS15_S16_EUlS15_E_NS1_11comp_targetILNS1_3genE3ELNS1_11target_archE908ELNS1_3gpuE7ELNS1_3repE0EEENS1_30default_config_static_selectorELNS0_4arch9wavefront6targetE1EEEvT1_,"axG",@progbits,_ZN7rocprim17ROCPRIM_400000_NS6detail17trampoline_kernelINS0_14default_configENS1_25partition_config_selectorILNS1_17partition_subalgoE3EtNS0_10empty_typeEbEEZZNS1_14partition_implILS5_3ELb0ES3_jN6thrust23THRUST_200600_302600_NS6detail15normal_iteratorINSA_7pointerItNSA_11hip_rocprim3tagENSA_11use_defaultESG_EEEEPS6_SJ_NS0_5tupleIJPtSJ_EEENSK_IJSJ_SJ_EEES6_PlJ7is_evenItEEEE10hipError_tPvRmT3_T4_T5_T6_T7_T9_mT8_P12ihipStream_tbDpT10_ENKUlT_T0_E_clISt17integral_constantIbLb0EES19_IbLb1EEEEDaS15_S16_EUlS15_E_NS1_11comp_targetILNS1_3genE3ELNS1_11target_archE908ELNS1_3gpuE7ELNS1_3repE0EEENS1_30default_config_static_selectorELNS0_4arch9wavefront6targetE1EEEvT1_,comdat
.Lfunc_end1183:
	.size	_ZN7rocprim17ROCPRIM_400000_NS6detail17trampoline_kernelINS0_14default_configENS1_25partition_config_selectorILNS1_17partition_subalgoE3EtNS0_10empty_typeEbEEZZNS1_14partition_implILS5_3ELb0ES3_jN6thrust23THRUST_200600_302600_NS6detail15normal_iteratorINSA_7pointerItNSA_11hip_rocprim3tagENSA_11use_defaultESG_EEEEPS6_SJ_NS0_5tupleIJPtSJ_EEENSK_IJSJ_SJ_EEES6_PlJ7is_evenItEEEE10hipError_tPvRmT3_T4_T5_T6_T7_T9_mT8_P12ihipStream_tbDpT10_ENKUlT_T0_E_clISt17integral_constantIbLb0EES19_IbLb1EEEEDaS15_S16_EUlS15_E_NS1_11comp_targetILNS1_3genE3ELNS1_11target_archE908ELNS1_3gpuE7ELNS1_3repE0EEENS1_30default_config_static_selectorELNS0_4arch9wavefront6targetE1EEEvT1_, .Lfunc_end1183-_ZN7rocprim17ROCPRIM_400000_NS6detail17trampoline_kernelINS0_14default_configENS1_25partition_config_selectorILNS1_17partition_subalgoE3EtNS0_10empty_typeEbEEZZNS1_14partition_implILS5_3ELb0ES3_jN6thrust23THRUST_200600_302600_NS6detail15normal_iteratorINSA_7pointerItNSA_11hip_rocprim3tagENSA_11use_defaultESG_EEEEPS6_SJ_NS0_5tupleIJPtSJ_EEENSK_IJSJ_SJ_EEES6_PlJ7is_evenItEEEE10hipError_tPvRmT3_T4_T5_T6_T7_T9_mT8_P12ihipStream_tbDpT10_ENKUlT_T0_E_clISt17integral_constantIbLb0EES19_IbLb1EEEEDaS15_S16_EUlS15_E_NS1_11comp_targetILNS1_3genE3ELNS1_11target_archE908ELNS1_3gpuE7ELNS1_3repE0EEENS1_30default_config_static_selectorELNS0_4arch9wavefront6targetE1EEEvT1_
                                        ; -- End function
	.section	.AMDGPU.csdata,"",@progbits
; Kernel info:
; codeLenInByte = 0
; NumSgprs: 4
; NumVgprs: 0
; NumAgprs: 0
; TotalNumVgprs: 0
; ScratchSize: 0
; MemoryBound: 0
; FloatMode: 240
; IeeeMode: 1
; LDSByteSize: 0 bytes/workgroup (compile time only)
; SGPRBlocks: 0
; VGPRBlocks: 0
; NumSGPRsForWavesPerEU: 4
; NumVGPRsForWavesPerEU: 1
; AccumOffset: 4
; Occupancy: 8
; WaveLimiterHint : 0
; COMPUTE_PGM_RSRC2:SCRATCH_EN: 0
; COMPUTE_PGM_RSRC2:USER_SGPR: 6
; COMPUTE_PGM_RSRC2:TRAP_HANDLER: 0
; COMPUTE_PGM_RSRC2:TGID_X_EN: 1
; COMPUTE_PGM_RSRC2:TGID_Y_EN: 0
; COMPUTE_PGM_RSRC2:TGID_Z_EN: 0
; COMPUTE_PGM_RSRC2:TIDIG_COMP_CNT: 0
; COMPUTE_PGM_RSRC3_GFX90A:ACCUM_OFFSET: 0
; COMPUTE_PGM_RSRC3_GFX90A:TG_SPLIT: 0
	.section	.text._ZN7rocprim17ROCPRIM_400000_NS6detail17trampoline_kernelINS0_14default_configENS1_25partition_config_selectorILNS1_17partition_subalgoE3EtNS0_10empty_typeEbEEZZNS1_14partition_implILS5_3ELb0ES3_jN6thrust23THRUST_200600_302600_NS6detail15normal_iteratorINSA_7pointerItNSA_11hip_rocprim3tagENSA_11use_defaultESG_EEEEPS6_SJ_NS0_5tupleIJPtSJ_EEENSK_IJSJ_SJ_EEES6_PlJ7is_evenItEEEE10hipError_tPvRmT3_T4_T5_T6_T7_T9_mT8_P12ihipStream_tbDpT10_ENKUlT_T0_E_clISt17integral_constantIbLb0EES19_IbLb1EEEEDaS15_S16_EUlS15_E_NS1_11comp_targetILNS1_3genE2ELNS1_11target_archE906ELNS1_3gpuE6ELNS1_3repE0EEENS1_30default_config_static_selectorELNS0_4arch9wavefront6targetE1EEEvT1_,"axG",@progbits,_ZN7rocprim17ROCPRIM_400000_NS6detail17trampoline_kernelINS0_14default_configENS1_25partition_config_selectorILNS1_17partition_subalgoE3EtNS0_10empty_typeEbEEZZNS1_14partition_implILS5_3ELb0ES3_jN6thrust23THRUST_200600_302600_NS6detail15normal_iteratorINSA_7pointerItNSA_11hip_rocprim3tagENSA_11use_defaultESG_EEEEPS6_SJ_NS0_5tupleIJPtSJ_EEENSK_IJSJ_SJ_EEES6_PlJ7is_evenItEEEE10hipError_tPvRmT3_T4_T5_T6_T7_T9_mT8_P12ihipStream_tbDpT10_ENKUlT_T0_E_clISt17integral_constantIbLb0EES19_IbLb1EEEEDaS15_S16_EUlS15_E_NS1_11comp_targetILNS1_3genE2ELNS1_11target_archE906ELNS1_3gpuE6ELNS1_3repE0EEENS1_30default_config_static_selectorELNS0_4arch9wavefront6targetE1EEEvT1_,comdat
	.protected	_ZN7rocprim17ROCPRIM_400000_NS6detail17trampoline_kernelINS0_14default_configENS1_25partition_config_selectorILNS1_17partition_subalgoE3EtNS0_10empty_typeEbEEZZNS1_14partition_implILS5_3ELb0ES3_jN6thrust23THRUST_200600_302600_NS6detail15normal_iteratorINSA_7pointerItNSA_11hip_rocprim3tagENSA_11use_defaultESG_EEEEPS6_SJ_NS0_5tupleIJPtSJ_EEENSK_IJSJ_SJ_EEES6_PlJ7is_evenItEEEE10hipError_tPvRmT3_T4_T5_T6_T7_T9_mT8_P12ihipStream_tbDpT10_ENKUlT_T0_E_clISt17integral_constantIbLb0EES19_IbLb1EEEEDaS15_S16_EUlS15_E_NS1_11comp_targetILNS1_3genE2ELNS1_11target_archE906ELNS1_3gpuE6ELNS1_3repE0EEENS1_30default_config_static_selectorELNS0_4arch9wavefront6targetE1EEEvT1_ ; -- Begin function _ZN7rocprim17ROCPRIM_400000_NS6detail17trampoline_kernelINS0_14default_configENS1_25partition_config_selectorILNS1_17partition_subalgoE3EtNS0_10empty_typeEbEEZZNS1_14partition_implILS5_3ELb0ES3_jN6thrust23THRUST_200600_302600_NS6detail15normal_iteratorINSA_7pointerItNSA_11hip_rocprim3tagENSA_11use_defaultESG_EEEEPS6_SJ_NS0_5tupleIJPtSJ_EEENSK_IJSJ_SJ_EEES6_PlJ7is_evenItEEEE10hipError_tPvRmT3_T4_T5_T6_T7_T9_mT8_P12ihipStream_tbDpT10_ENKUlT_T0_E_clISt17integral_constantIbLb0EES19_IbLb1EEEEDaS15_S16_EUlS15_E_NS1_11comp_targetILNS1_3genE2ELNS1_11target_archE906ELNS1_3gpuE6ELNS1_3repE0EEENS1_30default_config_static_selectorELNS0_4arch9wavefront6targetE1EEEvT1_
	.globl	_ZN7rocprim17ROCPRIM_400000_NS6detail17trampoline_kernelINS0_14default_configENS1_25partition_config_selectorILNS1_17partition_subalgoE3EtNS0_10empty_typeEbEEZZNS1_14partition_implILS5_3ELb0ES3_jN6thrust23THRUST_200600_302600_NS6detail15normal_iteratorINSA_7pointerItNSA_11hip_rocprim3tagENSA_11use_defaultESG_EEEEPS6_SJ_NS0_5tupleIJPtSJ_EEENSK_IJSJ_SJ_EEES6_PlJ7is_evenItEEEE10hipError_tPvRmT3_T4_T5_T6_T7_T9_mT8_P12ihipStream_tbDpT10_ENKUlT_T0_E_clISt17integral_constantIbLb0EES19_IbLb1EEEEDaS15_S16_EUlS15_E_NS1_11comp_targetILNS1_3genE2ELNS1_11target_archE906ELNS1_3gpuE6ELNS1_3repE0EEENS1_30default_config_static_selectorELNS0_4arch9wavefront6targetE1EEEvT1_
	.p2align	8
	.type	_ZN7rocprim17ROCPRIM_400000_NS6detail17trampoline_kernelINS0_14default_configENS1_25partition_config_selectorILNS1_17partition_subalgoE3EtNS0_10empty_typeEbEEZZNS1_14partition_implILS5_3ELb0ES3_jN6thrust23THRUST_200600_302600_NS6detail15normal_iteratorINSA_7pointerItNSA_11hip_rocprim3tagENSA_11use_defaultESG_EEEEPS6_SJ_NS0_5tupleIJPtSJ_EEENSK_IJSJ_SJ_EEES6_PlJ7is_evenItEEEE10hipError_tPvRmT3_T4_T5_T6_T7_T9_mT8_P12ihipStream_tbDpT10_ENKUlT_T0_E_clISt17integral_constantIbLb0EES19_IbLb1EEEEDaS15_S16_EUlS15_E_NS1_11comp_targetILNS1_3genE2ELNS1_11target_archE906ELNS1_3gpuE6ELNS1_3repE0EEENS1_30default_config_static_selectorELNS0_4arch9wavefront6targetE1EEEvT1_,@function
_ZN7rocprim17ROCPRIM_400000_NS6detail17trampoline_kernelINS0_14default_configENS1_25partition_config_selectorILNS1_17partition_subalgoE3EtNS0_10empty_typeEbEEZZNS1_14partition_implILS5_3ELb0ES3_jN6thrust23THRUST_200600_302600_NS6detail15normal_iteratorINSA_7pointerItNSA_11hip_rocprim3tagENSA_11use_defaultESG_EEEEPS6_SJ_NS0_5tupleIJPtSJ_EEENSK_IJSJ_SJ_EEES6_PlJ7is_evenItEEEE10hipError_tPvRmT3_T4_T5_T6_T7_T9_mT8_P12ihipStream_tbDpT10_ENKUlT_T0_E_clISt17integral_constantIbLb0EES19_IbLb1EEEEDaS15_S16_EUlS15_E_NS1_11comp_targetILNS1_3genE2ELNS1_11target_archE906ELNS1_3gpuE6ELNS1_3repE0EEENS1_30default_config_static_selectorELNS0_4arch9wavefront6targetE1EEEvT1_: ; @_ZN7rocprim17ROCPRIM_400000_NS6detail17trampoline_kernelINS0_14default_configENS1_25partition_config_selectorILNS1_17partition_subalgoE3EtNS0_10empty_typeEbEEZZNS1_14partition_implILS5_3ELb0ES3_jN6thrust23THRUST_200600_302600_NS6detail15normal_iteratorINSA_7pointerItNSA_11hip_rocprim3tagENSA_11use_defaultESG_EEEEPS6_SJ_NS0_5tupleIJPtSJ_EEENSK_IJSJ_SJ_EEES6_PlJ7is_evenItEEEE10hipError_tPvRmT3_T4_T5_T6_T7_T9_mT8_P12ihipStream_tbDpT10_ENKUlT_T0_E_clISt17integral_constantIbLb0EES19_IbLb1EEEEDaS15_S16_EUlS15_E_NS1_11comp_targetILNS1_3genE2ELNS1_11target_archE906ELNS1_3gpuE6ELNS1_3repE0EEENS1_30default_config_static_selectorELNS0_4arch9wavefront6targetE1EEEvT1_
; %bb.0:
	.section	.rodata,"a",@progbits
	.p2align	6, 0x0
	.amdhsa_kernel _ZN7rocprim17ROCPRIM_400000_NS6detail17trampoline_kernelINS0_14default_configENS1_25partition_config_selectorILNS1_17partition_subalgoE3EtNS0_10empty_typeEbEEZZNS1_14partition_implILS5_3ELb0ES3_jN6thrust23THRUST_200600_302600_NS6detail15normal_iteratorINSA_7pointerItNSA_11hip_rocprim3tagENSA_11use_defaultESG_EEEEPS6_SJ_NS0_5tupleIJPtSJ_EEENSK_IJSJ_SJ_EEES6_PlJ7is_evenItEEEE10hipError_tPvRmT3_T4_T5_T6_T7_T9_mT8_P12ihipStream_tbDpT10_ENKUlT_T0_E_clISt17integral_constantIbLb0EES19_IbLb1EEEEDaS15_S16_EUlS15_E_NS1_11comp_targetILNS1_3genE2ELNS1_11target_archE906ELNS1_3gpuE6ELNS1_3repE0EEENS1_30default_config_static_selectorELNS0_4arch9wavefront6targetE1EEEvT1_
		.amdhsa_group_segment_fixed_size 0
		.amdhsa_private_segment_fixed_size 0
		.amdhsa_kernarg_size 136
		.amdhsa_user_sgpr_count 6
		.amdhsa_user_sgpr_private_segment_buffer 1
		.amdhsa_user_sgpr_dispatch_ptr 0
		.amdhsa_user_sgpr_queue_ptr 0
		.amdhsa_user_sgpr_kernarg_segment_ptr 1
		.amdhsa_user_sgpr_dispatch_id 0
		.amdhsa_user_sgpr_flat_scratch_init 0
		.amdhsa_user_sgpr_kernarg_preload_length 0
		.amdhsa_user_sgpr_kernarg_preload_offset 0
		.amdhsa_user_sgpr_private_segment_size 0
		.amdhsa_uses_dynamic_stack 0
		.amdhsa_system_sgpr_private_segment_wavefront_offset 0
		.amdhsa_system_sgpr_workgroup_id_x 1
		.amdhsa_system_sgpr_workgroup_id_y 0
		.amdhsa_system_sgpr_workgroup_id_z 0
		.amdhsa_system_sgpr_workgroup_info 0
		.amdhsa_system_vgpr_workitem_id 0
		.amdhsa_next_free_vgpr 1
		.amdhsa_next_free_sgpr 0
		.amdhsa_accum_offset 4
		.amdhsa_reserve_vcc 0
		.amdhsa_reserve_flat_scratch 0
		.amdhsa_float_round_mode_32 0
		.amdhsa_float_round_mode_16_64 0
		.amdhsa_float_denorm_mode_32 3
		.amdhsa_float_denorm_mode_16_64 3
		.amdhsa_dx10_clamp 1
		.amdhsa_ieee_mode 1
		.amdhsa_fp16_overflow 0
		.amdhsa_tg_split 0
		.amdhsa_exception_fp_ieee_invalid_op 0
		.amdhsa_exception_fp_denorm_src 0
		.amdhsa_exception_fp_ieee_div_zero 0
		.amdhsa_exception_fp_ieee_overflow 0
		.amdhsa_exception_fp_ieee_underflow 0
		.amdhsa_exception_fp_ieee_inexact 0
		.amdhsa_exception_int_div_zero 0
	.end_amdhsa_kernel
	.section	.text._ZN7rocprim17ROCPRIM_400000_NS6detail17trampoline_kernelINS0_14default_configENS1_25partition_config_selectorILNS1_17partition_subalgoE3EtNS0_10empty_typeEbEEZZNS1_14partition_implILS5_3ELb0ES3_jN6thrust23THRUST_200600_302600_NS6detail15normal_iteratorINSA_7pointerItNSA_11hip_rocprim3tagENSA_11use_defaultESG_EEEEPS6_SJ_NS0_5tupleIJPtSJ_EEENSK_IJSJ_SJ_EEES6_PlJ7is_evenItEEEE10hipError_tPvRmT3_T4_T5_T6_T7_T9_mT8_P12ihipStream_tbDpT10_ENKUlT_T0_E_clISt17integral_constantIbLb0EES19_IbLb1EEEEDaS15_S16_EUlS15_E_NS1_11comp_targetILNS1_3genE2ELNS1_11target_archE906ELNS1_3gpuE6ELNS1_3repE0EEENS1_30default_config_static_selectorELNS0_4arch9wavefront6targetE1EEEvT1_,"axG",@progbits,_ZN7rocprim17ROCPRIM_400000_NS6detail17trampoline_kernelINS0_14default_configENS1_25partition_config_selectorILNS1_17partition_subalgoE3EtNS0_10empty_typeEbEEZZNS1_14partition_implILS5_3ELb0ES3_jN6thrust23THRUST_200600_302600_NS6detail15normal_iteratorINSA_7pointerItNSA_11hip_rocprim3tagENSA_11use_defaultESG_EEEEPS6_SJ_NS0_5tupleIJPtSJ_EEENSK_IJSJ_SJ_EEES6_PlJ7is_evenItEEEE10hipError_tPvRmT3_T4_T5_T6_T7_T9_mT8_P12ihipStream_tbDpT10_ENKUlT_T0_E_clISt17integral_constantIbLb0EES19_IbLb1EEEEDaS15_S16_EUlS15_E_NS1_11comp_targetILNS1_3genE2ELNS1_11target_archE906ELNS1_3gpuE6ELNS1_3repE0EEENS1_30default_config_static_selectorELNS0_4arch9wavefront6targetE1EEEvT1_,comdat
.Lfunc_end1184:
	.size	_ZN7rocprim17ROCPRIM_400000_NS6detail17trampoline_kernelINS0_14default_configENS1_25partition_config_selectorILNS1_17partition_subalgoE3EtNS0_10empty_typeEbEEZZNS1_14partition_implILS5_3ELb0ES3_jN6thrust23THRUST_200600_302600_NS6detail15normal_iteratorINSA_7pointerItNSA_11hip_rocprim3tagENSA_11use_defaultESG_EEEEPS6_SJ_NS0_5tupleIJPtSJ_EEENSK_IJSJ_SJ_EEES6_PlJ7is_evenItEEEE10hipError_tPvRmT3_T4_T5_T6_T7_T9_mT8_P12ihipStream_tbDpT10_ENKUlT_T0_E_clISt17integral_constantIbLb0EES19_IbLb1EEEEDaS15_S16_EUlS15_E_NS1_11comp_targetILNS1_3genE2ELNS1_11target_archE906ELNS1_3gpuE6ELNS1_3repE0EEENS1_30default_config_static_selectorELNS0_4arch9wavefront6targetE1EEEvT1_, .Lfunc_end1184-_ZN7rocprim17ROCPRIM_400000_NS6detail17trampoline_kernelINS0_14default_configENS1_25partition_config_selectorILNS1_17partition_subalgoE3EtNS0_10empty_typeEbEEZZNS1_14partition_implILS5_3ELb0ES3_jN6thrust23THRUST_200600_302600_NS6detail15normal_iteratorINSA_7pointerItNSA_11hip_rocprim3tagENSA_11use_defaultESG_EEEEPS6_SJ_NS0_5tupleIJPtSJ_EEENSK_IJSJ_SJ_EEES6_PlJ7is_evenItEEEE10hipError_tPvRmT3_T4_T5_T6_T7_T9_mT8_P12ihipStream_tbDpT10_ENKUlT_T0_E_clISt17integral_constantIbLb0EES19_IbLb1EEEEDaS15_S16_EUlS15_E_NS1_11comp_targetILNS1_3genE2ELNS1_11target_archE906ELNS1_3gpuE6ELNS1_3repE0EEENS1_30default_config_static_selectorELNS0_4arch9wavefront6targetE1EEEvT1_
                                        ; -- End function
	.section	.AMDGPU.csdata,"",@progbits
; Kernel info:
; codeLenInByte = 0
; NumSgprs: 4
; NumVgprs: 0
; NumAgprs: 0
; TotalNumVgprs: 0
; ScratchSize: 0
; MemoryBound: 0
; FloatMode: 240
; IeeeMode: 1
; LDSByteSize: 0 bytes/workgroup (compile time only)
; SGPRBlocks: 0
; VGPRBlocks: 0
; NumSGPRsForWavesPerEU: 4
; NumVGPRsForWavesPerEU: 1
; AccumOffset: 4
; Occupancy: 8
; WaveLimiterHint : 0
; COMPUTE_PGM_RSRC2:SCRATCH_EN: 0
; COMPUTE_PGM_RSRC2:USER_SGPR: 6
; COMPUTE_PGM_RSRC2:TRAP_HANDLER: 0
; COMPUTE_PGM_RSRC2:TGID_X_EN: 1
; COMPUTE_PGM_RSRC2:TGID_Y_EN: 0
; COMPUTE_PGM_RSRC2:TGID_Z_EN: 0
; COMPUTE_PGM_RSRC2:TIDIG_COMP_CNT: 0
; COMPUTE_PGM_RSRC3_GFX90A:ACCUM_OFFSET: 0
; COMPUTE_PGM_RSRC3_GFX90A:TG_SPLIT: 0
	.section	.text._ZN7rocprim17ROCPRIM_400000_NS6detail17trampoline_kernelINS0_14default_configENS1_25partition_config_selectorILNS1_17partition_subalgoE3EtNS0_10empty_typeEbEEZZNS1_14partition_implILS5_3ELb0ES3_jN6thrust23THRUST_200600_302600_NS6detail15normal_iteratorINSA_7pointerItNSA_11hip_rocprim3tagENSA_11use_defaultESG_EEEEPS6_SJ_NS0_5tupleIJPtSJ_EEENSK_IJSJ_SJ_EEES6_PlJ7is_evenItEEEE10hipError_tPvRmT3_T4_T5_T6_T7_T9_mT8_P12ihipStream_tbDpT10_ENKUlT_T0_E_clISt17integral_constantIbLb0EES19_IbLb1EEEEDaS15_S16_EUlS15_E_NS1_11comp_targetILNS1_3genE10ELNS1_11target_archE1200ELNS1_3gpuE4ELNS1_3repE0EEENS1_30default_config_static_selectorELNS0_4arch9wavefront6targetE1EEEvT1_,"axG",@progbits,_ZN7rocprim17ROCPRIM_400000_NS6detail17trampoline_kernelINS0_14default_configENS1_25partition_config_selectorILNS1_17partition_subalgoE3EtNS0_10empty_typeEbEEZZNS1_14partition_implILS5_3ELb0ES3_jN6thrust23THRUST_200600_302600_NS6detail15normal_iteratorINSA_7pointerItNSA_11hip_rocprim3tagENSA_11use_defaultESG_EEEEPS6_SJ_NS0_5tupleIJPtSJ_EEENSK_IJSJ_SJ_EEES6_PlJ7is_evenItEEEE10hipError_tPvRmT3_T4_T5_T6_T7_T9_mT8_P12ihipStream_tbDpT10_ENKUlT_T0_E_clISt17integral_constantIbLb0EES19_IbLb1EEEEDaS15_S16_EUlS15_E_NS1_11comp_targetILNS1_3genE10ELNS1_11target_archE1200ELNS1_3gpuE4ELNS1_3repE0EEENS1_30default_config_static_selectorELNS0_4arch9wavefront6targetE1EEEvT1_,comdat
	.protected	_ZN7rocprim17ROCPRIM_400000_NS6detail17trampoline_kernelINS0_14default_configENS1_25partition_config_selectorILNS1_17partition_subalgoE3EtNS0_10empty_typeEbEEZZNS1_14partition_implILS5_3ELb0ES3_jN6thrust23THRUST_200600_302600_NS6detail15normal_iteratorINSA_7pointerItNSA_11hip_rocprim3tagENSA_11use_defaultESG_EEEEPS6_SJ_NS0_5tupleIJPtSJ_EEENSK_IJSJ_SJ_EEES6_PlJ7is_evenItEEEE10hipError_tPvRmT3_T4_T5_T6_T7_T9_mT8_P12ihipStream_tbDpT10_ENKUlT_T0_E_clISt17integral_constantIbLb0EES19_IbLb1EEEEDaS15_S16_EUlS15_E_NS1_11comp_targetILNS1_3genE10ELNS1_11target_archE1200ELNS1_3gpuE4ELNS1_3repE0EEENS1_30default_config_static_selectorELNS0_4arch9wavefront6targetE1EEEvT1_ ; -- Begin function _ZN7rocprim17ROCPRIM_400000_NS6detail17trampoline_kernelINS0_14default_configENS1_25partition_config_selectorILNS1_17partition_subalgoE3EtNS0_10empty_typeEbEEZZNS1_14partition_implILS5_3ELb0ES3_jN6thrust23THRUST_200600_302600_NS6detail15normal_iteratorINSA_7pointerItNSA_11hip_rocprim3tagENSA_11use_defaultESG_EEEEPS6_SJ_NS0_5tupleIJPtSJ_EEENSK_IJSJ_SJ_EEES6_PlJ7is_evenItEEEE10hipError_tPvRmT3_T4_T5_T6_T7_T9_mT8_P12ihipStream_tbDpT10_ENKUlT_T0_E_clISt17integral_constantIbLb0EES19_IbLb1EEEEDaS15_S16_EUlS15_E_NS1_11comp_targetILNS1_3genE10ELNS1_11target_archE1200ELNS1_3gpuE4ELNS1_3repE0EEENS1_30default_config_static_selectorELNS0_4arch9wavefront6targetE1EEEvT1_
	.globl	_ZN7rocprim17ROCPRIM_400000_NS6detail17trampoline_kernelINS0_14default_configENS1_25partition_config_selectorILNS1_17partition_subalgoE3EtNS0_10empty_typeEbEEZZNS1_14partition_implILS5_3ELb0ES3_jN6thrust23THRUST_200600_302600_NS6detail15normal_iteratorINSA_7pointerItNSA_11hip_rocprim3tagENSA_11use_defaultESG_EEEEPS6_SJ_NS0_5tupleIJPtSJ_EEENSK_IJSJ_SJ_EEES6_PlJ7is_evenItEEEE10hipError_tPvRmT3_T4_T5_T6_T7_T9_mT8_P12ihipStream_tbDpT10_ENKUlT_T0_E_clISt17integral_constantIbLb0EES19_IbLb1EEEEDaS15_S16_EUlS15_E_NS1_11comp_targetILNS1_3genE10ELNS1_11target_archE1200ELNS1_3gpuE4ELNS1_3repE0EEENS1_30default_config_static_selectorELNS0_4arch9wavefront6targetE1EEEvT1_
	.p2align	8
	.type	_ZN7rocprim17ROCPRIM_400000_NS6detail17trampoline_kernelINS0_14default_configENS1_25partition_config_selectorILNS1_17partition_subalgoE3EtNS0_10empty_typeEbEEZZNS1_14partition_implILS5_3ELb0ES3_jN6thrust23THRUST_200600_302600_NS6detail15normal_iteratorINSA_7pointerItNSA_11hip_rocprim3tagENSA_11use_defaultESG_EEEEPS6_SJ_NS0_5tupleIJPtSJ_EEENSK_IJSJ_SJ_EEES6_PlJ7is_evenItEEEE10hipError_tPvRmT3_T4_T5_T6_T7_T9_mT8_P12ihipStream_tbDpT10_ENKUlT_T0_E_clISt17integral_constantIbLb0EES19_IbLb1EEEEDaS15_S16_EUlS15_E_NS1_11comp_targetILNS1_3genE10ELNS1_11target_archE1200ELNS1_3gpuE4ELNS1_3repE0EEENS1_30default_config_static_selectorELNS0_4arch9wavefront6targetE1EEEvT1_,@function
_ZN7rocprim17ROCPRIM_400000_NS6detail17trampoline_kernelINS0_14default_configENS1_25partition_config_selectorILNS1_17partition_subalgoE3EtNS0_10empty_typeEbEEZZNS1_14partition_implILS5_3ELb0ES3_jN6thrust23THRUST_200600_302600_NS6detail15normal_iteratorINSA_7pointerItNSA_11hip_rocprim3tagENSA_11use_defaultESG_EEEEPS6_SJ_NS0_5tupleIJPtSJ_EEENSK_IJSJ_SJ_EEES6_PlJ7is_evenItEEEE10hipError_tPvRmT3_T4_T5_T6_T7_T9_mT8_P12ihipStream_tbDpT10_ENKUlT_T0_E_clISt17integral_constantIbLb0EES19_IbLb1EEEEDaS15_S16_EUlS15_E_NS1_11comp_targetILNS1_3genE10ELNS1_11target_archE1200ELNS1_3gpuE4ELNS1_3repE0EEENS1_30default_config_static_selectorELNS0_4arch9wavefront6targetE1EEEvT1_: ; @_ZN7rocprim17ROCPRIM_400000_NS6detail17trampoline_kernelINS0_14default_configENS1_25partition_config_selectorILNS1_17partition_subalgoE3EtNS0_10empty_typeEbEEZZNS1_14partition_implILS5_3ELb0ES3_jN6thrust23THRUST_200600_302600_NS6detail15normal_iteratorINSA_7pointerItNSA_11hip_rocprim3tagENSA_11use_defaultESG_EEEEPS6_SJ_NS0_5tupleIJPtSJ_EEENSK_IJSJ_SJ_EEES6_PlJ7is_evenItEEEE10hipError_tPvRmT3_T4_T5_T6_T7_T9_mT8_P12ihipStream_tbDpT10_ENKUlT_T0_E_clISt17integral_constantIbLb0EES19_IbLb1EEEEDaS15_S16_EUlS15_E_NS1_11comp_targetILNS1_3genE10ELNS1_11target_archE1200ELNS1_3gpuE4ELNS1_3repE0EEENS1_30default_config_static_selectorELNS0_4arch9wavefront6targetE1EEEvT1_
; %bb.0:
	.section	.rodata,"a",@progbits
	.p2align	6, 0x0
	.amdhsa_kernel _ZN7rocprim17ROCPRIM_400000_NS6detail17trampoline_kernelINS0_14default_configENS1_25partition_config_selectorILNS1_17partition_subalgoE3EtNS0_10empty_typeEbEEZZNS1_14partition_implILS5_3ELb0ES3_jN6thrust23THRUST_200600_302600_NS6detail15normal_iteratorINSA_7pointerItNSA_11hip_rocprim3tagENSA_11use_defaultESG_EEEEPS6_SJ_NS0_5tupleIJPtSJ_EEENSK_IJSJ_SJ_EEES6_PlJ7is_evenItEEEE10hipError_tPvRmT3_T4_T5_T6_T7_T9_mT8_P12ihipStream_tbDpT10_ENKUlT_T0_E_clISt17integral_constantIbLb0EES19_IbLb1EEEEDaS15_S16_EUlS15_E_NS1_11comp_targetILNS1_3genE10ELNS1_11target_archE1200ELNS1_3gpuE4ELNS1_3repE0EEENS1_30default_config_static_selectorELNS0_4arch9wavefront6targetE1EEEvT1_
		.amdhsa_group_segment_fixed_size 0
		.amdhsa_private_segment_fixed_size 0
		.amdhsa_kernarg_size 136
		.amdhsa_user_sgpr_count 6
		.amdhsa_user_sgpr_private_segment_buffer 1
		.amdhsa_user_sgpr_dispatch_ptr 0
		.amdhsa_user_sgpr_queue_ptr 0
		.amdhsa_user_sgpr_kernarg_segment_ptr 1
		.amdhsa_user_sgpr_dispatch_id 0
		.amdhsa_user_sgpr_flat_scratch_init 0
		.amdhsa_user_sgpr_kernarg_preload_length 0
		.amdhsa_user_sgpr_kernarg_preload_offset 0
		.amdhsa_user_sgpr_private_segment_size 0
		.amdhsa_uses_dynamic_stack 0
		.amdhsa_system_sgpr_private_segment_wavefront_offset 0
		.amdhsa_system_sgpr_workgroup_id_x 1
		.amdhsa_system_sgpr_workgroup_id_y 0
		.amdhsa_system_sgpr_workgroup_id_z 0
		.amdhsa_system_sgpr_workgroup_info 0
		.amdhsa_system_vgpr_workitem_id 0
		.amdhsa_next_free_vgpr 1
		.amdhsa_next_free_sgpr 0
		.amdhsa_accum_offset 4
		.amdhsa_reserve_vcc 0
		.amdhsa_reserve_flat_scratch 0
		.amdhsa_float_round_mode_32 0
		.amdhsa_float_round_mode_16_64 0
		.amdhsa_float_denorm_mode_32 3
		.amdhsa_float_denorm_mode_16_64 3
		.amdhsa_dx10_clamp 1
		.amdhsa_ieee_mode 1
		.amdhsa_fp16_overflow 0
		.amdhsa_tg_split 0
		.amdhsa_exception_fp_ieee_invalid_op 0
		.amdhsa_exception_fp_denorm_src 0
		.amdhsa_exception_fp_ieee_div_zero 0
		.amdhsa_exception_fp_ieee_overflow 0
		.amdhsa_exception_fp_ieee_underflow 0
		.amdhsa_exception_fp_ieee_inexact 0
		.amdhsa_exception_int_div_zero 0
	.end_amdhsa_kernel
	.section	.text._ZN7rocprim17ROCPRIM_400000_NS6detail17trampoline_kernelINS0_14default_configENS1_25partition_config_selectorILNS1_17partition_subalgoE3EtNS0_10empty_typeEbEEZZNS1_14partition_implILS5_3ELb0ES3_jN6thrust23THRUST_200600_302600_NS6detail15normal_iteratorINSA_7pointerItNSA_11hip_rocprim3tagENSA_11use_defaultESG_EEEEPS6_SJ_NS0_5tupleIJPtSJ_EEENSK_IJSJ_SJ_EEES6_PlJ7is_evenItEEEE10hipError_tPvRmT3_T4_T5_T6_T7_T9_mT8_P12ihipStream_tbDpT10_ENKUlT_T0_E_clISt17integral_constantIbLb0EES19_IbLb1EEEEDaS15_S16_EUlS15_E_NS1_11comp_targetILNS1_3genE10ELNS1_11target_archE1200ELNS1_3gpuE4ELNS1_3repE0EEENS1_30default_config_static_selectorELNS0_4arch9wavefront6targetE1EEEvT1_,"axG",@progbits,_ZN7rocprim17ROCPRIM_400000_NS6detail17trampoline_kernelINS0_14default_configENS1_25partition_config_selectorILNS1_17partition_subalgoE3EtNS0_10empty_typeEbEEZZNS1_14partition_implILS5_3ELb0ES3_jN6thrust23THRUST_200600_302600_NS6detail15normal_iteratorINSA_7pointerItNSA_11hip_rocprim3tagENSA_11use_defaultESG_EEEEPS6_SJ_NS0_5tupleIJPtSJ_EEENSK_IJSJ_SJ_EEES6_PlJ7is_evenItEEEE10hipError_tPvRmT3_T4_T5_T6_T7_T9_mT8_P12ihipStream_tbDpT10_ENKUlT_T0_E_clISt17integral_constantIbLb0EES19_IbLb1EEEEDaS15_S16_EUlS15_E_NS1_11comp_targetILNS1_3genE10ELNS1_11target_archE1200ELNS1_3gpuE4ELNS1_3repE0EEENS1_30default_config_static_selectorELNS0_4arch9wavefront6targetE1EEEvT1_,comdat
.Lfunc_end1185:
	.size	_ZN7rocprim17ROCPRIM_400000_NS6detail17trampoline_kernelINS0_14default_configENS1_25partition_config_selectorILNS1_17partition_subalgoE3EtNS0_10empty_typeEbEEZZNS1_14partition_implILS5_3ELb0ES3_jN6thrust23THRUST_200600_302600_NS6detail15normal_iteratorINSA_7pointerItNSA_11hip_rocprim3tagENSA_11use_defaultESG_EEEEPS6_SJ_NS0_5tupleIJPtSJ_EEENSK_IJSJ_SJ_EEES6_PlJ7is_evenItEEEE10hipError_tPvRmT3_T4_T5_T6_T7_T9_mT8_P12ihipStream_tbDpT10_ENKUlT_T0_E_clISt17integral_constantIbLb0EES19_IbLb1EEEEDaS15_S16_EUlS15_E_NS1_11comp_targetILNS1_3genE10ELNS1_11target_archE1200ELNS1_3gpuE4ELNS1_3repE0EEENS1_30default_config_static_selectorELNS0_4arch9wavefront6targetE1EEEvT1_, .Lfunc_end1185-_ZN7rocprim17ROCPRIM_400000_NS6detail17trampoline_kernelINS0_14default_configENS1_25partition_config_selectorILNS1_17partition_subalgoE3EtNS0_10empty_typeEbEEZZNS1_14partition_implILS5_3ELb0ES3_jN6thrust23THRUST_200600_302600_NS6detail15normal_iteratorINSA_7pointerItNSA_11hip_rocprim3tagENSA_11use_defaultESG_EEEEPS6_SJ_NS0_5tupleIJPtSJ_EEENSK_IJSJ_SJ_EEES6_PlJ7is_evenItEEEE10hipError_tPvRmT3_T4_T5_T6_T7_T9_mT8_P12ihipStream_tbDpT10_ENKUlT_T0_E_clISt17integral_constantIbLb0EES19_IbLb1EEEEDaS15_S16_EUlS15_E_NS1_11comp_targetILNS1_3genE10ELNS1_11target_archE1200ELNS1_3gpuE4ELNS1_3repE0EEENS1_30default_config_static_selectorELNS0_4arch9wavefront6targetE1EEEvT1_
                                        ; -- End function
	.section	.AMDGPU.csdata,"",@progbits
; Kernel info:
; codeLenInByte = 0
; NumSgprs: 4
; NumVgprs: 0
; NumAgprs: 0
; TotalNumVgprs: 0
; ScratchSize: 0
; MemoryBound: 0
; FloatMode: 240
; IeeeMode: 1
; LDSByteSize: 0 bytes/workgroup (compile time only)
; SGPRBlocks: 0
; VGPRBlocks: 0
; NumSGPRsForWavesPerEU: 4
; NumVGPRsForWavesPerEU: 1
; AccumOffset: 4
; Occupancy: 8
; WaveLimiterHint : 0
; COMPUTE_PGM_RSRC2:SCRATCH_EN: 0
; COMPUTE_PGM_RSRC2:USER_SGPR: 6
; COMPUTE_PGM_RSRC2:TRAP_HANDLER: 0
; COMPUTE_PGM_RSRC2:TGID_X_EN: 1
; COMPUTE_PGM_RSRC2:TGID_Y_EN: 0
; COMPUTE_PGM_RSRC2:TGID_Z_EN: 0
; COMPUTE_PGM_RSRC2:TIDIG_COMP_CNT: 0
; COMPUTE_PGM_RSRC3_GFX90A:ACCUM_OFFSET: 0
; COMPUTE_PGM_RSRC3_GFX90A:TG_SPLIT: 0
	.section	.text._ZN7rocprim17ROCPRIM_400000_NS6detail17trampoline_kernelINS0_14default_configENS1_25partition_config_selectorILNS1_17partition_subalgoE3EtNS0_10empty_typeEbEEZZNS1_14partition_implILS5_3ELb0ES3_jN6thrust23THRUST_200600_302600_NS6detail15normal_iteratorINSA_7pointerItNSA_11hip_rocprim3tagENSA_11use_defaultESG_EEEEPS6_SJ_NS0_5tupleIJPtSJ_EEENSK_IJSJ_SJ_EEES6_PlJ7is_evenItEEEE10hipError_tPvRmT3_T4_T5_T6_T7_T9_mT8_P12ihipStream_tbDpT10_ENKUlT_T0_E_clISt17integral_constantIbLb0EES19_IbLb1EEEEDaS15_S16_EUlS15_E_NS1_11comp_targetILNS1_3genE9ELNS1_11target_archE1100ELNS1_3gpuE3ELNS1_3repE0EEENS1_30default_config_static_selectorELNS0_4arch9wavefront6targetE1EEEvT1_,"axG",@progbits,_ZN7rocprim17ROCPRIM_400000_NS6detail17trampoline_kernelINS0_14default_configENS1_25partition_config_selectorILNS1_17partition_subalgoE3EtNS0_10empty_typeEbEEZZNS1_14partition_implILS5_3ELb0ES3_jN6thrust23THRUST_200600_302600_NS6detail15normal_iteratorINSA_7pointerItNSA_11hip_rocprim3tagENSA_11use_defaultESG_EEEEPS6_SJ_NS0_5tupleIJPtSJ_EEENSK_IJSJ_SJ_EEES6_PlJ7is_evenItEEEE10hipError_tPvRmT3_T4_T5_T6_T7_T9_mT8_P12ihipStream_tbDpT10_ENKUlT_T0_E_clISt17integral_constantIbLb0EES19_IbLb1EEEEDaS15_S16_EUlS15_E_NS1_11comp_targetILNS1_3genE9ELNS1_11target_archE1100ELNS1_3gpuE3ELNS1_3repE0EEENS1_30default_config_static_selectorELNS0_4arch9wavefront6targetE1EEEvT1_,comdat
	.protected	_ZN7rocprim17ROCPRIM_400000_NS6detail17trampoline_kernelINS0_14default_configENS1_25partition_config_selectorILNS1_17partition_subalgoE3EtNS0_10empty_typeEbEEZZNS1_14partition_implILS5_3ELb0ES3_jN6thrust23THRUST_200600_302600_NS6detail15normal_iteratorINSA_7pointerItNSA_11hip_rocprim3tagENSA_11use_defaultESG_EEEEPS6_SJ_NS0_5tupleIJPtSJ_EEENSK_IJSJ_SJ_EEES6_PlJ7is_evenItEEEE10hipError_tPvRmT3_T4_T5_T6_T7_T9_mT8_P12ihipStream_tbDpT10_ENKUlT_T0_E_clISt17integral_constantIbLb0EES19_IbLb1EEEEDaS15_S16_EUlS15_E_NS1_11comp_targetILNS1_3genE9ELNS1_11target_archE1100ELNS1_3gpuE3ELNS1_3repE0EEENS1_30default_config_static_selectorELNS0_4arch9wavefront6targetE1EEEvT1_ ; -- Begin function _ZN7rocprim17ROCPRIM_400000_NS6detail17trampoline_kernelINS0_14default_configENS1_25partition_config_selectorILNS1_17partition_subalgoE3EtNS0_10empty_typeEbEEZZNS1_14partition_implILS5_3ELb0ES3_jN6thrust23THRUST_200600_302600_NS6detail15normal_iteratorINSA_7pointerItNSA_11hip_rocprim3tagENSA_11use_defaultESG_EEEEPS6_SJ_NS0_5tupleIJPtSJ_EEENSK_IJSJ_SJ_EEES6_PlJ7is_evenItEEEE10hipError_tPvRmT3_T4_T5_T6_T7_T9_mT8_P12ihipStream_tbDpT10_ENKUlT_T0_E_clISt17integral_constantIbLb0EES19_IbLb1EEEEDaS15_S16_EUlS15_E_NS1_11comp_targetILNS1_3genE9ELNS1_11target_archE1100ELNS1_3gpuE3ELNS1_3repE0EEENS1_30default_config_static_selectorELNS0_4arch9wavefront6targetE1EEEvT1_
	.globl	_ZN7rocprim17ROCPRIM_400000_NS6detail17trampoline_kernelINS0_14default_configENS1_25partition_config_selectorILNS1_17partition_subalgoE3EtNS0_10empty_typeEbEEZZNS1_14partition_implILS5_3ELb0ES3_jN6thrust23THRUST_200600_302600_NS6detail15normal_iteratorINSA_7pointerItNSA_11hip_rocprim3tagENSA_11use_defaultESG_EEEEPS6_SJ_NS0_5tupleIJPtSJ_EEENSK_IJSJ_SJ_EEES6_PlJ7is_evenItEEEE10hipError_tPvRmT3_T4_T5_T6_T7_T9_mT8_P12ihipStream_tbDpT10_ENKUlT_T0_E_clISt17integral_constantIbLb0EES19_IbLb1EEEEDaS15_S16_EUlS15_E_NS1_11comp_targetILNS1_3genE9ELNS1_11target_archE1100ELNS1_3gpuE3ELNS1_3repE0EEENS1_30default_config_static_selectorELNS0_4arch9wavefront6targetE1EEEvT1_
	.p2align	8
	.type	_ZN7rocprim17ROCPRIM_400000_NS6detail17trampoline_kernelINS0_14default_configENS1_25partition_config_selectorILNS1_17partition_subalgoE3EtNS0_10empty_typeEbEEZZNS1_14partition_implILS5_3ELb0ES3_jN6thrust23THRUST_200600_302600_NS6detail15normal_iteratorINSA_7pointerItNSA_11hip_rocprim3tagENSA_11use_defaultESG_EEEEPS6_SJ_NS0_5tupleIJPtSJ_EEENSK_IJSJ_SJ_EEES6_PlJ7is_evenItEEEE10hipError_tPvRmT3_T4_T5_T6_T7_T9_mT8_P12ihipStream_tbDpT10_ENKUlT_T0_E_clISt17integral_constantIbLb0EES19_IbLb1EEEEDaS15_S16_EUlS15_E_NS1_11comp_targetILNS1_3genE9ELNS1_11target_archE1100ELNS1_3gpuE3ELNS1_3repE0EEENS1_30default_config_static_selectorELNS0_4arch9wavefront6targetE1EEEvT1_,@function
_ZN7rocprim17ROCPRIM_400000_NS6detail17trampoline_kernelINS0_14default_configENS1_25partition_config_selectorILNS1_17partition_subalgoE3EtNS0_10empty_typeEbEEZZNS1_14partition_implILS5_3ELb0ES3_jN6thrust23THRUST_200600_302600_NS6detail15normal_iteratorINSA_7pointerItNSA_11hip_rocprim3tagENSA_11use_defaultESG_EEEEPS6_SJ_NS0_5tupleIJPtSJ_EEENSK_IJSJ_SJ_EEES6_PlJ7is_evenItEEEE10hipError_tPvRmT3_T4_T5_T6_T7_T9_mT8_P12ihipStream_tbDpT10_ENKUlT_T0_E_clISt17integral_constantIbLb0EES19_IbLb1EEEEDaS15_S16_EUlS15_E_NS1_11comp_targetILNS1_3genE9ELNS1_11target_archE1100ELNS1_3gpuE3ELNS1_3repE0EEENS1_30default_config_static_selectorELNS0_4arch9wavefront6targetE1EEEvT1_: ; @_ZN7rocprim17ROCPRIM_400000_NS6detail17trampoline_kernelINS0_14default_configENS1_25partition_config_selectorILNS1_17partition_subalgoE3EtNS0_10empty_typeEbEEZZNS1_14partition_implILS5_3ELb0ES3_jN6thrust23THRUST_200600_302600_NS6detail15normal_iteratorINSA_7pointerItNSA_11hip_rocprim3tagENSA_11use_defaultESG_EEEEPS6_SJ_NS0_5tupleIJPtSJ_EEENSK_IJSJ_SJ_EEES6_PlJ7is_evenItEEEE10hipError_tPvRmT3_T4_T5_T6_T7_T9_mT8_P12ihipStream_tbDpT10_ENKUlT_T0_E_clISt17integral_constantIbLb0EES19_IbLb1EEEEDaS15_S16_EUlS15_E_NS1_11comp_targetILNS1_3genE9ELNS1_11target_archE1100ELNS1_3gpuE3ELNS1_3repE0EEENS1_30default_config_static_selectorELNS0_4arch9wavefront6targetE1EEEvT1_
; %bb.0:
	.section	.rodata,"a",@progbits
	.p2align	6, 0x0
	.amdhsa_kernel _ZN7rocprim17ROCPRIM_400000_NS6detail17trampoline_kernelINS0_14default_configENS1_25partition_config_selectorILNS1_17partition_subalgoE3EtNS0_10empty_typeEbEEZZNS1_14partition_implILS5_3ELb0ES3_jN6thrust23THRUST_200600_302600_NS6detail15normal_iteratorINSA_7pointerItNSA_11hip_rocprim3tagENSA_11use_defaultESG_EEEEPS6_SJ_NS0_5tupleIJPtSJ_EEENSK_IJSJ_SJ_EEES6_PlJ7is_evenItEEEE10hipError_tPvRmT3_T4_T5_T6_T7_T9_mT8_P12ihipStream_tbDpT10_ENKUlT_T0_E_clISt17integral_constantIbLb0EES19_IbLb1EEEEDaS15_S16_EUlS15_E_NS1_11comp_targetILNS1_3genE9ELNS1_11target_archE1100ELNS1_3gpuE3ELNS1_3repE0EEENS1_30default_config_static_selectorELNS0_4arch9wavefront6targetE1EEEvT1_
		.amdhsa_group_segment_fixed_size 0
		.amdhsa_private_segment_fixed_size 0
		.amdhsa_kernarg_size 136
		.amdhsa_user_sgpr_count 6
		.amdhsa_user_sgpr_private_segment_buffer 1
		.amdhsa_user_sgpr_dispatch_ptr 0
		.amdhsa_user_sgpr_queue_ptr 0
		.amdhsa_user_sgpr_kernarg_segment_ptr 1
		.amdhsa_user_sgpr_dispatch_id 0
		.amdhsa_user_sgpr_flat_scratch_init 0
		.amdhsa_user_sgpr_kernarg_preload_length 0
		.amdhsa_user_sgpr_kernarg_preload_offset 0
		.amdhsa_user_sgpr_private_segment_size 0
		.amdhsa_uses_dynamic_stack 0
		.amdhsa_system_sgpr_private_segment_wavefront_offset 0
		.amdhsa_system_sgpr_workgroup_id_x 1
		.amdhsa_system_sgpr_workgroup_id_y 0
		.amdhsa_system_sgpr_workgroup_id_z 0
		.amdhsa_system_sgpr_workgroup_info 0
		.amdhsa_system_vgpr_workitem_id 0
		.amdhsa_next_free_vgpr 1
		.amdhsa_next_free_sgpr 0
		.amdhsa_accum_offset 4
		.amdhsa_reserve_vcc 0
		.amdhsa_reserve_flat_scratch 0
		.amdhsa_float_round_mode_32 0
		.amdhsa_float_round_mode_16_64 0
		.amdhsa_float_denorm_mode_32 3
		.amdhsa_float_denorm_mode_16_64 3
		.amdhsa_dx10_clamp 1
		.amdhsa_ieee_mode 1
		.amdhsa_fp16_overflow 0
		.amdhsa_tg_split 0
		.amdhsa_exception_fp_ieee_invalid_op 0
		.amdhsa_exception_fp_denorm_src 0
		.amdhsa_exception_fp_ieee_div_zero 0
		.amdhsa_exception_fp_ieee_overflow 0
		.amdhsa_exception_fp_ieee_underflow 0
		.amdhsa_exception_fp_ieee_inexact 0
		.amdhsa_exception_int_div_zero 0
	.end_amdhsa_kernel
	.section	.text._ZN7rocprim17ROCPRIM_400000_NS6detail17trampoline_kernelINS0_14default_configENS1_25partition_config_selectorILNS1_17partition_subalgoE3EtNS0_10empty_typeEbEEZZNS1_14partition_implILS5_3ELb0ES3_jN6thrust23THRUST_200600_302600_NS6detail15normal_iteratorINSA_7pointerItNSA_11hip_rocprim3tagENSA_11use_defaultESG_EEEEPS6_SJ_NS0_5tupleIJPtSJ_EEENSK_IJSJ_SJ_EEES6_PlJ7is_evenItEEEE10hipError_tPvRmT3_T4_T5_T6_T7_T9_mT8_P12ihipStream_tbDpT10_ENKUlT_T0_E_clISt17integral_constantIbLb0EES19_IbLb1EEEEDaS15_S16_EUlS15_E_NS1_11comp_targetILNS1_3genE9ELNS1_11target_archE1100ELNS1_3gpuE3ELNS1_3repE0EEENS1_30default_config_static_selectorELNS0_4arch9wavefront6targetE1EEEvT1_,"axG",@progbits,_ZN7rocprim17ROCPRIM_400000_NS6detail17trampoline_kernelINS0_14default_configENS1_25partition_config_selectorILNS1_17partition_subalgoE3EtNS0_10empty_typeEbEEZZNS1_14partition_implILS5_3ELb0ES3_jN6thrust23THRUST_200600_302600_NS6detail15normal_iteratorINSA_7pointerItNSA_11hip_rocprim3tagENSA_11use_defaultESG_EEEEPS6_SJ_NS0_5tupleIJPtSJ_EEENSK_IJSJ_SJ_EEES6_PlJ7is_evenItEEEE10hipError_tPvRmT3_T4_T5_T6_T7_T9_mT8_P12ihipStream_tbDpT10_ENKUlT_T0_E_clISt17integral_constantIbLb0EES19_IbLb1EEEEDaS15_S16_EUlS15_E_NS1_11comp_targetILNS1_3genE9ELNS1_11target_archE1100ELNS1_3gpuE3ELNS1_3repE0EEENS1_30default_config_static_selectorELNS0_4arch9wavefront6targetE1EEEvT1_,comdat
.Lfunc_end1186:
	.size	_ZN7rocprim17ROCPRIM_400000_NS6detail17trampoline_kernelINS0_14default_configENS1_25partition_config_selectorILNS1_17partition_subalgoE3EtNS0_10empty_typeEbEEZZNS1_14partition_implILS5_3ELb0ES3_jN6thrust23THRUST_200600_302600_NS6detail15normal_iteratorINSA_7pointerItNSA_11hip_rocprim3tagENSA_11use_defaultESG_EEEEPS6_SJ_NS0_5tupleIJPtSJ_EEENSK_IJSJ_SJ_EEES6_PlJ7is_evenItEEEE10hipError_tPvRmT3_T4_T5_T6_T7_T9_mT8_P12ihipStream_tbDpT10_ENKUlT_T0_E_clISt17integral_constantIbLb0EES19_IbLb1EEEEDaS15_S16_EUlS15_E_NS1_11comp_targetILNS1_3genE9ELNS1_11target_archE1100ELNS1_3gpuE3ELNS1_3repE0EEENS1_30default_config_static_selectorELNS0_4arch9wavefront6targetE1EEEvT1_, .Lfunc_end1186-_ZN7rocprim17ROCPRIM_400000_NS6detail17trampoline_kernelINS0_14default_configENS1_25partition_config_selectorILNS1_17partition_subalgoE3EtNS0_10empty_typeEbEEZZNS1_14partition_implILS5_3ELb0ES3_jN6thrust23THRUST_200600_302600_NS6detail15normal_iteratorINSA_7pointerItNSA_11hip_rocprim3tagENSA_11use_defaultESG_EEEEPS6_SJ_NS0_5tupleIJPtSJ_EEENSK_IJSJ_SJ_EEES6_PlJ7is_evenItEEEE10hipError_tPvRmT3_T4_T5_T6_T7_T9_mT8_P12ihipStream_tbDpT10_ENKUlT_T0_E_clISt17integral_constantIbLb0EES19_IbLb1EEEEDaS15_S16_EUlS15_E_NS1_11comp_targetILNS1_3genE9ELNS1_11target_archE1100ELNS1_3gpuE3ELNS1_3repE0EEENS1_30default_config_static_selectorELNS0_4arch9wavefront6targetE1EEEvT1_
                                        ; -- End function
	.section	.AMDGPU.csdata,"",@progbits
; Kernel info:
; codeLenInByte = 0
; NumSgprs: 4
; NumVgprs: 0
; NumAgprs: 0
; TotalNumVgprs: 0
; ScratchSize: 0
; MemoryBound: 0
; FloatMode: 240
; IeeeMode: 1
; LDSByteSize: 0 bytes/workgroup (compile time only)
; SGPRBlocks: 0
; VGPRBlocks: 0
; NumSGPRsForWavesPerEU: 4
; NumVGPRsForWavesPerEU: 1
; AccumOffset: 4
; Occupancy: 8
; WaveLimiterHint : 0
; COMPUTE_PGM_RSRC2:SCRATCH_EN: 0
; COMPUTE_PGM_RSRC2:USER_SGPR: 6
; COMPUTE_PGM_RSRC2:TRAP_HANDLER: 0
; COMPUTE_PGM_RSRC2:TGID_X_EN: 1
; COMPUTE_PGM_RSRC2:TGID_Y_EN: 0
; COMPUTE_PGM_RSRC2:TGID_Z_EN: 0
; COMPUTE_PGM_RSRC2:TIDIG_COMP_CNT: 0
; COMPUTE_PGM_RSRC3_GFX90A:ACCUM_OFFSET: 0
; COMPUTE_PGM_RSRC3_GFX90A:TG_SPLIT: 0
	.section	.text._ZN7rocprim17ROCPRIM_400000_NS6detail17trampoline_kernelINS0_14default_configENS1_25partition_config_selectorILNS1_17partition_subalgoE3EtNS0_10empty_typeEbEEZZNS1_14partition_implILS5_3ELb0ES3_jN6thrust23THRUST_200600_302600_NS6detail15normal_iteratorINSA_7pointerItNSA_11hip_rocprim3tagENSA_11use_defaultESG_EEEEPS6_SJ_NS0_5tupleIJPtSJ_EEENSK_IJSJ_SJ_EEES6_PlJ7is_evenItEEEE10hipError_tPvRmT3_T4_T5_T6_T7_T9_mT8_P12ihipStream_tbDpT10_ENKUlT_T0_E_clISt17integral_constantIbLb0EES19_IbLb1EEEEDaS15_S16_EUlS15_E_NS1_11comp_targetILNS1_3genE8ELNS1_11target_archE1030ELNS1_3gpuE2ELNS1_3repE0EEENS1_30default_config_static_selectorELNS0_4arch9wavefront6targetE1EEEvT1_,"axG",@progbits,_ZN7rocprim17ROCPRIM_400000_NS6detail17trampoline_kernelINS0_14default_configENS1_25partition_config_selectorILNS1_17partition_subalgoE3EtNS0_10empty_typeEbEEZZNS1_14partition_implILS5_3ELb0ES3_jN6thrust23THRUST_200600_302600_NS6detail15normal_iteratorINSA_7pointerItNSA_11hip_rocprim3tagENSA_11use_defaultESG_EEEEPS6_SJ_NS0_5tupleIJPtSJ_EEENSK_IJSJ_SJ_EEES6_PlJ7is_evenItEEEE10hipError_tPvRmT3_T4_T5_T6_T7_T9_mT8_P12ihipStream_tbDpT10_ENKUlT_T0_E_clISt17integral_constantIbLb0EES19_IbLb1EEEEDaS15_S16_EUlS15_E_NS1_11comp_targetILNS1_3genE8ELNS1_11target_archE1030ELNS1_3gpuE2ELNS1_3repE0EEENS1_30default_config_static_selectorELNS0_4arch9wavefront6targetE1EEEvT1_,comdat
	.protected	_ZN7rocprim17ROCPRIM_400000_NS6detail17trampoline_kernelINS0_14default_configENS1_25partition_config_selectorILNS1_17partition_subalgoE3EtNS0_10empty_typeEbEEZZNS1_14partition_implILS5_3ELb0ES3_jN6thrust23THRUST_200600_302600_NS6detail15normal_iteratorINSA_7pointerItNSA_11hip_rocprim3tagENSA_11use_defaultESG_EEEEPS6_SJ_NS0_5tupleIJPtSJ_EEENSK_IJSJ_SJ_EEES6_PlJ7is_evenItEEEE10hipError_tPvRmT3_T4_T5_T6_T7_T9_mT8_P12ihipStream_tbDpT10_ENKUlT_T0_E_clISt17integral_constantIbLb0EES19_IbLb1EEEEDaS15_S16_EUlS15_E_NS1_11comp_targetILNS1_3genE8ELNS1_11target_archE1030ELNS1_3gpuE2ELNS1_3repE0EEENS1_30default_config_static_selectorELNS0_4arch9wavefront6targetE1EEEvT1_ ; -- Begin function _ZN7rocprim17ROCPRIM_400000_NS6detail17trampoline_kernelINS0_14default_configENS1_25partition_config_selectorILNS1_17partition_subalgoE3EtNS0_10empty_typeEbEEZZNS1_14partition_implILS5_3ELb0ES3_jN6thrust23THRUST_200600_302600_NS6detail15normal_iteratorINSA_7pointerItNSA_11hip_rocprim3tagENSA_11use_defaultESG_EEEEPS6_SJ_NS0_5tupleIJPtSJ_EEENSK_IJSJ_SJ_EEES6_PlJ7is_evenItEEEE10hipError_tPvRmT3_T4_T5_T6_T7_T9_mT8_P12ihipStream_tbDpT10_ENKUlT_T0_E_clISt17integral_constantIbLb0EES19_IbLb1EEEEDaS15_S16_EUlS15_E_NS1_11comp_targetILNS1_3genE8ELNS1_11target_archE1030ELNS1_3gpuE2ELNS1_3repE0EEENS1_30default_config_static_selectorELNS0_4arch9wavefront6targetE1EEEvT1_
	.globl	_ZN7rocprim17ROCPRIM_400000_NS6detail17trampoline_kernelINS0_14default_configENS1_25partition_config_selectorILNS1_17partition_subalgoE3EtNS0_10empty_typeEbEEZZNS1_14partition_implILS5_3ELb0ES3_jN6thrust23THRUST_200600_302600_NS6detail15normal_iteratorINSA_7pointerItNSA_11hip_rocprim3tagENSA_11use_defaultESG_EEEEPS6_SJ_NS0_5tupleIJPtSJ_EEENSK_IJSJ_SJ_EEES6_PlJ7is_evenItEEEE10hipError_tPvRmT3_T4_T5_T6_T7_T9_mT8_P12ihipStream_tbDpT10_ENKUlT_T0_E_clISt17integral_constantIbLb0EES19_IbLb1EEEEDaS15_S16_EUlS15_E_NS1_11comp_targetILNS1_3genE8ELNS1_11target_archE1030ELNS1_3gpuE2ELNS1_3repE0EEENS1_30default_config_static_selectorELNS0_4arch9wavefront6targetE1EEEvT1_
	.p2align	8
	.type	_ZN7rocprim17ROCPRIM_400000_NS6detail17trampoline_kernelINS0_14default_configENS1_25partition_config_selectorILNS1_17partition_subalgoE3EtNS0_10empty_typeEbEEZZNS1_14partition_implILS5_3ELb0ES3_jN6thrust23THRUST_200600_302600_NS6detail15normal_iteratorINSA_7pointerItNSA_11hip_rocprim3tagENSA_11use_defaultESG_EEEEPS6_SJ_NS0_5tupleIJPtSJ_EEENSK_IJSJ_SJ_EEES6_PlJ7is_evenItEEEE10hipError_tPvRmT3_T4_T5_T6_T7_T9_mT8_P12ihipStream_tbDpT10_ENKUlT_T0_E_clISt17integral_constantIbLb0EES19_IbLb1EEEEDaS15_S16_EUlS15_E_NS1_11comp_targetILNS1_3genE8ELNS1_11target_archE1030ELNS1_3gpuE2ELNS1_3repE0EEENS1_30default_config_static_selectorELNS0_4arch9wavefront6targetE1EEEvT1_,@function
_ZN7rocprim17ROCPRIM_400000_NS6detail17trampoline_kernelINS0_14default_configENS1_25partition_config_selectorILNS1_17partition_subalgoE3EtNS0_10empty_typeEbEEZZNS1_14partition_implILS5_3ELb0ES3_jN6thrust23THRUST_200600_302600_NS6detail15normal_iteratorINSA_7pointerItNSA_11hip_rocprim3tagENSA_11use_defaultESG_EEEEPS6_SJ_NS0_5tupleIJPtSJ_EEENSK_IJSJ_SJ_EEES6_PlJ7is_evenItEEEE10hipError_tPvRmT3_T4_T5_T6_T7_T9_mT8_P12ihipStream_tbDpT10_ENKUlT_T0_E_clISt17integral_constantIbLb0EES19_IbLb1EEEEDaS15_S16_EUlS15_E_NS1_11comp_targetILNS1_3genE8ELNS1_11target_archE1030ELNS1_3gpuE2ELNS1_3repE0EEENS1_30default_config_static_selectorELNS0_4arch9wavefront6targetE1EEEvT1_: ; @_ZN7rocprim17ROCPRIM_400000_NS6detail17trampoline_kernelINS0_14default_configENS1_25partition_config_selectorILNS1_17partition_subalgoE3EtNS0_10empty_typeEbEEZZNS1_14partition_implILS5_3ELb0ES3_jN6thrust23THRUST_200600_302600_NS6detail15normal_iteratorINSA_7pointerItNSA_11hip_rocprim3tagENSA_11use_defaultESG_EEEEPS6_SJ_NS0_5tupleIJPtSJ_EEENSK_IJSJ_SJ_EEES6_PlJ7is_evenItEEEE10hipError_tPvRmT3_T4_T5_T6_T7_T9_mT8_P12ihipStream_tbDpT10_ENKUlT_T0_E_clISt17integral_constantIbLb0EES19_IbLb1EEEEDaS15_S16_EUlS15_E_NS1_11comp_targetILNS1_3genE8ELNS1_11target_archE1030ELNS1_3gpuE2ELNS1_3repE0EEENS1_30default_config_static_selectorELNS0_4arch9wavefront6targetE1EEEvT1_
; %bb.0:
	.section	.rodata,"a",@progbits
	.p2align	6, 0x0
	.amdhsa_kernel _ZN7rocprim17ROCPRIM_400000_NS6detail17trampoline_kernelINS0_14default_configENS1_25partition_config_selectorILNS1_17partition_subalgoE3EtNS0_10empty_typeEbEEZZNS1_14partition_implILS5_3ELb0ES3_jN6thrust23THRUST_200600_302600_NS6detail15normal_iteratorINSA_7pointerItNSA_11hip_rocprim3tagENSA_11use_defaultESG_EEEEPS6_SJ_NS0_5tupleIJPtSJ_EEENSK_IJSJ_SJ_EEES6_PlJ7is_evenItEEEE10hipError_tPvRmT3_T4_T5_T6_T7_T9_mT8_P12ihipStream_tbDpT10_ENKUlT_T0_E_clISt17integral_constantIbLb0EES19_IbLb1EEEEDaS15_S16_EUlS15_E_NS1_11comp_targetILNS1_3genE8ELNS1_11target_archE1030ELNS1_3gpuE2ELNS1_3repE0EEENS1_30default_config_static_selectorELNS0_4arch9wavefront6targetE1EEEvT1_
		.amdhsa_group_segment_fixed_size 0
		.amdhsa_private_segment_fixed_size 0
		.amdhsa_kernarg_size 136
		.amdhsa_user_sgpr_count 6
		.amdhsa_user_sgpr_private_segment_buffer 1
		.amdhsa_user_sgpr_dispatch_ptr 0
		.amdhsa_user_sgpr_queue_ptr 0
		.amdhsa_user_sgpr_kernarg_segment_ptr 1
		.amdhsa_user_sgpr_dispatch_id 0
		.amdhsa_user_sgpr_flat_scratch_init 0
		.amdhsa_user_sgpr_kernarg_preload_length 0
		.amdhsa_user_sgpr_kernarg_preload_offset 0
		.amdhsa_user_sgpr_private_segment_size 0
		.amdhsa_uses_dynamic_stack 0
		.amdhsa_system_sgpr_private_segment_wavefront_offset 0
		.amdhsa_system_sgpr_workgroup_id_x 1
		.amdhsa_system_sgpr_workgroup_id_y 0
		.amdhsa_system_sgpr_workgroup_id_z 0
		.amdhsa_system_sgpr_workgroup_info 0
		.amdhsa_system_vgpr_workitem_id 0
		.amdhsa_next_free_vgpr 1
		.amdhsa_next_free_sgpr 0
		.amdhsa_accum_offset 4
		.amdhsa_reserve_vcc 0
		.amdhsa_reserve_flat_scratch 0
		.amdhsa_float_round_mode_32 0
		.amdhsa_float_round_mode_16_64 0
		.amdhsa_float_denorm_mode_32 3
		.amdhsa_float_denorm_mode_16_64 3
		.amdhsa_dx10_clamp 1
		.amdhsa_ieee_mode 1
		.amdhsa_fp16_overflow 0
		.amdhsa_tg_split 0
		.amdhsa_exception_fp_ieee_invalid_op 0
		.amdhsa_exception_fp_denorm_src 0
		.amdhsa_exception_fp_ieee_div_zero 0
		.amdhsa_exception_fp_ieee_overflow 0
		.amdhsa_exception_fp_ieee_underflow 0
		.amdhsa_exception_fp_ieee_inexact 0
		.amdhsa_exception_int_div_zero 0
	.end_amdhsa_kernel
	.section	.text._ZN7rocprim17ROCPRIM_400000_NS6detail17trampoline_kernelINS0_14default_configENS1_25partition_config_selectorILNS1_17partition_subalgoE3EtNS0_10empty_typeEbEEZZNS1_14partition_implILS5_3ELb0ES3_jN6thrust23THRUST_200600_302600_NS6detail15normal_iteratorINSA_7pointerItNSA_11hip_rocprim3tagENSA_11use_defaultESG_EEEEPS6_SJ_NS0_5tupleIJPtSJ_EEENSK_IJSJ_SJ_EEES6_PlJ7is_evenItEEEE10hipError_tPvRmT3_T4_T5_T6_T7_T9_mT8_P12ihipStream_tbDpT10_ENKUlT_T0_E_clISt17integral_constantIbLb0EES19_IbLb1EEEEDaS15_S16_EUlS15_E_NS1_11comp_targetILNS1_3genE8ELNS1_11target_archE1030ELNS1_3gpuE2ELNS1_3repE0EEENS1_30default_config_static_selectorELNS0_4arch9wavefront6targetE1EEEvT1_,"axG",@progbits,_ZN7rocprim17ROCPRIM_400000_NS6detail17trampoline_kernelINS0_14default_configENS1_25partition_config_selectorILNS1_17partition_subalgoE3EtNS0_10empty_typeEbEEZZNS1_14partition_implILS5_3ELb0ES3_jN6thrust23THRUST_200600_302600_NS6detail15normal_iteratorINSA_7pointerItNSA_11hip_rocprim3tagENSA_11use_defaultESG_EEEEPS6_SJ_NS0_5tupleIJPtSJ_EEENSK_IJSJ_SJ_EEES6_PlJ7is_evenItEEEE10hipError_tPvRmT3_T4_T5_T6_T7_T9_mT8_P12ihipStream_tbDpT10_ENKUlT_T0_E_clISt17integral_constantIbLb0EES19_IbLb1EEEEDaS15_S16_EUlS15_E_NS1_11comp_targetILNS1_3genE8ELNS1_11target_archE1030ELNS1_3gpuE2ELNS1_3repE0EEENS1_30default_config_static_selectorELNS0_4arch9wavefront6targetE1EEEvT1_,comdat
.Lfunc_end1187:
	.size	_ZN7rocprim17ROCPRIM_400000_NS6detail17trampoline_kernelINS0_14default_configENS1_25partition_config_selectorILNS1_17partition_subalgoE3EtNS0_10empty_typeEbEEZZNS1_14partition_implILS5_3ELb0ES3_jN6thrust23THRUST_200600_302600_NS6detail15normal_iteratorINSA_7pointerItNSA_11hip_rocprim3tagENSA_11use_defaultESG_EEEEPS6_SJ_NS0_5tupleIJPtSJ_EEENSK_IJSJ_SJ_EEES6_PlJ7is_evenItEEEE10hipError_tPvRmT3_T4_T5_T6_T7_T9_mT8_P12ihipStream_tbDpT10_ENKUlT_T0_E_clISt17integral_constantIbLb0EES19_IbLb1EEEEDaS15_S16_EUlS15_E_NS1_11comp_targetILNS1_3genE8ELNS1_11target_archE1030ELNS1_3gpuE2ELNS1_3repE0EEENS1_30default_config_static_selectorELNS0_4arch9wavefront6targetE1EEEvT1_, .Lfunc_end1187-_ZN7rocprim17ROCPRIM_400000_NS6detail17trampoline_kernelINS0_14default_configENS1_25partition_config_selectorILNS1_17partition_subalgoE3EtNS0_10empty_typeEbEEZZNS1_14partition_implILS5_3ELb0ES3_jN6thrust23THRUST_200600_302600_NS6detail15normal_iteratorINSA_7pointerItNSA_11hip_rocprim3tagENSA_11use_defaultESG_EEEEPS6_SJ_NS0_5tupleIJPtSJ_EEENSK_IJSJ_SJ_EEES6_PlJ7is_evenItEEEE10hipError_tPvRmT3_T4_T5_T6_T7_T9_mT8_P12ihipStream_tbDpT10_ENKUlT_T0_E_clISt17integral_constantIbLb0EES19_IbLb1EEEEDaS15_S16_EUlS15_E_NS1_11comp_targetILNS1_3genE8ELNS1_11target_archE1030ELNS1_3gpuE2ELNS1_3repE0EEENS1_30default_config_static_selectorELNS0_4arch9wavefront6targetE1EEEvT1_
                                        ; -- End function
	.section	.AMDGPU.csdata,"",@progbits
; Kernel info:
; codeLenInByte = 0
; NumSgprs: 4
; NumVgprs: 0
; NumAgprs: 0
; TotalNumVgprs: 0
; ScratchSize: 0
; MemoryBound: 0
; FloatMode: 240
; IeeeMode: 1
; LDSByteSize: 0 bytes/workgroup (compile time only)
; SGPRBlocks: 0
; VGPRBlocks: 0
; NumSGPRsForWavesPerEU: 4
; NumVGPRsForWavesPerEU: 1
; AccumOffset: 4
; Occupancy: 8
; WaveLimiterHint : 0
; COMPUTE_PGM_RSRC2:SCRATCH_EN: 0
; COMPUTE_PGM_RSRC2:USER_SGPR: 6
; COMPUTE_PGM_RSRC2:TRAP_HANDLER: 0
; COMPUTE_PGM_RSRC2:TGID_X_EN: 1
; COMPUTE_PGM_RSRC2:TGID_Y_EN: 0
; COMPUTE_PGM_RSRC2:TGID_Z_EN: 0
; COMPUTE_PGM_RSRC2:TIDIG_COMP_CNT: 0
; COMPUTE_PGM_RSRC3_GFX90A:ACCUM_OFFSET: 0
; COMPUTE_PGM_RSRC3_GFX90A:TG_SPLIT: 0
	.section	.text._ZN7rocprim17ROCPRIM_400000_NS6detail17trampoline_kernelINS0_13kernel_configILj256ELj4ELj4294967295EEENS1_37radix_sort_block_sort_config_selectorItNS0_10empty_typeEEEZNS1_21radix_sort_block_sortIS4_Lb0EN6thrust23THRUST_200600_302600_NS6detail15normal_iteratorINSA_10device_ptrItEEEESF_PS6_SG_NS0_19identity_decomposerEEE10hipError_tT1_T2_T3_T4_jRjT5_jjP12ihipStream_tbEUlT_E_NS1_11comp_targetILNS1_3genE0ELNS1_11target_archE4294967295ELNS1_3gpuE0ELNS1_3repE0EEENS1_44radix_sort_block_sort_config_static_selectorELNS0_4arch9wavefront6targetE1EEEvSJ_,"axG",@progbits,_ZN7rocprim17ROCPRIM_400000_NS6detail17trampoline_kernelINS0_13kernel_configILj256ELj4ELj4294967295EEENS1_37radix_sort_block_sort_config_selectorItNS0_10empty_typeEEEZNS1_21radix_sort_block_sortIS4_Lb0EN6thrust23THRUST_200600_302600_NS6detail15normal_iteratorINSA_10device_ptrItEEEESF_PS6_SG_NS0_19identity_decomposerEEE10hipError_tT1_T2_T3_T4_jRjT5_jjP12ihipStream_tbEUlT_E_NS1_11comp_targetILNS1_3genE0ELNS1_11target_archE4294967295ELNS1_3gpuE0ELNS1_3repE0EEENS1_44radix_sort_block_sort_config_static_selectorELNS0_4arch9wavefront6targetE1EEEvSJ_,comdat
	.protected	_ZN7rocprim17ROCPRIM_400000_NS6detail17trampoline_kernelINS0_13kernel_configILj256ELj4ELj4294967295EEENS1_37radix_sort_block_sort_config_selectorItNS0_10empty_typeEEEZNS1_21radix_sort_block_sortIS4_Lb0EN6thrust23THRUST_200600_302600_NS6detail15normal_iteratorINSA_10device_ptrItEEEESF_PS6_SG_NS0_19identity_decomposerEEE10hipError_tT1_T2_T3_T4_jRjT5_jjP12ihipStream_tbEUlT_E_NS1_11comp_targetILNS1_3genE0ELNS1_11target_archE4294967295ELNS1_3gpuE0ELNS1_3repE0EEENS1_44radix_sort_block_sort_config_static_selectorELNS0_4arch9wavefront6targetE1EEEvSJ_ ; -- Begin function _ZN7rocprim17ROCPRIM_400000_NS6detail17trampoline_kernelINS0_13kernel_configILj256ELj4ELj4294967295EEENS1_37radix_sort_block_sort_config_selectorItNS0_10empty_typeEEEZNS1_21radix_sort_block_sortIS4_Lb0EN6thrust23THRUST_200600_302600_NS6detail15normal_iteratorINSA_10device_ptrItEEEESF_PS6_SG_NS0_19identity_decomposerEEE10hipError_tT1_T2_T3_T4_jRjT5_jjP12ihipStream_tbEUlT_E_NS1_11comp_targetILNS1_3genE0ELNS1_11target_archE4294967295ELNS1_3gpuE0ELNS1_3repE0EEENS1_44radix_sort_block_sort_config_static_selectorELNS0_4arch9wavefront6targetE1EEEvSJ_
	.globl	_ZN7rocprim17ROCPRIM_400000_NS6detail17trampoline_kernelINS0_13kernel_configILj256ELj4ELj4294967295EEENS1_37radix_sort_block_sort_config_selectorItNS0_10empty_typeEEEZNS1_21radix_sort_block_sortIS4_Lb0EN6thrust23THRUST_200600_302600_NS6detail15normal_iteratorINSA_10device_ptrItEEEESF_PS6_SG_NS0_19identity_decomposerEEE10hipError_tT1_T2_T3_T4_jRjT5_jjP12ihipStream_tbEUlT_E_NS1_11comp_targetILNS1_3genE0ELNS1_11target_archE4294967295ELNS1_3gpuE0ELNS1_3repE0EEENS1_44radix_sort_block_sort_config_static_selectorELNS0_4arch9wavefront6targetE1EEEvSJ_
	.p2align	8
	.type	_ZN7rocprim17ROCPRIM_400000_NS6detail17trampoline_kernelINS0_13kernel_configILj256ELj4ELj4294967295EEENS1_37radix_sort_block_sort_config_selectorItNS0_10empty_typeEEEZNS1_21radix_sort_block_sortIS4_Lb0EN6thrust23THRUST_200600_302600_NS6detail15normal_iteratorINSA_10device_ptrItEEEESF_PS6_SG_NS0_19identity_decomposerEEE10hipError_tT1_T2_T3_T4_jRjT5_jjP12ihipStream_tbEUlT_E_NS1_11comp_targetILNS1_3genE0ELNS1_11target_archE4294967295ELNS1_3gpuE0ELNS1_3repE0EEENS1_44radix_sort_block_sort_config_static_selectorELNS0_4arch9wavefront6targetE1EEEvSJ_,@function
_ZN7rocprim17ROCPRIM_400000_NS6detail17trampoline_kernelINS0_13kernel_configILj256ELj4ELj4294967295EEENS1_37radix_sort_block_sort_config_selectorItNS0_10empty_typeEEEZNS1_21radix_sort_block_sortIS4_Lb0EN6thrust23THRUST_200600_302600_NS6detail15normal_iteratorINSA_10device_ptrItEEEESF_PS6_SG_NS0_19identity_decomposerEEE10hipError_tT1_T2_T3_T4_jRjT5_jjP12ihipStream_tbEUlT_E_NS1_11comp_targetILNS1_3genE0ELNS1_11target_archE4294967295ELNS1_3gpuE0ELNS1_3repE0EEENS1_44radix_sort_block_sort_config_static_selectorELNS0_4arch9wavefront6targetE1EEEvSJ_: ; @_ZN7rocprim17ROCPRIM_400000_NS6detail17trampoline_kernelINS0_13kernel_configILj256ELj4ELj4294967295EEENS1_37radix_sort_block_sort_config_selectorItNS0_10empty_typeEEEZNS1_21radix_sort_block_sortIS4_Lb0EN6thrust23THRUST_200600_302600_NS6detail15normal_iteratorINSA_10device_ptrItEEEESF_PS6_SG_NS0_19identity_decomposerEEE10hipError_tT1_T2_T3_T4_jRjT5_jjP12ihipStream_tbEUlT_E_NS1_11comp_targetILNS1_3genE0ELNS1_11target_archE4294967295ELNS1_3gpuE0ELNS1_3repE0EEENS1_44radix_sort_block_sort_config_static_selectorELNS0_4arch9wavefront6targetE1EEEvSJ_
; %bb.0:
	.section	.rodata,"a",@progbits
	.p2align	6, 0x0
	.amdhsa_kernel _ZN7rocprim17ROCPRIM_400000_NS6detail17trampoline_kernelINS0_13kernel_configILj256ELj4ELj4294967295EEENS1_37radix_sort_block_sort_config_selectorItNS0_10empty_typeEEEZNS1_21radix_sort_block_sortIS4_Lb0EN6thrust23THRUST_200600_302600_NS6detail15normal_iteratorINSA_10device_ptrItEEEESF_PS6_SG_NS0_19identity_decomposerEEE10hipError_tT1_T2_T3_T4_jRjT5_jjP12ihipStream_tbEUlT_E_NS1_11comp_targetILNS1_3genE0ELNS1_11target_archE4294967295ELNS1_3gpuE0ELNS1_3repE0EEENS1_44radix_sort_block_sort_config_static_selectorELNS0_4arch9wavefront6targetE1EEEvSJ_
		.amdhsa_group_segment_fixed_size 0
		.amdhsa_private_segment_fixed_size 0
		.amdhsa_kernarg_size 48
		.amdhsa_user_sgpr_count 6
		.amdhsa_user_sgpr_private_segment_buffer 1
		.amdhsa_user_sgpr_dispatch_ptr 0
		.amdhsa_user_sgpr_queue_ptr 0
		.amdhsa_user_sgpr_kernarg_segment_ptr 1
		.amdhsa_user_sgpr_dispatch_id 0
		.amdhsa_user_sgpr_flat_scratch_init 0
		.amdhsa_user_sgpr_kernarg_preload_length 0
		.amdhsa_user_sgpr_kernarg_preload_offset 0
		.amdhsa_user_sgpr_private_segment_size 0
		.amdhsa_uses_dynamic_stack 0
		.amdhsa_system_sgpr_private_segment_wavefront_offset 0
		.amdhsa_system_sgpr_workgroup_id_x 1
		.amdhsa_system_sgpr_workgroup_id_y 0
		.amdhsa_system_sgpr_workgroup_id_z 0
		.amdhsa_system_sgpr_workgroup_info 0
		.amdhsa_system_vgpr_workitem_id 0
		.amdhsa_next_free_vgpr 1
		.amdhsa_next_free_sgpr 0
		.amdhsa_accum_offset 4
		.amdhsa_reserve_vcc 0
		.amdhsa_reserve_flat_scratch 0
		.amdhsa_float_round_mode_32 0
		.amdhsa_float_round_mode_16_64 0
		.amdhsa_float_denorm_mode_32 3
		.amdhsa_float_denorm_mode_16_64 3
		.amdhsa_dx10_clamp 1
		.amdhsa_ieee_mode 1
		.amdhsa_fp16_overflow 0
		.amdhsa_tg_split 0
		.amdhsa_exception_fp_ieee_invalid_op 0
		.amdhsa_exception_fp_denorm_src 0
		.amdhsa_exception_fp_ieee_div_zero 0
		.amdhsa_exception_fp_ieee_overflow 0
		.amdhsa_exception_fp_ieee_underflow 0
		.amdhsa_exception_fp_ieee_inexact 0
		.amdhsa_exception_int_div_zero 0
	.end_amdhsa_kernel
	.section	.text._ZN7rocprim17ROCPRIM_400000_NS6detail17trampoline_kernelINS0_13kernel_configILj256ELj4ELj4294967295EEENS1_37radix_sort_block_sort_config_selectorItNS0_10empty_typeEEEZNS1_21radix_sort_block_sortIS4_Lb0EN6thrust23THRUST_200600_302600_NS6detail15normal_iteratorINSA_10device_ptrItEEEESF_PS6_SG_NS0_19identity_decomposerEEE10hipError_tT1_T2_T3_T4_jRjT5_jjP12ihipStream_tbEUlT_E_NS1_11comp_targetILNS1_3genE0ELNS1_11target_archE4294967295ELNS1_3gpuE0ELNS1_3repE0EEENS1_44radix_sort_block_sort_config_static_selectorELNS0_4arch9wavefront6targetE1EEEvSJ_,"axG",@progbits,_ZN7rocprim17ROCPRIM_400000_NS6detail17trampoline_kernelINS0_13kernel_configILj256ELj4ELj4294967295EEENS1_37radix_sort_block_sort_config_selectorItNS0_10empty_typeEEEZNS1_21radix_sort_block_sortIS4_Lb0EN6thrust23THRUST_200600_302600_NS6detail15normal_iteratorINSA_10device_ptrItEEEESF_PS6_SG_NS0_19identity_decomposerEEE10hipError_tT1_T2_T3_T4_jRjT5_jjP12ihipStream_tbEUlT_E_NS1_11comp_targetILNS1_3genE0ELNS1_11target_archE4294967295ELNS1_3gpuE0ELNS1_3repE0EEENS1_44radix_sort_block_sort_config_static_selectorELNS0_4arch9wavefront6targetE1EEEvSJ_,comdat
.Lfunc_end1188:
	.size	_ZN7rocprim17ROCPRIM_400000_NS6detail17trampoline_kernelINS0_13kernel_configILj256ELj4ELj4294967295EEENS1_37radix_sort_block_sort_config_selectorItNS0_10empty_typeEEEZNS1_21radix_sort_block_sortIS4_Lb0EN6thrust23THRUST_200600_302600_NS6detail15normal_iteratorINSA_10device_ptrItEEEESF_PS6_SG_NS0_19identity_decomposerEEE10hipError_tT1_T2_T3_T4_jRjT5_jjP12ihipStream_tbEUlT_E_NS1_11comp_targetILNS1_3genE0ELNS1_11target_archE4294967295ELNS1_3gpuE0ELNS1_3repE0EEENS1_44radix_sort_block_sort_config_static_selectorELNS0_4arch9wavefront6targetE1EEEvSJ_, .Lfunc_end1188-_ZN7rocprim17ROCPRIM_400000_NS6detail17trampoline_kernelINS0_13kernel_configILj256ELj4ELj4294967295EEENS1_37radix_sort_block_sort_config_selectorItNS0_10empty_typeEEEZNS1_21radix_sort_block_sortIS4_Lb0EN6thrust23THRUST_200600_302600_NS6detail15normal_iteratorINSA_10device_ptrItEEEESF_PS6_SG_NS0_19identity_decomposerEEE10hipError_tT1_T2_T3_T4_jRjT5_jjP12ihipStream_tbEUlT_E_NS1_11comp_targetILNS1_3genE0ELNS1_11target_archE4294967295ELNS1_3gpuE0ELNS1_3repE0EEENS1_44radix_sort_block_sort_config_static_selectorELNS0_4arch9wavefront6targetE1EEEvSJ_
                                        ; -- End function
	.section	.AMDGPU.csdata,"",@progbits
; Kernel info:
; codeLenInByte = 0
; NumSgprs: 4
; NumVgprs: 0
; NumAgprs: 0
; TotalNumVgprs: 0
; ScratchSize: 0
; MemoryBound: 0
; FloatMode: 240
; IeeeMode: 1
; LDSByteSize: 0 bytes/workgroup (compile time only)
; SGPRBlocks: 0
; VGPRBlocks: 0
; NumSGPRsForWavesPerEU: 4
; NumVGPRsForWavesPerEU: 1
; AccumOffset: 4
; Occupancy: 8
; WaveLimiterHint : 0
; COMPUTE_PGM_RSRC2:SCRATCH_EN: 0
; COMPUTE_PGM_RSRC2:USER_SGPR: 6
; COMPUTE_PGM_RSRC2:TRAP_HANDLER: 0
; COMPUTE_PGM_RSRC2:TGID_X_EN: 1
; COMPUTE_PGM_RSRC2:TGID_Y_EN: 0
; COMPUTE_PGM_RSRC2:TGID_Z_EN: 0
; COMPUTE_PGM_RSRC2:TIDIG_COMP_CNT: 0
; COMPUTE_PGM_RSRC3_GFX90A:ACCUM_OFFSET: 0
; COMPUTE_PGM_RSRC3_GFX90A:TG_SPLIT: 0
	.section	.text._ZN7rocprim17ROCPRIM_400000_NS6detail17trampoline_kernelINS0_13kernel_configILj256ELj4ELj4294967295EEENS1_37radix_sort_block_sort_config_selectorItNS0_10empty_typeEEEZNS1_21radix_sort_block_sortIS4_Lb0EN6thrust23THRUST_200600_302600_NS6detail15normal_iteratorINSA_10device_ptrItEEEESF_PS6_SG_NS0_19identity_decomposerEEE10hipError_tT1_T2_T3_T4_jRjT5_jjP12ihipStream_tbEUlT_E_NS1_11comp_targetILNS1_3genE5ELNS1_11target_archE942ELNS1_3gpuE9ELNS1_3repE0EEENS1_44radix_sort_block_sort_config_static_selectorELNS0_4arch9wavefront6targetE1EEEvSJ_,"axG",@progbits,_ZN7rocprim17ROCPRIM_400000_NS6detail17trampoline_kernelINS0_13kernel_configILj256ELj4ELj4294967295EEENS1_37radix_sort_block_sort_config_selectorItNS0_10empty_typeEEEZNS1_21radix_sort_block_sortIS4_Lb0EN6thrust23THRUST_200600_302600_NS6detail15normal_iteratorINSA_10device_ptrItEEEESF_PS6_SG_NS0_19identity_decomposerEEE10hipError_tT1_T2_T3_T4_jRjT5_jjP12ihipStream_tbEUlT_E_NS1_11comp_targetILNS1_3genE5ELNS1_11target_archE942ELNS1_3gpuE9ELNS1_3repE0EEENS1_44radix_sort_block_sort_config_static_selectorELNS0_4arch9wavefront6targetE1EEEvSJ_,comdat
	.protected	_ZN7rocprim17ROCPRIM_400000_NS6detail17trampoline_kernelINS0_13kernel_configILj256ELj4ELj4294967295EEENS1_37radix_sort_block_sort_config_selectorItNS0_10empty_typeEEEZNS1_21radix_sort_block_sortIS4_Lb0EN6thrust23THRUST_200600_302600_NS6detail15normal_iteratorINSA_10device_ptrItEEEESF_PS6_SG_NS0_19identity_decomposerEEE10hipError_tT1_T2_T3_T4_jRjT5_jjP12ihipStream_tbEUlT_E_NS1_11comp_targetILNS1_3genE5ELNS1_11target_archE942ELNS1_3gpuE9ELNS1_3repE0EEENS1_44radix_sort_block_sort_config_static_selectorELNS0_4arch9wavefront6targetE1EEEvSJ_ ; -- Begin function _ZN7rocprim17ROCPRIM_400000_NS6detail17trampoline_kernelINS0_13kernel_configILj256ELj4ELj4294967295EEENS1_37radix_sort_block_sort_config_selectorItNS0_10empty_typeEEEZNS1_21radix_sort_block_sortIS4_Lb0EN6thrust23THRUST_200600_302600_NS6detail15normal_iteratorINSA_10device_ptrItEEEESF_PS6_SG_NS0_19identity_decomposerEEE10hipError_tT1_T2_T3_T4_jRjT5_jjP12ihipStream_tbEUlT_E_NS1_11comp_targetILNS1_3genE5ELNS1_11target_archE942ELNS1_3gpuE9ELNS1_3repE0EEENS1_44radix_sort_block_sort_config_static_selectorELNS0_4arch9wavefront6targetE1EEEvSJ_
	.globl	_ZN7rocprim17ROCPRIM_400000_NS6detail17trampoline_kernelINS0_13kernel_configILj256ELj4ELj4294967295EEENS1_37radix_sort_block_sort_config_selectorItNS0_10empty_typeEEEZNS1_21radix_sort_block_sortIS4_Lb0EN6thrust23THRUST_200600_302600_NS6detail15normal_iteratorINSA_10device_ptrItEEEESF_PS6_SG_NS0_19identity_decomposerEEE10hipError_tT1_T2_T3_T4_jRjT5_jjP12ihipStream_tbEUlT_E_NS1_11comp_targetILNS1_3genE5ELNS1_11target_archE942ELNS1_3gpuE9ELNS1_3repE0EEENS1_44radix_sort_block_sort_config_static_selectorELNS0_4arch9wavefront6targetE1EEEvSJ_
	.p2align	8
	.type	_ZN7rocprim17ROCPRIM_400000_NS6detail17trampoline_kernelINS0_13kernel_configILj256ELj4ELj4294967295EEENS1_37radix_sort_block_sort_config_selectorItNS0_10empty_typeEEEZNS1_21radix_sort_block_sortIS4_Lb0EN6thrust23THRUST_200600_302600_NS6detail15normal_iteratorINSA_10device_ptrItEEEESF_PS6_SG_NS0_19identity_decomposerEEE10hipError_tT1_T2_T3_T4_jRjT5_jjP12ihipStream_tbEUlT_E_NS1_11comp_targetILNS1_3genE5ELNS1_11target_archE942ELNS1_3gpuE9ELNS1_3repE0EEENS1_44radix_sort_block_sort_config_static_selectorELNS0_4arch9wavefront6targetE1EEEvSJ_,@function
_ZN7rocprim17ROCPRIM_400000_NS6detail17trampoline_kernelINS0_13kernel_configILj256ELj4ELj4294967295EEENS1_37radix_sort_block_sort_config_selectorItNS0_10empty_typeEEEZNS1_21radix_sort_block_sortIS4_Lb0EN6thrust23THRUST_200600_302600_NS6detail15normal_iteratorINSA_10device_ptrItEEEESF_PS6_SG_NS0_19identity_decomposerEEE10hipError_tT1_T2_T3_T4_jRjT5_jjP12ihipStream_tbEUlT_E_NS1_11comp_targetILNS1_3genE5ELNS1_11target_archE942ELNS1_3gpuE9ELNS1_3repE0EEENS1_44radix_sort_block_sort_config_static_selectorELNS0_4arch9wavefront6targetE1EEEvSJ_: ; @_ZN7rocprim17ROCPRIM_400000_NS6detail17trampoline_kernelINS0_13kernel_configILj256ELj4ELj4294967295EEENS1_37radix_sort_block_sort_config_selectorItNS0_10empty_typeEEEZNS1_21radix_sort_block_sortIS4_Lb0EN6thrust23THRUST_200600_302600_NS6detail15normal_iteratorINSA_10device_ptrItEEEESF_PS6_SG_NS0_19identity_decomposerEEE10hipError_tT1_T2_T3_T4_jRjT5_jjP12ihipStream_tbEUlT_E_NS1_11comp_targetILNS1_3genE5ELNS1_11target_archE942ELNS1_3gpuE9ELNS1_3repE0EEENS1_44radix_sort_block_sort_config_static_selectorELNS0_4arch9wavefront6targetE1EEEvSJ_
; %bb.0:
	.section	.rodata,"a",@progbits
	.p2align	6, 0x0
	.amdhsa_kernel _ZN7rocprim17ROCPRIM_400000_NS6detail17trampoline_kernelINS0_13kernel_configILj256ELj4ELj4294967295EEENS1_37radix_sort_block_sort_config_selectorItNS0_10empty_typeEEEZNS1_21radix_sort_block_sortIS4_Lb0EN6thrust23THRUST_200600_302600_NS6detail15normal_iteratorINSA_10device_ptrItEEEESF_PS6_SG_NS0_19identity_decomposerEEE10hipError_tT1_T2_T3_T4_jRjT5_jjP12ihipStream_tbEUlT_E_NS1_11comp_targetILNS1_3genE5ELNS1_11target_archE942ELNS1_3gpuE9ELNS1_3repE0EEENS1_44radix_sort_block_sort_config_static_selectorELNS0_4arch9wavefront6targetE1EEEvSJ_
		.amdhsa_group_segment_fixed_size 0
		.amdhsa_private_segment_fixed_size 0
		.amdhsa_kernarg_size 48
		.amdhsa_user_sgpr_count 6
		.amdhsa_user_sgpr_private_segment_buffer 1
		.amdhsa_user_sgpr_dispatch_ptr 0
		.amdhsa_user_sgpr_queue_ptr 0
		.amdhsa_user_sgpr_kernarg_segment_ptr 1
		.amdhsa_user_sgpr_dispatch_id 0
		.amdhsa_user_sgpr_flat_scratch_init 0
		.amdhsa_user_sgpr_kernarg_preload_length 0
		.amdhsa_user_sgpr_kernarg_preload_offset 0
		.amdhsa_user_sgpr_private_segment_size 0
		.amdhsa_uses_dynamic_stack 0
		.amdhsa_system_sgpr_private_segment_wavefront_offset 0
		.amdhsa_system_sgpr_workgroup_id_x 1
		.amdhsa_system_sgpr_workgroup_id_y 0
		.amdhsa_system_sgpr_workgroup_id_z 0
		.amdhsa_system_sgpr_workgroup_info 0
		.amdhsa_system_vgpr_workitem_id 0
		.amdhsa_next_free_vgpr 1
		.amdhsa_next_free_sgpr 0
		.amdhsa_accum_offset 4
		.amdhsa_reserve_vcc 0
		.amdhsa_reserve_flat_scratch 0
		.amdhsa_float_round_mode_32 0
		.amdhsa_float_round_mode_16_64 0
		.amdhsa_float_denorm_mode_32 3
		.amdhsa_float_denorm_mode_16_64 3
		.amdhsa_dx10_clamp 1
		.amdhsa_ieee_mode 1
		.amdhsa_fp16_overflow 0
		.amdhsa_tg_split 0
		.amdhsa_exception_fp_ieee_invalid_op 0
		.amdhsa_exception_fp_denorm_src 0
		.amdhsa_exception_fp_ieee_div_zero 0
		.amdhsa_exception_fp_ieee_overflow 0
		.amdhsa_exception_fp_ieee_underflow 0
		.amdhsa_exception_fp_ieee_inexact 0
		.amdhsa_exception_int_div_zero 0
	.end_amdhsa_kernel
	.section	.text._ZN7rocprim17ROCPRIM_400000_NS6detail17trampoline_kernelINS0_13kernel_configILj256ELj4ELj4294967295EEENS1_37radix_sort_block_sort_config_selectorItNS0_10empty_typeEEEZNS1_21radix_sort_block_sortIS4_Lb0EN6thrust23THRUST_200600_302600_NS6detail15normal_iteratorINSA_10device_ptrItEEEESF_PS6_SG_NS0_19identity_decomposerEEE10hipError_tT1_T2_T3_T4_jRjT5_jjP12ihipStream_tbEUlT_E_NS1_11comp_targetILNS1_3genE5ELNS1_11target_archE942ELNS1_3gpuE9ELNS1_3repE0EEENS1_44radix_sort_block_sort_config_static_selectorELNS0_4arch9wavefront6targetE1EEEvSJ_,"axG",@progbits,_ZN7rocprim17ROCPRIM_400000_NS6detail17trampoline_kernelINS0_13kernel_configILj256ELj4ELj4294967295EEENS1_37radix_sort_block_sort_config_selectorItNS0_10empty_typeEEEZNS1_21radix_sort_block_sortIS4_Lb0EN6thrust23THRUST_200600_302600_NS6detail15normal_iteratorINSA_10device_ptrItEEEESF_PS6_SG_NS0_19identity_decomposerEEE10hipError_tT1_T2_T3_T4_jRjT5_jjP12ihipStream_tbEUlT_E_NS1_11comp_targetILNS1_3genE5ELNS1_11target_archE942ELNS1_3gpuE9ELNS1_3repE0EEENS1_44radix_sort_block_sort_config_static_selectorELNS0_4arch9wavefront6targetE1EEEvSJ_,comdat
.Lfunc_end1189:
	.size	_ZN7rocprim17ROCPRIM_400000_NS6detail17trampoline_kernelINS0_13kernel_configILj256ELj4ELj4294967295EEENS1_37radix_sort_block_sort_config_selectorItNS0_10empty_typeEEEZNS1_21radix_sort_block_sortIS4_Lb0EN6thrust23THRUST_200600_302600_NS6detail15normal_iteratorINSA_10device_ptrItEEEESF_PS6_SG_NS0_19identity_decomposerEEE10hipError_tT1_T2_T3_T4_jRjT5_jjP12ihipStream_tbEUlT_E_NS1_11comp_targetILNS1_3genE5ELNS1_11target_archE942ELNS1_3gpuE9ELNS1_3repE0EEENS1_44radix_sort_block_sort_config_static_selectorELNS0_4arch9wavefront6targetE1EEEvSJ_, .Lfunc_end1189-_ZN7rocprim17ROCPRIM_400000_NS6detail17trampoline_kernelINS0_13kernel_configILj256ELj4ELj4294967295EEENS1_37radix_sort_block_sort_config_selectorItNS0_10empty_typeEEEZNS1_21radix_sort_block_sortIS4_Lb0EN6thrust23THRUST_200600_302600_NS6detail15normal_iteratorINSA_10device_ptrItEEEESF_PS6_SG_NS0_19identity_decomposerEEE10hipError_tT1_T2_T3_T4_jRjT5_jjP12ihipStream_tbEUlT_E_NS1_11comp_targetILNS1_3genE5ELNS1_11target_archE942ELNS1_3gpuE9ELNS1_3repE0EEENS1_44radix_sort_block_sort_config_static_selectorELNS0_4arch9wavefront6targetE1EEEvSJ_
                                        ; -- End function
	.section	.AMDGPU.csdata,"",@progbits
; Kernel info:
; codeLenInByte = 0
; NumSgprs: 4
; NumVgprs: 0
; NumAgprs: 0
; TotalNumVgprs: 0
; ScratchSize: 0
; MemoryBound: 0
; FloatMode: 240
; IeeeMode: 1
; LDSByteSize: 0 bytes/workgroup (compile time only)
; SGPRBlocks: 0
; VGPRBlocks: 0
; NumSGPRsForWavesPerEU: 4
; NumVGPRsForWavesPerEU: 1
; AccumOffset: 4
; Occupancy: 8
; WaveLimiterHint : 0
; COMPUTE_PGM_RSRC2:SCRATCH_EN: 0
; COMPUTE_PGM_RSRC2:USER_SGPR: 6
; COMPUTE_PGM_RSRC2:TRAP_HANDLER: 0
; COMPUTE_PGM_RSRC2:TGID_X_EN: 1
; COMPUTE_PGM_RSRC2:TGID_Y_EN: 0
; COMPUTE_PGM_RSRC2:TGID_Z_EN: 0
; COMPUTE_PGM_RSRC2:TIDIG_COMP_CNT: 0
; COMPUTE_PGM_RSRC3_GFX90A:ACCUM_OFFSET: 0
; COMPUTE_PGM_RSRC3_GFX90A:TG_SPLIT: 0
	.section	.text._ZN7rocprim17ROCPRIM_400000_NS6detail17trampoline_kernelINS0_13kernel_configILj256ELj4ELj4294967295EEENS1_37radix_sort_block_sort_config_selectorItNS0_10empty_typeEEEZNS1_21radix_sort_block_sortIS4_Lb0EN6thrust23THRUST_200600_302600_NS6detail15normal_iteratorINSA_10device_ptrItEEEESF_PS6_SG_NS0_19identity_decomposerEEE10hipError_tT1_T2_T3_T4_jRjT5_jjP12ihipStream_tbEUlT_E_NS1_11comp_targetILNS1_3genE4ELNS1_11target_archE910ELNS1_3gpuE8ELNS1_3repE0EEENS1_44radix_sort_block_sort_config_static_selectorELNS0_4arch9wavefront6targetE1EEEvSJ_,"axG",@progbits,_ZN7rocprim17ROCPRIM_400000_NS6detail17trampoline_kernelINS0_13kernel_configILj256ELj4ELj4294967295EEENS1_37radix_sort_block_sort_config_selectorItNS0_10empty_typeEEEZNS1_21radix_sort_block_sortIS4_Lb0EN6thrust23THRUST_200600_302600_NS6detail15normal_iteratorINSA_10device_ptrItEEEESF_PS6_SG_NS0_19identity_decomposerEEE10hipError_tT1_T2_T3_T4_jRjT5_jjP12ihipStream_tbEUlT_E_NS1_11comp_targetILNS1_3genE4ELNS1_11target_archE910ELNS1_3gpuE8ELNS1_3repE0EEENS1_44radix_sort_block_sort_config_static_selectorELNS0_4arch9wavefront6targetE1EEEvSJ_,comdat
	.protected	_ZN7rocprim17ROCPRIM_400000_NS6detail17trampoline_kernelINS0_13kernel_configILj256ELj4ELj4294967295EEENS1_37radix_sort_block_sort_config_selectorItNS0_10empty_typeEEEZNS1_21radix_sort_block_sortIS4_Lb0EN6thrust23THRUST_200600_302600_NS6detail15normal_iteratorINSA_10device_ptrItEEEESF_PS6_SG_NS0_19identity_decomposerEEE10hipError_tT1_T2_T3_T4_jRjT5_jjP12ihipStream_tbEUlT_E_NS1_11comp_targetILNS1_3genE4ELNS1_11target_archE910ELNS1_3gpuE8ELNS1_3repE0EEENS1_44radix_sort_block_sort_config_static_selectorELNS0_4arch9wavefront6targetE1EEEvSJ_ ; -- Begin function _ZN7rocprim17ROCPRIM_400000_NS6detail17trampoline_kernelINS0_13kernel_configILj256ELj4ELj4294967295EEENS1_37radix_sort_block_sort_config_selectorItNS0_10empty_typeEEEZNS1_21radix_sort_block_sortIS4_Lb0EN6thrust23THRUST_200600_302600_NS6detail15normal_iteratorINSA_10device_ptrItEEEESF_PS6_SG_NS0_19identity_decomposerEEE10hipError_tT1_T2_T3_T4_jRjT5_jjP12ihipStream_tbEUlT_E_NS1_11comp_targetILNS1_3genE4ELNS1_11target_archE910ELNS1_3gpuE8ELNS1_3repE0EEENS1_44radix_sort_block_sort_config_static_selectorELNS0_4arch9wavefront6targetE1EEEvSJ_
	.globl	_ZN7rocprim17ROCPRIM_400000_NS6detail17trampoline_kernelINS0_13kernel_configILj256ELj4ELj4294967295EEENS1_37radix_sort_block_sort_config_selectorItNS0_10empty_typeEEEZNS1_21radix_sort_block_sortIS4_Lb0EN6thrust23THRUST_200600_302600_NS6detail15normal_iteratorINSA_10device_ptrItEEEESF_PS6_SG_NS0_19identity_decomposerEEE10hipError_tT1_T2_T3_T4_jRjT5_jjP12ihipStream_tbEUlT_E_NS1_11comp_targetILNS1_3genE4ELNS1_11target_archE910ELNS1_3gpuE8ELNS1_3repE0EEENS1_44radix_sort_block_sort_config_static_selectorELNS0_4arch9wavefront6targetE1EEEvSJ_
	.p2align	8
	.type	_ZN7rocprim17ROCPRIM_400000_NS6detail17trampoline_kernelINS0_13kernel_configILj256ELj4ELj4294967295EEENS1_37radix_sort_block_sort_config_selectorItNS0_10empty_typeEEEZNS1_21radix_sort_block_sortIS4_Lb0EN6thrust23THRUST_200600_302600_NS6detail15normal_iteratorINSA_10device_ptrItEEEESF_PS6_SG_NS0_19identity_decomposerEEE10hipError_tT1_T2_T3_T4_jRjT5_jjP12ihipStream_tbEUlT_E_NS1_11comp_targetILNS1_3genE4ELNS1_11target_archE910ELNS1_3gpuE8ELNS1_3repE0EEENS1_44radix_sort_block_sort_config_static_selectorELNS0_4arch9wavefront6targetE1EEEvSJ_,@function
_ZN7rocprim17ROCPRIM_400000_NS6detail17trampoline_kernelINS0_13kernel_configILj256ELj4ELj4294967295EEENS1_37radix_sort_block_sort_config_selectorItNS0_10empty_typeEEEZNS1_21radix_sort_block_sortIS4_Lb0EN6thrust23THRUST_200600_302600_NS6detail15normal_iteratorINSA_10device_ptrItEEEESF_PS6_SG_NS0_19identity_decomposerEEE10hipError_tT1_T2_T3_T4_jRjT5_jjP12ihipStream_tbEUlT_E_NS1_11comp_targetILNS1_3genE4ELNS1_11target_archE910ELNS1_3gpuE8ELNS1_3repE0EEENS1_44radix_sort_block_sort_config_static_selectorELNS0_4arch9wavefront6targetE1EEEvSJ_: ; @_ZN7rocprim17ROCPRIM_400000_NS6detail17trampoline_kernelINS0_13kernel_configILj256ELj4ELj4294967295EEENS1_37radix_sort_block_sort_config_selectorItNS0_10empty_typeEEEZNS1_21radix_sort_block_sortIS4_Lb0EN6thrust23THRUST_200600_302600_NS6detail15normal_iteratorINSA_10device_ptrItEEEESF_PS6_SG_NS0_19identity_decomposerEEE10hipError_tT1_T2_T3_T4_jRjT5_jjP12ihipStream_tbEUlT_E_NS1_11comp_targetILNS1_3genE4ELNS1_11target_archE910ELNS1_3gpuE8ELNS1_3repE0EEENS1_44radix_sort_block_sort_config_static_selectorELNS0_4arch9wavefront6targetE1EEEvSJ_
; %bb.0:
	s_load_dword s7, s[4:5], 0x20
	s_load_dwordx4 s[28:31], s[4:5], 0x0
	s_lshl_b32 s0, s6, 10
	s_mov_b32 s1, 0
	v_mbcnt_lo_u32_b32 v1, -1, 0
	s_waitcnt lgkmcnt(0)
	s_lshr_b32 s2, s7, 10
	s_cmp_lg_u32 s6, s2
	s_cselect_b64 s[34:35], -1, 0
	s_lshl_b64 s[36:37], s[0:1], 1
	v_mbcnt_hi_u32_b32 v1, -1, v1
	v_and_b32_e32 v4, 0x3ff, v0
	s_add_u32 s1, s28, s36
	v_and_b32_e32 v2, 63, v1
	s_addc_u32 s3, s29, s37
	v_lshlrev_b32_e32 v5, 2, v4
	v_lshlrev_b32_e32 v6, 1, v2
	v_and_b32_e32 v3, 0x300, v5
	v_mov_b32_e32 v7, s3
	v_add_co_u32_e32 v6, vcc, s1, v6
	v_addc_co_u32_e32 v7, vcc, 0, v7, vcc
	v_lshlrev_b32_e32 v8, 1, v3
	v_add_co_u32_e32 v6, vcc, v6, v8
	s_cmp_eq_u32 s6, s2
	v_addc_co_u32_e32 v7, vcc, 0, v7, vcc
	v_or_b32_e32 v9, v2, v3
	s_cbranch_scc1 .LBB1190_2
; %bb.1:
	global_load_ushort v13, v[6:7], off offset:256
	global_load_ushort v14, v[6:7], off offset:384
	global_load_ushort v15, v[6:7], off
	global_load_ushort v16, v[6:7], off offset:128
	s_mov_b32 s1, 0x5040100
	v_or_b32_e32 v12, v2, v3
	v_or_b32_e32 v8, 64, v12
	;; [unrolled: 1-line block ×4, first 2 shown]
	s_waitcnt vmcnt(2)
	v_perm_b32 v3, v14, v13, s1
	s_waitcnt vmcnt(0)
	v_perm_b32 v2, v16, v15, s1
	s_load_dwordx2 s[28:29], s[4:5], 0x28
	s_sub_i32 s33, s7, s0
	s_cbranch_execz .LBB1190_3
	s_branch .LBB1190_12
.LBB1190_2:
                                        ; implicit-def: $vgpr2_vgpr3
                                        ; implicit-def: $vgpr12
                                        ; implicit-def: $vgpr8
                                        ; implicit-def: $vgpr10
                                        ; implicit-def: $vgpr11
	s_load_dwordx2 s[28:29], s[4:5], 0x28
	s_sub_i32 s33, s7, s0
.LBB1190_3:
	s_mov_b32 s0, -1
	s_mov_b32 s1, s0
	v_cmp_gt_u32_e32 vcc, s33, v9
	v_pk_mov_b32 v[2:3], s[0:1], s[0:1] op_sel:[0,1]
	s_and_saveexec_b64 s[0:1], vcc
	s_cbranch_execz .LBB1190_5
; %bb.4:
	global_load_ushort v2, v[6:7], off
	v_mov_b32_e32 v3, 0x5040100
	s_waitcnt vmcnt(0)
	v_perm_b32 v2, -1, v2, v3
	v_mov_b32_e32 v3, -1
.LBB1190_5:
	s_or_b64 exec, exec, s[0:1]
	v_or_b32_e32 v8, 64, v9
	v_cmp_gt_u32_e32 vcc, s33, v8
	s_and_saveexec_b64 s[0:1], vcc
	s_cbranch_execz .LBB1190_7
; %bb.6:
	global_load_ushort v10, v[6:7], off offset:128
	s_mov_b32 s2, 0x5040100
	s_waitcnt vmcnt(0)
	v_perm_b32 v2, v10, v2, s2
.LBB1190_7:
	s_or_b64 exec, exec, s[0:1]
	v_or_b32_e32 v10, 0x80, v9
	v_cmp_gt_u32_e32 vcc, s33, v10
	s_and_saveexec_b64 s[0:1], vcc
	s_cbranch_execz .LBB1190_9
; %bb.8:
	global_load_ushort v11, v[6:7], off offset:256
	s_mov_b32 s2, 0xffff
	s_waitcnt vmcnt(0)
	v_bfi_b32 v3, s2, v11, v3
.LBB1190_9:
	s_or_b64 exec, exec, s[0:1]
	v_or_b32_e32 v11, 0xc0, v9
	v_cmp_gt_u32_e32 vcc, s33, v11
	s_and_saveexec_b64 s[0:1], vcc
	s_cbranch_execz .LBB1190_11
; %bb.10:
	global_load_ushort v6, v[6:7], off offset:384
	s_mov_b32 s2, 0x5040100
	s_waitcnt vmcnt(0)
	v_perm_b32 v3, v6, v3, s2
.LBB1190_11:
	s_or_b64 exec, exec, s[0:1]
	v_mov_b32_e32 v12, v9
.LBB1190_12:
	s_load_dword s2, s[4:5], 0x3c
	s_waitcnt lgkmcnt(0)
	s_add_i32 s38, s29, s28
	s_getpc_b64 s[0:1]
	s_add_u32 s0, s0, _ZN7rocprim17ROCPRIM_400000_NS16block_radix_sortItLj256ELj4ENS0_10empty_typeELj1ELj1ELj0ELNS0_26block_radix_rank_algorithmE1ELNS0_18block_padding_hintE2ELNS0_4arch9wavefront6targetE1EE19radix_bits_per_passE@rel32@lo+4
	s_addc_u32 s1, s1, _ZN7rocprim17ROCPRIM_400000_NS16block_radix_sortItLj256ELj4ENS0_10empty_typeELj1ELj1ELj0ELNS0_26block_radix_rank_algorithmE1ELNS0_18block_padding_hintE2ELNS0_4arch9wavefront6targetE1EE19radix_bits_per_passE@rel32@hi+12
	s_load_dword s39, s[0:1], 0x0
	v_bfe_u32 v6, v0, 10, 10
	s_lshr_b32 s0, s2, 16
	v_bfe_u32 v0, v0, 20, 10
	s_and_b32 s1, s2, 0xffff
	v_mad_u32_u24 v0, v0, s0, v6
	v_mad_u64_u32 v[6:7], s[0:1], v0, s1, v[4:5]
	v_and_b32_e32 v0, 15, v1
	v_cmp_eq_u32_e64 s[0:1], 0, v0
	v_cmp_lt_u32_e64 s[2:3], 1, v0
	v_cmp_lt_u32_e64 s[4:5], 3, v0
	;; [unrolled: 1-line block ×3, first 2 shown]
	v_and_b32_e32 v0, 16, v1
	v_cmp_eq_u32_e64 s[8:9], 0, v0
	v_and_b32_e32 v0, 0x3c0, v4
	v_min_u32_e32 v0, 0xc0, v0
	v_or_b32_e32 v0, 63, v0
	v_lshrrev_b32_e32 v14, 6, v6
	v_cmp_eq_u32_e64 s[12:13], v0, v4
	v_add_u32_e32 v0, -1, v1
	v_and_b32_e32 v6, 64, v1
	v_cmp_lt_i32_e32 vcc, v0, v6
	v_cndmask_b32_e32 v0, v0, v1, vcc
	s_mov_b32 s26, 0
	v_lshlrev_b32_e32 v15, 2, v0
	v_lshrrev_b32_e32 v0, 4, v4
	v_lshlrev_b32_e32 v5, 2, v5
	v_cmp_lt_u32_e64 s[10:11], 31, v1
	v_cmp_eq_u32_e64 s[18:19], 0, v1
	v_and_b32_e32 v16, 60, v0
	v_mul_i32_i24_e32 v0, -12, v4
	v_and_b32_e32 v1, 3, v1
	s_mov_b32 s27, s26
	s_mov_b32 s40, s26
	;; [unrolled: 1-line block ×3, first 2 shown]
	v_cmp_gt_u32_e64 s[14:15], 4, v4
	v_cmp_lt_u32_e64 s[16:17], 63, v4
	v_cmp_eq_u32_e64 s[20:21], 0, v4
	v_cmp_eq_u32_e64 s[22:23], 0, v1
	v_cmp_lt_u32_e64 s[24:25], 1, v1
	v_add_u32_e32 v17, -4, v16
	v_lshlrev_b32_e32 v18, 1, v12
	v_lshlrev_b32_e32 v19, 1, v8
	;; [unrolled: 1-line block ×4, first 2 shown]
	v_pk_mov_b32 v[6:7], s[26:27], s[26:27] op_sel:[0,1]
	v_pk_mov_b32 v[8:9], s[40:41], s[40:41] op_sel:[0,1]
	v_add_u32_e32 v22, v5, v0
	s_mov_b32 s40, 0x5040100
	v_mov_b32_e32 v12, 0
	s_branch .LBB1190_14
.LBB1190_13:                            ;   in Loop: Header=BB1190_14 Depth=1
	s_barrier
	ds_write_b16 v0, v10
	ds_write_b16 v1, v24
	ds_write_b16 v23, v11
	ds_write_b16 v13, v31
	s_waitcnt lgkmcnt(0)
	s_barrier
	ds_read_u16 v2, v20
	ds_read_u16 v3, v21
	;; [unrolled: 1-line block ×4, first 2 shown]
	s_add_i32 s29, s29, -8
	s_waitcnt lgkmcnt(2)
	v_perm_b32 v3, v3, v2, s40
	s_waitcnt lgkmcnt(0)
	v_perm_b32 v2, v26, v25, s40
	s_barrier
	s_cbranch_execz .LBB1190_30
.LBB1190_14:                            ; =>This Inner Loop Header: Depth=1
	s_waitcnt lgkmcnt(0)
	s_min_u32 s26, s39, s29
	v_pk_mov_b32 v[10:11], v[2:3], v[2:3] op_sel:[0,1]
	s_lshl_b32 s26, -1, s26
	s_not_b32 s41, s26
	v_lshrrev_b32_sdwa v0, s28, v10 dst_sel:DWORD dst_unused:UNUSED_PAD src0_sel:DWORD src1_sel:WORD_0
	v_and_b32_e32 v0, s41, v0
	v_lshl_add_u32 v1, v0, 2, v14
	v_lshl_add_u32 v23, v1, 2, 16
	v_and_b32_e32 v1, 1, v0
	v_add_co_u32_e32 v2, vcc, -1, v1
	v_addc_co_u32_e64 v3, s[26:27], 0, -1, vcc
	v_cmp_ne_u32_e32 vcc, 0, v1
	v_lshlrev_b32_e32 v13, 30, v0
	v_xor_b32_e32 v1, vcc_hi, v3
	v_not_b32_e32 v3, v13
	v_xor_b32_e32 v2, vcc_lo, v2
	v_cmp_gt_i64_e32 vcc, 0, v[12:13]
	v_ashrrev_i32_e32 v3, 31, v3
	v_and_b32_e32 v1, exec_hi, v1
	v_xor_b32_e32 v13, vcc_hi, v3
	v_and_b32_e32 v2, exec_lo, v2
	v_xor_b32_e32 v3, vcc_lo, v3
	v_and_b32_e32 v1, v1, v13
	v_lshlrev_b32_e32 v13, 29, v0
	v_and_b32_e32 v2, v2, v3
	v_not_b32_e32 v3, v13
	v_cmp_gt_i64_e32 vcc, 0, v[12:13]
	v_ashrrev_i32_e32 v3, 31, v3
	v_xor_b32_e32 v13, vcc_hi, v3
	v_xor_b32_e32 v3, vcc_lo, v3
	v_and_b32_e32 v1, v1, v13
	v_lshlrev_b32_e32 v13, 28, v0
	v_and_b32_e32 v2, v2, v3
	v_not_b32_e32 v3, v13
	v_cmp_gt_i64_e32 vcc, 0, v[12:13]
	v_ashrrev_i32_e32 v3, 31, v3
	v_xor_b32_e32 v13, vcc_hi, v3
	v_xor_b32_e32 v3, vcc_lo, v3
	v_and_b32_e32 v1, v1, v13
	v_lshlrev_b32_e32 v13, 27, v0
	v_and_b32_e32 v2, v2, v3
	v_not_b32_e32 v3, v13
	v_cmp_gt_i64_e32 vcc, 0, v[12:13]
	v_ashrrev_i32_e32 v3, 31, v3
	v_xor_b32_e32 v13, vcc_hi, v3
	v_xor_b32_e32 v3, vcc_lo, v3
	v_and_b32_e32 v1, v1, v13
	v_lshlrev_b32_e32 v13, 26, v0
	v_and_b32_e32 v2, v2, v3
	v_not_b32_e32 v3, v13
	v_cmp_gt_i64_e32 vcc, 0, v[12:13]
	v_ashrrev_i32_e32 v3, 31, v3
	v_xor_b32_e32 v13, vcc_hi, v3
	v_xor_b32_e32 v3, vcc_lo, v3
	v_and_b32_e32 v1, v1, v13
	v_lshlrev_b32_e32 v13, 25, v0
	v_and_b32_e32 v2, v2, v3
	v_not_b32_e32 v3, v13
	v_cmp_gt_i64_e32 vcc, 0, v[12:13]
	v_ashrrev_i32_e32 v3, 31, v3
	v_xor_b32_e32 v13, vcc_hi, v3
	v_and_b32_e32 v1, v1, v13
	v_lshlrev_b32_e32 v13, 24, v0
	v_not_b32_e32 v0, v13
	v_xor_b32_e32 v3, vcc_lo, v3
	v_cmp_gt_i64_e32 vcc, 0, v[12:13]
	v_ashrrev_i32_e32 v0, 31, v0
	v_and_b32_e32 v2, v2, v3
	v_xor_b32_e32 v3, vcc_hi, v0
	v_xor_b32_e32 v0, vcc_lo, v0
	v_and_b32_e32 v0, v2, v0
	v_and_b32_e32 v1, v1, v3
	v_mbcnt_lo_u32_b32 v2, v0, 0
	v_mbcnt_hi_u32_b32 v25, v1, v2
	v_cmp_eq_u32_e32 vcc, 0, v25
	v_cmp_ne_u64_e64 s[26:27], 0, v[0:1]
	s_and_b64 s[42:43], s[26:27], vcc
	ds_write2_b64 v5, v[6:7], v[8:9] offset0:2 offset1:3
	s_waitcnt lgkmcnt(0)
	s_barrier
	s_waitcnt lgkmcnt(0)
	; wave barrier
	s_and_saveexec_b64 s[26:27], s[42:43]
	s_cbranch_execz .LBB1190_16
; %bb.15:                               ;   in Loop: Header=BB1190_14 Depth=1
	v_bcnt_u32_b32 v0, v0, 0
	v_bcnt_u32_b32 v0, v1, v0
	ds_write_b32 v23, v0
.LBB1190_16:                            ;   in Loop: Header=BB1190_14 Depth=1
	s_or_b64 exec, exec, s[26:27]
	v_lshrrev_b32_e32 v24, 16, v10
	v_lshrrev_b32_e32 v0, s28, v24
	v_and_b32_e32 v0, s41, v0
	v_lshlrev_b32_e32 v1, 2, v0
	v_add_lshl_u32 v1, v1, v14, 2
	; wave barrier
	v_add_u32_e32 v27, 16, v1
	ds_read_b32 v26, v1 offset:16
	v_and_b32_e32 v1, 1, v0
	v_add_co_u32_e32 v2, vcc, -1, v1
	v_addc_co_u32_e64 v3, s[26:27], 0, -1, vcc
	v_cmp_ne_u32_e32 vcc, 0, v1
	v_lshlrev_b32_e32 v13, 30, v0
	v_xor_b32_e32 v1, vcc_hi, v3
	v_not_b32_e32 v3, v13
	v_xor_b32_e32 v2, vcc_lo, v2
	v_cmp_gt_i64_e32 vcc, 0, v[12:13]
	v_ashrrev_i32_e32 v3, 31, v3
	v_and_b32_e32 v1, exec_hi, v1
	v_xor_b32_e32 v13, vcc_hi, v3
	v_and_b32_e32 v2, exec_lo, v2
	v_xor_b32_e32 v3, vcc_lo, v3
	v_and_b32_e32 v1, v1, v13
	v_lshlrev_b32_e32 v13, 29, v0
	v_and_b32_e32 v2, v2, v3
	v_not_b32_e32 v3, v13
	v_cmp_gt_i64_e32 vcc, 0, v[12:13]
	v_ashrrev_i32_e32 v3, 31, v3
	v_xor_b32_e32 v13, vcc_hi, v3
	v_xor_b32_e32 v3, vcc_lo, v3
	v_and_b32_e32 v1, v1, v13
	v_lshlrev_b32_e32 v13, 28, v0
	v_and_b32_e32 v2, v2, v3
	v_not_b32_e32 v3, v13
	v_cmp_gt_i64_e32 vcc, 0, v[12:13]
	v_ashrrev_i32_e32 v3, 31, v3
	v_xor_b32_e32 v13, vcc_hi, v3
	v_xor_b32_e32 v3, vcc_lo, v3
	v_and_b32_e32 v1, v1, v13
	v_lshlrev_b32_e32 v13, 27, v0
	v_and_b32_e32 v2, v2, v3
	v_not_b32_e32 v3, v13
	v_cmp_gt_i64_e32 vcc, 0, v[12:13]
	v_ashrrev_i32_e32 v3, 31, v3
	v_xor_b32_e32 v13, vcc_hi, v3
	v_xor_b32_e32 v3, vcc_lo, v3
	v_and_b32_e32 v1, v1, v13
	v_lshlrev_b32_e32 v13, 26, v0
	v_and_b32_e32 v2, v2, v3
	v_not_b32_e32 v3, v13
	v_cmp_gt_i64_e32 vcc, 0, v[12:13]
	v_ashrrev_i32_e32 v3, 31, v3
	v_xor_b32_e32 v13, vcc_hi, v3
	v_xor_b32_e32 v3, vcc_lo, v3
	v_and_b32_e32 v1, v1, v13
	v_lshlrev_b32_e32 v13, 25, v0
	v_and_b32_e32 v2, v2, v3
	v_not_b32_e32 v3, v13
	v_cmp_gt_i64_e32 vcc, 0, v[12:13]
	v_ashrrev_i32_e32 v3, 31, v3
	v_xor_b32_e32 v13, vcc_hi, v3
	v_and_b32_e32 v1, v1, v13
	v_lshlrev_b32_e32 v13, 24, v0
	v_not_b32_e32 v0, v13
	v_xor_b32_e32 v3, vcc_lo, v3
	v_cmp_gt_i64_e32 vcc, 0, v[12:13]
	v_ashrrev_i32_e32 v0, 31, v0
	v_and_b32_e32 v2, v2, v3
	v_xor_b32_e32 v3, vcc_hi, v0
	v_xor_b32_e32 v0, vcc_lo, v0
	v_and_b32_e32 v0, v2, v0
	v_and_b32_e32 v1, v1, v3
	v_mbcnt_lo_u32_b32 v2, v0, 0
	v_mbcnt_hi_u32_b32 v28, v1, v2
	v_cmp_eq_u32_e32 vcc, 0, v28
	v_cmp_ne_u64_e64 s[26:27], 0, v[0:1]
	s_and_b64 s[42:43], s[26:27], vcc
	; wave barrier
	s_and_saveexec_b64 s[26:27], s[42:43]
	s_cbranch_execz .LBB1190_18
; %bb.17:                               ;   in Loop: Header=BB1190_14 Depth=1
	v_bcnt_u32_b32 v0, v0, 0
	v_bcnt_u32_b32 v0, v1, v0
	s_waitcnt lgkmcnt(0)
	v_add_u32_e32 v0, v26, v0
	ds_write_b32 v27, v0
.LBB1190_18:                            ;   in Loop: Header=BB1190_14 Depth=1
	s_or_b64 exec, exec, s[26:27]
	v_lshrrev_b32_sdwa v0, s28, v11 dst_sel:DWORD dst_unused:UNUSED_PAD src0_sel:DWORD src1_sel:WORD_0
	v_and_b32_e32 v0, s41, v0
	v_lshlrev_b32_e32 v1, 2, v0
	v_add_lshl_u32 v1, v1, v14, 2
	; wave barrier
	v_add_u32_e32 v30, 16, v1
	ds_read_b32 v29, v1 offset:16
	v_and_b32_e32 v1, 1, v0
	v_add_co_u32_e32 v2, vcc, -1, v1
	v_addc_co_u32_e64 v3, s[26:27], 0, -1, vcc
	v_cmp_ne_u32_e32 vcc, 0, v1
	v_lshlrev_b32_e32 v13, 30, v0
	v_xor_b32_e32 v1, vcc_hi, v3
	v_not_b32_e32 v3, v13
	v_xor_b32_e32 v2, vcc_lo, v2
	v_cmp_gt_i64_e32 vcc, 0, v[12:13]
	v_ashrrev_i32_e32 v3, 31, v3
	v_and_b32_e32 v1, exec_hi, v1
	v_xor_b32_e32 v13, vcc_hi, v3
	v_and_b32_e32 v2, exec_lo, v2
	v_xor_b32_e32 v3, vcc_lo, v3
	v_and_b32_e32 v1, v1, v13
	v_lshlrev_b32_e32 v13, 29, v0
	v_and_b32_e32 v2, v2, v3
	v_not_b32_e32 v3, v13
	v_cmp_gt_i64_e32 vcc, 0, v[12:13]
	v_ashrrev_i32_e32 v3, 31, v3
	v_xor_b32_e32 v13, vcc_hi, v3
	v_xor_b32_e32 v3, vcc_lo, v3
	v_and_b32_e32 v1, v1, v13
	v_lshlrev_b32_e32 v13, 28, v0
	v_and_b32_e32 v2, v2, v3
	v_not_b32_e32 v3, v13
	v_cmp_gt_i64_e32 vcc, 0, v[12:13]
	v_ashrrev_i32_e32 v3, 31, v3
	v_xor_b32_e32 v13, vcc_hi, v3
	;; [unrolled: 8-line block ×5, first 2 shown]
	v_and_b32_e32 v1, v1, v13
	v_lshlrev_b32_e32 v13, 24, v0
	v_not_b32_e32 v0, v13
	v_xor_b32_e32 v3, vcc_lo, v3
	v_cmp_gt_i64_e32 vcc, 0, v[12:13]
	v_ashrrev_i32_e32 v0, 31, v0
	v_and_b32_e32 v2, v2, v3
	v_xor_b32_e32 v3, vcc_hi, v0
	v_xor_b32_e32 v0, vcc_lo, v0
	v_and_b32_e32 v0, v2, v0
	v_and_b32_e32 v1, v1, v3
	v_mbcnt_lo_u32_b32 v2, v0, 0
	v_mbcnt_hi_u32_b32 v32, v1, v2
	v_cmp_eq_u32_e32 vcc, 0, v32
	v_cmp_ne_u64_e64 s[26:27], 0, v[0:1]
	s_and_b64 s[42:43], s[26:27], vcc
	; wave barrier
	s_and_saveexec_b64 s[26:27], s[42:43]
	s_cbranch_execz .LBB1190_20
; %bb.19:                               ;   in Loop: Header=BB1190_14 Depth=1
	v_bcnt_u32_b32 v0, v0, 0
	v_bcnt_u32_b32 v0, v1, v0
	s_waitcnt lgkmcnt(0)
	v_add_u32_e32 v0, v29, v0
	ds_write_b32 v30, v0
.LBB1190_20:                            ;   in Loop: Header=BB1190_14 Depth=1
	s_or_b64 exec, exec, s[26:27]
	v_lshrrev_b32_e32 v31, 16, v11
	v_lshrrev_b32_e32 v0, s28, v31
	v_and_b32_e32 v0, s41, v0
	v_lshlrev_b32_e32 v1, 2, v0
	v_add_lshl_u32 v1, v1, v14, 2
	; wave barrier
	v_add_u32_e32 v34, 16, v1
	ds_read_b32 v33, v1 offset:16
	v_and_b32_e32 v1, 1, v0
	v_add_co_u32_e32 v2, vcc, -1, v1
	v_addc_co_u32_e64 v3, s[26:27], 0, -1, vcc
	v_cmp_ne_u32_e32 vcc, 0, v1
	v_lshlrev_b32_e32 v13, 30, v0
	v_xor_b32_e32 v1, vcc_hi, v3
	v_not_b32_e32 v3, v13
	v_xor_b32_e32 v2, vcc_lo, v2
	v_cmp_gt_i64_e32 vcc, 0, v[12:13]
	v_ashrrev_i32_e32 v3, 31, v3
	v_and_b32_e32 v1, exec_hi, v1
	v_xor_b32_e32 v13, vcc_hi, v3
	v_and_b32_e32 v2, exec_lo, v2
	v_xor_b32_e32 v3, vcc_lo, v3
	v_and_b32_e32 v1, v1, v13
	v_lshlrev_b32_e32 v13, 29, v0
	v_and_b32_e32 v2, v2, v3
	v_not_b32_e32 v3, v13
	v_cmp_gt_i64_e32 vcc, 0, v[12:13]
	v_ashrrev_i32_e32 v3, 31, v3
	v_xor_b32_e32 v13, vcc_hi, v3
	v_xor_b32_e32 v3, vcc_lo, v3
	v_and_b32_e32 v1, v1, v13
	v_lshlrev_b32_e32 v13, 28, v0
	v_and_b32_e32 v2, v2, v3
	v_not_b32_e32 v3, v13
	v_cmp_gt_i64_e32 vcc, 0, v[12:13]
	v_ashrrev_i32_e32 v3, 31, v3
	v_xor_b32_e32 v13, vcc_hi, v3
	;; [unrolled: 8-line block ×5, first 2 shown]
	v_and_b32_e32 v1, v1, v13
	v_lshlrev_b32_e32 v13, 24, v0
	v_not_b32_e32 v0, v13
	v_xor_b32_e32 v3, vcc_lo, v3
	v_cmp_gt_i64_e32 vcc, 0, v[12:13]
	v_ashrrev_i32_e32 v0, 31, v0
	v_and_b32_e32 v2, v2, v3
	v_xor_b32_e32 v3, vcc_hi, v0
	v_xor_b32_e32 v0, vcc_lo, v0
	v_and_b32_e32 v0, v2, v0
	v_and_b32_e32 v1, v1, v3
	v_mbcnt_lo_u32_b32 v2, v0, 0
	v_mbcnt_hi_u32_b32 v13, v1, v2
	v_cmp_eq_u32_e32 vcc, 0, v13
	v_cmp_ne_u64_e64 s[26:27], 0, v[0:1]
	s_and_b64 s[42:43], s[26:27], vcc
	; wave barrier
	s_and_saveexec_b64 s[26:27], s[42:43]
	s_cbranch_execz .LBB1190_22
; %bb.21:                               ;   in Loop: Header=BB1190_14 Depth=1
	v_bcnt_u32_b32 v0, v0, 0
	v_bcnt_u32_b32 v0, v1, v0
	s_waitcnt lgkmcnt(0)
	v_add_u32_e32 v0, v33, v0
	ds_write_b32 v34, v0
.LBB1190_22:                            ;   in Loop: Header=BB1190_14 Depth=1
	s_or_b64 exec, exec, s[26:27]
	; wave barrier
	s_waitcnt lgkmcnt(0)
	s_barrier
	ds_read2_b64 v[0:3], v5 offset0:2 offset1:3
	s_waitcnt lgkmcnt(0)
	v_add_u32_e32 v35, v1, v0
	v_add3_u32 v3, v35, v2, v3
	s_nop 1
	v_mov_b32_dpp v35, v3 row_shr:1 row_mask:0xf bank_mask:0xf
	v_cndmask_b32_e64 v35, v35, 0, s[0:1]
	v_add_u32_e32 v3, v35, v3
	s_nop 1
	v_mov_b32_dpp v35, v3 row_shr:2 row_mask:0xf bank_mask:0xf
	v_cndmask_b32_e64 v35, 0, v35, s[2:3]
	v_add_u32_e32 v3, v3, v35
	;; [unrolled: 4-line block ×4, first 2 shown]
	s_nop 1
	v_mov_b32_dpp v35, v3 row_bcast:15 row_mask:0xf bank_mask:0xf
	v_cndmask_b32_e64 v35, v35, 0, s[8:9]
	v_add_u32_e32 v3, v3, v35
	s_nop 1
	v_mov_b32_dpp v35, v3 row_bcast:31 row_mask:0xf bank_mask:0xf
	v_cndmask_b32_e64 v35, 0, v35, s[10:11]
	v_add_u32_e32 v3, v3, v35
	s_and_saveexec_b64 s[26:27], s[12:13]
	s_cbranch_execz .LBB1190_24
; %bb.23:                               ;   in Loop: Header=BB1190_14 Depth=1
	ds_write_b32 v16, v3
.LBB1190_24:                            ;   in Loop: Header=BB1190_14 Depth=1
	s_or_b64 exec, exec, s[26:27]
	s_waitcnt lgkmcnt(0)
	s_barrier
	s_and_saveexec_b64 s[26:27], s[14:15]
	s_cbranch_execz .LBB1190_26
; %bb.25:                               ;   in Loop: Header=BB1190_14 Depth=1
	ds_read_b32 v35, v22
	s_waitcnt lgkmcnt(0)
	s_nop 0
	v_mov_b32_dpp v36, v35 row_shr:1 row_mask:0xf bank_mask:0xf
	v_cndmask_b32_e64 v36, v36, 0, s[22:23]
	v_add_u32_e32 v35, v36, v35
	s_nop 1
	v_mov_b32_dpp v36, v35 row_shr:2 row_mask:0xf bank_mask:0xf
	v_cndmask_b32_e64 v36, 0, v36, s[24:25]
	v_add_u32_e32 v35, v35, v36
	ds_write_b32 v22, v35
.LBB1190_26:                            ;   in Loop: Header=BB1190_14 Depth=1
	s_or_b64 exec, exec, s[26:27]
	v_mov_b32_e32 v35, 0
	s_waitcnt lgkmcnt(0)
	s_barrier
	s_and_saveexec_b64 s[26:27], s[16:17]
	s_cbranch_execz .LBB1190_28
; %bb.27:                               ;   in Loop: Header=BB1190_14 Depth=1
	ds_read_b32 v35, v17
.LBB1190_28:                            ;   in Loop: Header=BB1190_14 Depth=1
	s_or_b64 exec, exec, s[26:27]
	s_waitcnt lgkmcnt(0)
	v_add_u32_e32 v3, v35, v3
	ds_bpermute_b32 v3, v15, v3
	s_add_i32 s28, s28, 8
	s_cmp_ge_u32 s28, s38
	s_waitcnt lgkmcnt(0)
	v_cndmask_b32_e64 v3, v3, v35, s[18:19]
	v_cndmask_b32_e64 v36, v3, 0, s[20:21]
	v_add_u32_e32 v37, v36, v0
	v_add_u32_e32 v0, v37, v1
	;; [unrolled: 1-line block ×3, first 2 shown]
	ds_write2_b64 v5, v[36:37], v[0:1] offset0:2 offset1:3
	s_waitcnt lgkmcnt(0)
	s_barrier
	ds_read_b32 v0, v23
	ds_read_b32 v1, v27
	;; [unrolled: 1-line block ×4, first 2 shown]
	v_lshlrev_b32_e32 v23, 1, v25
	s_waitcnt lgkmcnt(3)
	v_lshl_add_u32 v0, v0, 1, v23
	v_lshlrev_b32_e32 v23, 1, v28
	v_lshlrev_b32_e32 v25, 1, v26
	s_waitcnt lgkmcnt(2)
	v_lshlrev_b32_e32 v1, 1, v1
	v_add3_u32 v1, v23, v25, v1
	v_lshlrev_b32_e32 v23, 1, v32
	v_lshlrev_b32_e32 v25, 1, v29
	s_waitcnt lgkmcnt(1)
	v_lshlrev_b32_e32 v2, 1, v2
	v_add3_u32 v23, v23, v25, v2
	;; [unrolled: 5-line block ×3, first 2 shown]
	s_cbranch_scc0 .LBB1190_13
; %bb.29:
                                        ; implicit-def: $sgpr28
                                        ; implicit-def: $vgpr2_vgpr3
.LBB1190_30:
	s_barrier
	ds_write_b16 v0, v10
	ds_write_b16 v1, v24
	ds_write_b16 v23, v11
	ds_write_b16 v13, v31
	v_lshlrev_b32_e32 v0, 1, v4
	s_waitcnt lgkmcnt(0)
	s_barrier
	ds_read_u16 v6, v0
	ds_read_u16 v5, v0 offset:512
	ds_read_u16 v3, v0 offset:1024
	;; [unrolled: 1-line block ×3, first 2 shown]
	s_add_u32 s0, s30, s36
	s_addc_u32 s1, s31, s37
	v_mov_b32_e32 v1, s1
	v_add_co_u32_e64 v0, s[0:1], s0, v0
	s_andn2_b64 vcc, exec, s[34:35]
	v_addc_co_u32_e64 v1, s[0:1], 0, v1, s[0:1]
	s_cbranch_vccnz .LBB1190_32
; %bb.31:
	s_mov_b64 s[0:1], -1
	s_waitcnt lgkmcnt(3)
	global_store_short v[0:1], v6, off
	s_waitcnt lgkmcnt(2)
	global_store_short v[0:1], v5, off offset:512
	s_waitcnt lgkmcnt(1)
	global_store_short v[0:1], v3, off offset:1024
	s_cbranch_execz .LBB1190_33
	s_branch .LBB1190_40
.LBB1190_32:
	s_mov_b64 s[0:1], 0
.LBB1190_33:
	v_cmp_gt_u32_e32 vcc, s33, v4
	s_and_saveexec_b64 s[0:1], vcc
	s_cbranch_execz .LBB1190_35
; %bb.34:
	s_waitcnt lgkmcnt(3)
	global_store_short v[0:1], v6, off
.LBB1190_35:
	s_or_b64 exec, exec, s[0:1]
	s_waitcnt lgkmcnt(3)
	v_add_u32_e32 v6, 0x100, v4
	v_cmp_gt_u32_e32 vcc, s33, v6
	s_and_saveexec_b64 s[0:1], vcc
	s_cbranch_execz .LBB1190_37
; %bb.36:
	s_waitcnt lgkmcnt(2)
	global_store_short v[0:1], v5, off offset:512
.LBB1190_37:
	s_or_b64 exec, exec, s[0:1]
	s_waitcnt lgkmcnt(2)
	v_add_u32_e32 v5, 0x200, v4
	v_cmp_gt_u32_e32 vcc, s33, v5
	s_and_saveexec_b64 s[0:1], vcc
	s_cbranch_execz .LBB1190_39
; %bb.38:
	s_waitcnt lgkmcnt(1)
	global_store_short v[0:1], v3, off offset:1024
.LBB1190_39:
	s_or_b64 exec, exec, s[0:1]
	s_waitcnt lgkmcnt(1)
	v_add_u32_e32 v3, 0x300, v4
	v_cmp_gt_u32_e64 s[0:1], s33, v3
.LBB1190_40:
	s_and_saveexec_b64 s[2:3], s[0:1]
	s_cbranch_execnz .LBB1190_42
; %bb.41:
	s_endpgm
.LBB1190_42:
	s_waitcnt lgkmcnt(0)
	global_store_short v[0:1], v2, off offset:1536
	s_endpgm
	.section	.rodata,"a",@progbits
	.p2align	6, 0x0
	.amdhsa_kernel _ZN7rocprim17ROCPRIM_400000_NS6detail17trampoline_kernelINS0_13kernel_configILj256ELj4ELj4294967295EEENS1_37radix_sort_block_sort_config_selectorItNS0_10empty_typeEEEZNS1_21radix_sort_block_sortIS4_Lb0EN6thrust23THRUST_200600_302600_NS6detail15normal_iteratorINSA_10device_ptrItEEEESF_PS6_SG_NS0_19identity_decomposerEEE10hipError_tT1_T2_T3_T4_jRjT5_jjP12ihipStream_tbEUlT_E_NS1_11comp_targetILNS1_3genE4ELNS1_11target_archE910ELNS1_3gpuE8ELNS1_3repE0EEENS1_44radix_sort_block_sort_config_static_selectorELNS0_4arch9wavefront6targetE1EEEvSJ_
		.amdhsa_group_segment_fixed_size 4112
		.amdhsa_private_segment_fixed_size 0
		.amdhsa_kernarg_size 304
		.amdhsa_user_sgpr_count 6
		.amdhsa_user_sgpr_private_segment_buffer 1
		.amdhsa_user_sgpr_dispatch_ptr 0
		.amdhsa_user_sgpr_queue_ptr 0
		.amdhsa_user_sgpr_kernarg_segment_ptr 1
		.amdhsa_user_sgpr_dispatch_id 0
		.amdhsa_user_sgpr_flat_scratch_init 0
		.amdhsa_user_sgpr_kernarg_preload_length 0
		.amdhsa_user_sgpr_kernarg_preload_offset 0
		.amdhsa_user_sgpr_private_segment_size 0
		.amdhsa_uses_dynamic_stack 0
		.amdhsa_system_sgpr_private_segment_wavefront_offset 0
		.amdhsa_system_sgpr_workgroup_id_x 1
		.amdhsa_system_sgpr_workgroup_id_y 0
		.amdhsa_system_sgpr_workgroup_id_z 0
		.amdhsa_system_sgpr_workgroup_info 0
		.amdhsa_system_vgpr_workitem_id 2
		.amdhsa_next_free_vgpr 38
		.amdhsa_next_free_sgpr 44
		.amdhsa_accum_offset 40
		.amdhsa_reserve_vcc 1
		.amdhsa_reserve_flat_scratch 0
		.amdhsa_float_round_mode_32 0
		.amdhsa_float_round_mode_16_64 0
		.amdhsa_float_denorm_mode_32 3
		.amdhsa_float_denorm_mode_16_64 3
		.amdhsa_dx10_clamp 1
		.amdhsa_ieee_mode 1
		.amdhsa_fp16_overflow 0
		.amdhsa_tg_split 0
		.amdhsa_exception_fp_ieee_invalid_op 0
		.amdhsa_exception_fp_denorm_src 0
		.amdhsa_exception_fp_ieee_div_zero 0
		.amdhsa_exception_fp_ieee_overflow 0
		.amdhsa_exception_fp_ieee_underflow 0
		.amdhsa_exception_fp_ieee_inexact 0
		.amdhsa_exception_int_div_zero 0
	.end_amdhsa_kernel
	.section	.text._ZN7rocprim17ROCPRIM_400000_NS6detail17trampoline_kernelINS0_13kernel_configILj256ELj4ELj4294967295EEENS1_37radix_sort_block_sort_config_selectorItNS0_10empty_typeEEEZNS1_21radix_sort_block_sortIS4_Lb0EN6thrust23THRUST_200600_302600_NS6detail15normal_iteratorINSA_10device_ptrItEEEESF_PS6_SG_NS0_19identity_decomposerEEE10hipError_tT1_T2_T3_T4_jRjT5_jjP12ihipStream_tbEUlT_E_NS1_11comp_targetILNS1_3genE4ELNS1_11target_archE910ELNS1_3gpuE8ELNS1_3repE0EEENS1_44radix_sort_block_sort_config_static_selectorELNS0_4arch9wavefront6targetE1EEEvSJ_,"axG",@progbits,_ZN7rocprim17ROCPRIM_400000_NS6detail17trampoline_kernelINS0_13kernel_configILj256ELj4ELj4294967295EEENS1_37radix_sort_block_sort_config_selectorItNS0_10empty_typeEEEZNS1_21radix_sort_block_sortIS4_Lb0EN6thrust23THRUST_200600_302600_NS6detail15normal_iteratorINSA_10device_ptrItEEEESF_PS6_SG_NS0_19identity_decomposerEEE10hipError_tT1_T2_T3_T4_jRjT5_jjP12ihipStream_tbEUlT_E_NS1_11comp_targetILNS1_3genE4ELNS1_11target_archE910ELNS1_3gpuE8ELNS1_3repE0EEENS1_44radix_sort_block_sort_config_static_selectorELNS0_4arch9wavefront6targetE1EEEvSJ_,comdat
.Lfunc_end1190:
	.size	_ZN7rocprim17ROCPRIM_400000_NS6detail17trampoline_kernelINS0_13kernel_configILj256ELj4ELj4294967295EEENS1_37radix_sort_block_sort_config_selectorItNS0_10empty_typeEEEZNS1_21radix_sort_block_sortIS4_Lb0EN6thrust23THRUST_200600_302600_NS6detail15normal_iteratorINSA_10device_ptrItEEEESF_PS6_SG_NS0_19identity_decomposerEEE10hipError_tT1_T2_T3_T4_jRjT5_jjP12ihipStream_tbEUlT_E_NS1_11comp_targetILNS1_3genE4ELNS1_11target_archE910ELNS1_3gpuE8ELNS1_3repE0EEENS1_44radix_sort_block_sort_config_static_selectorELNS0_4arch9wavefront6targetE1EEEvSJ_, .Lfunc_end1190-_ZN7rocprim17ROCPRIM_400000_NS6detail17trampoline_kernelINS0_13kernel_configILj256ELj4ELj4294967295EEENS1_37radix_sort_block_sort_config_selectorItNS0_10empty_typeEEEZNS1_21radix_sort_block_sortIS4_Lb0EN6thrust23THRUST_200600_302600_NS6detail15normal_iteratorINSA_10device_ptrItEEEESF_PS6_SG_NS0_19identity_decomposerEEE10hipError_tT1_T2_T3_T4_jRjT5_jjP12ihipStream_tbEUlT_E_NS1_11comp_targetILNS1_3genE4ELNS1_11target_archE910ELNS1_3gpuE8ELNS1_3repE0EEENS1_44radix_sort_block_sort_config_static_selectorELNS0_4arch9wavefront6targetE1EEEvSJ_
                                        ; -- End function
	.section	.AMDGPU.csdata,"",@progbits
; Kernel info:
; codeLenInByte = 3272
; NumSgprs: 48
; NumVgprs: 38
; NumAgprs: 0
; TotalNumVgprs: 38
; ScratchSize: 0
; MemoryBound: 0
; FloatMode: 240
; IeeeMode: 1
; LDSByteSize: 4112 bytes/workgroup (compile time only)
; SGPRBlocks: 5
; VGPRBlocks: 4
; NumSGPRsForWavesPerEU: 48
; NumVGPRsForWavesPerEU: 38
; AccumOffset: 40
; Occupancy: 8
; WaveLimiterHint : 1
; COMPUTE_PGM_RSRC2:SCRATCH_EN: 0
; COMPUTE_PGM_RSRC2:USER_SGPR: 6
; COMPUTE_PGM_RSRC2:TRAP_HANDLER: 0
; COMPUTE_PGM_RSRC2:TGID_X_EN: 1
; COMPUTE_PGM_RSRC2:TGID_Y_EN: 0
; COMPUTE_PGM_RSRC2:TGID_Z_EN: 0
; COMPUTE_PGM_RSRC2:TIDIG_COMP_CNT: 2
; COMPUTE_PGM_RSRC3_GFX90A:ACCUM_OFFSET: 9
; COMPUTE_PGM_RSRC3_GFX90A:TG_SPLIT: 0
	.section	.text._ZN7rocprim17ROCPRIM_400000_NS6detail17trampoline_kernelINS0_13kernel_configILj256ELj4ELj4294967295EEENS1_37radix_sort_block_sort_config_selectorItNS0_10empty_typeEEEZNS1_21radix_sort_block_sortIS4_Lb0EN6thrust23THRUST_200600_302600_NS6detail15normal_iteratorINSA_10device_ptrItEEEESF_PS6_SG_NS0_19identity_decomposerEEE10hipError_tT1_T2_T3_T4_jRjT5_jjP12ihipStream_tbEUlT_E_NS1_11comp_targetILNS1_3genE3ELNS1_11target_archE908ELNS1_3gpuE7ELNS1_3repE0EEENS1_44radix_sort_block_sort_config_static_selectorELNS0_4arch9wavefront6targetE1EEEvSJ_,"axG",@progbits,_ZN7rocprim17ROCPRIM_400000_NS6detail17trampoline_kernelINS0_13kernel_configILj256ELj4ELj4294967295EEENS1_37radix_sort_block_sort_config_selectorItNS0_10empty_typeEEEZNS1_21radix_sort_block_sortIS4_Lb0EN6thrust23THRUST_200600_302600_NS6detail15normal_iteratorINSA_10device_ptrItEEEESF_PS6_SG_NS0_19identity_decomposerEEE10hipError_tT1_T2_T3_T4_jRjT5_jjP12ihipStream_tbEUlT_E_NS1_11comp_targetILNS1_3genE3ELNS1_11target_archE908ELNS1_3gpuE7ELNS1_3repE0EEENS1_44radix_sort_block_sort_config_static_selectorELNS0_4arch9wavefront6targetE1EEEvSJ_,comdat
	.protected	_ZN7rocprim17ROCPRIM_400000_NS6detail17trampoline_kernelINS0_13kernel_configILj256ELj4ELj4294967295EEENS1_37radix_sort_block_sort_config_selectorItNS0_10empty_typeEEEZNS1_21radix_sort_block_sortIS4_Lb0EN6thrust23THRUST_200600_302600_NS6detail15normal_iteratorINSA_10device_ptrItEEEESF_PS6_SG_NS0_19identity_decomposerEEE10hipError_tT1_T2_T3_T4_jRjT5_jjP12ihipStream_tbEUlT_E_NS1_11comp_targetILNS1_3genE3ELNS1_11target_archE908ELNS1_3gpuE7ELNS1_3repE0EEENS1_44radix_sort_block_sort_config_static_selectorELNS0_4arch9wavefront6targetE1EEEvSJ_ ; -- Begin function _ZN7rocprim17ROCPRIM_400000_NS6detail17trampoline_kernelINS0_13kernel_configILj256ELj4ELj4294967295EEENS1_37radix_sort_block_sort_config_selectorItNS0_10empty_typeEEEZNS1_21radix_sort_block_sortIS4_Lb0EN6thrust23THRUST_200600_302600_NS6detail15normal_iteratorINSA_10device_ptrItEEEESF_PS6_SG_NS0_19identity_decomposerEEE10hipError_tT1_T2_T3_T4_jRjT5_jjP12ihipStream_tbEUlT_E_NS1_11comp_targetILNS1_3genE3ELNS1_11target_archE908ELNS1_3gpuE7ELNS1_3repE0EEENS1_44radix_sort_block_sort_config_static_selectorELNS0_4arch9wavefront6targetE1EEEvSJ_
	.globl	_ZN7rocprim17ROCPRIM_400000_NS6detail17trampoline_kernelINS0_13kernel_configILj256ELj4ELj4294967295EEENS1_37radix_sort_block_sort_config_selectorItNS0_10empty_typeEEEZNS1_21radix_sort_block_sortIS4_Lb0EN6thrust23THRUST_200600_302600_NS6detail15normal_iteratorINSA_10device_ptrItEEEESF_PS6_SG_NS0_19identity_decomposerEEE10hipError_tT1_T2_T3_T4_jRjT5_jjP12ihipStream_tbEUlT_E_NS1_11comp_targetILNS1_3genE3ELNS1_11target_archE908ELNS1_3gpuE7ELNS1_3repE0EEENS1_44radix_sort_block_sort_config_static_selectorELNS0_4arch9wavefront6targetE1EEEvSJ_
	.p2align	8
	.type	_ZN7rocprim17ROCPRIM_400000_NS6detail17trampoline_kernelINS0_13kernel_configILj256ELj4ELj4294967295EEENS1_37radix_sort_block_sort_config_selectorItNS0_10empty_typeEEEZNS1_21radix_sort_block_sortIS4_Lb0EN6thrust23THRUST_200600_302600_NS6detail15normal_iteratorINSA_10device_ptrItEEEESF_PS6_SG_NS0_19identity_decomposerEEE10hipError_tT1_T2_T3_T4_jRjT5_jjP12ihipStream_tbEUlT_E_NS1_11comp_targetILNS1_3genE3ELNS1_11target_archE908ELNS1_3gpuE7ELNS1_3repE0EEENS1_44radix_sort_block_sort_config_static_selectorELNS0_4arch9wavefront6targetE1EEEvSJ_,@function
_ZN7rocprim17ROCPRIM_400000_NS6detail17trampoline_kernelINS0_13kernel_configILj256ELj4ELj4294967295EEENS1_37radix_sort_block_sort_config_selectorItNS0_10empty_typeEEEZNS1_21radix_sort_block_sortIS4_Lb0EN6thrust23THRUST_200600_302600_NS6detail15normal_iteratorINSA_10device_ptrItEEEESF_PS6_SG_NS0_19identity_decomposerEEE10hipError_tT1_T2_T3_T4_jRjT5_jjP12ihipStream_tbEUlT_E_NS1_11comp_targetILNS1_3genE3ELNS1_11target_archE908ELNS1_3gpuE7ELNS1_3repE0EEENS1_44radix_sort_block_sort_config_static_selectorELNS0_4arch9wavefront6targetE1EEEvSJ_: ; @_ZN7rocprim17ROCPRIM_400000_NS6detail17trampoline_kernelINS0_13kernel_configILj256ELj4ELj4294967295EEENS1_37radix_sort_block_sort_config_selectorItNS0_10empty_typeEEEZNS1_21radix_sort_block_sortIS4_Lb0EN6thrust23THRUST_200600_302600_NS6detail15normal_iteratorINSA_10device_ptrItEEEESF_PS6_SG_NS0_19identity_decomposerEEE10hipError_tT1_T2_T3_T4_jRjT5_jjP12ihipStream_tbEUlT_E_NS1_11comp_targetILNS1_3genE3ELNS1_11target_archE908ELNS1_3gpuE7ELNS1_3repE0EEENS1_44radix_sort_block_sort_config_static_selectorELNS0_4arch9wavefront6targetE1EEEvSJ_
; %bb.0:
	.section	.rodata,"a",@progbits
	.p2align	6, 0x0
	.amdhsa_kernel _ZN7rocprim17ROCPRIM_400000_NS6detail17trampoline_kernelINS0_13kernel_configILj256ELj4ELj4294967295EEENS1_37radix_sort_block_sort_config_selectorItNS0_10empty_typeEEEZNS1_21radix_sort_block_sortIS4_Lb0EN6thrust23THRUST_200600_302600_NS6detail15normal_iteratorINSA_10device_ptrItEEEESF_PS6_SG_NS0_19identity_decomposerEEE10hipError_tT1_T2_T3_T4_jRjT5_jjP12ihipStream_tbEUlT_E_NS1_11comp_targetILNS1_3genE3ELNS1_11target_archE908ELNS1_3gpuE7ELNS1_3repE0EEENS1_44radix_sort_block_sort_config_static_selectorELNS0_4arch9wavefront6targetE1EEEvSJ_
		.amdhsa_group_segment_fixed_size 0
		.amdhsa_private_segment_fixed_size 0
		.amdhsa_kernarg_size 48
		.amdhsa_user_sgpr_count 6
		.amdhsa_user_sgpr_private_segment_buffer 1
		.amdhsa_user_sgpr_dispatch_ptr 0
		.amdhsa_user_sgpr_queue_ptr 0
		.amdhsa_user_sgpr_kernarg_segment_ptr 1
		.amdhsa_user_sgpr_dispatch_id 0
		.amdhsa_user_sgpr_flat_scratch_init 0
		.amdhsa_user_sgpr_kernarg_preload_length 0
		.amdhsa_user_sgpr_kernarg_preload_offset 0
		.amdhsa_user_sgpr_private_segment_size 0
		.amdhsa_uses_dynamic_stack 0
		.amdhsa_system_sgpr_private_segment_wavefront_offset 0
		.amdhsa_system_sgpr_workgroup_id_x 1
		.amdhsa_system_sgpr_workgroup_id_y 0
		.amdhsa_system_sgpr_workgroup_id_z 0
		.amdhsa_system_sgpr_workgroup_info 0
		.amdhsa_system_vgpr_workitem_id 0
		.amdhsa_next_free_vgpr 1
		.amdhsa_next_free_sgpr 0
		.amdhsa_accum_offset 4
		.amdhsa_reserve_vcc 0
		.amdhsa_reserve_flat_scratch 0
		.amdhsa_float_round_mode_32 0
		.amdhsa_float_round_mode_16_64 0
		.amdhsa_float_denorm_mode_32 3
		.amdhsa_float_denorm_mode_16_64 3
		.amdhsa_dx10_clamp 1
		.amdhsa_ieee_mode 1
		.amdhsa_fp16_overflow 0
		.amdhsa_tg_split 0
		.amdhsa_exception_fp_ieee_invalid_op 0
		.amdhsa_exception_fp_denorm_src 0
		.amdhsa_exception_fp_ieee_div_zero 0
		.amdhsa_exception_fp_ieee_overflow 0
		.amdhsa_exception_fp_ieee_underflow 0
		.amdhsa_exception_fp_ieee_inexact 0
		.amdhsa_exception_int_div_zero 0
	.end_amdhsa_kernel
	.section	.text._ZN7rocprim17ROCPRIM_400000_NS6detail17trampoline_kernelINS0_13kernel_configILj256ELj4ELj4294967295EEENS1_37radix_sort_block_sort_config_selectorItNS0_10empty_typeEEEZNS1_21radix_sort_block_sortIS4_Lb0EN6thrust23THRUST_200600_302600_NS6detail15normal_iteratorINSA_10device_ptrItEEEESF_PS6_SG_NS0_19identity_decomposerEEE10hipError_tT1_T2_T3_T4_jRjT5_jjP12ihipStream_tbEUlT_E_NS1_11comp_targetILNS1_3genE3ELNS1_11target_archE908ELNS1_3gpuE7ELNS1_3repE0EEENS1_44radix_sort_block_sort_config_static_selectorELNS0_4arch9wavefront6targetE1EEEvSJ_,"axG",@progbits,_ZN7rocprim17ROCPRIM_400000_NS6detail17trampoline_kernelINS0_13kernel_configILj256ELj4ELj4294967295EEENS1_37radix_sort_block_sort_config_selectorItNS0_10empty_typeEEEZNS1_21radix_sort_block_sortIS4_Lb0EN6thrust23THRUST_200600_302600_NS6detail15normal_iteratorINSA_10device_ptrItEEEESF_PS6_SG_NS0_19identity_decomposerEEE10hipError_tT1_T2_T3_T4_jRjT5_jjP12ihipStream_tbEUlT_E_NS1_11comp_targetILNS1_3genE3ELNS1_11target_archE908ELNS1_3gpuE7ELNS1_3repE0EEENS1_44radix_sort_block_sort_config_static_selectorELNS0_4arch9wavefront6targetE1EEEvSJ_,comdat
.Lfunc_end1191:
	.size	_ZN7rocprim17ROCPRIM_400000_NS6detail17trampoline_kernelINS0_13kernel_configILj256ELj4ELj4294967295EEENS1_37radix_sort_block_sort_config_selectorItNS0_10empty_typeEEEZNS1_21radix_sort_block_sortIS4_Lb0EN6thrust23THRUST_200600_302600_NS6detail15normal_iteratorINSA_10device_ptrItEEEESF_PS6_SG_NS0_19identity_decomposerEEE10hipError_tT1_T2_T3_T4_jRjT5_jjP12ihipStream_tbEUlT_E_NS1_11comp_targetILNS1_3genE3ELNS1_11target_archE908ELNS1_3gpuE7ELNS1_3repE0EEENS1_44radix_sort_block_sort_config_static_selectorELNS0_4arch9wavefront6targetE1EEEvSJ_, .Lfunc_end1191-_ZN7rocprim17ROCPRIM_400000_NS6detail17trampoline_kernelINS0_13kernel_configILj256ELj4ELj4294967295EEENS1_37radix_sort_block_sort_config_selectorItNS0_10empty_typeEEEZNS1_21radix_sort_block_sortIS4_Lb0EN6thrust23THRUST_200600_302600_NS6detail15normal_iteratorINSA_10device_ptrItEEEESF_PS6_SG_NS0_19identity_decomposerEEE10hipError_tT1_T2_T3_T4_jRjT5_jjP12ihipStream_tbEUlT_E_NS1_11comp_targetILNS1_3genE3ELNS1_11target_archE908ELNS1_3gpuE7ELNS1_3repE0EEENS1_44radix_sort_block_sort_config_static_selectorELNS0_4arch9wavefront6targetE1EEEvSJ_
                                        ; -- End function
	.section	.AMDGPU.csdata,"",@progbits
; Kernel info:
; codeLenInByte = 0
; NumSgprs: 4
; NumVgprs: 0
; NumAgprs: 0
; TotalNumVgprs: 0
; ScratchSize: 0
; MemoryBound: 0
; FloatMode: 240
; IeeeMode: 1
; LDSByteSize: 0 bytes/workgroup (compile time only)
; SGPRBlocks: 0
; VGPRBlocks: 0
; NumSGPRsForWavesPerEU: 4
; NumVGPRsForWavesPerEU: 1
; AccumOffset: 4
; Occupancy: 8
; WaveLimiterHint : 0
; COMPUTE_PGM_RSRC2:SCRATCH_EN: 0
; COMPUTE_PGM_RSRC2:USER_SGPR: 6
; COMPUTE_PGM_RSRC2:TRAP_HANDLER: 0
; COMPUTE_PGM_RSRC2:TGID_X_EN: 1
; COMPUTE_PGM_RSRC2:TGID_Y_EN: 0
; COMPUTE_PGM_RSRC2:TGID_Z_EN: 0
; COMPUTE_PGM_RSRC2:TIDIG_COMP_CNT: 0
; COMPUTE_PGM_RSRC3_GFX90A:ACCUM_OFFSET: 0
; COMPUTE_PGM_RSRC3_GFX90A:TG_SPLIT: 0
	.section	.text._ZN7rocprim17ROCPRIM_400000_NS6detail17trampoline_kernelINS0_13kernel_configILj256ELj4ELj4294967295EEENS1_37radix_sort_block_sort_config_selectorItNS0_10empty_typeEEEZNS1_21radix_sort_block_sortIS4_Lb0EN6thrust23THRUST_200600_302600_NS6detail15normal_iteratorINSA_10device_ptrItEEEESF_PS6_SG_NS0_19identity_decomposerEEE10hipError_tT1_T2_T3_T4_jRjT5_jjP12ihipStream_tbEUlT_E_NS1_11comp_targetILNS1_3genE2ELNS1_11target_archE906ELNS1_3gpuE6ELNS1_3repE0EEENS1_44radix_sort_block_sort_config_static_selectorELNS0_4arch9wavefront6targetE1EEEvSJ_,"axG",@progbits,_ZN7rocprim17ROCPRIM_400000_NS6detail17trampoline_kernelINS0_13kernel_configILj256ELj4ELj4294967295EEENS1_37radix_sort_block_sort_config_selectorItNS0_10empty_typeEEEZNS1_21radix_sort_block_sortIS4_Lb0EN6thrust23THRUST_200600_302600_NS6detail15normal_iteratorINSA_10device_ptrItEEEESF_PS6_SG_NS0_19identity_decomposerEEE10hipError_tT1_T2_T3_T4_jRjT5_jjP12ihipStream_tbEUlT_E_NS1_11comp_targetILNS1_3genE2ELNS1_11target_archE906ELNS1_3gpuE6ELNS1_3repE0EEENS1_44radix_sort_block_sort_config_static_selectorELNS0_4arch9wavefront6targetE1EEEvSJ_,comdat
	.protected	_ZN7rocprim17ROCPRIM_400000_NS6detail17trampoline_kernelINS0_13kernel_configILj256ELj4ELj4294967295EEENS1_37radix_sort_block_sort_config_selectorItNS0_10empty_typeEEEZNS1_21radix_sort_block_sortIS4_Lb0EN6thrust23THRUST_200600_302600_NS6detail15normal_iteratorINSA_10device_ptrItEEEESF_PS6_SG_NS0_19identity_decomposerEEE10hipError_tT1_T2_T3_T4_jRjT5_jjP12ihipStream_tbEUlT_E_NS1_11comp_targetILNS1_3genE2ELNS1_11target_archE906ELNS1_3gpuE6ELNS1_3repE0EEENS1_44radix_sort_block_sort_config_static_selectorELNS0_4arch9wavefront6targetE1EEEvSJ_ ; -- Begin function _ZN7rocprim17ROCPRIM_400000_NS6detail17trampoline_kernelINS0_13kernel_configILj256ELj4ELj4294967295EEENS1_37radix_sort_block_sort_config_selectorItNS0_10empty_typeEEEZNS1_21radix_sort_block_sortIS4_Lb0EN6thrust23THRUST_200600_302600_NS6detail15normal_iteratorINSA_10device_ptrItEEEESF_PS6_SG_NS0_19identity_decomposerEEE10hipError_tT1_T2_T3_T4_jRjT5_jjP12ihipStream_tbEUlT_E_NS1_11comp_targetILNS1_3genE2ELNS1_11target_archE906ELNS1_3gpuE6ELNS1_3repE0EEENS1_44radix_sort_block_sort_config_static_selectorELNS0_4arch9wavefront6targetE1EEEvSJ_
	.globl	_ZN7rocprim17ROCPRIM_400000_NS6detail17trampoline_kernelINS0_13kernel_configILj256ELj4ELj4294967295EEENS1_37radix_sort_block_sort_config_selectorItNS0_10empty_typeEEEZNS1_21radix_sort_block_sortIS4_Lb0EN6thrust23THRUST_200600_302600_NS6detail15normal_iteratorINSA_10device_ptrItEEEESF_PS6_SG_NS0_19identity_decomposerEEE10hipError_tT1_T2_T3_T4_jRjT5_jjP12ihipStream_tbEUlT_E_NS1_11comp_targetILNS1_3genE2ELNS1_11target_archE906ELNS1_3gpuE6ELNS1_3repE0EEENS1_44radix_sort_block_sort_config_static_selectorELNS0_4arch9wavefront6targetE1EEEvSJ_
	.p2align	8
	.type	_ZN7rocprim17ROCPRIM_400000_NS6detail17trampoline_kernelINS0_13kernel_configILj256ELj4ELj4294967295EEENS1_37radix_sort_block_sort_config_selectorItNS0_10empty_typeEEEZNS1_21radix_sort_block_sortIS4_Lb0EN6thrust23THRUST_200600_302600_NS6detail15normal_iteratorINSA_10device_ptrItEEEESF_PS6_SG_NS0_19identity_decomposerEEE10hipError_tT1_T2_T3_T4_jRjT5_jjP12ihipStream_tbEUlT_E_NS1_11comp_targetILNS1_3genE2ELNS1_11target_archE906ELNS1_3gpuE6ELNS1_3repE0EEENS1_44radix_sort_block_sort_config_static_selectorELNS0_4arch9wavefront6targetE1EEEvSJ_,@function
_ZN7rocprim17ROCPRIM_400000_NS6detail17trampoline_kernelINS0_13kernel_configILj256ELj4ELj4294967295EEENS1_37radix_sort_block_sort_config_selectorItNS0_10empty_typeEEEZNS1_21radix_sort_block_sortIS4_Lb0EN6thrust23THRUST_200600_302600_NS6detail15normal_iteratorINSA_10device_ptrItEEEESF_PS6_SG_NS0_19identity_decomposerEEE10hipError_tT1_T2_T3_T4_jRjT5_jjP12ihipStream_tbEUlT_E_NS1_11comp_targetILNS1_3genE2ELNS1_11target_archE906ELNS1_3gpuE6ELNS1_3repE0EEENS1_44radix_sort_block_sort_config_static_selectorELNS0_4arch9wavefront6targetE1EEEvSJ_: ; @_ZN7rocprim17ROCPRIM_400000_NS6detail17trampoline_kernelINS0_13kernel_configILj256ELj4ELj4294967295EEENS1_37radix_sort_block_sort_config_selectorItNS0_10empty_typeEEEZNS1_21radix_sort_block_sortIS4_Lb0EN6thrust23THRUST_200600_302600_NS6detail15normal_iteratorINSA_10device_ptrItEEEESF_PS6_SG_NS0_19identity_decomposerEEE10hipError_tT1_T2_T3_T4_jRjT5_jjP12ihipStream_tbEUlT_E_NS1_11comp_targetILNS1_3genE2ELNS1_11target_archE906ELNS1_3gpuE6ELNS1_3repE0EEENS1_44radix_sort_block_sort_config_static_selectorELNS0_4arch9wavefront6targetE1EEEvSJ_
; %bb.0:
	.section	.rodata,"a",@progbits
	.p2align	6, 0x0
	.amdhsa_kernel _ZN7rocprim17ROCPRIM_400000_NS6detail17trampoline_kernelINS0_13kernel_configILj256ELj4ELj4294967295EEENS1_37radix_sort_block_sort_config_selectorItNS0_10empty_typeEEEZNS1_21radix_sort_block_sortIS4_Lb0EN6thrust23THRUST_200600_302600_NS6detail15normal_iteratorINSA_10device_ptrItEEEESF_PS6_SG_NS0_19identity_decomposerEEE10hipError_tT1_T2_T3_T4_jRjT5_jjP12ihipStream_tbEUlT_E_NS1_11comp_targetILNS1_3genE2ELNS1_11target_archE906ELNS1_3gpuE6ELNS1_3repE0EEENS1_44radix_sort_block_sort_config_static_selectorELNS0_4arch9wavefront6targetE1EEEvSJ_
		.amdhsa_group_segment_fixed_size 0
		.amdhsa_private_segment_fixed_size 0
		.amdhsa_kernarg_size 48
		.amdhsa_user_sgpr_count 6
		.amdhsa_user_sgpr_private_segment_buffer 1
		.amdhsa_user_sgpr_dispatch_ptr 0
		.amdhsa_user_sgpr_queue_ptr 0
		.amdhsa_user_sgpr_kernarg_segment_ptr 1
		.amdhsa_user_sgpr_dispatch_id 0
		.amdhsa_user_sgpr_flat_scratch_init 0
		.amdhsa_user_sgpr_kernarg_preload_length 0
		.amdhsa_user_sgpr_kernarg_preload_offset 0
		.amdhsa_user_sgpr_private_segment_size 0
		.amdhsa_uses_dynamic_stack 0
		.amdhsa_system_sgpr_private_segment_wavefront_offset 0
		.amdhsa_system_sgpr_workgroup_id_x 1
		.amdhsa_system_sgpr_workgroup_id_y 0
		.amdhsa_system_sgpr_workgroup_id_z 0
		.amdhsa_system_sgpr_workgroup_info 0
		.amdhsa_system_vgpr_workitem_id 0
		.amdhsa_next_free_vgpr 1
		.amdhsa_next_free_sgpr 0
		.amdhsa_accum_offset 4
		.amdhsa_reserve_vcc 0
		.amdhsa_reserve_flat_scratch 0
		.amdhsa_float_round_mode_32 0
		.amdhsa_float_round_mode_16_64 0
		.amdhsa_float_denorm_mode_32 3
		.amdhsa_float_denorm_mode_16_64 3
		.amdhsa_dx10_clamp 1
		.amdhsa_ieee_mode 1
		.amdhsa_fp16_overflow 0
		.amdhsa_tg_split 0
		.amdhsa_exception_fp_ieee_invalid_op 0
		.amdhsa_exception_fp_denorm_src 0
		.amdhsa_exception_fp_ieee_div_zero 0
		.amdhsa_exception_fp_ieee_overflow 0
		.amdhsa_exception_fp_ieee_underflow 0
		.amdhsa_exception_fp_ieee_inexact 0
		.amdhsa_exception_int_div_zero 0
	.end_amdhsa_kernel
	.section	.text._ZN7rocprim17ROCPRIM_400000_NS6detail17trampoline_kernelINS0_13kernel_configILj256ELj4ELj4294967295EEENS1_37radix_sort_block_sort_config_selectorItNS0_10empty_typeEEEZNS1_21radix_sort_block_sortIS4_Lb0EN6thrust23THRUST_200600_302600_NS6detail15normal_iteratorINSA_10device_ptrItEEEESF_PS6_SG_NS0_19identity_decomposerEEE10hipError_tT1_T2_T3_T4_jRjT5_jjP12ihipStream_tbEUlT_E_NS1_11comp_targetILNS1_3genE2ELNS1_11target_archE906ELNS1_3gpuE6ELNS1_3repE0EEENS1_44radix_sort_block_sort_config_static_selectorELNS0_4arch9wavefront6targetE1EEEvSJ_,"axG",@progbits,_ZN7rocprim17ROCPRIM_400000_NS6detail17trampoline_kernelINS0_13kernel_configILj256ELj4ELj4294967295EEENS1_37radix_sort_block_sort_config_selectorItNS0_10empty_typeEEEZNS1_21radix_sort_block_sortIS4_Lb0EN6thrust23THRUST_200600_302600_NS6detail15normal_iteratorINSA_10device_ptrItEEEESF_PS6_SG_NS0_19identity_decomposerEEE10hipError_tT1_T2_T3_T4_jRjT5_jjP12ihipStream_tbEUlT_E_NS1_11comp_targetILNS1_3genE2ELNS1_11target_archE906ELNS1_3gpuE6ELNS1_3repE0EEENS1_44radix_sort_block_sort_config_static_selectorELNS0_4arch9wavefront6targetE1EEEvSJ_,comdat
.Lfunc_end1192:
	.size	_ZN7rocprim17ROCPRIM_400000_NS6detail17trampoline_kernelINS0_13kernel_configILj256ELj4ELj4294967295EEENS1_37radix_sort_block_sort_config_selectorItNS0_10empty_typeEEEZNS1_21radix_sort_block_sortIS4_Lb0EN6thrust23THRUST_200600_302600_NS6detail15normal_iteratorINSA_10device_ptrItEEEESF_PS6_SG_NS0_19identity_decomposerEEE10hipError_tT1_T2_T3_T4_jRjT5_jjP12ihipStream_tbEUlT_E_NS1_11comp_targetILNS1_3genE2ELNS1_11target_archE906ELNS1_3gpuE6ELNS1_3repE0EEENS1_44radix_sort_block_sort_config_static_selectorELNS0_4arch9wavefront6targetE1EEEvSJ_, .Lfunc_end1192-_ZN7rocprim17ROCPRIM_400000_NS6detail17trampoline_kernelINS0_13kernel_configILj256ELj4ELj4294967295EEENS1_37radix_sort_block_sort_config_selectorItNS0_10empty_typeEEEZNS1_21radix_sort_block_sortIS4_Lb0EN6thrust23THRUST_200600_302600_NS6detail15normal_iteratorINSA_10device_ptrItEEEESF_PS6_SG_NS0_19identity_decomposerEEE10hipError_tT1_T2_T3_T4_jRjT5_jjP12ihipStream_tbEUlT_E_NS1_11comp_targetILNS1_3genE2ELNS1_11target_archE906ELNS1_3gpuE6ELNS1_3repE0EEENS1_44radix_sort_block_sort_config_static_selectorELNS0_4arch9wavefront6targetE1EEEvSJ_
                                        ; -- End function
	.section	.AMDGPU.csdata,"",@progbits
; Kernel info:
; codeLenInByte = 0
; NumSgprs: 4
; NumVgprs: 0
; NumAgprs: 0
; TotalNumVgprs: 0
; ScratchSize: 0
; MemoryBound: 0
; FloatMode: 240
; IeeeMode: 1
; LDSByteSize: 0 bytes/workgroup (compile time only)
; SGPRBlocks: 0
; VGPRBlocks: 0
; NumSGPRsForWavesPerEU: 4
; NumVGPRsForWavesPerEU: 1
; AccumOffset: 4
; Occupancy: 8
; WaveLimiterHint : 0
; COMPUTE_PGM_RSRC2:SCRATCH_EN: 0
; COMPUTE_PGM_RSRC2:USER_SGPR: 6
; COMPUTE_PGM_RSRC2:TRAP_HANDLER: 0
; COMPUTE_PGM_RSRC2:TGID_X_EN: 1
; COMPUTE_PGM_RSRC2:TGID_Y_EN: 0
; COMPUTE_PGM_RSRC2:TGID_Z_EN: 0
; COMPUTE_PGM_RSRC2:TIDIG_COMP_CNT: 0
; COMPUTE_PGM_RSRC3_GFX90A:ACCUM_OFFSET: 0
; COMPUTE_PGM_RSRC3_GFX90A:TG_SPLIT: 0
	.section	.text._ZN7rocprim17ROCPRIM_400000_NS6detail17trampoline_kernelINS0_13kernel_configILj256ELj4ELj4294967295EEENS1_37radix_sort_block_sort_config_selectorItNS0_10empty_typeEEEZNS1_21radix_sort_block_sortIS4_Lb0EN6thrust23THRUST_200600_302600_NS6detail15normal_iteratorINSA_10device_ptrItEEEESF_PS6_SG_NS0_19identity_decomposerEEE10hipError_tT1_T2_T3_T4_jRjT5_jjP12ihipStream_tbEUlT_E_NS1_11comp_targetILNS1_3genE10ELNS1_11target_archE1201ELNS1_3gpuE5ELNS1_3repE0EEENS1_44radix_sort_block_sort_config_static_selectorELNS0_4arch9wavefront6targetE1EEEvSJ_,"axG",@progbits,_ZN7rocprim17ROCPRIM_400000_NS6detail17trampoline_kernelINS0_13kernel_configILj256ELj4ELj4294967295EEENS1_37radix_sort_block_sort_config_selectorItNS0_10empty_typeEEEZNS1_21radix_sort_block_sortIS4_Lb0EN6thrust23THRUST_200600_302600_NS6detail15normal_iteratorINSA_10device_ptrItEEEESF_PS6_SG_NS0_19identity_decomposerEEE10hipError_tT1_T2_T3_T4_jRjT5_jjP12ihipStream_tbEUlT_E_NS1_11comp_targetILNS1_3genE10ELNS1_11target_archE1201ELNS1_3gpuE5ELNS1_3repE0EEENS1_44radix_sort_block_sort_config_static_selectorELNS0_4arch9wavefront6targetE1EEEvSJ_,comdat
	.protected	_ZN7rocprim17ROCPRIM_400000_NS6detail17trampoline_kernelINS0_13kernel_configILj256ELj4ELj4294967295EEENS1_37radix_sort_block_sort_config_selectorItNS0_10empty_typeEEEZNS1_21radix_sort_block_sortIS4_Lb0EN6thrust23THRUST_200600_302600_NS6detail15normal_iteratorINSA_10device_ptrItEEEESF_PS6_SG_NS0_19identity_decomposerEEE10hipError_tT1_T2_T3_T4_jRjT5_jjP12ihipStream_tbEUlT_E_NS1_11comp_targetILNS1_3genE10ELNS1_11target_archE1201ELNS1_3gpuE5ELNS1_3repE0EEENS1_44radix_sort_block_sort_config_static_selectorELNS0_4arch9wavefront6targetE1EEEvSJ_ ; -- Begin function _ZN7rocprim17ROCPRIM_400000_NS6detail17trampoline_kernelINS0_13kernel_configILj256ELj4ELj4294967295EEENS1_37radix_sort_block_sort_config_selectorItNS0_10empty_typeEEEZNS1_21radix_sort_block_sortIS4_Lb0EN6thrust23THRUST_200600_302600_NS6detail15normal_iteratorINSA_10device_ptrItEEEESF_PS6_SG_NS0_19identity_decomposerEEE10hipError_tT1_T2_T3_T4_jRjT5_jjP12ihipStream_tbEUlT_E_NS1_11comp_targetILNS1_3genE10ELNS1_11target_archE1201ELNS1_3gpuE5ELNS1_3repE0EEENS1_44radix_sort_block_sort_config_static_selectorELNS0_4arch9wavefront6targetE1EEEvSJ_
	.globl	_ZN7rocprim17ROCPRIM_400000_NS6detail17trampoline_kernelINS0_13kernel_configILj256ELj4ELj4294967295EEENS1_37radix_sort_block_sort_config_selectorItNS0_10empty_typeEEEZNS1_21radix_sort_block_sortIS4_Lb0EN6thrust23THRUST_200600_302600_NS6detail15normal_iteratorINSA_10device_ptrItEEEESF_PS6_SG_NS0_19identity_decomposerEEE10hipError_tT1_T2_T3_T4_jRjT5_jjP12ihipStream_tbEUlT_E_NS1_11comp_targetILNS1_3genE10ELNS1_11target_archE1201ELNS1_3gpuE5ELNS1_3repE0EEENS1_44radix_sort_block_sort_config_static_selectorELNS0_4arch9wavefront6targetE1EEEvSJ_
	.p2align	8
	.type	_ZN7rocprim17ROCPRIM_400000_NS6detail17trampoline_kernelINS0_13kernel_configILj256ELj4ELj4294967295EEENS1_37radix_sort_block_sort_config_selectorItNS0_10empty_typeEEEZNS1_21radix_sort_block_sortIS4_Lb0EN6thrust23THRUST_200600_302600_NS6detail15normal_iteratorINSA_10device_ptrItEEEESF_PS6_SG_NS0_19identity_decomposerEEE10hipError_tT1_T2_T3_T4_jRjT5_jjP12ihipStream_tbEUlT_E_NS1_11comp_targetILNS1_3genE10ELNS1_11target_archE1201ELNS1_3gpuE5ELNS1_3repE0EEENS1_44radix_sort_block_sort_config_static_selectorELNS0_4arch9wavefront6targetE1EEEvSJ_,@function
_ZN7rocprim17ROCPRIM_400000_NS6detail17trampoline_kernelINS0_13kernel_configILj256ELj4ELj4294967295EEENS1_37radix_sort_block_sort_config_selectorItNS0_10empty_typeEEEZNS1_21radix_sort_block_sortIS4_Lb0EN6thrust23THRUST_200600_302600_NS6detail15normal_iteratorINSA_10device_ptrItEEEESF_PS6_SG_NS0_19identity_decomposerEEE10hipError_tT1_T2_T3_T4_jRjT5_jjP12ihipStream_tbEUlT_E_NS1_11comp_targetILNS1_3genE10ELNS1_11target_archE1201ELNS1_3gpuE5ELNS1_3repE0EEENS1_44radix_sort_block_sort_config_static_selectorELNS0_4arch9wavefront6targetE1EEEvSJ_: ; @_ZN7rocprim17ROCPRIM_400000_NS6detail17trampoline_kernelINS0_13kernel_configILj256ELj4ELj4294967295EEENS1_37radix_sort_block_sort_config_selectorItNS0_10empty_typeEEEZNS1_21radix_sort_block_sortIS4_Lb0EN6thrust23THRUST_200600_302600_NS6detail15normal_iteratorINSA_10device_ptrItEEEESF_PS6_SG_NS0_19identity_decomposerEEE10hipError_tT1_T2_T3_T4_jRjT5_jjP12ihipStream_tbEUlT_E_NS1_11comp_targetILNS1_3genE10ELNS1_11target_archE1201ELNS1_3gpuE5ELNS1_3repE0EEENS1_44radix_sort_block_sort_config_static_selectorELNS0_4arch9wavefront6targetE1EEEvSJ_
; %bb.0:
	.section	.rodata,"a",@progbits
	.p2align	6, 0x0
	.amdhsa_kernel _ZN7rocprim17ROCPRIM_400000_NS6detail17trampoline_kernelINS0_13kernel_configILj256ELj4ELj4294967295EEENS1_37radix_sort_block_sort_config_selectorItNS0_10empty_typeEEEZNS1_21radix_sort_block_sortIS4_Lb0EN6thrust23THRUST_200600_302600_NS6detail15normal_iteratorINSA_10device_ptrItEEEESF_PS6_SG_NS0_19identity_decomposerEEE10hipError_tT1_T2_T3_T4_jRjT5_jjP12ihipStream_tbEUlT_E_NS1_11comp_targetILNS1_3genE10ELNS1_11target_archE1201ELNS1_3gpuE5ELNS1_3repE0EEENS1_44radix_sort_block_sort_config_static_selectorELNS0_4arch9wavefront6targetE1EEEvSJ_
		.amdhsa_group_segment_fixed_size 0
		.amdhsa_private_segment_fixed_size 0
		.amdhsa_kernarg_size 48
		.amdhsa_user_sgpr_count 6
		.amdhsa_user_sgpr_private_segment_buffer 1
		.amdhsa_user_sgpr_dispatch_ptr 0
		.amdhsa_user_sgpr_queue_ptr 0
		.amdhsa_user_sgpr_kernarg_segment_ptr 1
		.amdhsa_user_sgpr_dispatch_id 0
		.amdhsa_user_sgpr_flat_scratch_init 0
		.amdhsa_user_sgpr_kernarg_preload_length 0
		.amdhsa_user_sgpr_kernarg_preload_offset 0
		.amdhsa_user_sgpr_private_segment_size 0
		.amdhsa_uses_dynamic_stack 0
		.amdhsa_system_sgpr_private_segment_wavefront_offset 0
		.amdhsa_system_sgpr_workgroup_id_x 1
		.amdhsa_system_sgpr_workgroup_id_y 0
		.amdhsa_system_sgpr_workgroup_id_z 0
		.amdhsa_system_sgpr_workgroup_info 0
		.amdhsa_system_vgpr_workitem_id 0
		.amdhsa_next_free_vgpr 1
		.amdhsa_next_free_sgpr 0
		.amdhsa_accum_offset 4
		.amdhsa_reserve_vcc 0
		.amdhsa_reserve_flat_scratch 0
		.amdhsa_float_round_mode_32 0
		.amdhsa_float_round_mode_16_64 0
		.amdhsa_float_denorm_mode_32 3
		.amdhsa_float_denorm_mode_16_64 3
		.amdhsa_dx10_clamp 1
		.amdhsa_ieee_mode 1
		.amdhsa_fp16_overflow 0
		.amdhsa_tg_split 0
		.amdhsa_exception_fp_ieee_invalid_op 0
		.amdhsa_exception_fp_denorm_src 0
		.amdhsa_exception_fp_ieee_div_zero 0
		.amdhsa_exception_fp_ieee_overflow 0
		.amdhsa_exception_fp_ieee_underflow 0
		.amdhsa_exception_fp_ieee_inexact 0
		.amdhsa_exception_int_div_zero 0
	.end_amdhsa_kernel
	.section	.text._ZN7rocprim17ROCPRIM_400000_NS6detail17trampoline_kernelINS0_13kernel_configILj256ELj4ELj4294967295EEENS1_37radix_sort_block_sort_config_selectorItNS0_10empty_typeEEEZNS1_21radix_sort_block_sortIS4_Lb0EN6thrust23THRUST_200600_302600_NS6detail15normal_iteratorINSA_10device_ptrItEEEESF_PS6_SG_NS0_19identity_decomposerEEE10hipError_tT1_T2_T3_T4_jRjT5_jjP12ihipStream_tbEUlT_E_NS1_11comp_targetILNS1_3genE10ELNS1_11target_archE1201ELNS1_3gpuE5ELNS1_3repE0EEENS1_44radix_sort_block_sort_config_static_selectorELNS0_4arch9wavefront6targetE1EEEvSJ_,"axG",@progbits,_ZN7rocprim17ROCPRIM_400000_NS6detail17trampoline_kernelINS0_13kernel_configILj256ELj4ELj4294967295EEENS1_37radix_sort_block_sort_config_selectorItNS0_10empty_typeEEEZNS1_21radix_sort_block_sortIS4_Lb0EN6thrust23THRUST_200600_302600_NS6detail15normal_iteratorINSA_10device_ptrItEEEESF_PS6_SG_NS0_19identity_decomposerEEE10hipError_tT1_T2_T3_T4_jRjT5_jjP12ihipStream_tbEUlT_E_NS1_11comp_targetILNS1_3genE10ELNS1_11target_archE1201ELNS1_3gpuE5ELNS1_3repE0EEENS1_44radix_sort_block_sort_config_static_selectorELNS0_4arch9wavefront6targetE1EEEvSJ_,comdat
.Lfunc_end1193:
	.size	_ZN7rocprim17ROCPRIM_400000_NS6detail17trampoline_kernelINS0_13kernel_configILj256ELj4ELj4294967295EEENS1_37radix_sort_block_sort_config_selectorItNS0_10empty_typeEEEZNS1_21radix_sort_block_sortIS4_Lb0EN6thrust23THRUST_200600_302600_NS6detail15normal_iteratorINSA_10device_ptrItEEEESF_PS6_SG_NS0_19identity_decomposerEEE10hipError_tT1_T2_T3_T4_jRjT5_jjP12ihipStream_tbEUlT_E_NS1_11comp_targetILNS1_3genE10ELNS1_11target_archE1201ELNS1_3gpuE5ELNS1_3repE0EEENS1_44radix_sort_block_sort_config_static_selectorELNS0_4arch9wavefront6targetE1EEEvSJ_, .Lfunc_end1193-_ZN7rocprim17ROCPRIM_400000_NS6detail17trampoline_kernelINS0_13kernel_configILj256ELj4ELj4294967295EEENS1_37radix_sort_block_sort_config_selectorItNS0_10empty_typeEEEZNS1_21radix_sort_block_sortIS4_Lb0EN6thrust23THRUST_200600_302600_NS6detail15normal_iteratorINSA_10device_ptrItEEEESF_PS6_SG_NS0_19identity_decomposerEEE10hipError_tT1_T2_T3_T4_jRjT5_jjP12ihipStream_tbEUlT_E_NS1_11comp_targetILNS1_3genE10ELNS1_11target_archE1201ELNS1_3gpuE5ELNS1_3repE0EEENS1_44radix_sort_block_sort_config_static_selectorELNS0_4arch9wavefront6targetE1EEEvSJ_
                                        ; -- End function
	.section	.AMDGPU.csdata,"",@progbits
; Kernel info:
; codeLenInByte = 0
; NumSgprs: 4
; NumVgprs: 0
; NumAgprs: 0
; TotalNumVgprs: 0
; ScratchSize: 0
; MemoryBound: 0
; FloatMode: 240
; IeeeMode: 1
; LDSByteSize: 0 bytes/workgroup (compile time only)
; SGPRBlocks: 0
; VGPRBlocks: 0
; NumSGPRsForWavesPerEU: 4
; NumVGPRsForWavesPerEU: 1
; AccumOffset: 4
; Occupancy: 8
; WaveLimiterHint : 0
; COMPUTE_PGM_RSRC2:SCRATCH_EN: 0
; COMPUTE_PGM_RSRC2:USER_SGPR: 6
; COMPUTE_PGM_RSRC2:TRAP_HANDLER: 0
; COMPUTE_PGM_RSRC2:TGID_X_EN: 1
; COMPUTE_PGM_RSRC2:TGID_Y_EN: 0
; COMPUTE_PGM_RSRC2:TGID_Z_EN: 0
; COMPUTE_PGM_RSRC2:TIDIG_COMP_CNT: 0
; COMPUTE_PGM_RSRC3_GFX90A:ACCUM_OFFSET: 0
; COMPUTE_PGM_RSRC3_GFX90A:TG_SPLIT: 0
	.section	.text._ZN7rocprim17ROCPRIM_400000_NS6detail17trampoline_kernelINS0_13kernel_configILj256ELj4ELj4294967295EEENS1_37radix_sort_block_sort_config_selectorItNS0_10empty_typeEEEZNS1_21radix_sort_block_sortIS4_Lb0EN6thrust23THRUST_200600_302600_NS6detail15normal_iteratorINSA_10device_ptrItEEEESF_PS6_SG_NS0_19identity_decomposerEEE10hipError_tT1_T2_T3_T4_jRjT5_jjP12ihipStream_tbEUlT_E_NS1_11comp_targetILNS1_3genE10ELNS1_11target_archE1200ELNS1_3gpuE4ELNS1_3repE0EEENS1_44radix_sort_block_sort_config_static_selectorELNS0_4arch9wavefront6targetE1EEEvSJ_,"axG",@progbits,_ZN7rocprim17ROCPRIM_400000_NS6detail17trampoline_kernelINS0_13kernel_configILj256ELj4ELj4294967295EEENS1_37radix_sort_block_sort_config_selectorItNS0_10empty_typeEEEZNS1_21radix_sort_block_sortIS4_Lb0EN6thrust23THRUST_200600_302600_NS6detail15normal_iteratorINSA_10device_ptrItEEEESF_PS6_SG_NS0_19identity_decomposerEEE10hipError_tT1_T2_T3_T4_jRjT5_jjP12ihipStream_tbEUlT_E_NS1_11comp_targetILNS1_3genE10ELNS1_11target_archE1200ELNS1_3gpuE4ELNS1_3repE0EEENS1_44radix_sort_block_sort_config_static_selectorELNS0_4arch9wavefront6targetE1EEEvSJ_,comdat
	.protected	_ZN7rocprim17ROCPRIM_400000_NS6detail17trampoline_kernelINS0_13kernel_configILj256ELj4ELj4294967295EEENS1_37radix_sort_block_sort_config_selectorItNS0_10empty_typeEEEZNS1_21radix_sort_block_sortIS4_Lb0EN6thrust23THRUST_200600_302600_NS6detail15normal_iteratorINSA_10device_ptrItEEEESF_PS6_SG_NS0_19identity_decomposerEEE10hipError_tT1_T2_T3_T4_jRjT5_jjP12ihipStream_tbEUlT_E_NS1_11comp_targetILNS1_3genE10ELNS1_11target_archE1200ELNS1_3gpuE4ELNS1_3repE0EEENS1_44radix_sort_block_sort_config_static_selectorELNS0_4arch9wavefront6targetE1EEEvSJ_ ; -- Begin function _ZN7rocprim17ROCPRIM_400000_NS6detail17trampoline_kernelINS0_13kernel_configILj256ELj4ELj4294967295EEENS1_37radix_sort_block_sort_config_selectorItNS0_10empty_typeEEEZNS1_21radix_sort_block_sortIS4_Lb0EN6thrust23THRUST_200600_302600_NS6detail15normal_iteratorINSA_10device_ptrItEEEESF_PS6_SG_NS0_19identity_decomposerEEE10hipError_tT1_T2_T3_T4_jRjT5_jjP12ihipStream_tbEUlT_E_NS1_11comp_targetILNS1_3genE10ELNS1_11target_archE1200ELNS1_3gpuE4ELNS1_3repE0EEENS1_44radix_sort_block_sort_config_static_selectorELNS0_4arch9wavefront6targetE1EEEvSJ_
	.globl	_ZN7rocprim17ROCPRIM_400000_NS6detail17trampoline_kernelINS0_13kernel_configILj256ELj4ELj4294967295EEENS1_37radix_sort_block_sort_config_selectorItNS0_10empty_typeEEEZNS1_21radix_sort_block_sortIS4_Lb0EN6thrust23THRUST_200600_302600_NS6detail15normal_iteratorINSA_10device_ptrItEEEESF_PS6_SG_NS0_19identity_decomposerEEE10hipError_tT1_T2_T3_T4_jRjT5_jjP12ihipStream_tbEUlT_E_NS1_11comp_targetILNS1_3genE10ELNS1_11target_archE1200ELNS1_3gpuE4ELNS1_3repE0EEENS1_44radix_sort_block_sort_config_static_selectorELNS0_4arch9wavefront6targetE1EEEvSJ_
	.p2align	8
	.type	_ZN7rocprim17ROCPRIM_400000_NS6detail17trampoline_kernelINS0_13kernel_configILj256ELj4ELj4294967295EEENS1_37radix_sort_block_sort_config_selectorItNS0_10empty_typeEEEZNS1_21radix_sort_block_sortIS4_Lb0EN6thrust23THRUST_200600_302600_NS6detail15normal_iteratorINSA_10device_ptrItEEEESF_PS6_SG_NS0_19identity_decomposerEEE10hipError_tT1_T2_T3_T4_jRjT5_jjP12ihipStream_tbEUlT_E_NS1_11comp_targetILNS1_3genE10ELNS1_11target_archE1200ELNS1_3gpuE4ELNS1_3repE0EEENS1_44radix_sort_block_sort_config_static_selectorELNS0_4arch9wavefront6targetE1EEEvSJ_,@function
_ZN7rocprim17ROCPRIM_400000_NS6detail17trampoline_kernelINS0_13kernel_configILj256ELj4ELj4294967295EEENS1_37radix_sort_block_sort_config_selectorItNS0_10empty_typeEEEZNS1_21radix_sort_block_sortIS4_Lb0EN6thrust23THRUST_200600_302600_NS6detail15normal_iteratorINSA_10device_ptrItEEEESF_PS6_SG_NS0_19identity_decomposerEEE10hipError_tT1_T2_T3_T4_jRjT5_jjP12ihipStream_tbEUlT_E_NS1_11comp_targetILNS1_3genE10ELNS1_11target_archE1200ELNS1_3gpuE4ELNS1_3repE0EEENS1_44radix_sort_block_sort_config_static_selectorELNS0_4arch9wavefront6targetE1EEEvSJ_: ; @_ZN7rocprim17ROCPRIM_400000_NS6detail17trampoline_kernelINS0_13kernel_configILj256ELj4ELj4294967295EEENS1_37radix_sort_block_sort_config_selectorItNS0_10empty_typeEEEZNS1_21radix_sort_block_sortIS4_Lb0EN6thrust23THRUST_200600_302600_NS6detail15normal_iteratorINSA_10device_ptrItEEEESF_PS6_SG_NS0_19identity_decomposerEEE10hipError_tT1_T2_T3_T4_jRjT5_jjP12ihipStream_tbEUlT_E_NS1_11comp_targetILNS1_3genE10ELNS1_11target_archE1200ELNS1_3gpuE4ELNS1_3repE0EEENS1_44radix_sort_block_sort_config_static_selectorELNS0_4arch9wavefront6targetE1EEEvSJ_
; %bb.0:
	.section	.rodata,"a",@progbits
	.p2align	6, 0x0
	.amdhsa_kernel _ZN7rocprim17ROCPRIM_400000_NS6detail17trampoline_kernelINS0_13kernel_configILj256ELj4ELj4294967295EEENS1_37radix_sort_block_sort_config_selectorItNS0_10empty_typeEEEZNS1_21radix_sort_block_sortIS4_Lb0EN6thrust23THRUST_200600_302600_NS6detail15normal_iteratorINSA_10device_ptrItEEEESF_PS6_SG_NS0_19identity_decomposerEEE10hipError_tT1_T2_T3_T4_jRjT5_jjP12ihipStream_tbEUlT_E_NS1_11comp_targetILNS1_3genE10ELNS1_11target_archE1200ELNS1_3gpuE4ELNS1_3repE0EEENS1_44radix_sort_block_sort_config_static_selectorELNS0_4arch9wavefront6targetE1EEEvSJ_
		.amdhsa_group_segment_fixed_size 0
		.amdhsa_private_segment_fixed_size 0
		.amdhsa_kernarg_size 48
		.amdhsa_user_sgpr_count 6
		.amdhsa_user_sgpr_private_segment_buffer 1
		.amdhsa_user_sgpr_dispatch_ptr 0
		.amdhsa_user_sgpr_queue_ptr 0
		.amdhsa_user_sgpr_kernarg_segment_ptr 1
		.amdhsa_user_sgpr_dispatch_id 0
		.amdhsa_user_sgpr_flat_scratch_init 0
		.amdhsa_user_sgpr_kernarg_preload_length 0
		.amdhsa_user_sgpr_kernarg_preload_offset 0
		.amdhsa_user_sgpr_private_segment_size 0
		.amdhsa_uses_dynamic_stack 0
		.amdhsa_system_sgpr_private_segment_wavefront_offset 0
		.amdhsa_system_sgpr_workgroup_id_x 1
		.amdhsa_system_sgpr_workgroup_id_y 0
		.amdhsa_system_sgpr_workgroup_id_z 0
		.amdhsa_system_sgpr_workgroup_info 0
		.amdhsa_system_vgpr_workitem_id 0
		.amdhsa_next_free_vgpr 1
		.amdhsa_next_free_sgpr 0
		.amdhsa_accum_offset 4
		.amdhsa_reserve_vcc 0
		.amdhsa_reserve_flat_scratch 0
		.amdhsa_float_round_mode_32 0
		.amdhsa_float_round_mode_16_64 0
		.amdhsa_float_denorm_mode_32 3
		.amdhsa_float_denorm_mode_16_64 3
		.amdhsa_dx10_clamp 1
		.amdhsa_ieee_mode 1
		.amdhsa_fp16_overflow 0
		.amdhsa_tg_split 0
		.amdhsa_exception_fp_ieee_invalid_op 0
		.amdhsa_exception_fp_denorm_src 0
		.amdhsa_exception_fp_ieee_div_zero 0
		.amdhsa_exception_fp_ieee_overflow 0
		.amdhsa_exception_fp_ieee_underflow 0
		.amdhsa_exception_fp_ieee_inexact 0
		.amdhsa_exception_int_div_zero 0
	.end_amdhsa_kernel
	.section	.text._ZN7rocprim17ROCPRIM_400000_NS6detail17trampoline_kernelINS0_13kernel_configILj256ELj4ELj4294967295EEENS1_37radix_sort_block_sort_config_selectorItNS0_10empty_typeEEEZNS1_21radix_sort_block_sortIS4_Lb0EN6thrust23THRUST_200600_302600_NS6detail15normal_iteratorINSA_10device_ptrItEEEESF_PS6_SG_NS0_19identity_decomposerEEE10hipError_tT1_T2_T3_T4_jRjT5_jjP12ihipStream_tbEUlT_E_NS1_11comp_targetILNS1_3genE10ELNS1_11target_archE1200ELNS1_3gpuE4ELNS1_3repE0EEENS1_44radix_sort_block_sort_config_static_selectorELNS0_4arch9wavefront6targetE1EEEvSJ_,"axG",@progbits,_ZN7rocprim17ROCPRIM_400000_NS6detail17trampoline_kernelINS0_13kernel_configILj256ELj4ELj4294967295EEENS1_37radix_sort_block_sort_config_selectorItNS0_10empty_typeEEEZNS1_21radix_sort_block_sortIS4_Lb0EN6thrust23THRUST_200600_302600_NS6detail15normal_iteratorINSA_10device_ptrItEEEESF_PS6_SG_NS0_19identity_decomposerEEE10hipError_tT1_T2_T3_T4_jRjT5_jjP12ihipStream_tbEUlT_E_NS1_11comp_targetILNS1_3genE10ELNS1_11target_archE1200ELNS1_3gpuE4ELNS1_3repE0EEENS1_44radix_sort_block_sort_config_static_selectorELNS0_4arch9wavefront6targetE1EEEvSJ_,comdat
.Lfunc_end1194:
	.size	_ZN7rocprim17ROCPRIM_400000_NS6detail17trampoline_kernelINS0_13kernel_configILj256ELj4ELj4294967295EEENS1_37radix_sort_block_sort_config_selectorItNS0_10empty_typeEEEZNS1_21radix_sort_block_sortIS4_Lb0EN6thrust23THRUST_200600_302600_NS6detail15normal_iteratorINSA_10device_ptrItEEEESF_PS6_SG_NS0_19identity_decomposerEEE10hipError_tT1_T2_T3_T4_jRjT5_jjP12ihipStream_tbEUlT_E_NS1_11comp_targetILNS1_3genE10ELNS1_11target_archE1200ELNS1_3gpuE4ELNS1_3repE0EEENS1_44radix_sort_block_sort_config_static_selectorELNS0_4arch9wavefront6targetE1EEEvSJ_, .Lfunc_end1194-_ZN7rocprim17ROCPRIM_400000_NS6detail17trampoline_kernelINS0_13kernel_configILj256ELj4ELj4294967295EEENS1_37radix_sort_block_sort_config_selectorItNS0_10empty_typeEEEZNS1_21radix_sort_block_sortIS4_Lb0EN6thrust23THRUST_200600_302600_NS6detail15normal_iteratorINSA_10device_ptrItEEEESF_PS6_SG_NS0_19identity_decomposerEEE10hipError_tT1_T2_T3_T4_jRjT5_jjP12ihipStream_tbEUlT_E_NS1_11comp_targetILNS1_3genE10ELNS1_11target_archE1200ELNS1_3gpuE4ELNS1_3repE0EEENS1_44radix_sort_block_sort_config_static_selectorELNS0_4arch9wavefront6targetE1EEEvSJ_
                                        ; -- End function
	.section	.AMDGPU.csdata,"",@progbits
; Kernel info:
; codeLenInByte = 0
; NumSgprs: 4
; NumVgprs: 0
; NumAgprs: 0
; TotalNumVgprs: 0
; ScratchSize: 0
; MemoryBound: 0
; FloatMode: 240
; IeeeMode: 1
; LDSByteSize: 0 bytes/workgroup (compile time only)
; SGPRBlocks: 0
; VGPRBlocks: 0
; NumSGPRsForWavesPerEU: 4
; NumVGPRsForWavesPerEU: 1
; AccumOffset: 4
; Occupancy: 8
; WaveLimiterHint : 0
; COMPUTE_PGM_RSRC2:SCRATCH_EN: 0
; COMPUTE_PGM_RSRC2:USER_SGPR: 6
; COMPUTE_PGM_RSRC2:TRAP_HANDLER: 0
; COMPUTE_PGM_RSRC2:TGID_X_EN: 1
; COMPUTE_PGM_RSRC2:TGID_Y_EN: 0
; COMPUTE_PGM_RSRC2:TGID_Z_EN: 0
; COMPUTE_PGM_RSRC2:TIDIG_COMP_CNT: 0
; COMPUTE_PGM_RSRC3_GFX90A:ACCUM_OFFSET: 0
; COMPUTE_PGM_RSRC3_GFX90A:TG_SPLIT: 0
	.section	.text._ZN7rocprim17ROCPRIM_400000_NS6detail17trampoline_kernelINS0_13kernel_configILj256ELj4ELj4294967295EEENS1_37radix_sort_block_sort_config_selectorItNS0_10empty_typeEEEZNS1_21radix_sort_block_sortIS4_Lb0EN6thrust23THRUST_200600_302600_NS6detail15normal_iteratorINSA_10device_ptrItEEEESF_PS6_SG_NS0_19identity_decomposerEEE10hipError_tT1_T2_T3_T4_jRjT5_jjP12ihipStream_tbEUlT_E_NS1_11comp_targetILNS1_3genE9ELNS1_11target_archE1100ELNS1_3gpuE3ELNS1_3repE0EEENS1_44radix_sort_block_sort_config_static_selectorELNS0_4arch9wavefront6targetE1EEEvSJ_,"axG",@progbits,_ZN7rocprim17ROCPRIM_400000_NS6detail17trampoline_kernelINS0_13kernel_configILj256ELj4ELj4294967295EEENS1_37radix_sort_block_sort_config_selectorItNS0_10empty_typeEEEZNS1_21radix_sort_block_sortIS4_Lb0EN6thrust23THRUST_200600_302600_NS6detail15normal_iteratorINSA_10device_ptrItEEEESF_PS6_SG_NS0_19identity_decomposerEEE10hipError_tT1_T2_T3_T4_jRjT5_jjP12ihipStream_tbEUlT_E_NS1_11comp_targetILNS1_3genE9ELNS1_11target_archE1100ELNS1_3gpuE3ELNS1_3repE0EEENS1_44radix_sort_block_sort_config_static_selectorELNS0_4arch9wavefront6targetE1EEEvSJ_,comdat
	.protected	_ZN7rocprim17ROCPRIM_400000_NS6detail17trampoline_kernelINS0_13kernel_configILj256ELj4ELj4294967295EEENS1_37radix_sort_block_sort_config_selectorItNS0_10empty_typeEEEZNS1_21radix_sort_block_sortIS4_Lb0EN6thrust23THRUST_200600_302600_NS6detail15normal_iteratorINSA_10device_ptrItEEEESF_PS6_SG_NS0_19identity_decomposerEEE10hipError_tT1_T2_T3_T4_jRjT5_jjP12ihipStream_tbEUlT_E_NS1_11comp_targetILNS1_3genE9ELNS1_11target_archE1100ELNS1_3gpuE3ELNS1_3repE0EEENS1_44radix_sort_block_sort_config_static_selectorELNS0_4arch9wavefront6targetE1EEEvSJ_ ; -- Begin function _ZN7rocprim17ROCPRIM_400000_NS6detail17trampoline_kernelINS0_13kernel_configILj256ELj4ELj4294967295EEENS1_37radix_sort_block_sort_config_selectorItNS0_10empty_typeEEEZNS1_21radix_sort_block_sortIS4_Lb0EN6thrust23THRUST_200600_302600_NS6detail15normal_iteratorINSA_10device_ptrItEEEESF_PS6_SG_NS0_19identity_decomposerEEE10hipError_tT1_T2_T3_T4_jRjT5_jjP12ihipStream_tbEUlT_E_NS1_11comp_targetILNS1_3genE9ELNS1_11target_archE1100ELNS1_3gpuE3ELNS1_3repE0EEENS1_44radix_sort_block_sort_config_static_selectorELNS0_4arch9wavefront6targetE1EEEvSJ_
	.globl	_ZN7rocprim17ROCPRIM_400000_NS6detail17trampoline_kernelINS0_13kernel_configILj256ELj4ELj4294967295EEENS1_37radix_sort_block_sort_config_selectorItNS0_10empty_typeEEEZNS1_21radix_sort_block_sortIS4_Lb0EN6thrust23THRUST_200600_302600_NS6detail15normal_iteratorINSA_10device_ptrItEEEESF_PS6_SG_NS0_19identity_decomposerEEE10hipError_tT1_T2_T3_T4_jRjT5_jjP12ihipStream_tbEUlT_E_NS1_11comp_targetILNS1_3genE9ELNS1_11target_archE1100ELNS1_3gpuE3ELNS1_3repE0EEENS1_44radix_sort_block_sort_config_static_selectorELNS0_4arch9wavefront6targetE1EEEvSJ_
	.p2align	8
	.type	_ZN7rocprim17ROCPRIM_400000_NS6detail17trampoline_kernelINS0_13kernel_configILj256ELj4ELj4294967295EEENS1_37radix_sort_block_sort_config_selectorItNS0_10empty_typeEEEZNS1_21radix_sort_block_sortIS4_Lb0EN6thrust23THRUST_200600_302600_NS6detail15normal_iteratorINSA_10device_ptrItEEEESF_PS6_SG_NS0_19identity_decomposerEEE10hipError_tT1_T2_T3_T4_jRjT5_jjP12ihipStream_tbEUlT_E_NS1_11comp_targetILNS1_3genE9ELNS1_11target_archE1100ELNS1_3gpuE3ELNS1_3repE0EEENS1_44radix_sort_block_sort_config_static_selectorELNS0_4arch9wavefront6targetE1EEEvSJ_,@function
_ZN7rocprim17ROCPRIM_400000_NS6detail17trampoline_kernelINS0_13kernel_configILj256ELj4ELj4294967295EEENS1_37radix_sort_block_sort_config_selectorItNS0_10empty_typeEEEZNS1_21radix_sort_block_sortIS4_Lb0EN6thrust23THRUST_200600_302600_NS6detail15normal_iteratorINSA_10device_ptrItEEEESF_PS6_SG_NS0_19identity_decomposerEEE10hipError_tT1_T2_T3_T4_jRjT5_jjP12ihipStream_tbEUlT_E_NS1_11comp_targetILNS1_3genE9ELNS1_11target_archE1100ELNS1_3gpuE3ELNS1_3repE0EEENS1_44radix_sort_block_sort_config_static_selectorELNS0_4arch9wavefront6targetE1EEEvSJ_: ; @_ZN7rocprim17ROCPRIM_400000_NS6detail17trampoline_kernelINS0_13kernel_configILj256ELj4ELj4294967295EEENS1_37radix_sort_block_sort_config_selectorItNS0_10empty_typeEEEZNS1_21radix_sort_block_sortIS4_Lb0EN6thrust23THRUST_200600_302600_NS6detail15normal_iteratorINSA_10device_ptrItEEEESF_PS6_SG_NS0_19identity_decomposerEEE10hipError_tT1_T2_T3_T4_jRjT5_jjP12ihipStream_tbEUlT_E_NS1_11comp_targetILNS1_3genE9ELNS1_11target_archE1100ELNS1_3gpuE3ELNS1_3repE0EEENS1_44radix_sort_block_sort_config_static_selectorELNS0_4arch9wavefront6targetE1EEEvSJ_
; %bb.0:
	.section	.rodata,"a",@progbits
	.p2align	6, 0x0
	.amdhsa_kernel _ZN7rocprim17ROCPRIM_400000_NS6detail17trampoline_kernelINS0_13kernel_configILj256ELj4ELj4294967295EEENS1_37radix_sort_block_sort_config_selectorItNS0_10empty_typeEEEZNS1_21radix_sort_block_sortIS4_Lb0EN6thrust23THRUST_200600_302600_NS6detail15normal_iteratorINSA_10device_ptrItEEEESF_PS6_SG_NS0_19identity_decomposerEEE10hipError_tT1_T2_T3_T4_jRjT5_jjP12ihipStream_tbEUlT_E_NS1_11comp_targetILNS1_3genE9ELNS1_11target_archE1100ELNS1_3gpuE3ELNS1_3repE0EEENS1_44radix_sort_block_sort_config_static_selectorELNS0_4arch9wavefront6targetE1EEEvSJ_
		.amdhsa_group_segment_fixed_size 0
		.amdhsa_private_segment_fixed_size 0
		.amdhsa_kernarg_size 48
		.amdhsa_user_sgpr_count 6
		.amdhsa_user_sgpr_private_segment_buffer 1
		.amdhsa_user_sgpr_dispatch_ptr 0
		.amdhsa_user_sgpr_queue_ptr 0
		.amdhsa_user_sgpr_kernarg_segment_ptr 1
		.amdhsa_user_sgpr_dispatch_id 0
		.amdhsa_user_sgpr_flat_scratch_init 0
		.amdhsa_user_sgpr_kernarg_preload_length 0
		.amdhsa_user_sgpr_kernarg_preload_offset 0
		.amdhsa_user_sgpr_private_segment_size 0
		.amdhsa_uses_dynamic_stack 0
		.amdhsa_system_sgpr_private_segment_wavefront_offset 0
		.amdhsa_system_sgpr_workgroup_id_x 1
		.amdhsa_system_sgpr_workgroup_id_y 0
		.amdhsa_system_sgpr_workgroup_id_z 0
		.amdhsa_system_sgpr_workgroup_info 0
		.amdhsa_system_vgpr_workitem_id 0
		.amdhsa_next_free_vgpr 1
		.amdhsa_next_free_sgpr 0
		.amdhsa_accum_offset 4
		.amdhsa_reserve_vcc 0
		.amdhsa_reserve_flat_scratch 0
		.amdhsa_float_round_mode_32 0
		.amdhsa_float_round_mode_16_64 0
		.amdhsa_float_denorm_mode_32 3
		.amdhsa_float_denorm_mode_16_64 3
		.amdhsa_dx10_clamp 1
		.amdhsa_ieee_mode 1
		.amdhsa_fp16_overflow 0
		.amdhsa_tg_split 0
		.amdhsa_exception_fp_ieee_invalid_op 0
		.amdhsa_exception_fp_denorm_src 0
		.amdhsa_exception_fp_ieee_div_zero 0
		.amdhsa_exception_fp_ieee_overflow 0
		.amdhsa_exception_fp_ieee_underflow 0
		.amdhsa_exception_fp_ieee_inexact 0
		.amdhsa_exception_int_div_zero 0
	.end_amdhsa_kernel
	.section	.text._ZN7rocprim17ROCPRIM_400000_NS6detail17trampoline_kernelINS0_13kernel_configILj256ELj4ELj4294967295EEENS1_37radix_sort_block_sort_config_selectorItNS0_10empty_typeEEEZNS1_21radix_sort_block_sortIS4_Lb0EN6thrust23THRUST_200600_302600_NS6detail15normal_iteratorINSA_10device_ptrItEEEESF_PS6_SG_NS0_19identity_decomposerEEE10hipError_tT1_T2_T3_T4_jRjT5_jjP12ihipStream_tbEUlT_E_NS1_11comp_targetILNS1_3genE9ELNS1_11target_archE1100ELNS1_3gpuE3ELNS1_3repE0EEENS1_44radix_sort_block_sort_config_static_selectorELNS0_4arch9wavefront6targetE1EEEvSJ_,"axG",@progbits,_ZN7rocprim17ROCPRIM_400000_NS6detail17trampoline_kernelINS0_13kernel_configILj256ELj4ELj4294967295EEENS1_37radix_sort_block_sort_config_selectorItNS0_10empty_typeEEEZNS1_21radix_sort_block_sortIS4_Lb0EN6thrust23THRUST_200600_302600_NS6detail15normal_iteratorINSA_10device_ptrItEEEESF_PS6_SG_NS0_19identity_decomposerEEE10hipError_tT1_T2_T3_T4_jRjT5_jjP12ihipStream_tbEUlT_E_NS1_11comp_targetILNS1_3genE9ELNS1_11target_archE1100ELNS1_3gpuE3ELNS1_3repE0EEENS1_44radix_sort_block_sort_config_static_selectorELNS0_4arch9wavefront6targetE1EEEvSJ_,comdat
.Lfunc_end1195:
	.size	_ZN7rocprim17ROCPRIM_400000_NS6detail17trampoline_kernelINS0_13kernel_configILj256ELj4ELj4294967295EEENS1_37radix_sort_block_sort_config_selectorItNS0_10empty_typeEEEZNS1_21radix_sort_block_sortIS4_Lb0EN6thrust23THRUST_200600_302600_NS6detail15normal_iteratorINSA_10device_ptrItEEEESF_PS6_SG_NS0_19identity_decomposerEEE10hipError_tT1_T2_T3_T4_jRjT5_jjP12ihipStream_tbEUlT_E_NS1_11comp_targetILNS1_3genE9ELNS1_11target_archE1100ELNS1_3gpuE3ELNS1_3repE0EEENS1_44radix_sort_block_sort_config_static_selectorELNS0_4arch9wavefront6targetE1EEEvSJ_, .Lfunc_end1195-_ZN7rocprim17ROCPRIM_400000_NS6detail17trampoline_kernelINS0_13kernel_configILj256ELj4ELj4294967295EEENS1_37radix_sort_block_sort_config_selectorItNS0_10empty_typeEEEZNS1_21radix_sort_block_sortIS4_Lb0EN6thrust23THRUST_200600_302600_NS6detail15normal_iteratorINSA_10device_ptrItEEEESF_PS6_SG_NS0_19identity_decomposerEEE10hipError_tT1_T2_T3_T4_jRjT5_jjP12ihipStream_tbEUlT_E_NS1_11comp_targetILNS1_3genE9ELNS1_11target_archE1100ELNS1_3gpuE3ELNS1_3repE0EEENS1_44radix_sort_block_sort_config_static_selectorELNS0_4arch9wavefront6targetE1EEEvSJ_
                                        ; -- End function
	.section	.AMDGPU.csdata,"",@progbits
; Kernel info:
; codeLenInByte = 0
; NumSgprs: 4
; NumVgprs: 0
; NumAgprs: 0
; TotalNumVgprs: 0
; ScratchSize: 0
; MemoryBound: 0
; FloatMode: 240
; IeeeMode: 1
; LDSByteSize: 0 bytes/workgroup (compile time only)
; SGPRBlocks: 0
; VGPRBlocks: 0
; NumSGPRsForWavesPerEU: 4
; NumVGPRsForWavesPerEU: 1
; AccumOffset: 4
; Occupancy: 8
; WaveLimiterHint : 0
; COMPUTE_PGM_RSRC2:SCRATCH_EN: 0
; COMPUTE_PGM_RSRC2:USER_SGPR: 6
; COMPUTE_PGM_RSRC2:TRAP_HANDLER: 0
; COMPUTE_PGM_RSRC2:TGID_X_EN: 1
; COMPUTE_PGM_RSRC2:TGID_Y_EN: 0
; COMPUTE_PGM_RSRC2:TGID_Z_EN: 0
; COMPUTE_PGM_RSRC2:TIDIG_COMP_CNT: 0
; COMPUTE_PGM_RSRC3_GFX90A:ACCUM_OFFSET: 0
; COMPUTE_PGM_RSRC3_GFX90A:TG_SPLIT: 0
	.section	.text._ZN7rocprim17ROCPRIM_400000_NS6detail17trampoline_kernelINS0_13kernel_configILj256ELj4ELj4294967295EEENS1_37radix_sort_block_sort_config_selectorItNS0_10empty_typeEEEZNS1_21radix_sort_block_sortIS4_Lb0EN6thrust23THRUST_200600_302600_NS6detail15normal_iteratorINSA_10device_ptrItEEEESF_PS6_SG_NS0_19identity_decomposerEEE10hipError_tT1_T2_T3_T4_jRjT5_jjP12ihipStream_tbEUlT_E_NS1_11comp_targetILNS1_3genE8ELNS1_11target_archE1030ELNS1_3gpuE2ELNS1_3repE0EEENS1_44radix_sort_block_sort_config_static_selectorELNS0_4arch9wavefront6targetE1EEEvSJ_,"axG",@progbits,_ZN7rocprim17ROCPRIM_400000_NS6detail17trampoline_kernelINS0_13kernel_configILj256ELj4ELj4294967295EEENS1_37radix_sort_block_sort_config_selectorItNS0_10empty_typeEEEZNS1_21radix_sort_block_sortIS4_Lb0EN6thrust23THRUST_200600_302600_NS6detail15normal_iteratorINSA_10device_ptrItEEEESF_PS6_SG_NS0_19identity_decomposerEEE10hipError_tT1_T2_T3_T4_jRjT5_jjP12ihipStream_tbEUlT_E_NS1_11comp_targetILNS1_3genE8ELNS1_11target_archE1030ELNS1_3gpuE2ELNS1_3repE0EEENS1_44radix_sort_block_sort_config_static_selectorELNS0_4arch9wavefront6targetE1EEEvSJ_,comdat
	.protected	_ZN7rocprim17ROCPRIM_400000_NS6detail17trampoline_kernelINS0_13kernel_configILj256ELj4ELj4294967295EEENS1_37radix_sort_block_sort_config_selectorItNS0_10empty_typeEEEZNS1_21radix_sort_block_sortIS4_Lb0EN6thrust23THRUST_200600_302600_NS6detail15normal_iteratorINSA_10device_ptrItEEEESF_PS6_SG_NS0_19identity_decomposerEEE10hipError_tT1_T2_T3_T4_jRjT5_jjP12ihipStream_tbEUlT_E_NS1_11comp_targetILNS1_3genE8ELNS1_11target_archE1030ELNS1_3gpuE2ELNS1_3repE0EEENS1_44radix_sort_block_sort_config_static_selectorELNS0_4arch9wavefront6targetE1EEEvSJ_ ; -- Begin function _ZN7rocprim17ROCPRIM_400000_NS6detail17trampoline_kernelINS0_13kernel_configILj256ELj4ELj4294967295EEENS1_37radix_sort_block_sort_config_selectorItNS0_10empty_typeEEEZNS1_21radix_sort_block_sortIS4_Lb0EN6thrust23THRUST_200600_302600_NS6detail15normal_iteratorINSA_10device_ptrItEEEESF_PS6_SG_NS0_19identity_decomposerEEE10hipError_tT1_T2_T3_T4_jRjT5_jjP12ihipStream_tbEUlT_E_NS1_11comp_targetILNS1_3genE8ELNS1_11target_archE1030ELNS1_3gpuE2ELNS1_3repE0EEENS1_44radix_sort_block_sort_config_static_selectorELNS0_4arch9wavefront6targetE1EEEvSJ_
	.globl	_ZN7rocprim17ROCPRIM_400000_NS6detail17trampoline_kernelINS0_13kernel_configILj256ELj4ELj4294967295EEENS1_37radix_sort_block_sort_config_selectorItNS0_10empty_typeEEEZNS1_21radix_sort_block_sortIS4_Lb0EN6thrust23THRUST_200600_302600_NS6detail15normal_iteratorINSA_10device_ptrItEEEESF_PS6_SG_NS0_19identity_decomposerEEE10hipError_tT1_T2_T3_T4_jRjT5_jjP12ihipStream_tbEUlT_E_NS1_11comp_targetILNS1_3genE8ELNS1_11target_archE1030ELNS1_3gpuE2ELNS1_3repE0EEENS1_44radix_sort_block_sort_config_static_selectorELNS0_4arch9wavefront6targetE1EEEvSJ_
	.p2align	8
	.type	_ZN7rocprim17ROCPRIM_400000_NS6detail17trampoline_kernelINS0_13kernel_configILj256ELj4ELj4294967295EEENS1_37radix_sort_block_sort_config_selectorItNS0_10empty_typeEEEZNS1_21radix_sort_block_sortIS4_Lb0EN6thrust23THRUST_200600_302600_NS6detail15normal_iteratorINSA_10device_ptrItEEEESF_PS6_SG_NS0_19identity_decomposerEEE10hipError_tT1_T2_T3_T4_jRjT5_jjP12ihipStream_tbEUlT_E_NS1_11comp_targetILNS1_3genE8ELNS1_11target_archE1030ELNS1_3gpuE2ELNS1_3repE0EEENS1_44radix_sort_block_sort_config_static_selectorELNS0_4arch9wavefront6targetE1EEEvSJ_,@function
_ZN7rocprim17ROCPRIM_400000_NS6detail17trampoline_kernelINS0_13kernel_configILj256ELj4ELj4294967295EEENS1_37radix_sort_block_sort_config_selectorItNS0_10empty_typeEEEZNS1_21radix_sort_block_sortIS4_Lb0EN6thrust23THRUST_200600_302600_NS6detail15normal_iteratorINSA_10device_ptrItEEEESF_PS6_SG_NS0_19identity_decomposerEEE10hipError_tT1_T2_T3_T4_jRjT5_jjP12ihipStream_tbEUlT_E_NS1_11comp_targetILNS1_3genE8ELNS1_11target_archE1030ELNS1_3gpuE2ELNS1_3repE0EEENS1_44radix_sort_block_sort_config_static_selectorELNS0_4arch9wavefront6targetE1EEEvSJ_: ; @_ZN7rocprim17ROCPRIM_400000_NS6detail17trampoline_kernelINS0_13kernel_configILj256ELj4ELj4294967295EEENS1_37radix_sort_block_sort_config_selectorItNS0_10empty_typeEEEZNS1_21radix_sort_block_sortIS4_Lb0EN6thrust23THRUST_200600_302600_NS6detail15normal_iteratorINSA_10device_ptrItEEEESF_PS6_SG_NS0_19identity_decomposerEEE10hipError_tT1_T2_T3_T4_jRjT5_jjP12ihipStream_tbEUlT_E_NS1_11comp_targetILNS1_3genE8ELNS1_11target_archE1030ELNS1_3gpuE2ELNS1_3repE0EEENS1_44radix_sort_block_sort_config_static_selectorELNS0_4arch9wavefront6targetE1EEEvSJ_
; %bb.0:
	.section	.rodata,"a",@progbits
	.p2align	6, 0x0
	.amdhsa_kernel _ZN7rocprim17ROCPRIM_400000_NS6detail17trampoline_kernelINS0_13kernel_configILj256ELj4ELj4294967295EEENS1_37radix_sort_block_sort_config_selectorItNS0_10empty_typeEEEZNS1_21radix_sort_block_sortIS4_Lb0EN6thrust23THRUST_200600_302600_NS6detail15normal_iteratorINSA_10device_ptrItEEEESF_PS6_SG_NS0_19identity_decomposerEEE10hipError_tT1_T2_T3_T4_jRjT5_jjP12ihipStream_tbEUlT_E_NS1_11comp_targetILNS1_3genE8ELNS1_11target_archE1030ELNS1_3gpuE2ELNS1_3repE0EEENS1_44radix_sort_block_sort_config_static_selectorELNS0_4arch9wavefront6targetE1EEEvSJ_
		.amdhsa_group_segment_fixed_size 0
		.amdhsa_private_segment_fixed_size 0
		.amdhsa_kernarg_size 48
		.amdhsa_user_sgpr_count 6
		.amdhsa_user_sgpr_private_segment_buffer 1
		.amdhsa_user_sgpr_dispatch_ptr 0
		.amdhsa_user_sgpr_queue_ptr 0
		.amdhsa_user_sgpr_kernarg_segment_ptr 1
		.amdhsa_user_sgpr_dispatch_id 0
		.amdhsa_user_sgpr_flat_scratch_init 0
		.amdhsa_user_sgpr_kernarg_preload_length 0
		.amdhsa_user_sgpr_kernarg_preload_offset 0
		.amdhsa_user_sgpr_private_segment_size 0
		.amdhsa_uses_dynamic_stack 0
		.amdhsa_system_sgpr_private_segment_wavefront_offset 0
		.amdhsa_system_sgpr_workgroup_id_x 1
		.amdhsa_system_sgpr_workgroup_id_y 0
		.amdhsa_system_sgpr_workgroup_id_z 0
		.amdhsa_system_sgpr_workgroup_info 0
		.amdhsa_system_vgpr_workitem_id 0
		.amdhsa_next_free_vgpr 1
		.amdhsa_next_free_sgpr 0
		.amdhsa_accum_offset 4
		.amdhsa_reserve_vcc 0
		.amdhsa_reserve_flat_scratch 0
		.amdhsa_float_round_mode_32 0
		.amdhsa_float_round_mode_16_64 0
		.amdhsa_float_denorm_mode_32 3
		.amdhsa_float_denorm_mode_16_64 3
		.amdhsa_dx10_clamp 1
		.amdhsa_ieee_mode 1
		.amdhsa_fp16_overflow 0
		.amdhsa_tg_split 0
		.amdhsa_exception_fp_ieee_invalid_op 0
		.amdhsa_exception_fp_denorm_src 0
		.amdhsa_exception_fp_ieee_div_zero 0
		.amdhsa_exception_fp_ieee_overflow 0
		.amdhsa_exception_fp_ieee_underflow 0
		.amdhsa_exception_fp_ieee_inexact 0
		.amdhsa_exception_int_div_zero 0
	.end_amdhsa_kernel
	.section	.text._ZN7rocprim17ROCPRIM_400000_NS6detail17trampoline_kernelINS0_13kernel_configILj256ELj4ELj4294967295EEENS1_37radix_sort_block_sort_config_selectorItNS0_10empty_typeEEEZNS1_21radix_sort_block_sortIS4_Lb0EN6thrust23THRUST_200600_302600_NS6detail15normal_iteratorINSA_10device_ptrItEEEESF_PS6_SG_NS0_19identity_decomposerEEE10hipError_tT1_T2_T3_T4_jRjT5_jjP12ihipStream_tbEUlT_E_NS1_11comp_targetILNS1_3genE8ELNS1_11target_archE1030ELNS1_3gpuE2ELNS1_3repE0EEENS1_44radix_sort_block_sort_config_static_selectorELNS0_4arch9wavefront6targetE1EEEvSJ_,"axG",@progbits,_ZN7rocprim17ROCPRIM_400000_NS6detail17trampoline_kernelINS0_13kernel_configILj256ELj4ELj4294967295EEENS1_37radix_sort_block_sort_config_selectorItNS0_10empty_typeEEEZNS1_21radix_sort_block_sortIS4_Lb0EN6thrust23THRUST_200600_302600_NS6detail15normal_iteratorINSA_10device_ptrItEEEESF_PS6_SG_NS0_19identity_decomposerEEE10hipError_tT1_T2_T3_T4_jRjT5_jjP12ihipStream_tbEUlT_E_NS1_11comp_targetILNS1_3genE8ELNS1_11target_archE1030ELNS1_3gpuE2ELNS1_3repE0EEENS1_44radix_sort_block_sort_config_static_selectorELNS0_4arch9wavefront6targetE1EEEvSJ_,comdat
.Lfunc_end1196:
	.size	_ZN7rocprim17ROCPRIM_400000_NS6detail17trampoline_kernelINS0_13kernel_configILj256ELj4ELj4294967295EEENS1_37radix_sort_block_sort_config_selectorItNS0_10empty_typeEEEZNS1_21radix_sort_block_sortIS4_Lb0EN6thrust23THRUST_200600_302600_NS6detail15normal_iteratorINSA_10device_ptrItEEEESF_PS6_SG_NS0_19identity_decomposerEEE10hipError_tT1_T2_T3_T4_jRjT5_jjP12ihipStream_tbEUlT_E_NS1_11comp_targetILNS1_3genE8ELNS1_11target_archE1030ELNS1_3gpuE2ELNS1_3repE0EEENS1_44radix_sort_block_sort_config_static_selectorELNS0_4arch9wavefront6targetE1EEEvSJ_, .Lfunc_end1196-_ZN7rocprim17ROCPRIM_400000_NS6detail17trampoline_kernelINS0_13kernel_configILj256ELj4ELj4294967295EEENS1_37radix_sort_block_sort_config_selectorItNS0_10empty_typeEEEZNS1_21radix_sort_block_sortIS4_Lb0EN6thrust23THRUST_200600_302600_NS6detail15normal_iteratorINSA_10device_ptrItEEEESF_PS6_SG_NS0_19identity_decomposerEEE10hipError_tT1_T2_T3_T4_jRjT5_jjP12ihipStream_tbEUlT_E_NS1_11comp_targetILNS1_3genE8ELNS1_11target_archE1030ELNS1_3gpuE2ELNS1_3repE0EEENS1_44radix_sort_block_sort_config_static_selectorELNS0_4arch9wavefront6targetE1EEEvSJ_
                                        ; -- End function
	.section	.AMDGPU.csdata,"",@progbits
; Kernel info:
; codeLenInByte = 0
; NumSgprs: 4
; NumVgprs: 0
; NumAgprs: 0
; TotalNumVgprs: 0
; ScratchSize: 0
; MemoryBound: 0
; FloatMode: 240
; IeeeMode: 1
; LDSByteSize: 0 bytes/workgroup (compile time only)
; SGPRBlocks: 0
; VGPRBlocks: 0
; NumSGPRsForWavesPerEU: 4
; NumVGPRsForWavesPerEU: 1
; AccumOffset: 4
; Occupancy: 8
; WaveLimiterHint : 0
; COMPUTE_PGM_RSRC2:SCRATCH_EN: 0
; COMPUTE_PGM_RSRC2:USER_SGPR: 6
; COMPUTE_PGM_RSRC2:TRAP_HANDLER: 0
; COMPUTE_PGM_RSRC2:TGID_X_EN: 1
; COMPUTE_PGM_RSRC2:TGID_Y_EN: 0
; COMPUTE_PGM_RSRC2:TGID_Z_EN: 0
; COMPUTE_PGM_RSRC2:TIDIG_COMP_CNT: 0
; COMPUTE_PGM_RSRC3_GFX90A:ACCUM_OFFSET: 0
; COMPUTE_PGM_RSRC3_GFX90A:TG_SPLIT: 0
	.section	.text._ZN7rocprim17ROCPRIM_400000_NS6detail44device_merge_sort_compile_time_verifier_archINS1_11comp_targetILNS1_3genE0ELNS1_11target_archE4294967295ELNS1_3gpuE0ELNS1_3repE0EEES8_NS1_28merge_sort_block_sort_configILj256ELj4ELNS0_20block_sort_algorithmE0EEENS0_14default_configENS1_37merge_sort_block_sort_config_selectorItNS0_10empty_typeEEENS1_38merge_sort_block_merge_config_selectorItSE_EEEEvv,"axG",@progbits,_ZN7rocprim17ROCPRIM_400000_NS6detail44device_merge_sort_compile_time_verifier_archINS1_11comp_targetILNS1_3genE0ELNS1_11target_archE4294967295ELNS1_3gpuE0ELNS1_3repE0EEES8_NS1_28merge_sort_block_sort_configILj256ELj4ELNS0_20block_sort_algorithmE0EEENS0_14default_configENS1_37merge_sort_block_sort_config_selectorItNS0_10empty_typeEEENS1_38merge_sort_block_merge_config_selectorItSE_EEEEvv,comdat
	.protected	_ZN7rocprim17ROCPRIM_400000_NS6detail44device_merge_sort_compile_time_verifier_archINS1_11comp_targetILNS1_3genE0ELNS1_11target_archE4294967295ELNS1_3gpuE0ELNS1_3repE0EEES8_NS1_28merge_sort_block_sort_configILj256ELj4ELNS0_20block_sort_algorithmE0EEENS0_14default_configENS1_37merge_sort_block_sort_config_selectorItNS0_10empty_typeEEENS1_38merge_sort_block_merge_config_selectorItSE_EEEEvv ; -- Begin function _ZN7rocprim17ROCPRIM_400000_NS6detail44device_merge_sort_compile_time_verifier_archINS1_11comp_targetILNS1_3genE0ELNS1_11target_archE4294967295ELNS1_3gpuE0ELNS1_3repE0EEES8_NS1_28merge_sort_block_sort_configILj256ELj4ELNS0_20block_sort_algorithmE0EEENS0_14default_configENS1_37merge_sort_block_sort_config_selectorItNS0_10empty_typeEEENS1_38merge_sort_block_merge_config_selectorItSE_EEEEvv
	.globl	_ZN7rocprim17ROCPRIM_400000_NS6detail44device_merge_sort_compile_time_verifier_archINS1_11comp_targetILNS1_3genE0ELNS1_11target_archE4294967295ELNS1_3gpuE0ELNS1_3repE0EEES8_NS1_28merge_sort_block_sort_configILj256ELj4ELNS0_20block_sort_algorithmE0EEENS0_14default_configENS1_37merge_sort_block_sort_config_selectorItNS0_10empty_typeEEENS1_38merge_sort_block_merge_config_selectorItSE_EEEEvv
	.p2align	8
	.type	_ZN7rocprim17ROCPRIM_400000_NS6detail44device_merge_sort_compile_time_verifier_archINS1_11comp_targetILNS1_3genE0ELNS1_11target_archE4294967295ELNS1_3gpuE0ELNS1_3repE0EEES8_NS1_28merge_sort_block_sort_configILj256ELj4ELNS0_20block_sort_algorithmE0EEENS0_14default_configENS1_37merge_sort_block_sort_config_selectorItNS0_10empty_typeEEENS1_38merge_sort_block_merge_config_selectorItSE_EEEEvv,@function
_ZN7rocprim17ROCPRIM_400000_NS6detail44device_merge_sort_compile_time_verifier_archINS1_11comp_targetILNS1_3genE0ELNS1_11target_archE4294967295ELNS1_3gpuE0ELNS1_3repE0EEES8_NS1_28merge_sort_block_sort_configILj256ELj4ELNS0_20block_sort_algorithmE0EEENS0_14default_configENS1_37merge_sort_block_sort_config_selectorItNS0_10empty_typeEEENS1_38merge_sort_block_merge_config_selectorItSE_EEEEvv: ; @_ZN7rocprim17ROCPRIM_400000_NS6detail44device_merge_sort_compile_time_verifier_archINS1_11comp_targetILNS1_3genE0ELNS1_11target_archE4294967295ELNS1_3gpuE0ELNS1_3repE0EEES8_NS1_28merge_sort_block_sort_configILj256ELj4ELNS0_20block_sort_algorithmE0EEENS0_14default_configENS1_37merge_sort_block_sort_config_selectorItNS0_10empty_typeEEENS1_38merge_sort_block_merge_config_selectorItSE_EEEEvv
; %bb.0:
	s_endpgm
	.section	.rodata,"a",@progbits
	.p2align	6, 0x0
	.amdhsa_kernel _ZN7rocprim17ROCPRIM_400000_NS6detail44device_merge_sort_compile_time_verifier_archINS1_11comp_targetILNS1_3genE0ELNS1_11target_archE4294967295ELNS1_3gpuE0ELNS1_3repE0EEES8_NS1_28merge_sort_block_sort_configILj256ELj4ELNS0_20block_sort_algorithmE0EEENS0_14default_configENS1_37merge_sort_block_sort_config_selectorItNS0_10empty_typeEEENS1_38merge_sort_block_merge_config_selectorItSE_EEEEvv
		.amdhsa_group_segment_fixed_size 0
		.amdhsa_private_segment_fixed_size 0
		.amdhsa_kernarg_size 0
		.amdhsa_user_sgpr_count 4
		.amdhsa_user_sgpr_private_segment_buffer 1
		.amdhsa_user_sgpr_dispatch_ptr 0
		.amdhsa_user_sgpr_queue_ptr 0
		.amdhsa_user_sgpr_kernarg_segment_ptr 0
		.amdhsa_user_sgpr_dispatch_id 0
		.amdhsa_user_sgpr_flat_scratch_init 0
		.amdhsa_user_sgpr_kernarg_preload_length 0
		.amdhsa_user_sgpr_kernarg_preload_offset 0
		.amdhsa_user_sgpr_private_segment_size 0
		.amdhsa_uses_dynamic_stack 0
		.amdhsa_system_sgpr_private_segment_wavefront_offset 0
		.amdhsa_system_sgpr_workgroup_id_x 1
		.amdhsa_system_sgpr_workgroup_id_y 0
		.amdhsa_system_sgpr_workgroup_id_z 0
		.amdhsa_system_sgpr_workgroup_info 0
		.amdhsa_system_vgpr_workitem_id 0
		.amdhsa_next_free_vgpr 1
		.amdhsa_next_free_sgpr 0
		.amdhsa_accum_offset 4
		.amdhsa_reserve_vcc 0
		.amdhsa_reserve_flat_scratch 0
		.amdhsa_float_round_mode_32 0
		.amdhsa_float_round_mode_16_64 0
		.amdhsa_float_denorm_mode_32 3
		.amdhsa_float_denorm_mode_16_64 3
		.amdhsa_dx10_clamp 1
		.amdhsa_ieee_mode 1
		.amdhsa_fp16_overflow 0
		.amdhsa_tg_split 0
		.amdhsa_exception_fp_ieee_invalid_op 0
		.amdhsa_exception_fp_denorm_src 0
		.amdhsa_exception_fp_ieee_div_zero 0
		.amdhsa_exception_fp_ieee_overflow 0
		.amdhsa_exception_fp_ieee_underflow 0
		.amdhsa_exception_fp_ieee_inexact 0
		.amdhsa_exception_int_div_zero 0
	.end_amdhsa_kernel
	.section	.text._ZN7rocprim17ROCPRIM_400000_NS6detail44device_merge_sort_compile_time_verifier_archINS1_11comp_targetILNS1_3genE0ELNS1_11target_archE4294967295ELNS1_3gpuE0ELNS1_3repE0EEES8_NS1_28merge_sort_block_sort_configILj256ELj4ELNS0_20block_sort_algorithmE0EEENS0_14default_configENS1_37merge_sort_block_sort_config_selectorItNS0_10empty_typeEEENS1_38merge_sort_block_merge_config_selectorItSE_EEEEvv,"axG",@progbits,_ZN7rocprim17ROCPRIM_400000_NS6detail44device_merge_sort_compile_time_verifier_archINS1_11comp_targetILNS1_3genE0ELNS1_11target_archE4294967295ELNS1_3gpuE0ELNS1_3repE0EEES8_NS1_28merge_sort_block_sort_configILj256ELj4ELNS0_20block_sort_algorithmE0EEENS0_14default_configENS1_37merge_sort_block_sort_config_selectorItNS0_10empty_typeEEENS1_38merge_sort_block_merge_config_selectorItSE_EEEEvv,comdat
.Lfunc_end1197:
	.size	_ZN7rocprim17ROCPRIM_400000_NS6detail44device_merge_sort_compile_time_verifier_archINS1_11comp_targetILNS1_3genE0ELNS1_11target_archE4294967295ELNS1_3gpuE0ELNS1_3repE0EEES8_NS1_28merge_sort_block_sort_configILj256ELj4ELNS0_20block_sort_algorithmE0EEENS0_14default_configENS1_37merge_sort_block_sort_config_selectorItNS0_10empty_typeEEENS1_38merge_sort_block_merge_config_selectorItSE_EEEEvv, .Lfunc_end1197-_ZN7rocprim17ROCPRIM_400000_NS6detail44device_merge_sort_compile_time_verifier_archINS1_11comp_targetILNS1_3genE0ELNS1_11target_archE4294967295ELNS1_3gpuE0ELNS1_3repE0EEES8_NS1_28merge_sort_block_sort_configILj256ELj4ELNS0_20block_sort_algorithmE0EEENS0_14default_configENS1_37merge_sort_block_sort_config_selectorItNS0_10empty_typeEEENS1_38merge_sort_block_merge_config_selectorItSE_EEEEvv
                                        ; -- End function
	.section	.AMDGPU.csdata,"",@progbits
; Kernel info:
; codeLenInByte = 4
; NumSgprs: 4
; NumVgprs: 0
; NumAgprs: 0
; TotalNumVgprs: 0
; ScratchSize: 0
; MemoryBound: 0
; FloatMode: 240
; IeeeMode: 1
; LDSByteSize: 0 bytes/workgroup (compile time only)
; SGPRBlocks: 0
; VGPRBlocks: 0
; NumSGPRsForWavesPerEU: 4
; NumVGPRsForWavesPerEU: 1
; AccumOffset: 4
; Occupancy: 8
; WaveLimiterHint : 0
; COMPUTE_PGM_RSRC2:SCRATCH_EN: 0
; COMPUTE_PGM_RSRC2:USER_SGPR: 4
; COMPUTE_PGM_RSRC2:TRAP_HANDLER: 0
; COMPUTE_PGM_RSRC2:TGID_X_EN: 1
; COMPUTE_PGM_RSRC2:TGID_Y_EN: 0
; COMPUTE_PGM_RSRC2:TGID_Z_EN: 0
; COMPUTE_PGM_RSRC2:TIDIG_COMP_CNT: 0
; COMPUTE_PGM_RSRC3_GFX90A:ACCUM_OFFSET: 0
; COMPUTE_PGM_RSRC3_GFX90A:TG_SPLIT: 0
	.section	.text._ZN7rocprim17ROCPRIM_400000_NS6detail44device_merge_sort_compile_time_verifier_archINS1_11comp_targetILNS1_3genE5ELNS1_11target_archE942ELNS1_3gpuE9ELNS1_3repE0EEES8_NS1_28merge_sort_block_sort_configILj256ELj4ELNS0_20block_sort_algorithmE0EEENS0_14default_configENS1_37merge_sort_block_sort_config_selectorItNS0_10empty_typeEEENS1_38merge_sort_block_merge_config_selectorItSE_EEEEvv,"axG",@progbits,_ZN7rocprim17ROCPRIM_400000_NS6detail44device_merge_sort_compile_time_verifier_archINS1_11comp_targetILNS1_3genE5ELNS1_11target_archE942ELNS1_3gpuE9ELNS1_3repE0EEES8_NS1_28merge_sort_block_sort_configILj256ELj4ELNS0_20block_sort_algorithmE0EEENS0_14default_configENS1_37merge_sort_block_sort_config_selectorItNS0_10empty_typeEEENS1_38merge_sort_block_merge_config_selectorItSE_EEEEvv,comdat
	.protected	_ZN7rocprim17ROCPRIM_400000_NS6detail44device_merge_sort_compile_time_verifier_archINS1_11comp_targetILNS1_3genE5ELNS1_11target_archE942ELNS1_3gpuE9ELNS1_3repE0EEES8_NS1_28merge_sort_block_sort_configILj256ELj4ELNS0_20block_sort_algorithmE0EEENS0_14default_configENS1_37merge_sort_block_sort_config_selectorItNS0_10empty_typeEEENS1_38merge_sort_block_merge_config_selectorItSE_EEEEvv ; -- Begin function _ZN7rocprim17ROCPRIM_400000_NS6detail44device_merge_sort_compile_time_verifier_archINS1_11comp_targetILNS1_3genE5ELNS1_11target_archE942ELNS1_3gpuE9ELNS1_3repE0EEES8_NS1_28merge_sort_block_sort_configILj256ELj4ELNS0_20block_sort_algorithmE0EEENS0_14default_configENS1_37merge_sort_block_sort_config_selectorItNS0_10empty_typeEEENS1_38merge_sort_block_merge_config_selectorItSE_EEEEvv
	.globl	_ZN7rocprim17ROCPRIM_400000_NS6detail44device_merge_sort_compile_time_verifier_archINS1_11comp_targetILNS1_3genE5ELNS1_11target_archE942ELNS1_3gpuE9ELNS1_3repE0EEES8_NS1_28merge_sort_block_sort_configILj256ELj4ELNS0_20block_sort_algorithmE0EEENS0_14default_configENS1_37merge_sort_block_sort_config_selectorItNS0_10empty_typeEEENS1_38merge_sort_block_merge_config_selectorItSE_EEEEvv
	.p2align	8
	.type	_ZN7rocprim17ROCPRIM_400000_NS6detail44device_merge_sort_compile_time_verifier_archINS1_11comp_targetILNS1_3genE5ELNS1_11target_archE942ELNS1_3gpuE9ELNS1_3repE0EEES8_NS1_28merge_sort_block_sort_configILj256ELj4ELNS0_20block_sort_algorithmE0EEENS0_14default_configENS1_37merge_sort_block_sort_config_selectorItNS0_10empty_typeEEENS1_38merge_sort_block_merge_config_selectorItSE_EEEEvv,@function
_ZN7rocprim17ROCPRIM_400000_NS6detail44device_merge_sort_compile_time_verifier_archINS1_11comp_targetILNS1_3genE5ELNS1_11target_archE942ELNS1_3gpuE9ELNS1_3repE0EEES8_NS1_28merge_sort_block_sort_configILj256ELj4ELNS0_20block_sort_algorithmE0EEENS0_14default_configENS1_37merge_sort_block_sort_config_selectorItNS0_10empty_typeEEENS1_38merge_sort_block_merge_config_selectorItSE_EEEEvv: ; @_ZN7rocprim17ROCPRIM_400000_NS6detail44device_merge_sort_compile_time_verifier_archINS1_11comp_targetILNS1_3genE5ELNS1_11target_archE942ELNS1_3gpuE9ELNS1_3repE0EEES8_NS1_28merge_sort_block_sort_configILj256ELj4ELNS0_20block_sort_algorithmE0EEENS0_14default_configENS1_37merge_sort_block_sort_config_selectorItNS0_10empty_typeEEENS1_38merge_sort_block_merge_config_selectorItSE_EEEEvv
; %bb.0:
	s_endpgm
	.section	.rodata,"a",@progbits
	.p2align	6, 0x0
	.amdhsa_kernel _ZN7rocprim17ROCPRIM_400000_NS6detail44device_merge_sort_compile_time_verifier_archINS1_11comp_targetILNS1_3genE5ELNS1_11target_archE942ELNS1_3gpuE9ELNS1_3repE0EEES8_NS1_28merge_sort_block_sort_configILj256ELj4ELNS0_20block_sort_algorithmE0EEENS0_14default_configENS1_37merge_sort_block_sort_config_selectorItNS0_10empty_typeEEENS1_38merge_sort_block_merge_config_selectorItSE_EEEEvv
		.amdhsa_group_segment_fixed_size 0
		.amdhsa_private_segment_fixed_size 0
		.amdhsa_kernarg_size 0
		.amdhsa_user_sgpr_count 4
		.amdhsa_user_sgpr_private_segment_buffer 1
		.amdhsa_user_sgpr_dispatch_ptr 0
		.amdhsa_user_sgpr_queue_ptr 0
		.amdhsa_user_sgpr_kernarg_segment_ptr 0
		.amdhsa_user_sgpr_dispatch_id 0
		.amdhsa_user_sgpr_flat_scratch_init 0
		.amdhsa_user_sgpr_kernarg_preload_length 0
		.amdhsa_user_sgpr_kernarg_preload_offset 0
		.amdhsa_user_sgpr_private_segment_size 0
		.amdhsa_uses_dynamic_stack 0
		.amdhsa_system_sgpr_private_segment_wavefront_offset 0
		.amdhsa_system_sgpr_workgroup_id_x 1
		.amdhsa_system_sgpr_workgroup_id_y 0
		.amdhsa_system_sgpr_workgroup_id_z 0
		.amdhsa_system_sgpr_workgroup_info 0
		.amdhsa_system_vgpr_workitem_id 0
		.amdhsa_next_free_vgpr 1
		.amdhsa_next_free_sgpr 0
		.amdhsa_accum_offset 4
		.amdhsa_reserve_vcc 0
		.amdhsa_reserve_flat_scratch 0
		.amdhsa_float_round_mode_32 0
		.amdhsa_float_round_mode_16_64 0
		.amdhsa_float_denorm_mode_32 3
		.amdhsa_float_denorm_mode_16_64 3
		.amdhsa_dx10_clamp 1
		.amdhsa_ieee_mode 1
		.amdhsa_fp16_overflow 0
		.amdhsa_tg_split 0
		.amdhsa_exception_fp_ieee_invalid_op 0
		.amdhsa_exception_fp_denorm_src 0
		.amdhsa_exception_fp_ieee_div_zero 0
		.amdhsa_exception_fp_ieee_overflow 0
		.amdhsa_exception_fp_ieee_underflow 0
		.amdhsa_exception_fp_ieee_inexact 0
		.amdhsa_exception_int_div_zero 0
	.end_amdhsa_kernel
	.section	.text._ZN7rocprim17ROCPRIM_400000_NS6detail44device_merge_sort_compile_time_verifier_archINS1_11comp_targetILNS1_3genE5ELNS1_11target_archE942ELNS1_3gpuE9ELNS1_3repE0EEES8_NS1_28merge_sort_block_sort_configILj256ELj4ELNS0_20block_sort_algorithmE0EEENS0_14default_configENS1_37merge_sort_block_sort_config_selectorItNS0_10empty_typeEEENS1_38merge_sort_block_merge_config_selectorItSE_EEEEvv,"axG",@progbits,_ZN7rocprim17ROCPRIM_400000_NS6detail44device_merge_sort_compile_time_verifier_archINS1_11comp_targetILNS1_3genE5ELNS1_11target_archE942ELNS1_3gpuE9ELNS1_3repE0EEES8_NS1_28merge_sort_block_sort_configILj256ELj4ELNS0_20block_sort_algorithmE0EEENS0_14default_configENS1_37merge_sort_block_sort_config_selectorItNS0_10empty_typeEEENS1_38merge_sort_block_merge_config_selectorItSE_EEEEvv,comdat
.Lfunc_end1198:
	.size	_ZN7rocprim17ROCPRIM_400000_NS6detail44device_merge_sort_compile_time_verifier_archINS1_11comp_targetILNS1_3genE5ELNS1_11target_archE942ELNS1_3gpuE9ELNS1_3repE0EEES8_NS1_28merge_sort_block_sort_configILj256ELj4ELNS0_20block_sort_algorithmE0EEENS0_14default_configENS1_37merge_sort_block_sort_config_selectorItNS0_10empty_typeEEENS1_38merge_sort_block_merge_config_selectorItSE_EEEEvv, .Lfunc_end1198-_ZN7rocprim17ROCPRIM_400000_NS6detail44device_merge_sort_compile_time_verifier_archINS1_11comp_targetILNS1_3genE5ELNS1_11target_archE942ELNS1_3gpuE9ELNS1_3repE0EEES8_NS1_28merge_sort_block_sort_configILj256ELj4ELNS0_20block_sort_algorithmE0EEENS0_14default_configENS1_37merge_sort_block_sort_config_selectorItNS0_10empty_typeEEENS1_38merge_sort_block_merge_config_selectorItSE_EEEEvv
                                        ; -- End function
	.section	.AMDGPU.csdata,"",@progbits
; Kernel info:
; codeLenInByte = 4
; NumSgprs: 4
; NumVgprs: 0
; NumAgprs: 0
; TotalNumVgprs: 0
; ScratchSize: 0
; MemoryBound: 0
; FloatMode: 240
; IeeeMode: 1
; LDSByteSize: 0 bytes/workgroup (compile time only)
; SGPRBlocks: 0
; VGPRBlocks: 0
; NumSGPRsForWavesPerEU: 4
; NumVGPRsForWavesPerEU: 1
; AccumOffset: 4
; Occupancy: 8
; WaveLimiterHint : 0
; COMPUTE_PGM_RSRC2:SCRATCH_EN: 0
; COMPUTE_PGM_RSRC2:USER_SGPR: 4
; COMPUTE_PGM_RSRC2:TRAP_HANDLER: 0
; COMPUTE_PGM_RSRC2:TGID_X_EN: 1
; COMPUTE_PGM_RSRC2:TGID_Y_EN: 0
; COMPUTE_PGM_RSRC2:TGID_Z_EN: 0
; COMPUTE_PGM_RSRC2:TIDIG_COMP_CNT: 0
; COMPUTE_PGM_RSRC3_GFX90A:ACCUM_OFFSET: 0
; COMPUTE_PGM_RSRC3_GFX90A:TG_SPLIT: 0
	.section	.text._ZN7rocprim17ROCPRIM_400000_NS6detail44device_merge_sort_compile_time_verifier_archINS1_11comp_targetILNS1_3genE4ELNS1_11target_archE910ELNS1_3gpuE8ELNS1_3repE0EEES8_NS1_28merge_sort_block_sort_configILj256ELj4ELNS0_20block_sort_algorithmE0EEENS0_14default_configENS1_37merge_sort_block_sort_config_selectorItNS0_10empty_typeEEENS1_38merge_sort_block_merge_config_selectorItSE_EEEEvv,"axG",@progbits,_ZN7rocprim17ROCPRIM_400000_NS6detail44device_merge_sort_compile_time_verifier_archINS1_11comp_targetILNS1_3genE4ELNS1_11target_archE910ELNS1_3gpuE8ELNS1_3repE0EEES8_NS1_28merge_sort_block_sort_configILj256ELj4ELNS0_20block_sort_algorithmE0EEENS0_14default_configENS1_37merge_sort_block_sort_config_selectorItNS0_10empty_typeEEENS1_38merge_sort_block_merge_config_selectorItSE_EEEEvv,comdat
	.protected	_ZN7rocprim17ROCPRIM_400000_NS6detail44device_merge_sort_compile_time_verifier_archINS1_11comp_targetILNS1_3genE4ELNS1_11target_archE910ELNS1_3gpuE8ELNS1_3repE0EEES8_NS1_28merge_sort_block_sort_configILj256ELj4ELNS0_20block_sort_algorithmE0EEENS0_14default_configENS1_37merge_sort_block_sort_config_selectorItNS0_10empty_typeEEENS1_38merge_sort_block_merge_config_selectorItSE_EEEEvv ; -- Begin function _ZN7rocprim17ROCPRIM_400000_NS6detail44device_merge_sort_compile_time_verifier_archINS1_11comp_targetILNS1_3genE4ELNS1_11target_archE910ELNS1_3gpuE8ELNS1_3repE0EEES8_NS1_28merge_sort_block_sort_configILj256ELj4ELNS0_20block_sort_algorithmE0EEENS0_14default_configENS1_37merge_sort_block_sort_config_selectorItNS0_10empty_typeEEENS1_38merge_sort_block_merge_config_selectorItSE_EEEEvv
	.globl	_ZN7rocprim17ROCPRIM_400000_NS6detail44device_merge_sort_compile_time_verifier_archINS1_11comp_targetILNS1_3genE4ELNS1_11target_archE910ELNS1_3gpuE8ELNS1_3repE0EEES8_NS1_28merge_sort_block_sort_configILj256ELj4ELNS0_20block_sort_algorithmE0EEENS0_14default_configENS1_37merge_sort_block_sort_config_selectorItNS0_10empty_typeEEENS1_38merge_sort_block_merge_config_selectorItSE_EEEEvv
	.p2align	8
	.type	_ZN7rocprim17ROCPRIM_400000_NS6detail44device_merge_sort_compile_time_verifier_archINS1_11comp_targetILNS1_3genE4ELNS1_11target_archE910ELNS1_3gpuE8ELNS1_3repE0EEES8_NS1_28merge_sort_block_sort_configILj256ELj4ELNS0_20block_sort_algorithmE0EEENS0_14default_configENS1_37merge_sort_block_sort_config_selectorItNS0_10empty_typeEEENS1_38merge_sort_block_merge_config_selectorItSE_EEEEvv,@function
_ZN7rocprim17ROCPRIM_400000_NS6detail44device_merge_sort_compile_time_verifier_archINS1_11comp_targetILNS1_3genE4ELNS1_11target_archE910ELNS1_3gpuE8ELNS1_3repE0EEES8_NS1_28merge_sort_block_sort_configILj256ELj4ELNS0_20block_sort_algorithmE0EEENS0_14default_configENS1_37merge_sort_block_sort_config_selectorItNS0_10empty_typeEEENS1_38merge_sort_block_merge_config_selectorItSE_EEEEvv: ; @_ZN7rocprim17ROCPRIM_400000_NS6detail44device_merge_sort_compile_time_verifier_archINS1_11comp_targetILNS1_3genE4ELNS1_11target_archE910ELNS1_3gpuE8ELNS1_3repE0EEES8_NS1_28merge_sort_block_sort_configILj256ELj4ELNS0_20block_sort_algorithmE0EEENS0_14default_configENS1_37merge_sort_block_sort_config_selectorItNS0_10empty_typeEEENS1_38merge_sort_block_merge_config_selectorItSE_EEEEvv
; %bb.0:
	s_endpgm
	.section	.rodata,"a",@progbits
	.p2align	6, 0x0
	.amdhsa_kernel _ZN7rocprim17ROCPRIM_400000_NS6detail44device_merge_sort_compile_time_verifier_archINS1_11comp_targetILNS1_3genE4ELNS1_11target_archE910ELNS1_3gpuE8ELNS1_3repE0EEES8_NS1_28merge_sort_block_sort_configILj256ELj4ELNS0_20block_sort_algorithmE0EEENS0_14default_configENS1_37merge_sort_block_sort_config_selectorItNS0_10empty_typeEEENS1_38merge_sort_block_merge_config_selectorItSE_EEEEvv
		.amdhsa_group_segment_fixed_size 0
		.amdhsa_private_segment_fixed_size 0
		.amdhsa_kernarg_size 0
		.amdhsa_user_sgpr_count 4
		.amdhsa_user_sgpr_private_segment_buffer 1
		.amdhsa_user_sgpr_dispatch_ptr 0
		.amdhsa_user_sgpr_queue_ptr 0
		.amdhsa_user_sgpr_kernarg_segment_ptr 0
		.amdhsa_user_sgpr_dispatch_id 0
		.amdhsa_user_sgpr_flat_scratch_init 0
		.amdhsa_user_sgpr_kernarg_preload_length 0
		.amdhsa_user_sgpr_kernarg_preload_offset 0
		.amdhsa_user_sgpr_private_segment_size 0
		.amdhsa_uses_dynamic_stack 0
		.amdhsa_system_sgpr_private_segment_wavefront_offset 0
		.amdhsa_system_sgpr_workgroup_id_x 1
		.amdhsa_system_sgpr_workgroup_id_y 0
		.amdhsa_system_sgpr_workgroup_id_z 0
		.amdhsa_system_sgpr_workgroup_info 0
		.amdhsa_system_vgpr_workitem_id 0
		.amdhsa_next_free_vgpr 1
		.amdhsa_next_free_sgpr 0
		.amdhsa_accum_offset 4
		.amdhsa_reserve_vcc 0
		.amdhsa_reserve_flat_scratch 0
		.amdhsa_float_round_mode_32 0
		.amdhsa_float_round_mode_16_64 0
		.amdhsa_float_denorm_mode_32 3
		.amdhsa_float_denorm_mode_16_64 3
		.amdhsa_dx10_clamp 1
		.amdhsa_ieee_mode 1
		.amdhsa_fp16_overflow 0
		.amdhsa_tg_split 0
		.amdhsa_exception_fp_ieee_invalid_op 0
		.amdhsa_exception_fp_denorm_src 0
		.amdhsa_exception_fp_ieee_div_zero 0
		.amdhsa_exception_fp_ieee_overflow 0
		.amdhsa_exception_fp_ieee_underflow 0
		.amdhsa_exception_fp_ieee_inexact 0
		.amdhsa_exception_int_div_zero 0
	.end_amdhsa_kernel
	.section	.text._ZN7rocprim17ROCPRIM_400000_NS6detail44device_merge_sort_compile_time_verifier_archINS1_11comp_targetILNS1_3genE4ELNS1_11target_archE910ELNS1_3gpuE8ELNS1_3repE0EEES8_NS1_28merge_sort_block_sort_configILj256ELj4ELNS0_20block_sort_algorithmE0EEENS0_14default_configENS1_37merge_sort_block_sort_config_selectorItNS0_10empty_typeEEENS1_38merge_sort_block_merge_config_selectorItSE_EEEEvv,"axG",@progbits,_ZN7rocprim17ROCPRIM_400000_NS6detail44device_merge_sort_compile_time_verifier_archINS1_11comp_targetILNS1_3genE4ELNS1_11target_archE910ELNS1_3gpuE8ELNS1_3repE0EEES8_NS1_28merge_sort_block_sort_configILj256ELj4ELNS0_20block_sort_algorithmE0EEENS0_14default_configENS1_37merge_sort_block_sort_config_selectorItNS0_10empty_typeEEENS1_38merge_sort_block_merge_config_selectorItSE_EEEEvv,comdat
.Lfunc_end1199:
	.size	_ZN7rocprim17ROCPRIM_400000_NS6detail44device_merge_sort_compile_time_verifier_archINS1_11comp_targetILNS1_3genE4ELNS1_11target_archE910ELNS1_3gpuE8ELNS1_3repE0EEES8_NS1_28merge_sort_block_sort_configILj256ELj4ELNS0_20block_sort_algorithmE0EEENS0_14default_configENS1_37merge_sort_block_sort_config_selectorItNS0_10empty_typeEEENS1_38merge_sort_block_merge_config_selectorItSE_EEEEvv, .Lfunc_end1199-_ZN7rocprim17ROCPRIM_400000_NS6detail44device_merge_sort_compile_time_verifier_archINS1_11comp_targetILNS1_3genE4ELNS1_11target_archE910ELNS1_3gpuE8ELNS1_3repE0EEES8_NS1_28merge_sort_block_sort_configILj256ELj4ELNS0_20block_sort_algorithmE0EEENS0_14default_configENS1_37merge_sort_block_sort_config_selectorItNS0_10empty_typeEEENS1_38merge_sort_block_merge_config_selectorItSE_EEEEvv
                                        ; -- End function
	.section	.AMDGPU.csdata,"",@progbits
; Kernel info:
; codeLenInByte = 4
; NumSgprs: 4
; NumVgprs: 0
; NumAgprs: 0
; TotalNumVgprs: 0
; ScratchSize: 0
; MemoryBound: 0
; FloatMode: 240
; IeeeMode: 1
; LDSByteSize: 0 bytes/workgroup (compile time only)
; SGPRBlocks: 0
; VGPRBlocks: 0
; NumSGPRsForWavesPerEU: 4
; NumVGPRsForWavesPerEU: 1
; AccumOffset: 4
; Occupancy: 8
; WaveLimiterHint : 0
; COMPUTE_PGM_RSRC2:SCRATCH_EN: 0
; COMPUTE_PGM_RSRC2:USER_SGPR: 4
; COMPUTE_PGM_RSRC2:TRAP_HANDLER: 0
; COMPUTE_PGM_RSRC2:TGID_X_EN: 1
; COMPUTE_PGM_RSRC2:TGID_Y_EN: 0
; COMPUTE_PGM_RSRC2:TGID_Z_EN: 0
; COMPUTE_PGM_RSRC2:TIDIG_COMP_CNT: 0
; COMPUTE_PGM_RSRC3_GFX90A:ACCUM_OFFSET: 0
; COMPUTE_PGM_RSRC3_GFX90A:TG_SPLIT: 0
	.section	.text._ZN7rocprim17ROCPRIM_400000_NS6detail44device_merge_sort_compile_time_verifier_archINS1_11comp_targetILNS1_3genE3ELNS1_11target_archE908ELNS1_3gpuE7ELNS1_3repE0EEES8_NS1_28merge_sort_block_sort_configILj256ELj4ELNS0_20block_sort_algorithmE0EEENS0_14default_configENS1_37merge_sort_block_sort_config_selectorItNS0_10empty_typeEEENS1_38merge_sort_block_merge_config_selectorItSE_EEEEvv,"axG",@progbits,_ZN7rocprim17ROCPRIM_400000_NS6detail44device_merge_sort_compile_time_verifier_archINS1_11comp_targetILNS1_3genE3ELNS1_11target_archE908ELNS1_3gpuE7ELNS1_3repE0EEES8_NS1_28merge_sort_block_sort_configILj256ELj4ELNS0_20block_sort_algorithmE0EEENS0_14default_configENS1_37merge_sort_block_sort_config_selectorItNS0_10empty_typeEEENS1_38merge_sort_block_merge_config_selectorItSE_EEEEvv,comdat
	.protected	_ZN7rocprim17ROCPRIM_400000_NS6detail44device_merge_sort_compile_time_verifier_archINS1_11comp_targetILNS1_3genE3ELNS1_11target_archE908ELNS1_3gpuE7ELNS1_3repE0EEES8_NS1_28merge_sort_block_sort_configILj256ELj4ELNS0_20block_sort_algorithmE0EEENS0_14default_configENS1_37merge_sort_block_sort_config_selectorItNS0_10empty_typeEEENS1_38merge_sort_block_merge_config_selectorItSE_EEEEvv ; -- Begin function _ZN7rocprim17ROCPRIM_400000_NS6detail44device_merge_sort_compile_time_verifier_archINS1_11comp_targetILNS1_3genE3ELNS1_11target_archE908ELNS1_3gpuE7ELNS1_3repE0EEES8_NS1_28merge_sort_block_sort_configILj256ELj4ELNS0_20block_sort_algorithmE0EEENS0_14default_configENS1_37merge_sort_block_sort_config_selectorItNS0_10empty_typeEEENS1_38merge_sort_block_merge_config_selectorItSE_EEEEvv
	.globl	_ZN7rocprim17ROCPRIM_400000_NS6detail44device_merge_sort_compile_time_verifier_archINS1_11comp_targetILNS1_3genE3ELNS1_11target_archE908ELNS1_3gpuE7ELNS1_3repE0EEES8_NS1_28merge_sort_block_sort_configILj256ELj4ELNS0_20block_sort_algorithmE0EEENS0_14default_configENS1_37merge_sort_block_sort_config_selectorItNS0_10empty_typeEEENS1_38merge_sort_block_merge_config_selectorItSE_EEEEvv
	.p2align	8
	.type	_ZN7rocprim17ROCPRIM_400000_NS6detail44device_merge_sort_compile_time_verifier_archINS1_11comp_targetILNS1_3genE3ELNS1_11target_archE908ELNS1_3gpuE7ELNS1_3repE0EEES8_NS1_28merge_sort_block_sort_configILj256ELj4ELNS0_20block_sort_algorithmE0EEENS0_14default_configENS1_37merge_sort_block_sort_config_selectorItNS0_10empty_typeEEENS1_38merge_sort_block_merge_config_selectorItSE_EEEEvv,@function
_ZN7rocprim17ROCPRIM_400000_NS6detail44device_merge_sort_compile_time_verifier_archINS1_11comp_targetILNS1_3genE3ELNS1_11target_archE908ELNS1_3gpuE7ELNS1_3repE0EEES8_NS1_28merge_sort_block_sort_configILj256ELj4ELNS0_20block_sort_algorithmE0EEENS0_14default_configENS1_37merge_sort_block_sort_config_selectorItNS0_10empty_typeEEENS1_38merge_sort_block_merge_config_selectorItSE_EEEEvv: ; @_ZN7rocprim17ROCPRIM_400000_NS6detail44device_merge_sort_compile_time_verifier_archINS1_11comp_targetILNS1_3genE3ELNS1_11target_archE908ELNS1_3gpuE7ELNS1_3repE0EEES8_NS1_28merge_sort_block_sort_configILj256ELj4ELNS0_20block_sort_algorithmE0EEENS0_14default_configENS1_37merge_sort_block_sort_config_selectorItNS0_10empty_typeEEENS1_38merge_sort_block_merge_config_selectorItSE_EEEEvv
; %bb.0:
	s_endpgm
	.section	.rodata,"a",@progbits
	.p2align	6, 0x0
	.amdhsa_kernel _ZN7rocprim17ROCPRIM_400000_NS6detail44device_merge_sort_compile_time_verifier_archINS1_11comp_targetILNS1_3genE3ELNS1_11target_archE908ELNS1_3gpuE7ELNS1_3repE0EEES8_NS1_28merge_sort_block_sort_configILj256ELj4ELNS0_20block_sort_algorithmE0EEENS0_14default_configENS1_37merge_sort_block_sort_config_selectorItNS0_10empty_typeEEENS1_38merge_sort_block_merge_config_selectorItSE_EEEEvv
		.amdhsa_group_segment_fixed_size 0
		.amdhsa_private_segment_fixed_size 0
		.amdhsa_kernarg_size 0
		.amdhsa_user_sgpr_count 4
		.amdhsa_user_sgpr_private_segment_buffer 1
		.amdhsa_user_sgpr_dispatch_ptr 0
		.amdhsa_user_sgpr_queue_ptr 0
		.amdhsa_user_sgpr_kernarg_segment_ptr 0
		.amdhsa_user_sgpr_dispatch_id 0
		.amdhsa_user_sgpr_flat_scratch_init 0
		.amdhsa_user_sgpr_kernarg_preload_length 0
		.amdhsa_user_sgpr_kernarg_preload_offset 0
		.amdhsa_user_sgpr_private_segment_size 0
		.amdhsa_uses_dynamic_stack 0
		.amdhsa_system_sgpr_private_segment_wavefront_offset 0
		.amdhsa_system_sgpr_workgroup_id_x 1
		.amdhsa_system_sgpr_workgroup_id_y 0
		.amdhsa_system_sgpr_workgroup_id_z 0
		.amdhsa_system_sgpr_workgroup_info 0
		.amdhsa_system_vgpr_workitem_id 0
		.amdhsa_next_free_vgpr 1
		.amdhsa_next_free_sgpr 0
		.amdhsa_accum_offset 4
		.amdhsa_reserve_vcc 0
		.amdhsa_reserve_flat_scratch 0
		.amdhsa_float_round_mode_32 0
		.amdhsa_float_round_mode_16_64 0
		.amdhsa_float_denorm_mode_32 3
		.amdhsa_float_denorm_mode_16_64 3
		.amdhsa_dx10_clamp 1
		.amdhsa_ieee_mode 1
		.amdhsa_fp16_overflow 0
		.amdhsa_tg_split 0
		.amdhsa_exception_fp_ieee_invalid_op 0
		.amdhsa_exception_fp_denorm_src 0
		.amdhsa_exception_fp_ieee_div_zero 0
		.amdhsa_exception_fp_ieee_overflow 0
		.amdhsa_exception_fp_ieee_underflow 0
		.amdhsa_exception_fp_ieee_inexact 0
		.amdhsa_exception_int_div_zero 0
	.end_amdhsa_kernel
	.section	.text._ZN7rocprim17ROCPRIM_400000_NS6detail44device_merge_sort_compile_time_verifier_archINS1_11comp_targetILNS1_3genE3ELNS1_11target_archE908ELNS1_3gpuE7ELNS1_3repE0EEES8_NS1_28merge_sort_block_sort_configILj256ELj4ELNS0_20block_sort_algorithmE0EEENS0_14default_configENS1_37merge_sort_block_sort_config_selectorItNS0_10empty_typeEEENS1_38merge_sort_block_merge_config_selectorItSE_EEEEvv,"axG",@progbits,_ZN7rocprim17ROCPRIM_400000_NS6detail44device_merge_sort_compile_time_verifier_archINS1_11comp_targetILNS1_3genE3ELNS1_11target_archE908ELNS1_3gpuE7ELNS1_3repE0EEES8_NS1_28merge_sort_block_sort_configILj256ELj4ELNS0_20block_sort_algorithmE0EEENS0_14default_configENS1_37merge_sort_block_sort_config_selectorItNS0_10empty_typeEEENS1_38merge_sort_block_merge_config_selectorItSE_EEEEvv,comdat
.Lfunc_end1200:
	.size	_ZN7rocprim17ROCPRIM_400000_NS6detail44device_merge_sort_compile_time_verifier_archINS1_11comp_targetILNS1_3genE3ELNS1_11target_archE908ELNS1_3gpuE7ELNS1_3repE0EEES8_NS1_28merge_sort_block_sort_configILj256ELj4ELNS0_20block_sort_algorithmE0EEENS0_14default_configENS1_37merge_sort_block_sort_config_selectorItNS0_10empty_typeEEENS1_38merge_sort_block_merge_config_selectorItSE_EEEEvv, .Lfunc_end1200-_ZN7rocprim17ROCPRIM_400000_NS6detail44device_merge_sort_compile_time_verifier_archINS1_11comp_targetILNS1_3genE3ELNS1_11target_archE908ELNS1_3gpuE7ELNS1_3repE0EEES8_NS1_28merge_sort_block_sort_configILj256ELj4ELNS0_20block_sort_algorithmE0EEENS0_14default_configENS1_37merge_sort_block_sort_config_selectorItNS0_10empty_typeEEENS1_38merge_sort_block_merge_config_selectorItSE_EEEEvv
                                        ; -- End function
	.section	.AMDGPU.csdata,"",@progbits
; Kernel info:
; codeLenInByte = 4
; NumSgprs: 4
; NumVgprs: 0
; NumAgprs: 0
; TotalNumVgprs: 0
; ScratchSize: 0
; MemoryBound: 0
; FloatMode: 240
; IeeeMode: 1
; LDSByteSize: 0 bytes/workgroup (compile time only)
; SGPRBlocks: 0
; VGPRBlocks: 0
; NumSGPRsForWavesPerEU: 4
; NumVGPRsForWavesPerEU: 1
; AccumOffset: 4
; Occupancy: 8
; WaveLimiterHint : 0
; COMPUTE_PGM_RSRC2:SCRATCH_EN: 0
; COMPUTE_PGM_RSRC2:USER_SGPR: 4
; COMPUTE_PGM_RSRC2:TRAP_HANDLER: 0
; COMPUTE_PGM_RSRC2:TGID_X_EN: 1
; COMPUTE_PGM_RSRC2:TGID_Y_EN: 0
; COMPUTE_PGM_RSRC2:TGID_Z_EN: 0
; COMPUTE_PGM_RSRC2:TIDIG_COMP_CNT: 0
; COMPUTE_PGM_RSRC3_GFX90A:ACCUM_OFFSET: 0
; COMPUTE_PGM_RSRC3_GFX90A:TG_SPLIT: 0
	.section	.text._ZN7rocprim17ROCPRIM_400000_NS6detail44device_merge_sort_compile_time_verifier_archINS1_11comp_targetILNS1_3genE2ELNS1_11target_archE906ELNS1_3gpuE6ELNS1_3repE0EEES8_NS1_28merge_sort_block_sort_configILj256ELj4ELNS0_20block_sort_algorithmE0EEENS0_14default_configENS1_37merge_sort_block_sort_config_selectorItNS0_10empty_typeEEENS1_38merge_sort_block_merge_config_selectorItSE_EEEEvv,"axG",@progbits,_ZN7rocprim17ROCPRIM_400000_NS6detail44device_merge_sort_compile_time_verifier_archINS1_11comp_targetILNS1_3genE2ELNS1_11target_archE906ELNS1_3gpuE6ELNS1_3repE0EEES8_NS1_28merge_sort_block_sort_configILj256ELj4ELNS0_20block_sort_algorithmE0EEENS0_14default_configENS1_37merge_sort_block_sort_config_selectorItNS0_10empty_typeEEENS1_38merge_sort_block_merge_config_selectorItSE_EEEEvv,comdat
	.protected	_ZN7rocprim17ROCPRIM_400000_NS6detail44device_merge_sort_compile_time_verifier_archINS1_11comp_targetILNS1_3genE2ELNS1_11target_archE906ELNS1_3gpuE6ELNS1_3repE0EEES8_NS1_28merge_sort_block_sort_configILj256ELj4ELNS0_20block_sort_algorithmE0EEENS0_14default_configENS1_37merge_sort_block_sort_config_selectorItNS0_10empty_typeEEENS1_38merge_sort_block_merge_config_selectorItSE_EEEEvv ; -- Begin function _ZN7rocprim17ROCPRIM_400000_NS6detail44device_merge_sort_compile_time_verifier_archINS1_11comp_targetILNS1_3genE2ELNS1_11target_archE906ELNS1_3gpuE6ELNS1_3repE0EEES8_NS1_28merge_sort_block_sort_configILj256ELj4ELNS0_20block_sort_algorithmE0EEENS0_14default_configENS1_37merge_sort_block_sort_config_selectorItNS0_10empty_typeEEENS1_38merge_sort_block_merge_config_selectorItSE_EEEEvv
	.globl	_ZN7rocprim17ROCPRIM_400000_NS6detail44device_merge_sort_compile_time_verifier_archINS1_11comp_targetILNS1_3genE2ELNS1_11target_archE906ELNS1_3gpuE6ELNS1_3repE0EEES8_NS1_28merge_sort_block_sort_configILj256ELj4ELNS0_20block_sort_algorithmE0EEENS0_14default_configENS1_37merge_sort_block_sort_config_selectorItNS0_10empty_typeEEENS1_38merge_sort_block_merge_config_selectorItSE_EEEEvv
	.p2align	8
	.type	_ZN7rocprim17ROCPRIM_400000_NS6detail44device_merge_sort_compile_time_verifier_archINS1_11comp_targetILNS1_3genE2ELNS1_11target_archE906ELNS1_3gpuE6ELNS1_3repE0EEES8_NS1_28merge_sort_block_sort_configILj256ELj4ELNS0_20block_sort_algorithmE0EEENS0_14default_configENS1_37merge_sort_block_sort_config_selectorItNS0_10empty_typeEEENS1_38merge_sort_block_merge_config_selectorItSE_EEEEvv,@function
_ZN7rocprim17ROCPRIM_400000_NS6detail44device_merge_sort_compile_time_verifier_archINS1_11comp_targetILNS1_3genE2ELNS1_11target_archE906ELNS1_3gpuE6ELNS1_3repE0EEES8_NS1_28merge_sort_block_sort_configILj256ELj4ELNS0_20block_sort_algorithmE0EEENS0_14default_configENS1_37merge_sort_block_sort_config_selectorItNS0_10empty_typeEEENS1_38merge_sort_block_merge_config_selectorItSE_EEEEvv: ; @_ZN7rocprim17ROCPRIM_400000_NS6detail44device_merge_sort_compile_time_verifier_archINS1_11comp_targetILNS1_3genE2ELNS1_11target_archE906ELNS1_3gpuE6ELNS1_3repE0EEES8_NS1_28merge_sort_block_sort_configILj256ELj4ELNS0_20block_sort_algorithmE0EEENS0_14default_configENS1_37merge_sort_block_sort_config_selectorItNS0_10empty_typeEEENS1_38merge_sort_block_merge_config_selectorItSE_EEEEvv
; %bb.0:
	s_endpgm
	.section	.rodata,"a",@progbits
	.p2align	6, 0x0
	.amdhsa_kernel _ZN7rocprim17ROCPRIM_400000_NS6detail44device_merge_sort_compile_time_verifier_archINS1_11comp_targetILNS1_3genE2ELNS1_11target_archE906ELNS1_3gpuE6ELNS1_3repE0EEES8_NS1_28merge_sort_block_sort_configILj256ELj4ELNS0_20block_sort_algorithmE0EEENS0_14default_configENS1_37merge_sort_block_sort_config_selectorItNS0_10empty_typeEEENS1_38merge_sort_block_merge_config_selectorItSE_EEEEvv
		.amdhsa_group_segment_fixed_size 0
		.amdhsa_private_segment_fixed_size 0
		.amdhsa_kernarg_size 0
		.amdhsa_user_sgpr_count 4
		.amdhsa_user_sgpr_private_segment_buffer 1
		.amdhsa_user_sgpr_dispatch_ptr 0
		.amdhsa_user_sgpr_queue_ptr 0
		.amdhsa_user_sgpr_kernarg_segment_ptr 0
		.amdhsa_user_sgpr_dispatch_id 0
		.amdhsa_user_sgpr_flat_scratch_init 0
		.amdhsa_user_sgpr_kernarg_preload_length 0
		.amdhsa_user_sgpr_kernarg_preload_offset 0
		.amdhsa_user_sgpr_private_segment_size 0
		.amdhsa_uses_dynamic_stack 0
		.amdhsa_system_sgpr_private_segment_wavefront_offset 0
		.amdhsa_system_sgpr_workgroup_id_x 1
		.amdhsa_system_sgpr_workgroup_id_y 0
		.amdhsa_system_sgpr_workgroup_id_z 0
		.amdhsa_system_sgpr_workgroup_info 0
		.amdhsa_system_vgpr_workitem_id 0
		.amdhsa_next_free_vgpr 1
		.amdhsa_next_free_sgpr 0
		.amdhsa_accum_offset 4
		.amdhsa_reserve_vcc 0
		.amdhsa_reserve_flat_scratch 0
		.amdhsa_float_round_mode_32 0
		.amdhsa_float_round_mode_16_64 0
		.amdhsa_float_denorm_mode_32 3
		.amdhsa_float_denorm_mode_16_64 3
		.amdhsa_dx10_clamp 1
		.amdhsa_ieee_mode 1
		.amdhsa_fp16_overflow 0
		.amdhsa_tg_split 0
		.amdhsa_exception_fp_ieee_invalid_op 0
		.amdhsa_exception_fp_denorm_src 0
		.amdhsa_exception_fp_ieee_div_zero 0
		.amdhsa_exception_fp_ieee_overflow 0
		.amdhsa_exception_fp_ieee_underflow 0
		.amdhsa_exception_fp_ieee_inexact 0
		.amdhsa_exception_int_div_zero 0
	.end_amdhsa_kernel
	.section	.text._ZN7rocprim17ROCPRIM_400000_NS6detail44device_merge_sort_compile_time_verifier_archINS1_11comp_targetILNS1_3genE2ELNS1_11target_archE906ELNS1_3gpuE6ELNS1_3repE0EEES8_NS1_28merge_sort_block_sort_configILj256ELj4ELNS0_20block_sort_algorithmE0EEENS0_14default_configENS1_37merge_sort_block_sort_config_selectorItNS0_10empty_typeEEENS1_38merge_sort_block_merge_config_selectorItSE_EEEEvv,"axG",@progbits,_ZN7rocprim17ROCPRIM_400000_NS6detail44device_merge_sort_compile_time_verifier_archINS1_11comp_targetILNS1_3genE2ELNS1_11target_archE906ELNS1_3gpuE6ELNS1_3repE0EEES8_NS1_28merge_sort_block_sort_configILj256ELj4ELNS0_20block_sort_algorithmE0EEENS0_14default_configENS1_37merge_sort_block_sort_config_selectorItNS0_10empty_typeEEENS1_38merge_sort_block_merge_config_selectorItSE_EEEEvv,comdat
.Lfunc_end1201:
	.size	_ZN7rocprim17ROCPRIM_400000_NS6detail44device_merge_sort_compile_time_verifier_archINS1_11comp_targetILNS1_3genE2ELNS1_11target_archE906ELNS1_3gpuE6ELNS1_3repE0EEES8_NS1_28merge_sort_block_sort_configILj256ELj4ELNS0_20block_sort_algorithmE0EEENS0_14default_configENS1_37merge_sort_block_sort_config_selectorItNS0_10empty_typeEEENS1_38merge_sort_block_merge_config_selectorItSE_EEEEvv, .Lfunc_end1201-_ZN7rocprim17ROCPRIM_400000_NS6detail44device_merge_sort_compile_time_verifier_archINS1_11comp_targetILNS1_3genE2ELNS1_11target_archE906ELNS1_3gpuE6ELNS1_3repE0EEES8_NS1_28merge_sort_block_sort_configILj256ELj4ELNS0_20block_sort_algorithmE0EEENS0_14default_configENS1_37merge_sort_block_sort_config_selectorItNS0_10empty_typeEEENS1_38merge_sort_block_merge_config_selectorItSE_EEEEvv
                                        ; -- End function
	.section	.AMDGPU.csdata,"",@progbits
; Kernel info:
; codeLenInByte = 4
; NumSgprs: 4
; NumVgprs: 0
; NumAgprs: 0
; TotalNumVgprs: 0
; ScratchSize: 0
; MemoryBound: 0
; FloatMode: 240
; IeeeMode: 1
; LDSByteSize: 0 bytes/workgroup (compile time only)
; SGPRBlocks: 0
; VGPRBlocks: 0
; NumSGPRsForWavesPerEU: 4
; NumVGPRsForWavesPerEU: 1
; AccumOffset: 4
; Occupancy: 8
; WaveLimiterHint : 0
; COMPUTE_PGM_RSRC2:SCRATCH_EN: 0
; COMPUTE_PGM_RSRC2:USER_SGPR: 4
; COMPUTE_PGM_RSRC2:TRAP_HANDLER: 0
; COMPUTE_PGM_RSRC2:TGID_X_EN: 1
; COMPUTE_PGM_RSRC2:TGID_Y_EN: 0
; COMPUTE_PGM_RSRC2:TGID_Z_EN: 0
; COMPUTE_PGM_RSRC2:TIDIG_COMP_CNT: 0
; COMPUTE_PGM_RSRC3_GFX90A:ACCUM_OFFSET: 0
; COMPUTE_PGM_RSRC3_GFX90A:TG_SPLIT: 0
	.section	.text._ZN7rocprim17ROCPRIM_400000_NS6detail44device_merge_sort_compile_time_verifier_archINS1_11comp_targetILNS1_3genE10ELNS1_11target_archE1201ELNS1_3gpuE5ELNS1_3repE0EEES8_NS1_28merge_sort_block_sort_configILj256ELj4ELNS0_20block_sort_algorithmE0EEENS0_14default_configENS1_37merge_sort_block_sort_config_selectorItNS0_10empty_typeEEENS1_38merge_sort_block_merge_config_selectorItSE_EEEEvv,"axG",@progbits,_ZN7rocprim17ROCPRIM_400000_NS6detail44device_merge_sort_compile_time_verifier_archINS1_11comp_targetILNS1_3genE10ELNS1_11target_archE1201ELNS1_3gpuE5ELNS1_3repE0EEES8_NS1_28merge_sort_block_sort_configILj256ELj4ELNS0_20block_sort_algorithmE0EEENS0_14default_configENS1_37merge_sort_block_sort_config_selectorItNS0_10empty_typeEEENS1_38merge_sort_block_merge_config_selectorItSE_EEEEvv,comdat
	.protected	_ZN7rocprim17ROCPRIM_400000_NS6detail44device_merge_sort_compile_time_verifier_archINS1_11comp_targetILNS1_3genE10ELNS1_11target_archE1201ELNS1_3gpuE5ELNS1_3repE0EEES8_NS1_28merge_sort_block_sort_configILj256ELj4ELNS0_20block_sort_algorithmE0EEENS0_14default_configENS1_37merge_sort_block_sort_config_selectorItNS0_10empty_typeEEENS1_38merge_sort_block_merge_config_selectorItSE_EEEEvv ; -- Begin function _ZN7rocprim17ROCPRIM_400000_NS6detail44device_merge_sort_compile_time_verifier_archINS1_11comp_targetILNS1_3genE10ELNS1_11target_archE1201ELNS1_3gpuE5ELNS1_3repE0EEES8_NS1_28merge_sort_block_sort_configILj256ELj4ELNS0_20block_sort_algorithmE0EEENS0_14default_configENS1_37merge_sort_block_sort_config_selectorItNS0_10empty_typeEEENS1_38merge_sort_block_merge_config_selectorItSE_EEEEvv
	.globl	_ZN7rocprim17ROCPRIM_400000_NS6detail44device_merge_sort_compile_time_verifier_archINS1_11comp_targetILNS1_3genE10ELNS1_11target_archE1201ELNS1_3gpuE5ELNS1_3repE0EEES8_NS1_28merge_sort_block_sort_configILj256ELj4ELNS0_20block_sort_algorithmE0EEENS0_14default_configENS1_37merge_sort_block_sort_config_selectorItNS0_10empty_typeEEENS1_38merge_sort_block_merge_config_selectorItSE_EEEEvv
	.p2align	8
	.type	_ZN7rocprim17ROCPRIM_400000_NS6detail44device_merge_sort_compile_time_verifier_archINS1_11comp_targetILNS1_3genE10ELNS1_11target_archE1201ELNS1_3gpuE5ELNS1_3repE0EEES8_NS1_28merge_sort_block_sort_configILj256ELj4ELNS0_20block_sort_algorithmE0EEENS0_14default_configENS1_37merge_sort_block_sort_config_selectorItNS0_10empty_typeEEENS1_38merge_sort_block_merge_config_selectorItSE_EEEEvv,@function
_ZN7rocprim17ROCPRIM_400000_NS6detail44device_merge_sort_compile_time_verifier_archINS1_11comp_targetILNS1_3genE10ELNS1_11target_archE1201ELNS1_3gpuE5ELNS1_3repE0EEES8_NS1_28merge_sort_block_sort_configILj256ELj4ELNS0_20block_sort_algorithmE0EEENS0_14default_configENS1_37merge_sort_block_sort_config_selectorItNS0_10empty_typeEEENS1_38merge_sort_block_merge_config_selectorItSE_EEEEvv: ; @_ZN7rocprim17ROCPRIM_400000_NS6detail44device_merge_sort_compile_time_verifier_archINS1_11comp_targetILNS1_3genE10ELNS1_11target_archE1201ELNS1_3gpuE5ELNS1_3repE0EEES8_NS1_28merge_sort_block_sort_configILj256ELj4ELNS0_20block_sort_algorithmE0EEENS0_14default_configENS1_37merge_sort_block_sort_config_selectorItNS0_10empty_typeEEENS1_38merge_sort_block_merge_config_selectorItSE_EEEEvv
; %bb.0:
	s_endpgm
	.section	.rodata,"a",@progbits
	.p2align	6, 0x0
	.amdhsa_kernel _ZN7rocprim17ROCPRIM_400000_NS6detail44device_merge_sort_compile_time_verifier_archINS1_11comp_targetILNS1_3genE10ELNS1_11target_archE1201ELNS1_3gpuE5ELNS1_3repE0EEES8_NS1_28merge_sort_block_sort_configILj256ELj4ELNS0_20block_sort_algorithmE0EEENS0_14default_configENS1_37merge_sort_block_sort_config_selectorItNS0_10empty_typeEEENS1_38merge_sort_block_merge_config_selectorItSE_EEEEvv
		.amdhsa_group_segment_fixed_size 0
		.amdhsa_private_segment_fixed_size 0
		.amdhsa_kernarg_size 0
		.amdhsa_user_sgpr_count 4
		.amdhsa_user_sgpr_private_segment_buffer 1
		.amdhsa_user_sgpr_dispatch_ptr 0
		.amdhsa_user_sgpr_queue_ptr 0
		.amdhsa_user_sgpr_kernarg_segment_ptr 0
		.amdhsa_user_sgpr_dispatch_id 0
		.amdhsa_user_sgpr_flat_scratch_init 0
		.amdhsa_user_sgpr_kernarg_preload_length 0
		.amdhsa_user_sgpr_kernarg_preload_offset 0
		.amdhsa_user_sgpr_private_segment_size 0
		.amdhsa_uses_dynamic_stack 0
		.amdhsa_system_sgpr_private_segment_wavefront_offset 0
		.amdhsa_system_sgpr_workgroup_id_x 1
		.amdhsa_system_sgpr_workgroup_id_y 0
		.amdhsa_system_sgpr_workgroup_id_z 0
		.amdhsa_system_sgpr_workgroup_info 0
		.amdhsa_system_vgpr_workitem_id 0
		.amdhsa_next_free_vgpr 1
		.amdhsa_next_free_sgpr 0
		.amdhsa_accum_offset 4
		.amdhsa_reserve_vcc 0
		.amdhsa_reserve_flat_scratch 0
		.amdhsa_float_round_mode_32 0
		.amdhsa_float_round_mode_16_64 0
		.amdhsa_float_denorm_mode_32 3
		.amdhsa_float_denorm_mode_16_64 3
		.amdhsa_dx10_clamp 1
		.amdhsa_ieee_mode 1
		.amdhsa_fp16_overflow 0
		.amdhsa_tg_split 0
		.amdhsa_exception_fp_ieee_invalid_op 0
		.amdhsa_exception_fp_denorm_src 0
		.amdhsa_exception_fp_ieee_div_zero 0
		.amdhsa_exception_fp_ieee_overflow 0
		.amdhsa_exception_fp_ieee_underflow 0
		.amdhsa_exception_fp_ieee_inexact 0
		.amdhsa_exception_int_div_zero 0
	.end_amdhsa_kernel
	.section	.text._ZN7rocprim17ROCPRIM_400000_NS6detail44device_merge_sort_compile_time_verifier_archINS1_11comp_targetILNS1_3genE10ELNS1_11target_archE1201ELNS1_3gpuE5ELNS1_3repE0EEES8_NS1_28merge_sort_block_sort_configILj256ELj4ELNS0_20block_sort_algorithmE0EEENS0_14default_configENS1_37merge_sort_block_sort_config_selectorItNS0_10empty_typeEEENS1_38merge_sort_block_merge_config_selectorItSE_EEEEvv,"axG",@progbits,_ZN7rocprim17ROCPRIM_400000_NS6detail44device_merge_sort_compile_time_verifier_archINS1_11comp_targetILNS1_3genE10ELNS1_11target_archE1201ELNS1_3gpuE5ELNS1_3repE0EEES8_NS1_28merge_sort_block_sort_configILj256ELj4ELNS0_20block_sort_algorithmE0EEENS0_14default_configENS1_37merge_sort_block_sort_config_selectorItNS0_10empty_typeEEENS1_38merge_sort_block_merge_config_selectorItSE_EEEEvv,comdat
.Lfunc_end1202:
	.size	_ZN7rocprim17ROCPRIM_400000_NS6detail44device_merge_sort_compile_time_verifier_archINS1_11comp_targetILNS1_3genE10ELNS1_11target_archE1201ELNS1_3gpuE5ELNS1_3repE0EEES8_NS1_28merge_sort_block_sort_configILj256ELj4ELNS0_20block_sort_algorithmE0EEENS0_14default_configENS1_37merge_sort_block_sort_config_selectorItNS0_10empty_typeEEENS1_38merge_sort_block_merge_config_selectorItSE_EEEEvv, .Lfunc_end1202-_ZN7rocprim17ROCPRIM_400000_NS6detail44device_merge_sort_compile_time_verifier_archINS1_11comp_targetILNS1_3genE10ELNS1_11target_archE1201ELNS1_3gpuE5ELNS1_3repE0EEES8_NS1_28merge_sort_block_sort_configILj256ELj4ELNS0_20block_sort_algorithmE0EEENS0_14default_configENS1_37merge_sort_block_sort_config_selectorItNS0_10empty_typeEEENS1_38merge_sort_block_merge_config_selectorItSE_EEEEvv
                                        ; -- End function
	.section	.AMDGPU.csdata,"",@progbits
; Kernel info:
; codeLenInByte = 4
; NumSgprs: 4
; NumVgprs: 0
; NumAgprs: 0
; TotalNumVgprs: 0
; ScratchSize: 0
; MemoryBound: 0
; FloatMode: 240
; IeeeMode: 1
; LDSByteSize: 0 bytes/workgroup (compile time only)
; SGPRBlocks: 0
; VGPRBlocks: 0
; NumSGPRsForWavesPerEU: 4
; NumVGPRsForWavesPerEU: 1
; AccumOffset: 4
; Occupancy: 8
; WaveLimiterHint : 0
; COMPUTE_PGM_RSRC2:SCRATCH_EN: 0
; COMPUTE_PGM_RSRC2:USER_SGPR: 4
; COMPUTE_PGM_RSRC2:TRAP_HANDLER: 0
; COMPUTE_PGM_RSRC2:TGID_X_EN: 1
; COMPUTE_PGM_RSRC2:TGID_Y_EN: 0
; COMPUTE_PGM_RSRC2:TGID_Z_EN: 0
; COMPUTE_PGM_RSRC2:TIDIG_COMP_CNT: 0
; COMPUTE_PGM_RSRC3_GFX90A:ACCUM_OFFSET: 0
; COMPUTE_PGM_RSRC3_GFX90A:TG_SPLIT: 0
	.section	.text._ZN7rocprim17ROCPRIM_400000_NS6detail44device_merge_sort_compile_time_verifier_archINS1_11comp_targetILNS1_3genE10ELNS1_11target_archE1200ELNS1_3gpuE4ELNS1_3repE0EEENS3_ILS4_10ELS5_1201ELS6_5ELS7_0EEENS1_28merge_sort_block_sort_configILj256ELj4ELNS0_20block_sort_algorithmE0EEENS0_14default_configENS1_37merge_sort_block_sort_config_selectorItNS0_10empty_typeEEENS1_38merge_sort_block_merge_config_selectorItSF_EEEEvv,"axG",@progbits,_ZN7rocprim17ROCPRIM_400000_NS6detail44device_merge_sort_compile_time_verifier_archINS1_11comp_targetILNS1_3genE10ELNS1_11target_archE1200ELNS1_3gpuE4ELNS1_3repE0EEENS3_ILS4_10ELS5_1201ELS6_5ELS7_0EEENS1_28merge_sort_block_sort_configILj256ELj4ELNS0_20block_sort_algorithmE0EEENS0_14default_configENS1_37merge_sort_block_sort_config_selectorItNS0_10empty_typeEEENS1_38merge_sort_block_merge_config_selectorItSF_EEEEvv,comdat
	.protected	_ZN7rocprim17ROCPRIM_400000_NS6detail44device_merge_sort_compile_time_verifier_archINS1_11comp_targetILNS1_3genE10ELNS1_11target_archE1200ELNS1_3gpuE4ELNS1_3repE0EEENS3_ILS4_10ELS5_1201ELS6_5ELS7_0EEENS1_28merge_sort_block_sort_configILj256ELj4ELNS0_20block_sort_algorithmE0EEENS0_14default_configENS1_37merge_sort_block_sort_config_selectorItNS0_10empty_typeEEENS1_38merge_sort_block_merge_config_selectorItSF_EEEEvv ; -- Begin function _ZN7rocprim17ROCPRIM_400000_NS6detail44device_merge_sort_compile_time_verifier_archINS1_11comp_targetILNS1_3genE10ELNS1_11target_archE1200ELNS1_3gpuE4ELNS1_3repE0EEENS3_ILS4_10ELS5_1201ELS6_5ELS7_0EEENS1_28merge_sort_block_sort_configILj256ELj4ELNS0_20block_sort_algorithmE0EEENS0_14default_configENS1_37merge_sort_block_sort_config_selectorItNS0_10empty_typeEEENS1_38merge_sort_block_merge_config_selectorItSF_EEEEvv
	.globl	_ZN7rocprim17ROCPRIM_400000_NS6detail44device_merge_sort_compile_time_verifier_archINS1_11comp_targetILNS1_3genE10ELNS1_11target_archE1200ELNS1_3gpuE4ELNS1_3repE0EEENS3_ILS4_10ELS5_1201ELS6_5ELS7_0EEENS1_28merge_sort_block_sort_configILj256ELj4ELNS0_20block_sort_algorithmE0EEENS0_14default_configENS1_37merge_sort_block_sort_config_selectorItNS0_10empty_typeEEENS1_38merge_sort_block_merge_config_selectorItSF_EEEEvv
	.p2align	8
	.type	_ZN7rocprim17ROCPRIM_400000_NS6detail44device_merge_sort_compile_time_verifier_archINS1_11comp_targetILNS1_3genE10ELNS1_11target_archE1200ELNS1_3gpuE4ELNS1_3repE0EEENS3_ILS4_10ELS5_1201ELS6_5ELS7_0EEENS1_28merge_sort_block_sort_configILj256ELj4ELNS0_20block_sort_algorithmE0EEENS0_14default_configENS1_37merge_sort_block_sort_config_selectorItNS0_10empty_typeEEENS1_38merge_sort_block_merge_config_selectorItSF_EEEEvv,@function
_ZN7rocprim17ROCPRIM_400000_NS6detail44device_merge_sort_compile_time_verifier_archINS1_11comp_targetILNS1_3genE10ELNS1_11target_archE1200ELNS1_3gpuE4ELNS1_3repE0EEENS3_ILS4_10ELS5_1201ELS6_5ELS7_0EEENS1_28merge_sort_block_sort_configILj256ELj4ELNS0_20block_sort_algorithmE0EEENS0_14default_configENS1_37merge_sort_block_sort_config_selectorItNS0_10empty_typeEEENS1_38merge_sort_block_merge_config_selectorItSF_EEEEvv: ; @_ZN7rocprim17ROCPRIM_400000_NS6detail44device_merge_sort_compile_time_verifier_archINS1_11comp_targetILNS1_3genE10ELNS1_11target_archE1200ELNS1_3gpuE4ELNS1_3repE0EEENS3_ILS4_10ELS5_1201ELS6_5ELS7_0EEENS1_28merge_sort_block_sort_configILj256ELj4ELNS0_20block_sort_algorithmE0EEENS0_14default_configENS1_37merge_sort_block_sort_config_selectorItNS0_10empty_typeEEENS1_38merge_sort_block_merge_config_selectorItSF_EEEEvv
; %bb.0:
	s_endpgm
	.section	.rodata,"a",@progbits
	.p2align	6, 0x0
	.amdhsa_kernel _ZN7rocprim17ROCPRIM_400000_NS6detail44device_merge_sort_compile_time_verifier_archINS1_11comp_targetILNS1_3genE10ELNS1_11target_archE1200ELNS1_3gpuE4ELNS1_3repE0EEENS3_ILS4_10ELS5_1201ELS6_5ELS7_0EEENS1_28merge_sort_block_sort_configILj256ELj4ELNS0_20block_sort_algorithmE0EEENS0_14default_configENS1_37merge_sort_block_sort_config_selectorItNS0_10empty_typeEEENS1_38merge_sort_block_merge_config_selectorItSF_EEEEvv
		.amdhsa_group_segment_fixed_size 0
		.amdhsa_private_segment_fixed_size 0
		.amdhsa_kernarg_size 0
		.amdhsa_user_sgpr_count 4
		.amdhsa_user_sgpr_private_segment_buffer 1
		.amdhsa_user_sgpr_dispatch_ptr 0
		.amdhsa_user_sgpr_queue_ptr 0
		.amdhsa_user_sgpr_kernarg_segment_ptr 0
		.amdhsa_user_sgpr_dispatch_id 0
		.amdhsa_user_sgpr_flat_scratch_init 0
		.amdhsa_user_sgpr_kernarg_preload_length 0
		.amdhsa_user_sgpr_kernarg_preload_offset 0
		.amdhsa_user_sgpr_private_segment_size 0
		.amdhsa_uses_dynamic_stack 0
		.amdhsa_system_sgpr_private_segment_wavefront_offset 0
		.amdhsa_system_sgpr_workgroup_id_x 1
		.amdhsa_system_sgpr_workgroup_id_y 0
		.amdhsa_system_sgpr_workgroup_id_z 0
		.amdhsa_system_sgpr_workgroup_info 0
		.amdhsa_system_vgpr_workitem_id 0
		.amdhsa_next_free_vgpr 1
		.amdhsa_next_free_sgpr 0
		.amdhsa_accum_offset 4
		.amdhsa_reserve_vcc 0
		.amdhsa_reserve_flat_scratch 0
		.amdhsa_float_round_mode_32 0
		.amdhsa_float_round_mode_16_64 0
		.amdhsa_float_denorm_mode_32 3
		.amdhsa_float_denorm_mode_16_64 3
		.amdhsa_dx10_clamp 1
		.amdhsa_ieee_mode 1
		.amdhsa_fp16_overflow 0
		.amdhsa_tg_split 0
		.amdhsa_exception_fp_ieee_invalid_op 0
		.amdhsa_exception_fp_denorm_src 0
		.amdhsa_exception_fp_ieee_div_zero 0
		.amdhsa_exception_fp_ieee_overflow 0
		.amdhsa_exception_fp_ieee_underflow 0
		.amdhsa_exception_fp_ieee_inexact 0
		.amdhsa_exception_int_div_zero 0
	.end_amdhsa_kernel
	.section	.text._ZN7rocprim17ROCPRIM_400000_NS6detail44device_merge_sort_compile_time_verifier_archINS1_11comp_targetILNS1_3genE10ELNS1_11target_archE1200ELNS1_3gpuE4ELNS1_3repE0EEENS3_ILS4_10ELS5_1201ELS6_5ELS7_0EEENS1_28merge_sort_block_sort_configILj256ELj4ELNS0_20block_sort_algorithmE0EEENS0_14default_configENS1_37merge_sort_block_sort_config_selectorItNS0_10empty_typeEEENS1_38merge_sort_block_merge_config_selectorItSF_EEEEvv,"axG",@progbits,_ZN7rocprim17ROCPRIM_400000_NS6detail44device_merge_sort_compile_time_verifier_archINS1_11comp_targetILNS1_3genE10ELNS1_11target_archE1200ELNS1_3gpuE4ELNS1_3repE0EEENS3_ILS4_10ELS5_1201ELS6_5ELS7_0EEENS1_28merge_sort_block_sort_configILj256ELj4ELNS0_20block_sort_algorithmE0EEENS0_14default_configENS1_37merge_sort_block_sort_config_selectorItNS0_10empty_typeEEENS1_38merge_sort_block_merge_config_selectorItSF_EEEEvv,comdat
.Lfunc_end1203:
	.size	_ZN7rocprim17ROCPRIM_400000_NS6detail44device_merge_sort_compile_time_verifier_archINS1_11comp_targetILNS1_3genE10ELNS1_11target_archE1200ELNS1_3gpuE4ELNS1_3repE0EEENS3_ILS4_10ELS5_1201ELS6_5ELS7_0EEENS1_28merge_sort_block_sort_configILj256ELj4ELNS0_20block_sort_algorithmE0EEENS0_14default_configENS1_37merge_sort_block_sort_config_selectorItNS0_10empty_typeEEENS1_38merge_sort_block_merge_config_selectorItSF_EEEEvv, .Lfunc_end1203-_ZN7rocprim17ROCPRIM_400000_NS6detail44device_merge_sort_compile_time_verifier_archINS1_11comp_targetILNS1_3genE10ELNS1_11target_archE1200ELNS1_3gpuE4ELNS1_3repE0EEENS3_ILS4_10ELS5_1201ELS6_5ELS7_0EEENS1_28merge_sort_block_sort_configILj256ELj4ELNS0_20block_sort_algorithmE0EEENS0_14default_configENS1_37merge_sort_block_sort_config_selectorItNS0_10empty_typeEEENS1_38merge_sort_block_merge_config_selectorItSF_EEEEvv
                                        ; -- End function
	.section	.AMDGPU.csdata,"",@progbits
; Kernel info:
; codeLenInByte = 4
; NumSgprs: 4
; NumVgprs: 0
; NumAgprs: 0
; TotalNumVgprs: 0
; ScratchSize: 0
; MemoryBound: 0
; FloatMode: 240
; IeeeMode: 1
; LDSByteSize: 0 bytes/workgroup (compile time only)
; SGPRBlocks: 0
; VGPRBlocks: 0
; NumSGPRsForWavesPerEU: 4
; NumVGPRsForWavesPerEU: 1
; AccumOffset: 4
; Occupancy: 8
; WaveLimiterHint : 0
; COMPUTE_PGM_RSRC2:SCRATCH_EN: 0
; COMPUTE_PGM_RSRC2:USER_SGPR: 4
; COMPUTE_PGM_RSRC2:TRAP_HANDLER: 0
; COMPUTE_PGM_RSRC2:TGID_X_EN: 1
; COMPUTE_PGM_RSRC2:TGID_Y_EN: 0
; COMPUTE_PGM_RSRC2:TGID_Z_EN: 0
; COMPUTE_PGM_RSRC2:TIDIG_COMP_CNT: 0
; COMPUTE_PGM_RSRC3_GFX90A:ACCUM_OFFSET: 0
; COMPUTE_PGM_RSRC3_GFX90A:TG_SPLIT: 0
	.section	.text._ZN7rocprim17ROCPRIM_400000_NS6detail44device_merge_sort_compile_time_verifier_archINS1_11comp_targetILNS1_3genE9ELNS1_11target_archE1100ELNS1_3gpuE3ELNS1_3repE0EEES8_NS1_28merge_sort_block_sort_configILj256ELj4ELNS0_20block_sort_algorithmE0EEENS0_14default_configENS1_37merge_sort_block_sort_config_selectorItNS0_10empty_typeEEENS1_38merge_sort_block_merge_config_selectorItSE_EEEEvv,"axG",@progbits,_ZN7rocprim17ROCPRIM_400000_NS6detail44device_merge_sort_compile_time_verifier_archINS1_11comp_targetILNS1_3genE9ELNS1_11target_archE1100ELNS1_3gpuE3ELNS1_3repE0EEES8_NS1_28merge_sort_block_sort_configILj256ELj4ELNS0_20block_sort_algorithmE0EEENS0_14default_configENS1_37merge_sort_block_sort_config_selectorItNS0_10empty_typeEEENS1_38merge_sort_block_merge_config_selectorItSE_EEEEvv,comdat
	.protected	_ZN7rocprim17ROCPRIM_400000_NS6detail44device_merge_sort_compile_time_verifier_archINS1_11comp_targetILNS1_3genE9ELNS1_11target_archE1100ELNS1_3gpuE3ELNS1_3repE0EEES8_NS1_28merge_sort_block_sort_configILj256ELj4ELNS0_20block_sort_algorithmE0EEENS0_14default_configENS1_37merge_sort_block_sort_config_selectorItNS0_10empty_typeEEENS1_38merge_sort_block_merge_config_selectorItSE_EEEEvv ; -- Begin function _ZN7rocprim17ROCPRIM_400000_NS6detail44device_merge_sort_compile_time_verifier_archINS1_11comp_targetILNS1_3genE9ELNS1_11target_archE1100ELNS1_3gpuE3ELNS1_3repE0EEES8_NS1_28merge_sort_block_sort_configILj256ELj4ELNS0_20block_sort_algorithmE0EEENS0_14default_configENS1_37merge_sort_block_sort_config_selectorItNS0_10empty_typeEEENS1_38merge_sort_block_merge_config_selectorItSE_EEEEvv
	.globl	_ZN7rocprim17ROCPRIM_400000_NS6detail44device_merge_sort_compile_time_verifier_archINS1_11comp_targetILNS1_3genE9ELNS1_11target_archE1100ELNS1_3gpuE3ELNS1_3repE0EEES8_NS1_28merge_sort_block_sort_configILj256ELj4ELNS0_20block_sort_algorithmE0EEENS0_14default_configENS1_37merge_sort_block_sort_config_selectorItNS0_10empty_typeEEENS1_38merge_sort_block_merge_config_selectorItSE_EEEEvv
	.p2align	8
	.type	_ZN7rocprim17ROCPRIM_400000_NS6detail44device_merge_sort_compile_time_verifier_archINS1_11comp_targetILNS1_3genE9ELNS1_11target_archE1100ELNS1_3gpuE3ELNS1_3repE0EEES8_NS1_28merge_sort_block_sort_configILj256ELj4ELNS0_20block_sort_algorithmE0EEENS0_14default_configENS1_37merge_sort_block_sort_config_selectorItNS0_10empty_typeEEENS1_38merge_sort_block_merge_config_selectorItSE_EEEEvv,@function
_ZN7rocprim17ROCPRIM_400000_NS6detail44device_merge_sort_compile_time_verifier_archINS1_11comp_targetILNS1_3genE9ELNS1_11target_archE1100ELNS1_3gpuE3ELNS1_3repE0EEES8_NS1_28merge_sort_block_sort_configILj256ELj4ELNS0_20block_sort_algorithmE0EEENS0_14default_configENS1_37merge_sort_block_sort_config_selectorItNS0_10empty_typeEEENS1_38merge_sort_block_merge_config_selectorItSE_EEEEvv: ; @_ZN7rocprim17ROCPRIM_400000_NS6detail44device_merge_sort_compile_time_verifier_archINS1_11comp_targetILNS1_3genE9ELNS1_11target_archE1100ELNS1_3gpuE3ELNS1_3repE0EEES8_NS1_28merge_sort_block_sort_configILj256ELj4ELNS0_20block_sort_algorithmE0EEENS0_14default_configENS1_37merge_sort_block_sort_config_selectorItNS0_10empty_typeEEENS1_38merge_sort_block_merge_config_selectorItSE_EEEEvv
; %bb.0:
	s_endpgm
	.section	.rodata,"a",@progbits
	.p2align	6, 0x0
	.amdhsa_kernel _ZN7rocprim17ROCPRIM_400000_NS6detail44device_merge_sort_compile_time_verifier_archINS1_11comp_targetILNS1_3genE9ELNS1_11target_archE1100ELNS1_3gpuE3ELNS1_3repE0EEES8_NS1_28merge_sort_block_sort_configILj256ELj4ELNS0_20block_sort_algorithmE0EEENS0_14default_configENS1_37merge_sort_block_sort_config_selectorItNS0_10empty_typeEEENS1_38merge_sort_block_merge_config_selectorItSE_EEEEvv
		.amdhsa_group_segment_fixed_size 0
		.amdhsa_private_segment_fixed_size 0
		.amdhsa_kernarg_size 0
		.amdhsa_user_sgpr_count 4
		.amdhsa_user_sgpr_private_segment_buffer 1
		.amdhsa_user_sgpr_dispatch_ptr 0
		.amdhsa_user_sgpr_queue_ptr 0
		.amdhsa_user_sgpr_kernarg_segment_ptr 0
		.amdhsa_user_sgpr_dispatch_id 0
		.amdhsa_user_sgpr_flat_scratch_init 0
		.amdhsa_user_sgpr_kernarg_preload_length 0
		.amdhsa_user_sgpr_kernarg_preload_offset 0
		.amdhsa_user_sgpr_private_segment_size 0
		.amdhsa_uses_dynamic_stack 0
		.amdhsa_system_sgpr_private_segment_wavefront_offset 0
		.amdhsa_system_sgpr_workgroup_id_x 1
		.amdhsa_system_sgpr_workgroup_id_y 0
		.amdhsa_system_sgpr_workgroup_id_z 0
		.amdhsa_system_sgpr_workgroup_info 0
		.amdhsa_system_vgpr_workitem_id 0
		.amdhsa_next_free_vgpr 1
		.amdhsa_next_free_sgpr 0
		.amdhsa_accum_offset 4
		.amdhsa_reserve_vcc 0
		.amdhsa_reserve_flat_scratch 0
		.amdhsa_float_round_mode_32 0
		.amdhsa_float_round_mode_16_64 0
		.amdhsa_float_denorm_mode_32 3
		.amdhsa_float_denorm_mode_16_64 3
		.amdhsa_dx10_clamp 1
		.amdhsa_ieee_mode 1
		.amdhsa_fp16_overflow 0
		.amdhsa_tg_split 0
		.amdhsa_exception_fp_ieee_invalid_op 0
		.amdhsa_exception_fp_denorm_src 0
		.amdhsa_exception_fp_ieee_div_zero 0
		.amdhsa_exception_fp_ieee_overflow 0
		.amdhsa_exception_fp_ieee_underflow 0
		.amdhsa_exception_fp_ieee_inexact 0
		.amdhsa_exception_int_div_zero 0
	.end_amdhsa_kernel
	.section	.text._ZN7rocprim17ROCPRIM_400000_NS6detail44device_merge_sort_compile_time_verifier_archINS1_11comp_targetILNS1_3genE9ELNS1_11target_archE1100ELNS1_3gpuE3ELNS1_3repE0EEES8_NS1_28merge_sort_block_sort_configILj256ELj4ELNS0_20block_sort_algorithmE0EEENS0_14default_configENS1_37merge_sort_block_sort_config_selectorItNS0_10empty_typeEEENS1_38merge_sort_block_merge_config_selectorItSE_EEEEvv,"axG",@progbits,_ZN7rocprim17ROCPRIM_400000_NS6detail44device_merge_sort_compile_time_verifier_archINS1_11comp_targetILNS1_3genE9ELNS1_11target_archE1100ELNS1_3gpuE3ELNS1_3repE0EEES8_NS1_28merge_sort_block_sort_configILj256ELj4ELNS0_20block_sort_algorithmE0EEENS0_14default_configENS1_37merge_sort_block_sort_config_selectorItNS0_10empty_typeEEENS1_38merge_sort_block_merge_config_selectorItSE_EEEEvv,comdat
.Lfunc_end1204:
	.size	_ZN7rocprim17ROCPRIM_400000_NS6detail44device_merge_sort_compile_time_verifier_archINS1_11comp_targetILNS1_3genE9ELNS1_11target_archE1100ELNS1_3gpuE3ELNS1_3repE0EEES8_NS1_28merge_sort_block_sort_configILj256ELj4ELNS0_20block_sort_algorithmE0EEENS0_14default_configENS1_37merge_sort_block_sort_config_selectorItNS0_10empty_typeEEENS1_38merge_sort_block_merge_config_selectorItSE_EEEEvv, .Lfunc_end1204-_ZN7rocprim17ROCPRIM_400000_NS6detail44device_merge_sort_compile_time_verifier_archINS1_11comp_targetILNS1_3genE9ELNS1_11target_archE1100ELNS1_3gpuE3ELNS1_3repE0EEES8_NS1_28merge_sort_block_sort_configILj256ELj4ELNS0_20block_sort_algorithmE0EEENS0_14default_configENS1_37merge_sort_block_sort_config_selectorItNS0_10empty_typeEEENS1_38merge_sort_block_merge_config_selectorItSE_EEEEvv
                                        ; -- End function
	.section	.AMDGPU.csdata,"",@progbits
; Kernel info:
; codeLenInByte = 4
; NumSgprs: 4
; NumVgprs: 0
; NumAgprs: 0
; TotalNumVgprs: 0
; ScratchSize: 0
; MemoryBound: 0
; FloatMode: 240
; IeeeMode: 1
; LDSByteSize: 0 bytes/workgroup (compile time only)
; SGPRBlocks: 0
; VGPRBlocks: 0
; NumSGPRsForWavesPerEU: 4
; NumVGPRsForWavesPerEU: 1
; AccumOffset: 4
; Occupancy: 8
; WaveLimiterHint : 0
; COMPUTE_PGM_RSRC2:SCRATCH_EN: 0
; COMPUTE_PGM_RSRC2:USER_SGPR: 4
; COMPUTE_PGM_RSRC2:TRAP_HANDLER: 0
; COMPUTE_PGM_RSRC2:TGID_X_EN: 1
; COMPUTE_PGM_RSRC2:TGID_Y_EN: 0
; COMPUTE_PGM_RSRC2:TGID_Z_EN: 0
; COMPUTE_PGM_RSRC2:TIDIG_COMP_CNT: 0
; COMPUTE_PGM_RSRC3_GFX90A:ACCUM_OFFSET: 0
; COMPUTE_PGM_RSRC3_GFX90A:TG_SPLIT: 0
	.section	.text._ZN7rocprim17ROCPRIM_400000_NS6detail44device_merge_sort_compile_time_verifier_archINS1_11comp_targetILNS1_3genE8ELNS1_11target_archE1030ELNS1_3gpuE2ELNS1_3repE0EEES8_NS1_28merge_sort_block_sort_configILj256ELj4ELNS0_20block_sort_algorithmE0EEENS0_14default_configENS1_37merge_sort_block_sort_config_selectorItNS0_10empty_typeEEENS1_38merge_sort_block_merge_config_selectorItSE_EEEEvv,"axG",@progbits,_ZN7rocprim17ROCPRIM_400000_NS6detail44device_merge_sort_compile_time_verifier_archINS1_11comp_targetILNS1_3genE8ELNS1_11target_archE1030ELNS1_3gpuE2ELNS1_3repE0EEES8_NS1_28merge_sort_block_sort_configILj256ELj4ELNS0_20block_sort_algorithmE0EEENS0_14default_configENS1_37merge_sort_block_sort_config_selectorItNS0_10empty_typeEEENS1_38merge_sort_block_merge_config_selectorItSE_EEEEvv,comdat
	.protected	_ZN7rocprim17ROCPRIM_400000_NS6detail44device_merge_sort_compile_time_verifier_archINS1_11comp_targetILNS1_3genE8ELNS1_11target_archE1030ELNS1_3gpuE2ELNS1_3repE0EEES8_NS1_28merge_sort_block_sort_configILj256ELj4ELNS0_20block_sort_algorithmE0EEENS0_14default_configENS1_37merge_sort_block_sort_config_selectorItNS0_10empty_typeEEENS1_38merge_sort_block_merge_config_selectorItSE_EEEEvv ; -- Begin function _ZN7rocprim17ROCPRIM_400000_NS6detail44device_merge_sort_compile_time_verifier_archINS1_11comp_targetILNS1_3genE8ELNS1_11target_archE1030ELNS1_3gpuE2ELNS1_3repE0EEES8_NS1_28merge_sort_block_sort_configILj256ELj4ELNS0_20block_sort_algorithmE0EEENS0_14default_configENS1_37merge_sort_block_sort_config_selectorItNS0_10empty_typeEEENS1_38merge_sort_block_merge_config_selectorItSE_EEEEvv
	.globl	_ZN7rocprim17ROCPRIM_400000_NS6detail44device_merge_sort_compile_time_verifier_archINS1_11comp_targetILNS1_3genE8ELNS1_11target_archE1030ELNS1_3gpuE2ELNS1_3repE0EEES8_NS1_28merge_sort_block_sort_configILj256ELj4ELNS0_20block_sort_algorithmE0EEENS0_14default_configENS1_37merge_sort_block_sort_config_selectorItNS0_10empty_typeEEENS1_38merge_sort_block_merge_config_selectorItSE_EEEEvv
	.p2align	8
	.type	_ZN7rocprim17ROCPRIM_400000_NS6detail44device_merge_sort_compile_time_verifier_archINS1_11comp_targetILNS1_3genE8ELNS1_11target_archE1030ELNS1_3gpuE2ELNS1_3repE0EEES8_NS1_28merge_sort_block_sort_configILj256ELj4ELNS0_20block_sort_algorithmE0EEENS0_14default_configENS1_37merge_sort_block_sort_config_selectorItNS0_10empty_typeEEENS1_38merge_sort_block_merge_config_selectorItSE_EEEEvv,@function
_ZN7rocprim17ROCPRIM_400000_NS6detail44device_merge_sort_compile_time_verifier_archINS1_11comp_targetILNS1_3genE8ELNS1_11target_archE1030ELNS1_3gpuE2ELNS1_3repE0EEES8_NS1_28merge_sort_block_sort_configILj256ELj4ELNS0_20block_sort_algorithmE0EEENS0_14default_configENS1_37merge_sort_block_sort_config_selectorItNS0_10empty_typeEEENS1_38merge_sort_block_merge_config_selectorItSE_EEEEvv: ; @_ZN7rocprim17ROCPRIM_400000_NS6detail44device_merge_sort_compile_time_verifier_archINS1_11comp_targetILNS1_3genE8ELNS1_11target_archE1030ELNS1_3gpuE2ELNS1_3repE0EEES8_NS1_28merge_sort_block_sort_configILj256ELj4ELNS0_20block_sort_algorithmE0EEENS0_14default_configENS1_37merge_sort_block_sort_config_selectorItNS0_10empty_typeEEENS1_38merge_sort_block_merge_config_selectorItSE_EEEEvv
; %bb.0:
	s_endpgm
	.section	.rodata,"a",@progbits
	.p2align	6, 0x0
	.amdhsa_kernel _ZN7rocprim17ROCPRIM_400000_NS6detail44device_merge_sort_compile_time_verifier_archINS1_11comp_targetILNS1_3genE8ELNS1_11target_archE1030ELNS1_3gpuE2ELNS1_3repE0EEES8_NS1_28merge_sort_block_sort_configILj256ELj4ELNS0_20block_sort_algorithmE0EEENS0_14default_configENS1_37merge_sort_block_sort_config_selectorItNS0_10empty_typeEEENS1_38merge_sort_block_merge_config_selectorItSE_EEEEvv
		.amdhsa_group_segment_fixed_size 0
		.amdhsa_private_segment_fixed_size 0
		.amdhsa_kernarg_size 0
		.amdhsa_user_sgpr_count 4
		.amdhsa_user_sgpr_private_segment_buffer 1
		.amdhsa_user_sgpr_dispatch_ptr 0
		.amdhsa_user_sgpr_queue_ptr 0
		.amdhsa_user_sgpr_kernarg_segment_ptr 0
		.amdhsa_user_sgpr_dispatch_id 0
		.amdhsa_user_sgpr_flat_scratch_init 0
		.amdhsa_user_sgpr_kernarg_preload_length 0
		.amdhsa_user_sgpr_kernarg_preload_offset 0
		.amdhsa_user_sgpr_private_segment_size 0
		.amdhsa_uses_dynamic_stack 0
		.amdhsa_system_sgpr_private_segment_wavefront_offset 0
		.amdhsa_system_sgpr_workgroup_id_x 1
		.amdhsa_system_sgpr_workgroup_id_y 0
		.amdhsa_system_sgpr_workgroup_id_z 0
		.amdhsa_system_sgpr_workgroup_info 0
		.amdhsa_system_vgpr_workitem_id 0
		.amdhsa_next_free_vgpr 1
		.amdhsa_next_free_sgpr 0
		.amdhsa_accum_offset 4
		.amdhsa_reserve_vcc 0
		.amdhsa_reserve_flat_scratch 0
		.amdhsa_float_round_mode_32 0
		.amdhsa_float_round_mode_16_64 0
		.amdhsa_float_denorm_mode_32 3
		.amdhsa_float_denorm_mode_16_64 3
		.amdhsa_dx10_clamp 1
		.amdhsa_ieee_mode 1
		.amdhsa_fp16_overflow 0
		.amdhsa_tg_split 0
		.amdhsa_exception_fp_ieee_invalid_op 0
		.amdhsa_exception_fp_denorm_src 0
		.amdhsa_exception_fp_ieee_div_zero 0
		.amdhsa_exception_fp_ieee_overflow 0
		.amdhsa_exception_fp_ieee_underflow 0
		.amdhsa_exception_fp_ieee_inexact 0
		.amdhsa_exception_int_div_zero 0
	.end_amdhsa_kernel
	.section	.text._ZN7rocprim17ROCPRIM_400000_NS6detail44device_merge_sort_compile_time_verifier_archINS1_11comp_targetILNS1_3genE8ELNS1_11target_archE1030ELNS1_3gpuE2ELNS1_3repE0EEES8_NS1_28merge_sort_block_sort_configILj256ELj4ELNS0_20block_sort_algorithmE0EEENS0_14default_configENS1_37merge_sort_block_sort_config_selectorItNS0_10empty_typeEEENS1_38merge_sort_block_merge_config_selectorItSE_EEEEvv,"axG",@progbits,_ZN7rocprim17ROCPRIM_400000_NS6detail44device_merge_sort_compile_time_verifier_archINS1_11comp_targetILNS1_3genE8ELNS1_11target_archE1030ELNS1_3gpuE2ELNS1_3repE0EEES8_NS1_28merge_sort_block_sort_configILj256ELj4ELNS0_20block_sort_algorithmE0EEENS0_14default_configENS1_37merge_sort_block_sort_config_selectorItNS0_10empty_typeEEENS1_38merge_sort_block_merge_config_selectorItSE_EEEEvv,comdat
.Lfunc_end1205:
	.size	_ZN7rocprim17ROCPRIM_400000_NS6detail44device_merge_sort_compile_time_verifier_archINS1_11comp_targetILNS1_3genE8ELNS1_11target_archE1030ELNS1_3gpuE2ELNS1_3repE0EEES8_NS1_28merge_sort_block_sort_configILj256ELj4ELNS0_20block_sort_algorithmE0EEENS0_14default_configENS1_37merge_sort_block_sort_config_selectorItNS0_10empty_typeEEENS1_38merge_sort_block_merge_config_selectorItSE_EEEEvv, .Lfunc_end1205-_ZN7rocprim17ROCPRIM_400000_NS6detail44device_merge_sort_compile_time_verifier_archINS1_11comp_targetILNS1_3genE8ELNS1_11target_archE1030ELNS1_3gpuE2ELNS1_3repE0EEES8_NS1_28merge_sort_block_sort_configILj256ELj4ELNS0_20block_sort_algorithmE0EEENS0_14default_configENS1_37merge_sort_block_sort_config_selectorItNS0_10empty_typeEEENS1_38merge_sort_block_merge_config_selectorItSE_EEEEvv
                                        ; -- End function
	.section	.AMDGPU.csdata,"",@progbits
; Kernel info:
; codeLenInByte = 4
; NumSgprs: 4
; NumVgprs: 0
; NumAgprs: 0
; TotalNumVgprs: 0
; ScratchSize: 0
; MemoryBound: 0
; FloatMode: 240
; IeeeMode: 1
; LDSByteSize: 0 bytes/workgroup (compile time only)
; SGPRBlocks: 0
; VGPRBlocks: 0
; NumSGPRsForWavesPerEU: 4
; NumVGPRsForWavesPerEU: 1
; AccumOffset: 4
; Occupancy: 8
; WaveLimiterHint : 0
; COMPUTE_PGM_RSRC2:SCRATCH_EN: 0
; COMPUTE_PGM_RSRC2:USER_SGPR: 4
; COMPUTE_PGM_RSRC2:TRAP_HANDLER: 0
; COMPUTE_PGM_RSRC2:TGID_X_EN: 1
; COMPUTE_PGM_RSRC2:TGID_Y_EN: 0
; COMPUTE_PGM_RSRC2:TGID_Z_EN: 0
; COMPUTE_PGM_RSRC2:TIDIG_COMP_CNT: 0
; COMPUTE_PGM_RSRC3_GFX90A:ACCUM_OFFSET: 0
; COMPUTE_PGM_RSRC3_GFX90A:TG_SPLIT: 0
	.section	.text._ZN7rocprim17ROCPRIM_400000_NS6detail17trampoline_kernelINS0_14default_configENS1_38merge_sort_block_merge_config_selectorItNS0_10empty_typeEEEZZNS1_27merge_sort_block_merge_implIS3_N6thrust23THRUST_200600_302600_NS6detail15normal_iteratorINS9_10device_ptrItEEEEPS5_jNS1_19radix_merge_compareILb0ELb0EtNS0_19identity_decomposerEEEEE10hipError_tT0_T1_T2_jT3_P12ihipStream_tbPNSt15iterator_traitsISK_E10value_typeEPNSQ_ISL_E10value_typeEPSM_NS1_7vsmem_tEENKUlT_SK_SL_SM_E_clIPtSE_SF_SF_EESJ_SZ_SK_SL_SM_EUlSZ_E_NS1_11comp_targetILNS1_3genE0ELNS1_11target_archE4294967295ELNS1_3gpuE0ELNS1_3repE0EEENS1_48merge_mergepath_partition_config_static_selectorELNS0_4arch9wavefront6targetE1EEEvSL_,"axG",@progbits,_ZN7rocprim17ROCPRIM_400000_NS6detail17trampoline_kernelINS0_14default_configENS1_38merge_sort_block_merge_config_selectorItNS0_10empty_typeEEEZZNS1_27merge_sort_block_merge_implIS3_N6thrust23THRUST_200600_302600_NS6detail15normal_iteratorINS9_10device_ptrItEEEEPS5_jNS1_19radix_merge_compareILb0ELb0EtNS0_19identity_decomposerEEEEE10hipError_tT0_T1_T2_jT3_P12ihipStream_tbPNSt15iterator_traitsISK_E10value_typeEPNSQ_ISL_E10value_typeEPSM_NS1_7vsmem_tEENKUlT_SK_SL_SM_E_clIPtSE_SF_SF_EESJ_SZ_SK_SL_SM_EUlSZ_E_NS1_11comp_targetILNS1_3genE0ELNS1_11target_archE4294967295ELNS1_3gpuE0ELNS1_3repE0EEENS1_48merge_mergepath_partition_config_static_selectorELNS0_4arch9wavefront6targetE1EEEvSL_,comdat
	.protected	_ZN7rocprim17ROCPRIM_400000_NS6detail17trampoline_kernelINS0_14default_configENS1_38merge_sort_block_merge_config_selectorItNS0_10empty_typeEEEZZNS1_27merge_sort_block_merge_implIS3_N6thrust23THRUST_200600_302600_NS6detail15normal_iteratorINS9_10device_ptrItEEEEPS5_jNS1_19radix_merge_compareILb0ELb0EtNS0_19identity_decomposerEEEEE10hipError_tT0_T1_T2_jT3_P12ihipStream_tbPNSt15iterator_traitsISK_E10value_typeEPNSQ_ISL_E10value_typeEPSM_NS1_7vsmem_tEENKUlT_SK_SL_SM_E_clIPtSE_SF_SF_EESJ_SZ_SK_SL_SM_EUlSZ_E_NS1_11comp_targetILNS1_3genE0ELNS1_11target_archE4294967295ELNS1_3gpuE0ELNS1_3repE0EEENS1_48merge_mergepath_partition_config_static_selectorELNS0_4arch9wavefront6targetE1EEEvSL_ ; -- Begin function _ZN7rocprim17ROCPRIM_400000_NS6detail17trampoline_kernelINS0_14default_configENS1_38merge_sort_block_merge_config_selectorItNS0_10empty_typeEEEZZNS1_27merge_sort_block_merge_implIS3_N6thrust23THRUST_200600_302600_NS6detail15normal_iteratorINS9_10device_ptrItEEEEPS5_jNS1_19radix_merge_compareILb0ELb0EtNS0_19identity_decomposerEEEEE10hipError_tT0_T1_T2_jT3_P12ihipStream_tbPNSt15iterator_traitsISK_E10value_typeEPNSQ_ISL_E10value_typeEPSM_NS1_7vsmem_tEENKUlT_SK_SL_SM_E_clIPtSE_SF_SF_EESJ_SZ_SK_SL_SM_EUlSZ_E_NS1_11comp_targetILNS1_3genE0ELNS1_11target_archE4294967295ELNS1_3gpuE0ELNS1_3repE0EEENS1_48merge_mergepath_partition_config_static_selectorELNS0_4arch9wavefront6targetE1EEEvSL_
	.globl	_ZN7rocprim17ROCPRIM_400000_NS6detail17trampoline_kernelINS0_14default_configENS1_38merge_sort_block_merge_config_selectorItNS0_10empty_typeEEEZZNS1_27merge_sort_block_merge_implIS3_N6thrust23THRUST_200600_302600_NS6detail15normal_iteratorINS9_10device_ptrItEEEEPS5_jNS1_19radix_merge_compareILb0ELb0EtNS0_19identity_decomposerEEEEE10hipError_tT0_T1_T2_jT3_P12ihipStream_tbPNSt15iterator_traitsISK_E10value_typeEPNSQ_ISL_E10value_typeEPSM_NS1_7vsmem_tEENKUlT_SK_SL_SM_E_clIPtSE_SF_SF_EESJ_SZ_SK_SL_SM_EUlSZ_E_NS1_11comp_targetILNS1_3genE0ELNS1_11target_archE4294967295ELNS1_3gpuE0ELNS1_3repE0EEENS1_48merge_mergepath_partition_config_static_selectorELNS0_4arch9wavefront6targetE1EEEvSL_
	.p2align	8
	.type	_ZN7rocprim17ROCPRIM_400000_NS6detail17trampoline_kernelINS0_14default_configENS1_38merge_sort_block_merge_config_selectorItNS0_10empty_typeEEEZZNS1_27merge_sort_block_merge_implIS3_N6thrust23THRUST_200600_302600_NS6detail15normal_iteratorINS9_10device_ptrItEEEEPS5_jNS1_19radix_merge_compareILb0ELb0EtNS0_19identity_decomposerEEEEE10hipError_tT0_T1_T2_jT3_P12ihipStream_tbPNSt15iterator_traitsISK_E10value_typeEPNSQ_ISL_E10value_typeEPSM_NS1_7vsmem_tEENKUlT_SK_SL_SM_E_clIPtSE_SF_SF_EESJ_SZ_SK_SL_SM_EUlSZ_E_NS1_11comp_targetILNS1_3genE0ELNS1_11target_archE4294967295ELNS1_3gpuE0ELNS1_3repE0EEENS1_48merge_mergepath_partition_config_static_selectorELNS0_4arch9wavefront6targetE1EEEvSL_,@function
_ZN7rocprim17ROCPRIM_400000_NS6detail17trampoline_kernelINS0_14default_configENS1_38merge_sort_block_merge_config_selectorItNS0_10empty_typeEEEZZNS1_27merge_sort_block_merge_implIS3_N6thrust23THRUST_200600_302600_NS6detail15normal_iteratorINS9_10device_ptrItEEEEPS5_jNS1_19radix_merge_compareILb0ELb0EtNS0_19identity_decomposerEEEEE10hipError_tT0_T1_T2_jT3_P12ihipStream_tbPNSt15iterator_traitsISK_E10value_typeEPNSQ_ISL_E10value_typeEPSM_NS1_7vsmem_tEENKUlT_SK_SL_SM_E_clIPtSE_SF_SF_EESJ_SZ_SK_SL_SM_EUlSZ_E_NS1_11comp_targetILNS1_3genE0ELNS1_11target_archE4294967295ELNS1_3gpuE0ELNS1_3repE0EEENS1_48merge_mergepath_partition_config_static_selectorELNS0_4arch9wavefront6targetE1EEEvSL_: ; @_ZN7rocprim17ROCPRIM_400000_NS6detail17trampoline_kernelINS0_14default_configENS1_38merge_sort_block_merge_config_selectorItNS0_10empty_typeEEEZZNS1_27merge_sort_block_merge_implIS3_N6thrust23THRUST_200600_302600_NS6detail15normal_iteratorINS9_10device_ptrItEEEEPS5_jNS1_19radix_merge_compareILb0ELb0EtNS0_19identity_decomposerEEEEE10hipError_tT0_T1_T2_jT3_P12ihipStream_tbPNSt15iterator_traitsISK_E10value_typeEPNSQ_ISL_E10value_typeEPSM_NS1_7vsmem_tEENKUlT_SK_SL_SM_E_clIPtSE_SF_SF_EESJ_SZ_SK_SL_SM_EUlSZ_E_NS1_11comp_targetILNS1_3genE0ELNS1_11target_archE4294967295ELNS1_3gpuE0ELNS1_3repE0EEENS1_48merge_mergepath_partition_config_static_selectorELNS0_4arch9wavefront6targetE1EEEvSL_
; %bb.0:
	.section	.rodata,"a",@progbits
	.p2align	6, 0x0
	.amdhsa_kernel _ZN7rocprim17ROCPRIM_400000_NS6detail17trampoline_kernelINS0_14default_configENS1_38merge_sort_block_merge_config_selectorItNS0_10empty_typeEEEZZNS1_27merge_sort_block_merge_implIS3_N6thrust23THRUST_200600_302600_NS6detail15normal_iteratorINS9_10device_ptrItEEEEPS5_jNS1_19radix_merge_compareILb0ELb0EtNS0_19identity_decomposerEEEEE10hipError_tT0_T1_T2_jT3_P12ihipStream_tbPNSt15iterator_traitsISK_E10value_typeEPNSQ_ISL_E10value_typeEPSM_NS1_7vsmem_tEENKUlT_SK_SL_SM_E_clIPtSE_SF_SF_EESJ_SZ_SK_SL_SM_EUlSZ_E_NS1_11comp_targetILNS1_3genE0ELNS1_11target_archE4294967295ELNS1_3gpuE0ELNS1_3repE0EEENS1_48merge_mergepath_partition_config_static_selectorELNS0_4arch9wavefront6targetE1EEEvSL_
		.amdhsa_group_segment_fixed_size 0
		.amdhsa_private_segment_fixed_size 0
		.amdhsa_kernarg_size 40
		.amdhsa_user_sgpr_count 6
		.amdhsa_user_sgpr_private_segment_buffer 1
		.amdhsa_user_sgpr_dispatch_ptr 0
		.amdhsa_user_sgpr_queue_ptr 0
		.amdhsa_user_sgpr_kernarg_segment_ptr 1
		.amdhsa_user_sgpr_dispatch_id 0
		.amdhsa_user_sgpr_flat_scratch_init 0
		.amdhsa_user_sgpr_kernarg_preload_length 0
		.amdhsa_user_sgpr_kernarg_preload_offset 0
		.amdhsa_user_sgpr_private_segment_size 0
		.amdhsa_uses_dynamic_stack 0
		.amdhsa_system_sgpr_private_segment_wavefront_offset 0
		.amdhsa_system_sgpr_workgroup_id_x 1
		.amdhsa_system_sgpr_workgroup_id_y 0
		.amdhsa_system_sgpr_workgroup_id_z 0
		.amdhsa_system_sgpr_workgroup_info 0
		.amdhsa_system_vgpr_workitem_id 0
		.amdhsa_next_free_vgpr 1
		.amdhsa_next_free_sgpr 0
		.amdhsa_accum_offset 4
		.amdhsa_reserve_vcc 0
		.amdhsa_reserve_flat_scratch 0
		.amdhsa_float_round_mode_32 0
		.amdhsa_float_round_mode_16_64 0
		.amdhsa_float_denorm_mode_32 3
		.amdhsa_float_denorm_mode_16_64 3
		.amdhsa_dx10_clamp 1
		.amdhsa_ieee_mode 1
		.amdhsa_fp16_overflow 0
		.amdhsa_tg_split 0
		.amdhsa_exception_fp_ieee_invalid_op 0
		.amdhsa_exception_fp_denorm_src 0
		.amdhsa_exception_fp_ieee_div_zero 0
		.amdhsa_exception_fp_ieee_overflow 0
		.amdhsa_exception_fp_ieee_underflow 0
		.amdhsa_exception_fp_ieee_inexact 0
		.amdhsa_exception_int_div_zero 0
	.end_amdhsa_kernel
	.section	.text._ZN7rocprim17ROCPRIM_400000_NS6detail17trampoline_kernelINS0_14default_configENS1_38merge_sort_block_merge_config_selectorItNS0_10empty_typeEEEZZNS1_27merge_sort_block_merge_implIS3_N6thrust23THRUST_200600_302600_NS6detail15normal_iteratorINS9_10device_ptrItEEEEPS5_jNS1_19radix_merge_compareILb0ELb0EtNS0_19identity_decomposerEEEEE10hipError_tT0_T1_T2_jT3_P12ihipStream_tbPNSt15iterator_traitsISK_E10value_typeEPNSQ_ISL_E10value_typeEPSM_NS1_7vsmem_tEENKUlT_SK_SL_SM_E_clIPtSE_SF_SF_EESJ_SZ_SK_SL_SM_EUlSZ_E_NS1_11comp_targetILNS1_3genE0ELNS1_11target_archE4294967295ELNS1_3gpuE0ELNS1_3repE0EEENS1_48merge_mergepath_partition_config_static_selectorELNS0_4arch9wavefront6targetE1EEEvSL_,"axG",@progbits,_ZN7rocprim17ROCPRIM_400000_NS6detail17trampoline_kernelINS0_14default_configENS1_38merge_sort_block_merge_config_selectorItNS0_10empty_typeEEEZZNS1_27merge_sort_block_merge_implIS3_N6thrust23THRUST_200600_302600_NS6detail15normal_iteratorINS9_10device_ptrItEEEEPS5_jNS1_19radix_merge_compareILb0ELb0EtNS0_19identity_decomposerEEEEE10hipError_tT0_T1_T2_jT3_P12ihipStream_tbPNSt15iterator_traitsISK_E10value_typeEPNSQ_ISL_E10value_typeEPSM_NS1_7vsmem_tEENKUlT_SK_SL_SM_E_clIPtSE_SF_SF_EESJ_SZ_SK_SL_SM_EUlSZ_E_NS1_11comp_targetILNS1_3genE0ELNS1_11target_archE4294967295ELNS1_3gpuE0ELNS1_3repE0EEENS1_48merge_mergepath_partition_config_static_selectorELNS0_4arch9wavefront6targetE1EEEvSL_,comdat
.Lfunc_end1206:
	.size	_ZN7rocprim17ROCPRIM_400000_NS6detail17trampoline_kernelINS0_14default_configENS1_38merge_sort_block_merge_config_selectorItNS0_10empty_typeEEEZZNS1_27merge_sort_block_merge_implIS3_N6thrust23THRUST_200600_302600_NS6detail15normal_iteratorINS9_10device_ptrItEEEEPS5_jNS1_19radix_merge_compareILb0ELb0EtNS0_19identity_decomposerEEEEE10hipError_tT0_T1_T2_jT3_P12ihipStream_tbPNSt15iterator_traitsISK_E10value_typeEPNSQ_ISL_E10value_typeEPSM_NS1_7vsmem_tEENKUlT_SK_SL_SM_E_clIPtSE_SF_SF_EESJ_SZ_SK_SL_SM_EUlSZ_E_NS1_11comp_targetILNS1_3genE0ELNS1_11target_archE4294967295ELNS1_3gpuE0ELNS1_3repE0EEENS1_48merge_mergepath_partition_config_static_selectorELNS0_4arch9wavefront6targetE1EEEvSL_, .Lfunc_end1206-_ZN7rocprim17ROCPRIM_400000_NS6detail17trampoline_kernelINS0_14default_configENS1_38merge_sort_block_merge_config_selectorItNS0_10empty_typeEEEZZNS1_27merge_sort_block_merge_implIS3_N6thrust23THRUST_200600_302600_NS6detail15normal_iteratorINS9_10device_ptrItEEEEPS5_jNS1_19radix_merge_compareILb0ELb0EtNS0_19identity_decomposerEEEEE10hipError_tT0_T1_T2_jT3_P12ihipStream_tbPNSt15iterator_traitsISK_E10value_typeEPNSQ_ISL_E10value_typeEPSM_NS1_7vsmem_tEENKUlT_SK_SL_SM_E_clIPtSE_SF_SF_EESJ_SZ_SK_SL_SM_EUlSZ_E_NS1_11comp_targetILNS1_3genE0ELNS1_11target_archE4294967295ELNS1_3gpuE0ELNS1_3repE0EEENS1_48merge_mergepath_partition_config_static_selectorELNS0_4arch9wavefront6targetE1EEEvSL_
                                        ; -- End function
	.section	.AMDGPU.csdata,"",@progbits
; Kernel info:
; codeLenInByte = 0
; NumSgprs: 4
; NumVgprs: 0
; NumAgprs: 0
; TotalNumVgprs: 0
; ScratchSize: 0
; MemoryBound: 0
; FloatMode: 240
; IeeeMode: 1
; LDSByteSize: 0 bytes/workgroup (compile time only)
; SGPRBlocks: 0
; VGPRBlocks: 0
; NumSGPRsForWavesPerEU: 4
; NumVGPRsForWavesPerEU: 1
; AccumOffset: 4
; Occupancy: 8
; WaveLimiterHint : 0
; COMPUTE_PGM_RSRC2:SCRATCH_EN: 0
; COMPUTE_PGM_RSRC2:USER_SGPR: 6
; COMPUTE_PGM_RSRC2:TRAP_HANDLER: 0
; COMPUTE_PGM_RSRC2:TGID_X_EN: 1
; COMPUTE_PGM_RSRC2:TGID_Y_EN: 0
; COMPUTE_PGM_RSRC2:TGID_Z_EN: 0
; COMPUTE_PGM_RSRC2:TIDIG_COMP_CNT: 0
; COMPUTE_PGM_RSRC3_GFX90A:ACCUM_OFFSET: 0
; COMPUTE_PGM_RSRC3_GFX90A:TG_SPLIT: 0
	.section	.text._ZN7rocprim17ROCPRIM_400000_NS6detail17trampoline_kernelINS0_14default_configENS1_38merge_sort_block_merge_config_selectorItNS0_10empty_typeEEEZZNS1_27merge_sort_block_merge_implIS3_N6thrust23THRUST_200600_302600_NS6detail15normal_iteratorINS9_10device_ptrItEEEEPS5_jNS1_19radix_merge_compareILb0ELb0EtNS0_19identity_decomposerEEEEE10hipError_tT0_T1_T2_jT3_P12ihipStream_tbPNSt15iterator_traitsISK_E10value_typeEPNSQ_ISL_E10value_typeEPSM_NS1_7vsmem_tEENKUlT_SK_SL_SM_E_clIPtSE_SF_SF_EESJ_SZ_SK_SL_SM_EUlSZ_E_NS1_11comp_targetILNS1_3genE10ELNS1_11target_archE1201ELNS1_3gpuE5ELNS1_3repE0EEENS1_48merge_mergepath_partition_config_static_selectorELNS0_4arch9wavefront6targetE1EEEvSL_,"axG",@progbits,_ZN7rocprim17ROCPRIM_400000_NS6detail17trampoline_kernelINS0_14default_configENS1_38merge_sort_block_merge_config_selectorItNS0_10empty_typeEEEZZNS1_27merge_sort_block_merge_implIS3_N6thrust23THRUST_200600_302600_NS6detail15normal_iteratorINS9_10device_ptrItEEEEPS5_jNS1_19radix_merge_compareILb0ELb0EtNS0_19identity_decomposerEEEEE10hipError_tT0_T1_T2_jT3_P12ihipStream_tbPNSt15iterator_traitsISK_E10value_typeEPNSQ_ISL_E10value_typeEPSM_NS1_7vsmem_tEENKUlT_SK_SL_SM_E_clIPtSE_SF_SF_EESJ_SZ_SK_SL_SM_EUlSZ_E_NS1_11comp_targetILNS1_3genE10ELNS1_11target_archE1201ELNS1_3gpuE5ELNS1_3repE0EEENS1_48merge_mergepath_partition_config_static_selectorELNS0_4arch9wavefront6targetE1EEEvSL_,comdat
	.protected	_ZN7rocprim17ROCPRIM_400000_NS6detail17trampoline_kernelINS0_14default_configENS1_38merge_sort_block_merge_config_selectorItNS0_10empty_typeEEEZZNS1_27merge_sort_block_merge_implIS3_N6thrust23THRUST_200600_302600_NS6detail15normal_iteratorINS9_10device_ptrItEEEEPS5_jNS1_19radix_merge_compareILb0ELb0EtNS0_19identity_decomposerEEEEE10hipError_tT0_T1_T2_jT3_P12ihipStream_tbPNSt15iterator_traitsISK_E10value_typeEPNSQ_ISL_E10value_typeEPSM_NS1_7vsmem_tEENKUlT_SK_SL_SM_E_clIPtSE_SF_SF_EESJ_SZ_SK_SL_SM_EUlSZ_E_NS1_11comp_targetILNS1_3genE10ELNS1_11target_archE1201ELNS1_3gpuE5ELNS1_3repE0EEENS1_48merge_mergepath_partition_config_static_selectorELNS0_4arch9wavefront6targetE1EEEvSL_ ; -- Begin function _ZN7rocprim17ROCPRIM_400000_NS6detail17trampoline_kernelINS0_14default_configENS1_38merge_sort_block_merge_config_selectorItNS0_10empty_typeEEEZZNS1_27merge_sort_block_merge_implIS3_N6thrust23THRUST_200600_302600_NS6detail15normal_iteratorINS9_10device_ptrItEEEEPS5_jNS1_19radix_merge_compareILb0ELb0EtNS0_19identity_decomposerEEEEE10hipError_tT0_T1_T2_jT3_P12ihipStream_tbPNSt15iterator_traitsISK_E10value_typeEPNSQ_ISL_E10value_typeEPSM_NS1_7vsmem_tEENKUlT_SK_SL_SM_E_clIPtSE_SF_SF_EESJ_SZ_SK_SL_SM_EUlSZ_E_NS1_11comp_targetILNS1_3genE10ELNS1_11target_archE1201ELNS1_3gpuE5ELNS1_3repE0EEENS1_48merge_mergepath_partition_config_static_selectorELNS0_4arch9wavefront6targetE1EEEvSL_
	.globl	_ZN7rocprim17ROCPRIM_400000_NS6detail17trampoline_kernelINS0_14default_configENS1_38merge_sort_block_merge_config_selectorItNS0_10empty_typeEEEZZNS1_27merge_sort_block_merge_implIS3_N6thrust23THRUST_200600_302600_NS6detail15normal_iteratorINS9_10device_ptrItEEEEPS5_jNS1_19radix_merge_compareILb0ELb0EtNS0_19identity_decomposerEEEEE10hipError_tT0_T1_T2_jT3_P12ihipStream_tbPNSt15iterator_traitsISK_E10value_typeEPNSQ_ISL_E10value_typeEPSM_NS1_7vsmem_tEENKUlT_SK_SL_SM_E_clIPtSE_SF_SF_EESJ_SZ_SK_SL_SM_EUlSZ_E_NS1_11comp_targetILNS1_3genE10ELNS1_11target_archE1201ELNS1_3gpuE5ELNS1_3repE0EEENS1_48merge_mergepath_partition_config_static_selectorELNS0_4arch9wavefront6targetE1EEEvSL_
	.p2align	8
	.type	_ZN7rocprim17ROCPRIM_400000_NS6detail17trampoline_kernelINS0_14default_configENS1_38merge_sort_block_merge_config_selectorItNS0_10empty_typeEEEZZNS1_27merge_sort_block_merge_implIS3_N6thrust23THRUST_200600_302600_NS6detail15normal_iteratorINS9_10device_ptrItEEEEPS5_jNS1_19radix_merge_compareILb0ELb0EtNS0_19identity_decomposerEEEEE10hipError_tT0_T1_T2_jT3_P12ihipStream_tbPNSt15iterator_traitsISK_E10value_typeEPNSQ_ISL_E10value_typeEPSM_NS1_7vsmem_tEENKUlT_SK_SL_SM_E_clIPtSE_SF_SF_EESJ_SZ_SK_SL_SM_EUlSZ_E_NS1_11comp_targetILNS1_3genE10ELNS1_11target_archE1201ELNS1_3gpuE5ELNS1_3repE0EEENS1_48merge_mergepath_partition_config_static_selectorELNS0_4arch9wavefront6targetE1EEEvSL_,@function
_ZN7rocprim17ROCPRIM_400000_NS6detail17trampoline_kernelINS0_14default_configENS1_38merge_sort_block_merge_config_selectorItNS0_10empty_typeEEEZZNS1_27merge_sort_block_merge_implIS3_N6thrust23THRUST_200600_302600_NS6detail15normal_iteratorINS9_10device_ptrItEEEEPS5_jNS1_19radix_merge_compareILb0ELb0EtNS0_19identity_decomposerEEEEE10hipError_tT0_T1_T2_jT3_P12ihipStream_tbPNSt15iterator_traitsISK_E10value_typeEPNSQ_ISL_E10value_typeEPSM_NS1_7vsmem_tEENKUlT_SK_SL_SM_E_clIPtSE_SF_SF_EESJ_SZ_SK_SL_SM_EUlSZ_E_NS1_11comp_targetILNS1_3genE10ELNS1_11target_archE1201ELNS1_3gpuE5ELNS1_3repE0EEENS1_48merge_mergepath_partition_config_static_selectorELNS0_4arch9wavefront6targetE1EEEvSL_: ; @_ZN7rocprim17ROCPRIM_400000_NS6detail17trampoline_kernelINS0_14default_configENS1_38merge_sort_block_merge_config_selectorItNS0_10empty_typeEEEZZNS1_27merge_sort_block_merge_implIS3_N6thrust23THRUST_200600_302600_NS6detail15normal_iteratorINS9_10device_ptrItEEEEPS5_jNS1_19radix_merge_compareILb0ELb0EtNS0_19identity_decomposerEEEEE10hipError_tT0_T1_T2_jT3_P12ihipStream_tbPNSt15iterator_traitsISK_E10value_typeEPNSQ_ISL_E10value_typeEPSM_NS1_7vsmem_tEENKUlT_SK_SL_SM_E_clIPtSE_SF_SF_EESJ_SZ_SK_SL_SM_EUlSZ_E_NS1_11comp_targetILNS1_3genE10ELNS1_11target_archE1201ELNS1_3gpuE5ELNS1_3repE0EEENS1_48merge_mergepath_partition_config_static_selectorELNS0_4arch9wavefront6targetE1EEEvSL_
; %bb.0:
	.section	.rodata,"a",@progbits
	.p2align	6, 0x0
	.amdhsa_kernel _ZN7rocprim17ROCPRIM_400000_NS6detail17trampoline_kernelINS0_14default_configENS1_38merge_sort_block_merge_config_selectorItNS0_10empty_typeEEEZZNS1_27merge_sort_block_merge_implIS3_N6thrust23THRUST_200600_302600_NS6detail15normal_iteratorINS9_10device_ptrItEEEEPS5_jNS1_19radix_merge_compareILb0ELb0EtNS0_19identity_decomposerEEEEE10hipError_tT0_T1_T2_jT3_P12ihipStream_tbPNSt15iterator_traitsISK_E10value_typeEPNSQ_ISL_E10value_typeEPSM_NS1_7vsmem_tEENKUlT_SK_SL_SM_E_clIPtSE_SF_SF_EESJ_SZ_SK_SL_SM_EUlSZ_E_NS1_11comp_targetILNS1_3genE10ELNS1_11target_archE1201ELNS1_3gpuE5ELNS1_3repE0EEENS1_48merge_mergepath_partition_config_static_selectorELNS0_4arch9wavefront6targetE1EEEvSL_
		.amdhsa_group_segment_fixed_size 0
		.amdhsa_private_segment_fixed_size 0
		.amdhsa_kernarg_size 40
		.amdhsa_user_sgpr_count 6
		.amdhsa_user_sgpr_private_segment_buffer 1
		.amdhsa_user_sgpr_dispatch_ptr 0
		.amdhsa_user_sgpr_queue_ptr 0
		.amdhsa_user_sgpr_kernarg_segment_ptr 1
		.amdhsa_user_sgpr_dispatch_id 0
		.amdhsa_user_sgpr_flat_scratch_init 0
		.amdhsa_user_sgpr_kernarg_preload_length 0
		.amdhsa_user_sgpr_kernarg_preload_offset 0
		.amdhsa_user_sgpr_private_segment_size 0
		.amdhsa_uses_dynamic_stack 0
		.amdhsa_system_sgpr_private_segment_wavefront_offset 0
		.amdhsa_system_sgpr_workgroup_id_x 1
		.amdhsa_system_sgpr_workgroup_id_y 0
		.amdhsa_system_sgpr_workgroup_id_z 0
		.amdhsa_system_sgpr_workgroup_info 0
		.amdhsa_system_vgpr_workitem_id 0
		.amdhsa_next_free_vgpr 1
		.amdhsa_next_free_sgpr 0
		.amdhsa_accum_offset 4
		.amdhsa_reserve_vcc 0
		.amdhsa_reserve_flat_scratch 0
		.amdhsa_float_round_mode_32 0
		.amdhsa_float_round_mode_16_64 0
		.amdhsa_float_denorm_mode_32 3
		.amdhsa_float_denorm_mode_16_64 3
		.amdhsa_dx10_clamp 1
		.amdhsa_ieee_mode 1
		.amdhsa_fp16_overflow 0
		.amdhsa_tg_split 0
		.amdhsa_exception_fp_ieee_invalid_op 0
		.amdhsa_exception_fp_denorm_src 0
		.amdhsa_exception_fp_ieee_div_zero 0
		.amdhsa_exception_fp_ieee_overflow 0
		.amdhsa_exception_fp_ieee_underflow 0
		.amdhsa_exception_fp_ieee_inexact 0
		.amdhsa_exception_int_div_zero 0
	.end_amdhsa_kernel
	.section	.text._ZN7rocprim17ROCPRIM_400000_NS6detail17trampoline_kernelINS0_14default_configENS1_38merge_sort_block_merge_config_selectorItNS0_10empty_typeEEEZZNS1_27merge_sort_block_merge_implIS3_N6thrust23THRUST_200600_302600_NS6detail15normal_iteratorINS9_10device_ptrItEEEEPS5_jNS1_19radix_merge_compareILb0ELb0EtNS0_19identity_decomposerEEEEE10hipError_tT0_T1_T2_jT3_P12ihipStream_tbPNSt15iterator_traitsISK_E10value_typeEPNSQ_ISL_E10value_typeEPSM_NS1_7vsmem_tEENKUlT_SK_SL_SM_E_clIPtSE_SF_SF_EESJ_SZ_SK_SL_SM_EUlSZ_E_NS1_11comp_targetILNS1_3genE10ELNS1_11target_archE1201ELNS1_3gpuE5ELNS1_3repE0EEENS1_48merge_mergepath_partition_config_static_selectorELNS0_4arch9wavefront6targetE1EEEvSL_,"axG",@progbits,_ZN7rocprim17ROCPRIM_400000_NS6detail17trampoline_kernelINS0_14default_configENS1_38merge_sort_block_merge_config_selectorItNS0_10empty_typeEEEZZNS1_27merge_sort_block_merge_implIS3_N6thrust23THRUST_200600_302600_NS6detail15normal_iteratorINS9_10device_ptrItEEEEPS5_jNS1_19radix_merge_compareILb0ELb0EtNS0_19identity_decomposerEEEEE10hipError_tT0_T1_T2_jT3_P12ihipStream_tbPNSt15iterator_traitsISK_E10value_typeEPNSQ_ISL_E10value_typeEPSM_NS1_7vsmem_tEENKUlT_SK_SL_SM_E_clIPtSE_SF_SF_EESJ_SZ_SK_SL_SM_EUlSZ_E_NS1_11comp_targetILNS1_3genE10ELNS1_11target_archE1201ELNS1_3gpuE5ELNS1_3repE0EEENS1_48merge_mergepath_partition_config_static_selectorELNS0_4arch9wavefront6targetE1EEEvSL_,comdat
.Lfunc_end1207:
	.size	_ZN7rocprim17ROCPRIM_400000_NS6detail17trampoline_kernelINS0_14default_configENS1_38merge_sort_block_merge_config_selectorItNS0_10empty_typeEEEZZNS1_27merge_sort_block_merge_implIS3_N6thrust23THRUST_200600_302600_NS6detail15normal_iteratorINS9_10device_ptrItEEEEPS5_jNS1_19radix_merge_compareILb0ELb0EtNS0_19identity_decomposerEEEEE10hipError_tT0_T1_T2_jT3_P12ihipStream_tbPNSt15iterator_traitsISK_E10value_typeEPNSQ_ISL_E10value_typeEPSM_NS1_7vsmem_tEENKUlT_SK_SL_SM_E_clIPtSE_SF_SF_EESJ_SZ_SK_SL_SM_EUlSZ_E_NS1_11comp_targetILNS1_3genE10ELNS1_11target_archE1201ELNS1_3gpuE5ELNS1_3repE0EEENS1_48merge_mergepath_partition_config_static_selectorELNS0_4arch9wavefront6targetE1EEEvSL_, .Lfunc_end1207-_ZN7rocprim17ROCPRIM_400000_NS6detail17trampoline_kernelINS0_14default_configENS1_38merge_sort_block_merge_config_selectorItNS0_10empty_typeEEEZZNS1_27merge_sort_block_merge_implIS3_N6thrust23THRUST_200600_302600_NS6detail15normal_iteratorINS9_10device_ptrItEEEEPS5_jNS1_19radix_merge_compareILb0ELb0EtNS0_19identity_decomposerEEEEE10hipError_tT0_T1_T2_jT3_P12ihipStream_tbPNSt15iterator_traitsISK_E10value_typeEPNSQ_ISL_E10value_typeEPSM_NS1_7vsmem_tEENKUlT_SK_SL_SM_E_clIPtSE_SF_SF_EESJ_SZ_SK_SL_SM_EUlSZ_E_NS1_11comp_targetILNS1_3genE10ELNS1_11target_archE1201ELNS1_3gpuE5ELNS1_3repE0EEENS1_48merge_mergepath_partition_config_static_selectorELNS0_4arch9wavefront6targetE1EEEvSL_
                                        ; -- End function
	.section	.AMDGPU.csdata,"",@progbits
; Kernel info:
; codeLenInByte = 0
; NumSgprs: 4
; NumVgprs: 0
; NumAgprs: 0
; TotalNumVgprs: 0
; ScratchSize: 0
; MemoryBound: 0
; FloatMode: 240
; IeeeMode: 1
; LDSByteSize: 0 bytes/workgroup (compile time only)
; SGPRBlocks: 0
; VGPRBlocks: 0
; NumSGPRsForWavesPerEU: 4
; NumVGPRsForWavesPerEU: 1
; AccumOffset: 4
; Occupancy: 8
; WaveLimiterHint : 0
; COMPUTE_PGM_RSRC2:SCRATCH_EN: 0
; COMPUTE_PGM_RSRC2:USER_SGPR: 6
; COMPUTE_PGM_RSRC2:TRAP_HANDLER: 0
; COMPUTE_PGM_RSRC2:TGID_X_EN: 1
; COMPUTE_PGM_RSRC2:TGID_Y_EN: 0
; COMPUTE_PGM_RSRC2:TGID_Z_EN: 0
; COMPUTE_PGM_RSRC2:TIDIG_COMP_CNT: 0
; COMPUTE_PGM_RSRC3_GFX90A:ACCUM_OFFSET: 0
; COMPUTE_PGM_RSRC3_GFX90A:TG_SPLIT: 0
	.section	.text._ZN7rocprim17ROCPRIM_400000_NS6detail17trampoline_kernelINS0_14default_configENS1_38merge_sort_block_merge_config_selectorItNS0_10empty_typeEEEZZNS1_27merge_sort_block_merge_implIS3_N6thrust23THRUST_200600_302600_NS6detail15normal_iteratorINS9_10device_ptrItEEEEPS5_jNS1_19radix_merge_compareILb0ELb0EtNS0_19identity_decomposerEEEEE10hipError_tT0_T1_T2_jT3_P12ihipStream_tbPNSt15iterator_traitsISK_E10value_typeEPNSQ_ISL_E10value_typeEPSM_NS1_7vsmem_tEENKUlT_SK_SL_SM_E_clIPtSE_SF_SF_EESJ_SZ_SK_SL_SM_EUlSZ_E_NS1_11comp_targetILNS1_3genE5ELNS1_11target_archE942ELNS1_3gpuE9ELNS1_3repE0EEENS1_48merge_mergepath_partition_config_static_selectorELNS0_4arch9wavefront6targetE1EEEvSL_,"axG",@progbits,_ZN7rocprim17ROCPRIM_400000_NS6detail17trampoline_kernelINS0_14default_configENS1_38merge_sort_block_merge_config_selectorItNS0_10empty_typeEEEZZNS1_27merge_sort_block_merge_implIS3_N6thrust23THRUST_200600_302600_NS6detail15normal_iteratorINS9_10device_ptrItEEEEPS5_jNS1_19radix_merge_compareILb0ELb0EtNS0_19identity_decomposerEEEEE10hipError_tT0_T1_T2_jT3_P12ihipStream_tbPNSt15iterator_traitsISK_E10value_typeEPNSQ_ISL_E10value_typeEPSM_NS1_7vsmem_tEENKUlT_SK_SL_SM_E_clIPtSE_SF_SF_EESJ_SZ_SK_SL_SM_EUlSZ_E_NS1_11comp_targetILNS1_3genE5ELNS1_11target_archE942ELNS1_3gpuE9ELNS1_3repE0EEENS1_48merge_mergepath_partition_config_static_selectorELNS0_4arch9wavefront6targetE1EEEvSL_,comdat
	.protected	_ZN7rocprim17ROCPRIM_400000_NS6detail17trampoline_kernelINS0_14default_configENS1_38merge_sort_block_merge_config_selectorItNS0_10empty_typeEEEZZNS1_27merge_sort_block_merge_implIS3_N6thrust23THRUST_200600_302600_NS6detail15normal_iteratorINS9_10device_ptrItEEEEPS5_jNS1_19radix_merge_compareILb0ELb0EtNS0_19identity_decomposerEEEEE10hipError_tT0_T1_T2_jT3_P12ihipStream_tbPNSt15iterator_traitsISK_E10value_typeEPNSQ_ISL_E10value_typeEPSM_NS1_7vsmem_tEENKUlT_SK_SL_SM_E_clIPtSE_SF_SF_EESJ_SZ_SK_SL_SM_EUlSZ_E_NS1_11comp_targetILNS1_3genE5ELNS1_11target_archE942ELNS1_3gpuE9ELNS1_3repE0EEENS1_48merge_mergepath_partition_config_static_selectorELNS0_4arch9wavefront6targetE1EEEvSL_ ; -- Begin function _ZN7rocprim17ROCPRIM_400000_NS6detail17trampoline_kernelINS0_14default_configENS1_38merge_sort_block_merge_config_selectorItNS0_10empty_typeEEEZZNS1_27merge_sort_block_merge_implIS3_N6thrust23THRUST_200600_302600_NS6detail15normal_iteratorINS9_10device_ptrItEEEEPS5_jNS1_19radix_merge_compareILb0ELb0EtNS0_19identity_decomposerEEEEE10hipError_tT0_T1_T2_jT3_P12ihipStream_tbPNSt15iterator_traitsISK_E10value_typeEPNSQ_ISL_E10value_typeEPSM_NS1_7vsmem_tEENKUlT_SK_SL_SM_E_clIPtSE_SF_SF_EESJ_SZ_SK_SL_SM_EUlSZ_E_NS1_11comp_targetILNS1_3genE5ELNS1_11target_archE942ELNS1_3gpuE9ELNS1_3repE0EEENS1_48merge_mergepath_partition_config_static_selectorELNS0_4arch9wavefront6targetE1EEEvSL_
	.globl	_ZN7rocprim17ROCPRIM_400000_NS6detail17trampoline_kernelINS0_14default_configENS1_38merge_sort_block_merge_config_selectorItNS0_10empty_typeEEEZZNS1_27merge_sort_block_merge_implIS3_N6thrust23THRUST_200600_302600_NS6detail15normal_iteratorINS9_10device_ptrItEEEEPS5_jNS1_19radix_merge_compareILb0ELb0EtNS0_19identity_decomposerEEEEE10hipError_tT0_T1_T2_jT3_P12ihipStream_tbPNSt15iterator_traitsISK_E10value_typeEPNSQ_ISL_E10value_typeEPSM_NS1_7vsmem_tEENKUlT_SK_SL_SM_E_clIPtSE_SF_SF_EESJ_SZ_SK_SL_SM_EUlSZ_E_NS1_11comp_targetILNS1_3genE5ELNS1_11target_archE942ELNS1_3gpuE9ELNS1_3repE0EEENS1_48merge_mergepath_partition_config_static_selectorELNS0_4arch9wavefront6targetE1EEEvSL_
	.p2align	8
	.type	_ZN7rocprim17ROCPRIM_400000_NS6detail17trampoline_kernelINS0_14default_configENS1_38merge_sort_block_merge_config_selectorItNS0_10empty_typeEEEZZNS1_27merge_sort_block_merge_implIS3_N6thrust23THRUST_200600_302600_NS6detail15normal_iteratorINS9_10device_ptrItEEEEPS5_jNS1_19radix_merge_compareILb0ELb0EtNS0_19identity_decomposerEEEEE10hipError_tT0_T1_T2_jT3_P12ihipStream_tbPNSt15iterator_traitsISK_E10value_typeEPNSQ_ISL_E10value_typeEPSM_NS1_7vsmem_tEENKUlT_SK_SL_SM_E_clIPtSE_SF_SF_EESJ_SZ_SK_SL_SM_EUlSZ_E_NS1_11comp_targetILNS1_3genE5ELNS1_11target_archE942ELNS1_3gpuE9ELNS1_3repE0EEENS1_48merge_mergepath_partition_config_static_selectorELNS0_4arch9wavefront6targetE1EEEvSL_,@function
_ZN7rocprim17ROCPRIM_400000_NS6detail17trampoline_kernelINS0_14default_configENS1_38merge_sort_block_merge_config_selectorItNS0_10empty_typeEEEZZNS1_27merge_sort_block_merge_implIS3_N6thrust23THRUST_200600_302600_NS6detail15normal_iteratorINS9_10device_ptrItEEEEPS5_jNS1_19radix_merge_compareILb0ELb0EtNS0_19identity_decomposerEEEEE10hipError_tT0_T1_T2_jT3_P12ihipStream_tbPNSt15iterator_traitsISK_E10value_typeEPNSQ_ISL_E10value_typeEPSM_NS1_7vsmem_tEENKUlT_SK_SL_SM_E_clIPtSE_SF_SF_EESJ_SZ_SK_SL_SM_EUlSZ_E_NS1_11comp_targetILNS1_3genE5ELNS1_11target_archE942ELNS1_3gpuE9ELNS1_3repE0EEENS1_48merge_mergepath_partition_config_static_selectorELNS0_4arch9wavefront6targetE1EEEvSL_: ; @_ZN7rocprim17ROCPRIM_400000_NS6detail17trampoline_kernelINS0_14default_configENS1_38merge_sort_block_merge_config_selectorItNS0_10empty_typeEEEZZNS1_27merge_sort_block_merge_implIS3_N6thrust23THRUST_200600_302600_NS6detail15normal_iteratorINS9_10device_ptrItEEEEPS5_jNS1_19radix_merge_compareILb0ELb0EtNS0_19identity_decomposerEEEEE10hipError_tT0_T1_T2_jT3_P12ihipStream_tbPNSt15iterator_traitsISK_E10value_typeEPNSQ_ISL_E10value_typeEPSM_NS1_7vsmem_tEENKUlT_SK_SL_SM_E_clIPtSE_SF_SF_EESJ_SZ_SK_SL_SM_EUlSZ_E_NS1_11comp_targetILNS1_3genE5ELNS1_11target_archE942ELNS1_3gpuE9ELNS1_3repE0EEENS1_48merge_mergepath_partition_config_static_selectorELNS0_4arch9wavefront6targetE1EEEvSL_
; %bb.0:
	.section	.rodata,"a",@progbits
	.p2align	6, 0x0
	.amdhsa_kernel _ZN7rocprim17ROCPRIM_400000_NS6detail17trampoline_kernelINS0_14default_configENS1_38merge_sort_block_merge_config_selectorItNS0_10empty_typeEEEZZNS1_27merge_sort_block_merge_implIS3_N6thrust23THRUST_200600_302600_NS6detail15normal_iteratorINS9_10device_ptrItEEEEPS5_jNS1_19radix_merge_compareILb0ELb0EtNS0_19identity_decomposerEEEEE10hipError_tT0_T1_T2_jT3_P12ihipStream_tbPNSt15iterator_traitsISK_E10value_typeEPNSQ_ISL_E10value_typeEPSM_NS1_7vsmem_tEENKUlT_SK_SL_SM_E_clIPtSE_SF_SF_EESJ_SZ_SK_SL_SM_EUlSZ_E_NS1_11comp_targetILNS1_3genE5ELNS1_11target_archE942ELNS1_3gpuE9ELNS1_3repE0EEENS1_48merge_mergepath_partition_config_static_selectorELNS0_4arch9wavefront6targetE1EEEvSL_
		.amdhsa_group_segment_fixed_size 0
		.amdhsa_private_segment_fixed_size 0
		.amdhsa_kernarg_size 40
		.amdhsa_user_sgpr_count 6
		.amdhsa_user_sgpr_private_segment_buffer 1
		.amdhsa_user_sgpr_dispatch_ptr 0
		.amdhsa_user_sgpr_queue_ptr 0
		.amdhsa_user_sgpr_kernarg_segment_ptr 1
		.amdhsa_user_sgpr_dispatch_id 0
		.amdhsa_user_sgpr_flat_scratch_init 0
		.amdhsa_user_sgpr_kernarg_preload_length 0
		.amdhsa_user_sgpr_kernarg_preload_offset 0
		.amdhsa_user_sgpr_private_segment_size 0
		.amdhsa_uses_dynamic_stack 0
		.amdhsa_system_sgpr_private_segment_wavefront_offset 0
		.amdhsa_system_sgpr_workgroup_id_x 1
		.amdhsa_system_sgpr_workgroup_id_y 0
		.amdhsa_system_sgpr_workgroup_id_z 0
		.amdhsa_system_sgpr_workgroup_info 0
		.amdhsa_system_vgpr_workitem_id 0
		.amdhsa_next_free_vgpr 1
		.amdhsa_next_free_sgpr 0
		.amdhsa_accum_offset 4
		.amdhsa_reserve_vcc 0
		.amdhsa_reserve_flat_scratch 0
		.amdhsa_float_round_mode_32 0
		.amdhsa_float_round_mode_16_64 0
		.amdhsa_float_denorm_mode_32 3
		.amdhsa_float_denorm_mode_16_64 3
		.amdhsa_dx10_clamp 1
		.amdhsa_ieee_mode 1
		.amdhsa_fp16_overflow 0
		.amdhsa_tg_split 0
		.amdhsa_exception_fp_ieee_invalid_op 0
		.amdhsa_exception_fp_denorm_src 0
		.amdhsa_exception_fp_ieee_div_zero 0
		.amdhsa_exception_fp_ieee_overflow 0
		.amdhsa_exception_fp_ieee_underflow 0
		.amdhsa_exception_fp_ieee_inexact 0
		.amdhsa_exception_int_div_zero 0
	.end_amdhsa_kernel
	.section	.text._ZN7rocprim17ROCPRIM_400000_NS6detail17trampoline_kernelINS0_14default_configENS1_38merge_sort_block_merge_config_selectorItNS0_10empty_typeEEEZZNS1_27merge_sort_block_merge_implIS3_N6thrust23THRUST_200600_302600_NS6detail15normal_iteratorINS9_10device_ptrItEEEEPS5_jNS1_19radix_merge_compareILb0ELb0EtNS0_19identity_decomposerEEEEE10hipError_tT0_T1_T2_jT3_P12ihipStream_tbPNSt15iterator_traitsISK_E10value_typeEPNSQ_ISL_E10value_typeEPSM_NS1_7vsmem_tEENKUlT_SK_SL_SM_E_clIPtSE_SF_SF_EESJ_SZ_SK_SL_SM_EUlSZ_E_NS1_11comp_targetILNS1_3genE5ELNS1_11target_archE942ELNS1_3gpuE9ELNS1_3repE0EEENS1_48merge_mergepath_partition_config_static_selectorELNS0_4arch9wavefront6targetE1EEEvSL_,"axG",@progbits,_ZN7rocprim17ROCPRIM_400000_NS6detail17trampoline_kernelINS0_14default_configENS1_38merge_sort_block_merge_config_selectorItNS0_10empty_typeEEEZZNS1_27merge_sort_block_merge_implIS3_N6thrust23THRUST_200600_302600_NS6detail15normal_iteratorINS9_10device_ptrItEEEEPS5_jNS1_19radix_merge_compareILb0ELb0EtNS0_19identity_decomposerEEEEE10hipError_tT0_T1_T2_jT3_P12ihipStream_tbPNSt15iterator_traitsISK_E10value_typeEPNSQ_ISL_E10value_typeEPSM_NS1_7vsmem_tEENKUlT_SK_SL_SM_E_clIPtSE_SF_SF_EESJ_SZ_SK_SL_SM_EUlSZ_E_NS1_11comp_targetILNS1_3genE5ELNS1_11target_archE942ELNS1_3gpuE9ELNS1_3repE0EEENS1_48merge_mergepath_partition_config_static_selectorELNS0_4arch9wavefront6targetE1EEEvSL_,comdat
.Lfunc_end1208:
	.size	_ZN7rocprim17ROCPRIM_400000_NS6detail17trampoline_kernelINS0_14default_configENS1_38merge_sort_block_merge_config_selectorItNS0_10empty_typeEEEZZNS1_27merge_sort_block_merge_implIS3_N6thrust23THRUST_200600_302600_NS6detail15normal_iteratorINS9_10device_ptrItEEEEPS5_jNS1_19radix_merge_compareILb0ELb0EtNS0_19identity_decomposerEEEEE10hipError_tT0_T1_T2_jT3_P12ihipStream_tbPNSt15iterator_traitsISK_E10value_typeEPNSQ_ISL_E10value_typeEPSM_NS1_7vsmem_tEENKUlT_SK_SL_SM_E_clIPtSE_SF_SF_EESJ_SZ_SK_SL_SM_EUlSZ_E_NS1_11comp_targetILNS1_3genE5ELNS1_11target_archE942ELNS1_3gpuE9ELNS1_3repE0EEENS1_48merge_mergepath_partition_config_static_selectorELNS0_4arch9wavefront6targetE1EEEvSL_, .Lfunc_end1208-_ZN7rocprim17ROCPRIM_400000_NS6detail17trampoline_kernelINS0_14default_configENS1_38merge_sort_block_merge_config_selectorItNS0_10empty_typeEEEZZNS1_27merge_sort_block_merge_implIS3_N6thrust23THRUST_200600_302600_NS6detail15normal_iteratorINS9_10device_ptrItEEEEPS5_jNS1_19radix_merge_compareILb0ELb0EtNS0_19identity_decomposerEEEEE10hipError_tT0_T1_T2_jT3_P12ihipStream_tbPNSt15iterator_traitsISK_E10value_typeEPNSQ_ISL_E10value_typeEPSM_NS1_7vsmem_tEENKUlT_SK_SL_SM_E_clIPtSE_SF_SF_EESJ_SZ_SK_SL_SM_EUlSZ_E_NS1_11comp_targetILNS1_3genE5ELNS1_11target_archE942ELNS1_3gpuE9ELNS1_3repE0EEENS1_48merge_mergepath_partition_config_static_selectorELNS0_4arch9wavefront6targetE1EEEvSL_
                                        ; -- End function
	.section	.AMDGPU.csdata,"",@progbits
; Kernel info:
; codeLenInByte = 0
; NumSgprs: 4
; NumVgprs: 0
; NumAgprs: 0
; TotalNumVgprs: 0
; ScratchSize: 0
; MemoryBound: 0
; FloatMode: 240
; IeeeMode: 1
; LDSByteSize: 0 bytes/workgroup (compile time only)
; SGPRBlocks: 0
; VGPRBlocks: 0
; NumSGPRsForWavesPerEU: 4
; NumVGPRsForWavesPerEU: 1
; AccumOffset: 4
; Occupancy: 8
; WaveLimiterHint : 0
; COMPUTE_PGM_RSRC2:SCRATCH_EN: 0
; COMPUTE_PGM_RSRC2:USER_SGPR: 6
; COMPUTE_PGM_RSRC2:TRAP_HANDLER: 0
; COMPUTE_PGM_RSRC2:TGID_X_EN: 1
; COMPUTE_PGM_RSRC2:TGID_Y_EN: 0
; COMPUTE_PGM_RSRC2:TGID_Z_EN: 0
; COMPUTE_PGM_RSRC2:TIDIG_COMP_CNT: 0
; COMPUTE_PGM_RSRC3_GFX90A:ACCUM_OFFSET: 0
; COMPUTE_PGM_RSRC3_GFX90A:TG_SPLIT: 0
	.section	.text._ZN7rocprim17ROCPRIM_400000_NS6detail17trampoline_kernelINS0_14default_configENS1_38merge_sort_block_merge_config_selectorItNS0_10empty_typeEEEZZNS1_27merge_sort_block_merge_implIS3_N6thrust23THRUST_200600_302600_NS6detail15normal_iteratorINS9_10device_ptrItEEEEPS5_jNS1_19radix_merge_compareILb0ELb0EtNS0_19identity_decomposerEEEEE10hipError_tT0_T1_T2_jT3_P12ihipStream_tbPNSt15iterator_traitsISK_E10value_typeEPNSQ_ISL_E10value_typeEPSM_NS1_7vsmem_tEENKUlT_SK_SL_SM_E_clIPtSE_SF_SF_EESJ_SZ_SK_SL_SM_EUlSZ_E_NS1_11comp_targetILNS1_3genE4ELNS1_11target_archE910ELNS1_3gpuE8ELNS1_3repE0EEENS1_48merge_mergepath_partition_config_static_selectorELNS0_4arch9wavefront6targetE1EEEvSL_,"axG",@progbits,_ZN7rocprim17ROCPRIM_400000_NS6detail17trampoline_kernelINS0_14default_configENS1_38merge_sort_block_merge_config_selectorItNS0_10empty_typeEEEZZNS1_27merge_sort_block_merge_implIS3_N6thrust23THRUST_200600_302600_NS6detail15normal_iteratorINS9_10device_ptrItEEEEPS5_jNS1_19radix_merge_compareILb0ELb0EtNS0_19identity_decomposerEEEEE10hipError_tT0_T1_T2_jT3_P12ihipStream_tbPNSt15iterator_traitsISK_E10value_typeEPNSQ_ISL_E10value_typeEPSM_NS1_7vsmem_tEENKUlT_SK_SL_SM_E_clIPtSE_SF_SF_EESJ_SZ_SK_SL_SM_EUlSZ_E_NS1_11comp_targetILNS1_3genE4ELNS1_11target_archE910ELNS1_3gpuE8ELNS1_3repE0EEENS1_48merge_mergepath_partition_config_static_selectorELNS0_4arch9wavefront6targetE1EEEvSL_,comdat
	.protected	_ZN7rocprim17ROCPRIM_400000_NS6detail17trampoline_kernelINS0_14default_configENS1_38merge_sort_block_merge_config_selectorItNS0_10empty_typeEEEZZNS1_27merge_sort_block_merge_implIS3_N6thrust23THRUST_200600_302600_NS6detail15normal_iteratorINS9_10device_ptrItEEEEPS5_jNS1_19radix_merge_compareILb0ELb0EtNS0_19identity_decomposerEEEEE10hipError_tT0_T1_T2_jT3_P12ihipStream_tbPNSt15iterator_traitsISK_E10value_typeEPNSQ_ISL_E10value_typeEPSM_NS1_7vsmem_tEENKUlT_SK_SL_SM_E_clIPtSE_SF_SF_EESJ_SZ_SK_SL_SM_EUlSZ_E_NS1_11comp_targetILNS1_3genE4ELNS1_11target_archE910ELNS1_3gpuE8ELNS1_3repE0EEENS1_48merge_mergepath_partition_config_static_selectorELNS0_4arch9wavefront6targetE1EEEvSL_ ; -- Begin function _ZN7rocprim17ROCPRIM_400000_NS6detail17trampoline_kernelINS0_14default_configENS1_38merge_sort_block_merge_config_selectorItNS0_10empty_typeEEEZZNS1_27merge_sort_block_merge_implIS3_N6thrust23THRUST_200600_302600_NS6detail15normal_iteratorINS9_10device_ptrItEEEEPS5_jNS1_19radix_merge_compareILb0ELb0EtNS0_19identity_decomposerEEEEE10hipError_tT0_T1_T2_jT3_P12ihipStream_tbPNSt15iterator_traitsISK_E10value_typeEPNSQ_ISL_E10value_typeEPSM_NS1_7vsmem_tEENKUlT_SK_SL_SM_E_clIPtSE_SF_SF_EESJ_SZ_SK_SL_SM_EUlSZ_E_NS1_11comp_targetILNS1_3genE4ELNS1_11target_archE910ELNS1_3gpuE8ELNS1_3repE0EEENS1_48merge_mergepath_partition_config_static_selectorELNS0_4arch9wavefront6targetE1EEEvSL_
	.globl	_ZN7rocprim17ROCPRIM_400000_NS6detail17trampoline_kernelINS0_14default_configENS1_38merge_sort_block_merge_config_selectorItNS0_10empty_typeEEEZZNS1_27merge_sort_block_merge_implIS3_N6thrust23THRUST_200600_302600_NS6detail15normal_iteratorINS9_10device_ptrItEEEEPS5_jNS1_19radix_merge_compareILb0ELb0EtNS0_19identity_decomposerEEEEE10hipError_tT0_T1_T2_jT3_P12ihipStream_tbPNSt15iterator_traitsISK_E10value_typeEPNSQ_ISL_E10value_typeEPSM_NS1_7vsmem_tEENKUlT_SK_SL_SM_E_clIPtSE_SF_SF_EESJ_SZ_SK_SL_SM_EUlSZ_E_NS1_11comp_targetILNS1_3genE4ELNS1_11target_archE910ELNS1_3gpuE8ELNS1_3repE0EEENS1_48merge_mergepath_partition_config_static_selectorELNS0_4arch9wavefront6targetE1EEEvSL_
	.p2align	8
	.type	_ZN7rocprim17ROCPRIM_400000_NS6detail17trampoline_kernelINS0_14default_configENS1_38merge_sort_block_merge_config_selectorItNS0_10empty_typeEEEZZNS1_27merge_sort_block_merge_implIS3_N6thrust23THRUST_200600_302600_NS6detail15normal_iteratorINS9_10device_ptrItEEEEPS5_jNS1_19radix_merge_compareILb0ELb0EtNS0_19identity_decomposerEEEEE10hipError_tT0_T1_T2_jT3_P12ihipStream_tbPNSt15iterator_traitsISK_E10value_typeEPNSQ_ISL_E10value_typeEPSM_NS1_7vsmem_tEENKUlT_SK_SL_SM_E_clIPtSE_SF_SF_EESJ_SZ_SK_SL_SM_EUlSZ_E_NS1_11comp_targetILNS1_3genE4ELNS1_11target_archE910ELNS1_3gpuE8ELNS1_3repE0EEENS1_48merge_mergepath_partition_config_static_selectorELNS0_4arch9wavefront6targetE1EEEvSL_,@function
_ZN7rocprim17ROCPRIM_400000_NS6detail17trampoline_kernelINS0_14default_configENS1_38merge_sort_block_merge_config_selectorItNS0_10empty_typeEEEZZNS1_27merge_sort_block_merge_implIS3_N6thrust23THRUST_200600_302600_NS6detail15normal_iteratorINS9_10device_ptrItEEEEPS5_jNS1_19radix_merge_compareILb0ELb0EtNS0_19identity_decomposerEEEEE10hipError_tT0_T1_T2_jT3_P12ihipStream_tbPNSt15iterator_traitsISK_E10value_typeEPNSQ_ISL_E10value_typeEPSM_NS1_7vsmem_tEENKUlT_SK_SL_SM_E_clIPtSE_SF_SF_EESJ_SZ_SK_SL_SM_EUlSZ_E_NS1_11comp_targetILNS1_3genE4ELNS1_11target_archE910ELNS1_3gpuE8ELNS1_3repE0EEENS1_48merge_mergepath_partition_config_static_selectorELNS0_4arch9wavefront6targetE1EEEvSL_: ; @_ZN7rocprim17ROCPRIM_400000_NS6detail17trampoline_kernelINS0_14default_configENS1_38merge_sort_block_merge_config_selectorItNS0_10empty_typeEEEZZNS1_27merge_sort_block_merge_implIS3_N6thrust23THRUST_200600_302600_NS6detail15normal_iteratorINS9_10device_ptrItEEEEPS5_jNS1_19radix_merge_compareILb0ELb0EtNS0_19identity_decomposerEEEEE10hipError_tT0_T1_T2_jT3_P12ihipStream_tbPNSt15iterator_traitsISK_E10value_typeEPNSQ_ISL_E10value_typeEPSM_NS1_7vsmem_tEENKUlT_SK_SL_SM_E_clIPtSE_SF_SF_EESJ_SZ_SK_SL_SM_EUlSZ_E_NS1_11comp_targetILNS1_3genE4ELNS1_11target_archE910ELNS1_3gpuE8ELNS1_3repE0EEENS1_48merge_mergepath_partition_config_static_selectorELNS0_4arch9wavefront6targetE1EEEvSL_
; %bb.0:
	s_load_dword s0, s[4:5], 0x0
	v_lshl_or_b32 v0, s6, 7, v0
	s_waitcnt lgkmcnt(0)
	v_cmp_gt_u32_e32 vcc, s0, v0
	s_and_saveexec_b64 s[0:1], vcc
	s_cbranch_execz .LBB1209_6
; %bb.1:
	s_load_dwordx2 s[2:3], s[4:5], 0x4
	s_load_dwordx2 s[0:1], s[4:5], 0x20
	s_waitcnt lgkmcnt(0)
	s_lshr_b32 s6, s2, 9
	s_and_b32 s6, s6, 0x7ffffe
	s_add_i32 s7, s6, -1
	s_sub_i32 s6, 0, s6
	v_and_b32_e32 v1, s6, v0
	v_lshlrev_b32_e32 v1, 10, v1
	v_min_u32_e32 v2, s3, v1
	v_add_u32_e32 v1, s2, v1
	v_min_u32_e32 v4, s3, v1
	v_add_u32_e32 v1, s2, v4
	v_and_b32_e32 v3, s7, v0
	v_min_u32_e32 v1, s3, v1
	v_sub_u32_e32 v5, v1, v2
	v_lshlrev_b32_e32 v3, 10, v3
	v_min_u32_e32 v6, v5, v3
	v_sub_u32_e32 v3, v4, v2
	v_sub_u32_e32 v1, v1, v4
	v_sub_u32_e64 v1, v6, v1 clamp
	v_min_u32_e32 v7, v6, v3
	v_cmp_lt_u32_e32 vcc, v1, v7
	s_and_saveexec_b64 s[2:3], vcc
	s_cbranch_execz .LBB1209_5
; %bb.2:
	s_load_dwordx2 s[4:5], s[4:5], 0x10
	v_mov_b32_e32 v5, 0
	v_mov_b32_e32 v3, v5
	v_lshlrev_b64 v[8:9], 1, v[2:3]
	v_lshlrev_b64 v[10:11], 1, v[4:5]
	s_waitcnt lgkmcnt(0)
	v_mov_b32_e32 v12, s5
	v_add_co_u32_e32 v3, vcc, s4, v8
	v_addc_co_u32_e32 v8, vcc, v12, v9, vcc
	v_add_co_u32_e32 v9, vcc, s4, v10
	v_addc_co_u32_e32 v10, vcc, v12, v11, vcc
	s_mov_b64 s[4:5], 0
.LBB1209_3:                             ; =>This Inner Loop Header: Depth=1
	v_add_u32_e32 v4, v7, v1
	v_and_b32_e32 v12, -2, v4
	v_lshrrev_b32_e32 v11, 1, v4
	v_add_co_u32_e32 v12, vcc, v3, v12
	v_xad_u32 v4, v11, -1, v6
	v_addc_co_u32_e32 v13, vcc, 0, v8, vcc
	global_load_ushort v14, v[12:13], off
	v_lshlrev_b64 v[12:13], 1, v[4:5]
	v_add_co_u32_e32 v12, vcc, v9, v12
	v_addc_co_u32_e32 v13, vcc, v10, v13, vcc
	global_load_ushort v4, v[12:13], off
	v_add_u32_e32 v12, 1, v11
	s_waitcnt vmcnt(0)
	v_cmp_gt_u16_e32 vcc, v14, v4
	v_cndmask_b32_e32 v7, v7, v11, vcc
	v_cndmask_b32_e32 v1, v12, v1, vcc
	v_cmp_ge_u32_e32 vcc, v1, v7
	s_or_b64 s[4:5], vcc, s[4:5]
	s_andn2_b64 exec, exec, s[4:5]
	s_cbranch_execnz .LBB1209_3
; %bb.4:
	s_or_b64 exec, exec, s[4:5]
.LBB1209_5:
	s_or_b64 exec, exec, s[2:3]
	v_add_u32_e32 v2, v1, v2
	v_mov_b32_e32 v1, 0
	v_lshlrev_b64 v[0:1], 2, v[0:1]
	v_mov_b32_e32 v3, s1
	v_add_co_u32_e32 v0, vcc, s0, v0
	v_addc_co_u32_e32 v1, vcc, v3, v1, vcc
	global_store_dword v[0:1], v2, off
.LBB1209_6:
	s_endpgm
	.section	.rodata,"a",@progbits
	.p2align	6, 0x0
	.amdhsa_kernel _ZN7rocprim17ROCPRIM_400000_NS6detail17trampoline_kernelINS0_14default_configENS1_38merge_sort_block_merge_config_selectorItNS0_10empty_typeEEEZZNS1_27merge_sort_block_merge_implIS3_N6thrust23THRUST_200600_302600_NS6detail15normal_iteratorINS9_10device_ptrItEEEEPS5_jNS1_19radix_merge_compareILb0ELb0EtNS0_19identity_decomposerEEEEE10hipError_tT0_T1_T2_jT3_P12ihipStream_tbPNSt15iterator_traitsISK_E10value_typeEPNSQ_ISL_E10value_typeEPSM_NS1_7vsmem_tEENKUlT_SK_SL_SM_E_clIPtSE_SF_SF_EESJ_SZ_SK_SL_SM_EUlSZ_E_NS1_11comp_targetILNS1_3genE4ELNS1_11target_archE910ELNS1_3gpuE8ELNS1_3repE0EEENS1_48merge_mergepath_partition_config_static_selectorELNS0_4arch9wavefront6targetE1EEEvSL_
		.amdhsa_group_segment_fixed_size 0
		.amdhsa_private_segment_fixed_size 0
		.amdhsa_kernarg_size 40
		.amdhsa_user_sgpr_count 6
		.amdhsa_user_sgpr_private_segment_buffer 1
		.amdhsa_user_sgpr_dispatch_ptr 0
		.amdhsa_user_sgpr_queue_ptr 0
		.amdhsa_user_sgpr_kernarg_segment_ptr 1
		.amdhsa_user_sgpr_dispatch_id 0
		.amdhsa_user_sgpr_flat_scratch_init 0
		.amdhsa_user_sgpr_kernarg_preload_length 0
		.amdhsa_user_sgpr_kernarg_preload_offset 0
		.amdhsa_user_sgpr_private_segment_size 0
		.amdhsa_uses_dynamic_stack 0
		.amdhsa_system_sgpr_private_segment_wavefront_offset 0
		.amdhsa_system_sgpr_workgroup_id_x 1
		.amdhsa_system_sgpr_workgroup_id_y 0
		.amdhsa_system_sgpr_workgroup_id_z 0
		.amdhsa_system_sgpr_workgroup_info 0
		.amdhsa_system_vgpr_workitem_id 0
		.amdhsa_next_free_vgpr 15
		.amdhsa_next_free_sgpr 8
		.amdhsa_accum_offset 16
		.amdhsa_reserve_vcc 1
		.amdhsa_reserve_flat_scratch 0
		.amdhsa_float_round_mode_32 0
		.amdhsa_float_round_mode_16_64 0
		.amdhsa_float_denorm_mode_32 3
		.amdhsa_float_denorm_mode_16_64 3
		.amdhsa_dx10_clamp 1
		.amdhsa_ieee_mode 1
		.amdhsa_fp16_overflow 0
		.amdhsa_tg_split 0
		.amdhsa_exception_fp_ieee_invalid_op 0
		.amdhsa_exception_fp_denorm_src 0
		.amdhsa_exception_fp_ieee_div_zero 0
		.amdhsa_exception_fp_ieee_overflow 0
		.amdhsa_exception_fp_ieee_underflow 0
		.amdhsa_exception_fp_ieee_inexact 0
		.amdhsa_exception_int_div_zero 0
	.end_amdhsa_kernel
	.section	.text._ZN7rocprim17ROCPRIM_400000_NS6detail17trampoline_kernelINS0_14default_configENS1_38merge_sort_block_merge_config_selectorItNS0_10empty_typeEEEZZNS1_27merge_sort_block_merge_implIS3_N6thrust23THRUST_200600_302600_NS6detail15normal_iteratorINS9_10device_ptrItEEEEPS5_jNS1_19radix_merge_compareILb0ELb0EtNS0_19identity_decomposerEEEEE10hipError_tT0_T1_T2_jT3_P12ihipStream_tbPNSt15iterator_traitsISK_E10value_typeEPNSQ_ISL_E10value_typeEPSM_NS1_7vsmem_tEENKUlT_SK_SL_SM_E_clIPtSE_SF_SF_EESJ_SZ_SK_SL_SM_EUlSZ_E_NS1_11comp_targetILNS1_3genE4ELNS1_11target_archE910ELNS1_3gpuE8ELNS1_3repE0EEENS1_48merge_mergepath_partition_config_static_selectorELNS0_4arch9wavefront6targetE1EEEvSL_,"axG",@progbits,_ZN7rocprim17ROCPRIM_400000_NS6detail17trampoline_kernelINS0_14default_configENS1_38merge_sort_block_merge_config_selectorItNS0_10empty_typeEEEZZNS1_27merge_sort_block_merge_implIS3_N6thrust23THRUST_200600_302600_NS6detail15normal_iteratorINS9_10device_ptrItEEEEPS5_jNS1_19radix_merge_compareILb0ELb0EtNS0_19identity_decomposerEEEEE10hipError_tT0_T1_T2_jT3_P12ihipStream_tbPNSt15iterator_traitsISK_E10value_typeEPNSQ_ISL_E10value_typeEPSM_NS1_7vsmem_tEENKUlT_SK_SL_SM_E_clIPtSE_SF_SF_EESJ_SZ_SK_SL_SM_EUlSZ_E_NS1_11comp_targetILNS1_3genE4ELNS1_11target_archE910ELNS1_3gpuE8ELNS1_3repE0EEENS1_48merge_mergepath_partition_config_static_selectorELNS0_4arch9wavefront6targetE1EEEvSL_,comdat
.Lfunc_end1209:
	.size	_ZN7rocprim17ROCPRIM_400000_NS6detail17trampoline_kernelINS0_14default_configENS1_38merge_sort_block_merge_config_selectorItNS0_10empty_typeEEEZZNS1_27merge_sort_block_merge_implIS3_N6thrust23THRUST_200600_302600_NS6detail15normal_iteratorINS9_10device_ptrItEEEEPS5_jNS1_19radix_merge_compareILb0ELb0EtNS0_19identity_decomposerEEEEE10hipError_tT0_T1_T2_jT3_P12ihipStream_tbPNSt15iterator_traitsISK_E10value_typeEPNSQ_ISL_E10value_typeEPSM_NS1_7vsmem_tEENKUlT_SK_SL_SM_E_clIPtSE_SF_SF_EESJ_SZ_SK_SL_SM_EUlSZ_E_NS1_11comp_targetILNS1_3genE4ELNS1_11target_archE910ELNS1_3gpuE8ELNS1_3repE0EEENS1_48merge_mergepath_partition_config_static_selectorELNS0_4arch9wavefront6targetE1EEEvSL_, .Lfunc_end1209-_ZN7rocprim17ROCPRIM_400000_NS6detail17trampoline_kernelINS0_14default_configENS1_38merge_sort_block_merge_config_selectorItNS0_10empty_typeEEEZZNS1_27merge_sort_block_merge_implIS3_N6thrust23THRUST_200600_302600_NS6detail15normal_iteratorINS9_10device_ptrItEEEEPS5_jNS1_19radix_merge_compareILb0ELb0EtNS0_19identity_decomposerEEEEE10hipError_tT0_T1_T2_jT3_P12ihipStream_tbPNSt15iterator_traitsISK_E10value_typeEPNSQ_ISL_E10value_typeEPSM_NS1_7vsmem_tEENKUlT_SK_SL_SM_E_clIPtSE_SF_SF_EESJ_SZ_SK_SL_SM_EUlSZ_E_NS1_11comp_targetILNS1_3genE4ELNS1_11target_archE910ELNS1_3gpuE8ELNS1_3repE0EEENS1_48merge_mergepath_partition_config_static_selectorELNS0_4arch9wavefront6targetE1EEEvSL_
                                        ; -- End function
	.section	.AMDGPU.csdata,"",@progbits
; Kernel info:
; codeLenInByte = 352
; NumSgprs: 12
; NumVgprs: 15
; NumAgprs: 0
; TotalNumVgprs: 15
; ScratchSize: 0
; MemoryBound: 0
; FloatMode: 240
; IeeeMode: 1
; LDSByteSize: 0 bytes/workgroup (compile time only)
; SGPRBlocks: 1
; VGPRBlocks: 1
; NumSGPRsForWavesPerEU: 12
; NumVGPRsForWavesPerEU: 15
; AccumOffset: 16
; Occupancy: 8
; WaveLimiterHint : 0
; COMPUTE_PGM_RSRC2:SCRATCH_EN: 0
; COMPUTE_PGM_RSRC2:USER_SGPR: 6
; COMPUTE_PGM_RSRC2:TRAP_HANDLER: 0
; COMPUTE_PGM_RSRC2:TGID_X_EN: 1
; COMPUTE_PGM_RSRC2:TGID_Y_EN: 0
; COMPUTE_PGM_RSRC2:TGID_Z_EN: 0
; COMPUTE_PGM_RSRC2:TIDIG_COMP_CNT: 0
; COMPUTE_PGM_RSRC3_GFX90A:ACCUM_OFFSET: 3
; COMPUTE_PGM_RSRC3_GFX90A:TG_SPLIT: 0
	.section	.text._ZN7rocprim17ROCPRIM_400000_NS6detail17trampoline_kernelINS0_14default_configENS1_38merge_sort_block_merge_config_selectorItNS0_10empty_typeEEEZZNS1_27merge_sort_block_merge_implIS3_N6thrust23THRUST_200600_302600_NS6detail15normal_iteratorINS9_10device_ptrItEEEEPS5_jNS1_19radix_merge_compareILb0ELb0EtNS0_19identity_decomposerEEEEE10hipError_tT0_T1_T2_jT3_P12ihipStream_tbPNSt15iterator_traitsISK_E10value_typeEPNSQ_ISL_E10value_typeEPSM_NS1_7vsmem_tEENKUlT_SK_SL_SM_E_clIPtSE_SF_SF_EESJ_SZ_SK_SL_SM_EUlSZ_E_NS1_11comp_targetILNS1_3genE3ELNS1_11target_archE908ELNS1_3gpuE7ELNS1_3repE0EEENS1_48merge_mergepath_partition_config_static_selectorELNS0_4arch9wavefront6targetE1EEEvSL_,"axG",@progbits,_ZN7rocprim17ROCPRIM_400000_NS6detail17trampoline_kernelINS0_14default_configENS1_38merge_sort_block_merge_config_selectorItNS0_10empty_typeEEEZZNS1_27merge_sort_block_merge_implIS3_N6thrust23THRUST_200600_302600_NS6detail15normal_iteratorINS9_10device_ptrItEEEEPS5_jNS1_19radix_merge_compareILb0ELb0EtNS0_19identity_decomposerEEEEE10hipError_tT0_T1_T2_jT3_P12ihipStream_tbPNSt15iterator_traitsISK_E10value_typeEPNSQ_ISL_E10value_typeEPSM_NS1_7vsmem_tEENKUlT_SK_SL_SM_E_clIPtSE_SF_SF_EESJ_SZ_SK_SL_SM_EUlSZ_E_NS1_11comp_targetILNS1_3genE3ELNS1_11target_archE908ELNS1_3gpuE7ELNS1_3repE0EEENS1_48merge_mergepath_partition_config_static_selectorELNS0_4arch9wavefront6targetE1EEEvSL_,comdat
	.protected	_ZN7rocprim17ROCPRIM_400000_NS6detail17trampoline_kernelINS0_14default_configENS1_38merge_sort_block_merge_config_selectorItNS0_10empty_typeEEEZZNS1_27merge_sort_block_merge_implIS3_N6thrust23THRUST_200600_302600_NS6detail15normal_iteratorINS9_10device_ptrItEEEEPS5_jNS1_19radix_merge_compareILb0ELb0EtNS0_19identity_decomposerEEEEE10hipError_tT0_T1_T2_jT3_P12ihipStream_tbPNSt15iterator_traitsISK_E10value_typeEPNSQ_ISL_E10value_typeEPSM_NS1_7vsmem_tEENKUlT_SK_SL_SM_E_clIPtSE_SF_SF_EESJ_SZ_SK_SL_SM_EUlSZ_E_NS1_11comp_targetILNS1_3genE3ELNS1_11target_archE908ELNS1_3gpuE7ELNS1_3repE0EEENS1_48merge_mergepath_partition_config_static_selectorELNS0_4arch9wavefront6targetE1EEEvSL_ ; -- Begin function _ZN7rocprim17ROCPRIM_400000_NS6detail17trampoline_kernelINS0_14default_configENS1_38merge_sort_block_merge_config_selectorItNS0_10empty_typeEEEZZNS1_27merge_sort_block_merge_implIS3_N6thrust23THRUST_200600_302600_NS6detail15normal_iteratorINS9_10device_ptrItEEEEPS5_jNS1_19radix_merge_compareILb0ELb0EtNS0_19identity_decomposerEEEEE10hipError_tT0_T1_T2_jT3_P12ihipStream_tbPNSt15iterator_traitsISK_E10value_typeEPNSQ_ISL_E10value_typeEPSM_NS1_7vsmem_tEENKUlT_SK_SL_SM_E_clIPtSE_SF_SF_EESJ_SZ_SK_SL_SM_EUlSZ_E_NS1_11comp_targetILNS1_3genE3ELNS1_11target_archE908ELNS1_3gpuE7ELNS1_3repE0EEENS1_48merge_mergepath_partition_config_static_selectorELNS0_4arch9wavefront6targetE1EEEvSL_
	.globl	_ZN7rocprim17ROCPRIM_400000_NS6detail17trampoline_kernelINS0_14default_configENS1_38merge_sort_block_merge_config_selectorItNS0_10empty_typeEEEZZNS1_27merge_sort_block_merge_implIS3_N6thrust23THRUST_200600_302600_NS6detail15normal_iteratorINS9_10device_ptrItEEEEPS5_jNS1_19radix_merge_compareILb0ELb0EtNS0_19identity_decomposerEEEEE10hipError_tT0_T1_T2_jT3_P12ihipStream_tbPNSt15iterator_traitsISK_E10value_typeEPNSQ_ISL_E10value_typeEPSM_NS1_7vsmem_tEENKUlT_SK_SL_SM_E_clIPtSE_SF_SF_EESJ_SZ_SK_SL_SM_EUlSZ_E_NS1_11comp_targetILNS1_3genE3ELNS1_11target_archE908ELNS1_3gpuE7ELNS1_3repE0EEENS1_48merge_mergepath_partition_config_static_selectorELNS0_4arch9wavefront6targetE1EEEvSL_
	.p2align	8
	.type	_ZN7rocprim17ROCPRIM_400000_NS6detail17trampoline_kernelINS0_14default_configENS1_38merge_sort_block_merge_config_selectorItNS0_10empty_typeEEEZZNS1_27merge_sort_block_merge_implIS3_N6thrust23THRUST_200600_302600_NS6detail15normal_iteratorINS9_10device_ptrItEEEEPS5_jNS1_19radix_merge_compareILb0ELb0EtNS0_19identity_decomposerEEEEE10hipError_tT0_T1_T2_jT3_P12ihipStream_tbPNSt15iterator_traitsISK_E10value_typeEPNSQ_ISL_E10value_typeEPSM_NS1_7vsmem_tEENKUlT_SK_SL_SM_E_clIPtSE_SF_SF_EESJ_SZ_SK_SL_SM_EUlSZ_E_NS1_11comp_targetILNS1_3genE3ELNS1_11target_archE908ELNS1_3gpuE7ELNS1_3repE0EEENS1_48merge_mergepath_partition_config_static_selectorELNS0_4arch9wavefront6targetE1EEEvSL_,@function
_ZN7rocprim17ROCPRIM_400000_NS6detail17trampoline_kernelINS0_14default_configENS1_38merge_sort_block_merge_config_selectorItNS0_10empty_typeEEEZZNS1_27merge_sort_block_merge_implIS3_N6thrust23THRUST_200600_302600_NS6detail15normal_iteratorINS9_10device_ptrItEEEEPS5_jNS1_19radix_merge_compareILb0ELb0EtNS0_19identity_decomposerEEEEE10hipError_tT0_T1_T2_jT3_P12ihipStream_tbPNSt15iterator_traitsISK_E10value_typeEPNSQ_ISL_E10value_typeEPSM_NS1_7vsmem_tEENKUlT_SK_SL_SM_E_clIPtSE_SF_SF_EESJ_SZ_SK_SL_SM_EUlSZ_E_NS1_11comp_targetILNS1_3genE3ELNS1_11target_archE908ELNS1_3gpuE7ELNS1_3repE0EEENS1_48merge_mergepath_partition_config_static_selectorELNS0_4arch9wavefront6targetE1EEEvSL_: ; @_ZN7rocprim17ROCPRIM_400000_NS6detail17trampoline_kernelINS0_14default_configENS1_38merge_sort_block_merge_config_selectorItNS0_10empty_typeEEEZZNS1_27merge_sort_block_merge_implIS3_N6thrust23THRUST_200600_302600_NS6detail15normal_iteratorINS9_10device_ptrItEEEEPS5_jNS1_19radix_merge_compareILb0ELb0EtNS0_19identity_decomposerEEEEE10hipError_tT0_T1_T2_jT3_P12ihipStream_tbPNSt15iterator_traitsISK_E10value_typeEPNSQ_ISL_E10value_typeEPSM_NS1_7vsmem_tEENKUlT_SK_SL_SM_E_clIPtSE_SF_SF_EESJ_SZ_SK_SL_SM_EUlSZ_E_NS1_11comp_targetILNS1_3genE3ELNS1_11target_archE908ELNS1_3gpuE7ELNS1_3repE0EEENS1_48merge_mergepath_partition_config_static_selectorELNS0_4arch9wavefront6targetE1EEEvSL_
; %bb.0:
	.section	.rodata,"a",@progbits
	.p2align	6, 0x0
	.amdhsa_kernel _ZN7rocprim17ROCPRIM_400000_NS6detail17trampoline_kernelINS0_14default_configENS1_38merge_sort_block_merge_config_selectorItNS0_10empty_typeEEEZZNS1_27merge_sort_block_merge_implIS3_N6thrust23THRUST_200600_302600_NS6detail15normal_iteratorINS9_10device_ptrItEEEEPS5_jNS1_19radix_merge_compareILb0ELb0EtNS0_19identity_decomposerEEEEE10hipError_tT0_T1_T2_jT3_P12ihipStream_tbPNSt15iterator_traitsISK_E10value_typeEPNSQ_ISL_E10value_typeEPSM_NS1_7vsmem_tEENKUlT_SK_SL_SM_E_clIPtSE_SF_SF_EESJ_SZ_SK_SL_SM_EUlSZ_E_NS1_11comp_targetILNS1_3genE3ELNS1_11target_archE908ELNS1_3gpuE7ELNS1_3repE0EEENS1_48merge_mergepath_partition_config_static_selectorELNS0_4arch9wavefront6targetE1EEEvSL_
		.amdhsa_group_segment_fixed_size 0
		.amdhsa_private_segment_fixed_size 0
		.amdhsa_kernarg_size 40
		.amdhsa_user_sgpr_count 6
		.amdhsa_user_sgpr_private_segment_buffer 1
		.amdhsa_user_sgpr_dispatch_ptr 0
		.amdhsa_user_sgpr_queue_ptr 0
		.amdhsa_user_sgpr_kernarg_segment_ptr 1
		.amdhsa_user_sgpr_dispatch_id 0
		.amdhsa_user_sgpr_flat_scratch_init 0
		.amdhsa_user_sgpr_kernarg_preload_length 0
		.amdhsa_user_sgpr_kernarg_preload_offset 0
		.amdhsa_user_sgpr_private_segment_size 0
		.amdhsa_uses_dynamic_stack 0
		.amdhsa_system_sgpr_private_segment_wavefront_offset 0
		.amdhsa_system_sgpr_workgroup_id_x 1
		.amdhsa_system_sgpr_workgroup_id_y 0
		.amdhsa_system_sgpr_workgroup_id_z 0
		.amdhsa_system_sgpr_workgroup_info 0
		.amdhsa_system_vgpr_workitem_id 0
		.amdhsa_next_free_vgpr 1
		.amdhsa_next_free_sgpr 0
		.amdhsa_accum_offset 4
		.amdhsa_reserve_vcc 0
		.amdhsa_reserve_flat_scratch 0
		.amdhsa_float_round_mode_32 0
		.amdhsa_float_round_mode_16_64 0
		.amdhsa_float_denorm_mode_32 3
		.amdhsa_float_denorm_mode_16_64 3
		.amdhsa_dx10_clamp 1
		.amdhsa_ieee_mode 1
		.amdhsa_fp16_overflow 0
		.amdhsa_tg_split 0
		.amdhsa_exception_fp_ieee_invalid_op 0
		.amdhsa_exception_fp_denorm_src 0
		.amdhsa_exception_fp_ieee_div_zero 0
		.amdhsa_exception_fp_ieee_overflow 0
		.amdhsa_exception_fp_ieee_underflow 0
		.amdhsa_exception_fp_ieee_inexact 0
		.amdhsa_exception_int_div_zero 0
	.end_amdhsa_kernel
	.section	.text._ZN7rocprim17ROCPRIM_400000_NS6detail17trampoline_kernelINS0_14default_configENS1_38merge_sort_block_merge_config_selectorItNS0_10empty_typeEEEZZNS1_27merge_sort_block_merge_implIS3_N6thrust23THRUST_200600_302600_NS6detail15normal_iteratorINS9_10device_ptrItEEEEPS5_jNS1_19radix_merge_compareILb0ELb0EtNS0_19identity_decomposerEEEEE10hipError_tT0_T1_T2_jT3_P12ihipStream_tbPNSt15iterator_traitsISK_E10value_typeEPNSQ_ISL_E10value_typeEPSM_NS1_7vsmem_tEENKUlT_SK_SL_SM_E_clIPtSE_SF_SF_EESJ_SZ_SK_SL_SM_EUlSZ_E_NS1_11comp_targetILNS1_3genE3ELNS1_11target_archE908ELNS1_3gpuE7ELNS1_3repE0EEENS1_48merge_mergepath_partition_config_static_selectorELNS0_4arch9wavefront6targetE1EEEvSL_,"axG",@progbits,_ZN7rocprim17ROCPRIM_400000_NS6detail17trampoline_kernelINS0_14default_configENS1_38merge_sort_block_merge_config_selectorItNS0_10empty_typeEEEZZNS1_27merge_sort_block_merge_implIS3_N6thrust23THRUST_200600_302600_NS6detail15normal_iteratorINS9_10device_ptrItEEEEPS5_jNS1_19radix_merge_compareILb0ELb0EtNS0_19identity_decomposerEEEEE10hipError_tT0_T1_T2_jT3_P12ihipStream_tbPNSt15iterator_traitsISK_E10value_typeEPNSQ_ISL_E10value_typeEPSM_NS1_7vsmem_tEENKUlT_SK_SL_SM_E_clIPtSE_SF_SF_EESJ_SZ_SK_SL_SM_EUlSZ_E_NS1_11comp_targetILNS1_3genE3ELNS1_11target_archE908ELNS1_3gpuE7ELNS1_3repE0EEENS1_48merge_mergepath_partition_config_static_selectorELNS0_4arch9wavefront6targetE1EEEvSL_,comdat
.Lfunc_end1210:
	.size	_ZN7rocprim17ROCPRIM_400000_NS6detail17trampoline_kernelINS0_14default_configENS1_38merge_sort_block_merge_config_selectorItNS0_10empty_typeEEEZZNS1_27merge_sort_block_merge_implIS3_N6thrust23THRUST_200600_302600_NS6detail15normal_iteratorINS9_10device_ptrItEEEEPS5_jNS1_19radix_merge_compareILb0ELb0EtNS0_19identity_decomposerEEEEE10hipError_tT0_T1_T2_jT3_P12ihipStream_tbPNSt15iterator_traitsISK_E10value_typeEPNSQ_ISL_E10value_typeEPSM_NS1_7vsmem_tEENKUlT_SK_SL_SM_E_clIPtSE_SF_SF_EESJ_SZ_SK_SL_SM_EUlSZ_E_NS1_11comp_targetILNS1_3genE3ELNS1_11target_archE908ELNS1_3gpuE7ELNS1_3repE0EEENS1_48merge_mergepath_partition_config_static_selectorELNS0_4arch9wavefront6targetE1EEEvSL_, .Lfunc_end1210-_ZN7rocprim17ROCPRIM_400000_NS6detail17trampoline_kernelINS0_14default_configENS1_38merge_sort_block_merge_config_selectorItNS0_10empty_typeEEEZZNS1_27merge_sort_block_merge_implIS3_N6thrust23THRUST_200600_302600_NS6detail15normal_iteratorINS9_10device_ptrItEEEEPS5_jNS1_19radix_merge_compareILb0ELb0EtNS0_19identity_decomposerEEEEE10hipError_tT0_T1_T2_jT3_P12ihipStream_tbPNSt15iterator_traitsISK_E10value_typeEPNSQ_ISL_E10value_typeEPSM_NS1_7vsmem_tEENKUlT_SK_SL_SM_E_clIPtSE_SF_SF_EESJ_SZ_SK_SL_SM_EUlSZ_E_NS1_11comp_targetILNS1_3genE3ELNS1_11target_archE908ELNS1_3gpuE7ELNS1_3repE0EEENS1_48merge_mergepath_partition_config_static_selectorELNS0_4arch9wavefront6targetE1EEEvSL_
                                        ; -- End function
	.section	.AMDGPU.csdata,"",@progbits
; Kernel info:
; codeLenInByte = 0
; NumSgprs: 4
; NumVgprs: 0
; NumAgprs: 0
; TotalNumVgprs: 0
; ScratchSize: 0
; MemoryBound: 0
; FloatMode: 240
; IeeeMode: 1
; LDSByteSize: 0 bytes/workgroup (compile time only)
; SGPRBlocks: 0
; VGPRBlocks: 0
; NumSGPRsForWavesPerEU: 4
; NumVGPRsForWavesPerEU: 1
; AccumOffset: 4
; Occupancy: 8
; WaveLimiterHint : 0
; COMPUTE_PGM_RSRC2:SCRATCH_EN: 0
; COMPUTE_PGM_RSRC2:USER_SGPR: 6
; COMPUTE_PGM_RSRC2:TRAP_HANDLER: 0
; COMPUTE_PGM_RSRC2:TGID_X_EN: 1
; COMPUTE_PGM_RSRC2:TGID_Y_EN: 0
; COMPUTE_PGM_RSRC2:TGID_Z_EN: 0
; COMPUTE_PGM_RSRC2:TIDIG_COMP_CNT: 0
; COMPUTE_PGM_RSRC3_GFX90A:ACCUM_OFFSET: 0
; COMPUTE_PGM_RSRC3_GFX90A:TG_SPLIT: 0
	.section	.text._ZN7rocprim17ROCPRIM_400000_NS6detail17trampoline_kernelINS0_14default_configENS1_38merge_sort_block_merge_config_selectorItNS0_10empty_typeEEEZZNS1_27merge_sort_block_merge_implIS3_N6thrust23THRUST_200600_302600_NS6detail15normal_iteratorINS9_10device_ptrItEEEEPS5_jNS1_19radix_merge_compareILb0ELb0EtNS0_19identity_decomposerEEEEE10hipError_tT0_T1_T2_jT3_P12ihipStream_tbPNSt15iterator_traitsISK_E10value_typeEPNSQ_ISL_E10value_typeEPSM_NS1_7vsmem_tEENKUlT_SK_SL_SM_E_clIPtSE_SF_SF_EESJ_SZ_SK_SL_SM_EUlSZ_E_NS1_11comp_targetILNS1_3genE2ELNS1_11target_archE906ELNS1_3gpuE6ELNS1_3repE0EEENS1_48merge_mergepath_partition_config_static_selectorELNS0_4arch9wavefront6targetE1EEEvSL_,"axG",@progbits,_ZN7rocprim17ROCPRIM_400000_NS6detail17trampoline_kernelINS0_14default_configENS1_38merge_sort_block_merge_config_selectorItNS0_10empty_typeEEEZZNS1_27merge_sort_block_merge_implIS3_N6thrust23THRUST_200600_302600_NS6detail15normal_iteratorINS9_10device_ptrItEEEEPS5_jNS1_19radix_merge_compareILb0ELb0EtNS0_19identity_decomposerEEEEE10hipError_tT0_T1_T2_jT3_P12ihipStream_tbPNSt15iterator_traitsISK_E10value_typeEPNSQ_ISL_E10value_typeEPSM_NS1_7vsmem_tEENKUlT_SK_SL_SM_E_clIPtSE_SF_SF_EESJ_SZ_SK_SL_SM_EUlSZ_E_NS1_11comp_targetILNS1_3genE2ELNS1_11target_archE906ELNS1_3gpuE6ELNS1_3repE0EEENS1_48merge_mergepath_partition_config_static_selectorELNS0_4arch9wavefront6targetE1EEEvSL_,comdat
	.protected	_ZN7rocprim17ROCPRIM_400000_NS6detail17trampoline_kernelINS0_14default_configENS1_38merge_sort_block_merge_config_selectorItNS0_10empty_typeEEEZZNS1_27merge_sort_block_merge_implIS3_N6thrust23THRUST_200600_302600_NS6detail15normal_iteratorINS9_10device_ptrItEEEEPS5_jNS1_19radix_merge_compareILb0ELb0EtNS0_19identity_decomposerEEEEE10hipError_tT0_T1_T2_jT3_P12ihipStream_tbPNSt15iterator_traitsISK_E10value_typeEPNSQ_ISL_E10value_typeEPSM_NS1_7vsmem_tEENKUlT_SK_SL_SM_E_clIPtSE_SF_SF_EESJ_SZ_SK_SL_SM_EUlSZ_E_NS1_11comp_targetILNS1_3genE2ELNS1_11target_archE906ELNS1_3gpuE6ELNS1_3repE0EEENS1_48merge_mergepath_partition_config_static_selectorELNS0_4arch9wavefront6targetE1EEEvSL_ ; -- Begin function _ZN7rocprim17ROCPRIM_400000_NS6detail17trampoline_kernelINS0_14default_configENS1_38merge_sort_block_merge_config_selectorItNS0_10empty_typeEEEZZNS1_27merge_sort_block_merge_implIS3_N6thrust23THRUST_200600_302600_NS6detail15normal_iteratorINS9_10device_ptrItEEEEPS5_jNS1_19radix_merge_compareILb0ELb0EtNS0_19identity_decomposerEEEEE10hipError_tT0_T1_T2_jT3_P12ihipStream_tbPNSt15iterator_traitsISK_E10value_typeEPNSQ_ISL_E10value_typeEPSM_NS1_7vsmem_tEENKUlT_SK_SL_SM_E_clIPtSE_SF_SF_EESJ_SZ_SK_SL_SM_EUlSZ_E_NS1_11comp_targetILNS1_3genE2ELNS1_11target_archE906ELNS1_3gpuE6ELNS1_3repE0EEENS1_48merge_mergepath_partition_config_static_selectorELNS0_4arch9wavefront6targetE1EEEvSL_
	.globl	_ZN7rocprim17ROCPRIM_400000_NS6detail17trampoline_kernelINS0_14default_configENS1_38merge_sort_block_merge_config_selectorItNS0_10empty_typeEEEZZNS1_27merge_sort_block_merge_implIS3_N6thrust23THRUST_200600_302600_NS6detail15normal_iteratorINS9_10device_ptrItEEEEPS5_jNS1_19radix_merge_compareILb0ELb0EtNS0_19identity_decomposerEEEEE10hipError_tT0_T1_T2_jT3_P12ihipStream_tbPNSt15iterator_traitsISK_E10value_typeEPNSQ_ISL_E10value_typeEPSM_NS1_7vsmem_tEENKUlT_SK_SL_SM_E_clIPtSE_SF_SF_EESJ_SZ_SK_SL_SM_EUlSZ_E_NS1_11comp_targetILNS1_3genE2ELNS1_11target_archE906ELNS1_3gpuE6ELNS1_3repE0EEENS1_48merge_mergepath_partition_config_static_selectorELNS0_4arch9wavefront6targetE1EEEvSL_
	.p2align	8
	.type	_ZN7rocprim17ROCPRIM_400000_NS6detail17trampoline_kernelINS0_14default_configENS1_38merge_sort_block_merge_config_selectorItNS0_10empty_typeEEEZZNS1_27merge_sort_block_merge_implIS3_N6thrust23THRUST_200600_302600_NS6detail15normal_iteratorINS9_10device_ptrItEEEEPS5_jNS1_19radix_merge_compareILb0ELb0EtNS0_19identity_decomposerEEEEE10hipError_tT0_T1_T2_jT3_P12ihipStream_tbPNSt15iterator_traitsISK_E10value_typeEPNSQ_ISL_E10value_typeEPSM_NS1_7vsmem_tEENKUlT_SK_SL_SM_E_clIPtSE_SF_SF_EESJ_SZ_SK_SL_SM_EUlSZ_E_NS1_11comp_targetILNS1_3genE2ELNS1_11target_archE906ELNS1_3gpuE6ELNS1_3repE0EEENS1_48merge_mergepath_partition_config_static_selectorELNS0_4arch9wavefront6targetE1EEEvSL_,@function
_ZN7rocprim17ROCPRIM_400000_NS6detail17trampoline_kernelINS0_14default_configENS1_38merge_sort_block_merge_config_selectorItNS0_10empty_typeEEEZZNS1_27merge_sort_block_merge_implIS3_N6thrust23THRUST_200600_302600_NS6detail15normal_iteratorINS9_10device_ptrItEEEEPS5_jNS1_19radix_merge_compareILb0ELb0EtNS0_19identity_decomposerEEEEE10hipError_tT0_T1_T2_jT3_P12ihipStream_tbPNSt15iterator_traitsISK_E10value_typeEPNSQ_ISL_E10value_typeEPSM_NS1_7vsmem_tEENKUlT_SK_SL_SM_E_clIPtSE_SF_SF_EESJ_SZ_SK_SL_SM_EUlSZ_E_NS1_11comp_targetILNS1_3genE2ELNS1_11target_archE906ELNS1_3gpuE6ELNS1_3repE0EEENS1_48merge_mergepath_partition_config_static_selectorELNS0_4arch9wavefront6targetE1EEEvSL_: ; @_ZN7rocprim17ROCPRIM_400000_NS6detail17trampoline_kernelINS0_14default_configENS1_38merge_sort_block_merge_config_selectorItNS0_10empty_typeEEEZZNS1_27merge_sort_block_merge_implIS3_N6thrust23THRUST_200600_302600_NS6detail15normal_iteratorINS9_10device_ptrItEEEEPS5_jNS1_19radix_merge_compareILb0ELb0EtNS0_19identity_decomposerEEEEE10hipError_tT0_T1_T2_jT3_P12ihipStream_tbPNSt15iterator_traitsISK_E10value_typeEPNSQ_ISL_E10value_typeEPSM_NS1_7vsmem_tEENKUlT_SK_SL_SM_E_clIPtSE_SF_SF_EESJ_SZ_SK_SL_SM_EUlSZ_E_NS1_11comp_targetILNS1_3genE2ELNS1_11target_archE906ELNS1_3gpuE6ELNS1_3repE0EEENS1_48merge_mergepath_partition_config_static_selectorELNS0_4arch9wavefront6targetE1EEEvSL_
; %bb.0:
	.section	.rodata,"a",@progbits
	.p2align	6, 0x0
	.amdhsa_kernel _ZN7rocprim17ROCPRIM_400000_NS6detail17trampoline_kernelINS0_14default_configENS1_38merge_sort_block_merge_config_selectorItNS0_10empty_typeEEEZZNS1_27merge_sort_block_merge_implIS3_N6thrust23THRUST_200600_302600_NS6detail15normal_iteratorINS9_10device_ptrItEEEEPS5_jNS1_19radix_merge_compareILb0ELb0EtNS0_19identity_decomposerEEEEE10hipError_tT0_T1_T2_jT3_P12ihipStream_tbPNSt15iterator_traitsISK_E10value_typeEPNSQ_ISL_E10value_typeEPSM_NS1_7vsmem_tEENKUlT_SK_SL_SM_E_clIPtSE_SF_SF_EESJ_SZ_SK_SL_SM_EUlSZ_E_NS1_11comp_targetILNS1_3genE2ELNS1_11target_archE906ELNS1_3gpuE6ELNS1_3repE0EEENS1_48merge_mergepath_partition_config_static_selectorELNS0_4arch9wavefront6targetE1EEEvSL_
		.amdhsa_group_segment_fixed_size 0
		.amdhsa_private_segment_fixed_size 0
		.amdhsa_kernarg_size 40
		.amdhsa_user_sgpr_count 6
		.amdhsa_user_sgpr_private_segment_buffer 1
		.amdhsa_user_sgpr_dispatch_ptr 0
		.amdhsa_user_sgpr_queue_ptr 0
		.amdhsa_user_sgpr_kernarg_segment_ptr 1
		.amdhsa_user_sgpr_dispatch_id 0
		.amdhsa_user_sgpr_flat_scratch_init 0
		.amdhsa_user_sgpr_kernarg_preload_length 0
		.amdhsa_user_sgpr_kernarg_preload_offset 0
		.amdhsa_user_sgpr_private_segment_size 0
		.amdhsa_uses_dynamic_stack 0
		.amdhsa_system_sgpr_private_segment_wavefront_offset 0
		.amdhsa_system_sgpr_workgroup_id_x 1
		.amdhsa_system_sgpr_workgroup_id_y 0
		.amdhsa_system_sgpr_workgroup_id_z 0
		.amdhsa_system_sgpr_workgroup_info 0
		.amdhsa_system_vgpr_workitem_id 0
		.amdhsa_next_free_vgpr 1
		.amdhsa_next_free_sgpr 0
		.amdhsa_accum_offset 4
		.amdhsa_reserve_vcc 0
		.amdhsa_reserve_flat_scratch 0
		.amdhsa_float_round_mode_32 0
		.amdhsa_float_round_mode_16_64 0
		.amdhsa_float_denorm_mode_32 3
		.amdhsa_float_denorm_mode_16_64 3
		.amdhsa_dx10_clamp 1
		.amdhsa_ieee_mode 1
		.amdhsa_fp16_overflow 0
		.amdhsa_tg_split 0
		.amdhsa_exception_fp_ieee_invalid_op 0
		.amdhsa_exception_fp_denorm_src 0
		.amdhsa_exception_fp_ieee_div_zero 0
		.amdhsa_exception_fp_ieee_overflow 0
		.amdhsa_exception_fp_ieee_underflow 0
		.amdhsa_exception_fp_ieee_inexact 0
		.amdhsa_exception_int_div_zero 0
	.end_amdhsa_kernel
	.section	.text._ZN7rocprim17ROCPRIM_400000_NS6detail17trampoline_kernelINS0_14default_configENS1_38merge_sort_block_merge_config_selectorItNS0_10empty_typeEEEZZNS1_27merge_sort_block_merge_implIS3_N6thrust23THRUST_200600_302600_NS6detail15normal_iteratorINS9_10device_ptrItEEEEPS5_jNS1_19radix_merge_compareILb0ELb0EtNS0_19identity_decomposerEEEEE10hipError_tT0_T1_T2_jT3_P12ihipStream_tbPNSt15iterator_traitsISK_E10value_typeEPNSQ_ISL_E10value_typeEPSM_NS1_7vsmem_tEENKUlT_SK_SL_SM_E_clIPtSE_SF_SF_EESJ_SZ_SK_SL_SM_EUlSZ_E_NS1_11comp_targetILNS1_3genE2ELNS1_11target_archE906ELNS1_3gpuE6ELNS1_3repE0EEENS1_48merge_mergepath_partition_config_static_selectorELNS0_4arch9wavefront6targetE1EEEvSL_,"axG",@progbits,_ZN7rocprim17ROCPRIM_400000_NS6detail17trampoline_kernelINS0_14default_configENS1_38merge_sort_block_merge_config_selectorItNS0_10empty_typeEEEZZNS1_27merge_sort_block_merge_implIS3_N6thrust23THRUST_200600_302600_NS6detail15normal_iteratorINS9_10device_ptrItEEEEPS5_jNS1_19radix_merge_compareILb0ELb0EtNS0_19identity_decomposerEEEEE10hipError_tT0_T1_T2_jT3_P12ihipStream_tbPNSt15iterator_traitsISK_E10value_typeEPNSQ_ISL_E10value_typeEPSM_NS1_7vsmem_tEENKUlT_SK_SL_SM_E_clIPtSE_SF_SF_EESJ_SZ_SK_SL_SM_EUlSZ_E_NS1_11comp_targetILNS1_3genE2ELNS1_11target_archE906ELNS1_3gpuE6ELNS1_3repE0EEENS1_48merge_mergepath_partition_config_static_selectorELNS0_4arch9wavefront6targetE1EEEvSL_,comdat
.Lfunc_end1211:
	.size	_ZN7rocprim17ROCPRIM_400000_NS6detail17trampoline_kernelINS0_14default_configENS1_38merge_sort_block_merge_config_selectorItNS0_10empty_typeEEEZZNS1_27merge_sort_block_merge_implIS3_N6thrust23THRUST_200600_302600_NS6detail15normal_iteratorINS9_10device_ptrItEEEEPS5_jNS1_19radix_merge_compareILb0ELb0EtNS0_19identity_decomposerEEEEE10hipError_tT0_T1_T2_jT3_P12ihipStream_tbPNSt15iterator_traitsISK_E10value_typeEPNSQ_ISL_E10value_typeEPSM_NS1_7vsmem_tEENKUlT_SK_SL_SM_E_clIPtSE_SF_SF_EESJ_SZ_SK_SL_SM_EUlSZ_E_NS1_11comp_targetILNS1_3genE2ELNS1_11target_archE906ELNS1_3gpuE6ELNS1_3repE0EEENS1_48merge_mergepath_partition_config_static_selectorELNS0_4arch9wavefront6targetE1EEEvSL_, .Lfunc_end1211-_ZN7rocprim17ROCPRIM_400000_NS6detail17trampoline_kernelINS0_14default_configENS1_38merge_sort_block_merge_config_selectorItNS0_10empty_typeEEEZZNS1_27merge_sort_block_merge_implIS3_N6thrust23THRUST_200600_302600_NS6detail15normal_iteratorINS9_10device_ptrItEEEEPS5_jNS1_19radix_merge_compareILb0ELb0EtNS0_19identity_decomposerEEEEE10hipError_tT0_T1_T2_jT3_P12ihipStream_tbPNSt15iterator_traitsISK_E10value_typeEPNSQ_ISL_E10value_typeEPSM_NS1_7vsmem_tEENKUlT_SK_SL_SM_E_clIPtSE_SF_SF_EESJ_SZ_SK_SL_SM_EUlSZ_E_NS1_11comp_targetILNS1_3genE2ELNS1_11target_archE906ELNS1_3gpuE6ELNS1_3repE0EEENS1_48merge_mergepath_partition_config_static_selectorELNS0_4arch9wavefront6targetE1EEEvSL_
                                        ; -- End function
	.section	.AMDGPU.csdata,"",@progbits
; Kernel info:
; codeLenInByte = 0
; NumSgprs: 4
; NumVgprs: 0
; NumAgprs: 0
; TotalNumVgprs: 0
; ScratchSize: 0
; MemoryBound: 0
; FloatMode: 240
; IeeeMode: 1
; LDSByteSize: 0 bytes/workgroup (compile time only)
; SGPRBlocks: 0
; VGPRBlocks: 0
; NumSGPRsForWavesPerEU: 4
; NumVGPRsForWavesPerEU: 1
; AccumOffset: 4
; Occupancy: 8
; WaveLimiterHint : 0
; COMPUTE_PGM_RSRC2:SCRATCH_EN: 0
; COMPUTE_PGM_RSRC2:USER_SGPR: 6
; COMPUTE_PGM_RSRC2:TRAP_HANDLER: 0
; COMPUTE_PGM_RSRC2:TGID_X_EN: 1
; COMPUTE_PGM_RSRC2:TGID_Y_EN: 0
; COMPUTE_PGM_RSRC2:TGID_Z_EN: 0
; COMPUTE_PGM_RSRC2:TIDIG_COMP_CNT: 0
; COMPUTE_PGM_RSRC3_GFX90A:ACCUM_OFFSET: 0
; COMPUTE_PGM_RSRC3_GFX90A:TG_SPLIT: 0
	.section	.text._ZN7rocprim17ROCPRIM_400000_NS6detail17trampoline_kernelINS0_14default_configENS1_38merge_sort_block_merge_config_selectorItNS0_10empty_typeEEEZZNS1_27merge_sort_block_merge_implIS3_N6thrust23THRUST_200600_302600_NS6detail15normal_iteratorINS9_10device_ptrItEEEEPS5_jNS1_19radix_merge_compareILb0ELb0EtNS0_19identity_decomposerEEEEE10hipError_tT0_T1_T2_jT3_P12ihipStream_tbPNSt15iterator_traitsISK_E10value_typeEPNSQ_ISL_E10value_typeEPSM_NS1_7vsmem_tEENKUlT_SK_SL_SM_E_clIPtSE_SF_SF_EESJ_SZ_SK_SL_SM_EUlSZ_E_NS1_11comp_targetILNS1_3genE9ELNS1_11target_archE1100ELNS1_3gpuE3ELNS1_3repE0EEENS1_48merge_mergepath_partition_config_static_selectorELNS0_4arch9wavefront6targetE1EEEvSL_,"axG",@progbits,_ZN7rocprim17ROCPRIM_400000_NS6detail17trampoline_kernelINS0_14default_configENS1_38merge_sort_block_merge_config_selectorItNS0_10empty_typeEEEZZNS1_27merge_sort_block_merge_implIS3_N6thrust23THRUST_200600_302600_NS6detail15normal_iteratorINS9_10device_ptrItEEEEPS5_jNS1_19radix_merge_compareILb0ELb0EtNS0_19identity_decomposerEEEEE10hipError_tT0_T1_T2_jT3_P12ihipStream_tbPNSt15iterator_traitsISK_E10value_typeEPNSQ_ISL_E10value_typeEPSM_NS1_7vsmem_tEENKUlT_SK_SL_SM_E_clIPtSE_SF_SF_EESJ_SZ_SK_SL_SM_EUlSZ_E_NS1_11comp_targetILNS1_3genE9ELNS1_11target_archE1100ELNS1_3gpuE3ELNS1_3repE0EEENS1_48merge_mergepath_partition_config_static_selectorELNS0_4arch9wavefront6targetE1EEEvSL_,comdat
	.protected	_ZN7rocprim17ROCPRIM_400000_NS6detail17trampoline_kernelINS0_14default_configENS1_38merge_sort_block_merge_config_selectorItNS0_10empty_typeEEEZZNS1_27merge_sort_block_merge_implIS3_N6thrust23THRUST_200600_302600_NS6detail15normal_iteratorINS9_10device_ptrItEEEEPS5_jNS1_19radix_merge_compareILb0ELb0EtNS0_19identity_decomposerEEEEE10hipError_tT0_T1_T2_jT3_P12ihipStream_tbPNSt15iterator_traitsISK_E10value_typeEPNSQ_ISL_E10value_typeEPSM_NS1_7vsmem_tEENKUlT_SK_SL_SM_E_clIPtSE_SF_SF_EESJ_SZ_SK_SL_SM_EUlSZ_E_NS1_11comp_targetILNS1_3genE9ELNS1_11target_archE1100ELNS1_3gpuE3ELNS1_3repE0EEENS1_48merge_mergepath_partition_config_static_selectorELNS0_4arch9wavefront6targetE1EEEvSL_ ; -- Begin function _ZN7rocprim17ROCPRIM_400000_NS6detail17trampoline_kernelINS0_14default_configENS1_38merge_sort_block_merge_config_selectorItNS0_10empty_typeEEEZZNS1_27merge_sort_block_merge_implIS3_N6thrust23THRUST_200600_302600_NS6detail15normal_iteratorINS9_10device_ptrItEEEEPS5_jNS1_19radix_merge_compareILb0ELb0EtNS0_19identity_decomposerEEEEE10hipError_tT0_T1_T2_jT3_P12ihipStream_tbPNSt15iterator_traitsISK_E10value_typeEPNSQ_ISL_E10value_typeEPSM_NS1_7vsmem_tEENKUlT_SK_SL_SM_E_clIPtSE_SF_SF_EESJ_SZ_SK_SL_SM_EUlSZ_E_NS1_11comp_targetILNS1_3genE9ELNS1_11target_archE1100ELNS1_3gpuE3ELNS1_3repE0EEENS1_48merge_mergepath_partition_config_static_selectorELNS0_4arch9wavefront6targetE1EEEvSL_
	.globl	_ZN7rocprim17ROCPRIM_400000_NS6detail17trampoline_kernelINS0_14default_configENS1_38merge_sort_block_merge_config_selectorItNS0_10empty_typeEEEZZNS1_27merge_sort_block_merge_implIS3_N6thrust23THRUST_200600_302600_NS6detail15normal_iteratorINS9_10device_ptrItEEEEPS5_jNS1_19radix_merge_compareILb0ELb0EtNS0_19identity_decomposerEEEEE10hipError_tT0_T1_T2_jT3_P12ihipStream_tbPNSt15iterator_traitsISK_E10value_typeEPNSQ_ISL_E10value_typeEPSM_NS1_7vsmem_tEENKUlT_SK_SL_SM_E_clIPtSE_SF_SF_EESJ_SZ_SK_SL_SM_EUlSZ_E_NS1_11comp_targetILNS1_3genE9ELNS1_11target_archE1100ELNS1_3gpuE3ELNS1_3repE0EEENS1_48merge_mergepath_partition_config_static_selectorELNS0_4arch9wavefront6targetE1EEEvSL_
	.p2align	8
	.type	_ZN7rocprim17ROCPRIM_400000_NS6detail17trampoline_kernelINS0_14default_configENS1_38merge_sort_block_merge_config_selectorItNS0_10empty_typeEEEZZNS1_27merge_sort_block_merge_implIS3_N6thrust23THRUST_200600_302600_NS6detail15normal_iteratorINS9_10device_ptrItEEEEPS5_jNS1_19radix_merge_compareILb0ELb0EtNS0_19identity_decomposerEEEEE10hipError_tT0_T1_T2_jT3_P12ihipStream_tbPNSt15iterator_traitsISK_E10value_typeEPNSQ_ISL_E10value_typeEPSM_NS1_7vsmem_tEENKUlT_SK_SL_SM_E_clIPtSE_SF_SF_EESJ_SZ_SK_SL_SM_EUlSZ_E_NS1_11comp_targetILNS1_3genE9ELNS1_11target_archE1100ELNS1_3gpuE3ELNS1_3repE0EEENS1_48merge_mergepath_partition_config_static_selectorELNS0_4arch9wavefront6targetE1EEEvSL_,@function
_ZN7rocprim17ROCPRIM_400000_NS6detail17trampoline_kernelINS0_14default_configENS1_38merge_sort_block_merge_config_selectorItNS0_10empty_typeEEEZZNS1_27merge_sort_block_merge_implIS3_N6thrust23THRUST_200600_302600_NS6detail15normal_iteratorINS9_10device_ptrItEEEEPS5_jNS1_19radix_merge_compareILb0ELb0EtNS0_19identity_decomposerEEEEE10hipError_tT0_T1_T2_jT3_P12ihipStream_tbPNSt15iterator_traitsISK_E10value_typeEPNSQ_ISL_E10value_typeEPSM_NS1_7vsmem_tEENKUlT_SK_SL_SM_E_clIPtSE_SF_SF_EESJ_SZ_SK_SL_SM_EUlSZ_E_NS1_11comp_targetILNS1_3genE9ELNS1_11target_archE1100ELNS1_3gpuE3ELNS1_3repE0EEENS1_48merge_mergepath_partition_config_static_selectorELNS0_4arch9wavefront6targetE1EEEvSL_: ; @_ZN7rocprim17ROCPRIM_400000_NS6detail17trampoline_kernelINS0_14default_configENS1_38merge_sort_block_merge_config_selectorItNS0_10empty_typeEEEZZNS1_27merge_sort_block_merge_implIS3_N6thrust23THRUST_200600_302600_NS6detail15normal_iteratorINS9_10device_ptrItEEEEPS5_jNS1_19radix_merge_compareILb0ELb0EtNS0_19identity_decomposerEEEEE10hipError_tT0_T1_T2_jT3_P12ihipStream_tbPNSt15iterator_traitsISK_E10value_typeEPNSQ_ISL_E10value_typeEPSM_NS1_7vsmem_tEENKUlT_SK_SL_SM_E_clIPtSE_SF_SF_EESJ_SZ_SK_SL_SM_EUlSZ_E_NS1_11comp_targetILNS1_3genE9ELNS1_11target_archE1100ELNS1_3gpuE3ELNS1_3repE0EEENS1_48merge_mergepath_partition_config_static_selectorELNS0_4arch9wavefront6targetE1EEEvSL_
; %bb.0:
	.section	.rodata,"a",@progbits
	.p2align	6, 0x0
	.amdhsa_kernel _ZN7rocprim17ROCPRIM_400000_NS6detail17trampoline_kernelINS0_14default_configENS1_38merge_sort_block_merge_config_selectorItNS0_10empty_typeEEEZZNS1_27merge_sort_block_merge_implIS3_N6thrust23THRUST_200600_302600_NS6detail15normal_iteratorINS9_10device_ptrItEEEEPS5_jNS1_19radix_merge_compareILb0ELb0EtNS0_19identity_decomposerEEEEE10hipError_tT0_T1_T2_jT3_P12ihipStream_tbPNSt15iterator_traitsISK_E10value_typeEPNSQ_ISL_E10value_typeEPSM_NS1_7vsmem_tEENKUlT_SK_SL_SM_E_clIPtSE_SF_SF_EESJ_SZ_SK_SL_SM_EUlSZ_E_NS1_11comp_targetILNS1_3genE9ELNS1_11target_archE1100ELNS1_3gpuE3ELNS1_3repE0EEENS1_48merge_mergepath_partition_config_static_selectorELNS0_4arch9wavefront6targetE1EEEvSL_
		.amdhsa_group_segment_fixed_size 0
		.amdhsa_private_segment_fixed_size 0
		.amdhsa_kernarg_size 40
		.amdhsa_user_sgpr_count 6
		.amdhsa_user_sgpr_private_segment_buffer 1
		.amdhsa_user_sgpr_dispatch_ptr 0
		.amdhsa_user_sgpr_queue_ptr 0
		.amdhsa_user_sgpr_kernarg_segment_ptr 1
		.amdhsa_user_sgpr_dispatch_id 0
		.amdhsa_user_sgpr_flat_scratch_init 0
		.amdhsa_user_sgpr_kernarg_preload_length 0
		.amdhsa_user_sgpr_kernarg_preload_offset 0
		.amdhsa_user_sgpr_private_segment_size 0
		.amdhsa_uses_dynamic_stack 0
		.amdhsa_system_sgpr_private_segment_wavefront_offset 0
		.amdhsa_system_sgpr_workgroup_id_x 1
		.amdhsa_system_sgpr_workgroup_id_y 0
		.amdhsa_system_sgpr_workgroup_id_z 0
		.amdhsa_system_sgpr_workgroup_info 0
		.amdhsa_system_vgpr_workitem_id 0
		.amdhsa_next_free_vgpr 1
		.amdhsa_next_free_sgpr 0
		.amdhsa_accum_offset 4
		.amdhsa_reserve_vcc 0
		.amdhsa_reserve_flat_scratch 0
		.amdhsa_float_round_mode_32 0
		.amdhsa_float_round_mode_16_64 0
		.amdhsa_float_denorm_mode_32 3
		.amdhsa_float_denorm_mode_16_64 3
		.amdhsa_dx10_clamp 1
		.amdhsa_ieee_mode 1
		.amdhsa_fp16_overflow 0
		.amdhsa_tg_split 0
		.amdhsa_exception_fp_ieee_invalid_op 0
		.amdhsa_exception_fp_denorm_src 0
		.amdhsa_exception_fp_ieee_div_zero 0
		.amdhsa_exception_fp_ieee_overflow 0
		.amdhsa_exception_fp_ieee_underflow 0
		.amdhsa_exception_fp_ieee_inexact 0
		.amdhsa_exception_int_div_zero 0
	.end_amdhsa_kernel
	.section	.text._ZN7rocprim17ROCPRIM_400000_NS6detail17trampoline_kernelINS0_14default_configENS1_38merge_sort_block_merge_config_selectorItNS0_10empty_typeEEEZZNS1_27merge_sort_block_merge_implIS3_N6thrust23THRUST_200600_302600_NS6detail15normal_iteratorINS9_10device_ptrItEEEEPS5_jNS1_19radix_merge_compareILb0ELb0EtNS0_19identity_decomposerEEEEE10hipError_tT0_T1_T2_jT3_P12ihipStream_tbPNSt15iterator_traitsISK_E10value_typeEPNSQ_ISL_E10value_typeEPSM_NS1_7vsmem_tEENKUlT_SK_SL_SM_E_clIPtSE_SF_SF_EESJ_SZ_SK_SL_SM_EUlSZ_E_NS1_11comp_targetILNS1_3genE9ELNS1_11target_archE1100ELNS1_3gpuE3ELNS1_3repE0EEENS1_48merge_mergepath_partition_config_static_selectorELNS0_4arch9wavefront6targetE1EEEvSL_,"axG",@progbits,_ZN7rocprim17ROCPRIM_400000_NS6detail17trampoline_kernelINS0_14default_configENS1_38merge_sort_block_merge_config_selectorItNS0_10empty_typeEEEZZNS1_27merge_sort_block_merge_implIS3_N6thrust23THRUST_200600_302600_NS6detail15normal_iteratorINS9_10device_ptrItEEEEPS5_jNS1_19radix_merge_compareILb0ELb0EtNS0_19identity_decomposerEEEEE10hipError_tT0_T1_T2_jT3_P12ihipStream_tbPNSt15iterator_traitsISK_E10value_typeEPNSQ_ISL_E10value_typeEPSM_NS1_7vsmem_tEENKUlT_SK_SL_SM_E_clIPtSE_SF_SF_EESJ_SZ_SK_SL_SM_EUlSZ_E_NS1_11comp_targetILNS1_3genE9ELNS1_11target_archE1100ELNS1_3gpuE3ELNS1_3repE0EEENS1_48merge_mergepath_partition_config_static_selectorELNS0_4arch9wavefront6targetE1EEEvSL_,comdat
.Lfunc_end1212:
	.size	_ZN7rocprim17ROCPRIM_400000_NS6detail17trampoline_kernelINS0_14default_configENS1_38merge_sort_block_merge_config_selectorItNS0_10empty_typeEEEZZNS1_27merge_sort_block_merge_implIS3_N6thrust23THRUST_200600_302600_NS6detail15normal_iteratorINS9_10device_ptrItEEEEPS5_jNS1_19radix_merge_compareILb0ELb0EtNS0_19identity_decomposerEEEEE10hipError_tT0_T1_T2_jT3_P12ihipStream_tbPNSt15iterator_traitsISK_E10value_typeEPNSQ_ISL_E10value_typeEPSM_NS1_7vsmem_tEENKUlT_SK_SL_SM_E_clIPtSE_SF_SF_EESJ_SZ_SK_SL_SM_EUlSZ_E_NS1_11comp_targetILNS1_3genE9ELNS1_11target_archE1100ELNS1_3gpuE3ELNS1_3repE0EEENS1_48merge_mergepath_partition_config_static_selectorELNS0_4arch9wavefront6targetE1EEEvSL_, .Lfunc_end1212-_ZN7rocprim17ROCPRIM_400000_NS6detail17trampoline_kernelINS0_14default_configENS1_38merge_sort_block_merge_config_selectorItNS0_10empty_typeEEEZZNS1_27merge_sort_block_merge_implIS3_N6thrust23THRUST_200600_302600_NS6detail15normal_iteratorINS9_10device_ptrItEEEEPS5_jNS1_19radix_merge_compareILb0ELb0EtNS0_19identity_decomposerEEEEE10hipError_tT0_T1_T2_jT3_P12ihipStream_tbPNSt15iterator_traitsISK_E10value_typeEPNSQ_ISL_E10value_typeEPSM_NS1_7vsmem_tEENKUlT_SK_SL_SM_E_clIPtSE_SF_SF_EESJ_SZ_SK_SL_SM_EUlSZ_E_NS1_11comp_targetILNS1_3genE9ELNS1_11target_archE1100ELNS1_3gpuE3ELNS1_3repE0EEENS1_48merge_mergepath_partition_config_static_selectorELNS0_4arch9wavefront6targetE1EEEvSL_
                                        ; -- End function
	.section	.AMDGPU.csdata,"",@progbits
; Kernel info:
; codeLenInByte = 0
; NumSgprs: 4
; NumVgprs: 0
; NumAgprs: 0
; TotalNumVgprs: 0
; ScratchSize: 0
; MemoryBound: 0
; FloatMode: 240
; IeeeMode: 1
; LDSByteSize: 0 bytes/workgroup (compile time only)
; SGPRBlocks: 0
; VGPRBlocks: 0
; NumSGPRsForWavesPerEU: 4
; NumVGPRsForWavesPerEU: 1
; AccumOffset: 4
; Occupancy: 8
; WaveLimiterHint : 0
; COMPUTE_PGM_RSRC2:SCRATCH_EN: 0
; COMPUTE_PGM_RSRC2:USER_SGPR: 6
; COMPUTE_PGM_RSRC2:TRAP_HANDLER: 0
; COMPUTE_PGM_RSRC2:TGID_X_EN: 1
; COMPUTE_PGM_RSRC2:TGID_Y_EN: 0
; COMPUTE_PGM_RSRC2:TGID_Z_EN: 0
; COMPUTE_PGM_RSRC2:TIDIG_COMP_CNT: 0
; COMPUTE_PGM_RSRC3_GFX90A:ACCUM_OFFSET: 0
; COMPUTE_PGM_RSRC3_GFX90A:TG_SPLIT: 0
	.section	.text._ZN7rocprim17ROCPRIM_400000_NS6detail17trampoline_kernelINS0_14default_configENS1_38merge_sort_block_merge_config_selectorItNS0_10empty_typeEEEZZNS1_27merge_sort_block_merge_implIS3_N6thrust23THRUST_200600_302600_NS6detail15normal_iteratorINS9_10device_ptrItEEEEPS5_jNS1_19radix_merge_compareILb0ELb0EtNS0_19identity_decomposerEEEEE10hipError_tT0_T1_T2_jT3_P12ihipStream_tbPNSt15iterator_traitsISK_E10value_typeEPNSQ_ISL_E10value_typeEPSM_NS1_7vsmem_tEENKUlT_SK_SL_SM_E_clIPtSE_SF_SF_EESJ_SZ_SK_SL_SM_EUlSZ_E_NS1_11comp_targetILNS1_3genE8ELNS1_11target_archE1030ELNS1_3gpuE2ELNS1_3repE0EEENS1_48merge_mergepath_partition_config_static_selectorELNS0_4arch9wavefront6targetE1EEEvSL_,"axG",@progbits,_ZN7rocprim17ROCPRIM_400000_NS6detail17trampoline_kernelINS0_14default_configENS1_38merge_sort_block_merge_config_selectorItNS0_10empty_typeEEEZZNS1_27merge_sort_block_merge_implIS3_N6thrust23THRUST_200600_302600_NS6detail15normal_iteratorINS9_10device_ptrItEEEEPS5_jNS1_19radix_merge_compareILb0ELb0EtNS0_19identity_decomposerEEEEE10hipError_tT0_T1_T2_jT3_P12ihipStream_tbPNSt15iterator_traitsISK_E10value_typeEPNSQ_ISL_E10value_typeEPSM_NS1_7vsmem_tEENKUlT_SK_SL_SM_E_clIPtSE_SF_SF_EESJ_SZ_SK_SL_SM_EUlSZ_E_NS1_11comp_targetILNS1_3genE8ELNS1_11target_archE1030ELNS1_3gpuE2ELNS1_3repE0EEENS1_48merge_mergepath_partition_config_static_selectorELNS0_4arch9wavefront6targetE1EEEvSL_,comdat
	.protected	_ZN7rocprim17ROCPRIM_400000_NS6detail17trampoline_kernelINS0_14default_configENS1_38merge_sort_block_merge_config_selectorItNS0_10empty_typeEEEZZNS1_27merge_sort_block_merge_implIS3_N6thrust23THRUST_200600_302600_NS6detail15normal_iteratorINS9_10device_ptrItEEEEPS5_jNS1_19radix_merge_compareILb0ELb0EtNS0_19identity_decomposerEEEEE10hipError_tT0_T1_T2_jT3_P12ihipStream_tbPNSt15iterator_traitsISK_E10value_typeEPNSQ_ISL_E10value_typeEPSM_NS1_7vsmem_tEENKUlT_SK_SL_SM_E_clIPtSE_SF_SF_EESJ_SZ_SK_SL_SM_EUlSZ_E_NS1_11comp_targetILNS1_3genE8ELNS1_11target_archE1030ELNS1_3gpuE2ELNS1_3repE0EEENS1_48merge_mergepath_partition_config_static_selectorELNS0_4arch9wavefront6targetE1EEEvSL_ ; -- Begin function _ZN7rocprim17ROCPRIM_400000_NS6detail17trampoline_kernelINS0_14default_configENS1_38merge_sort_block_merge_config_selectorItNS0_10empty_typeEEEZZNS1_27merge_sort_block_merge_implIS3_N6thrust23THRUST_200600_302600_NS6detail15normal_iteratorINS9_10device_ptrItEEEEPS5_jNS1_19radix_merge_compareILb0ELb0EtNS0_19identity_decomposerEEEEE10hipError_tT0_T1_T2_jT3_P12ihipStream_tbPNSt15iterator_traitsISK_E10value_typeEPNSQ_ISL_E10value_typeEPSM_NS1_7vsmem_tEENKUlT_SK_SL_SM_E_clIPtSE_SF_SF_EESJ_SZ_SK_SL_SM_EUlSZ_E_NS1_11comp_targetILNS1_3genE8ELNS1_11target_archE1030ELNS1_3gpuE2ELNS1_3repE0EEENS1_48merge_mergepath_partition_config_static_selectorELNS0_4arch9wavefront6targetE1EEEvSL_
	.globl	_ZN7rocprim17ROCPRIM_400000_NS6detail17trampoline_kernelINS0_14default_configENS1_38merge_sort_block_merge_config_selectorItNS0_10empty_typeEEEZZNS1_27merge_sort_block_merge_implIS3_N6thrust23THRUST_200600_302600_NS6detail15normal_iteratorINS9_10device_ptrItEEEEPS5_jNS1_19radix_merge_compareILb0ELb0EtNS0_19identity_decomposerEEEEE10hipError_tT0_T1_T2_jT3_P12ihipStream_tbPNSt15iterator_traitsISK_E10value_typeEPNSQ_ISL_E10value_typeEPSM_NS1_7vsmem_tEENKUlT_SK_SL_SM_E_clIPtSE_SF_SF_EESJ_SZ_SK_SL_SM_EUlSZ_E_NS1_11comp_targetILNS1_3genE8ELNS1_11target_archE1030ELNS1_3gpuE2ELNS1_3repE0EEENS1_48merge_mergepath_partition_config_static_selectorELNS0_4arch9wavefront6targetE1EEEvSL_
	.p2align	8
	.type	_ZN7rocprim17ROCPRIM_400000_NS6detail17trampoline_kernelINS0_14default_configENS1_38merge_sort_block_merge_config_selectorItNS0_10empty_typeEEEZZNS1_27merge_sort_block_merge_implIS3_N6thrust23THRUST_200600_302600_NS6detail15normal_iteratorINS9_10device_ptrItEEEEPS5_jNS1_19radix_merge_compareILb0ELb0EtNS0_19identity_decomposerEEEEE10hipError_tT0_T1_T2_jT3_P12ihipStream_tbPNSt15iterator_traitsISK_E10value_typeEPNSQ_ISL_E10value_typeEPSM_NS1_7vsmem_tEENKUlT_SK_SL_SM_E_clIPtSE_SF_SF_EESJ_SZ_SK_SL_SM_EUlSZ_E_NS1_11comp_targetILNS1_3genE8ELNS1_11target_archE1030ELNS1_3gpuE2ELNS1_3repE0EEENS1_48merge_mergepath_partition_config_static_selectorELNS0_4arch9wavefront6targetE1EEEvSL_,@function
_ZN7rocprim17ROCPRIM_400000_NS6detail17trampoline_kernelINS0_14default_configENS1_38merge_sort_block_merge_config_selectorItNS0_10empty_typeEEEZZNS1_27merge_sort_block_merge_implIS3_N6thrust23THRUST_200600_302600_NS6detail15normal_iteratorINS9_10device_ptrItEEEEPS5_jNS1_19radix_merge_compareILb0ELb0EtNS0_19identity_decomposerEEEEE10hipError_tT0_T1_T2_jT3_P12ihipStream_tbPNSt15iterator_traitsISK_E10value_typeEPNSQ_ISL_E10value_typeEPSM_NS1_7vsmem_tEENKUlT_SK_SL_SM_E_clIPtSE_SF_SF_EESJ_SZ_SK_SL_SM_EUlSZ_E_NS1_11comp_targetILNS1_3genE8ELNS1_11target_archE1030ELNS1_3gpuE2ELNS1_3repE0EEENS1_48merge_mergepath_partition_config_static_selectorELNS0_4arch9wavefront6targetE1EEEvSL_: ; @_ZN7rocprim17ROCPRIM_400000_NS6detail17trampoline_kernelINS0_14default_configENS1_38merge_sort_block_merge_config_selectorItNS0_10empty_typeEEEZZNS1_27merge_sort_block_merge_implIS3_N6thrust23THRUST_200600_302600_NS6detail15normal_iteratorINS9_10device_ptrItEEEEPS5_jNS1_19radix_merge_compareILb0ELb0EtNS0_19identity_decomposerEEEEE10hipError_tT0_T1_T2_jT3_P12ihipStream_tbPNSt15iterator_traitsISK_E10value_typeEPNSQ_ISL_E10value_typeEPSM_NS1_7vsmem_tEENKUlT_SK_SL_SM_E_clIPtSE_SF_SF_EESJ_SZ_SK_SL_SM_EUlSZ_E_NS1_11comp_targetILNS1_3genE8ELNS1_11target_archE1030ELNS1_3gpuE2ELNS1_3repE0EEENS1_48merge_mergepath_partition_config_static_selectorELNS0_4arch9wavefront6targetE1EEEvSL_
; %bb.0:
	.section	.rodata,"a",@progbits
	.p2align	6, 0x0
	.amdhsa_kernel _ZN7rocprim17ROCPRIM_400000_NS6detail17trampoline_kernelINS0_14default_configENS1_38merge_sort_block_merge_config_selectorItNS0_10empty_typeEEEZZNS1_27merge_sort_block_merge_implIS3_N6thrust23THRUST_200600_302600_NS6detail15normal_iteratorINS9_10device_ptrItEEEEPS5_jNS1_19radix_merge_compareILb0ELb0EtNS0_19identity_decomposerEEEEE10hipError_tT0_T1_T2_jT3_P12ihipStream_tbPNSt15iterator_traitsISK_E10value_typeEPNSQ_ISL_E10value_typeEPSM_NS1_7vsmem_tEENKUlT_SK_SL_SM_E_clIPtSE_SF_SF_EESJ_SZ_SK_SL_SM_EUlSZ_E_NS1_11comp_targetILNS1_3genE8ELNS1_11target_archE1030ELNS1_3gpuE2ELNS1_3repE0EEENS1_48merge_mergepath_partition_config_static_selectorELNS0_4arch9wavefront6targetE1EEEvSL_
		.amdhsa_group_segment_fixed_size 0
		.amdhsa_private_segment_fixed_size 0
		.amdhsa_kernarg_size 40
		.amdhsa_user_sgpr_count 6
		.amdhsa_user_sgpr_private_segment_buffer 1
		.amdhsa_user_sgpr_dispatch_ptr 0
		.amdhsa_user_sgpr_queue_ptr 0
		.amdhsa_user_sgpr_kernarg_segment_ptr 1
		.amdhsa_user_sgpr_dispatch_id 0
		.amdhsa_user_sgpr_flat_scratch_init 0
		.amdhsa_user_sgpr_kernarg_preload_length 0
		.amdhsa_user_sgpr_kernarg_preload_offset 0
		.amdhsa_user_sgpr_private_segment_size 0
		.amdhsa_uses_dynamic_stack 0
		.amdhsa_system_sgpr_private_segment_wavefront_offset 0
		.amdhsa_system_sgpr_workgroup_id_x 1
		.amdhsa_system_sgpr_workgroup_id_y 0
		.amdhsa_system_sgpr_workgroup_id_z 0
		.amdhsa_system_sgpr_workgroup_info 0
		.amdhsa_system_vgpr_workitem_id 0
		.amdhsa_next_free_vgpr 1
		.amdhsa_next_free_sgpr 0
		.amdhsa_accum_offset 4
		.amdhsa_reserve_vcc 0
		.amdhsa_reserve_flat_scratch 0
		.amdhsa_float_round_mode_32 0
		.amdhsa_float_round_mode_16_64 0
		.amdhsa_float_denorm_mode_32 3
		.amdhsa_float_denorm_mode_16_64 3
		.amdhsa_dx10_clamp 1
		.amdhsa_ieee_mode 1
		.amdhsa_fp16_overflow 0
		.amdhsa_tg_split 0
		.amdhsa_exception_fp_ieee_invalid_op 0
		.amdhsa_exception_fp_denorm_src 0
		.amdhsa_exception_fp_ieee_div_zero 0
		.amdhsa_exception_fp_ieee_overflow 0
		.amdhsa_exception_fp_ieee_underflow 0
		.amdhsa_exception_fp_ieee_inexact 0
		.amdhsa_exception_int_div_zero 0
	.end_amdhsa_kernel
	.section	.text._ZN7rocprim17ROCPRIM_400000_NS6detail17trampoline_kernelINS0_14default_configENS1_38merge_sort_block_merge_config_selectorItNS0_10empty_typeEEEZZNS1_27merge_sort_block_merge_implIS3_N6thrust23THRUST_200600_302600_NS6detail15normal_iteratorINS9_10device_ptrItEEEEPS5_jNS1_19radix_merge_compareILb0ELb0EtNS0_19identity_decomposerEEEEE10hipError_tT0_T1_T2_jT3_P12ihipStream_tbPNSt15iterator_traitsISK_E10value_typeEPNSQ_ISL_E10value_typeEPSM_NS1_7vsmem_tEENKUlT_SK_SL_SM_E_clIPtSE_SF_SF_EESJ_SZ_SK_SL_SM_EUlSZ_E_NS1_11comp_targetILNS1_3genE8ELNS1_11target_archE1030ELNS1_3gpuE2ELNS1_3repE0EEENS1_48merge_mergepath_partition_config_static_selectorELNS0_4arch9wavefront6targetE1EEEvSL_,"axG",@progbits,_ZN7rocprim17ROCPRIM_400000_NS6detail17trampoline_kernelINS0_14default_configENS1_38merge_sort_block_merge_config_selectorItNS0_10empty_typeEEEZZNS1_27merge_sort_block_merge_implIS3_N6thrust23THRUST_200600_302600_NS6detail15normal_iteratorINS9_10device_ptrItEEEEPS5_jNS1_19radix_merge_compareILb0ELb0EtNS0_19identity_decomposerEEEEE10hipError_tT0_T1_T2_jT3_P12ihipStream_tbPNSt15iterator_traitsISK_E10value_typeEPNSQ_ISL_E10value_typeEPSM_NS1_7vsmem_tEENKUlT_SK_SL_SM_E_clIPtSE_SF_SF_EESJ_SZ_SK_SL_SM_EUlSZ_E_NS1_11comp_targetILNS1_3genE8ELNS1_11target_archE1030ELNS1_3gpuE2ELNS1_3repE0EEENS1_48merge_mergepath_partition_config_static_selectorELNS0_4arch9wavefront6targetE1EEEvSL_,comdat
.Lfunc_end1213:
	.size	_ZN7rocprim17ROCPRIM_400000_NS6detail17trampoline_kernelINS0_14default_configENS1_38merge_sort_block_merge_config_selectorItNS0_10empty_typeEEEZZNS1_27merge_sort_block_merge_implIS3_N6thrust23THRUST_200600_302600_NS6detail15normal_iteratorINS9_10device_ptrItEEEEPS5_jNS1_19radix_merge_compareILb0ELb0EtNS0_19identity_decomposerEEEEE10hipError_tT0_T1_T2_jT3_P12ihipStream_tbPNSt15iterator_traitsISK_E10value_typeEPNSQ_ISL_E10value_typeEPSM_NS1_7vsmem_tEENKUlT_SK_SL_SM_E_clIPtSE_SF_SF_EESJ_SZ_SK_SL_SM_EUlSZ_E_NS1_11comp_targetILNS1_3genE8ELNS1_11target_archE1030ELNS1_3gpuE2ELNS1_3repE0EEENS1_48merge_mergepath_partition_config_static_selectorELNS0_4arch9wavefront6targetE1EEEvSL_, .Lfunc_end1213-_ZN7rocprim17ROCPRIM_400000_NS6detail17trampoline_kernelINS0_14default_configENS1_38merge_sort_block_merge_config_selectorItNS0_10empty_typeEEEZZNS1_27merge_sort_block_merge_implIS3_N6thrust23THRUST_200600_302600_NS6detail15normal_iteratorINS9_10device_ptrItEEEEPS5_jNS1_19radix_merge_compareILb0ELb0EtNS0_19identity_decomposerEEEEE10hipError_tT0_T1_T2_jT3_P12ihipStream_tbPNSt15iterator_traitsISK_E10value_typeEPNSQ_ISL_E10value_typeEPSM_NS1_7vsmem_tEENKUlT_SK_SL_SM_E_clIPtSE_SF_SF_EESJ_SZ_SK_SL_SM_EUlSZ_E_NS1_11comp_targetILNS1_3genE8ELNS1_11target_archE1030ELNS1_3gpuE2ELNS1_3repE0EEENS1_48merge_mergepath_partition_config_static_selectorELNS0_4arch9wavefront6targetE1EEEvSL_
                                        ; -- End function
	.section	.AMDGPU.csdata,"",@progbits
; Kernel info:
; codeLenInByte = 0
; NumSgprs: 4
; NumVgprs: 0
; NumAgprs: 0
; TotalNumVgprs: 0
; ScratchSize: 0
; MemoryBound: 0
; FloatMode: 240
; IeeeMode: 1
; LDSByteSize: 0 bytes/workgroup (compile time only)
; SGPRBlocks: 0
; VGPRBlocks: 0
; NumSGPRsForWavesPerEU: 4
; NumVGPRsForWavesPerEU: 1
; AccumOffset: 4
; Occupancy: 8
; WaveLimiterHint : 0
; COMPUTE_PGM_RSRC2:SCRATCH_EN: 0
; COMPUTE_PGM_RSRC2:USER_SGPR: 6
; COMPUTE_PGM_RSRC2:TRAP_HANDLER: 0
; COMPUTE_PGM_RSRC2:TGID_X_EN: 1
; COMPUTE_PGM_RSRC2:TGID_Y_EN: 0
; COMPUTE_PGM_RSRC2:TGID_Z_EN: 0
; COMPUTE_PGM_RSRC2:TIDIG_COMP_CNT: 0
; COMPUTE_PGM_RSRC3_GFX90A:ACCUM_OFFSET: 0
; COMPUTE_PGM_RSRC3_GFX90A:TG_SPLIT: 0
	.section	.text._ZN7rocprim17ROCPRIM_400000_NS6detail17trampoline_kernelINS0_14default_configENS1_38merge_sort_block_merge_config_selectorItNS0_10empty_typeEEEZZNS1_27merge_sort_block_merge_implIS3_N6thrust23THRUST_200600_302600_NS6detail15normal_iteratorINS9_10device_ptrItEEEEPS5_jNS1_19radix_merge_compareILb0ELb0EtNS0_19identity_decomposerEEEEE10hipError_tT0_T1_T2_jT3_P12ihipStream_tbPNSt15iterator_traitsISK_E10value_typeEPNSQ_ISL_E10value_typeEPSM_NS1_7vsmem_tEENKUlT_SK_SL_SM_E_clIPtSE_SF_SF_EESJ_SZ_SK_SL_SM_EUlSZ_E0_NS1_11comp_targetILNS1_3genE0ELNS1_11target_archE4294967295ELNS1_3gpuE0ELNS1_3repE0EEENS1_38merge_mergepath_config_static_selectorELNS0_4arch9wavefront6targetE1EEEvSL_,"axG",@progbits,_ZN7rocprim17ROCPRIM_400000_NS6detail17trampoline_kernelINS0_14default_configENS1_38merge_sort_block_merge_config_selectorItNS0_10empty_typeEEEZZNS1_27merge_sort_block_merge_implIS3_N6thrust23THRUST_200600_302600_NS6detail15normal_iteratorINS9_10device_ptrItEEEEPS5_jNS1_19radix_merge_compareILb0ELb0EtNS0_19identity_decomposerEEEEE10hipError_tT0_T1_T2_jT3_P12ihipStream_tbPNSt15iterator_traitsISK_E10value_typeEPNSQ_ISL_E10value_typeEPSM_NS1_7vsmem_tEENKUlT_SK_SL_SM_E_clIPtSE_SF_SF_EESJ_SZ_SK_SL_SM_EUlSZ_E0_NS1_11comp_targetILNS1_3genE0ELNS1_11target_archE4294967295ELNS1_3gpuE0ELNS1_3repE0EEENS1_38merge_mergepath_config_static_selectorELNS0_4arch9wavefront6targetE1EEEvSL_,comdat
	.protected	_ZN7rocprim17ROCPRIM_400000_NS6detail17trampoline_kernelINS0_14default_configENS1_38merge_sort_block_merge_config_selectorItNS0_10empty_typeEEEZZNS1_27merge_sort_block_merge_implIS3_N6thrust23THRUST_200600_302600_NS6detail15normal_iteratorINS9_10device_ptrItEEEEPS5_jNS1_19radix_merge_compareILb0ELb0EtNS0_19identity_decomposerEEEEE10hipError_tT0_T1_T2_jT3_P12ihipStream_tbPNSt15iterator_traitsISK_E10value_typeEPNSQ_ISL_E10value_typeEPSM_NS1_7vsmem_tEENKUlT_SK_SL_SM_E_clIPtSE_SF_SF_EESJ_SZ_SK_SL_SM_EUlSZ_E0_NS1_11comp_targetILNS1_3genE0ELNS1_11target_archE4294967295ELNS1_3gpuE0ELNS1_3repE0EEENS1_38merge_mergepath_config_static_selectorELNS0_4arch9wavefront6targetE1EEEvSL_ ; -- Begin function _ZN7rocprim17ROCPRIM_400000_NS6detail17trampoline_kernelINS0_14default_configENS1_38merge_sort_block_merge_config_selectorItNS0_10empty_typeEEEZZNS1_27merge_sort_block_merge_implIS3_N6thrust23THRUST_200600_302600_NS6detail15normal_iteratorINS9_10device_ptrItEEEEPS5_jNS1_19radix_merge_compareILb0ELb0EtNS0_19identity_decomposerEEEEE10hipError_tT0_T1_T2_jT3_P12ihipStream_tbPNSt15iterator_traitsISK_E10value_typeEPNSQ_ISL_E10value_typeEPSM_NS1_7vsmem_tEENKUlT_SK_SL_SM_E_clIPtSE_SF_SF_EESJ_SZ_SK_SL_SM_EUlSZ_E0_NS1_11comp_targetILNS1_3genE0ELNS1_11target_archE4294967295ELNS1_3gpuE0ELNS1_3repE0EEENS1_38merge_mergepath_config_static_selectorELNS0_4arch9wavefront6targetE1EEEvSL_
	.globl	_ZN7rocprim17ROCPRIM_400000_NS6detail17trampoline_kernelINS0_14default_configENS1_38merge_sort_block_merge_config_selectorItNS0_10empty_typeEEEZZNS1_27merge_sort_block_merge_implIS3_N6thrust23THRUST_200600_302600_NS6detail15normal_iteratorINS9_10device_ptrItEEEEPS5_jNS1_19radix_merge_compareILb0ELb0EtNS0_19identity_decomposerEEEEE10hipError_tT0_T1_T2_jT3_P12ihipStream_tbPNSt15iterator_traitsISK_E10value_typeEPNSQ_ISL_E10value_typeEPSM_NS1_7vsmem_tEENKUlT_SK_SL_SM_E_clIPtSE_SF_SF_EESJ_SZ_SK_SL_SM_EUlSZ_E0_NS1_11comp_targetILNS1_3genE0ELNS1_11target_archE4294967295ELNS1_3gpuE0ELNS1_3repE0EEENS1_38merge_mergepath_config_static_selectorELNS0_4arch9wavefront6targetE1EEEvSL_
	.p2align	8
	.type	_ZN7rocprim17ROCPRIM_400000_NS6detail17trampoline_kernelINS0_14default_configENS1_38merge_sort_block_merge_config_selectorItNS0_10empty_typeEEEZZNS1_27merge_sort_block_merge_implIS3_N6thrust23THRUST_200600_302600_NS6detail15normal_iteratorINS9_10device_ptrItEEEEPS5_jNS1_19radix_merge_compareILb0ELb0EtNS0_19identity_decomposerEEEEE10hipError_tT0_T1_T2_jT3_P12ihipStream_tbPNSt15iterator_traitsISK_E10value_typeEPNSQ_ISL_E10value_typeEPSM_NS1_7vsmem_tEENKUlT_SK_SL_SM_E_clIPtSE_SF_SF_EESJ_SZ_SK_SL_SM_EUlSZ_E0_NS1_11comp_targetILNS1_3genE0ELNS1_11target_archE4294967295ELNS1_3gpuE0ELNS1_3repE0EEENS1_38merge_mergepath_config_static_selectorELNS0_4arch9wavefront6targetE1EEEvSL_,@function
_ZN7rocprim17ROCPRIM_400000_NS6detail17trampoline_kernelINS0_14default_configENS1_38merge_sort_block_merge_config_selectorItNS0_10empty_typeEEEZZNS1_27merge_sort_block_merge_implIS3_N6thrust23THRUST_200600_302600_NS6detail15normal_iteratorINS9_10device_ptrItEEEEPS5_jNS1_19radix_merge_compareILb0ELb0EtNS0_19identity_decomposerEEEEE10hipError_tT0_T1_T2_jT3_P12ihipStream_tbPNSt15iterator_traitsISK_E10value_typeEPNSQ_ISL_E10value_typeEPSM_NS1_7vsmem_tEENKUlT_SK_SL_SM_E_clIPtSE_SF_SF_EESJ_SZ_SK_SL_SM_EUlSZ_E0_NS1_11comp_targetILNS1_3genE0ELNS1_11target_archE4294967295ELNS1_3gpuE0ELNS1_3repE0EEENS1_38merge_mergepath_config_static_selectorELNS0_4arch9wavefront6targetE1EEEvSL_: ; @_ZN7rocprim17ROCPRIM_400000_NS6detail17trampoline_kernelINS0_14default_configENS1_38merge_sort_block_merge_config_selectorItNS0_10empty_typeEEEZZNS1_27merge_sort_block_merge_implIS3_N6thrust23THRUST_200600_302600_NS6detail15normal_iteratorINS9_10device_ptrItEEEEPS5_jNS1_19radix_merge_compareILb0ELb0EtNS0_19identity_decomposerEEEEE10hipError_tT0_T1_T2_jT3_P12ihipStream_tbPNSt15iterator_traitsISK_E10value_typeEPNSQ_ISL_E10value_typeEPSM_NS1_7vsmem_tEENKUlT_SK_SL_SM_E_clIPtSE_SF_SF_EESJ_SZ_SK_SL_SM_EUlSZ_E0_NS1_11comp_targetILNS1_3genE0ELNS1_11target_archE4294967295ELNS1_3gpuE0ELNS1_3repE0EEENS1_38merge_mergepath_config_static_selectorELNS0_4arch9wavefront6targetE1EEEvSL_
; %bb.0:
	.section	.rodata,"a",@progbits
	.p2align	6, 0x0
	.amdhsa_kernel _ZN7rocprim17ROCPRIM_400000_NS6detail17trampoline_kernelINS0_14default_configENS1_38merge_sort_block_merge_config_selectorItNS0_10empty_typeEEEZZNS1_27merge_sort_block_merge_implIS3_N6thrust23THRUST_200600_302600_NS6detail15normal_iteratorINS9_10device_ptrItEEEEPS5_jNS1_19radix_merge_compareILb0ELb0EtNS0_19identity_decomposerEEEEE10hipError_tT0_T1_T2_jT3_P12ihipStream_tbPNSt15iterator_traitsISK_E10value_typeEPNSQ_ISL_E10value_typeEPSM_NS1_7vsmem_tEENKUlT_SK_SL_SM_E_clIPtSE_SF_SF_EESJ_SZ_SK_SL_SM_EUlSZ_E0_NS1_11comp_targetILNS1_3genE0ELNS1_11target_archE4294967295ELNS1_3gpuE0ELNS1_3repE0EEENS1_38merge_mergepath_config_static_selectorELNS0_4arch9wavefront6targetE1EEEvSL_
		.amdhsa_group_segment_fixed_size 0
		.amdhsa_private_segment_fixed_size 0
		.amdhsa_kernarg_size 64
		.amdhsa_user_sgpr_count 6
		.amdhsa_user_sgpr_private_segment_buffer 1
		.amdhsa_user_sgpr_dispatch_ptr 0
		.amdhsa_user_sgpr_queue_ptr 0
		.amdhsa_user_sgpr_kernarg_segment_ptr 1
		.amdhsa_user_sgpr_dispatch_id 0
		.amdhsa_user_sgpr_flat_scratch_init 0
		.amdhsa_user_sgpr_kernarg_preload_length 0
		.amdhsa_user_sgpr_kernarg_preload_offset 0
		.amdhsa_user_sgpr_private_segment_size 0
		.amdhsa_uses_dynamic_stack 0
		.amdhsa_system_sgpr_private_segment_wavefront_offset 0
		.amdhsa_system_sgpr_workgroup_id_x 1
		.amdhsa_system_sgpr_workgroup_id_y 0
		.amdhsa_system_sgpr_workgroup_id_z 0
		.amdhsa_system_sgpr_workgroup_info 0
		.amdhsa_system_vgpr_workitem_id 0
		.amdhsa_next_free_vgpr 1
		.amdhsa_next_free_sgpr 0
		.amdhsa_accum_offset 4
		.amdhsa_reserve_vcc 0
		.amdhsa_reserve_flat_scratch 0
		.amdhsa_float_round_mode_32 0
		.amdhsa_float_round_mode_16_64 0
		.amdhsa_float_denorm_mode_32 3
		.amdhsa_float_denorm_mode_16_64 3
		.amdhsa_dx10_clamp 1
		.amdhsa_ieee_mode 1
		.amdhsa_fp16_overflow 0
		.amdhsa_tg_split 0
		.amdhsa_exception_fp_ieee_invalid_op 0
		.amdhsa_exception_fp_denorm_src 0
		.amdhsa_exception_fp_ieee_div_zero 0
		.amdhsa_exception_fp_ieee_overflow 0
		.amdhsa_exception_fp_ieee_underflow 0
		.amdhsa_exception_fp_ieee_inexact 0
		.amdhsa_exception_int_div_zero 0
	.end_amdhsa_kernel
	.section	.text._ZN7rocprim17ROCPRIM_400000_NS6detail17trampoline_kernelINS0_14default_configENS1_38merge_sort_block_merge_config_selectorItNS0_10empty_typeEEEZZNS1_27merge_sort_block_merge_implIS3_N6thrust23THRUST_200600_302600_NS6detail15normal_iteratorINS9_10device_ptrItEEEEPS5_jNS1_19radix_merge_compareILb0ELb0EtNS0_19identity_decomposerEEEEE10hipError_tT0_T1_T2_jT3_P12ihipStream_tbPNSt15iterator_traitsISK_E10value_typeEPNSQ_ISL_E10value_typeEPSM_NS1_7vsmem_tEENKUlT_SK_SL_SM_E_clIPtSE_SF_SF_EESJ_SZ_SK_SL_SM_EUlSZ_E0_NS1_11comp_targetILNS1_3genE0ELNS1_11target_archE4294967295ELNS1_3gpuE0ELNS1_3repE0EEENS1_38merge_mergepath_config_static_selectorELNS0_4arch9wavefront6targetE1EEEvSL_,"axG",@progbits,_ZN7rocprim17ROCPRIM_400000_NS6detail17trampoline_kernelINS0_14default_configENS1_38merge_sort_block_merge_config_selectorItNS0_10empty_typeEEEZZNS1_27merge_sort_block_merge_implIS3_N6thrust23THRUST_200600_302600_NS6detail15normal_iteratorINS9_10device_ptrItEEEEPS5_jNS1_19radix_merge_compareILb0ELb0EtNS0_19identity_decomposerEEEEE10hipError_tT0_T1_T2_jT3_P12ihipStream_tbPNSt15iterator_traitsISK_E10value_typeEPNSQ_ISL_E10value_typeEPSM_NS1_7vsmem_tEENKUlT_SK_SL_SM_E_clIPtSE_SF_SF_EESJ_SZ_SK_SL_SM_EUlSZ_E0_NS1_11comp_targetILNS1_3genE0ELNS1_11target_archE4294967295ELNS1_3gpuE0ELNS1_3repE0EEENS1_38merge_mergepath_config_static_selectorELNS0_4arch9wavefront6targetE1EEEvSL_,comdat
.Lfunc_end1214:
	.size	_ZN7rocprim17ROCPRIM_400000_NS6detail17trampoline_kernelINS0_14default_configENS1_38merge_sort_block_merge_config_selectorItNS0_10empty_typeEEEZZNS1_27merge_sort_block_merge_implIS3_N6thrust23THRUST_200600_302600_NS6detail15normal_iteratorINS9_10device_ptrItEEEEPS5_jNS1_19radix_merge_compareILb0ELb0EtNS0_19identity_decomposerEEEEE10hipError_tT0_T1_T2_jT3_P12ihipStream_tbPNSt15iterator_traitsISK_E10value_typeEPNSQ_ISL_E10value_typeEPSM_NS1_7vsmem_tEENKUlT_SK_SL_SM_E_clIPtSE_SF_SF_EESJ_SZ_SK_SL_SM_EUlSZ_E0_NS1_11comp_targetILNS1_3genE0ELNS1_11target_archE4294967295ELNS1_3gpuE0ELNS1_3repE0EEENS1_38merge_mergepath_config_static_selectorELNS0_4arch9wavefront6targetE1EEEvSL_, .Lfunc_end1214-_ZN7rocprim17ROCPRIM_400000_NS6detail17trampoline_kernelINS0_14default_configENS1_38merge_sort_block_merge_config_selectorItNS0_10empty_typeEEEZZNS1_27merge_sort_block_merge_implIS3_N6thrust23THRUST_200600_302600_NS6detail15normal_iteratorINS9_10device_ptrItEEEEPS5_jNS1_19radix_merge_compareILb0ELb0EtNS0_19identity_decomposerEEEEE10hipError_tT0_T1_T2_jT3_P12ihipStream_tbPNSt15iterator_traitsISK_E10value_typeEPNSQ_ISL_E10value_typeEPSM_NS1_7vsmem_tEENKUlT_SK_SL_SM_E_clIPtSE_SF_SF_EESJ_SZ_SK_SL_SM_EUlSZ_E0_NS1_11comp_targetILNS1_3genE0ELNS1_11target_archE4294967295ELNS1_3gpuE0ELNS1_3repE0EEENS1_38merge_mergepath_config_static_selectorELNS0_4arch9wavefront6targetE1EEEvSL_
                                        ; -- End function
	.section	.AMDGPU.csdata,"",@progbits
; Kernel info:
; codeLenInByte = 0
; NumSgprs: 4
; NumVgprs: 0
; NumAgprs: 0
; TotalNumVgprs: 0
; ScratchSize: 0
; MemoryBound: 0
; FloatMode: 240
; IeeeMode: 1
; LDSByteSize: 0 bytes/workgroup (compile time only)
; SGPRBlocks: 0
; VGPRBlocks: 0
; NumSGPRsForWavesPerEU: 4
; NumVGPRsForWavesPerEU: 1
; AccumOffset: 4
; Occupancy: 8
; WaveLimiterHint : 0
; COMPUTE_PGM_RSRC2:SCRATCH_EN: 0
; COMPUTE_PGM_RSRC2:USER_SGPR: 6
; COMPUTE_PGM_RSRC2:TRAP_HANDLER: 0
; COMPUTE_PGM_RSRC2:TGID_X_EN: 1
; COMPUTE_PGM_RSRC2:TGID_Y_EN: 0
; COMPUTE_PGM_RSRC2:TGID_Z_EN: 0
; COMPUTE_PGM_RSRC2:TIDIG_COMP_CNT: 0
; COMPUTE_PGM_RSRC3_GFX90A:ACCUM_OFFSET: 0
; COMPUTE_PGM_RSRC3_GFX90A:TG_SPLIT: 0
	.section	.text._ZN7rocprim17ROCPRIM_400000_NS6detail17trampoline_kernelINS0_14default_configENS1_38merge_sort_block_merge_config_selectorItNS0_10empty_typeEEEZZNS1_27merge_sort_block_merge_implIS3_N6thrust23THRUST_200600_302600_NS6detail15normal_iteratorINS9_10device_ptrItEEEEPS5_jNS1_19radix_merge_compareILb0ELb0EtNS0_19identity_decomposerEEEEE10hipError_tT0_T1_T2_jT3_P12ihipStream_tbPNSt15iterator_traitsISK_E10value_typeEPNSQ_ISL_E10value_typeEPSM_NS1_7vsmem_tEENKUlT_SK_SL_SM_E_clIPtSE_SF_SF_EESJ_SZ_SK_SL_SM_EUlSZ_E0_NS1_11comp_targetILNS1_3genE10ELNS1_11target_archE1201ELNS1_3gpuE5ELNS1_3repE0EEENS1_38merge_mergepath_config_static_selectorELNS0_4arch9wavefront6targetE1EEEvSL_,"axG",@progbits,_ZN7rocprim17ROCPRIM_400000_NS6detail17trampoline_kernelINS0_14default_configENS1_38merge_sort_block_merge_config_selectorItNS0_10empty_typeEEEZZNS1_27merge_sort_block_merge_implIS3_N6thrust23THRUST_200600_302600_NS6detail15normal_iteratorINS9_10device_ptrItEEEEPS5_jNS1_19radix_merge_compareILb0ELb0EtNS0_19identity_decomposerEEEEE10hipError_tT0_T1_T2_jT3_P12ihipStream_tbPNSt15iterator_traitsISK_E10value_typeEPNSQ_ISL_E10value_typeEPSM_NS1_7vsmem_tEENKUlT_SK_SL_SM_E_clIPtSE_SF_SF_EESJ_SZ_SK_SL_SM_EUlSZ_E0_NS1_11comp_targetILNS1_3genE10ELNS1_11target_archE1201ELNS1_3gpuE5ELNS1_3repE0EEENS1_38merge_mergepath_config_static_selectorELNS0_4arch9wavefront6targetE1EEEvSL_,comdat
	.protected	_ZN7rocprim17ROCPRIM_400000_NS6detail17trampoline_kernelINS0_14default_configENS1_38merge_sort_block_merge_config_selectorItNS0_10empty_typeEEEZZNS1_27merge_sort_block_merge_implIS3_N6thrust23THRUST_200600_302600_NS6detail15normal_iteratorINS9_10device_ptrItEEEEPS5_jNS1_19radix_merge_compareILb0ELb0EtNS0_19identity_decomposerEEEEE10hipError_tT0_T1_T2_jT3_P12ihipStream_tbPNSt15iterator_traitsISK_E10value_typeEPNSQ_ISL_E10value_typeEPSM_NS1_7vsmem_tEENKUlT_SK_SL_SM_E_clIPtSE_SF_SF_EESJ_SZ_SK_SL_SM_EUlSZ_E0_NS1_11comp_targetILNS1_3genE10ELNS1_11target_archE1201ELNS1_3gpuE5ELNS1_3repE0EEENS1_38merge_mergepath_config_static_selectorELNS0_4arch9wavefront6targetE1EEEvSL_ ; -- Begin function _ZN7rocprim17ROCPRIM_400000_NS6detail17trampoline_kernelINS0_14default_configENS1_38merge_sort_block_merge_config_selectorItNS0_10empty_typeEEEZZNS1_27merge_sort_block_merge_implIS3_N6thrust23THRUST_200600_302600_NS6detail15normal_iteratorINS9_10device_ptrItEEEEPS5_jNS1_19radix_merge_compareILb0ELb0EtNS0_19identity_decomposerEEEEE10hipError_tT0_T1_T2_jT3_P12ihipStream_tbPNSt15iterator_traitsISK_E10value_typeEPNSQ_ISL_E10value_typeEPSM_NS1_7vsmem_tEENKUlT_SK_SL_SM_E_clIPtSE_SF_SF_EESJ_SZ_SK_SL_SM_EUlSZ_E0_NS1_11comp_targetILNS1_3genE10ELNS1_11target_archE1201ELNS1_3gpuE5ELNS1_3repE0EEENS1_38merge_mergepath_config_static_selectorELNS0_4arch9wavefront6targetE1EEEvSL_
	.globl	_ZN7rocprim17ROCPRIM_400000_NS6detail17trampoline_kernelINS0_14default_configENS1_38merge_sort_block_merge_config_selectorItNS0_10empty_typeEEEZZNS1_27merge_sort_block_merge_implIS3_N6thrust23THRUST_200600_302600_NS6detail15normal_iteratorINS9_10device_ptrItEEEEPS5_jNS1_19radix_merge_compareILb0ELb0EtNS0_19identity_decomposerEEEEE10hipError_tT0_T1_T2_jT3_P12ihipStream_tbPNSt15iterator_traitsISK_E10value_typeEPNSQ_ISL_E10value_typeEPSM_NS1_7vsmem_tEENKUlT_SK_SL_SM_E_clIPtSE_SF_SF_EESJ_SZ_SK_SL_SM_EUlSZ_E0_NS1_11comp_targetILNS1_3genE10ELNS1_11target_archE1201ELNS1_3gpuE5ELNS1_3repE0EEENS1_38merge_mergepath_config_static_selectorELNS0_4arch9wavefront6targetE1EEEvSL_
	.p2align	8
	.type	_ZN7rocprim17ROCPRIM_400000_NS6detail17trampoline_kernelINS0_14default_configENS1_38merge_sort_block_merge_config_selectorItNS0_10empty_typeEEEZZNS1_27merge_sort_block_merge_implIS3_N6thrust23THRUST_200600_302600_NS6detail15normal_iteratorINS9_10device_ptrItEEEEPS5_jNS1_19radix_merge_compareILb0ELb0EtNS0_19identity_decomposerEEEEE10hipError_tT0_T1_T2_jT3_P12ihipStream_tbPNSt15iterator_traitsISK_E10value_typeEPNSQ_ISL_E10value_typeEPSM_NS1_7vsmem_tEENKUlT_SK_SL_SM_E_clIPtSE_SF_SF_EESJ_SZ_SK_SL_SM_EUlSZ_E0_NS1_11comp_targetILNS1_3genE10ELNS1_11target_archE1201ELNS1_3gpuE5ELNS1_3repE0EEENS1_38merge_mergepath_config_static_selectorELNS0_4arch9wavefront6targetE1EEEvSL_,@function
_ZN7rocprim17ROCPRIM_400000_NS6detail17trampoline_kernelINS0_14default_configENS1_38merge_sort_block_merge_config_selectorItNS0_10empty_typeEEEZZNS1_27merge_sort_block_merge_implIS3_N6thrust23THRUST_200600_302600_NS6detail15normal_iteratorINS9_10device_ptrItEEEEPS5_jNS1_19radix_merge_compareILb0ELb0EtNS0_19identity_decomposerEEEEE10hipError_tT0_T1_T2_jT3_P12ihipStream_tbPNSt15iterator_traitsISK_E10value_typeEPNSQ_ISL_E10value_typeEPSM_NS1_7vsmem_tEENKUlT_SK_SL_SM_E_clIPtSE_SF_SF_EESJ_SZ_SK_SL_SM_EUlSZ_E0_NS1_11comp_targetILNS1_3genE10ELNS1_11target_archE1201ELNS1_3gpuE5ELNS1_3repE0EEENS1_38merge_mergepath_config_static_selectorELNS0_4arch9wavefront6targetE1EEEvSL_: ; @_ZN7rocprim17ROCPRIM_400000_NS6detail17trampoline_kernelINS0_14default_configENS1_38merge_sort_block_merge_config_selectorItNS0_10empty_typeEEEZZNS1_27merge_sort_block_merge_implIS3_N6thrust23THRUST_200600_302600_NS6detail15normal_iteratorINS9_10device_ptrItEEEEPS5_jNS1_19radix_merge_compareILb0ELb0EtNS0_19identity_decomposerEEEEE10hipError_tT0_T1_T2_jT3_P12ihipStream_tbPNSt15iterator_traitsISK_E10value_typeEPNSQ_ISL_E10value_typeEPSM_NS1_7vsmem_tEENKUlT_SK_SL_SM_E_clIPtSE_SF_SF_EESJ_SZ_SK_SL_SM_EUlSZ_E0_NS1_11comp_targetILNS1_3genE10ELNS1_11target_archE1201ELNS1_3gpuE5ELNS1_3repE0EEENS1_38merge_mergepath_config_static_selectorELNS0_4arch9wavefront6targetE1EEEvSL_
; %bb.0:
	.section	.rodata,"a",@progbits
	.p2align	6, 0x0
	.amdhsa_kernel _ZN7rocprim17ROCPRIM_400000_NS6detail17trampoline_kernelINS0_14default_configENS1_38merge_sort_block_merge_config_selectorItNS0_10empty_typeEEEZZNS1_27merge_sort_block_merge_implIS3_N6thrust23THRUST_200600_302600_NS6detail15normal_iteratorINS9_10device_ptrItEEEEPS5_jNS1_19radix_merge_compareILb0ELb0EtNS0_19identity_decomposerEEEEE10hipError_tT0_T1_T2_jT3_P12ihipStream_tbPNSt15iterator_traitsISK_E10value_typeEPNSQ_ISL_E10value_typeEPSM_NS1_7vsmem_tEENKUlT_SK_SL_SM_E_clIPtSE_SF_SF_EESJ_SZ_SK_SL_SM_EUlSZ_E0_NS1_11comp_targetILNS1_3genE10ELNS1_11target_archE1201ELNS1_3gpuE5ELNS1_3repE0EEENS1_38merge_mergepath_config_static_selectorELNS0_4arch9wavefront6targetE1EEEvSL_
		.amdhsa_group_segment_fixed_size 0
		.amdhsa_private_segment_fixed_size 0
		.amdhsa_kernarg_size 64
		.amdhsa_user_sgpr_count 6
		.amdhsa_user_sgpr_private_segment_buffer 1
		.amdhsa_user_sgpr_dispatch_ptr 0
		.amdhsa_user_sgpr_queue_ptr 0
		.amdhsa_user_sgpr_kernarg_segment_ptr 1
		.amdhsa_user_sgpr_dispatch_id 0
		.amdhsa_user_sgpr_flat_scratch_init 0
		.amdhsa_user_sgpr_kernarg_preload_length 0
		.amdhsa_user_sgpr_kernarg_preload_offset 0
		.amdhsa_user_sgpr_private_segment_size 0
		.amdhsa_uses_dynamic_stack 0
		.amdhsa_system_sgpr_private_segment_wavefront_offset 0
		.amdhsa_system_sgpr_workgroup_id_x 1
		.amdhsa_system_sgpr_workgroup_id_y 0
		.amdhsa_system_sgpr_workgroup_id_z 0
		.amdhsa_system_sgpr_workgroup_info 0
		.amdhsa_system_vgpr_workitem_id 0
		.amdhsa_next_free_vgpr 1
		.amdhsa_next_free_sgpr 0
		.amdhsa_accum_offset 4
		.amdhsa_reserve_vcc 0
		.amdhsa_reserve_flat_scratch 0
		.amdhsa_float_round_mode_32 0
		.amdhsa_float_round_mode_16_64 0
		.amdhsa_float_denorm_mode_32 3
		.amdhsa_float_denorm_mode_16_64 3
		.amdhsa_dx10_clamp 1
		.amdhsa_ieee_mode 1
		.amdhsa_fp16_overflow 0
		.amdhsa_tg_split 0
		.amdhsa_exception_fp_ieee_invalid_op 0
		.amdhsa_exception_fp_denorm_src 0
		.amdhsa_exception_fp_ieee_div_zero 0
		.amdhsa_exception_fp_ieee_overflow 0
		.amdhsa_exception_fp_ieee_underflow 0
		.amdhsa_exception_fp_ieee_inexact 0
		.amdhsa_exception_int_div_zero 0
	.end_amdhsa_kernel
	.section	.text._ZN7rocprim17ROCPRIM_400000_NS6detail17trampoline_kernelINS0_14default_configENS1_38merge_sort_block_merge_config_selectorItNS0_10empty_typeEEEZZNS1_27merge_sort_block_merge_implIS3_N6thrust23THRUST_200600_302600_NS6detail15normal_iteratorINS9_10device_ptrItEEEEPS5_jNS1_19radix_merge_compareILb0ELb0EtNS0_19identity_decomposerEEEEE10hipError_tT0_T1_T2_jT3_P12ihipStream_tbPNSt15iterator_traitsISK_E10value_typeEPNSQ_ISL_E10value_typeEPSM_NS1_7vsmem_tEENKUlT_SK_SL_SM_E_clIPtSE_SF_SF_EESJ_SZ_SK_SL_SM_EUlSZ_E0_NS1_11comp_targetILNS1_3genE10ELNS1_11target_archE1201ELNS1_3gpuE5ELNS1_3repE0EEENS1_38merge_mergepath_config_static_selectorELNS0_4arch9wavefront6targetE1EEEvSL_,"axG",@progbits,_ZN7rocprim17ROCPRIM_400000_NS6detail17trampoline_kernelINS0_14default_configENS1_38merge_sort_block_merge_config_selectorItNS0_10empty_typeEEEZZNS1_27merge_sort_block_merge_implIS3_N6thrust23THRUST_200600_302600_NS6detail15normal_iteratorINS9_10device_ptrItEEEEPS5_jNS1_19radix_merge_compareILb0ELb0EtNS0_19identity_decomposerEEEEE10hipError_tT0_T1_T2_jT3_P12ihipStream_tbPNSt15iterator_traitsISK_E10value_typeEPNSQ_ISL_E10value_typeEPSM_NS1_7vsmem_tEENKUlT_SK_SL_SM_E_clIPtSE_SF_SF_EESJ_SZ_SK_SL_SM_EUlSZ_E0_NS1_11comp_targetILNS1_3genE10ELNS1_11target_archE1201ELNS1_3gpuE5ELNS1_3repE0EEENS1_38merge_mergepath_config_static_selectorELNS0_4arch9wavefront6targetE1EEEvSL_,comdat
.Lfunc_end1215:
	.size	_ZN7rocprim17ROCPRIM_400000_NS6detail17trampoline_kernelINS0_14default_configENS1_38merge_sort_block_merge_config_selectorItNS0_10empty_typeEEEZZNS1_27merge_sort_block_merge_implIS3_N6thrust23THRUST_200600_302600_NS6detail15normal_iteratorINS9_10device_ptrItEEEEPS5_jNS1_19radix_merge_compareILb0ELb0EtNS0_19identity_decomposerEEEEE10hipError_tT0_T1_T2_jT3_P12ihipStream_tbPNSt15iterator_traitsISK_E10value_typeEPNSQ_ISL_E10value_typeEPSM_NS1_7vsmem_tEENKUlT_SK_SL_SM_E_clIPtSE_SF_SF_EESJ_SZ_SK_SL_SM_EUlSZ_E0_NS1_11comp_targetILNS1_3genE10ELNS1_11target_archE1201ELNS1_3gpuE5ELNS1_3repE0EEENS1_38merge_mergepath_config_static_selectorELNS0_4arch9wavefront6targetE1EEEvSL_, .Lfunc_end1215-_ZN7rocprim17ROCPRIM_400000_NS6detail17trampoline_kernelINS0_14default_configENS1_38merge_sort_block_merge_config_selectorItNS0_10empty_typeEEEZZNS1_27merge_sort_block_merge_implIS3_N6thrust23THRUST_200600_302600_NS6detail15normal_iteratorINS9_10device_ptrItEEEEPS5_jNS1_19radix_merge_compareILb0ELb0EtNS0_19identity_decomposerEEEEE10hipError_tT0_T1_T2_jT3_P12ihipStream_tbPNSt15iterator_traitsISK_E10value_typeEPNSQ_ISL_E10value_typeEPSM_NS1_7vsmem_tEENKUlT_SK_SL_SM_E_clIPtSE_SF_SF_EESJ_SZ_SK_SL_SM_EUlSZ_E0_NS1_11comp_targetILNS1_3genE10ELNS1_11target_archE1201ELNS1_3gpuE5ELNS1_3repE0EEENS1_38merge_mergepath_config_static_selectorELNS0_4arch9wavefront6targetE1EEEvSL_
                                        ; -- End function
	.section	.AMDGPU.csdata,"",@progbits
; Kernel info:
; codeLenInByte = 0
; NumSgprs: 4
; NumVgprs: 0
; NumAgprs: 0
; TotalNumVgprs: 0
; ScratchSize: 0
; MemoryBound: 0
; FloatMode: 240
; IeeeMode: 1
; LDSByteSize: 0 bytes/workgroup (compile time only)
; SGPRBlocks: 0
; VGPRBlocks: 0
; NumSGPRsForWavesPerEU: 4
; NumVGPRsForWavesPerEU: 1
; AccumOffset: 4
; Occupancy: 8
; WaveLimiterHint : 0
; COMPUTE_PGM_RSRC2:SCRATCH_EN: 0
; COMPUTE_PGM_RSRC2:USER_SGPR: 6
; COMPUTE_PGM_RSRC2:TRAP_HANDLER: 0
; COMPUTE_PGM_RSRC2:TGID_X_EN: 1
; COMPUTE_PGM_RSRC2:TGID_Y_EN: 0
; COMPUTE_PGM_RSRC2:TGID_Z_EN: 0
; COMPUTE_PGM_RSRC2:TIDIG_COMP_CNT: 0
; COMPUTE_PGM_RSRC3_GFX90A:ACCUM_OFFSET: 0
; COMPUTE_PGM_RSRC3_GFX90A:TG_SPLIT: 0
	.section	.text._ZN7rocprim17ROCPRIM_400000_NS6detail17trampoline_kernelINS0_14default_configENS1_38merge_sort_block_merge_config_selectorItNS0_10empty_typeEEEZZNS1_27merge_sort_block_merge_implIS3_N6thrust23THRUST_200600_302600_NS6detail15normal_iteratorINS9_10device_ptrItEEEEPS5_jNS1_19radix_merge_compareILb0ELb0EtNS0_19identity_decomposerEEEEE10hipError_tT0_T1_T2_jT3_P12ihipStream_tbPNSt15iterator_traitsISK_E10value_typeEPNSQ_ISL_E10value_typeEPSM_NS1_7vsmem_tEENKUlT_SK_SL_SM_E_clIPtSE_SF_SF_EESJ_SZ_SK_SL_SM_EUlSZ_E0_NS1_11comp_targetILNS1_3genE5ELNS1_11target_archE942ELNS1_3gpuE9ELNS1_3repE0EEENS1_38merge_mergepath_config_static_selectorELNS0_4arch9wavefront6targetE1EEEvSL_,"axG",@progbits,_ZN7rocprim17ROCPRIM_400000_NS6detail17trampoline_kernelINS0_14default_configENS1_38merge_sort_block_merge_config_selectorItNS0_10empty_typeEEEZZNS1_27merge_sort_block_merge_implIS3_N6thrust23THRUST_200600_302600_NS6detail15normal_iteratorINS9_10device_ptrItEEEEPS5_jNS1_19radix_merge_compareILb0ELb0EtNS0_19identity_decomposerEEEEE10hipError_tT0_T1_T2_jT3_P12ihipStream_tbPNSt15iterator_traitsISK_E10value_typeEPNSQ_ISL_E10value_typeEPSM_NS1_7vsmem_tEENKUlT_SK_SL_SM_E_clIPtSE_SF_SF_EESJ_SZ_SK_SL_SM_EUlSZ_E0_NS1_11comp_targetILNS1_3genE5ELNS1_11target_archE942ELNS1_3gpuE9ELNS1_3repE0EEENS1_38merge_mergepath_config_static_selectorELNS0_4arch9wavefront6targetE1EEEvSL_,comdat
	.protected	_ZN7rocprim17ROCPRIM_400000_NS6detail17trampoline_kernelINS0_14default_configENS1_38merge_sort_block_merge_config_selectorItNS0_10empty_typeEEEZZNS1_27merge_sort_block_merge_implIS3_N6thrust23THRUST_200600_302600_NS6detail15normal_iteratorINS9_10device_ptrItEEEEPS5_jNS1_19radix_merge_compareILb0ELb0EtNS0_19identity_decomposerEEEEE10hipError_tT0_T1_T2_jT3_P12ihipStream_tbPNSt15iterator_traitsISK_E10value_typeEPNSQ_ISL_E10value_typeEPSM_NS1_7vsmem_tEENKUlT_SK_SL_SM_E_clIPtSE_SF_SF_EESJ_SZ_SK_SL_SM_EUlSZ_E0_NS1_11comp_targetILNS1_3genE5ELNS1_11target_archE942ELNS1_3gpuE9ELNS1_3repE0EEENS1_38merge_mergepath_config_static_selectorELNS0_4arch9wavefront6targetE1EEEvSL_ ; -- Begin function _ZN7rocprim17ROCPRIM_400000_NS6detail17trampoline_kernelINS0_14default_configENS1_38merge_sort_block_merge_config_selectorItNS0_10empty_typeEEEZZNS1_27merge_sort_block_merge_implIS3_N6thrust23THRUST_200600_302600_NS6detail15normal_iteratorINS9_10device_ptrItEEEEPS5_jNS1_19radix_merge_compareILb0ELb0EtNS0_19identity_decomposerEEEEE10hipError_tT0_T1_T2_jT3_P12ihipStream_tbPNSt15iterator_traitsISK_E10value_typeEPNSQ_ISL_E10value_typeEPSM_NS1_7vsmem_tEENKUlT_SK_SL_SM_E_clIPtSE_SF_SF_EESJ_SZ_SK_SL_SM_EUlSZ_E0_NS1_11comp_targetILNS1_3genE5ELNS1_11target_archE942ELNS1_3gpuE9ELNS1_3repE0EEENS1_38merge_mergepath_config_static_selectorELNS0_4arch9wavefront6targetE1EEEvSL_
	.globl	_ZN7rocprim17ROCPRIM_400000_NS6detail17trampoline_kernelINS0_14default_configENS1_38merge_sort_block_merge_config_selectorItNS0_10empty_typeEEEZZNS1_27merge_sort_block_merge_implIS3_N6thrust23THRUST_200600_302600_NS6detail15normal_iteratorINS9_10device_ptrItEEEEPS5_jNS1_19radix_merge_compareILb0ELb0EtNS0_19identity_decomposerEEEEE10hipError_tT0_T1_T2_jT3_P12ihipStream_tbPNSt15iterator_traitsISK_E10value_typeEPNSQ_ISL_E10value_typeEPSM_NS1_7vsmem_tEENKUlT_SK_SL_SM_E_clIPtSE_SF_SF_EESJ_SZ_SK_SL_SM_EUlSZ_E0_NS1_11comp_targetILNS1_3genE5ELNS1_11target_archE942ELNS1_3gpuE9ELNS1_3repE0EEENS1_38merge_mergepath_config_static_selectorELNS0_4arch9wavefront6targetE1EEEvSL_
	.p2align	8
	.type	_ZN7rocprim17ROCPRIM_400000_NS6detail17trampoline_kernelINS0_14default_configENS1_38merge_sort_block_merge_config_selectorItNS0_10empty_typeEEEZZNS1_27merge_sort_block_merge_implIS3_N6thrust23THRUST_200600_302600_NS6detail15normal_iteratorINS9_10device_ptrItEEEEPS5_jNS1_19radix_merge_compareILb0ELb0EtNS0_19identity_decomposerEEEEE10hipError_tT0_T1_T2_jT3_P12ihipStream_tbPNSt15iterator_traitsISK_E10value_typeEPNSQ_ISL_E10value_typeEPSM_NS1_7vsmem_tEENKUlT_SK_SL_SM_E_clIPtSE_SF_SF_EESJ_SZ_SK_SL_SM_EUlSZ_E0_NS1_11comp_targetILNS1_3genE5ELNS1_11target_archE942ELNS1_3gpuE9ELNS1_3repE0EEENS1_38merge_mergepath_config_static_selectorELNS0_4arch9wavefront6targetE1EEEvSL_,@function
_ZN7rocprim17ROCPRIM_400000_NS6detail17trampoline_kernelINS0_14default_configENS1_38merge_sort_block_merge_config_selectorItNS0_10empty_typeEEEZZNS1_27merge_sort_block_merge_implIS3_N6thrust23THRUST_200600_302600_NS6detail15normal_iteratorINS9_10device_ptrItEEEEPS5_jNS1_19radix_merge_compareILb0ELb0EtNS0_19identity_decomposerEEEEE10hipError_tT0_T1_T2_jT3_P12ihipStream_tbPNSt15iterator_traitsISK_E10value_typeEPNSQ_ISL_E10value_typeEPSM_NS1_7vsmem_tEENKUlT_SK_SL_SM_E_clIPtSE_SF_SF_EESJ_SZ_SK_SL_SM_EUlSZ_E0_NS1_11comp_targetILNS1_3genE5ELNS1_11target_archE942ELNS1_3gpuE9ELNS1_3repE0EEENS1_38merge_mergepath_config_static_selectorELNS0_4arch9wavefront6targetE1EEEvSL_: ; @_ZN7rocprim17ROCPRIM_400000_NS6detail17trampoline_kernelINS0_14default_configENS1_38merge_sort_block_merge_config_selectorItNS0_10empty_typeEEEZZNS1_27merge_sort_block_merge_implIS3_N6thrust23THRUST_200600_302600_NS6detail15normal_iteratorINS9_10device_ptrItEEEEPS5_jNS1_19radix_merge_compareILb0ELb0EtNS0_19identity_decomposerEEEEE10hipError_tT0_T1_T2_jT3_P12ihipStream_tbPNSt15iterator_traitsISK_E10value_typeEPNSQ_ISL_E10value_typeEPSM_NS1_7vsmem_tEENKUlT_SK_SL_SM_E_clIPtSE_SF_SF_EESJ_SZ_SK_SL_SM_EUlSZ_E0_NS1_11comp_targetILNS1_3genE5ELNS1_11target_archE942ELNS1_3gpuE9ELNS1_3repE0EEENS1_38merge_mergepath_config_static_selectorELNS0_4arch9wavefront6targetE1EEEvSL_
; %bb.0:
	.section	.rodata,"a",@progbits
	.p2align	6, 0x0
	.amdhsa_kernel _ZN7rocprim17ROCPRIM_400000_NS6detail17trampoline_kernelINS0_14default_configENS1_38merge_sort_block_merge_config_selectorItNS0_10empty_typeEEEZZNS1_27merge_sort_block_merge_implIS3_N6thrust23THRUST_200600_302600_NS6detail15normal_iteratorINS9_10device_ptrItEEEEPS5_jNS1_19radix_merge_compareILb0ELb0EtNS0_19identity_decomposerEEEEE10hipError_tT0_T1_T2_jT3_P12ihipStream_tbPNSt15iterator_traitsISK_E10value_typeEPNSQ_ISL_E10value_typeEPSM_NS1_7vsmem_tEENKUlT_SK_SL_SM_E_clIPtSE_SF_SF_EESJ_SZ_SK_SL_SM_EUlSZ_E0_NS1_11comp_targetILNS1_3genE5ELNS1_11target_archE942ELNS1_3gpuE9ELNS1_3repE0EEENS1_38merge_mergepath_config_static_selectorELNS0_4arch9wavefront6targetE1EEEvSL_
		.amdhsa_group_segment_fixed_size 0
		.amdhsa_private_segment_fixed_size 0
		.amdhsa_kernarg_size 64
		.amdhsa_user_sgpr_count 6
		.amdhsa_user_sgpr_private_segment_buffer 1
		.amdhsa_user_sgpr_dispatch_ptr 0
		.amdhsa_user_sgpr_queue_ptr 0
		.amdhsa_user_sgpr_kernarg_segment_ptr 1
		.amdhsa_user_sgpr_dispatch_id 0
		.amdhsa_user_sgpr_flat_scratch_init 0
		.amdhsa_user_sgpr_kernarg_preload_length 0
		.amdhsa_user_sgpr_kernarg_preload_offset 0
		.amdhsa_user_sgpr_private_segment_size 0
		.amdhsa_uses_dynamic_stack 0
		.amdhsa_system_sgpr_private_segment_wavefront_offset 0
		.amdhsa_system_sgpr_workgroup_id_x 1
		.amdhsa_system_sgpr_workgroup_id_y 0
		.amdhsa_system_sgpr_workgroup_id_z 0
		.amdhsa_system_sgpr_workgroup_info 0
		.amdhsa_system_vgpr_workitem_id 0
		.amdhsa_next_free_vgpr 1
		.amdhsa_next_free_sgpr 0
		.amdhsa_accum_offset 4
		.amdhsa_reserve_vcc 0
		.amdhsa_reserve_flat_scratch 0
		.amdhsa_float_round_mode_32 0
		.amdhsa_float_round_mode_16_64 0
		.amdhsa_float_denorm_mode_32 3
		.amdhsa_float_denorm_mode_16_64 3
		.amdhsa_dx10_clamp 1
		.amdhsa_ieee_mode 1
		.amdhsa_fp16_overflow 0
		.amdhsa_tg_split 0
		.amdhsa_exception_fp_ieee_invalid_op 0
		.amdhsa_exception_fp_denorm_src 0
		.amdhsa_exception_fp_ieee_div_zero 0
		.amdhsa_exception_fp_ieee_overflow 0
		.amdhsa_exception_fp_ieee_underflow 0
		.amdhsa_exception_fp_ieee_inexact 0
		.amdhsa_exception_int_div_zero 0
	.end_amdhsa_kernel
	.section	.text._ZN7rocprim17ROCPRIM_400000_NS6detail17trampoline_kernelINS0_14default_configENS1_38merge_sort_block_merge_config_selectorItNS0_10empty_typeEEEZZNS1_27merge_sort_block_merge_implIS3_N6thrust23THRUST_200600_302600_NS6detail15normal_iteratorINS9_10device_ptrItEEEEPS5_jNS1_19radix_merge_compareILb0ELb0EtNS0_19identity_decomposerEEEEE10hipError_tT0_T1_T2_jT3_P12ihipStream_tbPNSt15iterator_traitsISK_E10value_typeEPNSQ_ISL_E10value_typeEPSM_NS1_7vsmem_tEENKUlT_SK_SL_SM_E_clIPtSE_SF_SF_EESJ_SZ_SK_SL_SM_EUlSZ_E0_NS1_11comp_targetILNS1_3genE5ELNS1_11target_archE942ELNS1_3gpuE9ELNS1_3repE0EEENS1_38merge_mergepath_config_static_selectorELNS0_4arch9wavefront6targetE1EEEvSL_,"axG",@progbits,_ZN7rocprim17ROCPRIM_400000_NS6detail17trampoline_kernelINS0_14default_configENS1_38merge_sort_block_merge_config_selectorItNS0_10empty_typeEEEZZNS1_27merge_sort_block_merge_implIS3_N6thrust23THRUST_200600_302600_NS6detail15normal_iteratorINS9_10device_ptrItEEEEPS5_jNS1_19radix_merge_compareILb0ELb0EtNS0_19identity_decomposerEEEEE10hipError_tT0_T1_T2_jT3_P12ihipStream_tbPNSt15iterator_traitsISK_E10value_typeEPNSQ_ISL_E10value_typeEPSM_NS1_7vsmem_tEENKUlT_SK_SL_SM_E_clIPtSE_SF_SF_EESJ_SZ_SK_SL_SM_EUlSZ_E0_NS1_11comp_targetILNS1_3genE5ELNS1_11target_archE942ELNS1_3gpuE9ELNS1_3repE0EEENS1_38merge_mergepath_config_static_selectorELNS0_4arch9wavefront6targetE1EEEvSL_,comdat
.Lfunc_end1216:
	.size	_ZN7rocprim17ROCPRIM_400000_NS6detail17trampoline_kernelINS0_14default_configENS1_38merge_sort_block_merge_config_selectorItNS0_10empty_typeEEEZZNS1_27merge_sort_block_merge_implIS3_N6thrust23THRUST_200600_302600_NS6detail15normal_iteratorINS9_10device_ptrItEEEEPS5_jNS1_19radix_merge_compareILb0ELb0EtNS0_19identity_decomposerEEEEE10hipError_tT0_T1_T2_jT3_P12ihipStream_tbPNSt15iterator_traitsISK_E10value_typeEPNSQ_ISL_E10value_typeEPSM_NS1_7vsmem_tEENKUlT_SK_SL_SM_E_clIPtSE_SF_SF_EESJ_SZ_SK_SL_SM_EUlSZ_E0_NS1_11comp_targetILNS1_3genE5ELNS1_11target_archE942ELNS1_3gpuE9ELNS1_3repE0EEENS1_38merge_mergepath_config_static_selectorELNS0_4arch9wavefront6targetE1EEEvSL_, .Lfunc_end1216-_ZN7rocprim17ROCPRIM_400000_NS6detail17trampoline_kernelINS0_14default_configENS1_38merge_sort_block_merge_config_selectorItNS0_10empty_typeEEEZZNS1_27merge_sort_block_merge_implIS3_N6thrust23THRUST_200600_302600_NS6detail15normal_iteratorINS9_10device_ptrItEEEEPS5_jNS1_19radix_merge_compareILb0ELb0EtNS0_19identity_decomposerEEEEE10hipError_tT0_T1_T2_jT3_P12ihipStream_tbPNSt15iterator_traitsISK_E10value_typeEPNSQ_ISL_E10value_typeEPSM_NS1_7vsmem_tEENKUlT_SK_SL_SM_E_clIPtSE_SF_SF_EESJ_SZ_SK_SL_SM_EUlSZ_E0_NS1_11comp_targetILNS1_3genE5ELNS1_11target_archE942ELNS1_3gpuE9ELNS1_3repE0EEENS1_38merge_mergepath_config_static_selectorELNS0_4arch9wavefront6targetE1EEEvSL_
                                        ; -- End function
	.section	.AMDGPU.csdata,"",@progbits
; Kernel info:
; codeLenInByte = 0
; NumSgprs: 4
; NumVgprs: 0
; NumAgprs: 0
; TotalNumVgprs: 0
; ScratchSize: 0
; MemoryBound: 0
; FloatMode: 240
; IeeeMode: 1
; LDSByteSize: 0 bytes/workgroup (compile time only)
; SGPRBlocks: 0
; VGPRBlocks: 0
; NumSGPRsForWavesPerEU: 4
; NumVGPRsForWavesPerEU: 1
; AccumOffset: 4
; Occupancy: 8
; WaveLimiterHint : 0
; COMPUTE_PGM_RSRC2:SCRATCH_EN: 0
; COMPUTE_PGM_RSRC2:USER_SGPR: 6
; COMPUTE_PGM_RSRC2:TRAP_HANDLER: 0
; COMPUTE_PGM_RSRC2:TGID_X_EN: 1
; COMPUTE_PGM_RSRC2:TGID_Y_EN: 0
; COMPUTE_PGM_RSRC2:TGID_Z_EN: 0
; COMPUTE_PGM_RSRC2:TIDIG_COMP_CNT: 0
; COMPUTE_PGM_RSRC3_GFX90A:ACCUM_OFFSET: 0
; COMPUTE_PGM_RSRC3_GFX90A:TG_SPLIT: 0
	.section	.text._ZN7rocprim17ROCPRIM_400000_NS6detail17trampoline_kernelINS0_14default_configENS1_38merge_sort_block_merge_config_selectorItNS0_10empty_typeEEEZZNS1_27merge_sort_block_merge_implIS3_N6thrust23THRUST_200600_302600_NS6detail15normal_iteratorINS9_10device_ptrItEEEEPS5_jNS1_19radix_merge_compareILb0ELb0EtNS0_19identity_decomposerEEEEE10hipError_tT0_T1_T2_jT3_P12ihipStream_tbPNSt15iterator_traitsISK_E10value_typeEPNSQ_ISL_E10value_typeEPSM_NS1_7vsmem_tEENKUlT_SK_SL_SM_E_clIPtSE_SF_SF_EESJ_SZ_SK_SL_SM_EUlSZ_E0_NS1_11comp_targetILNS1_3genE4ELNS1_11target_archE910ELNS1_3gpuE8ELNS1_3repE0EEENS1_38merge_mergepath_config_static_selectorELNS0_4arch9wavefront6targetE1EEEvSL_,"axG",@progbits,_ZN7rocprim17ROCPRIM_400000_NS6detail17trampoline_kernelINS0_14default_configENS1_38merge_sort_block_merge_config_selectorItNS0_10empty_typeEEEZZNS1_27merge_sort_block_merge_implIS3_N6thrust23THRUST_200600_302600_NS6detail15normal_iteratorINS9_10device_ptrItEEEEPS5_jNS1_19radix_merge_compareILb0ELb0EtNS0_19identity_decomposerEEEEE10hipError_tT0_T1_T2_jT3_P12ihipStream_tbPNSt15iterator_traitsISK_E10value_typeEPNSQ_ISL_E10value_typeEPSM_NS1_7vsmem_tEENKUlT_SK_SL_SM_E_clIPtSE_SF_SF_EESJ_SZ_SK_SL_SM_EUlSZ_E0_NS1_11comp_targetILNS1_3genE4ELNS1_11target_archE910ELNS1_3gpuE8ELNS1_3repE0EEENS1_38merge_mergepath_config_static_selectorELNS0_4arch9wavefront6targetE1EEEvSL_,comdat
	.protected	_ZN7rocprim17ROCPRIM_400000_NS6detail17trampoline_kernelINS0_14default_configENS1_38merge_sort_block_merge_config_selectorItNS0_10empty_typeEEEZZNS1_27merge_sort_block_merge_implIS3_N6thrust23THRUST_200600_302600_NS6detail15normal_iteratorINS9_10device_ptrItEEEEPS5_jNS1_19radix_merge_compareILb0ELb0EtNS0_19identity_decomposerEEEEE10hipError_tT0_T1_T2_jT3_P12ihipStream_tbPNSt15iterator_traitsISK_E10value_typeEPNSQ_ISL_E10value_typeEPSM_NS1_7vsmem_tEENKUlT_SK_SL_SM_E_clIPtSE_SF_SF_EESJ_SZ_SK_SL_SM_EUlSZ_E0_NS1_11comp_targetILNS1_3genE4ELNS1_11target_archE910ELNS1_3gpuE8ELNS1_3repE0EEENS1_38merge_mergepath_config_static_selectorELNS0_4arch9wavefront6targetE1EEEvSL_ ; -- Begin function _ZN7rocprim17ROCPRIM_400000_NS6detail17trampoline_kernelINS0_14default_configENS1_38merge_sort_block_merge_config_selectorItNS0_10empty_typeEEEZZNS1_27merge_sort_block_merge_implIS3_N6thrust23THRUST_200600_302600_NS6detail15normal_iteratorINS9_10device_ptrItEEEEPS5_jNS1_19radix_merge_compareILb0ELb0EtNS0_19identity_decomposerEEEEE10hipError_tT0_T1_T2_jT3_P12ihipStream_tbPNSt15iterator_traitsISK_E10value_typeEPNSQ_ISL_E10value_typeEPSM_NS1_7vsmem_tEENKUlT_SK_SL_SM_E_clIPtSE_SF_SF_EESJ_SZ_SK_SL_SM_EUlSZ_E0_NS1_11comp_targetILNS1_3genE4ELNS1_11target_archE910ELNS1_3gpuE8ELNS1_3repE0EEENS1_38merge_mergepath_config_static_selectorELNS0_4arch9wavefront6targetE1EEEvSL_
	.globl	_ZN7rocprim17ROCPRIM_400000_NS6detail17trampoline_kernelINS0_14default_configENS1_38merge_sort_block_merge_config_selectorItNS0_10empty_typeEEEZZNS1_27merge_sort_block_merge_implIS3_N6thrust23THRUST_200600_302600_NS6detail15normal_iteratorINS9_10device_ptrItEEEEPS5_jNS1_19radix_merge_compareILb0ELb0EtNS0_19identity_decomposerEEEEE10hipError_tT0_T1_T2_jT3_P12ihipStream_tbPNSt15iterator_traitsISK_E10value_typeEPNSQ_ISL_E10value_typeEPSM_NS1_7vsmem_tEENKUlT_SK_SL_SM_E_clIPtSE_SF_SF_EESJ_SZ_SK_SL_SM_EUlSZ_E0_NS1_11comp_targetILNS1_3genE4ELNS1_11target_archE910ELNS1_3gpuE8ELNS1_3repE0EEENS1_38merge_mergepath_config_static_selectorELNS0_4arch9wavefront6targetE1EEEvSL_
	.p2align	8
	.type	_ZN7rocprim17ROCPRIM_400000_NS6detail17trampoline_kernelINS0_14default_configENS1_38merge_sort_block_merge_config_selectorItNS0_10empty_typeEEEZZNS1_27merge_sort_block_merge_implIS3_N6thrust23THRUST_200600_302600_NS6detail15normal_iteratorINS9_10device_ptrItEEEEPS5_jNS1_19radix_merge_compareILb0ELb0EtNS0_19identity_decomposerEEEEE10hipError_tT0_T1_T2_jT3_P12ihipStream_tbPNSt15iterator_traitsISK_E10value_typeEPNSQ_ISL_E10value_typeEPSM_NS1_7vsmem_tEENKUlT_SK_SL_SM_E_clIPtSE_SF_SF_EESJ_SZ_SK_SL_SM_EUlSZ_E0_NS1_11comp_targetILNS1_3genE4ELNS1_11target_archE910ELNS1_3gpuE8ELNS1_3repE0EEENS1_38merge_mergepath_config_static_selectorELNS0_4arch9wavefront6targetE1EEEvSL_,@function
_ZN7rocprim17ROCPRIM_400000_NS6detail17trampoline_kernelINS0_14default_configENS1_38merge_sort_block_merge_config_selectorItNS0_10empty_typeEEEZZNS1_27merge_sort_block_merge_implIS3_N6thrust23THRUST_200600_302600_NS6detail15normal_iteratorINS9_10device_ptrItEEEEPS5_jNS1_19radix_merge_compareILb0ELb0EtNS0_19identity_decomposerEEEEE10hipError_tT0_T1_T2_jT3_P12ihipStream_tbPNSt15iterator_traitsISK_E10value_typeEPNSQ_ISL_E10value_typeEPSM_NS1_7vsmem_tEENKUlT_SK_SL_SM_E_clIPtSE_SF_SF_EESJ_SZ_SK_SL_SM_EUlSZ_E0_NS1_11comp_targetILNS1_3genE4ELNS1_11target_archE910ELNS1_3gpuE8ELNS1_3repE0EEENS1_38merge_mergepath_config_static_selectorELNS0_4arch9wavefront6targetE1EEEvSL_: ; @_ZN7rocprim17ROCPRIM_400000_NS6detail17trampoline_kernelINS0_14default_configENS1_38merge_sort_block_merge_config_selectorItNS0_10empty_typeEEEZZNS1_27merge_sort_block_merge_implIS3_N6thrust23THRUST_200600_302600_NS6detail15normal_iteratorINS9_10device_ptrItEEEEPS5_jNS1_19radix_merge_compareILb0ELb0EtNS0_19identity_decomposerEEEEE10hipError_tT0_T1_T2_jT3_P12ihipStream_tbPNSt15iterator_traitsISK_E10value_typeEPNSQ_ISL_E10value_typeEPSM_NS1_7vsmem_tEENKUlT_SK_SL_SM_E_clIPtSE_SF_SF_EESJ_SZ_SK_SL_SM_EUlSZ_E0_NS1_11comp_targetILNS1_3genE4ELNS1_11target_archE910ELNS1_3gpuE8ELNS1_3repE0EEENS1_38merge_mergepath_config_static_selectorELNS0_4arch9wavefront6targetE1EEEvSL_
; %bb.0:
	s_load_dwordx2 s[10:11], s[4:5], 0x40
	s_load_dword s3, s[4:5], 0x30
	s_add_u32 s0, s4, 64
	s_addc_u32 s1, s5, 0
	s_waitcnt lgkmcnt(0)
	s_mul_i32 s2, s11, s8
	s_add_i32 s2, s2, s7
	s_mul_i32 s2, s2, s10
	s_add_i32 s2, s2, s6
	s_cmp_ge_u32 s2, s3
	s_cbranch_scc1 .LBB1217_43
; %bb.1:
	s_load_dwordx2 s[14:15], s[4:5], 0x28
	s_load_dwordx2 s[8:9], s[4:5], 0x38
	;; [unrolled: 1-line block ×3, first 2 shown]
	s_mov_b32 s3, 0
	s_mov_b32 s23, s3
	s_waitcnt lgkmcnt(0)
	s_lshr_b32 s17, s14, 10
	s_cmp_lg_u32 s2, s17
	s_cselect_b64 s[18:19], -1, 0
	s_lshl_b64 s[12:13], s[2:3], 2
	s_add_u32 s8, s8, s12
	s_addc_u32 s9, s9, s13
	s_lshr_b32 s7, s15, 9
	s_and_b32 s7, s7, 0x7ffffe
	s_load_dwordx2 s[8:9], s[8:9], 0x0
	s_sub_i32 s7, 0, s7
	s_and_b32 s11, s2, s7
	s_lshl_b32 s12, s11, 10
	s_lshl_b32 s16, s2, 10
	;; [unrolled: 1-line block ×3, first 2 shown]
	s_sub_i32 s13, s16, s12
	s_add_i32 s11, s11, s15
	s_add_i32 s13, s11, s13
	s_waitcnt lgkmcnt(0)
	s_sub_i32 s22, s13, s8
	s_sub_i32 s13, s13, s9
	;; [unrolled: 1-line block ×3, first 2 shown]
	s_min_u32 s22, s14, s22
	s_addk_i32 s13, 0x400
	s_or_b32 s7, s2, s7
	s_min_u32 s12, s14, s11
	s_add_i32 s11, s11, s15
	s_cmp_eq_u32 s7, -1
	s_cselect_b32 s7, s11, s13
	s_cselect_b32 s9, s12, s9
	s_min_u32 s7, s7, s14
	s_sub_i32 s15, s9, s8
	s_mov_b32 s9, s3
	s_sub_i32 s7, s7, s22
	s_lshl_b64 s[8:9], s[8:9], 1
	s_add_u32 s11, s20, s8
	s_addc_u32 s12, s21, s9
	s_lshl_b64 s[8:9], s[22:23], 1
	s_add_u32 s8, s20, s8
	s_addc_u32 s9, s21, s9
	s_cmp_lt_u32 s6, s10
	v_mov_b32_e32 v3, 0
	s_cselect_b32 s3, 12, 18
	global_load_dword v1, v3, s[0:1] offset:14
	s_add_u32 s0, s0, s3
	s_addc_u32 s1, s1, 0
	global_load_ushort v2, v3, s[0:1]
	s_cmp_eq_u32 s2, s17
	s_waitcnt vmcnt(1)
	v_lshrrev_b32_e32 v4, 16, v1
	v_and_b32_e32 v1, 0xffff, v1
	v_mul_lo_u32 v1, v1, v4
	s_waitcnt vmcnt(0)
	v_mul_lo_u32 v10, v1, v2
	v_add_u32_e32 v8, v10, v0
	v_lshlrev_b32_e32 v1, 1, v0
	v_add_u32_e32 v6, v8, v10
	s_cbranch_scc1 .LBB1217_3
; %bb.2:
	v_mov_b32_e32 v2, s12
	v_add_co_u32_e32 v7, vcc, s11, v1
	v_addc_co_u32_e32 v9, vcc, 0, v2, vcc
	v_subrev_u32_e32 v2, s15, v0
	v_lshlrev_b64 v[4:5], 1, v[2:3]
	v_mov_b32_e32 v2, s9
	v_add_co_u32_e32 v4, vcc, s8, v4
	v_addc_co_u32_e32 v2, vcc, v2, v5, vcc
	v_cmp_gt_u32_e32 vcc, s15, v0
	v_cndmask_b32_e32 v5, v2, v9, vcc
	v_cndmask_b32_e32 v4, v4, v7, vcc
	v_mov_b32_e32 v9, v3
	global_load_ushort v11, v[4:5], off
	v_lshlrev_b64 v[4:5], 1, v[8:9]
	v_mov_b32_e32 v2, s12
	v_add_co_u32_e32 v7, vcc, s11, v4
	v_addc_co_u32_e32 v9, vcc, v2, v5, vcc
	v_subrev_u32_e32 v2, s15, v8
	v_lshlrev_b64 v[4:5], 1, v[2:3]
	v_mov_b32_e32 v2, s9
	v_add_co_u32_e32 v4, vcc, s8, v4
	v_addc_co_u32_e32 v2, vcc, v2, v5, vcc
	v_cmp_gt_u32_e32 vcc, s15, v8
	v_cndmask_b32_e32 v5, v2, v9, vcc
	v_cndmask_b32_e32 v4, v4, v7, vcc
	v_mov_b32_e32 v7, v3
	global_load_ushort v9, v[4:5], off
	v_lshlrev_b64 v[4:5], 1, v[6:7]
	v_mov_b32_e32 v2, s12
	v_add_co_u32_e32 v7, vcc, s11, v4
	v_addc_co_u32_e32 v12, vcc, v2, v5, vcc
	v_subrev_u32_e32 v2, s15, v6
	v_lshlrev_b64 v[4:5], 1, v[2:3]
	v_mov_b32_e32 v2, s9
	v_add_co_u32_e32 v4, vcc, s8, v4
	v_addc_co_u32_e32 v2, vcc, v2, v5, vcc
	v_cmp_gt_u32_e32 vcc, s15, v6
	v_cndmask_b32_e32 v5, v2, v12, vcc
	v_cndmask_b32_e32 v4, v4, v7, vcc
	v_add_u32_e32 v2, v6, v10
	global_load_ushort v7, v[4:5], off
	v_lshlrev_b64 v[4:5], 1, v[2:3]
	v_mov_b32_e32 v12, s12
	v_add_co_u32_e32 v13, vcc, s11, v4
	v_addc_co_u32_e32 v12, vcc, v12, v5, vcc
	v_subrev_u32_e32 v4, s15, v2
	v_mov_b32_e32 v5, v3
	v_lshlrev_b64 v[4:5], 1, v[4:5]
	v_mov_b32_e32 v14, s9
	v_add_co_u32_e32 v4, vcc, s8, v4
	v_addc_co_u32_e32 v5, vcc, v14, v5, vcc
	v_cmp_gt_u32_e32 vcc, s15, v2
	v_cndmask_b32_e32 v5, v5, v12, vcc
	v_cndmask_b32_e32 v4, v4, v13, vcc
	v_add_u32_e32 v2, v2, v10
	global_load_ushort v12, v[4:5], off
	v_lshlrev_b64 v[4:5], 1, v[2:3]
	v_mov_b32_e32 v13, s12
	v_add_co_u32_e32 v14, vcc, s11, v4
	v_addc_co_u32_e32 v13, vcc, v13, v5, vcc
	v_subrev_u32_e32 v4, s15, v2
	v_mov_b32_e32 v5, v3
	;; [unrolled: 15-line block ×4, first 2 shown]
	v_lshlrev_b64 v[4:5], 1, v[4:5]
	v_mov_b32_e32 v17, s9
	v_add_co_u32_e32 v4, vcc, s8, v4
	v_addc_co_u32_e32 v5, vcc, v17, v5, vcc
	v_cmp_gt_u32_e32 vcc, s15, v2
	v_cndmask_b32_e32 v5, v5, v15, vcc
	v_cndmask_b32_e32 v4, v4, v16, vcc
	v_add_u32_e32 v2, v2, v10
	global_load_ushort v15, v[4:5], off
	v_lshlrev_b64 v[4:5], 1, v[2:3]
	v_mov_b32_e32 v16, s12
	v_add_co_u32_e32 v4, vcc, s11, v4
	v_addc_co_u32_e32 v5, vcc, v16, v5, vcc
	v_cmp_gt_u32_e32 vcc, s15, v2
	v_subrev_u32_e32 v2, s15, v2
	v_lshlrev_b64 v[2:3], 1, v[2:3]
	v_mov_b32_e32 v16, s9
	v_add_co_u32_e64 v2, s[0:1], s8, v2
	v_addc_co_u32_e64 v3, s[0:1], v16, v3, s[0:1]
	v_cndmask_b32_e32 v3, v3, v5, vcc
	v_cndmask_b32_e32 v2, v2, v4, vcc
	global_load_ushort v5, v[2:3], off
	s_mov_b32 s0, 0x5040100
	s_waitcnt vmcnt(6)
	v_perm_b32 v2, v9, v11, s0
	s_add_i32 s17, s7, s15
	s_waitcnt vmcnt(4)
	v_perm_b32 v3, v12, v7, s0
	s_waitcnt vmcnt(2)
	v_perm_b32 v4, v14, v13, s0
	;; [unrolled: 2-line block ×3, first 2 shown]
	s_load_dwordx2 s[20:21], s[4:5], 0x10
	s_cbranch_execz .LBB1217_4
	s_branch .LBB1217_19
.LBB1217_3:
                                        ; implicit-def: $vgpr2_vgpr3_vgpr4_vgpr5
                                        ; implicit-def: $sgpr17
	s_load_dwordx2 s[20:21], s[4:5], 0x10
.LBB1217_4:
	s_add_i32 s17, s7, s15
	v_cmp_gt_u32_e32 vcc, s17, v0
                                        ; implicit-def: $vgpr2_vgpr3_vgpr4_vgpr5
	s_and_saveexec_b64 s[0:1], vcc
	s_cbranch_execnz .LBB1217_44
; %bb.5:
	s_or_b64 exec, exec, s[0:1]
	v_cmp_gt_u32_e32 vcc, s17, v8
	s_and_saveexec_b64 s[2:3], vcc
	s_cbranch_execnz .LBB1217_45
.LBB1217_6:
	s_or_b64 exec, exec, s[2:3]
	v_cmp_gt_u32_e32 vcc, s17, v6
	s_and_saveexec_b64 s[0:1], vcc
	s_cbranch_execz .LBB1217_8
.LBB1217_7:
	v_mov_b32_e32 v7, 0
	v_lshlrev_b64 v[8:9], 1, v[6:7]
	v_mov_b32_e32 v11, s12
	v_add_co_u32_e32 v12, vcc, s11, v8
	v_addc_co_u32_e32 v11, vcc, v11, v9, vcc
	v_subrev_u32_e32 v8, s15, v6
	v_mov_b32_e32 v9, v7
	v_lshlrev_b64 v[8:9], 1, v[8:9]
	v_mov_b32_e32 v7, s9
	v_add_co_u32_e32 v8, vcc, s8, v8
	v_addc_co_u32_e32 v7, vcc, v7, v9, vcc
	v_cmp_gt_u32_e32 vcc, s15, v6
	v_cndmask_b32_e32 v9, v7, v11, vcc
	v_cndmask_b32_e32 v8, v8, v12, vcc
	global_load_ushort v7, v[8:9], off
	s_mov_b32 s2, 0xffff
	s_waitcnt vmcnt(0)
	v_bfi_b32 v3, s2, v7, v3
.LBB1217_8:
	s_or_b64 exec, exec, s[0:1]
	v_add_u32_e32 v6, v6, v10
	v_cmp_gt_u32_e32 vcc, s17, v6
	s_and_saveexec_b64 s[0:1], vcc
	s_cbranch_execz .LBB1217_10
; %bb.9:
	v_mov_b32_e32 v7, 0
	v_lshlrev_b64 v[8:9], 1, v[6:7]
	v_mov_b32_e32 v11, s12
	v_add_co_u32_e32 v12, vcc, s11, v8
	v_addc_co_u32_e32 v11, vcc, v11, v9, vcc
	v_subrev_u32_e32 v8, s15, v6
	v_mov_b32_e32 v9, v7
	v_lshlrev_b64 v[8:9], 1, v[8:9]
	v_mov_b32_e32 v7, s9
	v_add_co_u32_e32 v8, vcc, s8, v8
	v_addc_co_u32_e32 v7, vcc, v7, v9, vcc
	v_cmp_gt_u32_e32 vcc, s15, v6
	v_cndmask_b32_e32 v9, v7, v11, vcc
	v_cndmask_b32_e32 v8, v8, v12, vcc
	global_load_ushort v7, v[8:9], off
	s_mov_b32 s2, 0x5040100
	s_waitcnt vmcnt(0)
	v_perm_b32 v3, v7, v3, s2
.LBB1217_10:
	s_or_b64 exec, exec, s[0:1]
	v_add_u32_e32 v6, v6, v10
	v_cmp_gt_u32_e32 vcc, s17, v6
	s_and_saveexec_b64 s[0:1], vcc
	s_cbranch_execz .LBB1217_12
; %bb.11:
	v_mov_b32_e32 v7, 0
	v_lshlrev_b64 v[8:9], 1, v[6:7]
	v_mov_b32_e32 v11, s12
	v_add_co_u32_e32 v12, vcc, s11, v8
	v_addc_co_u32_e32 v11, vcc, v11, v9, vcc
	v_subrev_u32_e32 v8, s15, v6
	v_mov_b32_e32 v9, v7
	v_lshlrev_b64 v[8:9], 1, v[8:9]
	v_mov_b32_e32 v7, s9
	v_add_co_u32_e32 v8, vcc, s8, v8
	v_addc_co_u32_e32 v7, vcc, v7, v9, vcc
	v_cmp_gt_u32_e32 vcc, s15, v6
	v_cndmask_b32_e32 v9, v7, v11, vcc
	v_cndmask_b32_e32 v8, v8, v12, vcc
	global_load_ushort v7, v[8:9], off
	s_mov_b32 s2, 0xffff
	s_waitcnt vmcnt(0)
	v_bfi_b32 v4, s2, v7, v4
.LBB1217_12:
	s_or_b64 exec, exec, s[0:1]
	v_add_u32_e32 v6, v6, v10
	v_cmp_gt_u32_e32 vcc, s17, v6
	s_and_saveexec_b64 s[0:1], vcc
	s_cbranch_execz .LBB1217_14
; %bb.13:
	v_mov_b32_e32 v7, 0
	v_lshlrev_b64 v[8:9], 1, v[6:7]
	v_mov_b32_e32 v11, s12
	v_add_co_u32_e32 v12, vcc, s11, v8
	v_addc_co_u32_e32 v11, vcc, v11, v9, vcc
	v_subrev_u32_e32 v8, s15, v6
	v_mov_b32_e32 v9, v7
	v_lshlrev_b64 v[8:9], 1, v[8:9]
	v_mov_b32_e32 v7, s9
	v_add_co_u32_e32 v8, vcc, s8, v8
	v_addc_co_u32_e32 v7, vcc, v7, v9, vcc
	v_cmp_gt_u32_e32 vcc, s15, v6
	v_cndmask_b32_e32 v9, v7, v11, vcc
	v_cndmask_b32_e32 v8, v8, v12, vcc
	global_load_ushort v7, v[8:9], off
	s_mov_b32 s2, 0x5040100
	s_waitcnt vmcnt(0)
	v_perm_b32 v4, v7, v4, s2
.LBB1217_14:
	s_or_b64 exec, exec, s[0:1]
	v_add_u32_e32 v6, v6, v10
	v_cmp_gt_u32_e32 vcc, s17, v6
	s_and_saveexec_b64 s[0:1], vcc
	s_cbranch_execz .LBB1217_16
; %bb.15:
	v_mov_b32_e32 v7, 0
	v_lshlrev_b64 v[8:9], 1, v[6:7]
	v_mov_b32_e32 v11, s12
	v_add_co_u32_e32 v12, vcc, s11, v8
	v_addc_co_u32_e32 v11, vcc, v11, v9, vcc
	v_subrev_u32_e32 v8, s15, v6
	v_mov_b32_e32 v9, v7
	v_lshlrev_b64 v[8:9], 1, v[8:9]
	v_mov_b32_e32 v7, s9
	v_add_co_u32_e32 v8, vcc, s8, v8
	v_addc_co_u32_e32 v7, vcc, v7, v9, vcc
	v_cmp_gt_u32_e32 vcc, s15, v6
	v_cndmask_b32_e32 v9, v7, v11, vcc
	v_cndmask_b32_e32 v8, v8, v12, vcc
	global_load_ushort v7, v[8:9], off
	s_mov_b32 s2, 0xffff
	s_waitcnt vmcnt(0)
	v_bfi_b32 v5, s2, v7, v5
.LBB1217_16:
	s_or_b64 exec, exec, s[0:1]
	v_add_u32_e32 v6, v6, v10
	v_cmp_gt_u32_e32 vcc, s17, v6
	s_and_saveexec_b64 s[2:3], vcc
	s_cbranch_execz .LBB1217_18
; %bb.17:
	v_mov_b32_e32 v7, 0
	v_lshlrev_b64 v[8:9], 1, v[6:7]
	v_mov_b32_e32 v10, s12
	v_add_co_u32_e32 v8, vcc, s11, v8
	v_addc_co_u32_e32 v9, vcc, v10, v9, vcc
	v_cmp_gt_u32_e32 vcc, s15, v6
	v_subrev_u32_e32 v6, s15, v6
	v_lshlrev_b64 v[6:7], 1, v[6:7]
	v_mov_b32_e32 v10, s9
	v_add_co_u32_e64 v6, s[0:1], s8, v6
	v_addc_co_u32_e64 v7, s[0:1], v10, v7, s[0:1]
	v_cndmask_b32_e32 v7, v7, v9, vcc
	v_cndmask_b32_e32 v6, v6, v8, vcc
	global_load_ushort v6, v[6:7], off
	s_mov_b32 s0, 0x5040100
	s_waitcnt vmcnt(0)
	v_perm_b32 v5, v6, v5, s0
.LBB1217_18:
	s_or_b64 exec, exec, s[2:3]
.LBB1217_19:
	v_lshlrev_b32_e32 v6, 3, v0
	v_min_u32_e32 v12, s17, v6
	v_sub_u32_e64 v11, v12, s7 clamp
	v_min_u32_e32 v13, s15, v12
	s_waitcnt vmcnt(0)
	v_lshrrev_b32_e32 v7, 16, v2
	v_lshrrev_b32_e32 v8, 16, v3
	;; [unrolled: 1-line block ×4, first 2 shown]
	v_cmp_lt_u32_e32 vcc, v11, v13
	ds_write_b16 v1, v2
	ds_write_b16 v1, v7 offset:256
	ds_write_b16 v1, v3 offset:512
	;; [unrolled: 1-line block ×7, first 2 shown]
	s_waitcnt lgkmcnt(0)
	s_barrier
	s_and_saveexec_b64 s[0:1], vcc
	s_cbranch_execz .LBB1217_23
; %bb.20:
	v_lshlrev_b32_e32 v14, 1, v12
	v_lshl_add_u32 v14, s15, 1, v14
	s_mov_b64 s[2:3], 0
.LBB1217_21:                            ; =>This Inner Loop Header: Depth=1
	v_add_u32_e32 v15, v13, v11
	v_lshrrev_b32_e32 v16, 1, v15
	v_not_b32_e32 v17, v16
	v_and_b32_e32 v15, -2, v15
	v_lshl_add_u32 v17, v17, 1, v14
	ds_read_u16 v15, v15
	ds_read_u16 v17, v17
	v_add_u32_e32 v18, 1, v16
	s_waitcnt lgkmcnt(0)
	v_cmp_gt_u16_e32 vcc, v15, v17
	v_cndmask_b32_e32 v13, v13, v16, vcc
	v_cndmask_b32_e32 v11, v18, v11, vcc
	v_cmp_ge_u32_e32 vcc, v11, v13
	s_or_b64 s[2:3], vcc, s[2:3]
	s_andn2_b64 exec, exec, s[2:3]
	s_cbranch_execnz .LBB1217_21
; %bb.22:
	s_or_b64 exec, exec, s[2:3]
.LBB1217_23:
	s_or_b64 exec, exec, s[0:1]
	v_sub_u32_e32 v12, v12, v11
	v_add_u32_e32 v12, s15, v12
	v_cmp_ge_u32_e32 vcc, s15, v11
	v_cmp_ge_u32_e64 s[0:1], s17, v12
	s_or_b64 s[0:1], vcc, s[0:1]
	s_and_saveexec_b64 s[22:23], s[0:1]
	s_cbranch_execz .LBB1217_29
; %bb.24:
	v_cmp_gt_u32_e32 vcc, s15, v11
                                        ; implicit-def: $vgpr2
	s_and_saveexec_b64 s[0:1], vcc
	s_cbranch_execz .LBB1217_26
; %bb.25:
	v_lshlrev_b32_e32 v2, 1, v11
	ds_read_u16 v2, v2
.LBB1217_26:
	s_or_b64 exec, exec, s[0:1]
	v_cmp_le_u32_e64 s[0:1], s17, v12
	v_cmp_gt_u32_e64 s[2:3], s17, v12
                                        ; implicit-def: $vgpr3
	s_and_saveexec_b64 s[4:5], s[2:3]
	s_cbranch_execz .LBB1217_28
; %bb.27:
	v_lshlrev_b32_e32 v3, 1, v12
	ds_read_u16 v3, v3
.LBB1217_28:
	s_or_b64 exec, exec, s[4:5]
	s_waitcnt lgkmcnt(0)
	v_cmp_le_u16_e64 s[2:3], v2, v3
	s_and_b64 s[2:3], vcc, s[2:3]
	s_or_b64 vcc, s[0:1], s[2:3]
	v_mov_b32_e32 v5, s17
	v_mov_b32_e32 v8, s15
	v_cndmask_b32_e32 v4, v12, v11, vcc
	v_cndmask_b32_e32 v7, v5, v8, vcc
	v_add_u32_e32 v4, 1, v4
	v_add_u32_e32 v7, -1, v7
	v_min_u32_e32 v7, v4, v7
	v_lshlrev_b32_e32 v7, 1, v7
	ds_read_u16 v7, v7
	v_cndmask_b32_e32 v10, v4, v12, vcc
	v_cndmask_b32_e32 v4, v11, v4, vcc
	v_cmp_gt_u32_e64 s[2:3], s15, v4
	v_cmp_le_u32_e64 s[0:1], s17, v10
	s_waitcnt lgkmcnt(0)
	v_cndmask_b32_e32 v9, v7, v3, vcc
	v_cndmask_b32_e32 v7, v2, v7, vcc
	v_cmp_le_u16_e64 s[4:5], v7, v9
	s_and_b64 s[2:3], s[2:3], s[4:5]
	s_or_b64 s[0:1], s[0:1], s[2:3]
	v_cndmask_b32_e64 v11, v10, v4, s[0:1]
	v_cndmask_b32_e64 v12, v5, v8, s[0:1]
	v_add_u32_e32 v11, 1, v11
	v_add_u32_e32 v12, -1, v12
	v_min_u32_e32 v12, v11, v12
	v_lshlrev_b32_e32 v12, 1, v12
	ds_read_u16 v12, v12
	v_cndmask_b32_e64 v4, v4, v11, s[0:1]
	v_cndmask_b32_e64 v10, v11, v10, s[0:1]
	v_cmp_gt_u32_e64 s[4:5], s15, v4
	v_cmp_le_u32_e64 s[2:3], s17, v10
	s_waitcnt lgkmcnt(0)
	v_cndmask_b32_e64 v13, v12, v9, s[0:1]
	v_cndmask_b32_e64 v12, v7, v12, s[0:1]
	v_cmp_le_u16_e64 s[6:7], v12, v13
	s_and_b64 s[4:5], s[4:5], s[6:7]
	s_or_b64 s[2:3], s[2:3], s[4:5]
	v_cndmask_b32_e64 v11, v10, v4, s[2:3]
	v_cndmask_b32_e64 v14, v5, v8, s[2:3]
	v_add_u32_e32 v11, 1, v11
	v_add_u32_e32 v14, -1, v14
	v_min_u32_e32 v14, v11, v14
	v_lshlrev_b32_e32 v14, 1, v14
	ds_read_u16 v14, v14
	v_cndmask_b32_e64 v4, v4, v11, s[2:3]
	v_cndmask_b32_e64 v10, v11, v10, s[2:3]
	v_cmp_gt_u32_e64 s[6:7], s15, v4
	v_cmp_le_u32_e64 s[4:5], s17, v10
	s_waitcnt lgkmcnt(0)
	v_cndmask_b32_e64 v15, v14, v13, s[2:3]
	v_cndmask_b32_e64 v14, v12, v14, s[2:3]
	;; [unrolled: 17-line block ×4, first 2 shown]
	v_cmp_le_u16_e64 s[12:13], v18, v19
	s_and_b64 s[10:11], s[10:11], s[12:13]
	s_or_b64 s[8:9], s[8:9], s[10:11]
	v_cndmask_b32_e64 v11, v10, v4, s[8:9]
	v_cndmask_b32_e64 v20, v5, v8, s[8:9]
	v_add_u32_e32 v11, 1, v11
	v_add_u32_e32 v20, -1, v20
	v_min_u32_e32 v20, v11, v20
	v_lshlrev_b32_e32 v20, 1, v20
	ds_read_u16 v20, v20
	v_cndmask_b32_e32 v2, v3, v2, vcc
	v_cndmask_b32_e64 v3, v13, v12, s[2:3]
	v_cndmask_b32_e64 v10, v11, v10, s[8:9]
	;; [unrolled: 1-line block ×3, first 2 shown]
	s_waitcnt lgkmcnt(0)
	v_cndmask_b32_e64 v12, v20, v19, s[8:9]
	v_cndmask_b32_e64 v13, v18, v20, s[8:9]
	;; [unrolled: 1-line block ×3, first 2 shown]
	v_cmp_gt_u32_e64 s[0:1], s15, v11
	v_cmp_le_u16_e64 s[2:3], v13, v12
	v_cmp_le_u32_e32 vcc, s17, v10
	s_and_b64 s[0:1], s[0:1], s[2:3]
	s_or_b64 vcc, vcc, s[0:1]
	v_cndmask_b32_e32 v4, v10, v11, vcc
	v_cndmask_b32_e32 v5, v5, v8, vcc
	v_add_u32_e32 v20, 1, v4
	v_add_u32_e32 v4, -1, v5
	v_min_u32_e32 v4, v20, v4
	v_lshlrev_b32_e32 v4, 1, v4
	ds_read_u16 v21, v4
	v_cndmask_b32_e32 v5, v12, v13, vcc
	v_cndmask_b32_e32 v11, v11, v20, vcc
	;; [unrolled: 1-line block ×3, first 2 shown]
	v_cmp_gt_u32_e64 s[0:1], s15, v11
	s_waitcnt lgkmcnt(0)
	v_cndmask_b32_e32 v12, v21, v12, vcc
	v_cndmask_b32_e32 v13, v13, v21, vcc
	v_cmp_le_u16_e64 s[2:3], v13, v12
	v_cmp_le_u32_e32 vcc, s17, v10
	s_and_b64 s[0:1], s[0:1], s[2:3]
	s_or_b64 vcc, vcc, s[0:1]
	v_cndmask_b32_e64 v8, v15, v14, s[4:5]
	v_cndmask_b32_e64 v4, v17, v16, s[6:7]
	;; [unrolled: 1-line block ×3, first 2 shown]
	v_cndmask_b32_e32 v10, v12, v13, vcc
.LBB1217_29:
	s_or_b64 exec, exec, s[22:23]
	s_mov_b32 s17, 0
	s_lshl_b64 s[0:1], s[16:17], 1
	v_lshrrev_b32_e32 v11, 2, v0
	s_add_u32 s2, s20, s0
	v_and_b32_e32 v11, 30, v11
	s_mov_b32 s0, 0x5040100
	v_add_lshl_u32 v6, v11, v6, 1
	v_perm_b32 v3, v8, v3, s0
	v_perm_b32 v2, v7, v2, s0
	s_barrier
	s_barrier
	ds_write2_b32 v6, v2, v3 offset1:1
	v_perm_b32 v2, v10, v5, s0
	v_perm_b32 v3, v9, v4, s0
	ds_write2_b32 v6, v3, v2 offset0:2 offset1:3
	v_lshrrev_b32_e32 v2, 4, v0
	v_and_b32_e32 v2, 4, v2
	v_or_b32_e32 v10, 0x80, v0
	v_add_u32_e32 v11, v1, v2
	v_lshrrev_b32_e32 v2, 4, v10
	v_and_b32_e32 v2, 12, v2
	v_or_b32_e32 v9, 0x100, v0
	v_add_u32_e32 v12, v1, v2
	;; [unrolled: 4-line block ×7, first 2 shown]
	v_lshrrev_b32_e32 v2, 4, v4
	s_addc_u32 s1, s21, s1
	v_and_b32_e32 v2, 60, v2
	v_add_u32_e32 v18, v1, v2
	v_mov_b32_e32 v3, s1
	v_add_co_u32_e32 v2, vcc, s2, v1
	v_addc_co_u32_e32 v3, vcc, 0, v3, vcc
	s_and_b64 vcc, exec, s[18:19]
	s_waitcnt lgkmcnt(0)
	s_cbranch_vccz .LBB1217_31
; %bb.30:
	s_barrier
	ds_read_u16 v1, v11
	ds_read_u16 v19, v12 offset:256
	ds_read_u16 v20, v13 offset:512
	;; [unrolled: 1-line block ×7, first 2 shown]
	s_waitcnt lgkmcnt(7)
	global_store_short v[2:3], v1, off
	s_waitcnt lgkmcnt(6)
	global_store_short v[2:3], v19, off offset:256
	s_waitcnt lgkmcnt(5)
	global_store_short v[2:3], v20, off offset:512
	;; [unrolled: 2-line block ×6, first 2 shown]
	s_waitcnt lgkmcnt(0)
	v_perm_b32 v1, v25, v24, s0
	s_mov_b64 s[0:1], -1
	s_cbranch_execz .LBB1217_32
	s_branch .LBB1217_41
.LBB1217_31:
	s_mov_b64 s[0:1], 0
                                        ; implicit-def: $vgpr1
.LBB1217_32:
	s_barrier
	ds_read_u16 v21, v11
	ds_read_u16 v20, v12 offset:256
	ds_read_u16 v19, v13 offset:512
	;; [unrolled: 1-line block ×7, first 2 shown]
	s_sub_i32 s2, s14, s16
	v_cmp_gt_u32_e32 vcc, s2, v0
	s_and_saveexec_b64 s[0:1], vcc
	s_cbranch_execnz .LBB1217_46
; %bb.33:
	s_or_b64 exec, exec, s[0:1]
	v_cmp_gt_u32_e32 vcc, s2, v10
	s_and_saveexec_b64 s[0:1], vcc
	s_cbranch_execnz .LBB1217_47
.LBB1217_34:
	s_or_b64 exec, exec, s[0:1]
	v_cmp_gt_u32_e32 vcc, s2, v9
	s_and_saveexec_b64 s[0:1], vcc
	s_cbranch_execnz .LBB1217_48
.LBB1217_35:
	s_or_b64 exec, exec, s[0:1]
	v_cmp_gt_u32_e32 vcc, s2, v8
	s_and_saveexec_b64 s[0:1], vcc
	s_cbranch_execnz .LBB1217_49
.LBB1217_36:
	s_or_b64 exec, exec, s[0:1]
	v_cmp_gt_u32_e32 vcc, s2, v7
	s_and_saveexec_b64 s[0:1], vcc
	s_cbranch_execnz .LBB1217_50
.LBB1217_37:
	s_or_b64 exec, exec, s[0:1]
	v_cmp_gt_u32_e32 vcc, s2, v6
	s_and_saveexec_b64 s[0:1], vcc
	s_cbranch_execnz .LBB1217_51
.LBB1217_38:
	s_or_b64 exec, exec, s[0:1]
	v_cmp_gt_u32_e32 vcc, s2, v5
	s_and_saveexec_b64 s[0:1], vcc
	s_cbranch_execz .LBB1217_40
.LBB1217_39:
	s_waitcnt lgkmcnt(1)
	global_store_short v[2:3], v1, off offset:1536
.LBB1217_40:
	s_or_b64 exec, exec, s[0:1]
	v_cmp_gt_u32_e64 s[0:1], s2, v4
	s_mov_b32 s2, 0x5040100
	s_waitcnt lgkmcnt(0)
	v_perm_b32 v1, v11, v1, s2
.LBB1217_41:
	s_and_saveexec_b64 s[2:3], s[0:1]
	s_cbranch_execz .LBB1217_43
; %bb.42:
	global_store_short_d16_hi v[2:3], v1, off offset:1792
.LBB1217_43:
	s_endpgm
.LBB1217_44:
	v_mov_b32_e32 v2, s12
	v_add_co_u32_e32 v4, vcc, s11, v1
	v_mov_b32_e32 v3, 0
	v_addc_co_u32_e32 v5, vcc, 0, v2, vcc
	v_subrev_u32_e32 v2, s15, v0
	v_lshlrev_b64 v[2:3], 1, v[2:3]
	v_mov_b32_e32 v7, s9
	v_add_co_u32_e32 v2, vcc, s8, v2
	v_addc_co_u32_e32 v3, vcc, v7, v3, vcc
	v_cmp_gt_u32_e32 vcc, s15, v0
	v_cndmask_b32_e32 v3, v3, v5, vcc
	v_cndmask_b32_e32 v2, v2, v4, vcc
	global_load_ushort v2, v[2:3], off
	s_or_b64 exec, exec, s[0:1]
	v_cmp_gt_u32_e32 vcc, s17, v8
	s_and_saveexec_b64 s[2:3], vcc
	s_cbranch_execz .LBB1217_6
.LBB1217_45:
	v_mov_b32_e32 v9, 0
	v_lshlrev_b64 v[12:13], 1, v[8:9]
	v_mov_b32_e32 v7, s12
	v_add_co_u32_e32 v11, vcc, s11, v12
	v_addc_co_u32_e32 v7, vcc, v7, v13, vcc
	v_cmp_gt_u32_e32 vcc, s15, v8
	v_subrev_u32_e32 v8, s15, v8
	v_lshlrev_b64 v[8:9], 1, v[8:9]
	v_mov_b32_e32 v12, s9
	v_add_co_u32_e64 v8, s[0:1], s8, v8
	v_addc_co_u32_e64 v9, s[0:1], v12, v9, s[0:1]
	v_cndmask_b32_e32 v9, v9, v7, vcc
	v_cndmask_b32_e32 v8, v8, v11, vcc
	global_load_ushort v7, v[8:9], off
	s_mov_b32 s0, 0x5040100
	s_waitcnt vmcnt(0)
	v_perm_b32 v2, v7, v2, s0
	s_or_b64 exec, exec, s[2:3]
	v_cmp_gt_u32_e32 vcc, s17, v6
	s_and_saveexec_b64 s[0:1], vcc
	s_cbranch_execnz .LBB1217_7
	s_branch .LBB1217_8
.LBB1217_46:
	s_waitcnt lgkmcnt(7)
	global_store_short v[2:3], v21, off
	s_or_b64 exec, exec, s[0:1]
	v_cmp_gt_u32_e32 vcc, s2, v10
	s_and_saveexec_b64 s[0:1], vcc
	s_cbranch_execz .LBB1217_34
.LBB1217_47:
	s_waitcnt lgkmcnt(6)
	global_store_short v[2:3], v20, off offset:256
	s_or_b64 exec, exec, s[0:1]
	v_cmp_gt_u32_e32 vcc, s2, v9
	s_and_saveexec_b64 s[0:1], vcc
	s_cbranch_execz .LBB1217_35
.LBB1217_48:
	s_waitcnt lgkmcnt(5)
	global_store_short v[2:3], v19, off offset:512
	s_or_b64 exec, exec, s[0:1]
	v_cmp_gt_u32_e32 vcc, s2, v8
	s_and_saveexec_b64 s[0:1], vcc
	s_cbranch_execz .LBB1217_36
.LBB1217_49:
	s_waitcnt lgkmcnt(4)
	global_store_short v[2:3], v14, off offset:768
	s_or_b64 exec, exec, s[0:1]
	v_cmp_gt_u32_e32 vcc, s2, v7
	s_and_saveexec_b64 s[0:1], vcc
	s_cbranch_execz .LBB1217_37
.LBB1217_50:
	s_waitcnt lgkmcnt(3)
	global_store_short v[2:3], v13, off offset:1024
	s_or_b64 exec, exec, s[0:1]
	v_cmp_gt_u32_e32 vcc, s2, v6
	s_and_saveexec_b64 s[0:1], vcc
	s_cbranch_execz .LBB1217_38
.LBB1217_51:
	s_waitcnt lgkmcnt(2)
	global_store_short v[2:3], v12, off offset:1280
	s_or_b64 exec, exec, s[0:1]
	v_cmp_gt_u32_e32 vcc, s2, v5
	s_and_saveexec_b64 s[0:1], vcc
	s_cbranch_execnz .LBB1217_39
	s_branch .LBB1217_40
	.section	.rodata,"a",@progbits
	.p2align	6, 0x0
	.amdhsa_kernel _ZN7rocprim17ROCPRIM_400000_NS6detail17trampoline_kernelINS0_14default_configENS1_38merge_sort_block_merge_config_selectorItNS0_10empty_typeEEEZZNS1_27merge_sort_block_merge_implIS3_N6thrust23THRUST_200600_302600_NS6detail15normal_iteratorINS9_10device_ptrItEEEEPS5_jNS1_19radix_merge_compareILb0ELb0EtNS0_19identity_decomposerEEEEE10hipError_tT0_T1_T2_jT3_P12ihipStream_tbPNSt15iterator_traitsISK_E10value_typeEPNSQ_ISL_E10value_typeEPSM_NS1_7vsmem_tEENKUlT_SK_SL_SM_E_clIPtSE_SF_SF_EESJ_SZ_SK_SL_SM_EUlSZ_E0_NS1_11comp_targetILNS1_3genE4ELNS1_11target_archE910ELNS1_3gpuE8ELNS1_3repE0EEENS1_38merge_mergepath_config_static_selectorELNS0_4arch9wavefront6targetE1EEEvSL_
		.amdhsa_group_segment_fixed_size 2112
		.amdhsa_private_segment_fixed_size 0
		.amdhsa_kernarg_size 320
		.amdhsa_user_sgpr_count 6
		.amdhsa_user_sgpr_private_segment_buffer 1
		.amdhsa_user_sgpr_dispatch_ptr 0
		.amdhsa_user_sgpr_queue_ptr 0
		.amdhsa_user_sgpr_kernarg_segment_ptr 1
		.amdhsa_user_sgpr_dispatch_id 0
		.amdhsa_user_sgpr_flat_scratch_init 0
		.amdhsa_user_sgpr_kernarg_preload_length 0
		.amdhsa_user_sgpr_kernarg_preload_offset 0
		.amdhsa_user_sgpr_private_segment_size 0
		.amdhsa_uses_dynamic_stack 0
		.amdhsa_system_sgpr_private_segment_wavefront_offset 0
		.amdhsa_system_sgpr_workgroup_id_x 1
		.amdhsa_system_sgpr_workgroup_id_y 1
		.amdhsa_system_sgpr_workgroup_id_z 1
		.amdhsa_system_sgpr_workgroup_info 0
		.amdhsa_system_vgpr_workitem_id 0
		.amdhsa_next_free_vgpr 26
		.amdhsa_next_free_sgpr 24
		.amdhsa_accum_offset 28
		.amdhsa_reserve_vcc 1
		.amdhsa_reserve_flat_scratch 0
		.amdhsa_float_round_mode_32 0
		.amdhsa_float_round_mode_16_64 0
		.amdhsa_float_denorm_mode_32 3
		.amdhsa_float_denorm_mode_16_64 3
		.amdhsa_dx10_clamp 1
		.amdhsa_ieee_mode 1
		.amdhsa_fp16_overflow 0
		.amdhsa_tg_split 0
		.amdhsa_exception_fp_ieee_invalid_op 0
		.amdhsa_exception_fp_denorm_src 0
		.amdhsa_exception_fp_ieee_div_zero 0
		.amdhsa_exception_fp_ieee_overflow 0
		.amdhsa_exception_fp_ieee_underflow 0
		.amdhsa_exception_fp_ieee_inexact 0
		.amdhsa_exception_int_div_zero 0
	.end_amdhsa_kernel
	.section	.text._ZN7rocprim17ROCPRIM_400000_NS6detail17trampoline_kernelINS0_14default_configENS1_38merge_sort_block_merge_config_selectorItNS0_10empty_typeEEEZZNS1_27merge_sort_block_merge_implIS3_N6thrust23THRUST_200600_302600_NS6detail15normal_iteratorINS9_10device_ptrItEEEEPS5_jNS1_19radix_merge_compareILb0ELb0EtNS0_19identity_decomposerEEEEE10hipError_tT0_T1_T2_jT3_P12ihipStream_tbPNSt15iterator_traitsISK_E10value_typeEPNSQ_ISL_E10value_typeEPSM_NS1_7vsmem_tEENKUlT_SK_SL_SM_E_clIPtSE_SF_SF_EESJ_SZ_SK_SL_SM_EUlSZ_E0_NS1_11comp_targetILNS1_3genE4ELNS1_11target_archE910ELNS1_3gpuE8ELNS1_3repE0EEENS1_38merge_mergepath_config_static_selectorELNS0_4arch9wavefront6targetE1EEEvSL_,"axG",@progbits,_ZN7rocprim17ROCPRIM_400000_NS6detail17trampoline_kernelINS0_14default_configENS1_38merge_sort_block_merge_config_selectorItNS0_10empty_typeEEEZZNS1_27merge_sort_block_merge_implIS3_N6thrust23THRUST_200600_302600_NS6detail15normal_iteratorINS9_10device_ptrItEEEEPS5_jNS1_19radix_merge_compareILb0ELb0EtNS0_19identity_decomposerEEEEE10hipError_tT0_T1_T2_jT3_P12ihipStream_tbPNSt15iterator_traitsISK_E10value_typeEPNSQ_ISL_E10value_typeEPSM_NS1_7vsmem_tEENKUlT_SK_SL_SM_E_clIPtSE_SF_SF_EESJ_SZ_SK_SL_SM_EUlSZ_E0_NS1_11comp_targetILNS1_3genE4ELNS1_11target_archE910ELNS1_3gpuE8ELNS1_3repE0EEENS1_38merge_mergepath_config_static_selectorELNS0_4arch9wavefront6targetE1EEEvSL_,comdat
.Lfunc_end1217:
	.size	_ZN7rocprim17ROCPRIM_400000_NS6detail17trampoline_kernelINS0_14default_configENS1_38merge_sort_block_merge_config_selectorItNS0_10empty_typeEEEZZNS1_27merge_sort_block_merge_implIS3_N6thrust23THRUST_200600_302600_NS6detail15normal_iteratorINS9_10device_ptrItEEEEPS5_jNS1_19radix_merge_compareILb0ELb0EtNS0_19identity_decomposerEEEEE10hipError_tT0_T1_T2_jT3_P12ihipStream_tbPNSt15iterator_traitsISK_E10value_typeEPNSQ_ISL_E10value_typeEPSM_NS1_7vsmem_tEENKUlT_SK_SL_SM_E_clIPtSE_SF_SF_EESJ_SZ_SK_SL_SM_EUlSZ_E0_NS1_11comp_targetILNS1_3genE4ELNS1_11target_archE910ELNS1_3gpuE8ELNS1_3repE0EEENS1_38merge_mergepath_config_static_selectorELNS0_4arch9wavefront6targetE1EEEvSL_, .Lfunc_end1217-_ZN7rocprim17ROCPRIM_400000_NS6detail17trampoline_kernelINS0_14default_configENS1_38merge_sort_block_merge_config_selectorItNS0_10empty_typeEEEZZNS1_27merge_sort_block_merge_implIS3_N6thrust23THRUST_200600_302600_NS6detail15normal_iteratorINS9_10device_ptrItEEEEPS5_jNS1_19radix_merge_compareILb0ELb0EtNS0_19identity_decomposerEEEEE10hipError_tT0_T1_T2_jT3_P12ihipStream_tbPNSt15iterator_traitsISK_E10value_typeEPNSQ_ISL_E10value_typeEPSM_NS1_7vsmem_tEENKUlT_SK_SL_SM_E_clIPtSE_SF_SF_EESJ_SZ_SK_SL_SM_EUlSZ_E0_NS1_11comp_targetILNS1_3genE4ELNS1_11target_archE910ELNS1_3gpuE8ELNS1_3repE0EEENS1_38merge_mergepath_config_static_selectorELNS0_4arch9wavefront6targetE1EEEvSL_
                                        ; -- End function
	.section	.AMDGPU.csdata,"",@progbits
; Kernel info:
; codeLenInByte = 3860
; NumSgprs: 28
; NumVgprs: 26
; NumAgprs: 0
; TotalNumVgprs: 26
; ScratchSize: 0
; MemoryBound: 0
; FloatMode: 240
; IeeeMode: 1
; LDSByteSize: 2112 bytes/workgroup (compile time only)
; SGPRBlocks: 3
; VGPRBlocks: 3
; NumSGPRsForWavesPerEU: 28
; NumVGPRsForWavesPerEU: 26
; AccumOffset: 28
; Occupancy: 8
; WaveLimiterHint : 1
; COMPUTE_PGM_RSRC2:SCRATCH_EN: 0
; COMPUTE_PGM_RSRC2:USER_SGPR: 6
; COMPUTE_PGM_RSRC2:TRAP_HANDLER: 0
; COMPUTE_PGM_RSRC2:TGID_X_EN: 1
; COMPUTE_PGM_RSRC2:TGID_Y_EN: 1
; COMPUTE_PGM_RSRC2:TGID_Z_EN: 1
; COMPUTE_PGM_RSRC2:TIDIG_COMP_CNT: 0
; COMPUTE_PGM_RSRC3_GFX90A:ACCUM_OFFSET: 6
; COMPUTE_PGM_RSRC3_GFX90A:TG_SPLIT: 0
	.section	.text._ZN7rocprim17ROCPRIM_400000_NS6detail17trampoline_kernelINS0_14default_configENS1_38merge_sort_block_merge_config_selectorItNS0_10empty_typeEEEZZNS1_27merge_sort_block_merge_implIS3_N6thrust23THRUST_200600_302600_NS6detail15normal_iteratorINS9_10device_ptrItEEEEPS5_jNS1_19radix_merge_compareILb0ELb0EtNS0_19identity_decomposerEEEEE10hipError_tT0_T1_T2_jT3_P12ihipStream_tbPNSt15iterator_traitsISK_E10value_typeEPNSQ_ISL_E10value_typeEPSM_NS1_7vsmem_tEENKUlT_SK_SL_SM_E_clIPtSE_SF_SF_EESJ_SZ_SK_SL_SM_EUlSZ_E0_NS1_11comp_targetILNS1_3genE3ELNS1_11target_archE908ELNS1_3gpuE7ELNS1_3repE0EEENS1_38merge_mergepath_config_static_selectorELNS0_4arch9wavefront6targetE1EEEvSL_,"axG",@progbits,_ZN7rocprim17ROCPRIM_400000_NS6detail17trampoline_kernelINS0_14default_configENS1_38merge_sort_block_merge_config_selectorItNS0_10empty_typeEEEZZNS1_27merge_sort_block_merge_implIS3_N6thrust23THRUST_200600_302600_NS6detail15normal_iteratorINS9_10device_ptrItEEEEPS5_jNS1_19radix_merge_compareILb0ELb0EtNS0_19identity_decomposerEEEEE10hipError_tT0_T1_T2_jT3_P12ihipStream_tbPNSt15iterator_traitsISK_E10value_typeEPNSQ_ISL_E10value_typeEPSM_NS1_7vsmem_tEENKUlT_SK_SL_SM_E_clIPtSE_SF_SF_EESJ_SZ_SK_SL_SM_EUlSZ_E0_NS1_11comp_targetILNS1_3genE3ELNS1_11target_archE908ELNS1_3gpuE7ELNS1_3repE0EEENS1_38merge_mergepath_config_static_selectorELNS0_4arch9wavefront6targetE1EEEvSL_,comdat
	.protected	_ZN7rocprim17ROCPRIM_400000_NS6detail17trampoline_kernelINS0_14default_configENS1_38merge_sort_block_merge_config_selectorItNS0_10empty_typeEEEZZNS1_27merge_sort_block_merge_implIS3_N6thrust23THRUST_200600_302600_NS6detail15normal_iteratorINS9_10device_ptrItEEEEPS5_jNS1_19radix_merge_compareILb0ELb0EtNS0_19identity_decomposerEEEEE10hipError_tT0_T1_T2_jT3_P12ihipStream_tbPNSt15iterator_traitsISK_E10value_typeEPNSQ_ISL_E10value_typeEPSM_NS1_7vsmem_tEENKUlT_SK_SL_SM_E_clIPtSE_SF_SF_EESJ_SZ_SK_SL_SM_EUlSZ_E0_NS1_11comp_targetILNS1_3genE3ELNS1_11target_archE908ELNS1_3gpuE7ELNS1_3repE0EEENS1_38merge_mergepath_config_static_selectorELNS0_4arch9wavefront6targetE1EEEvSL_ ; -- Begin function _ZN7rocprim17ROCPRIM_400000_NS6detail17trampoline_kernelINS0_14default_configENS1_38merge_sort_block_merge_config_selectorItNS0_10empty_typeEEEZZNS1_27merge_sort_block_merge_implIS3_N6thrust23THRUST_200600_302600_NS6detail15normal_iteratorINS9_10device_ptrItEEEEPS5_jNS1_19radix_merge_compareILb0ELb0EtNS0_19identity_decomposerEEEEE10hipError_tT0_T1_T2_jT3_P12ihipStream_tbPNSt15iterator_traitsISK_E10value_typeEPNSQ_ISL_E10value_typeEPSM_NS1_7vsmem_tEENKUlT_SK_SL_SM_E_clIPtSE_SF_SF_EESJ_SZ_SK_SL_SM_EUlSZ_E0_NS1_11comp_targetILNS1_3genE3ELNS1_11target_archE908ELNS1_3gpuE7ELNS1_3repE0EEENS1_38merge_mergepath_config_static_selectorELNS0_4arch9wavefront6targetE1EEEvSL_
	.globl	_ZN7rocprim17ROCPRIM_400000_NS6detail17trampoline_kernelINS0_14default_configENS1_38merge_sort_block_merge_config_selectorItNS0_10empty_typeEEEZZNS1_27merge_sort_block_merge_implIS3_N6thrust23THRUST_200600_302600_NS6detail15normal_iteratorINS9_10device_ptrItEEEEPS5_jNS1_19radix_merge_compareILb0ELb0EtNS0_19identity_decomposerEEEEE10hipError_tT0_T1_T2_jT3_P12ihipStream_tbPNSt15iterator_traitsISK_E10value_typeEPNSQ_ISL_E10value_typeEPSM_NS1_7vsmem_tEENKUlT_SK_SL_SM_E_clIPtSE_SF_SF_EESJ_SZ_SK_SL_SM_EUlSZ_E0_NS1_11comp_targetILNS1_3genE3ELNS1_11target_archE908ELNS1_3gpuE7ELNS1_3repE0EEENS1_38merge_mergepath_config_static_selectorELNS0_4arch9wavefront6targetE1EEEvSL_
	.p2align	8
	.type	_ZN7rocprim17ROCPRIM_400000_NS6detail17trampoline_kernelINS0_14default_configENS1_38merge_sort_block_merge_config_selectorItNS0_10empty_typeEEEZZNS1_27merge_sort_block_merge_implIS3_N6thrust23THRUST_200600_302600_NS6detail15normal_iteratorINS9_10device_ptrItEEEEPS5_jNS1_19radix_merge_compareILb0ELb0EtNS0_19identity_decomposerEEEEE10hipError_tT0_T1_T2_jT3_P12ihipStream_tbPNSt15iterator_traitsISK_E10value_typeEPNSQ_ISL_E10value_typeEPSM_NS1_7vsmem_tEENKUlT_SK_SL_SM_E_clIPtSE_SF_SF_EESJ_SZ_SK_SL_SM_EUlSZ_E0_NS1_11comp_targetILNS1_3genE3ELNS1_11target_archE908ELNS1_3gpuE7ELNS1_3repE0EEENS1_38merge_mergepath_config_static_selectorELNS0_4arch9wavefront6targetE1EEEvSL_,@function
_ZN7rocprim17ROCPRIM_400000_NS6detail17trampoline_kernelINS0_14default_configENS1_38merge_sort_block_merge_config_selectorItNS0_10empty_typeEEEZZNS1_27merge_sort_block_merge_implIS3_N6thrust23THRUST_200600_302600_NS6detail15normal_iteratorINS9_10device_ptrItEEEEPS5_jNS1_19radix_merge_compareILb0ELb0EtNS0_19identity_decomposerEEEEE10hipError_tT0_T1_T2_jT3_P12ihipStream_tbPNSt15iterator_traitsISK_E10value_typeEPNSQ_ISL_E10value_typeEPSM_NS1_7vsmem_tEENKUlT_SK_SL_SM_E_clIPtSE_SF_SF_EESJ_SZ_SK_SL_SM_EUlSZ_E0_NS1_11comp_targetILNS1_3genE3ELNS1_11target_archE908ELNS1_3gpuE7ELNS1_3repE0EEENS1_38merge_mergepath_config_static_selectorELNS0_4arch9wavefront6targetE1EEEvSL_: ; @_ZN7rocprim17ROCPRIM_400000_NS6detail17trampoline_kernelINS0_14default_configENS1_38merge_sort_block_merge_config_selectorItNS0_10empty_typeEEEZZNS1_27merge_sort_block_merge_implIS3_N6thrust23THRUST_200600_302600_NS6detail15normal_iteratorINS9_10device_ptrItEEEEPS5_jNS1_19radix_merge_compareILb0ELb0EtNS0_19identity_decomposerEEEEE10hipError_tT0_T1_T2_jT3_P12ihipStream_tbPNSt15iterator_traitsISK_E10value_typeEPNSQ_ISL_E10value_typeEPSM_NS1_7vsmem_tEENKUlT_SK_SL_SM_E_clIPtSE_SF_SF_EESJ_SZ_SK_SL_SM_EUlSZ_E0_NS1_11comp_targetILNS1_3genE3ELNS1_11target_archE908ELNS1_3gpuE7ELNS1_3repE0EEENS1_38merge_mergepath_config_static_selectorELNS0_4arch9wavefront6targetE1EEEvSL_
; %bb.0:
	.section	.rodata,"a",@progbits
	.p2align	6, 0x0
	.amdhsa_kernel _ZN7rocprim17ROCPRIM_400000_NS6detail17trampoline_kernelINS0_14default_configENS1_38merge_sort_block_merge_config_selectorItNS0_10empty_typeEEEZZNS1_27merge_sort_block_merge_implIS3_N6thrust23THRUST_200600_302600_NS6detail15normal_iteratorINS9_10device_ptrItEEEEPS5_jNS1_19radix_merge_compareILb0ELb0EtNS0_19identity_decomposerEEEEE10hipError_tT0_T1_T2_jT3_P12ihipStream_tbPNSt15iterator_traitsISK_E10value_typeEPNSQ_ISL_E10value_typeEPSM_NS1_7vsmem_tEENKUlT_SK_SL_SM_E_clIPtSE_SF_SF_EESJ_SZ_SK_SL_SM_EUlSZ_E0_NS1_11comp_targetILNS1_3genE3ELNS1_11target_archE908ELNS1_3gpuE7ELNS1_3repE0EEENS1_38merge_mergepath_config_static_selectorELNS0_4arch9wavefront6targetE1EEEvSL_
		.amdhsa_group_segment_fixed_size 0
		.amdhsa_private_segment_fixed_size 0
		.amdhsa_kernarg_size 64
		.amdhsa_user_sgpr_count 6
		.amdhsa_user_sgpr_private_segment_buffer 1
		.amdhsa_user_sgpr_dispatch_ptr 0
		.amdhsa_user_sgpr_queue_ptr 0
		.amdhsa_user_sgpr_kernarg_segment_ptr 1
		.amdhsa_user_sgpr_dispatch_id 0
		.amdhsa_user_sgpr_flat_scratch_init 0
		.amdhsa_user_sgpr_kernarg_preload_length 0
		.amdhsa_user_sgpr_kernarg_preload_offset 0
		.amdhsa_user_sgpr_private_segment_size 0
		.amdhsa_uses_dynamic_stack 0
		.amdhsa_system_sgpr_private_segment_wavefront_offset 0
		.amdhsa_system_sgpr_workgroup_id_x 1
		.amdhsa_system_sgpr_workgroup_id_y 0
		.amdhsa_system_sgpr_workgroup_id_z 0
		.amdhsa_system_sgpr_workgroup_info 0
		.amdhsa_system_vgpr_workitem_id 0
		.amdhsa_next_free_vgpr 1
		.amdhsa_next_free_sgpr 0
		.amdhsa_accum_offset 4
		.amdhsa_reserve_vcc 0
		.amdhsa_reserve_flat_scratch 0
		.amdhsa_float_round_mode_32 0
		.amdhsa_float_round_mode_16_64 0
		.amdhsa_float_denorm_mode_32 3
		.amdhsa_float_denorm_mode_16_64 3
		.amdhsa_dx10_clamp 1
		.amdhsa_ieee_mode 1
		.amdhsa_fp16_overflow 0
		.amdhsa_tg_split 0
		.amdhsa_exception_fp_ieee_invalid_op 0
		.amdhsa_exception_fp_denorm_src 0
		.amdhsa_exception_fp_ieee_div_zero 0
		.amdhsa_exception_fp_ieee_overflow 0
		.amdhsa_exception_fp_ieee_underflow 0
		.amdhsa_exception_fp_ieee_inexact 0
		.amdhsa_exception_int_div_zero 0
	.end_amdhsa_kernel
	.section	.text._ZN7rocprim17ROCPRIM_400000_NS6detail17trampoline_kernelINS0_14default_configENS1_38merge_sort_block_merge_config_selectorItNS0_10empty_typeEEEZZNS1_27merge_sort_block_merge_implIS3_N6thrust23THRUST_200600_302600_NS6detail15normal_iteratorINS9_10device_ptrItEEEEPS5_jNS1_19radix_merge_compareILb0ELb0EtNS0_19identity_decomposerEEEEE10hipError_tT0_T1_T2_jT3_P12ihipStream_tbPNSt15iterator_traitsISK_E10value_typeEPNSQ_ISL_E10value_typeEPSM_NS1_7vsmem_tEENKUlT_SK_SL_SM_E_clIPtSE_SF_SF_EESJ_SZ_SK_SL_SM_EUlSZ_E0_NS1_11comp_targetILNS1_3genE3ELNS1_11target_archE908ELNS1_3gpuE7ELNS1_3repE0EEENS1_38merge_mergepath_config_static_selectorELNS0_4arch9wavefront6targetE1EEEvSL_,"axG",@progbits,_ZN7rocprim17ROCPRIM_400000_NS6detail17trampoline_kernelINS0_14default_configENS1_38merge_sort_block_merge_config_selectorItNS0_10empty_typeEEEZZNS1_27merge_sort_block_merge_implIS3_N6thrust23THRUST_200600_302600_NS6detail15normal_iteratorINS9_10device_ptrItEEEEPS5_jNS1_19radix_merge_compareILb0ELb0EtNS0_19identity_decomposerEEEEE10hipError_tT0_T1_T2_jT3_P12ihipStream_tbPNSt15iterator_traitsISK_E10value_typeEPNSQ_ISL_E10value_typeEPSM_NS1_7vsmem_tEENKUlT_SK_SL_SM_E_clIPtSE_SF_SF_EESJ_SZ_SK_SL_SM_EUlSZ_E0_NS1_11comp_targetILNS1_3genE3ELNS1_11target_archE908ELNS1_3gpuE7ELNS1_3repE0EEENS1_38merge_mergepath_config_static_selectorELNS0_4arch9wavefront6targetE1EEEvSL_,comdat
.Lfunc_end1218:
	.size	_ZN7rocprim17ROCPRIM_400000_NS6detail17trampoline_kernelINS0_14default_configENS1_38merge_sort_block_merge_config_selectorItNS0_10empty_typeEEEZZNS1_27merge_sort_block_merge_implIS3_N6thrust23THRUST_200600_302600_NS6detail15normal_iteratorINS9_10device_ptrItEEEEPS5_jNS1_19radix_merge_compareILb0ELb0EtNS0_19identity_decomposerEEEEE10hipError_tT0_T1_T2_jT3_P12ihipStream_tbPNSt15iterator_traitsISK_E10value_typeEPNSQ_ISL_E10value_typeEPSM_NS1_7vsmem_tEENKUlT_SK_SL_SM_E_clIPtSE_SF_SF_EESJ_SZ_SK_SL_SM_EUlSZ_E0_NS1_11comp_targetILNS1_3genE3ELNS1_11target_archE908ELNS1_3gpuE7ELNS1_3repE0EEENS1_38merge_mergepath_config_static_selectorELNS0_4arch9wavefront6targetE1EEEvSL_, .Lfunc_end1218-_ZN7rocprim17ROCPRIM_400000_NS6detail17trampoline_kernelINS0_14default_configENS1_38merge_sort_block_merge_config_selectorItNS0_10empty_typeEEEZZNS1_27merge_sort_block_merge_implIS3_N6thrust23THRUST_200600_302600_NS6detail15normal_iteratorINS9_10device_ptrItEEEEPS5_jNS1_19radix_merge_compareILb0ELb0EtNS0_19identity_decomposerEEEEE10hipError_tT0_T1_T2_jT3_P12ihipStream_tbPNSt15iterator_traitsISK_E10value_typeEPNSQ_ISL_E10value_typeEPSM_NS1_7vsmem_tEENKUlT_SK_SL_SM_E_clIPtSE_SF_SF_EESJ_SZ_SK_SL_SM_EUlSZ_E0_NS1_11comp_targetILNS1_3genE3ELNS1_11target_archE908ELNS1_3gpuE7ELNS1_3repE0EEENS1_38merge_mergepath_config_static_selectorELNS0_4arch9wavefront6targetE1EEEvSL_
                                        ; -- End function
	.section	.AMDGPU.csdata,"",@progbits
; Kernel info:
; codeLenInByte = 0
; NumSgprs: 4
; NumVgprs: 0
; NumAgprs: 0
; TotalNumVgprs: 0
; ScratchSize: 0
; MemoryBound: 0
; FloatMode: 240
; IeeeMode: 1
; LDSByteSize: 0 bytes/workgroup (compile time only)
; SGPRBlocks: 0
; VGPRBlocks: 0
; NumSGPRsForWavesPerEU: 4
; NumVGPRsForWavesPerEU: 1
; AccumOffset: 4
; Occupancy: 8
; WaveLimiterHint : 0
; COMPUTE_PGM_RSRC2:SCRATCH_EN: 0
; COMPUTE_PGM_RSRC2:USER_SGPR: 6
; COMPUTE_PGM_RSRC2:TRAP_HANDLER: 0
; COMPUTE_PGM_RSRC2:TGID_X_EN: 1
; COMPUTE_PGM_RSRC2:TGID_Y_EN: 0
; COMPUTE_PGM_RSRC2:TGID_Z_EN: 0
; COMPUTE_PGM_RSRC2:TIDIG_COMP_CNT: 0
; COMPUTE_PGM_RSRC3_GFX90A:ACCUM_OFFSET: 0
; COMPUTE_PGM_RSRC3_GFX90A:TG_SPLIT: 0
	.section	.text._ZN7rocprim17ROCPRIM_400000_NS6detail17trampoline_kernelINS0_14default_configENS1_38merge_sort_block_merge_config_selectorItNS0_10empty_typeEEEZZNS1_27merge_sort_block_merge_implIS3_N6thrust23THRUST_200600_302600_NS6detail15normal_iteratorINS9_10device_ptrItEEEEPS5_jNS1_19radix_merge_compareILb0ELb0EtNS0_19identity_decomposerEEEEE10hipError_tT0_T1_T2_jT3_P12ihipStream_tbPNSt15iterator_traitsISK_E10value_typeEPNSQ_ISL_E10value_typeEPSM_NS1_7vsmem_tEENKUlT_SK_SL_SM_E_clIPtSE_SF_SF_EESJ_SZ_SK_SL_SM_EUlSZ_E0_NS1_11comp_targetILNS1_3genE2ELNS1_11target_archE906ELNS1_3gpuE6ELNS1_3repE0EEENS1_38merge_mergepath_config_static_selectorELNS0_4arch9wavefront6targetE1EEEvSL_,"axG",@progbits,_ZN7rocprim17ROCPRIM_400000_NS6detail17trampoline_kernelINS0_14default_configENS1_38merge_sort_block_merge_config_selectorItNS0_10empty_typeEEEZZNS1_27merge_sort_block_merge_implIS3_N6thrust23THRUST_200600_302600_NS6detail15normal_iteratorINS9_10device_ptrItEEEEPS5_jNS1_19radix_merge_compareILb0ELb0EtNS0_19identity_decomposerEEEEE10hipError_tT0_T1_T2_jT3_P12ihipStream_tbPNSt15iterator_traitsISK_E10value_typeEPNSQ_ISL_E10value_typeEPSM_NS1_7vsmem_tEENKUlT_SK_SL_SM_E_clIPtSE_SF_SF_EESJ_SZ_SK_SL_SM_EUlSZ_E0_NS1_11comp_targetILNS1_3genE2ELNS1_11target_archE906ELNS1_3gpuE6ELNS1_3repE0EEENS1_38merge_mergepath_config_static_selectorELNS0_4arch9wavefront6targetE1EEEvSL_,comdat
	.protected	_ZN7rocprim17ROCPRIM_400000_NS6detail17trampoline_kernelINS0_14default_configENS1_38merge_sort_block_merge_config_selectorItNS0_10empty_typeEEEZZNS1_27merge_sort_block_merge_implIS3_N6thrust23THRUST_200600_302600_NS6detail15normal_iteratorINS9_10device_ptrItEEEEPS5_jNS1_19radix_merge_compareILb0ELb0EtNS0_19identity_decomposerEEEEE10hipError_tT0_T1_T2_jT3_P12ihipStream_tbPNSt15iterator_traitsISK_E10value_typeEPNSQ_ISL_E10value_typeEPSM_NS1_7vsmem_tEENKUlT_SK_SL_SM_E_clIPtSE_SF_SF_EESJ_SZ_SK_SL_SM_EUlSZ_E0_NS1_11comp_targetILNS1_3genE2ELNS1_11target_archE906ELNS1_3gpuE6ELNS1_3repE0EEENS1_38merge_mergepath_config_static_selectorELNS0_4arch9wavefront6targetE1EEEvSL_ ; -- Begin function _ZN7rocprim17ROCPRIM_400000_NS6detail17trampoline_kernelINS0_14default_configENS1_38merge_sort_block_merge_config_selectorItNS0_10empty_typeEEEZZNS1_27merge_sort_block_merge_implIS3_N6thrust23THRUST_200600_302600_NS6detail15normal_iteratorINS9_10device_ptrItEEEEPS5_jNS1_19radix_merge_compareILb0ELb0EtNS0_19identity_decomposerEEEEE10hipError_tT0_T1_T2_jT3_P12ihipStream_tbPNSt15iterator_traitsISK_E10value_typeEPNSQ_ISL_E10value_typeEPSM_NS1_7vsmem_tEENKUlT_SK_SL_SM_E_clIPtSE_SF_SF_EESJ_SZ_SK_SL_SM_EUlSZ_E0_NS1_11comp_targetILNS1_3genE2ELNS1_11target_archE906ELNS1_3gpuE6ELNS1_3repE0EEENS1_38merge_mergepath_config_static_selectorELNS0_4arch9wavefront6targetE1EEEvSL_
	.globl	_ZN7rocprim17ROCPRIM_400000_NS6detail17trampoline_kernelINS0_14default_configENS1_38merge_sort_block_merge_config_selectorItNS0_10empty_typeEEEZZNS1_27merge_sort_block_merge_implIS3_N6thrust23THRUST_200600_302600_NS6detail15normal_iteratorINS9_10device_ptrItEEEEPS5_jNS1_19radix_merge_compareILb0ELb0EtNS0_19identity_decomposerEEEEE10hipError_tT0_T1_T2_jT3_P12ihipStream_tbPNSt15iterator_traitsISK_E10value_typeEPNSQ_ISL_E10value_typeEPSM_NS1_7vsmem_tEENKUlT_SK_SL_SM_E_clIPtSE_SF_SF_EESJ_SZ_SK_SL_SM_EUlSZ_E0_NS1_11comp_targetILNS1_3genE2ELNS1_11target_archE906ELNS1_3gpuE6ELNS1_3repE0EEENS1_38merge_mergepath_config_static_selectorELNS0_4arch9wavefront6targetE1EEEvSL_
	.p2align	8
	.type	_ZN7rocprim17ROCPRIM_400000_NS6detail17trampoline_kernelINS0_14default_configENS1_38merge_sort_block_merge_config_selectorItNS0_10empty_typeEEEZZNS1_27merge_sort_block_merge_implIS3_N6thrust23THRUST_200600_302600_NS6detail15normal_iteratorINS9_10device_ptrItEEEEPS5_jNS1_19radix_merge_compareILb0ELb0EtNS0_19identity_decomposerEEEEE10hipError_tT0_T1_T2_jT3_P12ihipStream_tbPNSt15iterator_traitsISK_E10value_typeEPNSQ_ISL_E10value_typeEPSM_NS1_7vsmem_tEENKUlT_SK_SL_SM_E_clIPtSE_SF_SF_EESJ_SZ_SK_SL_SM_EUlSZ_E0_NS1_11comp_targetILNS1_3genE2ELNS1_11target_archE906ELNS1_3gpuE6ELNS1_3repE0EEENS1_38merge_mergepath_config_static_selectorELNS0_4arch9wavefront6targetE1EEEvSL_,@function
_ZN7rocprim17ROCPRIM_400000_NS6detail17trampoline_kernelINS0_14default_configENS1_38merge_sort_block_merge_config_selectorItNS0_10empty_typeEEEZZNS1_27merge_sort_block_merge_implIS3_N6thrust23THRUST_200600_302600_NS6detail15normal_iteratorINS9_10device_ptrItEEEEPS5_jNS1_19radix_merge_compareILb0ELb0EtNS0_19identity_decomposerEEEEE10hipError_tT0_T1_T2_jT3_P12ihipStream_tbPNSt15iterator_traitsISK_E10value_typeEPNSQ_ISL_E10value_typeEPSM_NS1_7vsmem_tEENKUlT_SK_SL_SM_E_clIPtSE_SF_SF_EESJ_SZ_SK_SL_SM_EUlSZ_E0_NS1_11comp_targetILNS1_3genE2ELNS1_11target_archE906ELNS1_3gpuE6ELNS1_3repE0EEENS1_38merge_mergepath_config_static_selectorELNS0_4arch9wavefront6targetE1EEEvSL_: ; @_ZN7rocprim17ROCPRIM_400000_NS6detail17trampoline_kernelINS0_14default_configENS1_38merge_sort_block_merge_config_selectorItNS0_10empty_typeEEEZZNS1_27merge_sort_block_merge_implIS3_N6thrust23THRUST_200600_302600_NS6detail15normal_iteratorINS9_10device_ptrItEEEEPS5_jNS1_19radix_merge_compareILb0ELb0EtNS0_19identity_decomposerEEEEE10hipError_tT0_T1_T2_jT3_P12ihipStream_tbPNSt15iterator_traitsISK_E10value_typeEPNSQ_ISL_E10value_typeEPSM_NS1_7vsmem_tEENKUlT_SK_SL_SM_E_clIPtSE_SF_SF_EESJ_SZ_SK_SL_SM_EUlSZ_E0_NS1_11comp_targetILNS1_3genE2ELNS1_11target_archE906ELNS1_3gpuE6ELNS1_3repE0EEENS1_38merge_mergepath_config_static_selectorELNS0_4arch9wavefront6targetE1EEEvSL_
; %bb.0:
	.section	.rodata,"a",@progbits
	.p2align	6, 0x0
	.amdhsa_kernel _ZN7rocprim17ROCPRIM_400000_NS6detail17trampoline_kernelINS0_14default_configENS1_38merge_sort_block_merge_config_selectorItNS0_10empty_typeEEEZZNS1_27merge_sort_block_merge_implIS3_N6thrust23THRUST_200600_302600_NS6detail15normal_iteratorINS9_10device_ptrItEEEEPS5_jNS1_19radix_merge_compareILb0ELb0EtNS0_19identity_decomposerEEEEE10hipError_tT0_T1_T2_jT3_P12ihipStream_tbPNSt15iterator_traitsISK_E10value_typeEPNSQ_ISL_E10value_typeEPSM_NS1_7vsmem_tEENKUlT_SK_SL_SM_E_clIPtSE_SF_SF_EESJ_SZ_SK_SL_SM_EUlSZ_E0_NS1_11comp_targetILNS1_3genE2ELNS1_11target_archE906ELNS1_3gpuE6ELNS1_3repE0EEENS1_38merge_mergepath_config_static_selectorELNS0_4arch9wavefront6targetE1EEEvSL_
		.amdhsa_group_segment_fixed_size 0
		.amdhsa_private_segment_fixed_size 0
		.amdhsa_kernarg_size 64
		.amdhsa_user_sgpr_count 6
		.amdhsa_user_sgpr_private_segment_buffer 1
		.amdhsa_user_sgpr_dispatch_ptr 0
		.amdhsa_user_sgpr_queue_ptr 0
		.amdhsa_user_sgpr_kernarg_segment_ptr 1
		.amdhsa_user_sgpr_dispatch_id 0
		.amdhsa_user_sgpr_flat_scratch_init 0
		.amdhsa_user_sgpr_kernarg_preload_length 0
		.amdhsa_user_sgpr_kernarg_preload_offset 0
		.amdhsa_user_sgpr_private_segment_size 0
		.amdhsa_uses_dynamic_stack 0
		.amdhsa_system_sgpr_private_segment_wavefront_offset 0
		.amdhsa_system_sgpr_workgroup_id_x 1
		.amdhsa_system_sgpr_workgroup_id_y 0
		.amdhsa_system_sgpr_workgroup_id_z 0
		.amdhsa_system_sgpr_workgroup_info 0
		.amdhsa_system_vgpr_workitem_id 0
		.amdhsa_next_free_vgpr 1
		.amdhsa_next_free_sgpr 0
		.amdhsa_accum_offset 4
		.amdhsa_reserve_vcc 0
		.amdhsa_reserve_flat_scratch 0
		.amdhsa_float_round_mode_32 0
		.amdhsa_float_round_mode_16_64 0
		.amdhsa_float_denorm_mode_32 3
		.amdhsa_float_denorm_mode_16_64 3
		.amdhsa_dx10_clamp 1
		.amdhsa_ieee_mode 1
		.amdhsa_fp16_overflow 0
		.amdhsa_tg_split 0
		.amdhsa_exception_fp_ieee_invalid_op 0
		.amdhsa_exception_fp_denorm_src 0
		.amdhsa_exception_fp_ieee_div_zero 0
		.amdhsa_exception_fp_ieee_overflow 0
		.amdhsa_exception_fp_ieee_underflow 0
		.amdhsa_exception_fp_ieee_inexact 0
		.amdhsa_exception_int_div_zero 0
	.end_amdhsa_kernel
	.section	.text._ZN7rocprim17ROCPRIM_400000_NS6detail17trampoline_kernelINS0_14default_configENS1_38merge_sort_block_merge_config_selectorItNS0_10empty_typeEEEZZNS1_27merge_sort_block_merge_implIS3_N6thrust23THRUST_200600_302600_NS6detail15normal_iteratorINS9_10device_ptrItEEEEPS5_jNS1_19radix_merge_compareILb0ELb0EtNS0_19identity_decomposerEEEEE10hipError_tT0_T1_T2_jT3_P12ihipStream_tbPNSt15iterator_traitsISK_E10value_typeEPNSQ_ISL_E10value_typeEPSM_NS1_7vsmem_tEENKUlT_SK_SL_SM_E_clIPtSE_SF_SF_EESJ_SZ_SK_SL_SM_EUlSZ_E0_NS1_11comp_targetILNS1_3genE2ELNS1_11target_archE906ELNS1_3gpuE6ELNS1_3repE0EEENS1_38merge_mergepath_config_static_selectorELNS0_4arch9wavefront6targetE1EEEvSL_,"axG",@progbits,_ZN7rocprim17ROCPRIM_400000_NS6detail17trampoline_kernelINS0_14default_configENS1_38merge_sort_block_merge_config_selectorItNS0_10empty_typeEEEZZNS1_27merge_sort_block_merge_implIS3_N6thrust23THRUST_200600_302600_NS6detail15normal_iteratorINS9_10device_ptrItEEEEPS5_jNS1_19radix_merge_compareILb0ELb0EtNS0_19identity_decomposerEEEEE10hipError_tT0_T1_T2_jT3_P12ihipStream_tbPNSt15iterator_traitsISK_E10value_typeEPNSQ_ISL_E10value_typeEPSM_NS1_7vsmem_tEENKUlT_SK_SL_SM_E_clIPtSE_SF_SF_EESJ_SZ_SK_SL_SM_EUlSZ_E0_NS1_11comp_targetILNS1_3genE2ELNS1_11target_archE906ELNS1_3gpuE6ELNS1_3repE0EEENS1_38merge_mergepath_config_static_selectorELNS0_4arch9wavefront6targetE1EEEvSL_,comdat
.Lfunc_end1219:
	.size	_ZN7rocprim17ROCPRIM_400000_NS6detail17trampoline_kernelINS0_14default_configENS1_38merge_sort_block_merge_config_selectorItNS0_10empty_typeEEEZZNS1_27merge_sort_block_merge_implIS3_N6thrust23THRUST_200600_302600_NS6detail15normal_iteratorINS9_10device_ptrItEEEEPS5_jNS1_19radix_merge_compareILb0ELb0EtNS0_19identity_decomposerEEEEE10hipError_tT0_T1_T2_jT3_P12ihipStream_tbPNSt15iterator_traitsISK_E10value_typeEPNSQ_ISL_E10value_typeEPSM_NS1_7vsmem_tEENKUlT_SK_SL_SM_E_clIPtSE_SF_SF_EESJ_SZ_SK_SL_SM_EUlSZ_E0_NS1_11comp_targetILNS1_3genE2ELNS1_11target_archE906ELNS1_3gpuE6ELNS1_3repE0EEENS1_38merge_mergepath_config_static_selectorELNS0_4arch9wavefront6targetE1EEEvSL_, .Lfunc_end1219-_ZN7rocprim17ROCPRIM_400000_NS6detail17trampoline_kernelINS0_14default_configENS1_38merge_sort_block_merge_config_selectorItNS0_10empty_typeEEEZZNS1_27merge_sort_block_merge_implIS3_N6thrust23THRUST_200600_302600_NS6detail15normal_iteratorINS9_10device_ptrItEEEEPS5_jNS1_19radix_merge_compareILb0ELb0EtNS0_19identity_decomposerEEEEE10hipError_tT0_T1_T2_jT3_P12ihipStream_tbPNSt15iterator_traitsISK_E10value_typeEPNSQ_ISL_E10value_typeEPSM_NS1_7vsmem_tEENKUlT_SK_SL_SM_E_clIPtSE_SF_SF_EESJ_SZ_SK_SL_SM_EUlSZ_E0_NS1_11comp_targetILNS1_3genE2ELNS1_11target_archE906ELNS1_3gpuE6ELNS1_3repE0EEENS1_38merge_mergepath_config_static_selectorELNS0_4arch9wavefront6targetE1EEEvSL_
                                        ; -- End function
	.section	.AMDGPU.csdata,"",@progbits
; Kernel info:
; codeLenInByte = 0
; NumSgprs: 4
; NumVgprs: 0
; NumAgprs: 0
; TotalNumVgprs: 0
; ScratchSize: 0
; MemoryBound: 0
; FloatMode: 240
; IeeeMode: 1
; LDSByteSize: 0 bytes/workgroup (compile time only)
; SGPRBlocks: 0
; VGPRBlocks: 0
; NumSGPRsForWavesPerEU: 4
; NumVGPRsForWavesPerEU: 1
; AccumOffset: 4
; Occupancy: 8
; WaveLimiterHint : 0
; COMPUTE_PGM_RSRC2:SCRATCH_EN: 0
; COMPUTE_PGM_RSRC2:USER_SGPR: 6
; COMPUTE_PGM_RSRC2:TRAP_HANDLER: 0
; COMPUTE_PGM_RSRC2:TGID_X_EN: 1
; COMPUTE_PGM_RSRC2:TGID_Y_EN: 0
; COMPUTE_PGM_RSRC2:TGID_Z_EN: 0
; COMPUTE_PGM_RSRC2:TIDIG_COMP_CNT: 0
; COMPUTE_PGM_RSRC3_GFX90A:ACCUM_OFFSET: 0
; COMPUTE_PGM_RSRC3_GFX90A:TG_SPLIT: 0
	.section	.text._ZN7rocprim17ROCPRIM_400000_NS6detail17trampoline_kernelINS0_14default_configENS1_38merge_sort_block_merge_config_selectorItNS0_10empty_typeEEEZZNS1_27merge_sort_block_merge_implIS3_N6thrust23THRUST_200600_302600_NS6detail15normal_iteratorINS9_10device_ptrItEEEEPS5_jNS1_19radix_merge_compareILb0ELb0EtNS0_19identity_decomposerEEEEE10hipError_tT0_T1_T2_jT3_P12ihipStream_tbPNSt15iterator_traitsISK_E10value_typeEPNSQ_ISL_E10value_typeEPSM_NS1_7vsmem_tEENKUlT_SK_SL_SM_E_clIPtSE_SF_SF_EESJ_SZ_SK_SL_SM_EUlSZ_E0_NS1_11comp_targetILNS1_3genE9ELNS1_11target_archE1100ELNS1_3gpuE3ELNS1_3repE0EEENS1_38merge_mergepath_config_static_selectorELNS0_4arch9wavefront6targetE1EEEvSL_,"axG",@progbits,_ZN7rocprim17ROCPRIM_400000_NS6detail17trampoline_kernelINS0_14default_configENS1_38merge_sort_block_merge_config_selectorItNS0_10empty_typeEEEZZNS1_27merge_sort_block_merge_implIS3_N6thrust23THRUST_200600_302600_NS6detail15normal_iteratorINS9_10device_ptrItEEEEPS5_jNS1_19radix_merge_compareILb0ELb0EtNS0_19identity_decomposerEEEEE10hipError_tT0_T1_T2_jT3_P12ihipStream_tbPNSt15iterator_traitsISK_E10value_typeEPNSQ_ISL_E10value_typeEPSM_NS1_7vsmem_tEENKUlT_SK_SL_SM_E_clIPtSE_SF_SF_EESJ_SZ_SK_SL_SM_EUlSZ_E0_NS1_11comp_targetILNS1_3genE9ELNS1_11target_archE1100ELNS1_3gpuE3ELNS1_3repE0EEENS1_38merge_mergepath_config_static_selectorELNS0_4arch9wavefront6targetE1EEEvSL_,comdat
	.protected	_ZN7rocprim17ROCPRIM_400000_NS6detail17trampoline_kernelINS0_14default_configENS1_38merge_sort_block_merge_config_selectorItNS0_10empty_typeEEEZZNS1_27merge_sort_block_merge_implIS3_N6thrust23THRUST_200600_302600_NS6detail15normal_iteratorINS9_10device_ptrItEEEEPS5_jNS1_19radix_merge_compareILb0ELb0EtNS0_19identity_decomposerEEEEE10hipError_tT0_T1_T2_jT3_P12ihipStream_tbPNSt15iterator_traitsISK_E10value_typeEPNSQ_ISL_E10value_typeEPSM_NS1_7vsmem_tEENKUlT_SK_SL_SM_E_clIPtSE_SF_SF_EESJ_SZ_SK_SL_SM_EUlSZ_E0_NS1_11comp_targetILNS1_3genE9ELNS1_11target_archE1100ELNS1_3gpuE3ELNS1_3repE0EEENS1_38merge_mergepath_config_static_selectorELNS0_4arch9wavefront6targetE1EEEvSL_ ; -- Begin function _ZN7rocprim17ROCPRIM_400000_NS6detail17trampoline_kernelINS0_14default_configENS1_38merge_sort_block_merge_config_selectorItNS0_10empty_typeEEEZZNS1_27merge_sort_block_merge_implIS3_N6thrust23THRUST_200600_302600_NS6detail15normal_iteratorINS9_10device_ptrItEEEEPS5_jNS1_19radix_merge_compareILb0ELb0EtNS0_19identity_decomposerEEEEE10hipError_tT0_T1_T2_jT3_P12ihipStream_tbPNSt15iterator_traitsISK_E10value_typeEPNSQ_ISL_E10value_typeEPSM_NS1_7vsmem_tEENKUlT_SK_SL_SM_E_clIPtSE_SF_SF_EESJ_SZ_SK_SL_SM_EUlSZ_E0_NS1_11comp_targetILNS1_3genE9ELNS1_11target_archE1100ELNS1_3gpuE3ELNS1_3repE0EEENS1_38merge_mergepath_config_static_selectorELNS0_4arch9wavefront6targetE1EEEvSL_
	.globl	_ZN7rocprim17ROCPRIM_400000_NS6detail17trampoline_kernelINS0_14default_configENS1_38merge_sort_block_merge_config_selectorItNS0_10empty_typeEEEZZNS1_27merge_sort_block_merge_implIS3_N6thrust23THRUST_200600_302600_NS6detail15normal_iteratorINS9_10device_ptrItEEEEPS5_jNS1_19radix_merge_compareILb0ELb0EtNS0_19identity_decomposerEEEEE10hipError_tT0_T1_T2_jT3_P12ihipStream_tbPNSt15iterator_traitsISK_E10value_typeEPNSQ_ISL_E10value_typeEPSM_NS1_7vsmem_tEENKUlT_SK_SL_SM_E_clIPtSE_SF_SF_EESJ_SZ_SK_SL_SM_EUlSZ_E0_NS1_11comp_targetILNS1_3genE9ELNS1_11target_archE1100ELNS1_3gpuE3ELNS1_3repE0EEENS1_38merge_mergepath_config_static_selectorELNS0_4arch9wavefront6targetE1EEEvSL_
	.p2align	8
	.type	_ZN7rocprim17ROCPRIM_400000_NS6detail17trampoline_kernelINS0_14default_configENS1_38merge_sort_block_merge_config_selectorItNS0_10empty_typeEEEZZNS1_27merge_sort_block_merge_implIS3_N6thrust23THRUST_200600_302600_NS6detail15normal_iteratorINS9_10device_ptrItEEEEPS5_jNS1_19radix_merge_compareILb0ELb0EtNS0_19identity_decomposerEEEEE10hipError_tT0_T1_T2_jT3_P12ihipStream_tbPNSt15iterator_traitsISK_E10value_typeEPNSQ_ISL_E10value_typeEPSM_NS1_7vsmem_tEENKUlT_SK_SL_SM_E_clIPtSE_SF_SF_EESJ_SZ_SK_SL_SM_EUlSZ_E0_NS1_11comp_targetILNS1_3genE9ELNS1_11target_archE1100ELNS1_3gpuE3ELNS1_3repE0EEENS1_38merge_mergepath_config_static_selectorELNS0_4arch9wavefront6targetE1EEEvSL_,@function
_ZN7rocprim17ROCPRIM_400000_NS6detail17trampoline_kernelINS0_14default_configENS1_38merge_sort_block_merge_config_selectorItNS0_10empty_typeEEEZZNS1_27merge_sort_block_merge_implIS3_N6thrust23THRUST_200600_302600_NS6detail15normal_iteratorINS9_10device_ptrItEEEEPS5_jNS1_19radix_merge_compareILb0ELb0EtNS0_19identity_decomposerEEEEE10hipError_tT0_T1_T2_jT3_P12ihipStream_tbPNSt15iterator_traitsISK_E10value_typeEPNSQ_ISL_E10value_typeEPSM_NS1_7vsmem_tEENKUlT_SK_SL_SM_E_clIPtSE_SF_SF_EESJ_SZ_SK_SL_SM_EUlSZ_E0_NS1_11comp_targetILNS1_3genE9ELNS1_11target_archE1100ELNS1_3gpuE3ELNS1_3repE0EEENS1_38merge_mergepath_config_static_selectorELNS0_4arch9wavefront6targetE1EEEvSL_: ; @_ZN7rocprim17ROCPRIM_400000_NS6detail17trampoline_kernelINS0_14default_configENS1_38merge_sort_block_merge_config_selectorItNS0_10empty_typeEEEZZNS1_27merge_sort_block_merge_implIS3_N6thrust23THRUST_200600_302600_NS6detail15normal_iteratorINS9_10device_ptrItEEEEPS5_jNS1_19radix_merge_compareILb0ELb0EtNS0_19identity_decomposerEEEEE10hipError_tT0_T1_T2_jT3_P12ihipStream_tbPNSt15iterator_traitsISK_E10value_typeEPNSQ_ISL_E10value_typeEPSM_NS1_7vsmem_tEENKUlT_SK_SL_SM_E_clIPtSE_SF_SF_EESJ_SZ_SK_SL_SM_EUlSZ_E0_NS1_11comp_targetILNS1_3genE9ELNS1_11target_archE1100ELNS1_3gpuE3ELNS1_3repE0EEENS1_38merge_mergepath_config_static_selectorELNS0_4arch9wavefront6targetE1EEEvSL_
; %bb.0:
	.section	.rodata,"a",@progbits
	.p2align	6, 0x0
	.amdhsa_kernel _ZN7rocprim17ROCPRIM_400000_NS6detail17trampoline_kernelINS0_14default_configENS1_38merge_sort_block_merge_config_selectorItNS0_10empty_typeEEEZZNS1_27merge_sort_block_merge_implIS3_N6thrust23THRUST_200600_302600_NS6detail15normal_iteratorINS9_10device_ptrItEEEEPS5_jNS1_19radix_merge_compareILb0ELb0EtNS0_19identity_decomposerEEEEE10hipError_tT0_T1_T2_jT3_P12ihipStream_tbPNSt15iterator_traitsISK_E10value_typeEPNSQ_ISL_E10value_typeEPSM_NS1_7vsmem_tEENKUlT_SK_SL_SM_E_clIPtSE_SF_SF_EESJ_SZ_SK_SL_SM_EUlSZ_E0_NS1_11comp_targetILNS1_3genE9ELNS1_11target_archE1100ELNS1_3gpuE3ELNS1_3repE0EEENS1_38merge_mergepath_config_static_selectorELNS0_4arch9wavefront6targetE1EEEvSL_
		.amdhsa_group_segment_fixed_size 0
		.amdhsa_private_segment_fixed_size 0
		.amdhsa_kernarg_size 64
		.amdhsa_user_sgpr_count 6
		.amdhsa_user_sgpr_private_segment_buffer 1
		.amdhsa_user_sgpr_dispatch_ptr 0
		.amdhsa_user_sgpr_queue_ptr 0
		.amdhsa_user_sgpr_kernarg_segment_ptr 1
		.amdhsa_user_sgpr_dispatch_id 0
		.amdhsa_user_sgpr_flat_scratch_init 0
		.amdhsa_user_sgpr_kernarg_preload_length 0
		.amdhsa_user_sgpr_kernarg_preload_offset 0
		.amdhsa_user_sgpr_private_segment_size 0
		.amdhsa_uses_dynamic_stack 0
		.amdhsa_system_sgpr_private_segment_wavefront_offset 0
		.amdhsa_system_sgpr_workgroup_id_x 1
		.amdhsa_system_sgpr_workgroup_id_y 0
		.amdhsa_system_sgpr_workgroup_id_z 0
		.amdhsa_system_sgpr_workgroup_info 0
		.amdhsa_system_vgpr_workitem_id 0
		.amdhsa_next_free_vgpr 1
		.amdhsa_next_free_sgpr 0
		.amdhsa_accum_offset 4
		.amdhsa_reserve_vcc 0
		.amdhsa_reserve_flat_scratch 0
		.amdhsa_float_round_mode_32 0
		.amdhsa_float_round_mode_16_64 0
		.amdhsa_float_denorm_mode_32 3
		.amdhsa_float_denorm_mode_16_64 3
		.amdhsa_dx10_clamp 1
		.amdhsa_ieee_mode 1
		.amdhsa_fp16_overflow 0
		.amdhsa_tg_split 0
		.amdhsa_exception_fp_ieee_invalid_op 0
		.amdhsa_exception_fp_denorm_src 0
		.amdhsa_exception_fp_ieee_div_zero 0
		.amdhsa_exception_fp_ieee_overflow 0
		.amdhsa_exception_fp_ieee_underflow 0
		.amdhsa_exception_fp_ieee_inexact 0
		.amdhsa_exception_int_div_zero 0
	.end_amdhsa_kernel
	.section	.text._ZN7rocprim17ROCPRIM_400000_NS6detail17trampoline_kernelINS0_14default_configENS1_38merge_sort_block_merge_config_selectorItNS0_10empty_typeEEEZZNS1_27merge_sort_block_merge_implIS3_N6thrust23THRUST_200600_302600_NS6detail15normal_iteratorINS9_10device_ptrItEEEEPS5_jNS1_19radix_merge_compareILb0ELb0EtNS0_19identity_decomposerEEEEE10hipError_tT0_T1_T2_jT3_P12ihipStream_tbPNSt15iterator_traitsISK_E10value_typeEPNSQ_ISL_E10value_typeEPSM_NS1_7vsmem_tEENKUlT_SK_SL_SM_E_clIPtSE_SF_SF_EESJ_SZ_SK_SL_SM_EUlSZ_E0_NS1_11comp_targetILNS1_3genE9ELNS1_11target_archE1100ELNS1_3gpuE3ELNS1_3repE0EEENS1_38merge_mergepath_config_static_selectorELNS0_4arch9wavefront6targetE1EEEvSL_,"axG",@progbits,_ZN7rocprim17ROCPRIM_400000_NS6detail17trampoline_kernelINS0_14default_configENS1_38merge_sort_block_merge_config_selectorItNS0_10empty_typeEEEZZNS1_27merge_sort_block_merge_implIS3_N6thrust23THRUST_200600_302600_NS6detail15normal_iteratorINS9_10device_ptrItEEEEPS5_jNS1_19radix_merge_compareILb0ELb0EtNS0_19identity_decomposerEEEEE10hipError_tT0_T1_T2_jT3_P12ihipStream_tbPNSt15iterator_traitsISK_E10value_typeEPNSQ_ISL_E10value_typeEPSM_NS1_7vsmem_tEENKUlT_SK_SL_SM_E_clIPtSE_SF_SF_EESJ_SZ_SK_SL_SM_EUlSZ_E0_NS1_11comp_targetILNS1_3genE9ELNS1_11target_archE1100ELNS1_3gpuE3ELNS1_3repE0EEENS1_38merge_mergepath_config_static_selectorELNS0_4arch9wavefront6targetE1EEEvSL_,comdat
.Lfunc_end1220:
	.size	_ZN7rocprim17ROCPRIM_400000_NS6detail17trampoline_kernelINS0_14default_configENS1_38merge_sort_block_merge_config_selectorItNS0_10empty_typeEEEZZNS1_27merge_sort_block_merge_implIS3_N6thrust23THRUST_200600_302600_NS6detail15normal_iteratorINS9_10device_ptrItEEEEPS5_jNS1_19radix_merge_compareILb0ELb0EtNS0_19identity_decomposerEEEEE10hipError_tT0_T1_T2_jT3_P12ihipStream_tbPNSt15iterator_traitsISK_E10value_typeEPNSQ_ISL_E10value_typeEPSM_NS1_7vsmem_tEENKUlT_SK_SL_SM_E_clIPtSE_SF_SF_EESJ_SZ_SK_SL_SM_EUlSZ_E0_NS1_11comp_targetILNS1_3genE9ELNS1_11target_archE1100ELNS1_3gpuE3ELNS1_3repE0EEENS1_38merge_mergepath_config_static_selectorELNS0_4arch9wavefront6targetE1EEEvSL_, .Lfunc_end1220-_ZN7rocprim17ROCPRIM_400000_NS6detail17trampoline_kernelINS0_14default_configENS1_38merge_sort_block_merge_config_selectorItNS0_10empty_typeEEEZZNS1_27merge_sort_block_merge_implIS3_N6thrust23THRUST_200600_302600_NS6detail15normal_iteratorINS9_10device_ptrItEEEEPS5_jNS1_19radix_merge_compareILb0ELb0EtNS0_19identity_decomposerEEEEE10hipError_tT0_T1_T2_jT3_P12ihipStream_tbPNSt15iterator_traitsISK_E10value_typeEPNSQ_ISL_E10value_typeEPSM_NS1_7vsmem_tEENKUlT_SK_SL_SM_E_clIPtSE_SF_SF_EESJ_SZ_SK_SL_SM_EUlSZ_E0_NS1_11comp_targetILNS1_3genE9ELNS1_11target_archE1100ELNS1_3gpuE3ELNS1_3repE0EEENS1_38merge_mergepath_config_static_selectorELNS0_4arch9wavefront6targetE1EEEvSL_
                                        ; -- End function
	.section	.AMDGPU.csdata,"",@progbits
; Kernel info:
; codeLenInByte = 0
; NumSgprs: 4
; NumVgprs: 0
; NumAgprs: 0
; TotalNumVgprs: 0
; ScratchSize: 0
; MemoryBound: 0
; FloatMode: 240
; IeeeMode: 1
; LDSByteSize: 0 bytes/workgroup (compile time only)
; SGPRBlocks: 0
; VGPRBlocks: 0
; NumSGPRsForWavesPerEU: 4
; NumVGPRsForWavesPerEU: 1
; AccumOffset: 4
; Occupancy: 8
; WaveLimiterHint : 0
; COMPUTE_PGM_RSRC2:SCRATCH_EN: 0
; COMPUTE_PGM_RSRC2:USER_SGPR: 6
; COMPUTE_PGM_RSRC2:TRAP_HANDLER: 0
; COMPUTE_PGM_RSRC2:TGID_X_EN: 1
; COMPUTE_PGM_RSRC2:TGID_Y_EN: 0
; COMPUTE_PGM_RSRC2:TGID_Z_EN: 0
; COMPUTE_PGM_RSRC2:TIDIG_COMP_CNT: 0
; COMPUTE_PGM_RSRC3_GFX90A:ACCUM_OFFSET: 0
; COMPUTE_PGM_RSRC3_GFX90A:TG_SPLIT: 0
	.section	.text._ZN7rocprim17ROCPRIM_400000_NS6detail17trampoline_kernelINS0_14default_configENS1_38merge_sort_block_merge_config_selectorItNS0_10empty_typeEEEZZNS1_27merge_sort_block_merge_implIS3_N6thrust23THRUST_200600_302600_NS6detail15normal_iteratorINS9_10device_ptrItEEEEPS5_jNS1_19radix_merge_compareILb0ELb0EtNS0_19identity_decomposerEEEEE10hipError_tT0_T1_T2_jT3_P12ihipStream_tbPNSt15iterator_traitsISK_E10value_typeEPNSQ_ISL_E10value_typeEPSM_NS1_7vsmem_tEENKUlT_SK_SL_SM_E_clIPtSE_SF_SF_EESJ_SZ_SK_SL_SM_EUlSZ_E0_NS1_11comp_targetILNS1_3genE8ELNS1_11target_archE1030ELNS1_3gpuE2ELNS1_3repE0EEENS1_38merge_mergepath_config_static_selectorELNS0_4arch9wavefront6targetE1EEEvSL_,"axG",@progbits,_ZN7rocprim17ROCPRIM_400000_NS6detail17trampoline_kernelINS0_14default_configENS1_38merge_sort_block_merge_config_selectorItNS0_10empty_typeEEEZZNS1_27merge_sort_block_merge_implIS3_N6thrust23THRUST_200600_302600_NS6detail15normal_iteratorINS9_10device_ptrItEEEEPS5_jNS1_19radix_merge_compareILb0ELb0EtNS0_19identity_decomposerEEEEE10hipError_tT0_T1_T2_jT3_P12ihipStream_tbPNSt15iterator_traitsISK_E10value_typeEPNSQ_ISL_E10value_typeEPSM_NS1_7vsmem_tEENKUlT_SK_SL_SM_E_clIPtSE_SF_SF_EESJ_SZ_SK_SL_SM_EUlSZ_E0_NS1_11comp_targetILNS1_3genE8ELNS1_11target_archE1030ELNS1_3gpuE2ELNS1_3repE0EEENS1_38merge_mergepath_config_static_selectorELNS0_4arch9wavefront6targetE1EEEvSL_,comdat
	.protected	_ZN7rocprim17ROCPRIM_400000_NS6detail17trampoline_kernelINS0_14default_configENS1_38merge_sort_block_merge_config_selectorItNS0_10empty_typeEEEZZNS1_27merge_sort_block_merge_implIS3_N6thrust23THRUST_200600_302600_NS6detail15normal_iteratorINS9_10device_ptrItEEEEPS5_jNS1_19radix_merge_compareILb0ELb0EtNS0_19identity_decomposerEEEEE10hipError_tT0_T1_T2_jT3_P12ihipStream_tbPNSt15iterator_traitsISK_E10value_typeEPNSQ_ISL_E10value_typeEPSM_NS1_7vsmem_tEENKUlT_SK_SL_SM_E_clIPtSE_SF_SF_EESJ_SZ_SK_SL_SM_EUlSZ_E0_NS1_11comp_targetILNS1_3genE8ELNS1_11target_archE1030ELNS1_3gpuE2ELNS1_3repE0EEENS1_38merge_mergepath_config_static_selectorELNS0_4arch9wavefront6targetE1EEEvSL_ ; -- Begin function _ZN7rocprim17ROCPRIM_400000_NS6detail17trampoline_kernelINS0_14default_configENS1_38merge_sort_block_merge_config_selectorItNS0_10empty_typeEEEZZNS1_27merge_sort_block_merge_implIS3_N6thrust23THRUST_200600_302600_NS6detail15normal_iteratorINS9_10device_ptrItEEEEPS5_jNS1_19radix_merge_compareILb0ELb0EtNS0_19identity_decomposerEEEEE10hipError_tT0_T1_T2_jT3_P12ihipStream_tbPNSt15iterator_traitsISK_E10value_typeEPNSQ_ISL_E10value_typeEPSM_NS1_7vsmem_tEENKUlT_SK_SL_SM_E_clIPtSE_SF_SF_EESJ_SZ_SK_SL_SM_EUlSZ_E0_NS1_11comp_targetILNS1_3genE8ELNS1_11target_archE1030ELNS1_3gpuE2ELNS1_3repE0EEENS1_38merge_mergepath_config_static_selectorELNS0_4arch9wavefront6targetE1EEEvSL_
	.globl	_ZN7rocprim17ROCPRIM_400000_NS6detail17trampoline_kernelINS0_14default_configENS1_38merge_sort_block_merge_config_selectorItNS0_10empty_typeEEEZZNS1_27merge_sort_block_merge_implIS3_N6thrust23THRUST_200600_302600_NS6detail15normal_iteratorINS9_10device_ptrItEEEEPS5_jNS1_19radix_merge_compareILb0ELb0EtNS0_19identity_decomposerEEEEE10hipError_tT0_T1_T2_jT3_P12ihipStream_tbPNSt15iterator_traitsISK_E10value_typeEPNSQ_ISL_E10value_typeEPSM_NS1_7vsmem_tEENKUlT_SK_SL_SM_E_clIPtSE_SF_SF_EESJ_SZ_SK_SL_SM_EUlSZ_E0_NS1_11comp_targetILNS1_3genE8ELNS1_11target_archE1030ELNS1_3gpuE2ELNS1_3repE0EEENS1_38merge_mergepath_config_static_selectorELNS0_4arch9wavefront6targetE1EEEvSL_
	.p2align	8
	.type	_ZN7rocprim17ROCPRIM_400000_NS6detail17trampoline_kernelINS0_14default_configENS1_38merge_sort_block_merge_config_selectorItNS0_10empty_typeEEEZZNS1_27merge_sort_block_merge_implIS3_N6thrust23THRUST_200600_302600_NS6detail15normal_iteratorINS9_10device_ptrItEEEEPS5_jNS1_19radix_merge_compareILb0ELb0EtNS0_19identity_decomposerEEEEE10hipError_tT0_T1_T2_jT3_P12ihipStream_tbPNSt15iterator_traitsISK_E10value_typeEPNSQ_ISL_E10value_typeEPSM_NS1_7vsmem_tEENKUlT_SK_SL_SM_E_clIPtSE_SF_SF_EESJ_SZ_SK_SL_SM_EUlSZ_E0_NS1_11comp_targetILNS1_3genE8ELNS1_11target_archE1030ELNS1_3gpuE2ELNS1_3repE0EEENS1_38merge_mergepath_config_static_selectorELNS0_4arch9wavefront6targetE1EEEvSL_,@function
_ZN7rocprim17ROCPRIM_400000_NS6detail17trampoline_kernelINS0_14default_configENS1_38merge_sort_block_merge_config_selectorItNS0_10empty_typeEEEZZNS1_27merge_sort_block_merge_implIS3_N6thrust23THRUST_200600_302600_NS6detail15normal_iteratorINS9_10device_ptrItEEEEPS5_jNS1_19radix_merge_compareILb0ELb0EtNS0_19identity_decomposerEEEEE10hipError_tT0_T1_T2_jT3_P12ihipStream_tbPNSt15iterator_traitsISK_E10value_typeEPNSQ_ISL_E10value_typeEPSM_NS1_7vsmem_tEENKUlT_SK_SL_SM_E_clIPtSE_SF_SF_EESJ_SZ_SK_SL_SM_EUlSZ_E0_NS1_11comp_targetILNS1_3genE8ELNS1_11target_archE1030ELNS1_3gpuE2ELNS1_3repE0EEENS1_38merge_mergepath_config_static_selectorELNS0_4arch9wavefront6targetE1EEEvSL_: ; @_ZN7rocprim17ROCPRIM_400000_NS6detail17trampoline_kernelINS0_14default_configENS1_38merge_sort_block_merge_config_selectorItNS0_10empty_typeEEEZZNS1_27merge_sort_block_merge_implIS3_N6thrust23THRUST_200600_302600_NS6detail15normal_iteratorINS9_10device_ptrItEEEEPS5_jNS1_19radix_merge_compareILb0ELb0EtNS0_19identity_decomposerEEEEE10hipError_tT0_T1_T2_jT3_P12ihipStream_tbPNSt15iterator_traitsISK_E10value_typeEPNSQ_ISL_E10value_typeEPSM_NS1_7vsmem_tEENKUlT_SK_SL_SM_E_clIPtSE_SF_SF_EESJ_SZ_SK_SL_SM_EUlSZ_E0_NS1_11comp_targetILNS1_3genE8ELNS1_11target_archE1030ELNS1_3gpuE2ELNS1_3repE0EEENS1_38merge_mergepath_config_static_selectorELNS0_4arch9wavefront6targetE1EEEvSL_
; %bb.0:
	.section	.rodata,"a",@progbits
	.p2align	6, 0x0
	.amdhsa_kernel _ZN7rocprim17ROCPRIM_400000_NS6detail17trampoline_kernelINS0_14default_configENS1_38merge_sort_block_merge_config_selectorItNS0_10empty_typeEEEZZNS1_27merge_sort_block_merge_implIS3_N6thrust23THRUST_200600_302600_NS6detail15normal_iteratorINS9_10device_ptrItEEEEPS5_jNS1_19radix_merge_compareILb0ELb0EtNS0_19identity_decomposerEEEEE10hipError_tT0_T1_T2_jT3_P12ihipStream_tbPNSt15iterator_traitsISK_E10value_typeEPNSQ_ISL_E10value_typeEPSM_NS1_7vsmem_tEENKUlT_SK_SL_SM_E_clIPtSE_SF_SF_EESJ_SZ_SK_SL_SM_EUlSZ_E0_NS1_11comp_targetILNS1_3genE8ELNS1_11target_archE1030ELNS1_3gpuE2ELNS1_3repE0EEENS1_38merge_mergepath_config_static_selectorELNS0_4arch9wavefront6targetE1EEEvSL_
		.amdhsa_group_segment_fixed_size 0
		.amdhsa_private_segment_fixed_size 0
		.amdhsa_kernarg_size 64
		.amdhsa_user_sgpr_count 6
		.amdhsa_user_sgpr_private_segment_buffer 1
		.amdhsa_user_sgpr_dispatch_ptr 0
		.amdhsa_user_sgpr_queue_ptr 0
		.amdhsa_user_sgpr_kernarg_segment_ptr 1
		.amdhsa_user_sgpr_dispatch_id 0
		.amdhsa_user_sgpr_flat_scratch_init 0
		.amdhsa_user_sgpr_kernarg_preload_length 0
		.amdhsa_user_sgpr_kernarg_preload_offset 0
		.amdhsa_user_sgpr_private_segment_size 0
		.amdhsa_uses_dynamic_stack 0
		.amdhsa_system_sgpr_private_segment_wavefront_offset 0
		.amdhsa_system_sgpr_workgroup_id_x 1
		.amdhsa_system_sgpr_workgroup_id_y 0
		.amdhsa_system_sgpr_workgroup_id_z 0
		.amdhsa_system_sgpr_workgroup_info 0
		.amdhsa_system_vgpr_workitem_id 0
		.amdhsa_next_free_vgpr 1
		.amdhsa_next_free_sgpr 0
		.amdhsa_accum_offset 4
		.amdhsa_reserve_vcc 0
		.amdhsa_reserve_flat_scratch 0
		.amdhsa_float_round_mode_32 0
		.amdhsa_float_round_mode_16_64 0
		.amdhsa_float_denorm_mode_32 3
		.amdhsa_float_denorm_mode_16_64 3
		.amdhsa_dx10_clamp 1
		.amdhsa_ieee_mode 1
		.amdhsa_fp16_overflow 0
		.amdhsa_tg_split 0
		.amdhsa_exception_fp_ieee_invalid_op 0
		.amdhsa_exception_fp_denorm_src 0
		.amdhsa_exception_fp_ieee_div_zero 0
		.amdhsa_exception_fp_ieee_overflow 0
		.amdhsa_exception_fp_ieee_underflow 0
		.amdhsa_exception_fp_ieee_inexact 0
		.amdhsa_exception_int_div_zero 0
	.end_amdhsa_kernel
	.section	.text._ZN7rocprim17ROCPRIM_400000_NS6detail17trampoline_kernelINS0_14default_configENS1_38merge_sort_block_merge_config_selectorItNS0_10empty_typeEEEZZNS1_27merge_sort_block_merge_implIS3_N6thrust23THRUST_200600_302600_NS6detail15normal_iteratorINS9_10device_ptrItEEEEPS5_jNS1_19radix_merge_compareILb0ELb0EtNS0_19identity_decomposerEEEEE10hipError_tT0_T1_T2_jT3_P12ihipStream_tbPNSt15iterator_traitsISK_E10value_typeEPNSQ_ISL_E10value_typeEPSM_NS1_7vsmem_tEENKUlT_SK_SL_SM_E_clIPtSE_SF_SF_EESJ_SZ_SK_SL_SM_EUlSZ_E0_NS1_11comp_targetILNS1_3genE8ELNS1_11target_archE1030ELNS1_3gpuE2ELNS1_3repE0EEENS1_38merge_mergepath_config_static_selectorELNS0_4arch9wavefront6targetE1EEEvSL_,"axG",@progbits,_ZN7rocprim17ROCPRIM_400000_NS6detail17trampoline_kernelINS0_14default_configENS1_38merge_sort_block_merge_config_selectorItNS0_10empty_typeEEEZZNS1_27merge_sort_block_merge_implIS3_N6thrust23THRUST_200600_302600_NS6detail15normal_iteratorINS9_10device_ptrItEEEEPS5_jNS1_19radix_merge_compareILb0ELb0EtNS0_19identity_decomposerEEEEE10hipError_tT0_T1_T2_jT3_P12ihipStream_tbPNSt15iterator_traitsISK_E10value_typeEPNSQ_ISL_E10value_typeEPSM_NS1_7vsmem_tEENKUlT_SK_SL_SM_E_clIPtSE_SF_SF_EESJ_SZ_SK_SL_SM_EUlSZ_E0_NS1_11comp_targetILNS1_3genE8ELNS1_11target_archE1030ELNS1_3gpuE2ELNS1_3repE0EEENS1_38merge_mergepath_config_static_selectorELNS0_4arch9wavefront6targetE1EEEvSL_,comdat
.Lfunc_end1221:
	.size	_ZN7rocprim17ROCPRIM_400000_NS6detail17trampoline_kernelINS0_14default_configENS1_38merge_sort_block_merge_config_selectorItNS0_10empty_typeEEEZZNS1_27merge_sort_block_merge_implIS3_N6thrust23THRUST_200600_302600_NS6detail15normal_iteratorINS9_10device_ptrItEEEEPS5_jNS1_19radix_merge_compareILb0ELb0EtNS0_19identity_decomposerEEEEE10hipError_tT0_T1_T2_jT3_P12ihipStream_tbPNSt15iterator_traitsISK_E10value_typeEPNSQ_ISL_E10value_typeEPSM_NS1_7vsmem_tEENKUlT_SK_SL_SM_E_clIPtSE_SF_SF_EESJ_SZ_SK_SL_SM_EUlSZ_E0_NS1_11comp_targetILNS1_3genE8ELNS1_11target_archE1030ELNS1_3gpuE2ELNS1_3repE0EEENS1_38merge_mergepath_config_static_selectorELNS0_4arch9wavefront6targetE1EEEvSL_, .Lfunc_end1221-_ZN7rocprim17ROCPRIM_400000_NS6detail17trampoline_kernelINS0_14default_configENS1_38merge_sort_block_merge_config_selectorItNS0_10empty_typeEEEZZNS1_27merge_sort_block_merge_implIS3_N6thrust23THRUST_200600_302600_NS6detail15normal_iteratorINS9_10device_ptrItEEEEPS5_jNS1_19radix_merge_compareILb0ELb0EtNS0_19identity_decomposerEEEEE10hipError_tT0_T1_T2_jT3_P12ihipStream_tbPNSt15iterator_traitsISK_E10value_typeEPNSQ_ISL_E10value_typeEPSM_NS1_7vsmem_tEENKUlT_SK_SL_SM_E_clIPtSE_SF_SF_EESJ_SZ_SK_SL_SM_EUlSZ_E0_NS1_11comp_targetILNS1_3genE8ELNS1_11target_archE1030ELNS1_3gpuE2ELNS1_3repE0EEENS1_38merge_mergepath_config_static_selectorELNS0_4arch9wavefront6targetE1EEEvSL_
                                        ; -- End function
	.section	.AMDGPU.csdata,"",@progbits
; Kernel info:
; codeLenInByte = 0
; NumSgprs: 4
; NumVgprs: 0
; NumAgprs: 0
; TotalNumVgprs: 0
; ScratchSize: 0
; MemoryBound: 0
; FloatMode: 240
; IeeeMode: 1
; LDSByteSize: 0 bytes/workgroup (compile time only)
; SGPRBlocks: 0
; VGPRBlocks: 0
; NumSGPRsForWavesPerEU: 4
; NumVGPRsForWavesPerEU: 1
; AccumOffset: 4
; Occupancy: 8
; WaveLimiterHint : 0
; COMPUTE_PGM_RSRC2:SCRATCH_EN: 0
; COMPUTE_PGM_RSRC2:USER_SGPR: 6
; COMPUTE_PGM_RSRC2:TRAP_HANDLER: 0
; COMPUTE_PGM_RSRC2:TGID_X_EN: 1
; COMPUTE_PGM_RSRC2:TGID_Y_EN: 0
; COMPUTE_PGM_RSRC2:TGID_Z_EN: 0
; COMPUTE_PGM_RSRC2:TIDIG_COMP_CNT: 0
; COMPUTE_PGM_RSRC3_GFX90A:ACCUM_OFFSET: 0
; COMPUTE_PGM_RSRC3_GFX90A:TG_SPLIT: 0
	.section	.text._ZN7rocprim17ROCPRIM_400000_NS6detail17trampoline_kernelINS0_14default_configENS1_38merge_sort_block_merge_config_selectorItNS0_10empty_typeEEEZZNS1_27merge_sort_block_merge_implIS3_N6thrust23THRUST_200600_302600_NS6detail15normal_iteratorINS9_10device_ptrItEEEEPS5_jNS1_19radix_merge_compareILb0ELb0EtNS0_19identity_decomposerEEEEE10hipError_tT0_T1_T2_jT3_P12ihipStream_tbPNSt15iterator_traitsISK_E10value_typeEPNSQ_ISL_E10value_typeEPSM_NS1_7vsmem_tEENKUlT_SK_SL_SM_E_clIPtSE_SF_SF_EESJ_SZ_SK_SL_SM_EUlSZ_E1_NS1_11comp_targetILNS1_3genE0ELNS1_11target_archE4294967295ELNS1_3gpuE0ELNS1_3repE0EEENS1_36merge_oddeven_config_static_selectorELNS0_4arch9wavefront6targetE1EEEvSL_,"axG",@progbits,_ZN7rocprim17ROCPRIM_400000_NS6detail17trampoline_kernelINS0_14default_configENS1_38merge_sort_block_merge_config_selectorItNS0_10empty_typeEEEZZNS1_27merge_sort_block_merge_implIS3_N6thrust23THRUST_200600_302600_NS6detail15normal_iteratorINS9_10device_ptrItEEEEPS5_jNS1_19radix_merge_compareILb0ELb0EtNS0_19identity_decomposerEEEEE10hipError_tT0_T1_T2_jT3_P12ihipStream_tbPNSt15iterator_traitsISK_E10value_typeEPNSQ_ISL_E10value_typeEPSM_NS1_7vsmem_tEENKUlT_SK_SL_SM_E_clIPtSE_SF_SF_EESJ_SZ_SK_SL_SM_EUlSZ_E1_NS1_11comp_targetILNS1_3genE0ELNS1_11target_archE4294967295ELNS1_3gpuE0ELNS1_3repE0EEENS1_36merge_oddeven_config_static_selectorELNS0_4arch9wavefront6targetE1EEEvSL_,comdat
	.protected	_ZN7rocprim17ROCPRIM_400000_NS6detail17trampoline_kernelINS0_14default_configENS1_38merge_sort_block_merge_config_selectorItNS0_10empty_typeEEEZZNS1_27merge_sort_block_merge_implIS3_N6thrust23THRUST_200600_302600_NS6detail15normal_iteratorINS9_10device_ptrItEEEEPS5_jNS1_19radix_merge_compareILb0ELb0EtNS0_19identity_decomposerEEEEE10hipError_tT0_T1_T2_jT3_P12ihipStream_tbPNSt15iterator_traitsISK_E10value_typeEPNSQ_ISL_E10value_typeEPSM_NS1_7vsmem_tEENKUlT_SK_SL_SM_E_clIPtSE_SF_SF_EESJ_SZ_SK_SL_SM_EUlSZ_E1_NS1_11comp_targetILNS1_3genE0ELNS1_11target_archE4294967295ELNS1_3gpuE0ELNS1_3repE0EEENS1_36merge_oddeven_config_static_selectorELNS0_4arch9wavefront6targetE1EEEvSL_ ; -- Begin function _ZN7rocprim17ROCPRIM_400000_NS6detail17trampoline_kernelINS0_14default_configENS1_38merge_sort_block_merge_config_selectorItNS0_10empty_typeEEEZZNS1_27merge_sort_block_merge_implIS3_N6thrust23THRUST_200600_302600_NS6detail15normal_iteratorINS9_10device_ptrItEEEEPS5_jNS1_19radix_merge_compareILb0ELb0EtNS0_19identity_decomposerEEEEE10hipError_tT0_T1_T2_jT3_P12ihipStream_tbPNSt15iterator_traitsISK_E10value_typeEPNSQ_ISL_E10value_typeEPSM_NS1_7vsmem_tEENKUlT_SK_SL_SM_E_clIPtSE_SF_SF_EESJ_SZ_SK_SL_SM_EUlSZ_E1_NS1_11comp_targetILNS1_3genE0ELNS1_11target_archE4294967295ELNS1_3gpuE0ELNS1_3repE0EEENS1_36merge_oddeven_config_static_selectorELNS0_4arch9wavefront6targetE1EEEvSL_
	.globl	_ZN7rocprim17ROCPRIM_400000_NS6detail17trampoline_kernelINS0_14default_configENS1_38merge_sort_block_merge_config_selectorItNS0_10empty_typeEEEZZNS1_27merge_sort_block_merge_implIS3_N6thrust23THRUST_200600_302600_NS6detail15normal_iteratorINS9_10device_ptrItEEEEPS5_jNS1_19radix_merge_compareILb0ELb0EtNS0_19identity_decomposerEEEEE10hipError_tT0_T1_T2_jT3_P12ihipStream_tbPNSt15iterator_traitsISK_E10value_typeEPNSQ_ISL_E10value_typeEPSM_NS1_7vsmem_tEENKUlT_SK_SL_SM_E_clIPtSE_SF_SF_EESJ_SZ_SK_SL_SM_EUlSZ_E1_NS1_11comp_targetILNS1_3genE0ELNS1_11target_archE4294967295ELNS1_3gpuE0ELNS1_3repE0EEENS1_36merge_oddeven_config_static_selectorELNS0_4arch9wavefront6targetE1EEEvSL_
	.p2align	8
	.type	_ZN7rocprim17ROCPRIM_400000_NS6detail17trampoline_kernelINS0_14default_configENS1_38merge_sort_block_merge_config_selectorItNS0_10empty_typeEEEZZNS1_27merge_sort_block_merge_implIS3_N6thrust23THRUST_200600_302600_NS6detail15normal_iteratorINS9_10device_ptrItEEEEPS5_jNS1_19radix_merge_compareILb0ELb0EtNS0_19identity_decomposerEEEEE10hipError_tT0_T1_T2_jT3_P12ihipStream_tbPNSt15iterator_traitsISK_E10value_typeEPNSQ_ISL_E10value_typeEPSM_NS1_7vsmem_tEENKUlT_SK_SL_SM_E_clIPtSE_SF_SF_EESJ_SZ_SK_SL_SM_EUlSZ_E1_NS1_11comp_targetILNS1_3genE0ELNS1_11target_archE4294967295ELNS1_3gpuE0ELNS1_3repE0EEENS1_36merge_oddeven_config_static_selectorELNS0_4arch9wavefront6targetE1EEEvSL_,@function
_ZN7rocprim17ROCPRIM_400000_NS6detail17trampoline_kernelINS0_14default_configENS1_38merge_sort_block_merge_config_selectorItNS0_10empty_typeEEEZZNS1_27merge_sort_block_merge_implIS3_N6thrust23THRUST_200600_302600_NS6detail15normal_iteratorINS9_10device_ptrItEEEEPS5_jNS1_19radix_merge_compareILb0ELb0EtNS0_19identity_decomposerEEEEE10hipError_tT0_T1_T2_jT3_P12ihipStream_tbPNSt15iterator_traitsISK_E10value_typeEPNSQ_ISL_E10value_typeEPSM_NS1_7vsmem_tEENKUlT_SK_SL_SM_E_clIPtSE_SF_SF_EESJ_SZ_SK_SL_SM_EUlSZ_E1_NS1_11comp_targetILNS1_3genE0ELNS1_11target_archE4294967295ELNS1_3gpuE0ELNS1_3repE0EEENS1_36merge_oddeven_config_static_selectorELNS0_4arch9wavefront6targetE1EEEvSL_: ; @_ZN7rocprim17ROCPRIM_400000_NS6detail17trampoline_kernelINS0_14default_configENS1_38merge_sort_block_merge_config_selectorItNS0_10empty_typeEEEZZNS1_27merge_sort_block_merge_implIS3_N6thrust23THRUST_200600_302600_NS6detail15normal_iteratorINS9_10device_ptrItEEEEPS5_jNS1_19radix_merge_compareILb0ELb0EtNS0_19identity_decomposerEEEEE10hipError_tT0_T1_T2_jT3_P12ihipStream_tbPNSt15iterator_traitsISK_E10value_typeEPNSQ_ISL_E10value_typeEPSM_NS1_7vsmem_tEENKUlT_SK_SL_SM_E_clIPtSE_SF_SF_EESJ_SZ_SK_SL_SM_EUlSZ_E1_NS1_11comp_targetILNS1_3genE0ELNS1_11target_archE4294967295ELNS1_3gpuE0ELNS1_3repE0EEENS1_36merge_oddeven_config_static_selectorELNS0_4arch9wavefront6targetE1EEEvSL_
; %bb.0:
	.section	.rodata,"a",@progbits
	.p2align	6, 0x0
	.amdhsa_kernel _ZN7rocprim17ROCPRIM_400000_NS6detail17trampoline_kernelINS0_14default_configENS1_38merge_sort_block_merge_config_selectorItNS0_10empty_typeEEEZZNS1_27merge_sort_block_merge_implIS3_N6thrust23THRUST_200600_302600_NS6detail15normal_iteratorINS9_10device_ptrItEEEEPS5_jNS1_19radix_merge_compareILb0ELb0EtNS0_19identity_decomposerEEEEE10hipError_tT0_T1_T2_jT3_P12ihipStream_tbPNSt15iterator_traitsISK_E10value_typeEPNSQ_ISL_E10value_typeEPSM_NS1_7vsmem_tEENKUlT_SK_SL_SM_E_clIPtSE_SF_SF_EESJ_SZ_SK_SL_SM_EUlSZ_E1_NS1_11comp_targetILNS1_3genE0ELNS1_11target_archE4294967295ELNS1_3gpuE0ELNS1_3repE0EEENS1_36merge_oddeven_config_static_selectorELNS0_4arch9wavefront6targetE1EEEvSL_
		.amdhsa_group_segment_fixed_size 0
		.amdhsa_private_segment_fixed_size 0
		.amdhsa_kernarg_size 48
		.amdhsa_user_sgpr_count 6
		.amdhsa_user_sgpr_private_segment_buffer 1
		.amdhsa_user_sgpr_dispatch_ptr 0
		.amdhsa_user_sgpr_queue_ptr 0
		.amdhsa_user_sgpr_kernarg_segment_ptr 1
		.amdhsa_user_sgpr_dispatch_id 0
		.amdhsa_user_sgpr_flat_scratch_init 0
		.amdhsa_user_sgpr_kernarg_preload_length 0
		.amdhsa_user_sgpr_kernarg_preload_offset 0
		.amdhsa_user_sgpr_private_segment_size 0
		.amdhsa_uses_dynamic_stack 0
		.amdhsa_system_sgpr_private_segment_wavefront_offset 0
		.amdhsa_system_sgpr_workgroup_id_x 1
		.amdhsa_system_sgpr_workgroup_id_y 0
		.amdhsa_system_sgpr_workgroup_id_z 0
		.amdhsa_system_sgpr_workgroup_info 0
		.amdhsa_system_vgpr_workitem_id 0
		.amdhsa_next_free_vgpr 1
		.amdhsa_next_free_sgpr 0
		.amdhsa_accum_offset 4
		.amdhsa_reserve_vcc 0
		.amdhsa_reserve_flat_scratch 0
		.amdhsa_float_round_mode_32 0
		.amdhsa_float_round_mode_16_64 0
		.amdhsa_float_denorm_mode_32 3
		.amdhsa_float_denorm_mode_16_64 3
		.amdhsa_dx10_clamp 1
		.amdhsa_ieee_mode 1
		.amdhsa_fp16_overflow 0
		.amdhsa_tg_split 0
		.amdhsa_exception_fp_ieee_invalid_op 0
		.amdhsa_exception_fp_denorm_src 0
		.amdhsa_exception_fp_ieee_div_zero 0
		.amdhsa_exception_fp_ieee_overflow 0
		.amdhsa_exception_fp_ieee_underflow 0
		.amdhsa_exception_fp_ieee_inexact 0
		.amdhsa_exception_int_div_zero 0
	.end_amdhsa_kernel
	.section	.text._ZN7rocprim17ROCPRIM_400000_NS6detail17trampoline_kernelINS0_14default_configENS1_38merge_sort_block_merge_config_selectorItNS0_10empty_typeEEEZZNS1_27merge_sort_block_merge_implIS3_N6thrust23THRUST_200600_302600_NS6detail15normal_iteratorINS9_10device_ptrItEEEEPS5_jNS1_19radix_merge_compareILb0ELb0EtNS0_19identity_decomposerEEEEE10hipError_tT0_T1_T2_jT3_P12ihipStream_tbPNSt15iterator_traitsISK_E10value_typeEPNSQ_ISL_E10value_typeEPSM_NS1_7vsmem_tEENKUlT_SK_SL_SM_E_clIPtSE_SF_SF_EESJ_SZ_SK_SL_SM_EUlSZ_E1_NS1_11comp_targetILNS1_3genE0ELNS1_11target_archE4294967295ELNS1_3gpuE0ELNS1_3repE0EEENS1_36merge_oddeven_config_static_selectorELNS0_4arch9wavefront6targetE1EEEvSL_,"axG",@progbits,_ZN7rocprim17ROCPRIM_400000_NS6detail17trampoline_kernelINS0_14default_configENS1_38merge_sort_block_merge_config_selectorItNS0_10empty_typeEEEZZNS1_27merge_sort_block_merge_implIS3_N6thrust23THRUST_200600_302600_NS6detail15normal_iteratorINS9_10device_ptrItEEEEPS5_jNS1_19radix_merge_compareILb0ELb0EtNS0_19identity_decomposerEEEEE10hipError_tT0_T1_T2_jT3_P12ihipStream_tbPNSt15iterator_traitsISK_E10value_typeEPNSQ_ISL_E10value_typeEPSM_NS1_7vsmem_tEENKUlT_SK_SL_SM_E_clIPtSE_SF_SF_EESJ_SZ_SK_SL_SM_EUlSZ_E1_NS1_11comp_targetILNS1_3genE0ELNS1_11target_archE4294967295ELNS1_3gpuE0ELNS1_3repE0EEENS1_36merge_oddeven_config_static_selectorELNS0_4arch9wavefront6targetE1EEEvSL_,comdat
.Lfunc_end1222:
	.size	_ZN7rocprim17ROCPRIM_400000_NS6detail17trampoline_kernelINS0_14default_configENS1_38merge_sort_block_merge_config_selectorItNS0_10empty_typeEEEZZNS1_27merge_sort_block_merge_implIS3_N6thrust23THRUST_200600_302600_NS6detail15normal_iteratorINS9_10device_ptrItEEEEPS5_jNS1_19radix_merge_compareILb0ELb0EtNS0_19identity_decomposerEEEEE10hipError_tT0_T1_T2_jT3_P12ihipStream_tbPNSt15iterator_traitsISK_E10value_typeEPNSQ_ISL_E10value_typeEPSM_NS1_7vsmem_tEENKUlT_SK_SL_SM_E_clIPtSE_SF_SF_EESJ_SZ_SK_SL_SM_EUlSZ_E1_NS1_11comp_targetILNS1_3genE0ELNS1_11target_archE4294967295ELNS1_3gpuE0ELNS1_3repE0EEENS1_36merge_oddeven_config_static_selectorELNS0_4arch9wavefront6targetE1EEEvSL_, .Lfunc_end1222-_ZN7rocprim17ROCPRIM_400000_NS6detail17trampoline_kernelINS0_14default_configENS1_38merge_sort_block_merge_config_selectorItNS0_10empty_typeEEEZZNS1_27merge_sort_block_merge_implIS3_N6thrust23THRUST_200600_302600_NS6detail15normal_iteratorINS9_10device_ptrItEEEEPS5_jNS1_19radix_merge_compareILb0ELb0EtNS0_19identity_decomposerEEEEE10hipError_tT0_T1_T2_jT3_P12ihipStream_tbPNSt15iterator_traitsISK_E10value_typeEPNSQ_ISL_E10value_typeEPSM_NS1_7vsmem_tEENKUlT_SK_SL_SM_E_clIPtSE_SF_SF_EESJ_SZ_SK_SL_SM_EUlSZ_E1_NS1_11comp_targetILNS1_3genE0ELNS1_11target_archE4294967295ELNS1_3gpuE0ELNS1_3repE0EEENS1_36merge_oddeven_config_static_selectorELNS0_4arch9wavefront6targetE1EEEvSL_
                                        ; -- End function
	.section	.AMDGPU.csdata,"",@progbits
; Kernel info:
; codeLenInByte = 0
; NumSgprs: 4
; NumVgprs: 0
; NumAgprs: 0
; TotalNumVgprs: 0
; ScratchSize: 0
; MemoryBound: 0
; FloatMode: 240
; IeeeMode: 1
; LDSByteSize: 0 bytes/workgroup (compile time only)
; SGPRBlocks: 0
; VGPRBlocks: 0
; NumSGPRsForWavesPerEU: 4
; NumVGPRsForWavesPerEU: 1
; AccumOffset: 4
; Occupancy: 8
; WaveLimiterHint : 0
; COMPUTE_PGM_RSRC2:SCRATCH_EN: 0
; COMPUTE_PGM_RSRC2:USER_SGPR: 6
; COMPUTE_PGM_RSRC2:TRAP_HANDLER: 0
; COMPUTE_PGM_RSRC2:TGID_X_EN: 1
; COMPUTE_PGM_RSRC2:TGID_Y_EN: 0
; COMPUTE_PGM_RSRC2:TGID_Z_EN: 0
; COMPUTE_PGM_RSRC2:TIDIG_COMP_CNT: 0
; COMPUTE_PGM_RSRC3_GFX90A:ACCUM_OFFSET: 0
; COMPUTE_PGM_RSRC3_GFX90A:TG_SPLIT: 0
	.section	.text._ZN7rocprim17ROCPRIM_400000_NS6detail17trampoline_kernelINS0_14default_configENS1_38merge_sort_block_merge_config_selectorItNS0_10empty_typeEEEZZNS1_27merge_sort_block_merge_implIS3_N6thrust23THRUST_200600_302600_NS6detail15normal_iteratorINS9_10device_ptrItEEEEPS5_jNS1_19radix_merge_compareILb0ELb0EtNS0_19identity_decomposerEEEEE10hipError_tT0_T1_T2_jT3_P12ihipStream_tbPNSt15iterator_traitsISK_E10value_typeEPNSQ_ISL_E10value_typeEPSM_NS1_7vsmem_tEENKUlT_SK_SL_SM_E_clIPtSE_SF_SF_EESJ_SZ_SK_SL_SM_EUlSZ_E1_NS1_11comp_targetILNS1_3genE10ELNS1_11target_archE1201ELNS1_3gpuE5ELNS1_3repE0EEENS1_36merge_oddeven_config_static_selectorELNS0_4arch9wavefront6targetE1EEEvSL_,"axG",@progbits,_ZN7rocprim17ROCPRIM_400000_NS6detail17trampoline_kernelINS0_14default_configENS1_38merge_sort_block_merge_config_selectorItNS0_10empty_typeEEEZZNS1_27merge_sort_block_merge_implIS3_N6thrust23THRUST_200600_302600_NS6detail15normal_iteratorINS9_10device_ptrItEEEEPS5_jNS1_19radix_merge_compareILb0ELb0EtNS0_19identity_decomposerEEEEE10hipError_tT0_T1_T2_jT3_P12ihipStream_tbPNSt15iterator_traitsISK_E10value_typeEPNSQ_ISL_E10value_typeEPSM_NS1_7vsmem_tEENKUlT_SK_SL_SM_E_clIPtSE_SF_SF_EESJ_SZ_SK_SL_SM_EUlSZ_E1_NS1_11comp_targetILNS1_3genE10ELNS1_11target_archE1201ELNS1_3gpuE5ELNS1_3repE0EEENS1_36merge_oddeven_config_static_selectorELNS0_4arch9wavefront6targetE1EEEvSL_,comdat
	.protected	_ZN7rocprim17ROCPRIM_400000_NS6detail17trampoline_kernelINS0_14default_configENS1_38merge_sort_block_merge_config_selectorItNS0_10empty_typeEEEZZNS1_27merge_sort_block_merge_implIS3_N6thrust23THRUST_200600_302600_NS6detail15normal_iteratorINS9_10device_ptrItEEEEPS5_jNS1_19radix_merge_compareILb0ELb0EtNS0_19identity_decomposerEEEEE10hipError_tT0_T1_T2_jT3_P12ihipStream_tbPNSt15iterator_traitsISK_E10value_typeEPNSQ_ISL_E10value_typeEPSM_NS1_7vsmem_tEENKUlT_SK_SL_SM_E_clIPtSE_SF_SF_EESJ_SZ_SK_SL_SM_EUlSZ_E1_NS1_11comp_targetILNS1_3genE10ELNS1_11target_archE1201ELNS1_3gpuE5ELNS1_3repE0EEENS1_36merge_oddeven_config_static_selectorELNS0_4arch9wavefront6targetE1EEEvSL_ ; -- Begin function _ZN7rocprim17ROCPRIM_400000_NS6detail17trampoline_kernelINS0_14default_configENS1_38merge_sort_block_merge_config_selectorItNS0_10empty_typeEEEZZNS1_27merge_sort_block_merge_implIS3_N6thrust23THRUST_200600_302600_NS6detail15normal_iteratorINS9_10device_ptrItEEEEPS5_jNS1_19radix_merge_compareILb0ELb0EtNS0_19identity_decomposerEEEEE10hipError_tT0_T1_T2_jT3_P12ihipStream_tbPNSt15iterator_traitsISK_E10value_typeEPNSQ_ISL_E10value_typeEPSM_NS1_7vsmem_tEENKUlT_SK_SL_SM_E_clIPtSE_SF_SF_EESJ_SZ_SK_SL_SM_EUlSZ_E1_NS1_11comp_targetILNS1_3genE10ELNS1_11target_archE1201ELNS1_3gpuE5ELNS1_3repE0EEENS1_36merge_oddeven_config_static_selectorELNS0_4arch9wavefront6targetE1EEEvSL_
	.globl	_ZN7rocprim17ROCPRIM_400000_NS6detail17trampoline_kernelINS0_14default_configENS1_38merge_sort_block_merge_config_selectorItNS0_10empty_typeEEEZZNS1_27merge_sort_block_merge_implIS3_N6thrust23THRUST_200600_302600_NS6detail15normal_iteratorINS9_10device_ptrItEEEEPS5_jNS1_19radix_merge_compareILb0ELb0EtNS0_19identity_decomposerEEEEE10hipError_tT0_T1_T2_jT3_P12ihipStream_tbPNSt15iterator_traitsISK_E10value_typeEPNSQ_ISL_E10value_typeEPSM_NS1_7vsmem_tEENKUlT_SK_SL_SM_E_clIPtSE_SF_SF_EESJ_SZ_SK_SL_SM_EUlSZ_E1_NS1_11comp_targetILNS1_3genE10ELNS1_11target_archE1201ELNS1_3gpuE5ELNS1_3repE0EEENS1_36merge_oddeven_config_static_selectorELNS0_4arch9wavefront6targetE1EEEvSL_
	.p2align	8
	.type	_ZN7rocprim17ROCPRIM_400000_NS6detail17trampoline_kernelINS0_14default_configENS1_38merge_sort_block_merge_config_selectorItNS0_10empty_typeEEEZZNS1_27merge_sort_block_merge_implIS3_N6thrust23THRUST_200600_302600_NS6detail15normal_iteratorINS9_10device_ptrItEEEEPS5_jNS1_19radix_merge_compareILb0ELb0EtNS0_19identity_decomposerEEEEE10hipError_tT0_T1_T2_jT3_P12ihipStream_tbPNSt15iterator_traitsISK_E10value_typeEPNSQ_ISL_E10value_typeEPSM_NS1_7vsmem_tEENKUlT_SK_SL_SM_E_clIPtSE_SF_SF_EESJ_SZ_SK_SL_SM_EUlSZ_E1_NS1_11comp_targetILNS1_3genE10ELNS1_11target_archE1201ELNS1_3gpuE5ELNS1_3repE0EEENS1_36merge_oddeven_config_static_selectorELNS0_4arch9wavefront6targetE1EEEvSL_,@function
_ZN7rocprim17ROCPRIM_400000_NS6detail17trampoline_kernelINS0_14default_configENS1_38merge_sort_block_merge_config_selectorItNS0_10empty_typeEEEZZNS1_27merge_sort_block_merge_implIS3_N6thrust23THRUST_200600_302600_NS6detail15normal_iteratorINS9_10device_ptrItEEEEPS5_jNS1_19radix_merge_compareILb0ELb0EtNS0_19identity_decomposerEEEEE10hipError_tT0_T1_T2_jT3_P12ihipStream_tbPNSt15iterator_traitsISK_E10value_typeEPNSQ_ISL_E10value_typeEPSM_NS1_7vsmem_tEENKUlT_SK_SL_SM_E_clIPtSE_SF_SF_EESJ_SZ_SK_SL_SM_EUlSZ_E1_NS1_11comp_targetILNS1_3genE10ELNS1_11target_archE1201ELNS1_3gpuE5ELNS1_3repE0EEENS1_36merge_oddeven_config_static_selectorELNS0_4arch9wavefront6targetE1EEEvSL_: ; @_ZN7rocprim17ROCPRIM_400000_NS6detail17trampoline_kernelINS0_14default_configENS1_38merge_sort_block_merge_config_selectorItNS0_10empty_typeEEEZZNS1_27merge_sort_block_merge_implIS3_N6thrust23THRUST_200600_302600_NS6detail15normal_iteratorINS9_10device_ptrItEEEEPS5_jNS1_19radix_merge_compareILb0ELb0EtNS0_19identity_decomposerEEEEE10hipError_tT0_T1_T2_jT3_P12ihipStream_tbPNSt15iterator_traitsISK_E10value_typeEPNSQ_ISL_E10value_typeEPSM_NS1_7vsmem_tEENKUlT_SK_SL_SM_E_clIPtSE_SF_SF_EESJ_SZ_SK_SL_SM_EUlSZ_E1_NS1_11comp_targetILNS1_3genE10ELNS1_11target_archE1201ELNS1_3gpuE5ELNS1_3repE0EEENS1_36merge_oddeven_config_static_selectorELNS0_4arch9wavefront6targetE1EEEvSL_
; %bb.0:
	.section	.rodata,"a",@progbits
	.p2align	6, 0x0
	.amdhsa_kernel _ZN7rocprim17ROCPRIM_400000_NS6detail17trampoline_kernelINS0_14default_configENS1_38merge_sort_block_merge_config_selectorItNS0_10empty_typeEEEZZNS1_27merge_sort_block_merge_implIS3_N6thrust23THRUST_200600_302600_NS6detail15normal_iteratorINS9_10device_ptrItEEEEPS5_jNS1_19radix_merge_compareILb0ELb0EtNS0_19identity_decomposerEEEEE10hipError_tT0_T1_T2_jT3_P12ihipStream_tbPNSt15iterator_traitsISK_E10value_typeEPNSQ_ISL_E10value_typeEPSM_NS1_7vsmem_tEENKUlT_SK_SL_SM_E_clIPtSE_SF_SF_EESJ_SZ_SK_SL_SM_EUlSZ_E1_NS1_11comp_targetILNS1_3genE10ELNS1_11target_archE1201ELNS1_3gpuE5ELNS1_3repE0EEENS1_36merge_oddeven_config_static_selectorELNS0_4arch9wavefront6targetE1EEEvSL_
		.amdhsa_group_segment_fixed_size 0
		.amdhsa_private_segment_fixed_size 0
		.amdhsa_kernarg_size 48
		.amdhsa_user_sgpr_count 6
		.amdhsa_user_sgpr_private_segment_buffer 1
		.amdhsa_user_sgpr_dispatch_ptr 0
		.amdhsa_user_sgpr_queue_ptr 0
		.amdhsa_user_sgpr_kernarg_segment_ptr 1
		.amdhsa_user_sgpr_dispatch_id 0
		.amdhsa_user_sgpr_flat_scratch_init 0
		.amdhsa_user_sgpr_kernarg_preload_length 0
		.amdhsa_user_sgpr_kernarg_preload_offset 0
		.amdhsa_user_sgpr_private_segment_size 0
		.amdhsa_uses_dynamic_stack 0
		.amdhsa_system_sgpr_private_segment_wavefront_offset 0
		.amdhsa_system_sgpr_workgroup_id_x 1
		.amdhsa_system_sgpr_workgroup_id_y 0
		.amdhsa_system_sgpr_workgroup_id_z 0
		.amdhsa_system_sgpr_workgroup_info 0
		.amdhsa_system_vgpr_workitem_id 0
		.amdhsa_next_free_vgpr 1
		.amdhsa_next_free_sgpr 0
		.amdhsa_accum_offset 4
		.amdhsa_reserve_vcc 0
		.amdhsa_reserve_flat_scratch 0
		.amdhsa_float_round_mode_32 0
		.amdhsa_float_round_mode_16_64 0
		.amdhsa_float_denorm_mode_32 3
		.amdhsa_float_denorm_mode_16_64 3
		.amdhsa_dx10_clamp 1
		.amdhsa_ieee_mode 1
		.amdhsa_fp16_overflow 0
		.amdhsa_tg_split 0
		.amdhsa_exception_fp_ieee_invalid_op 0
		.amdhsa_exception_fp_denorm_src 0
		.amdhsa_exception_fp_ieee_div_zero 0
		.amdhsa_exception_fp_ieee_overflow 0
		.amdhsa_exception_fp_ieee_underflow 0
		.amdhsa_exception_fp_ieee_inexact 0
		.amdhsa_exception_int_div_zero 0
	.end_amdhsa_kernel
	.section	.text._ZN7rocprim17ROCPRIM_400000_NS6detail17trampoline_kernelINS0_14default_configENS1_38merge_sort_block_merge_config_selectorItNS0_10empty_typeEEEZZNS1_27merge_sort_block_merge_implIS3_N6thrust23THRUST_200600_302600_NS6detail15normal_iteratorINS9_10device_ptrItEEEEPS5_jNS1_19radix_merge_compareILb0ELb0EtNS0_19identity_decomposerEEEEE10hipError_tT0_T1_T2_jT3_P12ihipStream_tbPNSt15iterator_traitsISK_E10value_typeEPNSQ_ISL_E10value_typeEPSM_NS1_7vsmem_tEENKUlT_SK_SL_SM_E_clIPtSE_SF_SF_EESJ_SZ_SK_SL_SM_EUlSZ_E1_NS1_11comp_targetILNS1_3genE10ELNS1_11target_archE1201ELNS1_3gpuE5ELNS1_3repE0EEENS1_36merge_oddeven_config_static_selectorELNS0_4arch9wavefront6targetE1EEEvSL_,"axG",@progbits,_ZN7rocprim17ROCPRIM_400000_NS6detail17trampoline_kernelINS0_14default_configENS1_38merge_sort_block_merge_config_selectorItNS0_10empty_typeEEEZZNS1_27merge_sort_block_merge_implIS3_N6thrust23THRUST_200600_302600_NS6detail15normal_iteratorINS9_10device_ptrItEEEEPS5_jNS1_19radix_merge_compareILb0ELb0EtNS0_19identity_decomposerEEEEE10hipError_tT0_T1_T2_jT3_P12ihipStream_tbPNSt15iterator_traitsISK_E10value_typeEPNSQ_ISL_E10value_typeEPSM_NS1_7vsmem_tEENKUlT_SK_SL_SM_E_clIPtSE_SF_SF_EESJ_SZ_SK_SL_SM_EUlSZ_E1_NS1_11comp_targetILNS1_3genE10ELNS1_11target_archE1201ELNS1_3gpuE5ELNS1_3repE0EEENS1_36merge_oddeven_config_static_selectorELNS0_4arch9wavefront6targetE1EEEvSL_,comdat
.Lfunc_end1223:
	.size	_ZN7rocprim17ROCPRIM_400000_NS6detail17trampoline_kernelINS0_14default_configENS1_38merge_sort_block_merge_config_selectorItNS0_10empty_typeEEEZZNS1_27merge_sort_block_merge_implIS3_N6thrust23THRUST_200600_302600_NS6detail15normal_iteratorINS9_10device_ptrItEEEEPS5_jNS1_19radix_merge_compareILb0ELb0EtNS0_19identity_decomposerEEEEE10hipError_tT0_T1_T2_jT3_P12ihipStream_tbPNSt15iterator_traitsISK_E10value_typeEPNSQ_ISL_E10value_typeEPSM_NS1_7vsmem_tEENKUlT_SK_SL_SM_E_clIPtSE_SF_SF_EESJ_SZ_SK_SL_SM_EUlSZ_E1_NS1_11comp_targetILNS1_3genE10ELNS1_11target_archE1201ELNS1_3gpuE5ELNS1_3repE0EEENS1_36merge_oddeven_config_static_selectorELNS0_4arch9wavefront6targetE1EEEvSL_, .Lfunc_end1223-_ZN7rocprim17ROCPRIM_400000_NS6detail17trampoline_kernelINS0_14default_configENS1_38merge_sort_block_merge_config_selectorItNS0_10empty_typeEEEZZNS1_27merge_sort_block_merge_implIS3_N6thrust23THRUST_200600_302600_NS6detail15normal_iteratorINS9_10device_ptrItEEEEPS5_jNS1_19radix_merge_compareILb0ELb0EtNS0_19identity_decomposerEEEEE10hipError_tT0_T1_T2_jT3_P12ihipStream_tbPNSt15iterator_traitsISK_E10value_typeEPNSQ_ISL_E10value_typeEPSM_NS1_7vsmem_tEENKUlT_SK_SL_SM_E_clIPtSE_SF_SF_EESJ_SZ_SK_SL_SM_EUlSZ_E1_NS1_11comp_targetILNS1_3genE10ELNS1_11target_archE1201ELNS1_3gpuE5ELNS1_3repE0EEENS1_36merge_oddeven_config_static_selectorELNS0_4arch9wavefront6targetE1EEEvSL_
                                        ; -- End function
	.section	.AMDGPU.csdata,"",@progbits
; Kernel info:
; codeLenInByte = 0
; NumSgprs: 4
; NumVgprs: 0
; NumAgprs: 0
; TotalNumVgprs: 0
; ScratchSize: 0
; MemoryBound: 0
; FloatMode: 240
; IeeeMode: 1
; LDSByteSize: 0 bytes/workgroup (compile time only)
; SGPRBlocks: 0
; VGPRBlocks: 0
; NumSGPRsForWavesPerEU: 4
; NumVGPRsForWavesPerEU: 1
; AccumOffset: 4
; Occupancy: 8
; WaveLimiterHint : 0
; COMPUTE_PGM_RSRC2:SCRATCH_EN: 0
; COMPUTE_PGM_RSRC2:USER_SGPR: 6
; COMPUTE_PGM_RSRC2:TRAP_HANDLER: 0
; COMPUTE_PGM_RSRC2:TGID_X_EN: 1
; COMPUTE_PGM_RSRC2:TGID_Y_EN: 0
; COMPUTE_PGM_RSRC2:TGID_Z_EN: 0
; COMPUTE_PGM_RSRC2:TIDIG_COMP_CNT: 0
; COMPUTE_PGM_RSRC3_GFX90A:ACCUM_OFFSET: 0
; COMPUTE_PGM_RSRC3_GFX90A:TG_SPLIT: 0
	.section	.text._ZN7rocprim17ROCPRIM_400000_NS6detail17trampoline_kernelINS0_14default_configENS1_38merge_sort_block_merge_config_selectorItNS0_10empty_typeEEEZZNS1_27merge_sort_block_merge_implIS3_N6thrust23THRUST_200600_302600_NS6detail15normal_iteratorINS9_10device_ptrItEEEEPS5_jNS1_19radix_merge_compareILb0ELb0EtNS0_19identity_decomposerEEEEE10hipError_tT0_T1_T2_jT3_P12ihipStream_tbPNSt15iterator_traitsISK_E10value_typeEPNSQ_ISL_E10value_typeEPSM_NS1_7vsmem_tEENKUlT_SK_SL_SM_E_clIPtSE_SF_SF_EESJ_SZ_SK_SL_SM_EUlSZ_E1_NS1_11comp_targetILNS1_3genE5ELNS1_11target_archE942ELNS1_3gpuE9ELNS1_3repE0EEENS1_36merge_oddeven_config_static_selectorELNS0_4arch9wavefront6targetE1EEEvSL_,"axG",@progbits,_ZN7rocprim17ROCPRIM_400000_NS6detail17trampoline_kernelINS0_14default_configENS1_38merge_sort_block_merge_config_selectorItNS0_10empty_typeEEEZZNS1_27merge_sort_block_merge_implIS3_N6thrust23THRUST_200600_302600_NS6detail15normal_iteratorINS9_10device_ptrItEEEEPS5_jNS1_19radix_merge_compareILb0ELb0EtNS0_19identity_decomposerEEEEE10hipError_tT0_T1_T2_jT3_P12ihipStream_tbPNSt15iterator_traitsISK_E10value_typeEPNSQ_ISL_E10value_typeEPSM_NS1_7vsmem_tEENKUlT_SK_SL_SM_E_clIPtSE_SF_SF_EESJ_SZ_SK_SL_SM_EUlSZ_E1_NS1_11comp_targetILNS1_3genE5ELNS1_11target_archE942ELNS1_3gpuE9ELNS1_3repE0EEENS1_36merge_oddeven_config_static_selectorELNS0_4arch9wavefront6targetE1EEEvSL_,comdat
	.protected	_ZN7rocprim17ROCPRIM_400000_NS6detail17trampoline_kernelINS0_14default_configENS1_38merge_sort_block_merge_config_selectorItNS0_10empty_typeEEEZZNS1_27merge_sort_block_merge_implIS3_N6thrust23THRUST_200600_302600_NS6detail15normal_iteratorINS9_10device_ptrItEEEEPS5_jNS1_19radix_merge_compareILb0ELb0EtNS0_19identity_decomposerEEEEE10hipError_tT0_T1_T2_jT3_P12ihipStream_tbPNSt15iterator_traitsISK_E10value_typeEPNSQ_ISL_E10value_typeEPSM_NS1_7vsmem_tEENKUlT_SK_SL_SM_E_clIPtSE_SF_SF_EESJ_SZ_SK_SL_SM_EUlSZ_E1_NS1_11comp_targetILNS1_3genE5ELNS1_11target_archE942ELNS1_3gpuE9ELNS1_3repE0EEENS1_36merge_oddeven_config_static_selectorELNS0_4arch9wavefront6targetE1EEEvSL_ ; -- Begin function _ZN7rocprim17ROCPRIM_400000_NS6detail17trampoline_kernelINS0_14default_configENS1_38merge_sort_block_merge_config_selectorItNS0_10empty_typeEEEZZNS1_27merge_sort_block_merge_implIS3_N6thrust23THRUST_200600_302600_NS6detail15normal_iteratorINS9_10device_ptrItEEEEPS5_jNS1_19radix_merge_compareILb0ELb0EtNS0_19identity_decomposerEEEEE10hipError_tT0_T1_T2_jT3_P12ihipStream_tbPNSt15iterator_traitsISK_E10value_typeEPNSQ_ISL_E10value_typeEPSM_NS1_7vsmem_tEENKUlT_SK_SL_SM_E_clIPtSE_SF_SF_EESJ_SZ_SK_SL_SM_EUlSZ_E1_NS1_11comp_targetILNS1_3genE5ELNS1_11target_archE942ELNS1_3gpuE9ELNS1_3repE0EEENS1_36merge_oddeven_config_static_selectorELNS0_4arch9wavefront6targetE1EEEvSL_
	.globl	_ZN7rocprim17ROCPRIM_400000_NS6detail17trampoline_kernelINS0_14default_configENS1_38merge_sort_block_merge_config_selectorItNS0_10empty_typeEEEZZNS1_27merge_sort_block_merge_implIS3_N6thrust23THRUST_200600_302600_NS6detail15normal_iteratorINS9_10device_ptrItEEEEPS5_jNS1_19radix_merge_compareILb0ELb0EtNS0_19identity_decomposerEEEEE10hipError_tT0_T1_T2_jT3_P12ihipStream_tbPNSt15iterator_traitsISK_E10value_typeEPNSQ_ISL_E10value_typeEPSM_NS1_7vsmem_tEENKUlT_SK_SL_SM_E_clIPtSE_SF_SF_EESJ_SZ_SK_SL_SM_EUlSZ_E1_NS1_11comp_targetILNS1_3genE5ELNS1_11target_archE942ELNS1_3gpuE9ELNS1_3repE0EEENS1_36merge_oddeven_config_static_selectorELNS0_4arch9wavefront6targetE1EEEvSL_
	.p2align	8
	.type	_ZN7rocprim17ROCPRIM_400000_NS6detail17trampoline_kernelINS0_14default_configENS1_38merge_sort_block_merge_config_selectorItNS0_10empty_typeEEEZZNS1_27merge_sort_block_merge_implIS3_N6thrust23THRUST_200600_302600_NS6detail15normal_iteratorINS9_10device_ptrItEEEEPS5_jNS1_19radix_merge_compareILb0ELb0EtNS0_19identity_decomposerEEEEE10hipError_tT0_T1_T2_jT3_P12ihipStream_tbPNSt15iterator_traitsISK_E10value_typeEPNSQ_ISL_E10value_typeEPSM_NS1_7vsmem_tEENKUlT_SK_SL_SM_E_clIPtSE_SF_SF_EESJ_SZ_SK_SL_SM_EUlSZ_E1_NS1_11comp_targetILNS1_3genE5ELNS1_11target_archE942ELNS1_3gpuE9ELNS1_3repE0EEENS1_36merge_oddeven_config_static_selectorELNS0_4arch9wavefront6targetE1EEEvSL_,@function
_ZN7rocprim17ROCPRIM_400000_NS6detail17trampoline_kernelINS0_14default_configENS1_38merge_sort_block_merge_config_selectorItNS0_10empty_typeEEEZZNS1_27merge_sort_block_merge_implIS3_N6thrust23THRUST_200600_302600_NS6detail15normal_iteratorINS9_10device_ptrItEEEEPS5_jNS1_19radix_merge_compareILb0ELb0EtNS0_19identity_decomposerEEEEE10hipError_tT0_T1_T2_jT3_P12ihipStream_tbPNSt15iterator_traitsISK_E10value_typeEPNSQ_ISL_E10value_typeEPSM_NS1_7vsmem_tEENKUlT_SK_SL_SM_E_clIPtSE_SF_SF_EESJ_SZ_SK_SL_SM_EUlSZ_E1_NS1_11comp_targetILNS1_3genE5ELNS1_11target_archE942ELNS1_3gpuE9ELNS1_3repE0EEENS1_36merge_oddeven_config_static_selectorELNS0_4arch9wavefront6targetE1EEEvSL_: ; @_ZN7rocprim17ROCPRIM_400000_NS6detail17trampoline_kernelINS0_14default_configENS1_38merge_sort_block_merge_config_selectorItNS0_10empty_typeEEEZZNS1_27merge_sort_block_merge_implIS3_N6thrust23THRUST_200600_302600_NS6detail15normal_iteratorINS9_10device_ptrItEEEEPS5_jNS1_19radix_merge_compareILb0ELb0EtNS0_19identity_decomposerEEEEE10hipError_tT0_T1_T2_jT3_P12ihipStream_tbPNSt15iterator_traitsISK_E10value_typeEPNSQ_ISL_E10value_typeEPSM_NS1_7vsmem_tEENKUlT_SK_SL_SM_E_clIPtSE_SF_SF_EESJ_SZ_SK_SL_SM_EUlSZ_E1_NS1_11comp_targetILNS1_3genE5ELNS1_11target_archE942ELNS1_3gpuE9ELNS1_3repE0EEENS1_36merge_oddeven_config_static_selectorELNS0_4arch9wavefront6targetE1EEEvSL_
; %bb.0:
	.section	.rodata,"a",@progbits
	.p2align	6, 0x0
	.amdhsa_kernel _ZN7rocprim17ROCPRIM_400000_NS6detail17trampoline_kernelINS0_14default_configENS1_38merge_sort_block_merge_config_selectorItNS0_10empty_typeEEEZZNS1_27merge_sort_block_merge_implIS3_N6thrust23THRUST_200600_302600_NS6detail15normal_iteratorINS9_10device_ptrItEEEEPS5_jNS1_19radix_merge_compareILb0ELb0EtNS0_19identity_decomposerEEEEE10hipError_tT0_T1_T2_jT3_P12ihipStream_tbPNSt15iterator_traitsISK_E10value_typeEPNSQ_ISL_E10value_typeEPSM_NS1_7vsmem_tEENKUlT_SK_SL_SM_E_clIPtSE_SF_SF_EESJ_SZ_SK_SL_SM_EUlSZ_E1_NS1_11comp_targetILNS1_3genE5ELNS1_11target_archE942ELNS1_3gpuE9ELNS1_3repE0EEENS1_36merge_oddeven_config_static_selectorELNS0_4arch9wavefront6targetE1EEEvSL_
		.amdhsa_group_segment_fixed_size 0
		.amdhsa_private_segment_fixed_size 0
		.amdhsa_kernarg_size 48
		.amdhsa_user_sgpr_count 6
		.amdhsa_user_sgpr_private_segment_buffer 1
		.amdhsa_user_sgpr_dispatch_ptr 0
		.amdhsa_user_sgpr_queue_ptr 0
		.amdhsa_user_sgpr_kernarg_segment_ptr 1
		.amdhsa_user_sgpr_dispatch_id 0
		.amdhsa_user_sgpr_flat_scratch_init 0
		.amdhsa_user_sgpr_kernarg_preload_length 0
		.amdhsa_user_sgpr_kernarg_preload_offset 0
		.amdhsa_user_sgpr_private_segment_size 0
		.amdhsa_uses_dynamic_stack 0
		.amdhsa_system_sgpr_private_segment_wavefront_offset 0
		.amdhsa_system_sgpr_workgroup_id_x 1
		.amdhsa_system_sgpr_workgroup_id_y 0
		.amdhsa_system_sgpr_workgroup_id_z 0
		.amdhsa_system_sgpr_workgroup_info 0
		.amdhsa_system_vgpr_workitem_id 0
		.amdhsa_next_free_vgpr 1
		.amdhsa_next_free_sgpr 0
		.amdhsa_accum_offset 4
		.amdhsa_reserve_vcc 0
		.amdhsa_reserve_flat_scratch 0
		.amdhsa_float_round_mode_32 0
		.amdhsa_float_round_mode_16_64 0
		.amdhsa_float_denorm_mode_32 3
		.amdhsa_float_denorm_mode_16_64 3
		.amdhsa_dx10_clamp 1
		.amdhsa_ieee_mode 1
		.amdhsa_fp16_overflow 0
		.amdhsa_tg_split 0
		.amdhsa_exception_fp_ieee_invalid_op 0
		.amdhsa_exception_fp_denorm_src 0
		.amdhsa_exception_fp_ieee_div_zero 0
		.amdhsa_exception_fp_ieee_overflow 0
		.amdhsa_exception_fp_ieee_underflow 0
		.amdhsa_exception_fp_ieee_inexact 0
		.amdhsa_exception_int_div_zero 0
	.end_amdhsa_kernel
	.section	.text._ZN7rocprim17ROCPRIM_400000_NS6detail17trampoline_kernelINS0_14default_configENS1_38merge_sort_block_merge_config_selectorItNS0_10empty_typeEEEZZNS1_27merge_sort_block_merge_implIS3_N6thrust23THRUST_200600_302600_NS6detail15normal_iteratorINS9_10device_ptrItEEEEPS5_jNS1_19radix_merge_compareILb0ELb0EtNS0_19identity_decomposerEEEEE10hipError_tT0_T1_T2_jT3_P12ihipStream_tbPNSt15iterator_traitsISK_E10value_typeEPNSQ_ISL_E10value_typeEPSM_NS1_7vsmem_tEENKUlT_SK_SL_SM_E_clIPtSE_SF_SF_EESJ_SZ_SK_SL_SM_EUlSZ_E1_NS1_11comp_targetILNS1_3genE5ELNS1_11target_archE942ELNS1_3gpuE9ELNS1_3repE0EEENS1_36merge_oddeven_config_static_selectorELNS0_4arch9wavefront6targetE1EEEvSL_,"axG",@progbits,_ZN7rocprim17ROCPRIM_400000_NS6detail17trampoline_kernelINS0_14default_configENS1_38merge_sort_block_merge_config_selectorItNS0_10empty_typeEEEZZNS1_27merge_sort_block_merge_implIS3_N6thrust23THRUST_200600_302600_NS6detail15normal_iteratorINS9_10device_ptrItEEEEPS5_jNS1_19radix_merge_compareILb0ELb0EtNS0_19identity_decomposerEEEEE10hipError_tT0_T1_T2_jT3_P12ihipStream_tbPNSt15iterator_traitsISK_E10value_typeEPNSQ_ISL_E10value_typeEPSM_NS1_7vsmem_tEENKUlT_SK_SL_SM_E_clIPtSE_SF_SF_EESJ_SZ_SK_SL_SM_EUlSZ_E1_NS1_11comp_targetILNS1_3genE5ELNS1_11target_archE942ELNS1_3gpuE9ELNS1_3repE0EEENS1_36merge_oddeven_config_static_selectorELNS0_4arch9wavefront6targetE1EEEvSL_,comdat
.Lfunc_end1224:
	.size	_ZN7rocprim17ROCPRIM_400000_NS6detail17trampoline_kernelINS0_14default_configENS1_38merge_sort_block_merge_config_selectorItNS0_10empty_typeEEEZZNS1_27merge_sort_block_merge_implIS3_N6thrust23THRUST_200600_302600_NS6detail15normal_iteratorINS9_10device_ptrItEEEEPS5_jNS1_19radix_merge_compareILb0ELb0EtNS0_19identity_decomposerEEEEE10hipError_tT0_T1_T2_jT3_P12ihipStream_tbPNSt15iterator_traitsISK_E10value_typeEPNSQ_ISL_E10value_typeEPSM_NS1_7vsmem_tEENKUlT_SK_SL_SM_E_clIPtSE_SF_SF_EESJ_SZ_SK_SL_SM_EUlSZ_E1_NS1_11comp_targetILNS1_3genE5ELNS1_11target_archE942ELNS1_3gpuE9ELNS1_3repE0EEENS1_36merge_oddeven_config_static_selectorELNS0_4arch9wavefront6targetE1EEEvSL_, .Lfunc_end1224-_ZN7rocprim17ROCPRIM_400000_NS6detail17trampoline_kernelINS0_14default_configENS1_38merge_sort_block_merge_config_selectorItNS0_10empty_typeEEEZZNS1_27merge_sort_block_merge_implIS3_N6thrust23THRUST_200600_302600_NS6detail15normal_iteratorINS9_10device_ptrItEEEEPS5_jNS1_19radix_merge_compareILb0ELb0EtNS0_19identity_decomposerEEEEE10hipError_tT0_T1_T2_jT3_P12ihipStream_tbPNSt15iterator_traitsISK_E10value_typeEPNSQ_ISL_E10value_typeEPSM_NS1_7vsmem_tEENKUlT_SK_SL_SM_E_clIPtSE_SF_SF_EESJ_SZ_SK_SL_SM_EUlSZ_E1_NS1_11comp_targetILNS1_3genE5ELNS1_11target_archE942ELNS1_3gpuE9ELNS1_3repE0EEENS1_36merge_oddeven_config_static_selectorELNS0_4arch9wavefront6targetE1EEEvSL_
                                        ; -- End function
	.section	.AMDGPU.csdata,"",@progbits
; Kernel info:
; codeLenInByte = 0
; NumSgprs: 4
; NumVgprs: 0
; NumAgprs: 0
; TotalNumVgprs: 0
; ScratchSize: 0
; MemoryBound: 0
; FloatMode: 240
; IeeeMode: 1
; LDSByteSize: 0 bytes/workgroup (compile time only)
; SGPRBlocks: 0
; VGPRBlocks: 0
; NumSGPRsForWavesPerEU: 4
; NumVGPRsForWavesPerEU: 1
; AccumOffset: 4
; Occupancy: 8
; WaveLimiterHint : 0
; COMPUTE_PGM_RSRC2:SCRATCH_EN: 0
; COMPUTE_PGM_RSRC2:USER_SGPR: 6
; COMPUTE_PGM_RSRC2:TRAP_HANDLER: 0
; COMPUTE_PGM_RSRC2:TGID_X_EN: 1
; COMPUTE_PGM_RSRC2:TGID_Y_EN: 0
; COMPUTE_PGM_RSRC2:TGID_Z_EN: 0
; COMPUTE_PGM_RSRC2:TIDIG_COMP_CNT: 0
; COMPUTE_PGM_RSRC3_GFX90A:ACCUM_OFFSET: 0
; COMPUTE_PGM_RSRC3_GFX90A:TG_SPLIT: 0
	.section	.text._ZN7rocprim17ROCPRIM_400000_NS6detail17trampoline_kernelINS0_14default_configENS1_38merge_sort_block_merge_config_selectorItNS0_10empty_typeEEEZZNS1_27merge_sort_block_merge_implIS3_N6thrust23THRUST_200600_302600_NS6detail15normal_iteratorINS9_10device_ptrItEEEEPS5_jNS1_19radix_merge_compareILb0ELb0EtNS0_19identity_decomposerEEEEE10hipError_tT0_T1_T2_jT3_P12ihipStream_tbPNSt15iterator_traitsISK_E10value_typeEPNSQ_ISL_E10value_typeEPSM_NS1_7vsmem_tEENKUlT_SK_SL_SM_E_clIPtSE_SF_SF_EESJ_SZ_SK_SL_SM_EUlSZ_E1_NS1_11comp_targetILNS1_3genE4ELNS1_11target_archE910ELNS1_3gpuE8ELNS1_3repE0EEENS1_36merge_oddeven_config_static_selectorELNS0_4arch9wavefront6targetE1EEEvSL_,"axG",@progbits,_ZN7rocprim17ROCPRIM_400000_NS6detail17trampoline_kernelINS0_14default_configENS1_38merge_sort_block_merge_config_selectorItNS0_10empty_typeEEEZZNS1_27merge_sort_block_merge_implIS3_N6thrust23THRUST_200600_302600_NS6detail15normal_iteratorINS9_10device_ptrItEEEEPS5_jNS1_19radix_merge_compareILb0ELb0EtNS0_19identity_decomposerEEEEE10hipError_tT0_T1_T2_jT3_P12ihipStream_tbPNSt15iterator_traitsISK_E10value_typeEPNSQ_ISL_E10value_typeEPSM_NS1_7vsmem_tEENKUlT_SK_SL_SM_E_clIPtSE_SF_SF_EESJ_SZ_SK_SL_SM_EUlSZ_E1_NS1_11comp_targetILNS1_3genE4ELNS1_11target_archE910ELNS1_3gpuE8ELNS1_3repE0EEENS1_36merge_oddeven_config_static_selectorELNS0_4arch9wavefront6targetE1EEEvSL_,comdat
	.protected	_ZN7rocprim17ROCPRIM_400000_NS6detail17trampoline_kernelINS0_14default_configENS1_38merge_sort_block_merge_config_selectorItNS0_10empty_typeEEEZZNS1_27merge_sort_block_merge_implIS3_N6thrust23THRUST_200600_302600_NS6detail15normal_iteratorINS9_10device_ptrItEEEEPS5_jNS1_19radix_merge_compareILb0ELb0EtNS0_19identity_decomposerEEEEE10hipError_tT0_T1_T2_jT3_P12ihipStream_tbPNSt15iterator_traitsISK_E10value_typeEPNSQ_ISL_E10value_typeEPSM_NS1_7vsmem_tEENKUlT_SK_SL_SM_E_clIPtSE_SF_SF_EESJ_SZ_SK_SL_SM_EUlSZ_E1_NS1_11comp_targetILNS1_3genE4ELNS1_11target_archE910ELNS1_3gpuE8ELNS1_3repE0EEENS1_36merge_oddeven_config_static_selectorELNS0_4arch9wavefront6targetE1EEEvSL_ ; -- Begin function _ZN7rocprim17ROCPRIM_400000_NS6detail17trampoline_kernelINS0_14default_configENS1_38merge_sort_block_merge_config_selectorItNS0_10empty_typeEEEZZNS1_27merge_sort_block_merge_implIS3_N6thrust23THRUST_200600_302600_NS6detail15normal_iteratorINS9_10device_ptrItEEEEPS5_jNS1_19radix_merge_compareILb0ELb0EtNS0_19identity_decomposerEEEEE10hipError_tT0_T1_T2_jT3_P12ihipStream_tbPNSt15iterator_traitsISK_E10value_typeEPNSQ_ISL_E10value_typeEPSM_NS1_7vsmem_tEENKUlT_SK_SL_SM_E_clIPtSE_SF_SF_EESJ_SZ_SK_SL_SM_EUlSZ_E1_NS1_11comp_targetILNS1_3genE4ELNS1_11target_archE910ELNS1_3gpuE8ELNS1_3repE0EEENS1_36merge_oddeven_config_static_selectorELNS0_4arch9wavefront6targetE1EEEvSL_
	.globl	_ZN7rocprim17ROCPRIM_400000_NS6detail17trampoline_kernelINS0_14default_configENS1_38merge_sort_block_merge_config_selectorItNS0_10empty_typeEEEZZNS1_27merge_sort_block_merge_implIS3_N6thrust23THRUST_200600_302600_NS6detail15normal_iteratorINS9_10device_ptrItEEEEPS5_jNS1_19radix_merge_compareILb0ELb0EtNS0_19identity_decomposerEEEEE10hipError_tT0_T1_T2_jT3_P12ihipStream_tbPNSt15iterator_traitsISK_E10value_typeEPNSQ_ISL_E10value_typeEPSM_NS1_7vsmem_tEENKUlT_SK_SL_SM_E_clIPtSE_SF_SF_EESJ_SZ_SK_SL_SM_EUlSZ_E1_NS1_11comp_targetILNS1_3genE4ELNS1_11target_archE910ELNS1_3gpuE8ELNS1_3repE0EEENS1_36merge_oddeven_config_static_selectorELNS0_4arch9wavefront6targetE1EEEvSL_
	.p2align	8
	.type	_ZN7rocprim17ROCPRIM_400000_NS6detail17trampoline_kernelINS0_14default_configENS1_38merge_sort_block_merge_config_selectorItNS0_10empty_typeEEEZZNS1_27merge_sort_block_merge_implIS3_N6thrust23THRUST_200600_302600_NS6detail15normal_iteratorINS9_10device_ptrItEEEEPS5_jNS1_19radix_merge_compareILb0ELb0EtNS0_19identity_decomposerEEEEE10hipError_tT0_T1_T2_jT3_P12ihipStream_tbPNSt15iterator_traitsISK_E10value_typeEPNSQ_ISL_E10value_typeEPSM_NS1_7vsmem_tEENKUlT_SK_SL_SM_E_clIPtSE_SF_SF_EESJ_SZ_SK_SL_SM_EUlSZ_E1_NS1_11comp_targetILNS1_3genE4ELNS1_11target_archE910ELNS1_3gpuE8ELNS1_3repE0EEENS1_36merge_oddeven_config_static_selectorELNS0_4arch9wavefront6targetE1EEEvSL_,@function
_ZN7rocprim17ROCPRIM_400000_NS6detail17trampoline_kernelINS0_14default_configENS1_38merge_sort_block_merge_config_selectorItNS0_10empty_typeEEEZZNS1_27merge_sort_block_merge_implIS3_N6thrust23THRUST_200600_302600_NS6detail15normal_iteratorINS9_10device_ptrItEEEEPS5_jNS1_19radix_merge_compareILb0ELb0EtNS0_19identity_decomposerEEEEE10hipError_tT0_T1_T2_jT3_P12ihipStream_tbPNSt15iterator_traitsISK_E10value_typeEPNSQ_ISL_E10value_typeEPSM_NS1_7vsmem_tEENKUlT_SK_SL_SM_E_clIPtSE_SF_SF_EESJ_SZ_SK_SL_SM_EUlSZ_E1_NS1_11comp_targetILNS1_3genE4ELNS1_11target_archE910ELNS1_3gpuE8ELNS1_3repE0EEENS1_36merge_oddeven_config_static_selectorELNS0_4arch9wavefront6targetE1EEEvSL_: ; @_ZN7rocprim17ROCPRIM_400000_NS6detail17trampoline_kernelINS0_14default_configENS1_38merge_sort_block_merge_config_selectorItNS0_10empty_typeEEEZZNS1_27merge_sort_block_merge_implIS3_N6thrust23THRUST_200600_302600_NS6detail15normal_iteratorINS9_10device_ptrItEEEEPS5_jNS1_19radix_merge_compareILb0ELb0EtNS0_19identity_decomposerEEEEE10hipError_tT0_T1_T2_jT3_P12ihipStream_tbPNSt15iterator_traitsISK_E10value_typeEPNSQ_ISL_E10value_typeEPSM_NS1_7vsmem_tEENKUlT_SK_SL_SM_E_clIPtSE_SF_SF_EESJ_SZ_SK_SL_SM_EUlSZ_E1_NS1_11comp_targetILNS1_3genE4ELNS1_11target_archE910ELNS1_3gpuE8ELNS1_3repE0EEENS1_36merge_oddeven_config_static_selectorELNS0_4arch9wavefront6targetE1EEEvSL_
; %bb.0:
	s_load_dword s18, s[4:5], 0x20
	s_waitcnt lgkmcnt(0)
	s_lshr_b32 s0, s18, 8
	s_cmp_lg_u32 s6, s0
	s_cselect_b64 s[14:15], -1, 0
	s_cmp_eq_u32 s6, s0
	s_cselect_b64 s[12:13], -1, 0
	s_lshl_b32 s16, s6, 8
	s_sub_i32 s0, s18, s16
	v_cmp_gt_u32_e64 s[2:3], s0, v0
	s_or_b64 s[0:1], s[14:15], s[2:3]
	s_and_saveexec_b64 s[8:9], s[0:1]
	s_cbranch_execz .LBB1225_20
; %bb.1:
	s_load_dwordx4 s[8:11], s[4:5], 0x0
	s_load_dword s19, s[4:5], 0x24
	s_mov_b32 s17, 0
	s_lshl_b64 s[0:1], s[16:17], 1
	v_lshlrev_b32_e32 v1, 1, v0
	s_waitcnt lgkmcnt(0)
	s_add_u32 s0, s8, s0
	s_addc_u32 s1, s9, s1
	global_load_ushort v2, v1, s[0:1]
	s_lshr_b32 s0, s19, 8
	s_sub_i32 s1, 0, s0
	s_and_b32 s1, s6, s1
	s_and_b32 s0, s1, s0
	s_lshl_b32 s20, s1, 8
	s_sub_i32 s6, 0, s19
	s_cmp_eq_u32 s0, 0
	s_cselect_b64 s[0:1], -1, 0
	s_and_b64 s[4:5], s[0:1], exec
	s_cselect_b32 s17, s19, s6
	s_add_i32 s17, s17, s20
	s_cmp_lt_u32 s17, s18
	v_add_u32_e32 v0, s16, v0
	s_cbranch_scc1 .LBB1225_3
; %bb.2:
	v_cmp_gt_u32_e32 vcc, s18, v0
	s_or_b64 s[4:5], vcc, s[14:15]
	s_and_b64 s[4:5], s[4:5], exec
	s_cbranch_execz .LBB1225_4
	s_branch .LBB1225_18
.LBB1225_3:
	s_mov_b64 s[4:5], 0
.LBB1225_4:
	s_min_u32 s14, s17, s18
	s_add_i32 s6, s14, s19
	s_min_u32 s15, s6, s18
	s_min_u32 s6, s20, s14
	s_add_i32 s20, s20, s14
	v_subrev_u32_e32 v0, s20, v0
	v_add_u32_e32 v1, s6, v0
	s_and_b64 vcc, exec, s[12:13]
	s_cbranch_vccz .LBB1225_12
; %bb.5:
                                        ; implicit-def: $vgpr0
	s_and_saveexec_b64 s[6:7], s[2:3]
	s_cbranch_execz .LBB1225_11
; %bb.6:
	s_cmp_ge_u32 s17, s15
	v_mov_b32_e32 v0, s14
	s_cbranch_scc1 .LBB1225_10
; %bb.7:
	s_mov_b64 s[2:3], 0
	v_mov_b32_e32 v3, s15
	v_mov_b32_e32 v0, s14
.LBB1225_8:                             ; =>This Inner Loop Header: Depth=1
	v_add_u32_e32 v4, v0, v3
	v_and_b32_e32 v5, -2, v4
	global_load_ushort v5, v5, s[8:9]
	v_lshrrev_b32_e32 v4, 1, v4
	v_add_u32_e32 v6, 1, v4
	s_waitcnt vmcnt(0)
	v_cmp_gt_u16_e32 vcc, v2, v5
	v_cndmask_b32_e64 v7, 0, 1, vcc
	v_cmp_le_u16_e32 vcc, v5, v2
	v_cndmask_b32_e64 v5, 0, 1, vcc
	v_cndmask_b32_e64 v5, v5, v7, s[0:1]
	v_and_b32_e32 v5, 1, v5
	v_cmp_eq_u32_e32 vcc, 1, v5
	v_cndmask_b32_e32 v3, v4, v3, vcc
	v_cndmask_b32_e32 v0, v0, v6, vcc
	v_cmp_ge_u32_e32 vcc, v0, v3
	s_or_b64 s[2:3], vcc, s[2:3]
	s_andn2_b64 exec, exec, s[2:3]
	s_cbranch_execnz .LBB1225_8
; %bb.9:
	s_or_b64 exec, exec, s[2:3]
.LBB1225_10:
	v_add_u32_e32 v0, v0, v1
	s_or_b64 s[4:5], s[4:5], exec
.LBB1225_11:
	s_or_b64 exec, exec, s[6:7]
	s_branch .LBB1225_18
.LBB1225_12:
                                        ; implicit-def: $vgpr0
	s_cbranch_execz .LBB1225_18
; %bb.13:
	s_cmp_ge_u32 s17, s15
	v_mov_b32_e32 v0, s14
	s_cbranch_scc1 .LBB1225_17
; %bb.14:
	s_mov_b64 s[2:3], 0
	v_mov_b32_e32 v3, s15
	v_mov_b32_e32 v0, s14
.LBB1225_15:                            ; =>This Inner Loop Header: Depth=1
	v_add_u32_e32 v4, v0, v3
	v_and_b32_e32 v5, -2, v4
	global_load_ushort v5, v5, s[8:9]
	v_lshrrev_b32_e32 v4, 1, v4
	v_add_u32_e32 v6, 1, v4
	s_waitcnt vmcnt(0)
	v_cmp_gt_u16_e32 vcc, v2, v5
	v_cndmask_b32_e64 v7, 0, 1, vcc
	v_cmp_le_u16_e32 vcc, v5, v2
	v_cndmask_b32_e64 v5, 0, 1, vcc
	v_cndmask_b32_e64 v5, v5, v7, s[0:1]
	v_and_b32_e32 v5, 1, v5
	v_cmp_eq_u32_e32 vcc, 1, v5
	v_cndmask_b32_e32 v3, v4, v3, vcc
	v_cndmask_b32_e32 v0, v0, v6, vcc
	v_cmp_ge_u32_e32 vcc, v0, v3
	s_or_b64 s[2:3], vcc, s[2:3]
	s_andn2_b64 exec, exec, s[2:3]
	s_cbranch_execnz .LBB1225_15
; %bb.16:
	s_or_b64 exec, exec, s[2:3]
.LBB1225_17:
	v_add_u32_e32 v0, v0, v1
	s_mov_b64 s[4:5], -1
.LBB1225_18:
	s_and_b64 exec, exec, s[4:5]
	s_cbranch_execz .LBB1225_20
; %bb.19:
	v_mov_b32_e32 v1, 0
	v_lshlrev_b64 v[0:1], 1, v[0:1]
	v_mov_b32_e32 v3, s11
	v_add_co_u32_e32 v0, vcc, s10, v0
	v_addc_co_u32_e32 v1, vcc, v3, v1, vcc
	s_waitcnt vmcnt(0)
	global_store_short v[0:1], v2, off
.LBB1225_20:
	s_endpgm
	.section	.rodata,"a",@progbits
	.p2align	6, 0x0
	.amdhsa_kernel _ZN7rocprim17ROCPRIM_400000_NS6detail17trampoline_kernelINS0_14default_configENS1_38merge_sort_block_merge_config_selectorItNS0_10empty_typeEEEZZNS1_27merge_sort_block_merge_implIS3_N6thrust23THRUST_200600_302600_NS6detail15normal_iteratorINS9_10device_ptrItEEEEPS5_jNS1_19radix_merge_compareILb0ELb0EtNS0_19identity_decomposerEEEEE10hipError_tT0_T1_T2_jT3_P12ihipStream_tbPNSt15iterator_traitsISK_E10value_typeEPNSQ_ISL_E10value_typeEPSM_NS1_7vsmem_tEENKUlT_SK_SL_SM_E_clIPtSE_SF_SF_EESJ_SZ_SK_SL_SM_EUlSZ_E1_NS1_11comp_targetILNS1_3genE4ELNS1_11target_archE910ELNS1_3gpuE8ELNS1_3repE0EEENS1_36merge_oddeven_config_static_selectorELNS0_4arch9wavefront6targetE1EEEvSL_
		.amdhsa_group_segment_fixed_size 0
		.amdhsa_private_segment_fixed_size 0
		.amdhsa_kernarg_size 48
		.amdhsa_user_sgpr_count 6
		.amdhsa_user_sgpr_private_segment_buffer 1
		.amdhsa_user_sgpr_dispatch_ptr 0
		.amdhsa_user_sgpr_queue_ptr 0
		.amdhsa_user_sgpr_kernarg_segment_ptr 1
		.amdhsa_user_sgpr_dispatch_id 0
		.amdhsa_user_sgpr_flat_scratch_init 0
		.amdhsa_user_sgpr_kernarg_preload_length 0
		.amdhsa_user_sgpr_kernarg_preload_offset 0
		.amdhsa_user_sgpr_private_segment_size 0
		.amdhsa_uses_dynamic_stack 0
		.amdhsa_system_sgpr_private_segment_wavefront_offset 0
		.amdhsa_system_sgpr_workgroup_id_x 1
		.amdhsa_system_sgpr_workgroup_id_y 0
		.amdhsa_system_sgpr_workgroup_id_z 0
		.amdhsa_system_sgpr_workgroup_info 0
		.amdhsa_system_vgpr_workitem_id 0
		.amdhsa_next_free_vgpr 8
		.amdhsa_next_free_sgpr 21
		.amdhsa_accum_offset 8
		.amdhsa_reserve_vcc 1
		.amdhsa_reserve_flat_scratch 0
		.amdhsa_float_round_mode_32 0
		.amdhsa_float_round_mode_16_64 0
		.amdhsa_float_denorm_mode_32 3
		.amdhsa_float_denorm_mode_16_64 3
		.amdhsa_dx10_clamp 1
		.amdhsa_ieee_mode 1
		.amdhsa_fp16_overflow 0
		.amdhsa_tg_split 0
		.amdhsa_exception_fp_ieee_invalid_op 0
		.amdhsa_exception_fp_denorm_src 0
		.amdhsa_exception_fp_ieee_div_zero 0
		.amdhsa_exception_fp_ieee_overflow 0
		.amdhsa_exception_fp_ieee_underflow 0
		.amdhsa_exception_fp_ieee_inexact 0
		.amdhsa_exception_int_div_zero 0
	.end_amdhsa_kernel
	.section	.text._ZN7rocprim17ROCPRIM_400000_NS6detail17trampoline_kernelINS0_14default_configENS1_38merge_sort_block_merge_config_selectorItNS0_10empty_typeEEEZZNS1_27merge_sort_block_merge_implIS3_N6thrust23THRUST_200600_302600_NS6detail15normal_iteratorINS9_10device_ptrItEEEEPS5_jNS1_19radix_merge_compareILb0ELb0EtNS0_19identity_decomposerEEEEE10hipError_tT0_T1_T2_jT3_P12ihipStream_tbPNSt15iterator_traitsISK_E10value_typeEPNSQ_ISL_E10value_typeEPSM_NS1_7vsmem_tEENKUlT_SK_SL_SM_E_clIPtSE_SF_SF_EESJ_SZ_SK_SL_SM_EUlSZ_E1_NS1_11comp_targetILNS1_3genE4ELNS1_11target_archE910ELNS1_3gpuE8ELNS1_3repE0EEENS1_36merge_oddeven_config_static_selectorELNS0_4arch9wavefront6targetE1EEEvSL_,"axG",@progbits,_ZN7rocprim17ROCPRIM_400000_NS6detail17trampoline_kernelINS0_14default_configENS1_38merge_sort_block_merge_config_selectorItNS0_10empty_typeEEEZZNS1_27merge_sort_block_merge_implIS3_N6thrust23THRUST_200600_302600_NS6detail15normal_iteratorINS9_10device_ptrItEEEEPS5_jNS1_19radix_merge_compareILb0ELb0EtNS0_19identity_decomposerEEEEE10hipError_tT0_T1_T2_jT3_P12ihipStream_tbPNSt15iterator_traitsISK_E10value_typeEPNSQ_ISL_E10value_typeEPSM_NS1_7vsmem_tEENKUlT_SK_SL_SM_E_clIPtSE_SF_SF_EESJ_SZ_SK_SL_SM_EUlSZ_E1_NS1_11comp_targetILNS1_3genE4ELNS1_11target_archE910ELNS1_3gpuE8ELNS1_3repE0EEENS1_36merge_oddeven_config_static_selectorELNS0_4arch9wavefront6targetE1EEEvSL_,comdat
.Lfunc_end1225:
	.size	_ZN7rocprim17ROCPRIM_400000_NS6detail17trampoline_kernelINS0_14default_configENS1_38merge_sort_block_merge_config_selectorItNS0_10empty_typeEEEZZNS1_27merge_sort_block_merge_implIS3_N6thrust23THRUST_200600_302600_NS6detail15normal_iteratorINS9_10device_ptrItEEEEPS5_jNS1_19radix_merge_compareILb0ELb0EtNS0_19identity_decomposerEEEEE10hipError_tT0_T1_T2_jT3_P12ihipStream_tbPNSt15iterator_traitsISK_E10value_typeEPNSQ_ISL_E10value_typeEPSM_NS1_7vsmem_tEENKUlT_SK_SL_SM_E_clIPtSE_SF_SF_EESJ_SZ_SK_SL_SM_EUlSZ_E1_NS1_11comp_targetILNS1_3genE4ELNS1_11target_archE910ELNS1_3gpuE8ELNS1_3repE0EEENS1_36merge_oddeven_config_static_selectorELNS0_4arch9wavefront6targetE1EEEvSL_, .Lfunc_end1225-_ZN7rocprim17ROCPRIM_400000_NS6detail17trampoline_kernelINS0_14default_configENS1_38merge_sort_block_merge_config_selectorItNS0_10empty_typeEEEZZNS1_27merge_sort_block_merge_implIS3_N6thrust23THRUST_200600_302600_NS6detail15normal_iteratorINS9_10device_ptrItEEEEPS5_jNS1_19radix_merge_compareILb0ELb0EtNS0_19identity_decomposerEEEEE10hipError_tT0_T1_T2_jT3_P12ihipStream_tbPNSt15iterator_traitsISK_E10value_typeEPNSQ_ISL_E10value_typeEPSM_NS1_7vsmem_tEENKUlT_SK_SL_SM_E_clIPtSE_SF_SF_EESJ_SZ_SK_SL_SM_EUlSZ_E1_NS1_11comp_targetILNS1_3genE4ELNS1_11target_archE910ELNS1_3gpuE8ELNS1_3repE0EEENS1_36merge_oddeven_config_static_selectorELNS0_4arch9wavefront6targetE1EEEvSL_
                                        ; -- End function
	.section	.AMDGPU.csdata,"",@progbits
; Kernel info:
; codeLenInByte = 548
; NumSgprs: 25
; NumVgprs: 8
; NumAgprs: 0
; TotalNumVgprs: 8
; ScratchSize: 0
; MemoryBound: 0
; FloatMode: 240
; IeeeMode: 1
; LDSByteSize: 0 bytes/workgroup (compile time only)
; SGPRBlocks: 3
; VGPRBlocks: 0
; NumSGPRsForWavesPerEU: 25
; NumVGPRsForWavesPerEU: 8
; AccumOffset: 8
; Occupancy: 8
; WaveLimiterHint : 0
; COMPUTE_PGM_RSRC2:SCRATCH_EN: 0
; COMPUTE_PGM_RSRC2:USER_SGPR: 6
; COMPUTE_PGM_RSRC2:TRAP_HANDLER: 0
; COMPUTE_PGM_RSRC2:TGID_X_EN: 1
; COMPUTE_PGM_RSRC2:TGID_Y_EN: 0
; COMPUTE_PGM_RSRC2:TGID_Z_EN: 0
; COMPUTE_PGM_RSRC2:TIDIG_COMP_CNT: 0
; COMPUTE_PGM_RSRC3_GFX90A:ACCUM_OFFSET: 1
; COMPUTE_PGM_RSRC3_GFX90A:TG_SPLIT: 0
	.section	.text._ZN7rocprim17ROCPRIM_400000_NS6detail17trampoline_kernelINS0_14default_configENS1_38merge_sort_block_merge_config_selectorItNS0_10empty_typeEEEZZNS1_27merge_sort_block_merge_implIS3_N6thrust23THRUST_200600_302600_NS6detail15normal_iteratorINS9_10device_ptrItEEEEPS5_jNS1_19radix_merge_compareILb0ELb0EtNS0_19identity_decomposerEEEEE10hipError_tT0_T1_T2_jT3_P12ihipStream_tbPNSt15iterator_traitsISK_E10value_typeEPNSQ_ISL_E10value_typeEPSM_NS1_7vsmem_tEENKUlT_SK_SL_SM_E_clIPtSE_SF_SF_EESJ_SZ_SK_SL_SM_EUlSZ_E1_NS1_11comp_targetILNS1_3genE3ELNS1_11target_archE908ELNS1_3gpuE7ELNS1_3repE0EEENS1_36merge_oddeven_config_static_selectorELNS0_4arch9wavefront6targetE1EEEvSL_,"axG",@progbits,_ZN7rocprim17ROCPRIM_400000_NS6detail17trampoline_kernelINS0_14default_configENS1_38merge_sort_block_merge_config_selectorItNS0_10empty_typeEEEZZNS1_27merge_sort_block_merge_implIS3_N6thrust23THRUST_200600_302600_NS6detail15normal_iteratorINS9_10device_ptrItEEEEPS5_jNS1_19radix_merge_compareILb0ELb0EtNS0_19identity_decomposerEEEEE10hipError_tT0_T1_T2_jT3_P12ihipStream_tbPNSt15iterator_traitsISK_E10value_typeEPNSQ_ISL_E10value_typeEPSM_NS1_7vsmem_tEENKUlT_SK_SL_SM_E_clIPtSE_SF_SF_EESJ_SZ_SK_SL_SM_EUlSZ_E1_NS1_11comp_targetILNS1_3genE3ELNS1_11target_archE908ELNS1_3gpuE7ELNS1_3repE0EEENS1_36merge_oddeven_config_static_selectorELNS0_4arch9wavefront6targetE1EEEvSL_,comdat
	.protected	_ZN7rocprim17ROCPRIM_400000_NS6detail17trampoline_kernelINS0_14default_configENS1_38merge_sort_block_merge_config_selectorItNS0_10empty_typeEEEZZNS1_27merge_sort_block_merge_implIS3_N6thrust23THRUST_200600_302600_NS6detail15normal_iteratorINS9_10device_ptrItEEEEPS5_jNS1_19radix_merge_compareILb0ELb0EtNS0_19identity_decomposerEEEEE10hipError_tT0_T1_T2_jT3_P12ihipStream_tbPNSt15iterator_traitsISK_E10value_typeEPNSQ_ISL_E10value_typeEPSM_NS1_7vsmem_tEENKUlT_SK_SL_SM_E_clIPtSE_SF_SF_EESJ_SZ_SK_SL_SM_EUlSZ_E1_NS1_11comp_targetILNS1_3genE3ELNS1_11target_archE908ELNS1_3gpuE7ELNS1_3repE0EEENS1_36merge_oddeven_config_static_selectorELNS0_4arch9wavefront6targetE1EEEvSL_ ; -- Begin function _ZN7rocprim17ROCPRIM_400000_NS6detail17trampoline_kernelINS0_14default_configENS1_38merge_sort_block_merge_config_selectorItNS0_10empty_typeEEEZZNS1_27merge_sort_block_merge_implIS3_N6thrust23THRUST_200600_302600_NS6detail15normal_iteratorINS9_10device_ptrItEEEEPS5_jNS1_19radix_merge_compareILb0ELb0EtNS0_19identity_decomposerEEEEE10hipError_tT0_T1_T2_jT3_P12ihipStream_tbPNSt15iterator_traitsISK_E10value_typeEPNSQ_ISL_E10value_typeEPSM_NS1_7vsmem_tEENKUlT_SK_SL_SM_E_clIPtSE_SF_SF_EESJ_SZ_SK_SL_SM_EUlSZ_E1_NS1_11comp_targetILNS1_3genE3ELNS1_11target_archE908ELNS1_3gpuE7ELNS1_3repE0EEENS1_36merge_oddeven_config_static_selectorELNS0_4arch9wavefront6targetE1EEEvSL_
	.globl	_ZN7rocprim17ROCPRIM_400000_NS6detail17trampoline_kernelINS0_14default_configENS1_38merge_sort_block_merge_config_selectorItNS0_10empty_typeEEEZZNS1_27merge_sort_block_merge_implIS3_N6thrust23THRUST_200600_302600_NS6detail15normal_iteratorINS9_10device_ptrItEEEEPS5_jNS1_19radix_merge_compareILb0ELb0EtNS0_19identity_decomposerEEEEE10hipError_tT0_T1_T2_jT3_P12ihipStream_tbPNSt15iterator_traitsISK_E10value_typeEPNSQ_ISL_E10value_typeEPSM_NS1_7vsmem_tEENKUlT_SK_SL_SM_E_clIPtSE_SF_SF_EESJ_SZ_SK_SL_SM_EUlSZ_E1_NS1_11comp_targetILNS1_3genE3ELNS1_11target_archE908ELNS1_3gpuE7ELNS1_3repE0EEENS1_36merge_oddeven_config_static_selectorELNS0_4arch9wavefront6targetE1EEEvSL_
	.p2align	8
	.type	_ZN7rocprim17ROCPRIM_400000_NS6detail17trampoline_kernelINS0_14default_configENS1_38merge_sort_block_merge_config_selectorItNS0_10empty_typeEEEZZNS1_27merge_sort_block_merge_implIS3_N6thrust23THRUST_200600_302600_NS6detail15normal_iteratorINS9_10device_ptrItEEEEPS5_jNS1_19radix_merge_compareILb0ELb0EtNS0_19identity_decomposerEEEEE10hipError_tT0_T1_T2_jT3_P12ihipStream_tbPNSt15iterator_traitsISK_E10value_typeEPNSQ_ISL_E10value_typeEPSM_NS1_7vsmem_tEENKUlT_SK_SL_SM_E_clIPtSE_SF_SF_EESJ_SZ_SK_SL_SM_EUlSZ_E1_NS1_11comp_targetILNS1_3genE3ELNS1_11target_archE908ELNS1_3gpuE7ELNS1_3repE0EEENS1_36merge_oddeven_config_static_selectorELNS0_4arch9wavefront6targetE1EEEvSL_,@function
_ZN7rocprim17ROCPRIM_400000_NS6detail17trampoline_kernelINS0_14default_configENS1_38merge_sort_block_merge_config_selectorItNS0_10empty_typeEEEZZNS1_27merge_sort_block_merge_implIS3_N6thrust23THRUST_200600_302600_NS6detail15normal_iteratorINS9_10device_ptrItEEEEPS5_jNS1_19radix_merge_compareILb0ELb0EtNS0_19identity_decomposerEEEEE10hipError_tT0_T1_T2_jT3_P12ihipStream_tbPNSt15iterator_traitsISK_E10value_typeEPNSQ_ISL_E10value_typeEPSM_NS1_7vsmem_tEENKUlT_SK_SL_SM_E_clIPtSE_SF_SF_EESJ_SZ_SK_SL_SM_EUlSZ_E1_NS1_11comp_targetILNS1_3genE3ELNS1_11target_archE908ELNS1_3gpuE7ELNS1_3repE0EEENS1_36merge_oddeven_config_static_selectorELNS0_4arch9wavefront6targetE1EEEvSL_: ; @_ZN7rocprim17ROCPRIM_400000_NS6detail17trampoline_kernelINS0_14default_configENS1_38merge_sort_block_merge_config_selectorItNS0_10empty_typeEEEZZNS1_27merge_sort_block_merge_implIS3_N6thrust23THRUST_200600_302600_NS6detail15normal_iteratorINS9_10device_ptrItEEEEPS5_jNS1_19radix_merge_compareILb0ELb0EtNS0_19identity_decomposerEEEEE10hipError_tT0_T1_T2_jT3_P12ihipStream_tbPNSt15iterator_traitsISK_E10value_typeEPNSQ_ISL_E10value_typeEPSM_NS1_7vsmem_tEENKUlT_SK_SL_SM_E_clIPtSE_SF_SF_EESJ_SZ_SK_SL_SM_EUlSZ_E1_NS1_11comp_targetILNS1_3genE3ELNS1_11target_archE908ELNS1_3gpuE7ELNS1_3repE0EEENS1_36merge_oddeven_config_static_selectorELNS0_4arch9wavefront6targetE1EEEvSL_
; %bb.0:
	.section	.rodata,"a",@progbits
	.p2align	6, 0x0
	.amdhsa_kernel _ZN7rocprim17ROCPRIM_400000_NS6detail17trampoline_kernelINS0_14default_configENS1_38merge_sort_block_merge_config_selectorItNS0_10empty_typeEEEZZNS1_27merge_sort_block_merge_implIS3_N6thrust23THRUST_200600_302600_NS6detail15normal_iteratorINS9_10device_ptrItEEEEPS5_jNS1_19radix_merge_compareILb0ELb0EtNS0_19identity_decomposerEEEEE10hipError_tT0_T1_T2_jT3_P12ihipStream_tbPNSt15iterator_traitsISK_E10value_typeEPNSQ_ISL_E10value_typeEPSM_NS1_7vsmem_tEENKUlT_SK_SL_SM_E_clIPtSE_SF_SF_EESJ_SZ_SK_SL_SM_EUlSZ_E1_NS1_11comp_targetILNS1_3genE3ELNS1_11target_archE908ELNS1_3gpuE7ELNS1_3repE0EEENS1_36merge_oddeven_config_static_selectorELNS0_4arch9wavefront6targetE1EEEvSL_
		.amdhsa_group_segment_fixed_size 0
		.amdhsa_private_segment_fixed_size 0
		.amdhsa_kernarg_size 48
		.amdhsa_user_sgpr_count 6
		.amdhsa_user_sgpr_private_segment_buffer 1
		.amdhsa_user_sgpr_dispatch_ptr 0
		.amdhsa_user_sgpr_queue_ptr 0
		.amdhsa_user_sgpr_kernarg_segment_ptr 1
		.amdhsa_user_sgpr_dispatch_id 0
		.amdhsa_user_sgpr_flat_scratch_init 0
		.amdhsa_user_sgpr_kernarg_preload_length 0
		.amdhsa_user_sgpr_kernarg_preload_offset 0
		.amdhsa_user_sgpr_private_segment_size 0
		.amdhsa_uses_dynamic_stack 0
		.amdhsa_system_sgpr_private_segment_wavefront_offset 0
		.amdhsa_system_sgpr_workgroup_id_x 1
		.amdhsa_system_sgpr_workgroup_id_y 0
		.amdhsa_system_sgpr_workgroup_id_z 0
		.amdhsa_system_sgpr_workgroup_info 0
		.amdhsa_system_vgpr_workitem_id 0
		.amdhsa_next_free_vgpr 1
		.amdhsa_next_free_sgpr 0
		.amdhsa_accum_offset 4
		.amdhsa_reserve_vcc 0
		.amdhsa_reserve_flat_scratch 0
		.amdhsa_float_round_mode_32 0
		.amdhsa_float_round_mode_16_64 0
		.amdhsa_float_denorm_mode_32 3
		.amdhsa_float_denorm_mode_16_64 3
		.amdhsa_dx10_clamp 1
		.amdhsa_ieee_mode 1
		.amdhsa_fp16_overflow 0
		.amdhsa_tg_split 0
		.amdhsa_exception_fp_ieee_invalid_op 0
		.amdhsa_exception_fp_denorm_src 0
		.amdhsa_exception_fp_ieee_div_zero 0
		.amdhsa_exception_fp_ieee_overflow 0
		.amdhsa_exception_fp_ieee_underflow 0
		.amdhsa_exception_fp_ieee_inexact 0
		.amdhsa_exception_int_div_zero 0
	.end_amdhsa_kernel
	.section	.text._ZN7rocprim17ROCPRIM_400000_NS6detail17trampoline_kernelINS0_14default_configENS1_38merge_sort_block_merge_config_selectorItNS0_10empty_typeEEEZZNS1_27merge_sort_block_merge_implIS3_N6thrust23THRUST_200600_302600_NS6detail15normal_iteratorINS9_10device_ptrItEEEEPS5_jNS1_19radix_merge_compareILb0ELb0EtNS0_19identity_decomposerEEEEE10hipError_tT0_T1_T2_jT3_P12ihipStream_tbPNSt15iterator_traitsISK_E10value_typeEPNSQ_ISL_E10value_typeEPSM_NS1_7vsmem_tEENKUlT_SK_SL_SM_E_clIPtSE_SF_SF_EESJ_SZ_SK_SL_SM_EUlSZ_E1_NS1_11comp_targetILNS1_3genE3ELNS1_11target_archE908ELNS1_3gpuE7ELNS1_3repE0EEENS1_36merge_oddeven_config_static_selectorELNS0_4arch9wavefront6targetE1EEEvSL_,"axG",@progbits,_ZN7rocprim17ROCPRIM_400000_NS6detail17trampoline_kernelINS0_14default_configENS1_38merge_sort_block_merge_config_selectorItNS0_10empty_typeEEEZZNS1_27merge_sort_block_merge_implIS3_N6thrust23THRUST_200600_302600_NS6detail15normal_iteratorINS9_10device_ptrItEEEEPS5_jNS1_19radix_merge_compareILb0ELb0EtNS0_19identity_decomposerEEEEE10hipError_tT0_T1_T2_jT3_P12ihipStream_tbPNSt15iterator_traitsISK_E10value_typeEPNSQ_ISL_E10value_typeEPSM_NS1_7vsmem_tEENKUlT_SK_SL_SM_E_clIPtSE_SF_SF_EESJ_SZ_SK_SL_SM_EUlSZ_E1_NS1_11comp_targetILNS1_3genE3ELNS1_11target_archE908ELNS1_3gpuE7ELNS1_3repE0EEENS1_36merge_oddeven_config_static_selectorELNS0_4arch9wavefront6targetE1EEEvSL_,comdat
.Lfunc_end1226:
	.size	_ZN7rocprim17ROCPRIM_400000_NS6detail17trampoline_kernelINS0_14default_configENS1_38merge_sort_block_merge_config_selectorItNS0_10empty_typeEEEZZNS1_27merge_sort_block_merge_implIS3_N6thrust23THRUST_200600_302600_NS6detail15normal_iteratorINS9_10device_ptrItEEEEPS5_jNS1_19radix_merge_compareILb0ELb0EtNS0_19identity_decomposerEEEEE10hipError_tT0_T1_T2_jT3_P12ihipStream_tbPNSt15iterator_traitsISK_E10value_typeEPNSQ_ISL_E10value_typeEPSM_NS1_7vsmem_tEENKUlT_SK_SL_SM_E_clIPtSE_SF_SF_EESJ_SZ_SK_SL_SM_EUlSZ_E1_NS1_11comp_targetILNS1_3genE3ELNS1_11target_archE908ELNS1_3gpuE7ELNS1_3repE0EEENS1_36merge_oddeven_config_static_selectorELNS0_4arch9wavefront6targetE1EEEvSL_, .Lfunc_end1226-_ZN7rocprim17ROCPRIM_400000_NS6detail17trampoline_kernelINS0_14default_configENS1_38merge_sort_block_merge_config_selectorItNS0_10empty_typeEEEZZNS1_27merge_sort_block_merge_implIS3_N6thrust23THRUST_200600_302600_NS6detail15normal_iteratorINS9_10device_ptrItEEEEPS5_jNS1_19radix_merge_compareILb0ELb0EtNS0_19identity_decomposerEEEEE10hipError_tT0_T1_T2_jT3_P12ihipStream_tbPNSt15iterator_traitsISK_E10value_typeEPNSQ_ISL_E10value_typeEPSM_NS1_7vsmem_tEENKUlT_SK_SL_SM_E_clIPtSE_SF_SF_EESJ_SZ_SK_SL_SM_EUlSZ_E1_NS1_11comp_targetILNS1_3genE3ELNS1_11target_archE908ELNS1_3gpuE7ELNS1_3repE0EEENS1_36merge_oddeven_config_static_selectorELNS0_4arch9wavefront6targetE1EEEvSL_
                                        ; -- End function
	.section	.AMDGPU.csdata,"",@progbits
; Kernel info:
; codeLenInByte = 0
; NumSgprs: 4
; NumVgprs: 0
; NumAgprs: 0
; TotalNumVgprs: 0
; ScratchSize: 0
; MemoryBound: 0
; FloatMode: 240
; IeeeMode: 1
; LDSByteSize: 0 bytes/workgroup (compile time only)
; SGPRBlocks: 0
; VGPRBlocks: 0
; NumSGPRsForWavesPerEU: 4
; NumVGPRsForWavesPerEU: 1
; AccumOffset: 4
; Occupancy: 8
; WaveLimiterHint : 0
; COMPUTE_PGM_RSRC2:SCRATCH_EN: 0
; COMPUTE_PGM_RSRC2:USER_SGPR: 6
; COMPUTE_PGM_RSRC2:TRAP_HANDLER: 0
; COMPUTE_PGM_RSRC2:TGID_X_EN: 1
; COMPUTE_PGM_RSRC2:TGID_Y_EN: 0
; COMPUTE_PGM_RSRC2:TGID_Z_EN: 0
; COMPUTE_PGM_RSRC2:TIDIG_COMP_CNT: 0
; COMPUTE_PGM_RSRC3_GFX90A:ACCUM_OFFSET: 0
; COMPUTE_PGM_RSRC3_GFX90A:TG_SPLIT: 0
	.section	.text._ZN7rocprim17ROCPRIM_400000_NS6detail17trampoline_kernelINS0_14default_configENS1_38merge_sort_block_merge_config_selectorItNS0_10empty_typeEEEZZNS1_27merge_sort_block_merge_implIS3_N6thrust23THRUST_200600_302600_NS6detail15normal_iteratorINS9_10device_ptrItEEEEPS5_jNS1_19radix_merge_compareILb0ELb0EtNS0_19identity_decomposerEEEEE10hipError_tT0_T1_T2_jT3_P12ihipStream_tbPNSt15iterator_traitsISK_E10value_typeEPNSQ_ISL_E10value_typeEPSM_NS1_7vsmem_tEENKUlT_SK_SL_SM_E_clIPtSE_SF_SF_EESJ_SZ_SK_SL_SM_EUlSZ_E1_NS1_11comp_targetILNS1_3genE2ELNS1_11target_archE906ELNS1_3gpuE6ELNS1_3repE0EEENS1_36merge_oddeven_config_static_selectorELNS0_4arch9wavefront6targetE1EEEvSL_,"axG",@progbits,_ZN7rocprim17ROCPRIM_400000_NS6detail17trampoline_kernelINS0_14default_configENS1_38merge_sort_block_merge_config_selectorItNS0_10empty_typeEEEZZNS1_27merge_sort_block_merge_implIS3_N6thrust23THRUST_200600_302600_NS6detail15normal_iteratorINS9_10device_ptrItEEEEPS5_jNS1_19radix_merge_compareILb0ELb0EtNS0_19identity_decomposerEEEEE10hipError_tT0_T1_T2_jT3_P12ihipStream_tbPNSt15iterator_traitsISK_E10value_typeEPNSQ_ISL_E10value_typeEPSM_NS1_7vsmem_tEENKUlT_SK_SL_SM_E_clIPtSE_SF_SF_EESJ_SZ_SK_SL_SM_EUlSZ_E1_NS1_11comp_targetILNS1_3genE2ELNS1_11target_archE906ELNS1_3gpuE6ELNS1_3repE0EEENS1_36merge_oddeven_config_static_selectorELNS0_4arch9wavefront6targetE1EEEvSL_,comdat
	.protected	_ZN7rocprim17ROCPRIM_400000_NS6detail17trampoline_kernelINS0_14default_configENS1_38merge_sort_block_merge_config_selectorItNS0_10empty_typeEEEZZNS1_27merge_sort_block_merge_implIS3_N6thrust23THRUST_200600_302600_NS6detail15normal_iteratorINS9_10device_ptrItEEEEPS5_jNS1_19radix_merge_compareILb0ELb0EtNS0_19identity_decomposerEEEEE10hipError_tT0_T1_T2_jT3_P12ihipStream_tbPNSt15iterator_traitsISK_E10value_typeEPNSQ_ISL_E10value_typeEPSM_NS1_7vsmem_tEENKUlT_SK_SL_SM_E_clIPtSE_SF_SF_EESJ_SZ_SK_SL_SM_EUlSZ_E1_NS1_11comp_targetILNS1_3genE2ELNS1_11target_archE906ELNS1_3gpuE6ELNS1_3repE0EEENS1_36merge_oddeven_config_static_selectorELNS0_4arch9wavefront6targetE1EEEvSL_ ; -- Begin function _ZN7rocprim17ROCPRIM_400000_NS6detail17trampoline_kernelINS0_14default_configENS1_38merge_sort_block_merge_config_selectorItNS0_10empty_typeEEEZZNS1_27merge_sort_block_merge_implIS3_N6thrust23THRUST_200600_302600_NS6detail15normal_iteratorINS9_10device_ptrItEEEEPS5_jNS1_19radix_merge_compareILb0ELb0EtNS0_19identity_decomposerEEEEE10hipError_tT0_T1_T2_jT3_P12ihipStream_tbPNSt15iterator_traitsISK_E10value_typeEPNSQ_ISL_E10value_typeEPSM_NS1_7vsmem_tEENKUlT_SK_SL_SM_E_clIPtSE_SF_SF_EESJ_SZ_SK_SL_SM_EUlSZ_E1_NS1_11comp_targetILNS1_3genE2ELNS1_11target_archE906ELNS1_3gpuE6ELNS1_3repE0EEENS1_36merge_oddeven_config_static_selectorELNS0_4arch9wavefront6targetE1EEEvSL_
	.globl	_ZN7rocprim17ROCPRIM_400000_NS6detail17trampoline_kernelINS0_14default_configENS1_38merge_sort_block_merge_config_selectorItNS0_10empty_typeEEEZZNS1_27merge_sort_block_merge_implIS3_N6thrust23THRUST_200600_302600_NS6detail15normal_iteratorINS9_10device_ptrItEEEEPS5_jNS1_19radix_merge_compareILb0ELb0EtNS0_19identity_decomposerEEEEE10hipError_tT0_T1_T2_jT3_P12ihipStream_tbPNSt15iterator_traitsISK_E10value_typeEPNSQ_ISL_E10value_typeEPSM_NS1_7vsmem_tEENKUlT_SK_SL_SM_E_clIPtSE_SF_SF_EESJ_SZ_SK_SL_SM_EUlSZ_E1_NS1_11comp_targetILNS1_3genE2ELNS1_11target_archE906ELNS1_3gpuE6ELNS1_3repE0EEENS1_36merge_oddeven_config_static_selectorELNS0_4arch9wavefront6targetE1EEEvSL_
	.p2align	8
	.type	_ZN7rocprim17ROCPRIM_400000_NS6detail17trampoline_kernelINS0_14default_configENS1_38merge_sort_block_merge_config_selectorItNS0_10empty_typeEEEZZNS1_27merge_sort_block_merge_implIS3_N6thrust23THRUST_200600_302600_NS6detail15normal_iteratorINS9_10device_ptrItEEEEPS5_jNS1_19radix_merge_compareILb0ELb0EtNS0_19identity_decomposerEEEEE10hipError_tT0_T1_T2_jT3_P12ihipStream_tbPNSt15iterator_traitsISK_E10value_typeEPNSQ_ISL_E10value_typeEPSM_NS1_7vsmem_tEENKUlT_SK_SL_SM_E_clIPtSE_SF_SF_EESJ_SZ_SK_SL_SM_EUlSZ_E1_NS1_11comp_targetILNS1_3genE2ELNS1_11target_archE906ELNS1_3gpuE6ELNS1_3repE0EEENS1_36merge_oddeven_config_static_selectorELNS0_4arch9wavefront6targetE1EEEvSL_,@function
_ZN7rocprim17ROCPRIM_400000_NS6detail17trampoline_kernelINS0_14default_configENS1_38merge_sort_block_merge_config_selectorItNS0_10empty_typeEEEZZNS1_27merge_sort_block_merge_implIS3_N6thrust23THRUST_200600_302600_NS6detail15normal_iteratorINS9_10device_ptrItEEEEPS5_jNS1_19radix_merge_compareILb0ELb0EtNS0_19identity_decomposerEEEEE10hipError_tT0_T1_T2_jT3_P12ihipStream_tbPNSt15iterator_traitsISK_E10value_typeEPNSQ_ISL_E10value_typeEPSM_NS1_7vsmem_tEENKUlT_SK_SL_SM_E_clIPtSE_SF_SF_EESJ_SZ_SK_SL_SM_EUlSZ_E1_NS1_11comp_targetILNS1_3genE2ELNS1_11target_archE906ELNS1_3gpuE6ELNS1_3repE0EEENS1_36merge_oddeven_config_static_selectorELNS0_4arch9wavefront6targetE1EEEvSL_: ; @_ZN7rocprim17ROCPRIM_400000_NS6detail17trampoline_kernelINS0_14default_configENS1_38merge_sort_block_merge_config_selectorItNS0_10empty_typeEEEZZNS1_27merge_sort_block_merge_implIS3_N6thrust23THRUST_200600_302600_NS6detail15normal_iteratorINS9_10device_ptrItEEEEPS5_jNS1_19radix_merge_compareILb0ELb0EtNS0_19identity_decomposerEEEEE10hipError_tT0_T1_T2_jT3_P12ihipStream_tbPNSt15iterator_traitsISK_E10value_typeEPNSQ_ISL_E10value_typeEPSM_NS1_7vsmem_tEENKUlT_SK_SL_SM_E_clIPtSE_SF_SF_EESJ_SZ_SK_SL_SM_EUlSZ_E1_NS1_11comp_targetILNS1_3genE2ELNS1_11target_archE906ELNS1_3gpuE6ELNS1_3repE0EEENS1_36merge_oddeven_config_static_selectorELNS0_4arch9wavefront6targetE1EEEvSL_
; %bb.0:
	.section	.rodata,"a",@progbits
	.p2align	6, 0x0
	.amdhsa_kernel _ZN7rocprim17ROCPRIM_400000_NS6detail17trampoline_kernelINS0_14default_configENS1_38merge_sort_block_merge_config_selectorItNS0_10empty_typeEEEZZNS1_27merge_sort_block_merge_implIS3_N6thrust23THRUST_200600_302600_NS6detail15normal_iteratorINS9_10device_ptrItEEEEPS5_jNS1_19radix_merge_compareILb0ELb0EtNS0_19identity_decomposerEEEEE10hipError_tT0_T1_T2_jT3_P12ihipStream_tbPNSt15iterator_traitsISK_E10value_typeEPNSQ_ISL_E10value_typeEPSM_NS1_7vsmem_tEENKUlT_SK_SL_SM_E_clIPtSE_SF_SF_EESJ_SZ_SK_SL_SM_EUlSZ_E1_NS1_11comp_targetILNS1_3genE2ELNS1_11target_archE906ELNS1_3gpuE6ELNS1_3repE0EEENS1_36merge_oddeven_config_static_selectorELNS0_4arch9wavefront6targetE1EEEvSL_
		.amdhsa_group_segment_fixed_size 0
		.amdhsa_private_segment_fixed_size 0
		.amdhsa_kernarg_size 48
		.amdhsa_user_sgpr_count 6
		.amdhsa_user_sgpr_private_segment_buffer 1
		.amdhsa_user_sgpr_dispatch_ptr 0
		.amdhsa_user_sgpr_queue_ptr 0
		.amdhsa_user_sgpr_kernarg_segment_ptr 1
		.amdhsa_user_sgpr_dispatch_id 0
		.amdhsa_user_sgpr_flat_scratch_init 0
		.amdhsa_user_sgpr_kernarg_preload_length 0
		.amdhsa_user_sgpr_kernarg_preload_offset 0
		.amdhsa_user_sgpr_private_segment_size 0
		.amdhsa_uses_dynamic_stack 0
		.amdhsa_system_sgpr_private_segment_wavefront_offset 0
		.amdhsa_system_sgpr_workgroup_id_x 1
		.amdhsa_system_sgpr_workgroup_id_y 0
		.amdhsa_system_sgpr_workgroup_id_z 0
		.amdhsa_system_sgpr_workgroup_info 0
		.amdhsa_system_vgpr_workitem_id 0
		.amdhsa_next_free_vgpr 1
		.amdhsa_next_free_sgpr 0
		.amdhsa_accum_offset 4
		.amdhsa_reserve_vcc 0
		.amdhsa_reserve_flat_scratch 0
		.amdhsa_float_round_mode_32 0
		.amdhsa_float_round_mode_16_64 0
		.amdhsa_float_denorm_mode_32 3
		.amdhsa_float_denorm_mode_16_64 3
		.amdhsa_dx10_clamp 1
		.amdhsa_ieee_mode 1
		.amdhsa_fp16_overflow 0
		.amdhsa_tg_split 0
		.amdhsa_exception_fp_ieee_invalid_op 0
		.amdhsa_exception_fp_denorm_src 0
		.amdhsa_exception_fp_ieee_div_zero 0
		.amdhsa_exception_fp_ieee_overflow 0
		.amdhsa_exception_fp_ieee_underflow 0
		.amdhsa_exception_fp_ieee_inexact 0
		.amdhsa_exception_int_div_zero 0
	.end_amdhsa_kernel
	.section	.text._ZN7rocprim17ROCPRIM_400000_NS6detail17trampoline_kernelINS0_14default_configENS1_38merge_sort_block_merge_config_selectorItNS0_10empty_typeEEEZZNS1_27merge_sort_block_merge_implIS3_N6thrust23THRUST_200600_302600_NS6detail15normal_iteratorINS9_10device_ptrItEEEEPS5_jNS1_19radix_merge_compareILb0ELb0EtNS0_19identity_decomposerEEEEE10hipError_tT0_T1_T2_jT3_P12ihipStream_tbPNSt15iterator_traitsISK_E10value_typeEPNSQ_ISL_E10value_typeEPSM_NS1_7vsmem_tEENKUlT_SK_SL_SM_E_clIPtSE_SF_SF_EESJ_SZ_SK_SL_SM_EUlSZ_E1_NS1_11comp_targetILNS1_3genE2ELNS1_11target_archE906ELNS1_3gpuE6ELNS1_3repE0EEENS1_36merge_oddeven_config_static_selectorELNS0_4arch9wavefront6targetE1EEEvSL_,"axG",@progbits,_ZN7rocprim17ROCPRIM_400000_NS6detail17trampoline_kernelINS0_14default_configENS1_38merge_sort_block_merge_config_selectorItNS0_10empty_typeEEEZZNS1_27merge_sort_block_merge_implIS3_N6thrust23THRUST_200600_302600_NS6detail15normal_iteratorINS9_10device_ptrItEEEEPS5_jNS1_19radix_merge_compareILb0ELb0EtNS0_19identity_decomposerEEEEE10hipError_tT0_T1_T2_jT3_P12ihipStream_tbPNSt15iterator_traitsISK_E10value_typeEPNSQ_ISL_E10value_typeEPSM_NS1_7vsmem_tEENKUlT_SK_SL_SM_E_clIPtSE_SF_SF_EESJ_SZ_SK_SL_SM_EUlSZ_E1_NS1_11comp_targetILNS1_3genE2ELNS1_11target_archE906ELNS1_3gpuE6ELNS1_3repE0EEENS1_36merge_oddeven_config_static_selectorELNS0_4arch9wavefront6targetE1EEEvSL_,comdat
.Lfunc_end1227:
	.size	_ZN7rocprim17ROCPRIM_400000_NS6detail17trampoline_kernelINS0_14default_configENS1_38merge_sort_block_merge_config_selectorItNS0_10empty_typeEEEZZNS1_27merge_sort_block_merge_implIS3_N6thrust23THRUST_200600_302600_NS6detail15normal_iteratorINS9_10device_ptrItEEEEPS5_jNS1_19radix_merge_compareILb0ELb0EtNS0_19identity_decomposerEEEEE10hipError_tT0_T1_T2_jT3_P12ihipStream_tbPNSt15iterator_traitsISK_E10value_typeEPNSQ_ISL_E10value_typeEPSM_NS1_7vsmem_tEENKUlT_SK_SL_SM_E_clIPtSE_SF_SF_EESJ_SZ_SK_SL_SM_EUlSZ_E1_NS1_11comp_targetILNS1_3genE2ELNS1_11target_archE906ELNS1_3gpuE6ELNS1_3repE0EEENS1_36merge_oddeven_config_static_selectorELNS0_4arch9wavefront6targetE1EEEvSL_, .Lfunc_end1227-_ZN7rocprim17ROCPRIM_400000_NS6detail17trampoline_kernelINS0_14default_configENS1_38merge_sort_block_merge_config_selectorItNS0_10empty_typeEEEZZNS1_27merge_sort_block_merge_implIS3_N6thrust23THRUST_200600_302600_NS6detail15normal_iteratorINS9_10device_ptrItEEEEPS5_jNS1_19radix_merge_compareILb0ELb0EtNS0_19identity_decomposerEEEEE10hipError_tT0_T1_T2_jT3_P12ihipStream_tbPNSt15iterator_traitsISK_E10value_typeEPNSQ_ISL_E10value_typeEPSM_NS1_7vsmem_tEENKUlT_SK_SL_SM_E_clIPtSE_SF_SF_EESJ_SZ_SK_SL_SM_EUlSZ_E1_NS1_11comp_targetILNS1_3genE2ELNS1_11target_archE906ELNS1_3gpuE6ELNS1_3repE0EEENS1_36merge_oddeven_config_static_selectorELNS0_4arch9wavefront6targetE1EEEvSL_
                                        ; -- End function
	.section	.AMDGPU.csdata,"",@progbits
; Kernel info:
; codeLenInByte = 0
; NumSgprs: 4
; NumVgprs: 0
; NumAgprs: 0
; TotalNumVgprs: 0
; ScratchSize: 0
; MemoryBound: 0
; FloatMode: 240
; IeeeMode: 1
; LDSByteSize: 0 bytes/workgroup (compile time only)
; SGPRBlocks: 0
; VGPRBlocks: 0
; NumSGPRsForWavesPerEU: 4
; NumVGPRsForWavesPerEU: 1
; AccumOffset: 4
; Occupancy: 8
; WaveLimiterHint : 0
; COMPUTE_PGM_RSRC2:SCRATCH_EN: 0
; COMPUTE_PGM_RSRC2:USER_SGPR: 6
; COMPUTE_PGM_RSRC2:TRAP_HANDLER: 0
; COMPUTE_PGM_RSRC2:TGID_X_EN: 1
; COMPUTE_PGM_RSRC2:TGID_Y_EN: 0
; COMPUTE_PGM_RSRC2:TGID_Z_EN: 0
; COMPUTE_PGM_RSRC2:TIDIG_COMP_CNT: 0
; COMPUTE_PGM_RSRC3_GFX90A:ACCUM_OFFSET: 0
; COMPUTE_PGM_RSRC3_GFX90A:TG_SPLIT: 0
	.section	.text._ZN7rocprim17ROCPRIM_400000_NS6detail17trampoline_kernelINS0_14default_configENS1_38merge_sort_block_merge_config_selectorItNS0_10empty_typeEEEZZNS1_27merge_sort_block_merge_implIS3_N6thrust23THRUST_200600_302600_NS6detail15normal_iteratorINS9_10device_ptrItEEEEPS5_jNS1_19radix_merge_compareILb0ELb0EtNS0_19identity_decomposerEEEEE10hipError_tT0_T1_T2_jT3_P12ihipStream_tbPNSt15iterator_traitsISK_E10value_typeEPNSQ_ISL_E10value_typeEPSM_NS1_7vsmem_tEENKUlT_SK_SL_SM_E_clIPtSE_SF_SF_EESJ_SZ_SK_SL_SM_EUlSZ_E1_NS1_11comp_targetILNS1_3genE9ELNS1_11target_archE1100ELNS1_3gpuE3ELNS1_3repE0EEENS1_36merge_oddeven_config_static_selectorELNS0_4arch9wavefront6targetE1EEEvSL_,"axG",@progbits,_ZN7rocprim17ROCPRIM_400000_NS6detail17trampoline_kernelINS0_14default_configENS1_38merge_sort_block_merge_config_selectorItNS0_10empty_typeEEEZZNS1_27merge_sort_block_merge_implIS3_N6thrust23THRUST_200600_302600_NS6detail15normal_iteratorINS9_10device_ptrItEEEEPS5_jNS1_19radix_merge_compareILb0ELb0EtNS0_19identity_decomposerEEEEE10hipError_tT0_T1_T2_jT3_P12ihipStream_tbPNSt15iterator_traitsISK_E10value_typeEPNSQ_ISL_E10value_typeEPSM_NS1_7vsmem_tEENKUlT_SK_SL_SM_E_clIPtSE_SF_SF_EESJ_SZ_SK_SL_SM_EUlSZ_E1_NS1_11comp_targetILNS1_3genE9ELNS1_11target_archE1100ELNS1_3gpuE3ELNS1_3repE0EEENS1_36merge_oddeven_config_static_selectorELNS0_4arch9wavefront6targetE1EEEvSL_,comdat
	.protected	_ZN7rocprim17ROCPRIM_400000_NS6detail17trampoline_kernelINS0_14default_configENS1_38merge_sort_block_merge_config_selectorItNS0_10empty_typeEEEZZNS1_27merge_sort_block_merge_implIS3_N6thrust23THRUST_200600_302600_NS6detail15normal_iteratorINS9_10device_ptrItEEEEPS5_jNS1_19radix_merge_compareILb0ELb0EtNS0_19identity_decomposerEEEEE10hipError_tT0_T1_T2_jT3_P12ihipStream_tbPNSt15iterator_traitsISK_E10value_typeEPNSQ_ISL_E10value_typeEPSM_NS1_7vsmem_tEENKUlT_SK_SL_SM_E_clIPtSE_SF_SF_EESJ_SZ_SK_SL_SM_EUlSZ_E1_NS1_11comp_targetILNS1_3genE9ELNS1_11target_archE1100ELNS1_3gpuE3ELNS1_3repE0EEENS1_36merge_oddeven_config_static_selectorELNS0_4arch9wavefront6targetE1EEEvSL_ ; -- Begin function _ZN7rocprim17ROCPRIM_400000_NS6detail17trampoline_kernelINS0_14default_configENS1_38merge_sort_block_merge_config_selectorItNS0_10empty_typeEEEZZNS1_27merge_sort_block_merge_implIS3_N6thrust23THRUST_200600_302600_NS6detail15normal_iteratorINS9_10device_ptrItEEEEPS5_jNS1_19radix_merge_compareILb0ELb0EtNS0_19identity_decomposerEEEEE10hipError_tT0_T1_T2_jT3_P12ihipStream_tbPNSt15iterator_traitsISK_E10value_typeEPNSQ_ISL_E10value_typeEPSM_NS1_7vsmem_tEENKUlT_SK_SL_SM_E_clIPtSE_SF_SF_EESJ_SZ_SK_SL_SM_EUlSZ_E1_NS1_11comp_targetILNS1_3genE9ELNS1_11target_archE1100ELNS1_3gpuE3ELNS1_3repE0EEENS1_36merge_oddeven_config_static_selectorELNS0_4arch9wavefront6targetE1EEEvSL_
	.globl	_ZN7rocprim17ROCPRIM_400000_NS6detail17trampoline_kernelINS0_14default_configENS1_38merge_sort_block_merge_config_selectorItNS0_10empty_typeEEEZZNS1_27merge_sort_block_merge_implIS3_N6thrust23THRUST_200600_302600_NS6detail15normal_iteratorINS9_10device_ptrItEEEEPS5_jNS1_19radix_merge_compareILb0ELb0EtNS0_19identity_decomposerEEEEE10hipError_tT0_T1_T2_jT3_P12ihipStream_tbPNSt15iterator_traitsISK_E10value_typeEPNSQ_ISL_E10value_typeEPSM_NS1_7vsmem_tEENKUlT_SK_SL_SM_E_clIPtSE_SF_SF_EESJ_SZ_SK_SL_SM_EUlSZ_E1_NS1_11comp_targetILNS1_3genE9ELNS1_11target_archE1100ELNS1_3gpuE3ELNS1_3repE0EEENS1_36merge_oddeven_config_static_selectorELNS0_4arch9wavefront6targetE1EEEvSL_
	.p2align	8
	.type	_ZN7rocprim17ROCPRIM_400000_NS6detail17trampoline_kernelINS0_14default_configENS1_38merge_sort_block_merge_config_selectorItNS0_10empty_typeEEEZZNS1_27merge_sort_block_merge_implIS3_N6thrust23THRUST_200600_302600_NS6detail15normal_iteratorINS9_10device_ptrItEEEEPS5_jNS1_19radix_merge_compareILb0ELb0EtNS0_19identity_decomposerEEEEE10hipError_tT0_T1_T2_jT3_P12ihipStream_tbPNSt15iterator_traitsISK_E10value_typeEPNSQ_ISL_E10value_typeEPSM_NS1_7vsmem_tEENKUlT_SK_SL_SM_E_clIPtSE_SF_SF_EESJ_SZ_SK_SL_SM_EUlSZ_E1_NS1_11comp_targetILNS1_3genE9ELNS1_11target_archE1100ELNS1_3gpuE3ELNS1_3repE0EEENS1_36merge_oddeven_config_static_selectorELNS0_4arch9wavefront6targetE1EEEvSL_,@function
_ZN7rocprim17ROCPRIM_400000_NS6detail17trampoline_kernelINS0_14default_configENS1_38merge_sort_block_merge_config_selectorItNS0_10empty_typeEEEZZNS1_27merge_sort_block_merge_implIS3_N6thrust23THRUST_200600_302600_NS6detail15normal_iteratorINS9_10device_ptrItEEEEPS5_jNS1_19radix_merge_compareILb0ELb0EtNS0_19identity_decomposerEEEEE10hipError_tT0_T1_T2_jT3_P12ihipStream_tbPNSt15iterator_traitsISK_E10value_typeEPNSQ_ISL_E10value_typeEPSM_NS1_7vsmem_tEENKUlT_SK_SL_SM_E_clIPtSE_SF_SF_EESJ_SZ_SK_SL_SM_EUlSZ_E1_NS1_11comp_targetILNS1_3genE9ELNS1_11target_archE1100ELNS1_3gpuE3ELNS1_3repE0EEENS1_36merge_oddeven_config_static_selectorELNS0_4arch9wavefront6targetE1EEEvSL_: ; @_ZN7rocprim17ROCPRIM_400000_NS6detail17trampoline_kernelINS0_14default_configENS1_38merge_sort_block_merge_config_selectorItNS0_10empty_typeEEEZZNS1_27merge_sort_block_merge_implIS3_N6thrust23THRUST_200600_302600_NS6detail15normal_iteratorINS9_10device_ptrItEEEEPS5_jNS1_19radix_merge_compareILb0ELb0EtNS0_19identity_decomposerEEEEE10hipError_tT0_T1_T2_jT3_P12ihipStream_tbPNSt15iterator_traitsISK_E10value_typeEPNSQ_ISL_E10value_typeEPSM_NS1_7vsmem_tEENKUlT_SK_SL_SM_E_clIPtSE_SF_SF_EESJ_SZ_SK_SL_SM_EUlSZ_E1_NS1_11comp_targetILNS1_3genE9ELNS1_11target_archE1100ELNS1_3gpuE3ELNS1_3repE0EEENS1_36merge_oddeven_config_static_selectorELNS0_4arch9wavefront6targetE1EEEvSL_
; %bb.0:
	.section	.rodata,"a",@progbits
	.p2align	6, 0x0
	.amdhsa_kernel _ZN7rocprim17ROCPRIM_400000_NS6detail17trampoline_kernelINS0_14default_configENS1_38merge_sort_block_merge_config_selectorItNS0_10empty_typeEEEZZNS1_27merge_sort_block_merge_implIS3_N6thrust23THRUST_200600_302600_NS6detail15normal_iteratorINS9_10device_ptrItEEEEPS5_jNS1_19radix_merge_compareILb0ELb0EtNS0_19identity_decomposerEEEEE10hipError_tT0_T1_T2_jT3_P12ihipStream_tbPNSt15iterator_traitsISK_E10value_typeEPNSQ_ISL_E10value_typeEPSM_NS1_7vsmem_tEENKUlT_SK_SL_SM_E_clIPtSE_SF_SF_EESJ_SZ_SK_SL_SM_EUlSZ_E1_NS1_11comp_targetILNS1_3genE9ELNS1_11target_archE1100ELNS1_3gpuE3ELNS1_3repE0EEENS1_36merge_oddeven_config_static_selectorELNS0_4arch9wavefront6targetE1EEEvSL_
		.amdhsa_group_segment_fixed_size 0
		.amdhsa_private_segment_fixed_size 0
		.amdhsa_kernarg_size 48
		.amdhsa_user_sgpr_count 6
		.amdhsa_user_sgpr_private_segment_buffer 1
		.amdhsa_user_sgpr_dispatch_ptr 0
		.amdhsa_user_sgpr_queue_ptr 0
		.amdhsa_user_sgpr_kernarg_segment_ptr 1
		.amdhsa_user_sgpr_dispatch_id 0
		.amdhsa_user_sgpr_flat_scratch_init 0
		.amdhsa_user_sgpr_kernarg_preload_length 0
		.amdhsa_user_sgpr_kernarg_preload_offset 0
		.amdhsa_user_sgpr_private_segment_size 0
		.amdhsa_uses_dynamic_stack 0
		.amdhsa_system_sgpr_private_segment_wavefront_offset 0
		.amdhsa_system_sgpr_workgroup_id_x 1
		.amdhsa_system_sgpr_workgroup_id_y 0
		.amdhsa_system_sgpr_workgroup_id_z 0
		.amdhsa_system_sgpr_workgroup_info 0
		.amdhsa_system_vgpr_workitem_id 0
		.amdhsa_next_free_vgpr 1
		.amdhsa_next_free_sgpr 0
		.amdhsa_accum_offset 4
		.amdhsa_reserve_vcc 0
		.amdhsa_reserve_flat_scratch 0
		.amdhsa_float_round_mode_32 0
		.amdhsa_float_round_mode_16_64 0
		.amdhsa_float_denorm_mode_32 3
		.amdhsa_float_denorm_mode_16_64 3
		.amdhsa_dx10_clamp 1
		.amdhsa_ieee_mode 1
		.amdhsa_fp16_overflow 0
		.amdhsa_tg_split 0
		.amdhsa_exception_fp_ieee_invalid_op 0
		.amdhsa_exception_fp_denorm_src 0
		.amdhsa_exception_fp_ieee_div_zero 0
		.amdhsa_exception_fp_ieee_overflow 0
		.amdhsa_exception_fp_ieee_underflow 0
		.amdhsa_exception_fp_ieee_inexact 0
		.amdhsa_exception_int_div_zero 0
	.end_amdhsa_kernel
	.section	.text._ZN7rocprim17ROCPRIM_400000_NS6detail17trampoline_kernelINS0_14default_configENS1_38merge_sort_block_merge_config_selectorItNS0_10empty_typeEEEZZNS1_27merge_sort_block_merge_implIS3_N6thrust23THRUST_200600_302600_NS6detail15normal_iteratorINS9_10device_ptrItEEEEPS5_jNS1_19radix_merge_compareILb0ELb0EtNS0_19identity_decomposerEEEEE10hipError_tT0_T1_T2_jT3_P12ihipStream_tbPNSt15iterator_traitsISK_E10value_typeEPNSQ_ISL_E10value_typeEPSM_NS1_7vsmem_tEENKUlT_SK_SL_SM_E_clIPtSE_SF_SF_EESJ_SZ_SK_SL_SM_EUlSZ_E1_NS1_11comp_targetILNS1_3genE9ELNS1_11target_archE1100ELNS1_3gpuE3ELNS1_3repE0EEENS1_36merge_oddeven_config_static_selectorELNS0_4arch9wavefront6targetE1EEEvSL_,"axG",@progbits,_ZN7rocprim17ROCPRIM_400000_NS6detail17trampoline_kernelINS0_14default_configENS1_38merge_sort_block_merge_config_selectorItNS0_10empty_typeEEEZZNS1_27merge_sort_block_merge_implIS3_N6thrust23THRUST_200600_302600_NS6detail15normal_iteratorINS9_10device_ptrItEEEEPS5_jNS1_19radix_merge_compareILb0ELb0EtNS0_19identity_decomposerEEEEE10hipError_tT0_T1_T2_jT3_P12ihipStream_tbPNSt15iterator_traitsISK_E10value_typeEPNSQ_ISL_E10value_typeEPSM_NS1_7vsmem_tEENKUlT_SK_SL_SM_E_clIPtSE_SF_SF_EESJ_SZ_SK_SL_SM_EUlSZ_E1_NS1_11comp_targetILNS1_3genE9ELNS1_11target_archE1100ELNS1_3gpuE3ELNS1_3repE0EEENS1_36merge_oddeven_config_static_selectorELNS0_4arch9wavefront6targetE1EEEvSL_,comdat
.Lfunc_end1228:
	.size	_ZN7rocprim17ROCPRIM_400000_NS6detail17trampoline_kernelINS0_14default_configENS1_38merge_sort_block_merge_config_selectorItNS0_10empty_typeEEEZZNS1_27merge_sort_block_merge_implIS3_N6thrust23THRUST_200600_302600_NS6detail15normal_iteratorINS9_10device_ptrItEEEEPS5_jNS1_19radix_merge_compareILb0ELb0EtNS0_19identity_decomposerEEEEE10hipError_tT0_T1_T2_jT3_P12ihipStream_tbPNSt15iterator_traitsISK_E10value_typeEPNSQ_ISL_E10value_typeEPSM_NS1_7vsmem_tEENKUlT_SK_SL_SM_E_clIPtSE_SF_SF_EESJ_SZ_SK_SL_SM_EUlSZ_E1_NS1_11comp_targetILNS1_3genE9ELNS1_11target_archE1100ELNS1_3gpuE3ELNS1_3repE0EEENS1_36merge_oddeven_config_static_selectorELNS0_4arch9wavefront6targetE1EEEvSL_, .Lfunc_end1228-_ZN7rocprim17ROCPRIM_400000_NS6detail17trampoline_kernelINS0_14default_configENS1_38merge_sort_block_merge_config_selectorItNS0_10empty_typeEEEZZNS1_27merge_sort_block_merge_implIS3_N6thrust23THRUST_200600_302600_NS6detail15normal_iteratorINS9_10device_ptrItEEEEPS5_jNS1_19radix_merge_compareILb0ELb0EtNS0_19identity_decomposerEEEEE10hipError_tT0_T1_T2_jT3_P12ihipStream_tbPNSt15iterator_traitsISK_E10value_typeEPNSQ_ISL_E10value_typeEPSM_NS1_7vsmem_tEENKUlT_SK_SL_SM_E_clIPtSE_SF_SF_EESJ_SZ_SK_SL_SM_EUlSZ_E1_NS1_11comp_targetILNS1_3genE9ELNS1_11target_archE1100ELNS1_3gpuE3ELNS1_3repE0EEENS1_36merge_oddeven_config_static_selectorELNS0_4arch9wavefront6targetE1EEEvSL_
                                        ; -- End function
	.section	.AMDGPU.csdata,"",@progbits
; Kernel info:
; codeLenInByte = 0
; NumSgprs: 4
; NumVgprs: 0
; NumAgprs: 0
; TotalNumVgprs: 0
; ScratchSize: 0
; MemoryBound: 0
; FloatMode: 240
; IeeeMode: 1
; LDSByteSize: 0 bytes/workgroup (compile time only)
; SGPRBlocks: 0
; VGPRBlocks: 0
; NumSGPRsForWavesPerEU: 4
; NumVGPRsForWavesPerEU: 1
; AccumOffset: 4
; Occupancy: 8
; WaveLimiterHint : 0
; COMPUTE_PGM_RSRC2:SCRATCH_EN: 0
; COMPUTE_PGM_RSRC2:USER_SGPR: 6
; COMPUTE_PGM_RSRC2:TRAP_HANDLER: 0
; COMPUTE_PGM_RSRC2:TGID_X_EN: 1
; COMPUTE_PGM_RSRC2:TGID_Y_EN: 0
; COMPUTE_PGM_RSRC2:TGID_Z_EN: 0
; COMPUTE_PGM_RSRC2:TIDIG_COMP_CNT: 0
; COMPUTE_PGM_RSRC3_GFX90A:ACCUM_OFFSET: 0
; COMPUTE_PGM_RSRC3_GFX90A:TG_SPLIT: 0
	.section	.text._ZN7rocprim17ROCPRIM_400000_NS6detail17trampoline_kernelINS0_14default_configENS1_38merge_sort_block_merge_config_selectorItNS0_10empty_typeEEEZZNS1_27merge_sort_block_merge_implIS3_N6thrust23THRUST_200600_302600_NS6detail15normal_iteratorINS9_10device_ptrItEEEEPS5_jNS1_19radix_merge_compareILb0ELb0EtNS0_19identity_decomposerEEEEE10hipError_tT0_T1_T2_jT3_P12ihipStream_tbPNSt15iterator_traitsISK_E10value_typeEPNSQ_ISL_E10value_typeEPSM_NS1_7vsmem_tEENKUlT_SK_SL_SM_E_clIPtSE_SF_SF_EESJ_SZ_SK_SL_SM_EUlSZ_E1_NS1_11comp_targetILNS1_3genE8ELNS1_11target_archE1030ELNS1_3gpuE2ELNS1_3repE0EEENS1_36merge_oddeven_config_static_selectorELNS0_4arch9wavefront6targetE1EEEvSL_,"axG",@progbits,_ZN7rocprim17ROCPRIM_400000_NS6detail17trampoline_kernelINS0_14default_configENS1_38merge_sort_block_merge_config_selectorItNS0_10empty_typeEEEZZNS1_27merge_sort_block_merge_implIS3_N6thrust23THRUST_200600_302600_NS6detail15normal_iteratorINS9_10device_ptrItEEEEPS5_jNS1_19radix_merge_compareILb0ELb0EtNS0_19identity_decomposerEEEEE10hipError_tT0_T1_T2_jT3_P12ihipStream_tbPNSt15iterator_traitsISK_E10value_typeEPNSQ_ISL_E10value_typeEPSM_NS1_7vsmem_tEENKUlT_SK_SL_SM_E_clIPtSE_SF_SF_EESJ_SZ_SK_SL_SM_EUlSZ_E1_NS1_11comp_targetILNS1_3genE8ELNS1_11target_archE1030ELNS1_3gpuE2ELNS1_3repE0EEENS1_36merge_oddeven_config_static_selectorELNS0_4arch9wavefront6targetE1EEEvSL_,comdat
	.protected	_ZN7rocprim17ROCPRIM_400000_NS6detail17trampoline_kernelINS0_14default_configENS1_38merge_sort_block_merge_config_selectorItNS0_10empty_typeEEEZZNS1_27merge_sort_block_merge_implIS3_N6thrust23THRUST_200600_302600_NS6detail15normal_iteratorINS9_10device_ptrItEEEEPS5_jNS1_19radix_merge_compareILb0ELb0EtNS0_19identity_decomposerEEEEE10hipError_tT0_T1_T2_jT3_P12ihipStream_tbPNSt15iterator_traitsISK_E10value_typeEPNSQ_ISL_E10value_typeEPSM_NS1_7vsmem_tEENKUlT_SK_SL_SM_E_clIPtSE_SF_SF_EESJ_SZ_SK_SL_SM_EUlSZ_E1_NS1_11comp_targetILNS1_3genE8ELNS1_11target_archE1030ELNS1_3gpuE2ELNS1_3repE0EEENS1_36merge_oddeven_config_static_selectorELNS0_4arch9wavefront6targetE1EEEvSL_ ; -- Begin function _ZN7rocprim17ROCPRIM_400000_NS6detail17trampoline_kernelINS0_14default_configENS1_38merge_sort_block_merge_config_selectorItNS0_10empty_typeEEEZZNS1_27merge_sort_block_merge_implIS3_N6thrust23THRUST_200600_302600_NS6detail15normal_iteratorINS9_10device_ptrItEEEEPS5_jNS1_19radix_merge_compareILb0ELb0EtNS0_19identity_decomposerEEEEE10hipError_tT0_T1_T2_jT3_P12ihipStream_tbPNSt15iterator_traitsISK_E10value_typeEPNSQ_ISL_E10value_typeEPSM_NS1_7vsmem_tEENKUlT_SK_SL_SM_E_clIPtSE_SF_SF_EESJ_SZ_SK_SL_SM_EUlSZ_E1_NS1_11comp_targetILNS1_3genE8ELNS1_11target_archE1030ELNS1_3gpuE2ELNS1_3repE0EEENS1_36merge_oddeven_config_static_selectorELNS0_4arch9wavefront6targetE1EEEvSL_
	.globl	_ZN7rocprim17ROCPRIM_400000_NS6detail17trampoline_kernelINS0_14default_configENS1_38merge_sort_block_merge_config_selectorItNS0_10empty_typeEEEZZNS1_27merge_sort_block_merge_implIS3_N6thrust23THRUST_200600_302600_NS6detail15normal_iteratorINS9_10device_ptrItEEEEPS5_jNS1_19radix_merge_compareILb0ELb0EtNS0_19identity_decomposerEEEEE10hipError_tT0_T1_T2_jT3_P12ihipStream_tbPNSt15iterator_traitsISK_E10value_typeEPNSQ_ISL_E10value_typeEPSM_NS1_7vsmem_tEENKUlT_SK_SL_SM_E_clIPtSE_SF_SF_EESJ_SZ_SK_SL_SM_EUlSZ_E1_NS1_11comp_targetILNS1_3genE8ELNS1_11target_archE1030ELNS1_3gpuE2ELNS1_3repE0EEENS1_36merge_oddeven_config_static_selectorELNS0_4arch9wavefront6targetE1EEEvSL_
	.p2align	8
	.type	_ZN7rocprim17ROCPRIM_400000_NS6detail17trampoline_kernelINS0_14default_configENS1_38merge_sort_block_merge_config_selectorItNS0_10empty_typeEEEZZNS1_27merge_sort_block_merge_implIS3_N6thrust23THRUST_200600_302600_NS6detail15normal_iteratorINS9_10device_ptrItEEEEPS5_jNS1_19radix_merge_compareILb0ELb0EtNS0_19identity_decomposerEEEEE10hipError_tT0_T1_T2_jT3_P12ihipStream_tbPNSt15iterator_traitsISK_E10value_typeEPNSQ_ISL_E10value_typeEPSM_NS1_7vsmem_tEENKUlT_SK_SL_SM_E_clIPtSE_SF_SF_EESJ_SZ_SK_SL_SM_EUlSZ_E1_NS1_11comp_targetILNS1_3genE8ELNS1_11target_archE1030ELNS1_3gpuE2ELNS1_3repE0EEENS1_36merge_oddeven_config_static_selectorELNS0_4arch9wavefront6targetE1EEEvSL_,@function
_ZN7rocprim17ROCPRIM_400000_NS6detail17trampoline_kernelINS0_14default_configENS1_38merge_sort_block_merge_config_selectorItNS0_10empty_typeEEEZZNS1_27merge_sort_block_merge_implIS3_N6thrust23THRUST_200600_302600_NS6detail15normal_iteratorINS9_10device_ptrItEEEEPS5_jNS1_19radix_merge_compareILb0ELb0EtNS0_19identity_decomposerEEEEE10hipError_tT0_T1_T2_jT3_P12ihipStream_tbPNSt15iterator_traitsISK_E10value_typeEPNSQ_ISL_E10value_typeEPSM_NS1_7vsmem_tEENKUlT_SK_SL_SM_E_clIPtSE_SF_SF_EESJ_SZ_SK_SL_SM_EUlSZ_E1_NS1_11comp_targetILNS1_3genE8ELNS1_11target_archE1030ELNS1_3gpuE2ELNS1_3repE0EEENS1_36merge_oddeven_config_static_selectorELNS0_4arch9wavefront6targetE1EEEvSL_: ; @_ZN7rocprim17ROCPRIM_400000_NS6detail17trampoline_kernelINS0_14default_configENS1_38merge_sort_block_merge_config_selectorItNS0_10empty_typeEEEZZNS1_27merge_sort_block_merge_implIS3_N6thrust23THRUST_200600_302600_NS6detail15normal_iteratorINS9_10device_ptrItEEEEPS5_jNS1_19radix_merge_compareILb0ELb0EtNS0_19identity_decomposerEEEEE10hipError_tT0_T1_T2_jT3_P12ihipStream_tbPNSt15iterator_traitsISK_E10value_typeEPNSQ_ISL_E10value_typeEPSM_NS1_7vsmem_tEENKUlT_SK_SL_SM_E_clIPtSE_SF_SF_EESJ_SZ_SK_SL_SM_EUlSZ_E1_NS1_11comp_targetILNS1_3genE8ELNS1_11target_archE1030ELNS1_3gpuE2ELNS1_3repE0EEENS1_36merge_oddeven_config_static_selectorELNS0_4arch9wavefront6targetE1EEEvSL_
; %bb.0:
	.section	.rodata,"a",@progbits
	.p2align	6, 0x0
	.amdhsa_kernel _ZN7rocprim17ROCPRIM_400000_NS6detail17trampoline_kernelINS0_14default_configENS1_38merge_sort_block_merge_config_selectorItNS0_10empty_typeEEEZZNS1_27merge_sort_block_merge_implIS3_N6thrust23THRUST_200600_302600_NS6detail15normal_iteratorINS9_10device_ptrItEEEEPS5_jNS1_19radix_merge_compareILb0ELb0EtNS0_19identity_decomposerEEEEE10hipError_tT0_T1_T2_jT3_P12ihipStream_tbPNSt15iterator_traitsISK_E10value_typeEPNSQ_ISL_E10value_typeEPSM_NS1_7vsmem_tEENKUlT_SK_SL_SM_E_clIPtSE_SF_SF_EESJ_SZ_SK_SL_SM_EUlSZ_E1_NS1_11comp_targetILNS1_3genE8ELNS1_11target_archE1030ELNS1_3gpuE2ELNS1_3repE0EEENS1_36merge_oddeven_config_static_selectorELNS0_4arch9wavefront6targetE1EEEvSL_
		.amdhsa_group_segment_fixed_size 0
		.amdhsa_private_segment_fixed_size 0
		.amdhsa_kernarg_size 48
		.amdhsa_user_sgpr_count 6
		.amdhsa_user_sgpr_private_segment_buffer 1
		.amdhsa_user_sgpr_dispatch_ptr 0
		.amdhsa_user_sgpr_queue_ptr 0
		.amdhsa_user_sgpr_kernarg_segment_ptr 1
		.amdhsa_user_sgpr_dispatch_id 0
		.amdhsa_user_sgpr_flat_scratch_init 0
		.amdhsa_user_sgpr_kernarg_preload_length 0
		.amdhsa_user_sgpr_kernarg_preload_offset 0
		.amdhsa_user_sgpr_private_segment_size 0
		.amdhsa_uses_dynamic_stack 0
		.amdhsa_system_sgpr_private_segment_wavefront_offset 0
		.amdhsa_system_sgpr_workgroup_id_x 1
		.amdhsa_system_sgpr_workgroup_id_y 0
		.amdhsa_system_sgpr_workgroup_id_z 0
		.amdhsa_system_sgpr_workgroup_info 0
		.amdhsa_system_vgpr_workitem_id 0
		.amdhsa_next_free_vgpr 1
		.amdhsa_next_free_sgpr 0
		.amdhsa_accum_offset 4
		.amdhsa_reserve_vcc 0
		.amdhsa_reserve_flat_scratch 0
		.amdhsa_float_round_mode_32 0
		.amdhsa_float_round_mode_16_64 0
		.amdhsa_float_denorm_mode_32 3
		.amdhsa_float_denorm_mode_16_64 3
		.amdhsa_dx10_clamp 1
		.amdhsa_ieee_mode 1
		.amdhsa_fp16_overflow 0
		.amdhsa_tg_split 0
		.amdhsa_exception_fp_ieee_invalid_op 0
		.amdhsa_exception_fp_denorm_src 0
		.amdhsa_exception_fp_ieee_div_zero 0
		.amdhsa_exception_fp_ieee_overflow 0
		.amdhsa_exception_fp_ieee_underflow 0
		.amdhsa_exception_fp_ieee_inexact 0
		.amdhsa_exception_int_div_zero 0
	.end_amdhsa_kernel
	.section	.text._ZN7rocprim17ROCPRIM_400000_NS6detail17trampoline_kernelINS0_14default_configENS1_38merge_sort_block_merge_config_selectorItNS0_10empty_typeEEEZZNS1_27merge_sort_block_merge_implIS3_N6thrust23THRUST_200600_302600_NS6detail15normal_iteratorINS9_10device_ptrItEEEEPS5_jNS1_19radix_merge_compareILb0ELb0EtNS0_19identity_decomposerEEEEE10hipError_tT0_T1_T2_jT3_P12ihipStream_tbPNSt15iterator_traitsISK_E10value_typeEPNSQ_ISL_E10value_typeEPSM_NS1_7vsmem_tEENKUlT_SK_SL_SM_E_clIPtSE_SF_SF_EESJ_SZ_SK_SL_SM_EUlSZ_E1_NS1_11comp_targetILNS1_3genE8ELNS1_11target_archE1030ELNS1_3gpuE2ELNS1_3repE0EEENS1_36merge_oddeven_config_static_selectorELNS0_4arch9wavefront6targetE1EEEvSL_,"axG",@progbits,_ZN7rocprim17ROCPRIM_400000_NS6detail17trampoline_kernelINS0_14default_configENS1_38merge_sort_block_merge_config_selectorItNS0_10empty_typeEEEZZNS1_27merge_sort_block_merge_implIS3_N6thrust23THRUST_200600_302600_NS6detail15normal_iteratorINS9_10device_ptrItEEEEPS5_jNS1_19radix_merge_compareILb0ELb0EtNS0_19identity_decomposerEEEEE10hipError_tT0_T1_T2_jT3_P12ihipStream_tbPNSt15iterator_traitsISK_E10value_typeEPNSQ_ISL_E10value_typeEPSM_NS1_7vsmem_tEENKUlT_SK_SL_SM_E_clIPtSE_SF_SF_EESJ_SZ_SK_SL_SM_EUlSZ_E1_NS1_11comp_targetILNS1_3genE8ELNS1_11target_archE1030ELNS1_3gpuE2ELNS1_3repE0EEENS1_36merge_oddeven_config_static_selectorELNS0_4arch9wavefront6targetE1EEEvSL_,comdat
.Lfunc_end1229:
	.size	_ZN7rocprim17ROCPRIM_400000_NS6detail17trampoline_kernelINS0_14default_configENS1_38merge_sort_block_merge_config_selectorItNS0_10empty_typeEEEZZNS1_27merge_sort_block_merge_implIS3_N6thrust23THRUST_200600_302600_NS6detail15normal_iteratorINS9_10device_ptrItEEEEPS5_jNS1_19radix_merge_compareILb0ELb0EtNS0_19identity_decomposerEEEEE10hipError_tT0_T1_T2_jT3_P12ihipStream_tbPNSt15iterator_traitsISK_E10value_typeEPNSQ_ISL_E10value_typeEPSM_NS1_7vsmem_tEENKUlT_SK_SL_SM_E_clIPtSE_SF_SF_EESJ_SZ_SK_SL_SM_EUlSZ_E1_NS1_11comp_targetILNS1_3genE8ELNS1_11target_archE1030ELNS1_3gpuE2ELNS1_3repE0EEENS1_36merge_oddeven_config_static_selectorELNS0_4arch9wavefront6targetE1EEEvSL_, .Lfunc_end1229-_ZN7rocprim17ROCPRIM_400000_NS6detail17trampoline_kernelINS0_14default_configENS1_38merge_sort_block_merge_config_selectorItNS0_10empty_typeEEEZZNS1_27merge_sort_block_merge_implIS3_N6thrust23THRUST_200600_302600_NS6detail15normal_iteratorINS9_10device_ptrItEEEEPS5_jNS1_19radix_merge_compareILb0ELb0EtNS0_19identity_decomposerEEEEE10hipError_tT0_T1_T2_jT3_P12ihipStream_tbPNSt15iterator_traitsISK_E10value_typeEPNSQ_ISL_E10value_typeEPSM_NS1_7vsmem_tEENKUlT_SK_SL_SM_E_clIPtSE_SF_SF_EESJ_SZ_SK_SL_SM_EUlSZ_E1_NS1_11comp_targetILNS1_3genE8ELNS1_11target_archE1030ELNS1_3gpuE2ELNS1_3repE0EEENS1_36merge_oddeven_config_static_selectorELNS0_4arch9wavefront6targetE1EEEvSL_
                                        ; -- End function
	.section	.AMDGPU.csdata,"",@progbits
; Kernel info:
; codeLenInByte = 0
; NumSgprs: 4
; NumVgprs: 0
; NumAgprs: 0
; TotalNumVgprs: 0
; ScratchSize: 0
; MemoryBound: 0
; FloatMode: 240
; IeeeMode: 1
; LDSByteSize: 0 bytes/workgroup (compile time only)
; SGPRBlocks: 0
; VGPRBlocks: 0
; NumSGPRsForWavesPerEU: 4
; NumVGPRsForWavesPerEU: 1
; AccumOffset: 4
; Occupancy: 8
; WaveLimiterHint : 0
; COMPUTE_PGM_RSRC2:SCRATCH_EN: 0
; COMPUTE_PGM_RSRC2:USER_SGPR: 6
; COMPUTE_PGM_RSRC2:TRAP_HANDLER: 0
; COMPUTE_PGM_RSRC2:TGID_X_EN: 1
; COMPUTE_PGM_RSRC2:TGID_Y_EN: 0
; COMPUTE_PGM_RSRC2:TGID_Z_EN: 0
; COMPUTE_PGM_RSRC2:TIDIG_COMP_CNT: 0
; COMPUTE_PGM_RSRC3_GFX90A:ACCUM_OFFSET: 0
; COMPUTE_PGM_RSRC3_GFX90A:TG_SPLIT: 0
	.section	.text._ZN7rocprim17ROCPRIM_400000_NS6detail17trampoline_kernelINS0_14default_configENS1_38merge_sort_block_merge_config_selectorItNS0_10empty_typeEEEZZNS1_27merge_sort_block_merge_implIS3_N6thrust23THRUST_200600_302600_NS6detail15normal_iteratorINS9_10device_ptrItEEEEPS5_jNS1_19radix_merge_compareILb0ELb0EtNS0_19identity_decomposerEEEEE10hipError_tT0_T1_T2_jT3_P12ihipStream_tbPNSt15iterator_traitsISK_E10value_typeEPNSQ_ISL_E10value_typeEPSM_NS1_7vsmem_tEENKUlT_SK_SL_SM_E_clISE_PtSF_SF_EESJ_SZ_SK_SL_SM_EUlSZ_E_NS1_11comp_targetILNS1_3genE0ELNS1_11target_archE4294967295ELNS1_3gpuE0ELNS1_3repE0EEENS1_48merge_mergepath_partition_config_static_selectorELNS0_4arch9wavefront6targetE1EEEvSL_,"axG",@progbits,_ZN7rocprim17ROCPRIM_400000_NS6detail17trampoline_kernelINS0_14default_configENS1_38merge_sort_block_merge_config_selectorItNS0_10empty_typeEEEZZNS1_27merge_sort_block_merge_implIS3_N6thrust23THRUST_200600_302600_NS6detail15normal_iteratorINS9_10device_ptrItEEEEPS5_jNS1_19radix_merge_compareILb0ELb0EtNS0_19identity_decomposerEEEEE10hipError_tT0_T1_T2_jT3_P12ihipStream_tbPNSt15iterator_traitsISK_E10value_typeEPNSQ_ISL_E10value_typeEPSM_NS1_7vsmem_tEENKUlT_SK_SL_SM_E_clISE_PtSF_SF_EESJ_SZ_SK_SL_SM_EUlSZ_E_NS1_11comp_targetILNS1_3genE0ELNS1_11target_archE4294967295ELNS1_3gpuE0ELNS1_3repE0EEENS1_48merge_mergepath_partition_config_static_selectorELNS0_4arch9wavefront6targetE1EEEvSL_,comdat
	.protected	_ZN7rocprim17ROCPRIM_400000_NS6detail17trampoline_kernelINS0_14default_configENS1_38merge_sort_block_merge_config_selectorItNS0_10empty_typeEEEZZNS1_27merge_sort_block_merge_implIS3_N6thrust23THRUST_200600_302600_NS6detail15normal_iteratorINS9_10device_ptrItEEEEPS5_jNS1_19radix_merge_compareILb0ELb0EtNS0_19identity_decomposerEEEEE10hipError_tT0_T1_T2_jT3_P12ihipStream_tbPNSt15iterator_traitsISK_E10value_typeEPNSQ_ISL_E10value_typeEPSM_NS1_7vsmem_tEENKUlT_SK_SL_SM_E_clISE_PtSF_SF_EESJ_SZ_SK_SL_SM_EUlSZ_E_NS1_11comp_targetILNS1_3genE0ELNS1_11target_archE4294967295ELNS1_3gpuE0ELNS1_3repE0EEENS1_48merge_mergepath_partition_config_static_selectorELNS0_4arch9wavefront6targetE1EEEvSL_ ; -- Begin function _ZN7rocprim17ROCPRIM_400000_NS6detail17trampoline_kernelINS0_14default_configENS1_38merge_sort_block_merge_config_selectorItNS0_10empty_typeEEEZZNS1_27merge_sort_block_merge_implIS3_N6thrust23THRUST_200600_302600_NS6detail15normal_iteratorINS9_10device_ptrItEEEEPS5_jNS1_19radix_merge_compareILb0ELb0EtNS0_19identity_decomposerEEEEE10hipError_tT0_T1_T2_jT3_P12ihipStream_tbPNSt15iterator_traitsISK_E10value_typeEPNSQ_ISL_E10value_typeEPSM_NS1_7vsmem_tEENKUlT_SK_SL_SM_E_clISE_PtSF_SF_EESJ_SZ_SK_SL_SM_EUlSZ_E_NS1_11comp_targetILNS1_3genE0ELNS1_11target_archE4294967295ELNS1_3gpuE0ELNS1_3repE0EEENS1_48merge_mergepath_partition_config_static_selectorELNS0_4arch9wavefront6targetE1EEEvSL_
	.globl	_ZN7rocprim17ROCPRIM_400000_NS6detail17trampoline_kernelINS0_14default_configENS1_38merge_sort_block_merge_config_selectorItNS0_10empty_typeEEEZZNS1_27merge_sort_block_merge_implIS3_N6thrust23THRUST_200600_302600_NS6detail15normal_iteratorINS9_10device_ptrItEEEEPS5_jNS1_19radix_merge_compareILb0ELb0EtNS0_19identity_decomposerEEEEE10hipError_tT0_T1_T2_jT3_P12ihipStream_tbPNSt15iterator_traitsISK_E10value_typeEPNSQ_ISL_E10value_typeEPSM_NS1_7vsmem_tEENKUlT_SK_SL_SM_E_clISE_PtSF_SF_EESJ_SZ_SK_SL_SM_EUlSZ_E_NS1_11comp_targetILNS1_3genE0ELNS1_11target_archE4294967295ELNS1_3gpuE0ELNS1_3repE0EEENS1_48merge_mergepath_partition_config_static_selectorELNS0_4arch9wavefront6targetE1EEEvSL_
	.p2align	8
	.type	_ZN7rocprim17ROCPRIM_400000_NS6detail17trampoline_kernelINS0_14default_configENS1_38merge_sort_block_merge_config_selectorItNS0_10empty_typeEEEZZNS1_27merge_sort_block_merge_implIS3_N6thrust23THRUST_200600_302600_NS6detail15normal_iteratorINS9_10device_ptrItEEEEPS5_jNS1_19radix_merge_compareILb0ELb0EtNS0_19identity_decomposerEEEEE10hipError_tT0_T1_T2_jT3_P12ihipStream_tbPNSt15iterator_traitsISK_E10value_typeEPNSQ_ISL_E10value_typeEPSM_NS1_7vsmem_tEENKUlT_SK_SL_SM_E_clISE_PtSF_SF_EESJ_SZ_SK_SL_SM_EUlSZ_E_NS1_11comp_targetILNS1_3genE0ELNS1_11target_archE4294967295ELNS1_3gpuE0ELNS1_3repE0EEENS1_48merge_mergepath_partition_config_static_selectorELNS0_4arch9wavefront6targetE1EEEvSL_,@function
_ZN7rocprim17ROCPRIM_400000_NS6detail17trampoline_kernelINS0_14default_configENS1_38merge_sort_block_merge_config_selectorItNS0_10empty_typeEEEZZNS1_27merge_sort_block_merge_implIS3_N6thrust23THRUST_200600_302600_NS6detail15normal_iteratorINS9_10device_ptrItEEEEPS5_jNS1_19radix_merge_compareILb0ELb0EtNS0_19identity_decomposerEEEEE10hipError_tT0_T1_T2_jT3_P12ihipStream_tbPNSt15iterator_traitsISK_E10value_typeEPNSQ_ISL_E10value_typeEPSM_NS1_7vsmem_tEENKUlT_SK_SL_SM_E_clISE_PtSF_SF_EESJ_SZ_SK_SL_SM_EUlSZ_E_NS1_11comp_targetILNS1_3genE0ELNS1_11target_archE4294967295ELNS1_3gpuE0ELNS1_3repE0EEENS1_48merge_mergepath_partition_config_static_selectorELNS0_4arch9wavefront6targetE1EEEvSL_: ; @_ZN7rocprim17ROCPRIM_400000_NS6detail17trampoline_kernelINS0_14default_configENS1_38merge_sort_block_merge_config_selectorItNS0_10empty_typeEEEZZNS1_27merge_sort_block_merge_implIS3_N6thrust23THRUST_200600_302600_NS6detail15normal_iteratorINS9_10device_ptrItEEEEPS5_jNS1_19radix_merge_compareILb0ELb0EtNS0_19identity_decomposerEEEEE10hipError_tT0_T1_T2_jT3_P12ihipStream_tbPNSt15iterator_traitsISK_E10value_typeEPNSQ_ISL_E10value_typeEPSM_NS1_7vsmem_tEENKUlT_SK_SL_SM_E_clISE_PtSF_SF_EESJ_SZ_SK_SL_SM_EUlSZ_E_NS1_11comp_targetILNS1_3genE0ELNS1_11target_archE4294967295ELNS1_3gpuE0ELNS1_3repE0EEENS1_48merge_mergepath_partition_config_static_selectorELNS0_4arch9wavefront6targetE1EEEvSL_
; %bb.0:
	.section	.rodata,"a",@progbits
	.p2align	6, 0x0
	.amdhsa_kernel _ZN7rocprim17ROCPRIM_400000_NS6detail17trampoline_kernelINS0_14default_configENS1_38merge_sort_block_merge_config_selectorItNS0_10empty_typeEEEZZNS1_27merge_sort_block_merge_implIS3_N6thrust23THRUST_200600_302600_NS6detail15normal_iteratorINS9_10device_ptrItEEEEPS5_jNS1_19radix_merge_compareILb0ELb0EtNS0_19identity_decomposerEEEEE10hipError_tT0_T1_T2_jT3_P12ihipStream_tbPNSt15iterator_traitsISK_E10value_typeEPNSQ_ISL_E10value_typeEPSM_NS1_7vsmem_tEENKUlT_SK_SL_SM_E_clISE_PtSF_SF_EESJ_SZ_SK_SL_SM_EUlSZ_E_NS1_11comp_targetILNS1_3genE0ELNS1_11target_archE4294967295ELNS1_3gpuE0ELNS1_3repE0EEENS1_48merge_mergepath_partition_config_static_selectorELNS0_4arch9wavefront6targetE1EEEvSL_
		.amdhsa_group_segment_fixed_size 0
		.amdhsa_private_segment_fixed_size 0
		.amdhsa_kernarg_size 40
		.amdhsa_user_sgpr_count 6
		.amdhsa_user_sgpr_private_segment_buffer 1
		.amdhsa_user_sgpr_dispatch_ptr 0
		.amdhsa_user_sgpr_queue_ptr 0
		.amdhsa_user_sgpr_kernarg_segment_ptr 1
		.amdhsa_user_sgpr_dispatch_id 0
		.amdhsa_user_sgpr_flat_scratch_init 0
		.amdhsa_user_sgpr_kernarg_preload_length 0
		.amdhsa_user_sgpr_kernarg_preload_offset 0
		.amdhsa_user_sgpr_private_segment_size 0
		.amdhsa_uses_dynamic_stack 0
		.amdhsa_system_sgpr_private_segment_wavefront_offset 0
		.amdhsa_system_sgpr_workgroup_id_x 1
		.amdhsa_system_sgpr_workgroup_id_y 0
		.amdhsa_system_sgpr_workgroup_id_z 0
		.amdhsa_system_sgpr_workgroup_info 0
		.amdhsa_system_vgpr_workitem_id 0
		.amdhsa_next_free_vgpr 1
		.amdhsa_next_free_sgpr 0
		.amdhsa_accum_offset 4
		.amdhsa_reserve_vcc 0
		.amdhsa_reserve_flat_scratch 0
		.amdhsa_float_round_mode_32 0
		.amdhsa_float_round_mode_16_64 0
		.amdhsa_float_denorm_mode_32 3
		.amdhsa_float_denorm_mode_16_64 3
		.amdhsa_dx10_clamp 1
		.amdhsa_ieee_mode 1
		.amdhsa_fp16_overflow 0
		.amdhsa_tg_split 0
		.amdhsa_exception_fp_ieee_invalid_op 0
		.amdhsa_exception_fp_denorm_src 0
		.amdhsa_exception_fp_ieee_div_zero 0
		.amdhsa_exception_fp_ieee_overflow 0
		.amdhsa_exception_fp_ieee_underflow 0
		.amdhsa_exception_fp_ieee_inexact 0
		.amdhsa_exception_int_div_zero 0
	.end_amdhsa_kernel
	.section	.text._ZN7rocprim17ROCPRIM_400000_NS6detail17trampoline_kernelINS0_14default_configENS1_38merge_sort_block_merge_config_selectorItNS0_10empty_typeEEEZZNS1_27merge_sort_block_merge_implIS3_N6thrust23THRUST_200600_302600_NS6detail15normal_iteratorINS9_10device_ptrItEEEEPS5_jNS1_19radix_merge_compareILb0ELb0EtNS0_19identity_decomposerEEEEE10hipError_tT0_T1_T2_jT3_P12ihipStream_tbPNSt15iterator_traitsISK_E10value_typeEPNSQ_ISL_E10value_typeEPSM_NS1_7vsmem_tEENKUlT_SK_SL_SM_E_clISE_PtSF_SF_EESJ_SZ_SK_SL_SM_EUlSZ_E_NS1_11comp_targetILNS1_3genE0ELNS1_11target_archE4294967295ELNS1_3gpuE0ELNS1_3repE0EEENS1_48merge_mergepath_partition_config_static_selectorELNS0_4arch9wavefront6targetE1EEEvSL_,"axG",@progbits,_ZN7rocprim17ROCPRIM_400000_NS6detail17trampoline_kernelINS0_14default_configENS1_38merge_sort_block_merge_config_selectorItNS0_10empty_typeEEEZZNS1_27merge_sort_block_merge_implIS3_N6thrust23THRUST_200600_302600_NS6detail15normal_iteratorINS9_10device_ptrItEEEEPS5_jNS1_19radix_merge_compareILb0ELb0EtNS0_19identity_decomposerEEEEE10hipError_tT0_T1_T2_jT3_P12ihipStream_tbPNSt15iterator_traitsISK_E10value_typeEPNSQ_ISL_E10value_typeEPSM_NS1_7vsmem_tEENKUlT_SK_SL_SM_E_clISE_PtSF_SF_EESJ_SZ_SK_SL_SM_EUlSZ_E_NS1_11comp_targetILNS1_3genE0ELNS1_11target_archE4294967295ELNS1_3gpuE0ELNS1_3repE0EEENS1_48merge_mergepath_partition_config_static_selectorELNS0_4arch9wavefront6targetE1EEEvSL_,comdat
.Lfunc_end1230:
	.size	_ZN7rocprim17ROCPRIM_400000_NS6detail17trampoline_kernelINS0_14default_configENS1_38merge_sort_block_merge_config_selectorItNS0_10empty_typeEEEZZNS1_27merge_sort_block_merge_implIS3_N6thrust23THRUST_200600_302600_NS6detail15normal_iteratorINS9_10device_ptrItEEEEPS5_jNS1_19radix_merge_compareILb0ELb0EtNS0_19identity_decomposerEEEEE10hipError_tT0_T1_T2_jT3_P12ihipStream_tbPNSt15iterator_traitsISK_E10value_typeEPNSQ_ISL_E10value_typeEPSM_NS1_7vsmem_tEENKUlT_SK_SL_SM_E_clISE_PtSF_SF_EESJ_SZ_SK_SL_SM_EUlSZ_E_NS1_11comp_targetILNS1_3genE0ELNS1_11target_archE4294967295ELNS1_3gpuE0ELNS1_3repE0EEENS1_48merge_mergepath_partition_config_static_selectorELNS0_4arch9wavefront6targetE1EEEvSL_, .Lfunc_end1230-_ZN7rocprim17ROCPRIM_400000_NS6detail17trampoline_kernelINS0_14default_configENS1_38merge_sort_block_merge_config_selectorItNS0_10empty_typeEEEZZNS1_27merge_sort_block_merge_implIS3_N6thrust23THRUST_200600_302600_NS6detail15normal_iteratorINS9_10device_ptrItEEEEPS5_jNS1_19radix_merge_compareILb0ELb0EtNS0_19identity_decomposerEEEEE10hipError_tT0_T1_T2_jT3_P12ihipStream_tbPNSt15iterator_traitsISK_E10value_typeEPNSQ_ISL_E10value_typeEPSM_NS1_7vsmem_tEENKUlT_SK_SL_SM_E_clISE_PtSF_SF_EESJ_SZ_SK_SL_SM_EUlSZ_E_NS1_11comp_targetILNS1_3genE0ELNS1_11target_archE4294967295ELNS1_3gpuE0ELNS1_3repE0EEENS1_48merge_mergepath_partition_config_static_selectorELNS0_4arch9wavefront6targetE1EEEvSL_
                                        ; -- End function
	.section	.AMDGPU.csdata,"",@progbits
; Kernel info:
; codeLenInByte = 0
; NumSgprs: 4
; NumVgprs: 0
; NumAgprs: 0
; TotalNumVgprs: 0
; ScratchSize: 0
; MemoryBound: 0
; FloatMode: 240
; IeeeMode: 1
; LDSByteSize: 0 bytes/workgroup (compile time only)
; SGPRBlocks: 0
; VGPRBlocks: 0
; NumSGPRsForWavesPerEU: 4
; NumVGPRsForWavesPerEU: 1
; AccumOffset: 4
; Occupancy: 8
; WaveLimiterHint : 0
; COMPUTE_PGM_RSRC2:SCRATCH_EN: 0
; COMPUTE_PGM_RSRC2:USER_SGPR: 6
; COMPUTE_PGM_RSRC2:TRAP_HANDLER: 0
; COMPUTE_PGM_RSRC2:TGID_X_EN: 1
; COMPUTE_PGM_RSRC2:TGID_Y_EN: 0
; COMPUTE_PGM_RSRC2:TGID_Z_EN: 0
; COMPUTE_PGM_RSRC2:TIDIG_COMP_CNT: 0
; COMPUTE_PGM_RSRC3_GFX90A:ACCUM_OFFSET: 0
; COMPUTE_PGM_RSRC3_GFX90A:TG_SPLIT: 0
	.section	.text._ZN7rocprim17ROCPRIM_400000_NS6detail17trampoline_kernelINS0_14default_configENS1_38merge_sort_block_merge_config_selectorItNS0_10empty_typeEEEZZNS1_27merge_sort_block_merge_implIS3_N6thrust23THRUST_200600_302600_NS6detail15normal_iteratorINS9_10device_ptrItEEEEPS5_jNS1_19radix_merge_compareILb0ELb0EtNS0_19identity_decomposerEEEEE10hipError_tT0_T1_T2_jT3_P12ihipStream_tbPNSt15iterator_traitsISK_E10value_typeEPNSQ_ISL_E10value_typeEPSM_NS1_7vsmem_tEENKUlT_SK_SL_SM_E_clISE_PtSF_SF_EESJ_SZ_SK_SL_SM_EUlSZ_E_NS1_11comp_targetILNS1_3genE10ELNS1_11target_archE1201ELNS1_3gpuE5ELNS1_3repE0EEENS1_48merge_mergepath_partition_config_static_selectorELNS0_4arch9wavefront6targetE1EEEvSL_,"axG",@progbits,_ZN7rocprim17ROCPRIM_400000_NS6detail17trampoline_kernelINS0_14default_configENS1_38merge_sort_block_merge_config_selectorItNS0_10empty_typeEEEZZNS1_27merge_sort_block_merge_implIS3_N6thrust23THRUST_200600_302600_NS6detail15normal_iteratorINS9_10device_ptrItEEEEPS5_jNS1_19radix_merge_compareILb0ELb0EtNS0_19identity_decomposerEEEEE10hipError_tT0_T1_T2_jT3_P12ihipStream_tbPNSt15iterator_traitsISK_E10value_typeEPNSQ_ISL_E10value_typeEPSM_NS1_7vsmem_tEENKUlT_SK_SL_SM_E_clISE_PtSF_SF_EESJ_SZ_SK_SL_SM_EUlSZ_E_NS1_11comp_targetILNS1_3genE10ELNS1_11target_archE1201ELNS1_3gpuE5ELNS1_3repE0EEENS1_48merge_mergepath_partition_config_static_selectorELNS0_4arch9wavefront6targetE1EEEvSL_,comdat
	.protected	_ZN7rocprim17ROCPRIM_400000_NS6detail17trampoline_kernelINS0_14default_configENS1_38merge_sort_block_merge_config_selectorItNS0_10empty_typeEEEZZNS1_27merge_sort_block_merge_implIS3_N6thrust23THRUST_200600_302600_NS6detail15normal_iteratorINS9_10device_ptrItEEEEPS5_jNS1_19radix_merge_compareILb0ELb0EtNS0_19identity_decomposerEEEEE10hipError_tT0_T1_T2_jT3_P12ihipStream_tbPNSt15iterator_traitsISK_E10value_typeEPNSQ_ISL_E10value_typeEPSM_NS1_7vsmem_tEENKUlT_SK_SL_SM_E_clISE_PtSF_SF_EESJ_SZ_SK_SL_SM_EUlSZ_E_NS1_11comp_targetILNS1_3genE10ELNS1_11target_archE1201ELNS1_3gpuE5ELNS1_3repE0EEENS1_48merge_mergepath_partition_config_static_selectorELNS0_4arch9wavefront6targetE1EEEvSL_ ; -- Begin function _ZN7rocprim17ROCPRIM_400000_NS6detail17trampoline_kernelINS0_14default_configENS1_38merge_sort_block_merge_config_selectorItNS0_10empty_typeEEEZZNS1_27merge_sort_block_merge_implIS3_N6thrust23THRUST_200600_302600_NS6detail15normal_iteratorINS9_10device_ptrItEEEEPS5_jNS1_19radix_merge_compareILb0ELb0EtNS0_19identity_decomposerEEEEE10hipError_tT0_T1_T2_jT3_P12ihipStream_tbPNSt15iterator_traitsISK_E10value_typeEPNSQ_ISL_E10value_typeEPSM_NS1_7vsmem_tEENKUlT_SK_SL_SM_E_clISE_PtSF_SF_EESJ_SZ_SK_SL_SM_EUlSZ_E_NS1_11comp_targetILNS1_3genE10ELNS1_11target_archE1201ELNS1_3gpuE5ELNS1_3repE0EEENS1_48merge_mergepath_partition_config_static_selectorELNS0_4arch9wavefront6targetE1EEEvSL_
	.globl	_ZN7rocprim17ROCPRIM_400000_NS6detail17trampoline_kernelINS0_14default_configENS1_38merge_sort_block_merge_config_selectorItNS0_10empty_typeEEEZZNS1_27merge_sort_block_merge_implIS3_N6thrust23THRUST_200600_302600_NS6detail15normal_iteratorINS9_10device_ptrItEEEEPS5_jNS1_19radix_merge_compareILb0ELb0EtNS0_19identity_decomposerEEEEE10hipError_tT0_T1_T2_jT3_P12ihipStream_tbPNSt15iterator_traitsISK_E10value_typeEPNSQ_ISL_E10value_typeEPSM_NS1_7vsmem_tEENKUlT_SK_SL_SM_E_clISE_PtSF_SF_EESJ_SZ_SK_SL_SM_EUlSZ_E_NS1_11comp_targetILNS1_3genE10ELNS1_11target_archE1201ELNS1_3gpuE5ELNS1_3repE0EEENS1_48merge_mergepath_partition_config_static_selectorELNS0_4arch9wavefront6targetE1EEEvSL_
	.p2align	8
	.type	_ZN7rocprim17ROCPRIM_400000_NS6detail17trampoline_kernelINS0_14default_configENS1_38merge_sort_block_merge_config_selectorItNS0_10empty_typeEEEZZNS1_27merge_sort_block_merge_implIS3_N6thrust23THRUST_200600_302600_NS6detail15normal_iteratorINS9_10device_ptrItEEEEPS5_jNS1_19radix_merge_compareILb0ELb0EtNS0_19identity_decomposerEEEEE10hipError_tT0_T1_T2_jT3_P12ihipStream_tbPNSt15iterator_traitsISK_E10value_typeEPNSQ_ISL_E10value_typeEPSM_NS1_7vsmem_tEENKUlT_SK_SL_SM_E_clISE_PtSF_SF_EESJ_SZ_SK_SL_SM_EUlSZ_E_NS1_11comp_targetILNS1_3genE10ELNS1_11target_archE1201ELNS1_3gpuE5ELNS1_3repE0EEENS1_48merge_mergepath_partition_config_static_selectorELNS0_4arch9wavefront6targetE1EEEvSL_,@function
_ZN7rocprim17ROCPRIM_400000_NS6detail17trampoline_kernelINS0_14default_configENS1_38merge_sort_block_merge_config_selectorItNS0_10empty_typeEEEZZNS1_27merge_sort_block_merge_implIS3_N6thrust23THRUST_200600_302600_NS6detail15normal_iteratorINS9_10device_ptrItEEEEPS5_jNS1_19radix_merge_compareILb0ELb0EtNS0_19identity_decomposerEEEEE10hipError_tT0_T1_T2_jT3_P12ihipStream_tbPNSt15iterator_traitsISK_E10value_typeEPNSQ_ISL_E10value_typeEPSM_NS1_7vsmem_tEENKUlT_SK_SL_SM_E_clISE_PtSF_SF_EESJ_SZ_SK_SL_SM_EUlSZ_E_NS1_11comp_targetILNS1_3genE10ELNS1_11target_archE1201ELNS1_3gpuE5ELNS1_3repE0EEENS1_48merge_mergepath_partition_config_static_selectorELNS0_4arch9wavefront6targetE1EEEvSL_: ; @_ZN7rocprim17ROCPRIM_400000_NS6detail17trampoline_kernelINS0_14default_configENS1_38merge_sort_block_merge_config_selectorItNS0_10empty_typeEEEZZNS1_27merge_sort_block_merge_implIS3_N6thrust23THRUST_200600_302600_NS6detail15normal_iteratorINS9_10device_ptrItEEEEPS5_jNS1_19radix_merge_compareILb0ELb0EtNS0_19identity_decomposerEEEEE10hipError_tT0_T1_T2_jT3_P12ihipStream_tbPNSt15iterator_traitsISK_E10value_typeEPNSQ_ISL_E10value_typeEPSM_NS1_7vsmem_tEENKUlT_SK_SL_SM_E_clISE_PtSF_SF_EESJ_SZ_SK_SL_SM_EUlSZ_E_NS1_11comp_targetILNS1_3genE10ELNS1_11target_archE1201ELNS1_3gpuE5ELNS1_3repE0EEENS1_48merge_mergepath_partition_config_static_selectorELNS0_4arch9wavefront6targetE1EEEvSL_
; %bb.0:
	.section	.rodata,"a",@progbits
	.p2align	6, 0x0
	.amdhsa_kernel _ZN7rocprim17ROCPRIM_400000_NS6detail17trampoline_kernelINS0_14default_configENS1_38merge_sort_block_merge_config_selectorItNS0_10empty_typeEEEZZNS1_27merge_sort_block_merge_implIS3_N6thrust23THRUST_200600_302600_NS6detail15normal_iteratorINS9_10device_ptrItEEEEPS5_jNS1_19radix_merge_compareILb0ELb0EtNS0_19identity_decomposerEEEEE10hipError_tT0_T1_T2_jT3_P12ihipStream_tbPNSt15iterator_traitsISK_E10value_typeEPNSQ_ISL_E10value_typeEPSM_NS1_7vsmem_tEENKUlT_SK_SL_SM_E_clISE_PtSF_SF_EESJ_SZ_SK_SL_SM_EUlSZ_E_NS1_11comp_targetILNS1_3genE10ELNS1_11target_archE1201ELNS1_3gpuE5ELNS1_3repE0EEENS1_48merge_mergepath_partition_config_static_selectorELNS0_4arch9wavefront6targetE1EEEvSL_
		.amdhsa_group_segment_fixed_size 0
		.amdhsa_private_segment_fixed_size 0
		.amdhsa_kernarg_size 40
		.amdhsa_user_sgpr_count 6
		.amdhsa_user_sgpr_private_segment_buffer 1
		.amdhsa_user_sgpr_dispatch_ptr 0
		.amdhsa_user_sgpr_queue_ptr 0
		.amdhsa_user_sgpr_kernarg_segment_ptr 1
		.amdhsa_user_sgpr_dispatch_id 0
		.amdhsa_user_sgpr_flat_scratch_init 0
		.amdhsa_user_sgpr_kernarg_preload_length 0
		.amdhsa_user_sgpr_kernarg_preload_offset 0
		.amdhsa_user_sgpr_private_segment_size 0
		.amdhsa_uses_dynamic_stack 0
		.amdhsa_system_sgpr_private_segment_wavefront_offset 0
		.amdhsa_system_sgpr_workgroup_id_x 1
		.amdhsa_system_sgpr_workgroup_id_y 0
		.amdhsa_system_sgpr_workgroup_id_z 0
		.amdhsa_system_sgpr_workgroup_info 0
		.amdhsa_system_vgpr_workitem_id 0
		.amdhsa_next_free_vgpr 1
		.amdhsa_next_free_sgpr 0
		.amdhsa_accum_offset 4
		.amdhsa_reserve_vcc 0
		.amdhsa_reserve_flat_scratch 0
		.amdhsa_float_round_mode_32 0
		.amdhsa_float_round_mode_16_64 0
		.amdhsa_float_denorm_mode_32 3
		.amdhsa_float_denorm_mode_16_64 3
		.amdhsa_dx10_clamp 1
		.amdhsa_ieee_mode 1
		.amdhsa_fp16_overflow 0
		.amdhsa_tg_split 0
		.amdhsa_exception_fp_ieee_invalid_op 0
		.amdhsa_exception_fp_denorm_src 0
		.amdhsa_exception_fp_ieee_div_zero 0
		.amdhsa_exception_fp_ieee_overflow 0
		.amdhsa_exception_fp_ieee_underflow 0
		.amdhsa_exception_fp_ieee_inexact 0
		.amdhsa_exception_int_div_zero 0
	.end_amdhsa_kernel
	.section	.text._ZN7rocprim17ROCPRIM_400000_NS6detail17trampoline_kernelINS0_14default_configENS1_38merge_sort_block_merge_config_selectorItNS0_10empty_typeEEEZZNS1_27merge_sort_block_merge_implIS3_N6thrust23THRUST_200600_302600_NS6detail15normal_iteratorINS9_10device_ptrItEEEEPS5_jNS1_19radix_merge_compareILb0ELb0EtNS0_19identity_decomposerEEEEE10hipError_tT0_T1_T2_jT3_P12ihipStream_tbPNSt15iterator_traitsISK_E10value_typeEPNSQ_ISL_E10value_typeEPSM_NS1_7vsmem_tEENKUlT_SK_SL_SM_E_clISE_PtSF_SF_EESJ_SZ_SK_SL_SM_EUlSZ_E_NS1_11comp_targetILNS1_3genE10ELNS1_11target_archE1201ELNS1_3gpuE5ELNS1_3repE0EEENS1_48merge_mergepath_partition_config_static_selectorELNS0_4arch9wavefront6targetE1EEEvSL_,"axG",@progbits,_ZN7rocprim17ROCPRIM_400000_NS6detail17trampoline_kernelINS0_14default_configENS1_38merge_sort_block_merge_config_selectorItNS0_10empty_typeEEEZZNS1_27merge_sort_block_merge_implIS3_N6thrust23THRUST_200600_302600_NS6detail15normal_iteratorINS9_10device_ptrItEEEEPS5_jNS1_19radix_merge_compareILb0ELb0EtNS0_19identity_decomposerEEEEE10hipError_tT0_T1_T2_jT3_P12ihipStream_tbPNSt15iterator_traitsISK_E10value_typeEPNSQ_ISL_E10value_typeEPSM_NS1_7vsmem_tEENKUlT_SK_SL_SM_E_clISE_PtSF_SF_EESJ_SZ_SK_SL_SM_EUlSZ_E_NS1_11comp_targetILNS1_3genE10ELNS1_11target_archE1201ELNS1_3gpuE5ELNS1_3repE0EEENS1_48merge_mergepath_partition_config_static_selectorELNS0_4arch9wavefront6targetE1EEEvSL_,comdat
.Lfunc_end1231:
	.size	_ZN7rocprim17ROCPRIM_400000_NS6detail17trampoline_kernelINS0_14default_configENS1_38merge_sort_block_merge_config_selectorItNS0_10empty_typeEEEZZNS1_27merge_sort_block_merge_implIS3_N6thrust23THRUST_200600_302600_NS6detail15normal_iteratorINS9_10device_ptrItEEEEPS5_jNS1_19radix_merge_compareILb0ELb0EtNS0_19identity_decomposerEEEEE10hipError_tT0_T1_T2_jT3_P12ihipStream_tbPNSt15iterator_traitsISK_E10value_typeEPNSQ_ISL_E10value_typeEPSM_NS1_7vsmem_tEENKUlT_SK_SL_SM_E_clISE_PtSF_SF_EESJ_SZ_SK_SL_SM_EUlSZ_E_NS1_11comp_targetILNS1_3genE10ELNS1_11target_archE1201ELNS1_3gpuE5ELNS1_3repE0EEENS1_48merge_mergepath_partition_config_static_selectorELNS0_4arch9wavefront6targetE1EEEvSL_, .Lfunc_end1231-_ZN7rocprim17ROCPRIM_400000_NS6detail17trampoline_kernelINS0_14default_configENS1_38merge_sort_block_merge_config_selectorItNS0_10empty_typeEEEZZNS1_27merge_sort_block_merge_implIS3_N6thrust23THRUST_200600_302600_NS6detail15normal_iteratorINS9_10device_ptrItEEEEPS5_jNS1_19radix_merge_compareILb0ELb0EtNS0_19identity_decomposerEEEEE10hipError_tT0_T1_T2_jT3_P12ihipStream_tbPNSt15iterator_traitsISK_E10value_typeEPNSQ_ISL_E10value_typeEPSM_NS1_7vsmem_tEENKUlT_SK_SL_SM_E_clISE_PtSF_SF_EESJ_SZ_SK_SL_SM_EUlSZ_E_NS1_11comp_targetILNS1_3genE10ELNS1_11target_archE1201ELNS1_3gpuE5ELNS1_3repE0EEENS1_48merge_mergepath_partition_config_static_selectorELNS0_4arch9wavefront6targetE1EEEvSL_
                                        ; -- End function
	.section	.AMDGPU.csdata,"",@progbits
; Kernel info:
; codeLenInByte = 0
; NumSgprs: 4
; NumVgprs: 0
; NumAgprs: 0
; TotalNumVgprs: 0
; ScratchSize: 0
; MemoryBound: 0
; FloatMode: 240
; IeeeMode: 1
; LDSByteSize: 0 bytes/workgroup (compile time only)
; SGPRBlocks: 0
; VGPRBlocks: 0
; NumSGPRsForWavesPerEU: 4
; NumVGPRsForWavesPerEU: 1
; AccumOffset: 4
; Occupancy: 8
; WaveLimiterHint : 0
; COMPUTE_PGM_RSRC2:SCRATCH_EN: 0
; COMPUTE_PGM_RSRC2:USER_SGPR: 6
; COMPUTE_PGM_RSRC2:TRAP_HANDLER: 0
; COMPUTE_PGM_RSRC2:TGID_X_EN: 1
; COMPUTE_PGM_RSRC2:TGID_Y_EN: 0
; COMPUTE_PGM_RSRC2:TGID_Z_EN: 0
; COMPUTE_PGM_RSRC2:TIDIG_COMP_CNT: 0
; COMPUTE_PGM_RSRC3_GFX90A:ACCUM_OFFSET: 0
; COMPUTE_PGM_RSRC3_GFX90A:TG_SPLIT: 0
	.section	.text._ZN7rocprim17ROCPRIM_400000_NS6detail17trampoline_kernelINS0_14default_configENS1_38merge_sort_block_merge_config_selectorItNS0_10empty_typeEEEZZNS1_27merge_sort_block_merge_implIS3_N6thrust23THRUST_200600_302600_NS6detail15normal_iteratorINS9_10device_ptrItEEEEPS5_jNS1_19radix_merge_compareILb0ELb0EtNS0_19identity_decomposerEEEEE10hipError_tT0_T1_T2_jT3_P12ihipStream_tbPNSt15iterator_traitsISK_E10value_typeEPNSQ_ISL_E10value_typeEPSM_NS1_7vsmem_tEENKUlT_SK_SL_SM_E_clISE_PtSF_SF_EESJ_SZ_SK_SL_SM_EUlSZ_E_NS1_11comp_targetILNS1_3genE5ELNS1_11target_archE942ELNS1_3gpuE9ELNS1_3repE0EEENS1_48merge_mergepath_partition_config_static_selectorELNS0_4arch9wavefront6targetE1EEEvSL_,"axG",@progbits,_ZN7rocprim17ROCPRIM_400000_NS6detail17trampoline_kernelINS0_14default_configENS1_38merge_sort_block_merge_config_selectorItNS0_10empty_typeEEEZZNS1_27merge_sort_block_merge_implIS3_N6thrust23THRUST_200600_302600_NS6detail15normal_iteratorINS9_10device_ptrItEEEEPS5_jNS1_19radix_merge_compareILb0ELb0EtNS0_19identity_decomposerEEEEE10hipError_tT0_T1_T2_jT3_P12ihipStream_tbPNSt15iterator_traitsISK_E10value_typeEPNSQ_ISL_E10value_typeEPSM_NS1_7vsmem_tEENKUlT_SK_SL_SM_E_clISE_PtSF_SF_EESJ_SZ_SK_SL_SM_EUlSZ_E_NS1_11comp_targetILNS1_3genE5ELNS1_11target_archE942ELNS1_3gpuE9ELNS1_3repE0EEENS1_48merge_mergepath_partition_config_static_selectorELNS0_4arch9wavefront6targetE1EEEvSL_,comdat
	.protected	_ZN7rocprim17ROCPRIM_400000_NS6detail17trampoline_kernelINS0_14default_configENS1_38merge_sort_block_merge_config_selectorItNS0_10empty_typeEEEZZNS1_27merge_sort_block_merge_implIS3_N6thrust23THRUST_200600_302600_NS6detail15normal_iteratorINS9_10device_ptrItEEEEPS5_jNS1_19radix_merge_compareILb0ELb0EtNS0_19identity_decomposerEEEEE10hipError_tT0_T1_T2_jT3_P12ihipStream_tbPNSt15iterator_traitsISK_E10value_typeEPNSQ_ISL_E10value_typeEPSM_NS1_7vsmem_tEENKUlT_SK_SL_SM_E_clISE_PtSF_SF_EESJ_SZ_SK_SL_SM_EUlSZ_E_NS1_11comp_targetILNS1_3genE5ELNS1_11target_archE942ELNS1_3gpuE9ELNS1_3repE0EEENS1_48merge_mergepath_partition_config_static_selectorELNS0_4arch9wavefront6targetE1EEEvSL_ ; -- Begin function _ZN7rocprim17ROCPRIM_400000_NS6detail17trampoline_kernelINS0_14default_configENS1_38merge_sort_block_merge_config_selectorItNS0_10empty_typeEEEZZNS1_27merge_sort_block_merge_implIS3_N6thrust23THRUST_200600_302600_NS6detail15normal_iteratorINS9_10device_ptrItEEEEPS5_jNS1_19radix_merge_compareILb0ELb0EtNS0_19identity_decomposerEEEEE10hipError_tT0_T1_T2_jT3_P12ihipStream_tbPNSt15iterator_traitsISK_E10value_typeEPNSQ_ISL_E10value_typeEPSM_NS1_7vsmem_tEENKUlT_SK_SL_SM_E_clISE_PtSF_SF_EESJ_SZ_SK_SL_SM_EUlSZ_E_NS1_11comp_targetILNS1_3genE5ELNS1_11target_archE942ELNS1_3gpuE9ELNS1_3repE0EEENS1_48merge_mergepath_partition_config_static_selectorELNS0_4arch9wavefront6targetE1EEEvSL_
	.globl	_ZN7rocprim17ROCPRIM_400000_NS6detail17trampoline_kernelINS0_14default_configENS1_38merge_sort_block_merge_config_selectorItNS0_10empty_typeEEEZZNS1_27merge_sort_block_merge_implIS3_N6thrust23THRUST_200600_302600_NS6detail15normal_iteratorINS9_10device_ptrItEEEEPS5_jNS1_19radix_merge_compareILb0ELb0EtNS0_19identity_decomposerEEEEE10hipError_tT0_T1_T2_jT3_P12ihipStream_tbPNSt15iterator_traitsISK_E10value_typeEPNSQ_ISL_E10value_typeEPSM_NS1_7vsmem_tEENKUlT_SK_SL_SM_E_clISE_PtSF_SF_EESJ_SZ_SK_SL_SM_EUlSZ_E_NS1_11comp_targetILNS1_3genE5ELNS1_11target_archE942ELNS1_3gpuE9ELNS1_3repE0EEENS1_48merge_mergepath_partition_config_static_selectorELNS0_4arch9wavefront6targetE1EEEvSL_
	.p2align	8
	.type	_ZN7rocprim17ROCPRIM_400000_NS6detail17trampoline_kernelINS0_14default_configENS1_38merge_sort_block_merge_config_selectorItNS0_10empty_typeEEEZZNS1_27merge_sort_block_merge_implIS3_N6thrust23THRUST_200600_302600_NS6detail15normal_iteratorINS9_10device_ptrItEEEEPS5_jNS1_19radix_merge_compareILb0ELb0EtNS0_19identity_decomposerEEEEE10hipError_tT0_T1_T2_jT3_P12ihipStream_tbPNSt15iterator_traitsISK_E10value_typeEPNSQ_ISL_E10value_typeEPSM_NS1_7vsmem_tEENKUlT_SK_SL_SM_E_clISE_PtSF_SF_EESJ_SZ_SK_SL_SM_EUlSZ_E_NS1_11comp_targetILNS1_3genE5ELNS1_11target_archE942ELNS1_3gpuE9ELNS1_3repE0EEENS1_48merge_mergepath_partition_config_static_selectorELNS0_4arch9wavefront6targetE1EEEvSL_,@function
_ZN7rocprim17ROCPRIM_400000_NS6detail17trampoline_kernelINS0_14default_configENS1_38merge_sort_block_merge_config_selectorItNS0_10empty_typeEEEZZNS1_27merge_sort_block_merge_implIS3_N6thrust23THRUST_200600_302600_NS6detail15normal_iteratorINS9_10device_ptrItEEEEPS5_jNS1_19radix_merge_compareILb0ELb0EtNS0_19identity_decomposerEEEEE10hipError_tT0_T1_T2_jT3_P12ihipStream_tbPNSt15iterator_traitsISK_E10value_typeEPNSQ_ISL_E10value_typeEPSM_NS1_7vsmem_tEENKUlT_SK_SL_SM_E_clISE_PtSF_SF_EESJ_SZ_SK_SL_SM_EUlSZ_E_NS1_11comp_targetILNS1_3genE5ELNS1_11target_archE942ELNS1_3gpuE9ELNS1_3repE0EEENS1_48merge_mergepath_partition_config_static_selectorELNS0_4arch9wavefront6targetE1EEEvSL_: ; @_ZN7rocprim17ROCPRIM_400000_NS6detail17trampoline_kernelINS0_14default_configENS1_38merge_sort_block_merge_config_selectorItNS0_10empty_typeEEEZZNS1_27merge_sort_block_merge_implIS3_N6thrust23THRUST_200600_302600_NS6detail15normal_iteratorINS9_10device_ptrItEEEEPS5_jNS1_19radix_merge_compareILb0ELb0EtNS0_19identity_decomposerEEEEE10hipError_tT0_T1_T2_jT3_P12ihipStream_tbPNSt15iterator_traitsISK_E10value_typeEPNSQ_ISL_E10value_typeEPSM_NS1_7vsmem_tEENKUlT_SK_SL_SM_E_clISE_PtSF_SF_EESJ_SZ_SK_SL_SM_EUlSZ_E_NS1_11comp_targetILNS1_3genE5ELNS1_11target_archE942ELNS1_3gpuE9ELNS1_3repE0EEENS1_48merge_mergepath_partition_config_static_selectorELNS0_4arch9wavefront6targetE1EEEvSL_
; %bb.0:
	.section	.rodata,"a",@progbits
	.p2align	6, 0x0
	.amdhsa_kernel _ZN7rocprim17ROCPRIM_400000_NS6detail17trampoline_kernelINS0_14default_configENS1_38merge_sort_block_merge_config_selectorItNS0_10empty_typeEEEZZNS1_27merge_sort_block_merge_implIS3_N6thrust23THRUST_200600_302600_NS6detail15normal_iteratorINS9_10device_ptrItEEEEPS5_jNS1_19radix_merge_compareILb0ELb0EtNS0_19identity_decomposerEEEEE10hipError_tT0_T1_T2_jT3_P12ihipStream_tbPNSt15iterator_traitsISK_E10value_typeEPNSQ_ISL_E10value_typeEPSM_NS1_7vsmem_tEENKUlT_SK_SL_SM_E_clISE_PtSF_SF_EESJ_SZ_SK_SL_SM_EUlSZ_E_NS1_11comp_targetILNS1_3genE5ELNS1_11target_archE942ELNS1_3gpuE9ELNS1_3repE0EEENS1_48merge_mergepath_partition_config_static_selectorELNS0_4arch9wavefront6targetE1EEEvSL_
		.amdhsa_group_segment_fixed_size 0
		.amdhsa_private_segment_fixed_size 0
		.amdhsa_kernarg_size 40
		.amdhsa_user_sgpr_count 6
		.amdhsa_user_sgpr_private_segment_buffer 1
		.amdhsa_user_sgpr_dispatch_ptr 0
		.amdhsa_user_sgpr_queue_ptr 0
		.amdhsa_user_sgpr_kernarg_segment_ptr 1
		.amdhsa_user_sgpr_dispatch_id 0
		.amdhsa_user_sgpr_flat_scratch_init 0
		.amdhsa_user_sgpr_kernarg_preload_length 0
		.amdhsa_user_sgpr_kernarg_preload_offset 0
		.amdhsa_user_sgpr_private_segment_size 0
		.amdhsa_uses_dynamic_stack 0
		.amdhsa_system_sgpr_private_segment_wavefront_offset 0
		.amdhsa_system_sgpr_workgroup_id_x 1
		.amdhsa_system_sgpr_workgroup_id_y 0
		.amdhsa_system_sgpr_workgroup_id_z 0
		.amdhsa_system_sgpr_workgroup_info 0
		.amdhsa_system_vgpr_workitem_id 0
		.amdhsa_next_free_vgpr 1
		.amdhsa_next_free_sgpr 0
		.amdhsa_accum_offset 4
		.amdhsa_reserve_vcc 0
		.amdhsa_reserve_flat_scratch 0
		.amdhsa_float_round_mode_32 0
		.amdhsa_float_round_mode_16_64 0
		.amdhsa_float_denorm_mode_32 3
		.amdhsa_float_denorm_mode_16_64 3
		.amdhsa_dx10_clamp 1
		.amdhsa_ieee_mode 1
		.amdhsa_fp16_overflow 0
		.amdhsa_tg_split 0
		.amdhsa_exception_fp_ieee_invalid_op 0
		.amdhsa_exception_fp_denorm_src 0
		.amdhsa_exception_fp_ieee_div_zero 0
		.amdhsa_exception_fp_ieee_overflow 0
		.amdhsa_exception_fp_ieee_underflow 0
		.amdhsa_exception_fp_ieee_inexact 0
		.amdhsa_exception_int_div_zero 0
	.end_amdhsa_kernel
	.section	.text._ZN7rocprim17ROCPRIM_400000_NS6detail17trampoline_kernelINS0_14default_configENS1_38merge_sort_block_merge_config_selectorItNS0_10empty_typeEEEZZNS1_27merge_sort_block_merge_implIS3_N6thrust23THRUST_200600_302600_NS6detail15normal_iteratorINS9_10device_ptrItEEEEPS5_jNS1_19radix_merge_compareILb0ELb0EtNS0_19identity_decomposerEEEEE10hipError_tT0_T1_T2_jT3_P12ihipStream_tbPNSt15iterator_traitsISK_E10value_typeEPNSQ_ISL_E10value_typeEPSM_NS1_7vsmem_tEENKUlT_SK_SL_SM_E_clISE_PtSF_SF_EESJ_SZ_SK_SL_SM_EUlSZ_E_NS1_11comp_targetILNS1_3genE5ELNS1_11target_archE942ELNS1_3gpuE9ELNS1_3repE0EEENS1_48merge_mergepath_partition_config_static_selectorELNS0_4arch9wavefront6targetE1EEEvSL_,"axG",@progbits,_ZN7rocprim17ROCPRIM_400000_NS6detail17trampoline_kernelINS0_14default_configENS1_38merge_sort_block_merge_config_selectorItNS0_10empty_typeEEEZZNS1_27merge_sort_block_merge_implIS3_N6thrust23THRUST_200600_302600_NS6detail15normal_iteratorINS9_10device_ptrItEEEEPS5_jNS1_19radix_merge_compareILb0ELb0EtNS0_19identity_decomposerEEEEE10hipError_tT0_T1_T2_jT3_P12ihipStream_tbPNSt15iterator_traitsISK_E10value_typeEPNSQ_ISL_E10value_typeEPSM_NS1_7vsmem_tEENKUlT_SK_SL_SM_E_clISE_PtSF_SF_EESJ_SZ_SK_SL_SM_EUlSZ_E_NS1_11comp_targetILNS1_3genE5ELNS1_11target_archE942ELNS1_3gpuE9ELNS1_3repE0EEENS1_48merge_mergepath_partition_config_static_selectorELNS0_4arch9wavefront6targetE1EEEvSL_,comdat
.Lfunc_end1232:
	.size	_ZN7rocprim17ROCPRIM_400000_NS6detail17trampoline_kernelINS0_14default_configENS1_38merge_sort_block_merge_config_selectorItNS0_10empty_typeEEEZZNS1_27merge_sort_block_merge_implIS3_N6thrust23THRUST_200600_302600_NS6detail15normal_iteratorINS9_10device_ptrItEEEEPS5_jNS1_19radix_merge_compareILb0ELb0EtNS0_19identity_decomposerEEEEE10hipError_tT0_T1_T2_jT3_P12ihipStream_tbPNSt15iterator_traitsISK_E10value_typeEPNSQ_ISL_E10value_typeEPSM_NS1_7vsmem_tEENKUlT_SK_SL_SM_E_clISE_PtSF_SF_EESJ_SZ_SK_SL_SM_EUlSZ_E_NS1_11comp_targetILNS1_3genE5ELNS1_11target_archE942ELNS1_3gpuE9ELNS1_3repE0EEENS1_48merge_mergepath_partition_config_static_selectorELNS0_4arch9wavefront6targetE1EEEvSL_, .Lfunc_end1232-_ZN7rocprim17ROCPRIM_400000_NS6detail17trampoline_kernelINS0_14default_configENS1_38merge_sort_block_merge_config_selectorItNS0_10empty_typeEEEZZNS1_27merge_sort_block_merge_implIS3_N6thrust23THRUST_200600_302600_NS6detail15normal_iteratorINS9_10device_ptrItEEEEPS5_jNS1_19radix_merge_compareILb0ELb0EtNS0_19identity_decomposerEEEEE10hipError_tT0_T1_T2_jT3_P12ihipStream_tbPNSt15iterator_traitsISK_E10value_typeEPNSQ_ISL_E10value_typeEPSM_NS1_7vsmem_tEENKUlT_SK_SL_SM_E_clISE_PtSF_SF_EESJ_SZ_SK_SL_SM_EUlSZ_E_NS1_11comp_targetILNS1_3genE5ELNS1_11target_archE942ELNS1_3gpuE9ELNS1_3repE0EEENS1_48merge_mergepath_partition_config_static_selectorELNS0_4arch9wavefront6targetE1EEEvSL_
                                        ; -- End function
	.section	.AMDGPU.csdata,"",@progbits
; Kernel info:
; codeLenInByte = 0
; NumSgprs: 4
; NumVgprs: 0
; NumAgprs: 0
; TotalNumVgprs: 0
; ScratchSize: 0
; MemoryBound: 0
; FloatMode: 240
; IeeeMode: 1
; LDSByteSize: 0 bytes/workgroup (compile time only)
; SGPRBlocks: 0
; VGPRBlocks: 0
; NumSGPRsForWavesPerEU: 4
; NumVGPRsForWavesPerEU: 1
; AccumOffset: 4
; Occupancy: 8
; WaveLimiterHint : 0
; COMPUTE_PGM_RSRC2:SCRATCH_EN: 0
; COMPUTE_PGM_RSRC2:USER_SGPR: 6
; COMPUTE_PGM_RSRC2:TRAP_HANDLER: 0
; COMPUTE_PGM_RSRC2:TGID_X_EN: 1
; COMPUTE_PGM_RSRC2:TGID_Y_EN: 0
; COMPUTE_PGM_RSRC2:TGID_Z_EN: 0
; COMPUTE_PGM_RSRC2:TIDIG_COMP_CNT: 0
; COMPUTE_PGM_RSRC3_GFX90A:ACCUM_OFFSET: 0
; COMPUTE_PGM_RSRC3_GFX90A:TG_SPLIT: 0
	.section	.text._ZN7rocprim17ROCPRIM_400000_NS6detail17trampoline_kernelINS0_14default_configENS1_38merge_sort_block_merge_config_selectorItNS0_10empty_typeEEEZZNS1_27merge_sort_block_merge_implIS3_N6thrust23THRUST_200600_302600_NS6detail15normal_iteratorINS9_10device_ptrItEEEEPS5_jNS1_19radix_merge_compareILb0ELb0EtNS0_19identity_decomposerEEEEE10hipError_tT0_T1_T2_jT3_P12ihipStream_tbPNSt15iterator_traitsISK_E10value_typeEPNSQ_ISL_E10value_typeEPSM_NS1_7vsmem_tEENKUlT_SK_SL_SM_E_clISE_PtSF_SF_EESJ_SZ_SK_SL_SM_EUlSZ_E_NS1_11comp_targetILNS1_3genE4ELNS1_11target_archE910ELNS1_3gpuE8ELNS1_3repE0EEENS1_48merge_mergepath_partition_config_static_selectorELNS0_4arch9wavefront6targetE1EEEvSL_,"axG",@progbits,_ZN7rocprim17ROCPRIM_400000_NS6detail17trampoline_kernelINS0_14default_configENS1_38merge_sort_block_merge_config_selectorItNS0_10empty_typeEEEZZNS1_27merge_sort_block_merge_implIS3_N6thrust23THRUST_200600_302600_NS6detail15normal_iteratorINS9_10device_ptrItEEEEPS5_jNS1_19radix_merge_compareILb0ELb0EtNS0_19identity_decomposerEEEEE10hipError_tT0_T1_T2_jT3_P12ihipStream_tbPNSt15iterator_traitsISK_E10value_typeEPNSQ_ISL_E10value_typeEPSM_NS1_7vsmem_tEENKUlT_SK_SL_SM_E_clISE_PtSF_SF_EESJ_SZ_SK_SL_SM_EUlSZ_E_NS1_11comp_targetILNS1_3genE4ELNS1_11target_archE910ELNS1_3gpuE8ELNS1_3repE0EEENS1_48merge_mergepath_partition_config_static_selectorELNS0_4arch9wavefront6targetE1EEEvSL_,comdat
	.protected	_ZN7rocprim17ROCPRIM_400000_NS6detail17trampoline_kernelINS0_14default_configENS1_38merge_sort_block_merge_config_selectorItNS0_10empty_typeEEEZZNS1_27merge_sort_block_merge_implIS3_N6thrust23THRUST_200600_302600_NS6detail15normal_iteratorINS9_10device_ptrItEEEEPS5_jNS1_19radix_merge_compareILb0ELb0EtNS0_19identity_decomposerEEEEE10hipError_tT0_T1_T2_jT3_P12ihipStream_tbPNSt15iterator_traitsISK_E10value_typeEPNSQ_ISL_E10value_typeEPSM_NS1_7vsmem_tEENKUlT_SK_SL_SM_E_clISE_PtSF_SF_EESJ_SZ_SK_SL_SM_EUlSZ_E_NS1_11comp_targetILNS1_3genE4ELNS1_11target_archE910ELNS1_3gpuE8ELNS1_3repE0EEENS1_48merge_mergepath_partition_config_static_selectorELNS0_4arch9wavefront6targetE1EEEvSL_ ; -- Begin function _ZN7rocprim17ROCPRIM_400000_NS6detail17trampoline_kernelINS0_14default_configENS1_38merge_sort_block_merge_config_selectorItNS0_10empty_typeEEEZZNS1_27merge_sort_block_merge_implIS3_N6thrust23THRUST_200600_302600_NS6detail15normal_iteratorINS9_10device_ptrItEEEEPS5_jNS1_19radix_merge_compareILb0ELb0EtNS0_19identity_decomposerEEEEE10hipError_tT0_T1_T2_jT3_P12ihipStream_tbPNSt15iterator_traitsISK_E10value_typeEPNSQ_ISL_E10value_typeEPSM_NS1_7vsmem_tEENKUlT_SK_SL_SM_E_clISE_PtSF_SF_EESJ_SZ_SK_SL_SM_EUlSZ_E_NS1_11comp_targetILNS1_3genE4ELNS1_11target_archE910ELNS1_3gpuE8ELNS1_3repE0EEENS1_48merge_mergepath_partition_config_static_selectorELNS0_4arch9wavefront6targetE1EEEvSL_
	.globl	_ZN7rocprim17ROCPRIM_400000_NS6detail17trampoline_kernelINS0_14default_configENS1_38merge_sort_block_merge_config_selectorItNS0_10empty_typeEEEZZNS1_27merge_sort_block_merge_implIS3_N6thrust23THRUST_200600_302600_NS6detail15normal_iteratorINS9_10device_ptrItEEEEPS5_jNS1_19radix_merge_compareILb0ELb0EtNS0_19identity_decomposerEEEEE10hipError_tT0_T1_T2_jT3_P12ihipStream_tbPNSt15iterator_traitsISK_E10value_typeEPNSQ_ISL_E10value_typeEPSM_NS1_7vsmem_tEENKUlT_SK_SL_SM_E_clISE_PtSF_SF_EESJ_SZ_SK_SL_SM_EUlSZ_E_NS1_11comp_targetILNS1_3genE4ELNS1_11target_archE910ELNS1_3gpuE8ELNS1_3repE0EEENS1_48merge_mergepath_partition_config_static_selectorELNS0_4arch9wavefront6targetE1EEEvSL_
	.p2align	8
	.type	_ZN7rocprim17ROCPRIM_400000_NS6detail17trampoline_kernelINS0_14default_configENS1_38merge_sort_block_merge_config_selectorItNS0_10empty_typeEEEZZNS1_27merge_sort_block_merge_implIS3_N6thrust23THRUST_200600_302600_NS6detail15normal_iteratorINS9_10device_ptrItEEEEPS5_jNS1_19radix_merge_compareILb0ELb0EtNS0_19identity_decomposerEEEEE10hipError_tT0_T1_T2_jT3_P12ihipStream_tbPNSt15iterator_traitsISK_E10value_typeEPNSQ_ISL_E10value_typeEPSM_NS1_7vsmem_tEENKUlT_SK_SL_SM_E_clISE_PtSF_SF_EESJ_SZ_SK_SL_SM_EUlSZ_E_NS1_11comp_targetILNS1_3genE4ELNS1_11target_archE910ELNS1_3gpuE8ELNS1_3repE0EEENS1_48merge_mergepath_partition_config_static_selectorELNS0_4arch9wavefront6targetE1EEEvSL_,@function
_ZN7rocprim17ROCPRIM_400000_NS6detail17trampoline_kernelINS0_14default_configENS1_38merge_sort_block_merge_config_selectorItNS0_10empty_typeEEEZZNS1_27merge_sort_block_merge_implIS3_N6thrust23THRUST_200600_302600_NS6detail15normal_iteratorINS9_10device_ptrItEEEEPS5_jNS1_19radix_merge_compareILb0ELb0EtNS0_19identity_decomposerEEEEE10hipError_tT0_T1_T2_jT3_P12ihipStream_tbPNSt15iterator_traitsISK_E10value_typeEPNSQ_ISL_E10value_typeEPSM_NS1_7vsmem_tEENKUlT_SK_SL_SM_E_clISE_PtSF_SF_EESJ_SZ_SK_SL_SM_EUlSZ_E_NS1_11comp_targetILNS1_3genE4ELNS1_11target_archE910ELNS1_3gpuE8ELNS1_3repE0EEENS1_48merge_mergepath_partition_config_static_selectorELNS0_4arch9wavefront6targetE1EEEvSL_: ; @_ZN7rocprim17ROCPRIM_400000_NS6detail17trampoline_kernelINS0_14default_configENS1_38merge_sort_block_merge_config_selectorItNS0_10empty_typeEEEZZNS1_27merge_sort_block_merge_implIS3_N6thrust23THRUST_200600_302600_NS6detail15normal_iteratorINS9_10device_ptrItEEEEPS5_jNS1_19radix_merge_compareILb0ELb0EtNS0_19identity_decomposerEEEEE10hipError_tT0_T1_T2_jT3_P12ihipStream_tbPNSt15iterator_traitsISK_E10value_typeEPNSQ_ISL_E10value_typeEPSM_NS1_7vsmem_tEENKUlT_SK_SL_SM_E_clISE_PtSF_SF_EESJ_SZ_SK_SL_SM_EUlSZ_E_NS1_11comp_targetILNS1_3genE4ELNS1_11target_archE910ELNS1_3gpuE8ELNS1_3repE0EEENS1_48merge_mergepath_partition_config_static_selectorELNS0_4arch9wavefront6targetE1EEEvSL_
; %bb.0:
	s_load_dword s0, s[4:5], 0x0
	v_lshl_or_b32 v0, s6, 7, v0
	s_waitcnt lgkmcnt(0)
	v_cmp_gt_u32_e32 vcc, s0, v0
	s_and_saveexec_b64 s[0:1], vcc
	s_cbranch_execz .LBB1233_6
; %bb.1:
	s_load_dwordx2 s[2:3], s[4:5], 0x4
	s_load_dwordx2 s[0:1], s[4:5], 0x20
	s_waitcnt lgkmcnt(0)
	s_lshr_b32 s6, s2, 9
	s_and_b32 s6, s6, 0x7ffffe
	s_add_i32 s7, s6, -1
	s_sub_i32 s6, 0, s6
	v_and_b32_e32 v1, s6, v0
	v_lshlrev_b32_e32 v1, 10, v1
	v_min_u32_e32 v2, s3, v1
	v_add_u32_e32 v1, s2, v1
	v_min_u32_e32 v4, s3, v1
	v_add_u32_e32 v1, s2, v4
	v_and_b32_e32 v3, s7, v0
	v_min_u32_e32 v1, s3, v1
	v_sub_u32_e32 v5, v1, v2
	v_lshlrev_b32_e32 v3, 10, v3
	v_min_u32_e32 v6, v5, v3
	v_sub_u32_e32 v3, v4, v2
	v_sub_u32_e32 v1, v1, v4
	v_sub_u32_e64 v1, v6, v1 clamp
	v_min_u32_e32 v7, v6, v3
	v_cmp_lt_u32_e32 vcc, v1, v7
	s_and_saveexec_b64 s[2:3], vcc
	s_cbranch_execz .LBB1233_5
; %bb.2:
	s_load_dwordx2 s[4:5], s[4:5], 0x10
	v_mov_b32_e32 v5, 0
	v_mov_b32_e32 v3, v5
	v_lshlrev_b64 v[8:9], 1, v[2:3]
	v_lshlrev_b64 v[10:11], 1, v[4:5]
	s_waitcnt lgkmcnt(0)
	v_mov_b32_e32 v12, s5
	v_add_co_u32_e32 v3, vcc, s4, v8
	v_addc_co_u32_e32 v8, vcc, v12, v9, vcc
	v_add_co_u32_e32 v9, vcc, s4, v10
	v_addc_co_u32_e32 v10, vcc, v12, v11, vcc
	s_mov_b64 s[4:5], 0
.LBB1233_3:                             ; =>This Inner Loop Header: Depth=1
	v_add_u32_e32 v4, v7, v1
	v_and_b32_e32 v12, -2, v4
	v_lshrrev_b32_e32 v11, 1, v4
	v_add_co_u32_e32 v12, vcc, v3, v12
	v_xad_u32 v4, v11, -1, v6
	v_addc_co_u32_e32 v13, vcc, 0, v8, vcc
	flat_load_ushort v14, v[12:13]
	v_lshlrev_b64 v[12:13], 1, v[4:5]
	v_add_co_u32_e32 v12, vcc, v9, v12
	v_addc_co_u32_e32 v13, vcc, v10, v13, vcc
	flat_load_ushort v4, v[12:13]
	v_add_u32_e32 v12, 1, v11
	s_waitcnt vmcnt(0) lgkmcnt(0)
	v_cmp_gt_u16_e32 vcc, v14, v4
	v_cndmask_b32_e32 v7, v7, v11, vcc
	v_cndmask_b32_e32 v1, v12, v1, vcc
	v_cmp_ge_u32_e32 vcc, v1, v7
	s_or_b64 s[4:5], vcc, s[4:5]
	s_andn2_b64 exec, exec, s[4:5]
	s_cbranch_execnz .LBB1233_3
; %bb.4:
	s_or_b64 exec, exec, s[4:5]
.LBB1233_5:
	s_or_b64 exec, exec, s[2:3]
	v_add_u32_e32 v2, v1, v2
	v_mov_b32_e32 v1, 0
	v_lshlrev_b64 v[0:1], 2, v[0:1]
	v_mov_b32_e32 v3, s1
	v_add_co_u32_e32 v0, vcc, s0, v0
	v_addc_co_u32_e32 v1, vcc, v3, v1, vcc
	global_store_dword v[0:1], v2, off
.LBB1233_6:
	s_endpgm
	.section	.rodata,"a",@progbits
	.p2align	6, 0x0
	.amdhsa_kernel _ZN7rocprim17ROCPRIM_400000_NS6detail17trampoline_kernelINS0_14default_configENS1_38merge_sort_block_merge_config_selectorItNS0_10empty_typeEEEZZNS1_27merge_sort_block_merge_implIS3_N6thrust23THRUST_200600_302600_NS6detail15normal_iteratorINS9_10device_ptrItEEEEPS5_jNS1_19radix_merge_compareILb0ELb0EtNS0_19identity_decomposerEEEEE10hipError_tT0_T1_T2_jT3_P12ihipStream_tbPNSt15iterator_traitsISK_E10value_typeEPNSQ_ISL_E10value_typeEPSM_NS1_7vsmem_tEENKUlT_SK_SL_SM_E_clISE_PtSF_SF_EESJ_SZ_SK_SL_SM_EUlSZ_E_NS1_11comp_targetILNS1_3genE4ELNS1_11target_archE910ELNS1_3gpuE8ELNS1_3repE0EEENS1_48merge_mergepath_partition_config_static_selectorELNS0_4arch9wavefront6targetE1EEEvSL_
		.amdhsa_group_segment_fixed_size 0
		.amdhsa_private_segment_fixed_size 0
		.amdhsa_kernarg_size 40
		.amdhsa_user_sgpr_count 6
		.amdhsa_user_sgpr_private_segment_buffer 1
		.amdhsa_user_sgpr_dispatch_ptr 0
		.amdhsa_user_sgpr_queue_ptr 0
		.amdhsa_user_sgpr_kernarg_segment_ptr 1
		.amdhsa_user_sgpr_dispatch_id 0
		.amdhsa_user_sgpr_flat_scratch_init 0
		.amdhsa_user_sgpr_kernarg_preload_length 0
		.amdhsa_user_sgpr_kernarg_preload_offset 0
		.amdhsa_user_sgpr_private_segment_size 0
		.amdhsa_uses_dynamic_stack 0
		.amdhsa_system_sgpr_private_segment_wavefront_offset 0
		.amdhsa_system_sgpr_workgroup_id_x 1
		.amdhsa_system_sgpr_workgroup_id_y 0
		.amdhsa_system_sgpr_workgroup_id_z 0
		.amdhsa_system_sgpr_workgroup_info 0
		.amdhsa_system_vgpr_workitem_id 0
		.amdhsa_next_free_vgpr 15
		.amdhsa_next_free_sgpr 8
		.amdhsa_accum_offset 16
		.amdhsa_reserve_vcc 1
		.amdhsa_reserve_flat_scratch 0
		.amdhsa_float_round_mode_32 0
		.amdhsa_float_round_mode_16_64 0
		.amdhsa_float_denorm_mode_32 3
		.amdhsa_float_denorm_mode_16_64 3
		.amdhsa_dx10_clamp 1
		.amdhsa_ieee_mode 1
		.amdhsa_fp16_overflow 0
		.amdhsa_tg_split 0
		.amdhsa_exception_fp_ieee_invalid_op 0
		.amdhsa_exception_fp_denorm_src 0
		.amdhsa_exception_fp_ieee_div_zero 0
		.amdhsa_exception_fp_ieee_overflow 0
		.amdhsa_exception_fp_ieee_underflow 0
		.amdhsa_exception_fp_ieee_inexact 0
		.amdhsa_exception_int_div_zero 0
	.end_amdhsa_kernel
	.section	.text._ZN7rocprim17ROCPRIM_400000_NS6detail17trampoline_kernelINS0_14default_configENS1_38merge_sort_block_merge_config_selectorItNS0_10empty_typeEEEZZNS1_27merge_sort_block_merge_implIS3_N6thrust23THRUST_200600_302600_NS6detail15normal_iteratorINS9_10device_ptrItEEEEPS5_jNS1_19radix_merge_compareILb0ELb0EtNS0_19identity_decomposerEEEEE10hipError_tT0_T1_T2_jT3_P12ihipStream_tbPNSt15iterator_traitsISK_E10value_typeEPNSQ_ISL_E10value_typeEPSM_NS1_7vsmem_tEENKUlT_SK_SL_SM_E_clISE_PtSF_SF_EESJ_SZ_SK_SL_SM_EUlSZ_E_NS1_11comp_targetILNS1_3genE4ELNS1_11target_archE910ELNS1_3gpuE8ELNS1_3repE0EEENS1_48merge_mergepath_partition_config_static_selectorELNS0_4arch9wavefront6targetE1EEEvSL_,"axG",@progbits,_ZN7rocprim17ROCPRIM_400000_NS6detail17trampoline_kernelINS0_14default_configENS1_38merge_sort_block_merge_config_selectorItNS0_10empty_typeEEEZZNS1_27merge_sort_block_merge_implIS3_N6thrust23THRUST_200600_302600_NS6detail15normal_iteratorINS9_10device_ptrItEEEEPS5_jNS1_19radix_merge_compareILb0ELb0EtNS0_19identity_decomposerEEEEE10hipError_tT0_T1_T2_jT3_P12ihipStream_tbPNSt15iterator_traitsISK_E10value_typeEPNSQ_ISL_E10value_typeEPSM_NS1_7vsmem_tEENKUlT_SK_SL_SM_E_clISE_PtSF_SF_EESJ_SZ_SK_SL_SM_EUlSZ_E_NS1_11comp_targetILNS1_3genE4ELNS1_11target_archE910ELNS1_3gpuE8ELNS1_3repE0EEENS1_48merge_mergepath_partition_config_static_selectorELNS0_4arch9wavefront6targetE1EEEvSL_,comdat
.Lfunc_end1233:
	.size	_ZN7rocprim17ROCPRIM_400000_NS6detail17trampoline_kernelINS0_14default_configENS1_38merge_sort_block_merge_config_selectorItNS0_10empty_typeEEEZZNS1_27merge_sort_block_merge_implIS3_N6thrust23THRUST_200600_302600_NS6detail15normal_iteratorINS9_10device_ptrItEEEEPS5_jNS1_19radix_merge_compareILb0ELb0EtNS0_19identity_decomposerEEEEE10hipError_tT0_T1_T2_jT3_P12ihipStream_tbPNSt15iterator_traitsISK_E10value_typeEPNSQ_ISL_E10value_typeEPSM_NS1_7vsmem_tEENKUlT_SK_SL_SM_E_clISE_PtSF_SF_EESJ_SZ_SK_SL_SM_EUlSZ_E_NS1_11comp_targetILNS1_3genE4ELNS1_11target_archE910ELNS1_3gpuE8ELNS1_3repE0EEENS1_48merge_mergepath_partition_config_static_selectorELNS0_4arch9wavefront6targetE1EEEvSL_, .Lfunc_end1233-_ZN7rocprim17ROCPRIM_400000_NS6detail17trampoline_kernelINS0_14default_configENS1_38merge_sort_block_merge_config_selectorItNS0_10empty_typeEEEZZNS1_27merge_sort_block_merge_implIS3_N6thrust23THRUST_200600_302600_NS6detail15normal_iteratorINS9_10device_ptrItEEEEPS5_jNS1_19radix_merge_compareILb0ELb0EtNS0_19identity_decomposerEEEEE10hipError_tT0_T1_T2_jT3_P12ihipStream_tbPNSt15iterator_traitsISK_E10value_typeEPNSQ_ISL_E10value_typeEPSM_NS1_7vsmem_tEENKUlT_SK_SL_SM_E_clISE_PtSF_SF_EESJ_SZ_SK_SL_SM_EUlSZ_E_NS1_11comp_targetILNS1_3genE4ELNS1_11target_archE910ELNS1_3gpuE8ELNS1_3repE0EEENS1_48merge_mergepath_partition_config_static_selectorELNS0_4arch9wavefront6targetE1EEEvSL_
                                        ; -- End function
	.section	.AMDGPU.csdata,"",@progbits
; Kernel info:
; codeLenInByte = 352
; NumSgprs: 12
; NumVgprs: 15
; NumAgprs: 0
; TotalNumVgprs: 15
; ScratchSize: 0
; MemoryBound: 0
; FloatMode: 240
; IeeeMode: 1
; LDSByteSize: 0 bytes/workgroup (compile time only)
; SGPRBlocks: 1
; VGPRBlocks: 1
; NumSGPRsForWavesPerEU: 12
; NumVGPRsForWavesPerEU: 15
; AccumOffset: 16
; Occupancy: 8
; WaveLimiterHint : 0
; COMPUTE_PGM_RSRC2:SCRATCH_EN: 0
; COMPUTE_PGM_RSRC2:USER_SGPR: 6
; COMPUTE_PGM_RSRC2:TRAP_HANDLER: 0
; COMPUTE_PGM_RSRC2:TGID_X_EN: 1
; COMPUTE_PGM_RSRC2:TGID_Y_EN: 0
; COMPUTE_PGM_RSRC2:TGID_Z_EN: 0
; COMPUTE_PGM_RSRC2:TIDIG_COMP_CNT: 0
; COMPUTE_PGM_RSRC3_GFX90A:ACCUM_OFFSET: 3
; COMPUTE_PGM_RSRC3_GFX90A:TG_SPLIT: 0
	.section	.text._ZN7rocprim17ROCPRIM_400000_NS6detail17trampoline_kernelINS0_14default_configENS1_38merge_sort_block_merge_config_selectorItNS0_10empty_typeEEEZZNS1_27merge_sort_block_merge_implIS3_N6thrust23THRUST_200600_302600_NS6detail15normal_iteratorINS9_10device_ptrItEEEEPS5_jNS1_19radix_merge_compareILb0ELb0EtNS0_19identity_decomposerEEEEE10hipError_tT0_T1_T2_jT3_P12ihipStream_tbPNSt15iterator_traitsISK_E10value_typeEPNSQ_ISL_E10value_typeEPSM_NS1_7vsmem_tEENKUlT_SK_SL_SM_E_clISE_PtSF_SF_EESJ_SZ_SK_SL_SM_EUlSZ_E_NS1_11comp_targetILNS1_3genE3ELNS1_11target_archE908ELNS1_3gpuE7ELNS1_3repE0EEENS1_48merge_mergepath_partition_config_static_selectorELNS0_4arch9wavefront6targetE1EEEvSL_,"axG",@progbits,_ZN7rocprim17ROCPRIM_400000_NS6detail17trampoline_kernelINS0_14default_configENS1_38merge_sort_block_merge_config_selectorItNS0_10empty_typeEEEZZNS1_27merge_sort_block_merge_implIS3_N6thrust23THRUST_200600_302600_NS6detail15normal_iteratorINS9_10device_ptrItEEEEPS5_jNS1_19radix_merge_compareILb0ELb0EtNS0_19identity_decomposerEEEEE10hipError_tT0_T1_T2_jT3_P12ihipStream_tbPNSt15iterator_traitsISK_E10value_typeEPNSQ_ISL_E10value_typeEPSM_NS1_7vsmem_tEENKUlT_SK_SL_SM_E_clISE_PtSF_SF_EESJ_SZ_SK_SL_SM_EUlSZ_E_NS1_11comp_targetILNS1_3genE3ELNS1_11target_archE908ELNS1_3gpuE7ELNS1_3repE0EEENS1_48merge_mergepath_partition_config_static_selectorELNS0_4arch9wavefront6targetE1EEEvSL_,comdat
	.protected	_ZN7rocprim17ROCPRIM_400000_NS6detail17trampoline_kernelINS0_14default_configENS1_38merge_sort_block_merge_config_selectorItNS0_10empty_typeEEEZZNS1_27merge_sort_block_merge_implIS3_N6thrust23THRUST_200600_302600_NS6detail15normal_iteratorINS9_10device_ptrItEEEEPS5_jNS1_19radix_merge_compareILb0ELb0EtNS0_19identity_decomposerEEEEE10hipError_tT0_T1_T2_jT3_P12ihipStream_tbPNSt15iterator_traitsISK_E10value_typeEPNSQ_ISL_E10value_typeEPSM_NS1_7vsmem_tEENKUlT_SK_SL_SM_E_clISE_PtSF_SF_EESJ_SZ_SK_SL_SM_EUlSZ_E_NS1_11comp_targetILNS1_3genE3ELNS1_11target_archE908ELNS1_3gpuE7ELNS1_3repE0EEENS1_48merge_mergepath_partition_config_static_selectorELNS0_4arch9wavefront6targetE1EEEvSL_ ; -- Begin function _ZN7rocprim17ROCPRIM_400000_NS6detail17trampoline_kernelINS0_14default_configENS1_38merge_sort_block_merge_config_selectorItNS0_10empty_typeEEEZZNS1_27merge_sort_block_merge_implIS3_N6thrust23THRUST_200600_302600_NS6detail15normal_iteratorINS9_10device_ptrItEEEEPS5_jNS1_19radix_merge_compareILb0ELb0EtNS0_19identity_decomposerEEEEE10hipError_tT0_T1_T2_jT3_P12ihipStream_tbPNSt15iterator_traitsISK_E10value_typeEPNSQ_ISL_E10value_typeEPSM_NS1_7vsmem_tEENKUlT_SK_SL_SM_E_clISE_PtSF_SF_EESJ_SZ_SK_SL_SM_EUlSZ_E_NS1_11comp_targetILNS1_3genE3ELNS1_11target_archE908ELNS1_3gpuE7ELNS1_3repE0EEENS1_48merge_mergepath_partition_config_static_selectorELNS0_4arch9wavefront6targetE1EEEvSL_
	.globl	_ZN7rocprim17ROCPRIM_400000_NS6detail17trampoline_kernelINS0_14default_configENS1_38merge_sort_block_merge_config_selectorItNS0_10empty_typeEEEZZNS1_27merge_sort_block_merge_implIS3_N6thrust23THRUST_200600_302600_NS6detail15normal_iteratorINS9_10device_ptrItEEEEPS5_jNS1_19radix_merge_compareILb0ELb0EtNS0_19identity_decomposerEEEEE10hipError_tT0_T1_T2_jT3_P12ihipStream_tbPNSt15iterator_traitsISK_E10value_typeEPNSQ_ISL_E10value_typeEPSM_NS1_7vsmem_tEENKUlT_SK_SL_SM_E_clISE_PtSF_SF_EESJ_SZ_SK_SL_SM_EUlSZ_E_NS1_11comp_targetILNS1_3genE3ELNS1_11target_archE908ELNS1_3gpuE7ELNS1_3repE0EEENS1_48merge_mergepath_partition_config_static_selectorELNS0_4arch9wavefront6targetE1EEEvSL_
	.p2align	8
	.type	_ZN7rocprim17ROCPRIM_400000_NS6detail17trampoline_kernelINS0_14default_configENS1_38merge_sort_block_merge_config_selectorItNS0_10empty_typeEEEZZNS1_27merge_sort_block_merge_implIS3_N6thrust23THRUST_200600_302600_NS6detail15normal_iteratorINS9_10device_ptrItEEEEPS5_jNS1_19radix_merge_compareILb0ELb0EtNS0_19identity_decomposerEEEEE10hipError_tT0_T1_T2_jT3_P12ihipStream_tbPNSt15iterator_traitsISK_E10value_typeEPNSQ_ISL_E10value_typeEPSM_NS1_7vsmem_tEENKUlT_SK_SL_SM_E_clISE_PtSF_SF_EESJ_SZ_SK_SL_SM_EUlSZ_E_NS1_11comp_targetILNS1_3genE3ELNS1_11target_archE908ELNS1_3gpuE7ELNS1_3repE0EEENS1_48merge_mergepath_partition_config_static_selectorELNS0_4arch9wavefront6targetE1EEEvSL_,@function
_ZN7rocprim17ROCPRIM_400000_NS6detail17trampoline_kernelINS0_14default_configENS1_38merge_sort_block_merge_config_selectorItNS0_10empty_typeEEEZZNS1_27merge_sort_block_merge_implIS3_N6thrust23THRUST_200600_302600_NS6detail15normal_iteratorINS9_10device_ptrItEEEEPS5_jNS1_19radix_merge_compareILb0ELb0EtNS0_19identity_decomposerEEEEE10hipError_tT0_T1_T2_jT3_P12ihipStream_tbPNSt15iterator_traitsISK_E10value_typeEPNSQ_ISL_E10value_typeEPSM_NS1_7vsmem_tEENKUlT_SK_SL_SM_E_clISE_PtSF_SF_EESJ_SZ_SK_SL_SM_EUlSZ_E_NS1_11comp_targetILNS1_3genE3ELNS1_11target_archE908ELNS1_3gpuE7ELNS1_3repE0EEENS1_48merge_mergepath_partition_config_static_selectorELNS0_4arch9wavefront6targetE1EEEvSL_: ; @_ZN7rocprim17ROCPRIM_400000_NS6detail17trampoline_kernelINS0_14default_configENS1_38merge_sort_block_merge_config_selectorItNS0_10empty_typeEEEZZNS1_27merge_sort_block_merge_implIS3_N6thrust23THRUST_200600_302600_NS6detail15normal_iteratorINS9_10device_ptrItEEEEPS5_jNS1_19radix_merge_compareILb0ELb0EtNS0_19identity_decomposerEEEEE10hipError_tT0_T1_T2_jT3_P12ihipStream_tbPNSt15iterator_traitsISK_E10value_typeEPNSQ_ISL_E10value_typeEPSM_NS1_7vsmem_tEENKUlT_SK_SL_SM_E_clISE_PtSF_SF_EESJ_SZ_SK_SL_SM_EUlSZ_E_NS1_11comp_targetILNS1_3genE3ELNS1_11target_archE908ELNS1_3gpuE7ELNS1_3repE0EEENS1_48merge_mergepath_partition_config_static_selectorELNS0_4arch9wavefront6targetE1EEEvSL_
; %bb.0:
	.section	.rodata,"a",@progbits
	.p2align	6, 0x0
	.amdhsa_kernel _ZN7rocprim17ROCPRIM_400000_NS6detail17trampoline_kernelINS0_14default_configENS1_38merge_sort_block_merge_config_selectorItNS0_10empty_typeEEEZZNS1_27merge_sort_block_merge_implIS3_N6thrust23THRUST_200600_302600_NS6detail15normal_iteratorINS9_10device_ptrItEEEEPS5_jNS1_19radix_merge_compareILb0ELb0EtNS0_19identity_decomposerEEEEE10hipError_tT0_T1_T2_jT3_P12ihipStream_tbPNSt15iterator_traitsISK_E10value_typeEPNSQ_ISL_E10value_typeEPSM_NS1_7vsmem_tEENKUlT_SK_SL_SM_E_clISE_PtSF_SF_EESJ_SZ_SK_SL_SM_EUlSZ_E_NS1_11comp_targetILNS1_3genE3ELNS1_11target_archE908ELNS1_3gpuE7ELNS1_3repE0EEENS1_48merge_mergepath_partition_config_static_selectorELNS0_4arch9wavefront6targetE1EEEvSL_
		.amdhsa_group_segment_fixed_size 0
		.amdhsa_private_segment_fixed_size 0
		.amdhsa_kernarg_size 40
		.amdhsa_user_sgpr_count 6
		.amdhsa_user_sgpr_private_segment_buffer 1
		.amdhsa_user_sgpr_dispatch_ptr 0
		.amdhsa_user_sgpr_queue_ptr 0
		.amdhsa_user_sgpr_kernarg_segment_ptr 1
		.amdhsa_user_sgpr_dispatch_id 0
		.amdhsa_user_sgpr_flat_scratch_init 0
		.amdhsa_user_sgpr_kernarg_preload_length 0
		.amdhsa_user_sgpr_kernarg_preload_offset 0
		.amdhsa_user_sgpr_private_segment_size 0
		.amdhsa_uses_dynamic_stack 0
		.amdhsa_system_sgpr_private_segment_wavefront_offset 0
		.amdhsa_system_sgpr_workgroup_id_x 1
		.amdhsa_system_sgpr_workgroup_id_y 0
		.amdhsa_system_sgpr_workgroup_id_z 0
		.amdhsa_system_sgpr_workgroup_info 0
		.amdhsa_system_vgpr_workitem_id 0
		.amdhsa_next_free_vgpr 1
		.amdhsa_next_free_sgpr 0
		.amdhsa_accum_offset 4
		.amdhsa_reserve_vcc 0
		.amdhsa_reserve_flat_scratch 0
		.amdhsa_float_round_mode_32 0
		.amdhsa_float_round_mode_16_64 0
		.amdhsa_float_denorm_mode_32 3
		.amdhsa_float_denorm_mode_16_64 3
		.amdhsa_dx10_clamp 1
		.amdhsa_ieee_mode 1
		.amdhsa_fp16_overflow 0
		.amdhsa_tg_split 0
		.amdhsa_exception_fp_ieee_invalid_op 0
		.amdhsa_exception_fp_denorm_src 0
		.amdhsa_exception_fp_ieee_div_zero 0
		.amdhsa_exception_fp_ieee_overflow 0
		.amdhsa_exception_fp_ieee_underflow 0
		.amdhsa_exception_fp_ieee_inexact 0
		.amdhsa_exception_int_div_zero 0
	.end_amdhsa_kernel
	.section	.text._ZN7rocprim17ROCPRIM_400000_NS6detail17trampoline_kernelINS0_14default_configENS1_38merge_sort_block_merge_config_selectorItNS0_10empty_typeEEEZZNS1_27merge_sort_block_merge_implIS3_N6thrust23THRUST_200600_302600_NS6detail15normal_iteratorINS9_10device_ptrItEEEEPS5_jNS1_19radix_merge_compareILb0ELb0EtNS0_19identity_decomposerEEEEE10hipError_tT0_T1_T2_jT3_P12ihipStream_tbPNSt15iterator_traitsISK_E10value_typeEPNSQ_ISL_E10value_typeEPSM_NS1_7vsmem_tEENKUlT_SK_SL_SM_E_clISE_PtSF_SF_EESJ_SZ_SK_SL_SM_EUlSZ_E_NS1_11comp_targetILNS1_3genE3ELNS1_11target_archE908ELNS1_3gpuE7ELNS1_3repE0EEENS1_48merge_mergepath_partition_config_static_selectorELNS0_4arch9wavefront6targetE1EEEvSL_,"axG",@progbits,_ZN7rocprim17ROCPRIM_400000_NS6detail17trampoline_kernelINS0_14default_configENS1_38merge_sort_block_merge_config_selectorItNS0_10empty_typeEEEZZNS1_27merge_sort_block_merge_implIS3_N6thrust23THRUST_200600_302600_NS6detail15normal_iteratorINS9_10device_ptrItEEEEPS5_jNS1_19radix_merge_compareILb0ELb0EtNS0_19identity_decomposerEEEEE10hipError_tT0_T1_T2_jT3_P12ihipStream_tbPNSt15iterator_traitsISK_E10value_typeEPNSQ_ISL_E10value_typeEPSM_NS1_7vsmem_tEENKUlT_SK_SL_SM_E_clISE_PtSF_SF_EESJ_SZ_SK_SL_SM_EUlSZ_E_NS1_11comp_targetILNS1_3genE3ELNS1_11target_archE908ELNS1_3gpuE7ELNS1_3repE0EEENS1_48merge_mergepath_partition_config_static_selectorELNS0_4arch9wavefront6targetE1EEEvSL_,comdat
.Lfunc_end1234:
	.size	_ZN7rocprim17ROCPRIM_400000_NS6detail17trampoline_kernelINS0_14default_configENS1_38merge_sort_block_merge_config_selectorItNS0_10empty_typeEEEZZNS1_27merge_sort_block_merge_implIS3_N6thrust23THRUST_200600_302600_NS6detail15normal_iteratorINS9_10device_ptrItEEEEPS5_jNS1_19radix_merge_compareILb0ELb0EtNS0_19identity_decomposerEEEEE10hipError_tT0_T1_T2_jT3_P12ihipStream_tbPNSt15iterator_traitsISK_E10value_typeEPNSQ_ISL_E10value_typeEPSM_NS1_7vsmem_tEENKUlT_SK_SL_SM_E_clISE_PtSF_SF_EESJ_SZ_SK_SL_SM_EUlSZ_E_NS1_11comp_targetILNS1_3genE3ELNS1_11target_archE908ELNS1_3gpuE7ELNS1_3repE0EEENS1_48merge_mergepath_partition_config_static_selectorELNS0_4arch9wavefront6targetE1EEEvSL_, .Lfunc_end1234-_ZN7rocprim17ROCPRIM_400000_NS6detail17trampoline_kernelINS0_14default_configENS1_38merge_sort_block_merge_config_selectorItNS0_10empty_typeEEEZZNS1_27merge_sort_block_merge_implIS3_N6thrust23THRUST_200600_302600_NS6detail15normal_iteratorINS9_10device_ptrItEEEEPS5_jNS1_19radix_merge_compareILb0ELb0EtNS0_19identity_decomposerEEEEE10hipError_tT0_T1_T2_jT3_P12ihipStream_tbPNSt15iterator_traitsISK_E10value_typeEPNSQ_ISL_E10value_typeEPSM_NS1_7vsmem_tEENKUlT_SK_SL_SM_E_clISE_PtSF_SF_EESJ_SZ_SK_SL_SM_EUlSZ_E_NS1_11comp_targetILNS1_3genE3ELNS1_11target_archE908ELNS1_3gpuE7ELNS1_3repE0EEENS1_48merge_mergepath_partition_config_static_selectorELNS0_4arch9wavefront6targetE1EEEvSL_
                                        ; -- End function
	.section	.AMDGPU.csdata,"",@progbits
; Kernel info:
; codeLenInByte = 0
; NumSgprs: 4
; NumVgprs: 0
; NumAgprs: 0
; TotalNumVgprs: 0
; ScratchSize: 0
; MemoryBound: 0
; FloatMode: 240
; IeeeMode: 1
; LDSByteSize: 0 bytes/workgroup (compile time only)
; SGPRBlocks: 0
; VGPRBlocks: 0
; NumSGPRsForWavesPerEU: 4
; NumVGPRsForWavesPerEU: 1
; AccumOffset: 4
; Occupancy: 8
; WaveLimiterHint : 0
; COMPUTE_PGM_RSRC2:SCRATCH_EN: 0
; COMPUTE_PGM_RSRC2:USER_SGPR: 6
; COMPUTE_PGM_RSRC2:TRAP_HANDLER: 0
; COMPUTE_PGM_RSRC2:TGID_X_EN: 1
; COMPUTE_PGM_RSRC2:TGID_Y_EN: 0
; COMPUTE_PGM_RSRC2:TGID_Z_EN: 0
; COMPUTE_PGM_RSRC2:TIDIG_COMP_CNT: 0
; COMPUTE_PGM_RSRC3_GFX90A:ACCUM_OFFSET: 0
; COMPUTE_PGM_RSRC3_GFX90A:TG_SPLIT: 0
	.section	.text._ZN7rocprim17ROCPRIM_400000_NS6detail17trampoline_kernelINS0_14default_configENS1_38merge_sort_block_merge_config_selectorItNS0_10empty_typeEEEZZNS1_27merge_sort_block_merge_implIS3_N6thrust23THRUST_200600_302600_NS6detail15normal_iteratorINS9_10device_ptrItEEEEPS5_jNS1_19radix_merge_compareILb0ELb0EtNS0_19identity_decomposerEEEEE10hipError_tT0_T1_T2_jT3_P12ihipStream_tbPNSt15iterator_traitsISK_E10value_typeEPNSQ_ISL_E10value_typeEPSM_NS1_7vsmem_tEENKUlT_SK_SL_SM_E_clISE_PtSF_SF_EESJ_SZ_SK_SL_SM_EUlSZ_E_NS1_11comp_targetILNS1_3genE2ELNS1_11target_archE906ELNS1_3gpuE6ELNS1_3repE0EEENS1_48merge_mergepath_partition_config_static_selectorELNS0_4arch9wavefront6targetE1EEEvSL_,"axG",@progbits,_ZN7rocprim17ROCPRIM_400000_NS6detail17trampoline_kernelINS0_14default_configENS1_38merge_sort_block_merge_config_selectorItNS0_10empty_typeEEEZZNS1_27merge_sort_block_merge_implIS3_N6thrust23THRUST_200600_302600_NS6detail15normal_iteratorINS9_10device_ptrItEEEEPS5_jNS1_19radix_merge_compareILb0ELb0EtNS0_19identity_decomposerEEEEE10hipError_tT0_T1_T2_jT3_P12ihipStream_tbPNSt15iterator_traitsISK_E10value_typeEPNSQ_ISL_E10value_typeEPSM_NS1_7vsmem_tEENKUlT_SK_SL_SM_E_clISE_PtSF_SF_EESJ_SZ_SK_SL_SM_EUlSZ_E_NS1_11comp_targetILNS1_3genE2ELNS1_11target_archE906ELNS1_3gpuE6ELNS1_3repE0EEENS1_48merge_mergepath_partition_config_static_selectorELNS0_4arch9wavefront6targetE1EEEvSL_,comdat
	.protected	_ZN7rocprim17ROCPRIM_400000_NS6detail17trampoline_kernelINS0_14default_configENS1_38merge_sort_block_merge_config_selectorItNS0_10empty_typeEEEZZNS1_27merge_sort_block_merge_implIS3_N6thrust23THRUST_200600_302600_NS6detail15normal_iteratorINS9_10device_ptrItEEEEPS5_jNS1_19radix_merge_compareILb0ELb0EtNS0_19identity_decomposerEEEEE10hipError_tT0_T1_T2_jT3_P12ihipStream_tbPNSt15iterator_traitsISK_E10value_typeEPNSQ_ISL_E10value_typeEPSM_NS1_7vsmem_tEENKUlT_SK_SL_SM_E_clISE_PtSF_SF_EESJ_SZ_SK_SL_SM_EUlSZ_E_NS1_11comp_targetILNS1_3genE2ELNS1_11target_archE906ELNS1_3gpuE6ELNS1_3repE0EEENS1_48merge_mergepath_partition_config_static_selectorELNS0_4arch9wavefront6targetE1EEEvSL_ ; -- Begin function _ZN7rocprim17ROCPRIM_400000_NS6detail17trampoline_kernelINS0_14default_configENS1_38merge_sort_block_merge_config_selectorItNS0_10empty_typeEEEZZNS1_27merge_sort_block_merge_implIS3_N6thrust23THRUST_200600_302600_NS6detail15normal_iteratorINS9_10device_ptrItEEEEPS5_jNS1_19radix_merge_compareILb0ELb0EtNS0_19identity_decomposerEEEEE10hipError_tT0_T1_T2_jT3_P12ihipStream_tbPNSt15iterator_traitsISK_E10value_typeEPNSQ_ISL_E10value_typeEPSM_NS1_7vsmem_tEENKUlT_SK_SL_SM_E_clISE_PtSF_SF_EESJ_SZ_SK_SL_SM_EUlSZ_E_NS1_11comp_targetILNS1_3genE2ELNS1_11target_archE906ELNS1_3gpuE6ELNS1_3repE0EEENS1_48merge_mergepath_partition_config_static_selectorELNS0_4arch9wavefront6targetE1EEEvSL_
	.globl	_ZN7rocprim17ROCPRIM_400000_NS6detail17trampoline_kernelINS0_14default_configENS1_38merge_sort_block_merge_config_selectorItNS0_10empty_typeEEEZZNS1_27merge_sort_block_merge_implIS3_N6thrust23THRUST_200600_302600_NS6detail15normal_iteratorINS9_10device_ptrItEEEEPS5_jNS1_19radix_merge_compareILb0ELb0EtNS0_19identity_decomposerEEEEE10hipError_tT0_T1_T2_jT3_P12ihipStream_tbPNSt15iterator_traitsISK_E10value_typeEPNSQ_ISL_E10value_typeEPSM_NS1_7vsmem_tEENKUlT_SK_SL_SM_E_clISE_PtSF_SF_EESJ_SZ_SK_SL_SM_EUlSZ_E_NS1_11comp_targetILNS1_3genE2ELNS1_11target_archE906ELNS1_3gpuE6ELNS1_3repE0EEENS1_48merge_mergepath_partition_config_static_selectorELNS0_4arch9wavefront6targetE1EEEvSL_
	.p2align	8
	.type	_ZN7rocprim17ROCPRIM_400000_NS6detail17trampoline_kernelINS0_14default_configENS1_38merge_sort_block_merge_config_selectorItNS0_10empty_typeEEEZZNS1_27merge_sort_block_merge_implIS3_N6thrust23THRUST_200600_302600_NS6detail15normal_iteratorINS9_10device_ptrItEEEEPS5_jNS1_19radix_merge_compareILb0ELb0EtNS0_19identity_decomposerEEEEE10hipError_tT0_T1_T2_jT3_P12ihipStream_tbPNSt15iterator_traitsISK_E10value_typeEPNSQ_ISL_E10value_typeEPSM_NS1_7vsmem_tEENKUlT_SK_SL_SM_E_clISE_PtSF_SF_EESJ_SZ_SK_SL_SM_EUlSZ_E_NS1_11comp_targetILNS1_3genE2ELNS1_11target_archE906ELNS1_3gpuE6ELNS1_3repE0EEENS1_48merge_mergepath_partition_config_static_selectorELNS0_4arch9wavefront6targetE1EEEvSL_,@function
_ZN7rocprim17ROCPRIM_400000_NS6detail17trampoline_kernelINS0_14default_configENS1_38merge_sort_block_merge_config_selectorItNS0_10empty_typeEEEZZNS1_27merge_sort_block_merge_implIS3_N6thrust23THRUST_200600_302600_NS6detail15normal_iteratorINS9_10device_ptrItEEEEPS5_jNS1_19radix_merge_compareILb0ELb0EtNS0_19identity_decomposerEEEEE10hipError_tT0_T1_T2_jT3_P12ihipStream_tbPNSt15iterator_traitsISK_E10value_typeEPNSQ_ISL_E10value_typeEPSM_NS1_7vsmem_tEENKUlT_SK_SL_SM_E_clISE_PtSF_SF_EESJ_SZ_SK_SL_SM_EUlSZ_E_NS1_11comp_targetILNS1_3genE2ELNS1_11target_archE906ELNS1_3gpuE6ELNS1_3repE0EEENS1_48merge_mergepath_partition_config_static_selectorELNS0_4arch9wavefront6targetE1EEEvSL_: ; @_ZN7rocprim17ROCPRIM_400000_NS6detail17trampoline_kernelINS0_14default_configENS1_38merge_sort_block_merge_config_selectorItNS0_10empty_typeEEEZZNS1_27merge_sort_block_merge_implIS3_N6thrust23THRUST_200600_302600_NS6detail15normal_iteratorINS9_10device_ptrItEEEEPS5_jNS1_19radix_merge_compareILb0ELb0EtNS0_19identity_decomposerEEEEE10hipError_tT0_T1_T2_jT3_P12ihipStream_tbPNSt15iterator_traitsISK_E10value_typeEPNSQ_ISL_E10value_typeEPSM_NS1_7vsmem_tEENKUlT_SK_SL_SM_E_clISE_PtSF_SF_EESJ_SZ_SK_SL_SM_EUlSZ_E_NS1_11comp_targetILNS1_3genE2ELNS1_11target_archE906ELNS1_3gpuE6ELNS1_3repE0EEENS1_48merge_mergepath_partition_config_static_selectorELNS0_4arch9wavefront6targetE1EEEvSL_
; %bb.0:
	.section	.rodata,"a",@progbits
	.p2align	6, 0x0
	.amdhsa_kernel _ZN7rocprim17ROCPRIM_400000_NS6detail17trampoline_kernelINS0_14default_configENS1_38merge_sort_block_merge_config_selectorItNS0_10empty_typeEEEZZNS1_27merge_sort_block_merge_implIS3_N6thrust23THRUST_200600_302600_NS6detail15normal_iteratorINS9_10device_ptrItEEEEPS5_jNS1_19radix_merge_compareILb0ELb0EtNS0_19identity_decomposerEEEEE10hipError_tT0_T1_T2_jT3_P12ihipStream_tbPNSt15iterator_traitsISK_E10value_typeEPNSQ_ISL_E10value_typeEPSM_NS1_7vsmem_tEENKUlT_SK_SL_SM_E_clISE_PtSF_SF_EESJ_SZ_SK_SL_SM_EUlSZ_E_NS1_11comp_targetILNS1_3genE2ELNS1_11target_archE906ELNS1_3gpuE6ELNS1_3repE0EEENS1_48merge_mergepath_partition_config_static_selectorELNS0_4arch9wavefront6targetE1EEEvSL_
		.amdhsa_group_segment_fixed_size 0
		.amdhsa_private_segment_fixed_size 0
		.amdhsa_kernarg_size 40
		.amdhsa_user_sgpr_count 6
		.amdhsa_user_sgpr_private_segment_buffer 1
		.amdhsa_user_sgpr_dispatch_ptr 0
		.amdhsa_user_sgpr_queue_ptr 0
		.amdhsa_user_sgpr_kernarg_segment_ptr 1
		.amdhsa_user_sgpr_dispatch_id 0
		.amdhsa_user_sgpr_flat_scratch_init 0
		.amdhsa_user_sgpr_kernarg_preload_length 0
		.amdhsa_user_sgpr_kernarg_preload_offset 0
		.amdhsa_user_sgpr_private_segment_size 0
		.amdhsa_uses_dynamic_stack 0
		.amdhsa_system_sgpr_private_segment_wavefront_offset 0
		.amdhsa_system_sgpr_workgroup_id_x 1
		.amdhsa_system_sgpr_workgroup_id_y 0
		.amdhsa_system_sgpr_workgroup_id_z 0
		.amdhsa_system_sgpr_workgroup_info 0
		.amdhsa_system_vgpr_workitem_id 0
		.amdhsa_next_free_vgpr 1
		.amdhsa_next_free_sgpr 0
		.amdhsa_accum_offset 4
		.amdhsa_reserve_vcc 0
		.amdhsa_reserve_flat_scratch 0
		.amdhsa_float_round_mode_32 0
		.amdhsa_float_round_mode_16_64 0
		.amdhsa_float_denorm_mode_32 3
		.amdhsa_float_denorm_mode_16_64 3
		.amdhsa_dx10_clamp 1
		.amdhsa_ieee_mode 1
		.amdhsa_fp16_overflow 0
		.amdhsa_tg_split 0
		.amdhsa_exception_fp_ieee_invalid_op 0
		.amdhsa_exception_fp_denorm_src 0
		.amdhsa_exception_fp_ieee_div_zero 0
		.amdhsa_exception_fp_ieee_overflow 0
		.amdhsa_exception_fp_ieee_underflow 0
		.amdhsa_exception_fp_ieee_inexact 0
		.amdhsa_exception_int_div_zero 0
	.end_amdhsa_kernel
	.section	.text._ZN7rocprim17ROCPRIM_400000_NS6detail17trampoline_kernelINS0_14default_configENS1_38merge_sort_block_merge_config_selectorItNS0_10empty_typeEEEZZNS1_27merge_sort_block_merge_implIS3_N6thrust23THRUST_200600_302600_NS6detail15normal_iteratorINS9_10device_ptrItEEEEPS5_jNS1_19radix_merge_compareILb0ELb0EtNS0_19identity_decomposerEEEEE10hipError_tT0_T1_T2_jT3_P12ihipStream_tbPNSt15iterator_traitsISK_E10value_typeEPNSQ_ISL_E10value_typeEPSM_NS1_7vsmem_tEENKUlT_SK_SL_SM_E_clISE_PtSF_SF_EESJ_SZ_SK_SL_SM_EUlSZ_E_NS1_11comp_targetILNS1_3genE2ELNS1_11target_archE906ELNS1_3gpuE6ELNS1_3repE0EEENS1_48merge_mergepath_partition_config_static_selectorELNS0_4arch9wavefront6targetE1EEEvSL_,"axG",@progbits,_ZN7rocprim17ROCPRIM_400000_NS6detail17trampoline_kernelINS0_14default_configENS1_38merge_sort_block_merge_config_selectorItNS0_10empty_typeEEEZZNS1_27merge_sort_block_merge_implIS3_N6thrust23THRUST_200600_302600_NS6detail15normal_iteratorINS9_10device_ptrItEEEEPS5_jNS1_19radix_merge_compareILb0ELb0EtNS0_19identity_decomposerEEEEE10hipError_tT0_T1_T2_jT3_P12ihipStream_tbPNSt15iterator_traitsISK_E10value_typeEPNSQ_ISL_E10value_typeEPSM_NS1_7vsmem_tEENKUlT_SK_SL_SM_E_clISE_PtSF_SF_EESJ_SZ_SK_SL_SM_EUlSZ_E_NS1_11comp_targetILNS1_3genE2ELNS1_11target_archE906ELNS1_3gpuE6ELNS1_3repE0EEENS1_48merge_mergepath_partition_config_static_selectorELNS0_4arch9wavefront6targetE1EEEvSL_,comdat
.Lfunc_end1235:
	.size	_ZN7rocprim17ROCPRIM_400000_NS6detail17trampoline_kernelINS0_14default_configENS1_38merge_sort_block_merge_config_selectorItNS0_10empty_typeEEEZZNS1_27merge_sort_block_merge_implIS3_N6thrust23THRUST_200600_302600_NS6detail15normal_iteratorINS9_10device_ptrItEEEEPS5_jNS1_19radix_merge_compareILb0ELb0EtNS0_19identity_decomposerEEEEE10hipError_tT0_T1_T2_jT3_P12ihipStream_tbPNSt15iterator_traitsISK_E10value_typeEPNSQ_ISL_E10value_typeEPSM_NS1_7vsmem_tEENKUlT_SK_SL_SM_E_clISE_PtSF_SF_EESJ_SZ_SK_SL_SM_EUlSZ_E_NS1_11comp_targetILNS1_3genE2ELNS1_11target_archE906ELNS1_3gpuE6ELNS1_3repE0EEENS1_48merge_mergepath_partition_config_static_selectorELNS0_4arch9wavefront6targetE1EEEvSL_, .Lfunc_end1235-_ZN7rocprim17ROCPRIM_400000_NS6detail17trampoline_kernelINS0_14default_configENS1_38merge_sort_block_merge_config_selectorItNS0_10empty_typeEEEZZNS1_27merge_sort_block_merge_implIS3_N6thrust23THRUST_200600_302600_NS6detail15normal_iteratorINS9_10device_ptrItEEEEPS5_jNS1_19radix_merge_compareILb0ELb0EtNS0_19identity_decomposerEEEEE10hipError_tT0_T1_T2_jT3_P12ihipStream_tbPNSt15iterator_traitsISK_E10value_typeEPNSQ_ISL_E10value_typeEPSM_NS1_7vsmem_tEENKUlT_SK_SL_SM_E_clISE_PtSF_SF_EESJ_SZ_SK_SL_SM_EUlSZ_E_NS1_11comp_targetILNS1_3genE2ELNS1_11target_archE906ELNS1_3gpuE6ELNS1_3repE0EEENS1_48merge_mergepath_partition_config_static_selectorELNS0_4arch9wavefront6targetE1EEEvSL_
                                        ; -- End function
	.section	.AMDGPU.csdata,"",@progbits
; Kernel info:
; codeLenInByte = 0
; NumSgprs: 4
; NumVgprs: 0
; NumAgprs: 0
; TotalNumVgprs: 0
; ScratchSize: 0
; MemoryBound: 0
; FloatMode: 240
; IeeeMode: 1
; LDSByteSize: 0 bytes/workgroup (compile time only)
; SGPRBlocks: 0
; VGPRBlocks: 0
; NumSGPRsForWavesPerEU: 4
; NumVGPRsForWavesPerEU: 1
; AccumOffset: 4
; Occupancy: 8
; WaveLimiterHint : 0
; COMPUTE_PGM_RSRC2:SCRATCH_EN: 0
; COMPUTE_PGM_RSRC2:USER_SGPR: 6
; COMPUTE_PGM_RSRC2:TRAP_HANDLER: 0
; COMPUTE_PGM_RSRC2:TGID_X_EN: 1
; COMPUTE_PGM_RSRC2:TGID_Y_EN: 0
; COMPUTE_PGM_RSRC2:TGID_Z_EN: 0
; COMPUTE_PGM_RSRC2:TIDIG_COMP_CNT: 0
; COMPUTE_PGM_RSRC3_GFX90A:ACCUM_OFFSET: 0
; COMPUTE_PGM_RSRC3_GFX90A:TG_SPLIT: 0
	.section	.text._ZN7rocprim17ROCPRIM_400000_NS6detail17trampoline_kernelINS0_14default_configENS1_38merge_sort_block_merge_config_selectorItNS0_10empty_typeEEEZZNS1_27merge_sort_block_merge_implIS3_N6thrust23THRUST_200600_302600_NS6detail15normal_iteratorINS9_10device_ptrItEEEEPS5_jNS1_19radix_merge_compareILb0ELb0EtNS0_19identity_decomposerEEEEE10hipError_tT0_T1_T2_jT3_P12ihipStream_tbPNSt15iterator_traitsISK_E10value_typeEPNSQ_ISL_E10value_typeEPSM_NS1_7vsmem_tEENKUlT_SK_SL_SM_E_clISE_PtSF_SF_EESJ_SZ_SK_SL_SM_EUlSZ_E_NS1_11comp_targetILNS1_3genE9ELNS1_11target_archE1100ELNS1_3gpuE3ELNS1_3repE0EEENS1_48merge_mergepath_partition_config_static_selectorELNS0_4arch9wavefront6targetE1EEEvSL_,"axG",@progbits,_ZN7rocprim17ROCPRIM_400000_NS6detail17trampoline_kernelINS0_14default_configENS1_38merge_sort_block_merge_config_selectorItNS0_10empty_typeEEEZZNS1_27merge_sort_block_merge_implIS3_N6thrust23THRUST_200600_302600_NS6detail15normal_iteratorINS9_10device_ptrItEEEEPS5_jNS1_19radix_merge_compareILb0ELb0EtNS0_19identity_decomposerEEEEE10hipError_tT0_T1_T2_jT3_P12ihipStream_tbPNSt15iterator_traitsISK_E10value_typeEPNSQ_ISL_E10value_typeEPSM_NS1_7vsmem_tEENKUlT_SK_SL_SM_E_clISE_PtSF_SF_EESJ_SZ_SK_SL_SM_EUlSZ_E_NS1_11comp_targetILNS1_3genE9ELNS1_11target_archE1100ELNS1_3gpuE3ELNS1_3repE0EEENS1_48merge_mergepath_partition_config_static_selectorELNS0_4arch9wavefront6targetE1EEEvSL_,comdat
	.protected	_ZN7rocprim17ROCPRIM_400000_NS6detail17trampoline_kernelINS0_14default_configENS1_38merge_sort_block_merge_config_selectorItNS0_10empty_typeEEEZZNS1_27merge_sort_block_merge_implIS3_N6thrust23THRUST_200600_302600_NS6detail15normal_iteratorINS9_10device_ptrItEEEEPS5_jNS1_19radix_merge_compareILb0ELb0EtNS0_19identity_decomposerEEEEE10hipError_tT0_T1_T2_jT3_P12ihipStream_tbPNSt15iterator_traitsISK_E10value_typeEPNSQ_ISL_E10value_typeEPSM_NS1_7vsmem_tEENKUlT_SK_SL_SM_E_clISE_PtSF_SF_EESJ_SZ_SK_SL_SM_EUlSZ_E_NS1_11comp_targetILNS1_3genE9ELNS1_11target_archE1100ELNS1_3gpuE3ELNS1_3repE0EEENS1_48merge_mergepath_partition_config_static_selectorELNS0_4arch9wavefront6targetE1EEEvSL_ ; -- Begin function _ZN7rocprim17ROCPRIM_400000_NS6detail17trampoline_kernelINS0_14default_configENS1_38merge_sort_block_merge_config_selectorItNS0_10empty_typeEEEZZNS1_27merge_sort_block_merge_implIS3_N6thrust23THRUST_200600_302600_NS6detail15normal_iteratorINS9_10device_ptrItEEEEPS5_jNS1_19radix_merge_compareILb0ELb0EtNS0_19identity_decomposerEEEEE10hipError_tT0_T1_T2_jT3_P12ihipStream_tbPNSt15iterator_traitsISK_E10value_typeEPNSQ_ISL_E10value_typeEPSM_NS1_7vsmem_tEENKUlT_SK_SL_SM_E_clISE_PtSF_SF_EESJ_SZ_SK_SL_SM_EUlSZ_E_NS1_11comp_targetILNS1_3genE9ELNS1_11target_archE1100ELNS1_3gpuE3ELNS1_3repE0EEENS1_48merge_mergepath_partition_config_static_selectorELNS0_4arch9wavefront6targetE1EEEvSL_
	.globl	_ZN7rocprim17ROCPRIM_400000_NS6detail17trampoline_kernelINS0_14default_configENS1_38merge_sort_block_merge_config_selectorItNS0_10empty_typeEEEZZNS1_27merge_sort_block_merge_implIS3_N6thrust23THRUST_200600_302600_NS6detail15normal_iteratorINS9_10device_ptrItEEEEPS5_jNS1_19radix_merge_compareILb0ELb0EtNS0_19identity_decomposerEEEEE10hipError_tT0_T1_T2_jT3_P12ihipStream_tbPNSt15iterator_traitsISK_E10value_typeEPNSQ_ISL_E10value_typeEPSM_NS1_7vsmem_tEENKUlT_SK_SL_SM_E_clISE_PtSF_SF_EESJ_SZ_SK_SL_SM_EUlSZ_E_NS1_11comp_targetILNS1_3genE9ELNS1_11target_archE1100ELNS1_3gpuE3ELNS1_3repE0EEENS1_48merge_mergepath_partition_config_static_selectorELNS0_4arch9wavefront6targetE1EEEvSL_
	.p2align	8
	.type	_ZN7rocprim17ROCPRIM_400000_NS6detail17trampoline_kernelINS0_14default_configENS1_38merge_sort_block_merge_config_selectorItNS0_10empty_typeEEEZZNS1_27merge_sort_block_merge_implIS3_N6thrust23THRUST_200600_302600_NS6detail15normal_iteratorINS9_10device_ptrItEEEEPS5_jNS1_19radix_merge_compareILb0ELb0EtNS0_19identity_decomposerEEEEE10hipError_tT0_T1_T2_jT3_P12ihipStream_tbPNSt15iterator_traitsISK_E10value_typeEPNSQ_ISL_E10value_typeEPSM_NS1_7vsmem_tEENKUlT_SK_SL_SM_E_clISE_PtSF_SF_EESJ_SZ_SK_SL_SM_EUlSZ_E_NS1_11comp_targetILNS1_3genE9ELNS1_11target_archE1100ELNS1_3gpuE3ELNS1_3repE0EEENS1_48merge_mergepath_partition_config_static_selectorELNS0_4arch9wavefront6targetE1EEEvSL_,@function
_ZN7rocprim17ROCPRIM_400000_NS6detail17trampoline_kernelINS0_14default_configENS1_38merge_sort_block_merge_config_selectorItNS0_10empty_typeEEEZZNS1_27merge_sort_block_merge_implIS3_N6thrust23THRUST_200600_302600_NS6detail15normal_iteratorINS9_10device_ptrItEEEEPS5_jNS1_19radix_merge_compareILb0ELb0EtNS0_19identity_decomposerEEEEE10hipError_tT0_T1_T2_jT3_P12ihipStream_tbPNSt15iterator_traitsISK_E10value_typeEPNSQ_ISL_E10value_typeEPSM_NS1_7vsmem_tEENKUlT_SK_SL_SM_E_clISE_PtSF_SF_EESJ_SZ_SK_SL_SM_EUlSZ_E_NS1_11comp_targetILNS1_3genE9ELNS1_11target_archE1100ELNS1_3gpuE3ELNS1_3repE0EEENS1_48merge_mergepath_partition_config_static_selectorELNS0_4arch9wavefront6targetE1EEEvSL_: ; @_ZN7rocprim17ROCPRIM_400000_NS6detail17trampoline_kernelINS0_14default_configENS1_38merge_sort_block_merge_config_selectorItNS0_10empty_typeEEEZZNS1_27merge_sort_block_merge_implIS3_N6thrust23THRUST_200600_302600_NS6detail15normal_iteratorINS9_10device_ptrItEEEEPS5_jNS1_19radix_merge_compareILb0ELb0EtNS0_19identity_decomposerEEEEE10hipError_tT0_T1_T2_jT3_P12ihipStream_tbPNSt15iterator_traitsISK_E10value_typeEPNSQ_ISL_E10value_typeEPSM_NS1_7vsmem_tEENKUlT_SK_SL_SM_E_clISE_PtSF_SF_EESJ_SZ_SK_SL_SM_EUlSZ_E_NS1_11comp_targetILNS1_3genE9ELNS1_11target_archE1100ELNS1_3gpuE3ELNS1_3repE0EEENS1_48merge_mergepath_partition_config_static_selectorELNS0_4arch9wavefront6targetE1EEEvSL_
; %bb.0:
	.section	.rodata,"a",@progbits
	.p2align	6, 0x0
	.amdhsa_kernel _ZN7rocprim17ROCPRIM_400000_NS6detail17trampoline_kernelINS0_14default_configENS1_38merge_sort_block_merge_config_selectorItNS0_10empty_typeEEEZZNS1_27merge_sort_block_merge_implIS3_N6thrust23THRUST_200600_302600_NS6detail15normal_iteratorINS9_10device_ptrItEEEEPS5_jNS1_19radix_merge_compareILb0ELb0EtNS0_19identity_decomposerEEEEE10hipError_tT0_T1_T2_jT3_P12ihipStream_tbPNSt15iterator_traitsISK_E10value_typeEPNSQ_ISL_E10value_typeEPSM_NS1_7vsmem_tEENKUlT_SK_SL_SM_E_clISE_PtSF_SF_EESJ_SZ_SK_SL_SM_EUlSZ_E_NS1_11comp_targetILNS1_3genE9ELNS1_11target_archE1100ELNS1_3gpuE3ELNS1_3repE0EEENS1_48merge_mergepath_partition_config_static_selectorELNS0_4arch9wavefront6targetE1EEEvSL_
		.amdhsa_group_segment_fixed_size 0
		.amdhsa_private_segment_fixed_size 0
		.amdhsa_kernarg_size 40
		.amdhsa_user_sgpr_count 6
		.amdhsa_user_sgpr_private_segment_buffer 1
		.amdhsa_user_sgpr_dispatch_ptr 0
		.amdhsa_user_sgpr_queue_ptr 0
		.amdhsa_user_sgpr_kernarg_segment_ptr 1
		.amdhsa_user_sgpr_dispatch_id 0
		.amdhsa_user_sgpr_flat_scratch_init 0
		.amdhsa_user_sgpr_kernarg_preload_length 0
		.amdhsa_user_sgpr_kernarg_preload_offset 0
		.amdhsa_user_sgpr_private_segment_size 0
		.amdhsa_uses_dynamic_stack 0
		.amdhsa_system_sgpr_private_segment_wavefront_offset 0
		.amdhsa_system_sgpr_workgroup_id_x 1
		.amdhsa_system_sgpr_workgroup_id_y 0
		.amdhsa_system_sgpr_workgroup_id_z 0
		.amdhsa_system_sgpr_workgroup_info 0
		.amdhsa_system_vgpr_workitem_id 0
		.amdhsa_next_free_vgpr 1
		.amdhsa_next_free_sgpr 0
		.amdhsa_accum_offset 4
		.amdhsa_reserve_vcc 0
		.amdhsa_reserve_flat_scratch 0
		.amdhsa_float_round_mode_32 0
		.amdhsa_float_round_mode_16_64 0
		.amdhsa_float_denorm_mode_32 3
		.amdhsa_float_denorm_mode_16_64 3
		.amdhsa_dx10_clamp 1
		.amdhsa_ieee_mode 1
		.amdhsa_fp16_overflow 0
		.amdhsa_tg_split 0
		.amdhsa_exception_fp_ieee_invalid_op 0
		.amdhsa_exception_fp_denorm_src 0
		.amdhsa_exception_fp_ieee_div_zero 0
		.amdhsa_exception_fp_ieee_overflow 0
		.amdhsa_exception_fp_ieee_underflow 0
		.amdhsa_exception_fp_ieee_inexact 0
		.amdhsa_exception_int_div_zero 0
	.end_amdhsa_kernel
	.section	.text._ZN7rocprim17ROCPRIM_400000_NS6detail17trampoline_kernelINS0_14default_configENS1_38merge_sort_block_merge_config_selectorItNS0_10empty_typeEEEZZNS1_27merge_sort_block_merge_implIS3_N6thrust23THRUST_200600_302600_NS6detail15normal_iteratorINS9_10device_ptrItEEEEPS5_jNS1_19radix_merge_compareILb0ELb0EtNS0_19identity_decomposerEEEEE10hipError_tT0_T1_T2_jT3_P12ihipStream_tbPNSt15iterator_traitsISK_E10value_typeEPNSQ_ISL_E10value_typeEPSM_NS1_7vsmem_tEENKUlT_SK_SL_SM_E_clISE_PtSF_SF_EESJ_SZ_SK_SL_SM_EUlSZ_E_NS1_11comp_targetILNS1_3genE9ELNS1_11target_archE1100ELNS1_3gpuE3ELNS1_3repE0EEENS1_48merge_mergepath_partition_config_static_selectorELNS0_4arch9wavefront6targetE1EEEvSL_,"axG",@progbits,_ZN7rocprim17ROCPRIM_400000_NS6detail17trampoline_kernelINS0_14default_configENS1_38merge_sort_block_merge_config_selectorItNS0_10empty_typeEEEZZNS1_27merge_sort_block_merge_implIS3_N6thrust23THRUST_200600_302600_NS6detail15normal_iteratorINS9_10device_ptrItEEEEPS5_jNS1_19radix_merge_compareILb0ELb0EtNS0_19identity_decomposerEEEEE10hipError_tT0_T1_T2_jT3_P12ihipStream_tbPNSt15iterator_traitsISK_E10value_typeEPNSQ_ISL_E10value_typeEPSM_NS1_7vsmem_tEENKUlT_SK_SL_SM_E_clISE_PtSF_SF_EESJ_SZ_SK_SL_SM_EUlSZ_E_NS1_11comp_targetILNS1_3genE9ELNS1_11target_archE1100ELNS1_3gpuE3ELNS1_3repE0EEENS1_48merge_mergepath_partition_config_static_selectorELNS0_4arch9wavefront6targetE1EEEvSL_,comdat
.Lfunc_end1236:
	.size	_ZN7rocprim17ROCPRIM_400000_NS6detail17trampoline_kernelINS0_14default_configENS1_38merge_sort_block_merge_config_selectorItNS0_10empty_typeEEEZZNS1_27merge_sort_block_merge_implIS3_N6thrust23THRUST_200600_302600_NS6detail15normal_iteratorINS9_10device_ptrItEEEEPS5_jNS1_19radix_merge_compareILb0ELb0EtNS0_19identity_decomposerEEEEE10hipError_tT0_T1_T2_jT3_P12ihipStream_tbPNSt15iterator_traitsISK_E10value_typeEPNSQ_ISL_E10value_typeEPSM_NS1_7vsmem_tEENKUlT_SK_SL_SM_E_clISE_PtSF_SF_EESJ_SZ_SK_SL_SM_EUlSZ_E_NS1_11comp_targetILNS1_3genE9ELNS1_11target_archE1100ELNS1_3gpuE3ELNS1_3repE0EEENS1_48merge_mergepath_partition_config_static_selectorELNS0_4arch9wavefront6targetE1EEEvSL_, .Lfunc_end1236-_ZN7rocprim17ROCPRIM_400000_NS6detail17trampoline_kernelINS0_14default_configENS1_38merge_sort_block_merge_config_selectorItNS0_10empty_typeEEEZZNS1_27merge_sort_block_merge_implIS3_N6thrust23THRUST_200600_302600_NS6detail15normal_iteratorINS9_10device_ptrItEEEEPS5_jNS1_19radix_merge_compareILb0ELb0EtNS0_19identity_decomposerEEEEE10hipError_tT0_T1_T2_jT3_P12ihipStream_tbPNSt15iterator_traitsISK_E10value_typeEPNSQ_ISL_E10value_typeEPSM_NS1_7vsmem_tEENKUlT_SK_SL_SM_E_clISE_PtSF_SF_EESJ_SZ_SK_SL_SM_EUlSZ_E_NS1_11comp_targetILNS1_3genE9ELNS1_11target_archE1100ELNS1_3gpuE3ELNS1_3repE0EEENS1_48merge_mergepath_partition_config_static_selectorELNS0_4arch9wavefront6targetE1EEEvSL_
                                        ; -- End function
	.section	.AMDGPU.csdata,"",@progbits
; Kernel info:
; codeLenInByte = 0
; NumSgprs: 4
; NumVgprs: 0
; NumAgprs: 0
; TotalNumVgprs: 0
; ScratchSize: 0
; MemoryBound: 0
; FloatMode: 240
; IeeeMode: 1
; LDSByteSize: 0 bytes/workgroup (compile time only)
; SGPRBlocks: 0
; VGPRBlocks: 0
; NumSGPRsForWavesPerEU: 4
; NumVGPRsForWavesPerEU: 1
; AccumOffset: 4
; Occupancy: 8
; WaveLimiterHint : 0
; COMPUTE_PGM_RSRC2:SCRATCH_EN: 0
; COMPUTE_PGM_RSRC2:USER_SGPR: 6
; COMPUTE_PGM_RSRC2:TRAP_HANDLER: 0
; COMPUTE_PGM_RSRC2:TGID_X_EN: 1
; COMPUTE_PGM_RSRC2:TGID_Y_EN: 0
; COMPUTE_PGM_RSRC2:TGID_Z_EN: 0
; COMPUTE_PGM_RSRC2:TIDIG_COMP_CNT: 0
; COMPUTE_PGM_RSRC3_GFX90A:ACCUM_OFFSET: 0
; COMPUTE_PGM_RSRC3_GFX90A:TG_SPLIT: 0
	.section	.text._ZN7rocprim17ROCPRIM_400000_NS6detail17trampoline_kernelINS0_14default_configENS1_38merge_sort_block_merge_config_selectorItNS0_10empty_typeEEEZZNS1_27merge_sort_block_merge_implIS3_N6thrust23THRUST_200600_302600_NS6detail15normal_iteratorINS9_10device_ptrItEEEEPS5_jNS1_19radix_merge_compareILb0ELb0EtNS0_19identity_decomposerEEEEE10hipError_tT0_T1_T2_jT3_P12ihipStream_tbPNSt15iterator_traitsISK_E10value_typeEPNSQ_ISL_E10value_typeEPSM_NS1_7vsmem_tEENKUlT_SK_SL_SM_E_clISE_PtSF_SF_EESJ_SZ_SK_SL_SM_EUlSZ_E_NS1_11comp_targetILNS1_3genE8ELNS1_11target_archE1030ELNS1_3gpuE2ELNS1_3repE0EEENS1_48merge_mergepath_partition_config_static_selectorELNS0_4arch9wavefront6targetE1EEEvSL_,"axG",@progbits,_ZN7rocprim17ROCPRIM_400000_NS6detail17trampoline_kernelINS0_14default_configENS1_38merge_sort_block_merge_config_selectorItNS0_10empty_typeEEEZZNS1_27merge_sort_block_merge_implIS3_N6thrust23THRUST_200600_302600_NS6detail15normal_iteratorINS9_10device_ptrItEEEEPS5_jNS1_19radix_merge_compareILb0ELb0EtNS0_19identity_decomposerEEEEE10hipError_tT0_T1_T2_jT3_P12ihipStream_tbPNSt15iterator_traitsISK_E10value_typeEPNSQ_ISL_E10value_typeEPSM_NS1_7vsmem_tEENKUlT_SK_SL_SM_E_clISE_PtSF_SF_EESJ_SZ_SK_SL_SM_EUlSZ_E_NS1_11comp_targetILNS1_3genE8ELNS1_11target_archE1030ELNS1_3gpuE2ELNS1_3repE0EEENS1_48merge_mergepath_partition_config_static_selectorELNS0_4arch9wavefront6targetE1EEEvSL_,comdat
	.protected	_ZN7rocprim17ROCPRIM_400000_NS6detail17trampoline_kernelINS0_14default_configENS1_38merge_sort_block_merge_config_selectorItNS0_10empty_typeEEEZZNS1_27merge_sort_block_merge_implIS3_N6thrust23THRUST_200600_302600_NS6detail15normal_iteratorINS9_10device_ptrItEEEEPS5_jNS1_19radix_merge_compareILb0ELb0EtNS0_19identity_decomposerEEEEE10hipError_tT0_T1_T2_jT3_P12ihipStream_tbPNSt15iterator_traitsISK_E10value_typeEPNSQ_ISL_E10value_typeEPSM_NS1_7vsmem_tEENKUlT_SK_SL_SM_E_clISE_PtSF_SF_EESJ_SZ_SK_SL_SM_EUlSZ_E_NS1_11comp_targetILNS1_3genE8ELNS1_11target_archE1030ELNS1_3gpuE2ELNS1_3repE0EEENS1_48merge_mergepath_partition_config_static_selectorELNS0_4arch9wavefront6targetE1EEEvSL_ ; -- Begin function _ZN7rocprim17ROCPRIM_400000_NS6detail17trampoline_kernelINS0_14default_configENS1_38merge_sort_block_merge_config_selectorItNS0_10empty_typeEEEZZNS1_27merge_sort_block_merge_implIS3_N6thrust23THRUST_200600_302600_NS6detail15normal_iteratorINS9_10device_ptrItEEEEPS5_jNS1_19radix_merge_compareILb0ELb0EtNS0_19identity_decomposerEEEEE10hipError_tT0_T1_T2_jT3_P12ihipStream_tbPNSt15iterator_traitsISK_E10value_typeEPNSQ_ISL_E10value_typeEPSM_NS1_7vsmem_tEENKUlT_SK_SL_SM_E_clISE_PtSF_SF_EESJ_SZ_SK_SL_SM_EUlSZ_E_NS1_11comp_targetILNS1_3genE8ELNS1_11target_archE1030ELNS1_3gpuE2ELNS1_3repE0EEENS1_48merge_mergepath_partition_config_static_selectorELNS0_4arch9wavefront6targetE1EEEvSL_
	.globl	_ZN7rocprim17ROCPRIM_400000_NS6detail17trampoline_kernelINS0_14default_configENS1_38merge_sort_block_merge_config_selectorItNS0_10empty_typeEEEZZNS1_27merge_sort_block_merge_implIS3_N6thrust23THRUST_200600_302600_NS6detail15normal_iteratorINS9_10device_ptrItEEEEPS5_jNS1_19radix_merge_compareILb0ELb0EtNS0_19identity_decomposerEEEEE10hipError_tT0_T1_T2_jT3_P12ihipStream_tbPNSt15iterator_traitsISK_E10value_typeEPNSQ_ISL_E10value_typeEPSM_NS1_7vsmem_tEENKUlT_SK_SL_SM_E_clISE_PtSF_SF_EESJ_SZ_SK_SL_SM_EUlSZ_E_NS1_11comp_targetILNS1_3genE8ELNS1_11target_archE1030ELNS1_3gpuE2ELNS1_3repE0EEENS1_48merge_mergepath_partition_config_static_selectorELNS0_4arch9wavefront6targetE1EEEvSL_
	.p2align	8
	.type	_ZN7rocprim17ROCPRIM_400000_NS6detail17trampoline_kernelINS0_14default_configENS1_38merge_sort_block_merge_config_selectorItNS0_10empty_typeEEEZZNS1_27merge_sort_block_merge_implIS3_N6thrust23THRUST_200600_302600_NS6detail15normal_iteratorINS9_10device_ptrItEEEEPS5_jNS1_19radix_merge_compareILb0ELb0EtNS0_19identity_decomposerEEEEE10hipError_tT0_T1_T2_jT3_P12ihipStream_tbPNSt15iterator_traitsISK_E10value_typeEPNSQ_ISL_E10value_typeEPSM_NS1_7vsmem_tEENKUlT_SK_SL_SM_E_clISE_PtSF_SF_EESJ_SZ_SK_SL_SM_EUlSZ_E_NS1_11comp_targetILNS1_3genE8ELNS1_11target_archE1030ELNS1_3gpuE2ELNS1_3repE0EEENS1_48merge_mergepath_partition_config_static_selectorELNS0_4arch9wavefront6targetE1EEEvSL_,@function
_ZN7rocprim17ROCPRIM_400000_NS6detail17trampoline_kernelINS0_14default_configENS1_38merge_sort_block_merge_config_selectorItNS0_10empty_typeEEEZZNS1_27merge_sort_block_merge_implIS3_N6thrust23THRUST_200600_302600_NS6detail15normal_iteratorINS9_10device_ptrItEEEEPS5_jNS1_19radix_merge_compareILb0ELb0EtNS0_19identity_decomposerEEEEE10hipError_tT0_T1_T2_jT3_P12ihipStream_tbPNSt15iterator_traitsISK_E10value_typeEPNSQ_ISL_E10value_typeEPSM_NS1_7vsmem_tEENKUlT_SK_SL_SM_E_clISE_PtSF_SF_EESJ_SZ_SK_SL_SM_EUlSZ_E_NS1_11comp_targetILNS1_3genE8ELNS1_11target_archE1030ELNS1_3gpuE2ELNS1_3repE0EEENS1_48merge_mergepath_partition_config_static_selectorELNS0_4arch9wavefront6targetE1EEEvSL_: ; @_ZN7rocprim17ROCPRIM_400000_NS6detail17trampoline_kernelINS0_14default_configENS1_38merge_sort_block_merge_config_selectorItNS0_10empty_typeEEEZZNS1_27merge_sort_block_merge_implIS3_N6thrust23THRUST_200600_302600_NS6detail15normal_iteratorINS9_10device_ptrItEEEEPS5_jNS1_19radix_merge_compareILb0ELb0EtNS0_19identity_decomposerEEEEE10hipError_tT0_T1_T2_jT3_P12ihipStream_tbPNSt15iterator_traitsISK_E10value_typeEPNSQ_ISL_E10value_typeEPSM_NS1_7vsmem_tEENKUlT_SK_SL_SM_E_clISE_PtSF_SF_EESJ_SZ_SK_SL_SM_EUlSZ_E_NS1_11comp_targetILNS1_3genE8ELNS1_11target_archE1030ELNS1_3gpuE2ELNS1_3repE0EEENS1_48merge_mergepath_partition_config_static_selectorELNS0_4arch9wavefront6targetE1EEEvSL_
; %bb.0:
	.section	.rodata,"a",@progbits
	.p2align	6, 0x0
	.amdhsa_kernel _ZN7rocprim17ROCPRIM_400000_NS6detail17trampoline_kernelINS0_14default_configENS1_38merge_sort_block_merge_config_selectorItNS0_10empty_typeEEEZZNS1_27merge_sort_block_merge_implIS3_N6thrust23THRUST_200600_302600_NS6detail15normal_iteratorINS9_10device_ptrItEEEEPS5_jNS1_19radix_merge_compareILb0ELb0EtNS0_19identity_decomposerEEEEE10hipError_tT0_T1_T2_jT3_P12ihipStream_tbPNSt15iterator_traitsISK_E10value_typeEPNSQ_ISL_E10value_typeEPSM_NS1_7vsmem_tEENKUlT_SK_SL_SM_E_clISE_PtSF_SF_EESJ_SZ_SK_SL_SM_EUlSZ_E_NS1_11comp_targetILNS1_3genE8ELNS1_11target_archE1030ELNS1_3gpuE2ELNS1_3repE0EEENS1_48merge_mergepath_partition_config_static_selectorELNS0_4arch9wavefront6targetE1EEEvSL_
		.amdhsa_group_segment_fixed_size 0
		.amdhsa_private_segment_fixed_size 0
		.amdhsa_kernarg_size 40
		.amdhsa_user_sgpr_count 6
		.amdhsa_user_sgpr_private_segment_buffer 1
		.amdhsa_user_sgpr_dispatch_ptr 0
		.amdhsa_user_sgpr_queue_ptr 0
		.amdhsa_user_sgpr_kernarg_segment_ptr 1
		.amdhsa_user_sgpr_dispatch_id 0
		.amdhsa_user_sgpr_flat_scratch_init 0
		.amdhsa_user_sgpr_kernarg_preload_length 0
		.amdhsa_user_sgpr_kernarg_preload_offset 0
		.amdhsa_user_sgpr_private_segment_size 0
		.amdhsa_uses_dynamic_stack 0
		.amdhsa_system_sgpr_private_segment_wavefront_offset 0
		.amdhsa_system_sgpr_workgroup_id_x 1
		.amdhsa_system_sgpr_workgroup_id_y 0
		.amdhsa_system_sgpr_workgroup_id_z 0
		.amdhsa_system_sgpr_workgroup_info 0
		.amdhsa_system_vgpr_workitem_id 0
		.amdhsa_next_free_vgpr 1
		.amdhsa_next_free_sgpr 0
		.amdhsa_accum_offset 4
		.amdhsa_reserve_vcc 0
		.amdhsa_reserve_flat_scratch 0
		.amdhsa_float_round_mode_32 0
		.amdhsa_float_round_mode_16_64 0
		.amdhsa_float_denorm_mode_32 3
		.amdhsa_float_denorm_mode_16_64 3
		.amdhsa_dx10_clamp 1
		.amdhsa_ieee_mode 1
		.amdhsa_fp16_overflow 0
		.amdhsa_tg_split 0
		.amdhsa_exception_fp_ieee_invalid_op 0
		.amdhsa_exception_fp_denorm_src 0
		.amdhsa_exception_fp_ieee_div_zero 0
		.amdhsa_exception_fp_ieee_overflow 0
		.amdhsa_exception_fp_ieee_underflow 0
		.amdhsa_exception_fp_ieee_inexact 0
		.amdhsa_exception_int_div_zero 0
	.end_amdhsa_kernel
	.section	.text._ZN7rocprim17ROCPRIM_400000_NS6detail17trampoline_kernelINS0_14default_configENS1_38merge_sort_block_merge_config_selectorItNS0_10empty_typeEEEZZNS1_27merge_sort_block_merge_implIS3_N6thrust23THRUST_200600_302600_NS6detail15normal_iteratorINS9_10device_ptrItEEEEPS5_jNS1_19radix_merge_compareILb0ELb0EtNS0_19identity_decomposerEEEEE10hipError_tT0_T1_T2_jT3_P12ihipStream_tbPNSt15iterator_traitsISK_E10value_typeEPNSQ_ISL_E10value_typeEPSM_NS1_7vsmem_tEENKUlT_SK_SL_SM_E_clISE_PtSF_SF_EESJ_SZ_SK_SL_SM_EUlSZ_E_NS1_11comp_targetILNS1_3genE8ELNS1_11target_archE1030ELNS1_3gpuE2ELNS1_3repE0EEENS1_48merge_mergepath_partition_config_static_selectorELNS0_4arch9wavefront6targetE1EEEvSL_,"axG",@progbits,_ZN7rocprim17ROCPRIM_400000_NS6detail17trampoline_kernelINS0_14default_configENS1_38merge_sort_block_merge_config_selectorItNS0_10empty_typeEEEZZNS1_27merge_sort_block_merge_implIS3_N6thrust23THRUST_200600_302600_NS6detail15normal_iteratorINS9_10device_ptrItEEEEPS5_jNS1_19radix_merge_compareILb0ELb0EtNS0_19identity_decomposerEEEEE10hipError_tT0_T1_T2_jT3_P12ihipStream_tbPNSt15iterator_traitsISK_E10value_typeEPNSQ_ISL_E10value_typeEPSM_NS1_7vsmem_tEENKUlT_SK_SL_SM_E_clISE_PtSF_SF_EESJ_SZ_SK_SL_SM_EUlSZ_E_NS1_11comp_targetILNS1_3genE8ELNS1_11target_archE1030ELNS1_3gpuE2ELNS1_3repE0EEENS1_48merge_mergepath_partition_config_static_selectorELNS0_4arch9wavefront6targetE1EEEvSL_,comdat
.Lfunc_end1237:
	.size	_ZN7rocprim17ROCPRIM_400000_NS6detail17trampoline_kernelINS0_14default_configENS1_38merge_sort_block_merge_config_selectorItNS0_10empty_typeEEEZZNS1_27merge_sort_block_merge_implIS3_N6thrust23THRUST_200600_302600_NS6detail15normal_iteratorINS9_10device_ptrItEEEEPS5_jNS1_19radix_merge_compareILb0ELb0EtNS0_19identity_decomposerEEEEE10hipError_tT0_T1_T2_jT3_P12ihipStream_tbPNSt15iterator_traitsISK_E10value_typeEPNSQ_ISL_E10value_typeEPSM_NS1_7vsmem_tEENKUlT_SK_SL_SM_E_clISE_PtSF_SF_EESJ_SZ_SK_SL_SM_EUlSZ_E_NS1_11comp_targetILNS1_3genE8ELNS1_11target_archE1030ELNS1_3gpuE2ELNS1_3repE0EEENS1_48merge_mergepath_partition_config_static_selectorELNS0_4arch9wavefront6targetE1EEEvSL_, .Lfunc_end1237-_ZN7rocprim17ROCPRIM_400000_NS6detail17trampoline_kernelINS0_14default_configENS1_38merge_sort_block_merge_config_selectorItNS0_10empty_typeEEEZZNS1_27merge_sort_block_merge_implIS3_N6thrust23THRUST_200600_302600_NS6detail15normal_iteratorINS9_10device_ptrItEEEEPS5_jNS1_19radix_merge_compareILb0ELb0EtNS0_19identity_decomposerEEEEE10hipError_tT0_T1_T2_jT3_P12ihipStream_tbPNSt15iterator_traitsISK_E10value_typeEPNSQ_ISL_E10value_typeEPSM_NS1_7vsmem_tEENKUlT_SK_SL_SM_E_clISE_PtSF_SF_EESJ_SZ_SK_SL_SM_EUlSZ_E_NS1_11comp_targetILNS1_3genE8ELNS1_11target_archE1030ELNS1_3gpuE2ELNS1_3repE0EEENS1_48merge_mergepath_partition_config_static_selectorELNS0_4arch9wavefront6targetE1EEEvSL_
                                        ; -- End function
	.section	.AMDGPU.csdata,"",@progbits
; Kernel info:
; codeLenInByte = 0
; NumSgprs: 4
; NumVgprs: 0
; NumAgprs: 0
; TotalNumVgprs: 0
; ScratchSize: 0
; MemoryBound: 0
; FloatMode: 240
; IeeeMode: 1
; LDSByteSize: 0 bytes/workgroup (compile time only)
; SGPRBlocks: 0
; VGPRBlocks: 0
; NumSGPRsForWavesPerEU: 4
; NumVGPRsForWavesPerEU: 1
; AccumOffset: 4
; Occupancy: 8
; WaveLimiterHint : 0
; COMPUTE_PGM_RSRC2:SCRATCH_EN: 0
; COMPUTE_PGM_RSRC2:USER_SGPR: 6
; COMPUTE_PGM_RSRC2:TRAP_HANDLER: 0
; COMPUTE_PGM_RSRC2:TGID_X_EN: 1
; COMPUTE_PGM_RSRC2:TGID_Y_EN: 0
; COMPUTE_PGM_RSRC2:TGID_Z_EN: 0
; COMPUTE_PGM_RSRC2:TIDIG_COMP_CNT: 0
; COMPUTE_PGM_RSRC3_GFX90A:ACCUM_OFFSET: 0
; COMPUTE_PGM_RSRC3_GFX90A:TG_SPLIT: 0
	.section	.text._ZN7rocprim17ROCPRIM_400000_NS6detail17trampoline_kernelINS0_14default_configENS1_38merge_sort_block_merge_config_selectorItNS0_10empty_typeEEEZZNS1_27merge_sort_block_merge_implIS3_N6thrust23THRUST_200600_302600_NS6detail15normal_iteratorINS9_10device_ptrItEEEEPS5_jNS1_19radix_merge_compareILb0ELb0EtNS0_19identity_decomposerEEEEE10hipError_tT0_T1_T2_jT3_P12ihipStream_tbPNSt15iterator_traitsISK_E10value_typeEPNSQ_ISL_E10value_typeEPSM_NS1_7vsmem_tEENKUlT_SK_SL_SM_E_clISE_PtSF_SF_EESJ_SZ_SK_SL_SM_EUlSZ_E0_NS1_11comp_targetILNS1_3genE0ELNS1_11target_archE4294967295ELNS1_3gpuE0ELNS1_3repE0EEENS1_38merge_mergepath_config_static_selectorELNS0_4arch9wavefront6targetE1EEEvSL_,"axG",@progbits,_ZN7rocprim17ROCPRIM_400000_NS6detail17trampoline_kernelINS0_14default_configENS1_38merge_sort_block_merge_config_selectorItNS0_10empty_typeEEEZZNS1_27merge_sort_block_merge_implIS3_N6thrust23THRUST_200600_302600_NS6detail15normal_iteratorINS9_10device_ptrItEEEEPS5_jNS1_19radix_merge_compareILb0ELb0EtNS0_19identity_decomposerEEEEE10hipError_tT0_T1_T2_jT3_P12ihipStream_tbPNSt15iterator_traitsISK_E10value_typeEPNSQ_ISL_E10value_typeEPSM_NS1_7vsmem_tEENKUlT_SK_SL_SM_E_clISE_PtSF_SF_EESJ_SZ_SK_SL_SM_EUlSZ_E0_NS1_11comp_targetILNS1_3genE0ELNS1_11target_archE4294967295ELNS1_3gpuE0ELNS1_3repE0EEENS1_38merge_mergepath_config_static_selectorELNS0_4arch9wavefront6targetE1EEEvSL_,comdat
	.protected	_ZN7rocprim17ROCPRIM_400000_NS6detail17trampoline_kernelINS0_14default_configENS1_38merge_sort_block_merge_config_selectorItNS0_10empty_typeEEEZZNS1_27merge_sort_block_merge_implIS3_N6thrust23THRUST_200600_302600_NS6detail15normal_iteratorINS9_10device_ptrItEEEEPS5_jNS1_19radix_merge_compareILb0ELb0EtNS0_19identity_decomposerEEEEE10hipError_tT0_T1_T2_jT3_P12ihipStream_tbPNSt15iterator_traitsISK_E10value_typeEPNSQ_ISL_E10value_typeEPSM_NS1_7vsmem_tEENKUlT_SK_SL_SM_E_clISE_PtSF_SF_EESJ_SZ_SK_SL_SM_EUlSZ_E0_NS1_11comp_targetILNS1_3genE0ELNS1_11target_archE4294967295ELNS1_3gpuE0ELNS1_3repE0EEENS1_38merge_mergepath_config_static_selectorELNS0_4arch9wavefront6targetE1EEEvSL_ ; -- Begin function _ZN7rocprim17ROCPRIM_400000_NS6detail17trampoline_kernelINS0_14default_configENS1_38merge_sort_block_merge_config_selectorItNS0_10empty_typeEEEZZNS1_27merge_sort_block_merge_implIS3_N6thrust23THRUST_200600_302600_NS6detail15normal_iteratorINS9_10device_ptrItEEEEPS5_jNS1_19radix_merge_compareILb0ELb0EtNS0_19identity_decomposerEEEEE10hipError_tT0_T1_T2_jT3_P12ihipStream_tbPNSt15iterator_traitsISK_E10value_typeEPNSQ_ISL_E10value_typeEPSM_NS1_7vsmem_tEENKUlT_SK_SL_SM_E_clISE_PtSF_SF_EESJ_SZ_SK_SL_SM_EUlSZ_E0_NS1_11comp_targetILNS1_3genE0ELNS1_11target_archE4294967295ELNS1_3gpuE0ELNS1_3repE0EEENS1_38merge_mergepath_config_static_selectorELNS0_4arch9wavefront6targetE1EEEvSL_
	.globl	_ZN7rocprim17ROCPRIM_400000_NS6detail17trampoline_kernelINS0_14default_configENS1_38merge_sort_block_merge_config_selectorItNS0_10empty_typeEEEZZNS1_27merge_sort_block_merge_implIS3_N6thrust23THRUST_200600_302600_NS6detail15normal_iteratorINS9_10device_ptrItEEEEPS5_jNS1_19radix_merge_compareILb0ELb0EtNS0_19identity_decomposerEEEEE10hipError_tT0_T1_T2_jT3_P12ihipStream_tbPNSt15iterator_traitsISK_E10value_typeEPNSQ_ISL_E10value_typeEPSM_NS1_7vsmem_tEENKUlT_SK_SL_SM_E_clISE_PtSF_SF_EESJ_SZ_SK_SL_SM_EUlSZ_E0_NS1_11comp_targetILNS1_3genE0ELNS1_11target_archE4294967295ELNS1_3gpuE0ELNS1_3repE0EEENS1_38merge_mergepath_config_static_selectorELNS0_4arch9wavefront6targetE1EEEvSL_
	.p2align	8
	.type	_ZN7rocprim17ROCPRIM_400000_NS6detail17trampoline_kernelINS0_14default_configENS1_38merge_sort_block_merge_config_selectorItNS0_10empty_typeEEEZZNS1_27merge_sort_block_merge_implIS3_N6thrust23THRUST_200600_302600_NS6detail15normal_iteratorINS9_10device_ptrItEEEEPS5_jNS1_19radix_merge_compareILb0ELb0EtNS0_19identity_decomposerEEEEE10hipError_tT0_T1_T2_jT3_P12ihipStream_tbPNSt15iterator_traitsISK_E10value_typeEPNSQ_ISL_E10value_typeEPSM_NS1_7vsmem_tEENKUlT_SK_SL_SM_E_clISE_PtSF_SF_EESJ_SZ_SK_SL_SM_EUlSZ_E0_NS1_11comp_targetILNS1_3genE0ELNS1_11target_archE4294967295ELNS1_3gpuE0ELNS1_3repE0EEENS1_38merge_mergepath_config_static_selectorELNS0_4arch9wavefront6targetE1EEEvSL_,@function
_ZN7rocprim17ROCPRIM_400000_NS6detail17trampoline_kernelINS0_14default_configENS1_38merge_sort_block_merge_config_selectorItNS0_10empty_typeEEEZZNS1_27merge_sort_block_merge_implIS3_N6thrust23THRUST_200600_302600_NS6detail15normal_iteratorINS9_10device_ptrItEEEEPS5_jNS1_19radix_merge_compareILb0ELb0EtNS0_19identity_decomposerEEEEE10hipError_tT0_T1_T2_jT3_P12ihipStream_tbPNSt15iterator_traitsISK_E10value_typeEPNSQ_ISL_E10value_typeEPSM_NS1_7vsmem_tEENKUlT_SK_SL_SM_E_clISE_PtSF_SF_EESJ_SZ_SK_SL_SM_EUlSZ_E0_NS1_11comp_targetILNS1_3genE0ELNS1_11target_archE4294967295ELNS1_3gpuE0ELNS1_3repE0EEENS1_38merge_mergepath_config_static_selectorELNS0_4arch9wavefront6targetE1EEEvSL_: ; @_ZN7rocprim17ROCPRIM_400000_NS6detail17trampoline_kernelINS0_14default_configENS1_38merge_sort_block_merge_config_selectorItNS0_10empty_typeEEEZZNS1_27merge_sort_block_merge_implIS3_N6thrust23THRUST_200600_302600_NS6detail15normal_iteratorINS9_10device_ptrItEEEEPS5_jNS1_19radix_merge_compareILb0ELb0EtNS0_19identity_decomposerEEEEE10hipError_tT0_T1_T2_jT3_P12ihipStream_tbPNSt15iterator_traitsISK_E10value_typeEPNSQ_ISL_E10value_typeEPSM_NS1_7vsmem_tEENKUlT_SK_SL_SM_E_clISE_PtSF_SF_EESJ_SZ_SK_SL_SM_EUlSZ_E0_NS1_11comp_targetILNS1_3genE0ELNS1_11target_archE4294967295ELNS1_3gpuE0ELNS1_3repE0EEENS1_38merge_mergepath_config_static_selectorELNS0_4arch9wavefront6targetE1EEEvSL_
; %bb.0:
	.section	.rodata,"a",@progbits
	.p2align	6, 0x0
	.amdhsa_kernel _ZN7rocprim17ROCPRIM_400000_NS6detail17trampoline_kernelINS0_14default_configENS1_38merge_sort_block_merge_config_selectorItNS0_10empty_typeEEEZZNS1_27merge_sort_block_merge_implIS3_N6thrust23THRUST_200600_302600_NS6detail15normal_iteratorINS9_10device_ptrItEEEEPS5_jNS1_19radix_merge_compareILb0ELb0EtNS0_19identity_decomposerEEEEE10hipError_tT0_T1_T2_jT3_P12ihipStream_tbPNSt15iterator_traitsISK_E10value_typeEPNSQ_ISL_E10value_typeEPSM_NS1_7vsmem_tEENKUlT_SK_SL_SM_E_clISE_PtSF_SF_EESJ_SZ_SK_SL_SM_EUlSZ_E0_NS1_11comp_targetILNS1_3genE0ELNS1_11target_archE4294967295ELNS1_3gpuE0ELNS1_3repE0EEENS1_38merge_mergepath_config_static_selectorELNS0_4arch9wavefront6targetE1EEEvSL_
		.amdhsa_group_segment_fixed_size 0
		.amdhsa_private_segment_fixed_size 0
		.amdhsa_kernarg_size 64
		.amdhsa_user_sgpr_count 6
		.amdhsa_user_sgpr_private_segment_buffer 1
		.amdhsa_user_sgpr_dispatch_ptr 0
		.amdhsa_user_sgpr_queue_ptr 0
		.amdhsa_user_sgpr_kernarg_segment_ptr 1
		.amdhsa_user_sgpr_dispatch_id 0
		.amdhsa_user_sgpr_flat_scratch_init 0
		.amdhsa_user_sgpr_kernarg_preload_length 0
		.amdhsa_user_sgpr_kernarg_preload_offset 0
		.amdhsa_user_sgpr_private_segment_size 0
		.amdhsa_uses_dynamic_stack 0
		.amdhsa_system_sgpr_private_segment_wavefront_offset 0
		.amdhsa_system_sgpr_workgroup_id_x 1
		.amdhsa_system_sgpr_workgroup_id_y 0
		.amdhsa_system_sgpr_workgroup_id_z 0
		.amdhsa_system_sgpr_workgroup_info 0
		.amdhsa_system_vgpr_workitem_id 0
		.amdhsa_next_free_vgpr 1
		.amdhsa_next_free_sgpr 0
		.amdhsa_accum_offset 4
		.amdhsa_reserve_vcc 0
		.amdhsa_reserve_flat_scratch 0
		.amdhsa_float_round_mode_32 0
		.amdhsa_float_round_mode_16_64 0
		.amdhsa_float_denorm_mode_32 3
		.amdhsa_float_denorm_mode_16_64 3
		.amdhsa_dx10_clamp 1
		.amdhsa_ieee_mode 1
		.amdhsa_fp16_overflow 0
		.amdhsa_tg_split 0
		.amdhsa_exception_fp_ieee_invalid_op 0
		.amdhsa_exception_fp_denorm_src 0
		.amdhsa_exception_fp_ieee_div_zero 0
		.amdhsa_exception_fp_ieee_overflow 0
		.amdhsa_exception_fp_ieee_underflow 0
		.amdhsa_exception_fp_ieee_inexact 0
		.amdhsa_exception_int_div_zero 0
	.end_amdhsa_kernel
	.section	.text._ZN7rocprim17ROCPRIM_400000_NS6detail17trampoline_kernelINS0_14default_configENS1_38merge_sort_block_merge_config_selectorItNS0_10empty_typeEEEZZNS1_27merge_sort_block_merge_implIS3_N6thrust23THRUST_200600_302600_NS6detail15normal_iteratorINS9_10device_ptrItEEEEPS5_jNS1_19radix_merge_compareILb0ELb0EtNS0_19identity_decomposerEEEEE10hipError_tT0_T1_T2_jT3_P12ihipStream_tbPNSt15iterator_traitsISK_E10value_typeEPNSQ_ISL_E10value_typeEPSM_NS1_7vsmem_tEENKUlT_SK_SL_SM_E_clISE_PtSF_SF_EESJ_SZ_SK_SL_SM_EUlSZ_E0_NS1_11comp_targetILNS1_3genE0ELNS1_11target_archE4294967295ELNS1_3gpuE0ELNS1_3repE0EEENS1_38merge_mergepath_config_static_selectorELNS0_4arch9wavefront6targetE1EEEvSL_,"axG",@progbits,_ZN7rocprim17ROCPRIM_400000_NS6detail17trampoline_kernelINS0_14default_configENS1_38merge_sort_block_merge_config_selectorItNS0_10empty_typeEEEZZNS1_27merge_sort_block_merge_implIS3_N6thrust23THRUST_200600_302600_NS6detail15normal_iteratorINS9_10device_ptrItEEEEPS5_jNS1_19radix_merge_compareILb0ELb0EtNS0_19identity_decomposerEEEEE10hipError_tT0_T1_T2_jT3_P12ihipStream_tbPNSt15iterator_traitsISK_E10value_typeEPNSQ_ISL_E10value_typeEPSM_NS1_7vsmem_tEENKUlT_SK_SL_SM_E_clISE_PtSF_SF_EESJ_SZ_SK_SL_SM_EUlSZ_E0_NS1_11comp_targetILNS1_3genE0ELNS1_11target_archE4294967295ELNS1_3gpuE0ELNS1_3repE0EEENS1_38merge_mergepath_config_static_selectorELNS0_4arch9wavefront6targetE1EEEvSL_,comdat
.Lfunc_end1238:
	.size	_ZN7rocprim17ROCPRIM_400000_NS6detail17trampoline_kernelINS0_14default_configENS1_38merge_sort_block_merge_config_selectorItNS0_10empty_typeEEEZZNS1_27merge_sort_block_merge_implIS3_N6thrust23THRUST_200600_302600_NS6detail15normal_iteratorINS9_10device_ptrItEEEEPS5_jNS1_19radix_merge_compareILb0ELb0EtNS0_19identity_decomposerEEEEE10hipError_tT0_T1_T2_jT3_P12ihipStream_tbPNSt15iterator_traitsISK_E10value_typeEPNSQ_ISL_E10value_typeEPSM_NS1_7vsmem_tEENKUlT_SK_SL_SM_E_clISE_PtSF_SF_EESJ_SZ_SK_SL_SM_EUlSZ_E0_NS1_11comp_targetILNS1_3genE0ELNS1_11target_archE4294967295ELNS1_3gpuE0ELNS1_3repE0EEENS1_38merge_mergepath_config_static_selectorELNS0_4arch9wavefront6targetE1EEEvSL_, .Lfunc_end1238-_ZN7rocprim17ROCPRIM_400000_NS6detail17trampoline_kernelINS0_14default_configENS1_38merge_sort_block_merge_config_selectorItNS0_10empty_typeEEEZZNS1_27merge_sort_block_merge_implIS3_N6thrust23THRUST_200600_302600_NS6detail15normal_iteratorINS9_10device_ptrItEEEEPS5_jNS1_19radix_merge_compareILb0ELb0EtNS0_19identity_decomposerEEEEE10hipError_tT0_T1_T2_jT3_P12ihipStream_tbPNSt15iterator_traitsISK_E10value_typeEPNSQ_ISL_E10value_typeEPSM_NS1_7vsmem_tEENKUlT_SK_SL_SM_E_clISE_PtSF_SF_EESJ_SZ_SK_SL_SM_EUlSZ_E0_NS1_11comp_targetILNS1_3genE0ELNS1_11target_archE4294967295ELNS1_3gpuE0ELNS1_3repE0EEENS1_38merge_mergepath_config_static_selectorELNS0_4arch9wavefront6targetE1EEEvSL_
                                        ; -- End function
	.section	.AMDGPU.csdata,"",@progbits
; Kernel info:
; codeLenInByte = 0
; NumSgprs: 4
; NumVgprs: 0
; NumAgprs: 0
; TotalNumVgprs: 0
; ScratchSize: 0
; MemoryBound: 0
; FloatMode: 240
; IeeeMode: 1
; LDSByteSize: 0 bytes/workgroup (compile time only)
; SGPRBlocks: 0
; VGPRBlocks: 0
; NumSGPRsForWavesPerEU: 4
; NumVGPRsForWavesPerEU: 1
; AccumOffset: 4
; Occupancy: 8
; WaveLimiterHint : 0
; COMPUTE_PGM_RSRC2:SCRATCH_EN: 0
; COMPUTE_PGM_RSRC2:USER_SGPR: 6
; COMPUTE_PGM_RSRC2:TRAP_HANDLER: 0
; COMPUTE_PGM_RSRC2:TGID_X_EN: 1
; COMPUTE_PGM_RSRC2:TGID_Y_EN: 0
; COMPUTE_PGM_RSRC2:TGID_Z_EN: 0
; COMPUTE_PGM_RSRC2:TIDIG_COMP_CNT: 0
; COMPUTE_PGM_RSRC3_GFX90A:ACCUM_OFFSET: 0
; COMPUTE_PGM_RSRC3_GFX90A:TG_SPLIT: 0
	.section	.text._ZN7rocprim17ROCPRIM_400000_NS6detail17trampoline_kernelINS0_14default_configENS1_38merge_sort_block_merge_config_selectorItNS0_10empty_typeEEEZZNS1_27merge_sort_block_merge_implIS3_N6thrust23THRUST_200600_302600_NS6detail15normal_iteratorINS9_10device_ptrItEEEEPS5_jNS1_19radix_merge_compareILb0ELb0EtNS0_19identity_decomposerEEEEE10hipError_tT0_T1_T2_jT3_P12ihipStream_tbPNSt15iterator_traitsISK_E10value_typeEPNSQ_ISL_E10value_typeEPSM_NS1_7vsmem_tEENKUlT_SK_SL_SM_E_clISE_PtSF_SF_EESJ_SZ_SK_SL_SM_EUlSZ_E0_NS1_11comp_targetILNS1_3genE10ELNS1_11target_archE1201ELNS1_3gpuE5ELNS1_3repE0EEENS1_38merge_mergepath_config_static_selectorELNS0_4arch9wavefront6targetE1EEEvSL_,"axG",@progbits,_ZN7rocprim17ROCPRIM_400000_NS6detail17trampoline_kernelINS0_14default_configENS1_38merge_sort_block_merge_config_selectorItNS0_10empty_typeEEEZZNS1_27merge_sort_block_merge_implIS3_N6thrust23THRUST_200600_302600_NS6detail15normal_iteratorINS9_10device_ptrItEEEEPS5_jNS1_19radix_merge_compareILb0ELb0EtNS0_19identity_decomposerEEEEE10hipError_tT0_T1_T2_jT3_P12ihipStream_tbPNSt15iterator_traitsISK_E10value_typeEPNSQ_ISL_E10value_typeEPSM_NS1_7vsmem_tEENKUlT_SK_SL_SM_E_clISE_PtSF_SF_EESJ_SZ_SK_SL_SM_EUlSZ_E0_NS1_11comp_targetILNS1_3genE10ELNS1_11target_archE1201ELNS1_3gpuE5ELNS1_3repE0EEENS1_38merge_mergepath_config_static_selectorELNS0_4arch9wavefront6targetE1EEEvSL_,comdat
	.protected	_ZN7rocprim17ROCPRIM_400000_NS6detail17trampoline_kernelINS0_14default_configENS1_38merge_sort_block_merge_config_selectorItNS0_10empty_typeEEEZZNS1_27merge_sort_block_merge_implIS3_N6thrust23THRUST_200600_302600_NS6detail15normal_iteratorINS9_10device_ptrItEEEEPS5_jNS1_19radix_merge_compareILb0ELb0EtNS0_19identity_decomposerEEEEE10hipError_tT0_T1_T2_jT3_P12ihipStream_tbPNSt15iterator_traitsISK_E10value_typeEPNSQ_ISL_E10value_typeEPSM_NS1_7vsmem_tEENKUlT_SK_SL_SM_E_clISE_PtSF_SF_EESJ_SZ_SK_SL_SM_EUlSZ_E0_NS1_11comp_targetILNS1_3genE10ELNS1_11target_archE1201ELNS1_3gpuE5ELNS1_3repE0EEENS1_38merge_mergepath_config_static_selectorELNS0_4arch9wavefront6targetE1EEEvSL_ ; -- Begin function _ZN7rocprim17ROCPRIM_400000_NS6detail17trampoline_kernelINS0_14default_configENS1_38merge_sort_block_merge_config_selectorItNS0_10empty_typeEEEZZNS1_27merge_sort_block_merge_implIS3_N6thrust23THRUST_200600_302600_NS6detail15normal_iteratorINS9_10device_ptrItEEEEPS5_jNS1_19radix_merge_compareILb0ELb0EtNS0_19identity_decomposerEEEEE10hipError_tT0_T1_T2_jT3_P12ihipStream_tbPNSt15iterator_traitsISK_E10value_typeEPNSQ_ISL_E10value_typeEPSM_NS1_7vsmem_tEENKUlT_SK_SL_SM_E_clISE_PtSF_SF_EESJ_SZ_SK_SL_SM_EUlSZ_E0_NS1_11comp_targetILNS1_3genE10ELNS1_11target_archE1201ELNS1_3gpuE5ELNS1_3repE0EEENS1_38merge_mergepath_config_static_selectorELNS0_4arch9wavefront6targetE1EEEvSL_
	.globl	_ZN7rocprim17ROCPRIM_400000_NS6detail17trampoline_kernelINS0_14default_configENS1_38merge_sort_block_merge_config_selectorItNS0_10empty_typeEEEZZNS1_27merge_sort_block_merge_implIS3_N6thrust23THRUST_200600_302600_NS6detail15normal_iteratorINS9_10device_ptrItEEEEPS5_jNS1_19radix_merge_compareILb0ELb0EtNS0_19identity_decomposerEEEEE10hipError_tT0_T1_T2_jT3_P12ihipStream_tbPNSt15iterator_traitsISK_E10value_typeEPNSQ_ISL_E10value_typeEPSM_NS1_7vsmem_tEENKUlT_SK_SL_SM_E_clISE_PtSF_SF_EESJ_SZ_SK_SL_SM_EUlSZ_E0_NS1_11comp_targetILNS1_3genE10ELNS1_11target_archE1201ELNS1_3gpuE5ELNS1_3repE0EEENS1_38merge_mergepath_config_static_selectorELNS0_4arch9wavefront6targetE1EEEvSL_
	.p2align	8
	.type	_ZN7rocprim17ROCPRIM_400000_NS6detail17trampoline_kernelINS0_14default_configENS1_38merge_sort_block_merge_config_selectorItNS0_10empty_typeEEEZZNS1_27merge_sort_block_merge_implIS3_N6thrust23THRUST_200600_302600_NS6detail15normal_iteratorINS9_10device_ptrItEEEEPS5_jNS1_19radix_merge_compareILb0ELb0EtNS0_19identity_decomposerEEEEE10hipError_tT0_T1_T2_jT3_P12ihipStream_tbPNSt15iterator_traitsISK_E10value_typeEPNSQ_ISL_E10value_typeEPSM_NS1_7vsmem_tEENKUlT_SK_SL_SM_E_clISE_PtSF_SF_EESJ_SZ_SK_SL_SM_EUlSZ_E0_NS1_11comp_targetILNS1_3genE10ELNS1_11target_archE1201ELNS1_3gpuE5ELNS1_3repE0EEENS1_38merge_mergepath_config_static_selectorELNS0_4arch9wavefront6targetE1EEEvSL_,@function
_ZN7rocprim17ROCPRIM_400000_NS6detail17trampoline_kernelINS0_14default_configENS1_38merge_sort_block_merge_config_selectorItNS0_10empty_typeEEEZZNS1_27merge_sort_block_merge_implIS3_N6thrust23THRUST_200600_302600_NS6detail15normal_iteratorINS9_10device_ptrItEEEEPS5_jNS1_19radix_merge_compareILb0ELb0EtNS0_19identity_decomposerEEEEE10hipError_tT0_T1_T2_jT3_P12ihipStream_tbPNSt15iterator_traitsISK_E10value_typeEPNSQ_ISL_E10value_typeEPSM_NS1_7vsmem_tEENKUlT_SK_SL_SM_E_clISE_PtSF_SF_EESJ_SZ_SK_SL_SM_EUlSZ_E0_NS1_11comp_targetILNS1_3genE10ELNS1_11target_archE1201ELNS1_3gpuE5ELNS1_3repE0EEENS1_38merge_mergepath_config_static_selectorELNS0_4arch9wavefront6targetE1EEEvSL_: ; @_ZN7rocprim17ROCPRIM_400000_NS6detail17trampoline_kernelINS0_14default_configENS1_38merge_sort_block_merge_config_selectorItNS0_10empty_typeEEEZZNS1_27merge_sort_block_merge_implIS3_N6thrust23THRUST_200600_302600_NS6detail15normal_iteratorINS9_10device_ptrItEEEEPS5_jNS1_19radix_merge_compareILb0ELb0EtNS0_19identity_decomposerEEEEE10hipError_tT0_T1_T2_jT3_P12ihipStream_tbPNSt15iterator_traitsISK_E10value_typeEPNSQ_ISL_E10value_typeEPSM_NS1_7vsmem_tEENKUlT_SK_SL_SM_E_clISE_PtSF_SF_EESJ_SZ_SK_SL_SM_EUlSZ_E0_NS1_11comp_targetILNS1_3genE10ELNS1_11target_archE1201ELNS1_3gpuE5ELNS1_3repE0EEENS1_38merge_mergepath_config_static_selectorELNS0_4arch9wavefront6targetE1EEEvSL_
; %bb.0:
	.section	.rodata,"a",@progbits
	.p2align	6, 0x0
	.amdhsa_kernel _ZN7rocprim17ROCPRIM_400000_NS6detail17trampoline_kernelINS0_14default_configENS1_38merge_sort_block_merge_config_selectorItNS0_10empty_typeEEEZZNS1_27merge_sort_block_merge_implIS3_N6thrust23THRUST_200600_302600_NS6detail15normal_iteratorINS9_10device_ptrItEEEEPS5_jNS1_19radix_merge_compareILb0ELb0EtNS0_19identity_decomposerEEEEE10hipError_tT0_T1_T2_jT3_P12ihipStream_tbPNSt15iterator_traitsISK_E10value_typeEPNSQ_ISL_E10value_typeEPSM_NS1_7vsmem_tEENKUlT_SK_SL_SM_E_clISE_PtSF_SF_EESJ_SZ_SK_SL_SM_EUlSZ_E0_NS1_11comp_targetILNS1_3genE10ELNS1_11target_archE1201ELNS1_3gpuE5ELNS1_3repE0EEENS1_38merge_mergepath_config_static_selectorELNS0_4arch9wavefront6targetE1EEEvSL_
		.amdhsa_group_segment_fixed_size 0
		.amdhsa_private_segment_fixed_size 0
		.amdhsa_kernarg_size 64
		.amdhsa_user_sgpr_count 6
		.amdhsa_user_sgpr_private_segment_buffer 1
		.amdhsa_user_sgpr_dispatch_ptr 0
		.amdhsa_user_sgpr_queue_ptr 0
		.amdhsa_user_sgpr_kernarg_segment_ptr 1
		.amdhsa_user_sgpr_dispatch_id 0
		.amdhsa_user_sgpr_flat_scratch_init 0
		.amdhsa_user_sgpr_kernarg_preload_length 0
		.amdhsa_user_sgpr_kernarg_preload_offset 0
		.amdhsa_user_sgpr_private_segment_size 0
		.amdhsa_uses_dynamic_stack 0
		.amdhsa_system_sgpr_private_segment_wavefront_offset 0
		.amdhsa_system_sgpr_workgroup_id_x 1
		.amdhsa_system_sgpr_workgroup_id_y 0
		.amdhsa_system_sgpr_workgroup_id_z 0
		.amdhsa_system_sgpr_workgroup_info 0
		.amdhsa_system_vgpr_workitem_id 0
		.amdhsa_next_free_vgpr 1
		.amdhsa_next_free_sgpr 0
		.amdhsa_accum_offset 4
		.amdhsa_reserve_vcc 0
		.amdhsa_reserve_flat_scratch 0
		.amdhsa_float_round_mode_32 0
		.amdhsa_float_round_mode_16_64 0
		.amdhsa_float_denorm_mode_32 3
		.amdhsa_float_denorm_mode_16_64 3
		.amdhsa_dx10_clamp 1
		.amdhsa_ieee_mode 1
		.amdhsa_fp16_overflow 0
		.amdhsa_tg_split 0
		.amdhsa_exception_fp_ieee_invalid_op 0
		.amdhsa_exception_fp_denorm_src 0
		.amdhsa_exception_fp_ieee_div_zero 0
		.amdhsa_exception_fp_ieee_overflow 0
		.amdhsa_exception_fp_ieee_underflow 0
		.amdhsa_exception_fp_ieee_inexact 0
		.amdhsa_exception_int_div_zero 0
	.end_amdhsa_kernel
	.section	.text._ZN7rocprim17ROCPRIM_400000_NS6detail17trampoline_kernelINS0_14default_configENS1_38merge_sort_block_merge_config_selectorItNS0_10empty_typeEEEZZNS1_27merge_sort_block_merge_implIS3_N6thrust23THRUST_200600_302600_NS6detail15normal_iteratorINS9_10device_ptrItEEEEPS5_jNS1_19radix_merge_compareILb0ELb0EtNS0_19identity_decomposerEEEEE10hipError_tT0_T1_T2_jT3_P12ihipStream_tbPNSt15iterator_traitsISK_E10value_typeEPNSQ_ISL_E10value_typeEPSM_NS1_7vsmem_tEENKUlT_SK_SL_SM_E_clISE_PtSF_SF_EESJ_SZ_SK_SL_SM_EUlSZ_E0_NS1_11comp_targetILNS1_3genE10ELNS1_11target_archE1201ELNS1_3gpuE5ELNS1_3repE0EEENS1_38merge_mergepath_config_static_selectorELNS0_4arch9wavefront6targetE1EEEvSL_,"axG",@progbits,_ZN7rocprim17ROCPRIM_400000_NS6detail17trampoline_kernelINS0_14default_configENS1_38merge_sort_block_merge_config_selectorItNS0_10empty_typeEEEZZNS1_27merge_sort_block_merge_implIS3_N6thrust23THRUST_200600_302600_NS6detail15normal_iteratorINS9_10device_ptrItEEEEPS5_jNS1_19radix_merge_compareILb0ELb0EtNS0_19identity_decomposerEEEEE10hipError_tT0_T1_T2_jT3_P12ihipStream_tbPNSt15iterator_traitsISK_E10value_typeEPNSQ_ISL_E10value_typeEPSM_NS1_7vsmem_tEENKUlT_SK_SL_SM_E_clISE_PtSF_SF_EESJ_SZ_SK_SL_SM_EUlSZ_E0_NS1_11comp_targetILNS1_3genE10ELNS1_11target_archE1201ELNS1_3gpuE5ELNS1_3repE0EEENS1_38merge_mergepath_config_static_selectorELNS0_4arch9wavefront6targetE1EEEvSL_,comdat
.Lfunc_end1239:
	.size	_ZN7rocprim17ROCPRIM_400000_NS6detail17trampoline_kernelINS0_14default_configENS1_38merge_sort_block_merge_config_selectorItNS0_10empty_typeEEEZZNS1_27merge_sort_block_merge_implIS3_N6thrust23THRUST_200600_302600_NS6detail15normal_iteratorINS9_10device_ptrItEEEEPS5_jNS1_19radix_merge_compareILb0ELb0EtNS0_19identity_decomposerEEEEE10hipError_tT0_T1_T2_jT3_P12ihipStream_tbPNSt15iterator_traitsISK_E10value_typeEPNSQ_ISL_E10value_typeEPSM_NS1_7vsmem_tEENKUlT_SK_SL_SM_E_clISE_PtSF_SF_EESJ_SZ_SK_SL_SM_EUlSZ_E0_NS1_11comp_targetILNS1_3genE10ELNS1_11target_archE1201ELNS1_3gpuE5ELNS1_3repE0EEENS1_38merge_mergepath_config_static_selectorELNS0_4arch9wavefront6targetE1EEEvSL_, .Lfunc_end1239-_ZN7rocprim17ROCPRIM_400000_NS6detail17trampoline_kernelINS0_14default_configENS1_38merge_sort_block_merge_config_selectorItNS0_10empty_typeEEEZZNS1_27merge_sort_block_merge_implIS3_N6thrust23THRUST_200600_302600_NS6detail15normal_iteratorINS9_10device_ptrItEEEEPS5_jNS1_19radix_merge_compareILb0ELb0EtNS0_19identity_decomposerEEEEE10hipError_tT0_T1_T2_jT3_P12ihipStream_tbPNSt15iterator_traitsISK_E10value_typeEPNSQ_ISL_E10value_typeEPSM_NS1_7vsmem_tEENKUlT_SK_SL_SM_E_clISE_PtSF_SF_EESJ_SZ_SK_SL_SM_EUlSZ_E0_NS1_11comp_targetILNS1_3genE10ELNS1_11target_archE1201ELNS1_3gpuE5ELNS1_3repE0EEENS1_38merge_mergepath_config_static_selectorELNS0_4arch9wavefront6targetE1EEEvSL_
                                        ; -- End function
	.section	.AMDGPU.csdata,"",@progbits
; Kernel info:
; codeLenInByte = 0
; NumSgprs: 4
; NumVgprs: 0
; NumAgprs: 0
; TotalNumVgprs: 0
; ScratchSize: 0
; MemoryBound: 0
; FloatMode: 240
; IeeeMode: 1
; LDSByteSize: 0 bytes/workgroup (compile time only)
; SGPRBlocks: 0
; VGPRBlocks: 0
; NumSGPRsForWavesPerEU: 4
; NumVGPRsForWavesPerEU: 1
; AccumOffset: 4
; Occupancy: 8
; WaveLimiterHint : 0
; COMPUTE_PGM_RSRC2:SCRATCH_EN: 0
; COMPUTE_PGM_RSRC2:USER_SGPR: 6
; COMPUTE_PGM_RSRC2:TRAP_HANDLER: 0
; COMPUTE_PGM_RSRC2:TGID_X_EN: 1
; COMPUTE_PGM_RSRC2:TGID_Y_EN: 0
; COMPUTE_PGM_RSRC2:TGID_Z_EN: 0
; COMPUTE_PGM_RSRC2:TIDIG_COMP_CNT: 0
; COMPUTE_PGM_RSRC3_GFX90A:ACCUM_OFFSET: 0
; COMPUTE_PGM_RSRC3_GFX90A:TG_SPLIT: 0
	.section	.text._ZN7rocprim17ROCPRIM_400000_NS6detail17trampoline_kernelINS0_14default_configENS1_38merge_sort_block_merge_config_selectorItNS0_10empty_typeEEEZZNS1_27merge_sort_block_merge_implIS3_N6thrust23THRUST_200600_302600_NS6detail15normal_iteratorINS9_10device_ptrItEEEEPS5_jNS1_19radix_merge_compareILb0ELb0EtNS0_19identity_decomposerEEEEE10hipError_tT0_T1_T2_jT3_P12ihipStream_tbPNSt15iterator_traitsISK_E10value_typeEPNSQ_ISL_E10value_typeEPSM_NS1_7vsmem_tEENKUlT_SK_SL_SM_E_clISE_PtSF_SF_EESJ_SZ_SK_SL_SM_EUlSZ_E0_NS1_11comp_targetILNS1_3genE5ELNS1_11target_archE942ELNS1_3gpuE9ELNS1_3repE0EEENS1_38merge_mergepath_config_static_selectorELNS0_4arch9wavefront6targetE1EEEvSL_,"axG",@progbits,_ZN7rocprim17ROCPRIM_400000_NS6detail17trampoline_kernelINS0_14default_configENS1_38merge_sort_block_merge_config_selectorItNS0_10empty_typeEEEZZNS1_27merge_sort_block_merge_implIS3_N6thrust23THRUST_200600_302600_NS6detail15normal_iteratorINS9_10device_ptrItEEEEPS5_jNS1_19radix_merge_compareILb0ELb0EtNS0_19identity_decomposerEEEEE10hipError_tT0_T1_T2_jT3_P12ihipStream_tbPNSt15iterator_traitsISK_E10value_typeEPNSQ_ISL_E10value_typeEPSM_NS1_7vsmem_tEENKUlT_SK_SL_SM_E_clISE_PtSF_SF_EESJ_SZ_SK_SL_SM_EUlSZ_E0_NS1_11comp_targetILNS1_3genE5ELNS1_11target_archE942ELNS1_3gpuE9ELNS1_3repE0EEENS1_38merge_mergepath_config_static_selectorELNS0_4arch9wavefront6targetE1EEEvSL_,comdat
	.protected	_ZN7rocprim17ROCPRIM_400000_NS6detail17trampoline_kernelINS0_14default_configENS1_38merge_sort_block_merge_config_selectorItNS0_10empty_typeEEEZZNS1_27merge_sort_block_merge_implIS3_N6thrust23THRUST_200600_302600_NS6detail15normal_iteratorINS9_10device_ptrItEEEEPS5_jNS1_19radix_merge_compareILb0ELb0EtNS0_19identity_decomposerEEEEE10hipError_tT0_T1_T2_jT3_P12ihipStream_tbPNSt15iterator_traitsISK_E10value_typeEPNSQ_ISL_E10value_typeEPSM_NS1_7vsmem_tEENKUlT_SK_SL_SM_E_clISE_PtSF_SF_EESJ_SZ_SK_SL_SM_EUlSZ_E0_NS1_11comp_targetILNS1_3genE5ELNS1_11target_archE942ELNS1_3gpuE9ELNS1_3repE0EEENS1_38merge_mergepath_config_static_selectorELNS0_4arch9wavefront6targetE1EEEvSL_ ; -- Begin function _ZN7rocprim17ROCPRIM_400000_NS6detail17trampoline_kernelINS0_14default_configENS1_38merge_sort_block_merge_config_selectorItNS0_10empty_typeEEEZZNS1_27merge_sort_block_merge_implIS3_N6thrust23THRUST_200600_302600_NS6detail15normal_iteratorINS9_10device_ptrItEEEEPS5_jNS1_19radix_merge_compareILb0ELb0EtNS0_19identity_decomposerEEEEE10hipError_tT0_T1_T2_jT3_P12ihipStream_tbPNSt15iterator_traitsISK_E10value_typeEPNSQ_ISL_E10value_typeEPSM_NS1_7vsmem_tEENKUlT_SK_SL_SM_E_clISE_PtSF_SF_EESJ_SZ_SK_SL_SM_EUlSZ_E0_NS1_11comp_targetILNS1_3genE5ELNS1_11target_archE942ELNS1_3gpuE9ELNS1_3repE0EEENS1_38merge_mergepath_config_static_selectorELNS0_4arch9wavefront6targetE1EEEvSL_
	.globl	_ZN7rocprim17ROCPRIM_400000_NS6detail17trampoline_kernelINS0_14default_configENS1_38merge_sort_block_merge_config_selectorItNS0_10empty_typeEEEZZNS1_27merge_sort_block_merge_implIS3_N6thrust23THRUST_200600_302600_NS6detail15normal_iteratorINS9_10device_ptrItEEEEPS5_jNS1_19radix_merge_compareILb0ELb0EtNS0_19identity_decomposerEEEEE10hipError_tT0_T1_T2_jT3_P12ihipStream_tbPNSt15iterator_traitsISK_E10value_typeEPNSQ_ISL_E10value_typeEPSM_NS1_7vsmem_tEENKUlT_SK_SL_SM_E_clISE_PtSF_SF_EESJ_SZ_SK_SL_SM_EUlSZ_E0_NS1_11comp_targetILNS1_3genE5ELNS1_11target_archE942ELNS1_3gpuE9ELNS1_3repE0EEENS1_38merge_mergepath_config_static_selectorELNS0_4arch9wavefront6targetE1EEEvSL_
	.p2align	8
	.type	_ZN7rocprim17ROCPRIM_400000_NS6detail17trampoline_kernelINS0_14default_configENS1_38merge_sort_block_merge_config_selectorItNS0_10empty_typeEEEZZNS1_27merge_sort_block_merge_implIS3_N6thrust23THRUST_200600_302600_NS6detail15normal_iteratorINS9_10device_ptrItEEEEPS5_jNS1_19radix_merge_compareILb0ELb0EtNS0_19identity_decomposerEEEEE10hipError_tT0_T1_T2_jT3_P12ihipStream_tbPNSt15iterator_traitsISK_E10value_typeEPNSQ_ISL_E10value_typeEPSM_NS1_7vsmem_tEENKUlT_SK_SL_SM_E_clISE_PtSF_SF_EESJ_SZ_SK_SL_SM_EUlSZ_E0_NS1_11comp_targetILNS1_3genE5ELNS1_11target_archE942ELNS1_3gpuE9ELNS1_3repE0EEENS1_38merge_mergepath_config_static_selectorELNS0_4arch9wavefront6targetE1EEEvSL_,@function
_ZN7rocprim17ROCPRIM_400000_NS6detail17trampoline_kernelINS0_14default_configENS1_38merge_sort_block_merge_config_selectorItNS0_10empty_typeEEEZZNS1_27merge_sort_block_merge_implIS3_N6thrust23THRUST_200600_302600_NS6detail15normal_iteratorINS9_10device_ptrItEEEEPS5_jNS1_19radix_merge_compareILb0ELb0EtNS0_19identity_decomposerEEEEE10hipError_tT0_T1_T2_jT3_P12ihipStream_tbPNSt15iterator_traitsISK_E10value_typeEPNSQ_ISL_E10value_typeEPSM_NS1_7vsmem_tEENKUlT_SK_SL_SM_E_clISE_PtSF_SF_EESJ_SZ_SK_SL_SM_EUlSZ_E0_NS1_11comp_targetILNS1_3genE5ELNS1_11target_archE942ELNS1_3gpuE9ELNS1_3repE0EEENS1_38merge_mergepath_config_static_selectorELNS0_4arch9wavefront6targetE1EEEvSL_: ; @_ZN7rocprim17ROCPRIM_400000_NS6detail17trampoline_kernelINS0_14default_configENS1_38merge_sort_block_merge_config_selectorItNS0_10empty_typeEEEZZNS1_27merge_sort_block_merge_implIS3_N6thrust23THRUST_200600_302600_NS6detail15normal_iteratorINS9_10device_ptrItEEEEPS5_jNS1_19radix_merge_compareILb0ELb0EtNS0_19identity_decomposerEEEEE10hipError_tT0_T1_T2_jT3_P12ihipStream_tbPNSt15iterator_traitsISK_E10value_typeEPNSQ_ISL_E10value_typeEPSM_NS1_7vsmem_tEENKUlT_SK_SL_SM_E_clISE_PtSF_SF_EESJ_SZ_SK_SL_SM_EUlSZ_E0_NS1_11comp_targetILNS1_3genE5ELNS1_11target_archE942ELNS1_3gpuE9ELNS1_3repE0EEENS1_38merge_mergepath_config_static_selectorELNS0_4arch9wavefront6targetE1EEEvSL_
; %bb.0:
	.section	.rodata,"a",@progbits
	.p2align	6, 0x0
	.amdhsa_kernel _ZN7rocprim17ROCPRIM_400000_NS6detail17trampoline_kernelINS0_14default_configENS1_38merge_sort_block_merge_config_selectorItNS0_10empty_typeEEEZZNS1_27merge_sort_block_merge_implIS3_N6thrust23THRUST_200600_302600_NS6detail15normal_iteratorINS9_10device_ptrItEEEEPS5_jNS1_19radix_merge_compareILb0ELb0EtNS0_19identity_decomposerEEEEE10hipError_tT0_T1_T2_jT3_P12ihipStream_tbPNSt15iterator_traitsISK_E10value_typeEPNSQ_ISL_E10value_typeEPSM_NS1_7vsmem_tEENKUlT_SK_SL_SM_E_clISE_PtSF_SF_EESJ_SZ_SK_SL_SM_EUlSZ_E0_NS1_11comp_targetILNS1_3genE5ELNS1_11target_archE942ELNS1_3gpuE9ELNS1_3repE0EEENS1_38merge_mergepath_config_static_selectorELNS0_4arch9wavefront6targetE1EEEvSL_
		.amdhsa_group_segment_fixed_size 0
		.amdhsa_private_segment_fixed_size 0
		.amdhsa_kernarg_size 64
		.amdhsa_user_sgpr_count 6
		.amdhsa_user_sgpr_private_segment_buffer 1
		.amdhsa_user_sgpr_dispatch_ptr 0
		.amdhsa_user_sgpr_queue_ptr 0
		.amdhsa_user_sgpr_kernarg_segment_ptr 1
		.amdhsa_user_sgpr_dispatch_id 0
		.amdhsa_user_sgpr_flat_scratch_init 0
		.amdhsa_user_sgpr_kernarg_preload_length 0
		.amdhsa_user_sgpr_kernarg_preload_offset 0
		.amdhsa_user_sgpr_private_segment_size 0
		.amdhsa_uses_dynamic_stack 0
		.amdhsa_system_sgpr_private_segment_wavefront_offset 0
		.amdhsa_system_sgpr_workgroup_id_x 1
		.amdhsa_system_sgpr_workgroup_id_y 0
		.amdhsa_system_sgpr_workgroup_id_z 0
		.amdhsa_system_sgpr_workgroup_info 0
		.amdhsa_system_vgpr_workitem_id 0
		.amdhsa_next_free_vgpr 1
		.amdhsa_next_free_sgpr 0
		.amdhsa_accum_offset 4
		.amdhsa_reserve_vcc 0
		.amdhsa_reserve_flat_scratch 0
		.amdhsa_float_round_mode_32 0
		.amdhsa_float_round_mode_16_64 0
		.amdhsa_float_denorm_mode_32 3
		.amdhsa_float_denorm_mode_16_64 3
		.amdhsa_dx10_clamp 1
		.amdhsa_ieee_mode 1
		.amdhsa_fp16_overflow 0
		.amdhsa_tg_split 0
		.amdhsa_exception_fp_ieee_invalid_op 0
		.amdhsa_exception_fp_denorm_src 0
		.amdhsa_exception_fp_ieee_div_zero 0
		.amdhsa_exception_fp_ieee_overflow 0
		.amdhsa_exception_fp_ieee_underflow 0
		.amdhsa_exception_fp_ieee_inexact 0
		.amdhsa_exception_int_div_zero 0
	.end_amdhsa_kernel
	.section	.text._ZN7rocprim17ROCPRIM_400000_NS6detail17trampoline_kernelINS0_14default_configENS1_38merge_sort_block_merge_config_selectorItNS0_10empty_typeEEEZZNS1_27merge_sort_block_merge_implIS3_N6thrust23THRUST_200600_302600_NS6detail15normal_iteratorINS9_10device_ptrItEEEEPS5_jNS1_19radix_merge_compareILb0ELb0EtNS0_19identity_decomposerEEEEE10hipError_tT0_T1_T2_jT3_P12ihipStream_tbPNSt15iterator_traitsISK_E10value_typeEPNSQ_ISL_E10value_typeEPSM_NS1_7vsmem_tEENKUlT_SK_SL_SM_E_clISE_PtSF_SF_EESJ_SZ_SK_SL_SM_EUlSZ_E0_NS1_11comp_targetILNS1_3genE5ELNS1_11target_archE942ELNS1_3gpuE9ELNS1_3repE0EEENS1_38merge_mergepath_config_static_selectorELNS0_4arch9wavefront6targetE1EEEvSL_,"axG",@progbits,_ZN7rocprim17ROCPRIM_400000_NS6detail17trampoline_kernelINS0_14default_configENS1_38merge_sort_block_merge_config_selectorItNS0_10empty_typeEEEZZNS1_27merge_sort_block_merge_implIS3_N6thrust23THRUST_200600_302600_NS6detail15normal_iteratorINS9_10device_ptrItEEEEPS5_jNS1_19radix_merge_compareILb0ELb0EtNS0_19identity_decomposerEEEEE10hipError_tT0_T1_T2_jT3_P12ihipStream_tbPNSt15iterator_traitsISK_E10value_typeEPNSQ_ISL_E10value_typeEPSM_NS1_7vsmem_tEENKUlT_SK_SL_SM_E_clISE_PtSF_SF_EESJ_SZ_SK_SL_SM_EUlSZ_E0_NS1_11comp_targetILNS1_3genE5ELNS1_11target_archE942ELNS1_3gpuE9ELNS1_3repE0EEENS1_38merge_mergepath_config_static_selectorELNS0_4arch9wavefront6targetE1EEEvSL_,comdat
.Lfunc_end1240:
	.size	_ZN7rocprim17ROCPRIM_400000_NS6detail17trampoline_kernelINS0_14default_configENS1_38merge_sort_block_merge_config_selectorItNS0_10empty_typeEEEZZNS1_27merge_sort_block_merge_implIS3_N6thrust23THRUST_200600_302600_NS6detail15normal_iteratorINS9_10device_ptrItEEEEPS5_jNS1_19radix_merge_compareILb0ELb0EtNS0_19identity_decomposerEEEEE10hipError_tT0_T1_T2_jT3_P12ihipStream_tbPNSt15iterator_traitsISK_E10value_typeEPNSQ_ISL_E10value_typeEPSM_NS1_7vsmem_tEENKUlT_SK_SL_SM_E_clISE_PtSF_SF_EESJ_SZ_SK_SL_SM_EUlSZ_E0_NS1_11comp_targetILNS1_3genE5ELNS1_11target_archE942ELNS1_3gpuE9ELNS1_3repE0EEENS1_38merge_mergepath_config_static_selectorELNS0_4arch9wavefront6targetE1EEEvSL_, .Lfunc_end1240-_ZN7rocprim17ROCPRIM_400000_NS6detail17trampoline_kernelINS0_14default_configENS1_38merge_sort_block_merge_config_selectorItNS0_10empty_typeEEEZZNS1_27merge_sort_block_merge_implIS3_N6thrust23THRUST_200600_302600_NS6detail15normal_iteratorINS9_10device_ptrItEEEEPS5_jNS1_19radix_merge_compareILb0ELb0EtNS0_19identity_decomposerEEEEE10hipError_tT0_T1_T2_jT3_P12ihipStream_tbPNSt15iterator_traitsISK_E10value_typeEPNSQ_ISL_E10value_typeEPSM_NS1_7vsmem_tEENKUlT_SK_SL_SM_E_clISE_PtSF_SF_EESJ_SZ_SK_SL_SM_EUlSZ_E0_NS1_11comp_targetILNS1_3genE5ELNS1_11target_archE942ELNS1_3gpuE9ELNS1_3repE0EEENS1_38merge_mergepath_config_static_selectorELNS0_4arch9wavefront6targetE1EEEvSL_
                                        ; -- End function
	.section	.AMDGPU.csdata,"",@progbits
; Kernel info:
; codeLenInByte = 0
; NumSgprs: 4
; NumVgprs: 0
; NumAgprs: 0
; TotalNumVgprs: 0
; ScratchSize: 0
; MemoryBound: 0
; FloatMode: 240
; IeeeMode: 1
; LDSByteSize: 0 bytes/workgroup (compile time only)
; SGPRBlocks: 0
; VGPRBlocks: 0
; NumSGPRsForWavesPerEU: 4
; NumVGPRsForWavesPerEU: 1
; AccumOffset: 4
; Occupancy: 8
; WaveLimiterHint : 0
; COMPUTE_PGM_RSRC2:SCRATCH_EN: 0
; COMPUTE_PGM_RSRC2:USER_SGPR: 6
; COMPUTE_PGM_RSRC2:TRAP_HANDLER: 0
; COMPUTE_PGM_RSRC2:TGID_X_EN: 1
; COMPUTE_PGM_RSRC2:TGID_Y_EN: 0
; COMPUTE_PGM_RSRC2:TGID_Z_EN: 0
; COMPUTE_PGM_RSRC2:TIDIG_COMP_CNT: 0
; COMPUTE_PGM_RSRC3_GFX90A:ACCUM_OFFSET: 0
; COMPUTE_PGM_RSRC3_GFX90A:TG_SPLIT: 0
	.section	.text._ZN7rocprim17ROCPRIM_400000_NS6detail17trampoline_kernelINS0_14default_configENS1_38merge_sort_block_merge_config_selectorItNS0_10empty_typeEEEZZNS1_27merge_sort_block_merge_implIS3_N6thrust23THRUST_200600_302600_NS6detail15normal_iteratorINS9_10device_ptrItEEEEPS5_jNS1_19radix_merge_compareILb0ELb0EtNS0_19identity_decomposerEEEEE10hipError_tT0_T1_T2_jT3_P12ihipStream_tbPNSt15iterator_traitsISK_E10value_typeEPNSQ_ISL_E10value_typeEPSM_NS1_7vsmem_tEENKUlT_SK_SL_SM_E_clISE_PtSF_SF_EESJ_SZ_SK_SL_SM_EUlSZ_E0_NS1_11comp_targetILNS1_3genE4ELNS1_11target_archE910ELNS1_3gpuE8ELNS1_3repE0EEENS1_38merge_mergepath_config_static_selectorELNS0_4arch9wavefront6targetE1EEEvSL_,"axG",@progbits,_ZN7rocprim17ROCPRIM_400000_NS6detail17trampoline_kernelINS0_14default_configENS1_38merge_sort_block_merge_config_selectorItNS0_10empty_typeEEEZZNS1_27merge_sort_block_merge_implIS3_N6thrust23THRUST_200600_302600_NS6detail15normal_iteratorINS9_10device_ptrItEEEEPS5_jNS1_19radix_merge_compareILb0ELb0EtNS0_19identity_decomposerEEEEE10hipError_tT0_T1_T2_jT3_P12ihipStream_tbPNSt15iterator_traitsISK_E10value_typeEPNSQ_ISL_E10value_typeEPSM_NS1_7vsmem_tEENKUlT_SK_SL_SM_E_clISE_PtSF_SF_EESJ_SZ_SK_SL_SM_EUlSZ_E0_NS1_11comp_targetILNS1_3genE4ELNS1_11target_archE910ELNS1_3gpuE8ELNS1_3repE0EEENS1_38merge_mergepath_config_static_selectorELNS0_4arch9wavefront6targetE1EEEvSL_,comdat
	.protected	_ZN7rocprim17ROCPRIM_400000_NS6detail17trampoline_kernelINS0_14default_configENS1_38merge_sort_block_merge_config_selectorItNS0_10empty_typeEEEZZNS1_27merge_sort_block_merge_implIS3_N6thrust23THRUST_200600_302600_NS6detail15normal_iteratorINS9_10device_ptrItEEEEPS5_jNS1_19radix_merge_compareILb0ELb0EtNS0_19identity_decomposerEEEEE10hipError_tT0_T1_T2_jT3_P12ihipStream_tbPNSt15iterator_traitsISK_E10value_typeEPNSQ_ISL_E10value_typeEPSM_NS1_7vsmem_tEENKUlT_SK_SL_SM_E_clISE_PtSF_SF_EESJ_SZ_SK_SL_SM_EUlSZ_E0_NS1_11comp_targetILNS1_3genE4ELNS1_11target_archE910ELNS1_3gpuE8ELNS1_3repE0EEENS1_38merge_mergepath_config_static_selectorELNS0_4arch9wavefront6targetE1EEEvSL_ ; -- Begin function _ZN7rocprim17ROCPRIM_400000_NS6detail17trampoline_kernelINS0_14default_configENS1_38merge_sort_block_merge_config_selectorItNS0_10empty_typeEEEZZNS1_27merge_sort_block_merge_implIS3_N6thrust23THRUST_200600_302600_NS6detail15normal_iteratorINS9_10device_ptrItEEEEPS5_jNS1_19radix_merge_compareILb0ELb0EtNS0_19identity_decomposerEEEEE10hipError_tT0_T1_T2_jT3_P12ihipStream_tbPNSt15iterator_traitsISK_E10value_typeEPNSQ_ISL_E10value_typeEPSM_NS1_7vsmem_tEENKUlT_SK_SL_SM_E_clISE_PtSF_SF_EESJ_SZ_SK_SL_SM_EUlSZ_E0_NS1_11comp_targetILNS1_3genE4ELNS1_11target_archE910ELNS1_3gpuE8ELNS1_3repE0EEENS1_38merge_mergepath_config_static_selectorELNS0_4arch9wavefront6targetE1EEEvSL_
	.globl	_ZN7rocprim17ROCPRIM_400000_NS6detail17trampoline_kernelINS0_14default_configENS1_38merge_sort_block_merge_config_selectorItNS0_10empty_typeEEEZZNS1_27merge_sort_block_merge_implIS3_N6thrust23THRUST_200600_302600_NS6detail15normal_iteratorINS9_10device_ptrItEEEEPS5_jNS1_19radix_merge_compareILb0ELb0EtNS0_19identity_decomposerEEEEE10hipError_tT0_T1_T2_jT3_P12ihipStream_tbPNSt15iterator_traitsISK_E10value_typeEPNSQ_ISL_E10value_typeEPSM_NS1_7vsmem_tEENKUlT_SK_SL_SM_E_clISE_PtSF_SF_EESJ_SZ_SK_SL_SM_EUlSZ_E0_NS1_11comp_targetILNS1_3genE4ELNS1_11target_archE910ELNS1_3gpuE8ELNS1_3repE0EEENS1_38merge_mergepath_config_static_selectorELNS0_4arch9wavefront6targetE1EEEvSL_
	.p2align	8
	.type	_ZN7rocprim17ROCPRIM_400000_NS6detail17trampoline_kernelINS0_14default_configENS1_38merge_sort_block_merge_config_selectorItNS0_10empty_typeEEEZZNS1_27merge_sort_block_merge_implIS3_N6thrust23THRUST_200600_302600_NS6detail15normal_iteratorINS9_10device_ptrItEEEEPS5_jNS1_19radix_merge_compareILb0ELb0EtNS0_19identity_decomposerEEEEE10hipError_tT0_T1_T2_jT3_P12ihipStream_tbPNSt15iterator_traitsISK_E10value_typeEPNSQ_ISL_E10value_typeEPSM_NS1_7vsmem_tEENKUlT_SK_SL_SM_E_clISE_PtSF_SF_EESJ_SZ_SK_SL_SM_EUlSZ_E0_NS1_11comp_targetILNS1_3genE4ELNS1_11target_archE910ELNS1_3gpuE8ELNS1_3repE0EEENS1_38merge_mergepath_config_static_selectorELNS0_4arch9wavefront6targetE1EEEvSL_,@function
_ZN7rocprim17ROCPRIM_400000_NS6detail17trampoline_kernelINS0_14default_configENS1_38merge_sort_block_merge_config_selectorItNS0_10empty_typeEEEZZNS1_27merge_sort_block_merge_implIS3_N6thrust23THRUST_200600_302600_NS6detail15normal_iteratorINS9_10device_ptrItEEEEPS5_jNS1_19radix_merge_compareILb0ELb0EtNS0_19identity_decomposerEEEEE10hipError_tT0_T1_T2_jT3_P12ihipStream_tbPNSt15iterator_traitsISK_E10value_typeEPNSQ_ISL_E10value_typeEPSM_NS1_7vsmem_tEENKUlT_SK_SL_SM_E_clISE_PtSF_SF_EESJ_SZ_SK_SL_SM_EUlSZ_E0_NS1_11comp_targetILNS1_3genE4ELNS1_11target_archE910ELNS1_3gpuE8ELNS1_3repE0EEENS1_38merge_mergepath_config_static_selectorELNS0_4arch9wavefront6targetE1EEEvSL_: ; @_ZN7rocprim17ROCPRIM_400000_NS6detail17trampoline_kernelINS0_14default_configENS1_38merge_sort_block_merge_config_selectorItNS0_10empty_typeEEEZZNS1_27merge_sort_block_merge_implIS3_N6thrust23THRUST_200600_302600_NS6detail15normal_iteratorINS9_10device_ptrItEEEEPS5_jNS1_19radix_merge_compareILb0ELb0EtNS0_19identity_decomposerEEEEE10hipError_tT0_T1_T2_jT3_P12ihipStream_tbPNSt15iterator_traitsISK_E10value_typeEPNSQ_ISL_E10value_typeEPSM_NS1_7vsmem_tEENKUlT_SK_SL_SM_E_clISE_PtSF_SF_EESJ_SZ_SK_SL_SM_EUlSZ_E0_NS1_11comp_targetILNS1_3genE4ELNS1_11target_archE910ELNS1_3gpuE8ELNS1_3repE0EEENS1_38merge_mergepath_config_static_selectorELNS0_4arch9wavefront6targetE1EEEvSL_
; %bb.0:
	s_load_dwordx2 s[10:11], s[4:5], 0x40
	s_load_dword s3, s[4:5], 0x30
	s_add_u32 s0, s4, 64
	s_addc_u32 s1, s5, 0
	s_waitcnt lgkmcnt(0)
	s_mul_i32 s2, s11, s8
	s_add_i32 s2, s2, s7
	s_mul_i32 s2, s2, s10
	s_add_i32 s2, s2, s6
	s_cmp_ge_u32 s2, s3
	s_cbranch_scc1 .LBB1241_43
; %bb.1:
	s_load_dwordx2 s[14:15], s[4:5], 0x28
	s_load_dwordx2 s[8:9], s[4:5], 0x38
	;; [unrolled: 1-line block ×3, first 2 shown]
	s_mov_b32 s3, 0
	v_mov_b32_e32 v3, 0
	s_waitcnt lgkmcnt(0)
	s_lshr_b32 s22, s14, 10
	s_cmp_lg_u32 s2, s22
	s_cselect_b64 s[18:19], -1, 0
	s_lshl_b64 s[16:17], s[2:3], 2
	s_add_u32 s8, s8, s16
	s_addc_u32 s9, s9, s17
	s_lshr_b32 s7, s15, 9
	s_and_b32 s7, s7, 0x7ffffe
	s_load_dwordx2 s[8:9], s[8:9], 0x0
	s_sub_i32 s7, 0, s7
	s_and_b32 s11, s2, s7
	s_lshl_b32 s17, s11, 10
	s_lshl_b32 s16, s2, 10
	;; [unrolled: 1-line block ×3, first 2 shown]
	s_sub_i32 s20, s16, s17
	s_add_i32 s11, s11, s15
	s_add_i32 s21, s11, s20
	s_waitcnt lgkmcnt(0)
	s_sub_i32 s20, s21, s8
	s_sub_i32 s21, s21, s9
	;; [unrolled: 1-line block ×3, first 2 shown]
	s_min_u32 s20, s14, s20
	s_addk_i32 s21, 0x400
	s_or_b32 s7, s2, s7
	s_min_u32 s17, s14, s11
	s_add_i32 s11, s11, s15
	s_cmp_eq_u32 s7, -1
	s_cselect_b32 s7, s11, s21
	s_cselect_b32 s9, s17, s9
	s_min_u32 s7, s7, s14
	s_sub_i32 s15, s9, s8
	s_mov_b32 s9, s3
	s_sub_i32 s7, s7, s20
	s_lshl_b64 s[8:9], s[8:9], 1
	s_add_u32 s8, s12, s8
	s_mov_b32 s21, s3
	s_addc_u32 s9, s13, s9
	s_lshl_b64 s[20:21], s[20:21], 1
	s_add_u32 s11, s12, s20
	s_addc_u32 s12, s13, s21
	s_cmp_lt_u32 s6, s10
	s_cselect_b32 s3, 12, 18
	global_load_dword v1, v3, s[0:1] offset:14
	s_add_u32 s0, s0, s3
	s_addc_u32 s1, s1, 0
	global_load_ushort v2, v3, s[0:1]
	s_cmp_eq_u32 s2, s22
	s_waitcnt vmcnt(1)
	v_lshrrev_b32_e32 v4, 16, v1
	v_and_b32_e32 v1, 0xffff, v1
	v_mul_lo_u32 v1, v1, v4
	s_waitcnt vmcnt(0)
	v_mul_lo_u32 v11, v1, v2
	v_add_u32_e32 v8, v11, v0
	v_lshlrev_b32_e32 v1, 1, v0
	v_add_u32_e32 v6, v8, v11
	s_cbranch_scc1 .LBB1241_3
; %bb.2:
	v_subrev_u32_e32 v2, s15, v0
	v_lshlrev_b64 v[4:5], 1, v[2:3]
	v_mov_b32_e32 v2, s12
	v_add_co_u32_e32 v4, vcc, s11, v4
	v_addc_co_u32_e32 v2, vcc, v2, v5, vcc
	v_mov_b32_e32 v5, s9
	v_add_co_u32_e32 v7, vcc, s8, v1
	v_addc_co_u32_e32 v5, vcc, 0, v5, vcc
	v_cmp_gt_u32_e32 vcc, s15, v0
	v_cndmask_b32_e32 v5, v2, v5, vcc
	v_cndmask_b32_e32 v4, v4, v7, vcc
	v_subrev_u32_e32 v2, s15, v8
	global_load_ushort v10, v[4:5], off
	v_lshlrev_b64 v[4:5], 1, v[2:3]
	v_mov_b32_e32 v2, s12
	v_add_co_u32_e32 v7, vcc, s11, v4
	v_mov_b32_e32 v9, v3
	v_addc_co_u32_e32 v2, vcc, v2, v5, vcc
	v_lshlrev_b64 v[4:5], 1, v[8:9]
	v_mov_b32_e32 v9, s9
	v_add_co_u32_e32 v4, vcc, s8, v4
	v_addc_co_u32_e32 v5, vcc, v9, v5, vcc
	v_cmp_gt_u32_e32 vcc, s15, v8
	v_cndmask_b32_e32 v5, v2, v5, vcc
	v_cndmask_b32_e32 v4, v7, v4, vcc
	v_subrev_u32_e32 v2, s15, v6
	global_load_ushort v9, v[4:5], off
	v_lshlrev_b64 v[4:5], 1, v[2:3]
	v_mov_b32_e32 v2, s12
	v_add_co_u32_e32 v12, vcc, s11, v4
	v_mov_b32_e32 v7, v3
	v_addc_co_u32_e32 v2, vcc, v2, v5, vcc
	v_lshlrev_b64 v[4:5], 1, v[6:7]
	v_mov_b32_e32 v7, s9
	v_add_co_u32_e32 v4, vcc, s8, v4
	v_addc_co_u32_e32 v5, vcc, v7, v5, vcc
	v_cmp_gt_u32_e32 vcc, s15, v6
	v_cndmask_b32_e32 v5, v2, v5, vcc
	v_cndmask_b32_e32 v4, v12, v4, vcc
	global_load_ushort v7, v[4:5], off
	v_add_u32_e32 v4, v6, v11
	v_subrev_u32_e32 v2, s15, v4
	v_lshlrev_b64 v[12:13], 1, v[2:3]
	v_mov_b32_e32 v2, s12
	v_add_co_u32_e32 v14, vcc, s11, v12
	v_mov_b32_e32 v5, v3
	v_addc_co_u32_e32 v2, vcc, v2, v13, vcc
	v_lshlrev_b64 v[12:13], 1, v[4:5]
	v_mov_b32_e32 v5, s9
	v_add_co_u32_e32 v12, vcc, s8, v12
	v_addc_co_u32_e32 v5, vcc, v5, v13, vcc
	v_cmp_gt_u32_e32 vcc, s15, v4
	v_add_u32_e32 v4, v4, v11
	v_cndmask_b32_e32 v13, v2, v5, vcc
	v_cndmask_b32_e32 v12, v14, v12, vcc
	v_subrev_u32_e32 v2, s15, v4
	global_load_ushort v14, v[12:13], off
	v_lshlrev_b64 v[12:13], 1, v[2:3]
	v_mov_b32_e32 v2, s12
	v_add_co_u32_e32 v15, vcc, s11, v12
	v_mov_b32_e32 v5, v3
	v_addc_co_u32_e32 v2, vcc, v2, v13, vcc
	v_lshlrev_b64 v[12:13], 1, v[4:5]
	v_mov_b32_e32 v5, s9
	v_add_co_u32_e32 v12, vcc, s8, v12
	v_addc_co_u32_e32 v5, vcc, v5, v13, vcc
	v_cmp_gt_u32_e32 vcc, s15, v4
	v_add_u32_e32 v4, v4, v11
	v_cndmask_b32_e32 v13, v2, v5, vcc
	v_cndmask_b32_e32 v12, v15, v12, vcc
	v_subrev_u32_e32 v2, s15, v4
	global_load_ushort v15, v[12:13], off
	v_lshlrev_b64 v[12:13], 1, v[2:3]
	v_mov_b32_e32 v2, s12
	v_add_co_u32_e32 v16, vcc, s11, v12
	v_mov_b32_e32 v5, v3
	v_addc_co_u32_e32 v2, vcc, v2, v13, vcc
	v_lshlrev_b64 v[12:13], 1, v[4:5]
	v_mov_b32_e32 v5, s9
	v_add_co_u32_e32 v12, vcc, s8, v12
	v_addc_co_u32_e32 v5, vcc, v5, v13, vcc
	v_cmp_gt_u32_e32 vcc, s15, v4
	v_cndmask_b32_e32 v13, v2, v5, vcc
	v_cndmask_b32_e32 v12, v16, v12, vcc
	global_load_ushort v16, v[12:13], off
	v_add_u32_e32 v12, v4, v11
	v_subrev_u32_e32 v2, s15, v12
	v_lshlrev_b64 v[4:5], 1, v[2:3]
	v_mov_b32_e32 v2, s12
	v_add_co_u32_e32 v4, vcc, s11, v4
	v_mov_b32_e32 v13, v3
	v_addc_co_u32_e32 v5, vcc, v2, v5, vcc
	v_lshlrev_b64 v[2:3], 1, v[12:13]
	v_mov_b32_e32 v13, s9
	v_add_co_u32_e32 v2, vcc, s8, v2
	v_addc_co_u32_e32 v3, vcc, v13, v3, vcc
	v_cmp_gt_u32_e32 vcc, s15, v12
	v_cndmask_b32_e32 v3, v5, v3, vcc
	v_cndmask_b32_e32 v2, v4, v2, vcc
	global_load_ushort v5, v[2:3], off
	s_mov_b32 s0, 0x5040100
	s_waitcnt vmcnt(5)
	v_perm_b32 v2, v9, v10, s0
	v_add_u32_e32 v10, v12, v11
	s_add_i32 s6, s7, s15
	s_waitcnt vmcnt(3)
	v_perm_b32 v3, v14, v7, s0
	s_waitcnt vmcnt(1)
	v_perm_b32 v4, v16, v15, s0
	s_mov_b64 s[0:1], -1
	s_cbranch_execz .LBB1241_4
	s_branch .LBB1241_17
.LBB1241_3:
	s_mov_b64 s[0:1], 0
                                        ; implicit-def: $vgpr10
                                        ; implicit-def: $vgpr2_vgpr3_vgpr4_vgpr5
                                        ; implicit-def: $sgpr6
.LBB1241_4:
	s_add_i32 s6, s7, s15
	v_cmp_gt_u32_e32 vcc, s6, v0
                                        ; implicit-def: $vgpr2_vgpr3_vgpr4_vgpr5
	s_and_saveexec_b64 s[0:1], vcc
	s_cbranch_execnz .LBB1241_44
; %bb.5:
	s_or_b64 exec, exec, s[0:1]
	v_cmp_gt_u32_e32 vcc, s6, v8
	s_and_saveexec_b64 s[2:3], vcc
	s_cbranch_execnz .LBB1241_45
.LBB1241_6:
	s_or_b64 exec, exec, s[2:3]
	v_cmp_gt_u32_e32 vcc, s6, v6
	s_and_saveexec_b64 s[0:1], vcc
	s_cbranch_execz .LBB1241_8
.LBB1241_7:
	v_mov_b32_e32 v7, 0
	v_lshlrev_b64 v[8:9], 1, v[6:7]
	v_mov_b32_e32 v10, s9
	v_add_co_u32_e32 v12, vcc, s8, v8
	v_addc_co_u32_e32 v10, vcc, v10, v9, vcc
	v_subrev_u32_e32 v8, s15, v6
	v_mov_b32_e32 v9, v7
	v_lshlrev_b64 v[8:9], 1, v[8:9]
	v_mov_b32_e32 v7, s12
	v_add_co_u32_e32 v8, vcc, s11, v8
	v_addc_co_u32_e32 v7, vcc, v7, v9, vcc
	v_cmp_gt_u32_e32 vcc, s15, v6
	v_cndmask_b32_e32 v9, v7, v10, vcc
	v_cndmask_b32_e32 v8, v8, v12, vcc
	global_load_ushort v7, v[8:9], off
	s_mov_b32 s2, 0xffff
	s_waitcnt vmcnt(0)
	v_bfi_b32 v3, s2, v7, v3
.LBB1241_8:
	s_or_b64 exec, exec, s[0:1]
	v_add_u32_e32 v6, v6, v11
	v_cmp_gt_u32_e32 vcc, s6, v6
	s_and_saveexec_b64 s[0:1], vcc
	s_cbranch_execz .LBB1241_10
; %bb.9:
	v_mov_b32_e32 v7, 0
	v_lshlrev_b64 v[8:9], 1, v[6:7]
	v_mov_b32_e32 v10, s9
	v_add_co_u32_e32 v12, vcc, s8, v8
	v_addc_co_u32_e32 v10, vcc, v10, v9, vcc
	v_subrev_u32_e32 v8, s15, v6
	v_mov_b32_e32 v9, v7
	v_lshlrev_b64 v[8:9], 1, v[8:9]
	v_mov_b32_e32 v7, s12
	v_add_co_u32_e32 v8, vcc, s11, v8
	v_addc_co_u32_e32 v7, vcc, v7, v9, vcc
	v_cmp_gt_u32_e32 vcc, s15, v6
	v_cndmask_b32_e32 v9, v7, v10, vcc
	v_cndmask_b32_e32 v8, v8, v12, vcc
	global_load_ushort v7, v[8:9], off
	s_mov_b32 s2, 0x5040100
	s_waitcnt vmcnt(0)
	v_perm_b32 v3, v7, v3, s2
.LBB1241_10:
	s_or_b64 exec, exec, s[0:1]
	v_add_u32_e32 v6, v6, v11
	v_cmp_gt_u32_e32 vcc, s6, v6
	s_and_saveexec_b64 s[0:1], vcc
	s_cbranch_execz .LBB1241_12
; %bb.11:
	v_mov_b32_e32 v7, 0
	v_lshlrev_b64 v[8:9], 1, v[6:7]
	v_mov_b32_e32 v10, s9
	v_add_co_u32_e32 v12, vcc, s8, v8
	v_addc_co_u32_e32 v10, vcc, v10, v9, vcc
	v_subrev_u32_e32 v8, s15, v6
	v_mov_b32_e32 v9, v7
	v_lshlrev_b64 v[8:9], 1, v[8:9]
	v_mov_b32_e32 v7, s12
	v_add_co_u32_e32 v8, vcc, s11, v8
	v_addc_co_u32_e32 v7, vcc, v7, v9, vcc
	v_cmp_gt_u32_e32 vcc, s15, v6
	v_cndmask_b32_e32 v9, v7, v10, vcc
	v_cndmask_b32_e32 v8, v8, v12, vcc
	global_load_ushort v7, v[8:9], off
	s_mov_b32 s2, 0xffff
	s_waitcnt vmcnt(0)
	v_bfi_b32 v4, s2, v7, v4
.LBB1241_12:
	s_or_b64 exec, exec, s[0:1]
	v_add_u32_e32 v6, v6, v11
	v_cmp_gt_u32_e32 vcc, s6, v6
	s_and_saveexec_b64 s[0:1], vcc
	s_cbranch_execz .LBB1241_14
; %bb.13:
	v_mov_b32_e32 v7, 0
	v_lshlrev_b64 v[8:9], 1, v[6:7]
	v_mov_b32_e32 v10, s9
	v_add_co_u32_e32 v12, vcc, s8, v8
	v_addc_co_u32_e32 v10, vcc, v10, v9, vcc
	v_subrev_u32_e32 v8, s15, v6
	v_mov_b32_e32 v9, v7
	v_lshlrev_b64 v[8:9], 1, v[8:9]
	v_mov_b32_e32 v7, s12
	v_add_co_u32_e32 v8, vcc, s11, v8
	v_addc_co_u32_e32 v7, vcc, v7, v9, vcc
	v_cmp_gt_u32_e32 vcc, s15, v6
	v_cndmask_b32_e32 v9, v7, v10, vcc
	v_cndmask_b32_e32 v8, v8, v12, vcc
	global_load_ushort v7, v[8:9], off
	s_mov_b32 s2, 0x5040100
	s_waitcnt vmcnt(0)
	v_perm_b32 v4, v7, v4, s2
.LBB1241_14:
	s_or_b64 exec, exec, s[0:1]
	v_add_u32_e32 v6, v6, v11
	v_cmp_gt_u32_e32 vcc, s6, v6
	s_and_saveexec_b64 s[0:1], vcc
	s_cbranch_execz .LBB1241_16
; %bb.15:
	v_mov_b32_e32 v7, 0
	v_lshlrev_b64 v[8:9], 1, v[6:7]
	v_mov_b32_e32 v10, s9
	v_add_co_u32_e32 v12, vcc, s8, v8
	v_addc_co_u32_e32 v10, vcc, v10, v9, vcc
	v_subrev_u32_e32 v8, s15, v6
	v_mov_b32_e32 v9, v7
	v_lshlrev_b64 v[8:9], 1, v[8:9]
	v_mov_b32_e32 v7, s12
	v_add_co_u32_e32 v8, vcc, s11, v8
	v_addc_co_u32_e32 v7, vcc, v7, v9, vcc
	v_cmp_gt_u32_e32 vcc, s15, v6
	v_cndmask_b32_e32 v9, v7, v10, vcc
	v_cndmask_b32_e32 v8, v8, v12, vcc
	global_load_ushort v7, v[8:9], off
	s_mov_b32 s2, 0xffff
	s_waitcnt vmcnt(0)
	v_bfi_b32 v5, s2, v7, v5
.LBB1241_16:
	s_or_b64 exec, exec, s[0:1]
	v_add_u32_e32 v10, v6, v11
	v_cmp_gt_u32_e64 s[0:1], s6, v10
.LBB1241_17:
	v_mov_b32_e32 v7, s6
	s_and_saveexec_b64 s[2:3], s[0:1]
	s_cbranch_execz .LBB1241_19
; %bb.18:
	v_subrev_u32_e32 v6, s15, v10
	v_mov_b32_e32 v7, 0
	v_lshlrev_b64 v[8:9], 1, v[6:7]
	v_mov_b32_e32 v6, s12
	v_add_co_u32_e32 v8, vcc, s11, v8
	v_mov_b32_e32 v11, v7
	v_addc_co_u32_e32 v9, vcc, v6, v9, vcc
	v_lshlrev_b64 v[6:7], 1, v[10:11]
	v_mov_b32_e32 v11, s9
	v_add_co_u32_e32 v6, vcc, s8, v6
	v_addc_co_u32_e32 v7, vcc, v11, v7, vcc
	v_cmp_gt_u32_e32 vcc, s15, v10
	v_cndmask_b32_e32 v7, v9, v7, vcc
	v_cndmask_b32_e32 v6, v8, v6, vcc
	global_load_ushort v6, v[6:7], off
	s_mov_b32 s0, 0x5040100
	v_mov_b32_e32 v7, s6
	s_waitcnt vmcnt(0)
	v_perm_b32 v5, v6, v5, s0
.LBB1241_19:
	s_or_b64 exec, exec, s[2:3]
	s_load_dwordx2 s[20:21], s[4:5], 0x10
	v_lshlrev_b32_e32 v6, 3, v0
	v_min_u32_e32 v13, v7, v6
	v_sub_u32_e64 v12, v13, s7 clamp
	v_min_u32_e32 v14, s15, v13
	s_waitcnt vmcnt(0)
	v_lshrrev_b32_e32 v8, 16, v2
	v_lshrrev_b32_e32 v9, 16, v3
	;; [unrolled: 1-line block ×4, first 2 shown]
	v_cmp_lt_u32_e32 vcc, v12, v14
	ds_write_b16 v1, v2
	ds_write_b16 v1, v8 offset:256
	ds_write_b16 v1, v3 offset:512
	;; [unrolled: 1-line block ×7, first 2 shown]
	s_waitcnt lgkmcnt(0)
	s_barrier
	s_and_saveexec_b64 s[0:1], vcc
	s_cbranch_execz .LBB1241_23
; %bb.20:
	v_lshlrev_b32_e32 v15, 1, v13
	v_lshl_add_u32 v15, s15, 1, v15
	s_mov_b64 s[2:3], 0
.LBB1241_21:                            ; =>This Inner Loop Header: Depth=1
	v_add_u32_e32 v16, v14, v12
	v_lshrrev_b32_e32 v17, 1, v16
	v_not_b32_e32 v18, v17
	v_and_b32_e32 v16, -2, v16
	v_lshl_add_u32 v18, v18, 1, v15
	ds_read_u16 v16, v16
	ds_read_u16 v18, v18
	v_add_u32_e32 v19, 1, v17
	s_waitcnt lgkmcnt(0)
	v_cmp_gt_u16_e32 vcc, v16, v18
	v_cndmask_b32_e32 v14, v14, v17, vcc
	v_cndmask_b32_e32 v12, v19, v12, vcc
	v_cmp_ge_u32_e32 vcc, v12, v14
	s_or_b64 s[2:3], vcc, s[2:3]
	s_andn2_b64 exec, exec, s[2:3]
	s_cbranch_execnz .LBB1241_21
; %bb.22:
	s_or_b64 exec, exec, s[2:3]
.LBB1241_23:
	s_or_b64 exec, exec, s[0:1]
	v_sub_u32_e32 v13, v13, v12
	v_add_u32_e32 v13, s15, v13
	v_cmp_ge_u32_e32 vcc, s15, v12
	v_cmp_le_u32_e64 s[0:1], v13, v7
	s_or_b64 s[0:1], vcc, s[0:1]
	s_and_saveexec_b64 s[22:23], s[0:1]
	s_cbranch_execz .LBB1241_29
; %bb.24:
	v_cmp_gt_u32_e32 vcc, s15, v12
                                        ; implicit-def: $vgpr2
	s_and_saveexec_b64 s[0:1], vcc
	s_cbranch_execz .LBB1241_26
; %bb.25:
	v_lshlrev_b32_e32 v2, 1, v12
	ds_read_u16 v2, v2
.LBB1241_26:
	s_or_b64 exec, exec, s[0:1]
	v_cmp_ge_u32_e64 s[0:1], v13, v7
	v_cmp_lt_u32_e64 s[2:3], v13, v7
                                        ; implicit-def: $vgpr3
	s_and_saveexec_b64 s[4:5], s[2:3]
	s_cbranch_execz .LBB1241_28
; %bb.27:
	v_lshlrev_b32_e32 v3, 1, v13
	ds_read_u16 v3, v3
.LBB1241_28:
	s_or_b64 exec, exec, s[4:5]
	s_waitcnt lgkmcnt(0)
	v_cmp_le_u16_e64 s[2:3], v2, v3
	s_and_b64 s[2:3], vcc, s[2:3]
	s_or_b64 vcc, s[0:1], s[2:3]
	v_mov_b32_e32 v5, s15
	v_cndmask_b32_e32 v4, v13, v12, vcc
	v_cndmask_b32_e32 v8, v7, v5, vcc
	v_add_u32_e32 v4, 1, v4
	v_add_u32_e32 v8, -1, v8
	v_min_u32_e32 v8, v4, v8
	v_lshlrev_b32_e32 v8, 1, v8
	ds_read_u16 v8, v8
	v_cndmask_b32_e32 v10, v4, v13, vcc
	v_cndmask_b32_e32 v4, v12, v4, vcc
	v_cmp_gt_u32_e64 s[2:3], s15, v4
	v_cmp_ge_u32_e64 s[0:1], v10, v7
	s_waitcnt lgkmcnt(0)
	v_cndmask_b32_e32 v9, v8, v3, vcc
	v_cndmask_b32_e32 v8, v2, v8, vcc
	v_cmp_le_u16_e64 s[4:5], v8, v9
	s_and_b64 s[2:3], s[2:3], s[4:5]
	s_or_b64 s[0:1], s[0:1], s[2:3]
	v_cndmask_b32_e64 v11, v10, v4, s[0:1]
	v_cndmask_b32_e64 v12, v7, v5, s[0:1]
	v_add_u32_e32 v11, 1, v11
	v_add_u32_e32 v12, -1, v12
	v_min_u32_e32 v12, v11, v12
	v_lshlrev_b32_e32 v12, 1, v12
	ds_read_u16 v12, v12
	v_cndmask_b32_e64 v4, v4, v11, s[0:1]
	v_cndmask_b32_e64 v10, v11, v10, s[0:1]
	v_cmp_gt_u32_e64 s[4:5], s15, v4
	v_cmp_ge_u32_e64 s[2:3], v10, v7
	s_waitcnt lgkmcnt(0)
	v_cndmask_b32_e64 v13, v12, v9, s[0:1]
	v_cndmask_b32_e64 v12, v8, v12, s[0:1]
	v_cmp_le_u16_e64 s[6:7], v12, v13
	s_and_b64 s[4:5], s[4:5], s[6:7]
	s_or_b64 s[2:3], s[2:3], s[4:5]
	v_cndmask_b32_e64 v11, v10, v4, s[2:3]
	v_cndmask_b32_e64 v14, v7, v5, s[2:3]
	v_add_u32_e32 v11, 1, v11
	v_add_u32_e32 v14, -1, v14
	v_min_u32_e32 v14, v11, v14
	v_lshlrev_b32_e32 v14, 1, v14
	ds_read_u16 v14, v14
	v_cndmask_b32_e64 v4, v4, v11, s[2:3]
	v_cndmask_b32_e64 v10, v11, v10, s[2:3]
	v_cmp_gt_u32_e64 s[6:7], s15, v4
	v_cmp_ge_u32_e64 s[4:5], v10, v7
	s_waitcnt lgkmcnt(0)
	v_cndmask_b32_e64 v15, v14, v13, s[2:3]
	v_cndmask_b32_e64 v14, v12, v14, s[2:3]
	;; [unrolled: 17-line block ×4, first 2 shown]
	v_cmp_le_u16_e64 s[12:13], v18, v19
	s_and_b64 s[10:11], s[10:11], s[12:13]
	s_or_b64 s[8:9], s[8:9], s[10:11]
	v_cndmask_b32_e64 v11, v10, v4, s[8:9]
	v_cndmask_b32_e64 v20, v7, v5, s[8:9]
	v_add_u32_e32 v11, 1, v11
	v_add_u32_e32 v20, -1, v20
	v_min_u32_e32 v20, v11, v20
	v_lshlrev_b32_e32 v20, 1, v20
	ds_read_u16 v20, v20
	v_cndmask_b32_e32 v2, v3, v2, vcc
	v_cndmask_b32_e64 v3, v13, v12, s[2:3]
	v_cndmask_b32_e64 v8, v9, v8, s[0:1]
	;; [unrolled: 1-line block ×3, first 2 shown]
	s_waitcnt lgkmcnt(0)
	v_cndmask_b32_e64 v12, v20, v19, s[8:9]
	v_cndmask_b32_e64 v13, v18, v20, s[8:9]
	v_cndmask_b32_e64 v20, v11, v10, s[8:9]
	v_cndmask_b32_e64 v11, v4, v11, s[8:9]
	v_cmp_gt_u32_e64 s[0:1], s15, v11
	v_cmp_le_u16_e64 s[2:3], v13, v12
	v_cmp_ge_u32_e32 vcc, v20, v7
	s_and_b64 s[0:1], s[0:1], s[2:3]
	s_or_b64 vcc, vcc, s[0:1]
	v_cndmask_b32_e32 v4, v20, v11, vcc
	v_cndmask_b32_e32 v5, v7, v5, vcc
	v_add_u32_e32 v21, 1, v4
	v_add_u32_e32 v4, -1, v5
	v_min_u32_e32 v4, v21, v4
	v_lshlrev_b32_e32 v4, 1, v4
	ds_read_u16 v22, v4
	v_cndmask_b32_e32 v5, v12, v13, vcc
	v_cndmask_b32_e32 v11, v11, v21, vcc
	;; [unrolled: 1-line block ×3, first 2 shown]
	v_cmp_gt_u32_e64 s[0:1], s15, v11
	s_waitcnt lgkmcnt(0)
	v_cndmask_b32_e32 v12, v22, v12, vcc
	v_cndmask_b32_e32 v13, v13, v22, vcc
	v_cmp_le_u16_e64 s[2:3], v13, v12
	v_cmp_ge_u32_e32 vcc, v14, v7
	s_and_b64 s[0:1], s[0:1], s[2:3]
	s_or_b64 vcc, vcc, s[0:1]
	v_cndmask_b32_e64 v4, v17, v16, s[6:7]
	v_cndmask_b32_e64 v10, v19, v18, s[8:9]
	v_cndmask_b32_e32 v11, v12, v13, vcc
.LBB1241_29:
	s_or_b64 exec, exec, s[22:23]
	v_lshrrev_b32_e32 v7, 2, v0
	v_and_b32_e32 v7, 30, v7
	s_mov_b32 s2, 0x5040100
	v_add_lshl_u32 v6, v7, v6, 1
	v_perm_b32 v3, v9, v3, s2
	v_perm_b32 v2, v8, v2, s2
	s_barrier
	s_barrier
	ds_write2_b32 v6, v2, v3 offset1:1
	v_perm_b32 v2, v11, v5, s2
	v_perm_b32 v3, v10, v4, s2
	ds_write2_b32 v6, v3, v2 offset0:2 offset1:3
	v_lshrrev_b32_e32 v2, 4, v0
	v_and_b32_e32 v2, 4, v2
	v_or_b32_e32 v10, 0x80, v0
	v_add_u32_e32 v11, v1, v2
	v_lshrrev_b32_e32 v2, 4, v10
	v_and_b32_e32 v2, 12, v2
	v_or_b32_e32 v9, 0x100, v0
	v_add_u32_e32 v12, v1, v2
	v_lshrrev_b32_e32 v2, 4, v9
	v_and_b32_e32 v2, 20, v2
	v_or_b32_e32 v8, 0x180, v0
	v_add_u32_e32 v13, v1, v2
	v_lshrrev_b32_e32 v2, 4, v8
	v_and_b32_e32 v2, 28, v2
	v_or_b32_e32 v7, 0x200, v0
	v_add_u32_e32 v14, v1, v2
	v_lshrrev_b32_e32 v2, 4, v7
	v_and_b32_e32 v2, 36, v2
	v_or_b32_e32 v6, 0x280, v0
	v_add_u32_e32 v15, v1, v2
	v_lshrrev_b32_e32 v2, 4, v6
	v_and_b32_e32 v2, 44, v2
	v_or_b32_e32 v5, 0x300, v0
	s_mov_b32 s17, 0
	v_add_u32_e32 v16, v1, v2
	v_lshrrev_b32_e32 v2, 4, v5
	s_lshl_b64 s[0:1], s[16:17], 1
	v_and_b32_e32 v2, 52, v2
	v_or_b32_e32 v4, 0x380, v0
	s_add_u32 s0, s20, s0
	v_add_u32_e32 v17, v1, v2
	v_lshrrev_b32_e32 v2, 4, v4
	s_addc_u32 s1, s21, s1
	v_and_b32_e32 v2, 60, v2
	v_add_u32_e32 v18, v1, v2
	v_mov_b32_e32 v3, s1
	v_add_co_u32_e32 v2, vcc, s0, v1
	v_addc_co_u32_e32 v3, vcc, 0, v3, vcc
	s_and_b64 vcc, exec, s[18:19]
	s_waitcnt lgkmcnt(0)
	s_cbranch_vccz .LBB1241_31
; %bb.30:
	s_barrier
	ds_read_u16 v19, v11
	ds_read_u16 v20, v12 offset:256
	ds_read_u16 v21, v13 offset:512
	;; [unrolled: 1-line block ×7, first 2 shown]
	s_waitcnt lgkmcnt(7)
	global_store_short v[2:3], v19, off
	s_waitcnt lgkmcnt(6)
	global_store_short v[2:3], v20, off offset:256
	s_waitcnt lgkmcnt(5)
	global_store_short v[2:3], v21, off offset:512
	;; [unrolled: 2-line block ×6, first 2 shown]
	s_mov_b64 s[0:1], -1
	s_cbranch_execz .LBB1241_32
	s_branch .LBB1241_41
.LBB1241_31:
	s_mov_b64 s[0:1], 0
                                        ; implicit-def: $vgpr1
.LBB1241_32:
	s_barrier
	s_waitcnt lgkmcnt(0)
	ds_read_u16 v21, v12 offset:256
	ds_read_u16 v20, v13 offset:512
	;; [unrolled: 1-line block ×7, first 2 shown]
	s_sub_i32 s2, s14, s16
	v_cmp_gt_u32_e32 vcc, s2, v0
	s_and_saveexec_b64 s[0:1], vcc
	s_cbranch_execnz .LBB1241_46
; %bb.33:
	s_or_b64 exec, exec, s[0:1]
	v_cmp_gt_u32_e32 vcc, s2, v10
	s_and_saveexec_b64 s[0:1], vcc
	s_cbranch_execnz .LBB1241_47
.LBB1241_34:
	s_or_b64 exec, exec, s[0:1]
	v_cmp_gt_u32_e32 vcc, s2, v9
	s_and_saveexec_b64 s[0:1], vcc
	s_cbranch_execnz .LBB1241_48
.LBB1241_35:
	s_or_b64 exec, exec, s[0:1]
	v_cmp_gt_u32_e32 vcc, s2, v8
	s_and_saveexec_b64 s[0:1], vcc
	s_cbranch_execnz .LBB1241_49
.LBB1241_36:
	s_or_b64 exec, exec, s[0:1]
	v_cmp_gt_u32_e32 vcc, s2, v7
	s_and_saveexec_b64 s[0:1], vcc
	s_cbranch_execnz .LBB1241_50
.LBB1241_37:
	s_or_b64 exec, exec, s[0:1]
	v_cmp_gt_u32_e32 vcc, s2, v6
	s_and_saveexec_b64 s[0:1], vcc
	s_cbranch_execnz .LBB1241_51
.LBB1241_38:
	s_or_b64 exec, exec, s[0:1]
	v_cmp_gt_u32_e32 vcc, s2, v5
	s_and_saveexec_b64 s[0:1], vcc
	s_cbranch_execz .LBB1241_40
.LBB1241_39:
	s_waitcnt lgkmcnt(1)
	global_store_short v[2:3], v12, off offset:1536
.LBB1241_40:
	s_or_b64 exec, exec, s[0:1]
	v_cmp_gt_u32_e64 s[0:1], s2, v4
.LBB1241_41:
	s_and_saveexec_b64 s[2:3], s[0:1]
	s_cbranch_execz .LBB1241_43
; %bb.42:
	s_waitcnt lgkmcnt(0)
	global_store_short v[2:3], v1, off offset:1792
.LBB1241_43:
	s_endpgm
.LBB1241_44:
	v_mov_b32_e32 v2, s9
	v_add_co_u32_e32 v4, vcc, s8, v1
	v_mov_b32_e32 v3, 0
	s_waitcnt vmcnt(0)
	v_addc_co_u32_e32 v5, vcc, 0, v2, vcc
	v_subrev_u32_e32 v2, s15, v0
	v_lshlrev_b64 v[2:3], 1, v[2:3]
	v_mov_b32_e32 v7, s12
	v_add_co_u32_e32 v2, vcc, s11, v2
	v_addc_co_u32_e32 v3, vcc, v7, v3, vcc
	v_cmp_gt_u32_e32 vcc, s15, v0
	v_cndmask_b32_e32 v3, v3, v5, vcc
	v_cndmask_b32_e32 v2, v2, v4, vcc
	global_load_ushort v2, v[2:3], off
	s_or_b64 exec, exec, s[0:1]
	v_cmp_gt_u32_e32 vcc, s6, v8
	s_and_saveexec_b64 s[2:3], vcc
	s_cbranch_execz .LBB1241_6
.LBB1241_45:
	v_mov_b32_e32 v9, 0
	v_lshlrev_b64 v[12:13], 1, v[8:9]
	v_mov_b32_e32 v7, s9
	v_add_co_u32_e32 v10, vcc, s8, v12
	v_addc_co_u32_e32 v7, vcc, v7, v13, vcc
	v_cmp_gt_u32_e32 vcc, s15, v8
	v_subrev_u32_e32 v8, s15, v8
	v_lshlrev_b64 v[8:9], 1, v[8:9]
	v_mov_b32_e32 v12, s12
	v_add_co_u32_e64 v8, s[0:1], s11, v8
	v_addc_co_u32_e64 v9, s[0:1], v12, v9, s[0:1]
	v_cndmask_b32_e32 v9, v9, v7, vcc
	v_cndmask_b32_e32 v8, v8, v10, vcc
	global_load_ushort v7, v[8:9], off
	s_mov_b32 s0, 0x5040100
	s_waitcnt vmcnt(0)
	v_perm_b32 v2, v7, v2, s0
	s_or_b64 exec, exec, s[2:3]
	v_cmp_gt_u32_e32 vcc, s6, v6
	s_and_saveexec_b64 s[0:1], vcc
	s_cbranch_execnz .LBB1241_7
	s_branch .LBB1241_8
.LBB1241_46:
	ds_read_u16 v0, v11
	s_waitcnt lgkmcnt(0)
	global_store_short v[2:3], v0, off
	s_or_b64 exec, exec, s[0:1]
	v_cmp_gt_u32_e32 vcc, s2, v10
	s_and_saveexec_b64 s[0:1], vcc
	s_cbranch_execz .LBB1241_34
.LBB1241_47:
	s_waitcnt lgkmcnt(6)
	global_store_short v[2:3], v21, off offset:256
	s_or_b64 exec, exec, s[0:1]
	v_cmp_gt_u32_e32 vcc, s2, v9
	s_and_saveexec_b64 s[0:1], vcc
	s_cbranch_execz .LBB1241_35
.LBB1241_48:
	s_waitcnt lgkmcnt(5)
	global_store_short v[2:3], v20, off offset:512
	s_or_b64 exec, exec, s[0:1]
	v_cmp_gt_u32_e32 vcc, s2, v8
	s_and_saveexec_b64 s[0:1], vcc
	s_cbranch_execz .LBB1241_36
.LBB1241_49:
	s_waitcnt lgkmcnt(4)
	global_store_short v[2:3], v19, off offset:768
	s_or_b64 exec, exec, s[0:1]
	v_cmp_gt_u32_e32 vcc, s2, v7
	s_and_saveexec_b64 s[0:1], vcc
	s_cbranch_execz .LBB1241_37
.LBB1241_50:
	s_waitcnt lgkmcnt(3)
	global_store_short v[2:3], v14, off offset:1024
	s_or_b64 exec, exec, s[0:1]
	v_cmp_gt_u32_e32 vcc, s2, v6
	s_and_saveexec_b64 s[0:1], vcc
	s_cbranch_execz .LBB1241_38
.LBB1241_51:
	s_waitcnt lgkmcnt(2)
	global_store_short v[2:3], v13, off offset:1280
	s_or_b64 exec, exec, s[0:1]
	v_cmp_gt_u32_e32 vcc, s2, v5
	s_and_saveexec_b64 s[0:1], vcc
	s_cbranch_execnz .LBB1241_39
	s_branch .LBB1241_40
	.section	.rodata,"a",@progbits
	.p2align	6, 0x0
	.amdhsa_kernel _ZN7rocprim17ROCPRIM_400000_NS6detail17trampoline_kernelINS0_14default_configENS1_38merge_sort_block_merge_config_selectorItNS0_10empty_typeEEEZZNS1_27merge_sort_block_merge_implIS3_N6thrust23THRUST_200600_302600_NS6detail15normal_iteratorINS9_10device_ptrItEEEEPS5_jNS1_19radix_merge_compareILb0ELb0EtNS0_19identity_decomposerEEEEE10hipError_tT0_T1_T2_jT3_P12ihipStream_tbPNSt15iterator_traitsISK_E10value_typeEPNSQ_ISL_E10value_typeEPSM_NS1_7vsmem_tEENKUlT_SK_SL_SM_E_clISE_PtSF_SF_EESJ_SZ_SK_SL_SM_EUlSZ_E0_NS1_11comp_targetILNS1_3genE4ELNS1_11target_archE910ELNS1_3gpuE8ELNS1_3repE0EEENS1_38merge_mergepath_config_static_selectorELNS0_4arch9wavefront6targetE1EEEvSL_
		.amdhsa_group_segment_fixed_size 2112
		.amdhsa_private_segment_fixed_size 0
		.amdhsa_kernarg_size 320
		.amdhsa_user_sgpr_count 6
		.amdhsa_user_sgpr_private_segment_buffer 1
		.amdhsa_user_sgpr_dispatch_ptr 0
		.amdhsa_user_sgpr_queue_ptr 0
		.amdhsa_user_sgpr_kernarg_segment_ptr 1
		.amdhsa_user_sgpr_dispatch_id 0
		.amdhsa_user_sgpr_flat_scratch_init 0
		.amdhsa_user_sgpr_kernarg_preload_length 0
		.amdhsa_user_sgpr_kernarg_preload_offset 0
		.amdhsa_user_sgpr_private_segment_size 0
		.amdhsa_uses_dynamic_stack 0
		.amdhsa_system_sgpr_private_segment_wavefront_offset 0
		.amdhsa_system_sgpr_workgroup_id_x 1
		.amdhsa_system_sgpr_workgroup_id_y 1
		.amdhsa_system_sgpr_workgroup_id_z 1
		.amdhsa_system_sgpr_workgroup_info 0
		.amdhsa_system_vgpr_workitem_id 0
		.amdhsa_next_free_vgpr 26
		.amdhsa_next_free_sgpr 24
		.amdhsa_accum_offset 28
		.amdhsa_reserve_vcc 1
		.amdhsa_reserve_flat_scratch 0
		.amdhsa_float_round_mode_32 0
		.amdhsa_float_round_mode_16_64 0
		.amdhsa_float_denorm_mode_32 3
		.amdhsa_float_denorm_mode_16_64 3
		.amdhsa_dx10_clamp 1
		.amdhsa_ieee_mode 1
		.amdhsa_fp16_overflow 0
		.amdhsa_tg_split 0
		.amdhsa_exception_fp_ieee_invalid_op 0
		.amdhsa_exception_fp_denorm_src 0
		.amdhsa_exception_fp_ieee_div_zero 0
		.amdhsa_exception_fp_ieee_overflow 0
		.amdhsa_exception_fp_ieee_underflow 0
		.amdhsa_exception_fp_ieee_inexact 0
		.amdhsa_exception_int_div_zero 0
	.end_amdhsa_kernel
	.section	.text._ZN7rocprim17ROCPRIM_400000_NS6detail17trampoline_kernelINS0_14default_configENS1_38merge_sort_block_merge_config_selectorItNS0_10empty_typeEEEZZNS1_27merge_sort_block_merge_implIS3_N6thrust23THRUST_200600_302600_NS6detail15normal_iteratorINS9_10device_ptrItEEEEPS5_jNS1_19radix_merge_compareILb0ELb0EtNS0_19identity_decomposerEEEEE10hipError_tT0_T1_T2_jT3_P12ihipStream_tbPNSt15iterator_traitsISK_E10value_typeEPNSQ_ISL_E10value_typeEPSM_NS1_7vsmem_tEENKUlT_SK_SL_SM_E_clISE_PtSF_SF_EESJ_SZ_SK_SL_SM_EUlSZ_E0_NS1_11comp_targetILNS1_3genE4ELNS1_11target_archE910ELNS1_3gpuE8ELNS1_3repE0EEENS1_38merge_mergepath_config_static_selectorELNS0_4arch9wavefront6targetE1EEEvSL_,"axG",@progbits,_ZN7rocprim17ROCPRIM_400000_NS6detail17trampoline_kernelINS0_14default_configENS1_38merge_sort_block_merge_config_selectorItNS0_10empty_typeEEEZZNS1_27merge_sort_block_merge_implIS3_N6thrust23THRUST_200600_302600_NS6detail15normal_iteratorINS9_10device_ptrItEEEEPS5_jNS1_19radix_merge_compareILb0ELb0EtNS0_19identity_decomposerEEEEE10hipError_tT0_T1_T2_jT3_P12ihipStream_tbPNSt15iterator_traitsISK_E10value_typeEPNSQ_ISL_E10value_typeEPSM_NS1_7vsmem_tEENKUlT_SK_SL_SM_E_clISE_PtSF_SF_EESJ_SZ_SK_SL_SM_EUlSZ_E0_NS1_11comp_targetILNS1_3genE4ELNS1_11target_archE910ELNS1_3gpuE8ELNS1_3repE0EEENS1_38merge_mergepath_config_static_selectorELNS0_4arch9wavefront6targetE1EEEvSL_,comdat
.Lfunc_end1241:
	.size	_ZN7rocprim17ROCPRIM_400000_NS6detail17trampoline_kernelINS0_14default_configENS1_38merge_sort_block_merge_config_selectorItNS0_10empty_typeEEEZZNS1_27merge_sort_block_merge_implIS3_N6thrust23THRUST_200600_302600_NS6detail15normal_iteratorINS9_10device_ptrItEEEEPS5_jNS1_19radix_merge_compareILb0ELb0EtNS0_19identity_decomposerEEEEE10hipError_tT0_T1_T2_jT3_P12ihipStream_tbPNSt15iterator_traitsISK_E10value_typeEPNSQ_ISL_E10value_typeEPSM_NS1_7vsmem_tEENKUlT_SK_SL_SM_E_clISE_PtSF_SF_EESJ_SZ_SK_SL_SM_EUlSZ_E0_NS1_11comp_targetILNS1_3genE4ELNS1_11target_archE910ELNS1_3gpuE8ELNS1_3repE0EEENS1_38merge_mergepath_config_static_selectorELNS0_4arch9wavefront6targetE1EEEvSL_, .Lfunc_end1241-_ZN7rocprim17ROCPRIM_400000_NS6detail17trampoline_kernelINS0_14default_configENS1_38merge_sort_block_merge_config_selectorItNS0_10empty_typeEEEZZNS1_27merge_sort_block_merge_implIS3_N6thrust23THRUST_200600_302600_NS6detail15normal_iteratorINS9_10device_ptrItEEEEPS5_jNS1_19radix_merge_compareILb0ELb0EtNS0_19identity_decomposerEEEEE10hipError_tT0_T1_T2_jT3_P12ihipStream_tbPNSt15iterator_traitsISK_E10value_typeEPNSQ_ISL_E10value_typeEPSM_NS1_7vsmem_tEENKUlT_SK_SL_SM_E_clISE_PtSF_SF_EESJ_SZ_SK_SL_SM_EUlSZ_E0_NS1_11comp_targetILNS1_3genE4ELNS1_11target_archE910ELNS1_3gpuE8ELNS1_3repE0EEENS1_38merge_mergepath_config_static_selectorELNS0_4arch9wavefront6targetE1EEEvSL_
                                        ; -- End function
	.section	.AMDGPU.csdata,"",@progbits
; Kernel info:
; codeLenInByte = 3760
; NumSgprs: 28
; NumVgprs: 26
; NumAgprs: 0
; TotalNumVgprs: 26
; ScratchSize: 0
; MemoryBound: 0
; FloatMode: 240
; IeeeMode: 1
; LDSByteSize: 2112 bytes/workgroup (compile time only)
; SGPRBlocks: 3
; VGPRBlocks: 3
; NumSGPRsForWavesPerEU: 28
; NumVGPRsForWavesPerEU: 26
; AccumOffset: 28
; Occupancy: 8
; WaveLimiterHint : 1
; COMPUTE_PGM_RSRC2:SCRATCH_EN: 0
; COMPUTE_PGM_RSRC2:USER_SGPR: 6
; COMPUTE_PGM_RSRC2:TRAP_HANDLER: 0
; COMPUTE_PGM_RSRC2:TGID_X_EN: 1
; COMPUTE_PGM_RSRC2:TGID_Y_EN: 1
; COMPUTE_PGM_RSRC2:TGID_Z_EN: 1
; COMPUTE_PGM_RSRC2:TIDIG_COMP_CNT: 0
; COMPUTE_PGM_RSRC3_GFX90A:ACCUM_OFFSET: 6
; COMPUTE_PGM_RSRC3_GFX90A:TG_SPLIT: 0
	.section	.text._ZN7rocprim17ROCPRIM_400000_NS6detail17trampoline_kernelINS0_14default_configENS1_38merge_sort_block_merge_config_selectorItNS0_10empty_typeEEEZZNS1_27merge_sort_block_merge_implIS3_N6thrust23THRUST_200600_302600_NS6detail15normal_iteratorINS9_10device_ptrItEEEEPS5_jNS1_19radix_merge_compareILb0ELb0EtNS0_19identity_decomposerEEEEE10hipError_tT0_T1_T2_jT3_P12ihipStream_tbPNSt15iterator_traitsISK_E10value_typeEPNSQ_ISL_E10value_typeEPSM_NS1_7vsmem_tEENKUlT_SK_SL_SM_E_clISE_PtSF_SF_EESJ_SZ_SK_SL_SM_EUlSZ_E0_NS1_11comp_targetILNS1_3genE3ELNS1_11target_archE908ELNS1_3gpuE7ELNS1_3repE0EEENS1_38merge_mergepath_config_static_selectorELNS0_4arch9wavefront6targetE1EEEvSL_,"axG",@progbits,_ZN7rocprim17ROCPRIM_400000_NS6detail17trampoline_kernelINS0_14default_configENS1_38merge_sort_block_merge_config_selectorItNS0_10empty_typeEEEZZNS1_27merge_sort_block_merge_implIS3_N6thrust23THRUST_200600_302600_NS6detail15normal_iteratorINS9_10device_ptrItEEEEPS5_jNS1_19radix_merge_compareILb0ELb0EtNS0_19identity_decomposerEEEEE10hipError_tT0_T1_T2_jT3_P12ihipStream_tbPNSt15iterator_traitsISK_E10value_typeEPNSQ_ISL_E10value_typeEPSM_NS1_7vsmem_tEENKUlT_SK_SL_SM_E_clISE_PtSF_SF_EESJ_SZ_SK_SL_SM_EUlSZ_E0_NS1_11comp_targetILNS1_3genE3ELNS1_11target_archE908ELNS1_3gpuE7ELNS1_3repE0EEENS1_38merge_mergepath_config_static_selectorELNS0_4arch9wavefront6targetE1EEEvSL_,comdat
	.protected	_ZN7rocprim17ROCPRIM_400000_NS6detail17trampoline_kernelINS0_14default_configENS1_38merge_sort_block_merge_config_selectorItNS0_10empty_typeEEEZZNS1_27merge_sort_block_merge_implIS3_N6thrust23THRUST_200600_302600_NS6detail15normal_iteratorINS9_10device_ptrItEEEEPS5_jNS1_19radix_merge_compareILb0ELb0EtNS0_19identity_decomposerEEEEE10hipError_tT0_T1_T2_jT3_P12ihipStream_tbPNSt15iterator_traitsISK_E10value_typeEPNSQ_ISL_E10value_typeEPSM_NS1_7vsmem_tEENKUlT_SK_SL_SM_E_clISE_PtSF_SF_EESJ_SZ_SK_SL_SM_EUlSZ_E0_NS1_11comp_targetILNS1_3genE3ELNS1_11target_archE908ELNS1_3gpuE7ELNS1_3repE0EEENS1_38merge_mergepath_config_static_selectorELNS0_4arch9wavefront6targetE1EEEvSL_ ; -- Begin function _ZN7rocprim17ROCPRIM_400000_NS6detail17trampoline_kernelINS0_14default_configENS1_38merge_sort_block_merge_config_selectorItNS0_10empty_typeEEEZZNS1_27merge_sort_block_merge_implIS3_N6thrust23THRUST_200600_302600_NS6detail15normal_iteratorINS9_10device_ptrItEEEEPS5_jNS1_19radix_merge_compareILb0ELb0EtNS0_19identity_decomposerEEEEE10hipError_tT0_T1_T2_jT3_P12ihipStream_tbPNSt15iterator_traitsISK_E10value_typeEPNSQ_ISL_E10value_typeEPSM_NS1_7vsmem_tEENKUlT_SK_SL_SM_E_clISE_PtSF_SF_EESJ_SZ_SK_SL_SM_EUlSZ_E0_NS1_11comp_targetILNS1_3genE3ELNS1_11target_archE908ELNS1_3gpuE7ELNS1_3repE0EEENS1_38merge_mergepath_config_static_selectorELNS0_4arch9wavefront6targetE1EEEvSL_
	.globl	_ZN7rocprim17ROCPRIM_400000_NS6detail17trampoline_kernelINS0_14default_configENS1_38merge_sort_block_merge_config_selectorItNS0_10empty_typeEEEZZNS1_27merge_sort_block_merge_implIS3_N6thrust23THRUST_200600_302600_NS6detail15normal_iteratorINS9_10device_ptrItEEEEPS5_jNS1_19radix_merge_compareILb0ELb0EtNS0_19identity_decomposerEEEEE10hipError_tT0_T1_T2_jT3_P12ihipStream_tbPNSt15iterator_traitsISK_E10value_typeEPNSQ_ISL_E10value_typeEPSM_NS1_7vsmem_tEENKUlT_SK_SL_SM_E_clISE_PtSF_SF_EESJ_SZ_SK_SL_SM_EUlSZ_E0_NS1_11comp_targetILNS1_3genE3ELNS1_11target_archE908ELNS1_3gpuE7ELNS1_3repE0EEENS1_38merge_mergepath_config_static_selectorELNS0_4arch9wavefront6targetE1EEEvSL_
	.p2align	8
	.type	_ZN7rocprim17ROCPRIM_400000_NS6detail17trampoline_kernelINS0_14default_configENS1_38merge_sort_block_merge_config_selectorItNS0_10empty_typeEEEZZNS1_27merge_sort_block_merge_implIS3_N6thrust23THRUST_200600_302600_NS6detail15normal_iteratorINS9_10device_ptrItEEEEPS5_jNS1_19radix_merge_compareILb0ELb0EtNS0_19identity_decomposerEEEEE10hipError_tT0_T1_T2_jT3_P12ihipStream_tbPNSt15iterator_traitsISK_E10value_typeEPNSQ_ISL_E10value_typeEPSM_NS1_7vsmem_tEENKUlT_SK_SL_SM_E_clISE_PtSF_SF_EESJ_SZ_SK_SL_SM_EUlSZ_E0_NS1_11comp_targetILNS1_3genE3ELNS1_11target_archE908ELNS1_3gpuE7ELNS1_3repE0EEENS1_38merge_mergepath_config_static_selectorELNS0_4arch9wavefront6targetE1EEEvSL_,@function
_ZN7rocprim17ROCPRIM_400000_NS6detail17trampoline_kernelINS0_14default_configENS1_38merge_sort_block_merge_config_selectorItNS0_10empty_typeEEEZZNS1_27merge_sort_block_merge_implIS3_N6thrust23THRUST_200600_302600_NS6detail15normal_iteratorINS9_10device_ptrItEEEEPS5_jNS1_19radix_merge_compareILb0ELb0EtNS0_19identity_decomposerEEEEE10hipError_tT0_T1_T2_jT3_P12ihipStream_tbPNSt15iterator_traitsISK_E10value_typeEPNSQ_ISL_E10value_typeEPSM_NS1_7vsmem_tEENKUlT_SK_SL_SM_E_clISE_PtSF_SF_EESJ_SZ_SK_SL_SM_EUlSZ_E0_NS1_11comp_targetILNS1_3genE3ELNS1_11target_archE908ELNS1_3gpuE7ELNS1_3repE0EEENS1_38merge_mergepath_config_static_selectorELNS0_4arch9wavefront6targetE1EEEvSL_: ; @_ZN7rocprim17ROCPRIM_400000_NS6detail17trampoline_kernelINS0_14default_configENS1_38merge_sort_block_merge_config_selectorItNS0_10empty_typeEEEZZNS1_27merge_sort_block_merge_implIS3_N6thrust23THRUST_200600_302600_NS6detail15normal_iteratorINS9_10device_ptrItEEEEPS5_jNS1_19radix_merge_compareILb0ELb0EtNS0_19identity_decomposerEEEEE10hipError_tT0_T1_T2_jT3_P12ihipStream_tbPNSt15iterator_traitsISK_E10value_typeEPNSQ_ISL_E10value_typeEPSM_NS1_7vsmem_tEENKUlT_SK_SL_SM_E_clISE_PtSF_SF_EESJ_SZ_SK_SL_SM_EUlSZ_E0_NS1_11comp_targetILNS1_3genE3ELNS1_11target_archE908ELNS1_3gpuE7ELNS1_3repE0EEENS1_38merge_mergepath_config_static_selectorELNS0_4arch9wavefront6targetE1EEEvSL_
; %bb.0:
	.section	.rodata,"a",@progbits
	.p2align	6, 0x0
	.amdhsa_kernel _ZN7rocprim17ROCPRIM_400000_NS6detail17trampoline_kernelINS0_14default_configENS1_38merge_sort_block_merge_config_selectorItNS0_10empty_typeEEEZZNS1_27merge_sort_block_merge_implIS3_N6thrust23THRUST_200600_302600_NS6detail15normal_iteratorINS9_10device_ptrItEEEEPS5_jNS1_19radix_merge_compareILb0ELb0EtNS0_19identity_decomposerEEEEE10hipError_tT0_T1_T2_jT3_P12ihipStream_tbPNSt15iterator_traitsISK_E10value_typeEPNSQ_ISL_E10value_typeEPSM_NS1_7vsmem_tEENKUlT_SK_SL_SM_E_clISE_PtSF_SF_EESJ_SZ_SK_SL_SM_EUlSZ_E0_NS1_11comp_targetILNS1_3genE3ELNS1_11target_archE908ELNS1_3gpuE7ELNS1_3repE0EEENS1_38merge_mergepath_config_static_selectorELNS0_4arch9wavefront6targetE1EEEvSL_
		.amdhsa_group_segment_fixed_size 0
		.amdhsa_private_segment_fixed_size 0
		.amdhsa_kernarg_size 64
		.amdhsa_user_sgpr_count 6
		.amdhsa_user_sgpr_private_segment_buffer 1
		.amdhsa_user_sgpr_dispatch_ptr 0
		.amdhsa_user_sgpr_queue_ptr 0
		.amdhsa_user_sgpr_kernarg_segment_ptr 1
		.amdhsa_user_sgpr_dispatch_id 0
		.amdhsa_user_sgpr_flat_scratch_init 0
		.amdhsa_user_sgpr_kernarg_preload_length 0
		.amdhsa_user_sgpr_kernarg_preload_offset 0
		.amdhsa_user_sgpr_private_segment_size 0
		.amdhsa_uses_dynamic_stack 0
		.amdhsa_system_sgpr_private_segment_wavefront_offset 0
		.amdhsa_system_sgpr_workgroup_id_x 1
		.amdhsa_system_sgpr_workgroup_id_y 0
		.amdhsa_system_sgpr_workgroup_id_z 0
		.amdhsa_system_sgpr_workgroup_info 0
		.amdhsa_system_vgpr_workitem_id 0
		.amdhsa_next_free_vgpr 1
		.amdhsa_next_free_sgpr 0
		.amdhsa_accum_offset 4
		.amdhsa_reserve_vcc 0
		.amdhsa_reserve_flat_scratch 0
		.amdhsa_float_round_mode_32 0
		.amdhsa_float_round_mode_16_64 0
		.amdhsa_float_denorm_mode_32 3
		.amdhsa_float_denorm_mode_16_64 3
		.amdhsa_dx10_clamp 1
		.amdhsa_ieee_mode 1
		.amdhsa_fp16_overflow 0
		.amdhsa_tg_split 0
		.amdhsa_exception_fp_ieee_invalid_op 0
		.amdhsa_exception_fp_denorm_src 0
		.amdhsa_exception_fp_ieee_div_zero 0
		.amdhsa_exception_fp_ieee_overflow 0
		.amdhsa_exception_fp_ieee_underflow 0
		.amdhsa_exception_fp_ieee_inexact 0
		.amdhsa_exception_int_div_zero 0
	.end_amdhsa_kernel
	.section	.text._ZN7rocprim17ROCPRIM_400000_NS6detail17trampoline_kernelINS0_14default_configENS1_38merge_sort_block_merge_config_selectorItNS0_10empty_typeEEEZZNS1_27merge_sort_block_merge_implIS3_N6thrust23THRUST_200600_302600_NS6detail15normal_iteratorINS9_10device_ptrItEEEEPS5_jNS1_19radix_merge_compareILb0ELb0EtNS0_19identity_decomposerEEEEE10hipError_tT0_T1_T2_jT3_P12ihipStream_tbPNSt15iterator_traitsISK_E10value_typeEPNSQ_ISL_E10value_typeEPSM_NS1_7vsmem_tEENKUlT_SK_SL_SM_E_clISE_PtSF_SF_EESJ_SZ_SK_SL_SM_EUlSZ_E0_NS1_11comp_targetILNS1_3genE3ELNS1_11target_archE908ELNS1_3gpuE7ELNS1_3repE0EEENS1_38merge_mergepath_config_static_selectorELNS0_4arch9wavefront6targetE1EEEvSL_,"axG",@progbits,_ZN7rocprim17ROCPRIM_400000_NS6detail17trampoline_kernelINS0_14default_configENS1_38merge_sort_block_merge_config_selectorItNS0_10empty_typeEEEZZNS1_27merge_sort_block_merge_implIS3_N6thrust23THRUST_200600_302600_NS6detail15normal_iteratorINS9_10device_ptrItEEEEPS5_jNS1_19radix_merge_compareILb0ELb0EtNS0_19identity_decomposerEEEEE10hipError_tT0_T1_T2_jT3_P12ihipStream_tbPNSt15iterator_traitsISK_E10value_typeEPNSQ_ISL_E10value_typeEPSM_NS1_7vsmem_tEENKUlT_SK_SL_SM_E_clISE_PtSF_SF_EESJ_SZ_SK_SL_SM_EUlSZ_E0_NS1_11comp_targetILNS1_3genE3ELNS1_11target_archE908ELNS1_3gpuE7ELNS1_3repE0EEENS1_38merge_mergepath_config_static_selectorELNS0_4arch9wavefront6targetE1EEEvSL_,comdat
.Lfunc_end1242:
	.size	_ZN7rocprim17ROCPRIM_400000_NS6detail17trampoline_kernelINS0_14default_configENS1_38merge_sort_block_merge_config_selectorItNS0_10empty_typeEEEZZNS1_27merge_sort_block_merge_implIS3_N6thrust23THRUST_200600_302600_NS6detail15normal_iteratorINS9_10device_ptrItEEEEPS5_jNS1_19radix_merge_compareILb0ELb0EtNS0_19identity_decomposerEEEEE10hipError_tT0_T1_T2_jT3_P12ihipStream_tbPNSt15iterator_traitsISK_E10value_typeEPNSQ_ISL_E10value_typeEPSM_NS1_7vsmem_tEENKUlT_SK_SL_SM_E_clISE_PtSF_SF_EESJ_SZ_SK_SL_SM_EUlSZ_E0_NS1_11comp_targetILNS1_3genE3ELNS1_11target_archE908ELNS1_3gpuE7ELNS1_3repE0EEENS1_38merge_mergepath_config_static_selectorELNS0_4arch9wavefront6targetE1EEEvSL_, .Lfunc_end1242-_ZN7rocprim17ROCPRIM_400000_NS6detail17trampoline_kernelINS0_14default_configENS1_38merge_sort_block_merge_config_selectorItNS0_10empty_typeEEEZZNS1_27merge_sort_block_merge_implIS3_N6thrust23THRUST_200600_302600_NS6detail15normal_iteratorINS9_10device_ptrItEEEEPS5_jNS1_19radix_merge_compareILb0ELb0EtNS0_19identity_decomposerEEEEE10hipError_tT0_T1_T2_jT3_P12ihipStream_tbPNSt15iterator_traitsISK_E10value_typeEPNSQ_ISL_E10value_typeEPSM_NS1_7vsmem_tEENKUlT_SK_SL_SM_E_clISE_PtSF_SF_EESJ_SZ_SK_SL_SM_EUlSZ_E0_NS1_11comp_targetILNS1_3genE3ELNS1_11target_archE908ELNS1_3gpuE7ELNS1_3repE0EEENS1_38merge_mergepath_config_static_selectorELNS0_4arch9wavefront6targetE1EEEvSL_
                                        ; -- End function
	.section	.AMDGPU.csdata,"",@progbits
; Kernel info:
; codeLenInByte = 0
; NumSgprs: 4
; NumVgprs: 0
; NumAgprs: 0
; TotalNumVgprs: 0
; ScratchSize: 0
; MemoryBound: 0
; FloatMode: 240
; IeeeMode: 1
; LDSByteSize: 0 bytes/workgroup (compile time only)
; SGPRBlocks: 0
; VGPRBlocks: 0
; NumSGPRsForWavesPerEU: 4
; NumVGPRsForWavesPerEU: 1
; AccumOffset: 4
; Occupancy: 8
; WaveLimiterHint : 0
; COMPUTE_PGM_RSRC2:SCRATCH_EN: 0
; COMPUTE_PGM_RSRC2:USER_SGPR: 6
; COMPUTE_PGM_RSRC2:TRAP_HANDLER: 0
; COMPUTE_PGM_RSRC2:TGID_X_EN: 1
; COMPUTE_PGM_RSRC2:TGID_Y_EN: 0
; COMPUTE_PGM_RSRC2:TGID_Z_EN: 0
; COMPUTE_PGM_RSRC2:TIDIG_COMP_CNT: 0
; COMPUTE_PGM_RSRC3_GFX90A:ACCUM_OFFSET: 0
; COMPUTE_PGM_RSRC3_GFX90A:TG_SPLIT: 0
	.section	.text._ZN7rocprim17ROCPRIM_400000_NS6detail17trampoline_kernelINS0_14default_configENS1_38merge_sort_block_merge_config_selectorItNS0_10empty_typeEEEZZNS1_27merge_sort_block_merge_implIS3_N6thrust23THRUST_200600_302600_NS6detail15normal_iteratorINS9_10device_ptrItEEEEPS5_jNS1_19radix_merge_compareILb0ELb0EtNS0_19identity_decomposerEEEEE10hipError_tT0_T1_T2_jT3_P12ihipStream_tbPNSt15iterator_traitsISK_E10value_typeEPNSQ_ISL_E10value_typeEPSM_NS1_7vsmem_tEENKUlT_SK_SL_SM_E_clISE_PtSF_SF_EESJ_SZ_SK_SL_SM_EUlSZ_E0_NS1_11comp_targetILNS1_3genE2ELNS1_11target_archE906ELNS1_3gpuE6ELNS1_3repE0EEENS1_38merge_mergepath_config_static_selectorELNS0_4arch9wavefront6targetE1EEEvSL_,"axG",@progbits,_ZN7rocprim17ROCPRIM_400000_NS6detail17trampoline_kernelINS0_14default_configENS1_38merge_sort_block_merge_config_selectorItNS0_10empty_typeEEEZZNS1_27merge_sort_block_merge_implIS3_N6thrust23THRUST_200600_302600_NS6detail15normal_iteratorINS9_10device_ptrItEEEEPS5_jNS1_19radix_merge_compareILb0ELb0EtNS0_19identity_decomposerEEEEE10hipError_tT0_T1_T2_jT3_P12ihipStream_tbPNSt15iterator_traitsISK_E10value_typeEPNSQ_ISL_E10value_typeEPSM_NS1_7vsmem_tEENKUlT_SK_SL_SM_E_clISE_PtSF_SF_EESJ_SZ_SK_SL_SM_EUlSZ_E0_NS1_11comp_targetILNS1_3genE2ELNS1_11target_archE906ELNS1_3gpuE6ELNS1_3repE0EEENS1_38merge_mergepath_config_static_selectorELNS0_4arch9wavefront6targetE1EEEvSL_,comdat
	.protected	_ZN7rocprim17ROCPRIM_400000_NS6detail17trampoline_kernelINS0_14default_configENS1_38merge_sort_block_merge_config_selectorItNS0_10empty_typeEEEZZNS1_27merge_sort_block_merge_implIS3_N6thrust23THRUST_200600_302600_NS6detail15normal_iteratorINS9_10device_ptrItEEEEPS5_jNS1_19radix_merge_compareILb0ELb0EtNS0_19identity_decomposerEEEEE10hipError_tT0_T1_T2_jT3_P12ihipStream_tbPNSt15iterator_traitsISK_E10value_typeEPNSQ_ISL_E10value_typeEPSM_NS1_7vsmem_tEENKUlT_SK_SL_SM_E_clISE_PtSF_SF_EESJ_SZ_SK_SL_SM_EUlSZ_E0_NS1_11comp_targetILNS1_3genE2ELNS1_11target_archE906ELNS1_3gpuE6ELNS1_3repE0EEENS1_38merge_mergepath_config_static_selectorELNS0_4arch9wavefront6targetE1EEEvSL_ ; -- Begin function _ZN7rocprim17ROCPRIM_400000_NS6detail17trampoline_kernelINS0_14default_configENS1_38merge_sort_block_merge_config_selectorItNS0_10empty_typeEEEZZNS1_27merge_sort_block_merge_implIS3_N6thrust23THRUST_200600_302600_NS6detail15normal_iteratorINS9_10device_ptrItEEEEPS5_jNS1_19radix_merge_compareILb0ELb0EtNS0_19identity_decomposerEEEEE10hipError_tT0_T1_T2_jT3_P12ihipStream_tbPNSt15iterator_traitsISK_E10value_typeEPNSQ_ISL_E10value_typeEPSM_NS1_7vsmem_tEENKUlT_SK_SL_SM_E_clISE_PtSF_SF_EESJ_SZ_SK_SL_SM_EUlSZ_E0_NS1_11comp_targetILNS1_3genE2ELNS1_11target_archE906ELNS1_3gpuE6ELNS1_3repE0EEENS1_38merge_mergepath_config_static_selectorELNS0_4arch9wavefront6targetE1EEEvSL_
	.globl	_ZN7rocprim17ROCPRIM_400000_NS6detail17trampoline_kernelINS0_14default_configENS1_38merge_sort_block_merge_config_selectorItNS0_10empty_typeEEEZZNS1_27merge_sort_block_merge_implIS3_N6thrust23THRUST_200600_302600_NS6detail15normal_iteratorINS9_10device_ptrItEEEEPS5_jNS1_19radix_merge_compareILb0ELb0EtNS0_19identity_decomposerEEEEE10hipError_tT0_T1_T2_jT3_P12ihipStream_tbPNSt15iterator_traitsISK_E10value_typeEPNSQ_ISL_E10value_typeEPSM_NS1_7vsmem_tEENKUlT_SK_SL_SM_E_clISE_PtSF_SF_EESJ_SZ_SK_SL_SM_EUlSZ_E0_NS1_11comp_targetILNS1_3genE2ELNS1_11target_archE906ELNS1_3gpuE6ELNS1_3repE0EEENS1_38merge_mergepath_config_static_selectorELNS0_4arch9wavefront6targetE1EEEvSL_
	.p2align	8
	.type	_ZN7rocprim17ROCPRIM_400000_NS6detail17trampoline_kernelINS0_14default_configENS1_38merge_sort_block_merge_config_selectorItNS0_10empty_typeEEEZZNS1_27merge_sort_block_merge_implIS3_N6thrust23THRUST_200600_302600_NS6detail15normal_iteratorINS9_10device_ptrItEEEEPS5_jNS1_19radix_merge_compareILb0ELb0EtNS0_19identity_decomposerEEEEE10hipError_tT0_T1_T2_jT3_P12ihipStream_tbPNSt15iterator_traitsISK_E10value_typeEPNSQ_ISL_E10value_typeEPSM_NS1_7vsmem_tEENKUlT_SK_SL_SM_E_clISE_PtSF_SF_EESJ_SZ_SK_SL_SM_EUlSZ_E0_NS1_11comp_targetILNS1_3genE2ELNS1_11target_archE906ELNS1_3gpuE6ELNS1_3repE0EEENS1_38merge_mergepath_config_static_selectorELNS0_4arch9wavefront6targetE1EEEvSL_,@function
_ZN7rocprim17ROCPRIM_400000_NS6detail17trampoline_kernelINS0_14default_configENS1_38merge_sort_block_merge_config_selectorItNS0_10empty_typeEEEZZNS1_27merge_sort_block_merge_implIS3_N6thrust23THRUST_200600_302600_NS6detail15normal_iteratorINS9_10device_ptrItEEEEPS5_jNS1_19radix_merge_compareILb0ELb0EtNS0_19identity_decomposerEEEEE10hipError_tT0_T1_T2_jT3_P12ihipStream_tbPNSt15iterator_traitsISK_E10value_typeEPNSQ_ISL_E10value_typeEPSM_NS1_7vsmem_tEENKUlT_SK_SL_SM_E_clISE_PtSF_SF_EESJ_SZ_SK_SL_SM_EUlSZ_E0_NS1_11comp_targetILNS1_3genE2ELNS1_11target_archE906ELNS1_3gpuE6ELNS1_3repE0EEENS1_38merge_mergepath_config_static_selectorELNS0_4arch9wavefront6targetE1EEEvSL_: ; @_ZN7rocprim17ROCPRIM_400000_NS6detail17trampoline_kernelINS0_14default_configENS1_38merge_sort_block_merge_config_selectorItNS0_10empty_typeEEEZZNS1_27merge_sort_block_merge_implIS3_N6thrust23THRUST_200600_302600_NS6detail15normal_iteratorINS9_10device_ptrItEEEEPS5_jNS1_19radix_merge_compareILb0ELb0EtNS0_19identity_decomposerEEEEE10hipError_tT0_T1_T2_jT3_P12ihipStream_tbPNSt15iterator_traitsISK_E10value_typeEPNSQ_ISL_E10value_typeEPSM_NS1_7vsmem_tEENKUlT_SK_SL_SM_E_clISE_PtSF_SF_EESJ_SZ_SK_SL_SM_EUlSZ_E0_NS1_11comp_targetILNS1_3genE2ELNS1_11target_archE906ELNS1_3gpuE6ELNS1_3repE0EEENS1_38merge_mergepath_config_static_selectorELNS0_4arch9wavefront6targetE1EEEvSL_
; %bb.0:
	.section	.rodata,"a",@progbits
	.p2align	6, 0x0
	.amdhsa_kernel _ZN7rocprim17ROCPRIM_400000_NS6detail17trampoline_kernelINS0_14default_configENS1_38merge_sort_block_merge_config_selectorItNS0_10empty_typeEEEZZNS1_27merge_sort_block_merge_implIS3_N6thrust23THRUST_200600_302600_NS6detail15normal_iteratorINS9_10device_ptrItEEEEPS5_jNS1_19radix_merge_compareILb0ELb0EtNS0_19identity_decomposerEEEEE10hipError_tT0_T1_T2_jT3_P12ihipStream_tbPNSt15iterator_traitsISK_E10value_typeEPNSQ_ISL_E10value_typeEPSM_NS1_7vsmem_tEENKUlT_SK_SL_SM_E_clISE_PtSF_SF_EESJ_SZ_SK_SL_SM_EUlSZ_E0_NS1_11comp_targetILNS1_3genE2ELNS1_11target_archE906ELNS1_3gpuE6ELNS1_3repE0EEENS1_38merge_mergepath_config_static_selectorELNS0_4arch9wavefront6targetE1EEEvSL_
		.amdhsa_group_segment_fixed_size 0
		.amdhsa_private_segment_fixed_size 0
		.amdhsa_kernarg_size 64
		.amdhsa_user_sgpr_count 6
		.amdhsa_user_sgpr_private_segment_buffer 1
		.amdhsa_user_sgpr_dispatch_ptr 0
		.amdhsa_user_sgpr_queue_ptr 0
		.amdhsa_user_sgpr_kernarg_segment_ptr 1
		.amdhsa_user_sgpr_dispatch_id 0
		.amdhsa_user_sgpr_flat_scratch_init 0
		.amdhsa_user_sgpr_kernarg_preload_length 0
		.amdhsa_user_sgpr_kernarg_preload_offset 0
		.amdhsa_user_sgpr_private_segment_size 0
		.amdhsa_uses_dynamic_stack 0
		.amdhsa_system_sgpr_private_segment_wavefront_offset 0
		.amdhsa_system_sgpr_workgroup_id_x 1
		.amdhsa_system_sgpr_workgroup_id_y 0
		.amdhsa_system_sgpr_workgroup_id_z 0
		.amdhsa_system_sgpr_workgroup_info 0
		.amdhsa_system_vgpr_workitem_id 0
		.amdhsa_next_free_vgpr 1
		.amdhsa_next_free_sgpr 0
		.amdhsa_accum_offset 4
		.amdhsa_reserve_vcc 0
		.amdhsa_reserve_flat_scratch 0
		.amdhsa_float_round_mode_32 0
		.amdhsa_float_round_mode_16_64 0
		.amdhsa_float_denorm_mode_32 3
		.amdhsa_float_denorm_mode_16_64 3
		.amdhsa_dx10_clamp 1
		.amdhsa_ieee_mode 1
		.amdhsa_fp16_overflow 0
		.amdhsa_tg_split 0
		.amdhsa_exception_fp_ieee_invalid_op 0
		.amdhsa_exception_fp_denorm_src 0
		.amdhsa_exception_fp_ieee_div_zero 0
		.amdhsa_exception_fp_ieee_overflow 0
		.amdhsa_exception_fp_ieee_underflow 0
		.amdhsa_exception_fp_ieee_inexact 0
		.amdhsa_exception_int_div_zero 0
	.end_amdhsa_kernel
	.section	.text._ZN7rocprim17ROCPRIM_400000_NS6detail17trampoline_kernelINS0_14default_configENS1_38merge_sort_block_merge_config_selectorItNS0_10empty_typeEEEZZNS1_27merge_sort_block_merge_implIS3_N6thrust23THRUST_200600_302600_NS6detail15normal_iteratorINS9_10device_ptrItEEEEPS5_jNS1_19radix_merge_compareILb0ELb0EtNS0_19identity_decomposerEEEEE10hipError_tT0_T1_T2_jT3_P12ihipStream_tbPNSt15iterator_traitsISK_E10value_typeEPNSQ_ISL_E10value_typeEPSM_NS1_7vsmem_tEENKUlT_SK_SL_SM_E_clISE_PtSF_SF_EESJ_SZ_SK_SL_SM_EUlSZ_E0_NS1_11comp_targetILNS1_3genE2ELNS1_11target_archE906ELNS1_3gpuE6ELNS1_3repE0EEENS1_38merge_mergepath_config_static_selectorELNS0_4arch9wavefront6targetE1EEEvSL_,"axG",@progbits,_ZN7rocprim17ROCPRIM_400000_NS6detail17trampoline_kernelINS0_14default_configENS1_38merge_sort_block_merge_config_selectorItNS0_10empty_typeEEEZZNS1_27merge_sort_block_merge_implIS3_N6thrust23THRUST_200600_302600_NS6detail15normal_iteratorINS9_10device_ptrItEEEEPS5_jNS1_19radix_merge_compareILb0ELb0EtNS0_19identity_decomposerEEEEE10hipError_tT0_T1_T2_jT3_P12ihipStream_tbPNSt15iterator_traitsISK_E10value_typeEPNSQ_ISL_E10value_typeEPSM_NS1_7vsmem_tEENKUlT_SK_SL_SM_E_clISE_PtSF_SF_EESJ_SZ_SK_SL_SM_EUlSZ_E0_NS1_11comp_targetILNS1_3genE2ELNS1_11target_archE906ELNS1_3gpuE6ELNS1_3repE0EEENS1_38merge_mergepath_config_static_selectorELNS0_4arch9wavefront6targetE1EEEvSL_,comdat
.Lfunc_end1243:
	.size	_ZN7rocprim17ROCPRIM_400000_NS6detail17trampoline_kernelINS0_14default_configENS1_38merge_sort_block_merge_config_selectorItNS0_10empty_typeEEEZZNS1_27merge_sort_block_merge_implIS3_N6thrust23THRUST_200600_302600_NS6detail15normal_iteratorINS9_10device_ptrItEEEEPS5_jNS1_19radix_merge_compareILb0ELb0EtNS0_19identity_decomposerEEEEE10hipError_tT0_T1_T2_jT3_P12ihipStream_tbPNSt15iterator_traitsISK_E10value_typeEPNSQ_ISL_E10value_typeEPSM_NS1_7vsmem_tEENKUlT_SK_SL_SM_E_clISE_PtSF_SF_EESJ_SZ_SK_SL_SM_EUlSZ_E0_NS1_11comp_targetILNS1_3genE2ELNS1_11target_archE906ELNS1_3gpuE6ELNS1_3repE0EEENS1_38merge_mergepath_config_static_selectorELNS0_4arch9wavefront6targetE1EEEvSL_, .Lfunc_end1243-_ZN7rocprim17ROCPRIM_400000_NS6detail17trampoline_kernelINS0_14default_configENS1_38merge_sort_block_merge_config_selectorItNS0_10empty_typeEEEZZNS1_27merge_sort_block_merge_implIS3_N6thrust23THRUST_200600_302600_NS6detail15normal_iteratorINS9_10device_ptrItEEEEPS5_jNS1_19radix_merge_compareILb0ELb0EtNS0_19identity_decomposerEEEEE10hipError_tT0_T1_T2_jT3_P12ihipStream_tbPNSt15iterator_traitsISK_E10value_typeEPNSQ_ISL_E10value_typeEPSM_NS1_7vsmem_tEENKUlT_SK_SL_SM_E_clISE_PtSF_SF_EESJ_SZ_SK_SL_SM_EUlSZ_E0_NS1_11comp_targetILNS1_3genE2ELNS1_11target_archE906ELNS1_3gpuE6ELNS1_3repE0EEENS1_38merge_mergepath_config_static_selectorELNS0_4arch9wavefront6targetE1EEEvSL_
                                        ; -- End function
	.section	.AMDGPU.csdata,"",@progbits
; Kernel info:
; codeLenInByte = 0
; NumSgprs: 4
; NumVgprs: 0
; NumAgprs: 0
; TotalNumVgprs: 0
; ScratchSize: 0
; MemoryBound: 0
; FloatMode: 240
; IeeeMode: 1
; LDSByteSize: 0 bytes/workgroup (compile time only)
; SGPRBlocks: 0
; VGPRBlocks: 0
; NumSGPRsForWavesPerEU: 4
; NumVGPRsForWavesPerEU: 1
; AccumOffset: 4
; Occupancy: 8
; WaveLimiterHint : 0
; COMPUTE_PGM_RSRC2:SCRATCH_EN: 0
; COMPUTE_PGM_RSRC2:USER_SGPR: 6
; COMPUTE_PGM_RSRC2:TRAP_HANDLER: 0
; COMPUTE_PGM_RSRC2:TGID_X_EN: 1
; COMPUTE_PGM_RSRC2:TGID_Y_EN: 0
; COMPUTE_PGM_RSRC2:TGID_Z_EN: 0
; COMPUTE_PGM_RSRC2:TIDIG_COMP_CNT: 0
; COMPUTE_PGM_RSRC3_GFX90A:ACCUM_OFFSET: 0
; COMPUTE_PGM_RSRC3_GFX90A:TG_SPLIT: 0
	.section	.text._ZN7rocprim17ROCPRIM_400000_NS6detail17trampoline_kernelINS0_14default_configENS1_38merge_sort_block_merge_config_selectorItNS0_10empty_typeEEEZZNS1_27merge_sort_block_merge_implIS3_N6thrust23THRUST_200600_302600_NS6detail15normal_iteratorINS9_10device_ptrItEEEEPS5_jNS1_19radix_merge_compareILb0ELb0EtNS0_19identity_decomposerEEEEE10hipError_tT0_T1_T2_jT3_P12ihipStream_tbPNSt15iterator_traitsISK_E10value_typeEPNSQ_ISL_E10value_typeEPSM_NS1_7vsmem_tEENKUlT_SK_SL_SM_E_clISE_PtSF_SF_EESJ_SZ_SK_SL_SM_EUlSZ_E0_NS1_11comp_targetILNS1_3genE9ELNS1_11target_archE1100ELNS1_3gpuE3ELNS1_3repE0EEENS1_38merge_mergepath_config_static_selectorELNS0_4arch9wavefront6targetE1EEEvSL_,"axG",@progbits,_ZN7rocprim17ROCPRIM_400000_NS6detail17trampoline_kernelINS0_14default_configENS1_38merge_sort_block_merge_config_selectorItNS0_10empty_typeEEEZZNS1_27merge_sort_block_merge_implIS3_N6thrust23THRUST_200600_302600_NS6detail15normal_iteratorINS9_10device_ptrItEEEEPS5_jNS1_19radix_merge_compareILb0ELb0EtNS0_19identity_decomposerEEEEE10hipError_tT0_T1_T2_jT3_P12ihipStream_tbPNSt15iterator_traitsISK_E10value_typeEPNSQ_ISL_E10value_typeEPSM_NS1_7vsmem_tEENKUlT_SK_SL_SM_E_clISE_PtSF_SF_EESJ_SZ_SK_SL_SM_EUlSZ_E0_NS1_11comp_targetILNS1_3genE9ELNS1_11target_archE1100ELNS1_3gpuE3ELNS1_3repE0EEENS1_38merge_mergepath_config_static_selectorELNS0_4arch9wavefront6targetE1EEEvSL_,comdat
	.protected	_ZN7rocprim17ROCPRIM_400000_NS6detail17trampoline_kernelINS0_14default_configENS1_38merge_sort_block_merge_config_selectorItNS0_10empty_typeEEEZZNS1_27merge_sort_block_merge_implIS3_N6thrust23THRUST_200600_302600_NS6detail15normal_iteratorINS9_10device_ptrItEEEEPS5_jNS1_19radix_merge_compareILb0ELb0EtNS0_19identity_decomposerEEEEE10hipError_tT0_T1_T2_jT3_P12ihipStream_tbPNSt15iterator_traitsISK_E10value_typeEPNSQ_ISL_E10value_typeEPSM_NS1_7vsmem_tEENKUlT_SK_SL_SM_E_clISE_PtSF_SF_EESJ_SZ_SK_SL_SM_EUlSZ_E0_NS1_11comp_targetILNS1_3genE9ELNS1_11target_archE1100ELNS1_3gpuE3ELNS1_3repE0EEENS1_38merge_mergepath_config_static_selectorELNS0_4arch9wavefront6targetE1EEEvSL_ ; -- Begin function _ZN7rocprim17ROCPRIM_400000_NS6detail17trampoline_kernelINS0_14default_configENS1_38merge_sort_block_merge_config_selectorItNS0_10empty_typeEEEZZNS1_27merge_sort_block_merge_implIS3_N6thrust23THRUST_200600_302600_NS6detail15normal_iteratorINS9_10device_ptrItEEEEPS5_jNS1_19radix_merge_compareILb0ELb0EtNS0_19identity_decomposerEEEEE10hipError_tT0_T1_T2_jT3_P12ihipStream_tbPNSt15iterator_traitsISK_E10value_typeEPNSQ_ISL_E10value_typeEPSM_NS1_7vsmem_tEENKUlT_SK_SL_SM_E_clISE_PtSF_SF_EESJ_SZ_SK_SL_SM_EUlSZ_E0_NS1_11comp_targetILNS1_3genE9ELNS1_11target_archE1100ELNS1_3gpuE3ELNS1_3repE0EEENS1_38merge_mergepath_config_static_selectorELNS0_4arch9wavefront6targetE1EEEvSL_
	.globl	_ZN7rocprim17ROCPRIM_400000_NS6detail17trampoline_kernelINS0_14default_configENS1_38merge_sort_block_merge_config_selectorItNS0_10empty_typeEEEZZNS1_27merge_sort_block_merge_implIS3_N6thrust23THRUST_200600_302600_NS6detail15normal_iteratorINS9_10device_ptrItEEEEPS5_jNS1_19radix_merge_compareILb0ELb0EtNS0_19identity_decomposerEEEEE10hipError_tT0_T1_T2_jT3_P12ihipStream_tbPNSt15iterator_traitsISK_E10value_typeEPNSQ_ISL_E10value_typeEPSM_NS1_7vsmem_tEENKUlT_SK_SL_SM_E_clISE_PtSF_SF_EESJ_SZ_SK_SL_SM_EUlSZ_E0_NS1_11comp_targetILNS1_3genE9ELNS1_11target_archE1100ELNS1_3gpuE3ELNS1_3repE0EEENS1_38merge_mergepath_config_static_selectorELNS0_4arch9wavefront6targetE1EEEvSL_
	.p2align	8
	.type	_ZN7rocprim17ROCPRIM_400000_NS6detail17trampoline_kernelINS0_14default_configENS1_38merge_sort_block_merge_config_selectorItNS0_10empty_typeEEEZZNS1_27merge_sort_block_merge_implIS3_N6thrust23THRUST_200600_302600_NS6detail15normal_iteratorINS9_10device_ptrItEEEEPS5_jNS1_19radix_merge_compareILb0ELb0EtNS0_19identity_decomposerEEEEE10hipError_tT0_T1_T2_jT3_P12ihipStream_tbPNSt15iterator_traitsISK_E10value_typeEPNSQ_ISL_E10value_typeEPSM_NS1_7vsmem_tEENKUlT_SK_SL_SM_E_clISE_PtSF_SF_EESJ_SZ_SK_SL_SM_EUlSZ_E0_NS1_11comp_targetILNS1_3genE9ELNS1_11target_archE1100ELNS1_3gpuE3ELNS1_3repE0EEENS1_38merge_mergepath_config_static_selectorELNS0_4arch9wavefront6targetE1EEEvSL_,@function
_ZN7rocprim17ROCPRIM_400000_NS6detail17trampoline_kernelINS0_14default_configENS1_38merge_sort_block_merge_config_selectorItNS0_10empty_typeEEEZZNS1_27merge_sort_block_merge_implIS3_N6thrust23THRUST_200600_302600_NS6detail15normal_iteratorINS9_10device_ptrItEEEEPS5_jNS1_19radix_merge_compareILb0ELb0EtNS0_19identity_decomposerEEEEE10hipError_tT0_T1_T2_jT3_P12ihipStream_tbPNSt15iterator_traitsISK_E10value_typeEPNSQ_ISL_E10value_typeEPSM_NS1_7vsmem_tEENKUlT_SK_SL_SM_E_clISE_PtSF_SF_EESJ_SZ_SK_SL_SM_EUlSZ_E0_NS1_11comp_targetILNS1_3genE9ELNS1_11target_archE1100ELNS1_3gpuE3ELNS1_3repE0EEENS1_38merge_mergepath_config_static_selectorELNS0_4arch9wavefront6targetE1EEEvSL_: ; @_ZN7rocprim17ROCPRIM_400000_NS6detail17trampoline_kernelINS0_14default_configENS1_38merge_sort_block_merge_config_selectorItNS0_10empty_typeEEEZZNS1_27merge_sort_block_merge_implIS3_N6thrust23THRUST_200600_302600_NS6detail15normal_iteratorINS9_10device_ptrItEEEEPS5_jNS1_19radix_merge_compareILb0ELb0EtNS0_19identity_decomposerEEEEE10hipError_tT0_T1_T2_jT3_P12ihipStream_tbPNSt15iterator_traitsISK_E10value_typeEPNSQ_ISL_E10value_typeEPSM_NS1_7vsmem_tEENKUlT_SK_SL_SM_E_clISE_PtSF_SF_EESJ_SZ_SK_SL_SM_EUlSZ_E0_NS1_11comp_targetILNS1_3genE9ELNS1_11target_archE1100ELNS1_3gpuE3ELNS1_3repE0EEENS1_38merge_mergepath_config_static_selectorELNS0_4arch9wavefront6targetE1EEEvSL_
; %bb.0:
	.section	.rodata,"a",@progbits
	.p2align	6, 0x0
	.amdhsa_kernel _ZN7rocprim17ROCPRIM_400000_NS6detail17trampoline_kernelINS0_14default_configENS1_38merge_sort_block_merge_config_selectorItNS0_10empty_typeEEEZZNS1_27merge_sort_block_merge_implIS3_N6thrust23THRUST_200600_302600_NS6detail15normal_iteratorINS9_10device_ptrItEEEEPS5_jNS1_19radix_merge_compareILb0ELb0EtNS0_19identity_decomposerEEEEE10hipError_tT0_T1_T2_jT3_P12ihipStream_tbPNSt15iterator_traitsISK_E10value_typeEPNSQ_ISL_E10value_typeEPSM_NS1_7vsmem_tEENKUlT_SK_SL_SM_E_clISE_PtSF_SF_EESJ_SZ_SK_SL_SM_EUlSZ_E0_NS1_11comp_targetILNS1_3genE9ELNS1_11target_archE1100ELNS1_3gpuE3ELNS1_3repE0EEENS1_38merge_mergepath_config_static_selectorELNS0_4arch9wavefront6targetE1EEEvSL_
		.amdhsa_group_segment_fixed_size 0
		.amdhsa_private_segment_fixed_size 0
		.amdhsa_kernarg_size 64
		.amdhsa_user_sgpr_count 6
		.amdhsa_user_sgpr_private_segment_buffer 1
		.amdhsa_user_sgpr_dispatch_ptr 0
		.amdhsa_user_sgpr_queue_ptr 0
		.amdhsa_user_sgpr_kernarg_segment_ptr 1
		.amdhsa_user_sgpr_dispatch_id 0
		.amdhsa_user_sgpr_flat_scratch_init 0
		.amdhsa_user_sgpr_kernarg_preload_length 0
		.amdhsa_user_sgpr_kernarg_preload_offset 0
		.amdhsa_user_sgpr_private_segment_size 0
		.amdhsa_uses_dynamic_stack 0
		.amdhsa_system_sgpr_private_segment_wavefront_offset 0
		.amdhsa_system_sgpr_workgroup_id_x 1
		.amdhsa_system_sgpr_workgroup_id_y 0
		.amdhsa_system_sgpr_workgroup_id_z 0
		.amdhsa_system_sgpr_workgroup_info 0
		.amdhsa_system_vgpr_workitem_id 0
		.amdhsa_next_free_vgpr 1
		.amdhsa_next_free_sgpr 0
		.amdhsa_accum_offset 4
		.amdhsa_reserve_vcc 0
		.amdhsa_reserve_flat_scratch 0
		.amdhsa_float_round_mode_32 0
		.amdhsa_float_round_mode_16_64 0
		.amdhsa_float_denorm_mode_32 3
		.amdhsa_float_denorm_mode_16_64 3
		.amdhsa_dx10_clamp 1
		.amdhsa_ieee_mode 1
		.amdhsa_fp16_overflow 0
		.amdhsa_tg_split 0
		.amdhsa_exception_fp_ieee_invalid_op 0
		.amdhsa_exception_fp_denorm_src 0
		.amdhsa_exception_fp_ieee_div_zero 0
		.amdhsa_exception_fp_ieee_overflow 0
		.amdhsa_exception_fp_ieee_underflow 0
		.amdhsa_exception_fp_ieee_inexact 0
		.amdhsa_exception_int_div_zero 0
	.end_amdhsa_kernel
	.section	.text._ZN7rocprim17ROCPRIM_400000_NS6detail17trampoline_kernelINS0_14default_configENS1_38merge_sort_block_merge_config_selectorItNS0_10empty_typeEEEZZNS1_27merge_sort_block_merge_implIS3_N6thrust23THRUST_200600_302600_NS6detail15normal_iteratorINS9_10device_ptrItEEEEPS5_jNS1_19radix_merge_compareILb0ELb0EtNS0_19identity_decomposerEEEEE10hipError_tT0_T1_T2_jT3_P12ihipStream_tbPNSt15iterator_traitsISK_E10value_typeEPNSQ_ISL_E10value_typeEPSM_NS1_7vsmem_tEENKUlT_SK_SL_SM_E_clISE_PtSF_SF_EESJ_SZ_SK_SL_SM_EUlSZ_E0_NS1_11comp_targetILNS1_3genE9ELNS1_11target_archE1100ELNS1_3gpuE3ELNS1_3repE0EEENS1_38merge_mergepath_config_static_selectorELNS0_4arch9wavefront6targetE1EEEvSL_,"axG",@progbits,_ZN7rocprim17ROCPRIM_400000_NS6detail17trampoline_kernelINS0_14default_configENS1_38merge_sort_block_merge_config_selectorItNS0_10empty_typeEEEZZNS1_27merge_sort_block_merge_implIS3_N6thrust23THRUST_200600_302600_NS6detail15normal_iteratorINS9_10device_ptrItEEEEPS5_jNS1_19radix_merge_compareILb0ELb0EtNS0_19identity_decomposerEEEEE10hipError_tT0_T1_T2_jT3_P12ihipStream_tbPNSt15iterator_traitsISK_E10value_typeEPNSQ_ISL_E10value_typeEPSM_NS1_7vsmem_tEENKUlT_SK_SL_SM_E_clISE_PtSF_SF_EESJ_SZ_SK_SL_SM_EUlSZ_E0_NS1_11comp_targetILNS1_3genE9ELNS1_11target_archE1100ELNS1_3gpuE3ELNS1_3repE0EEENS1_38merge_mergepath_config_static_selectorELNS0_4arch9wavefront6targetE1EEEvSL_,comdat
.Lfunc_end1244:
	.size	_ZN7rocprim17ROCPRIM_400000_NS6detail17trampoline_kernelINS0_14default_configENS1_38merge_sort_block_merge_config_selectorItNS0_10empty_typeEEEZZNS1_27merge_sort_block_merge_implIS3_N6thrust23THRUST_200600_302600_NS6detail15normal_iteratorINS9_10device_ptrItEEEEPS5_jNS1_19radix_merge_compareILb0ELb0EtNS0_19identity_decomposerEEEEE10hipError_tT0_T1_T2_jT3_P12ihipStream_tbPNSt15iterator_traitsISK_E10value_typeEPNSQ_ISL_E10value_typeEPSM_NS1_7vsmem_tEENKUlT_SK_SL_SM_E_clISE_PtSF_SF_EESJ_SZ_SK_SL_SM_EUlSZ_E0_NS1_11comp_targetILNS1_3genE9ELNS1_11target_archE1100ELNS1_3gpuE3ELNS1_3repE0EEENS1_38merge_mergepath_config_static_selectorELNS0_4arch9wavefront6targetE1EEEvSL_, .Lfunc_end1244-_ZN7rocprim17ROCPRIM_400000_NS6detail17trampoline_kernelINS0_14default_configENS1_38merge_sort_block_merge_config_selectorItNS0_10empty_typeEEEZZNS1_27merge_sort_block_merge_implIS3_N6thrust23THRUST_200600_302600_NS6detail15normal_iteratorINS9_10device_ptrItEEEEPS5_jNS1_19radix_merge_compareILb0ELb0EtNS0_19identity_decomposerEEEEE10hipError_tT0_T1_T2_jT3_P12ihipStream_tbPNSt15iterator_traitsISK_E10value_typeEPNSQ_ISL_E10value_typeEPSM_NS1_7vsmem_tEENKUlT_SK_SL_SM_E_clISE_PtSF_SF_EESJ_SZ_SK_SL_SM_EUlSZ_E0_NS1_11comp_targetILNS1_3genE9ELNS1_11target_archE1100ELNS1_3gpuE3ELNS1_3repE0EEENS1_38merge_mergepath_config_static_selectorELNS0_4arch9wavefront6targetE1EEEvSL_
                                        ; -- End function
	.section	.AMDGPU.csdata,"",@progbits
; Kernel info:
; codeLenInByte = 0
; NumSgprs: 4
; NumVgprs: 0
; NumAgprs: 0
; TotalNumVgprs: 0
; ScratchSize: 0
; MemoryBound: 0
; FloatMode: 240
; IeeeMode: 1
; LDSByteSize: 0 bytes/workgroup (compile time only)
; SGPRBlocks: 0
; VGPRBlocks: 0
; NumSGPRsForWavesPerEU: 4
; NumVGPRsForWavesPerEU: 1
; AccumOffset: 4
; Occupancy: 8
; WaveLimiterHint : 0
; COMPUTE_PGM_RSRC2:SCRATCH_EN: 0
; COMPUTE_PGM_RSRC2:USER_SGPR: 6
; COMPUTE_PGM_RSRC2:TRAP_HANDLER: 0
; COMPUTE_PGM_RSRC2:TGID_X_EN: 1
; COMPUTE_PGM_RSRC2:TGID_Y_EN: 0
; COMPUTE_PGM_RSRC2:TGID_Z_EN: 0
; COMPUTE_PGM_RSRC2:TIDIG_COMP_CNT: 0
; COMPUTE_PGM_RSRC3_GFX90A:ACCUM_OFFSET: 0
; COMPUTE_PGM_RSRC3_GFX90A:TG_SPLIT: 0
	.section	.text._ZN7rocprim17ROCPRIM_400000_NS6detail17trampoline_kernelINS0_14default_configENS1_38merge_sort_block_merge_config_selectorItNS0_10empty_typeEEEZZNS1_27merge_sort_block_merge_implIS3_N6thrust23THRUST_200600_302600_NS6detail15normal_iteratorINS9_10device_ptrItEEEEPS5_jNS1_19radix_merge_compareILb0ELb0EtNS0_19identity_decomposerEEEEE10hipError_tT0_T1_T2_jT3_P12ihipStream_tbPNSt15iterator_traitsISK_E10value_typeEPNSQ_ISL_E10value_typeEPSM_NS1_7vsmem_tEENKUlT_SK_SL_SM_E_clISE_PtSF_SF_EESJ_SZ_SK_SL_SM_EUlSZ_E0_NS1_11comp_targetILNS1_3genE8ELNS1_11target_archE1030ELNS1_3gpuE2ELNS1_3repE0EEENS1_38merge_mergepath_config_static_selectorELNS0_4arch9wavefront6targetE1EEEvSL_,"axG",@progbits,_ZN7rocprim17ROCPRIM_400000_NS6detail17trampoline_kernelINS0_14default_configENS1_38merge_sort_block_merge_config_selectorItNS0_10empty_typeEEEZZNS1_27merge_sort_block_merge_implIS3_N6thrust23THRUST_200600_302600_NS6detail15normal_iteratorINS9_10device_ptrItEEEEPS5_jNS1_19radix_merge_compareILb0ELb0EtNS0_19identity_decomposerEEEEE10hipError_tT0_T1_T2_jT3_P12ihipStream_tbPNSt15iterator_traitsISK_E10value_typeEPNSQ_ISL_E10value_typeEPSM_NS1_7vsmem_tEENKUlT_SK_SL_SM_E_clISE_PtSF_SF_EESJ_SZ_SK_SL_SM_EUlSZ_E0_NS1_11comp_targetILNS1_3genE8ELNS1_11target_archE1030ELNS1_3gpuE2ELNS1_3repE0EEENS1_38merge_mergepath_config_static_selectorELNS0_4arch9wavefront6targetE1EEEvSL_,comdat
	.protected	_ZN7rocprim17ROCPRIM_400000_NS6detail17trampoline_kernelINS0_14default_configENS1_38merge_sort_block_merge_config_selectorItNS0_10empty_typeEEEZZNS1_27merge_sort_block_merge_implIS3_N6thrust23THRUST_200600_302600_NS6detail15normal_iteratorINS9_10device_ptrItEEEEPS5_jNS1_19radix_merge_compareILb0ELb0EtNS0_19identity_decomposerEEEEE10hipError_tT0_T1_T2_jT3_P12ihipStream_tbPNSt15iterator_traitsISK_E10value_typeEPNSQ_ISL_E10value_typeEPSM_NS1_7vsmem_tEENKUlT_SK_SL_SM_E_clISE_PtSF_SF_EESJ_SZ_SK_SL_SM_EUlSZ_E0_NS1_11comp_targetILNS1_3genE8ELNS1_11target_archE1030ELNS1_3gpuE2ELNS1_3repE0EEENS1_38merge_mergepath_config_static_selectorELNS0_4arch9wavefront6targetE1EEEvSL_ ; -- Begin function _ZN7rocprim17ROCPRIM_400000_NS6detail17trampoline_kernelINS0_14default_configENS1_38merge_sort_block_merge_config_selectorItNS0_10empty_typeEEEZZNS1_27merge_sort_block_merge_implIS3_N6thrust23THRUST_200600_302600_NS6detail15normal_iteratorINS9_10device_ptrItEEEEPS5_jNS1_19radix_merge_compareILb0ELb0EtNS0_19identity_decomposerEEEEE10hipError_tT0_T1_T2_jT3_P12ihipStream_tbPNSt15iterator_traitsISK_E10value_typeEPNSQ_ISL_E10value_typeEPSM_NS1_7vsmem_tEENKUlT_SK_SL_SM_E_clISE_PtSF_SF_EESJ_SZ_SK_SL_SM_EUlSZ_E0_NS1_11comp_targetILNS1_3genE8ELNS1_11target_archE1030ELNS1_3gpuE2ELNS1_3repE0EEENS1_38merge_mergepath_config_static_selectorELNS0_4arch9wavefront6targetE1EEEvSL_
	.globl	_ZN7rocprim17ROCPRIM_400000_NS6detail17trampoline_kernelINS0_14default_configENS1_38merge_sort_block_merge_config_selectorItNS0_10empty_typeEEEZZNS1_27merge_sort_block_merge_implIS3_N6thrust23THRUST_200600_302600_NS6detail15normal_iteratorINS9_10device_ptrItEEEEPS5_jNS1_19radix_merge_compareILb0ELb0EtNS0_19identity_decomposerEEEEE10hipError_tT0_T1_T2_jT3_P12ihipStream_tbPNSt15iterator_traitsISK_E10value_typeEPNSQ_ISL_E10value_typeEPSM_NS1_7vsmem_tEENKUlT_SK_SL_SM_E_clISE_PtSF_SF_EESJ_SZ_SK_SL_SM_EUlSZ_E0_NS1_11comp_targetILNS1_3genE8ELNS1_11target_archE1030ELNS1_3gpuE2ELNS1_3repE0EEENS1_38merge_mergepath_config_static_selectorELNS0_4arch9wavefront6targetE1EEEvSL_
	.p2align	8
	.type	_ZN7rocprim17ROCPRIM_400000_NS6detail17trampoline_kernelINS0_14default_configENS1_38merge_sort_block_merge_config_selectorItNS0_10empty_typeEEEZZNS1_27merge_sort_block_merge_implIS3_N6thrust23THRUST_200600_302600_NS6detail15normal_iteratorINS9_10device_ptrItEEEEPS5_jNS1_19radix_merge_compareILb0ELb0EtNS0_19identity_decomposerEEEEE10hipError_tT0_T1_T2_jT3_P12ihipStream_tbPNSt15iterator_traitsISK_E10value_typeEPNSQ_ISL_E10value_typeEPSM_NS1_7vsmem_tEENKUlT_SK_SL_SM_E_clISE_PtSF_SF_EESJ_SZ_SK_SL_SM_EUlSZ_E0_NS1_11comp_targetILNS1_3genE8ELNS1_11target_archE1030ELNS1_3gpuE2ELNS1_3repE0EEENS1_38merge_mergepath_config_static_selectorELNS0_4arch9wavefront6targetE1EEEvSL_,@function
_ZN7rocprim17ROCPRIM_400000_NS6detail17trampoline_kernelINS0_14default_configENS1_38merge_sort_block_merge_config_selectorItNS0_10empty_typeEEEZZNS1_27merge_sort_block_merge_implIS3_N6thrust23THRUST_200600_302600_NS6detail15normal_iteratorINS9_10device_ptrItEEEEPS5_jNS1_19radix_merge_compareILb0ELb0EtNS0_19identity_decomposerEEEEE10hipError_tT0_T1_T2_jT3_P12ihipStream_tbPNSt15iterator_traitsISK_E10value_typeEPNSQ_ISL_E10value_typeEPSM_NS1_7vsmem_tEENKUlT_SK_SL_SM_E_clISE_PtSF_SF_EESJ_SZ_SK_SL_SM_EUlSZ_E0_NS1_11comp_targetILNS1_3genE8ELNS1_11target_archE1030ELNS1_3gpuE2ELNS1_3repE0EEENS1_38merge_mergepath_config_static_selectorELNS0_4arch9wavefront6targetE1EEEvSL_: ; @_ZN7rocprim17ROCPRIM_400000_NS6detail17trampoline_kernelINS0_14default_configENS1_38merge_sort_block_merge_config_selectorItNS0_10empty_typeEEEZZNS1_27merge_sort_block_merge_implIS3_N6thrust23THRUST_200600_302600_NS6detail15normal_iteratorINS9_10device_ptrItEEEEPS5_jNS1_19radix_merge_compareILb0ELb0EtNS0_19identity_decomposerEEEEE10hipError_tT0_T1_T2_jT3_P12ihipStream_tbPNSt15iterator_traitsISK_E10value_typeEPNSQ_ISL_E10value_typeEPSM_NS1_7vsmem_tEENKUlT_SK_SL_SM_E_clISE_PtSF_SF_EESJ_SZ_SK_SL_SM_EUlSZ_E0_NS1_11comp_targetILNS1_3genE8ELNS1_11target_archE1030ELNS1_3gpuE2ELNS1_3repE0EEENS1_38merge_mergepath_config_static_selectorELNS0_4arch9wavefront6targetE1EEEvSL_
; %bb.0:
	.section	.rodata,"a",@progbits
	.p2align	6, 0x0
	.amdhsa_kernel _ZN7rocprim17ROCPRIM_400000_NS6detail17trampoline_kernelINS0_14default_configENS1_38merge_sort_block_merge_config_selectorItNS0_10empty_typeEEEZZNS1_27merge_sort_block_merge_implIS3_N6thrust23THRUST_200600_302600_NS6detail15normal_iteratorINS9_10device_ptrItEEEEPS5_jNS1_19radix_merge_compareILb0ELb0EtNS0_19identity_decomposerEEEEE10hipError_tT0_T1_T2_jT3_P12ihipStream_tbPNSt15iterator_traitsISK_E10value_typeEPNSQ_ISL_E10value_typeEPSM_NS1_7vsmem_tEENKUlT_SK_SL_SM_E_clISE_PtSF_SF_EESJ_SZ_SK_SL_SM_EUlSZ_E0_NS1_11comp_targetILNS1_3genE8ELNS1_11target_archE1030ELNS1_3gpuE2ELNS1_3repE0EEENS1_38merge_mergepath_config_static_selectorELNS0_4arch9wavefront6targetE1EEEvSL_
		.amdhsa_group_segment_fixed_size 0
		.amdhsa_private_segment_fixed_size 0
		.amdhsa_kernarg_size 64
		.amdhsa_user_sgpr_count 6
		.amdhsa_user_sgpr_private_segment_buffer 1
		.amdhsa_user_sgpr_dispatch_ptr 0
		.amdhsa_user_sgpr_queue_ptr 0
		.amdhsa_user_sgpr_kernarg_segment_ptr 1
		.amdhsa_user_sgpr_dispatch_id 0
		.amdhsa_user_sgpr_flat_scratch_init 0
		.amdhsa_user_sgpr_kernarg_preload_length 0
		.amdhsa_user_sgpr_kernarg_preload_offset 0
		.amdhsa_user_sgpr_private_segment_size 0
		.amdhsa_uses_dynamic_stack 0
		.amdhsa_system_sgpr_private_segment_wavefront_offset 0
		.amdhsa_system_sgpr_workgroup_id_x 1
		.amdhsa_system_sgpr_workgroup_id_y 0
		.amdhsa_system_sgpr_workgroup_id_z 0
		.amdhsa_system_sgpr_workgroup_info 0
		.amdhsa_system_vgpr_workitem_id 0
		.amdhsa_next_free_vgpr 1
		.amdhsa_next_free_sgpr 0
		.amdhsa_accum_offset 4
		.amdhsa_reserve_vcc 0
		.amdhsa_reserve_flat_scratch 0
		.amdhsa_float_round_mode_32 0
		.amdhsa_float_round_mode_16_64 0
		.amdhsa_float_denorm_mode_32 3
		.amdhsa_float_denorm_mode_16_64 3
		.amdhsa_dx10_clamp 1
		.amdhsa_ieee_mode 1
		.amdhsa_fp16_overflow 0
		.amdhsa_tg_split 0
		.amdhsa_exception_fp_ieee_invalid_op 0
		.amdhsa_exception_fp_denorm_src 0
		.amdhsa_exception_fp_ieee_div_zero 0
		.amdhsa_exception_fp_ieee_overflow 0
		.amdhsa_exception_fp_ieee_underflow 0
		.amdhsa_exception_fp_ieee_inexact 0
		.amdhsa_exception_int_div_zero 0
	.end_amdhsa_kernel
	.section	.text._ZN7rocprim17ROCPRIM_400000_NS6detail17trampoline_kernelINS0_14default_configENS1_38merge_sort_block_merge_config_selectorItNS0_10empty_typeEEEZZNS1_27merge_sort_block_merge_implIS3_N6thrust23THRUST_200600_302600_NS6detail15normal_iteratorINS9_10device_ptrItEEEEPS5_jNS1_19radix_merge_compareILb0ELb0EtNS0_19identity_decomposerEEEEE10hipError_tT0_T1_T2_jT3_P12ihipStream_tbPNSt15iterator_traitsISK_E10value_typeEPNSQ_ISL_E10value_typeEPSM_NS1_7vsmem_tEENKUlT_SK_SL_SM_E_clISE_PtSF_SF_EESJ_SZ_SK_SL_SM_EUlSZ_E0_NS1_11comp_targetILNS1_3genE8ELNS1_11target_archE1030ELNS1_3gpuE2ELNS1_3repE0EEENS1_38merge_mergepath_config_static_selectorELNS0_4arch9wavefront6targetE1EEEvSL_,"axG",@progbits,_ZN7rocprim17ROCPRIM_400000_NS6detail17trampoline_kernelINS0_14default_configENS1_38merge_sort_block_merge_config_selectorItNS0_10empty_typeEEEZZNS1_27merge_sort_block_merge_implIS3_N6thrust23THRUST_200600_302600_NS6detail15normal_iteratorINS9_10device_ptrItEEEEPS5_jNS1_19radix_merge_compareILb0ELb0EtNS0_19identity_decomposerEEEEE10hipError_tT0_T1_T2_jT3_P12ihipStream_tbPNSt15iterator_traitsISK_E10value_typeEPNSQ_ISL_E10value_typeEPSM_NS1_7vsmem_tEENKUlT_SK_SL_SM_E_clISE_PtSF_SF_EESJ_SZ_SK_SL_SM_EUlSZ_E0_NS1_11comp_targetILNS1_3genE8ELNS1_11target_archE1030ELNS1_3gpuE2ELNS1_3repE0EEENS1_38merge_mergepath_config_static_selectorELNS0_4arch9wavefront6targetE1EEEvSL_,comdat
.Lfunc_end1245:
	.size	_ZN7rocprim17ROCPRIM_400000_NS6detail17trampoline_kernelINS0_14default_configENS1_38merge_sort_block_merge_config_selectorItNS0_10empty_typeEEEZZNS1_27merge_sort_block_merge_implIS3_N6thrust23THRUST_200600_302600_NS6detail15normal_iteratorINS9_10device_ptrItEEEEPS5_jNS1_19radix_merge_compareILb0ELb0EtNS0_19identity_decomposerEEEEE10hipError_tT0_T1_T2_jT3_P12ihipStream_tbPNSt15iterator_traitsISK_E10value_typeEPNSQ_ISL_E10value_typeEPSM_NS1_7vsmem_tEENKUlT_SK_SL_SM_E_clISE_PtSF_SF_EESJ_SZ_SK_SL_SM_EUlSZ_E0_NS1_11comp_targetILNS1_3genE8ELNS1_11target_archE1030ELNS1_3gpuE2ELNS1_3repE0EEENS1_38merge_mergepath_config_static_selectorELNS0_4arch9wavefront6targetE1EEEvSL_, .Lfunc_end1245-_ZN7rocprim17ROCPRIM_400000_NS6detail17trampoline_kernelINS0_14default_configENS1_38merge_sort_block_merge_config_selectorItNS0_10empty_typeEEEZZNS1_27merge_sort_block_merge_implIS3_N6thrust23THRUST_200600_302600_NS6detail15normal_iteratorINS9_10device_ptrItEEEEPS5_jNS1_19radix_merge_compareILb0ELb0EtNS0_19identity_decomposerEEEEE10hipError_tT0_T1_T2_jT3_P12ihipStream_tbPNSt15iterator_traitsISK_E10value_typeEPNSQ_ISL_E10value_typeEPSM_NS1_7vsmem_tEENKUlT_SK_SL_SM_E_clISE_PtSF_SF_EESJ_SZ_SK_SL_SM_EUlSZ_E0_NS1_11comp_targetILNS1_3genE8ELNS1_11target_archE1030ELNS1_3gpuE2ELNS1_3repE0EEENS1_38merge_mergepath_config_static_selectorELNS0_4arch9wavefront6targetE1EEEvSL_
                                        ; -- End function
	.section	.AMDGPU.csdata,"",@progbits
; Kernel info:
; codeLenInByte = 0
; NumSgprs: 4
; NumVgprs: 0
; NumAgprs: 0
; TotalNumVgprs: 0
; ScratchSize: 0
; MemoryBound: 0
; FloatMode: 240
; IeeeMode: 1
; LDSByteSize: 0 bytes/workgroup (compile time only)
; SGPRBlocks: 0
; VGPRBlocks: 0
; NumSGPRsForWavesPerEU: 4
; NumVGPRsForWavesPerEU: 1
; AccumOffset: 4
; Occupancy: 8
; WaveLimiterHint : 0
; COMPUTE_PGM_RSRC2:SCRATCH_EN: 0
; COMPUTE_PGM_RSRC2:USER_SGPR: 6
; COMPUTE_PGM_RSRC2:TRAP_HANDLER: 0
; COMPUTE_PGM_RSRC2:TGID_X_EN: 1
; COMPUTE_PGM_RSRC2:TGID_Y_EN: 0
; COMPUTE_PGM_RSRC2:TGID_Z_EN: 0
; COMPUTE_PGM_RSRC2:TIDIG_COMP_CNT: 0
; COMPUTE_PGM_RSRC3_GFX90A:ACCUM_OFFSET: 0
; COMPUTE_PGM_RSRC3_GFX90A:TG_SPLIT: 0
	.section	.text._ZN7rocprim17ROCPRIM_400000_NS6detail17trampoline_kernelINS0_14default_configENS1_38merge_sort_block_merge_config_selectorItNS0_10empty_typeEEEZZNS1_27merge_sort_block_merge_implIS3_N6thrust23THRUST_200600_302600_NS6detail15normal_iteratorINS9_10device_ptrItEEEEPS5_jNS1_19radix_merge_compareILb0ELb0EtNS0_19identity_decomposerEEEEE10hipError_tT0_T1_T2_jT3_P12ihipStream_tbPNSt15iterator_traitsISK_E10value_typeEPNSQ_ISL_E10value_typeEPSM_NS1_7vsmem_tEENKUlT_SK_SL_SM_E_clISE_PtSF_SF_EESJ_SZ_SK_SL_SM_EUlSZ_E1_NS1_11comp_targetILNS1_3genE0ELNS1_11target_archE4294967295ELNS1_3gpuE0ELNS1_3repE0EEENS1_36merge_oddeven_config_static_selectorELNS0_4arch9wavefront6targetE1EEEvSL_,"axG",@progbits,_ZN7rocprim17ROCPRIM_400000_NS6detail17trampoline_kernelINS0_14default_configENS1_38merge_sort_block_merge_config_selectorItNS0_10empty_typeEEEZZNS1_27merge_sort_block_merge_implIS3_N6thrust23THRUST_200600_302600_NS6detail15normal_iteratorINS9_10device_ptrItEEEEPS5_jNS1_19radix_merge_compareILb0ELb0EtNS0_19identity_decomposerEEEEE10hipError_tT0_T1_T2_jT3_P12ihipStream_tbPNSt15iterator_traitsISK_E10value_typeEPNSQ_ISL_E10value_typeEPSM_NS1_7vsmem_tEENKUlT_SK_SL_SM_E_clISE_PtSF_SF_EESJ_SZ_SK_SL_SM_EUlSZ_E1_NS1_11comp_targetILNS1_3genE0ELNS1_11target_archE4294967295ELNS1_3gpuE0ELNS1_3repE0EEENS1_36merge_oddeven_config_static_selectorELNS0_4arch9wavefront6targetE1EEEvSL_,comdat
	.protected	_ZN7rocprim17ROCPRIM_400000_NS6detail17trampoline_kernelINS0_14default_configENS1_38merge_sort_block_merge_config_selectorItNS0_10empty_typeEEEZZNS1_27merge_sort_block_merge_implIS3_N6thrust23THRUST_200600_302600_NS6detail15normal_iteratorINS9_10device_ptrItEEEEPS5_jNS1_19radix_merge_compareILb0ELb0EtNS0_19identity_decomposerEEEEE10hipError_tT0_T1_T2_jT3_P12ihipStream_tbPNSt15iterator_traitsISK_E10value_typeEPNSQ_ISL_E10value_typeEPSM_NS1_7vsmem_tEENKUlT_SK_SL_SM_E_clISE_PtSF_SF_EESJ_SZ_SK_SL_SM_EUlSZ_E1_NS1_11comp_targetILNS1_3genE0ELNS1_11target_archE4294967295ELNS1_3gpuE0ELNS1_3repE0EEENS1_36merge_oddeven_config_static_selectorELNS0_4arch9wavefront6targetE1EEEvSL_ ; -- Begin function _ZN7rocprim17ROCPRIM_400000_NS6detail17trampoline_kernelINS0_14default_configENS1_38merge_sort_block_merge_config_selectorItNS0_10empty_typeEEEZZNS1_27merge_sort_block_merge_implIS3_N6thrust23THRUST_200600_302600_NS6detail15normal_iteratorINS9_10device_ptrItEEEEPS5_jNS1_19radix_merge_compareILb0ELb0EtNS0_19identity_decomposerEEEEE10hipError_tT0_T1_T2_jT3_P12ihipStream_tbPNSt15iterator_traitsISK_E10value_typeEPNSQ_ISL_E10value_typeEPSM_NS1_7vsmem_tEENKUlT_SK_SL_SM_E_clISE_PtSF_SF_EESJ_SZ_SK_SL_SM_EUlSZ_E1_NS1_11comp_targetILNS1_3genE0ELNS1_11target_archE4294967295ELNS1_3gpuE0ELNS1_3repE0EEENS1_36merge_oddeven_config_static_selectorELNS0_4arch9wavefront6targetE1EEEvSL_
	.globl	_ZN7rocprim17ROCPRIM_400000_NS6detail17trampoline_kernelINS0_14default_configENS1_38merge_sort_block_merge_config_selectorItNS0_10empty_typeEEEZZNS1_27merge_sort_block_merge_implIS3_N6thrust23THRUST_200600_302600_NS6detail15normal_iteratorINS9_10device_ptrItEEEEPS5_jNS1_19radix_merge_compareILb0ELb0EtNS0_19identity_decomposerEEEEE10hipError_tT0_T1_T2_jT3_P12ihipStream_tbPNSt15iterator_traitsISK_E10value_typeEPNSQ_ISL_E10value_typeEPSM_NS1_7vsmem_tEENKUlT_SK_SL_SM_E_clISE_PtSF_SF_EESJ_SZ_SK_SL_SM_EUlSZ_E1_NS1_11comp_targetILNS1_3genE0ELNS1_11target_archE4294967295ELNS1_3gpuE0ELNS1_3repE0EEENS1_36merge_oddeven_config_static_selectorELNS0_4arch9wavefront6targetE1EEEvSL_
	.p2align	8
	.type	_ZN7rocprim17ROCPRIM_400000_NS6detail17trampoline_kernelINS0_14default_configENS1_38merge_sort_block_merge_config_selectorItNS0_10empty_typeEEEZZNS1_27merge_sort_block_merge_implIS3_N6thrust23THRUST_200600_302600_NS6detail15normal_iteratorINS9_10device_ptrItEEEEPS5_jNS1_19radix_merge_compareILb0ELb0EtNS0_19identity_decomposerEEEEE10hipError_tT0_T1_T2_jT3_P12ihipStream_tbPNSt15iterator_traitsISK_E10value_typeEPNSQ_ISL_E10value_typeEPSM_NS1_7vsmem_tEENKUlT_SK_SL_SM_E_clISE_PtSF_SF_EESJ_SZ_SK_SL_SM_EUlSZ_E1_NS1_11comp_targetILNS1_3genE0ELNS1_11target_archE4294967295ELNS1_3gpuE0ELNS1_3repE0EEENS1_36merge_oddeven_config_static_selectorELNS0_4arch9wavefront6targetE1EEEvSL_,@function
_ZN7rocprim17ROCPRIM_400000_NS6detail17trampoline_kernelINS0_14default_configENS1_38merge_sort_block_merge_config_selectorItNS0_10empty_typeEEEZZNS1_27merge_sort_block_merge_implIS3_N6thrust23THRUST_200600_302600_NS6detail15normal_iteratorINS9_10device_ptrItEEEEPS5_jNS1_19radix_merge_compareILb0ELb0EtNS0_19identity_decomposerEEEEE10hipError_tT0_T1_T2_jT3_P12ihipStream_tbPNSt15iterator_traitsISK_E10value_typeEPNSQ_ISL_E10value_typeEPSM_NS1_7vsmem_tEENKUlT_SK_SL_SM_E_clISE_PtSF_SF_EESJ_SZ_SK_SL_SM_EUlSZ_E1_NS1_11comp_targetILNS1_3genE0ELNS1_11target_archE4294967295ELNS1_3gpuE0ELNS1_3repE0EEENS1_36merge_oddeven_config_static_selectorELNS0_4arch9wavefront6targetE1EEEvSL_: ; @_ZN7rocprim17ROCPRIM_400000_NS6detail17trampoline_kernelINS0_14default_configENS1_38merge_sort_block_merge_config_selectorItNS0_10empty_typeEEEZZNS1_27merge_sort_block_merge_implIS3_N6thrust23THRUST_200600_302600_NS6detail15normal_iteratorINS9_10device_ptrItEEEEPS5_jNS1_19radix_merge_compareILb0ELb0EtNS0_19identity_decomposerEEEEE10hipError_tT0_T1_T2_jT3_P12ihipStream_tbPNSt15iterator_traitsISK_E10value_typeEPNSQ_ISL_E10value_typeEPSM_NS1_7vsmem_tEENKUlT_SK_SL_SM_E_clISE_PtSF_SF_EESJ_SZ_SK_SL_SM_EUlSZ_E1_NS1_11comp_targetILNS1_3genE0ELNS1_11target_archE4294967295ELNS1_3gpuE0ELNS1_3repE0EEENS1_36merge_oddeven_config_static_selectorELNS0_4arch9wavefront6targetE1EEEvSL_
; %bb.0:
	.section	.rodata,"a",@progbits
	.p2align	6, 0x0
	.amdhsa_kernel _ZN7rocprim17ROCPRIM_400000_NS6detail17trampoline_kernelINS0_14default_configENS1_38merge_sort_block_merge_config_selectorItNS0_10empty_typeEEEZZNS1_27merge_sort_block_merge_implIS3_N6thrust23THRUST_200600_302600_NS6detail15normal_iteratorINS9_10device_ptrItEEEEPS5_jNS1_19radix_merge_compareILb0ELb0EtNS0_19identity_decomposerEEEEE10hipError_tT0_T1_T2_jT3_P12ihipStream_tbPNSt15iterator_traitsISK_E10value_typeEPNSQ_ISL_E10value_typeEPSM_NS1_7vsmem_tEENKUlT_SK_SL_SM_E_clISE_PtSF_SF_EESJ_SZ_SK_SL_SM_EUlSZ_E1_NS1_11comp_targetILNS1_3genE0ELNS1_11target_archE4294967295ELNS1_3gpuE0ELNS1_3repE0EEENS1_36merge_oddeven_config_static_selectorELNS0_4arch9wavefront6targetE1EEEvSL_
		.amdhsa_group_segment_fixed_size 0
		.amdhsa_private_segment_fixed_size 0
		.amdhsa_kernarg_size 48
		.amdhsa_user_sgpr_count 6
		.amdhsa_user_sgpr_private_segment_buffer 1
		.amdhsa_user_sgpr_dispatch_ptr 0
		.amdhsa_user_sgpr_queue_ptr 0
		.amdhsa_user_sgpr_kernarg_segment_ptr 1
		.amdhsa_user_sgpr_dispatch_id 0
		.amdhsa_user_sgpr_flat_scratch_init 0
		.amdhsa_user_sgpr_kernarg_preload_length 0
		.amdhsa_user_sgpr_kernarg_preload_offset 0
		.amdhsa_user_sgpr_private_segment_size 0
		.amdhsa_uses_dynamic_stack 0
		.amdhsa_system_sgpr_private_segment_wavefront_offset 0
		.amdhsa_system_sgpr_workgroup_id_x 1
		.amdhsa_system_sgpr_workgroup_id_y 0
		.amdhsa_system_sgpr_workgroup_id_z 0
		.amdhsa_system_sgpr_workgroup_info 0
		.amdhsa_system_vgpr_workitem_id 0
		.amdhsa_next_free_vgpr 1
		.amdhsa_next_free_sgpr 0
		.amdhsa_accum_offset 4
		.amdhsa_reserve_vcc 0
		.amdhsa_reserve_flat_scratch 0
		.amdhsa_float_round_mode_32 0
		.amdhsa_float_round_mode_16_64 0
		.amdhsa_float_denorm_mode_32 3
		.amdhsa_float_denorm_mode_16_64 3
		.amdhsa_dx10_clamp 1
		.amdhsa_ieee_mode 1
		.amdhsa_fp16_overflow 0
		.amdhsa_tg_split 0
		.amdhsa_exception_fp_ieee_invalid_op 0
		.amdhsa_exception_fp_denorm_src 0
		.amdhsa_exception_fp_ieee_div_zero 0
		.amdhsa_exception_fp_ieee_overflow 0
		.amdhsa_exception_fp_ieee_underflow 0
		.amdhsa_exception_fp_ieee_inexact 0
		.amdhsa_exception_int_div_zero 0
	.end_amdhsa_kernel
	.section	.text._ZN7rocprim17ROCPRIM_400000_NS6detail17trampoline_kernelINS0_14default_configENS1_38merge_sort_block_merge_config_selectorItNS0_10empty_typeEEEZZNS1_27merge_sort_block_merge_implIS3_N6thrust23THRUST_200600_302600_NS6detail15normal_iteratorINS9_10device_ptrItEEEEPS5_jNS1_19radix_merge_compareILb0ELb0EtNS0_19identity_decomposerEEEEE10hipError_tT0_T1_T2_jT3_P12ihipStream_tbPNSt15iterator_traitsISK_E10value_typeEPNSQ_ISL_E10value_typeEPSM_NS1_7vsmem_tEENKUlT_SK_SL_SM_E_clISE_PtSF_SF_EESJ_SZ_SK_SL_SM_EUlSZ_E1_NS1_11comp_targetILNS1_3genE0ELNS1_11target_archE4294967295ELNS1_3gpuE0ELNS1_3repE0EEENS1_36merge_oddeven_config_static_selectorELNS0_4arch9wavefront6targetE1EEEvSL_,"axG",@progbits,_ZN7rocprim17ROCPRIM_400000_NS6detail17trampoline_kernelINS0_14default_configENS1_38merge_sort_block_merge_config_selectorItNS0_10empty_typeEEEZZNS1_27merge_sort_block_merge_implIS3_N6thrust23THRUST_200600_302600_NS6detail15normal_iteratorINS9_10device_ptrItEEEEPS5_jNS1_19radix_merge_compareILb0ELb0EtNS0_19identity_decomposerEEEEE10hipError_tT0_T1_T2_jT3_P12ihipStream_tbPNSt15iterator_traitsISK_E10value_typeEPNSQ_ISL_E10value_typeEPSM_NS1_7vsmem_tEENKUlT_SK_SL_SM_E_clISE_PtSF_SF_EESJ_SZ_SK_SL_SM_EUlSZ_E1_NS1_11comp_targetILNS1_3genE0ELNS1_11target_archE4294967295ELNS1_3gpuE0ELNS1_3repE0EEENS1_36merge_oddeven_config_static_selectorELNS0_4arch9wavefront6targetE1EEEvSL_,comdat
.Lfunc_end1246:
	.size	_ZN7rocprim17ROCPRIM_400000_NS6detail17trampoline_kernelINS0_14default_configENS1_38merge_sort_block_merge_config_selectorItNS0_10empty_typeEEEZZNS1_27merge_sort_block_merge_implIS3_N6thrust23THRUST_200600_302600_NS6detail15normal_iteratorINS9_10device_ptrItEEEEPS5_jNS1_19radix_merge_compareILb0ELb0EtNS0_19identity_decomposerEEEEE10hipError_tT0_T1_T2_jT3_P12ihipStream_tbPNSt15iterator_traitsISK_E10value_typeEPNSQ_ISL_E10value_typeEPSM_NS1_7vsmem_tEENKUlT_SK_SL_SM_E_clISE_PtSF_SF_EESJ_SZ_SK_SL_SM_EUlSZ_E1_NS1_11comp_targetILNS1_3genE0ELNS1_11target_archE4294967295ELNS1_3gpuE0ELNS1_3repE0EEENS1_36merge_oddeven_config_static_selectorELNS0_4arch9wavefront6targetE1EEEvSL_, .Lfunc_end1246-_ZN7rocprim17ROCPRIM_400000_NS6detail17trampoline_kernelINS0_14default_configENS1_38merge_sort_block_merge_config_selectorItNS0_10empty_typeEEEZZNS1_27merge_sort_block_merge_implIS3_N6thrust23THRUST_200600_302600_NS6detail15normal_iteratorINS9_10device_ptrItEEEEPS5_jNS1_19radix_merge_compareILb0ELb0EtNS0_19identity_decomposerEEEEE10hipError_tT0_T1_T2_jT3_P12ihipStream_tbPNSt15iterator_traitsISK_E10value_typeEPNSQ_ISL_E10value_typeEPSM_NS1_7vsmem_tEENKUlT_SK_SL_SM_E_clISE_PtSF_SF_EESJ_SZ_SK_SL_SM_EUlSZ_E1_NS1_11comp_targetILNS1_3genE0ELNS1_11target_archE4294967295ELNS1_3gpuE0ELNS1_3repE0EEENS1_36merge_oddeven_config_static_selectorELNS0_4arch9wavefront6targetE1EEEvSL_
                                        ; -- End function
	.section	.AMDGPU.csdata,"",@progbits
; Kernel info:
; codeLenInByte = 0
; NumSgprs: 4
; NumVgprs: 0
; NumAgprs: 0
; TotalNumVgprs: 0
; ScratchSize: 0
; MemoryBound: 0
; FloatMode: 240
; IeeeMode: 1
; LDSByteSize: 0 bytes/workgroup (compile time only)
; SGPRBlocks: 0
; VGPRBlocks: 0
; NumSGPRsForWavesPerEU: 4
; NumVGPRsForWavesPerEU: 1
; AccumOffset: 4
; Occupancy: 8
; WaveLimiterHint : 0
; COMPUTE_PGM_RSRC2:SCRATCH_EN: 0
; COMPUTE_PGM_RSRC2:USER_SGPR: 6
; COMPUTE_PGM_RSRC2:TRAP_HANDLER: 0
; COMPUTE_PGM_RSRC2:TGID_X_EN: 1
; COMPUTE_PGM_RSRC2:TGID_Y_EN: 0
; COMPUTE_PGM_RSRC2:TGID_Z_EN: 0
; COMPUTE_PGM_RSRC2:TIDIG_COMP_CNT: 0
; COMPUTE_PGM_RSRC3_GFX90A:ACCUM_OFFSET: 0
; COMPUTE_PGM_RSRC3_GFX90A:TG_SPLIT: 0
	.section	.text._ZN7rocprim17ROCPRIM_400000_NS6detail17trampoline_kernelINS0_14default_configENS1_38merge_sort_block_merge_config_selectorItNS0_10empty_typeEEEZZNS1_27merge_sort_block_merge_implIS3_N6thrust23THRUST_200600_302600_NS6detail15normal_iteratorINS9_10device_ptrItEEEEPS5_jNS1_19radix_merge_compareILb0ELb0EtNS0_19identity_decomposerEEEEE10hipError_tT0_T1_T2_jT3_P12ihipStream_tbPNSt15iterator_traitsISK_E10value_typeEPNSQ_ISL_E10value_typeEPSM_NS1_7vsmem_tEENKUlT_SK_SL_SM_E_clISE_PtSF_SF_EESJ_SZ_SK_SL_SM_EUlSZ_E1_NS1_11comp_targetILNS1_3genE10ELNS1_11target_archE1201ELNS1_3gpuE5ELNS1_3repE0EEENS1_36merge_oddeven_config_static_selectorELNS0_4arch9wavefront6targetE1EEEvSL_,"axG",@progbits,_ZN7rocprim17ROCPRIM_400000_NS6detail17trampoline_kernelINS0_14default_configENS1_38merge_sort_block_merge_config_selectorItNS0_10empty_typeEEEZZNS1_27merge_sort_block_merge_implIS3_N6thrust23THRUST_200600_302600_NS6detail15normal_iteratorINS9_10device_ptrItEEEEPS5_jNS1_19radix_merge_compareILb0ELb0EtNS0_19identity_decomposerEEEEE10hipError_tT0_T1_T2_jT3_P12ihipStream_tbPNSt15iterator_traitsISK_E10value_typeEPNSQ_ISL_E10value_typeEPSM_NS1_7vsmem_tEENKUlT_SK_SL_SM_E_clISE_PtSF_SF_EESJ_SZ_SK_SL_SM_EUlSZ_E1_NS1_11comp_targetILNS1_3genE10ELNS1_11target_archE1201ELNS1_3gpuE5ELNS1_3repE0EEENS1_36merge_oddeven_config_static_selectorELNS0_4arch9wavefront6targetE1EEEvSL_,comdat
	.protected	_ZN7rocprim17ROCPRIM_400000_NS6detail17trampoline_kernelINS0_14default_configENS1_38merge_sort_block_merge_config_selectorItNS0_10empty_typeEEEZZNS1_27merge_sort_block_merge_implIS3_N6thrust23THRUST_200600_302600_NS6detail15normal_iteratorINS9_10device_ptrItEEEEPS5_jNS1_19radix_merge_compareILb0ELb0EtNS0_19identity_decomposerEEEEE10hipError_tT0_T1_T2_jT3_P12ihipStream_tbPNSt15iterator_traitsISK_E10value_typeEPNSQ_ISL_E10value_typeEPSM_NS1_7vsmem_tEENKUlT_SK_SL_SM_E_clISE_PtSF_SF_EESJ_SZ_SK_SL_SM_EUlSZ_E1_NS1_11comp_targetILNS1_3genE10ELNS1_11target_archE1201ELNS1_3gpuE5ELNS1_3repE0EEENS1_36merge_oddeven_config_static_selectorELNS0_4arch9wavefront6targetE1EEEvSL_ ; -- Begin function _ZN7rocprim17ROCPRIM_400000_NS6detail17trampoline_kernelINS0_14default_configENS1_38merge_sort_block_merge_config_selectorItNS0_10empty_typeEEEZZNS1_27merge_sort_block_merge_implIS3_N6thrust23THRUST_200600_302600_NS6detail15normal_iteratorINS9_10device_ptrItEEEEPS5_jNS1_19radix_merge_compareILb0ELb0EtNS0_19identity_decomposerEEEEE10hipError_tT0_T1_T2_jT3_P12ihipStream_tbPNSt15iterator_traitsISK_E10value_typeEPNSQ_ISL_E10value_typeEPSM_NS1_7vsmem_tEENKUlT_SK_SL_SM_E_clISE_PtSF_SF_EESJ_SZ_SK_SL_SM_EUlSZ_E1_NS1_11comp_targetILNS1_3genE10ELNS1_11target_archE1201ELNS1_3gpuE5ELNS1_3repE0EEENS1_36merge_oddeven_config_static_selectorELNS0_4arch9wavefront6targetE1EEEvSL_
	.globl	_ZN7rocprim17ROCPRIM_400000_NS6detail17trampoline_kernelINS0_14default_configENS1_38merge_sort_block_merge_config_selectorItNS0_10empty_typeEEEZZNS1_27merge_sort_block_merge_implIS3_N6thrust23THRUST_200600_302600_NS6detail15normal_iteratorINS9_10device_ptrItEEEEPS5_jNS1_19radix_merge_compareILb0ELb0EtNS0_19identity_decomposerEEEEE10hipError_tT0_T1_T2_jT3_P12ihipStream_tbPNSt15iterator_traitsISK_E10value_typeEPNSQ_ISL_E10value_typeEPSM_NS1_7vsmem_tEENKUlT_SK_SL_SM_E_clISE_PtSF_SF_EESJ_SZ_SK_SL_SM_EUlSZ_E1_NS1_11comp_targetILNS1_3genE10ELNS1_11target_archE1201ELNS1_3gpuE5ELNS1_3repE0EEENS1_36merge_oddeven_config_static_selectorELNS0_4arch9wavefront6targetE1EEEvSL_
	.p2align	8
	.type	_ZN7rocprim17ROCPRIM_400000_NS6detail17trampoline_kernelINS0_14default_configENS1_38merge_sort_block_merge_config_selectorItNS0_10empty_typeEEEZZNS1_27merge_sort_block_merge_implIS3_N6thrust23THRUST_200600_302600_NS6detail15normal_iteratorINS9_10device_ptrItEEEEPS5_jNS1_19radix_merge_compareILb0ELb0EtNS0_19identity_decomposerEEEEE10hipError_tT0_T1_T2_jT3_P12ihipStream_tbPNSt15iterator_traitsISK_E10value_typeEPNSQ_ISL_E10value_typeEPSM_NS1_7vsmem_tEENKUlT_SK_SL_SM_E_clISE_PtSF_SF_EESJ_SZ_SK_SL_SM_EUlSZ_E1_NS1_11comp_targetILNS1_3genE10ELNS1_11target_archE1201ELNS1_3gpuE5ELNS1_3repE0EEENS1_36merge_oddeven_config_static_selectorELNS0_4arch9wavefront6targetE1EEEvSL_,@function
_ZN7rocprim17ROCPRIM_400000_NS6detail17trampoline_kernelINS0_14default_configENS1_38merge_sort_block_merge_config_selectorItNS0_10empty_typeEEEZZNS1_27merge_sort_block_merge_implIS3_N6thrust23THRUST_200600_302600_NS6detail15normal_iteratorINS9_10device_ptrItEEEEPS5_jNS1_19radix_merge_compareILb0ELb0EtNS0_19identity_decomposerEEEEE10hipError_tT0_T1_T2_jT3_P12ihipStream_tbPNSt15iterator_traitsISK_E10value_typeEPNSQ_ISL_E10value_typeEPSM_NS1_7vsmem_tEENKUlT_SK_SL_SM_E_clISE_PtSF_SF_EESJ_SZ_SK_SL_SM_EUlSZ_E1_NS1_11comp_targetILNS1_3genE10ELNS1_11target_archE1201ELNS1_3gpuE5ELNS1_3repE0EEENS1_36merge_oddeven_config_static_selectorELNS0_4arch9wavefront6targetE1EEEvSL_: ; @_ZN7rocprim17ROCPRIM_400000_NS6detail17trampoline_kernelINS0_14default_configENS1_38merge_sort_block_merge_config_selectorItNS0_10empty_typeEEEZZNS1_27merge_sort_block_merge_implIS3_N6thrust23THRUST_200600_302600_NS6detail15normal_iteratorINS9_10device_ptrItEEEEPS5_jNS1_19radix_merge_compareILb0ELb0EtNS0_19identity_decomposerEEEEE10hipError_tT0_T1_T2_jT3_P12ihipStream_tbPNSt15iterator_traitsISK_E10value_typeEPNSQ_ISL_E10value_typeEPSM_NS1_7vsmem_tEENKUlT_SK_SL_SM_E_clISE_PtSF_SF_EESJ_SZ_SK_SL_SM_EUlSZ_E1_NS1_11comp_targetILNS1_3genE10ELNS1_11target_archE1201ELNS1_3gpuE5ELNS1_3repE0EEENS1_36merge_oddeven_config_static_selectorELNS0_4arch9wavefront6targetE1EEEvSL_
; %bb.0:
	.section	.rodata,"a",@progbits
	.p2align	6, 0x0
	.amdhsa_kernel _ZN7rocprim17ROCPRIM_400000_NS6detail17trampoline_kernelINS0_14default_configENS1_38merge_sort_block_merge_config_selectorItNS0_10empty_typeEEEZZNS1_27merge_sort_block_merge_implIS3_N6thrust23THRUST_200600_302600_NS6detail15normal_iteratorINS9_10device_ptrItEEEEPS5_jNS1_19radix_merge_compareILb0ELb0EtNS0_19identity_decomposerEEEEE10hipError_tT0_T1_T2_jT3_P12ihipStream_tbPNSt15iterator_traitsISK_E10value_typeEPNSQ_ISL_E10value_typeEPSM_NS1_7vsmem_tEENKUlT_SK_SL_SM_E_clISE_PtSF_SF_EESJ_SZ_SK_SL_SM_EUlSZ_E1_NS1_11comp_targetILNS1_3genE10ELNS1_11target_archE1201ELNS1_3gpuE5ELNS1_3repE0EEENS1_36merge_oddeven_config_static_selectorELNS0_4arch9wavefront6targetE1EEEvSL_
		.amdhsa_group_segment_fixed_size 0
		.amdhsa_private_segment_fixed_size 0
		.amdhsa_kernarg_size 48
		.amdhsa_user_sgpr_count 6
		.amdhsa_user_sgpr_private_segment_buffer 1
		.amdhsa_user_sgpr_dispatch_ptr 0
		.amdhsa_user_sgpr_queue_ptr 0
		.amdhsa_user_sgpr_kernarg_segment_ptr 1
		.amdhsa_user_sgpr_dispatch_id 0
		.amdhsa_user_sgpr_flat_scratch_init 0
		.amdhsa_user_sgpr_kernarg_preload_length 0
		.amdhsa_user_sgpr_kernarg_preload_offset 0
		.amdhsa_user_sgpr_private_segment_size 0
		.amdhsa_uses_dynamic_stack 0
		.amdhsa_system_sgpr_private_segment_wavefront_offset 0
		.amdhsa_system_sgpr_workgroup_id_x 1
		.amdhsa_system_sgpr_workgroup_id_y 0
		.amdhsa_system_sgpr_workgroup_id_z 0
		.amdhsa_system_sgpr_workgroup_info 0
		.amdhsa_system_vgpr_workitem_id 0
		.amdhsa_next_free_vgpr 1
		.amdhsa_next_free_sgpr 0
		.amdhsa_accum_offset 4
		.amdhsa_reserve_vcc 0
		.amdhsa_reserve_flat_scratch 0
		.amdhsa_float_round_mode_32 0
		.amdhsa_float_round_mode_16_64 0
		.amdhsa_float_denorm_mode_32 3
		.amdhsa_float_denorm_mode_16_64 3
		.amdhsa_dx10_clamp 1
		.amdhsa_ieee_mode 1
		.amdhsa_fp16_overflow 0
		.amdhsa_tg_split 0
		.amdhsa_exception_fp_ieee_invalid_op 0
		.amdhsa_exception_fp_denorm_src 0
		.amdhsa_exception_fp_ieee_div_zero 0
		.amdhsa_exception_fp_ieee_overflow 0
		.amdhsa_exception_fp_ieee_underflow 0
		.amdhsa_exception_fp_ieee_inexact 0
		.amdhsa_exception_int_div_zero 0
	.end_amdhsa_kernel
	.section	.text._ZN7rocprim17ROCPRIM_400000_NS6detail17trampoline_kernelINS0_14default_configENS1_38merge_sort_block_merge_config_selectorItNS0_10empty_typeEEEZZNS1_27merge_sort_block_merge_implIS3_N6thrust23THRUST_200600_302600_NS6detail15normal_iteratorINS9_10device_ptrItEEEEPS5_jNS1_19radix_merge_compareILb0ELb0EtNS0_19identity_decomposerEEEEE10hipError_tT0_T1_T2_jT3_P12ihipStream_tbPNSt15iterator_traitsISK_E10value_typeEPNSQ_ISL_E10value_typeEPSM_NS1_7vsmem_tEENKUlT_SK_SL_SM_E_clISE_PtSF_SF_EESJ_SZ_SK_SL_SM_EUlSZ_E1_NS1_11comp_targetILNS1_3genE10ELNS1_11target_archE1201ELNS1_3gpuE5ELNS1_3repE0EEENS1_36merge_oddeven_config_static_selectorELNS0_4arch9wavefront6targetE1EEEvSL_,"axG",@progbits,_ZN7rocprim17ROCPRIM_400000_NS6detail17trampoline_kernelINS0_14default_configENS1_38merge_sort_block_merge_config_selectorItNS0_10empty_typeEEEZZNS1_27merge_sort_block_merge_implIS3_N6thrust23THRUST_200600_302600_NS6detail15normal_iteratorINS9_10device_ptrItEEEEPS5_jNS1_19radix_merge_compareILb0ELb0EtNS0_19identity_decomposerEEEEE10hipError_tT0_T1_T2_jT3_P12ihipStream_tbPNSt15iterator_traitsISK_E10value_typeEPNSQ_ISL_E10value_typeEPSM_NS1_7vsmem_tEENKUlT_SK_SL_SM_E_clISE_PtSF_SF_EESJ_SZ_SK_SL_SM_EUlSZ_E1_NS1_11comp_targetILNS1_3genE10ELNS1_11target_archE1201ELNS1_3gpuE5ELNS1_3repE0EEENS1_36merge_oddeven_config_static_selectorELNS0_4arch9wavefront6targetE1EEEvSL_,comdat
.Lfunc_end1247:
	.size	_ZN7rocprim17ROCPRIM_400000_NS6detail17trampoline_kernelINS0_14default_configENS1_38merge_sort_block_merge_config_selectorItNS0_10empty_typeEEEZZNS1_27merge_sort_block_merge_implIS3_N6thrust23THRUST_200600_302600_NS6detail15normal_iteratorINS9_10device_ptrItEEEEPS5_jNS1_19radix_merge_compareILb0ELb0EtNS0_19identity_decomposerEEEEE10hipError_tT0_T1_T2_jT3_P12ihipStream_tbPNSt15iterator_traitsISK_E10value_typeEPNSQ_ISL_E10value_typeEPSM_NS1_7vsmem_tEENKUlT_SK_SL_SM_E_clISE_PtSF_SF_EESJ_SZ_SK_SL_SM_EUlSZ_E1_NS1_11comp_targetILNS1_3genE10ELNS1_11target_archE1201ELNS1_3gpuE5ELNS1_3repE0EEENS1_36merge_oddeven_config_static_selectorELNS0_4arch9wavefront6targetE1EEEvSL_, .Lfunc_end1247-_ZN7rocprim17ROCPRIM_400000_NS6detail17trampoline_kernelINS0_14default_configENS1_38merge_sort_block_merge_config_selectorItNS0_10empty_typeEEEZZNS1_27merge_sort_block_merge_implIS3_N6thrust23THRUST_200600_302600_NS6detail15normal_iteratorINS9_10device_ptrItEEEEPS5_jNS1_19radix_merge_compareILb0ELb0EtNS0_19identity_decomposerEEEEE10hipError_tT0_T1_T2_jT3_P12ihipStream_tbPNSt15iterator_traitsISK_E10value_typeEPNSQ_ISL_E10value_typeEPSM_NS1_7vsmem_tEENKUlT_SK_SL_SM_E_clISE_PtSF_SF_EESJ_SZ_SK_SL_SM_EUlSZ_E1_NS1_11comp_targetILNS1_3genE10ELNS1_11target_archE1201ELNS1_3gpuE5ELNS1_3repE0EEENS1_36merge_oddeven_config_static_selectorELNS0_4arch9wavefront6targetE1EEEvSL_
                                        ; -- End function
	.section	.AMDGPU.csdata,"",@progbits
; Kernel info:
; codeLenInByte = 0
; NumSgprs: 4
; NumVgprs: 0
; NumAgprs: 0
; TotalNumVgprs: 0
; ScratchSize: 0
; MemoryBound: 0
; FloatMode: 240
; IeeeMode: 1
; LDSByteSize: 0 bytes/workgroup (compile time only)
; SGPRBlocks: 0
; VGPRBlocks: 0
; NumSGPRsForWavesPerEU: 4
; NumVGPRsForWavesPerEU: 1
; AccumOffset: 4
; Occupancy: 8
; WaveLimiterHint : 0
; COMPUTE_PGM_RSRC2:SCRATCH_EN: 0
; COMPUTE_PGM_RSRC2:USER_SGPR: 6
; COMPUTE_PGM_RSRC2:TRAP_HANDLER: 0
; COMPUTE_PGM_RSRC2:TGID_X_EN: 1
; COMPUTE_PGM_RSRC2:TGID_Y_EN: 0
; COMPUTE_PGM_RSRC2:TGID_Z_EN: 0
; COMPUTE_PGM_RSRC2:TIDIG_COMP_CNT: 0
; COMPUTE_PGM_RSRC3_GFX90A:ACCUM_OFFSET: 0
; COMPUTE_PGM_RSRC3_GFX90A:TG_SPLIT: 0
	.section	.text._ZN7rocprim17ROCPRIM_400000_NS6detail17trampoline_kernelINS0_14default_configENS1_38merge_sort_block_merge_config_selectorItNS0_10empty_typeEEEZZNS1_27merge_sort_block_merge_implIS3_N6thrust23THRUST_200600_302600_NS6detail15normal_iteratorINS9_10device_ptrItEEEEPS5_jNS1_19radix_merge_compareILb0ELb0EtNS0_19identity_decomposerEEEEE10hipError_tT0_T1_T2_jT3_P12ihipStream_tbPNSt15iterator_traitsISK_E10value_typeEPNSQ_ISL_E10value_typeEPSM_NS1_7vsmem_tEENKUlT_SK_SL_SM_E_clISE_PtSF_SF_EESJ_SZ_SK_SL_SM_EUlSZ_E1_NS1_11comp_targetILNS1_3genE5ELNS1_11target_archE942ELNS1_3gpuE9ELNS1_3repE0EEENS1_36merge_oddeven_config_static_selectorELNS0_4arch9wavefront6targetE1EEEvSL_,"axG",@progbits,_ZN7rocprim17ROCPRIM_400000_NS6detail17trampoline_kernelINS0_14default_configENS1_38merge_sort_block_merge_config_selectorItNS0_10empty_typeEEEZZNS1_27merge_sort_block_merge_implIS3_N6thrust23THRUST_200600_302600_NS6detail15normal_iteratorINS9_10device_ptrItEEEEPS5_jNS1_19radix_merge_compareILb0ELb0EtNS0_19identity_decomposerEEEEE10hipError_tT0_T1_T2_jT3_P12ihipStream_tbPNSt15iterator_traitsISK_E10value_typeEPNSQ_ISL_E10value_typeEPSM_NS1_7vsmem_tEENKUlT_SK_SL_SM_E_clISE_PtSF_SF_EESJ_SZ_SK_SL_SM_EUlSZ_E1_NS1_11comp_targetILNS1_3genE5ELNS1_11target_archE942ELNS1_3gpuE9ELNS1_3repE0EEENS1_36merge_oddeven_config_static_selectorELNS0_4arch9wavefront6targetE1EEEvSL_,comdat
	.protected	_ZN7rocprim17ROCPRIM_400000_NS6detail17trampoline_kernelINS0_14default_configENS1_38merge_sort_block_merge_config_selectorItNS0_10empty_typeEEEZZNS1_27merge_sort_block_merge_implIS3_N6thrust23THRUST_200600_302600_NS6detail15normal_iteratorINS9_10device_ptrItEEEEPS5_jNS1_19radix_merge_compareILb0ELb0EtNS0_19identity_decomposerEEEEE10hipError_tT0_T1_T2_jT3_P12ihipStream_tbPNSt15iterator_traitsISK_E10value_typeEPNSQ_ISL_E10value_typeEPSM_NS1_7vsmem_tEENKUlT_SK_SL_SM_E_clISE_PtSF_SF_EESJ_SZ_SK_SL_SM_EUlSZ_E1_NS1_11comp_targetILNS1_3genE5ELNS1_11target_archE942ELNS1_3gpuE9ELNS1_3repE0EEENS1_36merge_oddeven_config_static_selectorELNS0_4arch9wavefront6targetE1EEEvSL_ ; -- Begin function _ZN7rocprim17ROCPRIM_400000_NS6detail17trampoline_kernelINS0_14default_configENS1_38merge_sort_block_merge_config_selectorItNS0_10empty_typeEEEZZNS1_27merge_sort_block_merge_implIS3_N6thrust23THRUST_200600_302600_NS6detail15normal_iteratorINS9_10device_ptrItEEEEPS5_jNS1_19radix_merge_compareILb0ELb0EtNS0_19identity_decomposerEEEEE10hipError_tT0_T1_T2_jT3_P12ihipStream_tbPNSt15iterator_traitsISK_E10value_typeEPNSQ_ISL_E10value_typeEPSM_NS1_7vsmem_tEENKUlT_SK_SL_SM_E_clISE_PtSF_SF_EESJ_SZ_SK_SL_SM_EUlSZ_E1_NS1_11comp_targetILNS1_3genE5ELNS1_11target_archE942ELNS1_3gpuE9ELNS1_3repE0EEENS1_36merge_oddeven_config_static_selectorELNS0_4arch9wavefront6targetE1EEEvSL_
	.globl	_ZN7rocprim17ROCPRIM_400000_NS6detail17trampoline_kernelINS0_14default_configENS1_38merge_sort_block_merge_config_selectorItNS0_10empty_typeEEEZZNS1_27merge_sort_block_merge_implIS3_N6thrust23THRUST_200600_302600_NS6detail15normal_iteratorINS9_10device_ptrItEEEEPS5_jNS1_19radix_merge_compareILb0ELb0EtNS0_19identity_decomposerEEEEE10hipError_tT0_T1_T2_jT3_P12ihipStream_tbPNSt15iterator_traitsISK_E10value_typeEPNSQ_ISL_E10value_typeEPSM_NS1_7vsmem_tEENKUlT_SK_SL_SM_E_clISE_PtSF_SF_EESJ_SZ_SK_SL_SM_EUlSZ_E1_NS1_11comp_targetILNS1_3genE5ELNS1_11target_archE942ELNS1_3gpuE9ELNS1_3repE0EEENS1_36merge_oddeven_config_static_selectorELNS0_4arch9wavefront6targetE1EEEvSL_
	.p2align	8
	.type	_ZN7rocprim17ROCPRIM_400000_NS6detail17trampoline_kernelINS0_14default_configENS1_38merge_sort_block_merge_config_selectorItNS0_10empty_typeEEEZZNS1_27merge_sort_block_merge_implIS3_N6thrust23THRUST_200600_302600_NS6detail15normal_iteratorINS9_10device_ptrItEEEEPS5_jNS1_19radix_merge_compareILb0ELb0EtNS0_19identity_decomposerEEEEE10hipError_tT0_T1_T2_jT3_P12ihipStream_tbPNSt15iterator_traitsISK_E10value_typeEPNSQ_ISL_E10value_typeEPSM_NS1_7vsmem_tEENKUlT_SK_SL_SM_E_clISE_PtSF_SF_EESJ_SZ_SK_SL_SM_EUlSZ_E1_NS1_11comp_targetILNS1_3genE5ELNS1_11target_archE942ELNS1_3gpuE9ELNS1_3repE0EEENS1_36merge_oddeven_config_static_selectorELNS0_4arch9wavefront6targetE1EEEvSL_,@function
_ZN7rocprim17ROCPRIM_400000_NS6detail17trampoline_kernelINS0_14default_configENS1_38merge_sort_block_merge_config_selectorItNS0_10empty_typeEEEZZNS1_27merge_sort_block_merge_implIS3_N6thrust23THRUST_200600_302600_NS6detail15normal_iteratorINS9_10device_ptrItEEEEPS5_jNS1_19radix_merge_compareILb0ELb0EtNS0_19identity_decomposerEEEEE10hipError_tT0_T1_T2_jT3_P12ihipStream_tbPNSt15iterator_traitsISK_E10value_typeEPNSQ_ISL_E10value_typeEPSM_NS1_7vsmem_tEENKUlT_SK_SL_SM_E_clISE_PtSF_SF_EESJ_SZ_SK_SL_SM_EUlSZ_E1_NS1_11comp_targetILNS1_3genE5ELNS1_11target_archE942ELNS1_3gpuE9ELNS1_3repE0EEENS1_36merge_oddeven_config_static_selectorELNS0_4arch9wavefront6targetE1EEEvSL_: ; @_ZN7rocprim17ROCPRIM_400000_NS6detail17trampoline_kernelINS0_14default_configENS1_38merge_sort_block_merge_config_selectorItNS0_10empty_typeEEEZZNS1_27merge_sort_block_merge_implIS3_N6thrust23THRUST_200600_302600_NS6detail15normal_iteratorINS9_10device_ptrItEEEEPS5_jNS1_19radix_merge_compareILb0ELb0EtNS0_19identity_decomposerEEEEE10hipError_tT0_T1_T2_jT3_P12ihipStream_tbPNSt15iterator_traitsISK_E10value_typeEPNSQ_ISL_E10value_typeEPSM_NS1_7vsmem_tEENKUlT_SK_SL_SM_E_clISE_PtSF_SF_EESJ_SZ_SK_SL_SM_EUlSZ_E1_NS1_11comp_targetILNS1_3genE5ELNS1_11target_archE942ELNS1_3gpuE9ELNS1_3repE0EEENS1_36merge_oddeven_config_static_selectorELNS0_4arch9wavefront6targetE1EEEvSL_
; %bb.0:
	.section	.rodata,"a",@progbits
	.p2align	6, 0x0
	.amdhsa_kernel _ZN7rocprim17ROCPRIM_400000_NS6detail17trampoline_kernelINS0_14default_configENS1_38merge_sort_block_merge_config_selectorItNS0_10empty_typeEEEZZNS1_27merge_sort_block_merge_implIS3_N6thrust23THRUST_200600_302600_NS6detail15normal_iteratorINS9_10device_ptrItEEEEPS5_jNS1_19radix_merge_compareILb0ELb0EtNS0_19identity_decomposerEEEEE10hipError_tT0_T1_T2_jT3_P12ihipStream_tbPNSt15iterator_traitsISK_E10value_typeEPNSQ_ISL_E10value_typeEPSM_NS1_7vsmem_tEENKUlT_SK_SL_SM_E_clISE_PtSF_SF_EESJ_SZ_SK_SL_SM_EUlSZ_E1_NS1_11comp_targetILNS1_3genE5ELNS1_11target_archE942ELNS1_3gpuE9ELNS1_3repE0EEENS1_36merge_oddeven_config_static_selectorELNS0_4arch9wavefront6targetE1EEEvSL_
		.amdhsa_group_segment_fixed_size 0
		.amdhsa_private_segment_fixed_size 0
		.amdhsa_kernarg_size 48
		.amdhsa_user_sgpr_count 6
		.amdhsa_user_sgpr_private_segment_buffer 1
		.amdhsa_user_sgpr_dispatch_ptr 0
		.amdhsa_user_sgpr_queue_ptr 0
		.amdhsa_user_sgpr_kernarg_segment_ptr 1
		.amdhsa_user_sgpr_dispatch_id 0
		.amdhsa_user_sgpr_flat_scratch_init 0
		.amdhsa_user_sgpr_kernarg_preload_length 0
		.amdhsa_user_sgpr_kernarg_preload_offset 0
		.amdhsa_user_sgpr_private_segment_size 0
		.amdhsa_uses_dynamic_stack 0
		.amdhsa_system_sgpr_private_segment_wavefront_offset 0
		.amdhsa_system_sgpr_workgroup_id_x 1
		.amdhsa_system_sgpr_workgroup_id_y 0
		.amdhsa_system_sgpr_workgroup_id_z 0
		.amdhsa_system_sgpr_workgroup_info 0
		.amdhsa_system_vgpr_workitem_id 0
		.amdhsa_next_free_vgpr 1
		.amdhsa_next_free_sgpr 0
		.amdhsa_accum_offset 4
		.amdhsa_reserve_vcc 0
		.amdhsa_reserve_flat_scratch 0
		.amdhsa_float_round_mode_32 0
		.amdhsa_float_round_mode_16_64 0
		.amdhsa_float_denorm_mode_32 3
		.amdhsa_float_denorm_mode_16_64 3
		.amdhsa_dx10_clamp 1
		.amdhsa_ieee_mode 1
		.amdhsa_fp16_overflow 0
		.amdhsa_tg_split 0
		.amdhsa_exception_fp_ieee_invalid_op 0
		.amdhsa_exception_fp_denorm_src 0
		.amdhsa_exception_fp_ieee_div_zero 0
		.amdhsa_exception_fp_ieee_overflow 0
		.amdhsa_exception_fp_ieee_underflow 0
		.amdhsa_exception_fp_ieee_inexact 0
		.amdhsa_exception_int_div_zero 0
	.end_amdhsa_kernel
	.section	.text._ZN7rocprim17ROCPRIM_400000_NS6detail17trampoline_kernelINS0_14default_configENS1_38merge_sort_block_merge_config_selectorItNS0_10empty_typeEEEZZNS1_27merge_sort_block_merge_implIS3_N6thrust23THRUST_200600_302600_NS6detail15normal_iteratorINS9_10device_ptrItEEEEPS5_jNS1_19radix_merge_compareILb0ELb0EtNS0_19identity_decomposerEEEEE10hipError_tT0_T1_T2_jT3_P12ihipStream_tbPNSt15iterator_traitsISK_E10value_typeEPNSQ_ISL_E10value_typeEPSM_NS1_7vsmem_tEENKUlT_SK_SL_SM_E_clISE_PtSF_SF_EESJ_SZ_SK_SL_SM_EUlSZ_E1_NS1_11comp_targetILNS1_3genE5ELNS1_11target_archE942ELNS1_3gpuE9ELNS1_3repE0EEENS1_36merge_oddeven_config_static_selectorELNS0_4arch9wavefront6targetE1EEEvSL_,"axG",@progbits,_ZN7rocprim17ROCPRIM_400000_NS6detail17trampoline_kernelINS0_14default_configENS1_38merge_sort_block_merge_config_selectorItNS0_10empty_typeEEEZZNS1_27merge_sort_block_merge_implIS3_N6thrust23THRUST_200600_302600_NS6detail15normal_iteratorINS9_10device_ptrItEEEEPS5_jNS1_19radix_merge_compareILb0ELb0EtNS0_19identity_decomposerEEEEE10hipError_tT0_T1_T2_jT3_P12ihipStream_tbPNSt15iterator_traitsISK_E10value_typeEPNSQ_ISL_E10value_typeEPSM_NS1_7vsmem_tEENKUlT_SK_SL_SM_E_clISE_PtSF_SF_EESJ_SZ_SK_SL_SM_EUlSZ_E1_NS1_11comp_targetILNS1_3genE5ELNS1_11target_archE942ELNS1_3gpuE9ELNS1_3repE0EEENS1_36merge_oddeven_config_static_selectorELNS0_4arch9wavefront6targetE1EEEvSL_,comdat
.Lfunc_end1248:
	.size	_ZN7rocprim17ROCPRIM_400000_NS6detail17trampoline_kernelINS0_14default_configENS1_38merge_sort_block_merge_config_selectorItNS0_10empty_typeEEEZZNS1_27merge_sort_block_merge_implIS3_N6thrust23THRUST_200600_302600_NS6detail15normal_iteratorINS9_10device_ptrItEEEEPS5_jNS1_19radix_merge_compareILb0ELb0EtNS0_19identity_decomposerEEEEE10hipError_tT0_T1_T2_jT3_P12ihipStream_tbPNSt15iterator_traitsISK_E10value_typeEPNSQ_ISL_E10value_typeEPSM_NS1_7vsmem_tEENKUlT_SK_SL_SM_E_clISE_PtSF_SF_EESJ_SZ_SK_SL_SM_EUlSZ_E1_NS1_11comp_targetILNS1_3genE5ELNS1_11target_archE942ELNS1_3gpuE9ELNS1_3repE0EEENS1_36merge_oddeven_config_static_selectorELNS0_4arch9wavefront6targetE1EEEvSL_, .Lfunc_end1248-_ZN7rocprim17ROCPRIM_400000_NS6detail17trampoline_kernelINS0_14default_configENS1_38merge_sort_block_merge_config_selectorItNS0_10empty_typeEEEZZNS1_27merge_sort_block_merge_implIS3_N6thrust23THRUST_200600_302600_NS6detail15normal_iteratorINS9_10device_ptrItEEEEPS5_jNS1_19radix_merge_compareILb0ELb0EtNS0_19identity_decomposerEEEEE10hipError_tT0_T1_T2_jT3_P12ihipStream_tbPNSt15iterator_traitsISK_E10value_typeEPNSQ_ISL_E10value_typeEPSM_NS1_7vsmem_tEENKUlT_SK_SL_SM_E_clISE_PtSF_SF_EESJ_SZ_SK_SL_SM_EUlSZ_E1_NS1_11comp_targetILNS1_3genE5ELNS1_11target_archE942ELNS1_3gpuE9ELNS1_3repE0EEENS1_36merge_oddeven_config_static_selectorELNS0_4arch9wavefront6targetE1EEEvSL_
                                        ; -- End function
	.section	.AMDGPU.csdata,"",@progbits
; Kernel info:
; codeLenInByte = 0
; NumSgprs: 4
; NumVgprs: 0
; NumAgprs: 0
; TotalNumVgprs: 0
; ScratchSize: 0
; MemoryBound: 0
; FloatMode: 240
; IeeeMode: 1
; LDSByteSize: 0 bytes/workgroup (compile time only)
; SGPRBlocks: 0
; VGPRBlocks: 0
; NumSGPRsForWavesPerEU: 4
; NumVGPRsForWavesPerEU: 1
; AccumOffset: 4
; Occupancy: 8
; WaveLimiterHint : 0
; COMPUTE_PGM_RSRC2:SCRATCH_EN: 0
; COMPUTE_PGM_RSRC2:USER_SGPR: 6
; COMPUTE_PGM_RSRC2:TRAP_HANDLER: 0
; COMPUTE_PGM_RSRC2:TGID_X_EN: 1
; COMPUTE_PGM_RSRC2:TGID_Y_EN: 0
; COMPUTE_PGM_RSRC2:TGID_Z_EN: 0
; COMPUTE_PGM_RSRC2:TIDIG_COMP_CNT: 0
; COMPUTE_PGM_RSRC3_GFX90A:ACCUM_OFFSET: 0
; COMPUTE_PGM_RSRC3_GFX90A:TG_SPLIT: 0
	.section	.text._ZN7rocprim17ROCPRIM_400000_NS6detail17trampoline_kernelINS0_14default_configENS1_38merge_sort_block_merge_config_selectorItNS0_10empty_typeEEEZZNS1_27merge_sort_block_merge_implIS3_N6thrust23THRUST_200600_302600_NS6detail15normal_iteratorINS9_10device_ptrItEEEEPS5_jNS1_19radix_merge_compareILb0ELb0EtNS0_19identity_decomposerEEEEE10hipError_tT0_T1_T2_jT3_P12ihipStream_tbPNSt15iterator_traitsISK_E10value_typeEPNSQ_ISL_E10value_typeEPSM_NS1_7vsmem_tEENKUlT_SK_SL_SM_E_clISE_PtSF_SF_EESJ_SZ_SK_SL_SM_EUlSZ_E1_NS1_11comp_targetILNS1_3genE4ELNS1_11target_archE910ELNS1_3gpuE8ELNS1_3repE0EEENS1_36merge_oddeven_config_static_selectorELNS0_4arch9wavefront6targetE1EEEvSL_,"axG",@progbits,_ZN7rocprim17ROCPRIM_400000_NS6detail17trampoline_kernelINS0_14default_configENS1_38merge_sort_block_merge_config_selectorItNS0_10empty_typeEEEZZNS1_27merge_sort_block_merge_implIS3_N6thrust23THRUST_200600_302600_NS6detail15normal_iteratorINS9_10device_ptrItEEEEPS5_jNS1_19radix_merge_compareILb0ELb0EtNS0_19identity_decomposerEEEEE10hipError_tT0_T1_T2_jT3_P12ihipStream_tbPNSt15iterator_traitsISK_E10value_typeEPNSQ_ISL_E10value_typeEPSM_NS1_7vsmem_tEENKUlT_SK_SL_SM_E_clISE_PtSF_SF_EESJ_SZ_SK_SL_SM_EUlSZ_E1_NS1_11comp_targetILNS1_3genE4ELNS1_11target_archE910ELNS1_3gpuE8ELNS1_3repE0EEENS1_36merge_oddeven_config_static_selectorELNS0_4arch9wavefront6targetE1EEEvSL_,comdat
	.protected	_ZN7rocprim17ROCPRIM_400000_NS6detail17trampoline_kernelINS0_14default_configENS1_38merge_sort_block_merge_config_selectorItNS0_10empty_typeEEEZZNS1_27merge_sort_block_merge_implIS3_N6thrust23THRUST_200600_302600_NS6detail15normal_iteratorINS9_10device_ptrItEEEEPS5_jNS1_19radix_merge_compareILb0ELb0EtNS0_19identity_decomposerEEEEE10hipError_tT0_T1_T2_jT3_P12ihipStream_tbPNSt15iterator_traitsISK_E10value_typeEPNSQ_ISL_E10value_typeEPSM_NS1_7vsmem_tEENKUlT_SK_SL_SM_E_clISE_PtSF_SF_EESJ_SZ_SK_SL_SM_EUlSZ_E1_NS1_11comp_targetILNS1_3genE4ELNS1_11target_archE910ELNS1_3gpuE8ELNS1_3repE0EEENS1_36merge_oddeven_config_static_selectorELNS0_4arch9wavefront6targetE1EEEvSL_ ; -- Begin function _ZN7rocprim17ROCPRIM_400000_NS6detail17trampoline_kernelINS0_14default_configENS1_38merge_sort_block_merge_config_selectorItNS0_10empty_typeEEEZZNS1_27merge_sort_block_merge_implIS3_N6thrust23THRUST_200600_302600_NS6detail15normal_iteratorINS9_10device_ptrItEEEEPS5_jNS1_19radix_merge_compareILb0ELb0EtNS0_19identity_decomposerEEEEE10hipError_tT0_T1_T2_jT3_P12ihipStream_tbPNSt15iterator_traitsISK_E10value_typeEPNSQ_ISL_E10value_typeEPSM_NS1_7vsmem_tEENKUlT_SK_SL_SM_E_clISE_PtSF_SF_EESJ_SZ_SK_SL_SM_EUlSZ_E1_NS1_11comp_targetILNS1_3genE4ELNS1_11target_archE910ELNS1_3gpuE8ELNS1_3repE0EEENS1_36merge_oddeven_config_static_selectorELNS0_4arch9wavefront6targetE1EEEvSL_
	.globl	_ZN7rocprim17ROCPRIM_400000_NS6detail17trampoline_kernelINS0_14default_configENS1_38merge_sort_block_merge_config_selectorItNS0_10empty_typeEEEZZNS1_27merge_sort_block_merge_implIS3_N6thrust23THRUST_200600_302600_NS6detail15normal_iteratorINS9_10device_ptrItEEEEPS5_jNS1_19radix_merge_compareILb0ELb0EtNS0_19identity_decomposerEEEEE10hipError_tT0_T1_T2_jT3_P12ihipStream_tbPNSt15iterator_traitsISK_E10value_typeEPNSQ_ISL_E10value_typeEPSM_NS1_7vsmem_tEENKUlT_SK_SL_SM_E_clISE_PtSF_SF_EESJ_SZ_SK_SL_SM_EUlSZ_E1_NS1_11comp_targetILNS1_3genE4ELNS1_11target_archE910ELNS1_3gpuE8ELNS1_3repE0EEENS1_36merge_oddeven_config_static_selectorELNS0_4arch9wavefront6targetE1EEEvSL_
	.p2align	8
	.type	_ZN7rocprim17ROCPRIM_400000_NS6detail17trampoline_kernelINS0_14default_configENS1_38merge_sort_block_merge_config_selectorItNS0_10empty_typeEEEZZNS1_27merge_sort_block_merge_implIS3_N6thrust23THRUST_200600_302600_NS6detail15normal_iteratorINS9_10device_ptrItEEEEPS5_jNS1_19radix_merge_compareILb0ELb0EtNS0_19identity_decomposerEEEEE10hipError_tT0_T1_T2_jT3_P12ihipStream_tbPNSt15iterator_traitsISK_E10value_typeEPNSQ_ISL_E10value_typeEPSM_NS1_7vsmem_tEENKUlT_SK_SL_SM_E_clISE_PtSF_SF_EESJ_SZ_SK_SL_SM_EUlSZ_E1_NS1_11comp_targetILNS1_3genE4ELNS1_11target_archE910ELNS1_3gpuE8ELNS1_3repE0EEENS1_36merge_oddeven_config_static_selectorELNS0_4arch9wavefront6targetE1EEEvSL_,@function
_ZN7rocprim17ROCPRIM_400000_NS6detail17trampoline_kernelINS0_14default_configENS1_38merge_sort_block_merge_config_selectorItNS0_10empty_typeEEEZZNS1_27merge_sort_block_merge_implIS3_N6thrust23THRUST_200600_302600_NS6detail15normal_iteratorINS9_10device_ptrItEEEEPS5_jNS1_19radix_merge_compareILb0ELb0EtNS0_19identity_decomposerEEEEE10hipError_tT0_T1_T2_jT3_P12ihipStream_tbPNSt15iterator_traitsISK_E10value_typeEPNSQ_ISL_E10value_typeEPSM_NS1_7vsmem_tEENKUlT_SK_SL_SM_E_clISE_PtSF_SF_EESJ_SZ_SK_SL_SM_EUlSZ_E1_NS1_11comp_targetILNS1_3genE4ELNS1_11target_archE910ELNS1_3gpuE8ELNS1_3repE0EEENS1_36merge_oddeven_config_static_selectorELNS0_4arch9wavefront6targetE1EEEvSL_: ; @_ZN7rocprim17ROCPRIM_400000_NS6detail17trampoline_kernelINS0_14default_configENS1_38merge_sort_block_merge_config_selectorItNS0_10empty_typeEEEZZNS1_27merge_sort_block_merge_implIS3_N6thrust23THRUST_200600_302600_NS6detail15normal_iteratorINS9_10device_ptrItEEEEPS5_jNS1_19radix_merge_compareILb0ELb0EtNS0_19identity_decomposerEEEEE10hipError_tT0_T1_T2_jT3_P12ihipStream_tbPNSt15iterator_traitsISK_E10value_typeEPNSQ_ISL_E10value_typeEPSM_NS1_7vsmem_tEENKUlT_SK_SL_SM_E_clISE_PtSF_SF_EESJ_SZ_SK_SL_SM_EUlSZ_E1_NS1_11comp_targetILNS1_3genE4ELNS1_11target_archE910ELNS1_3gpuE8ELNS1_3repE0EEENS1_36merge_oddeven_config_static_selectorELNS0_4arch9wavefront6targetE1EEEvSL_
; %bb.0:
	s_load_dword s18, s[4:5], 0x20
	s_waitcnt lgkmcnt(0)
	s_lshr_b32 s0, s18, 8
	s_cmp_lg_u32 s6, s0
	s_cselect_b64 s[14:15], -1, 0
	s_cmp_eq_u32 s6, s0
	s_cselect_b64 s[12:13], -1, 0
	s_lshl_b32 s16, s6, 8
	s_sub_i32 s0, s18, s16
	v_cmp_gt_u32_e64 s[2:3], s0, v0
	s_or_b64 s[0:1], s[14:15], s[2:3]
	s_and_saveexec_b64 s[8:9], s[0:1]
	s_cbranch_execz .LBB1249_20
; %bb.1:
	s_load_dwordx4 s[8:11], s[4:5], 0x0
	s_load_dword s19, s[4:5], 0x24
	s_mov_b32 s17, 0
	s_lshl_b64 s[0:1], s[16:17], 1
	v_lshlrev_b32_e32 v1, 1, v0
	s_waitcnt lgkmcnt(0)
	s_add_u32 s0, s8, s0
	s_addc_u32 s1, s9, s1
	global_load_ushort v2, v1, s[0:1]
	s_lshr_b32 s0, s19, 8
	s_sub_i32 s1, 0, s0
	s_and_b32 s1, s6, s1
	s_and_b32 s0, s1, s0
	s_lshl_b32 s20, s1, 8
	s_sub_i32 s6, 0, s19
	s_cmp_eq_u32 s0, 0
	s_cselect_b64 s[0:1], -1, 0
	s_and_b64 s[4:5], s[0:1], exec
	s_cselect_b32 s17, s19, s6
	s_add_i32 s17, s17, s20
	s_cmp_lt_u32 s17, s18
	v_add_u32_e32 v0, s16, v0
	s_cbranch_scc1 .LBB1249_3
; %bb.2:
	v_cmp_gt_u32_e32 vcc, s18, v0
	s_or_b64 s[4:5], vcc, s[14:15]
	s_and_b64 s[4:5], s[4:5], exec
	s_cbranch_execz .LBB1249_4
	s_branch .LBB1249_18
.LBB1249_3:
	s_mov_b64 s[4:5], 0
.LBB1249_4:
	s_min_u32 s14, s17, s18
	s_add_i32 s6, s14, s19
	s_min_u32 s15, s6, s18
	s_min_u32 s6, s20, s14
	s_add_i32 s20, s20, s14
	v_subrev_u32_e32 v0, s20, v0
	v_add_u32_e32 v1, s6, v0
	s_and_b64 vcc, exec, s[12:13]
	s_cbranch_vccz .LBB1249_12
; %bb.5:
                                        ; implicit-def: $vgpr0
	s_and_saveexec_b64 s[6:7], s[2:3]
	s_cbranch_execz .LBB1249_11
; %bb.6:
	s_cmp_ge_u32 s17, s15
	v_mov_b32_e32 v0, s14
	s_cbranch_scc1 .LBB1249_10
; %bb.7:
	s_mov_b64 s[2:3], 0
	v_mov_b32_e32 v3, s15
	v_mov_b32_e32 v0, s14
.LBB1249_8:                             ; =>This Inner Loop Header: Depth=1
	v_add_u32_e32 v4, v0, v3
	v_and_b32_e32 v5, -2, v4
	global_load_ushort v5, v5, s[8:9]
	v_lshrrev_b32_e32 v4, 1, v4
	v_add_u32_e32 v6, 1, v4
	s_waitcnt vmcnt(0)
	v_cmp_gt_u16_e32 vcc, v2, v5
	v_cndmask_b32_e64 v7, 0, 1, vcc
	v_cmp_le_u16_e32 vcc, v5, v2
	v_cndmask_b32_e64 v5, 0, 1, vcc
	v_cndmask_b32_e64 v5, v5, v7, s[0:1]
	v_and_b32_e32 v5, 1, v5
	v_cmp_eq_u32_e32 vcc, 1, v5
	v_cndmask_b32_e32 v3, v4, v3, vcc
	v_cndmask_b32_e32 v0, v0, v6, vcc
	v_cmp_ge_u32_e32 vcc, v0, v3
	s_or_b64 s[2:3], vcc, s[2:3]
	s_andn2_b64 exec, exec, s[2:3]
	s_cbranch_execnz .LBB1249_8
; %bb.9:
	s_or_b64 exec, exec, s[2:3]
.LBB1249_10:
	v_add_u32_e32 v0, v0, v1
	s_or_b64 s[4:5], s[4:5], exec
.LBB1249_11:
	s_or_b64 exec, exec, s[6:7]
	s_branch .LBB1249_18
.LBB1249_12:
                                        ; implicit-def: $vgpr0
	s_cbranch_execz .LBB1249_18
; %bb.13:
	s_cmp_ge_u32 s17, s15
	v_mov_b32_e32 v0, s14
	s_cbranch_scc1 .LBB1249_17
; %bb.14:
	s_mov_b64 s[2:3], 0
	v_mov_b32_e32 v3, s15
	v_mov_b32_e32 v0, s14
.LBB1249_15:                            ; =>This Inner Loop Header: Depth=1
	v_add_u32_e32 v4, v0, v3
	v_and_b32_e32 v5, -2, v4
	global_load_ushort v5, v5, s[8:9]
	v_lshrrev_b32_e32 v4, 1, v4
	v_add_u32_e32 v6, 1, v4
	s_waitcnt vmcnt(0)
	v_cmp_gt_u16_e32 vcc, v2, v5
	v_cndmask_b32_e64 v7, 0, 1, vcc
	v_cmp_le_u16_e32 vcc, v5, v2
	v_cndmask_b32_e64 v5, 0, 1, vcc
	v_cndmask_b32_e64 v5, v5, v7, s[0:1]
	v_and_b32_e32 v5, 1, v5
	v_cmp_eq_u32_e32 vcc, 1, v5
	v_cndmask_b32_e32 v3, v4, v3, vcc
	v_cndmask_b32_e32 v0, v0, v6, vcc
	v_cmp_ge_u32_e32 vcc, v0, v3
	s_or_b64 s[2:3], vcc, s[2:3]
	s_andn2_b64 exec, exec, s[2:3]
	s_cbranch_execnz .LBB1249_15
; %bb.16:
	s_or_b64 exec, exec, s[2:3]
.LBB1249_17:
	v_add_u32_e32 v0, v0, v1
	s_mov_b64 s[4:5], -1
.LBB1249_18:
	s_and_b64 exec, exec, s[4:5]
	s_cbranch_execz .LBB1249_20
; %bb.19:
	v_mov_b32_e32 v1, 0
	v_lshlrev_b64 v[0:1], 1, v[0:1]
	v_mov_b32_e32 v3, s11
	v_add_co_u32_e32 v0, vcc, s10, v0
	v_addc_co_u32_e32 v1, vcc, v3, v1, vcc
	s_waitcnt vmcnt(0)
	global_store_short v[0:1], v2, off
.LBB1249_20:
	s_endpgm
	.section	.rodata,"a",@progbits
	.p2align	6, 0x0
	.amdhsa_kernel _ZN7rocprim17ROCPRIM_400000_NS6detail17trampoline_kernelINS0_14default_configENS1_38merge_sort_block_merge_config_selectorItNS0_10empty_typeEEEZZNS1_27merge_sort_block_merge_implIS3_N6thrust23THRUST_200600_302600_NS6detail15normal_iteratorINS9_10device_ptrItEEEEPS5_jNS1_19radix_merge_compareILb0ELb0EtNS0_19identity_decomposerEEEEE10hipError_tT0_T1_T2_jT3_P12ihipStream_tbPNSt15iterator_traitsISK_E10value_typeEPNSQ_ISL_E10value_typeEPSM_NS1_7vsmem_tEENKUlT_SK_SL_SM_E_clISE_PtSF_SF_EESJ_SZ_SK_SL_SM_EUlSZ_E1_NS1_11comp_targetILNS1_3genE4ELNS1_11target_archE910ELNS1_3gpuE8ELNS1_3repE0EEENS1_36merge_oddeven_config_static_selectorELNS0_4arch9wavefront6targetE1EEEvSL_
		.amdhsa_group_segment_fixed_size 0
		.amdhsa_private_segment_fixed_size 0
		.amdhsa_kernarg_size 48
		.amdhsa_user_sgpr_count 6
		.amdhsa_user_sgpr_private_segment_buffer 1
		.amdhsa_user_sgpr_dispatch_ptr 0
		.amdhsa_user_sgpr_queue_ptr 0
		.amdhsa_user_sgpr_kernarg_segment_ptr 1
		.amdhsa_user_sgpr_dispatch_id 0
		.amdhsa_user_sgpr_flat_scratch_init 0
		.amdhsa_user_sgpr_kernarg_preload_length 0
		.amdhsa_user_sgpr_kernarg_preload_offset 0
		.amdhsa_user_sgpr_private_segment_size 0
		.amdhsa_uses_dynamic_stack 0
		.amdhsa_system_sgpr_private_segment_wavefront_offset 0
		.amdhsa_system_sgpr_workgroup_id_x 1
		.amdhsa_system_sgpr_workgroup_id_y 0
		.amdhsa_system_sgpr_workgroup_id_z 0
		.amdhsa_system_sgpr_workgroup_info 0
		.amdhsa_system_vgpr_workitem_id 0
		.amdhsa_next_free_vgpr 8
		.amdhsa_next_free_sgpr 21
		.amdhsa_accum_offset 8
		.amdhsa_reserve_vcc 1
		.amdhsa_reserve_flat_scratch 0
		.amdhsa_float_round_mode_32 0
		.amdhsa_float_round_mode_16_64 0
		.amdhsa_float_denorm_mode_32 3
		.amdhsa_float_denorm_mode_16_64 3
		.amdhsa_dx10_clamp 1
		.amdhsa_ieee_mode 1
		.amdhsa_fp16_overflow 0
		.amdhsa_tg_split 0
		.amdhsa_exception_fp_ieee_invalid_op 0
		.amdhsa_exception_fp_denorm_src 0
		.amdhsa_exception_fp_ieee_div_zero 0
		.amdhsa_exception_fp_ieee_overflow 0
		.amdhsa_exception_fp_ieee_underflow 0
		.amdhsa_exception_fp_ieee_inexact 0
		.amdhsa_exception_int_div_zero 0
	.end_amdhsa_kernel
	.section	.text._ZN7rocprim17ROCPRIM_400000_NS6detail17trampoline_kernelINS0_14default_configENS1_38merge_sort_block_merge_config_selectorItNS0_10empty_typeEEEZZNS1_27merge_sort_block_merge_implIS3_N6thrust23THRUST_200600_302600_NS6detail15normal_iteratorINS9_10device_ptrItEEEEPS5_jNS1_19radix_merge_compareILb0ELb0EtNS0_19identity_decomposerEEEEE10hipError_tT0_T1_T2_jT3_P12ihipStream_tbPNSt15iterator_traitsISK_E10value_typeEPNSQ_ISL_E10value_typeEPSM_NS1_7vsmem_tEENKUlT_SK_SL_SM_E_clISE_PtSF_SF_EESJ_SZ_SK_SL_SM_EUlSZ_E1_NS1_11comp_targetILNS1_3genE4ELNS1_11target_archE910ELNS1_3gpuE8ELNS1_3repE0EEENS1_36merge_oddeven_config_static_selectorELNS0_4arch9wavefront6targetE1EEEvSL_,"axG",@progbits,_ZN7rocprim17ROCPRIM_400000_NS6detail17trampoline_kernelINS0_14default_configENS1_38merge_sort_block_merge_config_selectorItNS0_10empty_typeEEEZZNS1_27merge_sort_block_merge_implIS3_N6thrust23THRUST_200600_302600_NS6detail15normal_iteratorINS9_10device_ptrItEEEEPS5_jNS1_19radix_merge_compareILb0ELb0EtNS0_19identity_decomposerEEEEE10hipError_tT0_T1_T2_jT3_P12ihipStream_tbPNSt15iterator_traitsISK_E10value_typeEPNSQ_ISL_E10value_typeEPSM_NS1_7vsmem_tEENKUlT_SK_SL_SM_E_clISE_PtSF_SF_EESJ_SZ_SK_SL_SM_EUlSZ_E1_NS1_11comp_targetILNS1_3genE4ELNS1_11target_archE910ELNS1_3gpuE8ELNS1_3repE0EEENS1_36merge_oddeven_config_static_selectorELNS0_4arch9wavefront6targetE1EEEvSL_,comdat
.Lfunc_end1249:
	.size	_ZN7rocprim17ROCPRIM_400000_NS6detail17trampoline_kernelINS0_14default_configENS1_38merge_sort_block_merge_config_selectorItNS0_10empty_typeEEEZZNS1_27merge_sort_block_merge_implIS3_N6thrust23THRUST_200600_302600_NS6detail15normal_iteratorINS9_10device_ptrItEEEEPS5_jNS1_19radix_merge_compareILb0ELb0EtNS0_19identity_decomposerEEEEE10hipError_tT0_T1_T2_jT3_P12ihipStream_tbPNSt15iterator_traitsISK_E10value_typeEPNSQ_ISL_E10value_typeEPSM_NS1_7vsmem_tEENKUlT_SK_SL_SM_E_clISE_PtSF_SF_EESJ_SZ_SK_SL_SM_EUlSZ_E1_NS1_11comp_targetILNS1_3genE4ELNS1_11target_archE910ELNS1_3gpuE8ELNS1_3repE0EEENS1_36merge_oddeven_config_static_selectorELNS0_4arch9wavefront6targetE1EEEvSL_, .Lfunc_end1249-_ZN7rocprim17ROCPRIM_400000_NS6detail17trampoline_kernelINS0_14default_configENS1_38merge_sort_block_merge_config_selectorItNS0_10empty_typeEEEZZNS1_27merge_sort_block_merge_implIS3_N6thrust23THRUST_200600_302600_NS6detail15normal_iteratorINS9_10device_ptrItEEEEPS5_jNS1_19radix_merge_compareILb0ELb0EtNS0_19identity_decomposerEEEEE10hipError_tT0_T1_T2_jT3_P12ihipStream_tbPNSt15iterator_traitsISK_E10value_typeEPNSQ_ISL_E10value_typeEPSM_NS1_7vsmem_tEENKUlT_SK_SL_SM_E_clISE_PtSF_SF_EESJ_SZ_SK_SL_SM_EUlSZ_E1_NS1_11comp_targetILNS1_3genE4ELNS1_11target_archE910ELNS1_3gpuE8ELNS1_3repE0EEENS1_36merge_oddeven_config_static_selectorELNS0_4arch9wavefront6targetE1EEEvSL_
                                        ; -- End function
	.section	.AMDGPU.csdata,"",@progbits
; Kernel info:
; codeLenInByte = 548
; NumSgprs: 25
; NumVgprs: 8
; NumAgprs: 0
; TotalNumVgprs: 8
; ScratchSize: 0
; MemoryBound: 0
; FloatMode: 240
; IeeeMode: 1
; LDSByteSize: 0 bytes/workgroup (compile time only)
; SGPRBlocks: 3
; VGPRBlocks: 0
; NumSGPRsForWavesPerEU: 25
; NumVGPRsForWavesPerEU: 8
; AccumOffset: 8
; Occupancy: 8
; WaveLimiterHint : 0
; COMPUTE_PGM_RSRC2:SCRATCH_EN: 0
; COMPUTE_PGM_RSRC2:USER_SGPR: 6
; COMPUTE_PGM_RSRC2:TRAP_HANDLER: 0
; COMPUTE_PGM_RSRC2:TGID_X_EN: 1
; COMPUTE_PGM_RSRC2:TGID_Y_EN: 0
; COMPUTE_PGM_RSRC2:TGID_Z_EN: 0
; COMPUTE_PGM_RSRC2:TIDIG_COMP_CNT: 0
; COMPUTE_PGM_RSRC3_GFX90A:ACCUM_OFFSET: 1
; COMPUTE_PGM_RSRC3_GFX90A:TG_SPLIT: 0
	.section	.text._ZN7rocprim17ROCPRIM_400000_NS6detail17trampoline_kernelINS0_14default_configENS1_38merge_sort_block_merge_config_selectorItNS0_10empty_typeEEEZZNS1_27merge_sort_block_merge_implIS3_N6thrust23THRUST_200600_302600_NS6detail15normal_iteratorINS9_10device_ptrItEEEEPS5_jNS1_19radix_merge_compareILb0ELb0EtNS0_19identity_decomposerEEEEE10hipError_tT0_T1_T2_jT3_P12ihipStream_tbPNSt15iterator_traitsISK_E10value_typeEPNSQ_ISL_E10value_typeEPSM_NS1_7vsmem_tEENKUlT_SK_SL_SM_E_clISE_PtSF_SF_EESJ_SZ_SK_SL_SM_EUlSZ_E1_NS1_11comp_targetILNS1_3genE3ELNS1_11target_archE908ELNS1_3gpuE7ELNS1_3repE0EEENS1_36merge_oddeven_config_static_selectorELNS0_4arch9wavefront6targetE1EEEvSL_,"axG",@progbits,_ZN7rocprim17ROCPRIM_400000_NS6detail17trampoline_kernelINS0_14default_configENS1_38merge_sort_block_merge_config_selectorItNS0_10empty_typeEEEZZNS1_27merge_sort_block_merge_implIS3_N6thrust23THRUST_200600_302600_NS6detail15normal_iteratorINS9_10device_ptrItEEEEPS5_jNS1_19radix_merge_compareILb0ELb0EtNS0_19identity_decomposerEEEEE10hipError_tT0_T1_T2_jT3_P12ihipStream_tbPNSt15iterator_traitsISK_E10value_typeEPNSQ_ISL_E10value_typeEPSM_NS1_7vsmem_tEENKUlT_SK_SL_SM_E_clISE_PtSF_SF_EESJ_SZ_SK_SL_SM_EUlSZ_E1_NS1_11comp_targetILNS1_3genE3ELNS1_11target_archE908ELNS1_3gpuE7ELNS1_3repE0EEENS1_36merge_oddeven_config_static_selectorELNS0_4arch9wavefront6targetE1EEEvSL_,comdat
	.protected	_ZN7rocprim17ROCPRIM_400000_NS6detail17trampoline_kernelINS0_14default_configENS1_38merge_sort_block_merge_config_selectorItNS0_10empty_typeEEEZZNS1_27merge_sort_block_merge_implIS3_N6thrust23THRUST_200600_302600_NS6detail15normal_iteratorINS9_10device_ptrItEEEEPS5_jNS1_19radix_merge_compareILb0ELb0EtNS0_19identity_decomposerEEEEE10hipError_tT0_T1_T2_jT3_P12ihipStream_tbPNSt15iterator_traitsISK_E10value_typeEPNSQ_ISL_E10value_typeEPSM_NS1_7vsmem_tEENKUlT_SK_SL_SM_E_clISE_PtSF_SF_EESJ_SZ_SK_SL_SM_EUlSZ_E1_NS1_11comp_targetILNS1_3genE3ELNS1_11target_archE908ELNS1_3gpuE7ELNS1_3repE0EEENS1_36merge_oddeven_config_static_selectorELNS0_4arch9wavefront6targetE1EEEvSL_ ; -- Begin function _ZN7rocprim17ROCPRIM_400000_NS6detail17trampoline_kernelINS0_14default_configENS1_38merge_sort_block_merge_config_selectorItNS0_10empty_typeEEEZZNS1_27merge_sort_block_merge_implIS3_N6thrust23THRUST_200600_302600_NS6detail15normal_iteratorINS9_10device_ptrItEEEEPS5_jNS1_19radix_merge_compareILb0ELb0EtNS0_19identity_decomposerEEEEE10hipError_tT0_T1_T2_jT3_P12ihipStream_tbPNSt15iterator_traitsISK_E10value_typeEPNSQ_ISL_E10value_typeEPSM_NS1_7vsmem_tEENKUlT_SK_SL_SM_E_clISE_PtSF_SF_EESJ_SZ_SK_SL_SM_EUlSZ_E1_NS1_11comp_targetILNS1_3genE3ELNS1_11target_archE908ELNS1_3gpuE7ELNS1_3repE0EEENS1_36merge_oddeven_config_static_selectorELNS0_4arch9wavefront6targetE1EEEvSL_
	.globl	_ZN7rocprim17ROCPRIM_400000_NS6detail17trampoline_kernelINS0_14default_configENS1_38merge_sort_block_merge_config_selectorItNS0_10empty_typeEEEZZNS1_27merge_sort_block_merge_implIS3_N6thrust23THRUST_200600_302600_NS6detail15normal_iteratorINS9_10device_ptrItEEEEPS5_jNS1_19radix_merge_compareILb0ELb0EtNS0_19identity_decomposerEEEEE10hipError_tT0_T1_T2_jT3_P12ihipStream_tbPNSt15iterator_traitsISK_E10value_typeEPNSQ_ISL_E10value_typeEPSM_NS1_7vsmem_tEENKUlT_SK_SL_SM_E_clISE_PtSF_SF_EESJ_SZ_SK_SL_SM_EUlSZ_E1_NS1_11comp_targetILNS1_3genE3ELNS1_11target_archE908ELNS1_3gpuE7ELNS1_3repE0EEENS1_36merge_oddeven_config_static_selectorELNS0_4arch9wavefront6targetE1EEEvSL_
	.p2align	8
	.type	_ZN7rocprim17ROCPRIM_400000_NS6detail17trampoline_kernelINS0_14default_configENS1_38merge_sort_block_merge_config_selectorItNS0_10empty_typeEEEZZNS1_27merge_sort_block_merge_implIS3_N6thrust23THRUST_200600_302600_NS6detail15normal_iteratorINS9_10device_ptrItEEEEPS5_jNS1_19radix_merge_compareILb0ELb0EtNS0_19identity_decomposerEEEEE10hipError_tT0_T1_T2_jT3_P12ihipStream_tbPNSt15iterator_traitsISK_E10value_typeEPNSQ_ISL_E10value_typeEPSM_NS1_7vsmem_tEENKUlT_SK_SL_SM_E_clISE_PtSF_SF_EESJ_SZ_SK_SL_SM_EUlSZ_E1_NS1_11comp_targetILNS1_3genE3ELNS1_11target_archE908ELNS1_3gpuE7ELNS1_3repE0EEENS1_36merge_oddeven_config_static_selectorELNS0_4arch9wavefront6targetE1EEEvSL_,@function
_ZN7rocprim17ROCPRIM_400000_NS6detail17trampoline_kernelINS0_14default_configENS1_38merge_sort_block_merge_config_selectorItNS0_10empty_typeEEEZZNS1_27merge_sort_block_merge_implIS3_N6thrust23THRUST_200600_302600_NS6detail15normal_iteratorINS9_10device_ptrItEEEEPS5_jNS1_19radix_merge_compareILb0ELb0EtNS0_19identity_decomposerEEEEE10hipError_tT0_T1_T2_jT3_P12ihipStream_tbPNSt15iterator_traitsISK_E10value_typeEPNSQ_ISL_E10value_typeEPSM_NS1_7vsmem_tEENKUlT_SK_SL_SM_E_clISE_PtSF_SF_EESJ_SZ_SK_SL_SM_EUlSZ_E1_NS1_11comp_targetILNS1_3genE3ELNS1_11target_archE908ELNS1_3gpuE7ELNS1_3repE0EEENS1_36merge_oddeven_config_static_selectorELNS0_4arch9wavefront6targetE1EEEvSL_: ; @_ZN7rocprim17ROCPRIM_400000_NS6detail17trampoline_kernelINS0_14default_configENS1_38merge_sort_block_merge_config_selectorItNS0_10empty_typeEEEZZNS1_27merge_sort_block_merge_implIS3_N6thrust23THRUST_200600_302600_NS6detail15normal_iteratorINS9_10device_ptrItEEEEPS5_jNS1_19radix_merge_compareILb0ELb0EtNS0_19identity_decomposerEEEEE10hipError_tT0_T1_T2_jT3_P12ihipStream_tbPNSt15iterator_traitsISK_E10value_typeEPNSQ_ISL_E10value_typeEPSM_NS1_7vsmem_tEENKUlT_SK_SL_SM_E_clISE_PtSF_SF_EESJ_SZ_SK_SL_SM_EUlSZ_E1_NS1_11comp_targetILNS1_3genE3ELNS1_11target_archE908ELNS1_3gpuE7ELNS1_3repE0EEENS1_36merge_oddeven_config_static_selectorELNS0_4arch9wavefront6targetE1EEEvSL_
; %bb.0:
	.section	.rodata,"a",@progbits
	.p2align	6, 0x0
	.amdhsa_kernel _ZN7rocprim17ROCPRIM_400000_NS6detail17trampoline_kernelINS0_14default_configENS1_38merge_sort_block_merge_config_selectorItNS0_10empty_typeEEEZZNS1_27merge_sort_block_merge_implIS3_N6thrust23THRUST_200600_302600_NS6detail15normal_iteratorINS9_10device_ptrItEEEEPS5_jNS1_19radix_merge_compareILb0ELb0EtNS0_19identity_decomposerEEEEE10hipError_tT0_T1_T2_jT3_P12ihipStream_tbPNSt15iterator_traitsISK_E10value_typeEPNSQ_ISL_E10value_typeEPSM_NS1_7vsmem_tEENKUlT_SK_SL_SM_E_clISE_PtSF_SF_EESJ_SZ_SK_SL_SM_EUlSZ_E1_NS1_11comp_targetILNS1_3genE3ELNS1_11target_archE908ELNS1_3gpuE7ELNS1_3repE0EEENS1_36merge_oddeven_config_static_selectorELNS0_4arch9wavefront6targetE1EEEvSL_
		.amdhsa_group_segment_fixed_size 0
		.amdhsa_private_segment_fixed_size 0
		.amdhsa_kernarg_size 48
		.amdhsa_user_sgpr_count 6
		.amdhsa_user_sgpr_private_segment_buffer 1
		.amdhsa_user_sgpr_dispatch_ptr 0
		.amdhsa_user_sgpr_queue_ptr 0
		.amdhsa_user_sgpr_kernarg_segment_ptr 1
		.amdhsa_user_sgpr_dispatch_id 0
		.amdhsa_user_sgpr_flat_scratch_init 0
		.amdhsa_user_sgpr_kernarg_preload_length 0
		.amdhsa_user_sgpr_kernarg_preload_offset 0
		.amdhsa_user_sgpr_private_segment_size 0
		.amdhsa_uses_dynamic_stack 0
		.amdhsa_system_sgpr_private_segment_wavefront_offset 0
		.amdhsa_system_sgpr_workgroup_id_x 1
		.amdhsa_system_sgpr_workgroup_id_y 0
		.amdhsa_system_sgpr_workgroup_id_z 0
		.amdhsa_system_sgpr_workgroup_info 0
		.amdhsa_system_vgpr_workitem_id 0
		.amdhsa_next_free_vgpr 1
		.amdhsa_next_free_sgpr 0
		.amdhsa_accum_offset 4
		.amdhsa_reserve_vcc 0
		.amdhsa_reserve_flat_scratch 0
		.amdhsa_float_round_mode_32 0
		.amdhsa_float_round_mode_16_64 0
		.amdhsa_float_denorm_mode_32 3
		.amdhsa_float_denorm_mode_16_64 3
		.amdhsa_dx10_clamp 1
		.amdhsa_ieee_mode 1
		.amdhsa_fp16_overflow 0
		.amdhsa_tg_split 0
		.amdhsa_exception_fp_ieee_invalid_op 0
		.amdhsa_exception_fp_denorm_src 0
		.amdhsa_exception_fp_ieee_div_zero 0
		.amdhsa_exception_fp_ieee_overflow 0
		.amdhsa_exception_fp_ieee_underflow 0
		.amdhsa_exception_fp_ieee_inexact 0
		.amdhsa_exception_int_div_zero 0
	.end_amdhsa_kernel
	.section	.text._ZN7rocprim17ROCPRIM_400000_NS6detail17trampoline_kernelINS0_14default_configENS1_38merge_sort_block_merge_config_selectorItNS0_10empty_typeEEEZZNS1_27merge_sort_block_merge_implIS3_N6thrust23THRUST_200600_302600_NS6detail15normal_iteratorINS9_10device_ptrItEEEEPS5_jNS1_19radix_merge_compareILb0ELb0EtNS0_19identity_decomposerEEEEE10hipError_tT0_T1_T2_jT3_P12ihipStream_tbPNSt15iterator_traitsISK_E10value_typeEPNSQ_ISL_E10value_typeEPSM_NS1_7vsmem_tEENKUlT_SK_SL_SM_E_clISE_PtSF_SF_EESJ_SZ_SK_SL_SM_EUlSZ_E1_NS1_11comp_targetILNS1_3genE3ELNS1_11target_archE908ELNS1_3gpuE7ELNS1_3repE0EEENS1_36merge_oddeven_config_static_selectorELNS0_4arch9wavefront6targetE1EEEvSL_,"axG",@progbits,_ZN7rocprim17ROCPRIM_400000_NS6detail17trampoline_kernelINS0_14default_configENS1_38merge_sort_block_merge_config_selectorItNS0_10empty_typeEEEZZNS1_27merge_sort_block_merge_implIS3_N6thrust23THRUST_200600_302600_NS6detail15normal_iteratorINS9_10device_ptrItEEEEPS5_jNS1_19radix_merge_compareILb0ELb0EtNS0_19identity_decomposerEEEEE10hipError_tT0_T1_T2_jT3_P12ihipStream_tbPNSt15iterator_traitsISK_E10value_typeEPNSQ_ISL_E10value_typeEPSM_NS1_7vsmem_tEENKUlT_SK_SL_SM_E_clISE_PtSF_SF_EESJ_SZ_SK_SL_SM_EUlSZ_E1_NS1_11comp_targetILNS1_3genE3ELNS1_11target_archE908ELNS1_3gpuE7ELNS1_3repE0EEENS1_36merge_oddeven_config_static_selectorELNS0_4arch9wavefront6targetE1EEEvSL_,comdat
.Lfunc_end1250:
	.size	_ZN7rocprim17ROCPRIM_400000_NS6detail17trampoline_kernelINS0_14default_configENS1_38merge_sort_block_merge_config_selectorItNS0_10empty_typeEEEZZNS1_27merge_sort_block_merge_implIS3_N6thrust23THRUST_200600_302600_NS6detail15normal_iteratorINS9_10device_ptrItEEEEPS5_jNS1_19radix_merge_compareILb0ELb0EtNS0_19identity_decomposerEEEEE10hipError_tT0_T1_T2_jT3_P12ihipStream_tbPNSt15iterator_traitsISK_E10value_typeEPNSQ_ISL_E10value_typeEPSM_NS1_7vsmem_tEENKUlT_SK_SL_SM_E_clISE_PtSF_SF_EESJ_SZ_SK_SL_SM_EUlSZ_E1_NS1_11comp_targetILNS1_3genE3ELNS1_11target_archE908ELNS1_3gpuE7ELNS1_3repE0EEENS1_36merge_oddeven_config_static_selectorELNS0_4arch9wavefront6targetE1EEEvSL_, .Lfunc_end1250-_ZN7rocprim17ROCPRIM_400000_NS6detail17trampoline_kernelINS0_14default_configENS1_38merge_sort_block_merge_config_selectorItNS0_10empty_typeEEEZZNS1_27merge_sort_block_merge_implIS3_N6thrust23THRUST_200600_302600_NS6detail15normal_iteratorINS9_10device_ptrItEEEEPS5_jNS1_19radix_merge_compareILb0ELb0EtNS0_19identity_decomposerEEEEE10hipError_tT0_T1_T2_jT3_P12ihipStream_tbPNSt15iterator_traitsISK_E10value_typeEPNSQ_ISL_E10value_typeEPSM_NS1_7vsmem_tEENKUlT_SK_SL_SM_E_clISE_PtSF_SF_EESJ_SZ_SK_SL_SM_EUlSZ_E1_NS1_11comp_targetILNS1_3genE3ELNS1_11target_archE908ELNS1_3gpuE7ELNS1_3repE0EEENS1_36merge_oddeven_config_static_selectorELNS0_4arch9wavefront6targetE1EEEvSL_
                                        ; -- End function
	.section	.AMDGPU.csdata,"",@progbits
; Kernel info:
; codeLenInByte = 0
; NumSgprs: 4
; NumVgprs: 0
; NumAgprs: 0
; TotalNumVgprs: 0
; ScratchSize: 0
; MemoryBound: 0
; FloatMode: 240
; IeeeMode: 1
; LDSByteSize: 0 bytes/workgroup (compile time only)
; SGPRBlocks: 0
; VGPRBlocks: 0
; NumSGPRsForWavesPerEU: 4
; NumVGPRsForWavesPerEU: 1
; AccumOffset: 4
; Occupancy: 8
; WaveLimiterHint : 0
; COMPUTE_PGM_RSRC2:SCRATCH_EN: 0
; COMPUTE_PGM_RSRC2:USER_SGPR: 6
; COMPUTE_PGM_RSRC2:TRAP_HANDLER: 0
; COMPUTE_PGM_RSRC2:TGID_X_EN: 1
; COMPUTE_PGM_RSRC2:TGID_Y_EN: 0
; COMPUTE_PGM_RSRC2:TGID_Z_EN: 0
; COMPUTE_PGM_RSRC2:TIDIG_COMP_CNT: 0
; COMPUTE_PGM_RSRC3_GFX90A:ACCUM_OFFSET: 0
; COMPUTE_PGM_RSRC3_GFX90A:TG_SPLIT: 0
	.section	.text._ZN7rocprim17ROCPRIM_400000_NS6detail17trampoline_kernelINS0_14default_configENS1_38merge_sort_block_merge_config_selectorItNS0_10empty_typeEEEZZNS1_27merge_sort_block_merge_implIS3_N6thrust23THRUST_200600_302600_NS6detail15normal_iteratorINS9_10device_ptrItEEEEPS5_jNS1_19radix_merge_compareILb0ELb0EtNS0_19identity_decomposerEEEEE10hipError_tT0_T1_T2_jT3_P12ihipStream_tbPNSt15iterator_traitsISK_E10value_typeEPNSQ_ISL_E10value_typeEPSM_NS1_7vsmem_tEENKUlT_SK_SL_SM_E_clISE_PtSF_SF_EESJ_SZ_SK_SL_SM_EUlSZ_E1_NS1_11comp_targetILNS1_3genE2ELNS1_11target_archE906ELNS1_3gpuE6ELNS1_3repE0EEENS1_36merge_oddeven_config_static_selectorELNS0_4arch9wavefront6targetE1EEEvSL_,"axG",@progbits,_ZN7rocprim17ROCPRIM_400000_NS6detail17trampoline_kernelINS0_14default_configENS1_38merge_sort_block_merge_config_selectorItNS0_10empty_typeEEEZZNS1_27merge_sort_block_merge_implIS3_N6thrust23THRUST_200600_302600_NS6detail15normal_iteratorINS9_10device_ptrItEEEEPS5_jNS1_19radix_merge_compareILb0ELb0EtNS0_19identity_decomposerEEEEE10hipError_tT0_T1_T2_jT3_P12ihipStream_tbPNSt15iterator_traitsISK_E10value_typeEPNSQ_ISL_E10value_typeEPSM_NS1_7vsmem_tEENKUlT_SK_SL_SM_E_clISE_PtSF_SF_EESJ_SZ_SK_SL_SM_EUlSZ_E1_NS1_11comp_targetILNS1_3genE2ELNS1_11target_archE906ELNS1_3gpuE6ELNS1_3repE0EEENS1_36merge_oddeven_config_static_selectorELNS0_4arch9wavefront6targetE1EEEvSL_,comdat
	.protected	_ZN7rocprim17ROCPRIM_400000_NS6detail17trampoline_kernelINS0_14default_configENS1_38merge_sort_block_merge_config_selectorItNS0_10empty_typeEEEZZNS1_27merge_sort_block_merge_implIS3_N6thrust23THRUST_200600_302600_NS6detail15normal_iteratorINS9_10device_ptrItEEEEPS5_jNS1_19radix_merge_compareILb0ELb0EtNS0_19identity_decomposerEEEEE10hipError_tT0_T1_T2_jT3_P12ihipStream_tbPNSt15iterator_traitsISK_E10value_typeEPNSQ_ISL_E10value_typeEPSM_NS1_7vsmem_tEENKUlT_SK_SL_SM_E_clISE_PtSF_SF_EESJ_SZ_SK_SL_SM_EUlSZ_E1_NS1_11comp_targetILNS1_3genE2ELNS1_11target_archE906ELNS1_3gpuE6ELNS1_3repE0EEENS1_36merge_oddeven_config_static_selectorELNS0_4arch9wavefront6targetE1EEEvSL_ ; -- Begin function _ZN7rocprim17ROCPRIM_400000_NS6detail17trampoline_kernelINS0_14default_configENS1_38merge_sort_block_merge_config_selectorItNS0_10empty_typeEEEZZNS1_27merge_sort_block_merge_implIS3_N6thrust23THRUST_200600_302600_NS6detail15normal_iteratorINS9_10device_ptrItEEEEPS5_jNS1_19radix_merge_compareILb0ELb0EtNS0_19identity_decomposerEEEEE10hipError_tT0_T1_T2_jT3_P12ihipStream_tbPNSt15iterator_traitsISK_E10value_typeEPNSQ_ISL_E10value_typeEPSM_NS1_7vsmem_tEENKUlT_SK_SL_SM_E_clISE_PtSF_SF_EESJ_SZ_SK_SL_SM_EUlSZ_E1_NS1_11comp_targetILNS1_3genE2ELNS1_11target_archE906ELNS1_3gpuE6ELNS1_3repE0EEENS1_36merge_oddeven_config_static_selectorELNS0_4arch9wavefront6targetE1EEEvSL_
	.globl	_ZN7rocprim17ROCPRIM_400000_NS6detail17trampoline_kernelINS0_14default_configENS1_38merge_sort_block_merge_config_selectorItNS0_10empty_typeEEEZZNS1_27merge_sort_block_merge_implIS3_N6thrust23THRUST_200600_302600_NS6detail15normal_iteratorINS9_10device_ptrItEEEEPS5_jNS1_19radix_merge_compareILb0ELb0EtNS0_19identity_decomposerEEEEE10hipError_tT0_T1_T2_jT3_P12ihipStream_tbPNSt15iterator_traitsISK_E10value_typeEPNSQ_ISL_E10value_typeEPSM_NS1_7vsmem_tEENKUlT_SK_SL_SM_E_clISE_PtSF_SF_EESJ_SZ_SK_SL_SM_EUlSZ_E1_NS1_11comp_targetILNS1_3genE2ELNS1_11target_archE906ELNS1_3gpuE6ELNS1_3repE0EEENS1_36merge_oddeven_config_static_selectorELNS0_4arch9wavefront6targetE1EEEvSL_
	.p2align	8
	.type	_ZN7rocprim17ROCPRIM_400000_NS6detail17trampoline_kernelINS0_14default_configENS1_38merge_sort_block_merge_config_selectorItNS0_10empty_typeEEEZZNS1_27merge_sort_block_merge_implIS3_N6thrust23THRUST_200600_302600_NS6detail15normal_iteratorINS9_10device_ptrItEEEEPS5_jNS1_19radix_merge_compareILb0ELb0EtNS0_19identity_decomposerEEEEE10hipError_tT0_T1_T2_jT3_P12ihipStream_tbPNSt15iterator_traitsISK_E10value_typeEPNSQ_ISL_E10value_typeEPSM_NS1_7vsmem_tEENKUlT_SK_SL_SM_E_clISE_PtSF_SF_EESJ_SZ_SK_SL_SM_EUlSZ_E1_NS1_11comp_targetILNS1_3genE2ELNS1_11target_archE906ELNS1_3gpuE6ELNS1_3repE0EEENS1_36merge_oddeven_config_static_selectorELNS0_4arch9wavefront6targetE1EEEvSL_,@function
_ZN7rocprim17ROCPRIM_400000_NS6detail17trampoline_kernelINS0_14default_configENS1_38merge_sort_block_merge_config_selectorItNS0_10empty_typeEEEZZNS1_27merge_sort_block_merge_implIS3_N6thrust23THRUST_200600_302600_NS6detail15normal_iteratorINS9_10device_ptrItEEEEPS5_jNS1_19radix_merge_compareILb0ELb0EtNS0_19identity_decomposerEEEEE10hipError_tT0_T1_T2_jT3_P12ihipStream_tbPNSt15iterator_traitsISK_E10value_typeEPNSQ_ISL_E10value_typeEPSM_NS1_7vsmem_tEENKUlT_SK_SL_SM_E_clISE_PtSF_SF_EESJ_SZ_SK_SL_SM_EUlSZ_E1_NS1_11comp_targetILNS1_3genE2ELNS1_11target_archE906ELNS1_3gpuE6ELNS1_3repE0EEENS1_36merge_oddeven_config_static_selectorELNS0_4arch9wavefront6targetE1EEEvSL_: ; @_ZN7rocprim17ROCPRIM_400000_NS6detail17trampoline_kernelINS0_14default_configENS1_38merge_sort_block_merge_config_selectorItNS0_10empty_typeEEEZZNS1_27merge_sort_block_merge_implIS3_N6thrust23THRUST_200600_302600_NS6detail15normal_iteratorINS9_10device_ptrItEEEEPS5_jNS1_19radix_merge_compareILb0ELb0EtNS0_19identity_decomposerEEEEE10hipError_tT0_T1_T2_jT3_P12ihipStream_tbPNSt15iterator_traitsISK_E10value_typeEPNSQ_ISL_E10value_typeEPSM_NS1_7vsmem_tEENKUlT_SK_SL_SM_E_clISE_PtSF_SF_EESJ_SZ_SK_SL_SM_EUlSZ_E1_NS1_11comp_targetILNS1_3genE2ELNS1_11target_archE906ELNS1_3gpuE6ELNS1_3repE0EEENS1_36merge_oddeven_config_static_selectorELNS0_4arch9wavefront6targetE1EEEvSL_
; %bb.0:
	.section	.rodata,"a",@progbits
	.p2align	6, 0x0
	.amdhsa_kernel _ZN7rocprim17ROCPRIM_400000_NS6detail17trampoline_kernelINS0_14default_configENS1_38merge_sort_block_merge_config_selectorItNS0_10empty_typeEEEZZNS1_27merge_sort_block_merge_implIS3_N6thrust23THRUST_200600_302600_NS6detail15normal_iteratorINS9_10device_ptrItEEEEPS5_jNS1_19radix_merge_compareILb0ELb0EtNS0_19identity_decomposerEEEEE10hipError_tT0_T1_T2_jT3_P12ihipStream_tbPNSt15iterator_traitsISK_E10value_typeEPNSQ_ISL_E10value_typeEPSM_NS1_7vsmem_tEENKUlT_SK_SL_SM_E_clISE_PtSF_SF_EESJ_SZ_SK_SL_SM_EUlSZ_E1_NS1_11comp_targetILNS1_3genE2ELNS1_11target_archE906ELNS1_3gpuE6ELNS1_3repE0EEENS1_36merge_oddeven_config_static_selectorELNS0_4arch9wavefront6targetE1EEEvSL_
		.amdhsa_group_segment_fixed_size 0
		.amdhsa_private_segment_fixed_size 0
		.amdhsa_kernarg_size 48
		.amdhsa_user_sgpr_count 6
		.amdhsa_user_sgpr_private_segment_buffer 1
		.amdhsa_user_sgpr_dispatch_ptr 0
		.amdhsa_user_sgpr_queue_ptr 0
		.amdhsa_user_sgpr_kernarg_segment_ptr 1
		.amdhsa_user_sgpr_dispatch_id 0
		.amdhsa_user_sgpr_flat_scratch_init 0
		.amdhsa_user_sgpr_kernarg_preload_length 0
		.amdhsa_user_sgpr_kernarg_preload_offset 0
		.amdhsa_user_sgpr_private_segment_size 0
		.amdhsa_uses_dynamic_stack 0
		.amdhsa_system_sgpr_private_segment_wavefront_offset 0
		.amdhsa_system_sgpr_workgroup_id_x 1
		.amdhsa_system_sgpr_workgroup_id_y 0
		.amdhsa_system_sgpr_workgroup_id_z 0
		.amdhsa_system_sgpr_workgroup_info 0
		.amdhsa_system_vgpr_workitem_id 0
		.amdhsa_next_free_vgpr 1
		.amdhsa_next_free_sgpr 0
		.amdhsa_accum_offset 4
		.amdhsa_reserve_vcc 0
		.amdhsa_reserve_flat_scratch 0
		.amdhsa_float_round_mode_32 0
		.amdhsa_float_round_mode_16_64 0
		.amdhsa_float_denorm_mode_32 3
		.amdhsa_float_denorm_mode_16_64 3
		.amdhsa_dx10_clamp 1
		.amdhsa_ieee_mode 1
		.amdhsa_fp16_overflow 0
		.amdhsa_tg_split 0
		.amdhsa_exception_fp_ieee_invalid_op 0
		.amdhsa_exception_fp_denorm_src 0
		.amdhsa_exception_fp_ieee_div_zero 0
		.amdhsa_exception_fp_ieee_overflow 0
		.amdhsa_exception_fp_ieee_underflow 0
		.amdhsa_exception_fp_ieee_inexact 0
		.amdhsa_exception_int_div_zero 0
	.end_amdhsa_kernel
	.section	.text._ZN7rocprim17ROCPRIM_400000_NS6detail17trampoline_kernelINS0_14default_configENS1_38merge_sort_block_merge_config_selectorItNS0_10empty_typeEEEZZNS1_27merge_sort_block_merge_implIS3_N6thrust23THRUST_200600_302600_NS6detail15normal_iteratorINS9_10device_ptrItEEEEPS5_jNS1_19radix_merge_compareILb0ELb0EtNS0_19identity_decomposerEEEEE10hipError_tT0_T1_T2_jT3_P12ihipStream_tbPNSt15iterator_traitsISK_E10value_typeEPNSQ_ISL_E10value_typeEPSM_NS1_7vsmem_tEENKUlT_SK_SL_SM_E_clISE_PtSF_SF_EESJ_SZ_SK_SL_SM_EUlSZ_E1_NS1_11comp_targetILNS1_3genE2ELNS1_11target_archE906ELNS1_3gpuE6ELNS1_3repE0EEENS1_36merge_oddeven_config_static_selectorELNS0_4arch9wavefront6targetE1EEEvSL_,"axG",@progbits,_ZN7rocprim17ROCPRIM_400000_NS6detail17trampoline_kernelINS0_14default_configENS1_38merge_sort_block_merge_config_selectorItNS0_10empty_typeEEEZZNS1_27merge_sort_block_merge_implIS3_N6thrust23THRUST_200600_302600_NS6detail15normal_iteratorINS9_10device_ptrItEEEEPS5_jNS1_19radix_merge_compareILb0ELb0EtNS0_19identity_decomposerEEEEE10hipError_tT0_T1_T2_jT3_P12ihipStream_tbPNSt15iterator_traitsISK_E10value_typeEPNSQ_ISL_E10value_typeEPSM_NS1_7vsmem_tEENKUlT_SK_SL_SM_E_clISE_PtSF_SF_EESJ_SZ_SK_SL_SM_EUlSZ_E1_NS1_11comp_targetILNS1_3genE2ELNS1_11target_archE906ELNS1_3gpuE6ELNS1_3repE0EEENS1_36merge_oddeven_config_static_selectorELNS0_4arch9wavefront6targetE1EEEvSL_,comdat
.Lfunc_end1251:
	.size	_ZN7rocprim17ROCPRIM_400000_NS6detail17trampoline_kernelINS0_14default_configENS1_38merge_sort_block_merge_config_selectorItNS0_10empty_typeEEEZZNS1_27merge_sort_block_merge_implIS3_N6thrust23THRUST_200600_302600_NS6detail15normal_iteratorINS9_10device_ptrItEEEEPS5_jNS1_19radix_merge_compareILb0ELb0EtNS0_19identity_decomposerEEEEE10hipError_tT0_T1_T2_jT3_P12ihipStream_tbPNSt15iterator_traitsISK_E10value_typeEPNSQ_ISL_E10value_typeEPSM_NS1_7vsmem_tEENKUlT_SK_SL_SM_E_clISE_PtSF_SF_EESJ_SZ_SK_SL_SM_EUlSZ_E1_NS1_11comp_targetILNS1_3genE2ELNS1_11target_archE906ELNS1_3gpuE6ELNS1_3repE0EEENS1_36merge_oddeven_config_static_selectorELNS0_4arch9wavefront6targetE1EEEvSL_, .Lfunc_end1251-_ZN7rocprim17ROCPRIM_400000_NS6detail17trampoline_kernelINS0_14default_configENS1_38merge_sort_block_merge_config_selectorItNS0_10empty_typeEEEZZNS1_27merge_sort_block_merge_implIS3_N6thrust23THRUST_200600_302600_NS6detail15normal_iteratorINS9_10device_ptrItEEEEPS5_jNS1_19radix_merge_compareILb0ELb0EtNS0_19identity_decomposerEEEEE10hipError_tT0_T1_T2_jT3_P12ihipStream_tbPNSt15iterator_traitsISK_E10value_typeEPNSQ_ISL_E10value_typeEPSM_NS1_7vsmem_tEENKUlT_SK_SL_SM_E_clISE_PtSF_SF_EESJ_SZ_SK_SL_SM_EUlSZ_E1_NS1_11comp_targetILNS1_3genE2ELNS1_11target_archE906ELNS1_3gpuE6ELNS1_3repE0EEENS1_36merge_oddeven_config_static_selectorELNS0_4arch9wavefront6targetE1EEEvSL_
                                        ; -- End function
	.section	.AMDGPU.csdata,"",@progbits
; Kernel info:
; codeLenInByte = 0
; NumSgprs: 4
; NumVgprs: 0
; NumAgprs: 0
; TotalNumVgprs: 0
; ScratchSize: 0
; MemoryBound: 0
; FloatMode: 240
; IeeeMode: 1
; LDSByteSize: 0 bytes/workgroup (compile time only)
; SGPRBlocks: 0
; VGPRBlocks: 0
; NumSGPRsForWavesPerEU: 4
; NumVGPRsForWavesPerEU: 1
; AccumOffset: 4
; Occupancy: 8
; WaveLimiterHint : 0
; COMPUTE_PGM_RSRC2:SCRATCH_EN: 0
; COMPUTE_PGM_RSRC2:USER_SGPR: 6
; COMPUTE_PGM_RSRC2:TRAP_HANDLER: 0
; COMPUTE_PGM_RSRC2:TGID_X_EN: 1
; COMPUTE_PGM_RSRC2:TGID_Y_EN: 0
; COMPUTE_PGM_RSRC2:TGID_Z_EN: 0
; COMPUTE_PGM_RSRC2:TIDIG_COMP_CNT: 0
; COMPUTE_PGM_RSRC3_GFX90A:ACCUM_OFFSET: 0
; COMPUTE_PGM_RSRC3_GFX90A:TG_SPLIT: 0
	.section	.text._ZN7rocprim17ROCPRIM_400000_NS6detail17trampoline_kernelINS0_14default_configENS1_38merge_sort_block_merge_config_selectorItNS0_10empty_typeEEEZZNS1_27merge_sort_block_merge_implIS3_N6thrust23THRUST_200600_302600_NS6detail15normal_iteratorINS9_10device_ptrItEEEEPS5_jNS1_19radix_merge_compareILb0ELb0EtNS0_19identity_decomposerEEEEE10hipError_tT0_T1_T2_jT3_P12ihipStream_tbPNSt15iterator_traitsISK_E10value_typeEPNSQ_ISL_E10value_typeEPSM_NS1_7vsmem_tEENKUlT_SK_SL_SM_E_clISE_PtSF_SF_EESJ_SZ_SK_SL_SM_EUlSZ_E1_NS1_11comp_targetILNS1_3genE9ELNS1_11target_archE1100ELNS1_3gpuE3ELNS1_3repE0EEENS1_36merge_oddeven_config_static_selectorELNS0_4arch9wavefront6targetE1EEEvSL_,"axG",@progbits,_ZN7rocprim17ROCPRIM_400000_NS6detail17trampoline_kernelINS0_14default_configENS1_38merge_sort_block_merge_config_selectorItNS0_10empty_typeEEEZZNS1_27merge_sort_block_merge_implIS3_N6thrust23THRUST_200600_302600_NS6detail15normal_iteratorINS9_10device_ptrItEEEEPS5_jNS1_19radix_merge_compareILb0ELb0EtNS0_19identity_decomposerEEEEE10hipError_tT0_T1_T2_jT3_P12ihipStream_tbPNSt15iterator_traitsISK_E10value_typeEPNSQ_ISL_E10value_typeEPSM_NS1_7vsmem_tEENKUlT_SK_SL_SM_E_clISE_PtSF_SF_EESJ_SZ_SK_SL_SM_EUlSZ_E1_NS1_11comp_targetILNS1_3genE9ELNS1_11target_archE1100ELNS1_3gpuE3ELNS1_3repE0EEENS1_36merge_oddeven_config_static_selectorELNS0_4arch9wavefront6targetE1EEEvSL_,comdat
	.protected	_ZN7rocprim17ROCPRIM_400000_NS6detail17trampoline_kernelINS0_14default_configENS1_38merge_sort_block_merge_config_selectorItNS0_10empty_typeEEEZZNS1_27merge_sort_block_merge_implIS3_N6thrust23THRUST_200600_302600_NS6detail15normal_iteratorINS9_10device_ptrItEEEEPS5_jNS1_19radix_merge_compareILb0ELb0EtNS0_19identity_decomposerEEEEE10hipError_tT0_T1_T2_jT3_P12ihipStream_tbPNSt15iterator_traitsISK_E10value_typeEPNSQ_ISL_E10value_typeEPSM_NS1_7vsmem_tEENKUlT_SK_SL_SM_E_clISE_PtSF_SF_EESJ_SZ_SK_SL_SM_EUlSZ_E1_NS1_11comp_targetILNS1_3genE9ELNS1_11target_archE1100ELNS1_3gpuE3ELNS1_3repE0EEENS1_36merge_oddeven_config_static_selectorELNS0_4arch9wavefront6targetE1EEEvSL_ ; -- Begin function _ZN7rocprim17ROCPRIM_400000_NS6detail17trampoline_kernelINS0_14default_configENS1_38merge_sort_block_merge_config_selectorItNS0_10empty_typeEEEZZNS1_27merge_sort_block_merge_implIS3_N6thrust23THRUST_200600_302600_NS6detail15normal_iteratorINS9_10device_ptrItEEEEPS5_jNS1_19radix_merge_compareILb0ELb0EtNS0_19identity_decomposerEEEEE10hipError_tT0_T1_T2_jT3_P12ihipStream_tbPNSt15iterator_traitsISK_E10value_typeEPNSQ_ISL_E10value_typeEPSM_NS1_7vsmem_tEENKUlT_SK_SL_SM_E_clISE_PtSF_SF_EESJ_SZ_SK_SL_SM_EUlSZ_E1_NS1_11comp_targetILNS1_3genE9ELNS1_11target_archE1100ELNS1_3gpuE3ELNS1_3repE0EEENS1_36merge_oddeven_config_static_selectorELNS0_4arch9wavefront6targetE1EEEvSL_
	.globl	_ZN7rocprim17ROCPRIM_400000_NS6detail17trampoline_kernelINS0_14default_configENS1_38merge_sort_block_merge_config_selectorItNS0_10empty_typeEEEZZNS1_27merge_sort_block_merge_implIS3_N6thrust23THRUST_200600_302600_NS6detail15normal_iteratorINS9_10device_ptrItEEEEPS5_jNS1_19radix_merge_compareILb0ELb0EtNS0_19identity_decomposerEEEEE10hipError_tT0_T1_T2_jT3_P12ihipStream_tbPNSt15iterator_traitsISK_E10value_typeEPNSQ_ISL_E10value_typeEPSM_NS1_7vsmem_tEENKUlT_SK_SL_SM_E_clISE_PtSF_SF_EESJ_SZ_SK_SL_SM_EUlSZ_E1_NS1_11comp_targetILNS1_3genE9ELNS1_11target_archE1100ELNS1_3gpuE3ELNS1_3repE0EEENS1_36merge_oddeven_config_static_selectorELNS0_4arch9wavefront6targetE1EEEvSL_
	.p2align	8
	.type	_ZN7rocprim17ROCPRIM_400000_NS6detail17trampoline_kernelINS0_14default_configENS1_38merge_sort_block_merge_config_selectorItNS0_10empty_typeEEEZZNS1_27merge_sort_block_merge_implIS3_N6thrust23THRUST_200600_302600_NS6detail15normal_iteratorINS9_10device_ptrItEEEEPS5_jNS1_19radix_merge_compareILb0ELb0EtNS0_19identity_decomposerEEEEE10hipError_tT0_T1_T2_jT3_P12ihipStream_tbPNSt15iterator_traitsISK_E10value_typeEPNSQ_ISL_E10value_typeEPSM_NS1_7vsmem_tEENKUlT_SK_SL_SM_E_clISE_PtSF_SF_EESJ_SZ_SK_SL_SM_EUlSZ_E1_NS1_11comp_targetILNS1_3genE9ELNS1_11target_archE1100ELNS1_3gpuE3ELNS1_3repE0EEENS1_36merge_oddeven_config_static_selectorELNS0_4arch9wavefront6targetE1EEEvSL_,@function
_ZN7rocprim17ROCPRIM_400000_NS6detail17trampoline_kernelINS0_14default_configENS1_38merge_sort_block_merge_config_selectorItNS0_10empty_typeEEEZZNS1_27merge_sort_block_merge_implIS3_N6thrust23THRUST_200600_302600_NS6detail15normal_iteratorINS9_10device_ptrItEEEEPS5_jNS1_19radix_merge_compareILb0ELb0EtNS0_19identity_decomposerEEEEE10hipError_tT0_T1_T2_jT3_P12ihipStream_tbPNSt15iterator_traitsISK_E10value_typeEPNSQ_ISL_E10value_typeEPSM_NS1_7vsmem_tEENKUlT_SK_SL_SM_E_clISE_PtSF_SF_EESJ_SZ_SK_SL_SM_EUlSZ_E1_NS1_11comp_targetILNS1_3genE9ELNS1_11target_archE1100ELNS1_3gpuE3ELNS1_3repE0EEENS1_36merge_oddeven_config_static_selectorELNS0_4arch9wavefront6targetE1EEEvSL_: ; @_ZN7rocprim17ROCPRIM_400000_NS6detail17trampoline_kernelINS0_14default_configENS1_38merge_sort_block_merge_config_selectorItNS0_10empty_typeEEEZZNS1_27merge_sort_block_merge_implIS3_N6thrust23THRUST_200600_302600_NS6detail15normal_iteratorINS9_10device_ptrItEEEEPS5_jNS1_19radix_merge_compareILb0ELb0EtNS0_19identity_decomposerEEEEE10hipError_tT0_T1_T2_jT3_P12ihipStream_tbPNSt15iterator_traitsISK_E10value_typeEPNSQ_ISL_E10value_typeEPSM_NS1_7vsmem_tEENKUlT_SK_SL_SM_E_clISE_PtSF_SF_EESJ_SZ_SK_SL_SM_EUlSZ_E1_NS1_11comp_targetILNS1_3genE9ELNS1_11target_archE1100ELNS1_3gpuE3ELNS1_3repE0EEENS1_36merge_oddeven_config_static_selectorELNS0_4arch9wavefront6targetE1EEEvSL_
; %bb.0:
	.section	.rodata,"a",@progbits
	.p2align	6, 0x0
	.amdhsa_kernel _ZN7rocprim17ROCPRIM_400000_NS6detail17trampoline_kernelINS0_14default_configENS1_38merge_sort_block_merge_config_selectorItNS0_10empty_typeEEEZZNS1_27merge_sort_block_merge_implIS3_N6thrust23THRUST_200600_302600_NS6detail15normal_iteratorINS9_10device_ptrItEEEEPS5_jNS1_19radix_merge_compareILb0ELb0EtNS0_19identity_decomposerEEEEE10hipError_tT0_T1_T2_jT3_P12ihipStream_tbPNSt15iterator_traitsISK_E10value_typeEPNSQ_ISL_E10value_typeEPSM_NS1_7vsmem_tEENKUlT_SK_SL_SM_E_clISE_PtSF_SF_EESJ_SZ_SK_SL_SM_EUlSZ_E1_NS1_11comp_targetILNS1_3genE9ELNS1_11target_archE1100ELNS1_3gpuE3ELNS1_3repE0EEENS1_36merge_oddeven_config_static_selectorELNS0_4arch9wavefront6targetE1EEEvSL_
		.amdhsa_group_segment_fixed_size 0
		.amdhsa_private_segment_fixed_size 0
		.amdhsa_kernarg_size 48
		.amdhsa_user_sgpr_count 6
		.amdhsa_user_sgpr_private_segment_buffer 1
		.amdhsa_user_sgpr_dispatch_ptr 0
		.amdhsa_user_sgpr_queue_ptr 0
		.amdhsa_user_sgpr_kernarg_segment_ptr 1
		.amdhsa_user_sgpr_dispatch_id 0
		.amdhsa_user_sgpr_flat_scratch_init 0
		.amdhsa_user_sgpr_kernarg_preload_length 0
		.amdhsa_user_sgpr_kernarg_preload_offset 0
		.amdhsa_user_sgpr_private_segment_size 0
		.amdhsa_uses_dynamic_stack 0
		.amdhsa_system_sgpr_private_segment_wavefront_offset 0
		.amdhsa_system_sgpr_workgroup_id_x 1
		.amdhsa_system_sgpr_workgroup_id_y 0
		.amdhsa_system_sgpr_workgroup_id_z 0
		.amdhsa_system_sgpr_workgroup_info 0
		.amdhsa_system_vgpr_workitem_id 0
		.amdhsa_next_free_vgpr 1
		.amdhsa_next_free_sgpr 0
		.amdhsa_accum_offset 4
		.amdhsa_reserve_vcc 0
		.amdhsa_reserve_flat_scratch 0
		.amdhsa_float_round_mode_32 0
		.amdhsa_float_round_mode_16_64 0
		.amdhsa_float_denorm_mode_32 3
		.amdhsa_float_denorm_mode_16_64 3
		.amdhsa_dx10_clamp 1
		.amdhsa_ieee_mode 1
		.amdhsa_fp16_overflow 0
		.amdhsa_tg_split 0
		.amdhsa_exception_fp_ieee_invalid_op 0
		.amdhsa_exception_fp_denorm_src 0
		.amdhsa_exception_fp_ieee_div_zero 0
		.amdhsa_exception_fp_ieee_overflow 0
		.amdhsa_exception_fp_ieee_underflow 0
		.amdhsa_exception_fp_ieee_inexact 0
		.amdhsa_exception_int_div_zero 0
	.end_amdhsa_kernel
	.section	.text._ZN7rocprim17ROCPRIM_400000_NS6detail17trampoline_kernelINS0_14default_configENS1_38merge_sort_block_merge_config_selectorItNS0_10empty_typeEEEZZNS1_27merge_sort_block_merge_implIS3_N6thrust23THRUST_200600_302600_NS6detail15normal_iteratorINS9_10device_ptrItEEEEPS5_jNS1_19radix_merge_compareILb0ELb0EtNS0_19identity_decomposerEEEEE10hipError_tT0_T1_T2_jT3_P12ihipStream_tbPNSt15iterator_traitsISK_E10value_typeEPNSQ_ISL_E10value_typeEPSM_NS1_7vsmem_tEENKUlT_SK_SL_SM_E_clISE_PtSF_SF_EESJ_SZ_SK_SL_SM_EUlSZ_E1_NS1_11comp_targetILNS1_3genE9ELNS1_11target_archE1100ELNS1_3gpuE3ELNS1_3repE0EEENS1_36merge_oddeven_config_static_selectorELNS0_4arch9wavefront6targetE1EEEvSL_,"axG",@progbits,_ZN7rocprim17ROCPRIM_400000_NS6detail17trampoline_kernelINS0_14default_configENS1_38merge_sort_block_merge_config_selectorItNS0_10empty_typeEEEZZNS1_27merge_sort_block_merge_implIS3_N6thrust23THRUST_200600_302600_NS6detail15normal_iteratorINS9_10device_ptrItEEEEPS5_jNS1_19radix_merge_compareILb0ELb0EtNS0_19identity_decomposerEEEEE10hipError_tT0_T1_T2_jT3_P12ihipStream_tbPNSt15iterator_traitsISK_E10value_typeEPNSQ_ISL_E10value_typeEPSM_NS1_7vsmem_tEENKUlT_SK_SL_SM_E_clISE_PtSF_SF_EESJ_SZ_SK_SL_SM_EUlSZ_E1_NS1_11comp_targetILNS1_3genE9ELNS1_11target_archE1100ELNS1_3gpuE3ELNS1_3repE0EEENS1_36merge_oddeven_config_static_selectorELNS0_4arch9wavefront6targetE1EEEvSL_,comdat
.Lfunc_end1252:
	.size	_ZN7rocprim17ROCPRIM_400000_NS6detail17trampoline_kernelINS0_14default_configENS1_38merge_sort_block_merge_config_selectorItNS0_10empty_typeEEEZZNS1_27merge_sort_block_merge_implIS3_N6thrust23THRUST_200600_302600_NS6detail15normal_iteratorINS9_10device_ptrItEEEEPS5_jNS1_19radix_merge_compareILb0ELb0EtNS0_19identity_decomposerEEEEE10hipError_tT0_T1_T2_jT3_P12ihipStream_tbPNSt15iterator_traitsISK_E10value_typeEPNSQ_ISL_E10value_typeEPSM_NS1_7vsmem_tEENKUlT_SK_SL_SM_E_clISE_PtSF_SF_EESJ_SZ_SK_SL_SM_EUlSZ_E1_NS1_11comp_targetILNS1_3genE9ELNS1_11target_archE1100ELNS1_3gpuE3ELNS1_3repE0EEENS1_36merge_oddeven_config_static_selectorELNS0_4arch9wavefront6targetE1EEEvSL_, .Lfunc_end1252-_ZN7rocprim17ROCPRIM_400000_NS6detail17trampoline_kernelINS0_14default_configENS1_38merge_sort_block_merge_config_selectorItNS0_10empty_typeEEEZZNS1_27merge_sort_block_merge_implIS3_N6thrust23THRUST_200600_302600_NS6detail15normal_iteratorINS9_10device_ptrItEEEEPS5_jNS1_19radix_merge_compareILb0ELb0EtNS0_19identity_decomposerEEEEE10hipError_tT0_T1_T2_jT3_P12ihipStream_tbPNSt15iterator_traitsISK_E10value_typeEPNSQ_ISL_E10value_typeEPSM_NS1_7vsmem_tEENKUlT_SK_SL_SM_E_clISE_PtSF_SF_EESJ_SZ_SK_SL_SM_EUlSZ_E1_NS1_11comp_targetILNS1_3genE9ELNS1_11target_archE1100ELNS1_3gpuE3ELNS1_3repE0EEENS1_36merge_oddeven_config_static_selectorELNS0_4arch9wavefront6targetE1EEEvSL_
                                        ; -- End function
	.section	.AMDGPU.csdata,"",@progbits
; Kernel info:
; codeLenInByte = 0
; NumSgprs: 4
; NumVgprs: 0
; NumAgprs: 0
; TotalNumVgprs: 0
; ScratchSize: 0
; MemoryBound: 0
; FloatMode: 240
; IeeeMode: 1
; LDSByteSize: 0 bytes/workgroup (compile time only)
; SGPRBlocks: 0
; VGPRBlocks: 0
; NumSGPRsForWavesPerEU: 4
; NumVGPRsForWavesPerEU: 1
; AccumOffset: 4
; Occupancy: 8
; WaveLimiterHint : 0
; COMPUTE_PGM_RSRC2:SCRATCH_EN: 0
; COMPUTE_PGM_RSRC2:USER_SGPR: 6
; COMPUTE_PGM_RSRC2:TRAP_HANDLER: 0
; COMPUTE_PGM_RSRC2:TGID_X_EN: 1
; COMPUTE_PGM_RSRC2:TGID_Y_EN: 0
; COMPUTE_PGM_RSRC2:TGID_Z_EN: 0
; COMPUTE_PGM_RSRC2:TIDIG_COMP_CNT: 0
; COMPUTE_PGM_RSRC3_GFX90A:ACCUM_OFFSET: 0
; COMPUTE_PGM_RSRC3_GFX90A:TG_SPLIT: 0
	.section	.text._ZN7rocprim17ROCPRIM_400000_NS6detail17trampoline_kernelINS0_14default_configENS1_38merge_sort_block_merge_config_selectorItNS0_10empty_typeEEEZZNS1_27merge_sort_block_merge_implIS3_N6thrust23THRUST_200600_302600_NS6detail15normal_iteratorINS9_10device_ptrItEEEEPS5_jNS1_19radix_merge_compareILb0ELb0EtNS0_19identity_decomposerEEEEE10hipError_tT0_T1_T2_jT3_P12ihipStream_tbPNSt15iterator_traitsISK_E10value_typeEPNSQ_ISL_E10value_typeEPSM_NS1_7vsmem_tEENKUlT_SK_SL_SM_E_clISE_PtSF_SF_EESJ_SZ_SK_SL_SM_EUlSZ_E1_NS1_11comp_targetILNS1_3genE8ELNS1_11target_archE1030ELNS1_3gpuE2ELNS1_3repE0EEENS1_36merge_oddeven_config_static_selectorELNS0_4arch9wavefront6targetE1EEEvSL_,"axG",@progbits,_ZN7rocprim17ROCPRIM_400000_NS6detail17trampoline_kernelINS0_14default_configENS1_38merge_sort_block_merge_config_selectorItNS0_10empty_typeEEEZZNS1_27merge_sort_block_merge_implIS3_N6thrust23THRUST_200600_302600_NS6detail15normal_iteratorINS9_10device_ptrItEEEEPS5_jNS1_19radix_merge_compareILb0ELb0EtNS0_19identity_decomposerEEEEE10hipError_tT0_T1_T2_jT3_P12ihipStream_tbPNSt15iterator_traitsISK_E10value_typeEPNSQ_ISL_E10value_typeEPSM_NS1_7vsmem_tEENKUlT_SK_SL_SM_E_clISE_PtSF_SF_EESJ_SZ_SK_SL_SM_EUlSZ_E1_NS1_11comp_targetILNS1_3genE8ELNS1_11target_archE1030ELNS1_3gpuE2ELNS1_3repE0EEENS1_36merge_oddeven_config_static_selectorELNS0_4arch9wavefront6targetE1EEEvSL_,comdat
	.protected	_ZN7rocprim17ROCPRIM_400000_NS6detail17trampoline_kernelINS0_14default_configENS1_38merge_sort_block_merge_config_selectorItNS0_10empty_typeEEEZZNS1_27merge_sort_block_merge_implIS3_N6thrust23THRUST_200600_302600_NS6detail15normal_iteratorINS9_10device_ptrItEEEEPS5_jNS1_19radix_merge_compareILb0ELb0EtNS0_19identity_decomposerEEEEE10hipError_tT0_T1_T2_jT3_P12ihipStream_tbPNSt15iterator_traitsISK_E10value_typeEPNSQ_ISL_E10value_typeEPSM_NS1_7vsmem_tEENKUlT_SK_SL_SM_E_clISE_PtSF_SF_EESJ_SZ_SK_SL_SM_EUlSZ_E1_NS1_11comp_targetILNS1_3genE8ELNS1_11target_archE1030ELNS1_3gpuE2ELNS1_3repE0EEENS1_36merge_oddeven_config_static_selectorELNS0_4arch9wavefront6targetE1EEEvSL_ ; -- Begin function _ZN7rocprim17ROCPRIM_400000_NS6detail17trampoline_kernelINS0_14default_configENS1_38merge_sort_block_merge_config_selectorItNS0_10empty_typeEEEZZNS1_27merge_sort_block_merge_implIS3_N6thrust23THRUST_200600_302600_NS6detail15normal_iteratorINS9_10device_ptrItEEEEPS5_jNS1_19radix_merge_compareILb0ELb0EtNS0_19identity_decomposerEEEEE10hipError_tT0_T1_T2_jT3_P12ihipStream_tbPNSt15iterator_traitsISK_E10value_typeEPNSQ_ISL_E10value_typeEPSM_NS1_7vsmem_tEENKUlT_SK_SL_SM_E_clISE_PtSF_SF_EESJ_SZ_SK_SL_SM_EUlSZ_E1_NS1_11comp_targetILNS1_3genE8ELNS1_11target_archE1030ELNS1_3gpuE2ELNS1_3repE0EEENS1_36merge_oddeven_config_static_selectorELNS0_4arch9wavefront6targetE1EEEvSL_
	.globl	_ZN7rocprim17ROCPRIM_400000_NS6detail17trampoline_kernelINS0_14default_configENS1_38merge_sort_block_merge_config_selectorItNS0_10empty_typeEEEZZNS1_27merge_sort_block_merge_implIS3_N6thrust23THRUST_200600_302600_NS6detail15normal_iteratorINS9_10device_ptrItEEEEPS5_jNS1_19radix_merge_compareILb0ELb0EtNS0_19identity_decomposerEEEEE10hipError_tT0_T1_T2_jT3_P12ihipStream_tbPNSt15iterator_traitsISK_E10value_typeEPNSQ_ISL_E10value_typeEPSM_NS1_7vsmem_tEENKUlT_SK_SL_SM_E_clISE_PtSF_SF_EESJ_SZ_SK_SL_SM_EUlSZ_E1_NS1_11comp_targetILNS1_3genE8ELNS1_11target_archE1030ELNS1_3gpuE2ELNS1_3repE0EEENS1_36merge_oddeven_config_static_selectorELNS0_4arch9wavefront6targetE1EEEvSL_
	.p2align	8
	.type	_ZN7rocprim17ROCPRIM_400000_NS6detail17trampoline_kernelINS0_14default_configENS1_38merge_sort_block_merge_config_selectorItNS0_10empty_typeEEEZZNS1_27merge_sort_block_merge_implIS3_N6thrust23THRUST_200600_302600_NS6detail15normal_iteratorINS9_10device_ptrItEEEEPS5_jNS1_19radix_merge_compareILb0ELb0EtNS0_19identity_decomposerEEEEE10hipError_tT0_T1_T2_jT3_P12ihipStream_tbPNSt15iterator_traitsISK_E10value_typeEPNSQ_ISL_E10value_typeEPSM_NS1_7vsmem_tEENKUlT_SK_SL_SM_E_clISE_PtSF_SF_EESJ_SZ_SK_SL_SM_EUlSZ_E1_NS1_11comp_targetILNS1_3genE8ELNS1_11target_archE1030ELNS1_3gpuE2ELNS1_3repE0EEENS1_36merge_oddeven_config_static_selectorELNS0_4arch9wavefront6targetE1EEEvSL_,@function
_ZN7rocprim17ROCPRIM_400000_NS6detail17trampoline_kernelINS0_14default_configENS1_38merge_sort_block_merge_config_selectorItNS0_10empty_typeEEEZZNS1_27merge_sort_block_merge_implIS3_N6thrust23THRUST_200600_302600_NS6detail15normal_iteratorINS9_10device_ptrItEEEEPS5_jNS1_19radix_merge_compareILb0ELb0EtNS0_19identity_decomposerEEEEE10hipError_tT0_T1_T2_jT3_P12ihipStream_tbPNSt15iterator_traitsISK_E10value_typeEPNSQ_ISL_E10value_typeEPSM_NS1_7vsmem_tEENKUlT_SK_SL_SM_E_clISE_PtSF_SF_EESJ_SZ_SK_SL_SM_EUlSZ_E1_NS1_11comp_targetILNS1_3genE8ELNS1_11target_archE1030ELNS1_3gpuE2ELNS1_3repE0EEENS1_36merge_oddeven_config_static_selectorELNS0_4arch9wavefront6targetE1EEEvSL_: ; @_ZN7rocprim17ROCPRIM_400000_NS6detail17trampoline_kernelINS0_14default_configENS1_38merge_sort_block_merge_config_selectorItNS0_10empty_typeEEEZZNS1_27merge_sort_block_merge_implIS3_N6thrust23THRUST_200600_302600_NS6detail15normal_iteratorINS9_10device_ptrItEEEEPS5_jNS1_19radix_merge_compareILb0ELb0EtNS0_19identity_decomposerEEEEE10hipError_tT0_T1_T2_jT3_P12ihipStream_tbPNSt15iterator_traitsISK_E10value_typeEPNSQ_ISL_E10value_typeEPSM_NS1_7vsmem_tEENKUlT_SK_SL_SM_E_clISE_PtSF_SF_EESJ_SZ_SK_SL_SM_EUlSZ_E1_NS1_11comp_targetILNS1_3genE8ELNS1_11target_archE1030ELNS1_3gpuE2ELNS1_3repE0EEENS1_36merge_oddeven_config_static_selectorELNS0_4arch9wavefront6targetE1EEEvSL_
; %bb.0:
	.section	.rodata,"a",@progbits
	.p2align	6, 0x0
	.amdhsa_kernel _ZN7rocprim17ROCPRIM_400000_NS6detail17trampoline_kernelINS0_14default_configENS1_38merge_sort_block_merge_config_selectorItNS0_10empty_typeEEEZZNS1_27merge_sort_block_merge_implIS3_N6thrust23THRUST_200600_302600_NS6detail15normal_iteratorINS9_10device_ptrItEEEEPS5_jNS1_19radix_merge_compareILb0ELb0EtNS0_19identity_decomposerEEEEE10hipError_tT0_T1_T2_jT3_P12ihipStream_tbPNSt15iterator_traitsISK_E10value_typeEPNSQ_ISL_E10value_typeEPSM_NS1_7vsmem_tEENKUlT_SK_SL_SM_E_clISE_PtSF_SF_EESJ_SZ_SK_SL_SM_EUlSZ_E1_NS1_11comp_targetILNS1_3genE8ELNS1_11target_archE1030ELNS1_3gpuE2ELNS1_3repE0EEENS1_36merge_oddeven_config_static_selectorELNS0_4arch9wavefront6targetE1EEEvSL_
		.amdhsa_group_segment_fixed_size 0
		.amdhsa_private_segment_fixed_size 0
		.amdhsa_kernarg_size 48
		.amdhsa_user_sgpr_count 6
		.amdhsa_user_sgpr_private_segment_buffer 1
		.amdhsa_user_sgpr_dispatch_ptr 0
		.amdhsa_user_sgpr_queue_ptr 0
		.amdhsa_user_sgpr_kernarg_segment_ptr 1
		.amdhsa_user_sgpr_dispatch_id 0
		.amdhsa_user_sgpr_flat_scratch_init 0
		.amdhsa_user_sgpr_kernarg_preload_length 0
		.amdhsa_user_sgpr_kernarg_preload_offset 0
		.amdhsa_user_sgpr_private_segment_size 0
		.amdhsa_uses_dynamic_stack 0
		.amdhsa_system_sgpr_private_segment_wavefront_offset 0
		.amdhsa_system_sgpr_workgroup_id_x 1
		.amdhsa_system_sgpr_workgroup_id_y 0
		.amdhsa_system_sgpr_workgroup_id_z 0
		.amdhsa_system_sgpr_workgroup_info 0
		.amdhsa_system_vgpr_workitem_id 0
		.amdhsa_next_free_vgpr 1
		.amdhsa_next_free_sgpr 0
		.amdhsa_accum_offset 4
		.amdhsa_reserve_vcc 0
		.amdhsa_reserve_flat_scratch 0
		.amdhsa_float_round_mode_32 0
		.amdhsa_float_round_mode_16_64 0
		.amdhsa_float_denorm_mode_32 3
		.amdhsa_float_denorm_mode_16_64 3
		.amdhsa_dx10_clamp 1
		.amdhsa_ieee_mode 1
		.amdhsa_fp16_overflow 0
		.amdhsa_tg_split 0
		.amdhsa_exception_fp_ieee_invalid_op 0
		.amdhsa_exception_fp_denorm_src 0
		.amdhsa_exception_fp_ieee_div_zero 0
		.amdhsa_exception_fp_ieee_overflow 0
		.amdhsa_exception_fp_ieee_underflow 0
		.amdhsa_exception_fp_ieee_inexact 0
		.amdhsa_exception_int_div_zero 0
	.end_amdhsa_kernel
	.section	.text._ZN7rocprim17ROCPRIM_400000_NS6detail17trampoline_kernelINS0_14default_configENS1_38merge_sort_block_merge_config_selectorItNS0_10empty_typeEEEZZNS1_27merge_sort_block_merge_implIS3_N6thrust23THRUST_200600_302600_NS6detail15normal_iteratorINS9_10device_ptrItEEEEPS5_jNS1_19radix_merge_compareILb0ELb0EtNS0_19identity_decomposerEEEEE10hipError_tT0_T1_T2_jT3_P12ihipStream_tbPNSt15iterator_traitsISK_E10value_typeEPNSQ_ISL_E10value_typeEPSM_NS1_7vsmem_tEENKUlT_SK_SL_SM_E_clISE_PtSF_SF_EESJ_SZ_SK_SL_SM_EUlSZ_E1_NS1_11comp_targetILNS1_3genE8ELNS1_11target_archE1030ELNS1_3gpuE2ELNS1_3repE0EEENS1_36merge_oddeven_config_static_selectorELNS0_4arch9wavefront6targetE1EEEvSL_,"axG",@progbits,_ZN7rocprim17ROCPRIM_400000_NS6detail17trampoline_kernelINS0_14default_configENS1_38merge_sort_block_merge_config_selectorItNS0_10empty_typeEEEZZNS1_27merge_sort_block_merge_implIS3_N6thrust23THRUST_200600_302600_NS6detail15normal_iteratorINS9_10device_ptrItEEEEPS5_jNS1_19radix_merge_compareILb0ELb0EtNS0_19identity_decomposerEEEEE10hipError_tT0_T1_T2_jT3_P12ihipStream_tbPNSt15iterator_traitsISK_E10value_typeEPNSQ_ISL_E10value_typeEPSM_NS1_7vsmem_tEENKUlT_SK_SL_SM_E_clISE_PtSF_SF_EESJ_SZ_SK_SL_SM_EUlSZ_E1_NS1_11comp_targetILNS1_3genE8ELNS1_11target_archE1030ELNS1_3gpuE2ELNS1_3repE0EEENS1_36merge_oddeven_config_static_selectorELNS0_4arch9wavefront6targetE1EEEvSL_,comdat
.Lfunc_end1253:
	.size	_ZN7rocprim17ROCPRIM_400000_NS6detail17trampoline_kernelINS0_14default_configENS1_38merge_sort_block_merge_config_selectorItNS0_10empty_typeEEEZZNS1_27merge_sort_block_merge_implIS3_N6thrust23THRUST_200600_302600_NS6detail15normal_iteratorINS9_10device_ptrItEEEEPS5_jNS1_19radix_merge_compareILb0ELb0EtNS0_19identity_decomposerEEEEE10hipError_tT0_T1_T2_jT3_P12ihipStream_tbPNSt15iterator_traitsISK_E10value_typeEPNSQ_ISL_E10value_typeEPSM_NS1_7vsmem_tEENKUlT_SK_SL_SM_E_clISE_PtSF_SF_EESJ_SZ_SK_SL_SM_EUlSZ_E1_NS1_11comp_targetILNS1_3genE8ELNS1_11target_archE1030ELNS1_3gpuE2ELNS1_3repE0EEENS1_36merge_oddeven_config_static_selectorELNS0_4arch9wavefront6targetE1EEEvSL_, .Lfunc_end1253-_ZN7rocprim17ROCPRIM_400000_NS6detail17trampoline_kernelINS0_14default_configENS1_38merge_sort_block_merge_config_selectorItNS0_10empty_typeEEEZZNS1_27merge_sort_block_merge_implIS3_N6thrust23THRUST_200600_302600_NS6detail15normal_iteratorINS9_10device_ptrItEEEEPS5_jNS1_19radix_merge_compareILb0ELb0EtNS0_19identity_decomposerEEEEE10hipError_tT0_T1_T2_jT3_P12ihipStream_tbPNSt15iterator_traitsISK_E10value_typeEPNSQ_ISL_E10value_typeEPSM_NS1_7vsmem_tEENKUlT_SK_SL_SM_E_clISE_PtSF_SF_EESJ_SZ_SK_SL_SM_EUlSZ_E1_NS1_11comp_targetILNS1_3genE8ELNS1_11target_archE1030ELNS1_3gpuE2ELNS1_3repE0EEENS1_36merge_oddeven_config_static_selectorELNS0_4arch9wavefront6targetE1EEEvSL_
                                        ; -- End function
	.section	.AMDGPU.csdata,"",@progbits
; Kernel info:
; codeLenInByte = 0
; NumSgprs: 4
; NumVgprs: 0
; NumAgprs: 0
; TotalNumVgprs: 0
; ScratchSize: 0
; MemoryBound: 0
; FloatMode: 240
; IeeeMode: 1
; LDSByteSize: 0 bytes/workgroup (compile time only)
; SGPRBlocks: 0
; VGPRBlocks: 0
; NumSGPRsForWavesPerEU: 4
; NumVGPRsForWavesPerEU: 1
; AccumOffset: 4
; Occupancy: 8
; WaveLimiterHint : 0
; COMPUTE_PGM_RSRC2:SCRATCH_EN: 0
; COMPUTE_PGM_RSRC2:USER_SGPR: 6
; COMPUTE_PGM_RSRC2:TRAP_HANDLER: 0
; COMPUTE_PGM_RSRC2:TGID_X_EN: 1
; COMPUTE_PGM_RSRC2:TGID_Y_EN: 0
; COMPUTE_PGM_RSRC2:TGID_Z_EN: 0
; COMPUTE_PGM_RSRC2:TIDIG_COMP_CNT: 0
; COMPUTE_PGM_RSRC3_GFX90A:ACCUM_OFFSET: 0
; COMPUTE_PGM_RSRC3_GFX90A:TG_SPLIT: 0
	.section	.text._ZN7rocprim17ROCPRIM_400000_NS6detail17trampoline_kernelINS0_14default_configENS1_25transform_config_selectorItLb0EEEZNS1_14transform_implILb0ES3_S5_PtN6thrust23THRUST_200600_302600_NS6detail15normal_iteratorINS9_10device_ptrItEEEENS0_8identityItEEEE10hipError_tT2_T3_mT4_P12ihipStream_tbEUlT_E_NS1_11comp_targetILNS1_3genE0ELNS1_11target_archE4294967295ELNS1_3gpuE0ELNS1_3repE0EEENS1_30default_config_static_selectorELNS0_4arch9wavefront6targetE1EEEvT1_,"axG",@progbits,_ZN7rocprim17ROCPRIM_400000_NS6detail17trampoline_kernelINS0_14default_configENS1_25transform_config_selectorItLb0EEEZNS1_14transform_implILb0ES3_S5_PtN6thrust23THRUST_200600_302600_NS6detail15normal_iteratorINS9_10device_ptrItEEEENS0_8identityItEEEE10hipError_tT2_T3_mT4_P12ihipStream_tbEUlT_E_NS1_11comp_targetILNS1_3genE0ELNS1_11target_archE4294967295ELNS1_3gpuE0ELNS1_3repE0EEENS1_30default_config_static_selectorELNS0_4arch9wavefront6targetE1EEEvT1_,comdat
	.protected	_ZN7rocprim17ROCPRIM_400000_NS6detail17trampoline_kernelINS0_14default_configENS1_25transform_config_selectorItLb0EEEZNS1_14transform_implILb0ES3_S5_PtN6thrust23THRUST_200600_302600_NS6detail15normal_iteratorINS9_10device_ptrItEEEENS0_8identityItEEEE10hipError_tT2_T3_mT4_P12ihipStream_tbEUlT_E_NS1_11comp_targetILNS1_3genE0ELNS1_11target_archE4294967295ELNS1_3gpuE0ELNS1_3repE0EEENS1_30default_config_static_selectorELNS0_4arch9wavefront6targetE1EEEvT1_ ; -- Begin function _ZN7rocprim17ROCPRIM_400000_NS6detail17trampoline_kernelINS0_14default_configENS1_25transform_config_selectorItLb0EEEZNS1_14transform_implILb0ES3_S5_PtN6thrust23THRUST_200600_302600_NS6detail15normal_iteratorINS9_10device_ptrItEEEENS0_8identityItEEEE10hipError_tT2_T3_mT4_P12ihipStream_tbEUlT_E_NS1_11comp_targetILNS1_3genE0ELNS1_11target_archE4294967295ELNS1_3gpuE0ELNS1_3repE0EEENS1_30default_config_static_selectorELNS0_4arch9wavefront6targetE1EEEvT1_
	.globl	_ZN7rocprim17ROCPRIM_400000_NS6detail17trampoline_kernelINS0_14default_configENS1_25transform_config_selectorItLb0EEEZNS1_14transform_implILb0ES3_S5_PtN6thrust23THRUST_200600_302600_NS6detail15normal_iteratorINS9_10device_ptrItEEEENS0_8identityItEEEE10hipError_tT2_T3_mT4_P12ihipStream_tbEUlT_E_NS1_11comp_targetILNS1_3genE0ELNS1_11target_archE4294967295ELNS1_3gpuE0ELNS1_3repE0EEENS1_30default_config_static_selectorELNS0_4arch9wavefront6targetE1EEEvT1_
	.p2align	8
	.type	_ZN7rocprim17ROCPRIM_400000_NS6detail17trampoline_kernelINS0_14default_configENS1_25transform_config_selectorItLb0EEEZNS1_14transform_implILb0ES3_S5_PtN6thrust23THRUST_200600_302600_NS6detail15normal_iteratorINS9_10device_ptrItEEEENS0_8identityItEEEE10hipError_tT2_T3_mT4_P12ihipStream_tbEUlT_E_NS1_11comp_targetILNS1_3genE0ELNS1_11target_archE4294967295ELNS1_3gpuE0ELNS1_3repE0EEENS1_30default_config_static_selectorELNS0_4arch9wavefront6targetE1EEEvT1_,@function
_ZN7rocprim17ROCPRIM_400000_NS6detail17trampoline_kernelINS0_14default_configENS1_25transform_config_selectorItLb0EEEZNS1_14transform_implILb0ES3_S5_PtN6thrust23THRUST_200600_302600_NS6detail15normal_iteratorINS9_10device_ptrItEEEENS0_8identityItEEEE10hipError_tT2_T3_mT4_P12ihipStream_tbEUlT_E_NS1_11comp_targetILNS1_3genE0ELNS1_11target_archE4294967295ELNS1_3gpuE0ELNS1_3repE0EEENS1_30default_config_static_selectorELNS0_4arch9wavefront6targetE1EEEvT1_: ; @_ZN7rocprim17ROCPRIM_400000_NS6detail17trampoline_kernelINS0_14default_configENS1_25transform_config_selectorItLb0EEEZNS1_14transform_implILb0ES3_S5_PtN6thrust23THRUST_200600_302600_NS6detail15normal_iteratorINS9_10device_ptrItEEEENS0_8identityItEEEE10hipError_tT2_T3_mT4_P12ihipStream_tbEUlT_E_NS1_11comp_targetILNS1_3genE0ELNS1_11target_archE4294967295ELNS1_3gpuE0ELNS1_3repE0EEENS1_30default_config_static_selectorELNS0_4arch9wavefront6targetE1EEEvT1_
; %bb.0:
	.section	.rodata,"a",@progbits
	.p2align	6, 0x0
	.amdhsa_kernel _ZN7rocprim17ROCPRIM_400000_NS6detail17trampoline_kernelINS0_14default_configENS1_25transform_config_selectorItLb0EEEZNS1_14transform_implILb0ES3_S5_PtN6thrust23THRUST_200600_302600_NS6detail15normal_iteratorINS9_10device_ptrItEEEENS0_8identityItEEEE10hipError_tT2_T3_mT4_P12ihipStream_tbEUlT_E_NS1_11comp_targetILNS1_3genE0ELNS1_11target_archE4294967295ELNS1_3gpuE0ELNS1_3repE0EEENS1_30default_config_static_selectorELNS0_4arch9wavefront6targetE1EEEvT1_
		.amdhsa_group_segment_fixed_size 0
		.amdhsa_private_segment_fixed_size 0
		.amdhsa_kernarg_size 40
		.amdhsa_user_sgpr_count 6
		.amdhsa_user_sgpr_private_segment_buffer 1
		.amdhsa_user_sgpr_dispatch_ptr 0
		.amdhsa_user_sgpr_queue_ptr 0
		.amdhsa_user_sgpr_kernarg_segment_ptr 1
		.amdhsa_user_sgpr_dispatch_id 0
		.amdhsa_user_sgpr_flat_scratch_init 0
		.amdhsa_user_sgpr_kernarg_preload_length 0
		.amdhsa_user_sgpr_kernarg_preload_offset 0
		.amdhsa_user_sgpr_private_segment_size 0
		.amdhsa_uses_dynamic_stack 0
		.amdhsa_system_sgpr_private_segment_wavefront_offset 0
		.amdhsa_system_sgpr_workgroup_id_x 1
		.amdhsa_system_sgpr_workgroup_id_y 0
		.amdhsa_system_sgpr_workgroup_id_z 0
		.amdhsa_system_sgpr_workgroup_info 0
		.amdhsa_system_vgpr_workitem_id 0
		.amdhsa_next_free_vgpr 1
		.amdhsa_next_free_sgpr 0
		.amdhsa_accum_offset 4
		.amdhsa_reserve_vcc 0
		.amdhsa_reserve_flat_scratch 0
		.amdhsa_float_round_mode_32 0
		.amdhsa_float_round_mode_16_64 0
		.amdhsa_float_denorm_mode_32 3
		.amdhsa_float_denorm_mode_16_64 3
		.amdhsa_dx10_clamp 1
		.amdhsa_ieee_mode 1
		.amdhsa_fp16_overflow 0
		.amdhsa_tg_split 0
		.amdhsa_exception_fp_ieee_invalid_op 0
		.amdhsa_exception_fp_denorm_src 0
		.amdhsa_exception_fp_ieee_div_zero 0
		.amdhsa_exception_fp_ieee_overflow 0
		.amdhsa_exception_fp_ieee_underflow 0
		.amdhsa_exception_fp_ieee_inexact 0
		.amdhsa_exception_int_div_zero 0
	.end_amdhsa_kernel
	.section	.text._ZN7rocprim17ROCPRIM_400000_NS6detail17trampoline_kernelINS0_14default_configENS1_25transform_config_selectorItLb0EEEZNS1_14transform_implILb0ES3_S5_PtN6thrust23THRUST_200600_302600_NS6detail15normal_iteratorINS9_10device_ptrItEEEENS0_8identityItEEEE10hipError_tT2_T3_mT4_P12ihipStream_tbEUlT_E_NS1_11comp_targetILNS1_3genE0ELNS1_11target_archE4294967295ELNS1_3gpuE0ELNS1_3repE0EEENS1_30default_config_static_selectorELNS0_4arch9wavefront6targetE1EEEvT1_,"axG",@progbits,_ZN7rocprim17ROCPRIM_400000_NS6detail17trampoline_kernelINS0_14default_configENS1_25transform_config_selectorItLb0EEEZNS1_14transform_implILb0ES3_S5_PtN6thrust23THRUST_200600_302600_NS6detail15normal_iteratorINS9_10device_ptrItEEEENS0_8identityItEEEE10hipError_tT2_T3_mT4_P12ihipStream_tbEUlT_E_NS1_11comp_targetILNS1_3genE0ELNS1_11target_archE4294967295ELNS1_3gpuE0ELNS1_3repE0EEENS1_30default_config_static_selectorELNS0_4arch9wavefront6targetE1EEEvT1_,comdat
.Lfunc_end1254:
	.size	_ZN7rocprim17ROCPRIM_400000_NS6detail17trampoline_kernelINS0_14default_configENS1_25transform_config_selectorItLb0EEEZNS1_14transform_implILb0ES3_S5_PtN6thrust23THRUST_200600_302600_NS6detail15normal_iteratorINS9_10device_ptrItEEEENS0_8identityItEEEE10hipError_tT2_T3_mT4_P12ihipStream_tbEUlT_E_NS1_11comp_targetILNS1_3genE0ELNS1_11target_archE4294967295ELNS1_3gpuE0ELNS1_3repE0EEENS1_30default_config_static_selectorELNS0_4arch9wavefront6targetE1EEEvT1_, .Lfunc_end1254-_ZN7rocprim17ROCPRIM_400000_NS6detail17trampoline_kernelINS0_14default_configENS1_25transform_config_selectorItLb0EEEZNS1_14transform_implILb0ES3_S5_PtN6thrust23THRUST_200600_302600_NS6detail15normal_iteratorINS9_10device_ptrItEEEENS0_8identityItEEEE10hipError_tT2_T3_mT4_P12ihipStream_tbEUlT_E_NS1_11comp_targetILNS1_3genE0ELNS1_11target_archE4294967295ELNS1_3gpuE0ELNS1_3repE0EEENS1_30default_config_static_selectorELNS0_4arch9wavefront6targetE1EEEvT1_
                                        ; -- End function
	.section	.AMDGPU.csdata,"",@progbits
; Kernel info:
; codeLenInByte = 0
; NumSgprs: 4
; NumVgprs: 0
; NumAgprs: 0
; TotalNumVgprs: 0
; ScratchSize: 0
; MemoryBound: 0
; FloatMode: 240
; IeeeMode: 1
; LDSByteSize: 0 bytes/workgroup (compile time only)
; SGPRBlocks: 0
; VGPRBlocks: 0
; NumSGPRsForWavesPerEU: 4
; NumVGPRsForWavesPerEU: 1
; AccumOffset: 4
; Occupancy: 8
; WaveLimiterHint : 0
; COMPUTE_PGM_RSRC2:SCRATCH_EN: 0
; COMPUTE_PGM_RSRC2:USER_SGPR: 6
; COMPUTE_PGM_RSRC2:TRAP_HANDLER: 0
; COMPUTE_PGM_RSRC2:TGID_X_EN: 1
; COMPUTE_PGM_RSRC2:TGID_Y_EN: 0
; COMPUTE_PGM_RSRC2:TGID_Z_EN: 0
; COMPUTE_PGM_RSRC2:TIDIG_COMP_CNT: 0
; COMPUTE_PGM_RSRC3_GFX90A:ACCUM_OFFSET: 0
; COMPUTE_PGM_RSRC3_GFX90A:TG_SPLIT: 0
	.section	.text._ZN7rocprim17ROCPRIM_400000_NS6detail17trampoline_kernelINS0_14default_configENS1_25transform_config_selectorItLb0EEEZNS1_14transform_implILb0ES3_S5_PtN6thrust23THRUST_200600_302600_NS6detail15normal_iteratorINS9_10device_ptrItEEEENS0_8identityItEEEE10hipError_tT2_T3_mT4_P12ihipStream_tbEUlT_E_NS1_11comp_targetILNS1_3genE5ELNS1_11target_archE942ELNS1_3gpuE9ELNS1_3repE0EEENS1_30default_config_static_selectorELNS0_4arch9wavefront6targetE1EEEvT1_,"axG",@progbits,_ZN7rocprim17ROCPRIM_400000_NS6detail17trampoline_kernelINS0_14default_configENS1_25transform_config_selectorItLb0EEEZNS1_14transform_implILb0ES3_S5_PtN6thrust23THRUST_200600_302600_NS6detail15normal_iteratorINS9_10device_ptrItEEEENS0_8identityItEEEE10hipError_tT2_T3_mT4_P12ihipStream_tbEUlT_E_NS1_11comp_targetILNS1_3genE5ELNS1_11target_archE942ELNS1_3gpuE9ELNS1_3repE0EEENS1_30default_config_static_selectorELNS0_4arch9wavefront6targetE1EEEvT1_,comdat
	.protected	_ZN7rocprim17ROCPRIM_400000_NS6detail17trampoline_kernelINS0_14default_configENS1_25transform_config_selectorItLb0EEEZNS1_14transform_implILb0ES3_S5_PtN6thrust23THRUST_200600_302600_NS6detail15normal_iteratorINS9_10device_ptrItEEEENS0_8identityItEEEE10hipError_tT2_T3_mT4_P12ihipStream_tbEUlT_E_NS1_11comp_targetILNS1_3genE5ELNS1_11target_archE942ELNS1_3gpuE9ELNS1_3repE0EEENS1_30default_config_static_selectorELNS0_4arch9wavefront6targetE1EEEvT1_ ; -- Begin function _ZN7rocprim17ROCPRIM_400000_NS6detail17trampoline_kernelINS0_14default_configENS1_25transform_config_selectorItLb0EEEZNS1_14transform_implILb0ES3_S5_PtN6thrust23THRUST_200600_302600_NS6detail15normal_iteratorINS9_10device_ptrItEEEENS0_8identityItEEEE10hipError_tT2_T3_mT4_P12ihipStream_tbEUlT_E_NS1_11comp_targetILNS1_3genE5ELNS1_11target_archE942ELNS1_3gpuE9ELNS1_3repE0EEENS1_30default_config_static_selectorELNS0_4arch9wavefront6targetE1EEEvT1_
	.globl	_ZN7rocprim17ROCPRIM_400000_NS6detail17trampoline_kernelINS0_14default_configENS1_25transform_config_selectorItLb0EEEZNS1_14transform_implILb0ES3_S5_PtN6thrust23THRUST_200600_302600_NS6detail15normal_iteratorINS9_10device_ptrItEEEENS0_8identityItEEEE10hipError_tT2_T3_mT4_P12ihipStream_tbEUlT_E_NS1_11comp_targetILNS1_3genE5ELNS1_11target_archE942ELNS1_3gpuE9ELNS1_3repE0EEENS1_30default_config_static_selectorELNS0_4arch9wavefront6targetE1EEEvT1_
	.p2align	8
	.type	_ZN7rocprim17ROCPRIM_400000_NS6detail17trampoline_kernelINS0_14default_configENS1_25transform_config_selectorItLb0EEEZNS1_14transform_implILb0ES3_S5_PtN6thrust23THRUST_200600_302600_NS6detail15normal_iteratorINS9_10device_ptrItEEEENS0_8identityItEEEE10hipError_tT2_T3_mT4_P12ihipStream_tbEUlT_E_NS1_11comp_targetILNS1_3genE5ELNS1_11target_archE942ELNS1_3gpuE9ELNS1_3repE0EEENS1_30default_config_static_selectorELNS0_4arch9wavefront6targetE1EEEvT1_,@function
_ZN7rocprim17ROCPRIM_400000_NS6detail17trampoline_kernelINS0_14default_configENS1_25transform_config_selectorItLb0EEEZNS1_14transform_implILb0ES3_S5_PtN6thrust23THRUST_200600_302600_NS6detail15normal_iteratorINS9_10device_ptrItEEEENS0_8identityItEEEE10hipError_tT2_T3_mT4_P12ihipStream_tbEUlT_E_NS1_11comp_targetILNS1_3genE5ELNS1_11target_archE942ELNS1_3gpuE9ELNS1_3repE0EEENS1_30default_config_static_selectorELNS0_4arch9wavefront6targetE1EEEvT1_: ; @_ZN7rocprim17ROCPRIM_400000_NS6detail17trampoline_kernelINS0_14default_configENS1_25transform_config_selectorItLb0EEEZNS1_14transform_implILb0ES3_S5_PtN6thrust23THRUST_200600_302600_NS6detail15normal_iteratorINS9_10device_ptrItEEEENS0_8identityItEEEE10hipError_tT2_T3_mT4_P12ihipStream_tbEUlT_E_NS1_11comp_targetILNS1_3genE5ELNS1_11target_archE942ELNS1_3gpuE9ELNS1_3repE0EEENS1_30default_config_static_selectorELNS0_4arch9wavefront6targetE1EEEvT1_
; %bb.0:
	.section	.rodata,"a",@progbits
	.p2align	6, 0x0
	.amdhsa_kernel _ZN7rocprim17ROCPRIM_400000_NS6detail17trampoline_kernelINS0_14default_configENS1_25transform_config_selectorItLb0EEEZNS1_14transform_implILb0ES3_S5_PtN6thrust23THRUST_200600_302600_NS6detail15normal_iteratorINS9_10device_ptrItEEEENS0_8identityItEEEE10hipError_tT2_T3_mT4_P12ihipStream_tbEUlT_E_NS1_11comp_targetILNS1_3genE5ELNS1_11target_archE942ELNS1_3gpuE9ELNS1_3repE0EEENS1_30default_config_static_selectorELNS0_4arch9wavefront6targetE1EEEvT1_
		.amdhsa_group_segment_fixed_size 0
		.amdhsa_private_segment_fixed_size 0
		.amdhsa_kernarg_size 40
		.amdhsa_user_sgpr_count 6
		.amdhsa_user_sgpr_private_segment_buffer 1
		.amdhsa_user_sgpr_dispatch_ptr 0
		.amdhsa_user_sgpr_queue_ptr 0
		.amdhsa_user_sgpr_kernarg_segment_ptr 1
		.amdhsa_user_sgpr_dispatch_id 0
		.amdhsa_user_sgpr_flat_scratch_init 0
		.amdhsa_user_sgpr_kernarg_preload_length 0
		.amdhsa_user_sgpr_kernarg_preload_offset 0
		.amdhsa_user_sgpr_private_segment_size 0
		.amdhsa_uses_dynamic_stack 0
		.amdhsa_system_sgpr_private_segment_wavefront_offset 0
		.amdhsa_system_sgpr_workgroup_id_x 1
		.amdhsa_system_sgpr_workgroup_id_y 0
		.amdhsa_system_sgpr_workgroup_id_z 0
		.amdhsa_system_sgpr_workgroup_info 0
		.amdhsa_system_vgpr_workitem_id 0
		.amdhsa_next_free_vgpr 1
		.amdhsa_next_free_sgpr 0
		.amdhsa_accum_offset 4
		.amdhsa_reserve_vcc 0
		.amdhsa_reserve_flat_scratch 0
		.amdhsa_float_round_mode_32 0
		.amdhsa_float_round_mode_16_64 0
		.amdhsa_float_denorm_mode_32 3
		.amdhsa_float_denorm_mode_16_64 3
		.amdhsa_dx10_clamp 1
		.amdhsa_ieee_mode 1
		.amdhsa_fp16_overflow 0
		.amdhsa_tg_split 0
		.amdhsa_exception_fp_ieee_invalid_op 0
		.amdhsa_exception_fp_denorm_src 0
		.amdhsa_exception_fp_ieee_div_zero 0
		.amdhsa_exception_fp_ieee_overflow 0
		.amdhsa_exception_fp_ieee_underflow 0
		.amdhsa_exception_fp_ieee_inexact 0
		.amdhsa_exception_int_div_zero 0
	.end_amdhsa_kernel
	.section	.text._ZN7rocprim17ROCPRIM_400000_NS6detail17trampoline_kernelINS0_14default_configENS1_25transform_config_selectorItLb0EEEZNS1_14transform_implILb0ES3_S5_PtN6thrust23THRUST_200600_302600_NS6detail15normal_iteratorINS9_10device_ptrItEEEENS0_8identityItEEEE10hipError_tT2_T3_mT4_P12ihipStream_tbEUlT_E_NS1_11comp_targetILNS1_3genE5ELNS1_11target_archE942ELNS1_3gpuE9ELNS1_3repE0EEENS1_30default_config_static_selectorELNS0_4arch9wavefront6targetE1EEEvT1_,"axG",@progbits,_ZN7rocprim17ROCPRIM_400000_NS6detail17trampoline_kernelINS0_14default_configENS1_25transform_config_selectorItLb0EEEZNS1_14transform_implILb0ES3_S5_PtN6thrust23THRUST_200600_302600_NS6detail15normal_iteratorINS9_10device_ptrItEEEENS0_8identityItEEEE10hipError_tT2_T3_mT4_P12ihipStream_tbEUlT_E_NS1_11comp_targetILNS1_3genE5ELNS1_11target_archE942ELNS1_3gpuE9ELNS1_3repE0EEENS1_30default_config_static_selectorELNS0_4arch9wavefront6targetE1EEEvT1_,comdat
.Lfunc_end1255:
	.size	_ZN7rocprim17ROCPRIM_400000_NS6detail17trampoline_kernelINS0_14default_configENS1_25transform_config_selectorItLb0EEEZNS1_14transform_implILb0ES3_S5_PtN6thrust23THRUST_200600_302600_NS6detail15normal_iteratorINS9_10device_ptrItEEEENS0_8identityItEEEE10hipError_tT2_T3_mT4_P12ihipStream_tbEUlT_E_NS1_11comp_targetILNS1_3genE5ELNS1_11target_archE942ELNS1_3gpuE9ELNS1_3repE0EEENS1_30default_config_static_selectorELNS0_4arch9wavefront6targetE1EEEvT1_, .Lfunc_end1255-_ZN7rocprim17ROCPRIM_400000_NS6detail17trampoline_kernelINS0_14default_configENS1_25transform_config_selectorItLb0EEEZNS1_14transform_implILb0ES3_S5_PtN6thrust23THRUST_200600_302600_NS6detail15normal_iteratorINS9_10device_ptrItEEEENS0_8identityItEEEE10hipError_tT2_T3_mT4_P12ihipStream_tbEUlT_E_NS1_11comp_targetILNS1_3genE5ELNS1_11target_archE942ELNS1_3gpuE9ELNS1_3repE0EEENS1_30default_config_static_selectorELNS0_4arch9wavefront6targetE1EEEvT1_
                                        ; -- End function
	.section	.AMDGPU.csdata,"",@progbits
; Kernel info:
; codeLenInByte = 0
; NumSgprs: 4
; NumVgprs: 0
; NumAgprs: 0
; TotalNumVgprs: 0
; ScratchSize: 0
; MemoryBound: 0
; FloatMode: 240
; IeeeMode: 1
; LDSByteSize: 0 bytes/workgroup (compile time only)
; SGPRBlocks: 0
; VGPRBlocks: 0
; NumSGPRsForWavesPerEU: 4
; NumVGPRsForWavesPerEU: 1
; AccumOffset: 4
; Occupancy: 8
; WaveLimiterHint : 0
; COMPUTE_PGM_RSRC2:SCRATCH_EN: 0
; COMPUTE_PGM_RSRC2:USER_SGPR: 6
; COMPUTE_PGM_RSRC2:TRAP_HANDLER: 0
; COMPUTE_PGM_RSRC2:TGID_X_EN: 1
; COMPUTE_PGM_RSRC2:TGID_Y_EN: 0
; COMPUTE_PGM_RSRC2:TGID_Z_EN: 0
; COMPUTE_PGM_RSRC2:TIDIG_COMP_CNT: 0
; COMPUTE_PGM_RSRC3_GFX90A:ACCUM_OFFSET: 0
; COMPUTE_PGM_RSRC3_GFX90A:TG_SPLIT: 0
	.section	.text._ZN7rocprim17ROCPRIM_400000_NS6detail17trampoline_kernelINS0_14default_configENS1_25transform_config_selectorItLb0EEEZNS1_14transform_implILb0ES3_S5_PtN6thrust23THRUST_200600_302600_NS6detail15normal_iteratorINS9_10device_ptrItEEEENS0_8identityItEEEE10hipError_tT2_T3_mT4_P12ihipStream_tbEUlT_E_NS1_11comp_targetILNS1_3genE4ELNS1_11target_archE910ELNS1_3gpuE8ELNS1_3repE0EEENS1_30default_config_static_selectorELNS0_4arch9wavefront6targetE1EEEvT1_,"axG",@progbits,_ZN7rocprim17ROCPRIM_400000_NS6detail17trampoline_kernelINS0_14default_configENS1_25transform_config_selectorItLb0EEEZNS1_14transform_implILb0ES3_S5_PtN6thrust23THRUST_200600_302600_NS6detail15normal_iteratorINS9_10device_ptrItEEEENS0_8identityItEEEE10hipError_tT2_T3_mT4_P12ihipStream_tbEUlT_E_NS1_11comp_targetILNS1_3genE4ELNS1_11target_archE910ELNS1_3gpuE8ELNS1_3repE0EEENS1_30default_config_static_selectorELNS0_4arch9wavefront6targetE1EEEvT1_,comdat
	.protected	_ZN7rocprim17ROCPRIM_400000_NS6detail17trampoline_kernelINS0_14default_configENS1_25transform_config_selectorItLb0EEEZNS1_14transform_implILb0ES3_S5_PtN6thrust23THRUST_200600_302600_NS6detail15normal_iteratorINS9_10device_ptrItEEEENS0_8identityItEEEE10hipError_tT2_T3_mT4_P12ihipStream_tbEUlT_E_NS1_11comp_targetILNS1_3genE4ELNS1_11target_archE910ELNS1_3gpuE8ELNS1_3repE0EEENS1_30default_config_static_selectorELNS0_4arch9wavefront6targetE1EEEvT1_ ; -- Begin function _ZN7rocprim17ROCPRIM_400000_NS6detail17trampoline_kernelINS0_14default_configENS1_25transform_config_selectorItLb0EEEZNS1_14transform_implILb0ES3_S5_PtN6thrust23THRUST_200600_302600_NS6detail15normal_iteratorINS9_10device_ptrItEEEENS0_8identityItEEEE10hipError_tT2_T3_mT4_P12ihipStream_tbEUlT_E_NS1_11comp_targetILNS1_3genE4ELNS1_11target_archE910ELNS1_3gpuE8ELNS1_3repE0EEENS1_30default_config_static_selectorELNS0_4arch9wavefront6targetE1EEEvT1_
	.globl	_ZN7rocprim17ROCPRIM_400000_NS6detail17trampoline_kernelINS0_14default_configENS1_25transform_config_selectorItLb0EEEZNS1_14transform_implILb0ES3_S5_PtN6thrust23THRUST_200600_302600_NS6detail15normal_iteratorINS9_10device_ptrItEEEENS0_8identityItEEEE10hipError_tT2_T3_mT4_P12ihipStream_tbEUlT_E_NS1_11comp_targetILNS1_3genE4ELNS1_11target_archE910ELNS1_3gpuE8ELNS1_3repE0EEENS1_30default_config_static_selectorELNS0_4arch9wavefront6targetE1EEEvT1_
	.p2align	8
	.type	_ZN7rocprim17ROCPRIM_400000_NS6detail17trampoline_kernelINS0_14default_configENS1_25transform_config_selectorItLb0EEEZNS1_14transform_implILb0ES3_S5_PtN6thrust23THRUST_200600_302600_NS6detail15normal_iteratorINS9_10device_ptrItEEEENS0_8identityItEEEE10hipError_tT2_T3_mT4_P12ihipStream_tbEUlT_E_NS1_11comp_targetILNS1_3genE4ELNS1_11target_archE910ELNS1_3gpuE8ELNS1_3repE0EEENS1_30default_config_static_selectorELNS0_4arch9wavefront6targetE1EEEvT1_,@function
_ZN7rocprim17ROCPRIM_400000_NS6detail17trampoline_kernelINS0_14default_configENS1_25transform_config_selectorItLb0EEEZNS1_14transform_implILb0ES3_S5_PtN6thrust23THRUST_200600_302600_NS6detail15normal_iteratorINS9_10device_ptrItEEEENS0_8identityItEEEE10hipError_tT2_T3_mT4_P12ihipStream_tbEUlT_E_NS1_11comp_targetILNS1_3genE4ELNS1_11target_archE910ELNS1_3gpuE8ELNS1_3repE0EEENS1_30default_config_static_selectorELNS0_4arch9wavefront6targetE1EEEvT1_: ; @_ZN7rocprim17ROCPRIM_400000_NS6detail17trampoline_kernelINS0_14default_configENS1_25transform_config_selectorItLb0EEEZNS1_14transform_implILb0ES3_S5_PtN6thrust23THRUST_200600_302600_NS6detail15normal_iteratorINS9_10device_ptrItEEEENS0_8identityItEEEE10hipError_tT2_T3_mT4_P12ihipStream_tbEUlT_E_NS1_11comp_targetILNS1_3genE4ELNS1_11target_archE910ELNS1_3gpuE8ELNS1_3repE0EEENS1_30default_config_static_selectorELNS0_4arch9wavefront6targetE1EEEvT1_
; %bb.0:
	s_load_dwordx8 s[8:15], s[4:5], 0x0
	s_load_dword s2, s[4:5], 0x28
	v_lshlrev_b32_e32 v8, 1, v0
	s_waitcnt lgkmcnt(0)
	s_lshl_b64 s[0:1], s[10:11], 1
	s_add_u32 s3, s8, s0
	s_addc_u32 s4, s9, s1
	s_add_u32 s22, s14, s0
	s_addc_u32 s23, s15, s1
	s_lshl_b32 s0, s6, 9
	s_mov_b32 s1, 0
	s_add_i32 s2, s2, -1
	s_lshl_b64 s[18:19], s[0:1], 1
	s_add_u32 s20, s3, s18
	s_addc_u32 s21, s4, s19
	s_cmp_lg_u32 s6, s2
	s_cbranch_scc0 .LBB1256_2
; %bb.1:
	global_load_ushort v2, v8, s[20:21]
	global_load_ushort v3, v8, s[20:21] offset:128
	global_load_ushort v4, v8, s[20:21] offset:256
	;; [unrolled: 1-line block ×7, first 2 shown]
	s_add_u32 s1, s22, s18
	s_addc_u32 s4, s23, s19
	v_mov_b32_e32 v7, s4
	v_add_co_u32_e32 v6, vcc, s1, v8
	v_addc_co_u32_e32 v7, vcc, 0, v7, vcc
	s_mov_b64 s[16:17], -1
	s_waitcnt vmcnt(7)
	flat_store_short v[6:7], v2
	s_waitcnt vmcnt(0)
	flat_store_short v[6:7], v3 offset:128
	flat_store_short v[6:7], v4 offset:256
	;; [unrolled: 1-line block ×6, first 2 shown]
	s_cbranch_execz .LBB1256_3
	s_branch .LBB1256_34
.LBB1256_2:
	s_mov_b64 s[16:17], 0
                                        ; implicit-def: $vgpr1
                                        ; implicit-def: $vgpr6_vgpr7
.LBB1256_3:
	s_sub_i32 s14, s12, s0
	v_cmp_gt_u32_e32 vcc, s14, v0
                                        ; implicit-def: $vgpr2_vgpr3_vgpr4_vgpr5
	s_and_saveexec_b64 s[0:1], vcc
	s_cbranch_execz .LBB1256_5
; %bb.4:
	global_load_ushort v2, v8, s[20:21]
.LBB1256_5:
	s_or_b64 exec, exec, s[0:1]
	v_or_b32_e32 v1, 64, v0
	v_cmp_gt_u32_e64 s[0:1], s14, v1
	s_and_saveexec_b64 s[2:3], s[0:1]
	s_cbranch_execz .LBB1256_7
; %bb.6:
	global_load_ushort v1, v8, s[20:21] offset:128
	s_mov_b32 s4, 0x5040100
	s_waitcnt vmcnt(0)
	v_perm_b32 v2, v1, v2, s4
.LBB1256_7:
	s_or_b64 exec, exec, s[2:3]
	v_or_b32_e32 v1, 0x80, v0
	v_cmp_gt_u32_e64 s[2:3], s14, v1
	s_and_saveexec_b64 s[4:5], s[2:3]
	s_cbranch_execz .LBB1256_9
; %bb.8:
	global_load_ushort v1, v8, s[20:21] offset:256
	s_mov_b32 s6, 0xffff
	s_waitcnt vmcnt(0)
	v_bfi_b32 v3, s6, v1, v3
.LBB1256_9:
	s_or_b64 exec, exec, s[4:5]
	v_or_b32_e32 v1, 0xc0, v0
	v_cmp_gt_u32_e64 s[4:5], s14, v1
	s_and_saveexec_b64 s[6:7], s[4:5]
	s_cbranch_execz .LBB1256_11
; %bb.10:
	global_load_ushort v1, v8, s[20:21] offset:384
	s_mov_b32 s8, 0x5040100
	s_waitcnt vmcnt(0)
	v_perm_b32 v3, v1, v3, s8
.LBB1256_11:
	s_or_b64 exec, exec, s[6:7]
	v_or_b32_e32 v1, 0x100, v0
	v_cmp_gt_u32_e64 s[6:7], s14, v1
	s_and_saveexec_b64 s[8:9], s[6:7]
	s_cbranch_execz .LBB1256_13
; %bb.12:
	global_load_ushort v1, v8, s[20:21] offset:512
	s_mov_b32 s10, 0xffff
	s_waitcnt vmcnt(0)
	v_bfi_b32 v4, s10, v1, v4
.LBB1256_13:
	;; [unrolled: 22-line block ×3, first 2 shown]
	s_or_b64 exec, exec, s[12:13]
	v_or_b32_e32 v1, 0x1c0, v0
	v_cmp_gt_u32_e64 s[12:13], s14, v1
	v_cmp_le_u32_e64 s[14:15], s14, v1
	s_and_saveexec_b64 s[24:25], s[14:15]
	s_xor_b64 s[14:15], exec, s[24:25]
; %bb.18:
	v_mov_b32_e32 v1, 0
                                        ; implicit-def: $vgpr8
; %bb.19:
	s_andn2_saveexec_b64 s[14:15], s[14:15]
	s_cbranch_execz .LBB1256_21
; %bb.20:
	global_load_ushort v6, v8, s[20:21] offset:896
	s_mov_b32 s20, 0x5040100
	v_mov_b32_e32 v1, 0
	s_waitcnt vmcnt(0)
	v_perm_b32 v5, v6, v5, s20
.LBB1256_21:
	s_or_b64 exec, exec, s[14:15]
	s_add_u32 s14, s22, s18
	s_addc_u32 s15, s23, s19
	v_lshlrev_b64 v[0:1], 1, v[0:1]
	v_mov_b32_e32 v7, s15
	v_add_co_u32_e64 v6, s[14:15], s14, v0
	v_addc_co_u32_e64 v7, s[14:15], v7, v1, s[14:15]
	s_and_saveexec_b64 s[14:15], vcc
	s_cbranch_execnz .LBB1256_37
; %bb.22:
	s_or_b64 exec, exec, s[14:15]
	s_and_saveexec_b64 s[14:15], s[0:1]
	s_cbranch_execnz .LBB1256_38
.LBB1256_23:
	s_or_b64 exec, exec, s[14:15]
	s_mov_b32 s14, 0xffff
	s_and_saveexec_b64 s[0:1], s[2:3]
	s_cbranch_execz .LBB1256_25
.LBB1256_24:
	flat_store_short v[6:7], v3 offset:256
.LBB1256_25:
	s_or_b64 exec, exec, s[0:1]
	v_bfi_b32 v0, s14, v3, v3
	v_cndmask_b32_e64 v0, v0, v3, s[4:5]
	s_and_saveexec_b64 s[0:1], s[4:5]
	s_cbranch_execz .LBB1256_27
; %bb.26:
	flat_store_short_d16_hi v[6:7], v0 offset:384
.LBB1256_27:
	s_or_b64 exec, exec, s[0:1]
	s_mov_b32 s2, 0xffff
	v_cndmask_b32_e64 v0, v4, v4, s[6:7]
	s_and_saveexec_b64 s[0:1], s[6:7]
	s_cbranch_execz .LBB1256_29
; %bb.28:
	flat_store_short v[6:7], v0 offset:512
.LBB1256_29:
	s_or_b64 exec, exec, s[0:1]
	v_bfi_b32 v0, s2, v0, v4
	v_cndmask_b32_e64 v0, v0, v4, s[8:9]
	s_and_saveexec_b64 s[0:1], s[8:9]
	s_cbranch_execnz .LBB1256_39
; %bb.30:
	s_or_b64 exec, exec, s[0:1]
	s_and_saveexec_b64 s[0:1], s[10:11]
	s_cbranch_execnz .LBB1256_40
.LBB1256_31:
	s_or_b64 exec, exec, s[0:1]
                                        ; implicit-def: $vgpr1
	s_and_saveexec_b64 s[0:1], s[12:13]
.LBB1256_32:
	v_cndmask_b32_e64 v0, v5, v5, s[12:13]
	v_lshrrev_b32_e32 v1, 16, v0
	s_or_b64 s[16:17], s[16:17], exec
.LBB1256_33:
	s_or_b64 exec, exec, s[0:1]
.LBB1256_34:
	s_and_saveexec_b64 s[0:1], s[16:17]
	s_cbranch_execnz .LBB1256_36
; %bb.35:
	s_endpgm
.LBB1256_36:
	flat_store_short v[6:7], v1 offset:896
	s_endpgm
.LBB1256_37:
	s_waitcnt vmcnt(0)
	flat_store_short v[6:7], v2
	s_or_b64 exec, exec, s[14:15]
	s_and_saveexec_b64 s[14:15], s[0:1]
	s_cbranch_execz .LBB1256_23
.LBB1256_38:
	s_waitcnt vmcnt(0)
	flat_store_short_d16_hi v[6:7], v2 offset:128
	s_or_b64 exec, exec, s[14:15]
	s_mov_b32 s14, 0xffff
	s_and_saveexec_b64 s[0:1], s[2:3]
	s_cbranch_execnz .LBB1256_24
	s_branch .LBB1256_25
.LBB1256_39:
	flat_store_short_d16_hi v[6:7], v0 offset:640
	s_or_b64 exec, exec, s[0:1]
	s_and_saveexec_b64 s[0:1], s[10:11]
	s_cbranch_execz .LBB1256_31
.LBB1256_40:
	v_cndmask_b32_e64 v0, v5, v5, s[10:11]
	flat_store_short v[6:7], v0 offset:768
	s_or_b64 exec, exec, s[0:1]
                                        ; implicit-def: $vgpr1
	s_and_saveexec_b64 s[0:1], s[12:13]
	s_cbranch_execnz .LBB1256_32
	s_branch .LBB1256_33
	.section	.rodata,"a",@progbits
	.p2align	6, 0x0
	.amdhsa_kernel _ZN7rocprim17ROCPRIM_400000_NS6detail17trampoline_kernelINS0_14default_configENS1_25transform_config_selectorItLb0EEEZNS1_14transform_implILb0ES3_S5_PtN6thrust23THRUST_200600_302600_NS6detail15normal_iteratorINS9_10device_ptrItEEEENS0_8identityItEEEE10hipError_tT2_T3_mT4_P12ihipStream_tbEUlT_E_NS1_11comp_targetILNS1_3genE4ELNS1_11target_archE910ELNS1_3gpuE8ELNS1_3repE0EEENS1_30default_config_static_selectorELNS0_4arch9wavefront6targetE1EEEvT1_
		.amdhsa_group_segment_fixed_size 0
		.amdhsa_private_segment_fixed_size 0
		.amdhsa_kernarg_size 296
		.amdhsa_user_sgpr_count 6
		.amdhsa_user_sgpr_private_segment_buffer 1
		.amdhsa_user_sgpr_dispatch_ptr 0
		.amdhsa_user_sgpr_queue_ptr 0
		.amdhsa_user_sgpr_kernarg_segment_ptr 1
		.amdhsa_user_sgpr_dispatch_id 0
		.amdhsa_user_sgpr_flat_scratch_init 0
		.amdhsa_user_sgpr_kernarg_preload_length 0
		.amdhsa_user_sgpr_kernarg_preload_offset 0
		.amdhsa_user_sgpr_private_segment_size 0
		.amdhsa_uses_dynamic_stack 0
		.amdhsa_system_sgpr_private_segment_wavefront_offset 0
		.amdhsa_system_sgpr_workgroup_id_x 1
		.amdhsa_system_sgpr_workgroup_id_y 0
		.amdhsa_system_sgpr_workgroup_id_z 0
		.amdhsa_system_sgpr_workgroup_info 0
		.amdhsa_system_vgpr_workitem_id 0
		.amdhsa_next_free_vgpr 12
		.amdhsa_next_free_sgpr 26
		.amdhsa_accum_offset 12
		.amdhsa_reserve_vcc 1
		.amdhsa_reserve_flat_scratch 0
		.amdhsa_float_round_mode_32 0
		.amdhsa_float_round_mode_16_64 0
		.amdhsa_float_denorm_mode_32 3
		.amdhsa_float_denorm_mode_16_64 3
		.amdhsa_dx10_clamp 1
		.amdhsa_ieee_mode 1
		.amdhsa_fp16_overflow 0
		.amdhsa_tg_split 0
		.amdhsa_exception_fp_ieee_invalid_op 0
		.amdhsa_exception_fp_denorm_src 0
		.amdhsa_exception_fp_ieee_div_zero 0
		.amdhsa_exception_fp_ieee_overflow 0
		.amdhsa_exception_fp_ieee_underflow 0
		.amdhsa_exception_fp_ieee_inexact 0
		.amdhsa_exception_int_div_zero 0
	.end_amdhsa_kernel
	.section	.text._ZN7rocprim17ROCPRIM_400000_NS6detail17trampoline_kernelINS0_14default_configENS1_25transform_config_selectorItLb0EEEZNS1_14transform_implILb0ES3_S5_PtN6thrust23THRUST_200600_302600_NS6detail15normal_iteratorINS9_10device_ptrItEEEENS0_8identityItEEEE10hipError_tT2_T3_mT4_P12ihipStream_tbEUlT_E_NS1_11comp_targetILNS1_3genE4ELNS1_11target_archE910ELNS1_3gpuE8ELNS1_3repE0EEENS1_30default_config_static_selectorELNS0_4arch9wavefront6targetE1EEEvT1_,"axG",@progbits,_ZN7rocprim17ROCPRIM_400000_NS6detail17trampoline_kernelINS0_14default_configENS1_25transform_config_selectorItLb0EEEZNS1_14transform_implILb0ES3_S5_PtN6thrust23THRUST_200600_302600_NS6detail15normal_iteratorINS9_10device_ptrItEEEENS0_8identityItEEEE10hipError_tT2_T3_mT4_P12ihipStream_tbEUlT_E_NS1_11comp_targetILNS1_3genE4ELNS1_11target_archE910ELNS1_3gpuE8ELNS1_3repE0EEENS1_30default_config_static_selectorELNS0_4arch9wavefront6targetE1EEEvT1_,comdat
.Lfunc_end1256:
	.size	_ZN7rocprim17ROCPRIM_400000_NS6detail17trampoline_kernelINS0_14default_configENS1_25transform_config_selectorItLb0EEEZNS1_14transform_implILb0ES3_S5_PtN6thrust23THRUST_200600_302600_NS6detail15normal_iteratorINS9_10device_ptrItEEEENS0_8identityItEEEE10hipError_tT2_T3_mT4_P12ihipStream_tbEUlT_E_NS1_11comp_targetILNS1_3genE4ELNS1_11target_archE910ELNS1_3gpuE8ELNS1_3repE0EEENS1_30default_config_static_selectorELNS0_4arch9wavefront6targetE1EEEvT1_, .Lfunc_end1256-_ZN7rocprim17ROCPRIM_400000_NS6detail17trampoline_kernelINS0_14default_configENS1_25transform_config_selectorItLb0EEEZNS1_14transform_implILb0ES3_S5_PtN6thrust23THRUST_200600_302600_NS6detail15normal_iteratorINS9_10device_ptrItEEEENS0_8identityItEEEE10hipError_tT2_T3_mT4_P12ihipStream_tbEUlT_E_NS1_11comp_targetILNS1_3genE4ELNS1_11target_archE910ELNS1_3gpuE8ELNS1_3repE0EEENS1_30default_config_static_selectorELNS0_4arch9wavefront6targetE1EEEvT1_
                                        ; -- End function
	.section	.AMDGPU.csdata,"",@progbits
; Kernel info:
; codeLenInByte = 1040
; NumSgprs: 30
; NumVgprs: 12
; NumAgprs: 0
; TotalNumVgprs: 12
; ScratchSize: 0
; MemoryBound: 0
; FloatMode: 240
; IeeeMode: 1
; LDSByteSize: 0 bytes/workgroup (compile time only)
; SGPRBlocks: 3
; VGPRBlocks: 1
; NumSGPRsForWavesPerEU: 30
; NumVGPRsForWavesPerEU: 12
; AccumOffset: 12
; Occupancy: 8
; WaveLimiterHint : 1
; COMPUTE_PGM_RSRC2:SCRATCH_EN: 0
; COMPUTE_PGM_RSRC2:USER_SGPR: 6
; COMPUTE_PGM_RSRC2:TRAP_HANDLER: 0
; COMPUTE_PGM_RSRC2:TGID_X_EN: 1
; COMPUTE_PGM_RSRC2:TGID_Y_EN: 0
; COMPUTE_PGM_RSRC2:TGID_Z_EN: 0
; COMPUTE_PGM_RSRC2:TIDIG_COMP_CNT: 0
; COMPUTE_PGM_RSRC3_GFX90A:ACCUM_OFFSET: 2
; COMPUTE_PGM_RSRC3_GFX90A:TG_SPLIT: 0
	.section	.text._ZN7rocprim17ROCPRIM_400000_NS6detail17trampoline_kernelINS0_14default_configENS1_25transform_config_selectorItLb0EEEZNS1_14transform_implILb0ES3_S5_PtN6thrust23THRUST_200600_302600_NS6detail15normal_iteratorINS9_10device_ptrItEEEENS0_8identityItEEEE10hipError_tT2_T3_mT4_P12ihipStream_tbEUlT_E_NS1_11comp_targetILNS1_3genE3ELNS1_11target_archE908ELNS1_3gpuE7ELNS1_3repE0EEENS1_30default_config_static_selectorELNS0_4arch9wavefront6targetE1EEEvT1_,"axG",@progbits,_ZN7rocprim17ROCPRIM_400000_NS6detail17trampoline_kernelINS0_14default_configENS1_25transform_config_selectorItLb0EEEZNS1_14transform_implILb0ES3_S5_PtN6thrust23THRUST_200600_302600_NS6detail15normal_iteratorINS9_10device_ptrItEEEENS0_8identityItEEEE10hipError_tT2_T3_mT4_P12ihipStream_tbEUlT_E_NS1_11comp_targetILNS1_3genE3ELNS1_11target_archE908ELNS1_3gpuE7ELNS1_3repE0EEENS1_30default_config_static_selectorELNS0_4arch9wavefront6targetE1EEEvT1_,comdat
	.protected	_ZN7rocprim17ROCPRIM_400000_NS6detail17trampoline_kernelINS0_14default_configENS1_25transform_config_selectorItLb0EEEZNS1_14transform_implILb0ES3_S5_PtN6thrust23THRUST_200600_302600_NS6detail15normal_iteratorINS9_10device_ptrItEEEENS0_8identityItEEEE10hipError_tT2_T3_mT4_P12ihipStream_tbEUlT_E_NS1_11comp_targetILNS1_3genE3ELNS1_11target_archE908ELNS1_3gpuE7ELNS1_3repE0EEENS1_30default_config_static_selectorELNS0_4arch9wavefront6targetE1EEEvT1_ ; -- Begin function _ZN7rocprim17ROCPRIM_400000_NS6detail17trampoline_kernelINS0_14default_configENS1_25transform_config_selectorItLb0EEEZNS1_14transform_implILb0ES3_S5_PtN6thrust23THRUST_200600_302600_NS6detail15normal_iteratorINS9_10device_ptrItEEEENS0_8identityItEEEE10hipError_tT2_T3_mT4_P12ihipStream_tbEUlT_E_NS1_11comp_targetILNS1_3genE3ELNS1_11target_archE908ELNS1_3gpuE7ELNS1_3repE0EEENS1_30default_config_static_selectorELNS0_4arch9wavefront6targetE1EEEvT1_
	.globl	_ZN7rocprim17ROCPRIM_400000_NS6detail17trampoline_kernelINS0_14default_configENS1_25transform_config_selectorItLb0EEEZNS1_14transform_implILb0ES3_S5_PtN6thrust23THRUST_200600_302600_NS6detail15normal_iteratorINS9_10device_ptrItEEEENS0_8identityItEEEE10hipError_tT2_T3_mT4_P12ihipStream_tbEUlT_E_NS1_11comp_targetILNS1_3genE3ELNS1_11target_archE908ELNS1_3gpuE7ELNS1_3repE0EEENS1_30default_config_static_selectorELNS0_4arch9wavefront6targetE1EEEvT1_
	.p2align	8
	.type	_ZN7rocprim17ROCPRIM_400000_NS6detail17trampoline_kernelINS0_14default_configENS1_25transform_config_selectorItLb0EEEZNS1_14transform_implILb0ES3_S5_PtN6thrust23THRUST_200600_302600_NS6detail15normal_iteratorINS9_10device_ptrItEEEENS0_8identityItEEEE10hipError_tT2_T3_mT4_P12ihipStream_tbEUlT_E_NS1_11comp_targetILNS1_3genE3ELNS1_11target_archE908ELNS1_3gpuE7ELNS1_3repE0EEENS1_30default_config_static_selectorELNS0_4arch9wavefront6targetE1EEEvT1_,@function
_ZN7rocprim17ROCPRIM_400000_NS6detail17trampoline_kernelINS0_14default_configENS1_25transform_config_selectorItLb0EEEZNS1_14transform_implILb0ES3_S5_PtN6thrust23THRUST_200600_302600_NS6detail15normal_iteratorINS9_10device_ptrItEEEENS0_8identityItEEEE10hipError_tT2_T3_mT4_P12ihipStream_tbEUlT_E_NS1_11comp_targetILNS1_3genE3ELNS1_11target_archE908ELNS1_3gpuE7ELNS1_3repE0EEENS1_30default_config_static_selectorELNS0_4arch9wavefront6targetE1EEEvT1_: ; @_ZN7rocprim17ROCPRIM_400000_NS6detail17trampoline_kernelINS0_14default_configENS1_25transform_config_selectorItLb0EEEZNS1_14transform_implILb0ES3_S5_PtN6thrust23THRUST_200600_302600_NS6detail15normal_iteratorINS9_10device_ptrItEEEENS0_8identityItEEEE10hipError_tT2_T3_mT4_P12ihipStream_tbEUlT_E_NS1_11comp_targetILNS1_3genE3ELNS1_11target_archE908ELNS1_3gpuE7ELNS1_3repE0EEENS1_30default_config_static_selectorELNS0_4arch9wavefront6targetE1EEEvT1_
; %bb.0:
	.section	.rodata,"a",@progbits
	.p2align	6, 0x0
	.amdhsa_kernel _ZN7rocprim17ROCPRIM_400000_NS6detail17trampoline_kernelINS0_14default_configENS1_25transform_config_selectorItLb0EEEZNS1_14transform_implILb0ES3_S5_PtN6thrust23THRUST_200600_302600_NS6detail15normal_iteratorINS9_10device_ptrItEEEENS0_8identityItEEEE10hipError_tT2_T3_mT4_P12ihipStream_tbEUlT_E_NS1_11comp_targetILNS1_3genE3ELNS1_11target_archE908ELNS1_3gpuE7ELNS1_3repE0EEENS1_30default_config_static_selectorELNS0_4arch9wavefront6targetE1EEEvT1_
		.amdhsa_group_segment_fixed_size 0
		.amdhsa_private_segment_fixed_size 0
		.amdhsa_kernarg_size 40
		.amdhsa_user_sgpr_count 6
		.amdhsa_user_sgpr_private_segment_buffer 1
		.amdhsa_user_sgpr_dispatch_ptr 0
		.amdhsa_user_sgpr_queue_ptr 0
		.amdhsa_user_sgpr_kernarg_segment_ptr 1
		.amdhsa_user_sgpr_dispatch_id 0
		.amdhsa_user_sgpr_flat_scratch_init 0
		.amdhsa_user_sgpr_kernarg_preload_length 0
		.amdhsa_user_sgpr_kernarg_preload_offset 0
		.amdhsa_user_sgpr_private_segment_size 0
		.amdhsa_uses_dynamic_stack 0
		.amdhsa_system_sgpr_private_segment_wavefront_offset 0
		.amdhsa_system_sgpr_workgroup_id_x 1
		.amdhsa_system_sgpr_workgroup_id_y 0
		.amdhsa_system_sgpr_workgroup_id_z 0
		.amdhsa_system_sgpr_workgroup_info 0
		.amdhsa_system_vgpr_workitem_id 0
		.amdhsa_next_free_vgpr 1
		.amdhsa_next_free_sgpr 0
		.amdhsa_accum_offset 4
		.amdhsa_reserve_vcc 0
		.amdhsa_reserve_flat_scratch 0
		.amdhsa_float_round_mode_32 0
		.amdhsa_float_round_mode_16_64 0
		.amdhsa_float_denorm_mode_32 3
		.amdhsa_float_denorm_mode_16_64 3
		.amdhsa_dx10_clamp 1
		.amdhsa_ieee_mode 1
		.amdhsa_fp16_overflow 0
		.amdhsa_tg_split 0
		.amdhsa_exception_fp_ieee_invalid_op 0
		.amdhsa_exception_fp_denorm_src 0
		.amdhsa_exception_fp_ieee_div_zero 0
		.amdhsa_exception_fp_ieee_overflow 0
		.amdhsa_exception_fp_ieee_underflow 0
		.amdhsa_exception_fp_ieee_inexact 0
		.amdhsa_exception_int_div_zero 0
	.end_amdhsa_kernel
	.section	.text._ZN7rocprim17ROCPRIM_400000_NS6detail17trampoline_kernelINS0_14default_configENS1_25transform_config_selectorItLb0EEEZNS1_14transform_implILb0ES3_S5_PtN6thrust23THRUST_200600_302600_NS6detail15normal_iteratorINS9_10device_ptrItEEEENS0_8identityItEEEE10hipError_tT2_T3_mT4_P12ihipStream_tbEUlT_E_NS1_11comp_targetILNS1_3genE3ELNS1_11target_archE908ELNS1_3gpuE7ELNS1_3repE0EEENS1_30default_config_static_selectorELNS0_4arch9wavefront6targetE1EEEvT1_,"axG",@progbits,_ZN7rocprim17ROCPRIM_400000_NS6detail17trampoline_kernelINS0_14default_configENS1_25transform_config_selectorItLb0EEEZNS1_14transform_implILb0ES3_S5_PtN6thrust23THRUST_200600_302600_NS6detail15normal_iteratorINS9_10device_ptrItEEEENS0_8identityItEEEE10hipError_tT2_T3_mT4_P12ihipStream_tbEUlT_E_NS1_11comp_targetILNS1_3genE3ELNS1_11target_archE908ELNS1_3gpuE7ELNS1_3repE0EEENS1_30default_config_static_selectorELNS0_4arch9wavefront6targetE1EEEvT1_,comdat
.Lfunc_end1257:
	.size	_ZN7rocprim17ROCPRIM_400000_NS6detail17trampoline_kernelINS0_14default_configENS1_25transform_config_selectorItLb0EEEZNS1_14transform_implILb0ES3_S5_PtN6thrust23THRUST_200600_302600_NS6detail15normal_iteratorINS9_10device_ptrItEEEENS0_8identityItEEEE10hipError_tT2_T3_mT4_P12ihipStream_tbEUlT_E_NS1_11comp_targetILNS1_3genE3ELNS1_11target_archE908ELNS1_3gpuE7ELNS1_3repE0EEENS1_30default_config_static_selectorELNS0_4arch9wavefront6targetE1EEEvT1_, .Lfunc_end1257-_ZN7rocprim17ROCPRIM_400000_NS6detail17trampoline_kernelINS0_14default_configENS1_25transform_config_selectorItLb0EEEZNS1_14transform_implILb0ES3_S5_PtN6thrust23THRUST_200600_302600_NS6detail15normal_iteratorINS9_10device_ptrItEEEENS0_8identityItEEEE10hipError_tT2_T3_mT4_P12ihipStream_tbEUlT_E_NS1_11comp_targetILNS1_3genE3ELNS1_11target_archE908ELNS1_3gpuE7ELNS1_3repE0EEENS1_30default_config_static_selectorELNS0_4arch9wavefront6targetE1EEEvT1_
                                        ; -- End function
	.section	.AMDGPU.csdata,"",@progbits
; Kernel info:
; codeLenInByte = 0
; NumSgprs: 4
; NumVgprs: 0
; NumAgprs: 0
; TotalNumVgprs: 0
; ScratchSize: 0
; MemoryBound: 0
; FloatMode: 240
; IeeeMode: 1
; LDSByteSize: 0 bytes/workgroup (compile time only)
; SGPRBlocks: 0
; VGPRBlocks: 0
; NumSGPRsForWavesPerEU: 4
; NumVGPRsForWavesPerEU: 1
; AccumOffset: 4
; Occupancy: 8
; WaveLimiterHint : 0
; COMPUTE_PGM_RSRC2:SCRATCH_EN: 0
; COMPUTE_PGM_RSRC2:USER_SGPR: 6
; COMPUTE_PGM_RSRC2:TRAP_HANDLER: 0
; COMPUTE_PGM_RSRC2:TGID_X_EN: 1
; COMPUTE_PGM_RSRC2:TGID_Y_EN: 0
; COMPUTE_PGM_RSRC2:TGID_Z_EN: 0
; COMPUTE_PGM_RSRC2:TIDIG_COMP_CNT: 0
; COMPUTE_PGM_RSRC3_GFX90A:ACCUM_OFFSET: 0
; COMPUTE_PGM_RSRC3_GFX90A:TG_SPLIT: 0
	.section	.text._ZN7rocprim17ROCPRIM_400000_NS6detail17trampoline_kernelINS0_14default_configENS1_25transform_config_selectorItLb0EEEZNS1_14transform_implILb0ES3_S5_PtN6thrust23THRUST_200600_302600_NS6detail15normal_iteratorINS9_10device_ptrItEEEENS0_8identityItEEEE10hipError_tT2_T3_mT4_P12ihipStream_tbEUlT_E_NS1_11comp_targetILNS1_3genE2ELNS1_11target_archE906ELNS1_3gpuE6ELNS1_3repE0EEENS1_30default_config_static_selectorELNS0_4arch9wavefront6targetE1EEEvT1_,"axG",@progbits,_ZN7rocprim17ROCPRIM_400000_NS6detail17trampoline_kernelINS0_14default_configENS1_25transform_config_selectorItLb0EEEZNS1_14transform_implILb0ES3_S5_PtN6thrust23THRUST_200600_302600_NS6detail15normal_iteratorINS9_10device_ptrItEEEENS0_8identityItEEEE10hipError_tT2_T3_mT4_P12ihipStream_tbEUlT_E_NS1_11comp_targetILNS1_3genE2ELNS1_11target_archE906ELNS1_3gpuE6ELNS1_3repE0EEENS1_30default_config_static_selectorELNS0_4arch9wavefront6targetE1EEEvT1_,comdat
	.protected	_ZN7rocprim17ROCPRIM_400000_NS6detail17trampoline_kernelINS0_14default_configENS1_25transform_config_selectorItLb0EEEZNS1_14transform_implILb0ES3_S5_PtN6thrust23THRUST_200600_302600_NS6detail15normal_iteratorINS9_10device_ptrItEEEENS0_8identityItEEEE10hipError_tT2_T3_mT4_P12ihipStream_tbEUlT_E_NS1_11comp_targetILNS1_3genE2ELNS1_11target_archE906ELNS1_3gpuE6ELNS1_3repE0EEENS1_30default_config_static_selectorELNS0_4arch9wavefront6targetE1EEEvT1_ ; -- Begin function _ZN7rocprim17ROCPRIM_400000_NS6detail17trampoline_kernelINS0_14default_configENS1_25transform_config_selectorItLb0EEEZNS1_14transform_implILb0ES3_S5_PtN6thrust23THRUST_200600_302600_NS6detail15normal_iteratorINS9_10device_ptrItEEEENS0_8identityItEEEE10hipError_tT2_T3_mT4_P12ihipStream_tbEUlT_E_NS1_11comp_targetILNS1_3genE2ELNS1_11target_archE906ELNS1_3gpuE6ELNS1_3repE0EEENS1_30default_config_static_selectorELNS0_4arch9wavefront6targetE1EEEvT1_
	.globl	_ZN7rocprim17ROCPRIM_400000_NS6detail17trampoline_kernelINS0_14default_configENS1_25transform_config_selectorItLb0EEEZNS1_14transform_implILb0ES3_S5_PtN6thrust23THRUST_200600_302600_NS6detail15normal_iteratorINS9_10device_ptrItEEEENS0_8identityItEEEE10hipError_tT2_T3_mT4_P12ihipStream_tbEUlT_E_NS1_11comp_targetILNS1_3genE2ELNS1_11target_archE906ELNS1_3gpuE6ELNS1_3repE0EEENS1_30default_config_static_selectorELNS0_4arch9wavefront6targetE1EEEvT1_
	.p2align	8
	.type	_ZN7rocprim17ROCPRIM_400000_NS6detail17trampoline_kernelINS0_14default_configENS1_25transform_config_selectorItLb0EEEZNS1_14transform_implILb0ES3_S5_PtN6thrust23THRUST_200600_302600_NS6detail15normal_iteratorINS9_10device_ptrItEEEENS0_8identityItEEEE10hipError_tT2_T3_mT4_P12ihipStream_tbEUlT_E_NS1_11comp_targetILNS1_3genE2ELNS1_11target_archE906ELNS1_3gpuE6ELNS1_3repE0EEENS1_30default_config_static_selectorELNS0_4arch9wavefront6targetE1EEEvT1_,@function
_ZN7rocprim17ROCPRIM_400000_NS6detail17trampoline_kernelINS0_14default_configENS1_25transform_config_selectorItLb0EEEZNS1_14transform_implILb0ES3_S5_PtN6thrust23THRUST_200600_302600_NS6detail15normal_iteratorINS9_10device_ptrItEEEENS0_8identityItEEEE10hipError_tT2_T3_mT4_P12ihipStream_tbEUlT_E_NS1_11comp_targetILNS1_3genE2ELNS1_11target_archE906ELNS1_3gpuE6ELNS1_3repE0EEENS1_30default_config_static_selectorELNS0_4arch9wavefront6targetE1EEEvT1_: ; @_ZN7rocprim17ROCPRIM_400000_NS6detail17trampoline_kernelINS0_14default_configENS1_25transform_config_selectorItLb0EEEZNS1_14transform_implILb0ES3_S5_PtN6thrust23THRUST_200600_302600_NS6detail15normal_iteratorINS9_10device_ptrItEEEENS0_8identityItEEEE10hipError_tT2_T3_mT4_P12ihipStream_tbEUlT_E_NS1_11comp_targetILNS1_3genE2ELNS1_11target_archE906ELNS1_3gpuE6ELNS1_3repE0EEENS1_30default_config_static_selectorELNS0_4arch9wavefront6targetE1EEEvT1_
; %bb.0:
	.section	.rodata,"a",@progbits
	.p2align	6, 0x0
	.amdhsa_kernel _ZN7rocprim17ROCPRIM_400000_NS6detail17trampoline_kernelINS0_14default_configENS1_25transform_config_selectorItLb0EEEZNS1_14transform_implILb0ES3_S5_PtN6thrust23THRUST_200600_302600_NS6detail15normal_iteratorINS9_10device_ptrItEEEENS0_8identityItEEEE10hipError_tT2_T3_mT4_P12ihipStream_tbEUlT_E_NS1_11comp_targetILNS1_3genE2ELNS1_11target_archE906ELNS1_3gpuE6ELNS1_3repE0EEENS1_30default_config_static_selectorELNS0_4arch9wavefront6targetE1EEEvT1_
		.amdhsa_group_segment_fixed_size 0
		.amdhsa_private_segment_fixed_size 0
		.amdhsa_kernarg_size 40
		.amdhsa_user_sgpr_count 6
		.amdhsa_user_sgpr_private_segment_buffer 1
		.amdhsa_user_sgpr_dispatch_ptr 0
		.amdhsa_user_sgpr_queue_ptr 0
		.amdhsa_user_sgpr_kernarg_segment_ptr 1
		.amdhsa_user_sgpr_dispatch_id 0
		.amdhsa_user_sgpr_flat_scratch_init 0
		.amdhsa_user_sgpr_kernarg_preload_length 0
		.amdhsa_user_sgpr_kernarg_preload_offset 0
		.amdhsa_user_sgpr_private_segment_size 0
		.amdhsa_uses_dynamic_stack 0
		.amdhsa_system_sgpr_private_segment_wavefront_offset 0
		.amdhsa_system_sgpr_workgroup_id_x 1
		.amdhsa_system_sgpr_workgroup_id_y 0
		.amdhsa_system_sgpr_workgroup_id_z 0
		.amdhsa_system_sgpr_workgroup_info 0
		.amdhsa_system_vgpr_workitem_id 0
		.amdhsa_next_free_vgpr 1
		.amdhsa_next_free_sgpr 0
		.amdhsa_accum_offset 4
		.amdhsa_reserve_vcc 0
		.amdhsa_reserve_flat_scratch 0
		.amdhsa_float_round_mode_32 0
		.amdhsa_float_round_mode_16_64 0
		.amdhsa_float_denorm_mode_32 3
		.amdhsa_float_denorm_mode_16_64 3
		.amdhsa_dx10_clamp 1
		.amdhsa_ieee_mode 1
		.amdhsa_fp16_overflow 0
		.amdhsa_tg_split 0
		.amdhsa_exception_fp_ieee_invalid_op 0
		.amdhsa_exception_fp_denorm_src 0
		.amdhsa_exception_fp_ieee_div_zero 0
		.amdhsa_exception_fp_ieee_overflow 0
		.amdhsa_exception_fp_ieee_underflow 0
		.amdhsa_exception_fp_ieee_inexact 0
		.amdhsa_exception_int_div_zero 0
	.end_amdhsa_kernel
	.section	.text._ZN7rocprim17ROCPRIM_400000_NS6detail17trampoline_kernelINS0_14default_configENS1_25transform_config_selectorItLb0EEEZNS1_14transform_implILb0ES3_S5_PtN6thrust23THRUST_200600_302600_NS6detail15normal_iteratorINS9_10device_ptrItEEEENS0_8identityItEEEE10hipError_tT2_T3_mT4_P12ihipStream_tbEUlT_E_NS1_11comp_targetILNS1_3genE2ELNS1_11target_archE906ELNS1_3gpuE6ELNS1_3repE0EEENS1_30default_config_static_selectorELNS0_4arch9wavefront6targetE1EEEvT1_,"axG",@progbits,_ZN7rocprim17ROCPRIM_400000_NS6detail17trampoline_kernelINS0_14default_configENS1_25transform_config_selectorItLb0EEEZNS1_14transform_implILb0ES3_S5_PtN6thrust23THRUST_200600_302600_NS6detail15normal_iteratorINS9_10device_ptrItEEEENS0_8identityItEEEE10hipError_tT2_T3_mT4_P12ihipStream_tbEUlT_E_NS1_11comp_targetILNS1_3genE2ELNS1_11target_archE906ELNS1_3gpuE6ELNS1_3repE0EEENS1_30default_config_static_selectorELNS0_4arch9wavefront6targetE1EEEvT1_,comdat
.Lfunc_end1258:
	.size	_ZN7rocprim17ROCPRIM_400000_NS6detail17trampoline_kernelINS0_14default_configENS1_25transform_config_selectorItLb0EEEZNS1_14transform_implILb0ES3_S5_PtN6thrust23THRUST_200600_302600_NS6detail15normal_iteratorINS9_10device_ptrItEEEENS0_8identityItEEEE10hipError_tT2_T3_mT4_P12ihipStream_tbEUlT_E_NS1_11comp_targetILNS1_3genE2ELNS1_11target_archE906ELNS1_3gpuE6ELNS1_3repE0EEENS1_30default_config_static_selectorELNS0_4arch9wavefront6targetE1EEEvT1_, .Lfunc_end1258-_ZN7rocprim17ROCPRIM_400000_NS6detail17trampoline_kernelINS0_14default_configENS1_25transform_config_selectorItLb0EEEZNS1_14transform_implILb0ES3_S5_PtN6thrust23THRUST_200600_302600_NS6detail15normal_iteratorINS9_10device_ptrItEEEENS0_8identityItEEEE10hipError_tT2_T3_mT4_P12ihipStream_tbEUlT_E_NS1_11comp_targetILNS1_3genE2ELNS1_11target_archE906ELNS1_3gpuE6ELNS1_3repE0EEENS1_30default_config_static_selectorELNS0_4arch9wavefront6targetE1EEEvT1_
                                        ; -- End function
	.section	.AMDGPU.csdata,"",@progbits
; Kernel info:
; codeLenInByte = 0
; NumSgprs: 4
; NumVgprs: 0
; NumAgprs: 0
; TotalNumVgprs: 0
; ScratchSize: 0
; MemoryBound: 0
; FloatMode: 240
; IeeeMode: 1
; LDSByteSize: 0 bytes/workgroup (compile time only)
; SGPRBlocks: 0
; VGPRBlocks: 0
; NumSGPRsForWavesPerEU: 4
; NumVGPRsForWavesPerEU: 1
; AccumOffset: 4
; Occupancy: 8
; WaveLimiterHint : 0
; COMPUTE_PGM_RSRC2:SCRATCH_EN: 0
; COMPUTE_PGM_RSRC2:USER_SGPR: 6
; COMPUTE_PGM_RSRC2:TRAP_HANDLER: 0
; COMPUTE_PGM_RSRC2:TGID_X_EN: 1
; COMPUTE_PGM_RSRC2:TGID_Y_EN: 0
; COMPUTE_PGM_RSRC2:TGID_Z_EN: 0
; COMPUTE_PGM_RSRC2:TIDIG_COMP_CNT: 0
; COMPUTE_PGM_RSRC3_GFX90A:ACCUM_OFFSET: 0
; COMPUTE_PGM_RSRC3_GFX90A:TG_SPLIT: 0
	.section	.text._ZN7rocprim17ROCPRIM_400000_NS6detail17trampoline_kernelINS0_14default_configENS1_25transform_config_selectorItLb0EEEZNS1_14transform_implILb0ES3_S5_PtN6thrust23THRUST_200600_302600_NS6detail15normal_iteratorINS9_10device_ptrItEEEENS0_8identityItEEEE10hipError_tT2_T3_mT4_P12ihipStream_tbEUlT_E_NS1_11comp_targetILNS1_3genE10ELNS1_11target_archE1201ELNS1_3gpuE5ELNS1_3repE0EEENS1_30default_config_static_selectorELNS0_4arch9wavefront6targetE1EEEvT1_,"axG",@progbits,_ZN7rocprim17ROCPRIM_400000_NS6detail17trampoline_kernelINS0_14default_configENS1_25transform_config_selectorItLb0EEEZNS1_14transform_implILb0ES3_S5_PtN6thrust23THRUST_200600_302600_NS6detail15normal_iteratorINS9_10device_ptrItEEEENS0_8identityItEEEE10hipError_tT2_T3_mT4_P12ihipStream_tbEUlT_E_NS1_11comp_targetILNS1_3genE10ELNS1_11target_archE1201ELNS1_3gpuE5ELNS1_3repE0EEENS1_30default_config_static_selectorELNS0_4arch9wavefront6targetE1EEEvT1_,comdat
	.protected	_ZN7rocprim17ROCPRIM_400000_NS6detail17trampoline_kernelINS0_14default_configENS1_25transform_config_selectorItLb0EEEZNS1_14transform_implILb0ES3_S5_PtN6thrust23THRUST_200600_302600_NS6detail15normal_iteratorINS9_10device_ptrItEEEENS0_8identityItEEEE10hipError_tT2_T3_mT4_P12ihipStream_tbEUlT_E_NS1_11comp_targetILNS1_3genE10ELNS1_11target_archE1201ELNS1_3gpuE5ELNS1_3repE0EEENS1_30default_config_static_selectorELNS0_4arch9wavefront6targetE1EEEvT1_ ; -- Begin function _ZN7rocprim17ROCPRIM_400000_NS6detail17trampoline_kernelINS0_14default_configENS1_25transform_config_selectorItLb0EEEZNS1_14transform_implILb0ES3_S5_PtN6thrust23THRUST_200600_302600_NS6detail15normal_iteratorINS9_10device_ptrItEEEENS0_8identityItEEEE10hipError_tT2_T3_mT4_P12ihipStream_tbEUlT_E_NS1_11comp_targetILNS1_3genE10ELNS1_11target_archE1201ELNS1_3gpuE5ELNS1_3repE0EEENS1_30default_config_static_selectorELNS0_4arch9wavefront6targetE1EEEvT1_
	.globl	_ZN7rocprim17ROCPRIM_400000_NS6detail17trampoline_kernelINS0_14default_configENS1_25transform_config_selectorItLb0EEEZNS1_14transform_implILb0ES3_S5_PtN6thrust23THRUST_200600_302600_NS6detail15normal_iteratorINS9_10device_ptrItEEEENS0_8identityItEEEE10hipError_tT2_T3_mT4_P12ihipStream_tbEUlT_E_NS1_11comp_targetILNS1_3genE10ELNS1_11target_archE1201ELNS1_3gpuE5ELNS1_3repE0EEENS1_30default_config_static_selectorELNS0_4arch9wavefront6targetE1EEEvT1_
	.p2align	8
	.type	_ZN7rocprim17ROCPRIM_400000_NS6detail17trampoline_kernelINS0_14default_configENS1_25transform_config_selectorItLb0EEEZNS1_14transform_implILb0ES3_S5_PtN6thrust23THRUST_200600_302600_NS6detail15normal_iteratorINS9_10device_ptrItEEEENS0_8identityItEEEE10hipError_tT2_T3_mT4_P12ihipStream_tbEUlT_E_NS1_11comp_targetILNS1_3genE10ELNS1_11target_archE1201ELNS1_3gpuE5ELNS1_3repE0EEENS1_30default_config_static_selectorELNS0_4arch9wavefront6targetE1EEEvT1_,@function
_ZN7rocprim17ROCPRIM_400000_NS6detail17trampoline_kernelINS0_14default_configENS1_25transform_config_selectorItLb0EEEZNS1_14transform_implILb0ES3_S5_PtN6thrust23THRUST_200600_302600_NS6detail15normal_iteratorINS9_10device_ptrItEEEENS0_8identityItEEEE10hipError_tT2_T3_mT4_P12ihipStream_tbEUlT_E_NS1_11comp_targetILNS1_3genE10ELNS1_11target_archE1201ELNS1_3gpuE5ELNS1_3repE0EEENS1_30default_config_static_selectorELNS0_4arch9wavefront6targetE1EEEvT1_: ; @_ZN7rocprim17ROCPRIM_400000_NS6detail17trampoline_kernelINS0_14default_configENS1_25transform_config_selectorItLb0EEEZNS1_14transform_implILb0ES3_S5_PtN6thrust23THRUST_200600_302600_NS6detail15normal_iteratorINS9_10device_ptrItEEEENS0_8identityItEEEE10hipError_tT2_T3_mT4_P12ihipStream_tbEUlT_E_NS1_11comp_targetILNS1_3genE10ELNS1_11target_archE1201ELNS1_3gpuE5ELNS1_3repE0EEENS1_30default_config_static_selectorELNS0_4arch9wavefront6targetE1EEEvT1_
; %bb.0:
	.section	.rodata,"a",@progbits
	.p2align	6, 0x0
	.amdhsa_kernel _ZN7rocprim17ROCPRIM_400000_NS6detail17trampoline_kernelINS0_14default_configENS1_25transform_config_selectorItLb0EEEZNS1_14transform_implILb0ES3_S5_PtN6thrust23THRUST_200600_302600_NS6detail15normal_iteratorINS9_10device_ptrItEEEENS0_8identityItEEEE10hipError_tT2_T3_mT4_P12ihipStream_tbEUlT_E_NS1_11comp_targetILNS1_3genE10ELNS1_11target_archE1201ELNS1_3gpuE5ELNS1_3repE0EEENS1_30default_config_static_selectorELNS0_4arch9wavefront6targetE1EEEvT1_
		.amdhsa_group_segment_fixed_size 0
		.amdhsa_private_segment_fixed_size 0
		.amdhsa_kernarg_size 40
		.amdhsa_user_sgpr_count 6
		.amdhsa_user_sgpr_private_segment_buffer 1
		.amdhsa_user_sgpr_dispatch_ptr 0
		.amdhsa_user_sgpr_queue_ptr 0
		.amdhsa_user_sgpr_kernarg_segment_ptr 1
		.amdhsa_user_sgpr_dispatch_id 0
		.amdhsa_user_sgpr_flat_scratch_init 0
		.amdhsa_user_sgpr_kernarg_preload_length 0
		.amdhsa_user_sgpr_kernarg_preload_offset 0
		.amdhsa_user_sgpr_private_segment_size 0
		.amdhsa_uses_dynamic_stack 0
		.amdhsa_system_sgpr_private_segment_wavefront_offset 0
		.amdhsa_system_sgpr_workgroup_id_x 1
		.amdhsa_system_sgpr_workgroup_id_y 0
		.amdhsa_system_sgpr_workgroup_id_z 0
		.amdhsa_system_sgpr_workgroup_info 0
		.amdhsa_system_vgpr_workitem_id 0
		.amdhsa_next_free_vgpr 1
		.amdhsa_next_free_sgpr 0
		.amdhsa_accum_offset 4
		.amdhsa_reserve_vcc 0
		.amdhsa_reserve_flat_scratch 0
		.amdhsa_float_round_mode_32 0
		.amdhsa_float_round_mode_16_64 0
		.amdhsa_float_denorm_mode_32 3
		.amdhsa_float_denorm_mode_16_64 3
		.amdhsa_dx10_clamp 1
		.amdhsa_ieee_mode 1
		.amdhsa_fp16_overflow 0
		.amdhsa_tg_split 0
		.amdhsa_exception_fp_ieee_invalid_op 0
		.amdhsa_exception_fp_denorm_src 0
		.amdhsa_exception_fp_ieee_div_zero 0
		.amdhsa_exception_fp_ieee_overflow 0
		.amdhsa_exception_fp_ieee_underflow 0
		.amdhsa_exception_fp_ieee_inexact 0
		.amdhsa_exception_int_div_zero 0
	.end_amdhsa_kernel
	.section	.text._ZN7rocprim17ROCPRIM_400000_NS6detail17trampoline_kernelINS0_14default_configENS1_25transform_config_selectorItLb0EEEZNS1_14transform_implILb0ES3_S5_PtN6thrust23THRUST_200600_302600_NS6detail15normal_iteratorINS9_10device_ptrItEEEENS0_8identityItEEEE10hipError_tT2_T3_mT4_P12ihipStream_tbEUlT_E_NS1_11comp_targetILNS1_3genE10ELNS1_11target_archE1201ELNS1_3gpuE5ELNS1_3repE0EEENS1_30default_config_static_selectorELNS0_4arch9wavefront6targetE1EEEvT1_,"axG",@progbits,_ZN7rocprim17ROCPRIM_400000_NS6detail17trampoline_kernelINS0_14default_configENS1_25transform_config_selectorItLb0EEEZNS1_14transform_implILb0ES3_S5_PtN6thrust23THRUST_200600_302600_NS6detail15normal_iteratorINS9_10device_ptrItEEEENS0_8identityItEEEE10hipError_tT2_T3_mT4_P12ihipStream_tbEUlT_E_NS1_11comp_targetILNS1_3genE10ELNS1_11target_archE1201ELNS1_3gpuE5ELNS1_3repE0EEENS1_30default_config_static_selectorELNS0_4arch9wavefront6targetE1EEEvT1_,comdat
.Lfunc_end1259:
	.size	_ZN7rocprim17ROCPRIM_400000_NS6detail17trampoline_kernelINS0_14default_configENS1_25transform_config_selectorItLb0EEEZNS1_14transform_implILb0ES3_S5_PtN6thrust23THRUST_200600_302600_NS6detail15normal_iteratorINS9_10device_ptrItEEEENS0_8identityItEEEE10hipError_tT2_T3_mT4_P12ihipStream_tbEUlT_E_NS1_11comp_targetILNS1_3genE10ELNS1_11target_archE1201ELNS1_3gpuE5ELNS1_3repE0EEENS1_30default_config_static_selectorELNS0_4arch9wavefront6targetE1EEEvT1_, .Lfunc_end1259-_ZN7rocprim17ROCPRIM_400000_NS6detail17trampoline_kernelINS0_14default_configENS1_25transform_config_selectorItLb0EEEZNS1_14transform_implILb0ES3_S5_PtN6thrust23THRUST_200600_302600_NS6detail15normal_iteratorINS9_10device_ptrItEEEENS0_8identityItEEEE10hipError_tT2_T3_mT4_P12ihipStream_tbEUlT_E_NS1_11comp_targetILNS1_3genE10ELNS1_11target_archE1201ELNS1_3gpuE5ELNS1_3repE0EEENS1_30default_config_static_selectorELNS0_4arch9wavefront6targetE1EEEvT1_
                                        ; -- End function
	.section	.AMDGPU.csdata,"",@progbits
; Kernel info:
; codeLenInByte = 0
; NumSgprs: 4
; NumVgprs: 0
; NumAgprs: 0
; TotalNumVgprs: 0
; ScratchSize: 0
; MemoryBound: 0
; FloatMode: 240
; IeeeMode: 1
; LDSByteSize: 0 bytes/workgroup (compile time only)
; SGPRBlocks: 0
; VGPRBlocks: 0
; NumSGPRsForWavesPerEU: 4
; NumVGPRsForWavesPerEU: 1
; AccumOffset: 4
; Occupancy: 8
; WaveLimiterHint : 0
; COMPUTE_PGM_RSRC2:SCRATCH_EN: 0
; COMPUTE_PGM_RSRC2:USER_SGPR: 6
; COMPUTE_PGM_RSRC2:TRAP_HANDLER: 0
; COMPUTE_PGM_RSRC2:TGID_X_EN: 1
; COMPUTE_PGM_RSRC2:TGID_Y_EN: 0
; COMPUTE_PGM_RSRC2:TGID_Z_EN: 0
; COMPUTE_PGM_RSRC2:TIDIG_COMP_CNT: 0
; COMPUTE_PGM_RSRC3_GFX90A:ACCUM_OFFSET: 0
; COMPUTE_PGM_RSRC3_GFX90A:TG_SPLIT: 0
	.section	.text._ZN7rocprim17ROCPRIM_400000_NS6detail17trampoline_kernelINS0_14default_configENS1_25transform_config_selectorItLb0EEEZNS1_14transform_implILb0ES3_S5_PtN6thrust23THRUST_200600_302600_NS6detail15normal_iteratorINS9_10device_ptrItEEEENS0_8identityItEEEE10hipError_tT2_T3_mT4_P12ihipStream_tbEUlT_E_NS1_11comp_targetILNS1_3genE10ELNS1_11target_archE1200ELNS1_3gpuE4ELNS1_3repE0EEENS1_30default_config_static_selectorELNS0_4arch9wavefront6targetE1EEEvT1_,"axG",@progbits,_ZN7rocprim17ROCPRIM_400000_NS6detail17trampoline_kernelINS0_14default_configENS1_25transform_config_selectorItLb0EEEZNS1_14transform_implILb0ES3_S5_PtN6thrust23THRUST_200600_302600_NS6detail15normal_iteratorINS9_10device_ptrItEEEENS0_8identityItEEEE10hipError_tT2_T3_mT4_P12ihipStream_tbEUlT_E_NS1_11comp_targetILNS1_3genE10ELNS1_11target_archE1200ELNS1_3gpuE4ELNS1_3repE0EEENS1_30default_config_static_selectorELNS0_4arch9wavefront6targetE1EEEvT1_,comdat
	.protected	_ZN7rocprim17ROCPRIM_400000_NS6detail17trampoline_kernelINS0_14default_configENS1_25transform_config_selectorItLb0EEEZNS1_14transform_implILb0ES3_S5_PtN6thrust23THRUST_200600_302600_NS6detail15normal_iteratorINS9_10device_ptrItEEEENS0_8identityItEEEE10hipError_tT2_T3_mT4_P12ihipStream_tbEUlT_E_NS1_11comp_targetILNS1_3genE10ELNS1_11target_archE1200ELNS1_3gpuE4ELNS1_3repE0EEENS1_30default_config_static_selectorELNS0_4arch9wavefront6targetE1EEEvT1_ ; -- Begin function _ZN7rocprim17ROCPRIM_400000_NS6detail17trampoline_kernelINS0_14default_configENS1_25transform_config_selectorItLb0EEEZNS1_14transform_implILb0ES3_S5_PtN6thrust23THRUST_200600_302600_NS6detail15normal_iteratorINS9_10device_ptrItEEEENS0_8identityItEEEE10hipError_tT2_T3_mT4_P12ihipStream_tbEUlT_E_NS1_11comp_targetILNS1_3genE10ELNS1_11target_archE1200ELNS1_3gpuE4ELNS1_3repE0EEENS1_30default_config_static_selectorELNS0_4arch9wavefront6targetE1EEEvT1_
	.globl	_ZN7rocprim17ROCPRIM_400000_NS6detail17trampoline_kernelINS0_14default_configENS1_25transform_config_selectorItLb0EEEZNS1_14transform_implILb0ES3_S5_PtN6thrust23THRUST_200600_302600_NS6detail15normal_iteratorINS9_10device_ptrItEEEENS0_8identityItEEEE10hipError_tT2_T3_mT4_P12ihipStream_tbEUlT_E_NS1_11comp_targetILNS1_3genE10ELNS1_11target_archE1200ELNS1_3gpuE4ELNS1_3repE0EEENS1_30default_config_static_selectorELNS0_4arch9wavefront6targetE1EEEvT1_
	.p2align	8
	.type	_ZN7rocprim17ROCPRIM_400000_NS6detail17trampoline_kernelINS0_14default_configENS1_25transform_config_selectorItLb0EEEZNS1_14transform_implILb0ES3_S5_PtN6thrust23THRUST_200600_302600_NS6detail15normal_iteratorINS9_10device_ptrItEEEENS0_8identityItEEEE10hipError_tT2_T3_mT4_P12ihipStream_tbEUlT_E_NS1_11comp_targetILNS1_3genE10ELNS1_11target_archE1200ELNS1_3gpuE4ELNS1_3repE0EEENS1_30default_config_static_selectorELNS0_4arch9wavefront6targetE1EEEvT1_,@function
_ZN7rocprim17ROCPRIM_400000_NS6detail17trampoline_kernelINS0_14default_configENS1_25transform_config_selectorItLb0EEEZNS1_14transform_implILb0ES3_S5_PtN6thrust23THRUST_200600_302600_NS6detail15normal_iteratorINS9_10device_ptrItEEEENS0_8identityItEEEE10hipError_tT2_T3_mT4_P12ihipStream_tbEUlT_E_NS1_11comp_targetILNS1_3genE10ELNS1_11target_archE1200ELNS1_3gpuE4ELNS1_3repE0EEENS1_30default_config_static_selectorELNS0_4arch9wavefront6targetE1EEEvT1_: ; @_ZN7rocprim17ROCPRIM_400000_NS6detail17trampoline_kernelINS0_14default_configENS1_25transform_config_selectorItLb0EEEZNS1_14transform_implILb0ES3_S5_PtN6thrust23THRUST_200600_302600_NS6detail15normal_iteratorINS9_10device_ptrItEEEENS0_8identityItEEEE10hipError_tT2_T3_mT4_P12ihipStream_tbEUlT_E_NS1_11comp_targetILNS1_3genE10ELNS1_11target_archE1200ELNS1_3gpuE4ELNS1_3repE0EEENS1_30default_config_static_selectorELNS0_4arch9wavefront6targetE1EEEvT1_
; %bb.0:
	.section	.rodata,"a",@progbits
	.p2align	6, 0x0
	.amdhsa_kernel _ZN7rocprim17ROCPRIM_400000_NS6detail17trampoline_kernelINS0_14default_configENS1_25transform_config_selectorItLb0EEEZNS1_14transform_implILb0ES3_S5_PtN6thrust23THRUST_200600_302600_NS6detail15normal_iteratorINS9_10device_ptrItEEEENS0_8identityItEEEE10hipError_tT2_T3_mT4_P12ihipStream_tbEUlT_E_NS1_11comp_targetILNS1_3genE10ELNS1_11target_archE1200ELNS1_3gpuE4ELNS1_3repE0EEENS1_30default_config_static_selectorELNS0_4arch9wavefront6targetE1EEEvT1_
		.amdhsa_group_segment_fixed_size 0
		.amdhsa_private_segment_fixed_size 0
		.amdhsa_kernarg_size 40
		.amdhsa_user_sgpr_count 6
		.amdhsa_user_sgpr_private_segment_buffer 1
		.amdhsa_user_sgpr_dispatch_ptr 0
		.amdhsa_user_sgpr_queue_ptr 0
		.amdhsa_user_sgpr_kernarg_segment_ptr 1
		.amdhsa_user_sgpr_dispatch_id 0
		.amdhsa_user_sgpr_flat_scratch_init 0
		.amdhsa_user_sgpr_kernarg_preload_length 0
		.amdhsa_user_sgpr_kernarg_preload_offset 0
		.amdhsa_user_sgpr_private_segment_size 0
		.amdhsa_uses_dynamic_stack 0
		.amdhsa_system_sgpr_private_segment_wavefront_offset 0
		.amdhsa_system_sgpr_workgroup_id_x 1
		.amdhsa_system_sgpr_workgroup_id_y 0
		.amdhsa_system_sgpr_workgroup_id_z 0
		.amdhsa_system_sgpr_workgroup_info 0
		.amdhsa_system_vgpr_workitem_id 0
		.amdhsa_next_free_vgpr 1
		.amdhsa_next_free_sgpr 0
		.amdhsa_accum_offset 4
		.amdhsa_reserve_vcc 0
		.amdhsa_reserve_flat_scratch 0
		.amdhsa_float_round_mode_32 0
		.amdhsa_float_round_mode_16_64 0
		.amdhsa_float_denorm_mode_32 3
		.amdhsa_float_denorm_mode_16_64 3
		.amdhsa_dx10_clamp 1
		.amdhsa_ieee_mode 1
		.amdhsa_fp16_overflow 0
		.amdhsa_tg_split 0
		.amdhsa_exception_fp_ieee_invalid_op 0
		.amdhsa_exception_fp_denorm_src 0
		.amdhsa_exception_fp_ieee_div_zero 0
		.amdhsa_exception_fp_ieee_overflow 0
		.amdhsa_exception_fp_ieee_underflow 0
		.amdhsa_exception_fp_ieee_inexact 0
		.amdhsa_exception_int_div_zero 0
	.end_amdhsa_kernel
	.section	.text._ZN7rocprim17ROCPRIM_400000_NS6detail17trampoline_kernelINS0_14default_configENS1_25transform_config_selectorItLb0EEEZNS1_14transform_implILb0ES3_S5_PtN6thrust23THRUST_200600_302600_NS6detail15normal_iteratorINS9_10device_ptrItEEEENS0_8identityItEEEE10hipError_tT2_T3_mT4_P12ihipStream_tbEUlT_E_NS1_11comp_targetILNS1_3genE10ELNS1_11target_archE1200ELNS1_3gpuE4ELNS1_3repE0EEENS1_30default_config_static_selectorELNS0_4arch9wavefront6targetE1EEEvT1_,"axG",@progbits,_ZN7rocprim17ROCPRIM_400000_NS6detail17trampoline_kernelINS0_14default_configENS1_25transform_config_selectorItLb0EEEZNS1_14transform_implILb0ES3_S5_PtN6thrust23THRUST_200600_302600_NS6detail15normal_iteratorINS9_10device_ptrItEEEENS0_8identityItEEEE10hipError_tT2_T3_mT4_P12ihipStream_tbEUlT_E_NS1_11comp_targetILNS1_3genE10ELNS1_11target_archE1200ELNS1_3gpuE4ELNS1_3repE0EEENS1_30default_config_static_selectorELNS0_4arch9wavefront6targetE1EEEvT1_,comdat
.Lfunc_end1260:
	.size	_ZN7rocprim17ROCPRIM_400000_NS6detail17trampoline_kernelINS0_14default_configENS1_25transform_config_selectorItLb0EEEZNS1_14transform_implILb0ES3_S5_PtN6thrust23THRUST_200600_302600_NS6detail15normal_iteratorINS9_10device_ptrItEEEENS0_8identityItEEEE10hipError_tT2_T3_mT4_P12ihipStream_tbEUlT_E_NS1_11comp_targetILNS1_3genE10ELNS1_11target_archE1200ELNS1_3gpuE4ELNS1_3repE0EEENS1_30default_config_static_selectorELNS0_4arch9wavefront6targetE1EEEvT1_, .Lfunc_end1260-_ZN7rocprim17ROCPRIM_400000_NS6detail17trampoline_kernelINS0_14default_configENS1_25transform_config_selectorItLb0EEEZNS1_14transform_implILb0ES3_S5_PtN6thrust23THRUST_200600_302600_NS6detail15normal_iteratorINS9_10device_ptrItEEEENS0_8identityItEEEE10hipError_tT2_T3_mT4_P12ihipStream_tbEUlT_E_NS1_11comp_targetILNS1_3genE10ELNS1_11target_archE1200ELNS1_3gpuE4ELNS1_3repE0EEENS1_30default_config_static_selectorELNS0_4arch9wavefront6targetE1EEEvT1_
                                        ; -- End function
	.section	.AMDGPU.csdata,"",@progbits
; Kernel info:
; codeLenInByte = 0
; NumSgprs: 4
; NumVgprs: 0
; NumAgprs: 0
; TotalNumVgprs: 0
; ScratchSize: 0
; MemoryBound: 0
; FloatMode: 240
; IeeeMode: 1
; LDSByteSize: 0 bytes/workgroup (compile time only)
; SGPRBlocks: 0
; VGPRBlocks: 0
; NumSGPRsForWavesPerEU: 4
; NumVGPRsForWavesPerEU: 1
; AccumOffset: 4
; Occupancy: 8
; WaveLimiterHint : 0
; COMPUTE_PGM_RSRC2:SCRATCH_EN: 0
; COMPUTE_PGM_RSRC2:USER_SGPR: 6
; COMPUTE_PGM_RSRC2:TRAP_HANDLER: 0
; COMPUTE_PGM_RSRC2:TGID_X_EN: 1
; COMPUTE_PGM_RSRC2:TGID_Y_EN: 0
; COMPUTE_PGM_RSRC2:TGID_Z_EN: 0
; COMPUTE_PGM_RSRC2:TIDIG_COMP_CNT: 0
; COMPUTE_PGM_RSRC3_GFX90A:ACCUM_OFFSET: 0
; COMPUTE_PGM_RSRC3_GFX90A:TG_SPLIT: 0
	.section	.text._ZN7rocprim17ROCPRIM_400000_NS6detail17trampoline_kernelINS0_14default_configENS1_25transform_config_selectorItLb0EEEZNS1_14transform_implILb0ES3_S5_PtN6thrust23THRUST_200600_302600_NS6detail15normal_iteratorINS9_10device_ptrItEEEENS0_8identityItEEEE10hipError_tT2_T3_mT4_P12ihipStream_tbEUlT_E_NS1_11comp_targetILNS1_3genE9ELNS1_11target_archE1100ELNS1_3gpuE3ELNS1_3repE0EEENS1_30default_config_static_selectorELNS0_4arch9wavefront6targetE1EEEvT1_,"axG",@progbits,_ZN7rocprim17ROCPRIM_400000_NS6detail17trampoline_kernelINS0_14default_configENS1_25transform_config_selectorItLb0EEEZNS1_14transform_implILb0ES3_S5_PtN6thrust23THRUST_200600_302600_NS6detail15normal_iteratorINS9_10device_ptrItEEEENS0_8identityItEEEE10hipError_tT2_T3_mT4_P12ihipStream_tbEUlT_E_NS1_11comp_targetILNS1_3genE9ELNS1_11target_archE1100ELNS1_3gpuE3ELNS1_3repE0EEENS1_30default_config_static_selectorELNS0_4arch9wavefront6targetE1EEEvT1_,comdat
	.protected	_ZN7rocprim17ROCPRIM_400000_NS6detail17trampoline_kernelINS0_14default_configENS1_25transform_config_selectorItLb0EEEZNS1_14transform_implILb0ES3_S5_PtN6thrust23THRUST_200600_302600_NS6detail15normal_iteratorINS9_10device_ptrItEEEENS0_8identityItEEEE10hipError_tT2_T3_mT4_P12ihipStream_tbEUlT_E_NS1_11comp_targetILNS1_3genE9ELNS1_11target_archE1100ELNS1_3gpuE3ELNS1_3repE0EEENS1_30default_config_static_selectorELNS0_4arch9wavefront6targetE1EEEvT1_ ; -- Begin function _ZN7rocprim17ROCPRIM_400000_NS6detail17trampoline_kernelINS0_14default_configENS1_25transform_config_selectorItLb0EEEZNS1_14transform_implILb0ES3_S5_PtN6thrust23THRUST_200600_302600_NS6detail15normal_iteratorINS9_10device_ptrItEEEENS0_8identityItEEEE10hipError_tT2_T3_mT4_P12ihipStream_tbEUlT_E_NS1_11comp_targetILNS1_3genE9ELNS1_11target_archE1100ELNS1_3gpuE3ELNS1_3repE0EEENS1_30default_config_static_selectorELNS0_4arch9wavefront6targetE1EEEvT1_
	.globl	_ZN7rocprim17ROCPRIM_400000_NS6detail17trampoline_kernelINS0_14default_configENS1_25transform_config_selectorItLb0EEEZNS1_14transform_implILb0ES3_S5_PtN6thrust23THRUST_200600_302600_NS6detail15normal_iteratorINS9_10device_ptrItEEEENS0_8identityItEEEE10hipError_tT2_T3_mT4_P12ihipStream_tbEUlT_E_NS1_11comp_targetILNS1_3genE9ELNS1_11target_archE1100ELNS1_3gpuE3ELNS1_3repE0EEENS1_30default_config_static_selectorELNS0_4arch9wavefront6targetE1EEEvT1_
	.p2align	8
	.type	_ZN7rocprim17ROCPRIM_400000_NS6detail17trampoline_kernelINS0_14default_configENS1_25transform_config_selectorItLb0EEEZNS1_14transform_implILb0ES3_S5_PtN6thrust23THRUST_200600_302600_NS6detail15normal_iteratorINS9_10device_ptrItEEEENS0_8identityItEEEE10hipError_tT2_T3_mT4_P12ihipStream_tbEUlT_E_NS1_11comp_targetILNS1_3genE9ELNS1_11target_archE1100ELNS1_3gpuE3ELNS1_3repE0EEENS1_30default_config_static_selectorELNS0_4arch9wavefront6targetE1EEEvT1_,@function
_ZN7rocprim17ROCPRIM_400000_NS6detail17trampoline_kernelINS0_14default_configENS1_25transform_config_selectorItLb0EEEZNS1_14transform_implILb0ES3_S5_PtN6thrust23THRUST_200600_302600_NS6detail15normal_iteratorINS9_10device_ptrItEEEENS0_8identityItEEEE10hipError_tT2_T3_mT4_P12ihipStream_tbEUlT_E_NS1_11comp_targetILNS1_3genE9ELNS1_11target_archE1100ELNS1_3gpuE3ELNS1_3repE0EEENS1_30default_config_static_selectorELNS0_4arch9wavefront6targetE1EEEvT1_: ; @_ZN7rocprim17ROCPRIM_400000_NS6detail17trampoline_kernelINS0_14default_configENS1_25transform_config_selectorItLb0EEEZNS1_14transform_implILb0ES3_S5_PtN6thrust23THRUST_200600_302600_NS6detail15normal_iteratorINS9_10device_ptrItEEEENS0_8identityItEEEE10hipError_tT2_T3_mT4_P12ihipStream_tbEUlT_E_NS1_11comp_targetILNS1_3genE9ELNS1_11target_archE1100ELNS1_3gpuE3ELNS1_3repE0EEENS1_30default_config_static_selectorELNS0_4arch9wavefront6targetE1EEEvT1_
; %bb.0:
	.section	.rodata,"a",@progbits
	.p2align	6, 0x0
	.amdhsa_kernel _ZN7rocprim17ROCPRIM_400000_NS6detail17trampoline_kernelINS0_14default_configENS1_25transform_config_selectorItLb0EEEZNS1_14transform_implILb0ES3_S5_PtN6thrust23THRUST_200600_302600_NS6detail15normal_iteratorINS9_10device_ptrItEEEENS0_8identityItEEEE10hipError_tT2_T3_mT4_P12ihipStream_tbEUlT_E_NS1_11comp_targetILNS1_3genE9ELNS1_11target_archE1100ELNS1_3gpuE3ELNS1_3repE0EEENS1_30default_config_static_selectorELNS0_4arch9wavefront6targetE1EEEvT1_
		.amdhsa_group_segment_fixed_size 0
		.amdhsa_private_segment_fixed_size 0
		.amdhsa_kernarg_size 40
		.amdhsa_user_sgpr_count 6
		.amdhsa_user_sgpr_private_segment_buffer 1
		.amdhsa_user_sgpr_dispatch_ptr 0
		.amdhsa_user_sgpr_queue_ptr 0
		.amdhsa_user_sgpr_kernarg_segment_ptr 1
		.amdhsa_user_sgpr_dispatch_id 0
		.amdhsa_user_sgpr_flat_scratch_init 0
		.amdhsa_user_sgpr_kernarg_preload_length 0
		.amdhsa_user_sgpr_kernarg_preload_offset 0
		.amdhsa_user_sgpr_private_segment_size 0
		.amdhsa_uses_dynamic_stack 0
		.amdhsa_system_sgpr_private_segment_wavefront_offset 0
		.amdhsa_system_sgpr_workgroup_id_x 1
		.amdhsa_system_sgpr_workgroup_id_y 0
		.amdhsa_system_sgpr_workgroup_id_z 0
		.amdhsa_system_sgpr_workgroup_info 0
		.amdhsa_system_vgpr_workitem_id 0
		.amdhsa_next_free_vgpr 1
		.amdhsa_next_free_sgpr 0
		.amdhsa_accum_offset 4
		.amdhsa_reserve_vcc 0
		.amdhsa_reserve_flat_scratch 0
		.amdhsa_float_round_mode_32 0
		.amdhsa_float_round_mode_16_64 0
		.amdhsa_float_denorm_mode_32 3
		.amdhsa_float_denorm_mode_16_64 3
		.amdhsa_dx10_clamp 1
		.amdhsa_ieee_mode 1
		.amdhsa_fp16_overflow 0
		.amdhsa_tg_split 0
		.amdhsa_exception_fp_ieee_invalid_op 0
		.amdhsa_exception_fp_denorm_src 0
		.amdhsa_exception_fp_ieee_div_zero 0
		.amdhsa_exception_fp_ieee_overflow 0
		.amdhsa_exception_fp_ieee_underflow 0
		.amdhsa_exception_fp_ieee_inexact 0
		.amdhsa_exception_int_div_zero 0
	.end_amdhsa_kernel
	.section	.text._ZN7rocprim17ROCPRIM_400000_NS6detail17trampoline_kernelINS0_14default_configENS1_25transform_config_selectorItLb0EEEZNS1_14transform_implILb0ES3_S5_PtN6thrust23THRUST_200600_302600_NS6detail15normal_iteratorINS9_10device_ptrItEEEENS0_8identityItEEEE10hipError_tT2_T3_mT4_P12ihipStream_tbEUlT_E_NS1_11comp_targetILNS1_3genE9ELNS1_11target_archE1100ELNS1_3gpuE3ELNS1_3repE0EEENS1_30default_config_static_selectorELNS0_4arch9wavefront6targetE1EEEvT1_,"axG",@progbits,_ZN7rocprim17ROCPRIM_400000_NS6detail17trampoline_kernelINS0_14default_configENS1_25transform_config_selectorItLb0EEEZNS1_14transform_implILb0ES3_S5_PtN6thrust23THRUST_200600_302600_NS6detail15normal_iteratorINS9_10device_ptrItEEEENS0_8identityItEEEE10hipError_tT2_T3_mT4_P12ihipStream_tbEUlT_E_NS1_11comp_targetILNS1_3genE9ELNS1_11target_archE1100ELNS1_3gpuE3ELNS1_3repE0EEENS1_30default_config_static_selectorELNS0_4arch9wavefront6targetE1EEEvT1_,comdat
.Lfunc_end1261:
	.size	_ZN7rocprim17ROCPRIM_400000_NS6detail17trampoline_kernelINS0_14default_configENS1_25transform_config_selectorItLb0EEEZNS1_14transform_implILb0ES3_S5_PtN6thrust23THRUST_200600_302600_NS6detail15normal_iteratorINS9_10device_ptrItEEEENS0_8identityItEEEE10hipError_tT2_T3_mT4_P12ihipStream_tbEUlT_E_NS1_11comp_targetILNS1_3genE9ELNS1_11target_archE1100ELNS1_3gpuE3ELNS1_3repE0EEENS1_30default_config_static_selectorELNS0_4arch9wavefront6targetE1EEEvT1_, .Lfunc_end1261-_ZN7rocprim17ROCPRIM_400000_NS6detail17trampoline_kernelINS0_14default_configENS1_25transform_config_selectorItLb0EEEZNS1_14transform_implILb0ES3_S5_PtN6thrust23THRUST_200600_302600_NS6detail15normal_iteratorINS9_10device_ptrItEEEENS0_8identityItEEEE10hipError_tT2_T3_mT4_P12ihipStream_tbEUlT_E_NS1_11comp_targetILNS1_3genE9ELNS1_11target_archE1100ELNS1_3gpuE3ELNS1_3repE0EEENS1_30default_config_static_selectorELNS0_4arch9wavefront6targetE1EEEvT1_
                                        ; -- End function
	.section	.AMDGPU.csdata,"",@progbits
; Kernel info:
; codeLenInByte = 0
; NumSgprs: 4
; NumVgprs: 0
; NumAgprs: 0
; TotalNumVgprs: 0
; ScratchSize: 0
; MemoryBound: 0
; FloatMode: 240
; IeeeMode: 1
; LDSByteSize: 0 bytes/workgroup (compile time only)
; SGPRBlocks: 0
; VGPRBlocks: 0
; NumSGPRsForWavesPerEU: 4
; NumVGPRsForWavesPerEU: 1
; AccumOffset: 4
; Occupancy: 8
; WaveLimiterHint : 0
; COMPUTE_PGM_RSRC2:SCRATCH_EN: 0
; COMPUTE_PGM_RSRC2:USER_SGPR: 6
; COMPUTE_PGM_RSRC2:TRAP_HANDLER: 0
; COMPUTE_PGM_RSRC2:TGID_X_EN: 1
; COMPUTE_PGM_RSRC2:TGID_Y_EN: 0
; COMPUTE_PGM_RSRC2:TGID_Z_EN: 0
; COMPUTE_PGM_RSRC2:TIDIG_COMP_CNT: 0
; COMPUTE_PGM_RSRC3_GFX90A:ACCUM_OFFSET: 0
; COMPUTE_PGM_RSRC3_GFX90A:TG_SPLIT: 0
	.section	.text._ZN7rocprim17ROCPRIM_400000_NS6detail17trampoline_kernelINS0_14default_configENS1_25transform_config_selectorItLb0EEEZNS1_14transform_implILb0ES3_S5_PtN6thrust23THRUST_200600_302600_NS6detail15normal_iteratorINS9_10device_ptrItEEEENS0_8identityItEEEE10hipError_tT2_T3_mT4_P12ihipStream_tbEUlT_E_NS1_11comp_targetILNS1_3genE8ELNS1_11target_archE1030ELNS1_3gpuE2ELNS1_3repE0EEENS1_30default_config_static_selectorELNS0_4arch9wavefront6targetE1EEEvT1_,"axG",@progbits,_ZN7rocprim17ROCPRIM_400000_NS6detail17trampoline_kernelINS0_14default_configENS1_25transform_config_selectorItLb0EEEZNS1_14transform_implILb0ES3_S5_PtN6thrust23THRUST_200600_302600_NS6detail15normal_iteratorINS9_10device_ptrItEEEENS0_8identityItEEEE10hipError_tT2_T3_mT4_P12ihipStream_tbEUlT_E_NS1_11comp_targetILNS1_3genE8ELNS1_11target_archE1030ELNS1_3gpuE2ELNS1_3repE0EEENS1_30default_config_static_selectorELNS0_4arch9wavefront6targetE1EEEvT1_,comdat
	.protected	_ZN7rocprim17ROCPRIM_400000_NS6detail17trampoline_kernelINS0_14default_configENS1_25transform_config_selectorItLb0EEEZNS1_14transform_implILb0ES3_S5_PtN6thrust23THRUST_200600_302600_NS6detail15normal_iteratorINS9_10device_ptrItEEEENS0_8identityItEEEE10hipError_tT2_T3_mT4_P12ihipStream_tbEUlT_E_NS1_11comp_targetILNS1_3genE8ELNS1_11target_archE1030ELNS1_3gpuE2ELNS1_3repE0EEENS1_30default_config_static_selectorELNS0_4arch9wavefront6targetE1EEEvT1_ ; -- Begin function _ZN7rocprim17ROCPRIM_400000_NS6detail17trampoline_kernelINS0_14default_configENS1_25transform_config_selectorItLb0EEEZNS1_14transform_implILb0ES3_S5_PtN6thrust23THRUST_200600_302600_NS6detail15normal_iteratorINS9_10device_ptrItEEEENS0_8identityItEEEE10hipError_tT2_T3_mT4_P12ihipStream_tbEUlT_E_NS1_11comp_targetILNS1_3genE8ELNS1_11target_archE1030ELNS1_3gpuE2ELNS1_3repE0EEENS1_30default_config_static_selectorELNS0_4arch9wavefront6targetE1EEEvT1_
	.globl	_ZN7rocprim17ROCPRIM_400000_NS6detail17trampoline_kernelINS0_14default_configENS1_25transform_config_selectorItLb0EEEZNS1_14transform_implILb0ES3_S5_PtN6thrust23THRUST_200600_302600_NS6detail15normal_iteratorINS9_10device_ptrItEEEENS0_8identityItEEEE10hipError_tT2_T3_mT4_P12ihipStream_tbEUlT_E_NS1_11comp_targetILNS1_3genE8ELNS1_11target_archE1030ELNS1_3gpuE2ELNS1_3repE0EEENS1_30default_config_static_selectorELNS0_4arch9wavefront6targetE1EEEvT1_
	.p2align	8
	.type	_ZN7rocprim17ROCPRIM_400000_NS6detail17trampoline_kernelINS0_14default_configENS1_25transform_config_selectorItLb0EEEZNS1_14transform_implILb0ES3_S5_PtN6thrust23THRUST_200600_302600_NS6detail15normal_iteratorINS9_10device_ptrItEEEENS0_8identityItEEEE10hipError_tT2_T3_mT4_P12ihipStream_tbEUlT_E_NS1_11comp_targetILNS1_3genE8ELNS1_11target_archE1030ELNS1_3gpuE2ELNS1_3repE0EEENS1_30default_config_static_selectorELNS0_4arch9wavefront6targetE1EEEvT1_,@function
_ZN7rocprim17ROCPRIM_400000_NS6detail17trampoline_kernelINS0_14default_configENS1_25transform_config_selectorItLb0EEEZNS1_14transform_implILb0ES3_S5_PtN6thrust23THRUST_200600_302600_NS6detail15normal_iteratorINS9_10device_ptrItEEEENS0_8identityItEEEE10hipError_tT2_T3_mT4_P12ihipStream_tbEUlT_E_NS1_11comp_targetILNS1_3genE8ELNS1_11target_archE1030ELNS1_3gpuE2ELNS1_3repE0EEENS1_30default_config_static_selectorELNS0_4arch9wavefront6targetE1EEEvT1_: ; @_ZN7rocprim17ROCPRIM_400000_NS6detail17trampoline_kernelINS0_14default_configENS1_25transform_config_selectorItLb0EEEZNS1_14transform_implILb0ES3_S5_PtN6thrust23THRUST_200600_302600_NS6detail15normal_iteratorINS9_10device_ptrItEEEENS0_8identityItEEEE10hipError_tT2_T3_mT4_P12ihipStream_tbEUlT_E_NS1_11comp_targetILNS1_3genE8ELNS1_11target_archE1030ELNS1_3gpuE2ELNS1_3repE0EEENS1_30default_config_static_selectorELNS0_4arch9wavefront6targetE1EEEvT1_
; %bb.0:
	.section	.rodata,"a",@progbits
	.p2align	6, 0x0
	.amdhsa_kernel _ZN7rocprim17ROCPRIM_400000_NS6detail17trampoline_kernelINS0_14default_configENS1_25transform_config_selectorItLb0EEEZNS1_14transform_implILb0ES3_S5_PtN6thrust23THRUST_200600_302600_NS6detail15normal_iteratorINS9_10device_ptrItEEEENS0_8identityItEEEE10hipError_tT2_T3_mT4_P12ihipStream_tbEUlT_E_NS1_11comp_targetILNS1_3genE8ELNS1_11target_archE1030ELNS1_3gpuE2ELNS1_3repE0EEENS1_30default_config_static_selectorELNS0_4arch9wavefront6targetE1EEEvT1_
		.amdhsa_group_segment_fixed_size 0
		.amdhsa_private_segment_fixed_size 0
		.amdhsa_kernarg_size 40
		.amdhsa_user_sgpr_count 6
		.amdhsa_user_sgpr_private_segment_buffer 1
		.amdhsa_user_sgpr_dispatch_ptr 0
		.amdhsa_user_sgpr_queue_ptr 0
		.amdhsa_user_sgpr_kernarg_segment_ptr 1
		.amdhsa_user_sgpr_dispatch_id 0
		.amdhsa_user_sgpr_flat_scratch_init 0
		.amdhsa_user_sgpr_kernarg_preload_length 0
		.amdhsa_user_sgpr_kernarg_preload_offset 0
		.amdhsa_user_sgpr_private_segment_size 0
		.amdhsa_uses_dynamic_stack 0
		.amdhsa_system_sgpr_private_segment_wavefront_offset 0
		.amdhsa_system_sgpr_workgroup_id_x 1
		.amdhsa_system_sgpr_workgroup_id_y 0
		.amdhsa_system_sgpr_workgroup_id_z 0
		.amdhsa_system_sgpr_workgroup_info 0
		.amdhsa_system_vgpr_workitem_id 0
		.amdhsa_next_free_vgpr 1
		.amdhsa_next_free_sgpr 0
		.amdhsa_accum_offset 4
		.amdhsa_reserve_vcc 0
		.amdhsa_reserve_flat_scratch 0
		.amdhsa_float_round_mode_32 0
		.amdhsa_float_round_mode_16_64 0
		.amdhsa_float_denorm_mode_32 3
		.amdhsa_float_denorm_mode_16_64 3
		.amdhsa_dx10_clamp 1
		.amdhsa_ieee_mode 1
		.amdhsa_fp16_overflow 0
		.amdhsa_tg_split 0
		.amdhsa_exception_fp_ieee_invalid_op 0
		.amdhsa_exception_fp_denorm_src 0
		.amdhsa_exception_fp_ieee_div_zero 0
		.amdhsa_exception_fp_ieee_overflow 0
		.amdhsa_exception_fp_ieee_underflow 0
		.amdhsa_exception_fp_ieee_inexact 0
		.amdhsa_exception_int_div_zero 0
	.end_amdhsa_kernel
	.section	.text._ZN7rocprim17ROCPRIM_400000_NS6detail17trampoline_kernelINS0_14default_configENS1_25transform_config_selectorItLb0EEEZNS1_14transform_implILb0ES3_S5_PtN6thrust23THRUST_200600_302600_NS6detail15normal_iteratorINS9_10device_ptrItEEEENS0_8identityItEEEE10hipError_tT2_T3_mT4_P12ihipStream_tbEUlT_E_NS1_11comp_targetILNS1_3genE8ELNS1_11target_archE1030ELNS1_3gpuE2ELNS1_3repE0EEENS1_30default_config_static_selectorELNS0_4arch9wavefront6targetE1EEEvT1_,"axG",@progbits,_ZN7rocprim17ROCPRIM_400000_NS6detail17trampoline_kernelINS0_14default_configENS1_25transform_config_selectorItLb0EEEZNS1_14transform_implILb0ES3_S5_PtN6thrust23THRUST_200600_302600_NS6detail15normal_iteratorINS9_10device_ptrItEEEENS0_8identityItEEEE10hipError_tT2_T3_mT4_P12ihipStream_tbEUlT_E_NS1_11comp_targetILNS1_3genE8ELNS1_11target_archE1030ELNS1_3gpuE2ELNS1_3repE0EEENS1_30default_config_static_selectorELNS0_4arch9wavefront6targetE1EEEvT1_,comdat
.Lfunc_end1262:
	.size	_ZN7rocprim17ROCPRIM_400000_NS6detail17trampoline_kernelINS0_14default_configENS1_25transform_config_selectorItLb0EEEZNS1_14transform_implILb0ES3_S5_PtN6thrust23THRUST_200600_302600_NS6detail15normal_iteratorINS9_10device_ptrItEEEENS0_8identityItEEEE10hipError_tT2_T3_mT4_P12ihipStream_tbEUlT_E_NS1_11comp_targetILNS1_3genE8ELNS1_11target_archE1030ELNS1_3gpuE2ELNS1_3repE0EEENS1_30default_config_static_selectorELNS0_4arch9wavefront6targetE1EEEvT1_, .Lfunc_end1262-_ZN7rocprim17ROCPRIM_400000_NS6detail17trampoline_kernelINS0_14default_configENS1_25transform_config_selectorItLb0EEEZNS1_14transform_implILb0ES3_S5_PtN6thrust23THRUST_200600_302600_NS6detail15normal_iteratorINS9_10device_ptrItEEEENS0_8identityItEEEE10hipError_tT2_T3_mT4_P12ihipStream_tbEUlT_E_NS1_11comp_targetILNS1_3genE8ELNS1_11target_archE1030ELNS1_3gpuE2ELNS1_3repE0EEENS1_30default_config_static_selectorELNS0_4arch9wavefront6targetE1EEEvT1_
                                        ; -- End function
	.section	.AMDGPU.csdata,"",@progbits
; Kernel info:
; codeLenInByte = 0
; NumSgprs: 4
; NumVgprs: 0
; NumAgprs: 0
; TotalNumVgprs: 0
; ScratchSize: 0
; MemoryBound: 0
; FloatMode: 240
; IeeeMode: 1
; LDSByteSize: 0 bytes/workgroup (compile time only)
; SGPRBlocks: 0
; VGPRBlocks: 0
; NumSGPRsForWavesPerEU: 4
; NumVGPRsForWavesPerEU: 1
; AccumOffset: 4
; Occupancy: 8
; WaveLimiterHint : 0
; COMPUTE_PGM_RSRC2:SCRATCH_EN: 0
; COMPUTE_PGM_RSRC2:USER_SGPR: 6
; COMPUTE_PGM_RSRC2:TRAP_HANDLER: 0
; COMPUTE_PGM_RSRC2:TGID_X_EN: 1
; COMPUTE_PGM_RSRC2:TGID_Y_EN: 0
; COMPUTE_PGM_RSRC2:TGID_Z_EN: 0
; COMPUTE_PGM_RSRC2:TIDIG_COMP_CNT: 0
; COMPUTE_PGM_RSRC3_GFX90A:ACCUM_OFFSET: 0
; COMPUTE_PGM_RSRC3_GFX90A:TG_SPLIT: 0
	.section	.text._ZN7rocprim17ROCPRIM_400000_NS6detail17trampoline_kernelINS0_14default_configENS1_38merge_sort_block_merge_config_selectorItNS0_10empty_typeEEEZZNS1_27merge_sort_block_merge_implIS3_N6thrust23THRUST_200600_302600_NS6detail15normal_iteratorINS9_10device_ptrItEEEEPS5_jNS1_19radix_merge_compareILb0ELb1EtNS0_19identity_decomposerEEEEE10hipError_tT0_T1_T2_jT3_P12ihipStream_tbPNSt15iterator_traitsISK_E10value_typeEPNSQ_ISL_E10value_typeEPSM_NS1_7vsmem_tEENKUlT_SK_SL_SM_E_clIPtSE_SF_SF_EESJ_SZ_SK_SL_SM_EUlSZ_E_NS1_11comp_targetILNS1_3genE0ELNS1_11target_archE4294967295ELNS1_3gpuE0ELNS1_3repE0EEENS1_48merge_mergepath_partition_config_static_selectorELNS0_4arch9wavefront6targetE1EEEvSL_,"axG",@progbits,_ZN7rocprim17ROCPRIM_400000_NS6detail17trampoline_kernelINS0_14default_configENS1_38merge_sort_block_merge_config_selectorItNS0_10empty_typeEEEZZNS1_27merge_sort_block_merge_implIS3_N6thrust23THRUST_200600_302600_NS6detail15normal_iteratorINS9_10device_ptrItEEEEPS5_jNS1_19radix_merge_compareILb0ELb1EtNS0_19identity_decomposerEEEEE10hipError_tT0_T1_T2_jT3_P12ihipStream_tbPNSt15iterator_traitsISK_E10value_typeEPNSQ_ISL_E10value_typeEPSM_NS1_7vsmem_tEENKUlT_SK_SL_SM_E_clIPtSE_SF_SF_EESJ_SZ_SK_SL_SM_EUlSZ_E_NS1_11comp_targetILNS1_3genE0ELNS1_11target_archE4294967295ELNS1_3gpuE0ELNS1_3repE0EEENS1_48merge_mergepath_partition_config_static_selectorELNS0_4arch9wavefront6targetE1EEEvSL_,comdat
	.protected	_ZN7rocprim17ROCPRIM_400000_NS6detail17trampoline_kernelINS0_14default_configENS1_38merge_sort_block_merge_config_selectorItNS0_10empty_typeEEEZZNS1_27merge_sort_block_merge_implIS3_N6thrust23THRUST_200600_302600_NS6detail15normal_iteratorINS9_10device_ptrItEEEEPS5_jNS1_19radix_merge_compareILb0ELb1EtNS0_19identity_decomposerEEEEE10hipError_tT0_T1_T2_jT3_P12ihipStream_tbPNSt15iterator_traitsISK_E10value_typeEPNSQ_ISL_E10value_typeEPSM_NS1_7vsmem_tEENKUlT_SK_SL_SM_E_clIPtSE_SF_SF_EESJ_SZ_SK_SL_SM_EUlSZ_E_NS1_11comp_targetILNS1_3genE0ELNS1_11target_archE4294967295ELNS1_3gpuE0ELNS1_3repE0EEENS1_48merge_mergepath_partition_config_static_selectorELNS0_4arch9wavefront6targetE1EEEvSL_ ; -- Begin function _ZN7rocprim17ROCPRIM_400000_NS6detail17trampoline_kernelINS0_14default_configENS1_38merge_sort_block_merge_config_selectorItNS0_10empty_typeEEEZZNS1_27merge_sort_block_merge_implIS3_N6thrust23THRUST_200600_302600_NS6detail15normal_iteratorINS9_10device_ptrItEEEEPS5_jNS1_19radix_merge_compareILb0ELb1EtNS0_19identity_decomposerEEEEE10hipError_tT0_T1_T2_jT3_P12ihipStream_tbPNSt15iterator_traitsISK_E10value_typeEPNSQ_ISL_E10value_typeEPSM_NS1_7vsmem_tEENKUlT_SK_SL_SM_E_clIPtSE_SF_SF_EESJ_SZ_SK_SL_SM_EUlSZ_E_NS1_11comp_targetILNS1_3genE0ELNS1_11target_archE4294967295ELNS1_3gpuE0ELNS1_3repE0EEENS1_48merge_mergepath_partition_config_static_selectorELNS0_4arch9wavefront6targetE1EEEvSL_
	.globl	_ZN7rocprim17ROCPRIM_400000_NS6detail17trampoline_kernelINS0_14default_configENS1_38merge_sort_block_merge_config_selectorItNS0_10empty_typeEEEZZNS1_27merge_sort_block_merge_implIS3_N6thrust23THRUST_200600_302600_NS6detail15normal_iteratorINS9_10device_ptrItEEEEPS5_jNS1_19radix_merge_compareILb0ELb1EtNS0_19identity_decomposerEEEEE10hipError_tT0_T1_T2_jT3_P12ihipStream_tbPNSt15iterator_traitsISK_E10value_typeEPNSQ_ISL_E10value_typeEPSM_NS1_7vsmem_tEENKUlT_SK_SL_SM_E_clIPtSE_SF_SF_EESJ_SZ_SK_SL_SM_EUlSZ_E_NS1_11comp_targetILNS1_3genE0ELNS1_11target_archE4294967295ELNS1_3gpuE0ELNS1_3repE0EEENS1_48merge_mergepath_partition_config_static_selectorELNS0_4arch9wavefront6targetE1EEEvSL_
	.p2align	8
	.type	_ZN7rocprim17ROCPRIM_400000_NS6detail17trampoline_kernelINS0_14default_configENS1_38merge_sort_block_merge_config_selectorItNS0_10empty_typeEEEZZNS1_27merge_sort_block_merge_implIS3_N6thrust23THRUST_200600_302600_NS6detail15normal_iteratorINS9_10device_ptrItEEEEPS5_jNS1_19radix_merge_compareILb0ELb1EtNS0_19identity_decomposerEEEEE10hipError_tT0_T1_T2_jT3_P12ihipStream_tbPNSt15iterator_traitsISK_E10value_typeEPNSQ_ISL_E10value_typeEPSM_NS1_7vsmem_tEENKUlT_SK_SL_SM_E_clIPtSE_SF_SF_EESJ_SZ_SK_SL_SM_EUlSZ_E_NS1_11comp_targetILNS1_3genE0ELNS1_11target_archE4294967295ELNS1_3gpuE0ELNS1_3repE0EEENS1_48merge_mergepath_partition_config_static_selectorELNS0_4arch9wavefront6targetE1EEEvSL_,@function
_ZN7rocprim17ROCPRIM_400000_NS6detail17trampoline_kernelINS0_14default_configENS1_38merge_sort_block_merge_config_selectorItNS0_10empty_typeEEEZZNS1_27merge_sort_block_merge_implIS3_N6thrust23THRUST_200600_302600_NS6detail15normal_iteratorINS9_10device_ptrItEEEEPS5_jNS1_19radix_merge_compareILb0ELb1EtNS0_19identity_decomposerEEEEE10hipError_tT0_T1_T2_jT3_P12ihipStream_tbPNSt15iterator_traitsISK_E10value_typeEPNSQ_ISL_E10value_typeEPSM_NS1_7vsmem_tEENKUlT_SK_SL_SM_E_clIPtSE_SF_SF_EESJ_SZ_SK_SL_SM_EUlSZ_E_NS1_11comp_targetILNS1_3genE0ELNS1_11target_archE4294967295ELNS1_3gpuE0ELNS1_3repE0EEENS1_48merge_mergepath_partition_config_static_selectorELNS0_4arch9wavefront6targetE1EEEvSL_: ; @_ZN7rocprim17ROCPRIM_400000_NS6detail17trampoline_kernelINS0_14default_configENS1_38merge_sort_block_merge_config_selectorItNS0_10empty_typeEEEZZNS1_27merge_sort_block_merge_implIS3_N6thrust23THRUST_200600_302600_NS6detail15normal_iteratorINS9_10device_ptrItEEEEPS5_jNS1_19radix_merge_compareILb0ELb1EtNS0_19identity_decomposerEEEEE10hipError_tT0_T1_T2_jT3_P12ihipStream_tbPNSt15iterator_traitsISK_E10value_typeEPNSQ_ISL_E10value_typeEPSM_NS1_7vsmem_tEENKUlT_SK_SL_SM_E_clIPtSE_SF_SF_EESJ_SZ_SK_SL_SM_EUlSZ_E_NS1_11comp_targetILNS1_3genE0ELNS1_11target_archE4294967295ELNS1_3gpuE0ELNS1_3repE0EEENS1_48merge_mergepath_partition_config_static_selectorELNS0_4arch9wavefront6targetE1EEEvSL_
; %bb.0:
	.section	.rodata,"a",@progbits
	.p2align	6, 0x0
	.amdhsa_kernel _ZN7rocprim17ROCPRIM_400000_NS6detail17trampoline_kernelINS0_14default_configENS1_38merge_sort_block_merge_config_selectorItNS0_10empty_typeEEEZZNS1_27merge_sort_block_merge_implIS3_N6thrust23THRUST_200600_302600_NS6detail15normal_iteratorINS9_10device_ptrItEEEEPS5_jNS1_19radix_merge_compareILb0ELb1EtNS0_19identity_decomposerEEEEE10hipError_tT0_T1_T2_jT3_P12ihipStream_tbPNSt15iterator_traitsISK_E10value_typeEPNSQ_ISL_E10value_typeEPSM_NS1_7vsmem_tEENKUlT_SK_SL_SM_E_clIPtSE_SF_SF_EESJ_SZ_SK_SL_SM_EUlSZ_E_NS1_11comp_targetILNS1_3genE0ELNS1_11target_archE4294967295ELNS1_3gpuE0ELNS1_3repE0EEENS1_48merge_mergepath_partition_config_static_selectorELNS0_4arch9wavefront6targetE1EEEvSL_
		.amdhsa_group_segment_fixed_size 0
		.amdhsa_private_segment_fixed_size 0
		.amdhsa_kernarg_size 40
		.amdhsa_user_sgpr_count 6
		.amdhsa_user_sgpr_private_segment_buffer 1
		.amdhsa_user_sgpr_dispatch_ptr 0
		.amdhsa_user_sgpr_queue_ptr 0
		.amdhsa_user_sgpr_kernarg_segment_ptr 1
		.amdhsa_user_sgpr_dispatch_id 0
		.amdhsa_user_sgpr_flat_scratch_init 0
		.amdhsa_user_sgpr_kernarg_preload_length 0
		.amdhsa_user_sgpr_kernarg_preload_offset 0
		.amdhsa_user_sgpr_private_segment_size 0
		.amdhsa_uses_dynamic_stack 0
		.amdhsa_system_sgpr_private_segment_wavefront_offset 0
		.amdhsa_system_sgpr_workgroup_id_x 1
		.amdhsa_system_sgpr_workgroup_id_y 0
		.amdhsa_system_sgpr_workgroup_id_z 0
		.amdhsa_system_sgpr_workgroup_info 0
		.amdhsa_system_vgpr_workitem_id 0
		.amdhsa_next_free_vgpr 1
		.amdhsa_next_free_sgpr 0
		.amdhsa_accum_offset 4
		.amdhsa_reserve_vcc 0
		.amdhsa_reserve_flat_scratch 0
		.amdhsa_float_round_mode_32 0
		.amdhsa_float_round_mode_16_64 0
		.amdhsa_float_denorm_mode_32 3
		.amdhsa_float_denorm_mode_16_64 3
		.amdhsa_dx10_clamp 1
		.amdhsa_ieee_mode 1
		.amdhsa_fp16_overflow 0
		.amdhsa_tg_split 0
		.amdhsa_exception_fp_ieee_invalid_op 0
		.amdhsa_exception_fp_denorm_src 0
		.amdhsa_exception_fp_ieee_div_zero 0
		.amdhsa_exception_fp_ieee_overflow 0
		.amdhsa_exception_fp_ieee_underflow 0
		.amdhsa_exception_fp_ieee_inexact 0
		.amdhsa_exception_int_div_zero 0
	.end_amdhsa_kernel
	.section	.text._ZN7rocprim17ROCPRIM_400000_NS6detail17trampoline_kernelINS0_14default_configENS1_38merge_sort_block_merge_config_selectorItNS0_10empty_typeEEEZZNS1_27merge_sort_block_merge_implIS3_N6thrust23THRUST_200600_302600_NS6detail15normal_iteratorINS9_10device_ptrItEEEEPS5_jNS1_19radix_merge_compareILb0ELb1EtNS0_19identity_decomposerEEEEE10hipError_tT0_T1_T2_jT3_P12ihipStream_tbPNSt15iterator_traitsISK_E10value_typeEPNSQ_ISL_E10value_typeEPSM_NS1_7vsmem_tEENKUlT_SK_SL_SM_E_clIPtSE_SF_SF_EESJ_SZ_SK_SL_SM_EUlSZ_E_NS1_11comp_targetILNS1_3genE0ELNS1_11target_archE4294967295ELNS1_3gpuE0ELNS1_3repE0EEENS1_48merge_mergepath_partition_config_static_selectorELNS0_4arch9wavefront6targetE1EEEvSL_,"axG",@progbits,_ZN7rocprim17ROCPRIM_400000_NS6detail17trampoline_kernelINS0_14default_configENS1_38merge_sort_block_merge_config_selectorItNS0_10empty_typeEEEZZNS1_27merge_sort_block_merge_implIS3_N6thrust23THRUST_200600_302600_NS6detail15normal_iteratorINS9_10device_ptrItEEEEPS5_jNS1_19radix_merge_compareILb0ELb1EtNS0_19identity_decomposerEEEEE10hipError_tT0_T1_T2_jT3_P12ihipStream_tbPNSt15iterator_traitsISK_E10value_typeEPNSQ_ISL_E10value_typeEPSM_NS1_7vsmem_tEENKUlT_SK_SL_SM_E_clIPtSE_SF_SF_EESJ_SZ_SK_SL_SM_EUlSZ_E_NS1_11comp_targetILNS1_3genE0ELNS1_11target_archE4294967295ELNS1_3gpuE0ELNS1_3repE0EEENS1_48merge_mergepath_partition_config_static_selectorELNS0_4arch9wavefront6targetE1EEEvSL_,comdat
.Lfunc_end1263:
	.size	_ZN7rocprim17ROCPRIM_400000_NS6detail17trampoline_kernelINS0_14default_configENS1_38merge_sort_block_merge_config_selectorItNS0_10empty_typeEEEZZNS1_27merge_sort_block_merge_implIS3_N6thrust23THRUST_200600_302600_NS6detail15normal_iteratorINS9_10device_ptrItEEEEPS5_jNS1_19radix_merge_compareILb0ELb1EtNS0_19identity_decomposerEEEEE10hipError_tT0_T1_T2_jT3_P12ihipStream_tbPNSt15iterator_traitsISK_E10value_typeEPNSQ_ISL_E10value_typeEPSM_NS1_7vsmem_tEENKUlT_SK_SL_SM_E_clIPtSE_SF_SF_EESJ_SZ_SK_SL_SM_EUlSZ_E_NS1_11comp_targetILNS1_3genE0ELNS1_11target_archE4294967295ELNS1_3gpuE0ELNS1_3repE0EEENS1_48merge_mergepath_partition_config_static_selectorELNS0_4arch9wavefront6targetE1EEEvSL_, .Lfunc_end1263-_ZN7rocprim17ROCPRIM_400000_NS6detail17trampoline_kernelINS0_14default_configENS1_38merge_sort_block_merge_config_selectorItNS0_10empty_typeEEEZZNS1_27merge_sort_block_merge_implIS3_N6thrust23THRUST_200600_302600_NS6detail15normal_iteratorINS9_10device_ptrItEEEEPS5_jNS1_19radix_merge_compareILb0ELb1EtNS0_19identity_decomposerEEEEE10hipError_tT0_T1_T2_jT3_P12ihipStream_tbPNSt15iterator_traitsISK_E10value_typeEPNSQ_ISL_E10value_typeEPSM_NS1_7vsmem_tEENKUlT_SK_SL_SM_E_clIPtSE_SF_SF_EESJ_SZ_SK_SL_SM_EUlSZ_E_NS1_11comp_targetILNS1_3genE0ELNS1_11target_archE4294967295ELNS1_3gpuE0ELNS1_3repE0EEENS1_48merge_mergepath_partition_config_static_selectorELNS0_4arch9wavefront6targetE1EEEvSL_
                                        ; -- End function
	.section	.AMDGPU.csdata,"",@progbits
; Kernel info:
; codeLenInByte = 0
; NumSgprs: 4
; NumVgprs: 0
; NumAgprs: 0
; TotalNumVgprs: 0
; ScratchSize: 0
; MemoryBound: 0
; FloatMode: 240
; IeeeMode: 1
; LDSByteSize: 0 bytes/workgroup (compile time only)
; SGPRBlocks: 0
; VGPRBlocks: 0
; NumSGPRsForWavesPerEU: 4
; NumVGPRsForWavesPerEU: 1
; AccumOffset: 4
; Occupancy: 8
; WaveLimiterHint : 0
; COMPUTE_PGM_RSRC2:SCRATCH_EN: 0
; COMPUTE_PGM_RSRC2:USER_SGPR: 6
; COMPUTE_PGM_RSRC2:TRAP_HANDLER: 0
; COMPUTE_PGM_RSRC2:TGID_X_EN: 1
; COMPUTE_PGM_RSRC2:TGID_Y_EN: 0
; COMPUTE_PGM_RSRC2:TGID_Z_EN: 0
; COMPUTE_PGM_RSRC2:TIDIG_COMP_CNT: 0
; COMPUTE_PGM_RSRC3_GFX90A:ACCUM_OFFSET: 0
; COMPUTE_PGM_RSRC3_GFX90A:TG_SPLIT: 0
	.section	.text._ZN7rocprim17ROCPRIM_400000_NS6detail17trampoline_kernelINS0_14default_configENS1_38merge_sort_block_merge_config_selectorItNS0_10empty_typeEEEZZNS1_27merge_sort_block_merge_implIS3_N6thrust23THRUST_200600_302600_NS6detail15normal_iteratorINS9_10device_ptrItEEEEPS5_jNS1_19radix_merge_compareILb0ELb1EtNS0_19identity_decomposerEEEEE10hipError_tT0_T1_T2_jT3_P12ihipStream_tbPNSt15iterator_traitsISK_E10value_typeEPNSQ_ISL_E10value_typeEPSM_NS1_7vsmem_tEENKUlT_SK_SL_SM_E_clIPtSE_SF_SF_EESJ_SZ_SK_SL_SM_EUlSZ_E_NS1_11comp_targetILNS1_3genE10ELNS1_11target_archE1201ELNS1_3gpuE5ELNS1_3repE0EEENS1_48merge_mergepath_partition_config_static_selectorELNS0_4arch9wavefront6targetE1EEEvSL_,"axG",@progbits,_ZN7rocprim17ROCPRIM_400000_NS6detail17trampoline_kernelINS0_14default_configENS1_38merge_sort_block_merge_config_selectorItNS0_10empty_typeEEEZZNS1_27merge_sort_block_merge_implIS3_N6thrust23THRUST_200600_302600_NS6detail15normal_iteratorINS9_10device_ptrItEEEEPS5_jNS1_19radix_merge_compareILb0ELb1EtNS0_19identity_decomposerEEEEE10hipError_tT0_T1_T2_jT3_P12ihipStream_tbPNSt15iterator_traitsISK_E10value_typeEPNSQ_ISL_E10value_typeEPSM_NS1_7vsmem_tEENKUlT_SK_SL_SM_E_clIPtSE_SF_SF_EESJ_SZ_SK_SL_SM_EUlSZ_E_NS1_11comp_targetILNS1_3genE10ELNS1_11target_archE1201ELNS1_3gpuE5ELNS1_3repE0EEENS1_48merge_mergepath_partition_config_static_selectorELNS0_4arch9wavefront6targetE1EEEvSL_,comdat
	.protected	_ZN7rocprim17ROCPRIM_400000_NS6detail17trampoline_kernelINS0_14default_configENS1_38merge_sort_block_merge_config_selectorItNS0_10empty_typeEEEZZNS1_27merge_sort_block_merge_implIS3_N6thrust23THRUST_200600_302600_NS6detail15normal_iteratorINS9_10device_ptrItEEEEPS5_jNS1_19radix_merge_compareILb0ELb1EtNS0_19identity_decomposerEEEEE10hipError_tT0_T1_T2_jT3_P12ihipStream_tbPNSt15iterator_traitsISK_E10value_typeEPNSQ_ISL_E10value_typeEPSM_NS1_7vsmem_tEENKUlT_SK_SL_SM_E_clIPtSE_SF_SF_EESJ_SZ_SK_SL_SM_EUlSZ_E_NS1_11comp_targetILNS1_3genE10ELNS1_11target_archE1201ELNS1_3gpuE5ELNS1_3repE0EEENS1_48merge_mergepath_partition_config_static_selectorELNS0_4arch9wavefront6targetE1EEEvSL_ ; -- Begin function _ZN7rocprim17ROCPRIM_400000_NS6detail17trampoline_kernelINS0_14default_configENS1_38merge_sort_block_merge_config_selectorItNS0_10empty_typeEEEZZNS1_27merge_sort_block_merge_implIS3_N6thrust23THRUST_200600_302600_NS6detail15normal_iteratorINS9_10device_ptrItEEEEPS5_jNS1_19radix_merge_compareILb0ELb1EtNS0_19identity_decomposerEEEEE10hipError_tT0_T1_T2_jT3_P12ihipStream_tbPNSt15iterator_traitsISK_E10value_typeEPNSQ_ISL_E10value_typeEPSM_NS1_7vsmem_tEENKUlT_SK_SL_SM_E_clIPtSE_SF_SF_EESJ_SZ_SK_SL_SM_EUlSZ_E_NS1_11comp_targetILNS1_3genE10ELNS1_11target_archE1201ELNS1_3gpuE5ELNS1_3repE0EEENS1_48merge_mergepath_partition_config_static_selectorELNS0_4arch9wavefront6targetE1EEEvSL_
	.globl	_ZN7rocprim17ROCPRIM_400000_NS6detail17trampoline_kernelINS0_14default_configENS1_38merge_sort_block_merge_config_selectorItNS0_10empty_typeEEEZZNS1_27merge_sort_block_merge_implIS3_N6thrust23THRUST_200600_302600_NS6detail15normal_iteratorINS9_10device_ptrItEEEEPS5_jNS1_19radix_merge_compareILb0ELb1EtNS0_19identity_decomposerEEEEE10hipError_tT0_T1_T2_jT3_P12ihipStream_tbPNSt15iterator_traitsISK_E10value_typeEPNSQ_ISL_E10value_typeEPSM_NS1_7vsmem_tEENKUlT_SK_SL_SM_E_clIPtSE_SF_SF_EESJ_SZ_SK_SL_SM_EUlSZ_E_NS1_11comp_targetILNS1_3genE10ELNS1_11target_archE1201ELNS1_3gpuE5ELNS1_3repE0EEENS1_48merge_mergepath_partition_config_static_selectorELNS0_4arch9wavefront6targetE1EEEvSL_
	.p2align	8
	.type	_ZN7rocprim17ROCPRIM_400000_NS6detail17trampoline_kernelINS0_14default_configENS1_38merge_sort_block_merge_config_selectorItNS0_10empty_typeEEEZZNS1_27merge_sort_block_merge_implIS3_N6thrust23THRUST_200600_302600_NS6detail15normal_iteratorINS9_10device_ptrItEEEEPS5_jNS1_19radix_merge_compareILb0ELb1EtNS0_19identity_decomposerEEEEE10hipError_tT0_T1_T2_jT3_P12ihipStream_tbPNSt15iterator_traitsISK_E10value_typeEPNSQ_ISL_E10value_typeEPSM_NS1_7vsmem_tEENKUlT_SK_SL_SM_E_clIPtSE_SF_SF_EESJ_SZ_SK_SL_SM_EUlSZ_E_NS1_11comp_targetILNS1_3genE10ELNS1_11target_archE1201ELNS1_3gpuE5ELNS1_3repE0EEENS1_48merge_mergepath_partition_config_static_selectorELNS0_4arch9wavefront6targetE1EEEvSL_,@function
_ZN7rocprim17ROCPRIM_400000_NS6detail17trampoline_kernelINS0_14default_configENS1_38merge_sort_block_merge_config_selectorItNS0_10empty_typeEEEZZNS1_27merge_sort_block_merge_implIS3_N6thrust23THRUST_200600_302600_NS6detail15normal_iteratorINS9_10device_ptrItEEEEPS5_jNS1_19radix_merge_compareILb0ELb1EtNS0_19identity_decomposerEEEEE10hipError_tT0_T1_T2_jT3_P12ihipStream_tbPNSt15iterator_traitsISK_E10value_typeEPNSQ_ISL_E10value_typeEPSM_NS1_7vsmem_tEENKUlT_SK_SL_SM_E_clIPtSE_SF_SF_EESJ_SZ_SK_SL_SM_EUlSZ_E_NS1_11comp_targetILNS1_3genE10ELNS1_11target_archE1201ELNS1_3gpuE5ELNS1_3repE0EEENS1_48merge_mergepath_partition_config_static_selectorELNS0_4arch9wavefront6targetE1EEEvSL_: ; @_ZN7rocprim17ROCPRIM_400000_NS6detail17trampoline_kernelINS0_14default_configENS1_38merge_sort_block_merge_config_selectorItNS0_10empty_typeEEEZZNS1_27merge_sort_block_merge_implIS3_N6thrust23THRUST_200600_302600_NS6detail15normal_iteratorINS9_10device_ptrItEEEEPS5_jNS1_19radix_merge_compareILb0ELb1EtNS0_19identity_decomposerEEEEE10hipError_tT0_T1_T2_jT3_P12ihipStream_tbPNSt15iterator_traitsISK_E10value_typeEPNSQ_ISL_E10value_typeEPSM_NS1_7vsmem_tEENKUlT_SK_SL_SM_E_clIPtSE_SF_SF_EESJ_SZ_SK_SL_SM_EUlSZ_E_NS1_11comp_targetILNS1_3genE10ELNS1_11target_archE1201ELNS1_3gpuE5ELNS1_3repE0EEENS1_48merge_mergepath_partition_config_static_selectorELNS0_4arch9wavefront6targetE1EEEvSL_
; %bb.0:
	.section	.rodata,"a",@progbits
	.p2align	6, 0x0
	.amdhsa_kernel _ZN7rocprim17ROCPRIM_400000_NS6detail17trampoline_kernelINS0_14default_configENS1_38merge_sort_block_merge_config_selectorItNS0_10empty_typeEEEZZNS1_27merge_sort_block_merge_implIS3_N6thrust23THRUST_200600_302600_NS6detail15normal_iteratorINS9_10device_ptrItEEEEPS5_jNS1_19radix_merge_compareILb0ELb1EtNS0_19identity_decomposerEEEEE10hipError_tT0_T1_T2_jT3_P12ihipStream_tbPNSt15iterator_traitsISK_E10value_typeEPNSQ_ISL_E10value_typeEPSM_NS1_7vsmem_tEENKUlT_SK_SL_SM_E_clIPtSE_SF_SF_EESJ_SZ_SK_SL_SM_EUlSZ_E_NS1_11comp_targetILNS1_3genE10ELNS1_11target_archE1201ELNS1_3gpuE5ELNS1_3repE0EEENS1_48merge_mergepath_partition_config_static_selectorELNS0_4arch9wavefront6targetE1EEEvSL_
		.amdhsa_group_segment_fixed_size 0
		.amdhsa_private_segment_fixed_size 0
		.amdhsa_kernarg_size 40
		.amdhsa_user_sgpr_count 6
		.amdhsa_user_sgpr_private_segment_buffer 1
		.amdhsa_user_sgpr_dispatch_ptr 0
		.amdhsa_user_sgpr_queue_ptr 0
		.amdhsa_user_sgpr_kernarg_segment_ptr 1
		.amdhsa_user_sgpr_dispatch_id 0
		.amdhsa_user_sgpr_flat_scratch_init 0
		.amdhsa_user_sgpr_kernarg_preload_length 0
		.amdhsa_user_sgpr_kernarg_preload_offset 0
		.amdhsa_user_sgpr_private_segment_size 0
		.amdhsa_uses_dynamic_stack 0
		.amdhsa_system_sgpr_private_segment_wavefront_offset 0
		.amdhsa_system_sgpr_workgroup_id_x 1
		.amdhsa_system_sgpr_workgroup_id_y 0
		.amdhsa_system_sgpr_workgroup_id_z 0
		.amdhsa_system_sgpr_workgroup_info 0
		.amdhsa_system_vgpr_workitem_id 0
		.amdhsa_next_free_vgpr 1
		.amdhsa_next_free_sgpr 0
		.amdhsa_accum_offset 4
		.amdhsa_reserve_vcc 0
		.amdhsa_reserve_flat_scratch 0
		.amdhsa_float_round_mode_32 0
		.amdhsa_float_round_mode_16_64 0
		.amdhsa_float_denorm_mode_32 3
		.amdhsa_float_denorm_mode_16_64 3
		.amdhsa_dx10_clamp 1
		.amdhsa_ieee_mode 1
		.amdhsa_fp16_overflow 0
		.amdhsa_tg_split 0
		.amdhsa_exception_fp_ieee_invalid_op 0
		.amdhsa_exception_fp_denorm_src 0
		.amdhsa_exception_fp_ieee_div_zero 0
		.amdhsa_exception_fp_ieee_overflow 0
		.amdhsa_exception_fp_ieee_underflow 0
		.amdhsa_exception_fp_ieee_inexact 0
		.amdhsa_exception_int_div_zero 0
	.end_amdhsa_kernel
	.section	.text._ZN7rocprim17ROCPRIM_400000_NS6detail17trampoline_kernelINS0_14default_configENS1_38merge_sort_block_merge_config_selectorItNS0_10empty_typeEEEZZNS1_27merge_sort_block_merge_implIS3_N6thrust23THRUST_200600_302600_NS6detail15normal_iteratorINS9_10device_ptrItEEEEPS5_jNS1_19radix_merge_compareILb0ELb1EtNS0_19identity_decomposerEEEEE10hipError_tT0_T1_T2_jT3_P12ihipStream_tbPNSt15iterator_traitsISK_E10value_typeEPNSQ_ISL_E10value_typeEPSM_NS1_7vsmem_tEENKUlT_SK_SL_SM_E_clIPtSE_SF_SF_EESJ_SZ_SK_SL_SM_EUlSZ_E_NS1_11comp_targetILNS1_3genE10ELNS1_11target_archE1201ELNS1_3gpuE5ELNS1_3repE0EEENS1_48merge_mergepath_partition_config_static_selectorELNS0_4arch9wavefront6targetE1EEEvSL_,"axG",@progbits,_ZN7rocprim17ROCPRIM_400000_NS6detail17trampoline_kernelINS0_14default_configENS1_38merge_sort_block_merge_config_selectorItNS0_10empty_typeEEEZZNS1_27merge_sort_block_merge_implIS3_N6thrust23THRUST_200600_302600_NS6detail15normal_iteratorINS9_10device_ptrItEEEEPS5_jNS1_19radix_merge_compareILb0ELb1EtNS0_19identity_decomposerEEEEE10hipError_tT0_T1_T2_jT3_P12ihipStream_tbPNSt15iterator_traitsISK_E10value_typeEPNSQ_ISL_E10value_typeEPSM_NS1_7vsmem_tEENKUlT_SK_SL_SM_E_clIPtSE_SF_SF_EESJ_SZ_SK_SL_SM_EUlSZ_E_NS1_11comp_targetILNS1_3genE10ELNS1_11target_archE1201ELNS1_3gpuE5ELNS1_3repE0EEENS1_48merge_mergepath_partition_config_static_selectorELNS0_4arch9wavefront6targetE1EEEvSL_,comdat
.Lfunc_end1264:
	.size	_ZN7rocprim17ROCPRIM_400000_NS6detail17trampoline_kernelINS0_14default_configENS1_38merge_sort_block_merge_config_selectorItNS0_10empty_typeEEEZZNS1_27merge_sort_block_merge_implIS3_N6thrust23THRUST_200600_302600_NS6detail15normal_iteratorINS9_10device_ptrItEEEEPS5_jNS1_19radix_merge_compareILb0ELb1EtNS0_19identity_decomposerEEEEE10hipError_tT0_T1_T2_jT3_P12ihipStream_tbPNSt15iterator_traitsISK_E10value_typeEPNSQ_ISL_E10value_typeEPSM_NS1_7vsmem_tEENKUlT_SK_SL_SM_E_clIPtSE_SF_SF_EESJ_SZ_SK_SL_SM_EUlSZ_E_NS1_11comp_targetILNS1_3genE10ELNS1_11target_archE1201ELNS1_3gpuE5ELNS1_3repE0EEENS1_48merge_mergepath_partition_config_static_selectorELNS0_4arch9wavefront6targetE1EEEvSL_, .Lfunc_end1264-_ZN7rocprim17ROCPRIM_400000_NS6detail17trampoline_kernelINS0_14default_configENS1_38merge_sort_block_merge_config_selectorItNS0_10empty_typeEEEZZNS1_27merge_sort_block_merge_implIS3_N6thrust23THRUST_200600_302600_NS6detail15normal_iteratorINS9_10device_ptrItEEEEPS5_jNS1_19radix_merge_compareILb0ELb1EtNS0_19identity_decomposerEEEEE10hipError_tT0_T1_T2_jT3_P12ihipStream_tbPNSt15iterator_traitsISK_E10value_typeEPNSQ_ISL_E10value_typeEPSM_NS1_7vsmem_tEENKUlT_SK_SL_SM_E_clIPtSE_SF_SF_EESJ_SZ_SK_SL_SM_EUlSZ_E_NS1_11comp_targetILNS1_3genE10ELNS1_11target_archE1201ELNS1_3gpuE5ELNS1_3repE0EEENS1_48merge_mergepath_partition_config_static_selectorELNS0_4arch9wavefront6targetE1EEEvSL_
                                        ; -- End function
	.section	.AMDGPU.csdata,"",@progbits
; Kernel info:
; codeLenInByte = 0
; NumSgprs: 4
; NumVgprs: 0
; NumAgprs: 0
; TotalNumVgprs: 0
; ScratchSize: 0
; MemoryBound: 0
; FloatMode: 240
; IeeeMode: 1
; LDSByteSize: 0 bytes/workgroup (compile time only)
; SGPRBlocks: 0
; VGPRBlocks: 0
; NumSGPRsForWavesPerEU: 4
; NumVGPRsForWavesPerEU: 1
; AccumOffset: 4
; Occupancy: 8
; WaveLimiterHint : 0
; COMPUTE_PGM_RSRC2:SCRATCH_EN: 0
; COMPUTE_PGM_RSRC2:USER_SGPR: 6
; COMPUTE_PGM_RSRC2:TRAP_HANDLER: 0
; COMPUTE_PGM_RSRC2:TGID_X_EN: 1
; COMPUTE_PGM_RSRC2:TGID_Y_EN: 0
; COMPUTE_PGM_RSRC2:TGID_Z_EN: 0
; COMPUTE_PGM_RSRC2:TIDIG_COMP_CNT: 0
; COMPUTE_PGM_RSRC3_GFX90A:ACCUM_OFFSET: 0
; COMPUTE_PGM_RSRC3_GFX90A:TG_SPLIT: 0
	.section	.text._ZN7rocprim17ROCPRIM_400000_NS6detail17trampoline_kernelINS0_14default_configENS1_38merge_sort_block_merge_config_selectorItNS0_10empty_typeEEEZZNS1_27merge_sort_block_merge_implIS3_N6thrust23THRUST_200600_302600_NS6detail15normal_iteratorINS9_10device_ptrItEEEEPS5_jNS1_19radix_merge_compareILb0ELb1EtNS0_19identity_decomposerEEEEE10hipError_tT0_T1_T2_jT3_P12ihipStream_tbPNSt15iterator_traitsISK_E10value_typeEPNSQ_ISL_E10value_typeEPSM_NS1_7vsmem_tEENKUlT_SK_SL_SM_E_clIPtSE_SF_SF_EESJ_SZ_SK_SL_SM_EUlSZ_E_NS1_11comp_targetILNS1_3genE5ELNS1_11target_archE942ELNS1_3gpuE9ELNS1_3repE0EEENS1_48merge_mergepath_partition_config_static_selectorELNS0_4arch9wavefront6targetE1EEEvSL_,"axG",@progbits,_ZN7rocprim17ROCPRIM_400000_NS6detail17trampoline_kernelINS0_14default_configENS1_38merge_sort_block_merge_config_selectorItNS0_10empty_typeEEEZZNS1_27merge_sort_block_merge_implIS3_N6thrust23THRUST_200600_302600_NS6detail15normal_iteratorINS9_10device_ptrItEEEEPS5_jNS1_19radix_merge_compareILb0ELb1EtNS0_19identity_decomposerEEEEE10hipError_tT0_T1_T2_jT3_P12ihipStream_tbPNSt15iterator_traitsISK_E10value_typeEPNSQ_ISL_E10value_typeEPSM_NS1_7vsmem_tEENKUlT_SK_SL_SM_E_clIPtSE_SF_SF_EESJ_SZ_SK_SL_SM_EUlSZ_E_NS1_11comp_targetILNS1_3genE5ELNS1_11target_archE942ELNS1_3gpuE9ELNS1_3repE0EEENS1_48merge_mergepath_partition_config_static_selectorELNS0_4arch9wavefront6targetE1EEEvSL_,comdat
	.protected	_ZN7rocprim17ROCPRIM_400000_NS6detail17trampoline_kernelINS0_14default_configENS1_38merge_sort_block_merge_config_selectorItNS0_10empty_typeEEEZZNS1_27merge_sort_block_merge_implIS3_N6thrust23THRUST_200600_302600_NS6detail15normal_iteratorINS9_10device_ptrItEEEEPS5_jNS1_19radix_merge_compareILb0ELb1EtNS0_19identity_decomposerEEEEE10hipError_tT0_T1_T2_jT3_P12ihipStream_tbPNSt15iterator_traitsISK_E10value_typeEPNSQ_ISL_E10value_typeEPSM_NS1_7vsmem_tEENKUlT_SK_SL_SM_E_clIPtSE_SF_SF_EESJ_SZ_SK_SL_SM_EUlSZ_E_NS1_11comp_targetILNS1_3genE5ELNS1_11target_archE942ELNS1_3gpuE9ELNS1_3repE0EEENS1_48merge_mergepath_partition_config_static_selectorELNS0_4arch9wavefront6targetE1EEEvSL_ ; -- Begin function _ZN7rocprim17ROCPRIM_400000_NS6detail17trampoline_kernelINS0_14default_configENS1_38merge_sort_block_merge_config_selectorItNS0_10empty_typeEEEZZNS1_27merge_sort_block_merge_implIS3_N6thrust23THRUST_200600_302600_NS6detail15normal_iteratorINS9_10device_ptrItEEEEPS5_jNS1_19radix_merge_compareILb0ELb1EtNS0_19identity_decomposerEEEEE10hipError_tT0_T1_T2_jT3_P12ihipStream_tbPNSt15iterator_traitsISK_E10value_typeEPNSQ_ISL_E10value_typeEPSM_NS1_7vsmem_tEENKUlT_SK_SL_SM_E_clIPtSE_SF_SF_EESJ_SZ_SK_SL_SM_EUlSZ_E_NS1_11comp_targetILNS1_3genE5ELNS1_11target_archE942ELNS1_3gpuE9ELNS1_3repE0EEENS1_48merge_mergepath_partition_config_static_selectorELNS0_4arch9wavefront6targetE1EEEvSL_
	.globl	_ZN7rocprim17ROCPRIM_400000_NS6detail17trampoline_kernelINS0_14default_configENS1_38merge_sort_block_merge_config_selectorItNS0_10empty_typeEEEZZNS1_27merge_sort_block_merge_implIS3_N6thrust23THRUST_200600_302600_NS6detail15normal_iteratorINS9_10device_ptrItEEEEPS5_jNS1_19radix_merge_compareILb0ELb1EtNS0_19identity_decomposerEEEEE10hipError_tT0_T1_T2_jT3_P12ihipStream_tbPNSt15iterator_traitsISK_E10value_typeEPNSQ_ISL_E10value_typeEPSM_NS1_7vsmem_tEENKUlT_SK_SL_SM_E_clIPtSE_SF_SF_EESJ_SZ_SK_SL_SM_EUlSZ_E_NS1_11comp_targetILNS1_3genE5ELNS1_11target_archE942ELNS1_3gpuE9ELNS1_3repE0EEENS1_48merge_mergepath_partition_config_static_selectorELNS0_4arch9wavefront6targetE1EEEvSL_
	.p2align	8
	.type	_ZN7rocprim17ROCPRIM_400000_NS6detail17trampoline_kernelINS0_14default_configENS1_38merge_sort_block_merge_config_selectorItNS0_10empty_typeEEEZZNS1_27merge_sort_block_merge_implIS3_N6thrust23THRUST_200600_302600_NS6detail15normal_iteratorINS9_10device_ptrItEEEEPS5_jNS1_19radix_merge_compareILb0ELb1EtNS0_19identity_decomposerEEEEE10hipError_tT0_T1_T2_jT3_P12ihipStream_tbPNSt15iterator_traitsISK_E10value_typeEPNSQ_ISL_E10value_typeEPSM_NS1_7vsmem_tEENKUlT_SK_SL_SM_E_clIPtSE_SF_SF_EESJ_SZ_SK_SL_SM_EUlSZ_E_NS1_11comp_targetILNS1_3genE5ELNS1_11target_archE942ELNS1_3gpuE9ELNS1_3repE0EEENS1_48merge_mergepath_partition_config_static_selectorELNS0_4arch9wavefront6targetE1EEEvSL_,@function
_ZN7rocprim17ROCPRIM_400000_NS6detail17trampoline_kernelINS0_14default_configENS1_38merge_sort_block_merge_config_selectorItNS0_10empty_typeEEEZZNS1_27merge_sort_block_merge_implIS3_N6thrust23THRUST_200600_302600_NS6detail15normal_iteratorINS9_10device_ptrItEEEEPS5_jNS1_19radix_merge_compareILb0ELb1EtNS0_19identity_decomposerEEEEE10hipError_tT0_T1_T2_jT3_P12ihipStream_tbPNSt15iterator_traitsISK_E10value_typeEPNSQ_ISL_E10value_typeEPSM_NS1_7vsmem_tEENKUlT_SK_SL_SM_E_clIPtSE_SF_SF_EESJ_SZ_SK_SL_SM_EUlSZ_E_NS1_11comp_targetILNS1_3genE5ELNS1_11target_archE942ELNS1_3gpuE9ELNS1_3repE0EEENS1_48merge_mergepath_partition_config_static_selectorELNS0_4arch9wavefront6targetE1EEEvSL_: ; @_ZN7rocprim17ROCPRIM_400000_NS6detail17trampoline_kernelINS0_14default_configENS1_38merge_sort_block_merge_config_selectorItNS0_10empty_typeEEEZZNS1_27merge_sort_block_merge_implIS3_N6thrust23THRUST_200600_302600_NS6detail15normal_iteratorINS9_10device_ptrItEEEEPS5_jNS1_19radix_merge_compareILb0ELb1EtNS0_19identity_decomposerEEEEE10hipError_tT0_T1_T2_jT3_P12ihipStream_tbPNSt15iterator_traitsISK_E10value_typeEPNSQ_ISL_E10value_typeEPSM_NS1_7vsmem_tEENKUlT_SK_SL_SM_E_clIPtSE_SF_SF_EESJ_SZ_SK_SL_SM_EUlSZ_E_NS1_11comp_targetILNS1_3genE5ELNS1_11target_archE942ELNS1_3gpuE9ELNS1_3repE0EEENS1_48merge_mergepath_partition_config_static_selectorELNS0_4arch9wavefront6targetE1EEEvSL_
; %bb.0:
	.section	.rodata,"a",@progbits
	.p2align	6, 0x0
	.amdhsa_kernel _ZN7rocprim17ROCPRIM_400000_NS6detail17trampoline_kernelINS0_14default_configENS1_38merge_sort_block_merge_config_selectorItNS0_10empty_typeEEEZZNS1_27merge_sort_block_merge_implIS3_N6thrust23THRUST_200600_302600_NS6detail15normal_iteratorINS9_10device_ptrItEEEEPS5_jNS1_19radix_merge_compareILb0ELb1EtNS0_19identity_decomposerEEEEE10hipError_tT0_T1_T2_jT3_P12ihipStream_tbPNSt15iterator_traitsISK_E10value_typeEPNSQ_ISL_E10value_typeEPSM_NS1_7vsmem_tEENKUlT_SK_SL_SM_E_clIPtSE_SF_SF_EESJ_SZ_SK_SL_SM_EUlSZ_E_NS1_11comp_targetILNS1_3genE5ELNS1_11target_archE942ELNS1_3gpuE9ELNS1_3repE0EEENS1_48merge_mergepath_partition_config_static_selectorELNS0_4arch9wavefront6targetE1EEEvSL_
		.amdhsa_group_segment_fixed_size 0
		.amdhsa_private_segment_fixed_size 0
		.amdhsa_kernarg_size 40
		.amdhsa_user_sgpr_count 6
		.amdhsa_user_sgpr_private_segment_buffer 1
		.amdhsa_user_sgpr_dispatch_ptr 0
		.amdhsa_user_sgpr_queue_ptr 0
		.amdhsa_user_sgpr_kernarg_segment_ptr 1
		.amdhsa_user_sgpr_dispatch_id 0
		.amdhsa_user_sgpr_flat_scratch_init 0
		.amdhsa_user_sgpr_kernarg_preload_length 0
		.amdhsa_user_sgpr_kernarg_preload_offset 0
		.amdhsa_user_sgpr_private_segment_size 0
		.amdhsa_uses_dynamic_stack 0
		.amdhsa_system_sgpr_private_segment_wavefront_offset 0
		.amdhsa_system_sgpr_workgroup_id_x 1
		.amdhsa_system_sgpr_workgroup_id_y 0
		.amdhsa_system_sgpr_workgroup_id_z 0
		.amdhsa_system_sgpr_workgroup_info 0
		.amdhsa_system_vgpr_workitem_id 0
		.amdhsa_next_free_vgpr 1
		.amdhsa_next_free_sgpr 0
		.amdhsa_accum_offset 4
		.amdhsa_reserve_vcc 0
		.amdhsa_reserve_flat_scratch 0
		.amdhsa_float_round_mode_32 0
		.amdhsa_float_round_mode_16_64 0
		.amdhsa_float_denorm_mode_32 3
		.amdhsa_float_denorm_mode_16_64 3
		.amdhsa_dx10_clamp 1
		.amdhsa_ieee_mode 1
		.amdhsa_fp16_overflow 0
		.amdhsa_tg_split 0
		.amdhsa_exception_fp_ieee_invalid_op 0
		.amdhsa_exception_fp_denorm_src 0
		.amdhsa_exception_fp_ieee_div_zero 0
		.amdhsa_exception_fp_ieee_overflow 0
		.amdhsa_exception_fp_ieee_underflow 0
		.amdhsa_exception_fp_ieee_inexact 0
		.amdhsa_exception_int_div_zero 0
	.end_amdhsa_kernel
	.section	.text._ZN7rocprim17ROCPRIM_400000_NS6detail17trampoline_kernelINS0_14default_configENS1_38merge_sort_block_merge_config_selectorItNS0_10empty_typeEEEZZNS1_27merge_sort_block_merge_implIS3_N6thrust23THRUST_200600_302600_NS6detail15normal_iteratorINS9_10device_ptrItEEEEPS5_jNS1_19radix_merge_compareILb0ELb1EtNS0_19identity_decomposerEEEEE10hipError_tT0_T1_T2_jT3_P12ihipStream_tbPNSt15iterator_traitsISK_E10value_typeEPNSQ_ISL_E10value_typeEPSM_NS1_7vsmem_tEENKUlT_SK_SL_SM_E_clIPtSE_SF_SF_EESJ_SZ_SK_SL_SM_EUlSZ_E_NS1_11comp_targetILNS1_3genE5ELNS1_11target_archE942ELNS1_3gpuE9ELNS1_3repE0EEENS1_48merge_mergepath_partition_config_static_selectorELNS0_4arch9wavefront6targetE1EEEvSL_,"axG",@progbits,_ZN7rocprim17ROCPRIM_400000_NS6detail17trampoline_kernelINS0_14default_configENS1_38merge_sort_block_merge_config_selectorItNS0_10empty_typeEEEZZNS1_27merge_sort_block_merge_implIS3_N6thrust23THRUST_200600_302600_NS6detail15normal_iteratorINS9_10device_ptrItEEEEPS5_jNS1_19radix_merge_compareILb0ELb1EtNS0_19identity_decomposerEEEEE10hipError_tT0_T1_T2_jT3_P12ihipStream_tbPNSt15iterator_traitsISK_E10value_typeEPNSQ_ISL_E10value_typeEPSM_NS1_7vsmem_tEENKUlT_SK_SL_SM_E_clIPtSE_SF_SF_EESJ_SZ_SK_SL_SM_EUlSZ_E_NS1_11comp_targetILNS1_3genE5ELNS1_11target_archE942ELNS1_3gpuE9ELNS1_3repE0EEENS1_48merge_mergepath_partition_config_static_selectorELNS0_4arch9wavefront6targetE1EEEvSL_,comdat
.Lfunc_end1265:
	.size	_ZN7rocprim17ROCPRIM_400000_NS6detail17trampoline_kernelINS0_14default_configENS1_38merge_sort_block_merge_config_selectorItNS0_10empty_typeEEEZZNS1_27merge_sort_block_merge_implIS3_N6thrust23THRUST_200600_302600_NS6detail15normal_iteratorINS9_10device_ptrItEEEEPS5_jNS1_19radix_merge_compareILb0ELb1EtNS0_19identity_decomposerEEEEE10hipError_tT0_T1_T2_jT3_P12ihipStream_tbPNSt15iterator_traitsISK_E10value_typeEPNSQ_ISL_E10value_typeEPSM_NS1_7vsmem_tEENKUlT_SK_SL_SM_E_clIPtSE_SF_SF_EESJ_SZ_SK_SL_SM_EUlSZ_E_NS1_11comp_targetILNS1_3genE5ELNS1_11target_archE942ELNS1_3gpuE9ELNS1_3repE0EEENS1_48merge_mergepath_partition_config_static_selectorELNS0_4arch9wavefront6targetE1EEEvSL_, .Lfunc_end1265-_ZN7rocprim17ROCPRIM_400000_NS6detail17trampoline_kernelINS0_14default_configENS1_38merge_sort_block_merge_config_selectorItNS0_10empty_typeEEEZZNS1_27merge_sort_block_merge_implIS3_N6thrust23THRUST_200600_302600_NS6detail15normal_iteratorINS9_10device_ptrItEEEEPS5_jNS1_19radix_merge_compareILb0ELb1EtNS0_19identity_decomposerEEEEE10hipError_tT0_T1_T2_jT3_P12ihipStream_tbPNSt15iterator_traitsISK_E10value_typeEPNSQ_ISL_E10value_typeEPSM_NS1_7vsmem_tEENKUlT_SK_SL_SM_E_clIPtSE_SF_SF_EESJ_SZ_SK_SL_SM_EUlSZ_E_NS1_11comp_targetILNS1_3genE5ELNS1_11target_archE942ELNS1_3gpuE9ELNS1_3repE0EEENS1_48merge_mergepath_partition_config_static_selectorELNS0_4arch9wavefront6targetE1EEEvSL_
                                        ; -- End function
	.section	.AMDGPU.csdata,"",@progbits
; Kernel info:
; codeLenInByte = 0
; NumSgprs: 4
; NumVgprs: 0
; NumAgprs: 0
; TotalNumVgprs: 0
; ScratchSize: 0
; MemoryBound: 0
; FloatMode: 240
; IeeeMode: 1
; LDSByteSize: 0 bytes/workgroup (compile time only)
; SGPRBlocks: 0
; VGPRBlocks: 0
; NumSGPRsForWavesPerEU: 4
; NumVGPRsForWavesPerEU: 1
; AccumOffset: 4
; Occupancy: 8
; WaveLimiterHint : 0
; COMPUTE_PGM_RSRC2:SCRATCH_EN: 0
; COMPUTE_PGM_RSRC2:USER_SGPR: 6
; COMPUTE_PGM_RSRC2:TRAP_HANDLER: 0
; COMPUTE_PGM_RSRC2:TGID_X_EN: 1
; COMPUTE_PGM_RSRC2:TGID_Y_EN: 0
; COMPUTE_PGM_RSRC2:TGID_Z_EN: 0
; COMPUTE_PGM_RSRC2:TIDIG_COMP_CNT: 0
; COMPUTE_PGM_RSRC3_GFX90A:ACCUM_OFFSET: 0
; COMPUTE_PGM_RSRC3_GFX90A:TG_SPLIT: 0
	.section	.text._ZN7rocprim17ROCPRIM_400000_NS6detail17trampoline_kernelINS0_14default_configENS1_38merge_sort_block_merge_config_selectorItNS0_10empty_typeEEEZZNS1_27merge_sort_block_merge_implIS3_N6thrust23THRUST_200600_302600_NS6detail15normal_iteratorINS9_10device_ptrItEEEEPS5_jNS1_19radix_merge_compareILb0ELb1EtNS0_19identity_decomposerEEEEE10hipError_tT0_T1_T2_jT3_P12ihipStream_tbPNSt15iterator_traitsISK_E10value_typeEPNSQ_ISL_E10value_typeEPSM_NS1_7vsmem_tEENKUlT_SK_SL_SM_E_clIPtSE_SF_SF_EESJ_SZ_SK_SL_SM_EUlSZ_E_NS1_11comp_targetILNS1_3genE4ELNS1_11target_archE910ELNS1_3gpuE8ELNS1_3repE0EEENS1_48merge_mergepath_partition_config_static_selectorELNS0_4arch9wavefront6targetE1EEEvSL_,"axG",@progbits,_ZN7rocprim17ROCPRIM_400000_NS6detail17trampoline_kernelINS0_14default_configENS1_38merge_sort_block_merge_config_selectorItNS0_10empty_typeEEEZZNS1_27merge_sort_block_merge_implIS3_N6thrust23THRUST_200600_302600_NS6detail15normal_iteratorINS9_10device_ptrItEEEEPS5_jNS1_19radix_merge_compareILb0ELb1EtNS0_19identity_decomposerEEEEE10hipError_tT0_T1_T2_jT3_P12ihipStream_tbPNSt15iterator_traitsISK_E10value_typeEPNSQ_ISL_E10value_typeEPSM_NS1_7vsmem_tEENKUlT_SK_SL_SM_E_clIPtSE_SF_SF_EESJ_SZ_SK_SL_SM_EUlSZ_E_NS1_11comp_targetILNS1_3genE4ELNS1_11target_archE910ELNS1_3gpuE8ELNS1_3repE0EEENS1_48merge_mergepath_partition_config_static_selectorELNS0_4arch9wavefront6targetE1EEEvSL_,comdat
	.protected	_ZN7rocprim17ROCPRIM_400000_NS6detail17trampoline_kernelINS0_14default_configENS1_38merge_sort_block_merge_config_selectorItNS0_10empty_typeEEEZZNS1_27merge_sort_block_merge_implIS3_N6thrust23THRUST_200600_302600_NS6detail15normal_iteratorINS9_10device_ptrItEEEEPS5_jNS1_19radix_merge_compareILb0ELb1EtNS0_19identity_decomposerEEEEE10hipError_tT0_T1_T2_jT3_P12ihipStream_tbPNSt15iterator_traitsISK_E10value_typeEPNSQ_ISL_E10value_typeEPSM_NS1_7vsmem_tEENKUlT_SK_SL_SM_E_clIPtSE_SF_SF_EESJ_SZ_SK_SL_SM_EUlSZ_E_NS1_11comp_targetILNS1_3genE4ELNS1_11target_archE910ELNS1_3gpuE8ELNS1_3repE0EEENS1_48merge_mergepath_partition_config_static_selectorELNS0_4arch9wavefront6targetE1EEEvSL_ ; -- Begin function _ZN7rocprim17ROCPRIM_400000_NS6detail17trampoline_kernelINS0_14default_configENS1_38merge_sort_block_merge_config_selectorItNS0_10empty_typeEEEZZNS1_27merge_sort_block_merge_implIS3_N6thrust23THRUST_200600_302600_NS6detail15normal_iteratorINS9_10device_ptrItEEEEPS5_jNS1_19radix_merge_compareILb0ELb1EtNS0_19identity_decomposerEEEEE10hipError_tT0_T1_T2_jT3_P12ihipStream_tbPNSt15iterator_traitsISK_E10value_typeEPNSQ_ISL_E10value_typeEPSM_NS1_7vsmem_tEENKUlT_SK_SL_SM_E_clIPtSE_SF_SF_EESJ_SZ_SK_SL_SM_EUlSZ_E_NS1_11comp_targetILNS1_3genE4ELNS1_11target_archE910ELNS1_3gpuE8ELNS1_3repE0EEENS1_48merge_mergepath_partition_config_static_selectorELNS0_4arch9wavefront6targetE1EEEvSL_
	.globl	_ZN7rocprim17ROCPRIM_400000_NS6detail17trampoline_kernelINS0_14default_configENS1_38merge_sort_block_merge_config_selectorItNS0_10empty_typeEEEZZNS1_27merge_sort_block_merge_implIS3_N6thrust23THRUST_200600_302600_NS6detail15normal_iteratorINS9_10device_ptrItEEEEPS5_jNS1_19radix_merge_compareILb0ELb1EtNS0_19identity_decomposerEEEEE10hipError_tT0_T1_T2_jT3_P12ihipStream_tbPNSt15iterator_traitsISK_E10value_typeEPNSQ_ISL_E10value_typeEPSM_NS1_7vsmem_tEENKUlT_SK_SL_SM_E_clIPtSE_SF_SF_EESJ_SZ_SK_SL_SM_EUlSZ_E_NS1_11comp_targetILNS1_3genE4ELNS1_11target_archE910ELNS1_3gpuE8ELNS1_3repE0EEENS1_48merge_mergepath_partition_config_static_selectorELNS0_4arch9wavefront6targetE1EEEvSL_
	.p2align	8
	.type	_ZN7rocprim17ROCPRIM_400000_NS6detail17trampoline_kernelINS0_14default_configENS1_38merge_sort_block_merge_config_selectorItNS0_10empty_typeEEEZZNS1_27merge_sort_block_merge_implIS3_N6thrust23THRUST_200600_302600_NS6detail15normal_iteratorINS9_10device_ptrItEEEEPS5_jNS1_19radix_merge_compareILb0ELb1EtNS0_19identity_decomposerEEEEE10hipError_tT0_T1_T2_jT3_P12ihipStream_tbPNSt15iterator_traitsISK_E10value_typeEPNSQ_ISL_E10value_typeEPSM_NS1_7vsmem_tEENKUlT_SK_SL_SM_E_clIPtSE_SF_SF_EESJ_SZ_SK_SL_SM_EUlSZ_E_NS1_11comp_targetILNS1_3genE4ELNS1_11target_archE910ELNS1_3gpuE8ELNS1_3repE0EEENS1_48merge_mergepath_partition_config_static_selectorELNS0_4arch9wavefront6targetE1EEEvSL_,@function
_ZN7rocprim17ROCPRIM_400000_NS6detail17trampoline_kernelINS0_14default_configENS1_38merge_sort_block_merge_config_selectorItNS0_10empty_typeEEEZZNS1_27merge_sort_block_merge_implIS3_N6thrust23THRUST_200600_302600_NS6detail15normal_iteratorINS9_10device_ptrItEEEEPS5_jNS1_19radix_merge_compareILb0ELb1EtNS0_19identity_decomposerEEEEE10hipError_tT0_T1_T2_jT3_P12ihipStream_tbPNSt15iterator_traitsISK_E10value_typeEPNSQ_ISL_E10value_typeEPSM_NS1_7vsmem_tEENKUlT_SK_SL_SM_E_clIPtSE_SF_SF_EESJ_SZ_SK_SL_SM_EUlSZ_E_NS1_11comp_targetILNS1_3genE4ELNS1_11target_archE910ELNS1_3gpuE8ELNS1_3repE0EEENS1_48merge_mergepath_partition_config_static_selectorELNS0_4arch9wavefront6targetE1EEEvSL_: ; @_ZN7rocprim17ROCPRIM_400000_NS6detail17trampoline_kernelINS0_14default_configENS1_38merge_sort_block_merge_config_selectorItNS0_10empty_typeEEEZZNS1_27merge_sort_block_merge_implIS3_N6thrust23THRUST_200600_302600_NS6detail15normal_iteratorINS9_10device_ptrItEEEEPS5_jNS1_19radix_merge_compareILb0ELb1EtNS0_19identity_decomposerEEEEE10hipError_tT0_T1_T2_jT3_P12ihipStream_tbPNSt15iterator_traitsISK_E10value_typeEPNSQ_ISL_E10value_typeEPSM_NS1_7vsmem_tEENKUlT_SK_SL_SM_E_clIPtSE_SF_SF_EESJ_SZ_SK_SL_SM_EUlSZ_E_NS1_11comp_targetILNS1_3genE4ELNS1_11target_archE910ELNS1_3gpuE8ELNS1_3repE0EEENS1_48merge_mergepath_partition_config_static_selectorELNS0_4arch9wavefront6targetE1EEEvSL_
; %bb.0:
	s_load_dword s0, s[4:5], 0x0
	v_lshl_or_b32 v0, s6, 7, v0
	s_waitcnt lgkmcnt(0)
	v_cmp_gt_u32_e32 vcc, s0, v0
	s_and_saveexec_b64 s[0:1], vcc
	s_cbranch_execz .LBB1266_6
; %bb.1:
	s_load_dwordx2 s[2:3], s[4:5], 0x4
	s_load_dwordx2 s[0:1], s[4:5], 0x20
	s_waitcnt lgkmcnt(0)
	s_lshr_b32 s6, s2, 9
	s_and_b32 s6, s6, 0x7ffffe
	s_add_i32 s7, s6, -1
	s_sub_i32 s6, 0, s6
	v_and_b32_e32 v1, s6, v0
	v_lshlrev_b32_e32 v1, 10, v1
	v_min_u32_e32 v2, s3, v1
	v_add_u32_e32 v1, s2, v1
	v_min_u32_e32 v4, s3, v1
	v_add_u32_e32 v1, s2, v4
	v_and_b32_e32 v3, s7, v0
	v_min_u32_e32 v1, s3, v1
	v_sub_u32_e32 v5, v1, v2
	v_lshlrev_b32_e32 v3, 10, v3
	v_min_u32_e32 v6, v5, v3
	v_sub_u32_e32 v3, v4, v2
	v_sub_u32_e32 v1, v1, v4
	v_sub_u32_e64 v1, v6, v1 clamp
	v_min_u32_e32 v7, v6, v3
	v_cmp_lt_u32_e32 vcc, v1, v7
	s_and_saveexec_b64 s[2:3], vcc
	s_cbranch_execz .LBB1266_5
; %bb.2:
	s_load_dwordx2 s[8:9], s[4:5], 0x10
	s_load_dword s6, s[4:5], 0x18
	v_mov_b32_e32 v5, 0
	v_mov_b32_e32 v3, v5
	v_lshlrev_b64 v[8:9], 1, v[2:3]
	s_waitcnt lgkmcnt(0)
	v_mov_b32_e32 v12, s9
	v_add_co_u32_e32 v3, vcc, s8, v8
	v_addc_co_u32_e32 v8, vcc, v12, v9, vcc
	v_lshlrev_b64 v[10:11], 1, v[4:5]
	v_add_co_u32_e32 v9, vcc, s8, v10
	v_addc_co_u32_e32 v10, vcc, v12, v11, vcc
	s_mov_b64 s[4:5], 0
.LBB1266_3:                             ; =>This Inner Loop Header: Depth=1
	v_add_u32_e32 v4, v7, v1
	v_and_b32_e32 v12, -2, v4
	v_lshrrev_b32_e32 v11, 1, v4
	v_add_co_u32_e32 v12, vcc, v3, v12
	v_xad_u32 v4, v11, -1, v6
	v_addc_co_u32_e32 v13, vcc, 0, v8, vcc
	global_load_ushort v14, v[12:13], off
	v_lshlrev_b64 v[12:13], 1, v[4:5]
	v_add_co_u32_e32 v12, vcc, v9, v12
	v_addc_co_u32_e32 v13, vcc, v10, v13, vcc
	global_load_ushort v4, v[12:13], off
	v_add_u32_e32 v12, 1, v11
	s_waitcnt vmcnt(1)
	v_and_b32_e32 v13, s6, v14
	s_waitcnt vmcnt(0)
	v_and_b32_e32 v4, s6, v4
	v_cmp_gt_u16_e32 vcc, v13, v4
	v_cndmask_b32_e32 v7, v7, v11, vcc
	v_cndmask_b32_e32 v1, v12, v1, vcc
	v_cmp_ge_u32_e32 vcc, v1, v7
	s_or_b64 s[4:5], vcc, s[4:5]
	s_andn2_b64 exec, exec, s[4:5]
	s_cbranch_execnz .LBB1266_3
; %bb.4:
	s_or_b64 exec, exec, s[4:5]
.LBB1266_5:
	s_or_b64 exec, exec, s[2:3]
	v_add_u32_e32 v2, v1, v2
	v_mov_b32_e32 v1, 0
	v_lshlrev_b64 v[0:1], 2, v[0:1]
	v_mov_b32_e32 v3, s1
	v_add_co_u32_e32 v0, vcc, s0, v0
	v_addc_co_u32_e32 v1, vcc, v3, v1, vcc
	global_store_dword v[0:1], v2, off
.LBB1266_6:
	s_endpgm
	.section	.rodata,"a",@progbits
	.p2align	6, 0x0
	.amdhsa_kernel _ZN7rocprim17ROCPRIM_400000_NS6detail17trampoline_kernelINS0_14default_configENS1_38merge_sort_block_merge_config_selectorItNS0_10empty_typeEEEZZNS1_27merge_sort_block_merge_implIS3_N6thrust23THRUST_200600_302600_NS6detail15normal_iteratorINS9_10device_ptrItEEEEPS5_jNS1_19radix_merge_compareILb0ELb1EtNS0_19identity_decomposerEEEEE10hipError_tT0_T1_T2_jT3_P12ihipStream_tbPNSt15iterator_traitsISK_E10value_typeEPNSQ_ISL_E10value_typeEPSM_NS1_7vsmem_tEENKUlT_SK_SL_SM_E_clIPtSE_SF_SF_EESJ_SZ_SK_SL_SM_EUlSZ_E_NS1_11comp_targetILNS1_3genE4ELNS1_11target_archE910ELNS1_3gpuE8ELNS1_3repE0EEENS1_48merge_mergepath_partition_config_static_selectorELNS0_4arch9wavefront6targetE1EEEvSL_
		.amdhsa_group_segment_fixed_size 0
		.amdhsa_private_segment_fixed_size 0
		.amdhsa_kernarg_size 40
		.amdhsa_user_sgpr_count 6
		.amdhsa_user_sgpr_private_segment_buffer 1
		.amdhsa_user_sgpr_dispatch_ptr 0
		.amdhsa_user_sgpr_queue_ptr 0
		.amdhsa_user_sgpr_kernarg_segment_ptr 1
		.amdhsa_user_sgpr_dispatch_id 0
		.amdhsa_user_sgpr_flat_scratch_init 0
		.amdhsa_user_sgpr_kernarg_preload_length 0
		.amdhsa_user_sgpr_kernarg_preload_offset 0
		.amdhsa_user_sgpr_private_segment_size 0
		.amdhsa_uses_dynamic_stack 0
		.amdhsa_system_sgpr_private_segment_wavefront_offset 0
		.amdhsa_system_sgpr_workgroup_id_x 1
		.amdhsa_system_sgpr_workgroup_id_y 0
		.amdhsa_system_sgpr_workgroup_id_z 0
		.amdhsa_system_sgpr_workgroup_info 0
		.amdhsa_system_vgpr_workitem_id 0
		.amdhsa_next_free_vgpr 15
		.amdhsa_next_free_sgpr 10
		.amdhsa_accum_offset 16
		.amdhsa_reserve_vcc 1
		.amdhsa_reserve_flat_scratch 0
		.amdhsa_float_round_mode_32 0
		.amdhsa_float_round_mode_16_64 0
		.amdhsa_float_denorm_mode_32 3
		.amdhsa_float_denorm_mode_16_64 3
		.amdhsa_dx10_clamp 1
		.amdhsa_ieee_mode 1
		.amdhsa_fp16_overflow 0
		.amdhsa_tg_split 0
		.amdhsa_exception_fp_ieee_invalid_op 0
		.amdhsa_exception_fp_denorm_src 0
		.amdhsa_exception_fp_ieee_div_zero 0
		.amdhsa_exception_fp_ieee_overflow 0
		.amdhsa_exception_fp_ieee_underflow 0
		.amdhsa_exception_fp_ieee_inexact 0
		.amdhsa_exception_int_div_zero 0
	.end_amdhsa_kernel
	.section	.text._ZN7rocprim17ROCPRIM_400000_NS6detail17trampoline_kernelINS0_14default_configENS1_38merge_sort_block_merge_config_selectorItNS0_10empty_typeEEEZZNS1_27merge_sort_block_merge_implIS3_N6thrust23THRUST_200600_302600_NS6detail15normal_iteratorINS9_10device_ptrItEEEEPS5_jNS1_19radix_merge_compareILb0ELb1EtNS0_19identity_decomposerEEEEE10hipError_tT0_T1_T2_jT3_P12ihipStream_tbPNSt15iterator_traitsISK_E10value_typeEPNSQ_ISL_E10value_typeEPSM_NS1_7vsmem_tEENKUlT_SK_SL_SM_E_clIPtSE_SF_SF_EESJ_SZ_SK_SL_SM_EUlSZ_E_NS1_11comp_targetILNS1_3genE4ELNS1_11target_archE910ELNS1_3gpuE8ELNS1_3repE0EEENS1_48merge_mergepath_partition_config_static_selectorELNS0_4arch9wavefront6targetE1EEEvSL_,"axG",@progbits,_ZN7rocprim17ROCPRIM_400000_NS6detail17trampoline_kernelINS0_14default_configENS1_38merge_sort_block_merge_config_selectorItNS0_10empty_typeEEEZZNS1_27merge_sort_block_merge_implIS3_N6thrust23THRUST_200600_302600_NS6detail15normal_iteratorINS9_10device_ptrItEEEEPS5_jNS1_19radix_merge_compareILb0ELb1EtNS0_19identity_decomposerEEEEE10hipError_tT0_T1_T2_jT3_P12ihipStream_tbPNSt15iterator_traitsISK_E10value_typeEPNSQ_ISL_E10value_typeEPSM_NS1_7vsmem_tEENKUlT_SK_SL_SM_E_clIPtSE_SF_SF_EESJ_SZ_SK_SL_SM_EUlSZ_E_NS1_11comp_targetILNS1_3genE4ELNS1_11target_archE910ELNS1_3gpuE8ELNS1_3repE0EEENS1_48merge_mergepath_partition_config_static_selectorELNS0_4arch9wavefront6targetE1EEEvSL_,comdat
.Lfunc_end1266:
	.size	_ZN7rocprim17ROCPRIM_400000_NS6detail17trampoline_kernelINS0_14default_configENS1_38merge_sort_block_merge_config_selectorItNS0_10empty_typeEEEZZNS1_27merge_sort_block_merge_implIS3_N6thrust23THRUST_200600_302600_NS6detail15normal_iteratorINS9_10device_ptrItEEEEPS5_jNS1_19radix_merge_compareILb0ELb1EtNS0_19identity_decomposerEEEEE10hipError_tT0_T1_T2_jT3_P12ihipStream_tbPNSt15iterator_traitsISK_E10value_typeEPNSQ_ISL_E10value_typeEPSM_NS1_7vsmem_tEENKUlT_SK_SL_SM_E_clIPtSE_SF_SF_EESJ_SZ_SK_SL_SM_EUlSZ_E_NS1_11comp_targetILNS1_3genE4ELNS1_11target_archE910ELNS1_3gpuE8ELNS1_3repE0EEENS1_48merge_mergepath_partition_config_static_selectorELNS0_4arch9wavefront6targetE1EEEvSL_, .Lfunc_end1266-_ZN7rocprim17ROCPRIM_400000_NS6detail17trampoline_kernelINS0_14default_configENS1_38merge_sort_block_merge_config_selectorItNS0_10empty_typeEEEZZNS1_27merge_sort_block_merge_implIS3_N6thrust23THRUST_200600_302600_NS6detail15normal_iteratorINS9_10device_ptrItEEEEPS5_jNS1_19radix_merge_compareILb0ELb1EtNS0_19identity_decomposerEEEEE10hipError_tT0_T1_T2_jT3_P12ihipStream_tbPNSt15iterator_traitsISK_E10value_typeEPNSQ_ISL_E10value_typeEPSM_NS1_7vsmem_tEENKUlT_SK_SL_SM_E_clIPtSE_SF_SF_EESJ_SZ_SK_SL_SM_EUlSZ_E_NS1_11comp_targetILNS1_3genE4ELNS1_11target_archE910ELNS1_3gpuE8ELNS1_3repE0EEENS1_48merge_mergepath_partition_config_static_selectorELNS0_4arch9wavefront6targetE1EEEvSL_
                                        ; -- End function
	.section	.AMDGPU.csdata,"",@progbits
; Kernel info:
; codeLenInByte = 372
; NumSgprs: 14
; NumVgprs: 15
; NumAgprs: 0
; TotalNumVgprs: 15
; ScratchSize: 0
; MemoryBound: 0
; FloatMode: 240
; IeeeMode: 1
; LDSByteSize: 0 bytes/workgroup (compile time only)
; SGPRBlocks: 1
; VGPRBlocks: 1
; NumSGPRsForWavesPerEU: 14
; NumVGPRsForWavesPerEU: 15
; AccumOffset: 16
; Occupancy: 8
; WaveLimiterHint : 0
; COMPUTE_PGM_RSRC2:SCRATCH_EN: 0
; COMPUTE_PGM_RSRC2:USER_SGPR: 6
; COMPUTE_PGM_RSRC2:TRAP_HANDLER: 0
; COMPUTE_PGM_RSRC2:TGID_X_EN: 1
; COMPUTE_PGM_RSRC2:TGID_Y_EN: 0
; COMPUTE_PGM_RSRC2:TGID_Z_EN: 0
; COMPUTE_PGM_RSRC2:TIDIG_COMP_CNT: 0
; COMPUTE_PGM_RSRC3_GFX90A:ACCUM_OFFSET: 3
; COMPUTE_PGM_RSRC3_GFX90A:TG_SPLIT: 0
	.section	.text._ZN7rocprim17ROCPRIM_400000_NS6detail17trampoline_kernelINS0_14default_configENS1_38merge_sort_block_merge_config_selectorItNS0_10empty_typeEEEZZNS1_27merge_sort_block_merge_implIS3_N6thrust23THRUST_200600_302600_NS6detail15normal_iteratorINS9_10device_ptrItEEEEPS5_jNS1_19radix_merge_compareILb0ELb1EtNS0_19identity_decomposerEEEEE10hipError_tT0_T1_T2_jT3_P12ihipStream_tbPNSt15iterator_traitsISK_E10value_typeEPNSQ_ISL_E10value_typeEPSM_NS1_7vsmem_tEENKUlT_SK_SL_SM_E_clIPtSE_SF_SF_EESJ_SZ_SK_SL_SM_EUlSZ_E_NS1_11comp_targetILNS1_3genE3ELNS1_11target_archE908ELNS1_3gpuE7ELNS1_3repE0EEENS1_48merge_mergepath_partition_config_static_selectorELNS0_4arch9wavefront6targetE1EEEvSL_,"axG",@progbits,_ZN7rocprim17ROCPRIM_400000_NS6detail17trampoline_kernelINS0_14default_configENS1_38merge_sort_block_merge_config_selectorItNS0_10empty_typeEEEZZNS1_27merge_sort_block_merge_implIS3_N6thrust23THRUST_200600_302600_NS6detail15normal_iteratorINS9_10device_ptrItEEEEPS5_jNS1_19radix_merge_compareILb0ELb1EtNS0_19identity_decomposerEEEEE10hipError_tT0_T1_T2_jT3_P12ihipStream_tbPNSt15iterator_traitsISK_E10value_typeEPNSQ_ISL_E10value_typeEPSM_NS1_7vsmem_tEENKUlT_SK_SL_SM_E_clIPtSE_SF_SF_EESJ_SZ_SK_SL_SM_EUlSZ_E_NS1_11comp_targetILNS1_3genE3ELNS1_11target_archE908ELNS1_3gpuE7ELNS1_3repE0EEENS1_48merge_mergepath_partition_config_static_selectorELNS0_4arch9wavefront6targetE1EEEvSL_,comdat
	.protected	_ZN7rocprim17ROCPRIM_400000_NS6detail17trampoline_kernelINS0_14default_configENS1_38merge_sort_block_merge_config_selectorItNS0_10empty_typeEEEZZNS1_27merge_sort_block_merge_implIS3_N6thrust23THRUST_200600_302600_NS6detail15normal_iteratorINS9_10device_ptrItEEEEPS5_jNS1_19radix_merge_compareILb0ELb1EtNS0_19identity_decomposerEEEEE10hipError_tT0_T1_T2_jT3_P12ihipStream_tbPNSt15iterator_traitsISK_E10value_typeEPNSQ_ISL_E10value_typeEPSM_NS1_7vsmem_tEENKUlT_SK_SL_SM_E_clIPtSE_SF_SF_EESJ_SZ_SK_SL_SM_EUlSZ_E_NS1_11comp_targetILNS1_3genE3ELNS1_11target_archE908ELNS1_3gpuE7ELNS1_3repE0EEENS1_48merge_mergepath_partition_config_static_selectorELNS0_4arch9wavefront6targetE1EEEvSL_ ; -- Begin function _ZN7rocprim17ROCPRIM_400000_NS6detail17trampoline_kernelINS0_14default_configENS1_38merge_sort_block_merge_config_selectorItNS0_10empty_typeEEEZZNS1_27merge_sort_block_merge_implIS3_N6thrust23THRUST_200600_302600_NS6detail15normal_iteratorINS9_10device_ptrItEEEEPS5_jNS1_19radix_merge_compareILb0ELb1EtNS0_19identity_decomposerEEEEE10hipError_tT0_T1_T2_jT3_P12ihipStream_tbPNSt15iterator_traitsISK_E10value_typeEPNSQ_ISL_E10value_typeEPSM_NS1_7vsmem_tEENKUlT_SK_SL_SM_E_clIPtSE_SF_SF_EESJ_SZ_SK_SL_SM_EUlSZ_E_NS1_11comp_targetILNS1_3genE3ELNS1_11target_archE908ELNS1_3gpuE7ELNS1_3repE0EEENS1_48merge_mergepath_partition_config_static_selectorELNS0_4arch9wavefront6targetE1EEEvSL_
	.globl	_ZN7rocprim17ROCPRIM_400000_NS6detail17trampoline_kernelINS0_14default_configENS1_38merge_sort_block_merge_config_selectorItNS0_10empty_typeEEEZZNS1_27merge_sort_block_merge_implIS3_N6thrust23THRUST_200600_302600_NS6detail15normal_iteratorINS9_10device_ptrItEEEEPS5_jNS1_19radix_merge_compareILb0ELb1EtNS0_19identity_decomposerEEEEE10hipError_tT0_T1_T2_jT3_P12ihipStream_tbPNSt15iterator_traitsISK_E10value_typeEPNSQ_ISL_E10value_typeEPSM_NS1_7vsmem_tEENKUlT_SK_SL_SM_E_clIPtSE_SF_SF_EESJ_SZ_SK_SL_SM_EUlSZ_E_NS1_11comp_targetILNS1_3genE3ELNS1_11target_archE908ELNS1_3gpuE7ELNS1_3repE0EEENS1_48merge_mergepath_partition_config_static_selectorELNS0_4arch9wavefront6targetE1EEEvSL_
	.p2align	8
	.type	_ZN7rocprim17ROCPRIM_400000_NS6detail17trampoline_kernelINS0_14default_configENS1_38merge_sort_block_merge_config_selectorItNS0_10empty_typeEEEZZNS1_27merge_sort_block_merge_implIS3_N6thrust23THRUST_200600_302600_NS6detail15normal_iteratorINS9_10device_ptrItEEEEPS5_jNS1_19radix_merge_compareILb0ELb1EtNS0_19identity_decomposerEEEEE10hipError_tT0_T1_T2_jT3_P12ihipStream_tbPNSt15iterator_traitsISK_E10value_typeEPNSQ_ISL_E10value_typeEPSM_NS1_7vsmem_tEENKUlT_SK_SL_SM_E_clIPtSE_SF_SF_EESJ_SZ_SK_SL_SM_EUlSZ_E_NS1_11comp_targetILNS1_3genE3ELNS1_11target_archE908ELNS1_3gpuE7ELNS1_3repE0EEENS1_48merge_mergepath_partition_config_static_selectorELNS0_4arch9wavefront6targetE1EEEvSL_,@function
_ZN7rocprim17ROCPRIM_400000_NS6detail17trampoline_kernelINS0_14default_configENS1_38merge_sort_block_merge_config_selectorItNS0_10empty_typeEEEZZNS1_27merge_sort_block_merge_implIS3_N6thrust23THRUST_200600_302600_NS6detail15normal_iteratorINS9_10device_ptrItEEEEPS5_jNS1_19radix_merge_compareILb0ELb1EtNS0_19identity_decomposerEEEEE10hipError_tT0_T1_T2_jT3_P12ihipStream_tbPNSt15iterator_traitsISK_E10value_typeEPNSQ_ISL_E10value_typeEPSM_NS1_7vsmem_tEENKUlT_SK_SL_SM_E_clIPtSE_SF_SF_EESJ_SZ_SK_SL_SM_EUlSZ_E_NS1_11comp_targetILNS1_3genE3ELNS1_11target_archE908ELNS1_3gpuE7ELNS1_3repE0EEENS1_48merge_mergepath_partition_config_static_selectorELNS0_4arch9wavefront6targetE1EEEvSL_: ; @_ZN7rocprim17ROCPRIM_400000_NS6detail17trampoline_kernelINS0_14default_configENS1_38merge_sort_block_merge_config_selectorItNS0_10empty_typeEEEZZNS1_27merge_sort_block_merge_implIS3_N6thrust23THRUST_200600_302600_NS6detail15normal_iteratorINS9_10device_ptrItEEEEPS5_jNS1_19radix_merge_compareILb0ELb1EtNS0_19identity_decomposerEEEEE10hipError_tT0_T1_T2_jT3_P12ihipStream_tbPNSt15iterator_traitsISK_E10value_typeEPNSQ_ISL_E10value_typeEPSM_NS1_7vsmem_tEENKUlT_SK_SL_SM_E_clIPtSE_SF_SF_EESJ_SZ_SK_SL_SM_EUlSZ_E_NS1_11comp_targetILNS1_3genE3ELNS1_11target_archE908ELNS1_3gpuE7ELNS1_3repE0EEENS1_48merge_mergepath_partition_config_static_selectorELNS0_4arch9wavefront6targetE1EEEvSL_
; %bb.0:
	.section	.rodata,"a",@progbits
	.p2align	6, 0x0
	.amdhsa_kernel _ZN7rocprim17ROCPRIM_400000_NS6detail17trampoline_kernelINS0_14default_configENS1_38merge_sort_block_merge_config_selectorItNS0_10empty_typeEEEZZNS1_27merge_sort_block_merge_implIS3_N6thrust23THRUST_200600_302600_NS6detail15normal_iteratorINS9_10device_ptrItEEEEPS5_jNS1_19radix_merge_compareILb0ELb1EtNS0_19identity_decomposerEEEEE10hipError_tT0_T1_T2_jT3_P12ihipStream_tbPNSt15iterator_traitsISK_E10value_typeEPNSQ_ISL_E10value_typeEPSM_NS1_7vsmem_tEENKUlT_SK_SL_SM_E_clIPtSE_SF_SF_EESJ_SZ_SK_SL_SM_EUlSZ_E_NS1_11comp_targetILNS1_3genE3ELNS1_11target_archE908ELNS1_3gpuE7ELNS1_3repE0EEENS1_48merge_mergepath_partition_config_static_selectorELNS0_4arch9wavefront6targetE1EEEvSL_
		.amdhsa_group_segment_fixed_size 0
		.amdhsa_private_segment_fixed_size 0
		.amdhsa_kernarg_size 40
		.amdhsa_user_sgpr_count 6
		.amdhsa_user_sgpr_private_segment_buffer 1
		.amdhsa_user_sgpr_dispatch_ptr 0
		.amdhsa_user_sgpr_queue_ptr 0
		.amdhsa_user_sgpr_kernarg_segment_ptr 1
		.amdhsa_user_sgpr_dispatch_id 0
		.amdhsa_user_sgpr_flat_scratch_init 0
		.amdhsa_user_sgpr_kernarg_preload_length 0
		.amdhsa_user_sgpr_kernarg_preload_offset 0
		.amdhsa_user_sgpr_private_segment_size 0
		.amdhsa_uses_dynamic_stack 0
		.amdhsa_system_sgpr_private_segment_wavefront_offset 0
		.amdhsa_system_sgpr_workgroup_id_x 1
		.amdhsa_system_sgpr_workgroup_id_y 0
		.amdhsa_system_sgpr_workgroup_id_z 0
		.amdhsa_system_sgpr_workgroup_info 0
		.amdhsa_system_vgpr_workitem_id 0
		.amdhsa_next_free_vgpr 1
		.amdhsa_next_free_sgpr 0
		.amdhsa_accum_offset 4
		.amdhsa_reserve_vcc 0
		.amdhsa_reserve_flat_scratch 0
		.amdhsa_float_round_mode_32 0
		.amdhsa_float_round_mode_16_64 0
		.amdhsa_float_denorm_mode_32 3
		.amdhsa_float_denorm_mode_16_64 3
		.amdhsa_dx10_clamp 1
		.amdhsa_ieee_mode 1
		.amdhsa_fp16_overflow 0
		.amdhsa_tg_split 0
		.amdhsa_exception_fp_ieee_invalid_op 0
		.amdhsa_exception_fp_denorm_src 0
		.amdhsa_exception_fp_ieee_div_zero 0
		.amdhsa_exception_fp_ieee_overflow 0
		.amdhsa_exception_fp_ieee_underflow 0
		.amdhsa_exception_fp_ieee_inexact 0
		.amdhsa_exception_int_div_zero 0
	.end_amdhsa_kernel
	.section	.text._ZN7rocprim17ROCPRIM_400000_NS6detail17trampoline_kernelINS0_14default_configENS1_38merge_sort_block_merge_config_selectorItNS0_10empty_typeEEEZZNS1_27merge_sort_block_merge_implIS3_N6thrust23THRUST_200600_302600_NS6detail15normal_iteratorINS9_10device_ptrItEEEEPS5_jNS1_19radix_merge_compareILb0ELb1EtNS0_19identity_decomposerEEEEE10hipError_tT0_T1_T2_jT3_P12ihipStream_tbPNSt15iterator_traitsISK_E10value_typeEPNSQ_ISL_E10value_typeEPSM_NS1_7vsmem_tEENKUlT_SK_SL_SM_E_clIPtSE_SF_SF_EESJ_SZ_SK_SL_SM_EUlSZ_E_NS1_11comp_targetILNS1_3genE3ELNS1_11target_archE908ELNS1_3gpuE7ELNS1_3repE0EEENS1_48merge_mergepath_partition_config_static_selectorELNS0_4arch9wavefront6targetE1EEEvSL_,"axG",@progbits,_ZN7rocprim17ROCPRIM_400000_NS6detail17trampoline_kernelINS0_14default_configENS1_38merge_sort_block_merge_config_selectorItNS0_10empty_typeEEEZZNS1_27merge_sort_block_merge_implIS3_N6thrust23THRUST_200600_302600_NS6detail15normal_iteratorINS9_10device_ptrItEEEEPS5_jNS1_19radix_merge_compareILb0ELb1EtNS0_19identity_decomposerEEEEE10hipError_tT0_T1_T2_jT3_P12ihipStream_tbPNSt15iterator_traitsISK_E10value_typeEPNSQ_ISL_E10value_typeEPSM_NS1_7vsmem_tEENKUlT_SK_SL_SM_E_clIPtSE_SF_SF_EESJ_SZ_SK_SL_SM_EUlSZ_E_NS1_11comp_targetILNS1_3genE3ELNS1_11target_archE908ELNS1_3gpuE7ELNS1_3repE0EEENS1_48merge_mergepath_partition_config_static_selectorELNS0_4arch9wavefront6targetE1EEEvSL_,comdat
.Lfunc_end1267:
	.size	_ZN7rocprim17ROCPRIM_400000_NS6detail17trampoline_kernelINS0_14default_configENS1_38merge_sort_block_merge_config_selectorItNS0_10empty_typeEEEZZNS1_27merge_sort_block_merge_implIS3_N6thrust23THRUST_200600_302600_NS6detail15normal_iteratorINS9_10device_ptrItEEEEPS5_jNS1_19radix_merge_compareILb0ELb1EtNS0_19identity_decomposerEEEEE10hipError_tT0_T1_T2_jT3_P12ihipStream_tbPNSt15iterator_traitsISK_E10value_typeEPNSQ_ISL_E10value_typeEPSM_NS1_7vsmem_tEENKUlT_SK_SL_SM_E_clIPtSE_SF_SF_EESJ_SZ_SK_SL_SM_EUlSZ_E_NS1_11comp_targetILNS1_3genE3ELNS1_11target_archE908ELNS1_3gpuE7ELNS1_3repE0EEENS1_48merge_mergepath_partition_config_static_selectorELNS0_4arch9wavefront6targetE1EEEvSL_, .Lfunc_end1267-_ZN7rocprim17ROCPRIM_400000_NS6detail17trampoline_kernelINS0_14default_configENS1_38merge_sort_block_merge_config_selectorItNS0_10empty_typeEEEZZNS1_27merge_sort_block_merge_implIS3_N6thrust23THRUST_200600_302600_NS6detail15normal_iteratorINS9_10device_ptrItEEEEPS5_jNS1_19radix_merge_compareILb0ELb1EtNS0_19identity_decomposerEEEEE10hipError_tT0_T1_T2_jT3_P12ihipStream_tbPNSt15iterator_traitsISK_E10value_typeEPNSQ_ISL_E10value_typeEPSM_NS1_7vsmem_tEENKUlT_SK_SL_SM_E_clIPtSE_SF_SF_EESJ_SZ_SK_SL_SM_EUlSZ_E_NS1_11comp_targetILNS1_3genE3ELNS1_11target_archE908ELNS1_3gpuE7ELNS1_3repE0EEENS1_48merge_mergepath_partition_config_static_selectorELNS0_4arch9wavefront6targetE1EEEvSL_
                                        ; -- End function
	.section	.AMDGPU.csdata,"",@progbits
; Kernel info:
; codeLenInByte = 0
; NumSgprs: 4
; NumVgprs: 0
; NumAgprs: 0
; TotalNumVgprs: 0
; ScratchSize: 0
; MemoryBound: 0
; FloatMode: 240
; IeeeMode: 1
; LDSByteSize: 0 bytes/workgroup (compile time only)
; SGPRBlocks: 0
; VGPRBlocks: 0
; NumSGPRsForWavesPerEU: 4
; NumVGPRsForWavesPerEU: 1
; AccumOffset: 4
; Occupancy: 8
; WaveLimiterHint : 0
; COMPUTE_PGM_RSRC2:SCRATCH_EN: 0
; COMPUTE_PGM_RSRC2:USER_SGPR: 6
; COMPUTE_PGM_RSRC2:TRAP_HANDLER: 0
; COMPUTE_PGM_RSRC2:TGID_X_EN: 1
; COMPUTE_PGM_RSRC2:TGID_Y_EN: 0
; COMPUTE_PGM_RSRC2:TGID_Z_EN: 0
; COMPUTE_PGM_RSRC2:TIDIG_COMP_CNT: 0
; COMPUTE_PGM_RSRC3_GFX90A:ACCUM_OFFSET: 0
; COMPUTE_PGM_RSRC3_GFX90A:TG_SPLIT: 0
	.section	.text._ZN7rocprim17ROCPRIM_400000_NS6detail17trampoline_kernelINS0_14default_configENS1_38merge_sort_block_merge_config_selectorItNS0_10empty_typeEEEZZNS1_27merge_sort_block_merge_implIS3_N6thrust23THRUST_200600_302600_NS6detail15normal_iteratorINS9_10device_ptrItEEEEPS5_jNS1_19radix_merge_compareILb0ELb1EtNS0_19identity_decomposerEEEEE10hipError_tT0_T1_T2_jT3_P12ihipStream_tbPNSt15iterator_traitsISK_E10value_typeEPNSQ_ISL_E10value_typeEPSM_NS1_7vsmem_tEENKUlT_SK_SL_SM_E_clIPtSE_SF_SF_EESJ_SZ_SK_SL_SM_EUlSZ_E_NS1_11comp_targetILNS1_3genE2ELNS1_11target_archE906ELNS1_3gpuE6ELNS1_3repE0EEENS1_48merge_mergepath_partition_config_static_selectorELNS0_4arch9wavefront6targetE1EEEvSL_,"axG",@progbits,_ZN7rocprim17ROCPRIM_400000_NS6detail17trampoline_kernelINS0_14default_configENS1_38merge_sort_block_merge_config_selectorItNS0_10empty_typeEEEZZNS1_27merge_sort_block_merge_implIS3_N6thrust23THRUST_200600_302600_NS6detail15normal_iteratorINS9_10device_ptrItEEEEPS5_jNS1_19radix_merge_compareILb0ELb1EtNS0_19identity_decomposerEEEEE10hipError_tT0_T1_T2_jT3_P12ihipStream_tbPNSt15iterator_traitsISK_E10value_typeEPNSQ_ISL_E10value_typeEPSM_NS1_7vsmem_tEENKUlT_SK_SL_SM_E_clIPtSE_SF_SF_EESJ_SZ_SK_SL_SM_EUlSZ_E_NS1_11comp_targetILNS1_3genE2ELNS1_11target_archE906ELNS1_3gpuE6ELNS1_3repE0EEENS1_48merge_mergepath_partition_config_static_selectorELNS0_4arch9wavefront6targetE1EEEvSL_,comdat
	.protected	_ZN7rocprim17ROCPRIM_400000_NS6detail17trampoline_kernelINS0_14default_configENS1_38merge_sort_block_merge_config_selectorItNS0_10empty_typeEEEZZNS1_27merge_sort_block_merge_implIS3_N6thrust23THRUST_200600_302600_NS6detail15normal_iteratorINS9_10device_ptrItEEEEPS5_jNS1_19radix_merge_compareILb0ELb1EtNS0_19identity_decomposerEEEEE10hipError_tT0_T1_T2_jT3_P12ihipStream_tbPNSt15iterator_traitsISK_E10value_typeEPNSQ_ISL_E10value_typeEPSM_NS1_7vsmem_tEENKUlT_SK_SL_SM_E_clIPtSE_SF_SF_EESJ_SZ_SK_SL_SM_EUlSZ_E_NS1_11comp_targetILNS1_3genE2ELNS1_11target_archE906ELNS1_3gpuE6ELNS1_3repE0EEENS1_48merge_mergepath_partition_config_static_selectorELNS0_4arch9wavefront6targetE1EEEvSL_ ; -- Begin function _ZN7rocprim17ROCPRIM_400000_NS6detail17trampoline_kernelINS0_14default_configENS1_38merge_sort_block_merge_config_selectorItNS0_10empty_typeEEEZZNS1_27merge_sort_block_merge_implIS3_N6thrust23THRUST_200600_302600_NS6detail15normal_iteratorINS9_10device_ptrItEEEEPS5_jNS1_19radix_merge_compareILb0ELb1EtNS0_19identity_decomposerEEEEE10hipError_tT0_T1_T2_jT3_P12ihipStream_tbPNSt15iterator_traitsISK_E10value_typeEPNSQ_ISL_E10value_typeEPSM_NS1_7vsmem_tEENKUlT_SK_SL_SM_E_clIPtSE_SF_SF_EESJ_SZ_SK_SL_SM_EUlSZ_E_NS1_11comp_targetILNS1_3genE2ELNS1_11target_archE906ELNS1_3gpuE6ELNS1_3repE0EEENS1_48merge_mergepath_partition_config_static_selectorELNS0_4arch9wavefront6targetE1EEEvSL_
	.globl	_ZN7rocprim17ROCPRIM_400000_NS6detail17trampoline_kernelINS0_14default_configENS1_38merge_sort_block_merge_config_selectorItNS0_10empty_typeEEEZZNS1_27merge_sort_block_merge_implIS3_N6thrust23THRUST_200600_302600_NS6detail15normal_iteratorINS9_10device_ptrItEEEEPS5_jNS1_19radix_merge_compareILb0ELb1EtNS0_19identity_decomposerEEEEE10hipError_tT0_T1_T2_jT3_P12ihipStream_tbPNSt15iterator_traitsISK_E10value_typeEPNSQ_ISL_E10value_typeEPSM_NS1_7vsmem_tEENKUlT_SK_SL_SM_E_clIPtSE_SF_SF_EESJ_SZ_SK_SL_SM_EUlSZ_E_NS1_11comp_targetILNS1_3genE2ELNS1_11target_archE906ELNS1_3gpuE6ELNS1_3repE0EEENS1_48merge_mergepath_partition_config_static_selectorELNS0_4arch9wavefront6targetE1EEEvSL_
	.p2align	8
	.type	_ZN7rocprim17ROCPRIM_400000_NS6detail17trampoline_kernelINS0_14default_configENS1_38merge_sort_block_merge_config_selectorItNS0_10empty_typeEEEZZNS1_27merge_sort_block_merge_implIS3_N6thrust23THRUST_200600_302600_NS6detail15normal_iteratorINS9_10device_ptrItEEEEPS5_jNS1_19radix_merge_compareILb0ELb1EtNS0_19identity_decomposerEEEEE10hipError_tT0_T1_T2_jT3_P12ihipStream_tbPNSt15iterator_traitsISK_E10value_typeEPNSQ_ISL_E10value_typeEPSM_NS1_7vsmem_tEENKUlT_SK_SL_SM_E_clIPtSE_SF_SF_EESJ_SZ_SK_SL_SM_EUlSZ_E_NS1_11comp_targetILNS1_3genE2ELNS1_11target_archE906ELNS1_3gpuE6ELNS1_3repE0EEENS1_48merge_mergepath_partition_config_static_selectorELNS0_4arch9wavefront6targetE1EEEvSL_,@function
_ZN7rocprim17ROCPRIM_400000_NS6detail17trampoline_kernelINS0_14default_configENS1_38merge_sort_block_merge_config_selectorItNS0_10empty_typeEEEZZNS1_27merge_sort_block_merge_implIS3_N6thrust23THRUST_200600_302600_NS6detail15normal_iteratorINS9_10device_ptrItEEEEPS5_jNS1_19radix_merge_compareILb0ELb1EtNS0_19identity_decomposerEEEEE10hipError_tT0_T1_T2_jT3_P12ihipStream_tbPNSt15iterator_traitsISK_E10value_typeEPNSQ_ISL_E10value_typeEPSM_NS1_7vsmem_tEENKUlT_SK_SL_SM_E_clIPtSE_SF_SF_EESJ_SZ_SK_SL_SM_EUlSZ_E_NS1_11comp_targetILNS1_3genE2ELNS1_11target_archE906ELNS1_3gpuE6ELNS1_3repE0EEENS1_48merge_mergepath_partition_config_static_selectorELNS0_4arch9wavefront6targetE1EEEvSL_: ; @_ZN7rocprim17ROCPRIM_400000_NS6detail17trampoline_kernelINS0_14default_configENS1_38merge_sort_block_merge_config_selectorItNS0_10empty_typeEEEZZNS1_27merge_sort_block_merge_implIS3_N6thrust23THRUST_200600_302600_NS6detail15normal_iteratorINS9_10device_ptrItEEEEPS5_jNS1_19radix_merge_compareILb0ELb1EtNS0_19identity_decomposerEEEEE10hipError_tT0_T1_T2_jT3_P12ihipStream_tbPNSt15iterator_traitsISK_E10value_typeEPNSQ_ISL_E10value_typeEPSM_NS1_7vsmem_tEENKUlT_SK_SL_SM_E_clIPtSE_SF_SF_EESJ_SZ_SK_SL_SM_EUlSZ_E_NS1_11comp_targetILNS1_3genE2ELNS1_11target_archE906ELNS1_3gpuE6ELNS1_3repE0EEENS1_48merge_mergepath_partition_config_static_selectorELNS0_4arch9wavefront6targetE1EEEvSL_
; %bb.0:
	.section	.rodata,"a",@progbits
	.p2align	6, 0x0
	.amdhsa_kernel _ZN7rocprim17ROCPRIM_400000_NS6detail17trampoline_kernelINS0_14default_configENS1_38merge_sort_block_merge_config_selectorItNS0_10empty_typeEEEZZNS1_27merge_sort_block_merge_implIS3_N6thrust23THRUST_200600_302600_NS6detail15normal_iteratorINS9_10device_ptrItEEEEPS5_jNS1_19radix_merge_compareILb0ELb1EtNS0_19identity_decomposerEEEEE10hipError_tT0_T1_T2_jT3_P12ihipStream_tbPNSt15iterator_traitsISK_E10value_typeEPNSQ_ISL_E10value_typeEPSM_NS1_7vsmem_tEENKUlT_SK_SL_SM_E_clIPtSE_SF_SF_EESJ_SZ_SK_SL_SM_EUlSZ_E_NS1_11comp_targetILNS1_3genE2ELNS1_11target_archE906ELNS1_3gpuE6ELNS1_3repE0EEENS1_48merge_mergepath_partition_config_static_selectorELNS0_4arch9wavefront6targetE1EEEvSL_
		.amdhsa_group_segment_fixed_size 0
		.amdhsa_private_segment_fixed_size 0
		.amdhsa_kernarg_size 40
		.amdhsa_user_sgpr_count 6
		.amdhsa_user_sgpr_private_segment_buffer 1
		.amdhsa_user_sgpr_dispatch_ptr 0
		.amdhsa_user_sgpr_queue_ptr 0
		.amdhsa_user_sgpr_kernarg_segment_ptr 1
		.amdhsa_user_sgpr_dispatch_id 0
		.amdhsa_user_sgpr_flat_scratch_init 0
		.amdhsa_user_sgpr_kernarg_preload_length 0
		.amdhsa_user_sgpr_kernarg_preload_offset 0
		.amdhsa_user_sgpr_private_segment_size 0
		.amdhsa_uses_dynamic_stack 0
		.amdhsa_system_sgpr_private_segment_wavefront_offset 0
		.amdhsa_system_sgpr_workgroup_id_x 1
		.amdhsa_system_sgpr_workgroup_id_y 0
		.amdhsa_system_sgpr_workgroup_id_z 0
		.amdhsa_system_sgpr_workgroup_info 0
		.amdhsa_system_vgpr_workitem_id 0
		.amdhsa_next_free_vgpr 1
		.amdhsa_next_free_sgpr 0
		.amdhsa_accum_offset 4
		.amdhsa_reserve_vcc 0
		.amdhsa_reserve_flat_scratch 0
		.amdhsa_float_round_mode_32 0
		.amdhsa_float_round_mode_16_64 0
		.amdhsa_float_denorm_mode_32 3
		.amdhsa_float_denorm_mode_16_64 3
		.amdhsa_dx10_clamp 1
		.amdhsa_ieee_mode 1
		.amdhsa_fp16_overflow 0
		.amdhsa_tg_split 0
		.amdhsa_exception_fp_ieee_invalid_op 0
		.amdhsa_exception_fp_denorm_src 0
		.amdhsa_exception_fp_ieee_div_zero 0
		.amdhsa_exception_fp_ieee_overflow 0
		.amdhsa_exception_fp_ieee_underflow 0
		.amdhsa_exception_fp_ieee_inexact 0
		.amdhsa_exception_int_div_zero 0
	.end_amdhsa_kernel
	.section	.text._ZN7rocprim17ROCPRIM_400000_NS6detail17trampoline_kernelINS0_14default_configENS1_38merge_sort_block_merge_config_selectorItNS0_10empty_typeEEEZZNS1_27merge_sort_block_merge_implIS3_N6thrust23THRUST_200600_302600_NS6detail15normal_iteratorINS9_10device_ptrItEEEEPS5_jNS1_19radix_merge_compareILb0ELb1EtNS0_19identity_decomposerEEEEE10hipError_tT0_T1_T2_jT3_P12ihipStream_tbPNSt15iterator_traitsISK_E10value_typeEPNSQ_ISL_E10value_typeEPSM_NS1_7vsmem_tEENKUlT_SK_SL_SM_E_clIPtSE_SF_SF_EESJ_SZ_SK_SL_SM_EUlSZ_E_NS1_11comp_targetILNS1_3genE2ELNS1_11target_archE906ELNS1_3gpuE6ELNS1_3repE0EEENS1_48merge_mergepath_partition_config_static_selectorELNS0_4arch9wavefront6targetE1EEEvSL_,"axG",@progbits,_ZN7rocprim17ROCPRIM_400000_NS6detail17trampoline_kernelINS0_14default_configENS1_38merge_sort_block_merge_config_selectorItNS0_10empty_typeEEEZZNS1_27merge_sort_block_merge_implIS3_N6thrust23THRUST_200600_302600_NS6detail15normal_iteratorINS9_10device_ptrItEEEEPS5_jNS1_19radix_merge_compareILb0ELb1EtNS0_19identity_decomposerEEEEE10hipError_tT0_T1_T2_jT3_P12ihipStream_tbPNSt15iterator_traitsISK_E10value_typeEPNSQ_ISL_E10value_typeEPSM_NS1_7vsmem_tEENKUlT_SK_SL_SM_E_clIPtSE_SF_SF_EESJ_SZ_SK_SL_SM_EUlSZ_E_NS1_11comp_targetILNS1_3genE2ELNS1_11target_archE906ELNS1_3gpuE6ELNS1_3repE0EEENS1_48merge_mergepath_partition_config_static_selectorELNS0_4arch9wavefront6targetE1EEEvSL_,comdat
.Lfunc_end1268:
	.size	_ZN7rocprim17ROCPRIM_400000_NS6detail17trampoline_kernelINS0_14default_configENS1_38merge_sort_block_merge_config_selectorItNS0_10empty_typeEEEZZNS1_27merge_sort_block_merge_implIS3_N6thrust23THRUST_200600_302600_NS6detail15normal_iteratorINS9_10device_ptrItEEEEPS5_jNS1_19radix_merge_compareILb0ELb1EtNS0_19identity_decomposerEEEEE10hipError_tT0_T1_T2_jT3_P12ihipStream_tbPNSt15iterator_traitsISK_E10value_typeEPNSQ_ISL_E10value_typeEPSM_NS1_7vsmem_tEENKUlT_SK_SL_SM_E_clIPtSE_SF_SF_EESJ_SZ_SK_SL_SM_EUlSZ_E_NS1_11comp_targetILNS1_3genE2ELNS1_11target_archE906ELNS1_3gpuE6ELNS1_3repE0EEENS1_48merge_mergepath_partition_config_static_selectorELNS0_4arch9wavefront6targetE1EEEvSL_, .Lfunc_end1268-_ZN7rocprim17ROCPRIM_400000_NS6detail17trampoline_kernelINS0_14default_configENS1_38merge_sort_block_merge_config_selectorItNS0_10empty_typeEEEZZNS1_27merge_sort_block_merge_implIS3_N6thrust23THRUST_200600_302600_NS6detail15normal_iteratorINS9_10device_ptrItEEEEPS5_jNS1_19radix_merge_compareILb0ELb1EtNS0_19identity_decomposerEEEEE10hipError_tT0_T1_T2_jT3_P12ihipStream_tbPNSt15iterator_traitsISK_E10value_typeEPNSQ_ISL_E10value_typeEPSM_NS1_7vsmem_tEENKUlT_SK_SL_SM_E_clIPtSE_SF_SF_EESJ_SZ_SK_SL_SM_EUlSZ_E_NS1_11comp_targetILNS1_3genE2ELNS1_11target_archE906ELNS1_3gpuE6ELNS1_3repE0EEENS1_48merge_mergepath_partition_config_static_selectorELNS0_4arch9wavefront6targetE1EEEvSL_
                                        ; -- End function
	.section	.AMDGPU.csdata,"",@progbits
; Kernel info:
; codeLenInByte = 0
; NumSgprs: 4
; NumVgprs: 0
; NumAgprs: 0
; TotalNumVgprs: 0
; ScratchSize: 0
; MemoryBound: 0
; FloatMode: 240
; IeeeMode: 1
; LDSByteSize: 0 bytes/workgroup (compile time only)
; SGPRBlocks: 0
; VGPRBlocks: 0
; NumSGPRsForWavesPerEU: 4
; NumVGPRsForWavesPerEU: 1
; AccumOffset: 4
; Occupancy: 8
; WaveLimiterHint : 0
; COMPUTE_PGM_RSRC2:SCRATCH_EN: 0
; COMPUTE_PGM_RSRC2:USER_SGPR: 6
; COMPUTE_PGM_RSRC2:TRAP_HANDLER: 0
; COMPUTE_PGM_RSRC2:TGID_X_EN: 1
; COMPUTE_PGM_RSRC2:TGID_Y_EN: 0
; COMPUTE_PGM_RSRC2:TGID_Z_EN: 0
; COMPUTE_PGM_RSRC2:TIDIG_COMP_CNT: 0
; COMPUTE_PGM_RSRC3_GFX90A:ACCUM_OFFSET: 0
; COMPUTE_PGM_RSRC3_GFX90A:TG_SPLIT: 0
	.section	.text._ZN7rocprim17ROCPRIM_400000_NS6detail17trampoline_kernelINS0_14default_configENS1_38merge_sort_block_merge_config_selectorItNS0_10empty_typeEEEZZNS1_27merge_sort_block_merge_implIS3_N6thrust23THRUST_200600_302600_NS6detail15normal_iteratorINS9_10device_ptrItEEEEPS5_jNS1_19radix_merge_compareILb0ELb1EtNS0_19identity_decomposerEEEEE10hipError_tT0_T1_T2_jT3_P12ihipStream_tbPNSt15iterator_traitsISK_E10value_typeEPNSQ_ISL_E10value_typeEPSM_NS1_7vsmem_tEENKUlT_SK_SL_SM_E_clIPtSE_SF_SF_EESJ_SZ_SK_SL_SM_EUlSZ_E_NS1_11comp_targetILNS1_3genE9ELNS1_11target_archE1100ELNS1_3gpuE3ELNS1_3repE0EEENS1_48merge_mergepath_partition_config_static_selectorELNS0_4arch9wavefront6targetE1EEEvSL_,"axG",@progbits,_ZN7rocprim17ROCPRIM_400000_NS6detail17trampoline_kernelINS0_14default_configENS1_38merge_sort_block_merge_config_selectorItNS0_10empty_typeEEEZZNS1_27merge_sort_block_merge_implIS3_N6thrust23THRUST_200600_302600_NS6detail15normal_iteratorINS9_10device_ptrItEEEEPS5_jNS1_19radix_merge_compareILb0ELb1EtNS0_19identity_decomposerEEEEE10hipError_tT0_T1_T2_jT3_P12ihipStream_tbPNSt15iterator_traitsISK_E10value_typeEPNSQ_ISL_E10value_typeEPSM_NS1_7vsmem_tEENKUlT_SK_SL_SM_E_clIPtSE_SF_SF_EESJ_SZ_SK_SL_SM_EUlSZ_E_NS1_11comp_targetILNS1_3genE9ELNS1_11target_archE1100ELNS1_3gpuE3ELNS1_3repE0EEENS1_48merge_mergepath_partition_config_static_selectorELNS0_4arch9wavefront6targetE1EEEvSL_,comdat
	.protected	_ZN7rocprim17ROCPRIM_400000_NS6detail17trampoline_kernelINS0_14default_configENS1_38merge_sort_block_merge_config_selectorItNS0_10empty_typeEEEZZNS1_27merge_sort_block_merge_implIS3_N6thrust23THRUST_200600_302600_NS6detail15normal_iteratorINS9_10device_ptrItEEEEPS5_jNS1_19radix_merge_compareILb0ELb1EtNS0_19identity_decomposerEEEEE10hipError_tT0_T1_T2_jT3_P12ihipStream_tbPNSt15iterator_traitsISK_E10value_typeEPNSQ_ISL_E10value_typeEPSM_NS1_7vsmem_tEENKUlT_SK_SL_SM_E_clIPtSE_SF_SF_EESJ_SZ_SK_SL_SM_EUlSZ_E_NS1_11comp_targetILNS1_3genE9ELNS1_11target_archE1100ELNS1_3gpuE3ELNS1_3repE0EEENS1_48merge_mergepath_partition_config_static_selectorELNS0_4arch9wavefront6targetE1EEEvSL_ ; -- Begin function _ZN7rocprim17ROCPRIM_400000_NS6detail17trampoline_kernelINS0_14default_configENS1_38merge_sort_block_merge_config_selectorItNS0_10empty_typeEEEZZNS1_27merge_sort_block_merge_implIS3_N6thrust23THRUST_200600_302600_NS6detail15normal_iteratorINS9_10device_ptrItEEEEPS5_jNS1_19radix_merge_compareILb0ELb1EtNS0_19identity_decomposerEEEEE10hipError_tT0_T1_T2_jT3_P12ihipStream_tbPNSt15iterator_traitsISK_E10value_typeEPNSQ_ISL_E10value_typeEPSM_NS1_7vsmem_tEENKUlT_SK_SL_SM_E_clIPtSE_SF_SF_EESJ_SZ_SK_SL_SM_EUlSZ_E_NS1_11comp_targetILNS1_3genE9ELNS1_11target_archE1100ELNS1_3gpuE3ELNS1_3repE0EEENS1_48merge_mergepath_partition_config_static_selectorELNS0_4arch9wavefront6targetE1EEEvSL_
	.globl	_ZN7rocprim17ROCPRIM_400000_NS6detail17trampoline_kernelINS0_14default_configENS1_38merge_sort_block_merge_config_selectorItNS0_10empty_typeEEEZZNS1_27merge_sort_block_merge_implIS3_N6thrust23THRUST_200600_302600_NS6detail15normal_iteratorINS9_10device_ptrItEEEEPS5_jNS1_19radix_merge_compareILb0ELb1EtNS0_19identity_decomposerEEEEE10hipError_tT0_T1_T2_jT3_P12ihipStream_tbPNSt15iterator_traitsISK_E10value_typeEPNSQ_ISL_E10value_typeEPSM_NS1_7vsmem_tEENKUlT_SK_SL_SM_E_clIPtSE_SF_SF_EESJ_SZ_SK_SL_SM_EUlSZ_E_NS1_11comp_targetILNS1_3genE9ELNS1_11target_archE1100ELNS1_3gpuE3ELNS1_3repE0EEENS1_48merge_mergepath_partition_config_static_selectorELNS0_4arch9wavefront6targetE1EEEvSL_
	.p2align	8
	.type	_ZN7rocprim17ROCPRIM_400000_NS6detail17trampoline_kernelINS0_14default_configENS1_38merge_sort_block_merge_config_selectorItNS0_10empty_typeEEEZZNS1_27merge_sort_block_merge_implIS3_N6thrust23THRUST_200600_302600_NS6detail15normal_iteratorINS9_10device_ptrItEEEEPS5_jNS1_19radix_merge_compareILb0ELb1EtNS0_19identity_decomposerEEEEE10hipError_tT0_T1_T2_jT3_P12ihipStream_tbPNSt15iterator_traitsISK_E10value_typeEPNSQ_ISL_E10value_typeEPSM_NS1_7vsmem_tEENKUlT_SK_SL_SM_E_clIPtSE_SF_SF_EESJ_SZ_SK_SL_SM_EUlSZ_E_NS1_11comp_targetILNS1_3genE9ELNS1_11target_archE1100ELNS1_3gpuE3ELNS1_3repE0EEENS1_48merge_mergepath_partition_config_static_selectorELNS0_4arch9wavefront6targetE1EEEvSL_,@function
_ZN7rocprim17ROCPRIM_400000_NS6detail17trampoline_kernelINS0_14default_configENS1_38merge_sort_block_merge_config_selectorItNS0_10empty_typeEEEZZNS1_27merge_sort_block_merge_implIS3_N6thrust23THRUST_200600_302600_NS6detail15normal_iteratorINS9_10device_ptrItEEEEPS5_jNS1_19radix_merge_compareILb0ELb1EtNS0_19identity_decomposerEEEEE10hipError_tT0_T1_T2_jT3_P12ihipStream_tbPNSt15iterator_traitsISK_E10value_typeEPNSQ_ISL_E10value_typeEPSM_NS1_7vsmem_tEENKUlT_SK_SL_SM_E_clIPtSE_SF_SF_EESJ_SZ_SK_SL_SM_EUlSZ_E_NS1_11comp_targetILNS1_3genE9ELNS1_11target_archE1100ELNS1_3gpuE3ELNS1_3repE0EEENS1_48merge_mergepath_partition_config_static_selectorELNS0_4arch9wavefront6targetE1EEEvSL_: ; @_ZN7rocprim17ROCPRIM_400000_NS6detail17trampoline_kernelINS0_14default_configENS1_38merge_sort_block_merge_config_selectorItNS0_10empty_typeEEEZZNS1_27merge_sort_block_merge_implIS3_N6thrust23THRUST_200600_302600_NS6detail15normal_iteratorINS9_10device_ptrItEEEEPS5_jNS1_19radix_merge_compareILb0ELb1EtNS0_19identity_decomposerEEEEE10hipError_tT0_T1_T2_jT3_P12ihipStream_tbPNSt15iterator_traitsISK_E10value_typeEPNSQ_ISL_E10value_typeEPSM_NS1_7vsmem_tEENKUlT_SK_SL_SM_E_clIPtSE_SF_SF_EESJ_SZ_SK_SL_SM_EUlSZ_E_NS1_11comp_targetILNS1_3genE9ELNS1_11target_archE1100ELNS1_3gpuE3ELNS1_3repE0EEENS1_48merge_mergepath_partition_config_static_selectorELNS0_4arch9wavefront6targetE1EEEvSL_
; %bb.0:
	.section	.rodata,"a",@progbits
	.p2align	6, 0x0
	.amdhsa_kernel _ZN7rocprim17ROCPRIM_400000_NS6detail17trampoline_kernelINS0_14default_configENS1_38merge_sort_block_merge_config_selectorItNS0_10empty_typeEEEZZNS1_27merge_sort_block_merge_implIS3_N6thrust23THRUST_200600_302600_NS6detail15normal_iteratorINS9_10device_ptrItEEEEPS5_jNS1_19radix_merge_compareILb0ELb1EtNS0_19identity_decomposerEEEEE10hipError_tT0_T1_T2_jT3_P12ihipStream_tbPNSt15iterator_traitsISK_E10value_typeEPNSQ_ISL_E10value_typeEPSM_NS1_7vsmem_tEENKUlT_SK_SL_SM_E_clIPtSE_SF_SF_EESJ_SZ_SK_SL_SM_EUlSZ_E_NS1_11comp_targetILNS1_3genE9ELNS1_11target_archE1100ELNS1_3gpuE3ELNS1_3repE0EEENS1_48merge_mergepath_partition_config_static_selectorELNS0_4arch9wavefront6targetE1EEEvSL_
		.amdhsa_group_segment_fixed_size 0
		.amdhsa_private_segment_fixed_size 0
		.amdhsa_kernarg_size 40
		.amdhsa_user_sgpr_count 6
		.amdhsa_user_sgpr_private_segment_buffer 1
		.amdhsa_user_sgpr_dispatch_ptr 0
		.amdhsa_user_sgpr_queue_ptr 0
		.amdhsa_user_sgpr_kernarg_segment_ptr 1
		.amdhsa_user_sgpr_dispatch_id 0
		.amdhsa_user_sgpr_flat_scratch_init 0
		.amdhsa_user_sgpr_kernarg_preload_length 0
		.amdhsa_user_sgpr_kernarg_preload_offset 0
		.amdhsa_user_sgpr_private_segment_size 0
		.amdhsa_uses_dynamic_stack 0
		.amdhsa_system_sgpr_private_segment_wavefront_offset 0
		.amdhsa_system_sgpr_workgroup_id_x 1
		.amdhsa_system_sgpr_workgroup_id_y 0
		.amdhsa_system_sgpr_workgroup_id_z 0
		.amdhsa_system_sgpr_workgroup_info 0
		.amdhsa_system_vgpr_workitem_id 0
		.amdhsa_next_free_vgpr 1
		.amdhsa_next_free_sgpr 0
		.amdhsa_accum_offset 4
		.amdhsa_reserve_vcc 0
		.amdhsa_reserve_flat_scratch 0
		.amdhsa_float_round_mode_32 0
		.amdhsa_float_round_mode_16_64 0
		.amdhsa_float_denorm_mode_32 3
		.amdhsa_float_denorm_mode_16_64 3
		.amdhsa_dx10_clamp 1
		.amdhsa_ieee_mode 1
		.amdhsa_fp16_overflow 0
		.amdhsa_tg_split 0
		.amdhsa_exception_fp_ieee_invalid_op 0
		.amdhsa_exception_fp_denorm_src 0
		.amdhsa_exception_fp_ieee_div_zero 0
		.amdhsa_exception_fp_ieee_overflow 0
		.amdhsa_exception_fp_ieee_underflow 0
		.amdhsa_exception_fp_ieee_inexact 0
		.amdhsa_exception_int_div_zero 0
	.end_amdhsa_kernel
	.section	.text._ZN7rocprim17ROCPRIM_400000_NS6detail17trampoline_kernelINS0_14default_configENS1_38merge_sort_block_merge_config_selectorItNS0_10empty_typeEEEZZNS1_27merge_sort_block_merge_implIS3_N6thrust23THRUST_200600_302600_NS6detail15normal_iteratorINS9_10device_ptrItEEEEPS5_jNS1_19radix_merge_compareILb0ELb1EtNS0_19identity_decomposerEEEEE10hipError_tT0_T1_T2_jT3_P12ihipStream_tbPNSt15iterator_traitsISK_E10value_typeEPNSQ_ISL_E10value_typeEPSM_NS1_7vsmem_tEENKUlT_SK_SL_SM_E_clIPtSE_SF_SF_EESJ_SZ_SK_SL_SM_EUlSZ_E_NS1_11comp_targetILNS1_3genE9ELNS1_11target_archE1100ELNS1_3gpuE3ELNS1_3repE0EEENS1_48merge_mergepath_partition_config_static_selectorELNS0_4arch9wavefront6targetE1EEEvSL_,"axG",@progbits,_ZN7rocprim17ROCPRIM_400000_NS6detail17trampoline_kernelINS0_14default_configENS1_38merge_sort_block_merge_config_selectorItNS0_10empty_typeEEEZZNS1_27merge_sort_block_merge_implIS3_N6thrust23THRUST_200600_302600_NS6detail15normal_iteratorINS9_10device_ptrItEEEEPS5_jNS1_19radix_merge_compareILb0ELb1EtNS0_19identity_decomposerEEEEE10hipError_tT0_T1_T2_jT3_P12ihipStream_tbPNSt15iterator_traitsISK_E10value_typeEPNSQ_ISL_E10value_typeEPSM_NS1_7vsmem_tEENKUlT_SK_SL_SM_E_clIPtSE_SF_SF_EESJ_SZ_SK_SL_SM_EUlSZ_E_NS1_11comp_targetILNS1_3genE9ELNS1_11target_archE1100ELNS1_3gpuE3ELNS1_3repE0EEENS1_48merge_mergepath_partition_config_static_selectorELNS0_4arch9wavefront6targetE1EEEvSL_,comdat
.Lfunc_end1269:
	.size	_ZN7rocprim17ROCPRIM_400000_NS6detail17trampoline_kernelINS0_14default_configENS1_38merge_sort_block_merge_config_selectorItNS0_10empty_typeEEEZZNS1_27merge_sort_block_merge_implIS3_N6thrust23THRUST_200600_302600_NS6detail15normal_iteratorINS9_10device_ptrItEEEEPS5_jNS1_19radix_merge_compareILb0ELb1EtNS0_19identity_decomposerEEEEE10hipError_tT0_T1_T2_jT3_P12ihipStream_tbPNSt15iterator_traitsISK_E10value_typeEPNSQ_ISL_E10value_typeEPSM_NS1_7vsmem_tEENKUlT_SK_SL_SM_E_clIPtSE_SF_SF_EESJ_SZ_SK_SL_SM_EUlSZ_E_NS1_11comp_targetILNS1_3genE9ELNS1_11target_archE1100ELNS1_3gpuE3ELNS1_3repE0EEENS1_48merge_mergepath_partition_config_static_selectorELNS0_4arch9wavefront6targetE1EEEvSL_, .Lfunc_end1269-_ZN7rocprim17ROCPRIM_400000_NS6detail17trampoline_kernelINS0_14default_configENS1_38merge_sort_block_merge_config_selectorItNS0_10empty_typeEEEZZNS1_27merge_sort_block_merge_implIS3_N6thrust23THRUST_200600_302600_NS6detail15normal_iteratorINS9_10device_ptrItEEEEPS5_jNS1_19radix_merge_compareILb0ELb1EtNS0_19identity_decomposerEEEEE10hipError_tT0_T1_T2_jT3_P12ihipStream_tbPNSt15iterator_traitsISK_E10value_typeEPNSQ_ISL_E10value_typeEPSM_NS1_7vsmem_tEENKUlT_SK_SL_SM_E_clIPtSE_SF_SF_EESJ_SZ_SK_SL_SM_EUlSZ_E_NS1_11comp_targetILNS1_3genE9ELNS1_11target_archE1100ELNS1_3gpuE3ELNS1_3repE0EEENS1_48merge_mergepath_partition_config_static_selectorELNS0_4arch9wavefront6targetE1EEEvSL_
                                        ; -- End function
	.section	.AMDGPU.csdata,"",@progbits
; Kernel info:
; codeLenInByte = 0
; NumSgprs: 4
; NumVgprs: 0
; NumAgprs: 0
; TotalNumVgprs: 0
; ScratchSize: 0
; MemoryBound: 0
; FloatMode: 240
; IeeeMode: 1
; LDSByteSize: 0 bytes/workgroup (compile time only)
; SGPRBlocks: 0
; VGPRBlocks: 0
; NumSGPRsForWavesPerEU: 4
; NumVGPRsForWavesPerEU: 1
; AccumOffset: 4
; Occupancy: 8
; WaveLimiterHint : 0
; COMPUTE_PGM_RSRC2:SCRATCH_EN: 0
; COMPUTE_PGM_RSRC2:USER_SGPR: 6
; COMPUTE_PGM_RSRC2:TRAP_HANDLER: 0
; COMPUTE_PGM_RSRC2:TGID_X_EN: 1
; COMPUTE_PGM_RSRC2:TGID_Y_EN: 0
; COMPUTE_PGM_RSRC2:TGID_Z_EN: 0
; COMPUTE_PGM_RSRC2:TIDIG_COMP_CNT: 0
; COMPUTE_PGM_RSRC3_GFX90A:ACCUM_OFFSET: 0
; COMPUTE_PGM_RSRC3_GFX90A:TG_SPLIT: 0
	.section	.text._ZN7rocprim17ROCPRIM_400000_NS6detail17trampoline_kernelINS0_14default_configENS1_38merge_sort_block_merge_config_selectorItNS0_10empty_typeEEEZZNS1_27merge_sort_block_merge_implIS3_N6thrust23THRUST_200600_302600_NS6detail15normal_iteratorINS9_10device_ptrItEEEEPS5_jNS1_19radix_merge_compareILb0ELb1EtNS0_19identity_decomposerEEEEE10hipError_tT0_T1_T2_jT3_P12ihipStream_tbPNSt15iterator_traitsISK_E10value_typeEPNSQ_ISL_E10value_typeEPSM_NS1_7vsmem_tEENKUlT_SK_SL_SM_E_clIPtSE_SF_SF_EESJ_SZ_SK_SL_SM_EUlSZ_E_NS1_11comp_targetILNS1_3genE8ELNS1_11target_archE1030ELNS1_3gpuE2ELNS1_3repE0EEENS1_48merge_mergepath_partition_config_static_selectorELNS0_4arch9wavefront6targetE1EEEvSL_,"axG",@progbits,_ZN7rocprim17ROCPRIM_400000_NS6detail17trampoline_kernelINS0_14default_configENS1_38merge_sort_block_merge_config_selectorItNS0_10empty_typeEEEZZNS1_27merge_sort_block_merge_implIS3_N6thrust23THRUST_200600_302600_NS6detail15normal_iteratorINS9_10device_ptrItEEEEPS5_jNS1_19radix_merge_compareILb0ELb1EtNS0_19identity_decomposerEEEEE10hipError_tT0_T1_T2_jT3_P12ihipStream_tbPNSt15iterator_traitsISK_E10value_typeEPNSQ_ISL_E10value_typeEPSM_NS1_7vsmem_tEENKUlT_SK_SL_SM_E_clIPtSE_SF_SF_EESJ_SZ_SK_SL_SM_EUlSZ_E_NS1_11comp_targetILNS1_3genE8ELNS1_11target_archE1030ELNS1_3gpuE2ELNS1_3repE0EEENS1_48merge_mergepath_partition_config_static_selectorELNS0_4arch9wavefront6targetE1EEEvSL_,comdat
	.protected	_ZN7rocprim17ROCPRIM_400000_NS6detail17trampoline_kernelINS0_14default_configENS1_38merge_sort_block_merge_config_selectorItNS0_10empty_typeEEEZZNS1_27merge_sort_block_merge_implIS3_N6thrust23THRUST_200600_302600_NS6detail15normal_iteratorINS9_10device_ptrItEEEEPS5_jNS1_19radix_merge_compareILb0ELb1EtNS0_19identity_decomposerEEEEE10hipError_tT0_T1_T2_jT3_P12ihipStream_tbPNSt15iterator_traitsISK_E10value_typeEPNSQ_ISL_E10value_typeEPSM_NS1_7vsmem_tEENKUlT_SK_SL_SM_E_clIPtSE_SF_SF_EESJ_SZ_SK_SL_SM_EUlSZ_E_NS1_11comp_targetILNS1_3genE8ELNS1_11target_archE1030ELNS1_3gpuE2ELNS1_3repE0EEENS1_48merge_mergepath_partition_config_static_selectorELNS0_4arch9wavefront6targetE1EEEvSL_ ; -- Begin function _ZN7rocprim17ROCPRIM_400000_NS6detail17trampoline_kernelINS0_14default_configENS1_38merge_sort_block_merge_config_selectorItNS0_10empty_typeEEEZZNS1_27merge_sort_block_merge_implIS3_N6thrust23THRUST_200600_302600_NS6detail15normal_iteratorINS9_10device_ptrItEEEEPS5_jNS1_19radix_merge_compareILb0ELb1EtNS0_19identity_decomposerEEEEE10hipError_tT0_T1_T2_jT3_P12ihipStream_tbPNSt15iterator_traitsISK_E10value_typeEPNSQ_ISL_E10value_typeEPSM_NS1_7vsmem_tEENKUlT_SK_SL_SM_E_clIPtSE_SF_SF_EESJ_SZ_SK_SL_SM_EUlSZ_E_NS1_11comp_targetILNS1_3genE8ELNS1_11target_archE1030ELNS1_3gpuE2ELNS1_3repE0EEENS1_48merge_mergepath_partition_config_static_selectorELNS0_4arch9wavefront6targetE1EEEvSL_
	.globl	_ZN7rocprim17ROCPRIM_400000_NS6detail17trampoline_kernelINS0_14default_configENS1_38merge_sort_block_merge_config_selectorItNS0_10empty_typeEEEZZNS1_27merge_sort_block_merge_implIS3_N6thrust23THRUST_200600_302600_NS6detail15normal_iteratorINS9_10device_ptrItEEEEPS5_jNS1_19radix_merge_compareILb0ELb1EtNS0_19identity_decomposerEEEEE10hipError_tT0_T1_T2_jT3_P12ihipStream_tbPNSt15iterator_traitsISK_E10value_typeEPNSQ_ISL_E10value_typeEPSM_NS1_7vsmem_tEENKUlT_SK_SL_SM_E_clIPtSE_SF_SF_EESJ_SZ_SK_SL_SM_EUlSZ_E_NS1_11comp_targetILNS1_3genE8ELNS1_11target_archE1030ELNS1_3gpuE2ELNS1_3repE0EEENS1_48merge_mergepath_partition_config_static_selectorELNS0_4arch9wavefront6targetE1EEEvSL_
	.p2align	8
	.type	_ZN7rocprim17ROCPRIM_400000_NS6detail17trampoline_kernelINS0_14default_configENS1_38merge_sort_block_merge_config_selectorItNS0_10empty_typeEEEZZNS1_27merge_sort_block_merge_implIS3_N6thrust23THRUST_200600_302600_NS6detail15normal_iteratorINS9_10device_ptrItEEEEPS5_jNS1_19radix_merge_compareILb0ELb1EtNS0_19identity_decomposerEEEEE10hipError_tT0_T1_T2_jT3_P12ihipStream_tbPNSt15iterator_traitsISK_E10value_typeEPNSQ_ISL_E10value_typeEPSM_NS1_7vsmem_tEENKUlT_SK_SL_SM_E_clIPtSE_SF_SF_EESJ_SZ_SK_SL_SM_EUlSZ_E_NS1_11comp_targetILNS1_3genE8ELNS1_11target_archE1030ELNS1_3gpuE2ELNS1_3repE0EEENS1_48merge_mergepath_partition_config_static_selectorELNS0_4arch9wavefront6targetE1EEEvSL_,@function
_ZN7rocprim17ROCPRIM_400000_NS6detail17trampoline_kernelINS0_14default_configENS1_38merge_sort_block_merge_config_selectorItNS0_10empty_typeEEEZZNS1_27merge_sort_block_merge_implIS3_N6thrust23THRUST_200600_302600_NS6detail15normal_iteratorINS9_10device_ptrItEEEEPS5_jNS1_19radix_merge_compareILb0ELb1EtNS0_19identity_decomposerEEEEE10hipError_tT0_T1_T2_jT3_P12ihipStream_tbPNSt15iterator_traitsISK_E10value_typeEPNSQ_ISL_E10value_typeEPSM_NS1_7vsmem_tEENKUlT_SK_SL_SM_E_clIPtSE_SF_SF_EESJ_SZ_SK_SL_SM_EUlSZ_E_NS1_11comp_targetILNS1_3genE8ELNS1_11target_archE1030ELNS1_3gpuE2ELNS1_3repE0EEENS1_48merge_mergepath_partition_config_static_selectorELNS0_4arch9wavefront6targetE1EEEvSL_: ; @_ZN7rocprim17ROCPRIM_400000_NS6detail17trampoline_kernelINS0_14default_configENS1_38merge_sort_block_merge_config_selectorItNS0_10empty_typeEEEZZNS1_27merge_sort_block_merge_implIS3_N6thrust23THRUST_200600_302600_NS6detail15normal_iteratorINS9_10device_ptrItEEEEPS5_jNS1_19radix_merge_compareILb0ELb1EtNS0_19identity_decomposerEEEEE10hipError_tT0_T1_T2_jT3_P12ihipStream_tbPNSt15iterator_traitsISK_E10value_typeEPNSQ_ISL_E10value_typeEPSM_NS1_7vsmem_tEENKUlT_SK_SL_SM_E_clIPtSE_SF_SF_EESJ_SZ_SK_SL_SM_EUlSZ_E_NS1_11comp_targetILNS1_3genE8ELNS1_11target_archE1030ELNS1_3gpuE2ELNS1_3repE0EEENS1_48merge_mergepath_partition_config_static_selectorELNS0_4arch9wavefront6targetE1EEEvSL_
; %bb.0:
	.section	.rodata,"a",@progbits
	.p2align	6, 0x0
	.amdhsa_kernel _ZN7rocprim17ROCPRIM_400000_NS6detail17trampoline_kernelINS0_14default_configENS1_38merge_sort_block_merge_config_selectorItNS0_10empty_typeEEEZZNS1_27merge_sort_block_merge_implIS3_N6thrust23THRUST_200600_302600_NS6detail15normal_iteratorINS9_10device_ptrItEEEEPS5_jNS1_19radix_merge_compareILb0ELb1EtNS0_19identity_decomposerEEEEE10hipError_tT0_T1_T2_jT3_P12ihipStream_tbPNSt15iterator_traitsISK_E10value_typeEPNSQ_ISL_E10value_typeEPSM_NS1_7vsmem_tEENKUlT_SK_SL_SM_E_clIPtSE_SF_SF_EESJ_SZ_SK_SL_SM_EUlSZ_E_NS1_11comp_targetILNS1_3genE8ELNS1_11target_archE1030ELNS1_3gpuE2ELNS1_3repE0EEENS1_48merge_mergepath_partition_config_static_selectorELNS0_4arch9wavefront6targetE1EEEvSL_
		.amdhsa_group_segment_fixed_size 0
		.amdhsa_private_segment_fixed_size 0
		.amdhsa_kernarg_size 40
		.amdhsa_user_sgpr_count 6
		.amdhsa_user_sgpr_private_segment_buffer 1
		.amdhsa_user_sgpr_dispatch_ptr 0
		.amdhsa_user_sgpr_queue_ptr 0
		.amdhsa_user_sgpr_kernarg_segment_ptr 1
		.amdhsa_user_sgpr_dispatch_id 0
		.amdhsa_user_sgpr_flat_scratch_init 0
		.amdhsa_user_sgpr_kernarg_preload_length 0
		.amdhsa_user_sgpr_kernarg_preload_offset 0
		.amdhsa_user_sgpr_private_segment_size 0
		.amdhsa_uses_dynamic_stack 0
		.amdhsa_system_sgpr_private_segment_wavefront_offset 0
		.amdhsa_system_sgpr_workgroup_id_x 1
		.amdhsa_system_sgpr_workgroup_id_y 0
		.amdhsa_system_sgpr_workgroup_id_z 0
		.amdhsa_system_sgpr_workgroup_info 0
		.amdhsa_system_vgpr_workitem_id 0
		.amdhsa_next_free_vgpr 1
		.amdhsa_next_free_sgpr 0
		.amdhsa_accum_offset 4
		.amdhsa_reserve_vcc 0
		.amdhsa_reserve_flat_scratch 0
		.amdhsa_float_round_mode_32 0
		.amdhsa_float_round_mode_16_64 0
		.amdhsa_float_denorm_mode_32 3
		.amdhsa_float_denorm_mode_16_64 3
		.amdhsa_dx10_clamp 1
		.amdhsa_ieee_mode 1
		.amdhsa_fp16_overflow 0
		.amdhsa_tg_split 0
		.amdhsa_exception_fp_ieee_invalid_op 0
		.amdhsa_exception_fp_denorm_src 0
		.amdhsa_exception_fp_ieee_div_zero 0
		.amdhsa_exception_fp_ieee_overflow 0
		.amdhsa_exception_fp_ieee_underflow 0
		.amdhsa_exception_fp_ieee_inexact 0
		.amdhsa_exception_int_div_zero 0
	.end_amdhsa_kernel
	.section	.text._ZN7rocprim17ROCPRIM_400000_NS6detail17trampoline_kernelINS0_14default_configENS1_38merge_sort_block_merge_config_selectorItNS0_10empty_typeEEEZZNS1_27merge_sort_block_merge_implIS3_N6thrust23THRUST_200600_302600_NS6detail15normal_iteratorINS9_10device_ptrItEEEEPS5_jNS1_19radix_merge_compareILb0ELb1EtNS0_19identity_decomposerEEEEE10hipError_tT0_T1_T2_jT3_P12ihipStream_tbPNSt15iterator_traitsISK_E10value_typeEPNSQ_ISL_E10value_typeEPSM_NS1_7vsmem_tEENKUlT_SK_SL_SM_E_clIPtSE_SF_SF_EESJ_SZ_SK_SL_SM_EUlSZ_E_NS1_11comp_targetILNS1_3genE8ELNS1_11target_archE1030ELNS1_3gpuE2ELNS1_3repE0EEENS1_48merge_mergepath_partition_config_static_selectorELNS0_4arch9wavefront6targetE1EEEvSL_,"axG",@progbits,_ZN7rocprim17ROCPRIM_400000_NS6detail17trampoline_kernelINS0_14default_configENS1_38merge_sort_block_merge_config_selectorItNS0_10empty_typeEEEZZNS1_27merge_sort_block_merge_implIS3_N6thrust23THRUST_200600_302600_NS6detail15normal_iteratorINS9_10device_ptrItEEEEPS5_jNS1_19radix_merge_compareILb0ELb1EtNS0_19identity_decomposerEEEEE10hipError_tT0_T1_T2_jT3_P12ihipStream_tbPNSt15iterator_traitsISK_E10value_typeEPNSQ_ISL_E10value_typeEPSM_NS1_7vsmem_tEENKUlT_SK_SL_SM_E_clIPtSE_SF_SF_EESJ_SZ_SK_SL_SM_EUlSZ_E_NS1_11comp_targetILNS1_3genE8ELNS1_11target_archE1030ELNS1_3gpuE2ELNS1_3repE0EEENS1_48merge_mergepath_partition_config_static_selectorELNS0_4arch9wavefront6targetE1EEEvSL_,comdat
.Lfunc_end1270:
	.size	_ZN7rocprim17ROCPRIM_400000_NS6detail17trampoline_kernelINS0_14default_configENS1_38merge_sort_block_merge_config_selectorItNS0_10empty_typeEEEZZNS1_27merge_sort_block_merge_implIS3_N6thrust23THRUST_200600_302600_NS6detail15normal_iteratorINS9_10device_ptrItEEEEPS5_jNS1_19radix_merge_compareILb0ELb1EtNS0_19identity_decomposerEEEEE10hipError_tT0_T1_T2_jT3_P12ihipStream_tbPNSt15iterator_traitsISK_E10value_typeEPNSQ_ISL_E10value_typeEPSM_NS1_7vsmem_tEENKUlT_SK_SL_SM_E_clIPtSE_SF_SF_EESJ_SZ_SK_SL_SM_EUlSZ_E_NS1_11comp_targetILNS1_3genE8ELNS1_11target_archE1030ELNS1_3gpuE2ELNS1_3repE0EEENS1_48merge_mergepath_partition_config_static_selectorELNS0_4arch9wavefront6targetE1EEEvSL_, .Lfunc_end1270-_ZN7rocprim17ROCPRIM_400000_NS6detail17trampoline_kernelINS0_14default_configENS1_38merge_sort_block_merge_config_selectorItNS0_10empty_typeEEEZZNS1_27merge_sort_block_merge_implIS3_N6thrust23THRUST_200600_302600_NS6detail15normal_iteratorINS9_10device_ptrItEEEEPS5_jNS1_19radix_merge_compareILb0ELb1EtNS0_19identity_decomposerEEEEE10hipError_tT0_T1_T2_jT3_P12ihipStream_tbPNSt15iterator_traitsISK_E10value_typeEPNSQ_ISL_E10value_typeEPSM_NS1_7vsmem_tEENKUlT_SK_SL_SM_E_clIPtSE_SF_SF_EESJ_SZ_SK_SL_SM_EUlSZ_E_NS1_11comp_targetILNS1_3genE8ELNS1_11target_archE1030ELNS1_3gpuE2ELNS1_3repE0EEENS1_48merge_mergepath_partition_config_static_selectorELNS0_4arch9wavefront6targetE1EEEvSL_
                                        ; -- End function
	.section	.AMDGPU.csdata,"",@progbits
; Kernel info:
; codeLenInByte = 0
; NumSgprs: 4
; NumVgprs: 0
; NumAgprs: 0
; TotalNumVgprs: 0
; ScratchSize: 0
; MemoryBound: 0
; FloatMode: 240
; IeeeMode: 1
; LDSByteSize: 0 bytes/workgroup (compile time only)
; SGPRBlocks: 0
; VGPRBlocks: 0
; NumSGPRsForWavesPerEU: 4
; NumVGPRsForWavesPerEU: 1
; AccumOffset: 4
; Occupancy: 8
; WaveLimiterHint : 0
; COMPUTE_PGM_RSRC2:SCRATCH_EN: 0
; COMPUTE_PGM_RSRC2:USER_SGPR: 6
; COMPUTE_PGM_RSRC2:TRAP_HANDLER: 0
; COMPUTE_PGM_RSRC2:TGID_X_EN: 1
; COMPUTE_PGM_RSRC2:TGID_Y_EN: 0
; COMPUTE_PGM_RSRC2:TGID_Z_EN: 0
; COMPUTE_PGM_RSRC2:TIDIG_COMP_CNT: 0
; COMPUTE_PGM_RSRC3_GFX90A:ACCUM_OFFSET: 0
; COMPUTE_PGM_RSRC3_GFX90A:TG_SPLIT: 0
	.section	.text._ZN7rocprim17ROCPRIM_400000_NS6detail17trampoline_kernelINS0_14default_configENS1_38merge_sort_block_merge_config_selectorItNS0_10empty_typeEEEZZNS1_27merge_sort_block_merge_implIS3_N6thrust23THRUST_200600_302600_NS6detail15normal_iteratorINS9_10device_ptrItEEEEPS5_jNS1_19radix_merge_compareILb0ELb1EtNS0_19identity_decomposerEEEEE10hipError_tT0_T1_T2_jT3_P12ihipStream_tbPNSt15iterator_traitsISK_E10value_typeEPNSQ_ISL_E10value_typeEPSM_NS1_7vsmem_tEENKUlT_SK_SL_SM_E_clIPtSE_SF_SF_EESJ_SZ_SK_SL_SM_EUlSZ_E0_NS1_11comp_targetILNS1_3genE0ELNS1_11target_archE4294967295ELNS1_3gpuE0ELNS1_3repE0EEENS1_38merge_mergepath_config_static_selectorELNS0_4arch9wavefront6targetE1EEEvSL_,"axG",@progbits,_ZN7rocprim17ROCPRIM_400000_NS6detail17trampoline_kernelINS0_14default_configENS1_38merge_sort_block_merge_config_selectorItNS0_10empty_typeEEEZZNS1_27merge_sort_block_merge_implIS3_N6thrust23THRUST_200600_302600_NS6detail15normal_iteratorINS9_10device_ptrItEEEEPS5_jNS1_19radix_merge_compareILb0ELb1EtNS0_19identity_decomposerEEEEE10hipError_tT0_T1_T2_jT3_P12ihipStream_tbPNSt15iterator_traitsISK_E10value_typeEPNSQ_ISL_E10value_typeEPSM_NS1_7vsmem_tEENKUlT_SK_SL_SM_E_clIPtSE_SF_SF_EESJ_SZ_SK_SL_SM_EUlSZ_E0_NS1_11comp_targetILNS1_3genE0ELNS1_11target_archE4294967295ELNS1_3gpuE0ELNS1_3repE0EEENS1_38merge_mergepath_config_static_selectorELNS0_4arch9wavefront6targetE1EEEvSL_,comdat
	.protected	_ZN7rocprim17ROCPRIM_400000_NS6detail17trampoline_kernelINS0_14default_configENS1_38merge_sort_block_merge_config_selectorItNS0_10empty_typeEEEZZNS1_27merge_sort_block_merge_implIS3_N6thrust23THRUST_200600_302600_NS6detail15normal_iteratorINS9_10device_ptrItEEEEPS5_jNS1_19radix_merge_compareILb0ELb1EtNS0_19identity_decomposerEEEEE10hipError_tT0_T1_T2_jT3_P12ihipStream_tbPNSt15iterator_traitsISK_E10value_typeEPNSQ_ISL_E10value_typeEPSM_NS1_7vsmem_tEENKUlT_SK_SL_SM_E_clIPtSE_SF_SF_EESJ_SZ_SK_SL_SM_EUlSZ_E0_NS1_11comp_targetILNS1_3genE0ELNS1_11target_archE4294967295ELNS1_3gpuE0ELNS1_3repE0EEENS1_38merge_mergepath_config_static_selectorELNS0_4arch9wavefront6targetE1EEEvSL_ ; -- Begin function _ZN7rocprim17ROCPRIM_400000_NS6detail17trampoline_kernelINS0_14default_configENS1_38merge_sort_block_merge_config_selectorItNS0_10empty_typeEEEZZNS1_27merge_sort_block_merge_implIS3_N6thrust23THRUST_200600_302600_NS6detail15normal_iteratorINS9_10device_ptrItEEEEPS5_jNS1_19radix_merge_compareILb0ELb1EtNS0_19identity_decomposerEEEEE10hipError_tT0_T1_T2_jT3_P12ihipStream_tbPNSt15iterator_traitsISK_E10value_typeEPNSQ_ISL_E10value_typeEPSM_NS1_7vsmem_tEENKUlT_SK_SL_SM_E_clIPtSE_SF_SF_EESJ_SZ_SK_SL_SM_EUlSZ_E0_NS1_11comp_targetILNS1_3genE0ELNS1_11target_archE4294967295ELNS1_3gpuE0ELNS1_3repE0EEENS1_38merge_mergepath_config_static_selectorELNS0_4arch9wavefront6targetE1EEEvSL_
	.globl	_ZN7rocprim17ROCPRIM_400000_NS6detail17trampoline_kernelINS0_14default_configENS1_38merge_sort_block_merge_config_selectorItNS0_10empty_typeEEEZZNS1_27merge_sort_block_merge_implIS3_N6thrust23THRUST_200600_302600_NS6detail15normal_iteratorINS9_10device_ptrItEEEEPS5_jNS1_19radix_merge_compareILb0ELb1EtNS0_19identity_decomposerEEEEE10hipError_tT0_T1_T2_jT3_P12ihipStream_tbPNSt15iterator_traitsISK_E10value_typeEPNSQ_ISL_E10value_typeEPSM_NS1_7vsmem_tEENKUlT_SK_SL_SM_E_clIPtSE_SF_SF_EESJ_SZ_SK_SL_SM_EUlSZ_E0_NS1_11comp_targetILNS1_3genE0ELNS1_11target_archE4294967295ELNS1_3gpuE0ELNS1_3repE0EEENS1_38merge_mergepath_config_static_selectorELNS0_4arch9wavefront6targetE1EEEvSL_
	.p2align	8
	.type	_ZN7rocprim17ROCPRIM_400000_NS6detail17trampoline_kernelINS0_14default_configENS1_38merge_sort_block_merge_config_selectorItNS0_10empty_typeEEEZZNS1_27merge_sort_block_merge_implIS3_N6thrust23THRUST_200600_302600_NS6detail15normal_iteratorINS9_10device_ptrItEEEEPS5_jNS1_19radix_merge_compareILb0ELb1EtNS0_19identity_decomposerEEEEE10hipError_tT0_T1_T2_jT3_P12ihipStream_tbPNSt15iterator_traitsISK_E10value_typeEPNSQ_ISL_E10value_typeEPSM_NS1_7vsmem_tEENKUlT_SK_SL_SM_E_clIPtSE_SF_SF_EESJ_SZ_SK_SL_SM_EUlSZ_E0_NS1_11comp_targetILNS1_3genE0ELNS1_11target_archE4294967295ELNS1_3gpuE0ELNS1_3repE0EEENS1_38merge_mergepath_config_static_selectorELNS0_4arch9wavefront6targetE1EEEvSL_,@function
_ZN7rocprim17ROCPRIM_400000_NS6detail17trampoline_kernelINS0_14default_configENS1_38merge_sort_block_merge_config_selectorItNS0_10empty_typeEEEZZNS1_27merge_sort_block_merge_implIS3_N6thrust23THRUST_200600_302600_NS6detail15normal_iteratorINS9_10device_ptrItEEEEPS5_jNS1_19radix_merge_compareILb0ELb1EtNS0_19identity_decomposerEEEEE10hipError_tT0_T1_T2_jT3_P12ihipStream_tbPNSt15iterator_traitsISK_E10value_typeEPNSQ_ISL_E10value_typeEPSM_NS1_7vsmem_tEENKUlT_SK_SL_SM_E_clIPtSE_SF_SF_EESJ_SZ_SK_SL_SM_EUlSZ_E0_NS1_11comp_targetILNS1_3genE0ELNS1_11target_archE4294967295ELNS1_3gpuE0ELNS1_3repE0EEENS1_38merge_mergepath_config_static_selectorELNS0_4arch9wavefront6targetE1EEEvSL_: ; @_ZN7rocprim17ROCPRIM_400000_NS6detail17trampoline_kernelINS0_14default_configENS1_38merge_sort_block_merge_config_selectorItNS0_10empty_typeEEEZZNS1_27merge_sort_block_merge_implIS3_N6thrust23THRUST_200600_302600_NS6detail15normal_iteratorINS9_10device_ptrItEEEEPS5_jNS1_19radix_merge_compareILb0ELb1EtNS0_19identity_decomposerEEEEE10hipError_tT0_T1_T2_jT3_P12ihipStream_tbPNSt15iterator_traitsISK_E10value_typeEPNSQ_ISL_E10value_typeEPSM_NS1_7vsmem_tEENKUlT_SK_SL_SM_E_clIPtSE_SF_SF_EESJ_SZ_SK_SL_SM_EUlSZ_E0_NS1_11comp_targetILNS1_3genE0ELNS1_11target_archE4294967295ELNS1_3gpuE0ELNS1_3repE0EEENS1_38merge_mergepath_config_static_selectorELNS0_4arch9wavefront6targetE1EEEvSL_
; %bb.0:
	.section	.rodata,"a",@progbits
	.p2align	6, 0x0
	.amdhsa_kernel _ZN7rocprim17ROCPRIM_400000_NS6detail17trampoline_kernelINS0_14default_configENS1_38merge_sort_block_merge_config_selectorItNS0_10empty_typeEEEZZNS1_27merge_sort_block_merge_implIS3_N6thrust23THRUST_200600_302600_NS6detail15normal_iteratorINS9_10device_ptrItEEEEPS5_jNS1_19radix_merge_compareILb0ELb1EtNS0_19identity_decomposerEEEEE10hipError_tT0_T1_T2_jT3_P12ihipStream_tbPNSt15iterator_traitsISK_E10value_typeEPNSQ_ISL_E10value_typeEPSM_NS1_7vsmem_tEENKUlT_SK_SL_SM_E_clIPtSE_SF_SF_EESJ_SZ_SK_SL_SM_EUlSZ_E0_NS1_11comp_targetILNS1_3genE0ELNS1_11target_archE4294967295ELNS1_3gpuE0ELNS1_3repE0EEENS1_38merge_mergepath_config_static_selectorELNS0_4arch9wavefront6targetE1EEEvSL_
		.amdhsa_group_segment_fixed_size 0
		.amdhsa_private_segment_fixed_size 0
		.amdhsa_kernarg_size 64
		.amdhsa_user_sgpr_count 6
		.amdhsa_user_sgpr_private_segment_buffer 1
		.amdhsa_user_sgpr_dispatch_ptr 0
		.amdhsa_user_sgpr_queue_ptr 0
		.amdhsa_user_sgpr_kernarg_segment_ptr 1
		.amdhsa_user_sgpr_dispatch_id 0
		.amdhsa_user_sgpr_flat_scratch_init 0
		.amdhsa_user_sgpr_kernarg_preload_length 0
		.amdhsa_user_sgpr_kernarg_preload_offset 0
		.amdhsa_user_sgpr_private_segment_size 0
		.amdhsa_uses_dynamic_stack 0
		.amdhsa_system_sgpr_private_segment_wavefront_offset 0
		.amdhsa_system_sgpr_workgroup_id_x 1
		.amdhsa_system_sgpr_workgroup_id_y 0
		.amdhsa_system_sgpr_workgroup_id_z 0
		.amdhsa_system_sgpr_workgroup_info 0
		.amdhsa_system_vgpr_workitem_id 0
		.amdhsa_next_free_vgpr 1
		.amdhsa_next_free_sgpr 0
		.amdhsa_accum_offset 4
		.amdhsa_reserve_vcc 0
		.amdhsa_reserve_flat_scratch 0
		.amdhsa_float_round_mode_32 0
		.amdhsa_float_round_mode_16_64 0
		.amdhsa_float_denorm_mode_32 3
		.amdhsa_float_denorm_mode_16_64 3
		.amdhsa_dx10_clamp 1
		.amdhsa_ieee_mode 1
		.amdhsa_fp16_overflow 0
		.amdhsa_tg_split 0
		.amdhsa_exception_fp_ieee_invalid_op 0
		.amdhsa_exception_fp_denorm_src 0
		.amdhsa_exception_fp_ieee_div_zero 0
		.amdhsa_exception_fp_ieee_overflow 0
		.amdhsa_exception_fp_ieee_underflow 0
		.amdhsa_exception_fp_ieee_inexact 0
		.amdhsa_exception_int_div_zero 0
	.end_amdhsa_kernel
	.section	.text._ZN7rocprim17ROCPRIM_400000_NS6detail17trampoline_kernelINS0_14default_configENS1_38merge_sort_block_merge_config_selectorItNS0_10empty_typeEEEZZNS1_27merge_sort_block_merge_implIS3_N6thrust23THRUST_200600_302600_NS6detail15normal_iteratorINS9_10device_ptrItEEEEPS5_jNS1_19radix_merge_compareILb0ELb1EtNS0_19identity_decomposerEEEEE10hipError_tT0_T1_T2_jT3_P12ihipStream_tbPNSt15iterator_traitsISK_E10value_typeEPNSQ_ISL_E10value_typeEPSM_NS1_7vsmem_tEENKUlT_SK_SL_SM_E_clIPtSE_SF_SF_EESJ_SZ_SK_SL_SM_EUlSZ_E0_NS1_11comp_targetILNS1_3genE0ELNS1_11target_archE4294967295ELNS1_3gpuE0ELNS1_3repE0EEENS1_38merge_mergepath_config_static_selectorELNS0_4arch9wavefront6targetE1EEEvSL_,"axG",@progbits,_ZN7rocprim17ROCPRIM_400000_NS6detail17trampoline_kernelINS0_14default_configENS1_38merge_sort_block_merge_config_selectorItNS0_10empty_typeEEEZZNS1_27merge_sort_block_merge_implIS3_N6thrust23THRUST_200600_302600_NS6detail15normal_iteratorINS9_10device_ptrItEEEEPS5_jNS1_19radix_merge_compareILb0ELb1EtNS0_19identity_decomposerEEEEE10hipError_tT0_T1_T2_jT3_P12ihipStream_tbPNSt15iterator_traitsISK_E10value_typeEPNSQ_ISL_E10value_typeEPSM_NS1_7vsmem_tEENKUlT_SK_SL_SM_E_clIPtSE_SF_SF_EESJ_SZ_SK_SL_SM_EUlSZ_E0_NS1_11comp_targetILNS1_3genE0ELNS1_11target_archE4294967295ELNS1_3gpuE0ELNS1_3repE0EEENS1_38merge_mergepath_config_static_selectorELNS0_4arch9wavefront6targetE1EEEvSL_,comdat
.Lfunc_end1271:
	.size	_ZN7rocprim17ROCPRIM_400000_NS6detail17trampoline_kernelINS0_14default_configENS1_38merge_sort_block_merge_config_selectorItNS0_10empty_typeEEEZZNS1_27merge_sort_block_merge_implIS3_N6thrust23THRUST_200600_302600_NS6detail15normal_iteratorINS9_10device_ptrItEEEEPS5_jNS1_19radix_merge_compareILb0ELb1EtNS0_19identity_decomposerEEEEE10hipError_tT0_T1_T2_jT3_P12ihipStream_tbPNSt15iterator_traitsISK_E10value_typeEPNSQ_ISL_E10value_typeEPSM_NS1_7vsmem_tEENKUlT_SK_SL_SM_E_clIPtSE_SF_SF_EESJ_SZ_SK_SL_SM_EUlSZ_E0_NS1_11comp_targetILNS1_3genE0ELNS1_11target_archE4294967295ELNS1_3gpuE0ELNS1_3repE0EEENS1_38merge_mergepath_config_static_selectorELNS0_4arch9wavefront6targetE1EEEvSL_, .Lfunc_end1271-_ZN7rocprim17ROCPRIM_400000_NS6detail17trampoline_kernelINS0_14default_configENS1_38merge_sort_block_merge_config_selectorItNS0_10empty_typeEEEZZNS1_27merge_sort_block_merge_implIS3_N6thrust23THRUST_200600_302600_NS6detail15normal_iteratorINS9_10device_ptrItEEEEPS5_jNS1_19radix_merge_compareILb0ELb1EtNS0_19identity_decomposerEEEEE10hipError_tT0_T1_T2_jT3_P12ihipStream_tbPNSt15iterator_traitsISK_E10value_typeEPNSQ_ISL_E10value_typeEPSM_NS1_7vsmem_tEENKUlT_SK_SL_SM_E_clIPtSE_SF_SF_EESJ_SZ_SK_SL_SM_EUlSZ_E0_NS1_11comp_targetILNS1_3genE0ELNS1_11target_archE4294967295ELNS1_3gpuE0ELNS1_3repE0EEENS1_38merge_mergepath_config_static_selectorELNS0_4arch9wavefront6targetE1EEEvSL_
                                        ; -- End function
	.section	.AMDGPU.csdata,"",@progbits
; Kernel info:
; codeLenInByte = 0
; NumSgprs: 4
; NumVgprs: 0
; NumAgprs: 0
; TotalNumVgprs: 0
; ScratchSize: 0
; MemoryBound: 0
; FloatMode: 240
; IeeeMode: 1
; LDSByteSize: 0 bytes/workgroup (compile time only)
; SGPRBlocks: 0
; VGPRBlocks: 0
; NumSGPRsForWavesPerEU: 4
; NumVGPRsForWavesPerEU: 1
; AccumOffset: 4
; Occupancy: 8
; WaveLimiterHint : 0
; COMPUTE_PGM_RSRC2:SCRATCH_EN: 0
; COMPUTE_PGM_RSRC2:USER_SGPR: 6
; COMPUTE_PGM_RSRC2:TRAP_HANDLER: 0
; COMPUTE_PGM_RSRC2:TGID_X_EN: 1
; COMPUTE_PGM_RSRC2:TGID_Y_EN: 0
; COMPUTE_PGM_RSRC2:TGID_Z_EN: 0
; COMPUTE_PGM_RSRC2:TIDIG_COMP_CNT: 0
; COMPUTE_PGM_RSRC3_GFX90A:ACCUM_OFFSET: 0
; COMPUTE_PGM_RSRC3_GFX90A:TG_SPLIT: 0
	.section	.text._ZN7rocprim17ROCPRIM_400000_NS6detail17trampoline_kernelINS0_14default_configENS1_38merge_sort_block_merge_config_selectorItNS0_10empty_typeEEEZZNS1_27merge_sort_block_merge_implIS3_N6thrust23THRUST_200600_302600_NS6detail15normal_iteratorINS9_10device_ptrItEEEEPS5_jNS1_19radix_merge_compareILb0ELb1EtNS0_19identity_decomposerEEEEE10hipError_tT0_T1_T2_jT3_P12ihipStream_tbPNSt15iterator_traitsISK_E10value_typeEPNSQ_ISL_E10value_typeEPSM_NS1_7vsmem_tEENKUlT_SK_SL_SM_E_clIPtSE_SF_SF_EESJ_SZ_SK_SL_SM_EUlSZ_E0_NS1_11comp_targetILNS1_3genE10ELNS1_11target_archE1201ELNS1_3gpuE5ELNS1_3repE0EEENS1_38merge_mergepath_config_static_selectorELNS0_4arch9wavefront6targetE1EEEvSL_,"axG",@progbits,_ZN7rocprim17ROCPRIM_400000_NS6detail17trampoline_kernelINS0_14default_configENS1_38merge_sort_block_merge_config_selectorItNS0_10empty_typeEEEZZNS1_27merge_sort_block_merge_implIS3_N6thrust23THRUST_200600_302600_NS6detail15normal_iteratorINS9_10device_ptrItEEEEPS5_jNS1_19radix_merge_compareILb0ELb1EtNS0_19identity_decomposerEEEEE10hipError_tT0_T1_T2_jT3_P12ihipStream_tbPNSt15iterator_traitsISK_E10value_typeEPNSQ_ISL_E10value_typeEPSM_NS1_7vsmem_tEENKUlT_SK_SL_SM_E_clIPtSE_SF_SF_EESJ_SZ_SK_SL_SM_EUlSZ_E0_NS1_11comp_targetILNS1_3genE10ELNS1_11target_archE1201ELNS1_3gpuE5ELNS1_3repE0EEENS1_38merge_mergepath_config_static_selectorELNS0_4arch9wavefront6targetE1EEEvSL_,comdat
	.protected	_ZN7rocprim17ROCPRIM_400000_NS6detail17trampoline_kernelINS0_14default_configENS1_38merge_sort_block_merge_config_selectorItNS0_10empty_typeEEEZZNS1_27merge_sort_block_merge_implIS3_N6thrust23THRUST_200600_302600_NS6detail15normal_iteratorINS9_10device_ptrItEEEEPS5_jNS1_19radix_merge_compareILb0ELb1EtNS0_19identity_decomposerEEEEE10hipError_tT0_T1_T2_jT3_P12ihipStream_tbPNSt15iterator_traitsISK_E10value_typeEPNSQ_ISL_E10value_typeEPSM_NS1_7vsmem_tEENKUlT_SK_SL_SM_E_clIPtSE_SF_SF_EESJ_SZ_SK_SL_SM_EUlSZ_E0_NS1_11comp_targetILNS1_3genE10ELNS1_11target_archE1201ELNS1_3gpuE5ELNS1_3repE0EEENS1_38merge_mergepath_config_static_selectorELNS0_4arch9wavefront6targetE1EEEvSL_ ; -- Begin function _ZN7rocprim17ROCPRIM_400000_NS6detail17trampoline_kernelINS0_14default_configENS1_38merge_sort_block_merge_config_selectorItNS0_10empty_typeEEEZZNS1_27merge_sort_block_merge_implIS3_N6thrust23THRUST_200600_302600_NS6detail15normal_iteratorINS9_10device_ptrItEEEEPS5_jNS1_19radix_merge_compareILb0ELb1EtNS0_19identity_decomposerEEEEE10hipError_tT0_T1_T2_jT3_P12ihipStream_tbPNSt15iterator_traitsISK_E10value_typeEPNSQ_ISL_E10value_typeEPSM_NS1_7vsmem_tEENKUlT_SK_SL_SM_E_clIPtSE_SF_SF_EESJ_SZ_SK_SL_SM_EUlSZ_E0_NS1_11comp_targetILNS1_3genE10ELNS1_11target_archE1201ELNS1_3gpuE5ELNS1_3repE0EEENS1_38merge_mergepath_config_static_selectorELNS0_4arch9wavefront6targetE1EEEvSL_
	.globl	_ZN7rocprim17ROCPRIM_400000_NS6detail17trampoline_kernelINS0_14default_configENS1_38merge_sort_block_merge_config_selectorItNS0_10empty_typeEEEZZNS1_27merge_sort_block_merge_implIS3_N6thrust23THRUST_200600_302600_NS6detail15normal_iteratorINS9_10device_ptrItEEEEPS5_jNS1_19radix_merge_compareILb0ELb1EtNS0_19identity_decomposerEEEEE10hipError_tT0_T1_T2_jT3_P12ihipStream_tbPNSt15iterator_traitsISK_E10value_typeEPNSQ_ISL_E10value_typeEPSM_NS1_7vsmem_tEENKUlT_SK_SL_SM_E_clIPtSE_SF_SF_EESJ_SZ_SK_SL_SM_EUlSZ_E0_NS1_11comp_targetILNS1_3genE10ELNS1_11target_archE1201ELNS1_3gpuE5ELNS1_3repE0EEENS1_38merge_mergepath_config_static_selectorELNS0_4arch9wavefront6targetE1EEEvSL_
	.p2align	8
	.type	_ZN7rocprim17ROCPRIM_400000_NS6detail17trampoline_kernelINS0_14default_configENS1_38merge_sort_block_merge_config_selectorItNS0_10empty_typeEEEZZNS1_27merge_sort_block_merge_implIS3_N6thrust23THRUST_200600_302600_NS6detail15normal_iteratorINS9_10device_ptrItEEEEPS5_jNS1_19radix_merge_compareILb0ELb1EtNS0_19identity_decomposerEEEEE10hipError_tT0_T1_T2_jT3_P12ihipStream_tbPNSt15iterator_traitsISK_E10value_typeEPNSQ_ISL_E10value_typeEPSM_NS1_7vsmem_tEENKUlT_SK_SL_SM_E_clIPtSE_SF_SF_EESJ_SZ_SK_SL_SM_EUlSZ_E0_NS1_11comp_targetILNS1_3genE10ELNS1_11target_archE1201ELNS1_3gpuE5ELNS1_3repE0EEENS1_38merge_mergepath_config_static_selectorELNS0_4arch9wavefront6targetE1EEEvSL_,@function
_ZN7rocprim17ROCPRIM_400000_NS6detail17trampoline_kernelINS0_14default_configENS1_38merge_sort_block_merge_config_selectorItNS0_10empty_typeEEEZZNS1_27merge_sort_block_merge_implIS3_N6thrust23THRUST_200600_302600_NS6detail15normal_iteratorINS9_10device_ptrItEEEEPS5_jNS1_19radix_merge_compareILb0ELb1EtNS0_19identity_decomposerEEEEE10hipError_tT0_T1_T2_jT3_P12ihipStream_tbPNSt15iterator_traitsISK_E10value_typeEPNSQ_ISL_E10value_typeEPSM_NS1_7vsmem_tEENKUlT_SK_SL_SM_E_clIPtSE_SF_SF_EESJ_SZ_SK_SL_SM_EUlSZ_E0_NS1_11comp_targetILNS1_3genE10ELNS1_11target_archE1201ELNS1_3gpuE5ELNS1_3repE0EEENS1_38merge_mergepath_config_static_selectorELNS0_4arch9wavefront6targetE1EEEvSL_: ; @_ZN7rocprim17ROCPRIM_400000_NS6detail17trampoline_kernelINS0_14default_configENS1_38merge_sort_block_merge_config_selectorItNS0_10empty_typeEEEZZNS1_27merge_sort_block_merge_implIS3_N6thrust23THRUST_200600_302600_NS6detail15normal_iteratorINS9_10device_ptrItEEEEPS5_jNS1_19radix_merge_compareILb0ELb1EtNS0_19identity_decomposerEEEEE10hipError_tT0_T1_T2_jT3_P12ihipStream_tbPNSt15iterator_traitsISK_E10value_typeEPNSQ_ISL_E10value_typeEPSM_NS1_7vsmem_tEENKUlT_SK_SL_SM_E_clIPtSE_SF_SF_EESJ_SZ_SK_SL_SM_EUlSZ_E0_NS1_11comp_targetILNS1_3genE10ELNS1_11target_archE1201ELNS1_3gpuE5ELNS1_3repE0EEENS1_38merge_mergepath_config_static_selectorELNS0_4arch9wavefront6targetE1EEEvSL_
; %bb.0:
	.section	.rodata,"a",@progbits
	.p2align	6, 0x0
	.amdhsa_kernel _ZN7rocprim17ROCPRIM_400000_NS6detail17trampoline_kernelINS0_14default_configENS1_38merge_sort_block_merge_config_selectorItNS0_10empty_typeEEEZZNS1_27merge_sort_block_merge_implIS3_N6thrust23THRUST_200600_302600_NS6detail15normal_iteratorINS9_10device_ptrItEEEEPS5_jNS1_19radix_merge_compareILb0ELb1EtNS0_19identity_decomposerEEEEE10hipError_tT0_T1_T2_jT3_P12ihipStream_tbPNSt15iterator_traitsISK_E10value_typeEPNSQ_ISL_E10value_typeEPSM_NS1_7vsmem_tEENKUlT_SK_SL_SM_E_clIPtSE_SF_SF_EESJ_SZ_SK_SL_SM_EUlSZ_E0_NS1_11comp_targetILNS1_3genE10ELNS1_11target_archE1201ELNS1_3gpuE5ELNS1_3repE0EEENS1_38merge_mergepath_config_static_selectorELNS0_4arch9wavefront6targetE1EEEvSL_
		.amdhsa_group_segment_fixed_size 0
		.amdhsa_private_segment_fixed_size 0
		.amdhsa_kernarg_size 64
		.amdhsa_user_sgpr_count 6
		.amdhsa_user_sgpr_private_segment_buffer 1
		.amdhsa_user_sgpr_dispatch_ptr 0
		.amdhsa_user_sgpr_queue_ptr 0
		.amdhsa_user_sgpr_kernarg_segment_ptr 1
		.amdhsa_user_sgpr_dispatch_id 0
		.amdhsa_user_sgpr_flat_scratch_init 0
		.amdhsa_user_sgpr_kernarg_preload_length 0
		.amdhsa_user_sgpr_kernarg_preload_offset 0
		.amdhsa_user_sgpr_private_segment_size 0
		.amdhsa_uses_dynamic_stack 0
		.amdhsa_system_sgpr_private_segment_wavefront_offset 0
		.amdhsa_system_sgpr_workgroup_id_x 1
		.amdhsa_system_sgpr_workgroup_id_y 0
		.amdhsa_system_sgpr_workgroup_id_z 0
		.amdhsa_system_sgpr_workgroup_info 0
		.amdhsa_system_vgpr_workitem_id 0
		.amdhsa_next_free_vgpr 1
		.amdhsa_next_free_sgpr 0
		.amdhsa_accum_offset 4
		.amdhsa_reserve_vcc 0
		.amdhsa_reserve_flat_scratch 0
		.amdhsa_float_round_mode_32 0
		.amdhsa_float_round_mode_16_64 0
		.amdhsa_float_denorm_mode_32 3
		.amdhsa_float_denorm_mode_16_64 3
		.amdhsa_dx10_clamp 1
		.amdhsa_ieee_mode 1
		.amdhsa_fp16_overflow 0
		.amdhsa_tg_split 0
		.amdhsa_exception_fp_ieee_invalid_op 0
		.amdhsa_exception_fp_denorm_src 0
		.amdhsa_exception_fp_ieee_div_zero 0
		.amdhsa_exception_fp_ieee_overflow 0
		.amdhsa_exception_fp_ieee_underflow 0
		.amdhsa_exception_fp_ieee_inexact 0
		.amdhsa_exception_int_div_zero 0
	.end_amdhsa_kernel
	.section	.text._ZN7rocprim17ROCPRIM_400000_NS6detail17trampoline_kernelINS0_14default_configENS1_38merge_sort_block_merge_config_selectorItNS0_10empty_typeEEEZZNS1_27merge_sort_block_merge_implIS3_N6thrust23THRUST_200600_302600_NS6detail15normal_iteratorINS9_10device_ptrItEEEEPS5_jNS1_19radix_merge_compareILb0ELb1EtNS0_19identity_decomposerEEEEE10hipError_tT0_T1_T2_jT3_P12ihipStream_tbPNSt15iterator_traitsISK_E10value_typeEPNSQ_ISL_E10value_typeEPSM_NS1_7vsmem_tEENKUlT_SK_SL_SM_E_clIPtSE_SF_SF_EESJ_SZ_SK_SL_SM_EUlSZ_E0_NS1_11comp_targetILNS1_3genE10ELNS1_11target_archE1201ELNS1_3gpuE5ELNS1_3repE0EEENS1_38merge_mergepath_config_static_selectorELNS0_4arch9wavefront6targetE1EEEvSL_,"axG",@progbits,_ZN7rocprim17ROCPRIM_400000_NS6detail17trampoline_kernelINS0_14default_configENS1_38merge_sort_block_merge_config_selectorItNS0_10empty_typeEEEZZNS1_27merge_sort_block_merge_implIS3_N6thrust23THRUST_200600_302600_NS6detail15normal_iteratorINS9_10device_ptrItEEEEPS5_jNS1_19radix_merge_compareILb0ELb1EtNS0_19identity_decomposerEEEEE10hipError_tT0_T1_T2_jT3_P12ihipStream_tbPNSt15iterator_traitsISK_E10value_typeEPNSQ_ISL_E10value_typeEPSM_NS1_7vsmem_tEENKUlT_SK_SL_SM_E_clIPtSE_SF_SF_EESJ_SZ_SK_SL_SM_EUlSZ_E0_NS1_11comp_targetILNS1_3genE10ELNS1_11target_archE1201ELNS1_3gpuE5ELNS1_3repE0EEENS1_38merge_mergepath_config_static_selectorELNS0_4arch9wavefront6targetE1EEEvSL_,comdat
.Lfunc_end1272:
	.size	_ZN7rocprim17ROCPRIM_400000_NS6detail17trampoline_kernelINS0_14default_configENS1_38merge_sort_block_merge_config_selectorItNS0_10empty_typeEEEZZNS1_27merge_sort_block_merge_implIS3_N6thrust23THRUST_200600_302600_NS6detail15normal_iteratorINS9_10device_ptrItEEEEPS5_jNS1_19radix_merge_compareILb0ELb1EtNS0_19identity_decomposerEEEEE10hipError_tT0_T1_T2_jT3_P12ihipStream_tbPNSt15iterator_traitsISK_E10value_typeEPNSQ_ISL_E10value_typeEPSM_NS1_7vsmem_tEENKUlT_SK_SL_SM_E_clIPtSE_SF_SF_EESJ_SZ_SK_SL_SM_EUlSZ_E0_NS1_11comp_targetILNS1_3genE10ELNS1_11target_archE1201ELNS1_3gpuE5ELNS1_3repE0EEENS1_38merge_mergepath_config_static_selectorELNS0_4arch9wavefront6targetE1EEEvSL_, .Lfunc_end1272-_ZN7rocprim17ROCPRIM_400000_NS6detail17trampoline_kernelINS0_14default_configENS1_38merge_sort_block_merge_config_selectorItNS0_10empty_typeEEEZZNS1_27merge_sort_block_merge_implIS3_N6thrust23THRUST_200600_302600_NS6detail15normal_iteratorINS9_10device_ptrItEEEEPS5_jNS1_19radix_merge_compareILb0ELb1EtNS0_19identity_decomposerEEEEE10hipError_tT0_T1_T2_jT3_P12ihipStream_tbPNSt15iterator_traitsISK_E10value_typeEPNSQ_ISL_E10value_typeEPSM_NS1_7vsmem_tEENKUlT_SK_SL_SM_E_clIPtSE_SF_SF_EESJ_SZ_SK_SL_SM_EUlSZ_E0_NS1_11comp_targetILNS1_3genE10ELNS1_11target_archE1201ELNS1_3gpuE5ELNS1_3repE0EEENS1_38merge_mergepath_config_static_selectorELNS0_4arch9wavefront6targetE1EEEvSL_
                                        ; -- End function
	.section	.AMDGPU.csdata,"",@progbits
; Kernel info:
; codeLenInByte = 0
; NumSgprs: 4
; NumVgprs: 0
; NumAgprs: 0
; TotalNumVgprs: 0
; ScratchSize: 0
; MemoryBound: 0
; FloatMode: 240
; IeeeMode: 1
; LDSByteSize: 0 bytes/workgroup (compile time only)
; SGPRBlocks: 0
; VGPRBlocks: 0
; NumSGPRsForWavesPerEU: 4
; NumVGPRsForWavesPerEU: 1
; AccumOffset: 4
; Occupancy: 8
; WaveLimiterHint : 0
; COMPUTE_PGM_RSRC2:SCRATCH_EN: 0
; COMPUTE_PGM_RSRC2:USER_SGPR: 6
; COMPUTE_PGM_RSRC2:TRAP_HANDLER: 0
; COMPUTE_PGM_RSRC2:TGID_X_EN: 1
; COMPUTE_PGM_RSRC2:TGID_Y_EN: 0
; COMPUTE_PGM_RSRC2:TGID_Z_EN: 0
; COMPUTE_PGM_RSRC2:TIDIG_COMP_CNT: 0
; COMPUTE_PGM_RSRC3_GFX90A:ACCUM_OFFSET: 0
; COMPUTE_PGM_RSRC3_GFX90A:TG_SPLIT: 0
	.section	.text._ZN7rocprim17ROCPRIM_400000_NS6detail17trampoline_kernelINS0_14default_configENS1_38merge_sort_block_merge_config_selectorItNS0_10empty_typeEEEZZNS1_27merge_sort_block_merge_implIS3_N6thrust23THRUST_200600_302600_NS6detail15normal_iteratorINS9_10device_ptrItEEEEPS5_jNS1_19radix_merge_compareILb0ELb1EtNS0_19identity_decomposerEEEEE10hipError_tT0_T1_T2_jT3_P12ihipStream_tbPNSt15iterator_traitsISK_E10value_typeEPNSQ_ISL_E10value_typeEPSM_NS1_7vsmem_tEENKUlT_SK_SL_SM_E_clIPtSE_SF_SF_EESJ_SZ_SK_SL_SM_EUlSZ_E0_NS1_11comp_targetILNS1_3genE5ELNS1_11target_archE942ELNS1_3gpuE9ELNS1_3repE0EEENS1_38merge_mergepath_config_static_selectorELNS0_4arch9wavefront6targetE1EEEvSL_,"axG",@progbits,_ZN7rocprim17ROCPRIM_400000_NS6detail17trampoline_kernelINS0_14default_configENS1_38merge_sort_block_merge_config_selectorItNS0_10empty_typeEEEZZNS1_27merge_sort_block_merge_implIS3_N6thrust23THRUST_200600_302600_NS6detail15normal_iteratorINS9_10device_ptrItEEEEPS5_jNS1_19radix_merge_compareILb0ELb1EtNS0_19identity_decomposerEEEEE10hipError_tT0_T1_T2_jT3_P12ihipStream_tbPNSt15iterator_traitsISK_E10value_typeEPNSQ_ISL_E10value_typeEPSM_NS1_7vsmem_tEENKUlT_SK_SL_SM_E_clIPtSE_SF_SF_EESJ_SZ_SK_SL_SM_EUlSZ_E0_NS1_11comp_targetILNS1_3genE5ELNS1_11target_archE942ELNS1_3gpuE9ELNS1_3repE0EEENS1_38merge_mergepath_config_static_selectorELNS0_4arch9wavefront6targetE1EEEvSL_,comdat
	.protected	_ZN7rocprim17ROCPRIM_400000_NS6detail17trampoline_kernelINS0_14default_configENS1_38merge_sort_block_merge_config_selectorItNS0_10empty_typeEEEZZNS1_27merge_sort_block_merge_implIS3_N6thrust23THRUST_200600_302600_NS6detail15normal_iteratorINS9_10device_ptrItEEEEPS5_jNS1_19radix_merge_compareILb0ELb1EtNS0_19identity_decomposerEEEEE10hipError_tT0_T1_T2_jT3_P12ihipStream_tbPNSt15iterator_traitsISK_E10value_typeEPNSQ_ISL_E10value_typeEPSM_NS1_7vsmem_tEENKUlT_SK_SL_SM_E_clIPtSE_SF_SF_EESJ_SZ_SK_SL_SM_EUlSZ_E0_NS1_11comp_targetILNS1_3genE5ELNS1_11target_archE942ELNS1_3gpuE9ELNS1_3repE0EEENS1_38merge_mergepath_config_static_selectorELNS0_4arch9wavefront6targetE1EEEvSL_ ; -- Begin function _ZN7rocprim17ROCPRIM_400000_NS6detail17trampoline_kernelINS0_14default_configENS1_38merge_sort_block_merge_config_selectorItNS0_10empty_typeEEEZZNS1_27merge_sort_block_merge_implIS3_N6thrust23THRUST_200600_302600_NS6detail15normal_iteratorINS9_10device_ptrItEEEEPS5_jNS1_19radix_merge_compareILb0ELb1EtNS0_19identity_decomposerEEEEE10hipError_tT0_T1_T2_jT3_P12ihipStream_tbPNSt15iterator_traitsISK_E10value_typeEPNSQ_ISL_E10value_typeEPSM_NS1_7vsmem_tEENKUlT_SK_SL_SM_E_clIPtSE_SF_SF_EESJ_SZ_SK_SL_SM_EUlSZ_E0_NS1_11comp_targetILNS1_3genE5ELNS1_11target_archE942ELNS1_3gpuE9ELNS1_3repE0EEENS1_38merge_mergepath_config_static_selectorELNS0_4arch9wavefront6targetE1EEEvSL_
	.globl	_ZN7rocprim17ROCPRIM_400000_NS6detail17trampoline_kernelINS0_14default_configENS1_38merge_sort_block_merge_config_selectorItNS0_10empty_typeEEEZZNS1_27merge_sort_block_merge_implIS3_N6thrust23THRUST_200600_302600_NS6detail15normal_iteratorINS9_10device_ptrItEEEEPS5_jNS1_19radix_merge_compareILb0ELb1EtNS0_19identity_decomposerEEEEE10hipError_tT0_T1_T2_jT3_P12ihipStream_tbPNSt15iterator_traitsISK_E10value_typeEPNSQ_ISL_E10value_typeEPSM_NS1_7vsmem_tEENKUlT_SK_SL_SM_E_clIPtSE_SF_SF_EESJ_SZ_SK_SL_SM_EUlSZ_E0_NS1_11comp_targetILNS1_3genE5ELNS1_11target_archE942ELNS1_3gpuE9ELNS1_3repE0EEENS1_38merge_mergepath_config_static_selectorELNS0_4arch9wavefront6targetE1EEEvSL_
	.p2align	8
	.type	_ZN7rocprim17ROCPRIM_400000_NS6detail17trampoline_kernelINS0_14default_configENS1_38merge_sort_block_merge_config_selectorItNS0_10empty_typeEEEZZNS1_27merge_sort_block_merge_implIS3_N6thrust23THRUST_200600_302600_NS6detail15normal_iteratorINS9_10device_ptrItEEEEPS5_jNS1_19radix_merge_compareILb0ELb1EtNS0_19identity_decomposerEEEEE10hipError_tT0_T1_T2_jT3_P12ihipStream_tbPNSt15iterator_traitsISK_E10value_typeEPNSQ_ISL_E10value_typeEPSM_NS1_7vsmem_tEENKUlT_SK_SL_SM_E_clIPtSE_SF_SF_EESJ_SZ_SK_SL_SM_EUlSZ_E0_NS1_11comp_targetILNS1_3genE5ELNS1_11target_archE942ELNS1_3gpuE9ELNS1_3repE0EEENS1_38merge_mergepath_config_static_selectorELNS0_4arch9wavefront6targetE1EEEvSL_,@function
_ZN7rocprim17ROCPRIM_400000_NS6detail17trampoline_kernelINS0_14default_configENS1_38merge_sort_block_merge_config_selectorItNS0_10empty_typeEEEZZNS1_27merge_sort_block_merge_implIS3_N6thrust23THRUST_200600_302600_NS6detail15normal_iteratorINS9_10device_ptrItEEEEPS5_jNS1_19radix_merge_compareILb0ELb1EtNS0_19identity_decomposerEEEEE10hipError_tT0_T1_T2_jT3_P12ihipStream_tbPNSt15iterator_traitsISK_E10value_typeEPNSQ_ISL_E10value_typeEPSM_NS1_7vsmem_tEENKUlT_SK_SL_SM_E_clIPtSE_SF_SF_EESJ_SZ_SK_SL_SM_EUlSZ_E0_NS1_11comp_targetILNS1_3genE5ELNS1_11target_archE942ELNS1_3gpuE9ELNS1_3repE0EEENS1_38merge_mergepath_config_static_selectorELNS0_4arch9wavefront6targetE1EEEvSL_: ; @_ZN7rocprim17ROCPRIM_400000_NS6detail17trampoline_kernelINS0_14default_configENS1_38merge_sort_block_merge_config_selectorItNS0_10empty_typeEEEZZNS1_27merge_sort_block_merge_implIS3_N6thrust23THRUST_200600_302600_NS6detail15normal_iteratorINS9_10device_ptrItEEEEPS5_jNS1_19radix_merge_compareILb0ELb1EtNS0_19identity_decomposerEEEEE10hipError_tT0_T1_T2_jT3_P12ihipStream_tbPNSt15iterator_traitsISK_E10value_typeEPNSQ_ISL_E10value_typeEPSM_NS1_7vsmem_tEENKUlT_SK_SL_SM_E_clIPtSE_SF_SF_EESJ_SZ_SK_SL_SM_EUlSZ_E0_NS1_11comp_targetILNS1_3genE5ELNS1_11target_archE942ELNS1_3gpuE9ELNS1_3repE0EEENS1_38merge_mergepath_config_static_selectorELNS0_4arch9wavefront6targetE1EEEvSL_
; %bb.0:
	.section	.rodata,"a",@progbits
	.p2align	6, 0x0
	.amdhsa_kernel _ZN7rocprim17ROCPRIM_400000_NS6detail17trampoline_kernelINS0_14default_configENS1_38merge_sort_block_merge_config_selectorItNS0_10empty_typeEEEZZNS1_27merge_sort_block_merge_implIS3_N6thrust23THRUST_200600_302600_NS6detail15normal_iteratorINS9_10device_ptrItEEEEPS5_jNS1_19radix_merge_compareILb0ELb1EtNS0_19identity_decomposerEEEEE10hipError_tT0_T1_T2_jT3_P12ihipStream_tbPNSt15iterator_traitsISK_E10value_typeEPNSQ_ISL_E10value_typeEPSM_NS1_7vsmem_tEENKUlT_SK_SL_SM_E_clIPtSE_SF_SF_EESJ_SZ_SK_SL_SM_EUlSZ_E0_NS1_11comp_targetILNS1_3genE5ELNS1_11target_archE942ELNS1_3gpuE9ELNS1_3repE0EEENS1_38merge_mergepath_config_static_selectorELNS0_4arch9wavefront6targetE1EEEvSL_
		.amdhsa_group_segment_fixed_size 0
		.amdhsa_private_segment_fixed_size 0
		.amdhsa_kernarg_size 64
		.amdhsa_user_sgpr_count 6
		.amdhsa_user_sgpr_private_segment_buffer 1
		.amdhsa_user_sgpr_dispatch_ptr 0
		.amdhsa_user_sgpr_queue_ptr 0
		.amdhsa_user_sgpr_kernarg_segment_ptr 1
		.amdhsa_user_sgpr_dispatch_id 0
		.amdhsa_user_sgpr_flat_scratch_init 0
		.amdhsa_user_sgpr_kernarg_preload_length 0
		.amdhsa_user_sgpr_kernarg_preload_offset 0
		.amdhsa_user_sgpr_private_segment_size 0
		.amdhsa_uses_dynamic_stack 0
		.amdhsa_system_sgpr_private_segment_wavefront_offset 0
		.amdhsa_system_sgpr_workgroup_id_x 1
		.amdhsa_system_sgpr_workgroup_id_y 0
		.amdhsa_system_sgpr_workgroup_id_z 0
		.amdhsa_system_sgpr_workgroup_info 0
		.amdhsa_system_vgpr_workitem_id 0
		.amdhsa_next_free_vgpr 1
		.amdhsa_next_free_sgpr 0
		.amdhsa_accum_offset 4
		.amdhsa_reserve_vcc 0
		.amdhsa_reserve_flat_scratch 0
		.amdhsa_float_round_mode_32 0
		.amdhsa_float_round_mode_16_64 0
		.amdhsa_float_denorm_mode_32 3
		.amdhsa_float_denorm_mode_16_64 3
		.amdhsa_dx10_clamp 1
		.amdhsa_ieee_mode 1
		.amdhsa_fp16_overflow 0
		.amdhsa_tg_split 0
		.amdhsa_exception_fp_ieee_invalid_op 0
		.amdhsa_exception_fp_denorm_src 0
		.amdhsa_exception_fp_ieee_div_zero 0
		.amdhsa_exception_fp_ieee_overflow 0
		.amdhsa_exception_fp_ieee_underflow 0
		.amdhsa_exception_fp_ieee_inexact 0
		.amdhsa_exception_int_div_zero 0
	.end_amdhsa_kernel
	.section	.text._ZN7rocprim17ROCPRIM_400000_NS6detail17trampoline_kernelINS0_14default_configENS1_38merge_sort_block_merge_config_selectorItNS0_10empty_typeEEEZZNS1_27merge_sort_block_merge_implIS3_N6thrust23THRUST_200600_302600_NS6detail15normal_iteratorINS9_10device_ptrItEEEEPS5_jNS1_19radix_merge_compareILb0ELb1EtNS0_19identity_decomposerEEEEE10hipError_tT0_T1_T2_jT3_P12ihipStream_tbPNSt15iterator_traitsISK_E10value_typeEPNSQ_ISL_E10value_typeEPSM_NS1_7vsmem_tEENKUlT_SK_SL_SM_E_clIPtSE_SF_SF_EESJ_SZ_SK_SL_SM_EUlSZ_E0_NS1_11comp_targetILNS1_3genE5ELNS1_11target_archE942ELNS1_3gpuE9ELNS1_3repE0EEENS1_38merge_mergepath_config_static_selectorELNS0_4arch9wavefront6targetE1EEEvSL_,"axG",@progbits,_ZN7rocprim17ROCPRIM_400000_NS6detail17trampoline_kernelINS0_14default_configENS1_38merge_sort_block_merge_config_selectorItNS0_10empty_typeEEEZZNS1_27merge_sort_block_merge_implIS3_N6thrust23THRUST_200600_302600_NS6detail15normal_iteratorINS9_10device_ptrItEEEEPS5_jNS1_19radix_merge_compareILb0ELb1EtNS0_19identity_decomposerEEEEE10hipError_tT0_T1_T2_jT3_P12ihipStream_tbPNSt15iterator_traitsISK_E10value_typeEPNSQ_ISL_E10value_typeEPSM_NS1_7vsmem_tEENKUlT_SK_SL_SM_E_clIPtSE_SF_SF_EESJ_SZ_SK_SL_SM_EUlSZ_E0_NS1_11comp_targetILNS1_3genE5ELNS1_11target_archE942ELNS1_3gpuE9ELNS1_3repE0EEENS1_38merge_mergepath_config_static_selectorELNS0_4arch9wavefront6targetE1EEEvSL_,comdat
.Lfunc_end1273:
	.size	_ZN7rocprim17ROCPRIM_400000_NS6detail17trampoline_kernelINS0_14default_configENS1_38merge_sort_block_merge_config_selectorItNS0_10empty_typeEEEZZNS1_27merge_sort_block_merge_implIS3_N6thrust23THRUST_200600_302600_NS6detail15normal_iteratorINS9_10device_ptrItEEEEPS5_jNS1_19radix_merge_compareILb0ELb1EtNS0_19identity_decomposerEEEEE10hipError_tT0_T1_T2_jT3_P12ihipStream_tbPNSt15iterator_traitsISK_E10value_typeEPNSQ_ISL_E10value_typeEPSM_NS1_7vsmem_tEENKUlT_SK_SL_SM_E_clIPtSE_SF_SF_EESJ_SZ_SK_SL_SM_EUlSZ_E0_NS1_11comp_targetILNS1_3genE5ELNS1_11target_archE942ELNS1_3gpuE9ELNS1_3repE0EEENS1_38merge_mergepath_config_static_selectorELNS0_4arch9wavefront6targetE1EEEvSL_, .Lfunc_end1273-_ZN7rocprim17ROCPRIM_400000_NS6detail17trampoline_kernelINS0_14default_configENS1_38merge_sort_block_merge_config_selectorItNS0_10empty_typeEEEZZNS1_27merge_sort_block_merge_implIS3_N6thrust23THRUST_200600_302600_NS6detail15normal_iteratorINS9_10device_ptrItEEEEPS5_jNS1_19radix_merge_compareILb0ELb1EtNS0_19identity_decomposerEEEEE10hipError_tT0_T1_T2_jT3_P12ihipStream_tbPNSt15iterator_traitsISK_E10value_typeEPNSQ_ISL_E10value_typeEPSM_NS1_7vsmem_tEENKUlT_SK_SL_SM_E_clIPtSE_SF_SF_EESJ_SZ_SK_SL_SM_EUlSZ_E0_NS1_11comp_targetILNS1_3genE5ELNS1_11target_archE942ELNS1_3gpuE9ELNS1_3repE0EEENS1_38merge_mergepath_config_static_selectorELNS0_4arch9wavefront6targetE1EEEvSL_
                                        ; -- End function
	.section	.AMDGPU.csdata,"",@progbits
; Kernel info:
; codeLenInByte = 0
; NumSgprs: 4
; NumVgprs: 0
; NumAgprs: 0
; TotalNumVgprs: 0
; ScratchSize: 0
; MemoryBound: 0
; FloatMode: 240
; IeeeMode: 1
; LDSByteSize: 0 bytes/workgroup (compile time only)
; SGPRBlocks: 0
; VGPRBlocks: 0
; NumSGPRsForWavesPerEU: 4
; NumVGPRsForWavesPerEU: 1
; AccumOffset: 4
; Occupancy: 8
; WaveLimiterHint : 0
; COMPUTE_PGM_RSRC2:SCRATCH_EN: 0
; COMPUTE_PGM_RSRC2:USER_SGPR: 6
; COMPUTE_PGM_RSRC2:TRAP_HANDLER: 0
; COMPUTE_PGM_RSRC2:TGID_X_EN: 1
; COMPUTE_PGM_RSRC2:TGID_Y_EN: 0
; COMPUTE_PGM_RSRC2:TGID_Z_EN: 0
; COMPUTE_PGM_RSRC2:TIDIG_COMP_CNT: 0
; COMPUTE_PGM_RSRC3_GFX90A:ACCUM_OFFSET: 0
; COMPUTE_PGM_RSRC3_GFX90A:TG_SPLIT: 0
	.section	.text._ZN7rocprim17ROCPRIM_400000_NS6detail17trampoline_kernelINS0_14default_configENS1_38merge_sort_block_merge_config_selectorItNS0_10empty_typeEEEZZNS1_27merge_sort_block_merge_implIS3_N6thrust23THRUST_200600_302600_NS6detail15normal_iteratorINS9_10device_ptrItEEEEPS5_jNS1_19radix_merge_compareILb0ELb1EtNS0_19identity_decomposerEEEEE10hipError_tT0_T1_T2_jT3_P12ihipStream_tbPNSt15iterator_traitsISK_E10value_typeEPNSQ_ISL_E10value_typeEPSM_NS1_7vsmem_tEENKUlT_SK_SL_SM_E_clIPtSE_SF_SF_EESJ_SZ_SK_SL_SM_EUlSZ_E0_NS1_11comp_targetILNS1_3genE4ELNS1_11target_archE910ELNS1_3gpuE8ELNS1_3repE0EEENS1_38merge_mergepath_config_static_selectorELNS0_4arch9wavefront6targetE1EEEvSL_,"axG",@progbits,_ZN7rocprim17ROCPRIM_400000_NS6detail17trampoline_kernelINS0_14default_configENS1_38merge_sort_block_merge_config_selectorItNS0_10empty_typeEEEZZNS1_27merge_sort_block_merge_implIS3_N6thrust23THRUST_200600_302600_NS6detail15normal_iteratorINS9_10device_ptrItEEEEPS5_jNS1_19radix_merge_compareILb0ELb1EtNS0_19identity_decomposerEEEEE10hipError_tT0_T1_T2_jT3_P12ihipStream_tbPNSt15iterator_traitsISK_E10value_typeEPNSQ_ISL_E10value_typeEPSM_NS1_7vsmem_tEENKUlT_SK_SL_SM_E_clIPtSE_SF_SF_EESJ_SZ_SK_SL_SM_EUlSZ_E0_NS1_11comp_targetILNS1_3genE4ELNS1_11target_archE910ELNS1_3gpuE8ELNS1_3repE0EEENS1_38merge_mergepath_config_static_selectorELNS0_4arch9wavefront6targetE1EEEvSL_,comdat
	.protected	_ZN7rocprim17ROCPRIM_400000_NS6detail17trampoline_kernelINS0_14default_configENS1_38merge_sort_block_merge_config_selectorItNS0_10empty_typeEEEZZNS1_27merge_sort_block_merge_implIS3_N6thrust23THRUST_200600_302600_NS6detail15normal_iteratorINS9_10device_ptrItEEEEPS5_jNS1_19radix_merge_compareILb0ELb1EtNS0_19identity_decomposerEEEEE10hipError_tT0_T1_T2_jT3_P12ihipStream_tbPNSt15iterator_traitsISK_E10value_typeEPNSQ_ISL_E10value_typeEPSM_NS1_7vsmem_tEENKUlT_SK_SL_SM_E_clIPtSE_SF_SF_EESJ_SZ_SK_SL_SM_EUlSZ_E0_NS1_11comp_targetILNS1_3genE4ELNS1_11target_archE910ELNS1_3gpuE8ELNS1_3repE0EEENS1_38merge_mergepath_config_static_selectorELNS0_4arch9wavefront6targetE1EEEvSL_ ; -- Begin function _ZN7rocprim17ROCPRIM_400000_NS6detail17trampoline_kernelINS0_14default_configENS1_38merge_sort_block_merge_config_selectorItNS0_10empty_typeEEEZZNS1_27merge_sort_block_merge_implIS3_N6thrust23THRUST_200600_302600_NS6detail15normal_iteratorINS9_10device_ptrItEEEEPS5_jNS1_19radix_merge_compareILb0ELb1EtNS0_19identity_decomposerEEEEE10hipError_tT0_T1_T2_jT3_P12ihipStream_tbPNSt15iterator_traitsISK_E10value_typeEPNSQ_ISL_E10value_typeEPSM_NS1_7vsmem_tEENKUlT_SK_SL_SM_E_clIPtSE_SF_SF_EESJ_SZ_SK_SL_SM_EUlSZ_E0_NS1_11comp_targetILNS1_3genE4ELNS1_11target_archE910ELNS1_3gpuE8ELNS1_3repE0EEENS1_38merge_mergepath_config_static_selectorELNS0_4arch9wavefront6targetE1EEEvSL_
	.globl	_ZN7rocprim17ROCPRIM_400000_NS6detail17trampoline_kernelINS0_14default_configENS1_38merge_sort_block_merge_config_selectorItNS0_10empty_typeEEEZZNS1_27merge_sort_block_merge_implIS3_N6thrust23THRUST_200600_302600_NS6detail15normal_iteratorINS9_10device_ptrItEEEEPS5_jNS1_19radix_merge_compareILb0ELb1EtNS0_19identity_decomposerEEEEE10hipError_tT0_T1_T2_jT3_P12ihipStream_tbPNSt15iterator_traitsISK_E10value_typeEPNSQ_ISL_E10value_typeEPSM_NS1_7vsmem_tEENKUlT_SK_SL_SM_E_clIPtSE_SF_SF_EESJ_SZ_SK_SL_SM_EUlSZ_E0_NS1_11comp_targetILNS1_3genE4ELNS1_11target_archE910ELNS1_3gpuE8ELNS1_3repE0EEENS1_38merge_mergepath_config_static_selectorELNS0_4arch9wavefront6targetE1EEEvSL_
	.p2align	8
	.type	_ZN7rocprim17ROCPRIM_400000_NS6detail17trampoline_kernelINS0_14default_configENS1_38merge_sort_block_merge_config_selectorItNS0_10empty_typeEEEZZNS1_27merge_sort_block_merge_implIS3_N6thrust23THRUST_200600_302600_NS6detail15normal_iteratorINS9_10device_ptrItEEEEPS5_jNS1_19radix_merge_compareILb0ELb1EtNS0_19identity_decomposerEEEEE10hipError_tT0_T1_T2_jT3_P12ihipStream_tbPNSt15iterator_traitsISK_E10value_typeEPNSQ_ISL_E10value_typeEPSM_NS1_7vsmem_tEENKUlT_SK_SL_SM_E_clIPtSE_SF_SF_EESJ_SZ_SK_SL_SM_EUlSZ_E0_NS1_11comp_targetILNS1_3genE4ELNS1_11target_archE910ELNS1_3gpuE8ELNS1_3repE0EEENS1_38merge_mergepath_config_static_selectorELNS0_4arch9wavefront6targetE1EEEvSL_,@function
_ZN7rocprim17ROCPRIM_400000_NS6detail17trampoline_kernelINS0_14default_configENS1_38merge_sort_block_merge_config_selectorItNS0_10empty_typeEEEZZNS1_27merge_sort_block_merge_implIS3_N6thrust23THRUST_200600_302600_NS6detail15normal_iteratorINS9_10device_ptrItEEEEPS5_jNS1_19radix_merge_compareILb0ELb1EtNS0_19identity_decomposerEEEEE10hipError_tT0_T1_T2_jT3_P12ihipStream_tbPNSt15iterator_traitsISK_E10value_typeEPNSQ_ISL_E10value_typeEPSM_NS1_7vsmem_tEENKUlT_SK_SL_SM_E_clIPtSE_SF_SF_EESJ_SZ_SK_SL_SM_EUlSZ_E0_NS1_11comp_targetILNS1_3genE4ELNS1_11target_archE910ELNS1_3gpuE8ELNS1_3repE0EEENS1_38merge_mergepath_config_static_selectorELNS0_4arch9wavefront6targetE1EEEvSL_: ; @_ZN7rocprim17ROCPRIM_400000_NS6detail17trampoline_kernelINS0_14default_configENS1_38merge_sort_block_merge_config_selectorItNS0_10empty_typeEEEZZNS1_27merge_sort_block_merge_implIS3_N6thrust23THRUST_200600_302600_NS6detail15normal_iteratorINS9_10device_ptrItEEEEPS5_jNS1_19radix_merge_compareILb0ELb1EtNS0_19identity_decomposerEEEEE10hipError_tT0_T1_T2_jT3_P12ihipStream_tbPNSt15iterator_traitsISK_E10value_typeEPNSQ_ISL_E10value_typeEPSM_NS1_7vsmem_tEENKUlT_SK_SL_SM_E_clIPtSE_SF_SF_EESJ_SZ_SK_SL_SM_EUlSZ_E0_NS1_11comp_targetILNS1_3genE4ELNS1_11target_archE910ELNS1_3gpuE8ELNS1_3repE0EEENS1_38merge_mergepath_config_static_selectorELNS0_4arch9wavefront6targetE1EEEvSL_
; %bb.0:
	s_load_dwordx2 s[10:11], s[4:5], 0x40
	s_load_dword s3, s[4:5], 0x30
	s_add_u32 s0, s4, 64
	s_addc_u32 s1, s5, 0
	s_waitcnt lgkmcnt(0)
	s_mul_i32 s2, s11, s8
	s_add_i32 s2, s2, s7
	s_mul_i32 s2, s2, s10
	s_add_i32 s2, s2, s6
	s_cmp_ge_u32 s2, s3
	s_cbranch_scc1 .LBB1274_43
; %bb.1:
	s_load_dwordx2 s[14:15], s[4:5], 0x28
	s_load_dwordx2 s[8:9], s[4:5], 0x38
	;; [unrolled: 1-line block ×3, first 2 shown]
	s_mov_b32 s3, 0
	s_mov_b32 s23, s3
	s_waitcnt lgkmcnt(0)
	s_lshr_b32 s17, s14, 10
	s_cmp_lg_u32 s2, s17
	s_cselect_b64 s[18:19], -1, 0
	s_lshl_b64 s[12:13], s[2:3], 2
	s_add_u32 s8, s8, s12
	s_addc_u32 s9, s9, s13
	s_lshr_b32 s7, s15, 9
	s_and_b32 s7, s7, 0x7ffffe
	s_load_dwordx2 s[8:9], s[8:9], 0x0
	s_sub_i32 s7, 0, s7
	s_and_b32 s11, s2, s7
	s_lshl_b32 s12, s11, 10
	s_lshl_b32 s16, s2, 10
	;; [unrolled: 1-line block ×3, first 2 shown]
	s_sub_i32 s13, s16, s12
	s_add_i32 s11, s11, s15
	s_add_i32 s13, s11, s13
	s_waitcnt lgkmcnt(0)
	s_sub_i32 s22, s13, s8
	s_sub_i32 s13, s13, s9
	;; [unrolled: 1-line block ×3, first 2 shown]
	s_min_u32 s22, s14, s22
	s_addk_i32 s13, 0x400
	s_or_b32 s7, s2, s7
	s_min_u32 s12, s14, s11
	s_add_i32 s11, s11, s15
	s_cmp_eq_u32 s7, -1
	s_cselect_b32 s7, s11, s13
	s_cselect_b32 s9, s12, s9
	s_min_u32 s7, s7, s14
	s_sub_i32 s15, s9, s8
	s_mov_b32 s9, s3
	s_sub_i32 s7, s7, s22
	s_lshl_b64 s[8:9], s[8:9], 1
	s_add_u32 s11, s20, s8
	s_addc_u32 s12, s21, s9
	s_lshl_b64 s[8:9], s[22:23], 1
	s_add_u32 s8, s20, s8
	s_addc_u32 s9, s21, s9
	s_cmp_lt_u32 s6, s10
	v_mov_b32_e32 v3, 0
	s_cselect_b32 s3, 12, 18
	global_load_dword v1, v3, s[0:1] offset:14
	s_add_u32 s0, s0, s3
	s_addc_u32 s1, s1, 0
	global_load_ushort v2, v3, s[0:1]
	s_cmp_eq_u32 s2, s17
	s_waitcnt vmcnt(1)
	v_lshrrev_b32_e32 v4, 16, v1
	v_and_b32_e32 v1, 0xffff, v1
	v_mul_lo_u32 v1, v1, v4
	s_waitcnt vmcnt(0)
	v_mul_lo_u32 v10, v1, v2
	v_add_u32_e32 v8, v10, v0
	v_lshlrev_b32_e32 v1, 1, v0
	v_add_u32_e32 v6, v8, v10
	s_cbranch_scc1 .LBB1274_3
; %bb.2:
	v_mov_b32_e32 v2, s12
	v_add_co_u32_e32 v7, vcc, s11, v1
	v_addc_co_u32_e32 v9, vcc, 0, v2, vcc
	v_subrev_u32_e32 v2, s15, v0
	v_lshlrev_b64 v[4:5], 1, v[2:3]
	v_mov_b32_e32 v2, s9
	v_add_co_u32_e32 v4, vcc, s8, v4
	v_addc_co_u32_e32 v2, vcc, v2, v5, vcc
	v_cmp_gt_u32_e32 vcc, s15, v0
	v_cndmask_b32_e32 v5, v2, v9, vcc
	v_cndmask_b32_e32 v4, v4, v7, vcc
	v_mov_b32_e32 v9, v3
	global_load_ushort v11, v[4:5], off
	v_lshlrev_b64 v[4:5], 1, v[8:9]
	v_mov_b32_e32 v2, s12
	v_add_co_u32_e32 v7, vcc, s11, v4
	v_addc_co_u32_e32 v9, vcc, v2, v5, vcc
	v_subrev_u32_e32 v2, s15, v8
	v_lshlrev_b64 v[4:5], 1, v[2:3]
	v_mov_b32_e32 v2, s9
	v_add_co_u32_e32 v4, vcc, s8, v4
	v_addc_co_u32_e32 v2, vcc, v2, v5, vcc
	v_cmp_gt_u32_e32 vcc, s15, v8
	v_cndmask_b32_e32 v5, v2, v9, vcc
	v_cndmask_b32_e32 v4, v4, v7, vcc
	v_mov_b32_e32 v7, v3
	global_load_ushort v9, v[4:5], off
	v_lshlrev_b64 v[4:5], 1, v[6:7]
	v_mov_b32_e32 v2, s12
	v_add_co_u32_e32 v7, vcc, s11, v4
	v_addc_co_u32_e32 v12, vcc, v2, v5, vcc
	v_subrev_u32_e32 v2, s15, v6
	v_lshlrev_b64 v[4:5], 1, v[2:3]
	v_mov_b32_e32 v2, s9
	v_add_co_u32_e32 v4, vcc, s8, v4
	v_addc_co_u32_e32 v2, vcc, v2, v5, vcc
	v_cmp_gt_u32_e32 vcc, s15, v6
	v_cndmask_b32_e32 v5, v2, v12, vcc
	v_cndmask_b32_e32 v4, v4, v7, vcc
	v_add_u32_e32 v2, v6, v10
	global_load_ushort v7, v[4:5], off
	v_lshlrev_b64 v[4:5], 1, v[2:3]
	v_mov_b32_e32 v12, s12
	v_add_co_u32_e32 v13, vcc, s11, v4
	v_addc_co_u32_e32 v12, vcc, v12, v5, vcc
	v_subrev_u32_e32 v4, s15, v2
	v_mov_b32_e32 v5, v3
	v_lshlrev_b64 v[4:5], 1, v[4:5]
	v_mov_b32_e32 v14, s9
	v_add_co_u32_e32 v4, vcc, s8, v4
	v_addc_co_u32_e32 v5, vcc, v14, v5, vcc
	v_cmp_gt_u32_e32 vcc, s15, v2
	v_cndmask_b32_e32 v5, v5, v12, vcc
	v_cndmask_b32_e32 v4, v4, v13, vcc
	v_add_u32_e32 v2, v2, v10
	global_load_ushort v12, v[4:5], off
	v_lshlrev_b64 v[4:5], 1, v[2:3]
	v_mov_b32_e32 v13, s12
	v_add_co_u32_e32 v14, vcc, s11, v4
	v_addc_co_u32_e32 v13, vcc, v13, v5, vcc
	v_subrev_u32_e32 v4, s15, v2
	v_mov_b32_e32 v5, v3
	;; [unrolled: 15-line block ×4, first 2 shown]
	v_lshlrev_b64 v[4:5], 1, v[4:5]
	v_mov_b32_e32 v17, s9
	v_add_co_u32_e32 v4, vcc, s8, v4
	v_addc_co_u32_e32 v5, vcc, v17, v5, vcc
	v_cmp_gt_u32_e32 vcc, s15, v2
	v_cndmask_b32_e32 v5, v5, v15, vcc
	v_cndmask_b32_e32 v4, v4, v16, vcc
	v_add_u32_e32 v2, v2, v10
	global_load_ushort v15, v[4:5], off
	v_lshlrev_b64 v[4:5], 1, v[2:3]
	v_mov_b32_e32 v16, s12
	v_add_co_u32_e32 v4, vcc, s11, v4
	v_addc_co_u32_e32 v5, vcc, v16, v5, vcc
	v_cmp_gt_u32_e32 vcc, s15, v2
	v_subrev_u32_e32 v2, s15, v2
	v_lshlrev_b64 v[2:3], 1, v[2:3]
	v_mov_b32_e32 v16, s9
	v_add_co_u32_e64 v2, s[0:1], s8, v2
	v_addc_co_u32_e64 v3, s[0:1], v16, v3, s[0:1]
	v_cndmask_b32_e32 v3, v3, v5, vcc
	v_cndmask_b32_e32 v2, v2, v4, vcc
	global_load_ushort v5, v[2:3], off
	s_mov_b32 s0, 0x5040100
	s_waitcnt vmcnt(6)
	v_perm_b32 v2, v9, v11, s0
	s_add_i32 s17, s7, s15
	s_waitcnt vmcnt(4)
	v_perm_b32 v3, v12, v7, s0
	s_waitcnt vmcnt(2)
	v_perm_b32 v4, v14, v13, s0
	;; [unrolled: 2-line block ×3, first 2 shown]
	s_load_dwordx2 s[20:21], s[4:5], 0x10
	s_cbranch_execz .LBB1274_4
	s_branch .LBB1274_19
.LBB1274_3:
                                        ; implicit-def: $vgpr2_vgpr3_vgpr4_vgpr5
                                        ; implicit-def: $sgpr17
	s_load_dwordx2 s[20:21], s[4:5], 0x10
.LBB1274_4:
	s_add_i32 s17, s7, s15
	v_cmp_gt_u32_e32 vcc, s17, v0
                                        ; implicit-def: $vgpr2_vgpr3_vgpr4_vgpr5
	s_and_saveexec_b64 s[0:1], vcc
	s_cbranch_execnz .LBB1274_44
; %bb.5:
	s_or_b64 exec, exec, s[0:1]
	v_cmp_gt_u32_e32 vcc, s17, v8
	s_and_saveexec_b64 s[2:3], vcc
	s_cbranch_execnz .LBB1274_45
.LBB1274_6:
	s_or_b64 exec, exec, s[2:3]
	v_cmp_gt_u32_e32 vcc, s17, v6
	s_and_saveexec_b64 s[0:1], vcc
	s_cbranch_execz .LBB1274_8
.LBB1274_7:
	v_mov_b32_e32 v7, 0
	v_lshlrev_b64 v[8:9], 1, v[6:7]
	v_mov_b32_e32 v11, s12
	v_add_co_u32_e32 v12, vcc, s11, v8
	v_addc_co_u32_e32 v11, vcc, v11, v9, vcc
	v_subrev_u32_e32 v8, s15, v6
	v_mov_b32_e32 v9, v7
	v_lshlrev_b64 v[8:9], 1, v[8:9]
	v_mov_b32_e32 v7, s9
	v_add_co_u32_e32 v8, vcc, s8, v8
	v_addc_co_u32_e32 v7, vcc, v7, v9, vcc
	v_cmp_gt_u32_e32 vcc, s15, v6
	v_cndmask_b32_e32 v9, v7, v11, vcc
	v_cndmask_b32_e32 v8, v8, v12, vcc
	global_load_ushort v7, v[8:9], off
	s_mov_b32 s2, 0xffff
	s_waitcnt vmcnt(0)
	v_bfi_b32 v3, s2, v7, v3
.LBB1274_8:
	s_or_b64 exec, exec, s[0:1]
	v_add_u32_e32 v6, v6, v10
	v_cmp_gt_u32_e32 vcc, s17, v6
	s_and_saveexec_b64 s[0:1], vcc
	s_cbranch_execz .LBB1274_10
; %bb.9:
	v_mov_b32_e32 v7, 0
	v_lshlrev_b64 v[8:9], 1, v[6:7]
	v_mov_b32_e32 v11, s12
	v_add_co_u32_e32 v12, vcc, s11, v8
	v_addc_co_u32_e32 v11, vcc, v11, v9, vcc
	v_subrev_u32_e32 v8, s15, v6
	v_mov_b32_e32 v9, v7
	v_lshlrev_b64 v[8:9], 1, v[8:9]
	v_mov_b32_e32 v7, s9
	v_add_co_u32_e32 v8, vcc, s8, v8
	v_addc_co_u32_e32 v7, vcc, v7, v9, vcc
	v_cmp_gt_u32_e32 vcc, s15, v6
	v_cndmask_b32_e32 v9, v7, v11, vcc
	v_cndmask_b32_e32 v8, v8, v12, vcc
	global_load_ushort v7, v[8:9], off
	s_mov_b32 s2, 0x5040100
	s_waitcnt vmcnt(0)
	v_perm_b32 v3, v7, v3, s2
.LBB1274_10:
	s_or_b64 exec, exec, s[0:1]
	v_add_u32_e32 v6, v6, v10
	v_cmp_gt_u32_e32 vcc, s17, v6
	s_and_saveexec_b64 s[0:1], vcc
	s_cbranch_execz .LBB1274_12
; %bb.11:
	v_mov_b32_e32 v7, 0
	v_lshlrev_b64 v[8:9], 1, v[6:7]
	v_mov_b32_e32 v11, s12
	v_add_co_u32_e32 v12, vcc, s11, v8
	v_addc_co_u32_e32 v11, vcc, v11, v9, vcc
	v_subrev_u32_e32 v8, s15, v6
	v_mov_b32_e32 v9, v7
	v_lshlrev_b64 v[8:9], 1, v[8:9]
	v_mov_b32_e32 v7, s9
	v_add_co_u32_e32 v8, vcc, s8, v8
	v_addc_co_u32_e32 v7, vcc, v7, v9, vcc
	v_cmp_gt_u32_e32 vcc, s15, v6
	v_cndmask_b32_e32 v9, v7, v11, vcc
	v_cndmask_b32_e32 v8, v8, v12, vcc
	global_load_ushort v7, v[8:9], off
	s_mov_b32 s2, 0xffff
	s_waitcnt vmcnt(0)
	v_bfi_b32 v4, s2, v7, v4
.LBB1274_12:
	s_or_b64 exec, exec, s[0:1]
	v_add_u32_e32 v6, v6, v10
	v_cmp_gt_u32_e32 vcc, s17, v6
	s_and_saveexec_b64 s[0:1], vcc
	s_cbranch_execz .LBB1274_14
; %bb.13:
	v_mov_b32_e32 v7, 0
	v_lshlrev_b64 v[8:9], 1, v[6:7]
	v_mov_b32_e32 v11, s12
	v_add_co_u32_e32 v12, vcc, s11, v8
	v_addc_co_u32_e32 v11, vcc, v11, v9, vcc
	v_subrev_u32_e32 v8, s15, v6
	v_mov_b32_e32 v9, v7
	v_lshlrev_b64 v[8:9], 1, v[8:9]
	v_mov_b32_e32 v7, s9
	v_add_co_u32_e32 v8, vcc, s8, v8
	v_addc_co_u32_e32 v7, vcc, v7, v9, vcc
	v_cmp_gt_u32_e32 vcc, s15, v6
	v_cndmask_b32_e32 v9, v7, v11, vcc
	v_cndmask_b32_e32 v8, v8, v12, vcc
	global_load_ushort v7, v[8:9], off
	s_mov_b32 s2, 0x5040100
	s_waitcnt vmcnt(0)
	v_perm_b32 v4, v7, v4, s2
.LBB1274_14:
	s_or_b64 exec, exec, s[0:1]
	v_add_u32_e32 v6, v6, v10
	v_cmp_gt_u32_e32 vcc, s17, v6
	s_and_saveexec_b64 s[0:1], vcc
	s_cbranch_execz .LBB1274_16
; %bb.15:
	v_mov_b32_e32 v7, 0
	v_lshlrev_b64 v[8:9], 1, v[6:7]
	v_mov_b32_e32 v11, s12
	v_add_co_u32_e32 v12, vcc, s11, v8
	v_addc_co_u32_e32 v11, vcc, v11, v9, vcc
	v_subrev_u32_e32 v8, s15, v6
	v_mov_b32_e32 v9, v7
	v_lshlrev_b64 v[8:9], 1, v[8:9]
	v_mov_b32_e32 v7, s9
	v_add_co_u32_e32 v8, vcc, s8, v8
	v_addc_co_u32_e32 v7, vcc, v7, v9, vcc
	v_cmp_gt_u32_e32 vcc, s15, v6
	v_cndmask_b32_e32 v9, v7, v11, vcc
	v_cndmask_b32_e32 v8, v8, v12, vcc
	global_load_ushort v7, v[8:9], off
	s_mov_b32 s2, 0xffff
	s_waitcnt vmcnt(0)
	v_bfi_b32 v5, s2, v7, v5
.LBB1274_16:
	s_or_b64 exec, exec, s[0:1]
	v_add_u32_e32 v6, v6, v10
	v_cmp_gt_u32_e32 vcc, s17, v6
	s_and_saveexec_b64 s[2:3], vcc
	s_cbranch_execz .LBB1274_18
; %bb.17:
	v_mov_b32_e32 v7, 0
	v_lshlrev_b64 v[8:9], 1, v[6:7]
	v_mov_b32_e32 v10, s12
	v_add_co_u32_e32 v8, vcc, s11, v8
	v_addc_co_u32_e32 v9, vcc, v10, v9, vcc
	v_cmp_gt_u32_e32 vcc, s15, v6
	v_subrev_u32_e32 v6, s15, v6
	v_lshlrev_b64 v[6:7], 1, v[6:7]
	v_mov_b32_e32 v10, s9
	v_add_co_u32_e64 v6, s[0:1], s8, v6
	v_addc_co_u32_e64 v7, s[0:1], v10, v7, s[0:1]
	v_cndmask_b32_e32 v7, v7, v9, vcc
	v_cndmask_b32_e32 v6, v6, v8, vcc
	global_load_ushort v6, v[6:7], off
	s_mov_b32 s0, 0x5040100
	s_waitcnt vmcnt(0)
	v_perm_b32 v5, v6, v5, s0
.LBB1274_18:
	s_or_b64 exec, exec, s[2:3]
.LBB1274_19:
	s_load_dword s24, s[4:5], 0x34
	v_lshlrev_b32_e32 v6, 3, v0
	v_min_u32_e32 v12, s17, v6
	v_sub_u32_e64 v10, v12, s7 clamp
	v_min_u32_e32 v13, s15, v12
	s_waitcnt vmcnt(0)
	v_lshrrev_b32_e32 v7, 16, v2
	v_lshrrev_b32_e32 v8, 16, v3
	;; [unrolled: 1-line block ×4, first 2 shown]
	v_cmp_lt_u32_e32 vcc, v10, v13
	ds_write_b16 v1, v2
	ds_write_b16 v1, v7 offset:256
	ds_write_b16 v1, v3 offset:512
	;; [unrolled: 1-line block ×7, first 2 shown]
	s_waitcnt lgkmcnt(0)
	s_barrier
	s_and_saveexec_b64 s[0:1], vcc
	s_cbranch_execz .LBB1274_23
; %bb.20:
	v_lshlrev_b32_e32 v14, 1, v12
	v_lshl_add_u32 v14, s15, 1, v14
	s_mov_b64 s[2:3], 0
.LBB1274_21:                            ; =>This Inner Loop Header: Depth=1
	v_add_u32_e32 v15, v13, v10
	v_lshrrev_b32_e32 v16, 1, v15
	v_not_b32_e32 v17, v16
	v_and_b32_e32 v15, -2, v15
	v_lshl_add_u32 v17, v17, 1, v14
	ds_read_u16 v15, v15
	ds_read_u16 v17, v17
	v_add_u32_e32 v18, 1, v16
	s_waitcnt lgkmcnt(1)
	v_and_b32_e32 v15, s24, v15
	s_waitcnt lgkmcnt(0)
	v_and_b32_e32 v17, s24, v17
	v_cmp_gt_u16_e32 vcc, v15, v17
	v_cndmask_b32_e32 v13, v13, v16, vcc
	v_cndmask_b32_e32 v10, v18, v10, vcc
	v_cmp_ge_u32_e32 vcc, v10, v13
	s_or_b64 s[2:3], vcc, s[2:3]
	s_andn2_b64 exec, exec, s[2:3]
	s_cbranch_execnz .LBB1274_21
; %bb.22:
	s_or_b64 exec, exec, s[2:3]
.LBB1274_23:
	s_or_b64 exec, exec, s[0:1]
	v_sub_u32_e32 v12, v12, v10
	v_add_u32_e32 v12, s15, v12
	v_cmp_ge_u32_e32 vcc, s15, v10
	v_cmp_ge_u32_e64 s[0:1], s17, v12
	s_or_b64 s[0:1], vcc, s[0:1]
	s_and_saveexec_b64 s[22:23], s[0:1]
	s_cbranch_execz .LBB1274_29
; %bb.24:
	v_cmp_gt_u32_e32 vcc, s15, v10
                                        ; implicit-def: $vgpr2
	s_and_saveexec_b64 s[0:1], vcc
	s_cbranch_execz .LBB1274_26
; %bb.25:
	v_lshlrev_b32_e32 v2, 1, v10
	ds_read_u16 v2, v2
.LBB1274_26:
	s_or_b64 exec, exec, s[0:1]
	v_cmp_le_u32_e64 s[0:1], s17, v12
	v_cmp_gt_u32_e64 s[2:3], s17, v12
                                        ; implicit-def: $vgpr3
	s_and_saveexec_b64 s[4:5], s[2:3]
	s_cbranch_execz .LBB1274_28
; %bb.27:
	v_lshlrev_b32_e32 v3, 1, v12
	ds_read_u16 v3, v3
.LBB1274_28:
	s_or_b64 exec, exec, s[4:5]
	s_waitcnt lgkmcnt(0)
	v_and_b32_e32 v4, s24, v3
	v_and_b32_e32 v5, s24, v2
	v_cmp_le_u16_e64 s[2:3], v5, v4
	s_and_b64 s[2:3], vcc, s[2:3]
	s_or_b64 vcc, s[0:1], s[2:3]
	v_mov_b32_e32 v5, s17
	v_mov_b32_e32 v8, s15
	v_cndmask_b32_e32 v4, v12, v10, vcc
	v_cndmask_b32_e32 v7, v5, v8, vcc
	v_add_u32_e32 v4, 1, v4
	v_add_u32_e32 v7, -1, v7
	v_min_u32_e32 v7, v4, v7
	v_lshlrev_b32_e32 v7, 1, v7
	ds_read_u16 v7, v7
	v_cndmask_b32_e32 v11, v4, v12, vcc
	v_cndmask_b32_e32 v4, v10, v4, vcc
	v_cmp_gt_u32_e64 s[2:3], s15, v4
	v_cmp_le_u32_e64 s[0:1], s17, v11
	s_waitcnt lgkmcnt(0)
	v_cndmask_b32_e32 v9, v7, v3, vcc
	v_cndmask_b32_e32 v7, v2, v7, vcc
	v_and_b32_e32 v10, s24, v9
	v_and_b32_e32 v12, s24, v7
	v_cmp_le_u16_e64 s[4:5], v12, v10
	s_and_b64 s[2:3], s[2:3], s[4:5]
	s_or_b64 s[0:1], s[0:1], s[2:3]
	v_cndmask_b32_e64 v10, v11, v4, s[0:1]
	v_cndmask_b32_e64 v12, v5, v8, s[0:1]
	v_add_u32_e32 v10, 1, v10
	v_add_u32_e32 v12, -1, v12
	v_min_u32_e32 v12, v10, v12
	v_lshlrev_b32_e32 v12, 1, v12
	ds_read_u16 v12, v12
	v_cndmask_b32_e64 v11, v10, v11, s[0:1]
	v_cndmask_b32_e64 v4, v4, v10, s[0:1]
	v_cmp_gt_u32_e64 s[4:5], s15, v4
	v_cmp_le_u32_e64 s[2:3], s17, v11
	s_waitcnt lgkmcnt(0)
	v_cndmask_b32_e64 v13, v12, v9, s[0:1]
	v_cndmask_b32_e64 v12, v7, v12, s[0:1]
	v_and_b32_e32 v10, s24, v13
	v_and_b32_e32 v14, s24, v12
	v_cmp_le_u16_e64 s[6:7], v14, v10
	s_and_b64 s[4:5], s[4:5], s[6:7]
	s_or_b64 s[2:3], s[2:3], s[4:5]
	v_cndmask_b32_e64 v10, v11, v4, s[2:3]
	v_cndmask_b32_e64 v14, v5, v8, s[2:3]
	v_add_u32_e32 v10, 1, v10
	v_add_u32_e32 v14, -1, v14
	v_min_u32_e32 v14, v10, v14
	v_lshlrev_b32_e32 v14, 1, v14
	ds_read_u16 v14, v14
	v_cndmask_b32_e64 v11, v10, v11, s[2:3]
	v_cndmask_b32_e64 v4, v4, v10, s[2:3]
	v_cmp_gt_u32_e64 s[6:7], s15, v4
	v_cmp_le_u32_e64 s[4:5], s17, v11
	s_waitcnt lgkmcnt(0)
	v_cndmask_b32_e64 v15, v14, v13, s[2:3]
	v_cndmask_b32_e64 v14, v12, v14, s[2:3]
	;; [unrolled: 19-line block ×4, first 2 shown]
	v_and_b32_e32 v10, s24, v19
	v_and_b32_e32 v20, s24, v18
	v_cmp_le_u16_e64 s[12:13], v20, v10
	s_and_b64 s[10:11], s[10:11], s[12:13]
	s_or_b64 s[8:9], s[8:9], s[10:11]
	v_cndmask_b32_e64 v10, v11, v4, s[8:9]
	v_cndmask_b32_e64 v20, v5, v8, s[8:9]
	v_add_u32_e32 v10, 1, v10
	v_add_u32_e32 v20, -1, v20
	v_min_u32_e32 v20, v10, v20
	v_lshlrev_b32_e32 v20, 1, v20
	ds_read_u16 v20, v20
	v_cndmask_b32_e32 v2, v3, v2, vcc
	v_cndmask_b32_e64 v3, v13, v12, s[2:3]
	v_cndmask_b32_e64 v7, v9, v7, s[0:1]
	;; [unrolled: 1-line block ×3, first 2 shown]
	s_waitcnt lgkmcnt(0)
	v_cndmask_b32_e64 v12, v20, v19, s[8:9]
	v_cndmask_b32_e64 v13, v18, v20, s[8:9]
	;; [unrolled: 1-line block ×3, first 2 shown]
	v_and_b32_e32 v4, s24, v12
	v_and_b32_e32 v9, s24, v13
	v_cmp_gt_u32_e64 s[0:1], s15, v10
	v_cmp_le_u16_e64 s[2:3], v9, v4
	v_cmp_le_u32_e32 vcc, s17, v11
	s_and_b64 s[0:1], s[0:1], s[2:3]
	s_or_b64 vcc, vcc, s[0:1]
	v_cndmask_b32_e32 v4, v11, v10, vcc
	v_cndmask_b32_e32 v5, v5, v8, vcc
	v_add_u32_e32 v20, 1, v4
	v_add_u32_e32 v4, -1, v5
	v_min_u32_e32 v4, v20, v4
	v_lshlrev_b32_e32 v4, 1, v4
	ds_read_u16 v21, v4
	v_cndmask_b32_e32 v5, v12, v13, vcc
	v_cndmask_b32_e32 v11, v20, v11, vcc
	;; [unrolled: 1-line block ×3, first 2 shown]
	v_cmp_gt_u32_e64 s[0:1], s15, v10
	s_waitcnt lgkmcnt(0)
	v_cndmask_b32_e32 v12, v21, v12, vcc
	v_cndmask_b32_e32 v13, v13, v21, vcc
	v_cmp_le_u32_e32 vcc, s17, v11
	v_and_b32_e32 v10, s24, v12
	v_and_b32_e32 v11, s24, v13
	v_cmp_le_u16_e64 s[2:3], v11, v10
	s_and_b64 s[0:1], s[0:1], s[2:3]
	s_or_b64 vcc, vcc, s[0:1]
	v_cndmask_b32_e64 v8, v15, v14, s[4:5]
	v_cndmask_b32_e64 v4, v17, v16, s[6:7]
	;; [unrolled: 1-line block ×3, first 2 shown]
	v_cndmask_b32_e32 v11, v12, v13, vcc
.LBB1274_29:
	s_or_b64 exec, exec, s[22:23]
	s_mov_b32 s17, 0
	s_lshl_b64 s[0:1], s[16:17], 1
	v_lshrrev_b32_e32 v10, 2, v0
	s_add_u32 s2, s20, s0
	v_and_b32_e32 v10, 30, v10
	s_mov_b32 s0, 0x5040100
	v_add_lshl_u32 v6, v10, v6, 1
	v_perm_b32 v3, v8, v3, s0
	v_perm_b32 v2, v7, v2, s0
	s_barrier
	s_barrier
	ds_write2_b32 v6, v2, v3 offset1:1
	v_perm_b32 v2, v11, v5, s0
	v_perm_b32 v3, v9, v4, s0
	ds_write2_b32 v6, v3, v2 offset0:2 offset1:3
	v_lshrrev_b32_e32 v2, 4, v0
	v_and_b32_e32 v2, 4, v2
	v_or_b32_e32 v10, 0x80, v0
	v_add_u32_e32 v11, v1, v2
	v_lshrrev_b32_e32 v2, 4, v10
	v_and_b32_e32 v2, 12, v2
	v_or_b32_e32 v9, 0x100, v0
	v_add_u32_e32 v12, v1, v2
	;; [unrolled: 4-line block ×7, first 2 shown]
	v_lshrrev_b32_e32 v2, 4, v4
	s_addc_u32 s1, s21, s1
	v_and_b32_e32 v2, 60, v2
	v_add_u32_e32 v18, v1, v2
	v_mov_b32_e32 v3, s1
	v_add_co_u32_e32 v2, vcc, s2, v1
	v_addc_co_u32_e32 v3, vcc, 0, v3, vcc
	s_and_b64 vcc, exec, s[18:19]
	s_waitcnt lgkmcnt(0)
	s_cbranch_vccz .LBB1274_31
; %bb.30:
	s_barrier
	ds_read_u16 v1, v11
	ds_read_u16 v19, v12 offset:256
	ds_read_u16 v20, v13 offset:512
	;; [unrolled: 1-line block ×7, first 2 shown]
	s_waitcnt lgkmcnt(7)
	global_store_short v[2:3], v1, off
	s_waitcnt lgkmcnt(6)
	global_store_short v[2:3], v19, off offset:256
	s_waitcnt lgkmcnt(5)
	global_store_short v[2:3], v20, off offset:512
	s_waitcnt lgkmcnt(4)
	global_store_short v[2:3], v21, off offset:768
	s_waitcnt lgkmcnt(3)
	global_store_short v[2:3], v22, off offset:1024
	s_waitcnt lgkmcnt(2)
	global_store_short v[2:3], v23, off offset:1280
	s_waitcnt lgkmcnt(1)
	global_store_short v[2:3], v24, off offset:1536
	s_waitcnt lgkmcnt(0)
	v_perm_b32 v1, v25, v24, s0
	s_mov_b64 s[0:1], -1
	s_cbranch_execz .LBB1274_32
	s_branch .LBB1274_41
.LBB1274_31:
	s_mov_b64 s[0:1], 0
                                        ; implicit-def: $vgpr1
.LBB1274_32:
	s_barrier
	ds_read_u16 v21, v11
	ds_read_u16 v20, v12 offset:256
	ds_read_u16 v19, v13 offset:512
	;; [unrolled: 1-line block ×7, first 2 shown]
	s_sub_i32 s2, s14, s16
	v_cmp_gt_u32_e32 vcc, s2, v0
	s_and_saveexec_b64 s[0:1], vcc
	s_cbranch_execnz .LBB1274_46
; %bb.33:
	s_or_b64 exec, exec, s[0:1]
	v_cmp_gt_u32_e32 vcc, s2, v10
	s_and_saveexec_b64 s[0:1], vcc
	s_cbranch_execnz .LBB1274_47
.LBB1274_34:
	s_or_b64 exec, exec, s[0:1]
	v_cmp_gt_u32_e32 vcc, s2, v9
	s_and_saveexec_b64 s[0:1], vcc
	s_cbranch_execnz .LBB1274_48
.LBB1274_35:
	s_or_b64 exec, exec, s[0:1]
	v_cmp_gt_u32_e32 vcc, s2, v8
	s_and_saveexec_b64 s[0:1], vcc
	s_cbranch_execnz .LBB1274_49
.LBB1274_36:
	s_or_b64 exec, exec, s[0:1]
	v_cmp_gt_u32_e32 vcc, s2, v7
	s_and_saveexec_b64 s[0:1], vcc
	s_cbranch_execnz .LBB1274_50
.LBB1274_37:
	s_or_b64 exec, exec, s[0:1]
	v_cmp_gt_u32_e32 vcc, s2, v6
	s_and_saveexec_b64 s[0:1], vcc
	s_cbranch_execnz .LBB1274_51
.LBB1274_38:
	s_or_b64 exec, exec, s[0:1]
	v_cmp_gt_u32_e32 vcc, s2, v5
	s_and_saveexec_b64 s[0:1], vcc
	s_cbranch_execz .LBB1274_40
.LBB1274_39:
	s_waitcnt lgkmcnt(1)
	global_store_short v[2:3], v1, off offset:1536
.LBB1274_40:
	s_or_b64 exec, exec, s[0:1]
	v_cmp_gt_u32_e64 s[0:1], s2, v4
	s_mov_b32 s2, 0x5040100
	s_waitcnt lgkmcnt(0)
	v_perm_b32 v1, v11, v1, s2
.LBB1274_41:
	s_and_saveexec_b64 s[2:3], s[0:1]
	s_cbranch_execz .LBB1274_43
; %bb.42:
	global_store_short_d16_hi v[2:3], v1, off offset:1792
.LBB1274_43:
	s_endpgm
.LBB1274_44:
	v_mov_b32_e32 v2, s12
	v_add_co_u32_e32 v4, vcc, s11, v1
	v_mov_b32_e32 v3, 0
	v_addc_co_u32_e32 v5, vcc, 0, v2, vcc
	v_subrev_u32_e32 v2, s15, v0
	v_lshlrev_b64 v[2:3], 1, v[2:3]
	v_mov_b32_e32 v7, s9
	v_add_co_u32_e32 v2, vcc, s8, v2
	v_addc_co_u32_e32 v3, vcc, v7, v3, vcc
	v_cmp_gt_u32_e32 vcc, s15, v0
	v_cndmask_b32_e32 v3, v3, v5, vcc
	v_cndmask_b32_e32 v2, v2, v4, vcc
	global_load_ushort v2, v[2:3], off
	s_or_b64 exec, exec, s[0:1]
	v_cmp_gt_u32_e32 vcc, s17, v8
	s_and_saveexec_b64 s[2:3], vcc
	s_cbranch_execz .LBB1274_6
.LBB1274_45:
	v_mov_b32_e32 v9, 0
	v_lshlrev_b64 v[12:13], 1, v[8:9]
	v_mov_b32_e32 v7, s12
	v_add_co_u32_e32 v11, vcc, s11, v12
	v_addc_co_u32_e32 v7, vcc, v7, v13, vcc
	v_cmp_gt_u32_e32 vcc, s15, v8
	v_subrev_u32_e32 v8, s15, v8
	v_lshlrev_b64 v[8:9], 1, v[8:9]
	v_mov_b32_e32 v12, s9
	v_add_co_u32_e64 v8, s[0:1], s8, v8
	v_addc_co_u32_e64 v9, s[0:1], v12, v9, s[0:1]
	v_cndmask_b32_e32 v9, v9, v7, vcc
	v_cndmask_b32_e32 v8, v8, v11, vcc
	global_load_ushort v7, v[8:9], off
	s_mov_b32 s0, 0x5040100
	s_waitcnt vmcnt(0)
	v_perm_b32 v2, v7, v2, s0
	s_or_b64 exec, exec, s[2:3]
	v_cmp_gt_u32_e32 vcc, s17, v6
	s_and_saveexec_b64 s[0:1], vcc
	s_cbranch_execnz .LBB1274_7
	s_branch .LBB1274_8
.LBB1274_46:
	s_waitcnt lgkmcnt(7)
	global_store_short v[2:3], v21, off
	s_or_b64 exec, exec, s[0:1]
	v_cmp_gt_u32_e32 vcc, s2, v10
	s_and_saveexec_b64 s[0:1], vcc
	s_cbranch_execz .LBB1274_34
.LBB1274_47:
	s_waitcnt lgkmcnt(6)
	global_store_short v[2:3], v20, off offset:256
	s_or_b64 exec, exec, s[0:1]
	v_cmp_gt_u32_e32 vcc, s2, v9
	s_and_saveexec_b64 s[0:1], vcc
	s_cbranch_execz .LBB1274_35
.LBB1274_48:
	s_waitcnt lgkmcnt(5)
	global_store_short v[2:3], v19, off offset:512
	s_or_b64 exec, exec, s[0:1]
	v_cmp_gt_u32_e32 vcc, s2, v8
	s_and_saveexec_b64 s[0:1], vcc
	s_cbranch_execz .LBB1274_36
.LBB1274_49:
	s_waitcnt lgkmcnt(4)
	global_store_short v[2:3], v14, off offset:768
	s_or_b64 exec, exec, s[0:1]
	v_cmp_gt_u32_e32 vcc, s2, v7
	s_and_saveexec_b64 s[0:1], vcc
	s_cbranch_execz .LBB1274_37
.LBB1274_50:
	s_waitcnt lgkmcnt(3)
	global_store_short v[2:3], v13, off offset:1024
	s_or_b64 exec, exec, s[0:1]
	v_cmp_gt_u32_e32 vcc, s2, v6
	s_and_saveexec_b64 s[0:1], vcc
	s_cbranch_execz .LBB1274_38
.LBB1274_51:
	s_waitcnt lgkmcnt(2)
	global_store_short v[2:3], v12, off offset:1280
	s_or_b64 exec, exec, s[0:1]
	v_cmp_gt_u32_e32 vcc, s2, v5
	s_and_saveexec_b64 s[0:1], vcc
	s_cbranch_execnz .LBB1274_39
	s_branch .LBB1274_40
	.section	.rodata,"a",@progbits
	.p2align	6, 0x0
	.amdhsa_kernel _ZN7rocprim17ROCPRIM_400000_NS6detail17trampoline_kernelINS0_14default_configENS1_38merge_sort_block_merge_config_selectorItNS0_10empty_typeEEEZZNS1_27merge_sort_block_merge_implIS3_N6thrust23THRUST_200600_302600_NS6detail15normal_iteratorINS9_10device_ptrItEEEEPS5_jNS1_19radix_merge_compareILb0ELb1EtNS0_19identity_decomposerEEEEE10hipError_tT0_T1_T2_jT3_P12ihipStream_tbPNSt15iterator_traitsISK_E10value_typeEPNSQ_ISL_E10value_typeEPSM_NS1_7vsmem_tEENKUlT_SK_SL_SM_E_clIPtSE_SF_SF_EESJ_SZ_SK_SL_SM_EUlSZ_E0_NS1_11comp_targetILNS1_3genE4ELNS1_11target_archE910ELNS1_3gpuE8ELNS1_3repE0EEENS1_38merge_mergepath_config_static_selectorELNS0_4arch9wavefront6targetE1EEEvSL_
		.amdhsa_group_segment_fixed_size 2112
		.amdhsa_private_segment_fixed_size 0
		.amdhsa_kernarg_size 320
		.amdhsa_user_sgpr_count 6
		.amdhsa_user_sgpr_private_segment_buffer 1
		.amdhsa_user_sgpr_dispatch_ptr 0
		.amdhsa_user_sgpr_queue_ptr 0
		.amdhsa_user_sgpr_kernarg_segment_ptr 1
		.amdhsa_user_sgpr_dispatch_id 0
		.amdhsa_user_sgpr_flat_scratch_init 0
		.amdhsa_user_sgpr_kernarg_preload_length 0
		.amdhsa_user_sgpr_kernarg_preload_offset 0
		.amdhsa_user_sgpr_private_segment_size 0
		.amdhsa_uses_dynamic_stack 0
		.amdhsa_system_sgpr_private_segment_wavefront_offset 0
		.amdhsa_system_sgpr_workgroup_id_x 1
		.amdhsa_system_sgpr_workgroup_id_y 1
		.amdhsa_system_sgpr_workgroup_id_z 1
		.amdhsa_system_sgpr_workgroup_info 0
		.amdhsa_system_vgpr_workitem_id 0
		.amdhsa_next_free_vgpr 26
		.amdhsa_next_free_sgpr 25
		.amdhsa_accum_offset 28
		.amdhsa_reserve_vcc 1
		.amdhsa_reserve_flat_scratch 0
		.amdhsa_float_round_mode_32 0
		.amdhsa_float_round_mode_16_64 0
		.amdhsa_float_denorm_mode_32 3
		.amdhsa_float_denorm_mode_16_64 3
		.amdhsa_dx10_clamp 1
		.amdhsa_ieee_mode 1
		.amdhsa_fp16_overflow 0
		.amdhsa_tg_split 0
		.amdhsa_exception_fp_ieee_invalid_op 0
		.amdhsa_exception_fp_denorm_src 0
		.amdhsa_exception_fp_ieee_div_zero 0
		.amdhsa_exception_fp_ieee_overflow 0
		.amdhsa_exception_fp_ieee_underflow 0
		.amdhsa_exception_fp_ieee_inexact 0
		.amdhsa_exception_int_div_zero 0
	.end_amdhsa_kernel
	.section	.text._ZN7rocprim17ROCPRIM_400000_NS6detail17trampoline_kernelINS0_14default_configENS1_38merge_sort_block_merge_config_selectorItNS0_10empty_typeEEEZZNS1_27merge_sort_block_merge_implIS3_N6thrust23THRUST_200600_302600_NS6detail15normal_iteratorINS9_10device_ptrItEEEEPS5_jNS1_19radix_merge_compareILb0ELb1EtNS0_19identity_decomposerEEEEE10hipError_tT0_T1_T2_jT3_P12ihipStream_tbPNSt15iterator_traitsISK_E10value_typeEPNSQ_ISL_E10value_typeEPSM_NS1_7vsmem_tEENKUlT_SK_SL_SM_E_clIPtSE_SF_SF_EESJ_SZ_SK_SL_SM_EUlSZ_E0_NS1_11comp_targetILNS1_3genE4ELNS1_11target_archE910ELNS1_3gpuE8ELNS1_3repE0EEENS1_38merge_mergepath_config_static_selectorELNS0_4arch9wavefront6targetE1EEEvSL_,"axG",@progbits,_ZN7rocprim17ROCPRIM_400000_NS6detail17trampoline_kernelINS0_14default_configENS1_38merge_sort_block_merge_config_selectorItNS0_10empty_typeEEEZZNS1_27merge_sort_block_merge_implIS3_N6thrust23THRUST_200600_302600_NS6detail15normal_iteratorINS9_10device_ptrItEEEEPS5_jNS1_19radix_merge_compareILb0ELb1EtNS0_19identity_decomposerEEEEE10hipError_tT0_T1_T2_jT3_P12ihipStream_tbPNSt15iterator_traitsISK_E10value_typeEPNSQ_ISL_E10value_typeEPSM_NS1_7vsmem_tEENKUlT_SK_SL_SM_E_clIPtSE_SF_SF_EESJ_SZ_SK_SL_SM_EUlSZ_E0_NS1_11comp_targetILNS1_3genE4ELNS1_11target_archE910ELNS1_3gpuE8ELNS1_3repE0EEENS1_38merge_mergepath_config_static_selectorELNS0_4arch9wavefront6targetE1EEEvSL_,comdat
.Lfunc_end1274:
	.size	_ZN7rocprim17ROCPRIM_400000_NS6detail17trampoline_kernelINS0_14default_configENS1_38merge_sort_block_merge_config_selectorItNS0_10empty_typeEEEZZNS1_27merge_sort_block_merge_implIS3_N6thrust23THRUST_200600_302600_NS6detail15normal_iteratorINS9_10device_ptrItEEEEPS5_jNS1_19radix_merge_compareILb0ELb1EtNS0_19identity_decomposerEEEEE10hipError_tT0_T1_T2_jT3_P12ihipStream_tbPNSt15iterator_traitsISK_E10value_typeEPNSQ_ISL_E10value_typeEPSM_NS1_7vsmem_tEENKUlT_SK_SL_SM_E_clIPtSE_SF_SF_EESJ_SZ_SK_SL_SM_EUlSZ_E0_NS1_11comp_targetILNS1_3genE4ELNS1_11target_archE910ELNS1_3gpuE8ELNS1_3repE0EEENS1_38merge_mergepath_config_static_selectorELNS0_4arch9wavefront6targetE1EEEvSL_, .Lfunc_end1274-_ZN7rocprim17ROCPRIM_400000_NS6detail17trampoline_kernelINS0_14default_configENS1_38merge_sort_block_merge_config_selectorItNS0_10empty_typeEEEZZNS1_27merge_sort_block_merge_implIS3_N6thrust23THRUST_200600_302600_NS6detail15normal_iteratorINS9_10device_ptrItEEEEPS5_jNS1_19radix_merge_compareILb0ELb1EtNS0_19identity_decomposerEEEEE10hipError_tT0_T1_T2_jT3_P12ihipStream_tbPNSt15iterator_traitsISK_E10value_typeEPNSQ_ISL_E10value_typeEPSM_NS1_7vsmem_tEENKUlT_SK_SL_SM_E_clIPtSE_SF_SF_EESJ_SZ_SK_SL_SM_EUlSZ_E0_NS1_11comp_targetILNS1_3genE4ELNS1_11target_archE910ELNS1_3gpuE8ELNS1_3repE0EEENS1_38merge_mergepath_config_static_selectorELNS0_4arch9wavefront6targetE1EEEvSL_
                                        ; -- End function
	.section	.AMDGPU.csdata,"",@progbits
; Kernel info:
; codeLenInByte = 3944
; NumSgprs: 29
; NumVgprs: 26
; NumAgprs: 0
; TotalNumVgprs: 26
; ScratchSize: 0
; MemoryBound: 0
; FloatMode: 240
; IeeeMode: 1
; LDSByteSize: 2112 bytes/workgroup (compile time only)
; SGPRBlocks: 3
; VGPRBlocks: 3
; NumSGPRsForWavesPerEU: 29
; NumVGPRsForWavesPerEU: 26
; AccumOffset: 28
; Occupancy: 8
; WaveLimiterHint : 1
; COMPUTE_PGM_RSRC2:SCRATCH_EN: 0
; COMPUTE_PGM_RSRC2:USER_SGPR: 6
; COMPUTE_PGM_RSRC2:TRAP_HANDLER: 0
; COMPUTE_PGM_RSRC2:TGID_X_EN: 1
; COMPUTE_PGM_RSRC2:TGID_Y_EN: 1
; COMPUTE_PGM_RSRC2:TGID_Z_EN: 1
; COMPUTE_PGM_RSRC2:TIDIG_COMP_CNT: 0
; COMPUTE_PGM_RSRC3_GFX90A:ACCUM_OFFSET: 6
; COMPUTE_PGM_RSRC3_GFX90A:TG_SPLIT: 0
	.section	.text._ZN7rocprim17ROCPRIM_400000_NS6detail17trampoline_kernelINS0_14default_configENS1_38merge_sort_block_merge_config_selectorItNS0_10empty_typeEEEZZNS1_27merge_sort_block_merge_implIS3_N6thrust23THRUST_200600_302600_NS6detail15normal_iteratorINS9_10device_ptrItEEEEPS5_jNS1_19radix_merge_compareILb0ELb1EtNS0_19identity_decomposerEEEEE10hipError_tT0_T1_T2_jT3_P12ihipStream_tbPNSt15iterator_traitsISK_E10value_typeEPNSQ_ISL_E10value_typeEPSM_NS1_7vsmem_tEENKUlT_SK_SL_SM_E_clIPtSE_SF_SF_EESJ_SZ_SK_SL_SM_EUlSZ_E0_NS1_11comp_targetILNS1_3genE3ELNS1_11target_archE908ELNS1_3gpuE7ELNS1_3repE0EEENS1_38merge_mergepath_config_static_selectorELNS0_4arch9wavefront6targetE1EEEvSL_,"axG",@progbits,_ZN7rocprim17ROCPRIM_400000_NS6detail17trampoline_kernelINS0_14default_configENS1_38merge_sort_block_merge_config_selectorItNS0_10empty_typeEEEZZNS1_27merge_sort_block_merge_implIS3_N6thrust23THRUST_200600_302600_NS6detail15normal_iteratorINS9_10device_ptrItEEEEPS5_jNS1_19radix_merge_compareILb0ELb1EtNS0_19identity_decomposerEEEEE10hipError_tT0_T1_T2_jT3_P12ihipStream_tbPNSt15iterator_traitsISK_E10value_typeEPNSQ_ISL_E10value_typeEPSM_NS1_7vsmem_tEENKUlT_SK_SL_SM_E_clIPtSE_SF_SF_EESJ_SZ_SK_SL_SM_EUlSZ_E0_NS1_11comp_targetILNS1_3genE3ELNS1_11target_archE908ELNS1_3gpuE7ELNS1_3repE0EEENS1_38merge_mergepath_config_static_selectorELNS0_4arch9wavefront6targetE1EEEvSL_,comdat
	.protected	_ZN7rocprim17ROCPRIM_400000_NS6detail17trampoline_kernelINS0_14default_configENS1_38merge_sort_block_merge_config_selectorItNS0_10empty_typeEEEZZNS1_27merge_sort_block_merge_implIS3_N6thrust23THRUST_200600_302600_NS6detail15normal_iteratorINS9_10device_ptrItEEEEPS5_jNS1_19radix_merge_compareILb0ELb1EtNS0_19identity_decomposerEEEEE10hipError_tT0_T1_T2_jT3_P12ihipStream_tbPNSt15iterator_traitsISK_E10value_typeEPNSQ_ISL_E10value_typeEPSM_NS1_7vsmem_tEENKUlT_SK_SL_SM_E_clIPtSE_SF_SF_EESJ_SZ_SK_SL_SM_EUlSZ_E0_NS1_11comp_targetILNS1_3genE3ELNS1_11target_archE908ELNS1_3gpuE7ELNS1_3repE0EEENS1_38merge_mergepath_config_static_selectorELNS0_4arch9wavefront6targetE1EEEvSL_ ; -- Begin function _ZN7rocprim17ROCPRIM_400000_NS6detail17trampoline_kernelINS0_14default_configENS1_38merge_sort_block_merge_config_selectorItNS0_10empty_typeEEEZZNS1_27merge_sort_block_merge_implIS3_N6thrust23THRUST_200600_302600_NS6detail15normal_iteratorINS9_10device_ptrItEEEEPS5_jNS1_19radix_merge_compareILb0ELb1EtNS0_19identity_decomposerEEEEE10hipError_tT0_T1_T2_jT3_P12ihipStream_tbPNSt15iterator_traitsISK_E10value_typeEPNSQ_ISL_E10value_typeEPSM_NS1_7vsmem_tEENKUlT_SK_SL_SM_E_clIPtSE_SF_SF_EESJ_SZ_SK_SL_SM_EUlSZ_E0_NS1_11comp_targetILNS1_3genE3ELNS1_11target_archE908ELNS1_3gpuE7ELNS1_3repE0EEENS1_38merge_mergepath_config_static_selectorELNS0_4arch9wavefront6targetE1EEEvSL_
	.globl	_ZN7rocprim17ROCPRIM_400000_NS6detail17trampoline_kernelINS0_14default_configENS1_38merge_sort_block_merge_config_selectorItNS0_10empty_typeEEEZZNS1_27merge_sort_block_merge_implIS3_N6thrust23THRUST_200600_302600_NS6detail15normal_iteratorINS9_10device_ptrItEEEEPS5_jNS1_19radix_merge_compareILb0ELb1EtNS0_19identity_decomposerEEEEE10hipError_tT0_T1_T2_jT3_P12ihipStream_tbPNSt15iterator_traitsISK_E10value_typeEPNSQ_ISL_E10value_typeEPSM_NS1_7vsmem_tEENKUlT_SK_SL_SM_E_clIPtSE_SF_SF_EESJ_SZ_SK_SL_SM_EUlSZ_E0_NS1_11comp_targetILNS1_3genE3ELNS1_11target_archE908ELNS1_3gpuE7ELNS1_3repE0EEENS1_38merge_mergepath_config_static_selectorELNS0_4arch9wavefront6targetE1EEEvSL_
	.p2align	8
	.type	_ZN7rocprim17ROCPRIM_400000_NS6detail17trampoline_kernelINS0_14default_configENS1_38merge_sort_block_merge_config_selectorItNS0_10empty_typeEEEZZNS1_27merge_sort_block_merge_implIS3_N6thrust23THRUST_200600_302600_NS6detail15normal_iteratorINS9_10device_ptrItEEEEPS5_jNS1_19radix_merge_compareILb0ELb1EtNS0_19identity_decomposerEEEEE10hipError_tT0_T1_T2_jT3_P12ihipStream_tbPNSt15iterator_traitsISK_E10value_typeEPNSQ_ISL_E10value_typeEPSM_NS1_7vsmem_tEENKUlT_SK_SL_SM_E_clIPtSE_SF_SF_EESJ_SZ_SK_SL_SM_EUlSZ_E0_NS1_11comp_targetILNS1_3genE3ELNS1_11target_archE908ELNS1_3gpuE7ELNS1_3repE0EEENS1_38merge_mergepath_config_static_selectorELNS0_4arch9wavefront6targetE1EEEvSL_,@function
_ZN7rocprim17ROCPRIM_400000_NS6detail17trampoline_kernelINS0_14default_configENS1_38merge_sort_block_merge_config_selectorItNS0_10empty_typeEEEZZNS1_27merge_sort_block_merge_implIS3_N6thrust23THRUST_200600_302600_NS6detail15normal_iteratorINS9_10device_ptrItEEEEPS5_jNS1_19radix_merge_compareILb0ELb1EtNS0_19identity_decomposerEEEEE10hipError_tT0_T1_T2_jT3_P12ihipStream_tbPNSt15iterator_traitsISK_E10value_typeEPNSQ_ISL_E10value_typeEPSM_NS1_7vsmem_tEENKUlT_SK_SL_SM_E_clIPtSE_SF_SF_EESJ_SZ_SK_SL_SM_EUlSZ_E0_NS1_11comp_targetILNS1_3genE3ELNS1_11target_archE908ELNS1_3gpuE7ELNS1_3repE0EEENS1_38merge_mergepath_config_static_selectorELNS0_4arch9wavefront6targetE1EEEvSL_: ; @_ZN7rocprim17ROCPRIM_400000_NS6detail17trampoline_kernelINS0_14default_configENS1_38merge_sort_block_merge_config_selectorItNS0_10empty_typeEEEZZNS1_27merge_sort_block_merge_implIS3_N6thrust23THRUST_200600_302600_NS6detail15normal_iteratorINS9_10device_ptrItEEEEPS5_jNS1_19radix_merge_compareILb0ELb1EtNS0_19identity_decomposerEEEEE10hipError_tT0_T1_T2_jT3_P12ihipStream_tbPNSt15iterator_traitsISK_E10value_typeEPNSQ_ISL_E10value_typeEPSM_NS1_7vsmem_tEENKUlT_SK_SL_SM_E_clIPtSE_SF_SF_EESJ_SZ_SK_SL_SM_EUlSZ_E0_NS1_11comp_targetILNS1_3genE3ELNS1_11target_archE908ELNS1_3gpuE7ELNS1_3repE0EEENS1_38merge_mergepath_config_static_selectorELNS0_4arch9wavefront6targetE1EEEvSL_
; %bb.0:
	.section	.rodata,"a",@progbits
	.p2align	6, 0x0
	.amdhsa_kernel _ZN7rocprim17ROCPRIM_400000_NS6detail17trampoline_kernelINS0_14default_configENS1_38merge_sort_block_merge_config_selectorItNS0_10empty_typeEEEZZNS1_27merge_sort_block_merge_implIS3_N6thrust23THRUST_200600_302600_NS6detail15normal_iteratorINS9_10device_ptrItEEEEPS5_jNS1_19radix_merge_compareILb0ELb1EtNS0_19identity_decomposerEEEEE10hipError_tT0_T1_T2_jT3_P12ihipStream_tbPNSt15iterator_traitsISK_E10value_typeEPNSQ_ISL_E10value_typeEPSM_NS1_7vsmem_tEENKUlT_SK_SL_SM_E_clIPtSE_SF_SF_EESJ_SZ_SK_SL_SM_EUlSZ_E0_NS1_11comp_targetILNS1_3genE3ELNS1_11target_archE908ELNS1_3gpuE7ELNS1_3repE0EEENS1_38merge_mergepath_config_static_selectorELNS0_4arch9wavefront6targetE1EEEvSL_
		.amdhsa_group_segment_fixed_size 0
		.amdhsa_private_segment_fixed_size 0
		.amdhsa_kernarg_size 64
		.amdhsa_user_sgpr_count 6
		.amdhsa_user_sgpr_private_segment_buffer 1
		.amdhsa_user_sgpr_dispatch_ptr 0
		.amdhsa_user_sgpr_queue_ptr 0
		.amdhsa_user_sgpr_kernarg_segment_ptr 1
		.amdhsa_user_sgpr_dispatch_id 0
		.amdhsa_user_sgpr_flat_scratch_init 0
		.amdhsa_user_sgpr_kernarg_preload_length 0
		.amdhsa_user_sgpr_kernarg_preload_offset 0
		.amdhsa_user_sgpr_private_segment_size 0
		.amdhsa_uses_dynamic_stack 0
		.amdhsa_system_sgpr_private_segment_wavefront_offset 0
		.amdhsa_system_sgpr_workgroup_id_x 1
		.amdhsa_system_sgpr_workgroup_id_y 0
		.amdhsa_system_sgpr_workgroup_id_z 0
		.amdhsa_system_sgpr_workgroup_info 0
		.amdhsa_system_vgpr_workitem_id 0
		.amdhsa_next_free_vgpr 1
		.amdhsa_next_free_sgpr 0
		.amdhsa_accum_offset 4
		.amdhsa_reserve_vcc 0
		.amdhsa_reserve_flat_scratch 0
		.amdhsa_float_round_mode_32 0
		.amdhsa_float_round_mode_16_64 0
		.amdhsa_float_denorm_mode_32 3
		.amdhsa_float_denorm_mode_16_64 3
		.amdhsa_dx10_clamp 1
		.amdhsa_ieee_mode 1
		.amdhsa_fp16_overflow 0
		.amdhsa_tg_split 0
		.amdhsa_exception_fp_ieee_invalid_op 0
		.amdhsa_exception_fp_denorm_src 0
		.amdhsa_exception_fp_ieee_div_zero 0
		.amdhsa_exception_fp_ieee_overflow 0
		.amdhsa_exception_fp_ieee_underflow 0
		.amdhsa_exception_fp_ieee_inexact 0
		.amdhsa_exception_int_div_zero 0
	.end_amdhsa_kernel
	.section	.text._ZN7rocprim17ROCPRIM_400000_NS6detail17trampoline_kernelINS0_14default_configENS1_38merge_sort_block_merge_config_selectorItNS0_10empty_typeEEEZZNS1_27merge_sort_block_merge_implIS3_N6thrust23THRUST_200600_302600_NS6detail15normal_iteratorINS9_10device_ptrItEEEEPS5_jNS1_19radix_merge_compareILb0ELb1EtNS0_19identity_decomposerEEEEE10hipError_tT0_T1_T2_jT3_P12ihipStream_tbPNSt15iterator_traitsISK_E10value_typeEPNSQ_ISL_E10value_typeEPSM_NS1_7vsmem_tEENKUlT_SK_SL_SM_E_clIPtSE_SF_SF_EESJ_SZ_SK_SL_SM_EUlSZ_E0_NS1_11comp_targetILNS1_3genE3ELNS1_11target_archE908ELNS1_3gpuE7ELNS1_3repE0EEENS1_38merge_mergepath_config_static_selectorELNS0_4arch9wavefront6targetE1EEEvSL_,"axG",@progbits,_ZN7rocprim17ROCPRIM_400000_NS6detail17trampoline_kernelINS0_14default_configENS1_38merge_sort_block_merge_config_selectorItNS0_10empty_typeEEEZZNS1_27merge_sort_block_merge_implIS3_N6thrust23THRUST_200600_302600_NS6detail15normal_iteratorINS9_10device_ptrItEEEEPS5_jNS1_19radix_merge_compareILb0ELb1EtNS0_19identity_decomposerEEEEE10hipError_tT0_T1_T2_jT3_P12ihipStream_tbPNSt15iterator_traitsISK_E10value_typeEPNSQ_ISL_E10value_typeEPSM_NS1_7vsmem_tEENKUlT_SK_SL_SM_E_clIPtSE_SF_SF_EESJ_SZ_SK_SL_SM_EUlSZ_E0_NS1_11comp_targetILNS1_3genE3ELNS1_11target_archE908ELNS1_3gpuE7ELNS1_3repE0EEENS1_38merge_mergepath_config_static_selectorELNS0_4arch9wavefront6targetE1EEEvSL_,comdat
.Lfunc_end1275:
	.size	_ZN7rocprim17ROCPRIM_400000_NS6detail17trampoline_kernelINS0_14default_configENS1_38merge_sort_block_merge_config_selectorItNS0_10empty_typeEEEZZNS1_27merge_sort_block_merge_implIS3_N6thrust23THRUST_200600_302600_NS6detail15normal_iteratorINS9_10device_ptrItEEEEPS5_jNS1_19radix_merge_compareILb0ELb1EtNS0_19identity_decomposerEEEEE10hipError_tT0_T1_T2_jT3_P12ihipStream_tbPNSt15iterator_traitsISK_E10value_typeEPNSQ_ISL_E10value_typeEPSM_NS1_7vsmem_tEENKUlT_SK_SL_SM_E_clIPtSE_SF_SF_EESJ_SZ_SK_SL_SM_EUlSZ_E0_NS1_11comp_targetILNS1_3genE3ELNS1_11target_archE908ELNS1_3gpuE7ELNS1_3repE0EEENS1_38merge_mergepath_config_static_selectorELNS0_4arch9wavefront6targetE1EEEvSL_, .Lfunc_end1275-_ZN7rocprim17ROCPRIM_400000_NS6detail17trampoline_kernelINS0_14default_configENS1_38merge_sort_block_merge_config_selectorItNS0_10empty_typeEEEZZNS1_27merge_sort_block_merge_implIS3_N6thrust23THRUST_200600_302600_NS6detail15normal_iteratorINS9_10device_ptrItEEEEPS5_jNS1_19radix_merge_compareILb0ELb1EtNS0_19identity_decomposerEEEEE10hipError_tT0_T1_T2_jT3_P12ihipStream_tbPNSt15iterator_traitsISK_E10value_typeEPNSQ_ISL_E10value_typeEPSM_NS1_7vsmem_tEENKUlT_SK_SL_SM_E_clIPtSE_SF_SF_EESJ_SZ_SK_SL_SM_EUlSZ_E0_NS1_11comp_targetILNS1_3genE3ELNS1_11target_archE908ELNS1_3gpuE7ELNS1_3repE0EEENS1_38merge_mergepath_config_static_selectorELNS0_4arch9wavefront6targetE1EEEvSL_
                                        ; -- End function
	.section	.AMDGPU.csdata,"",@progbits
; Kernel info:
; codeLenInByte = 0
; NumSgprs: 4
; NumVgprs: 0
; NumAgprs: 0
; TotalNumVgprs: 0
; ScratchSize: 0
; MemoryBound: 0
; FloatMode: 240
; IeeeMode: 1
; LDSByteSize: 0 bytes/workgroup (compile time only)
; SGPRBlocks: 0
; VGPRBlocks: 0
; NumSGPRsForWavesPerEU: 4
; NumVGPRsForWavesPerEU: 1
; AccumOffset: 4
; Occupancy: 8
; WaveLimiterHint : 0
; COMPUTE_PGM_RSRC2:SCRATCH_EN: 0
; COMPUTE_PGM_RSRC2:USER_SGPR: 6
; COMPUTE_PGM_RSRC2:TRAP_HANDLER: 0
; COMPUTE_PGM_RSRC2:TGID_X_EN: 1
; COMPUTE_PGM_RSRC2:TGID_Y_EN: 0
; COMPUTE_PGM_RSRC2:TGID_Z_EN: 0
; COMPUTE_PGM_RSRC2:TIDIG_COMP_CNT: 0
; COMPUTE_PGM_RSRC3_GFX90A:ACCUM_OFFSET: 0
; COMPUTE_PGM_RSRC3_GFX90A:TG_SPLIT: 0
	.section	.text._ZN7rocprim17ROCPRIM_400000_NS6detail17trampoline_kernelINS0_14default_configENS1_38merge_sort_block_merge_config_selectorItNS0_10empty_typeEEEZZNS1_27merge_sort_block_merge_implIS3_N6thrust23THRUST_200600_302600_NS6detail15normal_iteratorINS9_10device_ptrItEEEEPS5_jNS1_19radix_merge_compareILb0ELb1EtNS0_19identity_decomposerEEEEE10hipError_tT0_T1_T2_jT3_P12ihipStream_tbPNSt15iterator_traitsISK_E10value_typeEPNSQ_ISL_E10value_typeEPSM_NS1_7vsmem_tEENKUlT_SK_SL_SM_E_clIPtSE_SF_SF_EESJ_SZ_SK_SL_SM_EUlSZ_E0_NS1_11comp_targetILNS1_3genE2ELNS1_11target_archE906ELNS1_3gpuE6ELNS1_3repE0EEENS1_38merge_mergepath_config_static_selectorELNS0_4arch9wavefront6targetE1EEEvSL_,"axG",@progbits,_ZN7rocprim17ROCPRIM_400000_NS6detail17trampoline_kernelINS0_14default_configENS1_38merge_sort_block_merge_config_selectorItNS0_10empty_typeEEEZZNS1_27merge_sort_block_merge_implIS3_N6thrust23THRUST_200600_302600_NS6detail15normal_iteratorINS9_10device_ptrItEEEEPS5_jNS1_19radix_merge_compareILb0ELb1EtNS0_19identity_decomposerEEEEE10hipError_tT0_T1_T2_jT3_P12ihipStream_tbPNSt15iterator_traitsISK_E10value_typeEPNSQ_ISL_E10value_typeEPSM_NS1_7vsmem_tEENKUlT_SK_SL_SM_E_clIPtSE_SF_SF_EESJ_SZ_SK_SL_SM_EUlSZ_E0_NS1_11comp_targetILNS1_3genE2ELNS1_11target_archE906ELNS1_3gpuE6ELNS1_3repE0EEENS1_38merge_mergepath_config_static_selectorELNS0_4arch9wavefront6targetE1EEEvSL_,comdat
	.protected	_ZN7rocprim17ROCPRIM_400000_NS6detail17trampoline_kernelINS0_14default_configENS1_38merge_sort_block_merge_config_selectorItNS0_10empty_typeEEEZZNS1_27merge_sort_block_merge_implIS3_N6thrust23THRUST_200600_302600_NS6detail15normal_iteratorINS9_10device_ptrItEEEEPS5_jNS1_19radix_merge_compareILb0ELb1EtNS0_19identity_decomposerEEEEE10hipError_tT0_T1_T2_jT3_P12ihipStream_tbPNSt15iterator_traitsISK_E10value_typeEPNSQ_ISL_E10value_typeEPSM_NS1_7vsmem_tEENKUlT_SK_SL_SM_E_clIPtSE_SF_SF_EESJ_SZ_SK_SL_SM_EUlSZ_E0_NS1_11comp_targetILNS1_3genE2ELNS1_11target_archE906ELNS1_3gpuE6ELNS1_3repE0EEENS1_38merge_mergepath_config_static_selectorELNS0_4arch9wavefront6targetE1EEEvSL_ ; -- Begin function _ZN7rocprim17ROCPRIM_400000_NS6detail17trampoline_kernelINS0_14default_configENS1_38merge_sort_block_merge_config_selectorItNS0_10empty_typeEEEZZNS1_27merge_sort_block_merge_implIS3_N6thrust23THRUST_200600_302600_NS6detail15normal_iteratorINS9_10device_ptrItEEEEPS5_jNS1_19radix_merge_compareILb0ELb1EtNS0_19identity_decomposerEEEEE10hipError_tT0_T1_T2_jT3_P12ihipStream_tbPNSt15iterator_traitsISK_E10value_typeEPNSQ_ISL_E10value_typeEPSM_NS1_7vsmem_tEENKUlT_SK_SL_SM_E_clIPtSE_SF_SF_EESJ_SZ_SK_SL_SM_EUlSZ_E0_NS1_11comp_targetILNS1_3genE2ELNS1_11target_archE906ELNS1_3gpuE6ELNS1_3repE0EEENS1_38merge_mergepath_config_static_selectorELNS0_4arch9wavefront6targetE1EEEvSL_
	.globl	_ZN7rocprim17ROCPRIM_400000_NS6detail17trampoline_kernelINS0_14default_configENS1_38merge_sort_block_merge_config_selectorItNS0_10empty_typeEEEZZNS1_27merge_sort_block_merge_implIS3_N6thrust23THRUST_200600_302600_NS6detail15normal_iteratorINS9_10device_ptrItEEEEPS5_jNS1_19radix_merge_compareILb0ELb1EtNS0_19identity_decomposerEEEEE10hipError_tT0_T1_T2_jT3_P12ihipStream_tbPNSt15iterator_traitsISK_E10value_typeEPNSQ_ISL_E10value_typeEPSM_NS1_7vsmem_tEENKUlT_SK_SL_SM_E_clIPtSE_SF_SF_EESJ_SZ_SK_SL_SM_EUlSZ_E0_NS1_11comp_targetILNS1_3genE2ELNS1_11target_archE906ELNS1_3gpuE6ELNS1_3repE0EEENS1_38merge_mergepath_config_static_selectorELNS0_4arch9wavefront6targetE1EEEvSL_
	.p2align	8
	.type	_ZN7rocprim17ROCPRIM_400000_NS6detail17trampoline_kernelINS0_14default_configENS1_38merge_sort_block_merge_config_selectorItNS0_10empty_typeEEEZZNS1_27merge_sort_block_merge_implIS3_N6thrust23THRUST_200600_302600_NS6detail15normal_iteratorINS9_10device_ptrItEEEEPS5_jNS1_19radix_merge_compareILb0ELb1EtNS0_19identity_decomposerEEEEE10hipError_tT0_T1_T2_jT3_P12ihipStream_tbPNSt15iterator_traitsISK_E10value_typeEPNSQ_ISL_E10value_typeEPSM_NS1_7vsmem_tEENKUlT_SK_SL_SM_E_clIPtSE_SF_SF_EESJ_SZ_SK_SL_SM_EUlSZ_E0_NS1_11comp_targetILNS1_3genE2ELNS1_11target_archE906ELNS1_3gpuE6ELNS1_3repE0EEENS1_38merge_mergepath_config_static_selectorELNS0_4arch9wavefront6targetE1EEEvSL_,@function
_ZN7rocprim17ROCPRIM_400000_NS6detail17trampoline_kernelINS0_14default_configENS1_38merge_sort_block_merge_config_selectorItNS0_10empty_typeEEEZZNS1_27merge_sort_block_merge_implIS3_N6thrust23THRUST_200600_302600_NS6detail15normal_iteratorINS9_10device_ptrItEEEEPS5_jNS1_19radix_merge_compareILb0ELb1EtNS0_19identity_decomposerEEEEE10hipError_tT0_T1_T2_jT3_P12ihipStream_tbPNSt15iterator_traitsISK_E10value_typeEPNSQ_ISL_E10value_typeEPSM_NS1_7vsmem_tEENKUlT_SK_SL_SM_E_clIPtSE_SF_SF_EESJ_SZ_SK_SL_SM_EUlSZ_E0_NS1_11comp_targetILNS1_3genE2ELNS1_11target_archE906ELNS1_3gpuE6ELNS1_3repE0EEENS1_38merge_mergepath_config_static_selectorELNS0_4arch9wavefront6targetE1EEEvSL_: ; @_ZN7rocprim17ROCPRIM_400000_NS6detail17trampoline_kernelINS0_14default_configENS1_38merge_sort_block_merge_config_selectorItNS0_10empty_typeEEEZZNS1_27merge_sort_block_merge_implIS3_N6thrust23THRUST_200600_302600_NS6detail15normal_iteratorINS9_10device_ptrItEEEEPS5_jNS1_19radix_merge_compareILb0ELb1EtNS0_19identity_decomposerEEEEE10hipError_tT0_T1_T2_jT3_P12ihipStream_tbPNSt15iterator_traitsISK_E10value_typeEPNSQ_ISL_E10value_typeEPSM_NS1_7vsmem_tEENKUlT_SK_SL_SM_E_clIPtSE_SF_SF_EESJ_SZ_SK_SL_SM_EUlSZ_E0_NS1_11comp_targetILNS1_3genE2ELNS1_11target_archE906ELNS1_3gpuE6ELNS1_3repE0EEENS1_38merge_mergepath_config_static_selectorELNS0_4arch9wavefront6targetE1EEEvSL_
; %bb.0:
	.section	.rodata,"a",@progbits
	.p2align	6, 0x0
	.amdhsa_kernel _ZN7rocprim17ROCPRIM_400000_NS6detail17trampoline_kernelINS0_14default_configENS1_38merge_sort_block_merge_config_selectorItNS0_10empty_typeEEEZZNS1_27merge_sort_block_merge_implIS3_N6thrust23THRUST_200600_302600_NS6detail15normal_iteratorINS9_10device_ptrItEEEEPS5_jNS1_19radix_merge_compareILb0ELb1EtNS0_19identity_decomposerEEEEE10hipError_tT0_T1_T2_jT3_P12ihipStream_tbPNSt15iterator_traitsISK_E10value_typeEPNSQ_ISL_E10value_typeEPSM_NS1_7vsmem_tEENKUlT_SK_SL_SM_E_clIPtSE_SF_SF_EESJ_SZ_SK_SL_SM_EUlSZ_E0_NS1_11comp_targetILNS1_3genE2ELNS1_11target_archE906ELNS1_3gpuE6ELNS1_3repE0EEENS1_38merge_mergepath_config_static_selectorELNS0_4arch9wavefront6targetE1EEEvSL_
		.amdhsa_group_segment_fixed_size 0
		.amdhsa_private_segment_fixed_size 0
		.amdhsa_kernarg_size 64
		.amdhsa_user_sgpr_count 6
		.amdhsa_user_sgpr_private_segment_buffer 1
		.amdhsa_user_sgpr_dispatch_ptr 0
		.amdhsa_user_sgpr_queue_ptr 0
		.amdhsa_user_sgpr_kernarg_segment_ptr 1
		.amdhsa_user_sgpr_dispatch_id 0
		.amdhsa_user_sgpr_flat_scratch_init 0
		.amdhsa_user_sgpr_kernarg_preload_length 0
		.amdhsa_user_sgpr_kernarg_preload_offset 0
		.amdhsa_user_sgpr_private_segment_size 0
		.amdhsa_uses_dynamic_stack 0
		.amdhsa_system_sgpr_private_segment_wavefront_offset 0
		.amdhsa_system_sgpr_workgroup_id_x 1
		.amdhsa_system_sgpr_workgroup_id_y 0
		.amdhsa_system_sgpr_workgroup_id_z 0
		.amdhsa_system_sgpr_workgroup_info 0
		.amdhsa_system_vgpr_workitem_id 0
		.amdhsa_next_free_vgpr 1
		.amdhsa_next_free_sgpr 0
		.amdhsa_accum_offset 4
		.amdhsa_reserve_vcc 0
		.amdhsa_reserve_flat_scratch 0
		.amdhsa_float_round_mode_32 0
		.amdhsa_float_round_mode_16_64 0
		.amdhsa_float_denorm_mode_32 3
		.amdhsa_float_denorm_mode_16_64 3
		.amdhsa_dx10_clamp 1
		.amdhsa_ieee_mode 1
		.amdhsa_fp16_overflow 0
		.amdhsa_tg_split 0
		.amdhsa_exception_fp_ieee_invalid_op 0
		.amdhsa_exception_fp_denorm_src 0
		.amdhsa_exception_fp_ieee_div_zero 0
		.amdhsa_exception_fp_ieee_overflow 0
		.amdhsa_exception_fp_ieee_underflow 0
		.amdhsa_exception_fp_ieee_inexact 0
		.amdhsa_exception_int_div_zero 0
	.end_amdhsa_kernel
	.section	.text._ZN7rocprim17ROCPRIM_400000_NS6detail17trampoline_kernelINS0_14default_configENS1_38merge_sort_block_merge_config_selectorItNS0_10empty_typeEEEZZNS1_27merge_sort_block_merge_implIS3_N6thrust23THRUST_200600_302600_NS6detail15normal_iteratorINS9_10device_ptrItEEEEPS5_jNS1_19radix_merge_compareILb0ELb1EtNS0_19identity_decomposerEEEEE10hipError_tT0_T1_T2_jT3_P12ihipStream_tbPNSt15iterator_traitsISK_E10value_typeEPNSQ_ISL_E10value_typeEPSM_NS1_7vsmem_tEENKUlT_SK_SL_SM_E_clIPtSE_SF_SF_EESJ_SZ_SK_SL_SM_EUlSZ_E0_NS1_11comp_targetILNS1_3genE2ELNS1_11target_archE906ELNS1_3gpuE6ELNS1_3repE0EEENS1_38merge_mergepath_config_static_selectorELNS0_4arch9wavefront6targetE1EEEvSL_,"axG",@progbits,_ZN7rocprim17ROCPRIM_400000_NS6detail17trampoline_kernelINS0_14default_configENS1_38merge_sort_block_merge_config_selectorItNS0_10empty_typeEEEZZNS1_27merge_sort_block_merge_implIS3_N6thrust23THRUST_200600_302600_NS6detail15normal_iteratorINS9_10device_ptrItEEEEPS5_jNS1_19radix_merge_compareILb0ELb1EtNS0_19identity_decomposerEEEEE10hipError_tT0_T1_T2_jT3_P12ihipStream_tbPNSt15iterator_traitsISK_E10value_typeEPNSQ_ISL_E10value_typeEPSM_NS1_7vsmem_tEENKUlT_SK_SL_SM_E_clIPtSE_SF_SF_EESJ_SZ_SK_SL_SM_EUlSZ_E0_NS1_11comp_targetILNS1_3genE2ELNS1_11target_archE906ELNS1_3gpuE6ELNS1_3repE0EEENS1_38merge_mergepath_config_static_selectorELNS0_4arch9wavefront6targetE1EEEvSL_,comdat
.Lfunc_end1276:
	.size	_ZN7rocprim17ROCPRIM_400000_NS6detail17trampoline_kernelINS0_14default_configENS1_38merge_sort_block_merge_config_selectorItNS0_10empty_typeEEEZZNS1_27merge_sort_block_merge_implIS3_N6thrust23THRUST_200600_302600_NS6detail15normal_iteratorINS9_10device_ptrItEEEEPS5_jNS1_19radix_merge_compareILb0ELb1EtNS0_19identity_decomposerEEEEE10hipError_tT0_T1_T2_jT3_P12ihipStream_tbPNSt15iterator_traitsISK_E10value_typeEPNSQ_ISL_E10value_typeEPSM_NS1_7vsmem_tEENKUlT_SK_SL_SM_E_clIPtSE_SF_SF_EESJ_SZ_SK_SL_SM_EUlSZ_E0_NS1_11comp_targetILNS1_3genE2ELNS1_11target_archE906ELNS1_3gpuE6ELNS1_3repE0EEENS1_38merge_mergepath_config_static_selectorELNS0_4arch9wavefront6targetE1EEEvSL_, .Lfunc_end1276-_ZN7rocprim17ROCPRIM_400000_NS6detail17trampoline_kernelINS0_14default_configENS1_38merge_sort_block_merge_config_selectorItNS0_10empty_typeEEEZZNS1_27merge_sort_block_merge_implIS3_N6thrust23THRUST_200600_302600_NS6detail15normal_iteratorINS9_10device_ptrItEEEEPS5_jNS1_19radix_merge_compareILb0ELb1EtNS0_19identity_decomposerEEEEE10hipError_tT0_T1_T2_jT3_P12ihipStream_tbPNSt15iterator_traitsISK_E10value_typeEPNSQ_ISL_E10value_typeEPSM_NS1_7vsmem_tEENKUlT_SK_SL_SM_E_clIPtSE_SF_SF_EESJ_SZ_SK_SL_SM_EUlSZ_E0_NS1_11comp_targetILNS1_3genE2ELNS1_11target_archE906ELNS1_3gpuE6ELNS1_3repE0EEENS1_38merge_mergepath_config_static_selectorELNS0_4arch9wavefront6targetE1EEEvSL_
                                        ; -- End function
	.section	.AMDGPU.csdata,"",@progbits
; Kernel info:
; codeLenInByte = 0
; NumSgprs: 4
; NumVgprs: 0
; NumAgprs: 0
; TotalNumVgprs: 0
; ScratchSize: 0
; MemoryBound: 0
; FloatMode: 240
; IeeeMode: 1
; LDSByteSize: 0 bytes/workgroup (compile time only)
; SGPRBlocks: 0
; VGPRBlocks: 0
; NumSGPRsForWavesPerEU: 4
; NumVGPRsForWavesPerEU: 1
; AccumOffset: 4
; Occupancy: 8
; WaveLimiterHint : 0
; COMPUTE_PGM_RSRC2:SCRATCH_EN: 0
; COMPUTE_PGM_RSRC2:USER_SGPR: 6
; COMPUTE_PGM_RSRC2:TRAP_HANDLER: 0
; COMPUTE_PGM_RSRC2:TGID_X_EN: 1
; COMPUTE_PGM_RSRC2:TGID_Y_EN: 0
; COMPUTE_PGM_RSRC2:TGID_Z_EN: 0
; COMPUTE_PGM_RSRC2:TIDIG_COMP_CNT: 0
; COMPUTE_PGM_RSRC3_GFX90A:ACCUM_OFFSET: 0
; COMPUTE_PGM_RSRC3_GFX90A:TG_SPLIT: 0
	.section	.text._ZN7rocprim17ROCPRIM_400000_NS6detail17trampoline_kernelINS0_14default_configENS1_38merge_sort_block_merge_config_selectorItNS0_10empty_typeEEEZZNS1_27merge_sort_block_merge_implIS3_N6thrust23THRUST_200600_302600_NS6detail15normal_iteratorINS9_10device_ptrItEEEEPS5_jNS1_19radix_merge_compareILb0ELb1EtNS0_19identity_decomposerEEEEE10hipError_tT0_T1_T2_jT3_P12ihipStream_tbPNSt15iterator_traitsISK_E10value_typeEPNSQ_ISL_E10value_typeEPSM_NS1_7vsmem_tEENKUlT_SK_SL_SM_E_clIPtSE_SF_SF_EESJ_SZ_SK_SL_SM_EUlSZ_E0_NS1_11comp_targetILNS1_3genE9ELNS1_11target_archE1100ELNS1_3gpuE3ELNS1_3repE0EEENS1_38merge_mergepath_config_static_selectorELNS0_4arch9wavefront6targetE1EEEvSL_,"axG",@progbits,_ZN7rocprim17ROCPRIM_400000_NS6detail17trampoline_kernelINS0_14default_configENS1_38merge_sort_block_merge_config_selectorItNS0_10empty_typeEEEZZNS1_27merge_sort_block_merge_implIS3_N6thrust23THRUST_200600_302600_NS6detail15normal_iteratorINS9_10device_ptrItEEEEPS5_jNS1_19radix_merge_compareILb0ELb1EtNS0_19identity_decomposerEEEEE10hipError_tT0_T1_T2_jT3_P12ihipStream_tbPNSt15iterator_traitsISK_E10value_typeEPNSQ_ISL_E10value_typeEPSM_NS1_7vsmem_tEENKUlT_SK_SL_SM_E_clIPtSE_SF_SF_EESJ_SZ_SK_SL_SM_EUlSZ_E0_NS1_11comp_targetILNS1_3genE9ELNS1_11target_archE1100ELNS1_3gpuE3ELNS1_3repE0EEENS1_38merge_mergepath_config_static_selectorELNS0_4arch9wavefront6targetE1EEEvSL_,comdat
	.protected	_ZN7rocprim17ROCPRIM_400000_NS6detail17trampoline_kernelINS0_14default_configENS1_38merge_sort_block_merge_config_selectorItNS0_10empty_typeEEEZZNS1_27merge_sort_block_merge_implIS3_N6thrust23THRUST_200600_302600_NS6detail15normal_iteratorINS9_10device_ptrItEEEEPS5_jNS1_19radix_merge_compareILb0ELb1EtNS0_19identity_decomposerEEEEE10hipError_tT0_T1_T2_jT3_P12ihipStream_tbPNSt15iterator_traitsISK_E10value_typeEPNSQ_ISL_E10value_typeEPSM_NS1_7vsmem_tEENKUlT_SK_SL_SM_E_clIPtSE_SF_SF_EESJ_SZ_SK_SL_SM_EUlSZ_E0_NS1_11comp_targetILNS1_3genE9ELNS1_11target_archE1100ELNS1_3gpuE3ELNS1_3repE0EEENS1_38merge_mergepath_config_static_selectorELNS0_4arch9wavefront6targetE1EEEvSL_ ; -- Begin function _ZN7rocprim17ROCPRIM_400000_NS6detail17trampoline_kernelINS0_14default_configENS1_38merge_sort_block_merge_config_selectorItNS0_10empty_typeEEEZZNS1_27merge_sort_block_merge_implIS3_N6thrust23THRUST_200600_302600_NS6detail15normal_iteratorINS9_10device_ptrItEEEEPS5_jNS1_19radix_merge_compareILb0ELb1EtNS0_19identity_decomposerEEEEE10hipError_tT0_T1_T2_jT3_P12ihipStream_tbPNSt15iterator_traitsISK_E10value_typeEPNSQ_ISL_E10value_typeEPSM_NS1_7vsmem_tEENKUlT_SK_SL_SM_E_clIPtSE_SF_SF_EESJ_SZ_SK_SL_SM_EUlSZ_E0_NS1_11comp_targetILNS1_3genE9ELNS1_11target_archE1100ELNS1_3gpuE3ELNS1_3repE0EEENS1_38merge_mergepath_config_static_selectorELNS0_4arch9wavefront6targetE1EEEvSL_
	.globl	_ZN7rocprim17ROCPRIM_400000_NS6detail17trampoline_kernelINS0_14default_configENS1_38merge_sort_block_merge_config_selectorItNS0_10empty_typeEEEZZNS1_27merge_sort_block_merge_implIS3_N6thrust23THRUST_200600_302600_NS6detail15normal_iteratorINS9_10device_ptrItEEEEPS5_jNS1_19radix_merge_compareILb0ELb1EtNS0_19identity_decomposerEEEEE10hipError_tT0_T1_T2_jT3_P12ihipStream_tbPNSt15iterator_traitsISK_E10value_typeEPNSQ_ISL_E10value_typeEPSM_NS1_7vsmem_tEENKUlT_SK_SL_SM_E_clIPtSE_SF_SF_EESJ_SZ_SK_SL_SM_EUlSZ_E0_NS1_11comp_targetILNS1_3genE9ELNS1_11target_archE1100ELNS1_3gpuE3ELNS1_3repE0EEENS1_38merge_mergepath_config_static_selectorELNS0_4arch9wavefront6targetE1EEEvSL_
	.p2align	8
	.type	_ZN7rocprim17ROCPRIM_400000_NS6detail17trampoline_kernelINS0_14default_configENS1_38merge_sort_block_merge_config_selectorItNS0_10empty_typeEEEZZNS1_27merge_sort_block_merge_implIS3_N6thrust23THRUST_200600_302600_NS6detail15normal_iteratorINS9_10device_ptrItEEEEPS5_jNS1_19radix_merge_compareILb0ELb1EtNS0_19identity_decomposerEEEEE10hipError_tT0_T1_T2_jT3_P12ihipStream_tbPNSt15iterator_traitsISK_E10value_typeEPNSQ_ISL_E10value_typeEPSM_NS1_7vsmem_tEENKUlT_SK_SL_SM_E_clIPtSE_SF_SF_EESJ_SZ_SK_SL_SM_EUlSZ_E0_NS1_11comp_targetILNS1_3genE9ELNS1_11target_archE1100ELNS1_3gpuE3ELNS1_3repE0EEENS1_38merge_mergepath_config_static_selectorELNS0_4arch9wavefront6targetE1EEEvSL_,@function
_ZN7rocprim17ROCPRIM_400000_NS6detail17trampoline_kernelINS0_14default_configENS1_38merge_sort_block_merge_config_selectorItNS0_10empty_typeEEEZZNS1_27merge_sort_block_merge_implIS3_N6thrust23THRUST_200600_302600_NS6detail15normal_iteratorINS9_10device_ptrItEEEEPS5_jNS1_19radix_merge_compareILb0ELb1EtNS0_19identity_decomposerEEEEE10hipError_tT0_T1_T2_jT3_P12ihipStream_tbPNSt15iterator_traitsISK_E10value_typeEPNSQ_ISL_E10value_typeEPSM_NS1_7vsmem_tEENKUlT_SK_SL_SM_E_clIPtSE_SF_SF_EESJ_SZ_SK_SL_SM_EUlSZ_E0_NS1_11comp_targetILNS1_3genE9ELNS1_11target_archE1100ELNS1_3gpuE3ELNS1_3repE0EEENS1_38merge_mergepath_config_static_selectorELNS0_4arch9wavefront6targetE1EEEvSL_: ; @_ZN7rocprim17ROCPRIM_400000_NS6detail17trampoline_kernelINS0_14default_configENS1_38merge_sort_block_merge_config_selectorItNS0_10empty_typeEEEZZNS1_27merge_sort_block_merge_implIS3_N6thrust23THRUST_200600_302600_NS6detail15normal_iteratorINS9_10device_ptrItEEEEPS5_jNS1_19radix_merge_compareILb0ELb1EtNS0_19identity_decomposerEEEEE10hipError_tT0_T1_T2_jT3_P12ihipStream_tbPNSt15iterator_traitsISK_E10value_typeEPNSQ_ISL_E10value_typeEPSM_NS1_7vsmem_tEENKUlT_SK_SL_SM_E_clIPtSE_SF_SF_EESJ_SZ_SK_SL_SM_EUlSZ_E0_NS1_11comp_targetILNS1_3genE9ELNS1_11target_archE1100ELNS1_3gpuE3ELNS1_3repE0EEENS1_38merge_mergepath_config_static_selectorELNS0_4arch9wavefront6targetE1EEEvSL_
; %bb.0:
	.section	.rodata,"a",@progbits
	.p2align	6, 0x0
	.amdhsa_kernel _ZN7rocprim17ROCPRIM_400000_NS6detail17trampoline_kernelINS0_14default_configENS1_38merge_sort_block_merge_config_selectorItNS0_10empty_typeEEEZZNS1_27merge_sort_block_merge_implIS3_N6thrust23THRUST_200600_302600_NS6detail15normal_iteratorINS9_10device_ptrItEEEEPS5_jNS1_19radix_merge_compareILb0ELb1EtNS0_19identity_decomposerEEEEE10hipError_tT0_T1_T2_jT3_P12ihipStream_tbPNSt15iterator_traitsISK_E10value_typeEPNSQ_ISL_E10value_typeEPSM_NS1_7vsmem_tEENKUlT_SK_SL_SM_E_clIPtSE_SF_SF_EESJ_SZ_SK_SL_SM_EUlSZ_E0_NS1_11comp_targetILNS1_3genE9ELNS1_11target_archE1100ELNS1_3gpuE3ELNS1_3repE0EEENS1_38merge_mergepath_config_static_selectorELNS0_4arch9wavefront6targetE1EEEvSL_
		.amdhsa_group_segment_fixed_size 0
		.amdhsa_private_segment_fixed_size 0
		.amdhsa_kernarg_size 64
		.amdhsa_user_sgpr_count 6
		.amdhsa_user_sgpr_private_segment_buffer 1
		.amdhsa_user_sgpr_dispatch_ptr 0
		.amdhsa_user_sgpr_queue_ptr 0
		.amdhsa_user_sgpr_kernarg_segment_ptr 1
		.amdhsa_user_sgpr_dispatch_id 0
		.amdhsa_user_sgpr_flat_scratch_init 0
		.amdhsa_user_sgpr_kernarg_preload_length 0
		.amdhsa_user_sgpr_kernarg_preload_offset 0
		.amdhsa_user_sgpr_private_segment_size 0
		.amdhsa_uses_dynamic_stack 0
		.amdhsa_system_sgpr_private_segment_wavefront_offset 0
		.amdhsa_system_sgpr_workgroup_id_x 1
		.amdhsa_system_sgpr_workgroup_id_y 0
		.amdhsa_system_sgpr_workgroup_id_z 0
		.amdhsa_system_sgpr_workgroup_info 0
		.amdhsa_system_vgpr_workitem_id 0
		.amdhsa_next_free_vgpr 1
		.amdhsa_next_free_sgpr 0
		.amdhsa_accum_offset 4
		.amdhsa_reserve_vcc 0
		.amdhsa_reserve_flat_scratch 0
		.amdhsa_float_round_mode_32 0
		.amdhsa_float_round_mode_16_64 0
		.amdhsa_float_denorm_mode_32 3
		.amdhsa_float_denorm_mode_16_64 3
		.amdhsa_dx10_clamp 1
		.amdhsa_ieee_mode 1
		.amdhsa_fp16_overflow 0
		.amdhsa_tg_split 0
		.amdhsa_exception_fp_ieee_invalid_op 0
		.amdhsa_exception_fp_denorm_src 0
		.amdhsa_exception_fp_ieee_div_zero 0
		.amdhsa_exception_fp_ieee_overflow 0
		.amdhsa_exception_fp_ieee_underflow 0
		.amdhsa_exception_fp_ieee_inexact 0
		.amdhsa_exception_int_div_zero 0
	.end_amdhsa_kernel
	.section	.text._ZN7rocprim17ROCPRIM_400000_NS6detail17trampoline_kernelINS0_14default_configENS1_38merge_sort_block_merge_config_selectorItNS0_10empty_typeEEEZZNS1_27merge_sort_block_merge_implIS3_N6thrust23THRUST_200600_302600_NS6detail15normal_iteratorINS9_10device_ptrItEEEEPS5_jNS1_19radix_merge_compareILb0ELb1EtNS0_19identity_decomposerEEEEE10hipError_tT0_T1_T2_jT3_P12ihipStream_tbPNSt15iterator_traitsISK_E10value_typeEPNSQ_ISL_E10value_typeEPSM_NS1_7vsmem_tEENKUlT_SK_SL_SM_E_clIPtSE_SF_SF_EESJ_SZ_SK_SL_SM_EUlSZ_E0_NS1_11comp_targetILNS1_3genE9ELNS1_11target_archE1100ELNS1_3gpuE3ELNS1_3repE0EEENS1_38merge_mergepath_config_static_selectorELNS0_4arch9wavefront6targetE1EEEvSL_,"axG",@progbits,_ZN7rocprim17ROCPRIM_400000_NS6detail17trampoline_kernelINS0_14default_configENS1_38merge_sort_block_merge_config_selectorItNS0_10empty_typeEEEZZNS1_27merge_sort_block_merge_implIS3_N6thrust23THRUST_200600_302600_NS6detail15normal_iteratorINS9_10device_ptrItEEEEPS5_jNS1_19radix_merge_compareILb0ELb1EtNS0_19identity_decomposerEEEEE10hipError_tT0_T1_T2_jT3_P12ihipStream_tbPNSt15iterator_traitsISK_E10value_typeEPNSQ_ISL_E10value_typeEPSM_NS1_7vsmem_tEENKUlT_SK_SL_SM_E_clIPtSE_SF_SF_EESJ_SZ_SK_SL_SM_EUlSZ_E0_NS1_11comp_targetILNS1_3genE9ELNS1_11target_archE1100ELNS1_3gpuE3ELNS1_3repE0EEENS1_38merge_mergepath_config_static_selectorELNS0_4arch9wavefront6targetE1EEEvSL_,comdat
.Lfunc_end1277:
	.size	_ZN7rocprim17ROCPRIM_400000_NS6detail17trampoline_kernelINS0_14default_configENS1_38merge_sort_block_merge_config_selectorItNS0_10empty_typeEEEZZNS1_27merge_sort_block_merge_implIS3_N6thrust23THRUST_200600_302600_NS6detail15normal_iteratorINS9_10device_ptrItEEEEPS5_jNS1_19radix_merge_compareILb0ELb1EtNS0_19identity_decomposerEEEEE10hipError_tT0_T1_T2_jT3_P12ihipStream_tbPNSt15iterator_traitsISK_E10value_typeEPNSQ_ISL_E10value_typeEPSM_NS1_7vsmem_tEENKUlT_SK_SL_SM_E_clIPtSE_SF_SF_EESJ_SZ_SK_SL_SM_EUlSZ_E0_NS1_11comp_targetILNS1_3genE9ELNS1_11target_archE1100ELNS1_3gpuE3ELNS1_3repE0EEENS1_38merge_mergepath_config_static_selectorELNS0_4arch9wavefront6targetE1EEEvSL_, .Lfunc_end1277-_ZN7rocprim17ROCPRIM_400000_NS6detail17trampoline_kernelINS0_14default_configENS1_38merge_sort_block_merge_config_selectorItNS0_10empty_typeEEEZZNS1_27merge_sort_block_merge_implIS3_N6thrust23THRUST_200600_302600_NS6detail15normal_iteratorINS9_10device_ptrItEEEEPS5_jNS1_19radix_merge_compareILb0ELb1EtNS0_19identity_decomposerEEEEE10hipError_tT0_T1_T2_jT3_P12ihipStream_tbPNSt15iterator_traitsISK_E10value_typeEPNSQ_ISL_E10value_typeEPSM_NS1_7vsmem_tEENKUlT_SK_SL_SM_E_clIPtSE_SF_SF_EESJ_SZ_SK_SL_SM_EUlSZ_E0_NS1_11comp_targetILNS1_3genE9ELNS1_11target_archE1100ELNS1_3gpuE3ELNS1_3repE0EEENS1_38merge_mergepath_config_static_selectorELNS0_4arch9wavefront6targetE1EEEvSL_
                                        ; -- End function
	.section	.AMDGPU.csdata,"",@progbits
; Kernel info:
; codeLenInByte = 0
; NumSgprs: 4
; NumVgprs: 0
; NumAgprs: 0
; TotalNumVgprs: 0
; ScratchSize: 0
; MemoryBound: 0
; FloatMode: 240
; IeeeMode: 1
; LDSByteSize: 0 bytes/workgroup (compile time only)
; SGPRBlocks: 0
; VGPRBlocks: 0
; NumSGPRsForWavesPerEU: 4
; NumVGPRsForWavesPerEU: 1
; AccumOffset: 4
; Occupancy: 8
; WaveLimiterHint : 0
; COMPUTE_PGM_RSRC2:SCRATCH_EN: 0
; COMPUTE_PGM_RSRC2:USER_SGPR: 6
; COMPUTE_PGM_RSRC2:TRAP_HANDLER: 0
; COMPUTE_PGM_RSRC2:TGID_X_EN: 1
; COMPUTE_PGM_RSRC2:TGID_Y_EN: 0
; COMPUTE_PGM_RSRC2:TGID_Z_EN: 0
; COMPUTE_PGM_RSRC2:TIDIG_COMP_CNT: 0
; COMPUTE_PGM_RSRC3_GFX90A:ACCUM_OFFSET: 0
; COMPUTE_PGM_RSRC3_GFX90A:TG_SPLIT: 0
	.section	.text._ZN7rocprim17ROCPRIM_400000_NS6detail17trampoline_kernelINS0_14default_configENS1_38merge_sort_block_merge_config_selectorItNS0_10empty_typeEEEZZNS1_27merge_sort_block_merge_implIS3_N6thrust23THRUST_200600_302600_NS6detail15normal_iteratorINS9_10device_ptrItEEEEPS5_jNS1_19radix_merge_compareILb0ELb1EtNS0_19identity_decomposerEEEEE10hipError_tT0_T1_T2_jT3_P12ihipStream_tbPNSt15iterator_traitsISK_E10value_typeEPNSQ_ISL_E10value_typeEPSM_NS1_7vsmem_tEENKUlT_SK_SL_SM_E_clIPtSE_SF_SF_EESJ_SZ_SK_SL_SM_EUlSZ_E0_NS1_11comp_targetILNS1_3genE8ELNS1_11target_archE1030ELNS1_3gpuE2ELNS1_3repE0EEENS1_38merge_mergepath_config_static_selectorELNS0_4arch9wavefront6targetE1EEEvSL_,"axG",@progbits,_ZN7rocprim17ROCPRIM_400000_NS6detail17trampoline_kernelINS0_14default_configENS1_38merge_sort_block_merge_config_selectorItNS0_10empty_typeEEEZZNS1_27merge_sort_block_merge_implIS3_N6thrust23THRUST_200600_302600_NS6detail15normal_iteratorINS9_10device_ptrItEEEEPS5_jNS1_19radix_merge_compareILb0ELb1EtNS0_19identity_decomposerEEEEE10hipError_tT0_T1_T2_jT3_P12ihipStream_tbPNSt15iterator_traitsISK_E10value_typeEPNSQ_ISL_E10value_typeEPSM_NS1_7vsmem_tEENKUlT_SK_SL_SM_E_clIPtSE_SF_SF_EESJ_SZ_SK_SL_SM_EUlSZ_E0_NS1_11comp_targetILNS1_3genE8ELNS1_11target_archE1030ELNS1_3gpuE2ELNS1_3repE0EEENS1_38merge_mergepath_config_static_selectorELNS0_4arch9wavefront6targetE1EEEvSL_,comdat
	.protected	_ZN7rocprim17ROCPRIM_400000_NS6detail17trampoline_kernelINS0_14default_configENS1_38merge_sort_block_merge_config_selectorItNS0_10empty_typeEEEZZNS1_27merge_sort_block_merge_implIS3_N6thrust23THRUST_200600_302600_NS6detail15normal_iteratorINS9_10device_ptrItEEEEPS5_jNS1_19radix_merge_compareILb0ELb1EtNS0_19identity_decomposerEEEEE10hipError_tT0_T1_T2_jT3_P12ihipStream_tbPNSt15iterator_traitsISK_E10value_typeEPNSQ_ISL_E10value_typeEPSM_NS1_7vsmem_tEENKUlT_SK_SL_SM_E_clIPtSE_SF_SF_EESJ_SZ_SK_SL_SM_EUlSZ_E0_NS1_11comp_targetILNS1_3genE8ELNS1_11target_archE1030ELNS1_3gpuE2ELNS1_3repE0EEENS1_38merge_mergepath_config_static_selectorELNS0_4arch9wavefront6targetE1EEEvSL_ ; -- Begin function _ZN7rocprim17ROCPRIM_400000_NS6detail17trampoline_kernelINS0_14default_configENS1_38merge_sort_block_merge_config_selectorItNS0_10empty_typeEEEZZNS1_27merge_sort_block_merge_implIS3_N6thrust23THRUST_200600_302600_NS6detail15normal_iteratorINS9_10device_ptrItEEEEPS5_jNS1_19radix_merge_compareILb0ELb1EtNS0_19identity_decomposerEEEEE10hipError_tT0_T1_T2_jT3_P12ihipStream_tbPNSt15iterator_traitsISK_E10value_typeEPNSQ_ISL_E10value_typeEPSM_NS1_7vsmem_tEENKUlT_SK_SL_SM_E_clIPtSE_SF_SF_EESJ_SZ_SK_SL_SM_EUlSZ_E0_NS1_11comp_targetILNS1_3genE8ELNS1_11target_archE1030ELNS1_3gpuE2ELNS1_3repE0EEENS1_38merge_mergepath_config_static_selectorELNS0_4arch9wavefront6targetE1EEEvSL_
	.globl	_ZN7rocprim17ROCPRIM_400000_NS6detail17trampoline_kernelINS0_14default_configENS1_38merge_sort_block_merge_config_selectorItNS0_10empty_typeEEEZZNS1_27merge_sort_block_merge_implIS3_N6thrust23THRUST_200600_302600_NS6detail15normal_iteratorINS9_10device_ptrItEEEEPS5_jNS1_19radix_merge_compareILb0ELb1EtNS0_19identity_decomposerEEEEE10hipError_tT0_T1_T2_jT3_P12ihipStream_tbPNSt15iterator_traitsISK_E10value_typeEPNSQ_ISL_E10value_typeEPSM_NS1_7vsmem_tEENKUlT_SK_SL_SM_E_clIPtSE_SF_SF_EESJ_SZ_SK_SL_SM_EUlSZ_E0_NS1_11comp_targetILNS1_3genE8ELNS1_11target_archE1030ELNS1_3gpuE2ELNS1_3repE0EEENS1_38merge_mergepath_config_static_selectorELNS0_4arch9wavefront6targetE1EEEvSL_
	.p2align	8
	.type	_ZN7rocprim17ROCPRIM_400000_NS6detail17trampoline_kernelINS0_14default_configENS1_38merge_sort_block_merge_config_selectorItNS0_10empty_typeEEEZZNS1_27merge_sort_block_merge_implIS3_N6thrust23THRUST_200600_302600_NS6detail15normal_iteratorINS9_10device_ptrItEEEEPS5_jNS1_19radix_merge_compareILb0ELb1EtNS0_19identity_decomposerEEEEE10hipError_tT0_T1_T2_jT3_P12ihipStream_tbPNSt15iterator_traitsISK_E10value_typeEPNSQ_ISL_E10value_typeEPSM_NS1_7vsmem_tEENKUlT_SK_SL_SM_E_clIPtSE_SF_SF_EESJ_SZ_SK_SL_SM_EUlSZ_E0_NS1_11comp_targetILNS1_3genE8ELNS1_11target_archE1030ELNS1_3gpuE2ELNS1_3repE0EEENS1_38merge_mergepath_config_static_selectorELNS0_4arch9wavefront6targetE1EEEvSL_,@function
_ZN7rocprim17ROCPRIM_400000_NS6detail17trampoline_kernelINS0_14default_configENS1_38merge_sort_block_merge_config_selectorItNS0_10empty_typeEEEZZNS1_27merge_sort_block_merge_implIS3_N6thrust23THRUST_200600_302600_NS6detail15normal_iteratorINS9_10device_ptrItEEEEPS5_jNS1_19radix_merge_compareILb0ELb1EtNS0_19identity_decomposerEEEEE10hipError_tT0_T1_T2_jT3_P12ihipStream_tbPNSt15iterator_traitsISK_E10value_typeEPNSQ_ISL_E10value_typeEPSM_NS1_7vsmem_tEENKUlT_SK_SL_SM_E_clIPtSE_SF_SF_EESJ_SZ_SK_SL_SM_EUlSZ_E0_NS1_11comp_targetILNS1_3genE8ELNS1_11target_archE1030ELNS1_3gpuE2ELNS1_3repE0EEENS1_38merge_mergepath_config_static_selectorELNS0_4arch9wavefront6targetE1EEEvSL_: ; @_ZN7rocprim17ROCPRIM_400000_NS6detail17trampoline_kernelINS0_14default_configENS1_38merge_sort_block_merge_config_selectorItNS0_10empty_typeEEEZZNS1_27merge_sort_block_merge_implIS3_N6thrust23THRUST_200600_302600_NS6detail15normal_iteratorINS9_10device_ptrItEEEEPS5_jNS1_19radix_merge_compareILb0ELb1EtNS0_19identity_decomposerEEEEE10hipError_tT0_T1_T2_jT3_P12ihipStream_tbPNSt15iterator_traitsISK_E10value_typeEPNSQ_ISL_E10value_typeEPSM_NS1_7vsmem_tEENKUlT_SK_SL_SM_E_clIPtSE_SF_SF_EESJ_SZ_SK_SL_SM_EUlSZ_E0_NS1_11comp_targetILNS1_3genE8ELNS1_11target_archE1030ELNS1_3gpuE2ELNS1_3repE0EEENS1_38merge_mergepath_config_static_selectorELNS0_4arch9wavefront6targetE1EEEvSL_
; %bb.0:
	.section	.rodata,"a",@progbits
	.p2align	6, 0x0
	.amdhsa_kernel _ZN7rocprim17ROCPRIM_400000_NS6detail17trampoline_kernelINS0_14default_configENS1_38merge_sort_block_merge_config_selectorItNS0_10empty_typeEEEZZNS1_27merge_sort_block_merge_implIS3_N6thrust23THRUST_200600_302600_NS6detail15normal_iteratorINS9_10device_ptrItEEEEPS5_jNS1_19radix_merge_compareILb0ELb1EtNS0_19identity_decomposerEEEEE10hipError_tT0_T1_T2_jT3_P12ihipStream_tbPNSt15iterator_traitsISK_E10value_typeEPNSQ_ISL_E10value_typeEPSM_NS1_7vsmem_tEENKUlT_SK_SL_SM_E_clIPtSE_SF_SF_EESJ_SZ_SK_SL_SM_EUlSZ_E0_NS1_11comp_targetILNS1_3genE8ELNS1_11target_archE1030ELNS1_3gpuE2ELNS1_3repE0EEENS1_38merge_mergepath_config_static_selectorELNS0_4arch9wavefront6targetE1EEEvSL_
		.amdhsa_group_segment_fixed_size 0
		.amdhsa_private_segment_fixed_size 0
		.amdhsa_kernarg_size 64
		.amdhsa_user_sgpr_count 6
		.amdhsa_user_sgpr_private_segment_buffer 1
		.amdhsa_user_sgpr_dispatch_ptr 0
		.amdhsa_user_sgpr_queue_ptr 0
		.amdhsa_user_sgpr_kernarg_segment_ptr 1
		.amdhsa_user_sgpr_dispatch_id 0
		.amdhsa_user_sgpr_flat_scratch_init 0
		.amdhsa_user_sgpr_kernarg_preload_length 0
		.amdhsa_user_sgpr_kernarg_preload_offset 0
		.amdhsa_user_sgpr_private_segment_size 0
		.amdhsa_uses_dynamic_stack 0
		.amdhsa_system_sgpr_private_segment_wavefront_offset 0
		.amdhsa_system_sgpr_workgroup_id_x 1
		.amdhsa_system_sgpr_workgroup_id_y 0
		.amdhsa_system_sgpr_workgroup_id_z 0
		.amdhsa_system_sgpr_workgroup_info 0
		.amdhsa_system_vgpr_workitem_id 0
		.amdhsa_next_free_vgpr 1
		.amdhsa_next_free_sgpr 0
		.amdhsa_accum_offset 4
		.amdhsa_reserve_vcc 0
		.amdhsa_reserve_flat_scratch 0
		.amdhsa_float_round_mode_32 0
		.amdhsa_float_round_mode_16_64 0
		.amdhsa_float_denorm_mode_32 3
		.amdhsa_float_denorm_mode_16_64 3
		.amdhsa_dx10_clamp 1
		.amdhsa_ieee_mode 1
		.amdhsa_fp16_overflow 0
		.amdhsa_tg_split 0
		.amdhsa_exception_fp_ieee_invalid_op 0
		.amdhsa_exception_fp_denorm_src 0
		.amdhsa_exception_fp_ieee_div_zero 0
		.amdhsa_exception_fp_ieee_overflow 0
		.amdhsa_exception_fp_ieee_underflow 0
		.amdhsa_exception_fp_ieee_inexact 0
		.amdhsa_exception_int_div_zero 0
	.end_amdhsa_kernel
	.section	.text._ZN7rocprim17ROCPRIM_400000_NS6detail17trampoline_kernelINS0_14default_configENS1_38merge_sort_block_merge_config_selectorItNS0_10empty_typeEEEZZNS1_27merge_sort_block_merge_implIS3_N6thrust23THRUST_200600_302600_NS6detail15normal_iteratorINS9_10device_ptrItEEEEPS5_jNS1_19radix_merge_compareILb0ELb1EtNS0_19identity_decomposerEEEEE10hipError_tT0_T1_T2_jT3_P12ihipStream_tbPNSt15iterator_traitsISK_E10value_typeEPNSQ_ISL_E10value_typeEPSM_NS1_7vsmem_tEENKUlT_SK_SL_SM_E_clIPtSE_SF_SF_EESJ_SZ_SK_SL_SM_EUlSZ_E0_NS1_11comp_targetILNS1_3genE8ELNS1_11target_archE1030ELNS1_3gpuE2ELNS1_3repE0EEENS1_38merge_mergepath_config_static_selectorELNS0_4arch9wavefront6targetE1EEEvSL_,"axG",@progbits,_ZN7rocprim17ROCPRIM_400000_NS6detail17trampoline_kernelINS0_14default_configENS1_38merge_sort_block_merge_config_selectorItNS0_10empty_typeEEEZZNS1_27merge_sort_block_merge_implIS3_N6thrust23THRUST_200600_302600_NS6detail15normal_iteratorINS9_10device_ptrItEEEEPS5_jNS1_19radix_merge_compareILb0ELb1EtNS0_19identity_decomposerEEEEE10hipError_tT0_T1_T2_jT3_P12ihipStream_tbPNSt15iterator_traitsISK_E10value_typeEPNSQ_ISL_E10value_typeEPSM_NS1_7vsmem_tEENKUlT_SK_SL_SM_E_clIPtSE_SF_SF_EESJ_SZ_SK_SL_SM_EUlSZ_E0_NS1_11comp_targetILNS1_3genE8ELNS1_11target_archE1030ELNS1_3gpuE2ELNS1_3repE0EEENS1_38merge_mergepath_config_static_selectorELNS0_4arch9wavefront6targetE1EEEvSL_,comdat
.Lfunc_end1278:
	.size	_ZN7rocprim17ROCPRIM_400000_NS6detail17trampoline_kernelINS0_14default_configENS1_38merge_sort_block_merge_config_selectorItNS0_10empty_typeEEEZZNS1_27merge_sort_block_merge_implIS3_N6thrust23THRUST_200600_302600_NS6detail15normal_iteratorINS9_10device_ptrItEEEEPS5_jNS1_19radix_merge_compareILb0ELb1EtNS0_19identity_decomposerEEEEE10hipError_tT0_T1_T2_jT3_P12ihipStream_tbPNSt15iterator_traitsISK_E10value_typeEPNSQ_ISL_E10value_typeEPSM_NS1_7vsmem_tEENKUlT_SK_SL_SM_E_clIPtSE_SF_SF_EESJ_SZ_SK_SL_SM_EUlSZ_E0_NS1_11comp_targetILNS1_3genE8ELNS1_11target_archE1030ELNS1_3gpuE2ELNS1_3repE0EEENS1_38merge_mergepath_config_static_selectorELNS0_4arch9wavefront6targetE1EEEvSL_, .Lfunc_end1278-_ZN7rocprim17ROCPRIM_400000_NS6detail17trampoline_kernelINS0_14default_configENS1_38merge_sort_block_merge_config_selectorItNS0_10empty_typeEEEZZNS1_27merge_sort_block_merge_implIS3_N6thrust23THRUST_200600_302600_NS6detail15normal_iteratorINS9_10device_ptrItEEEEPS5_jNS1_19radix_merge_compareILb0ELb1EtNS0_19identity_decomposerEEEEE10hipError_tT0_T1_T2_jT3_P12ihipStream_tbPNSt15iterator_traitsISK_E10value_typeEPNSQ_ISL_E10value_typeEPSM_NS1_7vsmem_tEENKUlT_SK_SL_SM_E_clIPtSE_SF_SF_EESJ_SZ_SK_SL_SM_EUlSZ_E0_NS1_11comp_targetILNS1_3genE8ELNS1_11target_archE1030ELNS1_3gpuE2ELNS1_3repE0EEENS1_38merge_mergepath_config_static_selectorELNS0_4arch9wavefront6targetE1EEEvSL_
                                        ; -- End function
	.section	.AMDGPU.csdata,"",@progbits
; Kernel info:
; codeLenInByte = 0
; NumSgprs: 4
; NumVgprs: 0
; NumAgprs: 0
; TotalNumVgprs: 0
; ScratchSize: 0
; MemoryBound: 0
; FloatMode: 240
; IeeeMode: 1
; LDSByteSize: 0 bytes/workgroup (compile time only)
; SGPRBlocks: 0
; VGPRBlocks: 0
; NumSGPRsForWavesPerEU: 4
; NumVGPRsForWavesPerEU: 1
; AccumOffset: 4
; Occupancy: 8
; WaveLimiterHint : 0
; COMPUTE_PGM_RSRC2:SCRATCH_EN: 0
; COMPUTE_PGM_RSRC2:USER_SGPR: 6
; COMPUTE_PGM_RSRC2:TRAP_HANDLER: 0
; COMPUTE_PGM_RSRC2:TGID_X_EN: 1
; COMPUTE_PGM_RSRC2:TGID_Y_EN: 0
; COMPUTE_PGM_RSRC2:TGID_Z_EN: 0
; COMPUTE_PGM_RSRC2:TIDIG_COMP_CNT: 0
; COMPUTE_PGM_RSRC3_GFX90A:ACCUM_OFFSET: 0
; COMPUTE_PGM_RSRC3_GFX90A:TG_SPLIT: 0
	.section	.text._ZN7rocprim17ROCPRIM_400000_NS6detail17trampoline_kernelINS0_14default_configENS1_38merge_sort_block_merge_config_selectorItNS0_10empty_typeEEEZZNS1_27merge_sort_block_merge_implIS3_N6thrust23THRUST_200600_302600_NS6detail15normal_iteratorINS9_10device_ptrItEEEEPS5_jNS1_19radix_merge_compareILb0ELb1EtNS0_19identity_decomposerEEEEE10hipError_tT0_T1_T2_jT3_P12ihipStream_tbPNSt15iterator_traitsISK_E10value_typeEPNSQ_ISL_E10value_typeEPSM_NS1_7vsmem_tEENKUlT_SK_SL_SM_E_clIPtSE_SF_SF_EESJ_SZ_SK_SL_SM_EUlSZ_E1_NS1_11comp_targetILNS1_3genE0ELNS1_11target_archE4294967295ELNS1_3gpuE0ELNS1_3repE0EEENS1_36merge_oddeven_config_static_selectorELNS0_4arch9wavefront6targetE1EEEvSL_,"axG",@progbits,_ZN7rocprim17ROCPRIM_400000_NS6detail17trampoline_kernelINS0_14default_configENS1_38merge_sort_block_merge_config_selectorItNS0_10empty_typeEEEZZNS1_27merge_sort_block_merge_implIS3_N6thrust23THRUST_200600_302600_NS6detail15normal_iteratorINS9_10device_ptrItEEEEPS5_jNS1_19radix_merge_compareILb0ELb1EtNS0_19identity_decomposerEEEEE10hipError_tT0_T1_T2_jT3_P12ihipStream_tbPNSt15iterator_traitsISK_E10value_typeEPNSQ_ISL_E10value_typeEPSM_NS1_7vsmem_tEENKUlT_SK_SL_SM_E_clIPtSE_SF_SF_EESJ_SZ_SK_SL_SM_EUlSZ_E1_NS1_11comp_targetILNS1_3genE0ELNS1_11target_archE4294967295ELNS1_3gpuE0ELNS1_3repE0EEENS1_36merge_oddeven_config_static_selectorELNS0_4arch9wavefront6targetE1EEEvSL_,comdat
	.protected	_ZN7rocprim17ROCPRIM_400000_NS6detail17trampoline_kernelINS0_14default_configENS1_38merge_sort_block_merge_config_selectorItNS0_10empty_typeEEEZZNS1_27merge_sort_block_merge_implIS3_N6thrust23THRUST_200600_302600_NS6detail15normal_iteratorINS9_10device_ptrItEEEEPS5_jNS1_19radix_merge_compareILb0ELb1EtNS0_19identity_decomposerEEEEE10hipError_tT0_T1_T2_jT3_P12ihipStream_tbPNSt15iterator_traitsISK_E10value_typeEPNSQ_ISL_E10value_typeEPSM_NS1_7vsmem_tEENKUlT_SK_SL_SM_E_clIPtSE_SF_SF_EESJ_SZ_SK_SL_SM_EUlSZ_E1_NS1_11comp_targetILNS1_3genE0ELNS1_11target_archE4294967295ELNS1_3gpuE0ELNS1_3repE0EEENS1_36merge_oddeven_config_static_selectorELNS0_4arch9wavefront6targetE1EEEvSL_ ; -- Begin function _ZN7rocprim17ROCPRIM_400000_NS6detail17trampoline_kernelINS0_14default_configENS1_38merge_sort_block_merge_config_selectorItNS0_10empty_typeEEEZZNS1_27merge_sort_block_merge_implIS3_N6thrust23THRUST_200600_302600_NS6detail15normal_iteratorINS9_10device_ptrItEEEEPS5_jNS1_19radix_merge_compareILb0ELb1EtNS0_19identity_decomposerEEEEE10hipError_tT0_T1_T2_jT3_P12ihipStream_tbPNSt15iterator_traitsISK_E10value_typeEPNSQ_ISL_E10value_typeEPSM_NS1_7vsmem_tEENKUlT_SK_SL_SM_E_clIPtSE_SF_SF_EESJ_SZ_SK_SL_SM_EUlSZ_E1_NS1_11comp_targetILNS1_3genE0ELNS1_11target_archE4294967295ELNS1_3gpuE0ELNS1_3repE0EEENS1_36merge_oddeven_config_static_selectorELNS0_4arch9wavefront6targetE1EEEvSL_
	.globl	_ZN7rocprim17ROCPRIM_400000_NS6detail17trampoline_kernelINS0_14default_configENS1_38merge_sort_block_merge_config_selectorItNS0_10empty_typeEEEZZNS1_27merge_sort_block_merge_implIS3_N6thrust23THRUST_200600_302600_NS6detail15normal_iteratorINS9_10device_ptrItEEEEPS5_jNS1_19radix_merge_compareILb0ELb1EtNS0_19identity_decomposerEEEEE10hipError_tT0_T1_T2_jT3_P12ihipStream_tbPNSt15iterator_traitsISK_E10value_typeEPNSQ_ISL_E10value_typeEPSM_NS1_7vsmem_tEENKUlT_SK_SL_SM_E_clIPtSE_SF_SF_EESJ_SZ_SK_SL_SM_EUlSZ_E1_NS1_11comp_targetILNS1_3genE0ELNS1_11target_archE4294967295ELNS1_3gpuE0ELNS1_3repE0EEENS1_36merge_oddeven_config_static_selectorELNS0_4arch9wavefront6targetE1EEEvSL_
	.p2align	8
	.type	_ZN7rocprim17ROCPRIM_400000_NS6detail17trampoline_kernelINS0_14default_configENS1_38merge_sort_block_merge_config_selectorItNS0_10empty_typeEEEZZNS1_27merge_sort_block_merge_implIS3_N6thrust23THRUST_200600_302600_NS6detail15normal_iteratorINS9_10device_ptrItEEEEPS5_jNS1_19radix_merge_compareILb0ELb1EtNS0_19identity_decomposerEEEEE10hipError_tT0_T1_T2_jT3_P12ihipStream_tbPNSt15iterator_traitsISK_E10value_typeEPNSQ_ISL_E10value_typeEPSM_NS1_7vsmem_tEENKUlT_SK_SL_SM_E_clIPtSE_SF_SF_EESJ_SZ_SK_SL_SM_EUlSZ_E1_NS1_11comp_targetILNS1_3genE0ELNS1_11target_archE4294967295ELNS1_3gpuE0ELNS1_3repE0EEENS1_36merge_oddeven_config_static_selectorELNS0_4arch9wavefront6targetE1EEEvSL_,@function
_ZN7rocprim17ROCPRIM_400000_NS6detail17trampoline_kernelINS0_14default_configENS1_38merge_sort_block_merge_config_selectorItNS0_10empty_typeEEEZZNS1_27merge_sort_block_merge_implIS3_N6thrust23THRUST_200600_302600_NS6detail15normal_iteratorINS9_10device_ptrItEEEEPS5_jNS1_19radix_merge_compareILb0ELb1EtNS0_19identity_decomposerEEEEE10hipError_tT0_T1_T2_jT3_P12ihipStream_tbPNSt15iterator_traitsISK_E10value_typeEPNSQ_ISL_E10value_typeEPSM_NS1_7vsmem_tEENKUlT_SK_SL_SM_E_clIPtSE_SF_SF_EESJ_SZ_SK_SL_SM_EUlSZ_E1_NS1_11comp_targetILNS1_3genE0ELNS1_11target_archE4294967295ELNS1_3gpuE0ELNS1_3repE0EEENS1_36merge_oddeven_config_static_selectorELNS0_4arch9wavefront6targetE1EEEvSL_: ; @_ZN7rocprim17ROCPRIM_400000_NS6detail17trampoline_kernelINS0_14default_configENS1_38merge_sort_block_merge_config_selectorItNS0_10empty_typeEEEZZNS1_27merge_sort_block_merge_implIS3_N6thrust23THRUST_200600_302600_NS6detail15normal_iteratorINS9_10device_ptrItEEEEPS5_jNS1_19radix_merge_compareILb0ELb1EtNS0_19identity_decomposerEEEEE10hipError_tT0_T1_T2_jT3_P12ihipStream_tbPNSt15iterator_traitsISK_E10value_typeEPNSQ_ISL_E10value_typeEPSM_NS1_7vsmem_tEENKUlT_SK_SL_SM_E_clIPtSE_SF_SF_EESJ_SZ_SK_SL_SM_EUlSZ_E1_NS1_11comp_targetILNS1_3genE0ELNS1_11target_archE4294967295ELNS1_3gpuE0ELNS1_3repE0EEENS1_36merge_oddeven_config_static_selectorELNS0_4arch9wavefront6targetE1EEEvSL_
; %bb.0:
	.section	.rodata,"a",@progbits
	.p2align	6, 0x0
	.amdhsa_kernel _ZN7rocprim17ROCPRIM_400000_NS6detail17trampoline_kernelINS0_14default_configENS1_38merge_sort_block_merge_config_selectorItNS0_10empty_typeEEEZZNS1_27merge_sort_block_merge_implIS3_N6thrust23THRUST_200600_302600_NS6detail15normal_iteratorINS9_10device_ptrItEEEEPS5_jNS1_19radix_merge_compareILb0ELb1EtNS0_19identity_decomposerEEEEE10hipError_tT0_T1_T2_jT3_P12ihipStream_tbPNSt15iterator_traitsISK_E10value_typeEPNSQ_ISL_E10value_typeEPSM_NS1_7vsmem_tEENKUlT_SK_SL_SM_E_clIPtSE_SF_SF_EESJ_SZ_SK_SL_SM_EUlSZ_E1_NS1_11comp_targetILNS1_3genE0ELNS1_11target_archE4294967295ELNS1_3gpuE0ELNS1_3repE0EEENS1_36merge_oddeven_config_static_selectorELNS0_4arch9wavefront6targetE1EEEvSL_
		.amdhsa_group_segment_fixed_size 0
		.amdhsa_private_segment_fixed_size 0
		.amdhsa_kernarg_size 48
		.amdhsa_user_sgpr_count 6
		.amdhsa_user_sgpr_private_segment_buffer 1
		.amdhsa_user_sgpr_dispatch_ptr 0
		.amdhsa_user_sgpr_queue_ptr 0
		.amdhsa_user_sgpr_kernarg_segment_ptr 1
		.amdhsa_user_sgpr_dispatch_id 0
		.amdhsa_user_sgpr_flat_scratch_init 0
		.amdhsa_user_sgpr_kernarg_preload_length 0
		.amdhsa_user_sgpr_kernarg_preload_offset 0
		.amdhsa_user_sgpr_private_segment_size 0
		.amdhsa_uses_dynamic_stack 0
		.amdhsa_system_sgpr_private_segment_wavefront_offset 0
		.amdhsa_system_sgpr_workgroup_id_x 1
		.amdhsa_system_sgpr_workgroup_id_y 0
		.amdhsa_system_sgpr_workgroup_id_z 0
		.amdhsa_system_sgpr_workgroup_info 0
		.amdhsa_system_vgpr_workitem_id 0
		.amdhsa_next_free_vgpr 1
		.amdhsa_next_free_sgpr 0
		.amdhsa_accum_offset 4
		.amdhsa_reserve_vcc 0
		.amdhsa_reserve_flat_scratch 0
		.amdhsa_float_round_mode_32 0
		.amdhsa_float_round_mode_16_64 0
		.amdhsa_float_denorm_mode_32 3
		.amdhsa_float_denorm_mode_16_64 3
		.amdhsa_dx10_clamp 1
		.amdhsa_ieee_mode 1
		.amdhsa_fp16_overflow 0
		.amdhsa_tg_split 0
		.amdhsa_exception_fp_ieee_invalid_op 0
		.amdhsa_exception_fp_denorm_src 0
		.amdhsa_exception_fp_ieee_div_zero 0
		.amdhsa_exception_fp_ieee_overflow 0
		.amdhsa_exception_fp_ieee_underflow 0
		.amdhsa_exception_fp_ieee_inexact 0
		.amdhsa_exception_int_div_zero 0
	.end_amdhsa_kernel
	.section	.text._ZN7rocprim17ROCPRIM_400000_NS6detail17trampoline_kernelINS0_14default_configENS1_38merge_sort_block_merge_config_selectorItNS0_10empty_typeEEEZZNS1_27merge_sort_block_merge_implIS3_N6thrust23THRUST_200600_302600_NS6detail15normal_iteratorINS9_10device_ptrItEEEEPS5_jNS1_19radix_merge_compareILb0ELb1EtNS0_19identity_decomposerEEEEE10hipError_tT0_T1_T2_jT3_P12ihipStream_tbPNSt15iterator_traitsISK_E10value_typeEPNSQ_ISL_E10value_typeEPSM_NS1_7vsmem_tEENKUlT_SK_SL_SM_E_clIPtSE_SF_SF_EESJ_SZ_SK_SL_SM_EUlSZ_E1_NS1_11comp_targetILNS1_3genE0ELNS1_11target_archE4294967295ELNS1_3gpuE0ELNS1_3repE0EEENS1_36merge_oddeven_config_static_selectorELNS0_4arch9wavefront6targetE1EEEvSL_,"axG",@progbits,_ZN7rocprim17ROCPRIM_400000_NS6detail17trampoline_kernelINS0_14default_configENS1_38merge_sort_block_merge_config_selectorItNS0_10empty_typeEEEZZNS1_27merge_sort_block_merge_implIS3_N6thrust23THRUST_200600_302600_NS6detail15normal_iteratorINS9_10device_ptrItEEEEPS5_jNS1_19radix_merge_compareILb0ELb1EtNS0_19identity_decomposerEEEEE10hipError_tT0_T1_T2_jT3_P12ihipStream_tbPNSt15iterator_traitsISK_E10value_typeEPNSQ_ISL_E10value_typeEPSM_NS1_7vsmem_tEENKUlT_SK_SL_SM_E_clIPtSE_SF_SF_EESJ_SZ_SK_SL_SM_EUlSZ_E1_NS1_11comp_targetILNS1_3genE0ELNS1_11target_archE4294967295ELNS1_3gpuE0ELNS1_3repE0EEENS1_36merge_oddeven_config_static_selectorELNS0_4arch9wavefront6targetE1EEEvSL_,comdat
.Lfunc_end1279:
	.size	_ZN7rocprim17ROCPRIM_400000_NS6detail17trampoline_kernelINS0_14default_configENS1_38merge_sort_block_merge_config_selectorItNS0_10empty_typeEEEZZNS1_27merge_sort_block_merge_implIS3_N6thrust23THRUST_200600_302600_NS6detail15normal_iteratorINS9_10device_ptrItEEEEPS5_jNS1_19radix_merge_compareILb0ELb1EtNS0_19identity_decomposerEEEEE10hipError_tT0_T1_T2_jT3_P12ihipStream_tbPNSt15iterator_traitsISK_E10value_typeEPNSQ_ISL_E10value_typeEPSM_NS1_7vsmem_tEENKUlT_SK_SL_SM_E_clIPtSE_SF_SF_EESJ_SZ_SK_SL_SM_EUlSZ_E1_NS1_11comp_targetILNS1_3genE0ELNS1_11target_archE4294967295ELNS1_3gpuE0ELNS1_3repE0EEENS1_36merge_oddeven_config_static_selectorELNS0_4arch9wavefront6targetE1EEEvSL_, .Lfunc_end1279-_ZN7rocprim17ROCPRIM_400000_NS6detail17trampoline_kernelINS0_14default_configENS1_38merge_sort_block_merge_config_selectorItNS0_10empty_typeEEEZZNS1_27merge_sort_block_merge_implIS3_N6thrust23THRUST_200600_302600_NS6detail15normal_iteratorINS9_10device_ptrItEEEEPS5_jNS1_19radix_merge_compareILb0ELb1EtNS0_19identity_decomposerEEEEE10hipError_tT0_T1_T2_jT3_P12ihipStream_tbPNSt15iterator_traitsISK_E10value_typeEPNSQ_ISL_E10value_typeEPSM_NS1_7vsmem_tEENKUlT_SK_SL_SM_E_clIPtSE_SF_SF_EESJ_SZ_SK_SL_SM_EUlSZ_E1_NS1_11comp_targetILNS1_3genE0ELNS1_11target_archE4294967295ELNS1_3gpuE0ELNS1_3repE0EEENS1_36merge_oddeven_config_static_selectorELNS0_4arch9wavefront6targetE1EEEvSL_
                                        ; -- End function
	.section	.AMDGPU.csdata,"",@progbits
; Kernel info:
; codeLenInByte = 0
; NumSgprs: 4
; NumVgprs: 0
; NumAgprs: 0
; TotalNumVgprs: 0
; ScratchSize: 0
; MemoryBound: 0
; FloatMode: 240
; IeeeMode: 1
; LDSByteSize: 0 bytes/workgroup (compile time only)
; SGPRBlocks: 0
; VGPRBlocks: 0
; NumSGPRsForWavesPerEU: 4
; NumVGPRsForWavesPerEU: 1
; AccumOffset: 4
; Occupancy: 8
; WaveLimiterHint : 0
; COMPUTE_PGM_RSRC2:SCRATCH_EN: 0
; COMPUTE_PGM_RSRC2:USER_SGPR: 6
; COMPUTE_PGM_RSRC2:TRAP_HANDLER: 0
; COMPUTE_PGM_RSRC2:TGID_X_EN: 1
; COMPUTE_PGM_RSRC2:TGID_Y_EN: 0
; COMPUTE_PGM_RSRC2:TGID_Z_EN: 0
; COMPUTE_PGM_RSRC2:TIDIG_COMP_CNT: 0
; COMPUTE_PGM_RSRC3_GFX90A:ACCUM_OFFSET: 0
; COMPUTE_PGM_RSRC3_GFX90A:TG_SPLIT: 0
	.section	.text._ZN7rocprim17ROCPRIM_400000_NS6detail17trampoline_kernelINS0_14default_configENS1_38merge_sort_block_merge_config_selectorItNS0_10empty_typeEEEZZNS1_27merge_sort_block_merge_implIS3_N6thrust23THRUST_200600_302600_NS6detail15normal_iteratorINS9_10device_ptrItEEEEPS5_jNS1_19radix_merge_compareILb0ELb1EtNS0_19identity_decomposerEEEEE10hipError_tT0_T1_T2_jT3_P12ihipStream_tbPNSt15iterator_traitsISK_E10value_typeEPNSQ_ISL_E10value_typeEPSM_NS1_7vsmem_tEENKUlT_SK_SL_SM_E_clIPtSE_SF_SF_EESJ_SZ_SK_SL_SM_EUlSZ_E1_NS1_11comp_targetILNS1_3genE10ELNS1_11target_archE1201ELNS1_3gpuE5ELNS1_3repE0EEENS1_36merge_oddeven_config_static_selectorELNS0_4arch9wavefront6targetE1EEEvSL_,"axG",@progbits,_ZN7rocprim17ROCPRIM_400000_NS6detail17trampoline_kernelINS0_14default_configENS1_38merge_sort_block_merge_config_selectorItNS0_10empty_typeEEEZZNS1_27merge_sort_block_merge_implIS3_N6thrust23THRUST_200600_302600_NS6detail15normal_iteratorINS9_10device_ptrItEEEEPS5_jNS1_19radix_merge_compareILb0ELb1EtNS0_19identity_decomposerEEEEE10hipError_tT0_T1_T2_jT3_P12ihipStream_tbPNSt15iterator_traitsISK_E10value_typeEPNSQ_ISL_E10value_typeEPSM_NS1_7vsmem_tEENKUlT_SK_SL_SM_E_clIPtSE_SF_SF_EESJ_SZ_SK_SL_SM_EUlSZ_E1_NS1_11comp_targetILNS1_3genE10ELNS1_11target_archE1201ELNS1_3gpuE5ELNS1_3repE0EEENS1_36merge_oddeven_config_static_selectorELNS0_4arch9wavefront6targetE1EEEvSL_,comdat
	.protected	_ZN7rocprim17ROCPRIM_400000_NS6detail17trampoline_kernelINS0_14default_configENS1_38merge_sort_block_merge_config_selectorItNS0_10empty_typeEEEZZNS1_27merge_sort_block_merge_implIS3_N6thrust23THRUST_200600_302600_NS6detail15normal_iteratorINS9_10device_ptrItEEEEPS5_jNS1_19radix_merge_compareILb0ELb1EtNS0_19identity_decomposerEEEEE10hipError_tT0_T1_T2_jT3_P12ihipStream_tbPNSt15iterator_traitsISK_E10value_typeEPNSQ_ISL_E10value_typeEPSM_NS1_7vsmem_tEENKUlT_SK_SL_SM_E_clIPtSE_SF_SF_EESJ_SZ_SK_SL_SM_EUlSZ_E1_NS1_11comp_targetILNS1_3genE10ELNS1_11target_archE1201ELNS1_3gpuE5ELNS1_3repE0EEENS1_36merge_oddeven_config_static_selectorELNS0_4arch9wavefront6targetE1EEEvSL_ ; -- Begin function _ZN7rocprim17ROCPRIM_400000_NS6detail17trampoline_kernelINS0_14default_configENS1_38merge_sort_block_merge_config_selectorItNS0_10empty_typeEEEZZNS1_27merge_sort_block_merge_implIS3_N6thrust23THRUST_200600_302600_NS6detail15normal_iteratorINS9_10device_ptrItEEEEPS5_jNS1_19radix_merge_compareILb0ELb1EtNS0_19identity_decomposerEEEEE10hipError_tT0_T1_T2_jT3_P12ihipStream_tbPNSt15iterator_traitsISK_E10value_typeEPNSQ_ISL_E10value_typeEPSM_NS1_7vsmem_tEENKUlT_SK_SL_SM_E_clIPtSE_SF_SF_EESJ_SZ_SK_SL_SM_EUlSZ_E1_NS1_11comp_targetILNS1_3genE10ELNS1_11target_archE1201ELNS1_3gpuE5ELNS1_3repE0EEENS1_36merge_oddeven_config_static_selectorELNS0_4arch9wavefront6targetE1EEEvSL_
	.globl	_ZN7rocprim17ROCPRIM_400000_NS6detail17trampoline_kernelINS0_14default_configENS1_38merge_sort_block_merge_config_selectorItNS0_10empty_typeEEEZZNS1_27merge_sort_block_merge_implIS3_N6thrust23THRUST_200600_302600_NS6detail15normal_iteratorINS9_10device_ptrItEEEEPS5_jNS1_19radix_merge_compareILb0ELb1EtNS0_19identity_decomposerEEEEE10hipError_tT0_T1_T2_jT3_P12ihipStream_tbPNSt15iterator_traitsISK_E10value_typeEPNSQ_ISL_E10value_typeEPSM_NS1_7vsmem_tEENKUlT_SK_SL_SM_E_clIPtSE_SF_SF_EESJ_SZ_SK_SL_SM_EUlSZ_E1_NS1_11comp_targetILNS1_3genE10ELNS1_11target_archE1201ELNS1_3gpuE5ELNS1_3repE0EEENS1_36merge_oddeven_config_static_selectorELNS0_4arch9wavefront6targetE1EEEvSL_
	.p2align	8
	.type	_ZN7rocprim17ROCPRIM_400000_NS6detail17trampoline_kernelINS0_14default_configENS1_38merge_sort_block_merge_config_selectorItNS0_10empty_typeEEEZZNS1_27merge_sort_block_merge_implIS3_N6thrust23THRUST_200600_302600_NS6detail15normal_iteratorINS9_10device_ptrItEEEEPS5_jNS1_19radix_merge_compareILb0ELb1EtNS0_19identity_decomposerEEEEE10hipError_tT0_T1_T2_jT3_P12ihipStream_tbPNSt15iterator_traitsISK_E10value_typeEPNSQ_ISL_E10value_typeEPSM_NS1_7vsmem_tEENKUlT_SK_SL_SM_E_clIPtSE_SF_SF_EESJ_SZ_SK_SL_SM_EUlSZ_E1_NS1_11comp_targetILNS1_3genE10ELNS1_11target_archE1201ELNS1_3gpuE5ELNS1_3repE0EEENS1_36merge_oddeven_config_static_selectorELNS0_4arch9wavefront6targetE1EEEvSL_,@function
_ZN7rocprim17ROCPRIM_400000_NS6detail17trampoline_kernelINS0_14default_configENS1_38merge_sort_block_merge_config_selectorItNS0_10empty_typeEEEZZNS1_27merge_sort_block_merge_implIS3_N6thrust23THRUST_200600_302600_NS6detail15normal_iteratorINS9_10device_ptrItEEEEPS5_jNS1_19radix_merge_compareILb0ELb1EtNS0_19identity_decomposerEEEEE10hipError_tT0_T1_T2_jT3_P12ihipStream_tbPNSt15iterator_traitsISK_E10value_typeEPNSQ_ISL_E10value_typeEPSM_NS1_7vsmem_tEENKUlT_SK_SL_SM_E_clIPtSE_SF_SF_EESJ_SZ_SK_SL_SM_EUlSZ_E1_NS1_11comp_targetILNS1_3genE10ELNS1_11target_archE1201ELNS1_3gpuE5ELNS1_3repE0EEENS1_36merge_oddeven_config_static_selectorELNS0_4arch9wavefront6targetE1EEEvSL_: ; @_ZN7rocprim17ROCPRIM_400000_NS6detail17trampoline_kernelINS0_14default_configENS1_38merge_sort_block_merge_config_selectorItNS0_10empty_typeEEEZZNS1_27merge_sort_block_merge_implIS3_N6thrust23THRUST_200600_302600_NS6detail15normal_iteratorINS9_10device_ptrItEEEEPS5_jNS1_19radix_merge_compareILb0ELb1EtNS0_19identity_decomposerEEEEE10hipError_tT0_T1_T2_jT3_P12ihipStream_tbPNSt15iterator_traitsISK_E10value_typeEPNSQ_ISL_E10value_typeEPSM_NS1_7vsmem_tEENKUlT_SK_SL_SM_E_clIPtSE_SF_SF_EESJ_SZ_SK_SL_SM_EUlSZ_E1_NS1_11comp_targetILNS1_3genE10ELNS1_11target_archE1201ELNS1_3gpuE5ELNS1_3repE0EEENS1_36merge_oddeven_config_static_selectorELNS0_4arch9wavefront6targetE1EEEvSL_
; %bb.0:
	.section	.rodata,"a",@progbits
	.p2align	6, 0x0
	.amdhsa_kernel _ZN7rocprim17ROCPRIM_400000_NS6detail17trampoline_kernelINS0_14default_configENS1_38merge_sort_block_merge_config_selectorItNS0_10empty_typeEEEZZNS1_27merge_sort_block_merge_implIS3_N6thrust23THRUST_200600_302600_NS6detail15normal_iteratorINS9_10device_ptrItEEEEPS5_jNS1_19radix_merge_compareILb0ELb1EtNS0_19identity_decomposerEEEEE10hipError_tT0_T1_T2_jT3_P12ihipStream_tbPNSt15iterator_traitsISK_E10value_typeEPNSQ_ISL_E10value_typeEPSM_NS1_7vsmem_tEENKUlT_SK_SL_SM_E_clIPtSE_SF_SF_EESJ_SZ_SK_SL_SM_EUlSZ_E1_NS1_11comp_targetILNS1_3genE10ELNS1_11target_archE1201ELNS1_3gpuE5ELNS1_3repE0EEENS1_36merge_oddeven_config_static_selectorELNS0_4arch9wavefront6targetE1EEEvSL_
		.amdhsa_group_segment_fixed_size 0
		.amdhsa_private_segment_fixed_size 0
		.amdhsa_kernarg_size 48
		.amdhsa_user_sgpr_count 6
		.amdhsa_user_sgpr_private_segment_buffer 1
		.amdhsa_user_sgpr_dispatch_ptr 0
		.amdhsa_user_sgpr_queue_ptr 0
		.amdhsa_user_sgpr_kernarg_segment_ptr 1
		.amdhsa_user_sgpr_dispatch_id 0
		.amdhsa_user_sgpr_flat_scratch_init 0
		.amdhsa_user_sgpr_kernarg_preload_length 0
		.amdhsa_user_sgpr_kernarg_preload_offset 0
		.amdhsa_user_sgpr_private_segment_size 0
		.amdhsa_uses_dynamic_stack 0
		.amdhsa_system_sgpr_private_segment_wavefront_offset 0
		.amdhsa_system_sgpr_workgroup_id_x 1
		.amdhsa_system_sgpr_workgroup_id_y 0
		.amdhsa_system_sgpr_workgroup_id_z 0
		.amdhsa_system_sgpr_workgroup_info 0
		.amdhsa_system_vgpr_workitem_id 0
		.amdhsa_next_free_vgpr 1
		.amdhsa_next_free_sgpr 0
		.amdhsa_accum_offset 4
		.amdhsa_reserve_vcc 0
		.amdhsa_reserve_flat_scratch 0
		.amdhsa_float_round_mode_32 0
		.amdhsa_float_round_mode_16_64 0
		.amdhsa_float_denorm_mode_32 3
		.amdhsa_float_denorm_mode_16_64 3
		.amdhsa_dx10_clamp 1
		.amdhsa_ieee_mode 1
		.amdhsa_fp16_overflow 0
		.amdhsa_tg_split 0
		.amdhsa_exception_fp_ieee_invalid_op 0
		.amdhsa_exception_fp_denorm_src 0
		.amdhsa_exception_fp_ieee_div_zero 0
		.amdhsa_exception_fp_ieee_overflow 0
		.amdhsa_exception_fp_ieee_underflow 0
		.amdhsa_exception_fp_ieee_inexact 0
		.amdhsa_exception_int_div_zero 0
	.end_amdhsa_kernel
	.section	.text._ZN7rocprim17ROCPRIM_400000_NS6detail17trampoline_kernelINS0_14default_configENS1_38merge_sort_block_merge_config_selectorItNS0_10empty_typeEEEZZNS1_27merge_sort_block_merge_implIS3_N6thrust23THRUST_200600_302600_NS6detail15normal_iteratorINS9_10device_ptrItEEEEPS5_jNS1_19radix_merge_compareILb0ELb1EtNS0_19identity_decomposerEEEEE10hipError_tT0_T1_T2_jT3_P12ihipStream_tbPNSt15iterator_traitsISK_E10value_typeEPNSQ_ISL_E10value_typeEPSM_NS1_7vsmem_tEENKUlT_SK_SL_SM_E_clIPtSE_SF_SF_EESJ_SZ_SK_SL_SM_EUlSZ_E1_NS1_11comp_targetILNS1_3genE10ELNS1_11target_archE1201ELNS1_3gpuE5ELNS1_3repE0EEENS1_36merge_oddeven_config_static_selectorELNS0_4arch9wavefront6targetE1EEEvSL_,"axG",@progbits,_ZN7rocprim17ROCPRIM_400000_NS6detail17trampoline_kernelINS0_14default_configENS1_38merge_sort_block_merge_config_selectorItNS0_10empty_typeEEEZZNS1_27merge_sort_block_merge_implIS3_N6thrust23THRUST_200600_302600_NS6detail15normal_iteratorINS9_10device_ptrItEEEEPS5_jNS1_19radix_merge_compareILb0ELb1EtNS0_19identity_decomposerEEEEE10hipError_tT0_T1_T2_jT3_P12ihipStream_tbPNSt15iterator_traitsISK_E10value_typeEPNSQ_ISL_E10value_typeEPSM_NS1_7vsmem_tEENKUlT_SK_SL_SM_E_clIPtSE_SF_SF_EESJ_SZ_SK_SL_SM_EUlSZ_E1_NS1_11comp_targetILNS1_3genE10ELNS1_11target_archE1201ELNS1_3gpuE5ELNS1_3repE0EEENS1_36merge_oddeven_config_static_selectorELNS0_4arch9wavefront6targetE1EEEvSL_,comdat
.Lfunc_end1280:
	.size	_ZN7rocprim17ROCPRIM_400000_NS6detail17trampoline_kernelINS0_14default_configENS1_38merge_sort_block_merge_config_selectorItNS0_10empty_typeEEEZZNS1_27merge_sort_block_merge_implIS3_N6thrust23THRUST_200600_302600_NS6detail15normal_iteratorINS9_10device_ptrItEEEEPS5_jNS1_19radix_merge_compareILb0ELb1EtNS0_19identity_decomposerEEEEE10hipError_tT0_T1_T2_jT3_P12ihipStream_tbPNSt15iterator_traitsISK_E10value_typeEPNSQ_ISL_E10value_typeEPSM_NS1_7vsmem_tEENKUlT_SK_SL_SM_E_clIPtSE_SF_SF_EESJ_SZ_SK_SL_SM_EUlSZ_E1_NS1_11comp_targetILNS1_3genE10ELNS1_11target_archE1201ELNS1_3gpuE5ELNS1_3repE0EEENS1_36merge_oddeven_config_static_selectorELNS0_4arch9wavefront6targetE1EEEvSL_, .Lfunc_end1280-_ZN7rocprim17ROCPRIM_400000_NS6detail17trampoline_kernelINS0_14default_configENS1_38merge_sort_block_merge_config_selectorItNS0_10empty_typeEEEZZNS1_27merge_sort_block_merge_implIS3_N6thrust23THRUST_200600_302600_NS6detail15normal_iteratorINS9_10device_ptrItEEEEPS5_jNS1_19radix_merge_compareILb0ELb1EtNS0_19identity_decomposerEEEEE10hipError_tT0_T1_T2_jT3_P12ihipStream_tbPNSt15iterator_traitsISK_E10value_typeEPNSQ_ISL_E10value_typeEPSM_NS1_7vsmem_tEENKUlT_SK_SL_SM_E_clIPtSE_SF_SF_EESJ_SZ_SK_SL_SM_EUlSZ_E1_NS1_11comp_targetILNS1_3genE10ELNS1_11target_archE1201ELNS1_3gpuE5ELNS1_3repE0EEENS1_36merge_oddeven_config_static_selectorELNS0_4arch9wavefront6targetE1EEEvSL_
                                        ; -- End function
	.section	.AMDGPU.csdata,"",@progbits
; Kernel info:
; codeLenInByte = 0
; NumSgprs: 4
; NumVgprs: 0
; NumAgprs: 0
; TotalNumVgprs: 0
; ScratchSize: 0
; MemoryBound: 0
; FloatMode: 240
; IeeeMode: 1
; LDSByteSize: 0 bytes/workgroup (compile time only)
; SGPRBlocks: 0
; VGPRBlocks: 0
; NumSGPRsForWavesPerEU: 4
; NumVGPRsForWavesPerEU: 1
; AccumOffset: 4
; Occupancy: 8
; WaveLimiterHint : 0
; COMPUTE_PGM_RSRC2:SCRATCH_EN: 0
; COMPUTE_PGM_RSRC2:USER_SGPR: 6
; COMPUTE_PGM_RSRC2:TRAP_HANDLER: 0
; COMPUTE_PGM_RSRC2:TGID_X_EN: 1
; COMPUTE_PGM_RSRC2:TGID_Y_EN: 0
; COMPUTE_PGM_RSRC2:TGID_Z_EN: 0
; COMPUTE_PGM_RSRC2:TIDIG_COMP_CNT: 0
; COMPUTE_PGM_RSRC3_GFX90A:ACCUM_OFFSET: 0
; COMPUTE_PGM_RSRC3_GFX90A:TG_SPLIT: 0
	.section	.text._ZN7rocprim17ROCPRIM_400000_NS6detail17trampoline_kernelINS0_14default_configENS1_38merge_sort_block_merge_config_selectorItNS0_10empty_typeEEEZZNS1_27merge_sort_block_merge_implIS3_N6thrust23THRUST_200600_302600_NS6detail15normal_iteratorINS9_10device_ptrItEEEEPS5_jNS1_19radix_merge_compareILb0ELb1EtNS0_19identity_decomposerEEEEE10hipError_tT0_T1_T2_jT3_P12ihipStream_tbPNSt15iterator_traitsISK_E10value_typeEPNSQ_ISL_E10value_typeEPSM_NS1_7vsmem_tEENKUlT_SK_SL_SM_E_clIPtSE_SF_SF_EESJ_SZ_SK_SL_SM_EUlSZ_E1_NS1_11comp_targetILNS1_3genE5ELNS1_11target_archE942ELNS1_3gpuE9ELNS1_3repE0EEENS1_36merge_oddeven_config_static_selectorELNS0_4arch9wavefront6targetE1EEEvSL_,"axG",@progbits,_ZN7rocprim17ROCPRIM_400000_NS6detail17trampoline_kernelINS0_14default_configENS1_38merge_sort_block_merge_config_selectorItNS0_10empty_typeEEEZZNS1_27merge_sort_block_merge_implIS3_N6thrust23THRUST_200600_302600_NS6detail15normal_iteratorINS9_10device_ptrItEEEEPS5_jNS1_19radix_merge_compareILb0ELb1EtNS0_19identity_decomposerEEEEE10hipError_tT0_T1_T2_jT3_P12ihipStream_tbPNSt15iterator_traitsISK_E10value_typeEPNSQ_ISL_E10value_typeEPSM_NS1_7vsmem_tEENKUlT_SK_SL_SM_E_clIPtSE_SF_SF_EESJ_SZ_SK_SL_SM_EUlSZ_E1_NS1_11comp_targetILNS1_3genE5ELNS1_11target_archE942ELNS1_3gpuE9ELNS1_3repE0EEENS1_36merge_oddeven_config_static_selectorELNS0_4arch9wavefront6targetE1EEEvSL_,comdat
	.protected	_ZN7rocprim17ROCPRIM_400000_NS6detail17trampoline_kernelINS0_14default_configENS1_38merge_sort_block_merge_config_selectorItNS0_10empty_typeEEEZZNS1_27merge_sort_block_merge_implIS3_N6thrust23THRUST_200600_302600_NS6detail15normal_iteratorINS9_10device_ptrItEEEEPS5_jNS1_19radix_merge_compareILb0ELb1EtNS0_19identity_decomposerEEEEE10hipError_tT0_T1_T2_jT3_P12ihipStream_tbPNSt15iterator_traitsISK_E10value_typeEPNSQ_ISL_E10value_typeEPSM_NS1_7vsmem_tEENKUlT_SK_SL_SM_E_clIPtSE_SF_SF_EESJ_SZ_SK_SL_SM_EUlSZ_E1_NS1_11comp_targetILNS1_3genE5ELNS1_11target_archE942ELNS1_3gpuE9ELNS1_3repE0EEENS1_36merge_oddeven_config_static_selectorELNS0_4arch9wavefront6targetE1EEEvSL_ ; -- Begin function _ZN7rocprim17ROCPRIM_400000_NS6detail17trampoline_kernelINS0_14default_configENS1_38merge_sort_block_merge_config_selectorItNS0_10empty_typeEEEZZNS1_27merge_sort_block_merge_implIS3_N6thrust23THRUST_200600_302600_NS6detail15normal_iteratorINS9_10device_ptrItEEEEPS5_jNS1_19radix_merge_compareILb0ELb1EtNS0_19identity_decomposerEEEEE10hipError_tT0_T1_T2_jT3_P12ihipStream_tbPNSt15iterator_traitsISK_E10value_typeEPNSQ_ISL_E10value_typeEPSM_NS1_7vsmem_tEENKUlT_SK_SL_SM_E_clIPtSE_SF_SF_EESJ_SZ_SK_SL_SM_EUlSZ_E1_NS1_11comp_targetILNS1_3genE5ELNS1_11target_archE942ELNS1_3gpuE9ELNS1_3repE0EEENS1_36merge_oddeven_config_static_selectorELNS0_4arch9wavefront6targetE1EEEvSL_
	.globl	_ZN7rocprim17ROCPRIM_400000_NS6detail17trampoline_kernelINS0_14default_configENS1_38merge_sort_block_merge_config_selectorItNS0_10empty_typeEEEZZNS1_27merge_sort_block_merge_implIS3_N6thrust23THRUST_200600_302600_NS6detail15normal_iteratorINS9_10device_ptrItEEEEPS5_jNS1_19radix_merge_compareILb0ELb1EtNS0_19identity_decomposerEEEEE10hipError_tT0_T1_T2_jT3_P12ihipStream_tbPNSt15iterator_traitsISK_E10value_typeEPNSQ_ISL_E10value_typeEPSM_NS1_7vsmem_tEENKUlT_SK_SL_SM_E_clIPtSE_SF_SF_EESJ_SZ_SK_SL_SM_EUlSZ_E1_NS1_11comp_targetILNS1_3genE5ELNS1_11target_archE942ELNS1_3gpuE9ELNS1_3repE0EEENS1_36merge_oddeven_config_static_selectorELNS0_4arch9wavefront6targetE1EEEvSL_
	.p2align	8
	.type	_ZN7rocprim17ROCPRIM_400000_NS6detail17trampoline_kernelINS0_14default_configENS1_38merge_sort_block_merge_config_selectorItNS0_10empty_typeEEEZZNS1_27merge_sort_block_merge_implIS3_N6thrust23THRUST_200600_302600_NS6detail15normal_iteratorINS9_10device_ptrItEEEEPS5_jNS1_19radix_merge_compareILb0ELb1EtNS0_19identity_decomposerEEEEE10hipError_tT0_T1_T2_jT3_P12ihipStream_tbPNSt15iterator_traitsISK_E10value_typeEPNSQ_ISL_E10value_typeEPSM_NS1_7vsmem_tEENKUlT_SK_SL_SM_E_clIPtSE_SF_SF_EESJ_SZ_SK_SL_SM_EUlSZ_E1_NS1_11comp_targetILNS1_3genE5ELNS1_11target_archE942ELNS1_3gpuE9ELNS1_3repE0EEENS1_36merge_oddeven_config_static_selectorELNS0_4arch9wavefront6targetE1EEEvSL_,@function
_ZN7rocprim17ROCPRIM_400000_NS6detail17trampoline_kernelINS0_14default_configENS1_38merge_sort_block_merge_config_selectorItNS0_10empty_typeEEEZZNS1_27merge_sort_block_merge_implIS3_N6thrust23THRUST_200600_302600_NS6detail15normal_iteratorINS9_10device_ptrItEEEEPS5_jNS1_19radix_merge_compareILb0ELb1EtNS0_19identity_decomposerEEEEE10hipError_tT0_T1_T2_jT3_P12ihipStream_tbPNSt15iterator_traitsISK_E10value_typeEPNSQ_ISL_E10value_typeEPSM_NS1_7vsmem_tEENKUlT_SK_SL_SM_E_clIPtSE_SF_SF_EESJ_SZ_SK_SL_SM_EUlSZ_E1_NS1_11comp_targetILNS1_3genE5ELNS1_11target_archE942ELNS1_3gpuE9ELNS1_3repE0EEENS1_36merge_oddeven_config_static_selectorELNS0_4arch9wavefront6targetE1EEEvSL_: ; @_ZN7rocprim17ROCPRIM_400000_NS6detail17trampoline_kernelINS0_14default_configENS1_38merge_sort_block_merge_config_selectorItNS0_10empty_typeEEEZZNS1_27merge_sort_block_merge_implIS3_N6thrust23THRUST_200600_302600_NS6detail15normal_iteratorINS9_10device_ptrItEEEEPS5_jNS1_19radix_merge_compareILb0ELb1EtNS0_19identity_decomposerEEEEE10hipError_tT0_T1_T2_jT3_P12ihipStream_tbPNSt15iterator_traitsISK_E10value_typeEPNSQ_ISL_E10value_typeEPSM_NS1_7vsmem_tEENKUlT_SK_SL_SM_E_clIPtSE_SF_SF_EESJ_SZ_SK_SL_SM_EUlSZ_E1_NS1_11comp_targetILNS1_3genE5ELNS1_11target_archE942ELNS1_3gpuE9ELNS1_3repE0EEENS1_36merge_oddeven_config_static_selectorELNS0_4arch9wavefront6targetE1EEEvSL_
; %bb.0:
	.section	.rodata,"a",@progbits
	.p2align	6, 0x0
	.amdhsa_kernel _ZN7rocprim17ROCPRIM_400000_NS6detail17trampoline_kernelINS0_14default_configENS1_38merge_sort_block_merge_config_selectorItNS0_10empty_typeEEEZZNS1_27merge_sort_block_merge_implIS3_N6thrust23THRUST_200600_302600_NS6detail15normal_iteratorINS9_10device_ptrItEEEEPS5_jNS1_19radix_merge_compareILb0ELb1EtNS0_19identity_decomposerEEEEE10hipError_tT0_T1_T2_jT3_P12ihipStream_tbPNSt15iterator_traitsISK_E10value_typeEPNSQ_ISL_E10value_typeEPSM_NS1_7vsmem_tEENKUlT_SK_SL_SM_E_clIPtSE_SF_SF_EESJ_SZ_SK_SL_SM_EUlSZ_E1_NS1_11comp_targetILNS1_3genE5ELNS1_11target_archE942ELNS1_3gpuE9ELNS1_3repE0EEENS1_36merge_oddeven_config_static_selectorELNS0_4arch9wavefront6targetE1EEEvSL_
		.amdhsa_group_segment_fixed_size 0
		.amdhsa_private_segment_fixed_size 0
		.amdhsa_kernarg_size 48
		.amdhsa_user_sgpr_count 6
		.amdhsa_user_sgpr_private_segment_buffer 1
		.amdhsa_user_sgpr_dispatch_ptr 0
		.amdhsa_user_sgpr_queue_ptr 0
		.amdhsa_user_sgpr_kernarg_segment_ptr 1
		.amdhsa_user_sgpr_dispatch_id 0
		.amdhsa_user_sgpr_flat_scratch_init 0
		.amdhsa_user_sgpr_kernarg_preload_length 0
		.amdhsa_user_sgpr_kernarg_preload_offset 0
		.amdhsa_user_sgpr_private_segment_size 0
		.amdhsa_uses_dynamic_stack 0
		.amdhsa_system_sgpr_private_segment_wavefront_offset 0
		.amdhsa_system_sgpr_workgroup_id_x 1
		.amdhsa_system_sgpr_workgroup_id_y 0
		.amdhsa_system_sgpr_workgroup_id_z 0
		.amdhsa_system_sgpr_workgroup_info 0
		.amdhsa_system_vgpr_workitem_id 0
		.amdhsa_next_free_vgpr 1
		.amdhsa_next_free_sgpr 0
		.amdhsa_accum_offset 4
		.amdhsa_reserve_vcc 0
		.amdhsa_reserve_flat_scratch 0
		.amdhsa_float_round_mode_32 0
		.amdhsa_float_round_mode_16_64 0
		.amdhsa_float_denorm_mode_32 3
		.amdhsa_float_denorm_mode_16_64 3
		.amdhsa_dx10_clamp 1
		.amdhsa_ieee_mode 1
		.amdhsa_fp16_overflow 0
		.amdhsa_tg_split 0
		.amdhsa_exception_fp_ieee_invalid_op 0
		.amdhsa_exception_fp_denorm_src 0
		.amdhsa_exception_fp_ieee_div_zero 0
		.amdhsa_exception_fp_ieee_overflow 0
		.amdhsa_exception_fp_ieee_underflow 0
		.amdhsa_exception_fp_ieee_inexact 0
		.amdhsa_exception_int_div_zero 0
	.end_amdhsa_kernel
	.section	.text._ZN7rocprim17ROCPRIM_400000_NS6detail17trampoline_kernelINS0_14default_configENS1_38merge_sort_block_merge_config_selectorItNS0_10empty_typeEEEZZNS1_27merge_sort_block_merge_implIS3_N6thrust23THRUST_200600_302600_NS6detail15normal_iteratorINS9_10device_ptrItEEEEPS5_jNS1_19radix_merge_compareILb0ELb1EtNS0_19identity_decomposerEEEEE10hipError_tT0_T1_T2_jT3_P12ihipStream_tbPNSt15iterator_traitsISK_E10value_typeEPNSQ_ISL_E10value_typeEPSM_NS1_7vsmem_tEENKUlT_SK_SL_SM_E_clIPtSE_SF_SF_EESJ_SZ_SK_SL_SM_EUlSZ_E1_NS1_11comp_targetILNS1_3genE5ELNS1_11target_archE942ELNS1_3gpuE9ELNS1_3repE0EEENS1_36merge_oddeven_config_static_selectorELNS0_4arch9wavefront6targetE1EEEvSL_,"axG",@progbits,_ZN7rocprim17ROCPRIM_400000_NS6detail17trampoline_kernelINS0_14default_configENS1_38merge_sort_block_merge_config_selectorItNS0_10empty_typeEEEZZNS1_27merge_sort_block_merge_implIS3_N6thrust23THRUST_200600_302600_NS6detail15normal_iteratorINS9_10device_ptrItEEEEPS5_jNS1_19radix_merge_compareILb0ELb1EtNS0_19identity_decomposerEEEEE10hipError_tT0_T1_T2_jT3_P12ihipStream_tbPNSt15iterator_traitsISK_E10value_typeEPNSQ_ISL_E10value_typeEPSM_NS1_7vsmem_tEENKUlT_SK_SL_SM_E_clIPtSE_SF_SF_EESJ_SZ_SK_SL_SM_EUlSZ_E1_NS1_11comp_targetILNS1_3genE5ELNS1_11target_archE942ELNS1_3gpuE9ELNS1_3repE0EEENS1_36merge_oddeven_config_static_selectorELNS0_4arch9wavefront6targetE1EEEvSL_,comdat
.Lfunc_end1281:
	.size	_ZN7rocprim17ROCPRIM_400000_NS6detail17trampoline_kernelINS0_14default_configENS1_38merge_sort_block_merge_config_selectorItNS0_10empty_typeEEEZZNS1_27merge_sort_block_merge_implIS3_N6thrust23THRUST_200600_302600_NS6detail15normal_iteratorINS9_10device_ptrItEEEEPS5_jNS1_19radix_merge_compareILb0ELb1EtNS0_19identity_decomposerEEEEE10hipError_tT0_T1_T2_jT3_P12ihipStream_tbPNSt15iterator_traitsISK_E10value_typeEPNSQ_ISL_E10value_typeEPSM_NS1_7vsmem_tEENKUlT_SK_SL_SM_E_clIPtSE_SF_SF_EESJ_SZ_SK_SL_SM_EUlSZ_E1_NS1_11comp_targetILNS1_3genE5ELNS1_11target_archE942ELNS1_3gpuE9ELNS1_3repE0EEENS1_36merge_oddeven_config_static_selectorELNS0_4arch9wavefront6targetE1EEEvSL_, .Lfunc_end1281-_ZN7rocprim17ROCPRIM_400000_NS6detail17trampoline_kernelINS0_14default_configENS1_38merge_sort_block_merge_config_selectorItNS0_10empty_typeEEEZZNS1_27merge_sort_block_merge_implIS3_N6thrust23THRUST_200600_302600_NS6detail15normal_iteratorINS9_10device_ptrItEEEEPS5_jNS1_19radix_merge_compareILb0ELb1EtNS0_19identity_decomposerEEEEE10hipError_tT0_T1_T2_jT3_P12ihipStream_tbPNSt15iterator_traitsISK_E10value_typeEPNSQ_ISL_E10value_typeEPSM_NS1_7vsmem_tEENKUlT_SK_SL_SM_E_clIPtSE_SF_SF_EESJ_SZ_SK_SL_SM_EUlSZ_E1_NS1_11comp_targetILNS1_3genE5ELNS1_11target_archE942ELNS1_3gpuE9ELNS1_3repE0EEENS1_36merge_oddeven_config_static_selectorELNS0_4arch9wavefront6targetE1EEEvSL_
                                        ; -- End function
	.section	.AMDGPU.csdata,"",@progbits
; Kernel info:
; codeLenInByte = 0
; NumSgprs: 4
; NumVgprs: 0
; NumAgprs: 0
; TotalNumVgprs: 0
; ScratchSize: 0
; MemoryBound: 0
; FloatMode: 240
; IeeeMode: 1
; LDSByteSize: 0 bytes/workgroup (compile time only)
; SGPRBlocks: 0
; VGPRBlocks: 0
; NumSGPRsForWavesPerEU: 4
; NumVGPRsForWavesPerEU: 1
; AccumOffset: 4
; Occupancy: 8
; WaveLimiterHint : 0
; COMPUTE_PGM_RSRC2:SCRATCH_EN: 0
; COMPUTE_PGM_RSRC2:USER_SGPR: 6
; COMPUTE_PGM_RSRC2:TRAP_HANDLER: 0
; COMPUTE_PGM_RSRC2:TGID_X_EN: 1
; COMPUTE_PGM_RSRC2:TGID_Y_EN: 0
; COMPUTE_PGM_RSRC2:TGID_Z_EN: 0
; COMPUTE_PGM_RSRC2:TIDIG_COMP_CNT: 0
; COMPUTE_PGM_RSRC3_GFX90A:ACCUM_OFFSET: 0
; COMPUTE_PGM_RSRC3_GFX90A:TG_SPLIT: 0
	.section	.text._ZN7rocprim17ROCPRIM_400000_NS6detail17trampoline_kernelINS0_14default_configENS1_38merge_sort_block_merge_config_selectorItNS0_10empty_typeEEEZZNS1_27merge_sort_block_merge_implIS3_N6thrust23THRUST_200600_302600_NS6detail15normal_iteratorINS9_10device_ptrItEEEEPS5_jNS1_19radix_merge_compareILb0ELb1EtNS0_19identity_decomposerEEEEE10hipError_tT0_T1_T2_jT3_P12ihipStream_tbPNSt15iterator_traitsISK_E10value_typeEPNSQ_ISL_E10value_typeEPSM_NS1_7vsmem_tEENKUlT_SK_SL_SM_E_clIPtSE_SF_SF_EESJ_SZ_SK_SL_SM_EUlSZ_E1_NS1_11comp_targetILNS1_3genE4ELNS1_11target_archE910ELNS1_3gpuE8ELNS1_3repE0EEENS1_36merge_oddeven_config_static_selectorELNS0_4arch9wavefront6targetE1EEEvSL_,"axG",@progbits,_ZN7rocprim17ROCPRIM_400000_NS6detail17trampoline_kernelINS0_14default_configENS1_38merge_sort_block_merge_config_selectorItNS0_10empty_typeEEEZZNS1_27merge_sort_block_merge_implIS3_N6thrust23THRUST_200600_302600_NS6detail15normal_iteratorINS9_10device_ptrItEEEEPS5_jNS1_19radix_merge_compareILb0ELb1EtNS0_19identity_decomposerEEEEE10hipError_tT0_T1_T2_jT3_P12ihipStream_tbPNSt15iterator_traitsISK_E10value_typeEPNSQ_ISL_E10value_typeEPSM_NS1_7vsmem_tEENKUlT_SK_SL_SM_E_clIPtSE_SF_SF_EESJ_SZ_SK_SL_SM_EUlSZ_E1_NS1_11comp_targetILNS1_3genE4ELNS1_11target_archE910ELNS1_3gpuE8ELNS1_3repE0EEENS1_36merge_oddeven_config_static_selectorELNS0_4arch9wavefront6targetE1EEEvSL_,comdat
	.protected	_ZN7rocprim17ROCPRIM_400000_NS6detail17trampoline_kernelINS0_14default_configENS1_38merge_sort_block_merge_config_selectorItNS0_10empty_typeEEEZZNS1_27merge_sort_block_merge_implIS3_N6thrust23THRUST_200600_302600_NS6detail15normal_iteratorINS9_10device_ptrItEEEEPS5_jNS1_19radix_merge_compareILb0ELb1EtNS0_19identity_decomposerEEEEE10hipError_tT0_T1_T2_jT3_P12ihipStream_tbPNSt15iterator_traitsISK_E10value_typeEPNSQ_ISL_E10value_typeEPSM_NS1_7vsmem_tEENKUlT_SK_SL_SM_E_clIPtSE_SF_SF_EESJ_SZ_SK_SL_SM_EUlSZ_E1_NS1_11comp_targetILNS1_3genE4ELNS1_11target_archE910ELNS1_3gpuE8ELNS1_3repE0EEENS1_36merge_oddeven_config_static_selectorELNS0_4arch9wavefront6targetE1EEEvSL_ ; -- Begin function _ZN7rocprim17ROCPRIM_400000_NS6detail17trampoline_kernelINS0_14default_configENS1_38merge_sort_block_merge_config_selectorItNS0_10empty_typeEEEZZNS1_27merge_sort_block_merge_implIS3_N6thrust23THRUST_200600_302600_NS6detail15normal_iteratorINS9_10device_ptrItEEEEPS5_jNS1_19radix_merge_compareILb0ELb1EtNS0_19identity_decomposerEEEEE10hipError_tT0_T1_T2_jT3_P12ihipStream_tbPNSt15iterator_traitsISK_E10value_typeEPNSQ_ISL_E10value_typeEPSM_NS1_7vsmem_tEENKUlT_SK_SL_SM_E_clIPtSE_SF_SF_EESJ_SZ_SK_SL_SM_EUlSZ_E1_NS1_11comp_targetILNS1_3genE4ELNS1_11target_archE910ELNS1_3gpuE8ELNS1_3repE0EEENS1_36merge_oddeven_config_static_selectorELNS0_4arch9wavefront6targetE1EEEvSL_
	.globl	_ZN7rocprim17ROCPRIM_400000_NS6detail17trampoline_kernelINS0_14default_configENS1_38merge_sort_block_merge_config_selectorItNS0_10empty_typeEEEZZNS1_27merge_sort_block_merge_implIS3_N6thrust23THRUST_200600_302600_NS6detail15normal_iteratorINS9_10device_ptrItEEEEPS5_jNS1_19radix_merge_compareILb0ELb1EtNS0_19identity_decomposerEEEEE10hipError_tT0_T1_T2_jT3_P12ihipStream_tbPNSt15iterator_traitsISK_E10value_typeEPNSQ_ISL_E10value_typeEPSM_NS1_7vsmem_tEENKUlT_SK_SL_SM_E_clIPtSE_SF_SF_EESJ_SZ_SK_SL_SM_EUlSZ_E1_NS1_11comp_targetILNS1_3genE4ELNS1_11target_archE910ELNS1_3gpuE8ELNS1_3repE0EEENS1_36merge_oddeven_config_static_selectorELNS0_4arch9wavefront6targetE1EEEvSL_
	.p2align	8
	.type	_ZN7rocprim17ROCPRIM_400000_NS6detail17trampoline_kernelINS0_14default_configENS1_38merge_sort_block_merge_config_selectorItNS0_10empty_typeEEEZZNS1_27merge_sort_block_merge_implIS3_N6thrust23THRUST_200600_302600_NS6detail15normal_iteratorINS9_10device_ptrItEEEEPS5_jNS1_19radix_merge_compareILb0ELb1EtNS0_19identity_decomposerEEEEE10hipError_tT0_T1_T2_jT3_P12ihipStream_tbPNSt15iterator_traitsISK_E10value_typeEPNSQ_ISL_E10value_typeEPSM_NS1_7vsmem_tEENKUlT_SK_SL_SM_E_clIPtSE_SF_SF_EESJ_SZ_SK_SL_SM_EUlSZ_E1_NS1_11comp_targetILNS1_3genE4ELNS1_11target_archE910ELNS1_3gpuE8ELNS1_3repE0EEENS1_36merge_oddeven_config_static_selectorELNS0_4arch9wavefront6targetE1EEEvSL_,@function
_ZN7rocprim17ROCPRIM_400000_NS6detail17trampoline_kernelINS0_14default_configENS1_38merge_sort_block_merge_config_selectorItNS0_10empty_typeEEEZZNS1_27merge_sort_block_merge_implIS3_N6thrust23THRUST_200600_302600_NS6detail15normal_iteratorINS9_10device_ptrItEEEEPS5_jNS1_19radix_merge_compareILb0ELb1EtNS0_19identity_decomposerEEEEE10hipError_tT0_T1_T2_jT3_P12ihipStream_tbPNSt15iterator_traitsISK_E10value_typeEPNSQ_ISL_E10value_typeEPSM_NS1_7vsmem_tEENKUlT_SK_SL_SM_E_clIPtSE_SF_SF_EESJ_SZ_SK_SL_SM_EUlSZ_E1_NS1_11comp_targetILNS1_3genE4ELNS1_11target_archE910ELNS1_3gpuE8ELNS1_3repE0EEENS1_36merge_oddeven_config_static_selectorELNS0_4arch9wavefront6targetE1EEEvSL_: ; @_ZN7rocprim17ROCPRIM_400000_NS6detail17trampoline_kernelINS0_14default_configENS1_38merge_sort_block_merge_config_selectorItNS0_10empty_typeEEEZZNS1_27merge_sort_block_merge_implIS3_N6thrust23THRUST_200600_302600_NS6detail15normal_iteratorINS9_10device_ptrItEEEEPS5_jNS1_19radix_merge_compareILb0ELb1EtNS0_19identity_decomposerEEEEE10hipError_tT0_T1_T2_jT3_P12ihipStream_tbPNSt15iterator_traitsISK_E10value_typeEPNSQ_ISL_E10value_typeEPSM_NS1_7vsmem_tEENKUlT_SK_SL_SM_E_clIPtSE_SF_SF_EESJ_SZ_SK_SL_SM_EUlSZ_E1_NS1_11comp_targetILNS1_3genE4ELNS1_11target_archE910ELNS1_3gpuE8ELNS1_3repE0EEENS1_36merge_oddeven_config_static_selectorELNS0_4arch9wavefront6targetE1EEEvSL_
; %bb.0:
	s_load_dword s18, s[4:5], 0x20
	s_waitcnt lgkmcnt(0)
	s_lshr_b32 s0, s18, 8
	s_cmp_lg_u32 s6, s0
	s_cselect_b64 s[14:15], -1, 0
	s_cmp_eq_u32 s6, s0
	s_cselect_b64 s[12:13], -1, 0
	s_lshl_b32 s16, s6, 8
	s_sub_i32 s0, s18, s16
	v_cmp_gt_u32_e64 s[2:3], s0, v0
	s_or_b64 s[0:1], s[14:15], s[2:3]
	s_and_saveexec_b64 s[8:9], s[0:1]
	s_cbranch_execz .LBB1282_20
; %bb.1:
	s_load_dwordx4 s[8:11], s[4:5], 0x0
	s_load_dword s19, s[4:5], 0x24
	s_mov_b32 s17, 0
	s_lshl_b64 s[0:1], s[16:17], 1
	v_lshlrev_b32_e32 v1, 1, v0
	s_waitcnt lgkmcnt(0)
	s_add_u32 s0, s8, s0
	s_addc_u32 s1, s9, s1
	global_load_ushort v2, v1, s[0:1]
	s_lshr_b32 s0, s19, 8
	s_sub_i32 s1, 0, s0
	s_and_b32 s1, s6, s1
	s_and_b32 s0, s1, s0
	s_lshl_b32 s20, s1, 8
	s_sub_i32 s17, 0, s19
	s_cmp_eq_u32 s0, 0
	s_cselect_b64 s[0:1], -1, 0
	s_and_b64 s[6:7], s[0:1], exec
	s_cselect_b32 s17, s19, s17
	s_add_i32 s17, s17, s20
	s_cmp_lt_u32 s17, s18
	v_add_u32_e32 v0, s16, v0
	s_cbranch_scc1 .LBB1282_3
; %bb.2:
	v_cmp_gt_u32_e32 vcc, s18, v0
	s_or_b64 s[6:7], vcc, s[14:15]
	s_and_b64 s[6:7], s[6:7], exec
	s_cbranch_execz .LBB1282_4
	s_branch .LBB1282_18
.LBB1282_3:
	s_mov_b64 s[6:7], 0
.LBB1282_4:
	s_load_dword s14, s[4:5], 0x28
	s_min_u32 s15, s17, s18
	s_add_i32 s4, s15, s19
	s_min_u32 s16, s4, s18
	s_min_u32 s4, s20, s15
	s_add_i32 s20, s20, s15
	v_subrev_u32_e32 v0, s20, v0
	v_add_u32_e32 v1, s4, v0
	s_and_b64 vcc, exec, s[12:13]
	s_cbranch_vccz .LBB1282_12
; %bb.5:
                                        ; implicit-def: $vgpr0
	s_and_saveexec_b64 s[4:5], s[2:3]
	s_cbranch_execz .LBB1282_11
; %bb.6:
	s_cmp_ge_u32 s17, s16
	v_mov_b32_e32 v0, s15
	s_cbranch_scc1 .LBB1282_10
; %bb.7:
	s_waitcnt vmcnt(0) lgkmcnt(0)
	v_and_b32_e32 v3, s14, v2
	s_mov_b64 s[2:3], 0
	v_mov_b32_e32 v4, s16
	v_mov_b32_e32 v0, s15
.LBB1282_8:                             ; =>This Inner Loop Header: Depth=1
	v_add_u32_e32 v5, v0, v4
	v_and_b32_e32 v6, -2, v5
	global_load_ushort v6, v6, s[8:9]
	v_lshrrev_b32_e32 v5, 1, v5
	v_add_u32_e32 v7, 1, v5
	s_waitcnt vmcnt(0)
	v_and_b32_e32 v6, s14, v6
	v_cmp_gt_u16_e32 vcc, v3, v6
	v_cndmask_b32_e64 v8, 0, 1, vcc
	v_cmp_le_u16_e32 vcc, v6, v3
	v_cndmask_b32_e64 v6, 0, 1, vcc
	v_cndmask_b32_e64 v6, v6, v8, s[0:1]
	v_and_b32_e32 v6, 1, v6
	v_cmp_eq_u32_e32 vcc, 1, v6
	v_cndmask_b32_e32 v4, v5, v4, vcc
	v_cndmask_b32_e32 v0, v0, v7, vcc
	v_cmp_ge_u32_e32 vcc, v0, v4
	s_or_b64 s[2:3], vcc, s[2:3]
	s_andn2_b64 exec, exec, s[2:3]
	s_cbranch_execnz .LBB1282_8
; %bb.9:
	s_or_b64 exec, exec, s[2:3]
.LBB1282_10:
	v_add_u32_e32 v0, v0, v1
	s_or_b64 s[6:7], s[6:7], exec
.LBB1282_11:
	s_or_b64 exec, exec, s[4:5]
	s_branch .LBB1282_18
.LBB1282_12:
                                        ; implicit-def: $vgpr0
	s_cbranch_execz .LBB1282_18
; %bb.13:
	s_cmp_ge_u32 s17, s16
	v_mov_b32_e32 v0, s15
	s_cbranch_scc1 .LBB1282_17
; %bb.14:
	s_waitcnt vmcnt(0) lgkmcnt(0)
	v_and_b32_e32 v3, s14, v2
	s_mov_b64 s[2:3], 0
	v_mov_b32_e32 v4, s16
	v_mov_b32_e32 v0, s15
.LBB1282_15:                            ; =>This Inner Loop Header: Depth=1
	v_add_u32_e32 v5, v0, v4
	v_and_b32_e32 v6, -2, v5
	global_load_ushort v6, v6, s[8:9]
	v_lshrrev_b32_e32 v5, 1, v5
	v_add_u32_e32 v7, 1, v5
	s_waitcnt vmcnt(0)
	v_and_b32_e32 v6, s14, v6
	v_cmp_gt_u16_e32 vcc, v3, v6
	v_cndmask_b32_e64 v8, 0, 1, vcc
	v_cmp_le_u16_e32 vcc, v6, v3
	v_cndmask_b32_e64 v6, 0, 1, vcc
	v_cndmask_b32_e64 v6, v6, v8, s[0:1]
	v_and_b32_e32 v6, 1, v6
	v_cmp_eq_u32_e32 vcc, 1, v6
	v_cndmask_b32_e32 v4, v5, v4, vcc
	v_cndmask_b32_e32 v0, v0, v7, vcc
	v_cmp_ge_u32_e32 vcc, v0, v4
	s_or_b64 s[2:3], vcc, s[2:3]
	s_andn2_b64 exec, exec, s[2:3]
	s_cbranch_execnz .LBB1282_15
; %bb.16:
	s_or_b64 exec, exec, s[2:3]
.LBB1282_17:
	v_add_u32_e32 v0, v0, v1
	s_mov_b64 s[6:7], -1
.LBB1282_18:
	s_and_b64 exec, exec, s[6:7]
	s_cbranch_execz .LBB1282_20
; %bb.19:
	v_mov_b32_e32 v1, 0
	v_lshlrev_b64 v[0:1], 1, v[0:1]
	v_mov_b32_e32 v3, s11
	v_add_co_u32_e32 v0, vcc, s10, v0
	v_addc_co_u32_e32 v1, vcc, v3, v1, vcc
	s_waitcnt vmcnt(0)
	global_store_short v[0:1], v2, off
.LBB1282_20:
	s_endpgm
	.section	.rodata,"a",@progbits
	.p2align	6, 0x0
	.amdhsa_kernel _ZN7rocprim17ROCPRIM_400000_NS6detail17trampoline_kernelINS0_14default_configENS1_38merge_sort_block_merge_config_selectorItNS0_10empty_typeEEEZZNS1_27merge_sort_block_merge_implIS3_N6thrust23THRUST_200600_302600_NS6detail15normal_iteratorINS9_10device_ptrItEEEEPS5_jNS1_19radix_merge_compareILb0ELb1EtNS0_19identity_decomposerEEEEE10hipError_tT0_T1_T2_jT3_P12ihipStream_tbPNSt15iterator_traitsISK_E10value_typeEPNSQ_ISL_E10value_typeEPSM_NS1_7vsmem_tEENKUlT_SK_SL_SM_E_clIPtSE_SF_SF_EESJ_SZ_SK_SL_SM_EUlSZ_E1_NS1_11comp_targetILNS1_3genE4ELNS1_11target_archE910ELNS1_3gpuE8ELNS1_3repE0EEENS1_36merge_oddeven_config_static_selectorELNS0_4arch9wavefront6targetE1EEEvSL_
		.amdhsa_group_segment_fixed_size 0
		.amdhsa_private_segment_fixed_size 0
		.amdhsa_kernarg_size 48
		.amdhsa_user_sgpr_count 6
		.amdhsa_user_sgpr_private_segment_buffer 1
		.amdhsa_user_sgpr_dispatch_ptr 0
		.amdhsa_user_sgpr_queue_ptr 0
		.amdhsa_user_sgpr_kernarg_segment_ptr 1
		.amdhsa_user_sgpr_dispatch_id 0
		.amdhsa_user_sgpr_flat_scratch_init 0
		.amdhsa_user_sgpr_kernarg_preload_length 0
		.amdhsa_user_sgpr_kernarg_preload_offset 0
		.amdhsa_user_sgpr_private_segment_size 0
		.amdhsa_uses_dynamic_stack 0
		.amdhsa_system_sgpr_private_segment_wavefront_offset 0
		.amdhsa_system_sgpr_workgroup_id_x 1
		.amdhsa_system_sgpr_workgroup_id_y 0
		.amdhsa_system_sgpr_workgroup_id_z 0
		.amdhsa_system_sgpr_workgroup_info 0
		.amdhsa_system_vgpr_workitem_id 0
		.amdhsa_next_free_vgpr 9
		.amdhsa_next_free_sgpr 21
		.amdhsa_accum_offset 12
		.amdhsa_reserve_vcc 1
		.amdhsa_reserve_flat_scratch 0
		.amdhsa_float_round_mode_32 0
		.amdhsa_float_round_mode_16_64 0
		.amdhsa_float_denorm_mode_32 3
		.amdhsa_float_denorm_mode_16_64 3
		.amdhsa_dx10_clamp 1
		.amdhsa_ieee_mode 1
		.amdhsa_fp16_overflow 0
		.amdhsa_tg_split 0
		.amdhsa_exception_fp_ieee_invalid_op 0
		.amdhsa_exception_fp_denorm_src 0
		.amdhsa_exception_fp_ieee_div_zero 0
		.amdhsa_exception_fp_ieee_overflow 0
		.amdhsa_exception_fp_ieee_underflow 0
		.amdhsa_exception_fp_ieee_inexact 0
		.amdhsa_exception_int_div_zero 0
	.end_amdhsa_kernel
	.section	.text._ZN7rocprim17ROCPRIM_400000_NS6detail17trampoline_kernelINS0_14default_configENS1_38merge_sort_block_merge_config_selectorItNS0_10empty_typeEEEZZNS1_27merge_sort_block_merge_implIS3_N6thrust23THRUST_200600_302600_NS6detail15normal_iteratorINS9_10device_ptrItEEEEPS5_jNS1_19radix_merge_compareILb0ELb1EtNS0_19identity_decomposerEEEEE10hipError_tT0_T1_T2_jT3_P12ihipStream_tbPNSt15iterator_traitsISK_E10value_typeEPNSQ_ISL_E10value_typeEPSM_NS1_7vsmem_tEENKUlT_SK_SL_SM_E_clIPtSE_SF_SF_EESJ_SZ_SK_SL_SM_EUlSZ_E1_NS1_11comp_targetILNS1_3genE4ELNS1_11target_archE910ELNS1_3gpuE8ELNS1_3repE0EEENS1_36merge_oddeven_config_static_selectorELNS0_4arch9wavefront6targetE1EEEvSL_,"axG",@progbits,_ZN7rocprim17ROCPRIM_400000_NS6detail17trampoline_kernelINS0_14default_configENS1_38merge_sort_block_merge_config_selectorItNS0_10empty_typeEEEZZNS1_27merge_sort_block_merge_implIS3_N6thrust23THRUST_200600_302600_NS6detail15normal_iteratorINS9_10device_ptrItEEEEPS5_jNS1_19radix_merge_compareILb0ELb1EtNS0_19identity_decomposerEEEEE10hipError_tT0_T1_T2_jT3_P12ihipStream_tbPNSt15iterator_traitsISK_E10value_typeEPNSQ_ISL_E10value_typeEPSM_NS1_7vsmem_tEENKUlT_SK_SL_SM_E_clIPtSE_SF_SF_EESJ_SZ_SK_SL_SM_EUlSZ_E1_NS1_11comp_targetILNS1_3genE4ELNS1_11target_archE910ELNS1_3gpuE8ELNS1_3repE0EEENS1_36merge_oddeven_config_static_selectorELNS0_4arch9wavefront6targetE1EEEvSL_,comdat
.Lfunc_end1282:
	.size	_ZN7rocprim17ROCPRIM_400000_NS6detail17trampoline_kernelINS0_14default_configENS1_38merge_sort_block_merge_config_selectorItNS0_10empty_typeEEEZZNS1_27merge_sort_block_merge_implIS3_N6thrust23THRUST_200600_302600_NS6detail15normal_iteratorINS9_10device_ptrItEEEEPS5_jNS1_19radix_merge_compareILb0ELb1EtNS0_19identity_decomposerEEEEE10hipError_tT0_T1_T2_jT3_P12ihipStream_tbPNSt15iterator_traitsISK_E10value_typeEPNSQ_ISL_E10value_typeEPSM_NS1_7vsmem_tEENKUlT_SK_SL_SM_E_clIPtSE_SF_SF_EESJ_SZ_SK_SL_SM_EUlSZ_E1_NS1_11comp_targetILNS1_3genE4ELNS1_11target_archE910ELNS1_3gpuE8ELNS1_3repE0EEENS1_36merge_oddeven_config_static_selectorELNS0_4arch9wavefront6targetE1EEEvSL_, .Lfunc_end1282-_ZN7rocprim17ROCPRIM_400000_NS6detail17trampoline_kernelINS0_14default_configENS1_38merge_sort_block_merge_config_selectorItNS0_10empty_typeEEEZZNS1_27merge_sort_block_merge_implIS3_N6thrust23THRUST_200600_302600_NS6detail15normal_iteratorINS9_10device_ptrItEEEEPS5_jNS1_19radix_merge_compareILb0ELb1EtNS0_19identity_decomposerEEEEE10hipError_tT0_T1_T2_jT3_P12ihipStream_tbPNSt15iterator_traitsISK_E10value_typeEPNSQ_ISL_E10value_typeEPSM_NS1_7vsmem_tEENKUlT_SK_SL_SM_E_clIPtSE_SF_SF_EESJ_SZ_SK_SL_SM_EUlSZ_E1_NS1_11comp_targetILNS1_3genE4ELNS1_11target_archE910ELNS1_3gpuE8ELNS1_3repE0EEENS1_36merge_oddeven_config_static_selectorELNS0_4arch9wavefront6targetE1EEEvSL_
                                        ; -- End function
	.section	.AMDGPU.csdata,"",@progbits
; Kernel info:
; codeLenInByte = 580
; NumSgprs: 25
; NumVgprs: 9
; NumAgprs: 0
; TotalNumVgprs: 9
; ScratchSize: 0
; MemoryBound: 0
; FloatMode: 240
; IeeeMode: 1
; LDSByteSize: 0 bytes/workgroup (compile time only)
; SGPRBlocks: 3
; VGPRBlocks: 1
; NumSGPRsForWavesPerEU: 25
; NumVGPRsForWavesPerEU: 9
; AccumOffset: 12
; Occupancy: 8
; WaveLimiterHint : 0
; COMPUTE_PGM_RSRC2:SCRATCH_EN: 0
; COMPUTE_PGM_RSRC2:USER_SGPR: 6
; COMPUTE_PGM_RSRC2:TRAP_HANDLER: 0
; COMPUTE_PGM_RSRC2:TGID_X_EN: 1
; COMPUTE_PGM_RSRC2:TGID_Y_EN: 0
; COMPUTE_PGM_RSRC2:TGID_Z_EN: 0
; COMPUTE_PGM_RSRC2:TIDIG_COMP_CNT: 0
; COMPUTE_PGM_RSRC3_GFX90A:ACCUM_OFFSET: 2
; COMPUTE_PGM_RSRC3_GFX90A:TG_SPLIT: 0
	.section	.text._ZN7rocprim17ROCPRIM_400000_NS6detail17trampoline_kernelINS0_14default_configENS1_38merge_sort_block_merge_config_selectorItNS0_10empty_typeEEEZZNS1_27merge_sort_block_merge_implIS3_N6thrust23THRUST_200600_302600_NS6detail15normal_iteratorINS9_10device_ptrItEEEEPS5_jNS1_19radix_merge_compareILb0ELb1EtNS0_19identity_decomposerEEEEE10hipError_tT0_T1_T2_jT3_P12ihipStream_tbPNSt15iterator_traitsISK_E10value_typeEPNSQ_ISL_E10value_typeEPSM_NS1_7vsmem_tEENKUlT_SK_SL_SM_E_clIPtSE_SF_SF_EESJ_SZ_SK_SL_SM_EUlSZ_E1_NS1_11comp_targetILNS1_3genE3ELNS1_11target_archE908ELNS1_3gpuE7ELNS1_3repE0EEENS1_36merge_oddeven_config_static_selectorELNS0_4arch9wavefront6targetE1EEEvSL_,"axG",@progbits,_ZN7rocprim17ROCPRIM_400000_NS6detail17trampoline_kernelINS0_14default_configENS1_38merge_sort_block_merge_config_selectorItNS0_10empty_typeEEEZZNS1_27merge_sort_block_merge_implIS3_N6thrust23THRUST_200600_302600_NS6detail15normal_iteratorINS9_10device_ptrItEEEEPS5_jNS1_19radix_merge_compareILb0ELb1EtNS0_19identity_decomposerEEEEE10hipError_tT0_T1_T2_jT3_P12ihipStream_tbPNSt15iterator_traitsISK_E10value_typeEPNSQ_ISL_E10value_typeEPSM_NS1_7vsmem_tEENKUlT_SK_SL_SM_E_clIPtSE_SF_SF_EESJ_SZ_SK_SL_SM_EUlSZ_E1_NS1_11comp_targetILNS1_3genE3ELNS1_11target_archE908ELNS1_3gpuE7ELNS1_3repE0EEENS1_36merge_oddeven_config_static_selectorELNS0_4arch9wavefront6targetE1EEEvSL_,comdat
	.protected	_ZN7rocprim17ROCPRIM_400000_NS6detail17trampoline_kernelINS0_14default_configENS1_38merge_sort_block_merge_config_selectorItNS0_10empty_typeEEEZZNS1_27merge_sort_block_merge_implIS3_N6thrust23THRUST_200600_302600_NS6detail15normal_iteratorINS9_10device_ptrItEEEEPS5_jNS1_19radix_merge_compareILb0ELb1EtNS0_19identity_decomposerEEEEE10hipError_tT0_T1_T2_jT3_P12ihipStream_tbPNSt15iterator_traitsISK_E10value_typeEPNSQ_ISL_E10value_typeEPSM_NS1_7vsmem_tEENKUlT_SK_SL_SM_E_clIPtSE_SF_SF_EESJ_SZ_SK_SL_SM_EUlSZ_E1_NS1_11comp_targetILNS1_3genE3ELNS1_11target_archE908ELNS1_3gpuE7ELNS1_3repE0EEENS1_36merge_oddeven_config_static_selectorELNS0_4arch9wavefront6targetE1EEEvSL_ ; -- Begin function _ZN7rocprim17ROCPRIM_400000_NS6detail17trampoline_kernelINS0_14default_configENS1_38merge_sort_block_merge_config_selectorItNS0_10empty_typeEEEZZNS1_27merge_sort_block_merge_implIS3_N6thrust23THRUST_200600_302600_NS6detail15normal_iteratorINS9_10device_ptrItEEEEPS5_jNS1_19radix_merge_compareILb0ELb1EtNS0_19identity_decomposerEEEEE10hipError_tT0_T1_T2_jT3_P12ihipStream_tbPNSt15iterator_traitsISK_E10value_typeEPNSQ_ISL_E10value_typeEPSM_NS1_7vsmem_tEENKUlT_SK_SL_SM_E_clIPtSE_SF_SF_EESJ_SZ_SK_SL_SM_EUlSZ_E1_NS1_11comp_targetILNS1_3genE3ELNS1_11target_archE908ELNS1_3gpuE7ELNS1_3repE0EEENS1_36merge_oddeven_config_static_selectorELNS0_4arch9wavefront6targetE1EEEvSL_
	.globl	_ZN7rocprim17ROCPRIM_400000_NS6detail17trampoline_kernelINS0_14default_configENS1_38merge_sort_block_merge_config_selectorItNS0_10empty_typeEEEZZNS1_27merge_sort_block_merge_implIS3_N6thrust23THRUST_200600_302600_NS6detail15normal_iteratorINS9_10device_ptrItEEEEPS5_jNS1_19radix_merge_compareILb0ELb1EtNS0_19identity_decomposerEEEEE10hipError_tT0_T1_T2_jT3_P12ihipStream_tbPNSt15iterator_traitsISK_E10value_typeEPNSQ_ISL_E10value_typeEPSM_NS1_7vsmem_tEENKUlT_SK_SL_SM_E_clIPtSE_SF_SF_EESJ_SZ_SK_SL_SM_EUlSZ_E1_NS1_11comp_targetILNS1_3genE3ELNS1_11target_archE908ELNS1_3gpuE7ELNS1_3repE0EEENS1_36merge_oddeven_config_static_selectorELNS0_4arch9wavefront6targetE1EEEvSL_
	.p2align	8
	.type	_ZN7rocprim17ROCPRIM_400000_NS6detail17trampoline_kernelINS0_14default_configENS1_38merge_sort_block_merge_config_selectorItNS0_10empty_typeEEEZZNS1_27merge_sort_block_merge_implIS3_N6thrust23THRUST_200600_302600_NS6detail15normal_iteratorINS9_10device_ptrItEEEEPS5_jNS1_19radix_merge_compareILb0ELb1EtNS0_19identity_decomposerEEEEE10hipError_tT0_T1_T2_jT3_P12ihipStream_tbPNSt15iterator_traitsISK_E10value_typeEPNSQ_ISL_E10value_typeEPSM_NS1_7vsmem_tEENKUlT_SK_SL_SM_E_clIPtSE_SF_SF_EESJ_SZ_SK_SL_SM_EUlSZ_E1_NS1_11comp_targetILNS1_3genE3ELNS1_11target_archE908ELNS1_3gpuE7ELNS1_3repE0EEENS1_36merge_oddeven_config_static_selectorELNS0_4arch9wavefront6targetE1EEEvSL_,@function
_ZN7rocprim17ROCPRIM_400000_NS6detail17trampoline_kernelINS0_14default_configENS1_38merge_sort_block_merge_config_selectorItNS0_10empty_typeEEEZZNS1_27merge_sort_block_merge_implIS3_N6thrust23THRUST_200600_302600_NS6detail15normal_iteratorINS9_10device_ptrItEEEEPS5_jNS1_19radix_merge_compareILb0ELb1EtNS0_19identity_decomposerEEEEE10hipError_tT0_T1_T2_jT3_P12ihipStream_tbPNSt15iterator_traitsISK_E10value_typeEPNSQ_ISL_E10value_typeEPSM_NS1_7vsmem_tEENKUlT_SK_SL_SM_E_clIPtSE_SF_SF_EESJ_SZ_SK_SL_SM_EUlSZ_E1_NS1_11comp_targetILNS1_3genE3ELNS1_11target_archE908ELNS1_3gpuE7ELNS1_3repE0EEENS1_36merge_oddeven_config_static_selectorELNS0_4arch9wavefront6targetE1EEEvSL_: ; @_ZN7rocprim17ROCPRIM_400000_NS6detail17trampoline_kernelINS0_14default_configENS1_38merge_sort_block_merge_config_selectorItNS0_10empty_typeEEEZZNS1_27merge_sort_block_merge_implIS3_N6thrust23THRUST_200600_302600_NS6detail15normal_iteratorINS9_10device_ptrItEEEEPS5_jNS1_19radix_merge_compareILb0ELb1EtNS0_19identity_decomposerEEEEE10hipError_tT0_T1_T2_jT3_P12ihipStream_tbPNSt15iterator_traitsISK_E10value_typeEPNSQ_ISL_E10value_typeEPSM_NS1_7vsmem_tEENKUlT_SK_SL_SM_E_clIPtSE_SF_SF_EESJ_SZ_SK_SL_SM_EUlSZ_E1_NS1_11comp_targetILNS1_3genE3ELNS1_11target_archE908ELNS1_3gpuE7ELNS1_3repE0EEENS1_36merge_oddeven_config_static_selectorELNS0_4arch9wavefront6targetE1EEEvSL_
; %bb.0:
	.section	.rodata,"a",@progbits
	.p2align	6, 0x0
	.amdhsa_kernel _ZN7rocprim17ROCPRIM_400000_NS6detail17trampoline_kernelINS0_14default_configENS1_38merge_sort_block_merge_config_selectorItNS0_10empty_typeEEEZZNS1_27merge_sort_block_merge_implIS3_N6thrust23THRUST_200600_302600_NS6detail15normal_iteratorINS9_10device_ptrItEEEEPS5_jNS1_19radix_merge_compareILb0ELb1EtNS0_19identity_decomposerEEEEE10hipError_tT0_T1_T2_jT3_P12ihipStream_tbPNSt15iterator_traitsISK_E10value_typeEPNSQ_ISL_E10value_typeEPSM_NS1_7vsmem_tEENKUlT_SK_SL_SM_E_clIPtSE_SF_SF_EESJ_SZ_SK_SL_SM_EUlSZ_E1_NS1_11comp_targetILNS1_3genE3ELNS1_11target_archE908ELNS1_3gpuE7ELNS1_3repE0EEENS1_36merge_oddeven_config_static_selectorELNS0_4arch9wavefront6targetE1EEEvSL_
		.amdhsa_group_segment_fixed_size 0
		.amdhsa_private_segment_fixed_size 0
		.amdhsa_kernarg_size 48
		.amdhsa_user_sgpr_count 6
		.amdhsa_user_sgpr_private_segment_buffer 1
		.amdhsa_user_sgpr_dispatch_ptr 0
		.amdhsa_user_sgpr_queue_ptr 0
		.amdhsa_user_sgpr_kernarg_segment_ptr 1
		.amdhsa_user_sgpr_dispatch_id 0
		.amdhsa_user_sgpr_flat_scratch_init 0
		.amdhsa_user_sgpr_kernarg_preload_length 0
		.amdhsa_user_sgpr_kernarg_preload_offset 0
		.amdhsa_user_sgpr_private_segment_size 0
		.amdhsa_uses_dynamic_stack 0
		.amdhsa_system_sgpr_private_segment_wavefront_offset 0
		.amdhsa_system_sgpr_workgroup_id_x 1
		.amdhsa_system_sgpr_workgroup_id_y 0
		.amdhsa_system_sgpr_workgroup_id_z 0
		.amdhsa_system_sgpr_workgroup_info 0
		.amdhsa_system_vgpr_workitem_id 0
		.amdhsa_next_free_vgpr 1
		.amdhsa_next_free_sgpr 0
		.amdhsa_accum_offset 4
		.amdhsa_reserve_vcc 0
		.amdhsa_reserve_flat_scratch 0
		.amdhsa_float_round_mode_32 0
		.amdhsa_float_round_mode_16_64 0
		.amdhsa_float_denorm_mode_32 3
		.amdhsa_float_denorm_mode_16_64 3
		.amdhsa_dx10_clamp 1
		.amdhsa_ieee_mode 1
		.amdhsa_fp16_overflow 0
		.amdhsa_tg_split 0
		.amdhsa_exception_fp_ieee_invalid_op 0
		.amdhsa_exception_fp_denorm_src 0
		.amdhsa_exception_fp_ieee_div_zero 0
		.amdhsa_exception_fp_ieee_overflow 0
		.amdhsa_exception_fp_ieee_underflow 0
		.amdhsa_exception_fp_ieee_inexact 0
		.amdhsa_exception_int_div_zero 0
	.end_amdhsa_kernel
	.section	.text._ZN7rocprim17ROCPRIM_400000_NS6detail17trampoline_kernelINS0_14default_configENS1_38merge_sort_block_merge_config_selectorItNS0_10empty_typeEEEZZNS1_27merge_sort_block_merge_implIS3_N6thrust23THRUST_200600_302600_NS6detail15normal_iteratorINS9_10device_ptrItEEEEPS5_jNS1_19radix_merge_compareILb0ELb1EtNS0_19identity_decomposerEEEEE10hipError_tT0_T1_T2_jT3_P12ihipStream_tbPNSt15iterator_traitsISK_E10value_typeEPNSQ_ISL_E10value_typeEPSM_NS1_7vsmem_tEENKUlT_SK_SL_SM_E_clIPtSE_SF_SF_EESJ_SZ_SK_SL_SM_EUlSZ_E1_NS1_11comp_targetILNS1_3genE3ELNS1_11target_archE908ELNS1_3gpuE7ELNS1_3repE0EEENS1_36merge_oddeven_config_static_selectorELNS0_4arch9wavefront6targetE1EEEvSL_,"axG",@progbits,_ZN7rocprim17ROCPRIM_400000_NS6detail17trampoline_kernelINS0_14default_configENS1_38merge_sort_block_merge_config_selectorItNS0_10empty_typeEEEZZNS1_27merge_sort_block_merge_implIS3_N6thrust23THRUST_200600_302600_NS6detail15normal_iteratorINS9_10device_ptrItEEEEPS5_jNS1_19radix_merge_compareILb0ELb1EtNS0_19identity_decomposerEEEEE10hipError_tT0_T1_T2_jT3_P12ihipStream_tbPNSt15iterator_traitsISK_E10value_typeEPNSQ_ISL_E10value_typeEPSM_NS1_7vsmem_tEENKUlT_SK_SL_SM_E_clIPtSE_SF_SF_EESJ_SZ_SK_SL_SM_EUlSZ_E1_NS1_11comp_targetILNS1_3genE3ELNS1_11target_archE908ELNS1_3gpuE7ELNS1_3repE0EEENS1_36merge_oddeven_config_static_selectorELNS0_4arch9wavefront6targetE1EEEvSL_,comdat
.Lfunc_end1283:
	.size	_ZN7rocprim17ROCPRIM_400000_NS6detail17trampoline_kernelINS0_14default_configENS1_38merge_sort_block_merge_config_selectorItNS0_10empty_typeEEEZZNS1_27merge_sort_block_merge_implIS3_N6thrust23THRUST_200600_302600_NS6detail15normal_iteratorINS9_10device_ptrItEEEEPS5_jNS1_19radix_merge_compareILb0ELb1EtNS0_19identity_decomposerEEEEE10hipError_tT0_T1_T2_jT3_P12ihipStream_tbPNSt15iterator_traitsISK_E10value_typeEPNSQ_ISL_E10value_typeEPSM_NS1_7vsmem_tEENKUlT_SK_SL_SM_E_clIPtSE_SF_SF_EESJ_SZ_SK_SL_SM_EUlSZ_E1_NS1_11comp_targetILNS1_3genE3ELNS1_11target_archE908ELNS1_3gpuE7ELNS1_3repE0EEENS1_36merge_oddeven_config_static_selectorELNS0_4arch9wavefront6targetE1EEEvSL_, .Lfunc_end1283-_ZN7rocprim17ROCPRIM_400000_NS6detail17trampoline_kernelINS0_14default_configENS1_38merge_sort_block_merge_config_selectorItNS0_10empty_typeEEEZZNS1_27merge_sort_block_merge_implIS3_N6thrust23THRUST_200600_302600_NS6detail15normal_iteratorINS9_10device_ptrItEEEEPS5_jNS1_19radix_merge_compareILb0ELb1EtNS0_19identity_decomposerEEEEE10hipError_tT0_T1_T2_jT3_P12ihipStream_tbPNSt15iterator_traitsISK_E10value_typeEPNSQ_ISL_E10value_typeEPSM_NS1_7vsmem_tEENKUlT_SK_SL_SM_E_clIPtSE_SF_SF_EESJ_SZ_SK_SL_SM_EUlSZ_E1_NS1_11comp_targetILNS1_3genE3ELNS1_11target_archE908ELNS1_3gpuE7ELNS1_3repE0EEENS1_36merge_oddeven_config_static_selectorELNS0_4arch9wavefront6targetE1EEEvSL_
                                        ; -- End function
	.section	.AMDGPU.csdata,"",@progbits
; Kernel info:
; codeLenInByte = 0
; NumSgprs: 4
; NumVgprs: 0
; NumAgprs: 0
; TotalNumVgprs: 0
; ScratchSize: 0
; MemoryBound: 0
; FloatMode: 240
; IeeeMode: 1
; LDSByteSize: 0 bytes/workgroup (compile time only)
; SGPRBlocks: 0
; VGPRBlocks: 0
; NumSGPRsForWavesPerEU: 4
; NumVGPRsForWavesPerEU: 1
; AccumOffset: 4
; Occupancy: 8
; WaveLimiterHint : 0
; COMPUTE_PGM_RSRC2:SCRATCH_EN: 0
; COMPUTE_PGM_RSRC2:USER_SGPR: 6
; COMPUTE_PGM_RSRC2:TRAP_HANDLER: 0
; COMPUTE_PGM_RSRC2:TGID_X_EN: 1
; COMPUTE_PGM_RSRC2:TGID_Y_EN: 0
; COMPUTE_PGM_RSRC2:TGID_Z_EN: 0
; COMPUTE_PGM_RSRC2:TIDIG_COMP_CNT: 0
; COMPUTE_PGM_RSRC3_GFX90A:ACCUM_OFFSET: 0
; COMPUTE_PGM_RSRC3_GFX90A:TG_SPLIT: 0
	.section	.text._ZN7rocprim17ROCPRIM_400000_NS6detail17trampoline_kernelINS0_14default_configENS1_38merge_sort_block_merge_config_selectorItNS0_10empty_typeEEEZZNS1_27merge_sort_block_merge_implIS3_N6thrust23THRUST_200600_302600_NS6detail15normal_iteratorINS9_10device_ptrItEEEEPS5_jNS1_19radix_merge_compareILb0ELb1EtNS0_19identity_decomposerEEEEE10hipError_tT0_T1_T2_jT3_P12ihipStream_tbPNSt15iterator_traitsISK_E10value_typeEPNSQ_ISL_E10value_typeEPSM_NS1_7vsmem_tEENKUlT_SK_SL_SM_E_clIPtSE_SF_SF_EESJ_SZ_SK_SL_SM_EUlSZ_E1_NS1_11comp_targetILNS1_3genE2ELNS1_11target_archE906ELNS1_3gpuE6ELNS1_3repE0EEENS1_36merge_oddeven_config_static_selectorELNS0_4arch9wavefront6targetE1EEEvSL_,"axG",@progbits,_ZN7rocprim17ROCPRIM_400000_NS6detail17trampoline_kernelINS0_14default_configENS1_38merge_sort_block_merge_config_selectorItNS0_10empty_typeEEEZZNS1_27merge_sort_block_merge_implIS3_N6thrust23THRUST_200600_302600_NS6detail15normal_iteratorINS9_10device_ptrItEEEEPS5_jNS1_19radix_merge_compareILb0ELb1EtNS0_19identity_decomposerEEEEE10hipError_tT0_T1_T2_jT3_P12ihipStream_tbPNSt15iterator_traitsISK_E10value_typeEPNSQ_ISL_E10value_typeEPSM_NS1_7vsmem_tEENKUlT_SK_SL_SM_E_clIPtSE_SF_SF_EESJ_SZ_SK_SL_SM_EUlSZ_E1_NS1_11comp_targetILNS1_3genE2ELNS1_11target_archE906ELNS1_3gpuE6ELNS1_3repE0EEENS1_36merge_oddeven_config_static_selectorELNS0_4arch9wavefront6targetE1EEEvSL_,comdat
	.protected	_ZN7rocprim17ROCPRIM_400000_NS6detail17trampoline_kernelINS0_14default_configENS1_38merge_sort_block_merge_config_selectorItNS0_10empty_typeEEEZZNS1_27merge_sort_block_merge_implIS3_N6thrust23THRUST_200600_302600_NS6detail15normal_iteratorINS9_10device_ptrItEEEEPS5_jNS1_19radix_merge_compareILb0ELb1EtNS0_19identity_decomposerEEEEE10hipError_tT0_T1_T2_jT3_P12ihipStream_tbPNSt15iterator_traitsISK_E10value_typeEPNSQ_ISL_E10value_typeEPSM_NS1_7vsmem_tEENKUlT_SK_SL_SM_E_clIPtSE_SF_SF_EESJ_SZ_SK_SL_SM_EUlSZ_E1_NS1_11comp_targetILNS1_3genE2ELNS1_11target_archE906ELNS1_3gpuE6ELNS1_3repE0EEENS1_36merge_oddeven_config_static_selectorELNS0_4arch9wavefront6targetE1EEEvSL_ ; -- Begin function _ZN7rocprim17ROCPRIM_400000_NS6detail17trampoline_kernelINS0_14default_configENS1_38merge_sort_block_merge_config_selectorItNS0_10empty_typeEEEZZNS1_27merge_sort_block_merge_implIS3_N6thrust23THRUST_200600_302600_NS6detail15normal_iteratorINS9_10device_ptrItEEEEPS5_jNS1_19radix_merge_compareILb0ELb1EtNS0_19identity_decomposerEEEEE10hipError_tT0_T1_T2_jT3_P12ihipStream_tbPNSt15iterator_traitsISK_E10value_typeEPNSQ_ISL_E10value_typeEPSM_NS1_7vsmem_tEENKUlT_SK_SL_SM_E_clIPtSE_SF_SF_EESJ_SZ_SK_SL_SM_EUlSZ_E1_NS1_11comp_targetILNS1_3genE2ELNS1_11target_archE906ELNS1_3gpuE6ELNS1_3repE0EEENS1_36merge_oddeven_config_static_selectorELNS0_4arch9wavefront6targetE1EEEvSL_
	.globl	_ZN7rocprim17ROCPRIM_400000_NS6detail17trampoline_kernelINS0_14default_configENS1_38merge_sort_block_merge_config_selectorItNS0_10empty_typeEEEZZNS1_27merge_sort_block_merge_implIS3_N6thrust23THRUST_200600_302600_NS6detail15normal_iteratorINS9_10device_ptrItEEEEPS5_jNS1_19radix_merge_compareILb0ELb1EtNS0_19identity_decomposerEEEEE10hipError_tT0_T1_T2_jT3_P12ihipStream_tbPNSt15iterator_traitsISK_E10value_typeEPNSQ_ISL_E10value_typeEPSM_NS1_7vsmem_tEENKUlT_SK_SL_SM_E_clIPtSE_SF_SF_EESJ_SZ_SK_SL_SM_EUlSZ_E1_NS1_11comp_targetILNS1_3genE2ELNS1_11target_archE906ELNS1_3gpuE6ELNS1_3repE0EEENS1_36merge_oddeven_config_static_selectorELNS0_4arch9wavefront6targetE1EEEvSL_
	.p2align	8
	.type	_ZN7rocprim17ROCPRIM_400000_NS6detail17trampoline_kernelINS0_14default_configENS1_38merge_sort_block_merge_config_selectorItNS0_10empty_typeEEEZZNS1_27merge_sort_block_merge_implIS3_N6thrust23THRUST_200600_302600_NS6detail15normal_iteratorINS9_10device_ptrItEEEEPS5_jNS1_19radix_merge_compareILb0ELb1EtNS0_19identity_decomposerEEEEE10hipError_tT0_T1_T2_jT3_P12ihipStream_tbPNSt15iterator_traitsISK_E10value_typeEPNSQ_ISL_E10value_typeEPSM_NS1_7vsmem_tEENKUlT_SK_SL_SM_E_clIPtSE_SF_SF_EESJ_SZ_SK_SL_SM_EUlSZ_E1_NS1_11comp_targetILNS1_3genE2ELNS1_11target_archE906ELNS1_3gpuE6ELNS1_3repE0EEENS1_36merge_oddeven_config_static_selectorELNS0_4arch9wavefront6targetE1EEEvSL_,@function
_ZN7rocprim17ROCPRIM_400000_NS6detail17trampoline_kernelINS0_14default_configENS1_38merge_sort_block_merge_config_selectorItNS0_10empty_typeEEEZZNS1_27merge_sort_block_merge_implIS3_N6thrust23THRUST_200600_302600_NS6detail15normal_iteratorINS9_10device_ptrItEEEEPS5_jNS1_19radix_merge_compareILb0ELb1EtNS0_19identity_decomposerEEEEE10hipError_tT0_T1_T2_jT3_P12ihipStream_tbPNSt15iterator_traitsISK_E10value_typeEPNSQ_ISL_E10value_typeEPSM_NS1_7vsmem_tEENKUlT_SK_SL_SM_E_clIPtSE_SF_SF_EESJ_SZ_SK_SL_SM_EUlSZ_E1_NS1_11comp_targetILNS1_3genE2ELNS1_11target_archE906ELNS1_3gpuE6ELNS1_3repE0EEENS1_36merge_oddeven_config_static_selectorELNS0_4arch9wavefront6targetE1EEEvSL_: ; @_ZN7rocprim17ROCPRIM_400000_NS6detail17trampoline_kernelINS0_14default_configENS1_38merge_sort_block_merge_config_selectorItNS0_10empty_typeEEEZZNS1_27merge_sort_block_merge_implIS3_N6thrust23THRUST_200600_302600_NS6detail15normal_iteratorINS9_10device_ptrItEEEEPS5_jNS1_19radix_merge_compareILb0ELb1EtNS0_19identity_decomposerEEEEE10hipError_tT0_T1_T2_jT3_P12ihipStream_tbPNSt15iterator_traitsISK_E10value_typeEPNSQ_ISL_E10value_typeEPSM_NS1_7vsmem_tEENKUlT_SK_SL_SM_E_clIPtSE_SF_SF_EESJ_SZ_SK_SL_SM_EUlSZ_E1_NS1_11comp_targetILNS1_3genE2ELNS1_11target_archE906ELNS1_3gpuE6ELNS1_3repE0EEENS1_36merge_oddeven_config_static_selectorELNS0_4arch9wavefront6targetE1EEEvSL_
; %bb.0:
	.section	.rodata,"a",@progbits
	.p2align	6, 0x0
	.amdhsa_kernel _ZN7rocprim17ROCPRIM_400000_NS6detail17trampoline_kernelINS0_14default_configENS1_38merge_sort_block_merge_config_selectorItNS0_10empty_typeEEEZZNS1_27merge_sort_block_merge_implIS3_N6thrust23THRUST_200600_302600_NS6detail15normal_iteratorINS9_10device_ptrItEEEEPS5_jNS1_19radix_merge_compareILb0ELb1EtNS0_19identity_decomposerEEEEE10hipError_tT0_T1_T2_jT3_P12ihipStream_tbPNSt15iterator_traitsISK_E10value_typeEPNSQ_ISL_E10value_typeEPSM_NS1_7vsmem_tEENKUlT_SK_SL_SM_E_clIPtSE_SF_SF_EESJ_SZ_SK_SL_SM_EUlSZ_E1_NS1_11comp_targetILNS1_3genE2ELNS1_11target_archE906ELNS1_3gpuE6ELNS1_3repE0EEENS1_36merge_oddeven_config_static_selectorELNS0_4arch9wavefront6targetE1EEEvSL_
		.amdhsa_group_segment_fixed_size 0
		.amdhsa_private_segment_fixed_size 0
		.amdhsa_kernarg_size 48
		.amdhsa_user_sgpr_count 6
		.amdhsa_user_sgpr_private_segment_buffer 1
		.amdhsa_user_sgpr_dispatch_ptr 0
		.amdhsa_user_sgpr_queue_ptr 0
		.amdhsa_user_sgpr_kernarg_segment_ptr 1
		.amdhsa_user_sgpr_dispatch_id 0
		.amdhsa_user_sgpr_flat_scratch_init 0
		.amdhsa_user_sgpr_kernarg_preload_length 0
		.amdhsa_user_sgpr_kernarg_preload_offset 0
		.amdhsa_user_sgpr_private_segment_size 0
		.amdhsa_uses_dynamic_stack 0
		.amdhsa_system_sgpr_private_segment_wavefront_offset 0
		.amdhsa_system_sgpr_workgroup_id_x 1
		.amdhsa_system_sgpr_workgroup_id_y 0
		.amdhsa_system_sgpr_workgroup_id_z 0
		.amdhsa_system_sgpr_workgroup_info 0
		.amdhsa_system_vgpr_workitem_id 0
		.amdhsa_next_free_vgpr 1
		.amdhsa_next_free_sgpr 0
		.amdhsa_accum_offset 4
		.amdhsa_reserve_vcc 0
		.amdhsa_reserve_flat_scratch 0
		.amdhsa_float_round_mode_32 0
		.amdhsa_float_round_mode_16_64 0
		.amdhsa_float_denorm_mode_32 3
		.amdhsa_float_denorm_mode_16_64 3
		.amdhsa_dx10_clamp 1
		.amdhsa_ieee_mode 1
		.amdhsa_fp16_overflow 0
		.amdhsa_tg_split 0
		.amdhsa_exception_fp_ieee_invalid_op 0
		.amdhsa_exception_fp_denorm_src 0
		.amdhsa_exception_fp_ieee_div_zero 0
		.amdhsa_exception_fp_ieee_overflow 0
		.amdhsa_exception_fp_ieee_underflow 0
		.amdhsa_exception_fp_ieee_inexact 0
		.amdhsa_exception_int_div_zero 0
	.end_amdhsa_kernel
	.section	.text._ZN7rocprim17ROCPRIM_400000_NS6detail17trampoline_kernelINS0_14default_configENS1_38merge_sort_block_merge_config_selectorItNS0_10empty_typeEEEZZNS1_27merge_sort_block_merge_implIS3_N6thrust23THRUST_200600_302600_NS6detail15normal_iteratorINS9_10device_ptrItEEEEPS5_jNS1_19radix_merge_compareILb0ELb1EtNS0_19identity_decomposerEEEEE10hipError_tT0_T1_T2_jT3_P12ihipStream_tbPNSt15iterator_traitsISK_E10value_typeEPNSQ_ISL_E10value_typeEPSM_NS1_7vsmem_tEENKUlT_SK_SL_SM_E_clIPtSE_SF_SF_EESJ_SZ_SK_SL_SM_EUlSZ_E1_NS1_11comp_targetILNS1_3genE2ELNS1_11target_archE906ELNS1_3gpuE6ELNS1_3repE0EEENS1_36merge_oddeven_config_static_selectorELNS0_4arch9wavefront6targetE1EEEvSL_,"axG",@progbits,_ZN7rocprim17ROCPRIM_400000_NS6detail17trampoline_kernelINS0_14default_configENS1_38merge_sort_block_merge_config_selectorItNS0_10empty_typeEEEZZNS1_27merge_sort_block_merge_implIS3_N6thrust23THRUST_200600_302600_NS6detail15normal_iteratorINS9_10device_ptrItEEEEPS5_jNS1_19radix_merge_compareILb0ELb1EtNS0_19identity_decomposerEEEEE10hipError_tT0_T1_T2_jT3_P12ihipStream_tbPNSt15iterator_traitsISK_E10value_typeEPNSQ_ISL_E10value_typeEPSM_NS1_7vsmem_tEENKUlT_SK_SL_SM_E_clIPtSE_SF_SF_EESJ_SZ_SK_SL_SM_EUlSZ_E1_NS1_11comp_targetILNS1_3genE2ELNS1_11target_archE906ELNS1_3gpuE6ELNS1_3repE0EEENS1_36merge_oddeven_config_static_selectorELNS0_4arch9wavefront6targetE1EEEvSL_,comdat
.Lfunc_end1284:
	.size	_ZN7rocprim17ROCPRIM_400000_NS6detail17trampoline_kernelINS0_14default_configENS1_38merge_sort_block_merge_config_selectorItNS0_10empty_typeEEEZZNS1_27merge_sort_block_merge_implIS3_N6thrust23THRUST_200600_302600_NS6detail15normal_iteratorINS9_10device_ptrItEEEEPS5_jNS1_19radix_merge_compareILb0ELb1EtNS0_19identity_decomposerEEEEE10hipError_tT0_T1_T2_jT3_P12ihipStream_tbPNSt15iterator_traitsISK_E10value_typeEPNSQ_ISL_E10value_typeEPSM_NS1_7vsmem_tEENKUlT_SK_SL_SM_E_clIPtSE_SF_SF_EESJ_SZ_SK_SL_SM_EUlSZ_E1_NS1_11comp_targetILNS1_3genE2ELNS1_11target_archE906ELNS1_3gpuE6ELNS1_3repE0EEENS1_36merge_oddeven_config_static_selectorELNS0_4arch9wavefront6targetE1EEEvSL_, .Lfunc_end1284-_ZN7rocprim17ROCPRIM_400000_NS6detail17trampoline_kernelINS0_14default_configENS1_38merge_sort_block_merge_config_selectorItNS0_10empty_typeEEEZZNS1_27merge_sort_block_merge_implIS3_N6thrust23THRUST_200600_302600_NS6detail15normal_iteratorINS9_10device_ptrItEEEEPS5_jNS1_19radix_merge_compareILb0ELb1EtNS0_19identity_decomposerEEEEE10hipError_tT0_T1_T2_jT3_P12ihipStream_tbPNSt15iterator_traitsISK_E10value_typeEPNSQ_ISL_E10value_typeEPSM_NS1_7vsmem_tEENKUlT_SK_SL_SM_E_clIPtSE_SF_SF_EESJ_SZ_SK_SL_SM_EUlSZ_E1_NS1_11comp_targetILNS1_3genE2ELNS1_11target_archE906ELNS1_3gpuE6ELNS1_3repE0EEENS1_36merge_oddeven_config_static_selectorELNS0_4arch9wavefront6targetE1EEEvSL_
                                        ; -- End function
	.section	.AMDGPU.csdata,"",@progbits
; Kernel info:
; codeLenInByte = 0
; NumSgprs: 4
; NumVgprs: 0
; NumAgprs: 0
; TotalNumVgprs: 0
; ScratchSize: 0
; MemoryBound: 0
; FloatMode: 240
; IeeeMode: 1
; LDSByteSize: 0 bytes/workgroup (compile time only)
; SGPRBlocks: 0
; VGPRBlocks: 0
; NumSGPRsForWavesPerEU: 4
; NumVGPRsForWavesPerEU: 1
; AccumOffset: 4
; Occupancy: 8
; WaveLimiterHint : 0
; COMPUTE_PGM_RSRC2:SCRATCH_EN: 0
; COMPUTE_PGM_RSRC2:USER_SGPR: 6
; COMPUTE_PGM_RSRC2:TRAP_HANDLER: 0
; COMPUTE_PGM_RSRC2:TGID_X_EN: 1
; COMPUTE_PGM_RSRC2:TGID_Y_EN: 0
; COMPUTE_PGM_RSRC2:TGID_Z_EN: 0
; COMPUTE_PGM_RSRC2:TIDIG_COMP_CNT: 0
; COMPUTE_PGM_RSRC3_GFX90A:ACCUM_OFFSET: 0
; COMPUTE_PGM_RSRC3_GFX90A:TG_SPLIT: 0
	.section	.text._ZN7rocprim17ROCPRIM_400000_NS6detail17trampoline_kernelINS0_14default_configENS1_38merge_sort_block_merge_config_selectorItNS0_10empty_typeEEEZZNS1_27merge_sort_block_merge_implIS3_N6thrust23THRUST_200600_302600_NS6detail15normal_iteratorINS9_10device_ptrItEEEEPS5_jNS1_19radix_merge_compareILb0ELb1EtNS0_19identity_decomposerEEEEE10hipError_tT0_T1_T2_jT3_P12ihipStream_tbPNSt15iterator_traitsISK_E10value_typeEPNSQ_ISL_E10value_typeEPSM_NS1_7vsmem_tEENKUlT_SK_SL_SM_E_clIPtSE_SF_SF_EESJ_SZ_SK_SL_SM_EUlSZ_E1_NS1_11comp_targetILNS1_3genE9ELNS1_11target_archE1100ELNS1_3gpuE3ELNS1_3repE0EEENS1_36merge_oddeven_config_static_selectorELNS0_4arch9wavefront6targetE1EEEvSL_,"axG",@progbits,_ZN7rocprim17ROCPRIM_400000_NS6detail17trampoline_kernelINS0_14default_configENS1_38merge_sort_block_merge_config_selectorItNS0_10empty_typeEEEZZNS1_27merge_sort_block_merge_implIS3_N6thrust23THRUST_200600_302600_NS6detail15normal_iteratorINS9_10device_ptrItEEEEPS5_jNS1_19radix_merge_compareILb0ELb1EtNS0_19identity_decomposerEEEEE10hipError_tT0_T1_T2_jT3_P12ihipStream_tbPNSt15iterator_traitsISK_E10value_typeEPNSQ_ISL_E10value_typeEPSM_NS1_7vsmem_tEENKUlT_SK_SL_SM_E_clIPtSE_SF_SF_EESJ_SZ_SK_SL_SM_EUlSZ_E1_NS1_11comp_targetILNS1_3genE9ELNS1_11target_archE1100ELNS1_3gpuE3ELNS1_3repE0EEENS1_36merge_oddeven_config_static_selectorELNS0_4arch9wavefront6targetE1EEEvSL_,comdat
	.protected	_ZN7rocprim17ROCPRIM_400000_NS6detail17trampoline_kernelINS0_14default_configENS1_38merge_sort_block_merge_config_selectorItNS0_10empty_typeEEEZZNS1_27merge_sort_block_merge_implIS3_N6thrust23THRUST_200600_302600_NS6detail15normal_iteratorINS9_10device_ptrItEEEEPS5_jNS1_19radix_merge_compareILb0ELb1EtNS0_19identity_decomposerEEEEE10hipError_tT0_T1_T2_jT3_P12ihipStream_tbPNSt15iterator_traitsISK_E10value_typeEPNSQ_ISL_E10value_typeEPSM_NS1_7vsmem_tEENKUlT_SK_SL_SM_E_clIPtSE_SF_SF_EESJ_SZ_SK_SL_SM_EUlSZ_E1_NS1_11comp_targetILNS1_3genE9ELNS1_11target_archE1100ELNS1_3gpuE3ELNS1_3repE0EEENS1_36merge_oddeven_config_static_selectorELNS0_4arch9wavefront6targetE1EEEvSL_ ; -- Begin function _ZN7rocprim17ROCPRIM_400000_NS6detail17trampoline_kernelINS0_14default_configENS1_38merge_sort_block_merge_config_selectorItNS0_10empty_typeEEEZZNS1_27merge_sort_block_merge_implIS3_N6thrust23THRUST_200600_302600_NS6detail15normal_iteratorINS9_10device_ptrItEEEEPS5_jNS1_19radix_merge_compareILb0ELb1EtNS0_19identity_decomposerEEEEE10hipError_tT0_T1_T2_jT3_P12ihipStream_tbPNSt15iterator_traitsISK_E10value_typeEPNSQ_ISL_E10value_typeEPSM_NS1_7vsmem_tEENKUlT_SK_SL_SM_E_clIPtSE_SF_SF_EESJ_SZ_SK_SL_SM_EUlSZ_E1_NS1_11comp_targetILNS1_3genE9ELNS1_11target_archE1100ELNS1_3gpuE3ELNS1_3repE0EEENS1_36merge_oddeven_config_static_selectorELNS0_4arch9wavefront6targetE1EEEvSL_
	.globl	_ZN7rocprim17ROCPRIM_400000_NS6detail17trampoline_kernelINS0_14default_configENS1_38merge_sort_block_merge_config_selectorItNS0_10empty_typeEEEZZNS1_27merge_sort_block_merge_implIS3_N6thrust23THRUST_200600_302600_NS6detail15normal_iteratorINS9_10device_ptrItEEEEPS5_jNS1_19radix_merge_compareILb0ELb1EtNS0_19identity_decomposerEEEEE10hipError_tT0_T1_T2_jT3_P12ihipStream_tbPNSt15iterator_traitsISK_E10value_typeEPNSQ_ISL_E10value_typeEPSM_NS1_7vsmem_tEENKUlT_SK_SL_SM_E_clIPtSE_SF_SF_EESJ_SZ_SK_SL_SM_EUlSZ_E1_NS1_11comp_targetILNS1_3genE9ELNS1_11target_archE1100ELNS1_3gpuE3ELNS1_3repE0EEENS1_36merge_oddeven_config_static_selectorELNS0_4arch9wavefront6targetE1EEEvSL_
	.p2align	8
	.type	_ZN7rocprim17ROCPRIM_400000_NS6detail17trampoline_kernelINS0_14default_configENS1_38merge_sort_block_merge_config_selectorItNS0_10empty_typeEEEZZNS1_27merge_sort_block_merge_implIS3_N6thrust23THRUST_200600_302600_NS6detail15normal_iteratorINS9_10device_ptrItEEEEPS5_jNS1_19radix_merge_compareILb0ELb1EtNS0_19identity_decomposerEEEEE10hipError_tT0_T1_T2_jT3_P12ihipStream_tbPNSt15iterator_traitsISK_E10value_typeEPNSQ_ISL_E10value_typeEPSM_NS1_7vsmem_tEENKUlT_SK_SL_SM_E_clIPtSE_SF_SF_EESJ_SZ_SK_SL_SM_EUlSZ_E1_NS1_11comp_targetILNS1_3genE9ELNS1_11target_archE1100ELNS1_3gpuE3ELNS1_3repE0EEENS1_36merge_oddeven_config_static_selectorELNS0_4arch9wavefront6targetE1EEEvSL_,@function
_ZN7rocprim17ROCPRIM_400000_NS6detail17trampoline_kernelINS0_14default_configENS1_38merge_sort_block_merge_config_selectorItNS0_10empty_typeEEEZZNS1_27merge_sort_block_merge_implIS3_N6thrust23THRUST_200600_302600_NS6detail15normal_iteratorINS9_10device_ptrItEEEEPS5_jNS1_19radix_merge_compareILb0ELb1EtNS0_19identity_decomposerEEEEE10hipError_tT0_T1_T2_jT3_P12ihipStream_tbPNSt15iterator_traitsISK_E10value_typeEPNSQ_ISL_E10value_typeEPSM_NS1_7vsmem_tEENKUlT_SK_SL_SM_E_clIPtSE_SF_SF_EESJ_SZ_SK_SL_SM_EUlSZ_E1_NS1_11comp_targetILNS1_3genE9ELNS1_11target_archE1100ELNS1_3gpuE3ELNS1_3repE0EEENS1_36merge_oddeven_config_static_selectorELNS0_4arch9wavefront6targetE1EEEvSL_: ; @_ZN7rocprim17ROCPRIM_400000_NS6detail17trampoline_kernelINS0_14default_configENS1_38merge_sort_block_merge_config_selectorItNS0_10empty_typeEEEZZNS1_27merge_sort_block_merge_implIS3_N6thrust23THRUST_200600_302600_NS6detail15normal_iteratorINS9_10device_ptrItEEEEPS5_jNS1_19radix_merge_compareILb0ELb1EtNS0_19identity_decomposerEEEEE10hipError_tT0_T1_T2_jT3_P12ihipStream_tbPNSt15iterator_traitsISK_E10value_typeEPNSQ_ISL_E10value_typeEPSM_NS1_7vsmem_tEENKUlT_SK_SL_SM_E_clIPtSE_SF_SF_EESJ_SZ_SK_SL_SM_EUlSZ_E1_NS1_11comp_targetILNS1_3genE9ELNS1_11target_archE1100ELNS1_3gpuE3ELNS1_3repE0EEENS1_36merge_oddeven_config_static_selectorELNS0_4arch9wavefront6targetE1EEEvSL_
; %bb.0:
	.section	.rodata,"a",@progbits
	.p2align	6, 0x0
	.amdhsa_kernel _ZN7rocprim17ROCPRIM_400000_NS6detail17trampoline_kernelINS0_14default_configENS1_38merge_sort_block_merge_config_selectorItNS0_10empty_typeEEEZZNS1_27merge_sort_block_merge_implIS3_N6thrust23THRUST_200600_302600_NS6detail15normal_iteratorINS9_10device_ptrItEEEEPS5_jNS1_19radix_merge_compareILb0ELb1EtNS0_19identity_decomposerEEEEE10hipError_tT0_T1_T2_jT3_P12ihipStream_tbPNSt15iterator_traitsISK_E10value_typeEPNSQ_ISL_E10value_typeEPSM_NS1_7vsmem_tEENKUlT_SK_SL_SM_E_clIPtSE_SF_SF_EESJ_SZ_SK_SL_SM_EUlSZ_E1_NS1_11comp_targetILNS1_3genE9ELNS1_11target_archE1100ELNS1_3gpuE3ELNS1_3repE0EEENS1_36merge_oddeven_config_static_selectorELNS0_4arch9wavefront6targetE1EEEvSL_
		.amdhsa_group_segment_fixed_size 0
		.amdhsa_private_segment_fixed_size 0
		.amdhsa_kernarg_size 48
		.amdhsa_user_sgpr_count 6
		.amdhsa_user_sgpr_private_segment_buffer 1
		.amdhsa_user_sgpr_dispatch_ptr 0
		.amdhsa_user_sgpr_queue_ptr 0
		.amdhsa_user_sgpr_kernarg_segment_ptr 1
		.amdhsa_user_sgpr_dispatch_id 0
		.amdhsa_user_sgpr_flat_scratch_init 0
		.amdhsa_user_sgpr_kernarg_preload_length 0
		.amdhsa_user_sgpr_kernarg_preload_offset 0
		.amdhsa_user_sgpr_private_segment_size 0
		.amdhsa_uses_dynamic_stack 0
		.amdhsa_system_sgpr_private_segment_wavefront_offset 0
		.amdhsa_system_sgpr_workgroup_id_x 1
		.amdhsa_system_sgpr_workgroup_id_y 0
		.amdhsa_system_sgpr_workgroup_id_z 0
		.amdhsa_system_sgpr_workgroup_info 0
		.amdhsa_system_vgpr_workitem_id 0
		.amdhsa_next_free_vgpr 1
		.amdhsa_next_free_sgpr 0
		.amdhsa_accum_offset 4
		.amdhsa_reserve_vcc 0
		.amdhsa_reserve_flat_scratch 0
		.amdhsa_float_round_mode_32 0
		.amdhsa_float_round_mode_16_64 0
		.amdhsa_float_denorm_mode_32 3
		.amdhsa_float_denorm_mode_16_64 3
		.amdhsa_dx10_clamp 1
		.amdhsa_ieee_mode 1
		.amdhsa_fp16_overflow 0
		.amdhsa_tg_split 0
		.amdhsa_exception_fp_ieee_invalid_op 0
		.amdhsa_exception_fp_denorm_src 0
		.amdhsa_exception_fp_ieee_div_zero 0
		.amdhsa_exception_fp_ieee_overflow 0
		.amdhsa_exception_fp_ieee_underflow 0
		.amdhsa_exception_fp_ieee_inexact 0
		.amdhsa_exception_int_div_zero 0
	.end_amdhsa_kernel
	.section	.text._ZN7rocprim17ROCPRIM_400000_NS6detail17trampoline_kernelINS0_14default_configENS1_38merge_sort_block_merge_config_selectorItNS0_10empty_typeEEEZZNS1_27merge_sort_block_merge_implIS3_N6thrust23THRUST_200600_302600_NS6detail15normal_iteratorINS9_10device_ptrItEEEEPS5_jNS1_19radix_merge_compareILb0ELb1EtNS0_19identity_decomposerEEEEE10hipError_tT0_T1_T2_jT3_P12ihipStream_tbPNSt15iterator_traitsISK_E10value_typeEPNSQ_ISL_E10value_typeEPSM_NS1_7vsmem_tEENKUlT_SK_SL_SM_E_clIPtSE_SF_SF_EESJ_SZ_SK_SL_SM_EUlSZ_E1_NS1_11comp_targetILNS1_3genE9ELNS1_11target_archE1100ELNS1_3gpuE3ELNS1_3repE0EEENS1_36merge_oddeven_config_static_selectorELNS0_4arch9wavefront6targetE1EEEvSL_,"axG",@progbits,_ZN7rocprim17ROCPRIM_400000_NS6detail17trampoline_kernelINS0_14default_configENS1_38merge_sort_block_merge_config_selectorItNS0_10empty_typeEEEZZNS1_27merge_sort_block_merge_implIS3_N6thrust23THRUST_200600_302600_NS6detail15normal_iteratorINS9_10device_ptrItEEEEPS5_jNS1_19radix_merge_compareILb0ELb1EtNS0_19identity_decomposerEEEEE10hipError_tT0_T1_T2_jT3_P12ihipStream_tbPNSt15iterator_traitsISK_E10value_typeEPNSQ_ISL_E10value_typeEPSM_NS1_7vsmem_tEENKUlT_SK_SL_SM_E_clIPtSE_SF_SF_EESJ_SZ_SK_SL_SM_EUlSZ_E1_NS1_11comp_targetILNS1_3genE9ELNS1_11target_archE1100ELNS1_3gpuE3ELNS1_3repE0EEENS1_36merge_oddeven_config_static_selectorELNS0_4arch9wavefront6targetE1EEEvSL_,comdat
.Lfunc_end1285:
	.size	_ZN7rocprim17ROCPRIM_400000_NS6detail17trampoline_kernelINS0_14default_configENS1_38merge_sort_block_merge_config_selectorItNS0_10empty_typeEEEZZNS1_27merge_sort_block_merge_implIS3_N6thrust23THRUST_200600_302600_NS6detail15normal_iteratorINS9_10device_ptrItEEEEPS5_jNS1_19radix_merge_compareILb0ELb1EtNS0_19identity_decomposerEEEEE10hipError_tT0_T1_T2_jT3_P12ihipStream_tbPNSt15iterator_traitsISK_E10value_typeEPNSQ_ISL_E10value_typeEPSM_NS1_7vsmem_tEENKUlT_SK_SL_SM_E_clIPtSE_SF_SF_EESJ_SZ_SK_SL_SM_EUlSZ_E1_NS1_11comp_targetILNS1_3genE9ELNS1_11target_archE1100ELNS1_3gpuE3ELNS1_3repE0EEENS1_36merge_oddeven_config_static_selectorELNS0_4arch9wavefront6targetE1EEEvSL_, .Lfunc_end1285-_ZN7rocprim17ROCPRIM_400000_NS6detail17trampoline_kernelINS0_14default_configENS1_38merge_sort_block_merge_config_selectorItNS0_10empty_typeEEEZZNS1_27merge_sort_block_merge_implIS3_N6thrust23THRUST_200600_302600_NS6detail15normal_iteratorINS9_10device_ptrItEEEEPS5_jNS1_19radix_merge_compareILb0ELb1EtNS0_19identity_decomposerEEEEE10hipError_tT0_T1_T2_jT3_P12ihipStream_tbPNSt15iterator_traitsISK_E10value_typeEPNSQ_ISL_E10value_typeEPSM_NS1_7vsmem_tEENKUlT_SK_SL_SM_E_clIPtSE_SF_SF_EESJ_SZ_SK_SL_SM_EUlSZ_E1_NS1_11comp_targetILNS1_3genE9ELNS1_11target_archE1100ELNS1_3gpuE3ELNS1_3repE0EEENS1_36merge_oddeven_config_static_selectorELNS0_4arch9wavefront6targetE1EEEvSL_
                                        ; -- End function
	.section	.AMDGPU.csdata,"",@progbits
; Kernel info:
; codeLenInByte = 0
; NumSgprs: 4
; NumVgprs: 0
; NumAgprs: 0
; TotalNumVgprs: 0
; ScratchSize: 0
; MemoryBound: 0
; FloatMode: 240
; IeeeMode: 1
; LDSByteSize: 0 bytes/workgroup (compile time only)
; SGPRBlocks: 0
; VGPRBlocks: 0
; NumSGPRsForWavesPerEU: 4
; NumVGPRsForWavesPerEU: 1
; AccumOffset: 4
; Occupancy: 8
; WaveLimiterHint : 0
; COMPUTE_PGM_RSRC2:SCRATCH_EN: 0
; COMPUTE_PGM_RSRC2:USER_SGPR: 6
; COMPUTE_PGM_RSRC2:TRAP_HANDLER: 0
; COMPUTE_PGM_RSRC2:TGID_X_EN: 1
; COMPUTE_PGM_RSRC2:TGID_Y_EN: 0
; COMPUTE_PGM_RSRC2:TGID_Z_EN: 0
; COMPUTE_PGM_RSRC2:TIDIG_COMP_CNT: 0
; COMPUTE_PGM_RSRC3_GFX90A:ACCUM_OFFSET: 0
; COMPUTE_PGM_RSRC3_GFX90A:TG_SPLIT: 0
	.section	.text._ZN7rocprim17ROCPRIM_400000_NS6detail17trampoline_kernelINS0_14default_configENS1_38merge_sort_block_merge_config_selectorItNS0_10empty_typeEEEZZNS1_27merge_sort_block_merge_implIS3_N6thrust23THRUST_200600_302600_NS6detail15normal_iteratorINS9_10device_ptrItEEEEPS5_jNS1_19radix_merge_compareILb0ELb1EtNS0_19identity_decomposerEEEEE10hipError_tT0_T1_T2_jT3_P12ihipStream_tbPNSt15iterator_traitsISK_E10value_typeEPNSQ_ISL_E10value_typeEPSM_NS1_7vsmem_tEENKUlT_SK_SL_SM_E_clIPtSE_SF_SF_EESJ_SZ_SK_SL_SM_EUlSZ_E1_NS1_11comp_targetILNS1_3genE8ELNS1_11target_archE1030ELNS1_3gpuE2ELNS1_3repE0EEENS1_36merge_oddeven_config_static_selectorELNS0_4arch9wavefront6targetE1EEEvSL_,"axG",@progbits,_ZN7rocprim17ROCPRIM_400000_NS6detail17trampoline_kernelINS0_14default_configENS1_38merge_sort_block_merge_config_selectorItNS0_10empty_typeEEEZZNS1_27merge_sort_block_merge_implIS3_N6thrust23THRUST_200600_302600_NS6detail15normal_iteratorINS9_10device_ptrItEEEEPS5_jNS1_19radix_merge_compareILb0ELb1EtNS0_19identity_decomposerEEEEE10hipError_tT0_T1_T2_jT3_P12ihipStream_tbPNSt15iterator_traitsISK_E10value_typeEPNSQ_ISL_E10value_typeEPSM_NS1_7vsmem_tEENKUlT_SK_SL_SM_E_clIPtSE_SF_SF_EESJ_SZ_SK_SL_SM_EUlSZ_E1_NS1_11comp_targetILNS1_3genE8ELNS1_11target_archE1030ELNS1_3gpuE2ELNS1_3repE0EEENS1_36merge_oddeven_config_static_selectorELNS0_4arch9wavefront6targetE1EEEvSL_,comdat
	.protected	_ZN7rocprim17ROCPRIM_400000_NS6detail17trampoline_kernelINS0_14default_configENS1_38merge_sort_block_merge_config_selectorItNS0_10empty_typeEEEZZNS1_27merge_sort_block_merge_implIS3_N6thrust23THRUST_200600_302600_NS6detail15normal_iteratorINS9_10device_ptrItEEEEPS5_jNS1_19radix_merge_compareILb0ELb1EtNS0_19identity_decomposerEEEEE10hipError_tT0_T1_T2_jT3_P12ihipStream_tbPNSt15iterator_traitsISK_E10value_typeEPNSQ_ISL_E10value_typeEPSM_NS1_7vsmem_tEENKUlT_SK_SL_SM_E_clIPtSE_SF_SF_EESJ_SZ_SK_SL_SM_EUlSZ_E1_NS1_11comp_targetILNS1_3genE8ELNS1_11target_archE1030ELNS1_3gpuE2ELNS1_3repE0EEENS1_36merge_oddeven_config_static_selectorELNS0_4arch9wavefront6targetE1EEEvSL_ ; -- Begin function _ZN7rocprim17ROCPRIM_400000_NS6detail17trampoline_kernelINS0_14default_configENS1_38merge_sort_block_merge_config_selectorItNS0_10empty_typeEEEZZNS1_27merge_sort_block_merge_implIS3_N6thrust23THRUST_200600_302600_NS6detail15normal_iteratorINS9_10device_ptrItEEEEPS5_jNS1_19radix_merge_compareILb0ELb1EtNS0_19identity_decomposerEEEEE10hipError_tT0_T1_T2_jT3_P12ihipStream_tbPNSt15iterator_traitsISK_E10value_typeEPNSQ_ISL_E10value_typeEPSM_NS1_7vsmem_tEENKUlT_SK_SL_SM_E_clIPtSE_SF_SF_EESJ_SZ_SK_SL_SM_EUlSZ_E1_NS1_11comp_targetILNS1_3genE8ELNS1_11target_archE1030ELNS1_3gpuE2ELNS1_3repE0EEENS1_36merge_oddeven_config_static_selectorELNS0_4arch9wavefront6targetE1EEEvSL_
	.globl	_ZN7rocprim17ROCPRIM_400000_NS6detail17trampoline_kernelINS0_14default_configENS1_38merge_sort_block_merge_config_selectorItNS0_10empty_typeEEEZZNS1_27merge_sort_block_merge_implIS3_N6thrust23THRUST_200600_302600_NS6detail15normal_iteratorINS9_10device_ptrItEEEEPS5_jNS1_19radix_merge_compareILb0ELb1EtNS0_19identity_decomposerEEEEE10hipError_tT0_T1_T2_jT3_P12ihipStream_tbPNSt15iterator_traitsISK_E10value_typeEPNSQ_ISL_E10value_typeEPSM_NS1_7vsmem_tEENKUlT_SK_SL_SM_E_clIPtSE_SF_SF_EESJ_SZ_SK_SL_SM_EUlSZ_E1_NS1_11comp_targetILNS1_3genE8ELNS1_11target_archE1030ELNS1_3gpuE2ELNS1_3repE0EEENS1_36merge_oddeven_config_static_selectorELNS0_4arch9wavefront6targetE1EEEvSL_
	.p2align	8
	.type	_ZN7rocprim17ROCPRIM_400000_NS6detail17trampoline_kernelINS0_14default_configENS1_38merge_sort_block_merge_config_selectorItNS0_10empty_typeEEEZZNS1_27merge_sort_block_merge_implIS3_N6thrust23THRUST_200600_302600_NS6detail15normal_iteratorINS9_10device_ptrItEEEEPS5_jNS1_19radix_merge_compareILb0ELb1EtNS0_19identity_decomposerEEEEE10hipError_tT0_T1_T2_jT3_P12ihipStream_tbPNSt15iterator_traitsISK_E10value_typeEPNSQ_ISL_E10value_typeEPSM_NS1_7vsmem_tEENKUlT_SK_SL_SM_E_clIPtSE_SF_SF_EESJ_SZ_SK_SL_SM_EUlSZ_E1_NS1_11comp_targetILNS1_3genE8ELNS1_11target_archE1030ELNS1_3gpuE2ELNS1_3repE0EEENS1_36merge_oddeven_config_static_selectorELNS0_4arch9wavefront6targetE1EEEvSL_,@function
_ZN7rocprim17ROCPRIM_400000_NS6detail17trampoline_kernelINS0_14default_configENS1_38merge_sort_block_merge_config_selectorItNS0_10empty_typeEEEZZNS1_27merge_sort_block_merge_implIS3_N6thrust23THRUST_200600_302600_NS6detail15normal_iteratorINS9_10device_ptrItEEEEPS5_jNS1_19radix_merge_compareILb0ELb1EtNS0_19identity_decomposerEEEEE10hipError_tT0_T1_T2_jT3_P12ihipStream_tbPNSt15iterator_traitsISK_E10value_typeEPNSQ_ISL_E10value_typeEPSM_NS1_7vsmem_tEENKUlT_SK_SL_SM_E_clIPtSE_SF_SF_EESJ_SZ_SK_SL_SM_EUlSZ_E1_NS1_11comp_targetILNS1_3genE8ELNS1_11target_archE1030ELNS1_3gpuE2ELNS1_3repE0EEENS1_36merge_oddeven_config_static_selectorELNS0_4arch9wavefront6targetE1EEEvSL_: ; @_ZN7rocprim17ROCPRIM_400000_NS6detail17trampoline_kernelINS0_14default_configENS1_38merge_sort_block_merge_config_selectorItNS0_10empty_typeEEEZZNS1_27merge_sort_block_merge_implIS3_N6thrust23THRUST_200600_302600_NS6detail15normal_iteratorINS9_10device_ptrItEEEEPS5_jNS1_19radix_merge_compareILb0ELb1EtNS0_19identity_decomposerEEEEE10hipError_tT0_T1_T2_jT3_P12ihipStream_tbPNSt15iterator_traitsISK_E10value_typeEPNSQ_ISL_E10value_typeEPSM_NS1_7vsmem_tEENKUlT_SK_SL_SM_E_clIPtSE_SF_SF_EESJ_SZ_SK_SL_SM_EUlSZ_E1_NS1_11comp_targetILNS1_3genE8ELNS1_11target_archE1030ELNS1_3gpuE2ELNS1_3repE0EEENS1_36merge_oddeven_config_static_selectorELNS0_4arch9wavefront6targetE1EEEvSL_
; %bb.0:
	.section	.rodata,"a",@progbits
	.p2align	6, 0x0
	.amdhsa_kernel _ZN7rocprim17ROCPRIM_400000_NS6detail17trampoline_kernelINS0_14default_configENS1_38merge_sort_block_merge_config_selectorItNS0_10empty_typeEEEZZNS1_27merge_sort_block_merge_implIS3_N6thrust23THRUST_200600_302600_NS6detail15normal_iteratorINS9_10device_ptrItEEEEPS5_jNS1_19radix_merge_compareILb0ELb1EtNS0_19identity_decomposerEEEEE10hipError_tT0_T1_T2_jT3_P12ihipStream_tbPNSt15iterator_traitsISK_E10value_typeEPNSQ_ISL_E10value_typeEPSM_NS1_7vsmem_tEENKUlT_SK_SL_SM_E_clIPtSE_SF_SF_EESJ_SZ_SK_SL_SM_EUlSZ_E1_NS1_11comp_targetILNS1_3genE8ELNS1_11target_archE1030ELNS1_3gpuE2ELNS1_3repE0EEENS1_36merge_oddeven_config_static_selectorELNS0_4arch9wavefront6targetE1EEEvSL_
		.amdhsa_group_segment_fixed_size 0
		.amdhsa_private_segment_fixed_size 0
		.amdhsa_kernarg_size 48
		.amdhsa_user_sgpr_count 6
		.amdhsa_user_sgpr_private_segment_buffer 1
		.amdhsa_user_sgpr_dispatch_ptr 0
		.amdhsa_user_sgpr_queue_ptr 0
		.amdhsa_user_sgpr_kernarg_segment_ptr 1
		.amdhsa_user_sgpr_dispatch_id 0
		.amdhsa_user_sgpr_flat_scratch_init 0
		.amdhsa_user_sgpr_kernarg_preload_length 0
		.amdhsa_user_sgpr_kernarg_preload_offset 0
		.amdhsa_user_sgpr_private_segment_size 0
		.amdhsa_uses_dynamic_stack 0
		.amdhsa_system_sgpr_private_segment_wavefront_offset 0
		.amdhsa_system_sgpr_workgroup_id_x 1
		.amdhsa_system_sgpr_workgroup_id_y 0
		.amdhsa_system_sgpr_workgroup_id_z 0
		.amdhsa_system_sgpr_workgroup_info 0
		.amdhsa_system_vgpr_workitem_id 0
		.amdhsa_next_free_vgpr 1
		.amdhsa_next_free_sgpr 0
		.amdhsa_accum_offset 4
		.amdhsa_reserve_vcc 0
		.amdhsa_reserve_flat_scratch 0
		.amdhsa_float_round_mode_32 0
		.amdhsa_float_round_mode_16_64 0
		.amdhsa_float_denorm_mode_32 3
		.amdhsa_float_denorm_mode_16_64 3
		.amdhsa_dx10_clamp 1
		.amdhsa_ieee_mode 1
		.amdhsa_fp16_overflow 0
		.amdhsa_tg_split 0
		.amdhsa_exception_fp_ieee_invalid_op 0
		.amdhsa_exception_fp_denorm_src 0
		.amdhsa_exception_fp_ieee_div_zero 0
		.amdhsa_exception_fp_ieee_overflow 0
		.amdhsa_exception_fp_ieee_underflow 0
		.amdhsa_exception_fp_ieee_inexact 0
		.amdhsa_exception_int_div_zero 0
	.end_amdhsa_kernel
	.section	.text._ZN7rocprim17ROCPRIM_400000_NS6detail17trampoline_kernelINS0_14default_configENS1_38merge_sort_block_merge_config_selectorItNS0_10empty_typeEEEZZNS1_27merge_sort_block_merge_implIS3_N6thrust23THRUST_200600_302600_NS6detail15normal_iteratorINS9_10device_ptrItEEEEPS5_jNS1_19radix_merge_compareILb0ELb1EtNS0_19identity_decomposerEEEEE10hipError_tT0_T1_T2_jT3_P12ihipStream_tbPNSt15iterator_traitsISK_E10value_typeEPNSQ_ISL_E10value_typeEPSM_NS1_7vsmem_tEENKUlT_SK_SL_SM_E_clIPtSE_SF_SF_EESJ_SZ_SK_SL_SM_EUlSZ_E1_NS1_11comp_targetILNS1_3genE8ELNS1_11target_archE1030ELNS1_3gpuE2ELNS1_3repE0EEENS1_36merge_oddeven_config_static_selectorELNS0_4arch9wavefront6targetE1EEEvSL_,"axG",@progbits,_ZN7rocprim17ROCPRIM_400000_NS6detail17trampoline_kernelINS0_14default_configENS1_38merge_sort_block_merge_config_selectorItNS0_10empty_typeEEEZZNS1_27merge_sort_block_merge_implIS3_N6thrust23THRUST_200600_302600_NS6detail15normal_iteratorINS9_10device_ptrItEEEEPS5_jNS1_19radix_merge_compareILb0ELb1EtNS0_19identity_decomposerEEEEE10hipError_tT0_T1_T2_jT3_P12ihipStream_tbPNSt15iterator_traitsISK_E10value_typeEPNSQ_ISL_E10value_typeEPSM_NS1_7vsmem_tEENKUlT_SK_SL_SM_E_clIPtSE_SF_SF_EESJ_SZ_SK_SL_SM_EUlSZ_E1_NS1_11comp_targetILNS1_3genE8ELNS1_11target_archE1030ELNS1_3gpuE2ELNS1_3repE0EEENS1_36merge_oddeven_config_static_selectorELNS0_4arch9wavefront6targetE1EEEvSL_,comdat
.Lfunc_end1286:
	.size	_ZN7rocprim17ROCPRIM_400000_NS6detail17trampoline_kernelINS0_14default_configENS1_38merge_sort_block_merge_config_selectorItNS0_10empty_typeEEEZZNS1_27merge_sort_block_merge_implIS3_N6thrust23THRUST_200600_302600_NS6detail15normal_iteratorINS9_10device_ptrItEEEEPS5_jNS1_19radix_merge_compareILb0ELb1EtNS0_19identity_decomposerEEEEE10hipError_tT0_T1_T2_jT3_P12ihipStream_tbPNSt15iterator_traitsISK_E10value_typeEPNSQ_ISL_E10value_typeEPSM_NS1_7vsmem_tEENKUlT_SK_SL_SM_E_clIPtSE_SF_SF_EESJ_SZ_SK_SL_SM_EUlSZ_E1_NS1_11comp_targetILNS1_3genE8ELNS1_11target_archE1030ELNS1_3gpuE2ELNS1_3repE0EEENS1_36merge_oddeven_config_static_selectorELNS0_4arch9wavefront6targetE1EEEvSL_, .Lfunc_end1286-_ZN7rocprim17ROCPRIM_400000_NS6detail17trampoline_kernelINS0_14default_configENS1_38merge_sort_block_merge_config_selectorItNS0_10empty_typeEEEZZNS1_27merge_sort_block_merge_implIS3_N6thrust23THRUST_200600_302600_NS6detail15normal_iteratorINS9_10device_ptrItEEEEPS5_jNS1_19radix_merge_compareILb0ELb1EtNS0_19identity_decomposerEEEEE10hipError_tT0_T1_T2_jT3_P12ihipStream_tbPNSt15iterator_traitsISK_E10value_typeEPNSQ_ISL_E10value_typeEPSM_NS1_7vsmem_tEENKUlT_SK_SL_SM_E_clIPtSE_SF_SF_EESJ_SZ_SK_SL_SM_EUlSZ_E1_NS1_11comp_targetILNS1_3genE8ELNS1_11target_archE1030ELNS1_3gpuE2ELNS1_3repE0EEENS1_36merge_oddeven_config_static_selectorELNS0_4arch9wavefront6targetE1EEEvSL_
                                        ; -- End function
	.section	.AMDGPU.csdata,"",@progbits
; Kernel info:
; codeLenInByte = 0
; NumSgprs: 4
; NumVgprs: 0
; NumAgprs: 0
; TotalNumVgprs: 0
; ScratchSize: 0
; MemoryBound: 0
; FloatMode: 240
; IeeeMode: 1
; LDSByteSize: 0 bytes/workgroup (compile time only)
; SGPRBlocks: 0
; VGPRBlocks: 0
; NumSGPRsForWavesPerEU: 4
; NumVGPRsForWavesPerEU: 1
; AccumOffset: 4
; Occupancy: 8
; WaveLimiterHint : 0
; COMPUTE_PGM_RSRC2:SCRATCH_EN: 0
; COMPUTE_PGM_RSRC2:USER_SGPR: 6
; COMPUTE_PGM_RSRC2:TRAP_HANDLER: 0
; COMPUTE_PGM_RSRC2:TGID_X_EN: 1
; COMPUTE_PGM_RSRC2:TGID_Y_EN: 0
; COMPUTE_PGM_RSRC2:TGID_Z_EN: 0
; COMPUTE_PGM_RSRC2:TIDIG_COMP_CNT: 0
; COMPUTE_PGM_RSRC3_GFX90A:ACCUM_OFFSET: 0
; COMPUTE_PGM_RSRC3_GFX90A:TG_SPLIT: 0
	.section	.text._ZN7rocprim17ROCPRIM_400000_NS6detail17trampoline_kernelINS0_14default_configENS1_38merge_sort_block_merge_config_selectorItNS0_10empty_typeEEEZZNS1_27merge_sort_block_merge_implIS3_N6thrust23THRUST_200600_302600_NS6detail15normal_iteratorINS9_10device_ptrItEEEEPS5_jNS1_19radix_merge_compareILb0ELb1EtNS0_19identity_decomposerEEEEE10hipError_tT0_T1_T2_jT3_P12ihipStream_tbPNSt15iterator_traitsISK_E10value_typeEPNSQ_ISL_E10value_typeEPSM_NS1_7vsmem_tEENKUlT_SK_SL_SM_E_clISE_PtSF_SF_EESJ_SZ_SK_SL_SM_EUlSZ_E_NS1_11comp_targetILNS1_3genE0ELNS1_11target_archE4294967295ELNS1_3gpuE0ELNS1_3repE0EEENS1_48merge_mergepath_partition_config_static_selectorELNS0_4arch9wavefront6targetE1EEEvSL_,"axG",@progbits,_ZN7rocprim17ROCPRIM_400000_NS6detail17trampoline_kernelINS0_14default_configENS1_38merge_sort_block_merge_config_selectorItNS0_10empty_typeEEEZZNS1_27merge_sort_block_merge_implIS3_N6thrust23THRUST_200600_302600_NS6detail15normal_iteratorINS9_10device_ptrItEEEEPS5_jNS1_19radix_merge_compareILb0ELb1EtNS0_19identity_decomposerEEEEE10hipError_tT0_T1_T2_jT3_P12ihipStream_tbPNSt15iterator_traitsISK_E10value_typeEPNSQ_ISL_E10value_typeEPSM_NS1_7vsmem_tEENKUlT_SK_SL_SM_E_clISE_PtSF_SF_EESJ_SZ_SK_SL_SM_EUlSZ_E_NS1_11comp_targetILNS1_3genE0ELNS1_11target_archE4294967295ELNS1_3gpuE0ELNS1_3repE0EEENS1_48merge_mergepath_partition_config_static_selectorELNS0_4arch9wavefront6targetE1EEEvSL_,comdat
	.protected	_ZN7rocprim17ROCPRIM_400000_NS6detail17trampoline_kernelINS0_14default_configENS1_38merge_sort_block_merge_config_selectorItNS0_10empty_typeEEEZZNS1_27merge_sort_block_merge_implIS3_N6thrust23THRUST_200600_302600_NS6detail15normal_iteratorINS9_10device_ptrItEEEEPS5_jNS1_19radix_merge_compareILb0ELb1EtNS0_19identity_decomposerEEEEE10hipError_tT0_T1_T2_jT3_P12ihipStream_tbPNSt15iterator_traitsISK_E10value_typeEPNSQ_ISL_E10value_typeEPSM_NS1_7vsmem_tEENKUlT_SK_SL_SM_E_clISE_PtSF_SF_EESJ_SZ_SK_SL_SM_EUlSZ_E_NS1_11comp_targetILNS1_3genE0ELNS1_11target_archE4294967295ELNS1_3gpuE0ELNS1_3repE0EEENS1_48merge_mergepath_partition_config_static_selectorELNS0_4arch9wavefront6targetE1EEEvSL_ ; -- Begin function _ZN7rocprim17ROCPRIM_400000_NS6detail17trampoline_kernelINS0_14default_configENS1_38merge_sort_block_merge_config_selectorItNS0_10empty_typeEEEZZNS1_27merge_sort_block_merge_implIS3_N6thrust23THRUST_200600_302600_NS6detail15normal_iteratorINS9_10device_ptrItEEEEPS5_jNS1_19radix_merge_compareILb0ELb1EtNS0_19identity_decomposerEEEEE10hipError_tT0_T1_T2_jT3_P12ihipStream_tbPNSt15iterator_traitsISK_E10value_typeEPNSQ_ISL_E10value_typeEPSM_NS1_7vsmem_tEENKUlT_SK_SL_SM_E_clISE_PtSF_SF_EESJ_SZ_SK_SL_SM_EUlSZ_E_NS1_11comp_targetILNS1_3genE0ELNS1_11target_archE4294967295ELNS1_3gpuE0ELNS1_3repE0EEENS1_48merge_mergepath_partition_config_static_selectorELNS0_4arch9wavefront6targetE1EEEvSL_
	.globl	_ZN7rocprim17ROCPRIM_400000_NS6detail17trampoline_kernelINS0_14default_configENS1_38merge_sort_block_merge_config_selectorItNS0_10empty_typeEEEZZNS1_27merge_sort_block_merge_implIS3_N6thrust23THRUST_200600_302600_NS6detail15normal_iteratorINS9_10device_ptrItEEEEPS5_jNS1_19radix_merge_compareILb0ELb1EtNS0_19identity_decomposerEEEEE10hipError_tT0_T1_T2_jT3_P12ihipStream_tbPNSt15iterator_traitsISK_E10value_typeEPNSQ_ISL_E10value_typeEPSM_NS1_7vsmem_tEENKUlT_SK_SL_SM_E_clISE_PtSF_SF_EESJ_SZ_SK_SL_SM_EUlSZ_E_NS1_11comp_targetILNS1_3genE0ELNS1_11target_archE4294967295ELNS1_3gpuE0ELNS1_3repE0EEENS1_48merge_mergepath_partition_config_static_selectorELNS0_4arch9wavefront6targetE1EEEvSL_
	.p2align	8
	.type	_ZN7rocprim17ROCPRIM_400000_NS6detail17trampoline_kernelINS0_14default_configENS1_38merge_sort_block_merge_config_selectorItNS0_10empty_typeEEEZZNS1_27merge_sort_block_merge_implIS3_N6thrust23THRUST_200600_302600_NS6detail15normal_iteratorINS9_10device_ptrItEEEEPS5_jNS1_19radix_merge_compareILb0ELb1EtNS0_19identity_decomposerEEEEE10hipError_tT0_T1_T2_jT3_P12ihipStream_tbPNSt15iterator_traitsISK_E10value_typeEPNSQ_ISL_E10value_typeEPSM_NS1_7vsmem_tEENKUlT_SK_SL_SM_E_clISE_PtSF_SF_EESJ_SZ_SK_SL_SM_EUlSZ_E_NS1_11comp_targetILNS1_3genE0ELNS1_11target_archE4294967295ELNS1_3gpuE0ELNS1_3repE0EEENS1_48merge_mergepath_partition_config_static_selectorELNS0_4arch9wavefront6targetE1EEEvSL_,@function
_ZN7rocprim17ROCPRIM_400000_NS6detail17trampoline_kernelINS0_14default_configENS1_38merge_sort_block_merge_config_selectorItNS0_10empty_typeEEEZZNS1_27merge_sort_block_merge_implIS3_N6thrust23THRUST_200600_302600_NS6detail15normal_iteratorINS9_10device_ptrItEEEEPS5_jNS1_19radix_merge_compareILb0ELb1EtNS0_19identity_decomposerEEEEE10hipError_tT0_T1_T2_jT3_P12ihipStream_tbPNSt15iterator_traitsISK_E10value_typeEPNSQ_ISL_E10value_typeEPSM_NS1_7vsmem_tEENKUlT_SK_SL_SM_E_clISE_PtSF_SF_EESJ_SZ_SK_SL_SM_EUlSZ_E_NS1_11comp_targetILNS1_3genE0ELNS1_11target_archE4294967295ELNS1_3gpuE0ELNS1_3repE0EEENS1_48merge_mergepath_partition_config_static_selectorELNS0_4arch9wavefront6targetE1EEEvSL_: ; @_ZN7rocprim17ROCPRIM_400000_NS6detail17trampoline_kernelINS0_14default_configENS1_38merge_sort_block_merge_config_selectorItNS0_10empty_typeEEEZZNS1_27merge_sort_block_merge_implIS3_N6thrust23THRUST_200600_302600_NS6detail15normal_iteratorINS9_10device_ptrItEEEEPS5_jNS1_19radix_merge_compareILb0ELb1EtNS0_19identity_decomposerEEEEE10hipError_tT0_T1_T2_jT3_P12ihipStream_tbPNSt15iterator_traitsISK_E10value_typeEPNSQ_ISL_E10value_typeEPSM_NS1_7vsmem_tEENKUlT_SK_SL_SM_E_clISE_PtSF_SF_EESJ_SZ_SK_SL_SM_EUlSZ_E_NS1_11comp_targetILNS1_3genE0ELNS1_11target_archE4294967295ELNS1_3gpuE0ELNS1_3repE0EEENS1_48merge_mergepath_partition_config_static_selectorELNS0_4arch9wavefront6targetE1EEEvSL_
; %bb.0:
	.section	.rodata,"a",@progbits
	.p2align	6, 0x0
	.amdhsa_kernel _ZN7rocprim17ROCPRIM_400000_NS6detail17trampoline_kernelINS0_14default_configENS1_38merge_sort_block_merge_config_selectorItNS0_10empty_typeEEEZZNS1_27merge_sort_block_merge_implIS3_N6thrust23THRUST_200600_302600_NS6detail15normal_iteratorINS9_10device_ptrItEEEEPS5_jNS1_19radix_merge_compareILb0ELb1EtNS0_19identity_decomposerEEEEE10hipError_tT0_T1_T2_jT3_P12ihipStream_tbPNSt15iterator_traitsISK_E10value_typeEPNSQ_ISL_E10value_typeEPSM_NS1_7vsmem_tEENKUlT_SK_SL_SM_E_clISE_PtSF_SF_EESJ_SZ_SK_SL_SM_EUlSZ_E_NS1_11comp_targetILNS1_3genE0ELNS1_11target_archE4294967295ELNS1_3gpuE0ELNS1_3repE0EEENS1_48merge_mergepath_partition_config_static_selectorELNS0_4arch9wavefront6targetE1EEEvSL_
		.amdhsa_group_segment_fixed_size 0
		.amdhsa_private_segment_fixed_size 0
		.amdhsa_kernarg_size 40
		.amdhsa_user_sgpr_count 6
		.amdhsa_user_sgpr_private_segment_buffer 1
		.amdhsa_user_sgpr_dispatch_ptr 0
		.amdhsa_user_sgpr_queue_ptr 0
		.amdhsa_user_sgpr_kernarg_segment_ptr 1
		.amdhsa_user_sgpr_dispatch_id 0
		.amdhsa_user_sgpr_flat_scratch_init 0
		.amdhsa_user_sgpr_kernarg_preload_length 0
		.amdhsa_user_sgpr_kernarg_preload_offset 0
		.amdhsa_user_sgpr_private_segment_size 0
		.amdhsa_uses_dynamic_stack 0
		.amdhsa_system_sgpr_private_segment_wavefront_offset 0
		.amdhsa_system_sgpr_workgroup_id_x 1
		.amdhsa_system_sgpr_workgroup_id_y 0
		.amdhsa_system_sgpr_workgroup_id_z 0
		.amdhsa_system_sgpr_workgroup_info 0
		.amdhsa_system_vgpr_workitem_id 0
		.amdhsa_next_free_vgpr 1
		.amdhsa_next_free_sgpr 0
		.amdhsa_accum_offset 4
		.amdhsa_reserve_vcc 0
		.amdhsa_reserve_flat_scratch 0
		.amdhsa_float_round_mode_32 0
		.amdhsa_float_round_mode_16_64 0
		.amdhsa_float_denorm_mode_32 3
		.amdhsa_float_denorm_mode_16_64 3
		.amdhsa_dx10_clamp 1
		.amdhsa_ieee_mode 1
		.amdhsa_fp16_overflow 0
		.amdhsa_tg_split 0
		.amdhsa_exception_fp_ieee_invalid_op 0
		.amdhsa_exception_fp_denorm_src 0
		.amdhsa_exception_fp_ieee_div_zero 0
		.amdhsa_exception_fp_ieee_overflow 0
		.amdhsa_exception_fp_ieee_underflow 0
		.amdhsa_exception_fp_ieee_inexact 0
		.amdhsa_exception_int_div_zero 0
	.end_amdhsa_kernel
	.section	.text._ZN7rocprim17ROCPRIM_400000_NS6detail17trampoline_kernelINS0_14default_configENS1_38merge_sort_block_merge_config_selectorItNS0_10empty_typeEEEZZNS1_27merge_sort_block_merge_implIS3_N6thrust23THRUST_200600_302600_NS6detail15normal_iteratorINS9_10device_ptrItEEEEPS5_jNS1_19radix_merge_compareILb0ELb1EtNS0_19identity_decomposerEEEEE10hipError_tT0_T1_T2_jT3_P12ihipStream_tbPNSt15iterator_traitsISK_E10value_typeEPNSQ_ISL_E10value_typeEPSM_NS1_7vsmem_tEENKUlT_SK_SL_SM_E_clISE_PtSF_SF_EESJ_SZ_SK_SL_SM_EUlSZ_E_NS1_11comp_targetILNS1_3genE0ELNS1_11target_archE4294967295ELNS1_3gpuE0ELNS1_3repE0EEENS1_48merge_mergepath_partition_config_static_selectorELNS0_4arch9wavefront6targetE1EEEvSL_,"axG",@progbits,_ZN7rocprim17ROCPRIM_400000_NS6detail17trampoline_kernelINS0_14default_configENS1_38merge_sort_block_merge_config_selectorItNS0_10empty_typeEEEZZNS1_27merge_sort_block_merge_implIS3_N6thrust23THRUST_200600_302600_NS6detail15normal_iteratorINS9_10device_ptrItEEEEPS5_jNS1_19radix_merge_compareILb0ELb1EtNS0_19identity_decomposerEEEEE10hipError_tT0_T1_T2_jT3_P12ihipStream_tbPNSt15iterator_traitsISK_E10value_typeEPNSQ_ISL_E10value_typeEPSM_NS1_7vsmem_tEENKUlT_SK_SL_SM_E_clISE_PtSF_SF_EESJ_SZ_SK_SL_SM_EUlSZ_E_NS1_11comp_targetILNS1_3genE0ELNS1_11target_archE4294967295ELNS1_3gpuE0ELNS1_3repE0EEENS1_48merge_mergepath_partition_config_static_selectorELNS0_4arch9wavefront6targetE1EEEvSL_,comdat
.Lfunc_end1287:
	.size	_ZN7rocprim17ROCPRIM_400000_NS6detail17trampoline_kernelINS0_14default_configENS1_38merge_sort_block_merge_config_selectorItNS0_10empty_typeEEEZZNS1_27merge_sort_block_merge_implIS3_N6thrust23THRUST_200600_302600_NS6detail15normal_iteratorINS9_10device_ptrItEEEEPS5_jNS1_19radix_merge_compareILb0ELb1EtNS0_19identity_decomposerEEEEE10hipError_tT0_T1_T2_jT3_P12ihipStream_tbPNSt15iterator_traitsISK_E10value_typeEPNSQ_ISL_E10value_typeEPSM_NS1_7vsmem_tEENKUlT_SK_SL_SM_E_clISE_PtSF_SF_EESJ_SZ_SK_SL_SM_EUlSZ_E_NS1_11comp_targetILNS1_3genE0ELNS1_11target_archE4294967295ELNS1_3gpuE0ELNS1_3repE0EEENS1_48merge_mergepath_partition_config_static_selectorELNS0_4arch9wavefront6targetE1EEEvSL_, .Lfunc_end1287-_ZN7rocprim17ROCPRIM_400000_NS6detail17trampoline_kernelINS0_14default_configENS1_38merge_sort_block_merge_config_selectorItNS0_10empty_typeEEEZZNS1_27merge_sort_block_merge_implIS3_N6thrust23THRUST_200600_302600_NS6detail15normal_iteratorINS9_10device_ptrItEEEEPS5_jNS1_19radix_merge_compareILb0ELb1EtNS0_19identity_decomposerEEEEE10hipError_tT0_T1_T2_jT3_P12ihipStream_tbPNSt15iterator_traitsISK_E10value_typeEPNSQ_ISL_E10value_typeEPSM_NS1_7vsmem_tEENKUlT_SK_SL_SM_E_clISE_PtSF_SF_EESJ_SZ_SK_SL_SM_EUlSZ_E_NS1_11comp_targetILNS1_3genE0ELNS1_11target_archE4294967295ELNS1_3gpuE0ELNS1_3repE0EEENS1_48merge_mergepath_partition_config_static_selectorELNS0_4arch9wavefront6targetE1EEEvSL_
                                        ; -- End function
	.section	.AMDGPU.csdata,"",@progbits
; Kernel info:
; codeLenInByte = 0
; NumSgprs: 4
; NumVgprs: 0
; NumAgprs: 0
; TotalNumVgprs: 0
; ScratchSize: 0
; MemoryBound: 0
; FloatMode: 240
; IeeeMode: 1
; LDSByteSize: 0 bytes/workgroup (compile time only)
; SGPRBlocks: 0
; VGPRBlocks: 0
; NumSGPRsForWavesPerEU: 4
; NumVGPRsForWavesPerEU: 1
; AccumOffset: 4
; Occupancy: 8
; WaveLimiterHint : 0
; COMPUTE_PGM_RSRC2:SCRATCH_EN: 0
; COMPUTE_PGM_RSRC2:USER_SGPR: 6
; COMPUTE_PGM_RSRC2:TRAP_HANDLER: 0
; COMPUTE_PGM_RSRC2:TGID_X_EN: 1
; COMPUTE_PGM_RSRC2:TGID_Y_EN: 0
; COMPUTE_PGM_RSRC2:TGID_Z_EN: 0
; COMPUTE_PGM_RSRC2:TIDIG_COMP_CNT: 0
; COMPUTE_PGM_RSRC3_GFX90A:ACCUM_OFFSET: 0
; COMPUTE_PGM_RSRC3_GFX90A:TG_SPLIT: 0
	.section	.text._ZN7rocprim17ROCPRIM_400000_NS6detail17trampoline_kernelINS0_14default_configENS1_38merge_sort_block_merge_config_selectorItNS0_10empty_typeEEEZZNS1_27merge_sort_block_merge_implIS3_N6thrust23THRUST_200600_302600_NS6detail15normal_iteratorINS9_10device_ptrItEEEEPS5_jNS1_19radix_merge_compareILb0ELb1EtNS0_19identity_decomposerEEEEE10hipError_tT0_T1_T2_jT3_P12ihipStream_tbPNSt15iterator_traitsISK_E10value_typeEPNSQ_ISL_E10value_typeEPSM_NS1_7vsmem_tEENKUlT_SK_SL_SM_E_clISE_PtSF_SF_EESJ_SZ_SK_SL_SM_EUlSZ_E_NS1_11comp_targetILNS1_3genE10ELNS1_11target_archE1201ELNS1_3gpuE5ELNS1_3repE0EEENS1_48merge_mergepath_partition_config_static_selectorELNS0_4arch9wavefront6targetE1EEEvSL_,"axG",@progbits,_ZN7rocprim17ROCPRIM_400000_NS6detail17trampoline_kernelINS0_14default_configENS1_38merge_sort_block_merge_config_selectorItNS0_10empty_typeEEEZZNS1_27merge_sort_block_merge_implIS3_N6thrust23THRUST_200600_302600_NS6detail15normal_iteratorINS9_10device_ptrItEEEEPS5_jNS1_19radix_merge_compareILb0ELb1EtNS0_19identity_decomposerEEEEE10hipError_tT0_T1_T2_jT3_P12ihipStream_tbPNSt15iterator_traitsISK_E10value_typeEPNSQ_ISL_E10value_typeEPSM_NS1_7vsmem_tEENKUlT_SK_SL_SM_E_clISE_PtSF_SF_EESJ_SZ_SK_SL_SM_EUlSZ_E_NS1_11comp_targetILNS1_3genE10ELNS1_11target_archE1201ELNS1_3gpuE5ELNS1_3repE0EEENS1_48merge_mergepath_partition_config_static_selectorELNS0_4arch9wavefront6targetE1EEEvSL_,comdat
	.protected	_ZN7rocprim17ROCPRIM_400000_NS6detail17trampoline_kernelINS0_14default_configENS1_38merge_sort_block_merge_config_selectorItNS0_10empty_typeEEEZZNS1_27merge_sort_block_merge_implIS3_N6thrust23THRUST_200600_302600_NS6detail15normal_iteratorINS9_10device_ptrItEEEEPS5_jNS1_19radix_merge_compareILb0ELb1EtNS0_19identity_decomposerEEEEE10hipError_tT0_T1_T2_jT3_P12ihipStream_tbPNSt15iterator_traitsISK_E10value_typeEPNSQ_ISL_E10value_typeEPSM_NS1_7vsmem_tEENKUlT_SK_SL_SM_E_clISE_PtSF_SF_EESJ_SZ_SK_SL_SM_EUlSZ_E_NS1_11comp_targetILNS1_3genE10ELNS1_11target_archE1201ELNS1_3gpuE5ELNS1_3repE0EEENS1_48merge_mergepath_partition_config_static_selectorELNS0_4arch9wavefront6targetE1EEEvSL_ ; -- Begin function _ZN7rocprim17ROCPRIM_400000_NS6detail17trampoline_kernelINS0_14default_configENS1_38merge_sort_block_merge_config_selectorItNS0_10empty_typeEEEZZNS1_27merge_sort_block_merge_implIS3_N6thrust23THRUST_200600_302600_NS6detail15normal_iteratorINS9_10device_ptrItEEEEPS5_jNS1_19radix_merge_compareILb0ELb1EtNS0_19identity_decomposerEEEEE10hipError_tT0_T1_T2_jT3_P12ihipStream_tbPNSt15iterator_traitsISK_E10value_typeEPNSQ_ISL_E10value_typeEPSM_NS1_7vsmem_tEENKUlT_SK_SL_SM_E_clISE_PtSF_SF_EESJ_SZ_SK_SL_SM_EUlSZ_E_NS1_11comp_targetILNS1_3genE10ELNS1_11target_archE1201ELNS1_3gpuE5ELNS1_3repE0EEENS1_48merge_mergepath_partition_config_static_selectorELNS0_4arch9wavefront6targetE1EEEvSL_
	.globl	_ZN7rocprim17ROCPRIM_400000_NS6detail17trampoline_kernelINS0_14default_configENS1_38merge_sort_block_merge_config_selectorItNS0_10empty_typeEEEZZNS1_27merge_sort_block_merge_implIS3_N6thrust23THRUST_200600_302600_NS6detail15normal_iteratorINS9_10device_ptrItEEEEPS5_jNS1_19radix_merge_compareILb0ELb1EtNS0_19identity_decomposerEEEEE10hipError_tT0_T1_T2_jT3_P12ihipStream_tbPNSt15iterator_traitsISK_E10value_typeEPNSQ_ISL_E10value_typeEPSM_NS1_7vsmem_tEENKUlT_SK_SL_SM_E_clISE_PtSF_SF_EESJ_SZ_SK_SL_SM_EUlSZ_E_NS1_11comp_targetILNS1_3genE10ELNS1_11target_archE1201ELNS1_3gpuE5ELNS1_3repE0EEENS1_48merge_mergepath_partition_config_static_selectorELNS0_4arch9wavefront6targetE1EEEvSL_
	.p2align	8
	.type	_ZN7rocprim17ROCPRIM_400000_NS6detail17trampoline_kernelINS0_14default_configENS1_38merge_sort_block_merge_config_selectorItNS0_10empty_typeEEEZZNS1_27merge_sort_block_merge_implIS3_N6thrust23THRUST_200600_302600_NS6detail15normal_iteratorINS9_10device_ptrItEEEEPS5_jNS1_19radix_merge_compareILb0ELb1EtNS0_19identity_decomposerEEEEE10hipError_tT0_T1_T2_jT3_P12ihipStream_tbPNSt15iterator_traitsISK_E10value_typeEPNSQ_ISL_E10value_typeEPSM_NS1_7vsmem_tEENKUlT_SK_SL_SM_E_clISE_PtSF_SF_EESJ_SZ_SK_SL_SM_EUlSZ_E_NS1_11comp_targetILNS1_3genE10ELNS1_11target_archE1201ELNS1_3gpuE5ELNS1_3repE0EEENS1_48merge_mergepath_partition_config_static_selectorELNS0_4arch9wavefront6targetE1EEEvSL_,@function
_ZN7rocprim17ROCPRIM_400000_NS6detail17trampoline_kernelINS0_14default_configENS1_38merge_sort_block_merge_config_selectorItNS0_10empty_typeEEEZZNS1_27merge_sort_block_merge_implIS3_N6thrust23THRUST_200600_302600_NS6detail15normal_iteratorINS9_10device_ptrItEEEEPS5_jNS1_19radix_merge_compareILb0ELb1EtNS0_19identity_decomposerEEEEE10hipError_tT0_T1_T2_jT3_P12ihipStream_tbPNSt15iterator_traitsISK_E10value_typeEPNSQ_ISL_E10value_typeEPSM_NS1_7vsmem_tEENKUlT_SK_SL_SM_E_clISE_PtSF_SF_EESJ_SZ_SK_SL_SM_EUlSZ_E_NS1_11comp_targetILNS1_3genE10ELNS1_11target_archE1201ELNS1_3gpuE5ELNS1_3repE0EEENS1_48merge_mergepath_partition_config_static_selectorELNS0_4arch9wavefront6targetE1EEEvSL_: ; @_ZN7rocprim17ROCPRIM_400000_NS6detail17trampoline_kernelINS0_14default_configENS1_38merge_sort_block_merge_config_selectorItNS0_10empty_typeEEEZZNS1_27merge_sort_block_merge_implIS3_N6thrust23THRUST_200600_302600_NS6detail15normal_iteratorINS9_10device_ptrItEEEEPS5_jNS1_19radix_merge_compareILb0ELb1EtNS0_19identity_decomposerEEEEE10hipError_tT0_T1_T2_jT3_P12ihipStream_tbPNSt15iterator_traitsISK_E10value_typeEPNSQ_ISL_E10value_typeEPSM_NS1_7vsmem_tEENKUlT_SK_SL_SM_E_clISE_PtSF_SF_EESJ_SZ_SK_SL_SM_EUlSZ_E_NS1_11comp_targetILNS1_3genE10ELNS1_11target_archE1201ELNS1_3gpuE5ELNS1_3repE0EEENS1_48merge_mergepath_partition_config_static_selectorELNS0_4arch9wavefront6targetE1EEEvSL_
; %bb.0:
	.section	.rodata,"a",@progbits
	.p2align	6, 0x0
	.amdhsa_kernel _ZN7rocprim17ROCPRIM_400000_NS6detail17trampoline_kernelINS0_14default_configENS1_38merge_sort_block_merge_config_selectorItNS0_10empty_typeEEEZZNS1_27merge_sort_block_merge_implIS3_N6thrust23THRUST_200600_302600_NS6detail15normal_iteratorINS9_10device_ptrItEEEEPS5_jNS1_19radix_merge_compareILb0ELb1EtNS0_19identity_decomposerEEEEE10hipError_tT0_T1_T2_jT3_P12ihipStream_tbPNSt15iterator_traitsISK_E10value_typeEPNSQ_ISL_E10value_typeEPSM_NS1_7vsmem_tEENKUlT_SK_SL_SM_E_clISE_PtSF_SF_EESJ_SZ_SK_SL_SM_EUlSZ_E_NS1_11comp_targetILNS1_3genE10ELNS1_11target_archE1201ELNS1_3gpuE5ELNS1_3repE0EEENS1_48merge_mergepath_partition_config_static_selectorELNS0_4arch9wavefront6targetE1EEEvSL_
		.amdhsa_group_segment_fixed_size 0
		.amdhsa_private_segment_fixed_size 0
		.amdhsa_kernarg_size 40
		.amdhsa_user_sgpr_count 6
		.amdhsa_user_sgpr_private_segment_buffer 1
		.amdhsa_user_sgpr_dispatch_ptr 0
		.amdhsa_user_sgpr_queue_ptr 0
		.amdhsa_user_sgpr_kernarg_segment_ptr 1
		.amdhsa_user_sgpr_dispatch_id 0
		.amdhsa_user_sgpr_flat_scratch_init 0
		.amdhsa_user_sgpr_kernarg_preload_length 0
		.amdhsa_user_sgpr_kernarg_preload_offset 0
		.amdhsa_user_sgpr_private_segment_size 0
		.amdhsa_uses_dynamic_stack 0
		.amdhsa_system_sgpr_private_segment_wavefront_offset 0
		.amdhsa_system_sgpr_workgroup_id_x 1
		.amdhsa_system_sgpr_workgroup_id_y 0
		.amdhsa_system_sgpr_workgroup_id_z 0
		.amdhsa_system_sgpr_workgroup_info 0
		.amdhsa_system_vgpr_workitem_id 0
		.amdhsa_next_free_vgpr 1
		.amdhsa_next_free_sgpr 0
		.amdhsa_accum_offset 4
		.amdhsa_reserve_vcc 0
		.amdhsa_reserve_flat_scratch 0
		.amdhsa_float_round_mode_32 0
		.amdhsa_float_round_mode_16_64 0
		.amdhsa_float_denorm_mode_32 3
		.amdhsa_float_denorm_mode_16_64 3
		.amdhsa_dx10_clamp 1
		.amdhsa_ieee_mode 1
		.amdhsa_fp16_overflow 0
		.amdhsa_tg_split 0
		.amdhsa_exception_fp_ieee_invalid_op 0
		.amdhsa_exception_fp_denorm_src 0
		.amdhsa_exception_fp_ieee_div_zero 0
		.amdhsa_exception_fp_ieee_overflow 0
		.amdhsa_exception_fp_ieee_underflow 0
		.amdhsa_exception_fp_ieee_inexact 0
		.amdhsa_exception_int_div_zero 0
	.end_amdhsa_kernel
	.section	.text._ZN7rocprim17ROCPRIM_400000_NS6detail17trampoline_kernelINS0_14default_configENS1_38merge_sort_block_merge_config_selectorItNS0_10empty_typeEEEZZNS1_27merge_sort_block_merge_implIS3_N6thrust23THRUST_200600_302600_NS6detail15normal_iteratorINS9_10device_ptrItEEEEPS5_jNS1_19radix_merge_compareILb0ELb1EtNS0_19identity_decomposerEEEEE10hipError_tT0_T1_T2_jT3_P12ihipStream_tbPNSt15iterator_traitsISK_E10value_typeEPNSQ_ISL_E10value_typeEPSM_NS1_7vsmem_tEENKUlT_SK_SL_SM_E_clISE_PtSF_SF_EESJ_SZ_SK_SL_SM_EUlSZ_E_NS1_11comp_targetILNS1_3genE10ELNS1_11target_archE1201ELNS1_3gpuE5ELNS1_3repE0EEENS1_48merge_mergepath_partition_config_static_selectorELNS0_4arch9wavefront6targetE1EEEvSL_,"axG",@progbits,_ZN7rocprim17ROCPRIM_400000_NS6detail17trampoline_kernelINS0_14default_configENS1_38merge_sort_block_merge_config_selectorItNS0_10empty_typeEEEZZNS1_27merge_sort_block_merge_implIS3_N6thrust23THRUST_200600_302600_NS6detail15normal_iteratorINS9_10device_ptrItEEEEPS5_jNS1_19radix_merge_compareILb0ELb1EtNS0_19identity_decomposerEEEEE10hipError_tT0_T1_T2_jT3_P12ihipStream_tbPNSt15iterator_traitsISK_E10value_typeEPNSQ_ISL_E10value_typeEPSM_NS1_7vsmem_tEENKUlT_SK_SL_SM_E_clISE_PtSF_SF_EESJ_SZ_SK_SL_SM_EUlSZ_E_NS1_11comp_targetILNS1_3genE10ELNS1_11target_archE1201ELNS1_3gpuE5ELNS1_3repE0EEENS1_48merge_mergepath_partition_config_static_selectorELNS0_4arch9wavefront6targetE1EEEvSL_,comdat
.Lfunc_end1288:
	.size	_ZN7rocprim17ROCPRIM_400000_NS6detail17trampoline_kernelINS0_14default_configENS1_38merge_sort_block_merge_config_selectorItNS0_10empty_typeEEEZZNS1_27merge_sort_block_merge_implIS3_N6thrust23THRUST_200600_302600_NS6detail15normal_iteratorINS9_10device_ptrItEEEEPS5_jNS1_19radix_merge_compareILb0ELb1EtNS0_19identity_decomposerEEEEE10hipError_tT0_T1_T2_jT3_P12ihipStream_tbPNSt15iterator_traitsISK_E10value_typeEPNSQ_ISL_E10value_typeEPSM_NS1_7vsmem_tEENKUlT_SK_SL_SM_E_clISE_PtSF_SF_EESJ_SZ_SK_SL_SM_EUlSZ_E_NS1_11comp_targetILNS1_3genE10ELNS1_11target_archE1201ELNS1_3gpuE5ELNS1_3repE0EEENS1_48merge_mergepath_partition_config_static_selectorELNS0_4arch9wavefront6targetE1EEEvSL_, .Lfunc_end1288-_ZN7rocprim17ROCPRIM_400000_NS6detail17trampoline_kernelINS0_14default_configENS1_38merge_sort_block_merge_config_selectorItNS0_10empty_typeEEEZZNS1_27merge_sort_block_merge_implIS3_N6thrust23THRUST_200600_302600_NS6detail15normal_iteratorINS9_10device_ptrItEEEEPS5_jNS1_19radix_merge_compareILb0ELb1EtNS0_19identity_decomposerEEEEE10hipError_tT0_T1_T2_jT3_P12ihipStream_tbPNSt15iterator_traitsISK_E10value_typeEPNSQ_ISL_E10value_typeEPSM_NS1_7vsmem_tEENKUlT_SK_SL_SM_E_clISE_PtSF_SF_EESJ_SZ_SK_SL_SM_EUlSZ_E_NS1_11comp_targetILNS1_3genE10ELNS1_11target_archE1201ELNS1_3gpuE5ELNS1_3repE0EEENS1_48merge_mergepath_partition_config_static_selectorELNS0_4arch9wavefront6targetE1EEEvSL_
                                        ; -- End function
	.section	.AMDGPU.csdata,"",@progbits
; Kernel info:
; codeLenInByte = 0
; NumSgprs: 4
; NumVgprs: 0
; NumAgprs: 0
; TotalNumVgprs: 0
; ScratchSize: 0
; MemoryBound: 0
; FloatMode: 240
; IeeeMode: 1
; LDSByteSize: 0 bytes/workgroup (compile time only)
; SGPRBlocks: 0
; VGPRBlocks: 0
; NumSGPRsForWavesPerEU: 4
; NumVGPRsForWavesPerEU: 1
; AccumOffset: 4
; Occupancy: 8
; WaveLimiterHint : 0
; COMPUTE_PGM_RSRC2:SCRATCH_EN: 0
; COMPUTE_PGM_RSRC2:USER_SGPR: 6
; COMPUTE_PGM_RSRC2:TRAP_HANDLER: 0
; COMPUTE_PGM_RSRC2:TGID_X_EN: 1
; COMPUTE_PGM_RSRC2:TGID_Y_EN: 0
; COMPUTE_PGM_RSRC2:TGID_Z_EN: 0
; COMPUTE_PGM_RSRC2:TIDIG_COMP_CNT: 0
; COMPUTE_PGM_RSRC3_GFX90A:ACCUM_OFFSET: 0
; COMPUTE_PGM_RSRC3_GFX90A:TG_SPLIT: 0
	.section	.text._ZN7rocprim17ROCPRIM_400000_NS6detail17trampoline_kernelINS0_14default_configENS1_38merge_sort_block_merge_config_selectorItNS0_10empty_typeEEEZZNS1_27merge_sort_block_merge_implIS3_N6thrust23THRUST_200600_302600_NS6detail15normal_iteratorINS9_10device_ptrItEEEEPS5_jNS1_19radix_merge_compareILb0ELb1EtNS0_19identity_decomposerEEEEE10hipError_tT0_T1_T2_jT3_P12ihipStream_tbPNSt15iterator_traitsISK_E10value_typeEPNSQ_ISL_E10value_typeEPSM_NS1_7vsmem_tEENKUlT_SK_SL_SM_E_clISE_PtSF_SF_EESJ_SZ_SK_SL_SM_EUlSZ_E_NS1_11comp_targetILNS1_3genE5ELNS1_11target_archE942ELNS1_3gpuE9ELNS1_3repE0EEENS1_48merge_mergepath_partition_config_static_selectorELNS0_4arch9wavefront6targetE1EEEvSL_,"axG",@progbits,_ZN7rocprim17ROCPRIM_400000_NS6detail17trampoline_kernelINS0_14default_configENS1_38merge_sort_block_merge_config_selectorItNS0_10empty_typeEEEZZNS1_27merge_sort_block_merge_implIS3_N6thrust23THRUST_200600_302600_NS6detail15normal_iteratorINS9_10device_ptrItEEEEPS5_jNS1_19radix_merge_compareILb0ELb1EtNS0_19identity_decomposerEEEEE10hipError_tT0_T1_T2_jT3_P12ihipStream_tbPNSt15iterator_traitsISK_E10value_typeEPNSQ_ISL_E10value_typeEPSM_NS1_7vsmem_tEENKUlT_SK_SL_SM_E_clISE_PtSF_SF_EESJ_SZ_SK_SL_SM_EUlSZ_E_NS1_11comp_targetILNS1_3genE5ELNS1_11target_archE942ELNS1_3gpuE9ELNS1_3repE0EEENS1_48merge_mergepath_partition_config_static_selectorELNS0_4arch9wavefront6targetE1EEEvSL_,comdat
	.protected	_ZN7rocprim17ROCPRIM_400000_NS6detail17trampoline_kernelINS0_14default_configENS1_38merge_sort_block_merge_config_selectorItNS0_10empty_typeEEEZZNS1_27merge_sort_block_merge_implIS3_N6thrust23THRUST_200600_302600_NS6detail15normal_iteratorINS9_10device_ptrItEEEEPS5_jNS1_19radix_merge_compareILb0ELb1EtNS0_19identity_decomposerEEEEE10hipError_tT0_T1_T2_jT3_P12ihipStream_tbPNSt15iterator_traitsISK_E10value_typeEPNSQ_ISL_E10value_typeEPSM_NS1_7vsmem_tEENKUlT_SK_SL_SM_E_clISE_PtSF_SF_EESJ_SZ_SK_SL_SM_EUlSZ_E_NS1_11comp_targetILNS1_3genE5ELNS1_11target_archE942ELNS1_3gpuE9ELNS1_3repE0EEENS1_48merge_mergepath_partition_config_static_selectorELNS0_4arch9wavefront6targetE1EEEvSL_ ; -- Begin function _ZN7rocprim17ROCPRIM_400000_NS6detail17trampoline_kernelINS0_14default_configENS1_38merge_sort_block_merge_config_selectorItNS0_10empty_typeEEEZZNS1_27merge_sort_block_merge_implIS3_N6thrust23THRUST_200600_302600_NS6detail15normal_iteratorINS9_10device_ptrItEEEEPS5_jNS1_19radix_merge_compareILb0ELb1EtNS0_19identity_decomposerEEEEE10hipError_tT0_T1_T2_jT3_P12ihipStream_tbPNSt15iterator_traitsISK_E10value_typeEPNSQ_ISL_E10value_typeEPSM_NS1_7vsmem_tEENKUlT_SK_SL_SM_E_clISE_PtSF_SF_EESJ_SZ_SK_SL_SM_EUlSZ_E_NS1_11comp_targetILNS1_3genE5ELNS1_11target_archE942ELNS1_3gpuE9ELNS1_3repE0EEENS1_48merge_mergepath_partition_config_static_selectorELNS0_4arch9wavefront6targetE1EEEvSL_
	.globl	_ZN7rocprim17ROCPRIM_400000_NS6detail17trampoline_kernelINS0_14default_configENS1_38merge_sort_block_merge_config_selectorItNS0_10empty_typeEEEZZNS1_27merge_sort_block_merge_implIS3_N6thrust23THRUST_200600_302600_NS6detail15normal_iteratorINS9_10device_ptrItEEEEPS5_jNS1_19radix_merge_compareILb0ELb1EtNS0_19identity_decomposerEEEEE10hipError_tT0_T1_T2_jT3_P12ihipStream_tbPNSt15iterator_traitsISK_E10value_typeEPNSQ_ISL_E10value_typeEPSM_NS1_7vsmem_tEENKUlT_SK_SL_SM_E_clISE_PtSF_SF_EESJ_SZ_SK_SL_SM_EUlSZ_E_NS1_11comp_targetILNS1_3genE5ELNS1_11target_archE942ELNS1_3gpuE9ELNS1_3repE0EEENS1_48merge_mergepath_partition_config_static_selectorELNS0_4arch9wavefront6targetE1EEEvSL_
	.p2align	8
	.type	_ZN7rocprim17ROCPRIM_400000_NS6detail17trampoline_kernelINS0_14default_configENS1_38merge_sort_block_merge_config_selectorItNS0_10empty_typeEEEZZNS1_27merge_sort_block_merge_implIS3_N6thrust23THRUST_200600_302600_NS6detail15normal_iteratorINS9_10device_ptrItEEEEPS5_jNS1_19radix_merge_compareILb0ELb1EtNS0_19identity_decomposerEEEEE10hipError_tT0_T1_T2_jT3_P12ihipStream_tbPNSt15iterator_traitsISK_E10value_typeEPNSQ_ISL_E10value_typeEPSM_NS1_7vsmem_tEENKUlT_SK_SL_SM_E_clISE_PtSF_SF_EESJ_SZ_SK_SL_SM_EUlSZ_E_NS1_11comp_targetILNS1_3genE5ELNS1_11target_archE942ELNS1_3gpuE9ELNS1_3repE0EEENS1_48merge_mergepath_partition_config_static_selectorELNS0_4arch9wavefront6targetE1EEEvSL_,@function
_ZN7rocprim17ROCPRIM_400000_NS6detail17trampoline_kernelINS0_14default_configENS1_38merge_sort_block_merge_config_selectorItNS0_10empty_typeEEEZZNS1_27merge_sort_block_merge_implIS3_N6thrust23THRUST_200600_302600_NS6detail15normal_iteratorINS9_10device_ptrItEEEEPS5_jNS1_19radix_merge_compareILb0ELb1EtNS0_19identity_decomposerEEEEE10hipError_tT0_T1_T2_jT3_P12ihipStream_tbPNSt15iterator_traitsISK_E10value_typeEPNSQ_ISL_E10value_typeEPSM_NS1_7vsmem_tEENKUlT_SK_SL_SM_E_clISE_PtSF_SF_EESJ_SZ_SK_SL_SM_EUlSZ_E_NS1_11comp_targetILNS1_3genE5ELNS1_11target_archE942ELNS1_3gpuE9ELNS1_3repE0EEENS1_48merge_mergepath_partition_config_static_selectorELNS0_4arch9wavefront6targetE1EEEvSL_: ; @_ZN7rocprim17ROCPRIM_400000_NS6detail17trampoline_kernelINS0_14default_configENS1_38merge_sort_block_merge_config_selectorItNS0_10empty_typeEEEZZNS1_27merge_sort_block_merge_implIS3_N6thrust23THRUST_200600_302600_NS6detail15normal_iteratorINS9_10device_ptrItEEEEPS5_jNS1_19radix_merge_compareILb0ELb1EtNS0_19identity_decomposerEEEEE10hipError_tT0_T1_T2_jT3_P12ihipStream_tbPNSt15iterator_traitsISK_E10value_typeEPNSQ_ISL_E10value_typeEPSM_NS1_7vsmem_tEENKUlT_SK_SL_SM_E_clISE_PtSF_SF_EESJ_SZ_SK_SL_SM_EUlSZ_E_NS1_11comp_targetILNS1_3genE5ELNS1_11target_archE942ELNS1_3gpuE9ELNS1_3repE0EEENS1_48merge_mergepath_partition_config_static_selectorELNS0_4arch9wavefront6targetE1EEEvSL_
; %bb.0:
	.section	.rodata,"a",@progbits
	.p2align	6, 0x0
	.amdhsa_kernel _ZN7rocprim17ROCPRIM_400000_NS6detail17trampoline_kernelINS0_14default_configENS1_38merge_sort_block_merge_config_selectorItNS0_10empty_typeEEEZZNS1_27merge_sort_block_merge_implIS3_N6thrust23THRUST_200600_302600_NS6detail15normal_iteratorINS9_10device_ptrItEEEEPS5_jNS1_19radix_merge_compareILb0ELb1EtNS0_19identity_decomposerEEEEE10hipError_tT0_T1_T2_jT3_P12ihipStream_tbPNSt15iterator_traitsISK_E10value_typeEPNSQ_ISL_E10value_typeEPSM_NS1_7vsmem_tEENKUlT_SK_SL_SM_E_clISE_PtSF_SF_EESJ_SZ_SK_SL_SM_EUlSZ_E_NS1_11comp_targetILNS1_3genE5ELNS1_11target_archE942ELNS1_3gpuE9ELNS1_3repE0EEENS1_48merge_mergepath_partition_config_static_selectorELNS0_4arch9wavefront6targetE1EEEvSL_
		.amdhsa_group_segment_fixed_size 0
		.amdhsa_private_segment_fixed_size 0
		.amdhsa_kernarg_size 40
		.amdhsa_user_sgpr_count 6
		.amdhsa_user_sgpr_private_segment_buffer 1
		.amdhsa_user_sgpr_dispatch_ptr 0
		.amdhsa_user_sgpr_queue_ptr 0
		.amdhsa_user_sgpr_kernarg_segment_ptr 1
		.amdhsa_user_sgpr_dispatch_id 0
		.amdhsa_user_sgpr_flat_scratch_init 0
		.amdhsa_user_sgpr_kernarg_preload_length 0
		.amdhsa_user_sgpr_kernarg_preload_offset 0
		.amdhsa_user_sgpr_private_segment_size 0
		.amdhsa_uses_dynamic_stack 0
		.amdhsa_system_sgpr_private_segment_wavefront_offset 0
		.amdhsa_system_sgpr_workgroup_id_x 1
		.amdhsa_system_sgpr_workgroup_id_y 0
		.amdhsa_system_sgpr_workgroup_id_z 0
		.amdhsa_system_sgpr_workgroup_info 0
		.amdhsa_system_vgpr_workitem_id 0
		.amdhsa_next_free_vgpr 1
		.amdhsa_next_free_sgpr 0
		.amdhsa_accum_offset 4
		.amdhsa_reserve_vcc 0
		.amdhsa_reserve_flat_scratch 0
		.amdhsa_float_round_mode_32 0
		.amdhsa_float_round_mode_16_64 0
		.amdhsa_float_denorm_mode_32 3
		.amdhsa_float_denorm_mode_16_64 3
		.amdhsa_dx10_clamp 1
		.amdhsa_ieee_mode 1
		.amdhsa_fp16_overflow 0
		.amdhsa_tg_split 0
		.amdhsa_exception_fp_ieee_invalid_op 0
		.amdhsa_exception_fp_denorm_src 0
		.amdhsa_exception_fp_ieee_div_zero 0
		.amdhsa_exception_fp_ieee_overflow 0
		.amdhsa_exception_fp_ieee_underflow 0
		.amdhsa_exception_fp_ieee_inexact 0
		.amdhsa_exception_int_div_zero 0
	.end_amdhsa_kernel
	.section	.text._ZN7rocprim17ROCPRIM_400000_NS6detail17trampoline_kernelINS0_14default_configENS1_38merge_sort_block_merge_config_selectorItNS0_10empty_typeEEEZZNS1_27merge_sort_block_merge_implIS3_N6thrust23THRUST_200600_302600_NS6detail15normal_iteratorINS9_10device_ptrItEEEEPS5_jNS1_19radix_merge_compareILb0ELb1EtNS0_19identity_decomposerEEEEE10hipError_tT0_T1_T2_jT3_P12ihipStream_tbPNSt15iterator_traitsISK_E10value_typeEPNSQ_ISL_E10value_typeEPSM_NS1_7vsmem_tEENKUlT_SK_SL_SM_E_clISE_PtSF_SF_EESJ_SZ_SK_SL_SM_EUlSZ_E_NS1_11comp_targetILNS1_3genE5ELNS1_11target_archE942ELNS1_3gpuE9ELNS1_3repE0EEENS1_48merge_mergepath_partition_config_static_selectorELNS0_4arch9wavefront6targetE1EEEvSL_,"axG",@progbits,_ZN7rocprim17ROCPRIM_400000_NS6detail17trampoline_kernelINS0_14default_configENS1_38merge_sort_block_merge_config_selectorItNS0_10empty_typeEEEZZNS1_27merge_sort_block_merge_implIS3_N6thrust23THRUST_200600_302600_NS6detail15normal_iteratorINS9_10device_ptrItEEEEPS5_jNS1_19radix_merge_compareILb0ELb1EtNS0_19identity_decomposerEEEEE10hipError_tT0_T1_T2_jT3_P12ihipStream_tbPNSt15iterator_traitsISK_E10value_typeEPNSQ_ISL_E10value_typeEPSM_NS1_7vsmem_tEENKUlT_SK_SL_SM_E_clISE_PtSF_SF_EESJ_SZ_SK_SL_SM_EUlSZ_E_NS1_11comp_targetILNS1_3genE5ELNS1_11target_archE942ELNS1_3gpuE9ELNS1_3repE0EEENS1_48merge_mergepath_partition_config_static_selectorELNS0_4arch9wavefront6targetE1EEEvSL_,comdat
.Lfunc_end1289:
	.size	_ZN7rocprim17ROCPRIM_400000_NS6detail17trampoline_kernelINS0_14default_configENS1_38merge_sort_block_merge_config_selectorItNS0_10empty_typeEEEZZNS1_27merge_sort_block_merge_implIS3_N6thrust23THRUST_200600_302600_NS6detail15normal_iteratorINS9_10device_ptrItEEEEPS5_jNS1_19radix_merge_compareILb0ELb1EtNS0_19identity_decomposerEEEEE10hipError_tT0_T1_T2_jT3_P12ihipStream_tbPNSt15iterator_traitsISK_E10value_typeEPNSQ_ISL_E10value_typeEPSM_NS1_7vsmem_tEENKUlT_SK_SL_SM_E_clISE_PtSF_SF_EESJ_SZ_SK_SL_SM_EUlSZ_E_NS1_11comp_targetILNS1_3genE5ELNS1_11target_archE942ELNS1_3gpuE9ELNS1_3repE0EEENS1_48merge_mergepath_partition_config_static_selectorELNS0_4arch9wavefront6targetE1EEEvSL_, .Lfunc_end1289-_ZN7rocprim17ROCPRIM_400000_NS6detail17trampoline_kernelINS0_14default_configENS1_38merge_sort_block_merge_config_selectorItNS0_10empty_typeEEEZZNS1_27merge_sort_block_merge_implIS3_N6thrust23THRUST_200600_302600_NS6detail15normal_iteratorINS9_10device_ptrItEEEEPS5_jNS1_19radix_merge_compareILb0ELb1EtNS0_19identity_decomposerEEEEE10hipError_tT0_T1_T2_jT3_P12ihipStream_tbPNSt15iterator_traitsISK_E10value_typeEPNSQ_ISL_E10value_typeEPSM_NS1_7vsmem_tEENKUlT_SK_SL_SM_E_clISE_PtSF_SF_EESJ_SZ_SK_SL_SM_EUlSZ_E_NS1_11comp_targetILNS1_3genE5ELNS1_11target_archE942ELNS1_3gpuE9ELNS1_3repE0EEENS1_48merge_mergepath_partition_config_static_selectorELNS0_4arch9wavefront6targetE1EEEvSL_
                                        ; -- End function
	.section	.AMDGPU.csdata,"",@progbits
; Kernel info:
; codeLenInByte = 0
; NumSgprs: 4
; NumVgprs: 0
; NumAgprs: 0
; TotalNumVgprs: 0
; ScratchSize: 0
; MemoryBound: 0
; FloatMode: 240
; IeeeMode: 1
; LDSByteSize: 0 bytes/workgroup (compile time only)
; SGPRBlocks: 0
; VGPRBlocks: 0
; NumSGPRsForWavesPerEU: 4
; NumVGPRsForWavesPerEU: 1
; AccumOffset: 4
; Occupancy: 8
; WaveLimiterHint : 0
; COMPUTE_PGM_RSRC2:SCRATCH_EN: 0
; COMPUTE_PGM_RSRC2:USER_SGPR: 6
; COMPUTE_PGM_RSRC2:TRAP_HANDLER: 0
; COMPUTE_PGM_RSRC2:TGID_X_EN: 1
; COMPUTE_PGM_RSRC2:TGID_Y_EN: 0
; COMPUTE_PGM_RSRC2:TGID_Z_EN: 0
; COMPUTE_PGM_RSRC2:TIDIG_COMP_CNT: 0
; COMPUTE_PGM_RSRC3_GFX90A:ACCUM_OFFSET: 0
; COMPUTE_PGM_RSRC3_GFX90A:TG_SPLIT: 0
	.section	.text._ZN7rocprim17ROCPRIM_400000_NS6detail17trampoline_kernelINS0_14default_configENS1_38merge_sort_block_merge_config_selectorItNS0_10empty_typeEEEZZNS1_27merge_sort_block_merge_implIS3_N6thrust23THRUST_200600_302600_NS6detail15normal_iteratorINS9_10device_ptrItEEEEPS5_jNS1_19radix_merge_compareILb0ELb1EtNS0_19identity_decomposerEEEEE10hipError_tT0_T1_T2_jT3_P12ihipStream_tbPNSt15iterator_traitsISK_E10value_typeEPNSQ_ISL_E10value_typeEPSM_NS1_7vsmem_tEENKUlT_SK_SL_SM_E_clISE_PtSF_SF_EESJ_SZ_SK_SL_SM_EUlSZ_E_NS1_11comp_targetILNS1_3genE4ELNS1_11target_archE910ELNS1_3gpuE8ELNS1_3repE0EEENS1_48merge_mergepath_partition_config_static_selectorELNS0_4arch9wavefront6targetE1EEEvSL_,"axG",@progbits,_ZN7rocprim17ROCPRIM_400000_NS6detail17trampoline_kernelINS0_14default_configENS1_38merge_sort_block_merge_config_selectorItNS0_10empty_typeEEEZZNS1_27merge_sort_block_merge_implIS3_N6thrust23THRUST_200600_302600_NS6detail15normal_iteratorINS9_10device_ptrItEEEEPS5_jNS1_19radix_merge_compareILb0ELb1EtNS0_19identity_decomposerEEEEE10hipError_tT0_T1_T2_jT3_P12ihipStream_tbPNSt15iterator_traitsISK_E10value_typeEPNSQ_ISL_E10value_typeEPSM_NS1_7vsmem_tEENKUlT_SK_SL_SM_E_clISE_PtSF_SF_EESJ_SZ_SK_SL_SM_EUlSZ_E_NS1_11comp_targetILNS1_3genE4ELNS1_11target_archE910ELNS1_3gpuE8ELNS1_3repE0EEENS1_48merge_mergepath_partition_config_static_selectorELNS0_4arch9wavefront6targetE1EEEvSL_,comdat
	.protected	_ZN7rocprim17ROCPRIM_400000_NS6detail17trampoline_kernelINS0_14default_configENS1_38merge_sort_block_merge_config_selectorItNS0_10empty_typeEEEZZNS1_27merge_sort_block_merge_implIS3_N6thrust23THRUST_200600_302600_NS6detail15normal_iteratorINS9_10device_ptrItEEEEPS5_jNS1_19radix_merge_compareILb0ELb1EtNS0_19identity_decomposerEEEEE10hipError_tT0_T1_T2_jT3_P12ihipStream_tbPNSt15iterator_traitsISK_E10value_typeEPNSQ_ISL_E10value_typeEPSM_NS1_7vsmem_tEENKUlT_SK_SL_SM_E_clISE_PtSF_SF_EESJ_SZ_SK_SL_SM_EUlSZ_E_NS1_11comp_targetILNS1_3genE4ELNS1_11target_archE910ELNS1_3gpuE8ELNS1_3repE0EEENS1_48merge_mergepath_partition_config_static_selectorELNS0_4arch9wavefront6targetE1EEEvSL_ ; -- Begin function _ZN7rocprim17ROCPRIM_400000_NS6detail17trampoline_kernelINS0_14default_configENS1_38merge_sort_block_merge_config_selectorItNS0_10empty_typeEEEZZNS1_27merge_sort_block_merge_implIS3_N6thrust23THRUST_200600_302600_NS6detail15normal_iteratorINS9_10device_ptrItEEEEPS5_jNS1_19radix_merge_compareILb0ELb1EtNS0_19identity_decomposerEEEEE10hipError_tT0_T1_T2_jT3_P12ihipStream_tbPNSt15iterator_traitsISK_E10value_typeEPNSQ_ISL_E10value_typeEPSM_NS1_7vsmem_tEENKUlT_SK_SL_SM_E_clISE_PtSF_SF_EESJ_SZ_SK_SL_SM_EUlSZ_E_NS1_11comp_targetILNS1_3genE4ELNS1_11target_archE910ELNS1_3gpuE8ELNS1_3repE0EEENS1_48merge_mergepath_partition_config_static_selectorELNS0_4arch9wavefront6targetE1EEEvSL_
	.globl	_ZN7rocprim17ROCPRIM_400000_NS6detail17trampoline_kernelINS0_14default_configENS1_38merge_sort_block_merge_config_selectorItNS0_10empty_typeEEEZZNS1_27merge_sort_block_merge_implIS3_N6thrust23THRUST_200600_302600_NS6detail15normal_iteratorINS9_10device_ptrItEEEEPS5_jNS1_19radix_merge_compareILb0ELb1EtNS0_19identity_decomposerEEEEE10hipError_tT0_T1_T2_jT3_P12ihipStream_tbPNSt15iterator_traitsISK_E10value_typeEPNSQ_ISL_E10value_typeEPSM_NS1_7vsmem_tEENKUlT_SK_SL_SM_E_clISE_PtSF_SF_EESJ_SZ_SK_SL_SM_EUlSZ_E_NS1_11comp_targetILNS1_3genE4ELNS1_11target_archE910ELNS1_3gpuE8ELNS1_3repE0EEENS1_48merge_mergepath_partition_config_static_selectorELNS0_4arch9wavefront6targetE1EEEvSL_
	.p2align	8
	.type	_ZN7rocprim17ROCPRIM_400000_NS6detail17trampoline_kernelINS0_14default_configENS1_38merge_sort_block_merge_config_selectorItNS0_10empty_typeEEEZZNS1_27merge_sort_block_merge_implIS3_N6thrust23THRUST_200600_302600_NS6detail15normal_iteratorINS9_10device_ptrItEEEEPS5_jNS1_19radix_merge_compareILb0ELb1EtNS0_19identity_decomposerEEEEE10hipError_tT0_T1_T2_jT3_P12ihipStream_tbPNSt15iterator_traitsISK_E10value_typeEPNSQ_ISL_E10value_typeEPSM_NS1_7vsmem_tEENKUlT_SK_SL_SM_E_clISE_PtSF_SF_EESJ_SZ_SK_SL_SM_EUlSZ_E_NS1_11comp_targetILNS1_3genE4ELNS1_11target_archE910ELNS1_3gpuE8ELNS1_3repE0EEENS1_48merge_mergepath_partition_config_static_selectorELNS0_4arch9wavefront6targetE1EEEvSL_,@function
_ZN7rocprim17ROCPRIM_400000_NS6detail17trampoline_kernelINS0_14default_configENS1_38merge_sort_block_merge_config_selectorItNS0_10empty_typeEEEZZNS1_27merge_sort_block_merge_implIS3_N6thrust23THRUST_200600_302600_NS6detail15normal_iteratorINS9_10device_ptrItEEEEPS5_jNS1_19radix_merge_compareILb0ELb1EtNS0_19identity_decomposerEEEEE10hipError_tT0_T1_T2_jT3_P12ihipStream_tbPNSt15iterator_traitsISK_E10value_typeEPNSQ_ISL_E10value_typeEPSM_NS1_7vsmem_tEENKUlT_SK_SL_SM_E_clISE_PtSF_SF_EESJ_SZ_SK_SL_SM_EUlSZ_E_NS1_11comp_targetILNS1_3genE4ELNS1_11target_archE910ELNS1_3gpuE8ELNS1_3repE0EEENS1_48merge_mergepath_partition_config_static_selectorELNS0_4arch9wavefront6targetE1EEEvSL_: ; @_ZN7rocprim17ROCPRIM_400000_NS6detail17trampoline_kernelINS0_14default_configENS1_38merge_sort_block_merge_config_selectorItNS0_10empty_typeEEEZZNS1_27merge_sort_block_merge_implIS3_N6thrust23THRUST_200600_302600_NS6detail15normal_iteratorINS9_10device_ptrItEEEEPS5_jNS1_19radix_merge_compareILb0ELb1EtNS0_19identity_decomposerEEEEE10hipError_tT0_T1_T2_jT3_P12ihipStream_tbPNSt15iterator_traitsISK_E10value_typeEPNSQ_ISL_E10value_typeEPSM_NS1_7vsmem_tEENKUlT_SK_SL_SM_E_clISE_PtSF_SF_EESJ_SZ_SK_SL_SM_EUlSZ_E_NS1_11comp_targetILNS1_3genE4ELNS1_11target_archE910ELNS1_3gpuE8ELNS1_3repE0EEENS1_48merge_mergepath_partition_config_static_selectorELNS0_4arch9wavefront6targetE1EEEvSL_
; %bb.0:
	s_load_dword s0, s[4:5], 0x0
	v_lshl_or_b32 v0, s6, 7, v0
	s_waitcnt lgkmcnt(0)
	v_cmp_gt_u32_e32 vcc, s0, v0
	s_and_saveexec_b64 s[0:1], vcc
	s_cbranch_execz .LBB1290_6
; %bb.1:
	s_load_dwordx2 s[2:3], s[4:5], 0x4
	s_load_dwordx2 s[0:1], s[4:5], 0x20
	s_waitcnt lgkmcnt(0)
	s_lshr_b32 s6, s2, 9
	s_and_b32 s6, s6, 0x7ffffe
	s_add_i32 s7, s6, -1
	s_sub_i32 s6, 0, s6
	v_and_b32_e32 v1, s6, v0
	v_lshlrev_b32_e32 v1, 10, v1
	v_min_u32_e32 v2, s3, v1
	v_add_u32_e32 v1, s2, v1
	v_min_u32_e32 v4, s3, v1
	v_add_u32_e32 v1, s2, v4
	v_and_b32_e32 v3, s7, v0
	v_min_u32_e32 v1, s3, v1
	v_sub_u32_e32 v5, v1, v2
	v_lshlrev_b32_e32 v3, 10, v3
	v_min_u32_e32 v6, v5, v3
	v_sub_u32_e32 v3, v4, v2
	v_sub_u32_e32 v1, v1, v4
	v_sub_u32_e64 v1, v6, v1 clamp
	v_min_u32_e32 v7, v6, v3
	v_cmp_lt_u32_e32 vcc, v1, v7
	s_and_saveexec_b64 s[2:3], vcc
	s_cbranch_execz .LBB1290_5
; %bb.2:
	s_load_dwordx2 s[8:9], s[4:5], 0x10
	s_load_dword s6, s[4:5], 0x18
	v_mov_b32_e32 v5, 0
	v_mov_b32_e32 v3, v5
	v_lshlrev_b64 v[8:9], 1, v[2:3]
	s_waitcnt lgkmcnt(0)
	v_mov_b32_e32 v12, s9
	v_add_co_u32_e32 v3, vcc, s8, v8
	v_addc_co_u32_e32 v8, vcc, v12, v9, vcc
	v_lshlrev_b64 v[10:11], 1, v[4:5]
	v_add_co_u32_e32 v9, vcc, s8, v10
	v_addc_co_u32_e32 v10, vcc, v12, v11, vcc
	s_mov_b64 s[4:5], 0
.LBB1290_3:                             ; =>This Inner Loop Header: Depth=1
	v_add_u32_e32 v4, v7, v1
	v_and_b32_e32 v12, -2, v4
	v_lshrrev_b32_e32 v11, 1, v4
	v_add_co_u32_e32 v12, vcc, v3, v12
	v_xad_u32 v4, v11, -1, v6
	v_addc_co_u32_e32 v13, vcc, 0, v8, vcc
	flat_load_ushort v14, v[12:13]
	v_lshlrev_b64 v[12:13], 1, v[4:5]
	v_add_co_u32_e32 v12, vcc, v9, v12
	v_addc_co_u32_e32 v13, vcc, v10, v13, vcc
	flat_load_ushort v4, v[12:13]
	v_add_u32_e32 v12, 1, v11
	s_waitcnt vmcnt(0) lgkmcnt(0)
	v_and_b32_e32 v13, s6, v14
	v_and_b32_e32 v4, s6, v4
	v_cmp_gt_u16_e32 vcc, v13, v4
	v_cndmask_b32_e32 v7, v7, v11, vcc
	v_cndmask_b32_e32 v1, v12, v1, vcc
	v_cmp_ge_u32_e32 vcc, v1, v7
	s_or_b64 s[4:5], vcc, s[4:5]
	s_andn2_b64 exec, exec, s[4:5]
	s_cbranch_execnz .LBB1290_3
; %bb.4:
	s_or_b64 exec, exec, s[4:5]
.LBB1290_5:
	s_or_b64 exec, exec, s[2:3]
	v_add_u32_e32 v2, v1, v2
	v_mov_b32_e32 v1, 0
	v_lshlrev_b64 v[0:1], 2, v[0:1]
	v_mov_b32_e32 v3, s1
	v_add_co_u32_e32 v0, vcc, s0, v0
	v_addc_co_u32_e32 v1, vcc, v3, v1, vcc
	global_store_dword v[0:1], v2, off
.LBB1290_6:
	s_endpgm
	.section	.rodata,"a",@progbits
	.p2align	6, 0x0
	.amdhsa_kernel _ZN7rocprim17ROCPRIM_400000_NS6detail17trampoline_kernelINS0_14default_configENS1_38merge_sort_block_merge_config_selectorItNS0_10empty_typeEEEZZNS1_27merge_sort_block_merge_implIS3_N6thrust23THRUST_200600_302600_NS6detail15normal_iteratorINS9_10device_ptrItEEEEPS5_jNS1_19radix_merge_compareILb0ELb1EtNS0_19identity_decomposerEEEEE10hipError_tT0_T1_T2_jT3_P12ihipStream_tbPNSt15iterator_traitsISK_E10value_typeEPNSQ_ISL_E10value_typeEPSM_NS1_7vsmem_tEENKUlT_SK_SL_SM_E_clISE_PtSF_SF_EESJ_SZ_SK_SL_SM_EUlSZ_E_NS1_11comp_targetILNS1_3genE4ELNS1_11target_archE910ELNS1_3gpuE8ELNS1_3repE0EEENS1_48merge_mergepath_partition_config_static_selectorELNS0_4arch9wavefront6targetE1EEEvSL_
		.amdhsa_group_segment_fixed_size 0
		.amdhsa_private_segment_fixed_size 0
		.amdhsa_kernarg_size 40
		.amdhsa_user_sgpr_count 6
		.amdhsa_user_sgpr_private_segment_buffer 1
		.amdhsa_user_sgpr_dispatch_ptr 0
		.amdhsa_user_sgpr_queue_ptr 0
		.amdhsa_user_sgpr_kernarg_segment_ptr 1
		.amdhsa_user_sgpr_dispatch_id 0
		.amdhsa_user_sgpr_flat_scratch_init 0
		.amdhsa_user_sgpr_kernarg_preload_length 0
		.amdhsa_user_sgpr_kernarg_preload_offset 0
		.amdhsa_user_sgpr_private_segment_size 0
		.amdhsa_uses_dynamic_stack 0
		.amdhsa_system_sgpr_private_segment_wavefront_offset 0
		.amdhsa_system_sgpr_workgroup_id_x 1
		.amdhsa_system_sgpr_workgroup_id_y 0
		.amdhsa_system_sgpr_workgroup_id_z 0
		.amdhsa_system_sgpr_workgroup_info 0
		.amdhsa_system_vgpr_workitem_id 0
		.amdhsa_next_free_vgpr 15
		.amdhsa_next_free_sgpr 10
		.amdhsa_accum_offset 16
		.amdhsa_reserve_vcc 1
		.amdhsa_reserve_flat_scratch 0
		.amdhsa_float_round_mode_32 0
		.amdhsa_float_round_mode_16_64 0
		.amdhsa_float_denorm_mode_32 3
		.amdhsa_float_denorm_mode_16_64 3
		.amdhsa_dx10_clamp 1
		.amdhsa_ieee_mode 1
		.amdhsa_fp16_overflow 0
		.amdhsa_tg_split 0
		.amdhsa_exception_fp_ieee_invalid_op 0
		.amdhsa_exception_fp_denorm_src 0
		.amdhsa_exception_fp_ieee_div_zero 0
		.amdhsa_exception_fp_ieee_overflow 0
		.amdhsa_exception_fp_ieee_underflow 0
		.amdhsa_exception_fp_ieee_inexact 0
		.amdhsa_exception_int_div_zero 0
	.end_amdhsa_kernel
	.section	.text._ZN7rocprim17ROCPRIM_400000_NS6detail17trampoline_kernelINS0_14default_configENS1_38merge_sort_block_merge_config_selectorItNS0_10empty_typeEEEZZNS1_27merge_sort_block_merge_implIS3_N6thrust23THRUST_200600_302600_NS6detail15normal_iteratorINS9_10device_ptrItEEEEPS5_jNS1_19radix_merge_compareILb0ELb1EtNS0_19identity_decomposerEEEEE10hipError_tT0_T1_T2_jT3_P12ihipStream_tbPNSt15iterator_traitsISK_E10value_typeEPNSQ_ISL_E10value_typeEPSM_NS1_7vsmem_tEENKUlT_SK_SL_SM_E_clISE_PtSF_SF_EESJ_SZ_SK_SL_SM_EUlSZ_E_NS1_11comp_targetILNS1_3genE4ELNS1_11target_archE910ELNS1_3gpuE8ELNS1_3repE0EEENS1_48merge_mergepath_partition_config_static_selectorELNS0_4arch9wavefront6targetE1EEEvSL_,"axG",@progbits,_ZN7rocprim17ROCPRIM_400000_NS6detail17trampoline_kernelINS0_14default_configENS1_38merge_sort_block_merge_config_selectorItNS0_10empty_typeEEEZZNS1_27merge_sort_block_merge_implIS3_N6thrust23THRUST_200600_302600_NS6detail15normal_iteratorINS9_10device_ptrItEEEEPS5_jNS1_19radix_merge_compareILb0ELb1EtNS0_19identity_decomposerEEEEE10hipError_tT0_T1_T2_jT3_P12ihipStream_tbPNSt15iterator_traitsISK_E10value_typeEPNSQ_ISL_E10value_typeEPSM_NS1_7vsmem_tEENKUlT_SK_SL_SM_E_clISE_PtSF_SF_EESJ_SZ_SK_SL_SM_EUlSZ_E_NS1_11comp_targetILNS1_3genE4ELNS1_11target_archE910ELNS1_3gpuE8ELNS1_3repE0EEENS1_48merge_mergepath_partition_config_static_selectorELNS0_4arch9wavefront6targetE1EEEvSL_,comdat
.Lfunc_end1290:
	.size	_ZN7rocprim17ROCPRIM_400000_NS6detail17trampoline_kernelINS0_14default_configENS1_38merge_sort_block_merge_config_selectorItNS0_10empty_typeEEEZZNS1_27merge_sort_block_merge_implIS3_N6thrust23THRUST_200600_302600_NS6detail15normal_iteratorINS9_10device_ptrItEEEEPS5_jNS1_19radix_merge_compareILb0ELb1EtNS0_19identity_decomposerEEEEE10hipError_tT0_T1_T2_jT3_P12ihipStream_tbPNSt15iterator_traitsISK_E10value_typeEPNSQ_ISL_E10value_typeEPSM_NS1_7vsmem_tEENKUlT_SK_SL_SM_E_clISE_PtSF_SF_EESJ_SZ_SK_SL_SM_EUlSZ_E_NS1_11comp_targetILNS1_3genE4ELNS1_11target_archE910ELNS1_3gpuE8ELNS1_3repE0EEENS1_48merge_mergepath_partition_config_static_selectorELNS0_4arch9wavefront6targetE1EEEvSL_, .Lfunc_end1290-_ZN7rocprim17ROCPRIM_400000_NS6detail17trampoline_kernelINS0_14default_configENS1_38merge_sort_block_merge_config_selectorItNS0_10empty_typeEEEZZNS1_27merge_sort_block_merge_implIS3_N6thrust23THRUST_200600_302600_NS6detail15normal_iteratorINS9_10device_ptrItEEEEPS5_jNS1_19radix_merge_compareILb0ELb1EtNS0_19identity_decomposerEEEEE10hipError_tT0_T1_T2_jT3_P12ihipStream_tbPNSt15iterator_traitsISK_E10value_typeEPNSQ_ISL_E10value_typeEPSM_NS1_7vsmem_tEENKUlT_SK_SL_SM_E_clISE_PtSF_SF_EESJ_SZ_SK_SL_SM_EUlSZ_E_NS1_11comp_targetILNS1_3genE4ELNS1_11target_archE910ELNS1_3gpuE8ELNS1_3repE0EEENS1_48merge_mergepath_partition_config_static_selectorELNS0_4arch9wavefront6targetE1EEEvSL_
                                        ; -- End function
	.section	.AMDGPU.csdata,"",@progbits
; Kernel info:
; codeLenInByte = 368
; NumSgprs: 14
; NumVgprs: 15
; NumAgprs: 0
; TotalNumVgprs: 15
; ScratchSize: 0
; MemoryBound: 0
; FloatMode: 240
; IeeeMode: 1
; LDSByteSize: 0 bytes/workgroup (compile time only)
; SGPRBlocks: 1
; VGPRBlocks: 1
; NumSGPRsForWavesPerEU: 14
; NumVGPRsForWavesPerEU: 15
; AccumOffset: 16
; Occupancy: 8
; WaveLimiterHint : 0
; COMPUTE_PGM_RSRC2:SCRATCH_EN: 0
; COMPUTE_PGM_RSRC2:USER_SGPR: 6
; COMPUTE_PGM_RSRC2:TRAP_HANDLER: 0
; COMPUTE_PGM_RSRC2:TGID_X_EN: 1
; COMPUTE_PGM_RSRC2:TGID_Y_EN: 0
; COMPUTE_PGM_RSRC2:TGID_Z_EN: 0
; COMPUTE_PGM_RSRC2:TIDIG_COMP_CNT: 0
; COMPUTE_PGM_RSRC3_GFX90A:ACCUM_OFFSET: 3
; COMPUTE_PGM_RSRC3_GFX90A:TG_SPLIT: 0
	.section	.text._ZN7rocprim17ROCPRIM_400000_NS6detail17trampoline_kernelINS0_14default_configENS1_38merge_sort_block_merge_config_selectorItNS0_10empty_typeEEEZZNS1_27merge_sort_block_merge_implIS3_N6thrust23THRUST_200600_302600_NS6detail15normal_iteratorINS9_10device_ptrItEEEEPS5_jNS1_19radix_merge_compareILb0ELb1EtNS0_19identity_decomposerEEEEE10hipError_tT0_T1_T2_jT3_P12ihipStream_tbPNSt15iterator_traitsISK_E10value_typeEPNSQ_ISL_E10value_typeEPSM_NS1_7vsmem_tEENKUlT_SK_SL_SM_E_clISE_PtSF_SF_EESJ_SZ_SK_SL_SM_EUlSZ_E_NS1_11comp_targetILNS1_3genE3ELNS1_11target_archE908ELNS1_3gpuE7ELNS1_3repE0EEENS1_48merge_mergepath_partition_config_static_selectorELNS0_4arch9wavefront6targetE1EEEvSL_,"axG",@progbits,_ZN7rocprim17ROCPRIM_400000_NS6detail17trampoline_kernelINS0_14default_configENS1_38merge_sort_block_merge_config_selectorItNS0_10empty_typeEEEZZNS1_27merge_sort_block_merge_implIS3_N6thrust23THRUST_200600_302600_NS6detail15normal_iteratorINS9_10device_ptrItEEEEPS5_jNS1_19radix_merge_compareILb0ELb1EtNS0_19identity_decomposerEEEEE10hipError_tT0_T1_T2_jT3_P12ihipStream_tbPNSt15iterator_traitsISK_E10value_typeEPNSQ_ISL_E10value_typeEPSM_NS1_7vsmem_tEENKUlT_SK_SL_SM_E_clISE_PtSF_SF_EESJ_SZ_SK_SL_SM_EUlSZ_E_NS1_11comp_targetILNS1_3genE3ELNS1_11target_archE908ELNS1_3gpuE7ELNS1_3repE0EEENS1_48merge_mergepath_partition_config_static_selectorELNS0_4arch9wavefront6targetE1EEEvSL_,comdat
	.protected	_ZN7rocprim17ROCPRIM_400000_NS6detail17trampoline_kernelINS0_14default_configENS1_38merge_sort_block_merge_config_selectorItNS0_10empty_typeEEEZZNS1_27merge_sort_block_merge_implIS3_N6thrust23THRUST_200600_302600_NS6detail15normal_iteratorINS9_10device_ptrItEEEEPS5_jNS1_19radix_merge_compareILb0ELb1EtNS0_19identity_decomposerEEEEE10hipError_tT0_T1_T2_jT3_P12ihipStream_tbPNSt15iterator_traitsISK_E10value_typeEPNSQ_ISL_E10value_typeEPSM_NS1_7vsmem_tEENKUlT_SK_SL_SM_E_clISE_PtSF_SF_EESJ_SZ_SK_SL_SM_EUlSZ_E_NS1_11comp_targetILNS1_3genE3ELNS1_11target_archE908ELNS1_3gpuE7ELNS1_3repE0EEENS1_48merge_mergepath_partition_config_static_selectorELNS0_4arch9wavefront6targetE1EEEvSL_ ; -- Begin function _ZN7rocprim17ROCPRIM_400000_NS6detail17trampoline_kernelINS0_14default_configENS1_38merge_sort_block_merge_config_selectorItNS0_10empty_typeEEEZZNS1_27merge_sort_block_merge_implIS3_N6thrust23THRUST_200600_302600_NS6detail15normal_iteratorINS9_10device_ptrItEEEEPS5_jNS1_19radix_merge_compareILb0ELb1EtNS0_19identity_decomposerEEEEE10hipError_tT0_T1_T2_jT3_P12ihipStream_tbPNSt15iterator_traitsISK_E10value_typeEPNSQ_ISL_E10value_typeEPSM_NS1_7vsmem_tEENKUlT_SK_SL_SM_E_clISE_PtSF_SF_EESJ_SZ_SK_SL_SM_EUlSZ_E_NS1_11comp_targetILNS1_3genE3ELNS1_11target_archE908ELNS1_3gpuE7ELNS1_3repE0EEENS1_48merge_mergepath_partition_config_static_selectorELNS0_4arch9wavefront6targetE1EEEvSL_
	.globl	_ZN7rocprim17ROCPRIM_400000_NS6detail17trampoline_kernelINS0_14default_configENS1_38merge_sort_block_merge_config_selectorItNS0_10empty_typeEEEZZNS1_27merge_sort_block_merge_implIS3_N6thrust23THRUST_200600_302600_NS6detail15normal_iteratorINS9_10device_ptrItEEEEPS5_jNS1_19radix_merge_compareILb0ELb1EtNS0_19identity_decomposerEEEEE10hipError_tT0_T1_T2_jT3_P12ihipStream_tbPNSt15iterator_traitsISK_E10value_typeEPNSQ_ISL_E10value_typeEPSM_NS1_7vsmem_tEENKUlT_SK_SL_SM_E_clISE_PtSF_SF_EESJ_SZ_SK_SL_SM_EUlSZ_E_NS1_11comp_targetILNS1_3genE3ELNS1_11target_archE908ELNS1_3gpuE7ELNS1_3repE0EEENS1_48merge_mergepath_partition_config_static_selectorELNS0_4arch9wavefront6targetE1EEEvSL_
	.p2align	8
	.type	_ZN7rocprim17ROCPRIM_400000_NS6detail17trampoline_kernelINS0_14default_configENS1_38merge_sort_block_merge_config_selectorItNS0_10empty_typeEEEZZNS1_27merge_sort_block_merge_implIS3_N6thrust23THRUST_200600_302600_NS6detail15normal_iteratorINS9_10device_ptrItEEEEPS5_jNS1_19radix_merge_compareILb0ELb1EtNS0_19identity_decomposerEEEEE10hipError_tT0_T1_T2_jT3_P12ihipStream_tbPNSt15iterator_traitsISK_E10value_typeEPNSQ_ISL_E10value_typeEPSM_NS1_7vsmem_tEENKUlT_SK_SL_SM_E_clISE_PtSF_SF_EESJ_SZ_SK_SL_SM_EUlSZ_E_NS1_11comp_targetILNS1_3genE3ELNS1_11target_archE908ELNS1_3gpuE7ELNS1_3repE0EEENS1_48merge_mergepath_partition_config_static_selectorELNS0_4arch9wavefront6targetE1EEEvSL_,@function
_ZN7rocprim17ROCPRIM_400000_NS6detail17trampoline_kernelINS0_14default_configENS1_38merge_sort_block_merge_config_selectorItNS0_10empty_typeEEEZZNS1_27merge_sort_block_merge_implIS3_N6thrust23THRUST_200600_302600_NS6detail15normal_iteratorINS9_10device_ptrItEEEEPS5_jNS1_19radix_merge_compareILb0ELb1EtNS0_19identity_decomposerEEEEE10hipError_tT0_T1_T2_jT3_P12ihipStream_tbPNSt15iterator_traitsISK_E10value_typeEPNSQ_ISL_E10value_typeEPSM_NS1_7vsmem_tEENKUlT_SK_SL_SM_E_clISE_PtSF_SF_EESJ_SZ_SK_SL_SM_EUlSZ_E_NS1_11comp_targetILNS1_3genE3ELNS1_11target_archE908ELNS1_3gpuE7ELNS1_3repE0EEENS1_48merge_mergepath_partition_config_static_selectorELNS0_4arch9wavefront6targetE1EEEvSL_: ; @_ZN7rocprim17ROCPRIM_400000_NS6detail17trampoline_kernelINS0_14default_configENS1_38merge_sort_block_merge_config_selectorItNS0_10empty_typeEEEZZNS1_27merge_sort_block_merge_implIS3_N6thrust23THRUST_200600_302600_NS6detail15normal_iteratorINS9_10device_ptrItEEEEPS5_jNS1_19radix_merge_compareILb0ELb1EtNS0_19identity_decomposerEEEEE10hipError_tT0_T1_T2_jT3_P12ihipStream_tbPNSt15iterator_traitsISK_E10value_typeEPNSQ_ISL_E10value_typeEPSM_NS1_7vsmem_tEENKUlT_SK_SL_SM_E_clISE_PtSF_SF_EESJ_SZ_SK_SL_SM_EUlSZ_E_NS1_11comp_targetILNS1_3genE3ELNS1_11target_archE908ELNS1_3gpuE7ELNS1_3repE0EEENS1_48merge_mergepath_partition_config_static_selectorELNS0_4arch9wavefront6targetE1EEEvSL_
; %bb.0:
	.section	.rodata,"a",@progbits
	.p2align	6, 0x0
	.amdhsa_kernel _ZN7rocprim17ROCPRIM_400000_NS6detail17trampoline_kernelINS0_14default_configENS1_38merge_sort_block_merge_config_selectorItNS0_10empty_typeEEEZZNS1_27merge_sort_block_merge_implIS3_N6thrust23THRUST_200600_302600_NS6detail15normal_iteratorINS9_10device_ptrItEEEEPS5_jNS1_19radix_merge_compareILb0ELb1EtNS0_19identity_decomposerEEEEE10hipError_tT0_T1_T2_jT3_P12ihipStream_tbPNSt15iterator_traitsISK_E10value_typeEPNSQ_ISL_E10value_typeEPSM_NS1_7vsmem_tEENKUlT_SK_SL_SM_E_clISE_PtSF_SF_EESJ_SZ_SK_SL_SM_EUlSZ_E_NS1_11comp_targetILNS1_3genE3ELNS1_11target_archE908ELNS1_3gpuE7ELNS1_3repE0EEENS1_48merge_mergepath_partition_config_static_selectorELNS0_4arch9wavefront6targetE1EEEvSL_
		.amdhsa_group_segment_fixed_size 0
		.amdhsa_private_segment_fixed_size 0
		.amdhsa_kernarg_size 40
		.amdhsa_user_sgpr_count 6
		.amdhsa_user_sgpr_private_segment_buffer 1
		.amdhsa_user_sgpr_dispatch_ptr 0
		.amdhsa_user_sgpr_queue_ptr 0
		.amdhsa_user_sgpr_kernarg_segment_ptr 1
		.amdhsa_user_sgpr_dispatch_id 0
		.amdhsa_user_sgpr_flat_scratch_init 0
		.amdhsa_user_sgpr_kernarg_preload_length 0
		.amdhsa_user_sgpr_kernarg_preload_offset 0
		.amdhsa_user_sgpr_private_segment_size 0
		.amdhsa_uses_dynamic_stack 0
		.amdhsa_system_sgpr_private_segment_wavefront_offset 0
		.amdhsa_system_sgpr_workgroup_id_x 1
		.amdhsa_system_sgpr_workgroup_id_y 0
		.amdhsa_system_sgpr_workgroup_id_z 0
		.amdhsa_system_sgpr_workgroup_info 0
		.amdhsa_system_vgpr_workitem_id 0
		.amdhsa_next_free_vgpr 1
		.amdhsa_next_free_sgpr 0
		.amdhsa_accum_offset 4
		.amdhsa_reserve_vcc 0
		.amdhsa_reserve_flat_scratch 0
		.amdhsa_float_round_mode_32 0
		.amdhsa_float_round_mode_16_64 0
		.amdhsa_float_denorm_mode_32 3
		.amdhsa_float_denorm_mode_16_64 3
		.amdhsa_dx10_clamp 1
		.amdhsa_ieee_mode 1
		.amdhsa_fp16_overflow 0
		.amdhsa_tg_split 0
		.amdhsa_exception_fp_ieee_invalid_op 0
		.amdhsa_exception_fp_denorm_src 0
		.amdhsa_exception_fp_ieee_div_zero 0
		.amdhsa_exception_fp_ieee_overflow 0
		.amdhsa_exception_fp_ieee_underflow 0
		.amdhsa_exception_fp_ieee_inexact 0
		.amdhsa_exception_int_div_zero 0
	.end_amdhsa_kernel
	.section	.text._ZN7rocprim17ROCPRIM_400000_NS6detail17trampoline_kernelINS0_14default_configENS1_38merge_sort_block_merge_config_selectorItNS0_10empty_typeEEEZZNS1_27merge_sort_block_merge_implIS3_N6thrust23THRUST_200600_302600_NS6detail15normal_iteratorINS9_10device_ptrItEEEEPS5_jNS1_19radix_merge_compareILb0ELb1EtNS0_19identity_decomposerEEEEE10hipError_tT0_T1_T2_jT3_P12ihipStream_tbPNSt15iterator_traitsISK_E10value_typeEPNSQ_ISL_E10value_typeEPSM_NS1_7vsmem_tEENKUlT_SK_SL_SM_E_clISE_PtSF_SF_EESJ_SZ_SK_SL_SM_EUlSZ_E_NS1_11comp_targetILNS1_3genE3ELNS1_11target_archE908ELNS1_3gpuE7ELNS1_3repE0EEENS1_48merge_mergepath_partition_config_static_selectorELNS0_4arch9wavefront6targetE1EEEvSL_,"axG",@progbits,_ZN7rocprim17ROCPRIM_400000_NS6detail17trampoline_kernelINS0_14default_configENS1_38merge_sort_block_merge_config_selectorItNS0_10empty_typeEEEZZNS1_27merge_sort_block_merge_implIS3_N6thrust23THRUST_200600_302600_NS6detail15normal_iteratorINS9_10device_ptrItEEEEPS5_jNS1_19radix_merge_compareILb0ELb1EtNS0_19identity_decomposerEEEEE10hipError_tT0_T1_T2_jT3_P12ihipStream_tbPNSt15iterator_traitsISK_E10value_typeEPNSQ_ISL_E10value_typeEPSM_NS1_7vsmem_tEENKUlT_SK_SL_SM_E_clISE_PtSF_SF_EESJ_SZ_SK_SL_SM_EUlSZ_E_NS1_11comp_targetILNS1_3genE3ELNS1_11target_archE908ELNS1_3gpuE7ELNS1_3repE0EEENS1_48merge_mergepath_partition_config_static_selectorELNS0_4arch9wavefront6targetE1EEEvSL_,comdat
.Lfunc_end1291:
	.size	_ZN7rocprim17ROCPRIM_400000_NS6detail17trampoline_kernelINS0_14default_configENS1_38merge_sort_block_merge_config_selectorItNS0_10empty_typeEEEZZNS1_27merge_sort_block_merge_implIS3_N6thrust23THRUST_200600_302600_NS6detail15normal_iteratorINS9_10device_ptrItEEEEPS5_jNS1_19radix_merge_compareILb0ELb1EtNS0_19identity_decomposerEEEEE10hipError_tT0_T1_T2_jT3_P12ihipStream_tbPNSt15iterator_traitsISK_E10value_typeEPNSQ_ISL_E10value_typeEPSM_NS1_7vsmem_tEENKUlT_SK_SL_SM_E_clISE_PtSF_SF_EESJ_SZ_SK_SL_SM_EUlSZ_E_NS1_11comp_targetILNS1_3genE3ELNS1_11target_archE908ELNS1_3gpuE7ELNS1_3repE0EEENS1_48merge_mergepath_partition_config_static_selectorELNS0_4arch9wavefront6targetE1EEEvSL_, .Lfunc_end1291-_ZN7rocprim17ROCPRIM_400000_NS6detail17trampoline_kernelINS0_14default_configENS1_38merge_sort_block_merge_config_selectorItNS0_10empty_typeEEEZZNS1_27merge_sort_block_merge_implIS3_N6thrust23THRUST_200600_302600_NS6detail15normal_iteratorINS9_10device_ptrItEEEEPS5_jNS1_19radix_merge_compareILb0ELb1EtNS0_19identity_decomposerEEEEE10hipError_tT0_T1_T2_jT3_P12ihipStream_tbPNSt15iterator_traitsISK_E10value_typeEPNSQ_ISL_E10value_typeEPSM_NS1_7vsmem_tEENKUlT_SK_SL_SM_E_clISE_PtSF_SF_EESJ_SZ_SK_SL_SM_EUlSZ_E_NS1_11comp_targetILNS1_3genE3ELNS1_11target_archE908ELNS1_3gpuE7ELNS1_3repE0EEENS1_48merge_mergepath_partition_config_static_selectorELNS0_4arch9wavefront6targetE1EEEvSL_
                                        ; -- End function
	.section	.AMDGPU.csdata,"",@progbits
; Kernel info:
; codeLenInByte = 0
; NumSgprs: 4
; NumVgprs: 0
; NumAgprs: 0
; TotalNumVgprs: 0
; ScratchSize: 0
; MemoryBound: 0
; FloatMode: 240
; IeeeMode: 1
; LDSByteSize: 0 bytes/workgroup (compile time only)
; SGPRBlocks: 0
; VGPRBlocks: 0
; NumSGPRsForWavesPerEU: 4
; NumVGPRsForWavesPerEU: 1
; AccumOffset: 4
; Occupancy: 8
; WaveLimiterHint : 0
; COMPUTE_PGM_RSRC2:SCRATCH_EN: 0
; COMPUTE_PGM_RSRC2:USER_SGPR: 6
; COMPUTE_PGM_RSRC2:TRAP_HANDLER: 0
; COMPUTE_PGM_RSRC2:TGID_X_EN: 1
; COMPUTE_PGM_RSRC2:TGID_Y_EN: 0
; COMPUTE_PGM_RSRC2:TGID_Z_EN: 0
; COMPUTE_PGM_RSRC2:TIDIG_COMP_CNT: 0
; COMPUTE_PGM_RSRC3_GFX90A:ACCUM_OFFSET: 0
; COMPUTE_PGM_RSRC3_GFX90A:TG_SPLIT: 0
	.section	.text._ZN7rocprim17ROCPRIM_400000_NS6detail17trampoline_kernelINS0_14default_configENS1_38merge_sort_block_merge_config_selectorItNS0_10empty_typeEEEZZNS1_27merge_sort_block_merge_implIS3_N6thrust23THRUST_200600_302600_NS6detail15normal_iteratorINS9_10device_ptrItEEEEPS5_jNS1_19radix_merge_compareILb0ELb1EtNS0_19identity_decomposerEEEEE10hipError_tT0_T1_T2_jT3_P12ihipStream_tbPNSt15iterator_traitsISK_E10value_typeEPNSQ_ISL_E10value_typeEPSM_NS1_7vsmem_tEENKUlT_SK_SL_SM_E_clISE_PtSF_SF_EESJ_SZ_SK_SL_SM_EUlSZ_E_NS1_11comp_targetILNS1_3genE2ELNS1_11target_archE906ELNS1_3gpuE6ELNS1_3repE0EEENS1_48merge_mergepath_partition_config_static_selectorELNS0_4arch9wavefront6targetE1EEEvSL_,"axG",@progbits,_ZN7rocprim17ROCPRIM_400000_NS6detail17trampoline_kernelINS0_14default_configENS1_38merge_sort_block_merge_config_selectorItNS0_10empty_typeEEEZZNS1_27merge_sort_block_merge_implIS3_N6thrust23THRUST_200600_302600_NS6detail15normal_iteratorINS9_10device_ptrItEEEEPS5_jNS1_19radix_merge_compareILb0ELb1EtNS0_19identity_decomposerEEEEE10hipError_tT0_T1_T2_jT3_P12ihipStream_tbPNSt15iterator_traitsISK_E10value_typeEPNSQ_ISL_E10value_typeEPSM_NS1_7vsmem_tEENKUlT_SK_SL_SM_E_clISE_PtSF_SF_EESJ_SZ_SK_SL_SM_EUlSZ_E_NS1_11comp_targetILNS1_3genE2ELNS1_11target_archE906ELNS1_3gpuE6ELNS1_3repE0EEENS1_48merge_mergepath_partition_config_static_selectorELNS0_4arch9wavefront6targetE1EEEvSL_,comdat
	.protected	_ZN7rocprim17ROCPRIM_400000_NS6detail17trampoline_kernelINS0_14default_configENS1_38merge_sort_block_merge_config_selectorItNS0_10empty_typeEEEZZNS1_27merge_sort_block_merge_implIS3_N6thrust23THRUST_200600_302600_NS6detail15normal_iteratorINS9_10device_ptrItEEEEPS5_jNS1_19radix_merge_compareILb0ELb1EtNS0_19identity_decomposerEEEEE10hipError_tT0_T1_T2_jT3_P12ihipStream_tbPNSt15iterator_traitsISK_E10value_typeEPNSQ_ISL_E10value_typeEPSM_NS1_7vsmem_tEENKUlT_SK_SL_SM_E_clISE_PtSF_SF_EESJ_SZ_SK_SL_SM_EUlSZ_E_NS1_11comp_targetILNS1_3genE2ELNS1_11target_archE906ELNS1_3gpuE6ELNS1_3repE0EEENS1_48merge_mergepath_partition_config_static_selectorELNS0_4arch9wavefront6targetE1EEEvSL_ ; -- Begin function _ZN7rocprim17ROCPRIM_400000_NS6detail17trampoline_kernelINS0_14default_configENS1_38merge_sort_block_merge_config_selectorItNS0_10empty_typeEEEZZNS1_27merge_sort_block_merge_implIS3_N6thrust23THRUST_200600_302600_NS6detail15normal_iteratorINS9_10device_ptrItEEEEPS5_jNS1_19radix_merge_compareILb0ELb1EtNS0_19identity_decomposerEEEEE10hipError_tT0_T1_T2_jT3_P12ihipStream_tbPNSt15iterator_traitsISK_E10value_typeEPNSQ_ISL_E10value_typeEPSM_NS1_7vsmem_tEENKUlT_SK_SL_SM_E_clISE_PtSF_SF_EESJ_SZ_SK_SL_SM_EUlSZ_E_NS1_11comp_targetILNS1_3genE2ELNS1_11target_archE906ELNS1_3gpuE6ELNS1_3repE0EEENS1_48merge_mergepath_partition_config_static_selectorELNS0_4arch9wavefront6targetE1EEEvSL_
	.globl	_ZN7rocprim17ROCPRIM_400000_NS6detail17trampoline_kernelINS0_14default_configENS1_38merge_sort_block_merge_config_selectorItNS0_10empty_typeEEEZZNS1_27merge_sort_block_merge_implIS3_N6thrust23THRUST_200600_302600_NS6detail15normal_iteratorINS9_10device_ptrItEEEEPS5_jNS1_19radix_merge_compareILb0ELb1EtNS0_19identity_decomposerEEEEE10hipError_tT0_T1_T2_jT3_P12ihipStream_tbPNSt15iterator_traitsISK_E10value_typeEPNSQ_ISL_E10value_typeEPSM_NS1_7vsmem_tEENKUlT_SK_SL_SM_E_clISE_PtSF_SF_EESJ_SZ_SK_SL_SM_EUlSZ_E_NS1_11comp_targetILNS1_3genE2ELNS1_11target_archE906ELNS1_3gpuE6ELNS1_3repE0EEENS1_48merge_mergepath_partition_config_static_selectorELNS0_4arch9wavefront6targetE1EEEvSL_
	.p2align	8
	.type	_ZN7rocprim17ROCPRIM_400000_NS6detail17trampoline_kernelINS0_14default_configENS1_38merge_sort_block_merge_config_selectorItNS0_10empty_typeEEEZZNS1_27merge_sort_block_merge_implIS3_N6thrust23THRUST_200600_302600_NS6detail15normal_iteratorINS9_10device_ptrItEEEEPS5_jNS1_19radix_merge_compareILb0ELb1EtNS0_19identity_decomposerEEEEE10hipError_tT0_T1_T2_jT3_P12ihipStream_tbPNSt15iterator_traitsISK_E10value_typeEPNSQ_ISL_E10value_typeEPSM_NS1_7vsmem_tEENKUlT_SK_SL_SM_E_clISE_PtSF_SF_EESJ_SZ_SK_SL_SM_EUlSZ_E_NS1_11comp_targetILNS1_3genE2ELNS1_11target_archE906ELNS1_3gpuE6ELNS1_3repE0EEENS1_48merge_mergepath_partition_config_static_selectorELNS0_4arch9wavefront6targetE1EEEvSL_,@function
_ZN7rocprim17ROCPRIM_400000_NS6detail17trampoline_kernelINS0_14default_configENS1_38merge_sort_block_merge_config_selectorItNS0_10empty_typeEEEZZNS1_27merge_sort_block_merge_implIS3_N6thrust23THRUST_200600_302600_NS6detail15normal_iteratorINS9_10device_ptrItEEEEPS5_jNS1_19radix_merge_compareILb0ELb1EtNS0_19identity_decomposerEEEEE10hipError_tT0_T1_T2_jT3_P12ihipStream_tbPNSt15iterator_traitsISK_E10value_typeEPNSQ_ISL_E10value_typeEPSM_NS1_7vsmem_tEENKUlT_SK_SL_SM_E_clISE_PtSF_SF_EESJ_SZ_SK_SL_SM_EUlSZ_E_NS1_11comp_targetILNS1_3genE2ELNS1_11target_archE906ELNS1_3gpuE6ELNS1_3repE0EEENS1_48merge_mergepath_partition_config_static_selectorELNS0_4arch9wavefront6targetE1EEEvSL_: ; @_ZN7rocprim17ROCPRIM_400000_NS6detail17trampoline_kernelINS0_14default_configENS1_38merge_sort_block_merge_config_selectorItNS0_10empty_typeEEEZZNS1_27merge_sort_block_merge_implIS3_N6thrust23THRUST_200600_302600_NS6detail15normal_iteratorINS9_10device_ptrItEEEEPS5_jNS1_19radix_merge_compareILb0ELb1EtNS0_19identity_decomposerEEEEE10hipError_tT0_T1_T2_jT3_P12ihipStream_tbPNSt15iterator_traitsISK_E10value_typeEPNSQ_ISL_E10value_typeEPSM_NS1_7vsmem_tEENKUlT_SK_SL_SM_E_clISE_PtSF_SF_EESJ_SZ_SK_SL_SM_EUlSZ_E_NS1_11comp_targetILNS1_3genE2ELNS1_11target_archE906ELNS1_3gpuE6ELNS1_3repE0EEENS1_48merge_mergepath_partition_config_static_selectorELNS0_4arch9wavefront6targetE1EEEvSL_
; %bb.0:
	.section	.rodata,"a",@progbits
	.p2align	6, 0x0
	.amdhsa_kernel _ZN7rocprim17ROCPRIM_400000_NS6detail17trampoline_kernelINS0_14default_configENS1_38merge_sort_block_merge_config_selectorItNS0_10empty_typeEEEZZNS1_27merge_sort_block_merge_implIS3_N6thrust23THRUST_200600_302600_NS6detail15normal_iteratorINS9_10device_ptrItEEEEPS5_jNS1_19radix_merge_compareILb0ELb1EtNS0_19identity_decomposerEEEEE10hipError_tT0_T1_T2_jT3_P12ihipStream_tbPNSt15iterator_traitsISK_E10value_typeEPNSQ_ISL_E10value_typeEPSM_NS1_7vsmem_tEENKUlT_SK_SL_SM_E_clISE_PtSF_SF_EESJ_SZ_SK_SL_SM_EUlSZ_E_NS1_11comp_targetILNS1_3genE2ELNS1_11target_archE906ELNS1_3gpuE6ELNS1_3repE0EEENS1_48merge_mergepath_partition_config_static_selectorELNS0_4arch9wavefront6targetE1EEEvSL_
		.amdhsa_group_segment_fixed_size 0
		.amdhsa_private_segment_fixed_size 0
		.amdhsa_kernarg_size 40
		.amdhsa_user_sgpr_count 6
		.amdhsa_user_sgpr_private_segment_buffer 1
		.amdhsa_user_sgpr_dispatch_ptr 0
		.amdhsa_user_sgpr_queue_ptr 0
		.amdhsa_user_sgpr_kernarg_segment_ptr 1
		.amdhsa_user_sgpr_dispatch_id 0
		.amdhsa_user_sgpr_flat_scratch_init 0
		.amdhsa_user_sgpr_kernarg_preload_length 0
		.amdhsa_user_sgpr_kernarg_preload_offset 0
		.amdhsa_user_sgpr_private_segment_size 0
		.amdhsa_uses_dynamic_stack 0
		.amdhsa_system_sgpr_private_segment_wavefront_offset 0
		.amdhsa_system_sgpr_workgroup_id_x 1
		.amdhsa_system_sgpr_workgroup_id_y 0
		.amdhsa_system_sgpr_workgroup_id_z 0
		.amdhsa_system_sgpr_workgroup_info 0
		.amdhsa_system_vgpr_workitem_id 0
		.amdhsa_next_free_vgpr 1
		.amdhsa_next_free_sgpr 0
		.amdhsa_accum_offset 4
		.amdhsa_reserve_vcc 0
		.amdhsa_reserve_flat_scratch 0
		.amdhsa_float_round_mode_32 0
		.amdhsa_float_round_mode_16_64 0
		.amdhsa_float_denorm_mode_32 3
		.amdhsa_float_denorm_mode_16_64 3
		.amdhsa_dx10_clamp 1
		.amdhsa_ieee_mode 1
		.amdhsa_fp16_overflow 0
		.amdhsa_tg_split 0
		.amdhsa_exception_fp_ieee_invalid_op 0
		.amdhsa_exception_fp_denorm_src 0
		.amdhsa_exception_fp_ieee_div_zero 0
		.amdhsa_exception_fp_ieee_overflow 0
		.amdhsa_exception_fp_ieee_underflow 0
		.amdhsa_exception_fp_ieee_inexact 0
		.amdhsa_exception_int_div_zero 0
	.end_amdhsa_kernel
	.section	.text._ZN7rocprim17ROCPRIM_400000_NS6detail17trampoline_kernelINS0_14default_configENS1_38merge_sort_block_merge_config_selectorItNS0_10empty_typeEEEZZNS1_27merge_sort_block_merge_implIS3_N6thrust23THRUST_200600_302600_NS6detail15normal_iteratorINS9_10device_ptrItEEEEPS5_jNS1_19radix_merge_compareILb0ELb1EtNS0_19identity_decomposerEEEEE10hipError_tT0_T1_T2_jT3_P12ihipStream_tbPNSt15iterator_traitsISK_E10value_typeEPNSQ_ISL_E10value_typeEPSM_NS1_7vsmem_tEENKUlT_SK_SL_SM_E_clISE_PtSF_SF_EESJ_SZ_SK_SL_SM_EUlSZ_E_NS1_11comp_targetILNS1_3genE2ELNS1_11target_archE906ELNS1_3gpuE6ELNS1_3repE0EEENS1_48merge_mergepath_partition_config_static_selectorELNS0_4arch9wavefront6targetE1EEEvSL_,"axG",@progbits,_ZN7rocprim17ROCPRIM_400000_NS6detail17trampoline_kernelINS0_14default_configENS1_38merge_sort_block_merge_config_selectorItNS0_10empty_typeEEEZZNS1_27merge_sort_block_merge_implIS3_N6thrust23THRUST_200600_302600_NS6detail15normal_iteratorINS9_10device_ptrItEEEEPS5_jNS1_19radix_merge_compareILb0ELb1EtNS0_19identity_decomposerEEEEE10hipError_tT0_T1_T2_jT3_P12ihipStream_tbPNSt15iterator_traitsISK_E10value_typeEPNSQ_ISL_E10value_typeEPSM_NS1_7vsmem_tEENKUlT_SK_SL_SM_E_clISE_PtSF_SF_EESJ_SZ_SK_SL_SM_EUlSZ_E_NS1_11comp_targetILNS1_3genE2ELNS1_11target_archE906ELNS1_3gpuE6ELNS1_3repE0EEENS1_48merge_mergepath_partition_config_static_selectorELNS0_4arch9wavefront6targetE1EEEvSL_,comdat
.Lfunc_end1292:
	.size	_ZN7rocprim17ROCPRIM_400000_NS6detail17trampoline_kernelINS0_14default_configENS1_38merge_sort_block_merge_config_selectorItNS0_10empty_typeEEEZZNS1_27merge_sort_block_merge_implIS3_N6thrust23THRUST_200600_302600_NS6detail15normal_iteratorINS9_10device_ptrItEEEEPS5_jNS1_19radix_merge_compareILb0ELb1EtNS0_19identity_decomposerEEEEE10hipError_tT0_T1_T2_jT3_P12ihipStream_tbPNSt15iterator_traitsISK_E10value_typeEPNSQ_ISL_E10value_typeEPSM_NS1_7vsmem_tEENKUlT_SK_SL_SM_E_clISE_PtSF_SF_EESJ_SZ_SK_SL_SM_EUlSZ_E_NS1_11comp_targetILNS1_3genE2ELNS1_11target_archE906ELNS1_3gpuE6ELNS1_3repE0EEENS1_48merge_mergepath_partition_config_static_selectorELNS0_4arch9wavefront6targetE1EEEvSL_, .Lfunc_end1292-_ZN7rocprim17ROCPRIM_400000_NS6detail17trampoline_kernelINS0_14default_configENS1_38merge_sort_block_merge_config_selectorItNS0_10empty_typeEEEZZNS1_27merge_sort_block_merge_implIS3_N6thrust23THRUST_200600_302600_NS6detail15normal_iteratorINS9_10device_ptrItEEEEPS5_jNS1_19radix_merge_compareILb0ELb1EtNS0_19identity_decomposerEEEEE10hipError_tT0_T1_T2_jT3_P12ihipStream_tbPNSt15iterator_traitsISK_E10value_typeEPNSQ_ISL_E10value_typeEPSM_NS1_7vsmem_tEENKUlT_SK_SL_SM_E_clISE_PtSF_SF_EESJ_SZ_SK_SL_SM_EUlSZ_E_NS1_11comp_targetILNS1_3genE2ELNS1_11target_archE906ELNS1_3gpuE6ELNS1_3repE0EEENS1_48merge_mergepath_partition_config_static_selectorELNS0_4arch9wavefront6targetE1EEEvSL_
                                        ; -- End function
	.section	.AMDGPU.csdata,"",@progbits
; Kernel info:
; codeLenInByte = 0
; NumSgprs: 4
; NumVgprs: 0
; NumAgprs: 0
; TotalNumVgprs: 0
; ScratchSize: 0
; MemoryBound: 0
; FloatMode: 240
; IeeeMode: 1
; LDSByteSize: 0 bytes/workgroup (compile time only)
; SGPRBlocks: 0
; VGPRBlocks: 0
; NumSGPRsForWavesPerEU: 4
; NumVGPRsForWavesPerEU: 1
; AccumOffset: 4
; Occupancy: 8
; WaveLimiterHint : 0
; COMPUTE_PGM_RSRC2:SCRATCH_EN: 0
; COMPUTE_PGM_RSRC2:USER_SGPR: 6
; COMPUTE_PGM_RSRC2:TRAP_HANDLER: 0
; COMPUTE_PGM_RSRC2:TGID_X_EN: 1
; COMPUTE_PGM_RSRC2:TGID_Y_EN: 0
; COMPUTE_PGM_RSRC2:TGID_Z_EN: 0
; COMPUTE_PGM_RSRC2:TIDIG_COMP_CNT: 0
; COMPUTE_PGM_RSRC3_GFX90A:ACCUM_OFFSET: 0
; COMPUTE_PGM_RSRC3_GFX90A:TG_SPLIT: 0
	.section	.text._ZN7rocprim17ROCPRIM_400000_NS6detail17trampoline_kernelINS0_14default_configENS1_38merge_sort_block_merge_config_selectorItNS0_10empty_typeEEEZZNS1_27merge_sort_block_merge_implIS3_N6thrust23THRUST_200600_302600_NS6detail15normal_iteratorINS9_10device_ptrItEEEEPS5_jNS1_19radix_merge_compareILb0ELb1EtNS0_19identity_decomposerEEEEE10hipError_tT0_T1_T2_jT3_P12ihipStream_tbPNSt15iterator_traitsISK_E10value_typeEPNSQ_ISL_E10value_typeEPSM_NS1_7vsmem_tEENKUlT_SK_SL_SM_E_clISE_PtSF_SF_EESJ_SZ_SK_SL_SM_EUlSZ_E_NS1_11comp_targetILNS1_3genE9ELNS1_11target_archE1100ELNS1_3gpuE3ELNS1_3repE0EEENS1_48merge_mergepath_partition_config_static_selectorELNS0_4arch9wavefront6targetE1EEEvSL_,"axG",@progbits,_ZN7rocprim17ROCPRIM_400000_NS6detail17trampoline_kernelINS0_14default_configENS1_38merge_sort_block_merge_config_selectorItNS0_10empty_typeEEEZZNS1_27merge_sort_block_merge_implIS3_N6thrust23THRUST_200600_302600_NS6detail15normal_iteratorINS9_10device_ptrItEEEEPS5_jNS1_19radix_merge_compareILb0ELb1EtNS0_19identity_decomposerEEEEE10hipError_tT0_T1_T2_jT3_P12ihipStream_tbPNSt15iterator_traitsISK_E10value_typeEPNSQ_ISL_E10value_typeEPSM_NS1_7vsmem_tEENKUlT_SK_SL_SM_E_clISE_PtSF_SF_EESJ_SZ_SK_SL_SM_EUlSZ_E_NS1_11comp_targetILNS1_3genE9ELNS1_11target_archE1100ELNS1_3gpuE3ELNS1_3repE0EEENS1_48merge_mergepath_partition_config_static_selectorELNS0_4arch9wavefront6targetE1EEEvSL_,comdat
	.protected	_ZN7rocprim17ROCPRIM_400000_NS6detail17trampoline_kernelINS0_14default_configENS1_38merge_sort_block_merge_config_selectorItNS0_10empty_typeEEEZZNS1_27merge_sort_block_merge_implIS3_N6thrust23THRUST_200600_302600_NS6detail15normal_iteratorINS9_10device_ptrItEEEEPS5_jNS1_19radix_merge_compareILb0ELb1EtNS0_19identity_decomposerEEEEE10hipError_tT0_T1_T2_jT3_P12ihipStream_tbPNSt15iterator_traitsISK_E10value_typeEPNSQ_ISL_E10value_typeEPSM_NS1_7vsmem_tEENKUlT_SK_SL_SM_E_clISE_PtSF_SF_EESJ_SZ_SK_SL_SM_EUlSZ_E_NS1_11comp_targetILNS1_3genE9ELNS1_11target_archE1100ELNS1_3gpuE3ELNS1_3repE0EEENS1_48merge_mergepath_partition_config_static_selectorELNS0_4arch9wavefront6targetE1EEEvSL_ ; -- Begin function _ZN7rocprim17ROCPRIM_400000_NS6detail17trampoline_kernelINS0_14default_configENS1_38merge_sort_block_merge_config_selectorItNS0_10empty_typeEEEZZNS1_27merge_sort_block_merge_implIS3_N6thrust23THRUST_200600_302600_NS6detail15normal_iteratorINS9_10device_ptrItEEEEPS5_jNS1_19radix_merge_compareILb0ELb1EtNS0_19identity_decomposerEEEEE10hipError_tT0_T1_T2_jT3_P12ihipStream_tbPNSt15iterator_traitsISK_E10value_typeEPNSQ_ISL_E10value_typeEPSM_NS1_7vsmem_tEENKUlT_SK_SL_SM_E_clISE_PtSF_SF_EESJ_SZ_SK_SL_SM_EUlSZ_E_NS1_11comp_targetILNS1_3genE9ELNS1_11target_archE1100ELNS1_3gpuE3ELNS1_3repE0EEENS1_48merge_mergepath_partition_config_static_selectorELNS0_4arch9wavefront6targetE1EEEvSL_
	.globl	_ZN7rocprim17ROCPRIM_400000_NS6detail17trampoline_kernelINS0_14default_configENS1_38merge_sort_block_merge_config_selectorItNS0_10empty_typeEEEZZNS1_27merge_sort_block_merge_implIS3_N6thrust23THRUST_200600_302600_NS6detail15normal_iteratorINS9_10device_ptrItEEEEPS5_jNS1_19radix_merge_compareILb0ELb1EtNS0_19identity_decomposerEEEEE10hipError_tT0_T1_T2_jT3_P12ihipStream_tbPNSt15iterator_traitsISK_E10value_typeEPNSQ_ISL_E10value_typeEPSM_NS1_7vsmem_tEENKUlT_SK_SL_SM_E_clISE_PtSF_SF_EESJ_SZ_SK_SL_SM_EUlSZ_E_NS1_11comp_targetILNS1_3genE9ELNS1_11target_archE1100ELNS1_3gpuE3ELNS1_3repE0EEENS1_48merge_mergepath_partition_config_static_selectorELNS0_4arch9wavefront6targetE1EEEvSL_
	.p2align	8
	.type	_ZN7rocprim17ROCPRIM_400000_NS6detail17trampoline_kernelINS0_14default_configENS1_38merge_sort_block_merge_config_selectorItNS0_10empty_typeEEEZZNS1_27merge_sort_block_merge_implIS3_N6thrust23THRUST_200600_302600_NS6detail15normal_iteratorINS9_10device_ptrItEEEEPS5_jNS1_19radix_merge_compareILb0ELb1EtNS0_19identity_decomposerEEEEE10hipError_tT0_T1_T2_jT3_P12ihipStream_tbPNSt15iterator_traitsISK_E10value_typeEPNSQ_ISL_E10value_typeEPSM_NS1_7vsmem_tEENKUlT_SK_SL_SM_E_clISE_PtSF_SF_EESJ_SZ_SK_SL_SM_EUlSZ_E_NS1_11comp_targetILNS1_3genE9ELNS1_11target_archE1100ELNS1_3gpuE3ELNS1_3repE0EEENS1_48merge_mergepath_partition_config_static_selectorELNS0_4arch9wavefront6targetE1EEEvSL_,@function
_ZN7rocprim17ROCPRIM_400000_NS6detail17trampoline_kernelINS0_14default_configENS1_38merge_sort_block_merge_config_selectorItNS0_10empty_typeEEEZZNS1_27merge_sort_block_merge_implIS3_N6thrust23THRUST_200600_302600_NS6detail15normal_iteratorINS9_10device_ptrItEEEEPS5_jNS1_19radix_merge_compareILb0ELb1EtNS0_19identity_decomposerEEEEE10hipError_tT0_T1_T2_jT3_P12ihipStream_tbPNSt15iterator_traitsISK_E10value_typeEPNSQ_ISL_E10value_typeEPSM_NS1_7vsmem_tEENKUlT_SK_SL_SM_E_clISE_PtSF_SF_EESJ_SZ_SK_SL_SM_EUlSZ_E_NS1_11comp_targetILNS1_3genE9ELNS1_11target_archE1100ELNS1_3gpuE3ELNS1_3repE0EEENS1_48merge_mergepath_partition_config_static_selectorELNS0_4arch9wavefront6targetE1EEEvSL_: ; @_ZN7rocprim17ROCPRIM_400000_NS6detail17trampoline_kernelINS0_14default_configENS1_38merge_sort_block_merge_config_selectorItNS0_10empty_typeEEEZZNS1_27merge_sort_block_merge_implIS3_N6thrust23THRUST_200600_302600_NS6detail15normal_iteratorINS9_10device_ptrItEEEEPS5_jNS1_19radix_merge_compareILb0ELb1EtNS0_19identity_decomposerEEEEE10hipError_tT0_T1_T2_jT3_P12ihipStream_tbPNSt15iterator_traitsISK_E10value_typeEPNSQ_ISL_E10value_typeEPSM_NS1_7vsmem_tEENKUlT_SK_SL_SM_E_clISE_PtSF_SF_EESJ_SZ_SK_SL_SM_EUlSZ_E_NS1_11comp_targetILNS1_3genE9ELNS1_11target_archE1100ELNS1_3gpuE3ELNS1_3repE0EEENS1_48merge_mergepath_partition_config_static_selectorELNS0_4arch9wavefront6targetE1EEEvSL_
; %bb.0:
	.section	.rodata,"a",@progbits
	.p2align	6, 0x0
	.amdhsa_kernel _ZN7rocprim17ROCPRIM_400000_NS6detail17trampoline_kernelINS0_14default_configENS1_38merge_sort_block_merge_config_selectorItNS0_10empty_typeEEEZZNS1_27merge_sort_block_merge_implIS3_N6thrust23THRUST_200600_302600_NS6detail15normal_iteratorINS9_10device_ptrItEEEEPS5_jNS1_19radix_merge_compareILb0ELb1EtNS0_19identity_decomposerEEEEE10hipError_tT0_T1_T2_jT3_P12ihipStream_tbPNSt15iterator_traitsISK_E10value_typeEPNSQ_ISL_E10value_typeEPSM_NS1_7vsmem_tEENKUlT_SK_SL_SM_E_clISE_PtSF_SF_EESJ_SZ_SK_SL_SM_EUlSZ_E_NS1_11comp_targetILNS1_3genE9ELNS1_11target_archE1100ELNS1_3gpuE3ELNS1_3repE0EEENS1_48merge_mergepath_partition_config_static_selectorELNS0_4arch9wavefront6targetE1EEEvSL_
		.amdhsa_group_segment_fixed_size 0
		.amdhsa_private_segment_fixed_size 0
		.amdhsa_kernarg_size 40
		.amdhsa_user_sgpr_count 6
		.amdhsa_user_sgpr_private_segment_buffer 1
		.amdhsa_user_sgpr_dispatch_ptr 0
		.amdhsa_user_sgpr_queue_ptr 0
		.amdhsa_user_sgpr_kernarg_segment_ptr 1
		.amdhsa_user_sgpr_dispatch_id 0
		.amdhsa_user_sgpr_flat_scratch_init 0
		.amdhsa_user_sgpr_kernarg_preload_length 0
		.amdhsa_user_sgpr_kernarg_preload_offset 0
		.amdhsa_user_sgpr_private_segment_size 0
		.amdhsa_uses_dynamic_stack 0
		.amdhsa_system_sgpr_private_segment_wavefront_offset 0
		.amdhsa_system_sgpr_workgroup_id_x 1
		.amdhsa_system_sgpr_workgroup_id_y 0
		.amdhsa_system_sgpr_workgroup_id_z 0
		.amdhsa_system_sgpr_workgroup_info 0
		.amdhsa_system_vgpr_workitem_id 0
		.amdhsa_next_free_vgpr 1
		.amdhsa_next_free_sgpr 0
		.amdhsa_accum_offset 4
		.amdhsa_reserve_vcc 0
		.amdhsa_reserve_flat_scratch 0
		.amdhsa_float_round_mode_32 0
		.amdhsa_float_round_mode_16_64 0
		.amdhsa_float_denorm_mode_32 3
		.amdhsa_float_denorm_mode_16_64 3
		.amdhsa_dx10_clamp 1
		.amdhsa_ieee_mode 1
		.amdhsa_fp16_overflow 0
		.amdhsa_tg_split 0
		.amdhsa_exception_fp_ieee_invalid_op 0
		.amdhsa_exception_fp_denorm_src 0
		.amdhsa_exception_fp_ieee_div_zero 0
		.amdhsa_exception_fp_ieee_overflow 0
		.amdhsa_exception_fp_ieee_underflow 0
		.amdhsa_exception_fp_ieee_inexact 0
		.amdhsa_exception_int_div_zero 0
	.end_amdhsa_kernel
	.section	.text._ZN7rocprim17ROCPRIM_400000_NS6detail17trampoline_kernelINS0_14default_configENS1_38merge_sort_block_merge_config_selectorItNS0_10empty_typeEEEZZNS1_27merge_sort_block_merge_implIS3_N6thrust23THRUST_200600_302600_NS6detail15normal_iteratorINS9_10device_ptrItEEEEPS5_jNS1_19radix_merge_compareILb0ELb1EtNS0_19identity_decomposerEEEEE10hipError_tT0_T1_T2_jT3_P12ihipStream_tbPNSt15iterator_traitsISK_E10value_typeEPNSQ_ISL_E10value_typeEPSM_NS1_7vsmem_tEENKUlT_SK_SL_SM_E_clISE_PtSF_SF_EESJ_SZ_SK_SL_SM_EUlSZ_E_NS1_11comp_targetILNS1_3genE9ELNS1_11target_archE1100ELNS1_3gpuE3ELNS1_3repE0EEENS1_48merge_mergepath_partition_config_static_selectorELNS0_4arch9wavefront6targetE1EEEvSL_,"axG",@progbits,_ZN7rocprim17ROCPRIM_400000_NS6detail17trampoline_kernelINS0_14default_configENS1_38merge_sort_block_merge_config_selectorItNS0_10empty_typeEEEZZNS1_27merge_sort_block_merge_implIS3_N6thrust23THRUST_200600_302600_NS6detail15normal_iteratorINS9_10device_ptrItEEEEPS5_jNS1_19radix_merge_compareILb0ELb1EtNS0_19identity_decomposerEEEEE10hipError_tT0_T1_T2_jT3_P12ihipStream_tbPNSt15iterator_traitsISK_E10value_typeEPNSQ_ISL_E10value_typeEPSM_NS1_7vsmem_tEENKUlT_SK_SL_SM_E_clISE_PtSF_SF_EESJ_SZ_SK_SL_SM_EUlSZ_E_NS1_11comp_targetILNS1_3genE9ELNS1_11target_archE1100ELNS1_3gpuE3ELNS1_3repE0EEENS1_48merge_mergepath_partition_config_static_selectorELNS0_4arch9wavefront6targetE1EEEvSL_,comdat
.Lfunc_end1293:
	.size	_ZN7rocprim17ROCPRIM_400000_NS6detail17trampoline_kernelINS0_14default_configENS1_38merge_sort_block_merge_config_selectorItNS0_10empty_typeEEEZZNS1_27merge_sort_block_merge_implIS3_N6thrust23THRUST_200600_302600_NS6detail15normal_iteratorINS9_10device_ptrItEEEEPS5_jNS1_19radix_merge_compareILb0ELb1EtNS0_19identity_decomposerEEEEE10hipError_tT0_T1_T2_jT3_P12ihipStream_tbPNSt15iterator_traitsISK_E10value_typeEPNSQ_ISL_E10value_typeEPSM_NS1_7vsmem_tEENKUlT_SK_SL_SM_E_clISE_PtSF_SF_EESJ_SZ_SK_SL_SM_EUlSZ_E_NS1_11comp_targetILNS1_3genE9ELNS1_11target_archE1100ELNS1_3gpuE3ELNS1_3repE0EEENS1_48merge_mergepath_partition_config_static_selectorELNS0_4arch9wavefront6targetE1EEEvSL_, .Lfunc_end1293-_ZN7rocprim17ROCPRIM_400000_NS6detail17trampoline_kernelINS0_14default_configENS1_38merge_sort_block_merge_config_selectorItNS0_10empty_typeEEEZZNS1_27merge_sort_block_merge_implIS3_N6thrust23THRUST_200600_302600_NS6detail15normal_iteratorINS9_10device_ptrItEEEEPS5_jNS1_19radix_merge_compareILb0ELb1EtNS0_19identity_decomposerEEEEE10hipError_tT0_T1_T2_jT3_P12ihipStream_tbPNSt15iterator_traitsISK_E10value_typeEPNSQ_ISL_E10value_typeEPSM_NS1_7vsmem_tEENKUlT_SK_SL_SM_E_clISE_PtSF_SF_EESJ_SZ_SK_SL_SM_EUlSZ_E_NS1_11comp_targetILNS1_3genE9ELNS1_11target_archE1100ELNS1_3gpuE3ELNS1_3repE0EEENS1_48merge_mergepath_partition_config_static_selectorELNS0_4arch9wavefront6targetE1EEEvSL_
                                        ; -- End function
	.section	.AMDGPU.csdata,"",@progbits
; Kernel info:
; codeLenInByte = 0
; NumSgprs: 4
; NumVgprs: 0
; NumAgprs: 0
; TotalNumVgprs: 0
; ScratchSize: 0
; MemoryBound: 0
; FloatMode: 240
; IeeeMode: 1
; LDSByteSize: 0 bytes/workgroup (compile time only)
; SGPRBlocks: 0
; VGPRBlocks: 0
; NumSGPRsForWavesPerEU: 4
; NumVGPRsForWavesPerEU: 1
; AccumOffset: 4
; Occupancy: 8
; WaveLimiterHint : 0
; COMPUTE_PGM_RSRC2:SCRATCH_EN: 0
; COMPUTE_PGM_RSRC2:USER_SGPR: 6
; COMPUTE_PGM_RSRC2:TRAP_HANDLER: 0
; COMPUTE_PGM_RSRC2:TGID_X_EN: 1
; COMPUTE_PGM_RSRC2:TGID_Y_EN: 0
; COMPUTE_PGM_RSRC2:TGID_Z_EN: 0
; COMPUTE_PGM_RSRC2:TIDIG_COMP_CNT: 0
; COMPUTE_PGM_RSRC3_GFX90A:ACCUM_OFFSET: 0
; COMPUTE_PGM_RSRC3_GFX90A:TG_SPLIT: 0
	.section	.text._ZN7rocprim17ROCPRIM_400000_NS6detail17trampoline_kernelINS0_14default_configENS1_38merge_sort_block_merge_config_selectorItNS0_10empty_typeEEEZZNS1_27merge_sort_block_merge_implIS3_N6thrust23THRUST_200600_302600_NS6detail15normal_iteratorINS9_10device_ptrItEEEEPS5_jNS1_19radix_merge_compareILb0ELb1EtNS0_19identity_decomposerEEEEE10hipError_tT0_T1_T2_jT3_P12ihipStream_tbPNSt15iterator_traitsISK_E10value_typeEPNSQ_ISL_E10value_typeEPSM_NS1_7vsmem_tEENKUlT_SK_SL_SM_E_clISE_PtSF_SF_EESJ_SZ_SK_SL_SM_EUlSZ_E_NS1_11comp_targetILNS1_3genE8ELNS1_11target_archE1030ELNS1_3gpuE2ELNS1_3repE0EEENS1_48merge_mergepath_partition_config_static_selectorELNS0_4arch9wavefront6targetE1EEEvSL_,"axG",@progbits,_ZN7rocprim17ROCPRIM_400000_NS6detail17trampoline_kernelINS0_14default_configENS1_38merge_sort_block_merge_config_selectorItNS0_10empty_typeEEEZZNS1_27merge_sort_block_merge_implIS3_N6thrust23THRUST_200600_302600_NS6detail15normal_iteratorINS9_10device_ptrItEEEEPS5_jNS1_19radix_merge_compareILb0ELb1EtNS0_19identity_decomposerEEEEE10hipError_tT0_T1_T2_jT3_P12ihipStream_tbPNSt15iterator_traitsISK_E10value_typeEPNSQ_ISL_E10value_typeEPSM_NS1_7vsmem_tEENKUlT_SK_SL_SM_E_clISE_PtSF_SF_EESJ_SZ_SK_SL_SM_EUlSZ_E_NS1_11comp_targetILNS1_3genE8ELNS1_11target_archE1030ELNS1_3gpuE2ELNS1_3repE0EEENS1_48merge_mergepath_partition_config_static_selectorELNS0_4arch9wavefront6targetE1EEEvSL_,comdat
	.protected	_ZN7rocprim17ROCPRIM_400000_NS6detail17trampoline_kernelINS0_14default_configENS1_38merge_sort_block_merge_config_selectorItNS0_10empty_typeEEEZZNS1_27merge_sort_block_merge_implIS3_N6thrust23THRUST_200600_302600_NS6detail15normal_iteratorINS9_10device_ptrItEEEEPS5_jNS1_19radix_merge_compareILb0ELb1EtNS0_19identity_decomposerEEEEE10hipError_tT0_T1_T2_jT3_P12ihipStream_tbPNSt15iterator_traitsISK_E10value_typeEPNSQ_ISL_E10value_typeEPSM_NS1_7vsmem_tEENKUlT_SK_SL_SM_E_clISE_PtSF_SF_EESJ_SZ_SK_SL_SM_EUlSZ_E_NS1_11comp_targetILNS1_3genE8ELNS1_11target_archE1030ELNS1_3gpuE2ELNS1_3repE0EEENS1_48merge_mergepath_partition_config_static_selectorELNS0_4arch9wavefront6targetE1EEEvSL_ ; -- Begin function _ZN7rocprim17ROCPRIM_400000_NS6detail17trampoline_kernelINS0_14default_configENS1_38merge_sort_block_merge_config_selectorItNS0_10empty_typeEEEZZNS1_27merge_sort_block_merge_implIS3_N6thrust23THRUST_200600_302600_NS6detail15normal_iteratorINS9_10device_ptrItEEEEPS5_jNS1_19radix_merge_compareILb0ELb1EtNS0_19identity_decomposerEEEEE10hipError_tT0_T1_T2_jT3_P12ihipStream_tbPNSt15iterator_traitsISK_E10value_typeEPNSQ_ISL_E10value_typeEPSM_NS1_7vsmem_tEENKUlT_SK_SL_SM_E_clISE_PtSF_SF_EESJ_SZ_SK_SL_SM_EUlSZ_E_NS1_11comp_targetILNS1_3genE8ELNS1_11target_archE1030ELNS1_3gpuE2ELNS1_3repE0EEENS1_48merge_mergepath_partition_config_static_selectorELNS0_4arch9wavefront6targetE1EEEvSL_
	.globl	_ZN7rocprim17ROCPRIM_400000_NS6detail17trampoline_kernelINS0_14default_configENS1_38merge_sort_block_merge_config_selectorItNS0_10empty_typeEEEZZNS1_27merge_sort_block_merge_implIS3_N6thrust23THRUST_200600_302600_NS6detail15normal_iteratorINS9_10device_ptrItEEEEPS5_jNS1_19radix_merge_compareILb0ELb1EtNS0_19identity_decomposerEEEEE10hipError_tT0_T1_T2_jT3_P12ihipStream_tbPNSt15iterator_traitsISK_E10value_typeEPNSQ_ISL_E10value_typeEPSM_NS1_7vsmem_tEENKUlT_SK_SL_SM_E_clISE_PtSF_SF_EESJ_SZ_SK_SL_SM_EUlSZ_E_NS1_11comp_targetILNS1_3genE8ELNS1_11target_archE1030ELNS1_3gpuE2ELNS1_3repE0EEENS1_48merge_mergepath_partition_config_static_selectorELNS0_4arch9wavefront6targetE1EEEvSL_
	.p2align	8
	.type	_ZN7rocprim17ROCPRIM_400000_NS6detail17trampoline_kernelINS0_14default_configENS1_38merge_sort_block_merge_config_selectorItNS0_10empty_typeEEEZZNS1_27merge_sort_block_merge_implIS3_N6thrust23THRUST_200600_302600_NS6detail15normal_iteratorINS9_10device_ptrItEEEEPS5_jNS1_19radix_merge_compareILb0ELb1EtNS0_19identity_decomposerEEEEE10hipError_tT0_T1_T2_jT3_P12ihipStream_tbPNSt15iterator_traitsISK_E10value_typeEPNSQ_ISL_E10value_typeEPSM_NS1_7vsmem_tEENKUlT_SK_SL_SM_E_clISE_PtSF_SF_EESJ_SZ_SK_SL_SM_EUlSZ_E_NS1_11comp_targetILNS1_3genE8ELNS1_11target_archE1030ELNS1_3gpuE2ELNS1_3repE0EEENS1_48merge_mergepath_partition_config_static_selectorELNS0_4arch9wavefront6targetE1EEEvSL_,@function
_ZN7rocprim17ROCPRIM_400000_NS6detail17trampoline_kernelINS0_14default_configENS1_38merge_sort_block_merge_config_selectorItNS0_10empty_typeEEEZZNS1_27merge_sort_block_merge_implIS3_N6thrust23THRUST_200600_302600_NS6detail15normal_iteratorINS9_10device_ptrItEEEEPS5_jNS1_19radix_merge_compareILb0ELb1EtNS0_19identity_decomposerEEEEE10hipError_tT0_T1_T2_jT3_P12ihipStream_tbPNSt15iterator_traitsISK_E10value_typeEPNSQ_ISL_E10value_typeEPSM_NS1_7vsmem_tEENKUlT_SK_SL_SM_E_clISE_PtSF_SF_EESJ_SZ_SK_SL_SM_EUlSZ_E_NS1_11comp_targetILNS1_3genE8ELNS1_11target_archE1030ELNS1_3gpuE2ELNS1_3repE0EEENS1_48merge_mergepath_partition_config_static_selectorELNS0_4arch9wavefront6targetE1EEEvSL_: ; @_ZN7rocprim17ROCPRIM_400000_NS6detail17trampoline_kernelINS0_14default_configENS1_38merge_sort_block_merge_config_selectorItNS0_10empty_typeEEEZZNS1_27merge_sort_block_merge_implIS3_N6thrust23THRUST_200600_302600_NS6detail15normal_iteratorINS9_10device_ptrItEEEEPS5_jNS1_19radix_merge_compareILb0ELb1EtNS0_19identity_decomposerEEEEE10hipError_tT0_T1_T2_jT3_P12ihipStream_tbPNSt15iterator_traitsISK_E10value_typeEPNSQ_ISL_E10value_typeEPSM_NS1_7vsmem_tEENKUlT_SK_SL_SM_E_clISE_PtSF_SF_EESJ_SZ_SK_SL_SM_EUlSZ_E_NS1_11comp_targetILNS1_3genE8ELNS1_11target_archE1030ELNS1_3gpuE2ELNS1_3repE0EEENS1_48merge_mergepath_partition_config_static_selectorELNS0_4arch9wavefront6targetE1EEEvSL_
; %bb.0:
	.section	.rodata,"a",@progbits
	.p2align	6, 0x0
	.amdhsa_kernel _ZN7rocprim17ROCPRIM_400000_NS6detail17trampoline_kernelINS0_14default_configENS1_38merge_sort_block_merge_config_selectorItNS0_10empty_typeEEEZZNS1_27merge_sort_block_merge_implIS3_N6thrust23THRUST_200600_302600_NS6detail15normal_iteratorINS9_10device_ptrItEEEEPS5_jNS1_19radix_merge_compareILb0ELb1EtNS0_19identity_decomposerEEEEE10hipError_tT0_T1_T2_jT3_P12ihipStream_tbPNSt15iterator_traitsISK_E10value_typeEPNSQ_ISL_E10value_typeEPSM_NS1_7vsmem_tEENKUlT_SK_SL_SM_E_clISE_PtSF_SF_EESJ_SZ_SK_SL_SM_EUlSZ_E_NS1_11comp_targetILNS1_3genE8ELNS1_11target_archE1030ELNS1_3gpuE2ELNS1_3repE0EEENS1_48merge_mergepath_partition_config_static_selectorELNS0_4arch9wavefront6targetE1EEEvSL_
		.amdhsa_group_segment_fixed_size 0
		.amdhsa_private_segment_fixed_size 0
		.amdhsa_kernarg_size 40
		.amdhsa_user_sgpr_count 6
		.amdhsa_user_sgpr_private_segment_buffer 1
		.amdhsa_user_sgpr_dispatch_ptr 0
		.amdhsa_user_sgpr_queue_ptr 0
		.amdhsa_user_sgpr_kernarg_segment_ptr 1
		.amdhsa_user_sgpr_dispatch_id 0
		.amdhsa_user_sgpr_flat_scratch_init 0
		.amdhsa_user_sgpr_kernarg_preload_length 0
		.amdhsa_user_sgpr_kernarg_preload_offset 0
		.amdhsa_user_sgpr_private_segment_size 0
		.amdhsa_uses_dynamic_stack 0
		.amdhsa_system_sgpr_private_segment_wavefront_offset 0
		.amdhsa_system_sgpr_workgroup_id_x 1
		.amdhsa_system_sgpr_workgroup_id_y 0
		.amdhsa_system_sgpr_workgroup_id_z 0
		.amdhsa_system_sgpr_workgroup_info 0
		.amdhsa_system_vgpr_workitem_id 0
		.amdhsa_next_free_vgpr 1
		.amdhsa_next_free_sgpr 0
		.amdhsa_accum_offset 4
		.amdhsa_reserve_vcc 0
		.amdhsa_reserve_flat_scratch 0
		.amdhsa_float_round_mode_32 0
		.amdhsa_float_round_mode_16_64 0
		.amdhsa_float_denorm_mode_32 3
		.amdhsa_float_denorm_mode_16_64 3
		.amdhsa_dx10_clamp 1
		.amdhsa_ieee_mode 1
		.amdhsa_fp16_overflow 0
		.amdhsa_tg_split 0
		.amdhsa_exception_fp_ieee_invalid_op 0
		.amdhsa_exception_fp_denorm_src 0
		.amdhsa_exception_fp_ieee_div_zero 0
		.amdhsa_exception_fp_ieee_overflow 0
		.amdhsa_exception_fp_ieee_underflow 0
		.amdhsa_exception_fp_ieee_inexact 0
		.amdhsa_exception_int_div_zero 0
	.end_amdhsa_kernel
	.section	.text._ZN7rocprim17ROCPRIM_400000_NS6detail17trampoline_kernelINS0_14default_configENS1_38merge_sort_block_merge_config_selectorItNS0_10empty_typeEEEZZNS1_27merge_sort_block_merge_implIS3_N6thrust23THRUST_200600_302600_NS6detail15normal_iteratorINS9_10device_ptrItEEEEPS5_jNS1_19radix_merge_compareILb0ELb1EtNS0_19identity_decomposerEEEEE10hipError_tT0_T1_T2_jT3_P12ihipStream_tbPNSt15iterator_traitsISK_E10value_typeEPNSQ_ISL_E10value_typeEPSM_NS1_7vsmem_tEENKUlT_SK_SL_SM_E_clISE_PtSF_SF_EESJ_SZ_SK_SL_SM_EUlSZ_E_NS1_11comp_targetILNS1_3genE8ELNS1_11target_archE1030ELNS1_3gpuE2ELNS1_3repE0EEENS1_48merge_mergepath_partition_config_static_selectorELNS0_4arch9wavefront6targetE1EEEvSL_,"axG",@progbits,_ZN7rocprim17ROCPRIM_400000_NS6detail17trampoline_kernelINS0_14default_configENS1_38merge_sort_block_merge_config_selectorItNS0_10empty_typeEEEZZNS1_27merge_sort_block_merge_implIS3_N6thrust23THRUST_200600_302600_NS6detail15normal_iteratorINS9_10device_ptrItEEEEPS5_jNS1_19radix_merge_compareILb0ELb1EtNS0_19identity_decomposerEEEEE10hipError_tT0_T1_T2_jT3_P12ihipStream_tbPNSt15iterator_traitsISK_E10value_typeEPNSQ_ISL_E10value_typeEPSM_NS1_7vsmem_tEENKUlT_SK_SL_SM_E_clISE_PtSF_SF_EESJ_SZ_SK_SL_SM_EUlSZ_E_NS1_11comp_targetILNS1_3genE8ELNS1_11target_archE1030ELNS1_3gpuE2ELNS1_3repE0EEENS1_48merge_mergepath_partition_config_static_selectorELNS0_4arch9wavefront6targetE1EEEvSL_,comdat
.Lfunc_end1294:
	.size	_ZN7rocprim17ROCPRIM_400000_NS6detail17trampoline_kernelINS0_14default_configENS1_38merge_sort_block_merge_config_selectorItNS0_10empty_typeEEEZZNS1_27merge_sort_block_merge_implIS3_N6thrust23THRUST_200600_302600_NS6detail15normal_iteratorINS9_10device_ptrItEEEEPS5_jNS1_19radix_merge_compareILb0ELb1EtNS0_19identity_decomposerEEEEE10hipError_tT0_T1_T2_jT3_P12ihipStream_tbPNSt15iterator_traitsISK_E10value_typeEPNSQ_ISL_E10value_typeEPSM_NS1_7vsmem_tEENKUlT_SK_SL_SM_E_clISE_PtSF_SF_EESJ_SZ_SK_SL_SM_EUlSZ_E_NS1_11comp_targetILNS1_3genE8ELNS1_11target_archE1030ELNS1_3gpuE2ELNS1_3repE0EEENS1_48merge_mergepath_partition_config_static_selectorELNS0_4arch9wavefront6targetE1EEEvSL_, .Lfunc_end1294-_ZN7rocprim17ROCPRIM_400000_NS6detail17trampoline_kernelINS0_14default_configENS1_38merge_sort_block_merge_config_selectorItNS0_10empty_typeEEEZZNS1_27merge_sort_block_merge_implIS3_N6thrust23THRUST_200600_302600_NS6detail15normal_iteratorINS9_10device_ptrItEEEEPS5_jNS1_19radix_merge_compareILb0ELb1EtNS0_19identity_decomposerEEEEE10hipError_tT0_T1_T2_jT3_P12ihipStream_tbPNSt15iterator_traitsISK_E10value_typeEPNSQ_ISL_E10value_typeEPSM_NS1_7vsmem_tEENKUlT_SK_SL_SM_E_clISE_PtSF_SF_EESJ_SZ_SK_SL_SM_EUlSZ_E_NS1_11comp_targetILNS1_3genE8ELNS1_11target_archE1030ELNS1_3gpuE2ELNS1_3repE0EEENS1_48merge_mergepath_partition_config_static_selectorELNS0_4arch9wavefront6targetE1EEEvSL_
                                        ; -- End function
	.section	.AMDGPU.csdata,"",@progbits
; Kernel info:
; codeLenInByte = 0
; NumSgprs: 4
; NumVgprs: 0
; NumAgprs: 0
; TotalNumVgprs: 0
; ScratchSize: 0
; MemoryBound: 0
; FloatMode: 240
; IeeeMode: 1
; LDSByteSize: 0 bytes/workgroup (compile time only)
; SGPRBlocks: 0
; VGPRBlocks: 0
; NumSGPRsForWavesPerEU: 4
; NumVGPRsForWavesPerEU: 1
; AccumOffset: 4
; Occupancy: 8
; WaveLimiterHint : 0
; COMPUTE_PGM_RSRC2:SCRATCH_EN: 0
; COMPUTE_PGM_RSRC2:USER_SGPR: 6
; COMPUTE_PGM_RSRC2:TRAP_HANDLER: 0
; COMPUTE_PGM_RSRC2:TGID_X_EN: 1
; COMPUTE_PGM_RSRC2:TGID_Y_EN: 0
; COMPUTE_PGM_RSRC2:TGID_Z_EN: 0
; COMPUTE_PGM_RSRC2:TIDIG_COMP_CNT: 0
; COMPUTE_PGM_RSRC3_GFX90A:ACCUM_OFFSET: 0
; COMPUTE_PGM_RSRC3_GFX90A:TG_SPLIT: 0
	.section	.text._ZN7rocprim17ROCPRIM_400000_NS6detail17trampoline_kernelINS0_14default_configENS1_38merge_sort_block_merge_config_selectorItNS0_10empty_typeEEEZZNS1_27merge_sort_block_merge_implIS3_N6thrust23THRUST_200600_302600_NS6detail15normal_iteratorINS9_10device_ptrItEEEEPS5_jNS1_19radix_merge_compareILb0ELb1EtNS0_19identity_decomposerEEEEE10hipError_tT0_T1_T2_jT3_P12ihipStream_tbPNSt15iterator_traitsISK_E10value_typeEPNSQ_ISL_E10value_typeEPSM_NS1_7vsmem_tEENKUlT_SK_SL_SM_E_clISE_PtSF_SF_EESJ_SZ_SK_SL_SM_EUlSZ_E0_NS1_11comp_targetILNS1_3genE0ELNS1_11target_archE4294967295ELNS1_3gpuE0ELNS1_3repE0EEENS1_38merge_mergepath_config_static_selectorELNS0_4arch9wavefront6targetE1EEEvSL_,"axG",@progbits,_ZN7rocprim17ROCPRIM_400000_NS6detail17trampoline_kernelINS0_14default_configENS1_38merge_sort_block_merge_config_selectorItNS0_10empty_typeEEEZZNS1_27merge_sort_block_merge_implIS3_N6thrust23THRUST_200600_302600_NS6detail15normal_iteratorINS9_10device_ptrItEEEEPS5_jNS1_19radix_merge_compareILb0ELb1EtNS0_19identity_decomposerEEEEE10hipError_tT0_T1_T2_jT3_P12ihipStream_tbPNSt15iterator_traitsISK_E10value_typeEPNSQ_ISL_E10value_typeEPSM_NS1_7vsmem_tEENKUlT_SK_SL_SM_E_clISE_PtSF_SF_EESJ_SZ_SK_SL_SM_EUlSZ_E0_NS1_11comp_targetILNS1_3genE0ELNS1_11target_archE4294967295ELNS1_3gpuE0ELNS1_3repE0EEENS1_38merge_mergepath_config_static_selectorELNS0_4arch9wavefront6targetE1EEEvSL_,comdat
	.protected	_ZN7rocprim17ROCPRIM_400000_NS6detail17trampoline_kernelINS0_14default_configENS1_38merge_sort_block_merge_config_selectorItNS0_10empty_typeEEEZZNS1_27merge_sort_block_merge_implIS3_N6thrust23THRUST_200600_302600_NS6detail15normal_iteratorINS9_10device_ptrItEEEEPS5_jNS1_19radix_merge_compareILb0ELb1EtNS0_19identity_decomposerEEEEE10hipError_tT0_T1_T2_jT3_P12ihipStream_tbPNSt15iterator_traitsISK_E10value_typeEPNSQ_ISL_E10value_typeEPSM_NS1_7vsmem_tEENKUlT_SK_SL_SM_E_clISE_PtSF_SF_EESJ_SZ_SK_SL_SM_EUlSZ_E0_NS1_11comp_targetILNS1_3genE0ELNS1_11target_archE4294967295ELNS1_3gpuE0ELNS1_3repE0EEENS1_38merge_mergepath_config_static_selectorELNS0_4arch9wavefront6targetE1EEEvSL_ ; -- Begin function _ZN7rocprim17ROCPRIM_400000_NS6detail17trampoline_kernelINS0_14default_configENS1_38merge_sort_block_merge_config_selectorItNS0_10empty_typeEEEZZNS1_27merge_sort_block_merge_implIS3_N6thrust23THRUST_200600_302600_NS6detail15normal_iteratorINS9_10device_ptrItEEEEPS5_jNS1_19radix_merge_compareILb0ELb1EtNS0_19identity_decomposerEEEEE10hipError_tT0_T1_T2_jT3_P12ihipStream_tbPNSt15iterator_traitsISK_E10value_typeEPNSQ_ISL_E10value_typeEPSM_NS1_7vsmem_tEENKUlT_SK_SL_SM_E_clISE_PtSF_SF_EESJ_SZ_SK_SL_SM_EUlSZ_E0_NS1_11comp_targetILNS1_3genE0ELNS1_11target_archE4294967295ELNS1_3gpuE0ELNS1_3repE0EEENS1_38merge_mergepath_config_static_selectorELNS0_4arch9wavefront6targetE1EEEvSL_
	.globl	_ZN7rocprim17ROCPRIM_400000_NS6detail17trampoline_kernelINS0_14default_configENS1_38merge_sort_block_merge_config_selectorItNS0_10empty_typeEEEZZNS1_27merge_sort_block_merge_implIS3_N6thrust23THRUST_200600_302600_NS6detail15normal_iteratorINS9_10device_ptrItEEEEPS5_jNS1_19radix_merge_compareILb0ELb1EtNS0_19identity_decomposerEEEEE10hipError_tT0_T1_T2_jT3_P12ihipStream_tbPNSt15iterator_traitsISK_E10value_typeEPNSQ_ISL_E10value_typeEPSM_NS1_7vsmem_tEENKUlT_SK_SL_SM_E_clISE_PtSF_SF_EESJ_SZ_SK_SL_SM_EUlSZ_E0_NS1_11comp_targetILNS1_3genE0ELNS1_11target_archE4294967295ELNS1_3gpuE0ELNS1_3repE0EEENS1_38merge_mergepath_config_static_selectorELNS0_4arch9wavefront6targetE1EEEvSL_
	.p2align	8
	.type	_ZN7rocprim17ROCPRIM_400000_NS6detail17trampoline_kernelINS0_14default_configENS1_38merge_sort_block_merge_config_selectorItNS0_10empty_typeEEEZZNS1_27merge_sort_block_merge_implIS3_N6thrust23THRUST_200600_302600_NS6detail15normal_iteratorINS9_10device_ptrItEEEEPS5_jNS1_19radix_merge_compareILb0ELb1EtNS0_19identity_decomposerEEEEE10hipError_tT0_T1_T2_jT3_P12ihipStream_tbPNSt15iterator_traitsISK_E10value_typeEPNSQ_ISL_E10value_typeEPSM_NS1_7vsmem_tEENKUlT_SK_SL_SM_E_clISE_PtSF_SF_EESJ_SZ_SK_SL_SM_EUlSZ_E0_NS1_11comp_targetILNS1_3genE0ELNS1_11target_archE4294967295ELNS1_3gpuE0ELNS1_3repE0EEENS1_38merge_mergepath_config_static_selectorELNS0_4arch9wavefront6targetE1EEEvSL_,@function
_ZN7rocprim17ROCPRIM_400000_NS6detail17trampoline_kernelINS0_14default_configENS1_38merge_sort_block_merge_config_selectorItNS0_10empty_typeEEEZZNS1_27merge_sort_block_merge_implIS3_N6thrust23THRUST_200600_302600_NS6detail15normal_iteratorINS9_10device_ptrItEEEEPS5_jNS1_19radix_merge_compareILb0ELb1EtNS0_19identity_decomposerEEEEE10hipError_tT0_T1_T2_jT3_P12ihipStream_tbPNSt15iterator_traitsISK_E10value_typeEPNSQ_ISL_E10value_typeEPSM_NS1_7vsmem_tEENKUlT_SK_SL_SM_E_clISE_PtSF_SF_EESJ_SZ_SK_SL_SM_EUlSZ_E0_NS1_11comp_targetILNS1_3genE0ELNS1_11target_archE4294967295ELNS1_3gpuE0ELNS1_3repE0EEENS1_38merge_mergepath_config_static_selectorELNS0_4arch9wavefront6targetE1EEEvSL_: ; @_ZN7rocprim17ROCPRIM_400000_NS6detail17trampoline_kernelINS0_14default_configENS1_38merge_sort_block_merge_config_selectorItNS0_10empty_typeEEEZZNS1_27merge_sort_block_merge_implIS3_N6thrust23THRUST_200600_302600_NS6detail15normal_iteratorINS9_10device_ptrItEEEEPS5_jNS1_19radix_merge_compareILb0ELb1EtNS0_19identity_decomposerEEEEE10hipError_tT0_T1_T2_jT3_P12ihipStream_tbPNSt15iterator_traitsISK_E10value_typeEPNSQ_ISL_E10value_typeEPSM_NS1_7vsmem_tEENKUlT_SK_SL_SM_E_clISE_PtSF_SF_EESJ_SZ_SK_SL_SM_EUlSZ_E0_NS1_11comp_targetILNS1_3genE0ELNS1_11target_archE4294967295ELNS1_3gpuE0ELNS1_3repE0EEENS1_38merge_mergepath_config_static_selectorELNS0_4arch9wavefront6targetE1EEEvSL_
; %bb.0:
	.section	.rodata,"a",@progbits
	.p2align	6, 0x0
	.amdhsa_kernel _ZN7rocprim17ROCPRIM_400000_NS6detail17trampoline_kernelINS0_14default_configENS1_38merge_sort_block_merge_config_selectorItNS0_10empty_typeEEEZZNS1_27merge_sort_block_merge_implIS3_N6thrust23THRUST_200600_302600_NS6detail15normal_iteratorINS9_10device_ptrItEEEEPS5_jNS1_19radix_merge_compareILb0ELb1EtNS0_19identity_decomposerEEEEE10hipError_tT0_T1_T2_jT3_P12ihipStream_tbPNSt15iterator_traitsISK_E10value_typeEPNSQ_ISL_E10value_typeEPSM_NS1_7vsmem_tEENKUlT_SK_SL_SM_E_clISE_PtSF_SF_EESJ_SZ_SK_SL_SM_EUlSZ_E0_NS1_11comp_targetILNS1_3genE0ELNS1_11target_archE4294967295ELNS1_3gpuE0ELNS1_3repE0EEENS1_38merge_mergepath_config_static_selectorELNS0_4arch9wavefront6targetE1EEEvSL_
		.amdhsa_group_segment_fixed_size 0
		.amdhsa_private_segment_fixed_size 0
		.amdhsa_kernarg_size 64
		.amdhsa_user_sgpr_count 6
		.amdhsa_user_sgpr_private_segment_buffer 1
		.amdhsa_user_sgpr_dispatch_ptr 0
		.amdhsa_user_sgpr_queue_ptr 0
		.amdhsa_user_sgpr_kernarg_segment_ptr 1
		.amdhsa_user_sgpr_dispatch_id 0
		.amdhsa_user_sgpr_flat_scratch_init 0
		.amdhsa_user_sgpr_kernarg_preload_length 0
		.amdhsa_user_sgpr_kernarg_preload_offset 0
		.amdhsa_user_sgpr_private_segment_size 0
		.amdhsa_uses_dynamic_stack 0
		.amdhsa_system_sgpr_private_segment_wavefront_offset 0
		.amdhsa_system_sgpr_workgroup_id_x 1
		.amdhsa_system_sgpr_workgroup_id_y 0
		.amdhsa_system_sgpr_workgroup_id_z 0
		.amdhsa_system_sgpr_workgroup_info 0
		.amdhsa_system_vgpr_workitem_id 0
		.amdhsa_next_free_vgpr 1
		.amdhsa_next_free_sgpr 0
		.amdhsa_accum_offset 4
		.amdhsa_reserve_vcc 0
		.amdhsa_reserve_flat_scratch 0
		.amdhsa_float_round_mode_32 0
		.amdhsa_float_round_mode_16_64 0
		.amdhsa_float_denorm_mode_32 3
		.amdhsa_float_denorm_mode_16_64 3
		.amdhsa_dx10_clamp 1
		.amdhsa_ieee_mode 1
		.amdhsa_fp16_overflow 0
		.amdhsa_tg_split 0
		.amdhsa_exception_fp_ieee_invalid_op 0
		.amdhsa_exception_fp_denorm_src 0
		.amdhsa_exception_fp_ieee_div_zero 0
		.amdhsa_exception_fp_ieee_overflow 0
		.amdhsa_exception_fp_ieee_underflow 0
		.amdhsa_exception_fp_ieee_inexact 0
		.amdhsa_exception_int_div_zero 0
	.end_amdhsa_kernel
	.section	.text._ZN7rocprim17ROCPRIM_400000_NS6detail17trampoline_kernelINS0_14default_configENS1_38merge_sort_block_merge_config_selectorItNS0_10empty_typeEEEZZNS1_27merge_sort_block_merge_implIS3_N6thrust23THRUST_200600_302600_NS6detail15normal_iteratorINS9_10device_ptrItEEEEPS5_jNS1_19radix_merge_compareILb0ELb1EtNS0_19identity_decomposerEEEEE10hipError_tT0_T1_T2_jT3_P12ihipStream_tbPNSt15iterator_traitsISK_E10value_typeEPNSQ_ISL_E10value_typeEPSM_NS1_7vsmem_tEENKUlT_SK_SL_SM_E_clISE_PtSF_SF_EESJ_SZ_SK_SL_SM_EUlSZ_E0_NS1_11comp_targetILNS1_3genE0ELNS1_11target_archE4294967295ELNS1_3gpuE0ELNS1_3repE0EEENS1_38merge_mergepath_config_static_selectorELNS0_4arch9wavefront6targetE1EEEvSL_,"axG",@progbits,_ZN7rocprim17ROCPRIM_400000_NS6detail17trampoline_kernelINS0_14default_configENS1_38merge_sort_block_merge_config_selectorItNS0_10empty_typeEEEZZNS1_27merge_sort_block_merge_implIS3_N6thrust23THRUST_200600_302600_NS6detail15normal_iteratorINS9_10device_ptrItEEEEPS5_jNS1_19radix_merge_compareILb0ELb1EtNS0_19identity_decomposerEEEEE10hipError_tT0_T1_T2_jT3_P12ihipStream_tbPNSt15iterator_traitsISK_E10value_typeEPNSQ_ISL_E10value_typeEPSM_NS1_7vsmem_tEENKUlT_SK_SL_SM_E_clISE_PtSF_SF_EESJ_SZ_SK_SL_SM_EUlSZ_E0_NS1_11comp_targetILNS1_3genE0ELNS1_11target_archE4294967295ELNS1_3gpuE0ELNS1_3repE0EEENS1_38merge_mergepath_config_static_selectorELNS0_4arch9wavefront6targetE1EEEvSL_,comdat
.Lfunc_end1295:
	.size	_ZN7rocprim17ROCPRIM_400000_NS6detail17trampoline_kernelINS0_14default_configENS1_38merge_sort_block_merge_config_selectorItNS0_10empty_typeEEEZZNS1_27merge_sort_block_merge_implIS3_N6thrust23THRUST_200600_302600_NS6detail15normal_iteratorINS9_10device_ptrItEEEEPS5_jNS1_19radix_merge_compareILb0ELb1EtNS0_19identity_decomposerEEEEE10hipError_tT0_T1_T2_jT3_P12ihipStream_tbPNSt15iterator_traitsISK_E10value_typeEPNSQ_ISL_E10value_typeEPSM_NS1_7vsmem_tEENKUlT_SK_SL_SM_E_clISE_PtSF_SF_EESJ_SZ_SK_SL_SM_EUlSZ_E0_NS1_11comp_targetILNS1_3genE0ELNS1_11target_archE4294967295ELNS1_3gpuE0ELNS1_3repE0EEENS1_38merge_mergepath_config_static_selectorELNS0_4arch9wavefront6targetE1EEEvSL_, .Lfunc_end1295-_ZN7rocprim17ROCPRIM_400000_NS6detail17trampoline_kernelINS0_14default_configENS1_38merge_sort_block_merge_config_selectorItNS0_10empty_typeEEEZZNS1_27merge_sort_block_merge_implIS3_N6thrust23THRUST_200600_302600_NS6detail15normal_iteratorINS9_10device_ptrItEEEEPS5_jNS1_19radix_merge_compareILb0ELb1EtNS0_19identity_decomposerEEEEE10hipError_tT0_T1_T2_jT3_P12ihipStream_tbPNSt15iterator_traitsISK_E10value_typeEPNSQ_ISL_E10value_typeEPSM_NS1_7vsmem_tEENKUlT_SK_SL_SM_E_clISE_PtSF_SF_EESJ_SZ_SK_SL_SM_EUlSZ_E0_NS1_11comp_targetILNS1_3genE0ELNS1_11target_archE4294967295ELNS1_3gpuE0ELNS1_3repE0EEENS1_38merge_mergepath_config_static_selectorELNS0_4arch9wavefront6targetE1EEEvSL_
                                        ; -- End function
	.section	.AMDGPU.csdata,"",@progbits
; Kernel info:
; codeLenInByte = 0
; NumSgprs: 4
; NumVgprs: 0
; NumAgprs: 0
; TotalNumVgprs: 0
; ScratchSize: 0
; MemoryBound: 0
; FloatMode: 240
; IeeeMode: 1
; LDSByteSize: 0 bytes/workgroup (compile time only)
; SGPRBlocks: 0
; VGPRBlocks: 0
; NumSGPRsForWavesPerEU: 4
; NumVGPRsForWavesPerEU: 1
; AccumOffset: 4
; Occupancy: 8
; WaveLimiterHint : 0
; COMPUTE_PGM_RSRC2:SCRATCH_EN: 0
; COMPUTE_PGM_RSRC2:USER_SGPR: 6
; COMPUTE_PGM_RSRC2:TRAP_HANDLER: 0
; COMPUTE_PGM_RSRC2:TGID_X_EN: 1
; COMPUTE_PGM_RSRC2:TGID_Y_EN: 0
; COMPUTE_PGM_RSRC2:TGID_Z_EN: 0
; COMPUTE_PGM_RSRC2:TIDIG_COMP_CNT: 0
; COMPUTE_PGM_RSRC3_GFX90A:ACCUM_OFFSET: 0
; COMPUTE_PGM_RSRC3_GFX90A:TG_SPLIT: 0
	.section	.text._ZN7rocprim17ROCPRIM_400000_NS6detail17trampoline_kernelINS0_14default_configENS1_38merge_sort_block_merge_config_selectorItNS0_10empty_typeEEEZZNS1_27merge_sort_block_merge_implIS3_N6thrust23THRUST_200600_302600_NS6detail15normal_iteratorINS9_10device_ptrItEEEEPS5_jNS1_19radix_merge_compareILb0ELb1EtNS0_19identity_decomposerEEEEE10hipError_tT0_T1_T2_jT3_P12ihipStream_tbPNSt15iterator_traitsISK_E10value_typeEPNSQ_ISL_E10value_typeEPSM_NS1_7vsmem_tEENKUlT_SK_SL_SM_E_clISE_PtSF_SF_EESJ_SZ_SK_SL_SM_EUlSZ_E0_NS1_11comp_targetILNS1_3genE10ELNS1_11target_archE1201ELNS1_3gpuE5ELNS1_3repE0EEENS1_38merge_mergepath_config_static_selectorELNS0_4arch9wavefront6targetE1EEEvSL_,"axG",@progbits,_ZN7rocprim17ROCPRIM_400000_NS6detail17trampoline_kernelINS0_14default_configENS1_38merge_sort_block_merge_config_selectorItNS0_10empty_typeEEEZZNS1_27merge_sort_block_merge_implIS3_N6thrust23THRUST_200600_302600_NS6detail15normal_iteratorINS9_10device_ptrItEEEEPS5_jNS1_19radix_merge_compareILb0ELb1EtNS0_19identity_decomposerEEEEE10hipError_tT0_T1_T2_jT3_P12ihipStream_tbPNSt15iterator_traitsISK_E10value_typeEPNSQ_ISL_E10value_typeEPSM_NS1_7vsmem_tEENKUlT_SK_SL_SM_E_clISE_PtSF_SF_EESJ_SZ_SK_SL_SM_EUlSZ_E0_NS1_11comp_targetILNS1_3genE10ELNS1_11target_archE1201ELNS1_3gpuE5ELNS1_3repE0EEENS1_38merge_mergepath_config_static_selectorELNS0_4arch9wavefront6targetE1EEEvSL_,comdat
	.protected	_ZN7rocprim17ROCPRIM_400000_NS6detail17trampoline_kernelINS0_14default_configENS1_38merge_sort_block_merge_config_selectorItNS0_10empty_typeEEEZZNS1_27merge_sort_block_merge_implIS3_N6thrust23THRUST_200600_302600_NS6detail15normal_iteratorINS9_10device_ptrItEEEEPS5_jNS1_19radix_merge_compareILb0ELb1EtNS0_19identity_decomposerEEEEE10hipError_tT0_T1_T2_jT3_P12ihipStream_tbPNSt15iterator_traitsISK_E10value_typeEPNSQ_ISL_E10value_typeEPSM_NS1_7vsmem_tEENKUlT_SK_SL_SM_E_clISE_PtSF_SF_EESJ_SZ_SK_SL_SM_EUlSZ_E0_NS1_11comp_targetILNS1_3genE10ELNS1_11target_archE1201ELNS1_3gpuE5ELNS1_3repE0EEENS1_38merge_mergepath_config_static_selectorELNS0_4arch9wavefront6targetE1EEEvSL_ ; -- Begin function _ZN7rocprim17ROCPRIM_400000_NS6detail17trampoline_kernelINS0_14default_configENS1_38merge_sort_block_merge_config_selectorItNS0_10empty_typeEEEZZNS1_27merge_sort_block_merge_implIS3_N6thrust23THRUST_200600_302600_NS6detail15normal_iteratorINS9_10device_ptrItEEEEPS5_jNS1_19radix_merge_compareILb0ELb1EtNS0_19identity_decomposerEEEEE10hipError_tT0_T1_T2_jT3_P12ihipStream_tbPNSt15iterator_traitsISK_E10value_typeEPNSQ_ISL_E10value_typeEPSM_NS1_7vsmem_tEENKUlT_SK_SL_SM_E_clISE_PtSF_SF_EESJ_SZ_SK_SL_SM_EUlSZ_E0_NS1_11comp_targetILNS1_3genE10ELNS1_11target_archE1201ELNS1_3gpuE5ELNS1_3repE0EEENS1_38merge_mergepath_config_static_selectorELNS0_4arch9wavefront6targetE1EEEvSL_
	.globl	_ZN7rocprim17ROCPRIM_400000_NS6detail17trampoline_kernelINS0_14default_configENS1_38merge_sort_block_merge_config_selectorItNS0_10empty_typeEEEZZNS1_27merge_sort_block_merge_implIS3_N6thrust23THRUST_200600_302600_NS6detail15normal_iteratorINS9_10device_ptrItEEEEPS5_jNS1_19radix_merge_compareILb0ELb1EtNS0_19identity_decomposerEEEEE10hipError_tT0_T1_T2_jT3_P12ihipStream_tbPNSt15iterator_traitsISK_E10value_typeEPNSQ_ISL_E10value_typeEPSM_NS1_7vsmem_tEENKUlT_SK_SL_SM_E_clISE_PtSF_SF_EESJ_SZ_SK_SL_SM_EUlSZ_E0_NS1_11comp_targetILNS1_3genE10ELNS1_11target_archE1201ELNS1_3gpuE5ELNS1_3repE0EEENS1_38merge_mergepath_config_static_selectorELNS0_4arch9wavefront6targetE1EEEvSL_
	.p2align	8
	.type	_ZN7rocprim17ROCPRIM_400000_NS6detail17trampoline_kernelINS0_14default_configENS1_38merge_sort_block_merge_config_selectorItNS0_10empty_typeEEEZZNS1_27merge_sort_block_merge_implIS3_N6thrust23THRUST_200600_302600_NS6detail15normal_iteratorINS9_10device_ptrItEEEEPS5_jNS1_19radix_merge_compareILb0ELb1EtNS0_19identity_decomposerEEEEE10hipError_tT0_T1_T2_jT3_P12ihipStream_tbPNSt15iterator_traitsISK_E10value_typeEPNSQ_ISL_E10value_typeEPSM_NS1_7vsmem_tEENKUlT_SK_SL_SM_E_clISE_PtSF_SF_EESJ_SZ_SK_SL_SM_EUlSZ_E0_NS1_11comp_targetILNS1_3genE10ELNS1_11target_archE1201ELNS1_3gpuE5ELNS1_3repE0EEENS1_38merge_mergepath_config_static_selectorELNS0_4arch9wavefront6targetE1EEEvSL_,@function
_ZN7rocprim17ROCPRIM_400000_NS6detail17trampoline_kernelINS0_14default_configENS1_38merge_sort_block_merge_config_selectorItNS0_10empty_typeEEEZZNS1_27merge_sort_block_merge_implIS3_N6thrust23THRUST_200600_302600_NS6detail15normal_iteratorINS9_10device_ptrItEEEEPS5_jNS1_19radix_merge_compareILb0ELb1EtNS0_19identity_decomposerEEEEE10hipError_tT0_T1_T2_jT3_P12ihipStream_tbPNSt15iterator_traitsISK_E10value_typeEPNSQ_ISL_E10value_typeEPSM_NS1_7vsmem_tEENKUlT_SK_SL_SM_E_clISE_PtSF_SF_EESJ_SZ_SK_SL_SM_EUlSZ_E0_NS1_11comp_targetILNS1_3genE10ELNS1_11target_archE1201ELNS1_3gpuE5ELNS1_3repE0EEENS1_38merge_mergepath_config_static_selectorELNS0_4arch9wavefront6targetE1EEEvSL_: ; @_ZN7rocprim17ROCPRIM_400000_NS6detail17trampoline_kernelINS0_14default_configENS1_38merge_sort_block_merge_config_selectorItNS0_10empty_typeEEEZZNS1_27merge_sort_block_merge_implIS3_N6thrust23THRUST_200600_302600_NS6detail15normal_iteratorINS9_10device_ptrItEEEEPS5_jNS1_19radix_merge_compareILb0ELb1EtNS0_19identity_decomposerEEEEE10hipError_tT0_T1_T2_jT3_P12ihipStream_tbPNSt15iterator_traitsISK_E10value_typeEPNSQ_ISL_E10value_typeEPSM_NS1_7vsmem_tEENKUlT_SK_SL_SM_E_clISE_PtSF_SF_EESJ_SZ_SK_SL_SM_EUlSZ_E0_NS1_11comp_targetILNS1_3genE10ELNS1_11target_archE1201ELNS1_3gpuE5ELNS1_3repE0EEENS1_38merge_mergepath_config_static_selectorELNS0_4arch9wavefront6targetE1EEEvSL_
; %bb.0:
	.section	.rodata,"a",@progbits
	.p2align	6, 0x0
	.amdhsa_kernel _ZN7rocprim17ROCPRIM_400000_NS6detail17trampoline_kernelINS0_14default_configENS1_38merge_sort_block_merge_config_selectorItNS0_10empty_typeEEEZZNS1_27merge_sort_block_merge_implIS3_N6thrust23THRUST_200600_302600_NS6detail15normal_iteratorINS9_10device_ptrItEEEEPS5_jNS1_19radix_merge_compareILb0ELb1EtNS0_19identity_decomposerEEEEE10hipError_tT0_T1_T2_jT3_P12ihipStream_tbPNSt15iterator_traitsISK_E10value_typeEPNSQ_ISL_E10value_typeEPSM_NS1_7vsmem_tEENKUlT_SK_SL_SM_E_clISE_PtSF_SF_EESJ_SZ_SK_SL_SM_EUlSZ_E0_NS1_11comp_targetILNS1_3genE10ELNS1_11target_archE1201ELNS1_3gpuE5ELNS1_3repE0EEENS1_38merge_mergepath_config_static_selectorELNS0_4arch9wavefront6targetE1EEEvSL_
		.amdhsa_group_segment_fixed_size 0
		.amdhsa_private_segment_fixed_size 0
		.amdhsa_kernarg_size 64
		.amdhsa_user_sgpr_count 6
		.amdhsa_user_sgpr_private_segment_buffer 1
		.amdhsa_user_sgpr_dispatch_ptr 0
		.amdhsa_user_sgpr_queue_ptr 0
		.amdhsa_user_sgpr_kernarg_segment_ptr 1
		.amdhsa_user_sgpr_dispatch_id 0
		.amdhsa_user_sgpr_flat_scratch_init 0
		.amdhsa_user_sgpr_kernarg_preload_length 0
		.amdhsa_user_sgpr_kernarg_preload_offset 0
		.amdhsa_user_sgpr_private_segment_size 0
		.amdhsa_uses_dynamic_stack 0
		.amdhsa_system_sgpr_private_segment_wavefront_offset 0
		.amdhsa_system_sgpr_workgroup_id_x 1
		.amdhsa_system_sgpr_workgroup_id_y 0
		.amdhsa_system_sgpr_workgroup_id_z 0
		.amdhsa_system_sgpr_workgroup_info 0
		.amdhsa_system_vgpr_workitem_id 0
		.amdhsa_next_free_vgpr 1
		.amdhsa_next_free_sgpr 0
		.amdhsa_accum_offset 4
		.amdhsa_reserve_vcc 0
		.amdhsa_reserve_flat_scratch 0
		.amdhsa_float_round_mode_32 0
		.amdhsa_float_round_mode_16_64 0
		.amdhsa_float_denorm_mode_32 3
		.amdhsa_float_denorm_mode_16_64 3
		.amdhsa_dx10_clamp 1
		.amdhsa_ieee_mode 1
		.amdhsa_fp16_overflow 0
		.amdhsa_tg_split 0
		.amdhsa_exception_fp_ieee_invalid_op 0
		.amdhsa_exception_fp_denorm_src 0
		.amdhsa_exception_fp_ieee_div_zero 0
		.amdhsa_exception_fp_ieee_overflow 0
		.amdhsa_exception_fp_ieee_underflow 0
		.amdhsa_exception_fp_ieee_inexact 0
		.amdhsa_exception_int_div_zero 0
	.end_amdhsa_kernel
	.section	.text._ZN7rocprim17ROCPRIM_400000_NS6detail17trampoline_kernelINS0_14default_configENS1_38merge_sort_block_merge_config_selectorItNS0_10empty_typeEEEZZNS1_27merge_sort_block_merge_implIS3_N6thrust23THRUST_200600_302600_NS6detail15normal_iteratorINS9_10device_ptrItEEEEPS5_jNS1_19radix_merge_compareILb0ELb1EtNS0_19identity_decomposerEEEEE10hipError_tT0_T1_T2_jT3_P12ihipStream_tbPNSt15iterator_traitsISK_E10value_typeEPNSQ_ISL_E10value_typeEPSM_NS1_7vsmem_tEENKUlT_SK_SL_SM_E_clISE_PtSF_SF_EESJ_SZ_SK_SL_SM_EUlSZ_E0_NS1_11comp_targetILNS1_3genE10ELNS1_11target_archE1201ELNS1_3gpuE5ELNS1_3repE0EEENS1_38merge_mergepath_config_static_selectorELNS0_4arch9wavefront6targetE1EEEvSL_,"axG",@progbits,_ZN7rocprim17ROCPRIM_400000_NS6detail17trampoline_kernelINS0_14default_configENS1_38merge_sort_block_merge_config_selectorItNS0_10empty_typeEEEZZNS1_27merge_sort_block_merge_implIS3_N6thrust23THRUST_200600_302600_NS6detail15normal_iteratorINS9_10device_ptrItEEEEPS5_jNS1_19radix_merge_compareILb0ELb1EtNS0_19identity_decomposerEEEEE10hipError_tT0_T1_T2_jT3_P12ihipStream_tbPNSt15iterator_traitsISK_E10value_typeEPNSQ_ISL_E10value_typeEPSM_NS1_7vsmem_tEENKUlT_SK_SL_SM_E_clISE_PtSF_SF_EESJ_SZ_SK_SL_SM_EUlSZ_E0_NS1_11comp_targetILNS1_3genE10ELNS1_11target_archE1201ELNS1_3gpuE5ELNS1_3repE0EEENS1_38merge_mergepath_config_static_selectorELNS0_4arch9wavefront6targetE1EEEvSL_,comdat
.Lfunc_end1296:
	.size	_ZN7rocprim17ROCPRIM_400000_NS6detail17trampoline_kernelINS0_14default_configENS1_38merge_sort_block_merge_config_selectorItNS0_10empty_typeEEEZZNS1_27merge_sort_block_merge_implIS3_N6thrust23THRUST_200600_302600_NS6detail15normal_iteratorINS9_10device_ptrItEEEEPS5_jNS1_19radix_merge_compareILb0ELb1EtNS0_19identity_decomposerEEEEE10hipError_tT0_T1_T2_jT3_P12ihipStream_tbPNSt15iterator_traitsISK_E10value_typeEPNSQ_ISL_E10value_typeEPSM_NS1_7vsmem_tEENKUlT_SK_SL_SM_E_clISE_PtSF_SF_EESJ_SZ_SK_SL_SM_EUlSZ_E0_NS1_11comp_targetILNS1_3genE10ELNS1_11target_archE1201ELNS1_3gpuE5ELNS1_3repE0EEENS1_38merge_mergepath_config_static_selectorELNS0_4arch9wavefront6targetE1EEEvSL_, .Lfunc_end1296-_ZN7rocprim17ROCPRIM_400000_NS6detail17trampoline_kernelINS0_14default_configENS1_38merge_sort_block_merge_config_selectorItNS0_10empty_typeEEEZZNS1_27merge_sort_block_merge_implIS3_N6thrust23THRUST_200600_302600_NS6detail15normal_iteratorINS9_10device_ptrItEEEEPS5_jNS1_19radix_merge_compareILb0ELb1EtNS0_19identity_decomposerEEEEE10hipError_tT0_T1_T2_jT3_P12ihipStream_tbPNSt15iterator_traitsISK_E10value_typeEPNSQ_ISL_E10value_typeEPSM_NS1_7vsmem_tEENKUlT_SK_SL_SM_E_clISE_PtSF_SF_EESJ_SZ_SK_SL_SM_EUlSZ_E0_NS1_11comp_targetILNS1_3genE10ELNS1_11target_archE1201ELNS1_3gpuE5ELNS1_3repE0EEENS1_38merge_mergepath_config_static_selectorELNS0_4arch9wavefront6targetE1EEEvSL_
                                        ; -- End function
	.section	.AMDGPU.csdata,"",@progbits
; Kernel info:
; codeLenInByte = 0
; NumSgprs: 4
; NumVgprs: 0
; NumAgprs: 0
; TotalNumVgprs: 0
; ScratchSize: 0
; MemoryBound: 0
; FloatMode: 240
; IeeeMode: 1
; LDSByteSize: 0 bytes/workgroup (compile time only)
; SGPRBlocks: 0
; VGPRBlocks: 0
; NumSGPRsForWavesPerEU: 4
; NumVGPRsForWavesPerEU: 1
; AccumOffset: 4
; Occupancy: 8
; WaveLimiterHint : 0
; COMPUTE_PGM_RSRC2:SCRATCH_EN: 0
; COMPUTE_PGM_RSRC2:USER_SGPR: 6
; COMPUTE_PGM_RSRC2:TRAP_HANDLER: 0
; COMPUTE_PGM_RSRC2:TGID_X_EN: 1
; COMPUTE_PGM_RSRC2:TGID_Y_EN: 0
; COMPUTE_PGM_RSRC2:TGID_Z_EN: 0
; COMPUTE_PGM_RSRC2:TIDIG_COMP_CNT: 0
; COMPUTE_PGM_RSRC3_GFX90A:ACCUM_OFFSET: 0
; COMPUTE_PGM_RSRC3_GFX90A:TG_SPLIT: 0
	.section	.text._ZN7rocprim17ROCPRIM_400000_NS6detail17trampoline_kernelINS0_14default_configENS1_38merge_sort_block_merge_config_selectorItNS0_10empty_typeEEEZZNS1_27merge_sort_block_merge_implIS3_N6thrust23THRUST_200600_302600_NS6detail15normal_iteratorINS9_10device_ptrItEEEEPS5_jNS1_19radix_merge_compareILb0ELb1EtNS0_19identity_decomposerEEEEE10hipError_tT0_T1_T2_jT3_P12ihipStream_tbPNSt15iterator_traitsISK_E10value_typeEPNSQ_ISL_E10value_typeEPSM_NS1_7vsmem_tEENKUlT_SK_SL_SM_E_clISE_PtSF_SF_EESJ_SZ_SK_SL_SM_EUlSZ_E0_NS1_11comp_targetILNS1_3genE5ELNS1_11target_archE942ELNS1_3gpuE9ELNS1_3repE0EEENS1_38merge_mergepath_config_static_selectorELNS0_4arch9wavefront6targetE1EEEvSL_,"axG",@progbits,_ZN7rocprim17ROCPRIM_400000_NS6detail17trampoline_kernelINS0_14default_configENS1_38merge_sort_block_merge_config_selectorItNS0_10empty_typeEEEZZNS1_27merge_sort_block_merge_implIS3_N6thrust23THRUST_200600_302600_NS6detail15normal_iteratorINS9_10device_ptrItEEEEPS5_jNS1_19radix_merge_compareILb0ELb1EtNS0_19identity_decomposerEEEEE10hipError_tT0_T1_T2_jT3_P12ihipStream_tbPNSt15iterator_traitsISK_E10value_typeEPNSQ_ISL_E10value_typeEPSM_NS1_7vsmem_tEENKUlT_SK_SL_SM_E_clISE_PtSF_SF_EESJ_SZ_SK_SL_SM_EUlSZ_E0_NS1_11comp_targetILNS1_3genE5ELNS1_11target_archE942ELNS1_3gpuE9ELNS1_3repE0EEENS1_38merge_mergepath_config_static_selectorELNS0_4arch9wavefront6targetE1EEEvSL_,comdat
	.protected	_ZN7rocprim17ROCPRIM_400000_NS6detail17trampoline_kernelINS0_14default_configENS1_38merge_sort_block_merge_config_selectorItNS0_10empty_typeEEEZZNS1_27merge_sort_block_merge_implIS3_N6thrust23THRUST_200600_302600_NS6detail15normal_iteratorINS9_10device_ptrItEEEEPS5_jNS1_19radix_merge_compareILb0ELb1EtNS0_19identity_decomposerEEEEE10hipError_tT0_T1_T2_jT3_P12ihipStream_tbPNSt15iterator_traitsISK_E10value_typeEPNSQ_ISL_E10value_typeEPSM_NS1_7vsmem_tEENKUlT_SK_SL_SM_E_clISE_PtSF_SF_EESJ_SZ_SK_SL_SM_EUlSZ_E0_NS1_11comp_targetILNS1_3genE5ELNS1_11target_archE942ELNS1_3gpuE9ELNS1_3repE0EEENS1_38merge_mergepath_config_static_selectorELNS0_4arch9wavefront6targetE1EEEvSL_ ; -- Begin function _ZN7rocprim17ROCPRIM_400000_NS6detail17trampoline_kernelINS0_14default_configENS1_38merge_sort_block_merge_config_selectorItNS0_10empty_typeEEEZZNS1_27merge_sort_block_merge_implIS3_N6thrust23THRUST_200600_302600_NS6detail15normal_iteratorINS9_10device_ptrItEEEEPS5_jNS1_19radix_merge_compareILb0ELb1EtNS0_19identity_decomposerEEEEE10hipError_tT0_T1_T2_jT3_P12ihipStream_tbPNSt15iterator_traitsISK_E10value_typeEPNSQ_ISL_E10value_typeEPSM_NS1_7vsmem_tEENKUlT_SK_SL_SM_E_clISE_PtSF_SF_EESJ_SZ_SK_SL_SM_EUlSZ_E0_NS1_11comp_targetILNS1_3genE5ELNS1_11target_archE942ELNS1_3gpuE9ELNS1_3repE0EEENS1_38merge_mergepath_config_static_selectorELNS0_4arch9wavefront6targetE1EEEvSL_
	.globl	_ZN7rocprim17ROCPRIM_400000_NS6detail17trampoline_kernelINS0_14default_configENS1_38merge_sort_block_merge_config_selectorItNS0_10empty_typeEEEZZNS1_27merge_sort_block_merge_implIS3_N6thrust23THRUST_200600_302600_NS6detail15normal_iteratorINS9_10device_ptrItEEEEPS5_jNS1_19radix_merge_compareILb0ELb1EtNS0_19identity_decomposerEEEEE10hipError_tT0_T1_T2_jT3_P12ihipStream_tbPNSt15iterator_traitsISK_E10value_typeEPNSQ_ISL_E10value_typeEPSM_NS1_7vsmem_tEENKUlT_SK_SL_SM_E_clISE_PtSF_SF_EESJ_SZ_SK_SL_SM_EUlSZ_E0_NS1_11comp_targetILNS1_3genE5ELNS1_11target_archE942ELNS1_3gpuE9ELNS1_3repE0EEENS1_38merge_mergepath_config_static_selectorELNS0_4arch9wavefront6targetE1EEEvSL_
	.p2align	8
	.type	_ZN7rocprim17ROCPRIM_400000_NS6detail17trampoline_kernelINS0_14default_configENS1_38merge_sort_block_merge_config_selectorItNS0_10empty_typeEEEZZNS1_27merge_sort_block_merge_implIS3_N6thrust23THRUST_200600_302600_NS6detail15normal_iteratorINS9_10device_ptrItEEEEPS5_jNS1_19radix_merge_compareILb0ELb1EtNS0_19identity_decomposerEEEEE10hipError_tT0_T1_T2_jT3_P12ihipStream_tbPNSt15iterator_traitsISK_E10value_typeEPNSQ_ISL_E10value_typeEPSM_NS1_7vsmem_tEENKUlT_SK_SL_SM_E_clISE_PtSF_SF_EESJ_SZ_SK_SL_SM_EUlSZ_E0_NS1_11comp_targetILNS1_3genE5ELNS1_11target_archE942ELNS1_3gpuE9ELNS1_3repE0EEENS1_38merge_mergepath_config_static_selectorELNS0_4arch9wavefront6targetE1EEEvSL_,@function
_ZN7rocprim17ROCPRIM_400000_NS6detail17trampoline_kernelINS0_14default_configENS1_38merge_sort_block_merge_config_selectorItNS0_10empty_typeEEEZZNS1_27merge_sort_block_merge_implIS3_N6thrust23THRUST_200600_302600_NS6detail15normal_iteratorINS9_10device_ptrItEEEEPS5_jNS1_19radix_merge_compareILb0ELb1EtNS0_19identity_decomposerEEEEE10hipError_tT0_T1_T2_jT3_P12ihipStream_tbPNSt15iterator_traitsISK_E10value_typeEPNSQ_ISL_E10value_typeEPSM_NS1_7vsmem_tEENKUlT_SK_SL_SM_E_clISE_PtSF_SF_EESJ_SZ_SK_SL_SM_EUlSZ_E0_NS1_11comp_targetILNS1_3genE5ELNS1_11target_archE942ELNS1_3gpuE9ELNS1_3repE0EEENS1_38merge_mergepath_config_static_selectorELNS0_4arch9wavefront6targetE1EEEvSL_: ; @_ZN7rocprim17ROCPRIM_400000_NS6detail17trampoline_kernelINS0_14default_configENS1_38merge_sort_block_merge_config_selectorItNS0_10empty_typeEEEZZNS1_27merge_sort_block_merge_implIS3_N6thrust23THRUST_200600_302600_NS6detail15normal_iteratorINS9_10device_ptrItEEEEPS5_jNS1_19radix_merge_compareILb0ELb1EtNS0_19identity_decomposerEEEEE10hipError_tT0_T1_T2_jT3_P12ihipStream_tbPNSt15iterator_traitsISK_E10value_typeEPNSQ_ISL_E10value_typeEPSM_NS1_7vsmem_tEENKUlT_SK_SL_SM_E_clISE_PtSF_SF_EESJ_SZ_SK_SL_SM_EUlSZ_E0_NS1_11comp_targetILNS1_3genE5ELNS1_11target_archE942ELNS1_3gpuE9ELNS1_3repE0EEENS1_38merge_mergepath_config_static_selectorELNS0_4arch9wavefront6targetE1EEEvSL_
; %bb.0:
	.section	.rodata,"a",@progbits
	.p2align	6, 0x0
	.amdhsa_kernel _ZN7rocprim17ROCPRIM_400000_NS6detail17trampoline_kernelINS0_14default_configENS1_38merge_sort_block_merge_config_selectorItNS0_10empty_typeEEEZZNS1_27merge_sort_block_merge_implIS3_N6thrust23THRUST_200600_302600_NS6detail15normal_iteratorINS9_10device_ptrItEEEEPS5_jNS1_19radix_merge_compareILb0ELb1EtNS0_19identity_decomposerEEEEE10hipError_tT0_T1_T2_jT3_P12ihipStream_tbPNSt15iterator_traitsISK_E10value_typeEPNSQ_ISL_E10value_typeEPSM_NS1_7vsmem_tEENKUlT_SK_SL_SM_E_clISE_PtSF_SF_EESJ_SZ_SK_SL_SM_EUlSZ_E0_NS1_11comp_targetILNS1_3genE5ELNS1_11target_archE942ELNS1_3gpuE9ELNS1_3repE0EEENS1_38merge_mergepath_config_static_selectorELNS0_4arch9wavefront6targetE1EEEvSL_
		.amdhsa_group_segment_fixed_size 0
		.amdhsa_private_segment_fixed_size 0
		.amdhsa_kernarg_size 64
		.amdhsa_user_sgpr_count 6
		.amdhsa_user_sgpr_private_segment_buffer 1
		.amdhsa_user_sgpr_dispatch_ptr 0
		.amdhsa_user_sgpr_queue_ptr 0
		.amdhsa_user_sgpr_kernarg_segment_ptr 1
		.amdhsa_user_sgpr_dispatch_id 0
		.amdhsa_user_sgpr_flat_scratch_init 0
		.amdhsa_user_sgpr_kernarg_preload_length 0
		.amdhsa_user_sgpr_kernarg_preload_offset 0
		.amdhsa_user_sgpr_private_segment_size 0
		.amdhsa_uses_dynamic_stack 0
		.amdhsa_system_sgpr_private_segment_wavefront_offset 0
		.amdhsa_system_sgpr_workgroup_id_x 1
		.amdhsa_system_sgpr_workgroup_id_y 0
		.amdhsa_system_sgpr_workgroup_id_z 0
		.amdhsa_system_sgpr_workgroup_info 0
		.amdhsa_system_vgpr_workitem_id 0
		.amdhsa_next_free_vgpr 1
		.amdhsa_next_free_sgpr 0
		.amdhsa_accum_offset 4
		.amdhsa_reserve_vcc 0
		.amdhsa_reserve_flat_scratch 0
		.amdhsa_float_round_mode_32 0
		.amdhsa_float_round_mode_16_64 0
		.amdhsa_float_denorm_mode_32 3
		.amdhsa_float_denorm_mode_16_64 3
		.amdhsa_dx10_clamp 1
		.amdhsa_ieee_mode 1
		.amdhsa_fp16_overflow 0
		.amdhsa_tg_split 0
		.amdhsa_exception_fp_ieee_invalid_op 0
		.amdhsa_exception_fp_denorm_src 0
		.amdhsa_exception_fp_ieee_div_zero 0
		.amdhsa_exception_fp_ieee_overflow 0
		.amdhsa_exception_fp_ieee_underflow 0
		.amdhsa_exception_fp_ieee_inexact 0
		.amdhsa_exception_int_div_zero 0
	.end_amdhsa_kernel
	.section	.text._ZN7rocprim17ROCPRIM_400000_NS6detail17trampoline_kernelINS0_14default_configENS1_38merge_sort_block_merge_config_selectorItNS0_10empty_typeEEEZZNS1_27merge_sort_block_merge_implIS3_N6thrust23THRUST_200600_302600_NS6detail15normal_iteratorINS9_10device_ptrItEEEEPS5_jNS1_19radix_merge_compareILb0ELb1EtNS0_19identity_decomposerEEEEE10hipError_tT0_T1_T2_jT3_P12ihipStream_tbPNSt15iterator_traitsISK_E10value_typeEPNSQ_ISL_E10value_typeEPSM_NS1_7vsmem_tEENKUlT_SK_SL_SM_E_clISE_PtSF_SF_EESJ_SZ_SK_SL_SM_EUlSZ_E0_NS1_11comp_targetILNS1_3genE5ELNS1_11target_archE942ELNS1_3gpuE9ELNS1_3repE0EEENS1_38merge_mergepath_config_static_selectorELNS0_4arch9wavefront6targetE1EEEvSL_,"axG",@progbits,_ZN7rocprim17ROCPRIM_400000_NS6detail17trampoline_kernelINS0_14default_configENS1_38merge_sort_block_merge_config_selectorItNS0_10empty_typeEEEZZNS1_27merge_sort_block_merge_implIS3_N6thrust23THRUST_200600_302600_NS6detail15normal_iteratorINS9_10device_ptrItEEEEPS5_jNS1_19radix_merge_compareILb0ELb1EtNS0_19identity_decomposerEEEEE10hipError_tT0_T1_T2_jT3_P12ihipStream_tbPNSt15iterator_traitsISK_E10value_typeEPNSQ_ISL_E10value_typeEPSM_NS1_7vsmem_tEENKUlT_SK_SL_SM_E_clISE_PtSF_SF_EESJ_SZ_SK_SL_SM_EUlSZ_E0_NS1_11comp_targetILNS1_3genE5ELNS1_11target_archE942ELNS1_3gpuE9ELNS1_3repE0EEENS1_38merge_mergepath_config_static_selectorELNS0_4arch9wavefront6targetE1EEEvSL_,comdat
.Lfunc_end1297:
	.size	_ZN7rocprim17ROCPRIM_400000_NS6detail17trampoline_kernelINS0_14default_configENS1_38merge_sort_block_merge_config_selectorItNS0_10empty_typeEEEZZNS1_27merge_sort_block_merge_implIS3_N6thrust23THRUST_200600_302600_NS6detail15normal_iteratorINS9_10device_ptrItEEEEPS5_jNS1_19radix_merge_compareILb0ELb1EtNS0_19identity_decomposerEEEEE10hipError_tT0_T1_T2_jT3_P12ihipStream_tbPNSt15iterator_traitsISK_E10value_typeEPNSQ_ISL_E10value_typeEPSM_NS1_7vsmem_tEENKUlT_SK_SL_SM_E_clISE_PtSF_SF_EESJ_SZ_SK_SL_SM_EUlSZ_E0_NS1_11comp_targetILNS1_3genE5ELNS1_11target_archE942ELNS1_3gpuE9ELNS1_3repE0EEENS1_38merge_mergepath_config_static_selectorELNS0_4arch9wavefront6targetE1EEEvSL_, .Lfunc_end1297-_ZN7rocprim17ROCPRIM_400000_NS6detail17trampoline_kernelINS0_14default_configENS1_38merge_sort_block_merge_config_selectorItNS0_10empty_typeEEEZZNS1_27merge_sort_block_merge_implIS3_N6thrust23THRUST_200600_302600_NS6detail15normal_iteratorINS9_10device_ptrItEEEEPS5_jNS1_19radix_merge_compareILb0ELb1EtNS0_19identity_decomposerEEEEE10hipError_tT0_T1_T2_jT3_P12ihipStream_tbPNSt15iterator_traitsISK_E10value_typeEPNSQ_ISL_E10value_typeEPSM_NS1_7vsmem_tEENKUlT_SK_SL_SM_E_clISE_PtSF_SF_EESJ_SZ_SK_SL_SM_EUlSZ_E0_NS1_11comp_targetILNS1_3genE5ELNS1_11target_archE942ELNS1_3gpuE9ELNS1_3repE0EEENS1_38merge_mergepath_config_static_selectorELNS0_4arch9wavefront6targetE1EEEvSL_
                                        ; -- End function
	.section	.AMDGPU.csdata,"",@progbits
; Kernel info:
; codeLenInByte = 0
; NumSgprs: 4
; NumVgprs: 0
; NumAgprs: 0
; TotalNumVgprs: 0
; ScratchSize: 0
; MemoryBound: 0
; FloatMode: 240
; IeeeMode: 1
; LDSByteSize: 0 bytes/workgroup (compile time only)
; SGPRBlocks: 0
; VGPRBlocks: 0
; NumSGPRsForWavesPerEU: 4
; NumVGPRsForWavesPerEU: 1
; AccumOffset: 4
; Occupancy: 8
; WaveLimiterHint : 0
; COMPUTE_PGM_RSRC2:SCRATCH_EN: 0
; COMPUTE_PGM_RSRC2:USER_SGPR: 6
; COMPUTE_PGM_RSRC2:TRAP_HANDLER: 0
; COMPUTE_PGM_RSRC2:TGID_X_EN: 1
; COMPUTE_PGM_RSRC2:TGID_Y_EN: 0
; COMPUTE_PGM_RSRC2:TGID_Z_EN: 0
; COMPUTE_PGM_RSRC2:TIDIG_COMP_CNT: 0
; COMPUTE_PGM_RSRC3_GFX90A:ACCUM_OFFSET: 0
; COMPUTE_PGM_RSRC3_GFX90A:TG_SPLIT: 0
	.section	.text._ZN7rocprim17ROCPRIM_400000_NS6detail17trampoline_kernelINS0_14default_configENS1_38merge_sort_block_merge_config_selectorItNS0_10empty_typeEEEZZNS1_27merge_sort_block_merge_implIS3_N6thrust23THRUST_200600_302600_NS6detail15normal_iteratorINS9_10device_ptrItEEEEPS5_jNS1_19radix_merge_compareILb0ELb1EtNS0_19identity_decomposerEEEEE10hipError_tT0_T1_T2_jT3_P12ihipStream_tbPNSt15iterator_traitsISK_E10value_typeEPNSQ_ISL_E10value_typeEPSM_NS1_7vsmem_tEENKUlT_SK_SL_SM_E_clISE_PtSF_SF_EESJ_SZ_SK_SL_SM_EUlSZ_E0_NS1_11comp_targetILNS1_3genE4ELNS1_11target_archE910ELNS1_3gpuE8ELNS1_3repE0EEENS1_38merge_mergepath_config_static_selectorELNS0_4arch9wavefront6targetE1EEEvSL_,"axG",@progbits,_ZN7rocprim17ROCPRIM_400000_NS6detail17trampoline_kernelINS0_14default_configENS1_38merge_sort_block_merge_config_selectorItNS0_10empty_typeEEEZZNS1_27merge_sort_block_merge_implIS3_N6thrust23THRUST_200600_302600_NS6detail15normal_iteratorINS9_10device_ptrItEEEEPS5_jNS1_19radix_merge_compareILb0ELb1EtNS0_19identity_decomposerEEEEE10hipError_tT0_T1_T2_jT3_P12ihipStream_tbPNSt15iterator_traitsISK_E10value_typeEPNSQ_ISL_E10value_typeEPSM_NS1_7vsmem_tEENKUlT_SK_SL_SM_E_clISE_PtSF_SF_EESJ_SZ_SK_SL_SM_EUlSZ_E0_NS1_11comp_targetILNS1_3genE4ELNS1_11target_archE910ELNS1_3gpuE8ELNS1_3repE0EEENS1_38merge_mergepath_config_static_selectorELNS0_4arch9wavefront6targetE1EEEvSL_,comdat
	.protected	_ZN7rocprim17ROCPRIM_400000_NS6detail17trampoline_kernelINS0_14default_configENS1_38merge_sort_block_merge_config_selectorItNS0_10empty_typeEEEZZNS1_27merge_sort_block_merge_implIS3_N6thrust23THRUST_200600_302600_NS6detail15normal_iteratorINS9_10device_ptrItEEEEPS5_jNS1_19radix_merge_compareILb0ELb1EtNS0_19identity_decomposerEEEEE10hipError_tT0_T1_T2_jT3_P12ihipStream_tbPNSt15iterator_traitsISK_E10value_typeEPNSQ_ISL_E10value_typeEPSM_NS1_7vsmem_tEENKUlT_SK_SL_SM_E_clISE_PtSF_SF_EESJ_SZ_SK_SL_SM_EUlSZ_E0_NS1_11comp_targetILNS1_3genE4ELNS1_11target_archE910ELNS1_3gpuE8ELNS1_3repE0EEENS1_38merge_mergepath_config_static_selectorELNS0_4arch9wavefront6targetE1EEEvSL_ ; -- Begin function _ZN7rocprim17ROCPRIM_400000_NS6detail17trampoline_kernelINS0_14default_configENS1_38merge_sort_block_merge_config_selectorItNS0_10empty_typeEEEZZNS1_27merge_sort_block_merge_implIS3_N6thrust23THRUST_200600_302600_NS6detail15normal_iteratorINS9_10device_ptrItEEEEPS5_jNS1_19radix_merge_compareILb0ELb1EtNS0_19identity_decomposerEEEEE10hipError_tT0_T1_T2_jT3_P12ihipStream_tbPNSt15iterator_traitsISK_E10value_typeEPNSQ_ISL_E10value_typeEPSM_NS1_7vsmem_tEENKUlT_SK_SL_SM_E_clISE_PtSF_SF_EESJ_SZ_SK_SL_SM_EUlSZ_E0_NS1_11comp_targetILNS1_3genE4ELNS1_11target_archE910ELNS1_3gpuE8ELNS1_3repE0EEENS1_38merge_mergepath_config_static_selectorELNS0_4arch9wavefront6targetE1EEEvSL_
	.globl	_ZN7rocprim17ROCPRIM_400000_NS6detail17trampoline_kernelINS0_14default_configENS1_38merge_sort_block_merge_config_selectorItNS0_10empty_typeEEEZZNS1_27merge_sort_block_merge_implIS3_N6thrust23THRUST_200600_302600_NS6detail15normal_iteratorINS9_10device_ptrItEEEEPS5_jNS1_19radix_merge_compareILb0ELb1EtNS0_19identity_decomposerEEEEE10hipError_tT0_T1_T2_jT3_P12ihipStream_tbPNSt15iterator_traitsISK_E10value_typeEPNSQ_ISL_E10value_typeEPSM_NS1_7vsmem_tEENKUlT_SK_SL_SM_E_clISE_PtSF_SF_EESJ_SZ_SK_SL_SM_EUlSZ_E0_NS1_11comp_targetILNS1_3genE4ELNS1_11target_archE910ELNS1_3gpuE8ELNS1_3repE0EEENS1_38merge_mergepath_config_static_selectorELNS0_4arch9wavefront6targetE1EEEvSL_
	.p2align	8
	.type	_ZN7rocprim17ROCPRIM_400000_NS6detail17trampoline_kernelINS0_14default_configENS1_38merge_sort_block_merge_config_selectorItNS0_10empty_typeEEEZZNS1_27merge_sort_block_merge_implIS3_N6thrust23THRUST_200600_302600_NS6detail15normal_iteratorINS9_10device_ptrItEEEEPS5_jNS1_19radix_merge_compareILb0ELb1EtNS0_19identity_decomposerEEEEE10hipError_tT0_T1_T2_jT3_P12ihipStream_tbPNSt15iterator_traitsISK_E10value_typeEPNSQ_ISL_E10value_typeEPSM_NS1_7vsmem_tEENKUlT_SK_SL_SM_E_clISE_PtSF_SF_EESJ_SZ_SK_SL_SM_EUlSZ_E0_NS1_11comp_targetILNS1_3genE4ELNS1_11target_archE910ELNS1_3gpuE8ELNS1_3repE0EEENS1_38merge_mergepath_config_static_selectorELNS0_4arch9wavefront6targetE1EEEvSL_,@function
_ZN7rocprim17ROCPRIM_400000_NS6detail17trampoline_kernelINS0_14default_configENS1_38merge_sort_block_merge_config_selectorItNS0_10empty_typeEEEZZNS1_27merge_sort_block_merge_implIS3_N6thrust23THRUST_200600_302600_NS6detail15normal_iteratorINS9_10device_ptrItEEEEPS5_jNS1_19radix_merge_compareILb0ELb1EtNS0_19identity_decomposerEEEEE10hipError_tT0_T1_T2_jT3_P12ihipStream_tbPNSt15iterator_traitsISK_E10value_typeEPNSQ_ISL_E10value_typeEPSM_NS1_7vsmem_tEENKUlT_SK_SL_SM_E_clISE_PtSF_SF_EESJ_SZ_SK_SL_SM_EUlSZ_E0_NS1_11comp_targetILNS1_3genE4ELNS1_11target_archE910ELNS1_3gpuE8ELNS1_3repE0EEENS1_38merge_mergepath_config_static_selectorELNS0_4arch9wavefront6targetE1EEEvSL_: ; @_ZN7rocprim17ROCPRIM_400000_NS6detail17trampoline_kernelINS0_14default_configENS1_38merge_sort_block_merge_config_selectorItNS0_10empty_typeEEEZZNS1_27merge_sort_block_merge_implIS3_N6thrust23THRUST_200600_302600_NS6detail15normal_iteratorINS9_10device_ptrItEEEEPS5_jNS1_19radix_merge_compareILb0ELb1EtNS0_19identity_decomposerEEEEE10hipError_tT0_T1_T2_jT3_P12ihipStream_tbPNSt15iterator_traitsISK_E10value_typeEPNSQ_ISL_E10value_typeEPSM_NS1_7vsmem_tEENKUlT_SK_SL_SM_E_clISE_PtSF_SF_EESJ_SZ_SK_SL_SM_EUlSZ_E0_NS1_11comp_targetILNS1_3genE4ELNS1_11target_archE910ELNS1_3gpuE8ELNS1_3repE0EEENS1_38merge_mergepath_config_static_selectorELNS0_4arch9wavefront6targetE1EEEvSL_
; %bb.0:
	s_load_dwordx2 s[10:11], s[4:5], 0x40
	s_load_dword s3, s[4:5], 0x30
	s_add_u32 s0, s4, 64
	s_addc_u32 s1, s5, 0
	s_waitcnt lgkmcnt(0)
	s_mul_i32 s2, s11, s8
	s_add_i32 s2, s2, s7
	s_mul_i32 s2, s2, s10
	s_add_i32 s2, s2, s6
	s_cmp_ge_u32 s2, s3
	s_cbranch_scc1 .LBB1298_43
; %bb.1:
	s_load_dwordx2 s[14:15], s[4:5], 0x28
	s_load_dwordx2 s[8:9], s[4:5], 0x38
	;; [unrolled: 1-line block ×3, first 2 shown]
	s_mov_b32 s3, 0
	v_mov_b32_e32 v3, 0
	s_waitcnt lgkmcnt(0)
	s_lshr_b32 s22, s14, 10
	s_cmp_lg_u32 s2, s22
	s_cselect_b64 s[18:19], -1, 0
	s_lshl_b64 s[16:17], s[2:3], 2
	s_add_u32 s8, s8, s16
	s_addc_u32 s9, s9, s17
	s_lshr_b32 s7, s15, 9
	s_and_b32 s7, s7, 0x7ffffe
	s_load_dwordx2 s[8:9], s[8:9], 0x0
	s_sub_i32 s7, 0, s7
	s_and_b32 s11, s2, s7
	s_lshl_b32 s17, s11, 10
	s_lshl_b32 s16, s2, 10
	;; [unrolled: 1-line block ×3, first 2 shown]
	s_sub_i32 s20, s16, s17
	s_add_i32 s11, s11, s15
	s_add_i32 s21, s11, s20
	s_waitcnt lgkmcnt(0)
	s_sub_i32 s20, s21, s8
	s_sub_i32 s21, s21, s9
	;; [unrolled: 1-line block ×3, first 2 shown]
	s_min_u32 s20, s14, s20
	s_addk_i32 s21, 0x400
	s_or_b32 s7, s2, s7
	s_min_u32 s17, s14, s11
	s_add_i32 s11, s11, s15
	s_cmp_eq_u32 s7, -1
	s_cselect_b32 s7, s11, s21
	s_cselect_b32 s9, s17, s9
	s_min_u32 s7, s7, s14
	s_sub_i32 s15, s9, s8
	s_mov_b32 s9, s3
	s_sub_i32 s7, s7, s20
	s_lshl_b64 s[8:9], s[8:9], 1
	s_add_u32 s8, s12, s8
	s_mov_b32 s21, s3
	s_addc_u32 s9, s13, s9
	s_lshl_b64 s[20:21], s[20:21], 1
	s_add_u32 s11, s12, s20
	s_addc_u32 s12, s13, s21
	s_cmp_lt_u32 s6, s10
	s_cselect_b32 s3, 12, 18
	global_load_dword v1, v3, s[0:1] offset:14
	s_add_u32 s0, s0, s3
	s_addc_u32 s1, s1, 0
	global_load_ushort v2, v3, s[0:1]
	s_cmp_eq_u32 s2, s22
	s_waitcnt vmcnt(1)
	v_lshrrev_b32_e32 v4, 16, v1
	v_and_b32_e32 v1, 0xffff, v1
	v_mul_lo_u32 v1, v1, v4
	s_waitcnt vmcnt(0)
	v_mul_lo_u32 v11, v1, v2
	v_add_u32_e32 v8, v11, v0
	v_lshlrev_b32_e32 v1, 1, v0
	v_add_u32_e32 v6, v8, v11
	s_cbranch_scc1 .LBB1298_3
; %bb.2:
	v_subrev_u32_e32 v2, s15, v0
	v_lshlrev_b64 v[4:5], 1, v[2:3]
	v_mov_b32_e32 v2, s12
	v_add_co_u32_e32 v4, vcc, s11, v4
	v_addc_co_u32_e32 v2, vcc, v2, v5, vcc
	v_mov_b32_e32 v5, s9
	v_add_co_u32_e32 v7, vcc, s8, v1
	v_addc_co_u32_e32 v5, vcc, 0, v5, vcc
	v_cmp_gt_u32_e32 vcc, s15, v0
	v_cndmask_b32_e32 v5, v2, v5, vcc
	v_cndmask_b32_e32 v4, v4, v7, vcc
	v_subrev_u32_e32 v2, s15, v8
	global_load_ushort v10, v[4:5], off
	v_lshlrev_b64 v[4:5], 1, v[2:3]
	v_mov_b32_e32 v2, s12
	v_add_co_u32_e32 v7, vcc, s11, v4
	v_mov_b32_e32 v9, v3
	v_addc_co_u32_e32 v2, vcc, v2, v5, vcc
	v_lshlrev_b64 v[4:5], 1, v[8:9]
	v_mov_b32_e32 v9, s9
	v_add_co_u32_e32 v4, vcc, s8, v4
	v_addc_co_u32_e32 v5, vcc, v9, v5, vcc
	v_cmp_gt_u32_e32 vcc, s15, v8
	v_cndmask_b32_e32 v5, v2, v5, vcc
	v_cndmask_b32_e32 v4, v7, v4, vcc
	v_subrev_u32_e32 v2, s15, v6
	global_load_ushort v9, v[4:5], off
	v_lshlrev_b64 v[4:5], 1, v[2:3]
	v_mov_b32_e32 v2, s12
	v_add_co_u32_e32 v12, vcc, s11, v4
	v_mov_b32_e32 v7, v3
	v_addc_co_u32_e32 v2, vcc, v2, v5, vcc
	v_lshlrev_b64 v[4:5], 1, v[6:7]
	v_mov_b32_e32 v7, s9
	v_add_co_u32_e32 v4, vcc, s8, v4
	v_addc_co_u32_e32 v5, vcc, v7, v5, vcc
	v_cmp_gt_u32_e32 vcc, s15, v6
	v_cndmask_b32_e32 v5, v2, v5, vcc
	v_cndmask_b32_e32 v4, v12, v4, vcc
	global_load_ushort v7, v[4:5], off
	v_add_u32_e32 v4, v6, v11
	v_subrev_u32_e32 v2, s15, v4
	v_lshlrev_b64 v[12:13], 1, v[2:3]
	v_mov_b32_e32 v2, s12
	v_add_co_u32_e32 v14, vcc, s11, v12
	v_mov_b32_e32 v5, v3
	v_addc_co_u32_e32 v2, vcc, v2, v13, vcc
	v_lshlrev_b64 v[12:13], 1, v[4:5]
	v_mov_b32_e32 v5, s9
	v_add_co_u32_e32 v12, vcc, s8, v12
	v_addc_co_u32_e32 v5, vcc, v5, v13, vcc
	v_cmp_gt_u32_e32 vcc, s15, v4
	v_add_u32_e32 v4, v4, v11
	v_cndmask_b32_e32 v13, v2, v5, vcc
	v_cndmask_b32_e32 v12, v14, v12, vcc
	v_subrev_u32_e32 v2, s15, v4
	global_load_ushort v14, v[12:13], off
	v_lshlrev_b64 v[12:13], 1, v[2:3]
	v_mov_b32_e32 v2, s12
	v_add_co_u32_e32 v15, vcc, s11, v12
	v_mov_b32_e32 v5, v3
	v_addc_co_u32_e32 v2, vcc, v2, v13, vcc
	v_lshlrev_b64 v[12:13], 1, v[4:5]
	v_mov_b32_e32 v5, s9
	v_add_co_u32_e32 v12, vcc, s8, v12
	v_addc_co_u32_e32 v5, vcc, v5, v13, vcc
	v_cmp_gt_u32_e32 vcc, s15, v4
	v_add_u32_e32 v4, v4, v11
	v_cndmask_b32_e32 v13, v2, v5, vcc
	v_cndmask_b32_e32 v12, v15, v12, vcc
	v_subrev_u32_e32 v2, s15, v4
	global_load_ushort v15, v[12:13], off
	v_lshlrev_b64 v[12:13], 1, v[2:3]
	v_mov_b32_e32 v2, s12
	v_add_co_u32_e32 v16, vcc, s11, v12
	v_mov_b32_e32 v5, v3
	v_addc_co_u32_e32 v2, vcc, v2, v13, vcc
	v_lshlrev_b64 v[12:13], 1, v[4:5]
	v_mov_b32_e32 v5, s9
	v_add_co_u32_e32 v12, vcc, s8, v12
	v_addc_co_u32_e32 v5, vcc, v5, v13, vcc
	v_cmp_gt_u32_e32 vcc, s15, v4
	v_cndmask_b32_e32 v13, v2, v5, vcc
	v_cndmask_b32_e32 v12, v16, v12, vcc
	global_load_ushort v16, v[12:13], off
	v_add_u32_e32 v12, v4, v11
	v_subrev_u32_e32 v2, s15, v12
	v_lshlrev_b64 v[4:5], 1, v[2:3]
	v_mov_b32_e32 v2, s12
	v_add_co_u32_e32 v4, vcc, s11, v4
	v_mov_b32_e32 v13, v3
	v_addc_co_u32_e32 v5, vcc, v2, v5, vcc
	v_lshlrev_b64 v[2:3], 1, v[12:13]
	v_mov_b32_e32 v13, s9
	v_add_co_u32_e32 v2, vcc, s8, v2
	v_addc_co_u32_e32 v3, vcc, v13, v3, vcc
	v_cmp_gt_u32_e32 vcc, s15, v12
	v_cndmask_b32_e32 v3, v5, v3, vcc
	v_cndmask_b32_e32 v2, v4, v2, vcc
	global_load_ushort v5, v[2:3], off
	s_mov_b32 s0, 0x5040100
	s_waitcnt vmcnt(5)
	v_perm_b32 v2, v9, v10, s0
	v_add_u32_e32 v10, v12, v11
	s_add_i32 s6, s7, s15
	s_waitcnt vmcnt(3)
	v_perm_b32 v3, v14, v7, s0
	s_waitcnt vmcnt(1)
	v_perm_b32 v4, v16, v15, s0
	s_mov_b64 s[0:1], -1
	s_cbranch_execz .LBB1298_4
	s_branch .LBB1298_17
.LBB1298_3:
	s_mov_b64 s[0:1], 0
                                        ; implicit-def: $vgpr10
                                        ; implicit-def: $vgpr2_vgpr3_vgpr4_vgpr5
                                        ; implicit-def: $sgpr6
.LBB1298_4:
	s_add_i32 s6, s7, s15
	v_cmp_gt_u32_e32 vcc, s6, v0
                                        ; implicit-def: $vgpr2_vgpr3_vgpr4_vgpr5
	s_and_saveexec_b64 s[0:1], vcc
	s_cbranch_execnz .LBB1298_44
; %bb.5:
	s_or_b64 exec, exec, s[0:1]
	v_cmp_gt_u32_e32 vcc, s6, v8
	s_and_saveexec_b64 s[2:3], vcc
	s_cbranch_execnz .LBB1298_45
.LBB1298_6:
	s_or_b64 exec, exec, s[2:3]
	v_cmp_gt_u32_e32 vcc, s6, v6
	s_and_saveexec_b64 s[0:1], vcc
	s_cbranch_execz .LBB1298_8
.LBB1298_7:
	v_mov_b32_e32 v7, 0
	v_lshlrev_b64 v[8:9], 1, v[6:7]
	v_mov_b32_e32 v10, s9
	v_add_co_u32_e32 v12, vcc, s8, v8
	v_addc_co_u32_e32 v10, vcc, v10, v9, vcc
	v_subrev_u32_e32 v8, s15, v6
	v_mov_b32_e32 v9, v7
	v_lshlrev_b64 v[8:9], 1, v[8:9]
	v_mov_b32_e32 v7, s12
	v_add_co_u32_e32 v8, vcc, s11, v8
	v_addc_co_u32_e32 v7, vcc, v7, v9, vcc
	v_cmp_gt_u32_e32 vcc, s15, v6
	v_cndmask_b32_e32 v9, v7, v10, vcc
	v_cndmask_b32_e32 v8, v8, v12, vcc
	global_load_ushort v7, v[8:9], off
	s_mov_b32 s2, 0xffff
	s_waitcnt vmcnt(0)
	v_bfi_b32 v3, s2, v7, v3
.LBB1298_8:
	s_or_b64 exec, exec, s[0:1]
	v_add_u32_e32 v6, v6, v11
	v_cmp_gt_u32_e32 vcc, s6, v6
	s_and_saveexec_b64 s[0:1], vcc
	s_cbranch_execz .LBB1298_10
; %bb.9:
	v_mov_b32_e32 v7, 0
	v_lshlrev_b64 v[8:9], 1, v[6:7]
	v_mov_b32_e32 v10, s9
	v_add_co_u32_e32 v12, vcc, s8, v8
	v_addc_co_u32_e32 v10, vcc, v10, v9, vcc
	v_subrev_u32_e32 v8, s15, v6
	v_mov_b32_e32 v9, v7
	v_lshlrev_b64 v[8:9], 1, v[8:9]
	v_mov_b32_e32 v7, s12
	v_add_co_u32_e32 v8, vcc, s11, v8
	v_addc_co_u32_e32 v7, vcc, v7, v9, vcc
	v_cmp_gt_u32_e32 vcc, s15, v6
	v_cndmask_b32_e32 v9, v7, v10, vcc
	v_cndmask_b32_e32 v8, v8, v12, vcc
	global_load_ushort v7, v[8:9], off
	s_mov_b32 s2, 0x5040100
	s_waitcnt vmcnt(0)
	v_perm_b32 v3, v7, v3, s2
.LBB1298_10:
	s_or_b64 exec, exec, s[0:1]
	v_add_u32_e32 v6, v6, v11
	v_cmp_gt_u32_e32 vcc, s6, v6
	s_and_saveexec_b64 s[0:1], vcc
	s_cbranch_execz .LBB1298_12
; %bb.11:
	v_mov_b32_e32 v7, 0
	v_lshlrev_b64 v[8:9], 1, v[6:7]
	v_mov_b32_e32 v10, s9
	v_add_co_u32_e32 v12, vcc, s8, v8
	v_addc_co_u32_e32 v10, vcc, v10, v9, vcc
	v_subrev_u32_e32 v8, s15, v6
	v_mov_b32_e32 v9, v7
	v_lshlrev_b64 v[8:9], 1, v[8:9]
	v_mov_b32_e32 v7, s12
	v_add_co_u32_e32 v8, vcc, s11, v8
	v_addc_co_u32_e32 v7, vcc, v7, v9, vcc
	v_cmp_gt_u32_e32 vcc, s15, v6
	v_cndmask_b32_e32 v9, v7, v10, vcc
	v_cndmask_b32_e32 v8, v8, v12, vcc
	global_load_ushort v7, v[8:9], off
	s_mov_b32 s2, 0xffff
	s_waitcnt vmcnt(0)
	v_bfi_b32 v4, s2, v7, v4
.LBB1298_12:
	s_or_b64 exec, exec, s[0:1]
	v_add_u32_e32 v6, v6, v11
	v_cmp_gt_u32_e32 vcc, s6, v6
	s_and_saveexec_b64 s[0:1], vcc
	s_cbranch_execz .LBB1298_14
; %bb.13:
	v_mov_b32_e32 v7, 0
	v_lshlrev_b64 v[8:9], 1, v[6:7]
	v_mov_b32_e32 v10, s9
	v_add_co_u32_e32 v12, vcc, s8, v8
	v_addc_co_u32_e32 v10, vcc, v10, v9, vcc
	v_subrev_u32_e32 v8, s15, v6
	v_mov_b32_e32 v9, v7
	v_lshlrev_b64 v[8:9], 1, v[8:9]
	v_mov_b32_e32 v7, s12
	v_add_co_u32_e32 v8, vcc, s11, v8
	v_addc_co_u32_e32 v7, vcc, v7, v9, vcc
	v_cmp_gt_u32_e32 vcc, s15, v6
	v_cndmask_b32_e32 v9, v7, v10, vcc
	v_cndmask_b32_e32 v8, v8, v12, vcc
	global_load_ushort v7, v[8:9], off
	s_mov_b32 s2, 0x5040100
	s_waitcnt vmcnt(0)
	v_perm_b32 v4, v7, v4, s2
.LBB1298_14:
	s_or_b64 exec, exec, s[0:1]
	v_add_u32_e32 v6, v6, v11
	v_cmp_gt_u32_e32 vcc, s6, v6
	s_and_saveexec_b64 s[0:1], vcc
	s_cbranch_execz .LBB1298_16
; %bb.15:
	v_mov_b32_e32 v7, 0
	v_lshlrev_b64 v[8:9], 1, v[6:7]
	v_mov_b32_e32 v10, s9
	v_add_co_u32_e32 v12, vcc, s8, v8
	v_addc_co_u32_e32 v10, vcc, v10, v9, vcc
	v_subrev_u32_e32 v8, s15, v6
	v_mov_b32_e32 v9, v7
	v_lshlrev_b64 v[8:9], 1, v[8:9]
	v_mov_b32_e32 v7, s12
	v_add_co_u32_e32 v8, vcc, s11, v8
	v_addc_co_u32_e32 v7, vcc, v7, v9, vcc
	v_cmp_gt_u32_e32 vcc, s15, v6
	v_cndmask_b32_e32 v9, v7, v10, vcc
	v_cndmask_b32_e32 v8, v8, v12, vcc
	global_load_ushort v7, v[8:9], off
	s_mov_b32 s2, 0xffff
	s_waitcnt vmcnt(0)
	v_bfi_b32 v5, s2, v7, v5
.LBB1298_16:
	s_or_b64 exec, exec, s[0:1]
	v_add_u32_e32 v10, v6, v11
	v_cmp_gt_u32_e64 s[0:1], s6, v10
.LBB1298_17:
	v_mov_b32_e32 v7, s6
	s_and_saveexec_b64 s[2:3], s[0:1]
	s_cbranch_execz .LBB1298_19
; %bb.18:
	v_subrev_u32_e32 v6, s15, v10
	v_mov_b32_e32 v7, 0
	v_lshlrev_b64 v[8:9], 1, v[6:7]
	v_mov_b32_e32 v6, s12
	v_add_co_u32_e32 v8, vcc, s11, v8
	v_mov_b32_e32 v11, v7
	v_addc_co_u32_e32 v9, vcc, v6, v9, vcc
	v_lshlrev_b64 v[6:7], 1, v[10:11]
	v_mov_b32_e32 v11, s9
	v_add_co_u32_e32 v6, vcc, s8, v6
	v_addc_co_u32_e32 v7, vcc, v11, v7, vcc
	v_cmp_gt_u32_e32 vcc, s15, v10
	v_cndmask_b32_e32 v7, v9, v7, vcc
	v_cndmask_b32_e32 v6, v8, v6, vcc
	global_load_ushort v6, v[6:7], off
	s_mov_b32 s0, 0x5040100
	v_mov_b32_e32 v7, s6
	s_waitcnt vmcnt(0)
	v_perm_b32 v5, v6, v5, s0
.LBB1298_19:
	s_or_b64 exec, exec, s[2:3]
	s_load_dwordx2 s[20:21], s[4:5], 0x10
	s_load_dword s17, s[4:5], 0x34
	v_lshlrev_b32_e32 v6, 3, v0
	v_min_u32_e32 v13, v7, v6
	v_sub_u32_e64 v11, v13, s7 clamp
	v_min_u32_e32 v14, s15, v13
	s_waitcnt vmcnt(0)
	v_lshrrev_b32_e32 v8, 16, v2
	v_lshrrev_b32_e32 v9, 16, v3
	;; [unrolled: 1-line block ×4, first 2 shown]
	v_cmp_lt_u32_e32 vcc, v11, v14
	ds_write_b16 v1, v2
	ds_write_b16 v1, v8 offset:256
	ds_write_b16 v1, v3 offset:512
	ds_write_b16 v1, v9 offset:768
	ds_write_b16 v1, v4 offset:1024
	ds_write_b16 v1, v10 offset:1280
	ds_write_b16 v1, v5 offset:1536
	ds_write_b16 v1, v12 offset:1792
	s_waitcnt lgkmcnt(0)
	s_barrier
	s_and_saveexec_b64 s[0:1], vcc
	s_cbranch_execz .LBB1298_23
; %bb.20:
	v_lshlrev_b32_e32 v15, 1, v13
	v_lshl_add_u32 v15, s15, 1, v15
	s_mov_b64 s[2:3], 0
.LBB1298_21:                            ; =>This Inner Loop Header: Depth=1
	v_add_u32_e32 v16, v14, v11
	v_lshrrev_b32_e32 v17, 1, v16
	v_not_b32_e32 v18, v17
	v_and_b32_e32 v16, -2, v16
	v_lshl_add_u32 v18, v18, 1, v15
	ds_read_u16 v16, v16
	ds_read_u16 v18, v18
	v_add_u32_e32 v19, 1, v17
	s_waitcnt lgkmcnt(1)
	v_and_b32_e32 v16, s17, v16
	s_waitcnt lgkmcnt(0)
	v_and_b32_e32 v18, s17, v18
	v_cmp_gt_u16_e32 vcc, v16, v18
	v_cndmask_b32_e32 v14, v14, v17, vcc
	v_cndmask_b32_e32 v11, v19, v11, vcc
	v_cmp_ge_u32_e32 vcc, v11, v14
	s_or_b64 s[2:3], vcc, s[2:3]
	s_andn2_b64 exec, exec, s[2:3]
	s_cbranch_execnz .LBB1298_21
; %bb.22:
	s_or_b64 exec, exec, s[2:3]
.LBB1298_23:
	s_or_b64 exec, exec, s[0:1]
	v_sub_u32_e32 v13, v13, v11
	v_add_u32_e32 v13, s15, v13
	v_cmp_ge_u32_e32 vcc, s15, v11
	v_cmp_le_u32_e64 s[0:1], v13, v7
	s_or_b64 s[0:1], vcc, s[0:1]
	s_and_saveexec_b64 s[22:23], s[0:1]
	s_cbranch_execz .LBB1298_29
; %bb.24:
	v_cmp_gt_u32_e32 vcc, s15, v11
                                        ; implicit-def: $vgpr2
	s_and_saveexec_b64 s[0:1], vcc
	s_cbranch_execz .LBB1298_26
; %bb.25:
	v_lshlrev_b32_e32 v2, 1, v11
	ds_read_u16 v2, v2
.LBB1298_26:
	s_or_b64 exec, exec, s[0:1]
	v_cmp_ge_u32_e64 s[0:1], v13, v7
	v_cmp_lt_u32_e64 s[2:3], v13, v7
                                        ; implicit-def: $vgpr3
	s_and_saveexec_b64 s[4:5], s[2:3]
	s_cbranch_execz .LBB1298_28
; %bb.27:
	v_lshlrev_b32_e32 v3, 1, v13
	ds_read_u16 v3, v3
.LBB1298_28:
	s_or_b64 exec, exec, s[4:5]
	s_waitcnt lgkmcnt(0)
	v_and_b32_e32 v4, s17, v3
	v_and_b32_e32 v5, s17, v2
	v_cmp_le_u16_e64 s[2:3], v5, v4
	s_and_b64 s[2:3], vcc, s[2:3]
	s_or_b64 vcc, s[0:1], s[2:3]
	v_mov_b32_e32 v5, s15
	v_cndmask_b32_e32 v4, v13, v11, vcc
	v_cndmask_b32_e32 v8, v7, v5, vcc
	v_add_u32_e32 v4, 1, v4
	v_add_u32_e32 v8, -1, v8
	v_min_u32_e32 v8, v4, v8
	v_lshlrev_b32_e32 v8, 1, v8
	ds_read_u16 v8, v8
	v_cndmask_b32_e32 v10, v4, v13, vcc
	v_cndmask_b32_e32 v4, v11, v4, vcc
	v_cmp_gt_u32_e64 s[2:3], s15, v4
	v_cmp_ge_u32_e64 s[0:1], v10, v7
	s_waitcnt lgkmcnt(0)
	v_cndmask_b32_e32 v9, v8, v3, vcc
	v_cndmask_b32_e32 v8, v2, v8, vcc
	v_and_b32_e32 v11, s17, v9
	v_and_b32_e32 v12, s17, v8
	v_cmp_le_u16_e64 s[4:5], v12, v11
	s_and_b64 s[2:3], s[2:3], s[4:5]
	s_or_b64 s[0:1], s[0:1], s[2:3]
	v_cndmask_b32_e64 v11, v10, v4, s[0:1]
	v_cndmask_b32_e64 v12, v7, v5, s[0:1]
	v_add_u32_e32 v11, 1, v11
	v_add_u32_e32 v12, -1, v12
	v_min_u32_e32 v12, v11, v12
	v_lshlrev_b32_e32 v12, 1, v12
	ds_read_u16 v12, v12
	v_cndmask_b32_e64 v10, v11, v10, s[0:1]
	v_cndmask_b32_e64 v4, v4, v11, s[0:1]
	v_cmp_gt_u32_e64 s[4:5], s15, v4
	v_cmp_ge_u32_e64 s[2:3], v10, v7
	s_waitcnt lgkmcnt(0)
	v_cndmask_b32_e64 v13, v12, v9, s[0:1]
	v_cndmask_b32_e64 v12, v8, v12, s[0:1]
	v_and_b32_e32 v11, s17, v13
	v_and_b32_e32 v14, s17, v12
	v_cmp_le_u16_e64 s[6:7], v14, v11
	s_and_b64 s[4:5], s[4:5], s[6:7]
	s_or_b64 s[2:3], s[2:3], s[4:5]
	v_cndmask_b32_e64 v11, v10, v4, s[2:3]
	v_cndmask_b32_e64 v14, v7, v5, s[2:3]
	v_add_u32_e32 v11, 1, v11
	v_add_u32_e32 v14, -1, v14
	v_min_u32_e32 v14, v11, v14
	v_lshlrev_b32_e32 v14, 1, v14
	ds_read_u16 v14, v14
	v_cndmask_b32_e64 v10, v11, v10, s[2:3]
	v_cndmask_b32_e64 v4, v4, v11, s[2:3]
	v_cmp_gt_u32_e64 s[6:7], s15, v4
	v_cmp_ge_u32_e64 s[4:5], v10, v7
	s_waitcnt lgkmcnt(0)
	v_cndmask_b32_e64 v15, v14, v13, s[2:3]
	v_cndmask_b32_e64 v14, v12, v14, s[2:3]
	;; [unrolled: 19-line block ×4, first 2 shown]
	v_and_b32_e32 v11, s17, v19
	v_and_b32_e32 v20, s17, v18
	v_cmp_le_u16_e64 s[12:13], v20, v11
	s_and_b64 s[10:11], s[10:11], s[12:13]
	s_or_b64 s[8:9], s[8:9], s[10:11]
	v_cndmask_b32_e64 v11, v10, v4, s[8:9]
	v_cndmask_b32_e64 v20, v7, v5, s[8:9]
	v_add_u32_e32 v11, 1, v11
	v_add_u32_e32 v20, -1, v20
	v_min_u32_e32 v20, v11, v20
	v_lshlrev_b32_e32 v20, 1, v20
	ds_read_u16 v20, v20
	v_cndmask_b32_e32 v2, v3, v2, vcc
	v_cndmask_b32_e64 v3, v13, v12, s[2:3]
	v_cndmask_b32_e64 v8, v9, v8, s[0:1]
	s_waitcnt lgkmcnt(0)
	v_cndmask_b32_e64 v12, v20, v19, s[8:9]
	v_cndmask_b32_e64 v13, v18, v20, s[8:9]
	v_cndmask_b32_e64 v20, v11, v10, s[8:9]
	v_cndmask_b32_e64 v11, v4, v11, s[8:9]
	v_and_b32_e32 v4, s17, v12
	v_and_b32_e32 v9, s17, v13
	v_cmp_gt_u32_e64 s[0:1], s15, v11
	v_cmp_le_u16_e64 s[2:3], v9, v4
	v_cmp_ge_u32_e32 vcc, v20, v7
	s_and_b64 s[0:1], s[0:1], s[2:3]
	s_or_b64 vcc, vcc, s[0:1]
	v_cndmask_b32_e32 v4, v20, v11, vcc
	v_cndmask_b32_e32 v5, v7, v5, vcc
	v_add_u32_e32 v21, 1, v4
	v_add_u32_e32 v4, -1, v5
	v_min_u32_e32 v4, v21, v4
	v_lshlrev_b32_e32 v4, 1, v4
	ds_read_u16 v22, v4
	v_cndmask_b32_e64 v9, v15, v14, s[4:5]
	v_cndmask_b32_e32 v5, v12, v13, vcc
	v_cndmask_b32_e32 v14, v21, v20, vcc
	;; [unrolled: 1-line block ×3, first 2 shown]
	s_waitcnt lgkmcnt(0)
	v_cndmask_b32_e32 v12, v22, v12, vcc
	v_cndmask_b32_e32 v13, v13, v22, vcc
	v_cmp_ge_u32_e32 vcc, v14, v7
	v_cmp_gt_u32_e64 s[0:1], s15, v11
	v_and_b32_e32 v7, s17, v12
	v_and_b32_e32 v11, s17, v13
	v_cmp_le_u16_e64 s[2:3], v11, v7
	s_and_b64 s[0:1], s[0:1], s[2:3]
	s_or_b64 vcc, vcc, s[0:1]
	v_cndmask_b32_e64 v4, v17, v16, s[6:7]
	v_cndmask_b32_e64 v10, v19, v18, s[8:9]
	v_cndmask_b32_e32 v12, v12, v13, vcc
.LBB1298_29:
	s_or_b64 exec, exec, s[22:23]
	v_lshrrev_b32_e32 v7, 2, v0
	v_and_b32_e32 v7, 30, v7
	s_mov_b32 s2, 0x5040100
	v_add_lshl_u32 v6, v7, v6, 1
	v_perm_b32 v3, v9, v3, s2
	v_perm_b32 v2, v8, v2, s2
	s_barrier
	s_barrier
	ds_write2_b32 v6, v2, v3 offset1:1
	v_perm_b32 v2, v12, v5, s2
	v_perm_b32 v3, v10, v4, s2
	ds_write2_b32 v6, v3, v2 offset0:2 offset1:3
	v_lshrrev_b32_e32 v2, 4, v0
	v_and_b32_e32 v2, 4, v2
	v_or_b32_e32 v10, 0x80, v0
	v_add_u32_e32 v11, v1, v2
	v_lshrrev_b32_e32 v2, 4, v10
	v_and_b32_e32 v2, 12, v2
	v_or_b32_e32 v9, 0x100, v0
	v_add_u32_e32 v12, v1, v2
	;; [unrolled: 4-line block ×5, first 2 shown]
	v_lshrrev_b32_e32 v2, 4, v6
	v_and_b32_e32 v2, 44, v2
	v_or_b32_e32 v5, 0x300, v0
	s_mov_b32 s17, 0
	v_add_u32_e32 v16, v1, v2
	v_lshrrev_b32_e32 v2, 4, v5
	s_lshl_b64 s[0:1], s[16:17], 1
	v_and_b32_e32 v2, 52, v2
	v_or_b32_e32 v4, 0x380, v0
	s_add_u32 s0, s20, s0
	v_add_u32_e32 v17, v1, v2
	v_lshrrev_b32_e32 v2, 4, v4
	s_addc_u32 s1, s21, s1
	v_and_b32_e32 v2, 60, v2
	v_add_u32_e32 v18, v1, v2
	v_mov_b32_e32 v3, s1
	v_add_co_u32_e32 v2, vcc, s0, v1
	v_addc_co_u32_e32 v3, vcc, 0, v3, vcc
	s_and_b64 vcc, exec, s[18:19]
	s_waitcnt lgkmcnt(0)
	s_cbranch_vccz .LBB1298_31
; %bb.30:
	s_barrier
	ds_read_u16 v19, v11
	ds_read_u16 v20, v12 offset:256
	ds_read_u16 v21, v13 offset:512
	;; [unrolled: 1-line block ×7, first 2 shown]
	s_waitcnt lgkmcnt(7)
	global_store_short v[2:3], v19, off
	s_waitcnt lgkmcnt(6)
	global_store_short v[2:3], v20, off offset:256
	s_waitcnt lgkmcnt(5)
	global_store_short v[2:3], v21, off offset:512
	;; [unrolled: 2-line block ×6, first 2 shown]
	s_mov_b64 s[0:1], -1
	s_cbranch_execz .LBB1298_32
	s_branch .LBB1298_41
.LBB1298_31:
	s_mov_b64 s[0:1], 0
                                        ; implicit-def: $vgpr1
.LBB1298_32:
	s_barrier
	s_waitcnt lgkmcnt(0)
	ds_read_u16 v21, v12 offset:256
	ds_read_u16 v20, v13 offset:512
	ds_read_u16 v19, v14 offset:768
	ds_read_u16 v14, v15 offset:1024
	ds_read_u16 v13, v16 offset:1280
	ds_read_u16 v12, v17 offset:1536
	ds_read_u16 v1, v18 offset:1792
	s_sub_i32 s2, s14, s16
	v_cmp_gt_u32_e32 vcc, s2, v0
	s_and_saveexec_b64 s[0:1], vcc
	s_cbranch_execnz .LBB1298_46
; %bb.33:
	s_or_b64 exec, exec, s[0:1]
	v_cmp_gt_u32_e32 vcc, s2, v10
	s_and_saveexec_b64 s[0:1], vcc
	s_cbranch_execnz .LBB1298_47
.LBB1298_34:
	s_or_b64 exec, exec, s[0:1]
	v_cmp_gt_u32_e32 vcc, s2, v9
	s_and_saveexec_b64 s[0:1], vcc
	s_cbranch_execnz .LBB1298_48
.LBB1298_35:
	s_or_b64 exec, exec, s[0:1]
	v_cmp_gt_u32_e32 vcc, s2, v8
	s_and_saveexec_b64 s[0:1], vcc
	s_cbranch_execnz .LBB1298_49
.LBB1298_36:
	s_or_b64 exec, exec, s[0:1]
	v_cmp_gt_u32_e32 vcc, s2, v7
	s_and_saveexec_b64 s[0:1], vcc
	s_cbranch_execnz .LBB1298_50
.LBB1298_37:
	s_or_b64 exec, exec, s[0:1]
	v_cmp_gt_u32_e32 vcc, s2, v6
	s_and_saveexec_b64 s[0:1], vcc
	s_cbranch_execnz .LBB1298_51
.LBB1298_38:
	s_or_b64 exec, exec, s[0:1]
	v_cmp_gt_u32_e32 vcc, s2, v5
	s_and_saveexec_b64 s[0:1], vcc
	s_cbranch_execz .LBB1298_40
.LBB1298_39:
	s_waitcnt lgkmcnt(1)
	global_store_short v[2:3], v12, off offset:1536
.LBB1298_40:
	s_or_b64 exec, exec, s[0:1]
	v_cmp_gt_u32_e64 s[0:1], s2, v4
.LBB1298_41:
	s_and_saveexec_b64 s[2:3], s[0:1]
	s_cbranch_execz .LBB1298_43
; %bb.42:
	s_waitcnt lgkmcnt(0)
	global_store_short v[2:3], v1, off offset:1792
.LBB1298_43:
	s_endpgm
.LBB1298_44:
	v_mov_b32_e32 v2, s9
	v_add_co_u32_e32 v4, vcc, s8, v1
	v_mov_b32_e32 v3, 0
	s_waitcnt vmcnt(0)
	v_addc_co_u32_e32 v5, vcc, 0, v2, vcc
	v_subrev_u32_e32 v2, s15, v0
	v_lshlrev_b64 v[2:3], 1, v[2:3]
	v_mov_b32_e32 v7, s12
	v_add_co_u32_e32 v2, vcc, s11, v2
	v_addc_co_u32_e32 v3, vcc, v7, v3, vcc
	v_cmp_gt_u32_e32 vcc, s15, v0
	v_cndmask_b32_e32 v3, v3, v5, vcc
	v_cndmask_b32_e32 v2, v2, v4, vcc
	global_load_ushort v2, v[2:3], off
	s_or_b64 exec, exec, s[0:1]
	v_cmp_gt_u32_e32 vcc, s6, v8
	s_and_saveexec_b64 s[2:3], vcc
	s_cbranch_execz .LBB1298_6
.LBB1298_45:
	v_mov_b32_e32 v9, 0
	v_lshlrev_b64 v[12:13], 1, v[8:9]
	v_mov_b32_e32 v7, s9
	v_add_co_u32_e32 v10, vcc, s8, v12
	v_addc_co_u32_e32 v7, vcc, v7, v13, vcc
	v_cmp_gt_u32_e32 vcc, s15, v8
	v_subrev_u32_e32 v8, s15, v8
	v_lshlrev_b64 v[8:9], 1, v[8:9]
	v_mov_b32_e32 v12, s12
	v_add_co_u32_e64 v8, s[0:1], s11, v8
	v_addc_co_u32_e64 v9, s[0:1], v12, v9, s[0:1]
	v_cndmask_b32_e32 v9, v9, v7, vcc
	v_cndmask_b32_e32 v8, v8, v10, vcc
	global_load_ushort v7, v[8:9], off
	s_mov_b32 s0, 0x5040100
	s_waitcnt vmcnt(0)
	v_perm_b32 v2, v7, v2, s0
	s_or_b64 exec, exec, s[2:3]
	v_cmp_gt_u32_e32 vcc, s6, v6
	s_and_saveexec_b64 s[0:1], vcc
	s_cbranch_execnz .LBB1298_7
	s_branch .LBB1298_8
.LBB1298_46:
	ds_read_u16 v0, v11
	s_waitcnt lgkmcnt(0)
	global_store_short v[2:3], v0, off
	s_or_b64 exec, exec, s[0:1]
	v_cmp_gt_u32_e32 vcc, s2, v10
	s_and_saveexec_b64 s[0:1], vcc
	s_cbranch_execz .LBB1298_34
.LBB1298_47:
	s_waitcnt lgkmcnt(6)
	global_store_short v[2:3], v21, off offset:256
	s_or_b64 exec, exec, s[0:1]
	v_cmp_gt_u32_e32 vcc, s2, v9
	s_and_saveexec_b64 s[0:1], vcc
	s_cbranch_execz .LBB1298_35
.LBB1298_48:
	s_waitcnt lgkmcnt(5)
	global_store_short v[2:3], v20, off offset:512
	s_or_b64 exec, exec, s[0:1]
	v_cmp_gt_u32_e32 vcc, s2, v8
	s_and_saveexec_b64 s[0:1], vcc
	s_cbranch_execz .LBB1298_36
.LBB1298_49:
	s_waitcnt lgkmcnt(4)
	global_store_short v[2:3], v19, off offset:768
	s_or_b64 exec, exec, s[0:1]
	v_cmp_gt_u32_e32 vcc, s2, v7
	s_and_saveexec_b64 s[0:1], vcc
	s_cbranch_execz .LBB1298_37
.LBB1298_50:
	s_waitcnt lgkmcnt(3)
	global_store_short v[2:3], v14, off offset:1024
	s_or_b64 exec, exec, s[0:1]
	v_cmp_gt_u32_e32 vcc, s2, v6
	s_and_saveexec_b64 s[0:1], vcc
	s_cbranch_execz .LBB1298_38
.LBB1298_51:
	s_waitcnt lgkmcnt(2)
	global_store_short v[2:3], v13, off offset:1280
	s_or_b64 exec, exec, s[0:1]
	v_cmp_gt_u32_e32 vcc, s2, v5
	s_and_saveexec_b64 s[0:1], vcc
	s_cbranch_execnz .LBB1298_39
	s_branch .LBB1298_40
	.section	.rodata,"a",@progbits
	.p2align	6, 0x0
	.amdhsa_kernel _ZN7rocprim17ROCPRIM_400000_NS6detail17trampoline_kernelINS0_14default_configENS1_38merge_sort_block_merge_config_selectorItNS0_10empty_typeEEEZZNS1_27merge_sort_block_merge_implIS3_N6thrust23THRUST_200600_302600_NS6detail15normal_iteratorINS9_10device_ptrItEEEEPS5_jNS1_19radix_merge_compareILb0ELb1EtNS0_19identity_decomposerEEEEE10hipError_tT0_T1_T2_jT3_P12ihipStream_tbPNSt15iterator_traitsISK_E10value_typeEPNSQ_ISL_E10value_typeEPSM_NS1_7vsmem_tEENKUlT_SK_SL_SM_E_clISE_PtSF_SF_EESJ_SZ_SK_SL_SM_EUlSZ_E0_NS1_11comp_targetILNS1_3genE4ELNS1_11target_archE910ELNS1_3gpuE8ELNS1_3repE0EEENS1_38merge_mergepath_config_static_selectorELNS0_4arch9wavefront6targetE1EEEvSL_
		.amdhsa_group_segment_fixed_size 2112
		.amdhsa_private_segment_fixed_size 0
		.amdhsa_kernarg_size 320
		.amdhsa_user_sgpr_count 6
		.amdhsa_user_sgpr_private_segment_buffer 1
		.amdhsa_user_sgpr_dispatch_ptr 0
		.amdhsa_user_sgpr_queue_ptr 0
		.amdhsa_user_sgpr_kernarg_segment_ptr 1
		.amdhsa_user_sgpr_dispatch_id 0
		.amdhsa_user_sgpr_flat_scratch_init 0
		.amdhsa_user_sgpr_kernarg_preload_length 0
		.amdhsa_user_sgpr_kernarg_preload_offset 0
		.amdhsa_user_sgpr_private_segment_size 0
		.amdhsa_uses_dynamic_stack 0
		.amdhsa_system_sgpr_private_segment_wavefront_offset 0
		.amdhsa_system_sgpr_workgroup_id_x 1
		.amdhsa_system_sgpr_workgroup_id_y 1
		.amdhsa_system_sgpr_workgroup_id_z 1
		.amdhsa_system_sgpr_workgroup_info 0
		.amdhsa_system_vgpr_workitem_id 0
		.amdhsa_next_free_vgpr 26
		.amdhsa_next_free_sgpr 24
		.amdhsa_accum_offset 28
		.amdhsa_reserve_vcc 1
		.amdhsa_reserve_flat_scratch 0
		.amdhsa_float_round_mode_32 0
		.amdhsa_float_round_mode_16_64 0
		.amdhsa_float_denorm_mode_32 3
		.amdhsa_float_denorm_mode_16_64 3
		.amdhsa_dx10_clamp 1
		.amdhsa_ieee_mode 1
		.amdhsa_fp16_overflow 0
		.amdhsa_tg_split 0
		.amdhsa_exception_fp_ieee_invalid_op 0
		.amdhsa_exception_fp_denorm_src 0
		.amdhsa_exception_fp_ieee_div_zero 0
		.amdhsa_exception_fp_ieee_overflow 0
		.amdhsa_exception_fp_ieee_underflow 0
		.amdhsa_exception_fp_ieee_inexact 0
		.amdhsa_exception_int_div_zero 0
	.end_amdhsa_kernel
	.section	.text._ZN7rocprim17ROCPRIM_400000_NS6detail17trampoline_kernelINS0_14default_configENS1_38merge_sort_block_merge_config_selectorItNS0_10empty_typeEEEZZNS1_27merge_sort_block_merge_implIS3_N6thrust23THRUST_200600_302600_NS6detail15normal_iteratorINS9_10device_ptrItEEEEPS5_jNS1_19radix_merge_compareILb0ELb1EtNS0_19identity_decomposerEEEEE10hipError_tT0_T1_T2_jT3_P12ihipStream_tbPNSt15iterator_traitsISK_E10value_typeEPNSQ_ISL_E10value_typeEPSM_NS1_7vsmem_tEENKUlT_SK_SL_SM_E_clISE_PtSF_SF_EESJ_SZ_SK_SL_SM_EUlSZ_E0_NS1_11comp_targetILNS1_3genE4ELNS1_11target_archE910ELNS1_3gpuE8ELNS1_3repE0EEENS1_38merge_mergepath_config_static_selectorELNS0_4arch9wavefront6targetE1EEEvSL_,"axG",@progbits,_ZN7rocprim17ROCPRIM_400000_NS6detail17trampoline_kernelINS0_14default_configENS1_38merge_sort_block_merge_config_selectorItNS0_10empty_typeEEEZZNS1_27merge_sort_block_merge_implIS3_N6thrust23THRUST_200600_302600_NS6detail15normal_iteratorINS9_10device_ptrItEEEEPS5_jNS1_19radix_merge_compareILb0ELb1EtNS0_19identity_decomposerEEEEE10hipError_tT0_T1_T2_jT3_P12ihipStream_tbPNSt15iterator_traitsISK_E10value_typeEPNSQ_ISL_E10value_typeEPSM_NS1_7vsmem_tEENKUlT_SK_SL_SM_E_clISE_PtSF_SF_EESJ_SZ_SK_SL_SM_EUlSZ_E0_NS1_11comp_targetILNS1_3genE4ELNS1_11target_archE910ELNS1_3gpuE8ELNS1_3repE0EEENS1_38merge_mergepath_config_static_selectorELNS0_4arch9wavefront6targetE1EEEvSL_,comdat
.Lfunc_end1298:
	.size	_ZN7rocprim17ROCPRIM_400000_NS6detail17trampoline_kernelINS0_14default_configENS1_38merge_sort_block_merge_config_selectorItNS0_10empty_typeEEEZZNS1_27merge_sort_block_merge_implIS3_N6thrust23THRUST_200600_302600_NS6detail15normal_iteratorINS9_10device_ptrItEEEEPS5_jNS1_19radix_merge_compareILb0ELb1EtNS0_19identity_decomposerEEEEE10hipError_tT0_T1_T2_jT3_P12ihipStream_tbPNSt15iterator_traitsISK_E10value_typeEPNSQ_ISL_E10value_typeEPSM_NS1_7vsmem_tEENKUlT_SK_SL_SM_E_clISE_PtSF_SF_EESJ_SZ_SK_SL_SM_EUlSZ_E0_NS1_11comp_targetILNS1_3genE4ELNS1_11target_archE910ELNS1_3gpuE8ELNS1_3repE0EEENS1_38merge_mergepath_config_static_selectorELNS0_4arch9wavefront6targetE1EEEvSL_, .Lfunc_end1298-_ZN7rocprim17ROCPRIM_400000_NS6detail17trampoline_kernelINS0_14default_configENS1_38merge_sort_block_merge_config_selectorItNS0_10empty_typeEEEZZNS1_27merge_sort_block_merge_implIS3_N6thrust23THRUST_200600_302600_NS6detail15normal_iteratorINS9_10device_ptrItEEEEPS5_jNS1_19radix_merge_compareILb0ELb1EtNS0_19identity_decomposerEEEEE10hipError_tT0_T1_T2_jT3_P12ihipStream_tbPNSt15iterator_traitsISK_E10value_typeEPNSQ_ISL_E10value_typeEPSM_NS1_7vsmem_tEENKUlT_SK_SL_SM_E_clISE_PtSF_SF_EESJ_SZ_SK_SL_SM_EUlSZ_E0_NS1_11comp_targetILNS1_3genE4ELNS1_11target_archE910ELNS1_3gpuE8ELNS1_3repE0EEENS1_38merge_mergepath_config_static_selectorELNS0_4arch9wavefront6targetE1EEEvSL_
                                        ; -- End function
	.section	.AMDGPU.csdata,"",@progbits
; Kernel info:
; codeLenInByte = 3844
; NumSgprs: 28
; NumVgprs: 26
; NumAgprs: 0
; TotalNumVgprs: 26
; ScratchSize: 0
; MemoryBound: 0
; FloatMode: 240
; IeeeMode: 1
; LDSByteSize: 2112 bytes/workgroup (compile time only)
; SGPRBlocks: 3
; VGPRBlocks: 3
; NumSGPRsForWavesPerEU: 28
; NumVGPRsForWavesPerEU: 26
; AccumOffset: 28
; Occupancy: 8
; WaveLimiterHint : 1
; COMPUTE_PGM_RSRC2:SCRATCH_EN: 0
; COMPUTE_PGM_RSRC2:USER_SGPR: 6
; COMPUTE_PGM_RSRC2:TRAP_HANDLER: 0
; COMPUTE_PGM_RSRC2:TGID_X_EN: 1
; COMPUTE_PGM_RSRC2:TGID_Y_EN: 1
; COMPUTE_PGM_RSRC2:TGID_Z_EN: 1
; COMPUTE_PGM_RSRC2:TIDIG_COMP_CNT: 0
; COMPUTE_PGM_RSRC3_GFX90A:ACCUM_OFFSET: 6
; COMPUTE_PGM_RSRC3_GFX90A:TG_SPLIT: 0
	.section	.text._ZN7rocprim17ROCPRIM_400000_NS6detail17trampoline_kernelINS0_14default_configENS1_38merge_sort_block_merge_config_selectorItNS0_10empty_typeEEEZZNS1_27merge_sort_block_merge_implIS3_N6thrust23THRUST_200600_302600_NS6detail15normal_iteratorINS9_10device_ptrItEEEEPS5_jNS1_19radix_merge_compareILb0ELb1EtNS0_19identity_decomposerEEEEE10hipError_tT0_T1_T2_jT3_P12ihipStream_tbPNSt15iterator_traitsISK_E10value_typeEPNSQ_ISL_E10value_typeEPSM_NS1_7vsmem_tEENKUlT_SK_SL_SM_E_clISE_PtSF_SF_EESJ_SZ_SK_SL_SM_EUlSZ_E0_NS1_11comp_targetILNS1_3genE3ELNS1_11target_archE908ELNS1_3gpuE7ELNS1_3repE0EEENS1_38merge_mergepath_config_static_selectorELNS0_4arch9wavefront6targetE1EEEvSL_,"axG",@progbits,_ZN7rocprim17ROCPRIM_400000_NS6detail17trampoline_kernelINS0_14default_configENS1_38merge_sort_block_merge_config_selectorItNS0_10empty_typeEEEZZNS1_27merge_sort_block_merge_implIS3_N6thrust23THRUST_200600_302600_NS6detail15normal_iteratorINS9_10device_ptrItEEEEPS5_jNS1_19radix_merge_compareILb0ELb1EtNS0_19identity_decomposerEEEEE10hipError_tT0_T1_T2_jT3_P12ihipStream_tbPNSt15iterator_traitsISK_E10value_typeEPNSQ_ISL_E10value_typeEPSM_NS1_7vsmem_tEENKUlT_SK_SL_SM_E_clISE_PtSF_SF_EESJ_SZ_SK_SL_SM_EUlSZ_E0_NS1_11comp_targetILNS1_3genE3ELNS1_11target_archE908ELNS1_3gpuE7ELNS1_3repE0EEENS1_38merge_mergepath_config_static_selectorELNS0_4arch9wavefront6targetE1EEEvSL_,comdat
	.protected	_ZN7rocprim17ROCPRIM_400000_NS6detail17trampoline_kernelINS0_14default_configENS1_38merge_sort_block_merge_config_selectorItNS0_10empty_typeEEEZZNS1_27merge_sort_block_merge_implIS3_N6thrust23THRUST_200600_302600_NS6detail15normal_iteratorINS9_10device_ptrItEEEEPS5_jNS1_19radix_merge_compareILb0ELb1EtNS0_19identity_decomposerEEEEE10hipError_tT0_T1_T2_jT3_P12ihipStream_tbPNSt15iterator_traitsISK_E10value_typeEPNSQ_ISL_E10value_typeEPSM_NS1_7vsmem_tEENKUlT_SK_SL_SM_E_clISE_PtSF_SF_EESJ_SZ_SK_SL_SM_EUlSZ_E0_NS1_11comp_targetILNS1_3genE3ELNS1_11target_archE908ELNS1_3gpuE7ELNS1_3repE0EEENS1_38merge_mergepath_config_static_selectorELNS0_4arch9wavefront6targetE1EEEvSL_ ; -- Begin function _ZN7rocprim17ROCPRIM_400000_NS6detail17trampoline_kernelINS0_14default_configENS1_38merge_sort_block_merge_config_selectorItNS0_10empty_typeEEEZZNS1_27merge_sort_block_merge_implIS3_N6thrust23THRUST_200600_302600_NS6detail15normal_iteratorINS9_10device_ptrItEEEEPS5_jNS1_19radix_merge_compareILb0ELb1EtNS0_19identity_decomposerEEEEE10hipError_tT0_T1_T2_jT3_P12ihipStream_tbPNSt15iterator_traitsISK_E10value_typeEPNSQ_ISL_E10value_typeEPSM_NS1_7vsmem_tEENKUlT_SK_SL_SM_E_clISE_PtSF_SF_EESJ_SZ_SK_SL_SM_EUlSZ_E0_NS1_11comp_targetILNS1_3genE3ELNS1_11target_archE908ELNS1_3gpuE7ELNS1_3repE0EEENS1_38merge_mergepath_config_static_selectorELNS0_4arch9wavefront6targetE1EEEvSL_
	.globl	_ZN7rocprim17ROCPRIM_400000_NS6detail17trampoline_kernelINS0_14default_configENS1_38merge_sort_block_merge_config_selectorItNS0_10empty_typeEEEZZNS1_27merge_sort_block_merge_implIS3_N6thrust23THRUST_200600_302600_NS6detail15normal_iteratorINS9_10device_ptrItEEEEPS5_jNS1_19radix_merge_compareILb0ELb1EtNS0_19identity_decomposerEEEEE10hipError_tT0_T1_T2_jT3_P12ihipStream_tbPNSt15iterator_traitsISK_E10value_typeEPNSQ_ISL_E10value_typeEPSM_NS1_7vsmem_tEENKUlT_SK_SL_SM_E_clISE_PtSF_SF_EESJ_SZ_SK_SL_SM_EUlSZ_E0_NS1_11comp_targetILNS1_3genE3ELNS1_11target_archE908ELNS1_3gpuE7ELNS1_3repE0EEENS1_38merge_mergepath_config_static_selectorELNS0_4arch9wavefront6targetE1EEEvSL_
	.p2align	8
	.type	_ZN7rocprim17ROCPRIM_400000_NS6detail17trampoline_kernelINS0_14default_configENS1_38merge_sort_block_merge_config_selectorItNS0_10empty_typeEEEZZNS1_27merge_sort_block_merge_implIS3_N6thrust23THRUST_200600_302600_NS6detail15normal_iteratorINS9_10device_ptrItEEEEPS5_jNS1_19radix_merge_compareILb0ELb1EtNS0_19identity_decomposerEEEEE10hipError_tT0_T1_T2_jT3_P12ihipStream_tbPNSt15iterator_traitsISK_E10value_typeEPNSQ_ISL_E10value_typeEPSM_NS1_7vsmem_tEENKUlT_SK_SL_SM_E_clISE_PtSF_SF_EESJ_SZ_SK_SL_SM_EUlSZ_E0_NS1_11comp_targetILNS1_3genE3ELNS1_11target_archE908ELNS1_3gpuE7ELNS1_3repE0EEENS1_38merge_mergepath_config_static_selectorELNS0_4arch9wavefront6targetE1EEEvSL_,@function
_ZN7rocprim17ROCPRIM_400000_NS6detail17trampoline_kernelINS0_14default_configENS1_38merge_sort_block_merge_config_selectorItNS0_10empty_typeEEEZZNS1_27merge_sort_block_merge_implIS3_N6thrust23THRUST_200600_302600_NS6detail15normal_iteratorINS9_10device_ptrItEEEEPS5_jNS1_19radix_merge_compareILb0ELb1EtNS0_19identity_decomposerEEEEE10hipError_tT0_T1_T2_jT3_P12ihipStream_tbPNSt15iterator_traitsISK_E10value_typeEPNSQ_ISL_E10value_typeEPSM_NS1_7vsmem_tEENKUlT_SK_SL_SM_E_clISE_PtSF_SF_EESJ_SZ_SK_SL_SM_EUlSZ_E0_NS1_11comp_targetILNS1_3genE3ELNS1_11target_archE908ELNS1_3gpuE7ELNS1_3repE0EEENS1_38merge_mergepath_config_static_selectorELNS0_4arch9wavefront6targetE1EEEvSL_: ; @_ZN7rocprim17ROCPRIM_400000_NS6detail17trampoline_kernelINS0_14default_configENS1_38merge_sort_block_merge_config_selectorItNS0_10empty_typeEEEZZNS1_27merge_sort_block_merge_implIS3_N6thrust23THRUST_200600_302600_NS6detail15normal_iteratorINS9_10device_ptrItEEEEPS5_jNS1_19radix_merge_compareILb0ELb1EtNS0_19identity_decomposerEEEEE10hipError_tT0_T1_T2_jT3_P12ihipStream_tbPNSt15iterator_traitsISK_E10value_typeEPNSQ_ISL_E10value_typeEPSM_NS1_7vsmem_tEENKUlT_SK_SL_SM_E_clISE_PtSF_SF_EESJ_SZ_SK_SL_SM_EUlSZ_E0_NS1_11comp_targetILNS1_3genE3ELNS1_11target_archE908ELNS1_3gpuE7ELNS1_3repE0EEENS1_38merge_mergepath_config_static_selectorELNS0_4arch9wavefront6targetE1EEEvSL_
; %bb.0:
	.section	.rodata,"a",@progbits
	.p2align	6, 0x0
	.amdhsa_kernel _ZN7rocprim17ROCPRIM_400000_NS6detail17trampoline_kernelINS0_14default_configENS1_38merge_sort_block_merge_config_selectorItNS0_10empty_typeEEEZZNS1_27merge_sort_block_merge_implIS3_N6thrust23THRUST_200600_302600_NS6detail15normal_iteratorINS9_10device_ptrItEEEEPS5_jNS1_19radix_merge_compareILb0ELb1EtNS0_19identity_decomposerEEEEE10hipError_tT0_T1_T2_jT3_P12ihipStream_tbPNSt15iterator_traitsISK_E10value_typeEPNSQ_ISL_E10value_typeEPSM_NS1_7vsmem_tEENKUlT_SK_SL_SM_E_clISE_PtSF_SF_EESJ_SZ_SK_SL_SM_EUlSZ_E0_NS1_11comp_targetILNS1_3genE3ELNS1_11target_archE908ELNS1_3gpuE7ELNS1_3repE0EEENS1_38merge_mergepath_config_static_selectorELNS0_4arch9wavefront6targetE1EEEvSL_
		.amdhsa_group_segment_fixed_size 0
		.amdhsa_private_segment_fixed_size 0
		.amdhsa_kernarg_size 64
		.amdhsa_user_sgpr_count 6
		.amdhsa_user_sgpr_private_segment_buffer 1
		.amdhsa_user_sgpr_dispatch_ptr 0
		.amdhsa_user_sgpr_queue_ptr 0
		.amdhsa_user_sgpr_kernarg_segment_ptr 1
		.amdhsa_user_sgpr_dispatch_id 0
		.amdhsa_user_sgpr_flat_scratch_init 0
		.amdhsa_user_sgpr_kernarg_preload_length 0
		.amdhsa_user_sgpr_kernarg_preload_offset 0
		.amdhsa_user_sgpr_private_segment_size 0
		.amdhsa_uses_dynamic_stack 0
		.amdhsa_system_sgpr_private_segment_wavefront_offset 0
		.amdhsa_system_sgpr_workgroup_id_x 1
		.amdhsa_system_sgpr_workgroup_id_y 0
		.amdhsa_system_sgpr_workgroup_id_z 0
		.amdhsa_system_sgpr_workgroup_info 0
		.amdhsa_system_vgpr_workitem_id 0
		.amdhsa_next_free_vgpr 1
		.amdhsa_next_free_sgpr 0
		.amdhsa_accum_offset 4
		.amdhsa_reserve_vcc 0
		.amdhsa_reserve_flat_scratch 0
		.amdhsa_float_round_mode_32 0
		.amdhsa_float_round_mode_16_64 0
		.amdhsa_float_denorm_mode_32 3
		.amdhsa_float_denorm_mode_16_64 3
		.amdhsa_dx10_clamp 1
		.amdhsa_ieee_mode 1
		.amdhsa_fp16_overflow 0
		.amdhsa_tg_split 0
		.amdhsa_exception_fp_ieee_invalid_op 0
		.amdhsa_exception_fp_denorm_src 0
		.amdhsa_exception_fp_ieee_div_zero 0
		.amdhsa_exception_fp_ieee_overflow 0
		.amdhsa_exception_fp_ieee_underflow 0
		.amdhsa_exception_fp_ieee_inexact 0
		.amdhsa_exception_int_div_zero 0
	.end_amdhsa_kernel
	.section	.text._ZN7rocprim17ROCPRIM_400000_NS6detail17trampoline_kernelINS0_14default_configENS1_38merge_sort_block_merge_config_selectorItNS0_10empty_typeEEEZZNS1_27merge_sort_block_merge_implIS3_N6thrust23THRUST_200600_302600_NS6detail15normal_iteratorINS9_10device_ptrItEEEEPS5_jNS1_19radix_merge_compareILb0ELb1EtNS0_19identity_decomposerEEEEE10hipError_tT0_T1_T2_jT3_P12ihipStream_tbPNSt15iterator_traitsISK_E10value_typeEPNSQ_ISL_E10value_typeEPSM_NS1_7vsmem_tEENKUlT_SK_SL_SM_E_clISE_PtSF_SF_EESJ_SZ_SK_SL_SM_EUlSZ_E0_NS1_11comp_targetILNS1_3genE3ELNS1_11target_archE908ELNS1_3gpuE7ELNS1_3repE0EEENS1_38merge_mergepath_config_static_selectorELNS0_4arch9wavefront6targetE1EEEvSL_,"axG",@progbits,_ZN7rocprim17ROCPRIM_400000_NS6detail17trampoline_kernelINS0_14default_configENS1_38merge_sort_block_merge_config_selectorItNS0_10empty_typeEEEZZNS1_27merge_sort_block_merge_implIS3_N6thrust23THRUST_200600_302600_NS6detail15normal_iteratorINS9_10device_ptrItEEEEPS5_jNS1_19radix_merge_compareILb0ELb1EtNS0_19identity_decomposerEEEEE10hipError_tT0_T1_T2_jT3_P12ihipStream_tbPNSt15iterator_traitsISK_E10value_typeEPNSQ_ISL_E10value_typeEPSM_NS1_7vsmem_tEENKUlT_SK_SL_SM_E_clISE_PtSF_SF_EESJ_SZ_SK_SL_SM_EUlSZ_E0_NS1_11comp_targetILNS1_3genE3ELNS1_11target_archE908ELNS1_3gpuE7ELNS1_3repE0EEENS1_38merge_mergepath_config_static_selectorELNS0_4arch9wavefront6targetE1EEEvSL_,comdat
.Lfunc_end1299:
	.size	_ZN7rocprim17ROCPRIM_400000_NS6detail17trampoline_kernelINS0_14default_configENS1_38merge_sort_block_merge_config_selectorItNS0_10empty_typeEEEZZNS1_27merge_sort_block_merge_implIS3_N6thrust23THRUST_200600_302600_NS6detail15normal_iteratorINS9_10device_ptrItEEEEPS5_jNS1_19radix_merge_compareILb0ELb1EtNS0_19identity_decomposerEEEEE10hipError_tT0_T1_T2_jT3_P12ihipStream_tbPNSt15iterator_traitsISK_E10value_typeEPNSQ_ISL_E10value_typeEPSM_NS1_7vsmem_tEENKUlT_SK_SL_SM_E_clISE_PtSF_SF_EESJ_SZ_SK_SL_SM_EUlSZ_E0_NS1_11comp_targetILNS1_3genE3ELNS1_11target_archE908ELNS1_3gpuE7ELNS1_3repE0EEENS1_38merge_mergepath_config_static_selectorELNS0_4arch9wavefront6targetE1EEEvSL_, .Lfunc_end1299-_ZN7rocprim17ROCPRIM_400000_NS6detail17trampoline_kernelINS0_14default_configENS1_38merge_sort_block_merge_config_selectorItNS0_10empty_typeEEEZZNS1_27merge_sort_block_merge_implIS3_N6thrust23THRUST_200600_302600_NS6detail15normal_iteratorINS9_10device_ptrItEEEEPS5_jNS1_19radix_merge_compareILb0ELb1EtNS0_19identity_decomposerEEEEE10hipError_tT0_T1_T2_jT3_P12ihipStream_tbPNSt15iterator_traitsISK_E10value_typeEPNSQ_ISL_E10value_typeEPSM_NS1_7vsmem_tEENKUlT_SK_SL_SM_E_clISE_PtSF_SF_EESJ_SZ_SK_SL_SM_EUlSZ_E0_NS1_11comp_targetILNS1_3genE3ELNS1_11target_archE908ELNS1_3gpuE7ELNS1_3repE0EEENS1_38merge_mergepath_config_static_selectorELNS0_4arch9wavefront6targetE1EEEvSL_
                                        ; -- End function
	.section	.AMDGPU.csdata,"",@progbits
; Kernel info:
; codeLenInByte = 0
; NumSgprs: 4
; NumVgprs: 0
; NumAgprs: 0
; TotalNumVgprs: 0
; ScratchSize: 0
; MemoryBound: 0
; FloatMode: 240
; IeeeMode: 1
; LDSByteSize: 0 bytes/workgroup (compile time only)
; SGPRBlocks: 0
; VGPRBlocks: 0
; NumSGPRsForWavesPerEU: 4
; NumVGPRsForWavesPerEU: 1
; AccumOffset: 4
; Occupancy: 8
; WaveLimiterHint : 0
; COMPUTE_PGM_RSRC2:SCRATCH_EN: 0
; COMPUTE_PGM_RSRC2:USER_SGPR: 6
; COMPUTE_PGM_RSRC2:TRAP_HANDLER: 0
; COMPUTE_PGM_RSRC2:TGID_X_EN: 1
; COMPUTE_PGM_RSRC2:TGID_Y_EN: 0
; COMPUTE_PGM_RSRC2:TGID_Z_EN: 0
; COMPUTE_PGM_RSRC2:TIDIG_COMP_CNT: 0
; COMPUTE_PGM_RSRC3_GFX90A:ACCUM_OFFSET: 0
; COMPUTE_PGM_RSRC3_GFX90A:TG_SPLIT: 0
	.section	.text._ZN7rocprim17ROCPRIM_400000_NS6detail17trampoline_kernelINS0_14default_configENS1_38merge_sort_block_merge_config_selectorItNS0_10empty_typeEEEZZNS1_27merge_sort_block_merge_implIS3_N6thrust23THRUST_200600_302600_NS6detail15normal_iteratorINS9_10device_ptrItEEEEPS5_jNS1_19radix_merge_compareILb0ELb1EtNS0_19identity_decomposerEEEEE10hipError_tT0_T1_T2_jT3_P12ihipStream_tbPNSt15iterator_traitsISK_E10value_typeEPNSQ_ISL_E10value_typeEPSM_NS1_7vsmem_tEENKUlT_SK_SL_SM_E_clISE_PtSF_SF_EESJ_SZ_SK_SL_SM_EUlSZ_E0_NS1_11comp_targetILNS1_3genE2ELNS1_11target_archE906ELNS1_3gpuE6ELNS1_3repE0EEENS1_38merge_mergepath_config_static_selectorELNS0_4arch9wavefront6targetE1EEEvSL_,"axG",@progbits,_ZN7rocprim17ROCPRIM_400000_NS6detail17trampoline_kernelINS0_14default_configENS1_38merge_sort_block_merge_config_selectorItNS0_10empty_typeEEEZZNS1_27merge_sort_block_merge_implIS3_N6thrust23THRUST_200600_302600_NS6detail15normal_iteratorINS9_10device_ptrItEEEEPS5_jNS1_19radix_merge_compareILb0ELb1EtNS0_19identity_decomposerEEEEE10hipError_tT0_T1_T2_jT3_P12ihipStream_tbPNSt15iterator_traitsISK_E10value_typeEPNSQ_ISL_E10value_typeEPSM_NS1_7vsmem_tEENKUlT_SK_SL_SM_E_clISE_PtSF_SF_EESJ_SZ_SK_SL_SM_EUlSZ_E0_NS1_11comp_targetILNS1_3genE2ELNS1_11target_archE906ELNS1_3gpuE6ELNS1_3repE0EEENS1_38merge_mergepath_config_static_selectorELNS0_4arch9wavefront6targetE1EEEvSL_,comdat
	.protected	_ZN7rocprim17ROCPRIM_400000_NS6detail17trampoline_kernelINS0_14default_configENS1_38merge_sort_block_merge_config_selectorItNS0_10empty_typeEEEZZNS1_27merge_sort_block_merge_implIS3_N6thrust23THRUST_200600_302600_NS6detail15normal_iteratorINS9_10device_ptrItEEEEPS5_jNS1_19radix_merge_compareILb0ELb1EtNS0_19identity_decomposerEEEEE10hipError_tT0_T1_T2_jT3_P12ihipStream_tbPNSt15iterator_traitsISK_E10value_typeEPNSQ_ISL_E10value_typeEPSM_NS1_7vsmem_tEENKUlT_SK_SL_SM_E_clISE_PtSF_SF_EESJ_SZ_SK_SL_SM_EUlSZ_E0_NS1_11comp_targetILNS1_3genE2ELNS1_11target_archE906ELNS1_3gpuE6ELNS1_3repE0EEENS1_38merge_mergepath_config_static_selectorELNS0_4arch9wavefront6targetE1EEEvSL_ ; -- Begin function _ZN7rocprim17ROCPRIM_400000_NS6detail17trampoline_kernelINS0_14default_configENS1_38merge_sort_block_merge_config_selectorItNS0_10empty_typeEEEZZNS1_27merge_sort_block_merge_implIS3_N6thrust23THRUST_200600_302600_NS6detail15normal_iteratorINS9_10device_ptrItEEEEPS5_jNS1_19radix_merge_compareILb0ELb1EtNS0_19identity_decomposerEEEEE10hipError_tT0_T1_T2_jT3_P12ihipStream_tbPNSt15iterator_traitsISK_E10value_typeEPNSQ_ISL_E10value_typeEPSM_NS1_7vsmem_tEENKUlT_SK_SL_SM_E_clISE_PtSF_SF_EESJ_SZ_SK_SL_SM_EUlSZ_E0_NS1_11comp_targetILNS1_3genE2ELNS1_11target_archE906ELNS1_3gpuE6ELNS1_3repE0EEENS1_38merge_mergepath_config_static_selectorELNS0_4arch9wavefront6targetE1EEEvSL_
	.globl	_ZN7rocprim17ROCPRIM_400000_NS6detail17trampoline_kernelINS0_14default_configENS1_38merge_sort_block_merge_config_selectorItNS0_10empty_typeEEEZZNS1_27merge_sort_block_merge_implIS3_N6thrust23THRUST_200600_302600_NS6detail15normal_iteratorINS9_10device_ptrItEEEEPS5_jNS1_19radix_merge_compareILb0ELb1EtNS0_19identity_decomposerEEEEE10hipError_tT0_T1_T2_jT3_P12ihipStream_tbPNSt15iterator_traitsISK_E10value_typeEPNSQ_ISL_E10value_typeEPSM_NS1_7vsmem_tEENKUlT_SK_SL_SM_E_clISE_PtSF_SF_EESJ_SZ_SK_SL_SM_EUlSZ_E0_NS1_11comp_targetILNS1_3genE2ELNS1_11target_archE906ELNS1_3gpuE6ELNS1_3repE0EEENS1_38merge_mergepath_config_static_selectorELNS0_4arch9wavefront6targetE1EEEvSL_
	.p2align	8
	.type	_ZN7rocprim17ROCPRIM_400000_NS6detail17trampoline_kernelINS0_14default_configENS1_38merge_sort_block_merge_config_selectorItNS0_10empty_typeEEEZZNS1_27merge_sort_block_merge_implIS3_N6thrust23THRUST_200600_302600_NS6detail15normal_iteratorINS9_10device_ptrItEEEEPS5_jNS1_19radix_merge_compareILb0ELb1EtNS0_19identity_decomposerEEEEE10hipError_tT0_T1_T2_jT3_P12ihipStream_tbPNSt15iterator_traitsISK_E10value_typeEPNSQ_ISL_E10value_typeEPSM_NS1_7vsmem_tEENKUlT_SK_SL_SM_E_clISE_PtSF_SF_EESJ_SZ_SK_SL_SM_EUlSZ_E0_NS1_11comp_targetILNS1_3genE2ELNS1_11target_archE906ELNS1_3gpuE6ELNS1_3repE0EEENS1_38merge_mergepath_config_static_selectorELNS0_4arch9wavefront6targetE1EEEvSL_,@function
_ZN7rocprim17ROCPRIM_400000_NS6detail17trampoline_kernelINS0_14default_configENS1_38merge_sort_block_merge_config_selectorItNS0_10empty_typeEEEZZNS1_27merge_sort_block_merge_implIS3_N6thrust23THRUST_200600_302600_NS6detail15normal_iteratorINS9_10device_ptrItEEEEPS5_jNS1_19radix_merge_compareILb0ELb1EtNS0_19identity_decomposerEEEEE10hipError_tT0_T1_T2_jT3_P12ihipStream_tbPNSt15iterator_traitsISK_E10value_typeEPNSQ_ISL_E10value_typeEPSM_NS1_7vsmem_tEENKUlT_SK_SL_SM_E_clISE_PtSF_SF_EESJ_SZ_SK_SL_SM_EUlSZ_E0_NS1_11comp_targetILNS1_3genE2ELNS1_11target_archE906ELNS1_3gpuE6ELNS1_3repE0EEENS1_38merge_mergepath_config_static_selectorELNS0_4arch9wavefront6targetE1EEEvSL_: ; @_ZN7rocprim17ROCPRIM_400000_NS6detail17trampoline_kernelINS0_14default_configENS1_38merge_sort_block_merge_config_selectorItNS0_10empty_typeEEEZZNS1_27merge_sort_block_merge_implIS3_N6thrust23THRUST_200600_302600_NS6detail15normal_iteratorINS9_10device_ptrItEEEEPS5_jNS1_19radix_merge_compareILb0ELb1EtNS0_19identity_decomposerEEEEE10hipError_tT0_T1_T2_jT3_P12ihipStream_tbPNSt15iterator_traitsISK_E10value_typeEPNSQ_ISL_E10value_typeEPSM_NS1_7vsmem_tEENKUlT_SK_SL_SM_E_clISE_PtSF_SF_EESJ_SZ_SK_SL_SM_EUlSZ_E0_NS1_11comp_targetILNS1_3genE2ELNS1_11target_archE906ELNS1_3gpuE6ELNS1_3repE0EEENS1_38merge_mergepath_config_static_selectorELNS0_4arch9wavefront6targetE1EEEvSL_
; %bb.0:
	.section	.rodata,"a",@progbits
	.p2align	6, 0x0
	.amdhsa_kernel _ZN7rocprim17ROCPRIM_400000_NS6detail17trampoline_kernelINS0_14default_configENS1_38merge_sort_block_merge_config_selectorItNS0_10empty_typeEEEZZNS1_27merge_sort_block_merge_implIS3_N6thrust23THRUST_200600_302600_NS6detail15normal_iteratorINS9_10device_ptrItEEEEPS5_jNS1_19radix_merge_compareILb0ELb1EtNS0_19identity_decomposerEEEEE10hipError_tT0_T1_T2_jT3_P12ihipStream_tbPNSt15iterator_traitsISK_E10value_typeEPNSQ_ISL_E10value_typeEPSM_NS1_7vsmem_tEENKUlT_SK_SL_SM_E_clISE_PtSF_SF_EESJ_SZ_SK_SL_SM_EUlSZ_E0_NS1_11comp_targetILNS1_3genE2ELNS1_11target_archE906ELNS1_3gpuE6ELNS1_3repE0EEENS1_38merge_mergepath_config_static_selectorELNS0_4arch9wavefront6targetE1EEEvSL_
		.amdhsa_group_segment_fixed_size 0
		.amdhsa_private_segment_fixed_size 0
		.amdhsa_kernarg_size 64
		.amdhsa_user_sgpr_count 6
		.amdhsa_user_sgpr_private_segment_buffer 1
		.amdhsa_user_sgpr_dispatch_ptr 0
		.amdhsa_user_sgpr_queue_ptr 0
		.amdhsa_user_sgpr_kernarg_segment_ptr 1
		.amdhsa_user_sgpr_dispatch_id 0
		.amdhsa_user_sgpr_flat_scratch_init 0
		.amdhsa_user_sgpr_kernarg_preload_length 0
		.amdhsa_user_sgpr_kernarg_preload_offset 0
		.amdhsa_user_sgpr_private_segment_size 0
		.amdhsa_uses_dynamic_stack 0
		.amdhsa_system_sgpr_private_segment_wavefront_offset 0
		.amdhsa_system_sgpr_workgroup_id_x 1
		.amdhsa_system_sgpr_workgroup_id_y 0
		.amdhsa_system_sgpr_workgroup_id_z 0
		.amdhsa_system_sgpr_workgroup_info 0
		.amdhsa_system_vgpr_workitem_id 0
		.amdhsa_next_free_vgpr 1
		.amdhsa_next_free_sgpr 0
		.amdhsa_accum_offset 4
		.amdhsa_reserve_vcc 0
		.amdhsa_reserve_flat_scratch 0
		.amdhsa_float_round_mode_32 0
		.amdhsa_float_round_mode_16_64 0
		.amdhsa_float_denorm_mode_32 3
		.amdhsa_float_denorm_mode_16_64 3
		.amdhsa_dx10_clamp 1
		.amdhsa_ieee_mode 1
		.amdhsa_fp16_overflow 0
		.amdhsa_tg_split 0
		.amdhsa_exception_fp_ieee_invalid_op 0
		.amdhsa_exception_fp_denorm_src 0
		.amdhsa_exception_fp_ieee_div_zero 0
		.amdhsa_exception_fp_ieee_overflow 0
		.amdhsa_exception_fp_ieee_underflow 0
		.amdhsa_exception_fp_ieee_inexact 0
		.amdhsa_exception_int_div_zero 0
	.end_amdhsa_kernel
	.section	.text._ZN7rocprim17ROCPRIM_400000_NS6detail17trampoline_kernelINS0_14default_configENS1_38merge_sort_block_merge_config_selectorItNS0_10empty_typeEEEZZNS1_27merge_sort_block_merge_implIS3_N6thrust23THRUST_200600_302600_NS6detail15normal_iteratorINS9_10device_ptrItEEEEPS5_jNS1_19radix_merge_compareILb0ELb1EtNS0_19identity_decomposerEEEEE10hipError_tT0_T1_T2_jT3_P12ihipStream_tbPNSt15iterator_traitsISK_E10value_typeEPNSQ_ISL_E10value_typeEPSM_NS1_7vsmem_tEENKUlT_SK_SL_SM_E_clISE_PtSF_SF_EESJ_SZ_SK_SL_SM_EUlSZ_E0_NS1_11comp_targetILNS1_3genE2ELNS1_11target_archE906ELNS1_3gpuE6ELNS1_3repE0EEENS1_38merge_mergepath_config_static_selectorELNS0_4arch9wavefront6targetE1EEEvSL_,"axG",@progbits,_ZN7rocprim17ROCPRIM_400000_NS6detail17trampoline_kernelINS0_14default_configENS1_38merge_sort_block_merge_config_selectorItNS0_10empty_typeEEEZZNS1_27merge_sort_block_merge_implIS3_N6thrust23THRUST_200600_302600_NS6detail15normal_iteratorINS9_10device_ptrItEEEEPS5_jNS1_19radix_merge_compareILb0ELb1EtNS0_19identity_decomposerEEEEE10hipError_tT0_T1_T2_jT3_P12ihipStream_tbPNSt15iterator_traitsISK_E10value_typeEPNSQ_ISL_E10value_typeEPSM_NS1_7vsmem_tEENKUlT_SK_SL_SM_E_clISE_PtSF_SF_EESJ_SZ_SK_SL_SM_EUlSZ_E0_NS1_11comp_targetILNS1_3genE2ELNS1_11target_archE906ELNS1_3gpuE6ELNS1_3repE0EEENS1_38merge_mergepath_config_static_selectorELNS0_4arch9wavefront6targetE1EEEvSL_,comdat
.Lfunc_end1300:
	.size	_ZN7rocprim17ROCPRIM_400000_NS6detail17trampoline_kernelINS0_14default_configENS1_38merge_sort_block_merge_config_selectorItNS0_10empty_typeEEEZZNS1_27merge_sort_block_merge_implIS3_N6thrust23THRUST_200600_302600_NS6detail15normal_iteratorINS9_10device_ptrItEEEEPS5_jNS1_19radix_merge_compareILb0ELb1EtNS0_19identity_decomposerEEEEE10hipError_tT0_T1_T2_jT3_P12ihipStream_tbPNSt15iterator_traitsISK_E10value_typeEPNSQ_ISL_E10value_typeEPSM_NS1_7vsmem_tEENKUlT_SK_SL_SM_E_clISE_PtSF_SF_EESJ_SZ_SK_SL_SM_EUlSZ_E0_NS1_11comp_targetILNS1_3genE2ELNS1_11target_archE906ELNS1_3gpuE6ELNS1_3repE0EEENS1_38merge_mergepath_config_static_selectorELNS0_4arch9wavefront6targetE1EEEvSL_, .Lfunc_end1300-_ZN7rocprim17ROCPRIM_400000_NS6detail17trampoline_kernelINS0_14default_configENS1_38merge_sort_block_merge_config_selectorItNS0_10empty_typeEEEZZNS1_27merge_sort_block_merge_implIS3_N6thrust23THRUST_200600_302600_NS6detail15normal_iteratorINS9_10device_ptrItEEEEPS5_jNS1_19radix_merge_compareILb0ELb1EtNS0_19identity_decomposerEEEEE10hipError_tT0_T1_T2_jT3_P12ihipStream_tbPNSt15iterator_traitsISK_E10value_typeEPNSQ_ISL_E10value_typeEPSM_NS1_7vsmem_tEENKUlT_SK_SL_SM_E_clISE_PtSF_SF_EESJ_SZ_SK_SL_SM_EUlSZ_E0_NS1_11comp_targetILNS1_3genE2ELNS1_11target_archE906ELNS1_3gpuE6ELNS1_3repE0EEENS1_38merge_mergepath_config_static_selectorELNS0_4arch9wavefront6targetE1EEEvSL_
                                        ; -- End function
	.section	.AMDGPU.csdata,"",@progbits
; Kernel info:
; codeLenInByte = 0
; NumSgprs: 4
; NumVgprs: 0
; NumAgprs: 0
; TotalNumVgprs: 0
; ScratchSize: 0
; MemoryBound: 0
; FloatMode: 240
; IeeeMode: 1
; LDSByteSize: 0 bytes/workgroup (compile time only)
; SGPRBlocks: 0
; VGPRBlocks: 0
; NumSGPRsForWavesPerEU: 4
; NumVGPRsForWavesPerEU: 1
; AccumOffset: 4
; Occupancy: 8
; WaveLimiterHint : 0
; COMPUTE_PGM_RSRC2:SCRATCH_EN: 0
; COMPUTE_PGM_RSRC2:USER_SGPR: 6
; COMPUTE_PGM_RSRC2:TRAP_HANDLER: 0
; COMPUTE_PGM_RSRC2:TGID_X_EN: 1
; COMPUTE_PGM_RSRC2:TGID_Y_EN: 0
; COMPUTE_PGM_RSRC2:TGID_Z_EN: 0
; COMPUTE_PGM_RSRC2:TIDIG_COMP_CNT: 0
; COMPUTE_PGM_RSRC3_GFX90A:ACCUM_OFFSET: 0
; COMPUTE_PGM_RSRC3_GFX90A:TG_SPLIT: 0
	.section	.text._ZN7rocprim17ROCPRIM_400000_NS6detail17trampoline_kernelINS0_14default_configENS1_38merge_sort_block_merge_config_selectorItNS0_10empty_typeEEEZZNS1_27merge_sort_block_merge_implIS3_N6thrust23THRUST_200600_302600_NS6detail15normal_iteratorINS9_10device_ptrItEEEEPS5_jNS1_19radix_merge_compareILb0ELb1EtNS0_19identity_decomposerEEEEE10hipError_tT0_T1_T2_jT3_P12ihipStream_tbPNSt15iterator_traitsISK_E10value_typeEPNSQ_ISL_E10value_typeEPSM_NS1_7vsmem_tEENKUlT_SK_SL_SM_E_clISE_PtSF_SF_EESJ_SZ_SK_SL_SM_EUlSZ_E0_NS1_11comp_targetILNS1_3genE9ELNS1_11target_archE1100ELNS1_3gpuE3ELNS1_3repE0EEENS1_38merge_mergepath_config_static_selectorELNS0_4arch9wavefront6targetE1EEEvSL_,"axG",@progbits,_ZN7rocprim17ROCPRIM_400000_NS6detail17trampoline_kernelINS0_14default_configENS1_38merge_sort_block_merge_config_selectorItNS0_10empty_typeEEEZZNS1_27merge_sort_block_merge_implIS3_N6thrust23THRUST_200600_302600_NS6detail15normal_iteratorINS9_10device_ptrItEEEEPS5_jNS1_19radix_merge_compareILb0ELb1EtNS0_19identity_decomposerEEEEE10hipError_tT0_T1_T2_jT3_P12ihipStream_tbPNSt15iterator_traitsISK_E10value_typeEPNSQ_ISL_E10value_typeEPSM_NS1_7vsmem_tEENKUlT_SK_SL_SM_E_clISE_PtSF_SF_EESJ_SZ_SK_SL_SM_EUlSZ_E0_NS1_11comp_targetILNS1_3genE9ELNS1_11target_archE1100ELNS1_3gpuE3ELNS1_3repE0EEENS1_38merge_mergepath_config_static_selectorELNS0_4arch9wavefront6targetE1EEEvSL_,comdat
	.protected	_ZN7rocprim17ROCPRIM_400000_NS6detail17trampoline_kernelINS0_14default_configENS1_38merge_sort_block_merge_config_selectorItNS0_10empty_typeEEEZZNS1_27merge_sort_block_merge_implIS3_N6thrust23THRUST_200600_302600_NS6detail15normal_iteratorINS9_10device_ptrItEEEEPS5_jNS1_19radix_merge_compareILb0ELb1EtNS0_19identity_decomposerEEEEE10hipError_tT0_T1_T2_jT3_P12ihipStream_tbPNSt15iterator_traitsISK_E10value_typeEPNSQ_ISL_E10value_typeEPSM_NS1_7vsmem_tEENKUlT_SK_SL_SM_E_clISE_PtSF_SF_EESJ_SZ_SK_SL_SM_EUlSZ_E0_NS1_11comp_targetILNS1_3genE9ELNS1_11target_archE1100ELNS1_3gpuE3ELNS1_3repE0EEENS1_38merge_mergepath_config_static_selectorELNS0_4arch9wavefront6targetE1EEEvSL_ ; -- Begin function _ZN7rocprim17ROCPRIM_400000_NS6detail17trampoline_kernelINS0_14default_configENS1_38merge_sort_block_merge_config_selectorItNS0_10empty_typeEEEZZNS1_27merge_sort_block_merge_implIS3_N6thrust23THRUST_200600_302600_NS6detail15normal_iteratorINS9_10device_ptrItEEEEPS5_jNS1_19radix_merge_compareILb0ELb1EtNS0_19identity_decomposerEEEEE10hipError_tT0_T1_T2_jT3_P12ihipStream_tbPNSt15iterator_traitsISK_E10value_typeEPNSQ_ISL_E10value_typeEPSM_NS1_7vsmem_tEENKUlT_SK_SL_SM_E_clISE_PtSF_SF_EESJ_SZ_SK_SL_SM_EUlSZ_E0_NS1_11comp_targetILNS1_3genE9ELNS1_11target_archE1100ELNS1_3gpuE3ELNS1_3repE0EEENS1_38merge_mergepath_config_static_selectorELNS0_4arch9wavefront6targetE1EEEvSL_
	.globl	_ZN7rocprim17ROCPRIM_400000_NS6detail17trampoline_kernelINS0_14default_configENS1_38merge_sort_block_merge_config_selectorItNS0_10empty_typeEEEZZNS1_27merge_sort_block_merge_implIS3_N6thrust23THRUST_200600_302600_NS6detail15normal_iteratorINS9_10device_ptrItEEEEPS5_jNS1_19radix_merge_compareILb0ELb1EtNS0_19identity_decomposerEEEEE10hipError_tT0_T1_T2_jT3_P12ihipStream_tbPNSt15iterator_traitsISK_E10value_typeEPNSQ_ISL_E10value_typeEPSM_NS1_7vsmem_tEENKUlT_SK_SL_SM_E_clISE_PtSF_SF_EESJ_SZ_SK_SL_SM_EUlSZ_E0_NS1_11comp_targetILNS1_3genE9ELNS1_11target_archE1100ELNS1_3gpuE3ELNS1_3repE0EEENS1_38merge_mergepath_config_static_selectorELNS0_4arch9wavefront6targetE1EEEvSL_
	.p2align	8
	.type	_ZN7rocprim17ROCPRIM_400000_NS6detail17trampoline_kernelINS0_14default_configENS1_38merge_sort_block_merge_config_selectorItNS0_10empty_typeEEEZZNS1_27merge_sort_block_merge_implIS3_N6thrust23THRUST_200600_302600_NS6detail15normal_iteratorINS9_10device_ptrItEEEEPS5_jNS1_19radix_merge_compareILb0ELb1EtNS0_19identity_decomposerEEEEE10hipError_tT0_T1_T2_jT3_P12ihipStream_tbPNSt15iterator_traitsISK_E10value_typeEPNSQ_ISL_E10value_typeEPSM_NS1_7vsmem_tEENKUlT_SK_SL_SM_E_clISE_PtSF_SF_EESJ_SZ_SK_SL_SM_EUlSZ_E0_NS1_11comp_targetILNS1_3genE9ELNS1_11target_archE1100ELNS1_3gpuE3ELNS1_3repE0EEENS1_38merge_mergepath_config_static_selectorELNS0_4arch9wavefront6targetE1EEEvSL_,@function
_ZN7rocprim17ROCPRIM_400000_NS6detail17trampoline_kernelINS0_14default_configENS1_38merge_sort_block_merge_config_selectorItNS0_10empty_typeEEEZZNS1_27merge_sort_block_merge_implIS3_N6thrust23THRUST_200600_302600_NS6detail15normal_iteratorINS9_10device_ptrItEEEEPS5_jNS1_19radix_merge_compareILb0ELb1EtNS0_19identity_decomposerEEEEE10hipError_tT0_T1_T2_jT3_P12ihipStream_tbPNSt15iterator_traitsISK_E10value_typeEPNSQ_ISL_E10value_typeEPSM_NS1_7vsmem_tEENKUlT_SK_SL_SM_E_clISE_PtSF_SF_EESJ_SZ_SK_SL_SM_EUlSZ_E0_NS1_11comp_targetILNS1_3genE9ELNS1_11target_archE1100ELNS1_3gpuE3ELNS1_3repE0EEENS1_38merge_mergepath_config_static_selectorELNS0_4arch9wavefront6targetE1EEEvSL_: ; @_ZN7rocprim17ROCPRIM_400000_NS6detail17trampoline_kernelINS0_14default_configENS1_38merge_sort_block_merge_config_selectorItNS0_10empty_typeEEEZZNS1_27merge_sort_block_merge_implIS3_N6thrust23THRUST_200600_302600_NS6detail15normal_iteratorINS9_10device_ptrItEEEEPS5_jNS1_19radix_merge_compareILb0ELb1EtNS0_19identity_decomposerEEEEE10hipError_tT0_T1_T2_jT3_P12ihipStream_tbPNSt15iterator_traitsISK_E10value_typeEPNSQ_ISL_E10value_typeEPSM_NS1_7vsmem_tEENKUlT_SK_SL_SM_E_clISE_PtSF_SF_EESJ_SZ_SK_SL_SM_EUlSZ_E0_NS1_11comp_targetILNS1_3genE9ELNS1_11target_archE1100ELNS1_3gpuE3ELNS1_3repE0EEENS1_38merge_mergepath_config_static_selectorELNS0_4arch9wavefront6targetE1EEEvSL_
; %bb.0:
	.section	.rodata,"a",@progbits
	.p2align	6, 0x0
	.amdhsa_kernel _ZN7rocprim17ROCPRIM_400000_NS6detail17trampoline_kernelINS0_14default_configENS1_38merge_sort_block_merge_config_selectorItNS0_10empty_typeEEEZZNS1_27merge_sort_block_merge_implIS3_N6thrust23THRUST_200600_302600_NS6detail15normal_iteratorINS9_10device_ptrItEEEEPS5_jNS1_19radix_merge_compareILb0ELb1EtNS0_19identity_decomposerEEEEE10hipError_tT0_T1_T2_jT3_P12ihipStream_tbPNSt15iterator_traitsISK_E10value_typeEPNSQ_ISL_E10value_typeEPSM_NS1_7vsmem_tEENKUlT_SK_SL_SM_E_clISE_PtSF_SF_EESJ_SZ_SK_SL_SM_EUlSZ_E0_NS1_11comp_targetILNS1_3genE9ELNS1_11target_archE1100ELNS1_3gpuE3ELNS1_3repE0EEENS1_38merge_mergepath_config_static_selectorELNS0_4arch9wavefront6targetE1EEEvSL_
		.amdhsa_group_segment_fixed_size 0
		.amdhsa_private_segment_fixed_size 0
		.amdhsa_kernarg_size 64
		.amdhsa_user_sgpr_count 6
		.amdhsa_user_sgpr_private_segment_buffer 1
		.amdhsa_user_sgpr_dispatch_ptr 0
		.amdhsa_user_sgpr_queue_ptr 0
		.amdhsa_user_sgpr_kernarg_segment_ptr 1
		.amdhsa_user_sgpr_dispatch_id 0
		.amdhsa_user_sgpr_flat_scratch_init 0
		.amdhsa_user_sgpr_kernarg_preload_length 0
		.amdhsa_user_sgpr_kernarg_preload_offset 0
		.amdhsa_user_sgpr_private_segment_size 0
		.amdhsa_uses_dynamic_stack 0
		.amdhsa_system_sgpr_private_segment_wavefront_offset 0
		.amdhsa_system_sgpr_workgroup_id_x 1
		.amdhsa_system_sgpr_workgroup_id_y 0
		.amdhsa_system_sgpr_workgroup_id_z 0
		.amdhsa_system_sgpr_workgroup_info 0
		.amdhsa_system_vgpr_workitem_id 0
		.amdhsa_next_free_vgpr 1
		.amdhsa_next_free_sgpr 0
		.amdhsa_accum_offset 4
		.amdhsa_reserve_vcc 0
		.amdhsa_reserve_flat_scratch 0
		.amdhsa_float_round_mode_32 0
		.amdhsa_float_round_mode_16_64 0
		.amdhsa_float_denorm_mode_32 3
		.amdhsa_float_denorm_mode_16_64 3
		.amdhsa_dx10_clamp 1
		.amdhsa_ieee_mode 1
		.amdhsa_fp16_overflow 0
		.amdhsa_tg_split 0
		.amdhsa_exception_fp_ieee_invalid_op 0
		.amdhsa_exception_fp_denorm_src 0
		.amdhsa_exception_fp_ieee_div_zero 0
		.amdhsa_exception_fp_ieee_overflow 0
		.amdhsa_exception_fp_ieee_underflow 0
		.amdhsa_exception_fp_ieee_inexact 0
		.amdhsa_exception_int_div_zero 0
	.end_amdhsa_kernel
	.section	.text._ZN7rocprim17ROCPRIM_400000_NS6detail17trampoline_kernelINS0_14default_configENS1_38merge_sort_block_merge_config_selectorItNS0_10empty_typeEEEZZNS1_27merge_sort_block_merge_implIS3_N6thrust23THRUST_200600_302600_NS6detail15normal_iteratorINS9_10device_ptrItEEEEPS5_jNS1_19radix_merge_compareILb0ELb1EtNS0_19identity_decomposerEEEEE10hipError_tT0_T1_T2_jT3_P12ihipStream_tbPNSt15iterator_traitsISK_E10value_typeEPNSQ_ISL_E10value_typeEPSM_NS1_7vsmem_tEENKUlT_SK_SL_SM_E_clISE_PtSF_SF_EESJ_SZ_SK_SL_SM_EUlSZ_E0_NS1_11comp_targetILNS1_3genE9ELNS1_11target_archE1100ELNS1_3gpuE3ELNS1_3repE0EEENS1_38merge_mergepath_config_static_selectorELNS0_4arch9wavefront6targetE1EEEvSL_,"axG",@progbits,_ZN7rocprim17ROCPRIM_400000_NS6detail17trampoline_kernelINS0_14default_configENS1_38merge_sort_block_merge_config_selectorItNS0_10empty_typeEEEZZNS1_27merge_sort_block_merge_implIS3_N6thrust23THRUST_200600_302600_NS6detail15normal_iteratorINS9_10device_ptrItEEEEPS5_jNS1_19radix_merge_compareILb0ELb1EtNS0_19identity_decomposerEEEEE10hipError_tT0_T1_T2_jT3_P12ihipStream_tbPNSt15iterator_traitsISK_E10value_typeEPNSQ_ISL_E10value_typeEPSM_NS1_7vsmem_tEENKUlT_SK_SL_SM_E_clISE_PtSF_SF_EESJ_SZ_SK_SL_SM_EUlSZ_E0_NS1_11comp_targetILNS1_3genE9ELNS1_11target_archE1100ELNS1_3gpuE3ELNS1_3repE0EEENS1_38merge_mergepath_config_static_selectorELNS0_4arch9wavefront6targetE1EEEvSL_,comdat
.Lfunc_end1301:
	.size	_ZN7rocprim17ROCPRIM_400000_NS6detail17trampoline_kernelINS0_14default_configENS1_38merge_sort_block_merge_config_selectorItNS0_10empty_typeEEEZZNS1_27merge_sort_block_merge_implIS3_N6thrust23THRUST_200600_302600_NS6detail15normal_iteratorINS9_10device_ptrItEEEEPS5_jNS1_19radix_merge_compareILb0ELb1EtNS0_19identity_decomposerEEEEE10hipError_tT0_T1_T2_jT3_P12ihipStream_tbPNSt15iterator_traitsISK_E10value_typeEPNSQ_ISL_E10value_typeEPSM_NS1_7vsmem_tEENKUlT_SK_SL_SM_E_clISE_PtSF_SF_EESJ_SZ_SK_SL_SM_EUlSZ_E0_NS1_11comp_targetILNS1_3genE9ELNS1_11target_archE1100ELNS1_3gpuE3ELNS1_3repE0EEENS1_38merge_mergepath_config_static_selectorELNS0_4arch9wavefront6targetE1EEEvSL_, .Lfunc_end1301-_ZN7rocprim17ROCPRIM_400000_NS6detail17trampoline_kernelINS0_14default_configENS1_38merge_sort_block_merge_config_selectorItNS0_10empty_typeEEEZZNS1_27merge_sort_block_merge_implIS3_N6thrust23THRUST_200600_302600_NS6detail15normal_iteratorINS9_10device_ptrItEEEEPS5_jNS1_19radix_merge_compareILb0ELb1EtNS0_19identity_decomposerEEEEE10hipError_tT0_T1_T2_jT3_P12ihipStream_tbPNSt15iterator_traitsISK_E10value_typeEPNSQ_ISL_E10value_typeEPSM_NS1_7vsmem_tEENKUlT_SK_SL_SM_E_clISE_PtSF_SF_EESJ_SZ_SK_SL_SM_EUlSZ_E0_NS1_11comp_targetILNS1_3genE9ELNS1_11target_archE1100ELNS1_3gpuE3ELNS1_3repE0EEENS1_38merge_mergepath_config_static_selectorELNS0_4arch9wavefront6targetE1EEEvSL_
                                        ; -- End function
	.section	.AMDGPU.csdata,"",@progbits
; Kernel info:
; codeLenInByte = 0
; NumSgprs: 4
; NumVgprs: 0
; NumAgprs: 0
; TotalNumVgprs: 0
; ScratchSize: 0
; MemoryBound: 0
; FloatMode: 240
; IeeeMode: 1
; LDSByteSize: 0 bytes/workgroup (compile time only)
; SGPRBlocks: 0
; VGPRBlocks: 0
; NumSGPRsForWavesPerEU: 4
; NumVGPRsForWavesPerEU: 1
; AccumOffset: 4
; Occupancy: 8
; WaveLimiterHint : 0
; COMPUTE_PGM_RSRC2:SCRATCH_EN: 0
; COMPUTE_PGM_RSRC2:USER_SGPR: 6
; COMPUTE_PGM_RSRC2:TRAP_HANDLER: 0
; COMPUTE_PGM_RSRC2:TGID_X_EN: 1
; COMPUTE_PGM_RSRC2:TGID_Y_EN: 0
; COMPUTE_PGM_RSRC2:TGID_Z_EN: 0
; COMPUTE_PGM_RSRC2:TIDIG_COMP_CNT: 0
; COMPUTE_PGM_RSRC3_GFX90A:ACCUM_OFFSET: 0
; COMPUTE_PGM_RSRC3_GFX90A:TG_SPLIT: 0
	.section	.text._ZN7rocprim17ROCPRIM_400000_NS6detail17trampoline_kernelINS0_14default_configENS1_38merge_sort_block_merge_config_selectorItNS0_10empty_typeEEEZZNS1_27merge_sort_block_merge_implIS3_N6thrust23THRUST_200600_302600_NS6detail15normal_iteratorINS9_10device_ptrItEEEEPS5_jNS1_19radix_merge_compareILb0ELb1EtNS0_19identity_decomposerEEEEE10hipError_tT0_T1_T2_jT3_P12ihipStream_tbPNSt15iterator_traitsISK_E10value_typeEPNSQ_ISL_E10value_typeEPSM_NS1_7vsmem_tEENKUlT_SK_SL_SM_E_clISE_PtSF_SF_EESJ_SZ_SK_SL_SM_EUlSZ_E0_NS1_11comp_targetILNS1_3genE8ELNS1_11target_archE1030ELNS1_3gpuE2ELNS1_3repE0EEENS1_38merge_mergepath_config_static_selectorELNS0_4arch9wavefront6targetE1EEEvSL_,"axG",@progbits,_ZN7rocprim17ROCPRIM_400000_NS6detail17trampoline_kernelINS0_14default_configENS1_38merge_sort_block_merge_config_selectorItNS0_10empty_typeEEEZZNS1_27merge_sort_block_merge_implIS3_N6thrust23THRUST_200600_302600_NS6detail15normal_iteratorINS9_10device_ptrItEEEEPS5_jNS1_19radix_merge_compareILb0ELb1EtNS0_19identity_decomposerEEEEE10hipError_tT0_T1_T2_jT3_P12ihipStream_tbPNSt15iterator_traitsISK_E10value_typeEPNSQ_ISL_E10value_typeEPSM_NS1_7vsmem_tEENKUlT_SK_SL_SM_E_clISE_PtSF_SF_EESJ_SZ_SK_SL_SM_EUlSZ_E0_NS1_11comp_targetILNS1_3genE8ELNS1_11target_archE1030ELNS1_3gpuE2ELNS1_3repE0EEENS1_38merge_mergepath_config_static_selectorELNS0_4arch9wavefront6targetE1EEEvSL_,comdat
	.protected	_ZN7rocprim17ROCPRIM_400000_NS6detail17trampoline_kernelINS0_14default_configENS1_38merge_sort_block_merge_config_selectorItNS0_10empty_typeEEEZZNS1_27merge_sort_block_merge_implIS3_N6thrust23THRUST_200600_302600_NS6detail15normal_iteratorINS9_10device_ptrItEEEEPS5_jNS1_19radix_merge_compareILb0ELb1EtNS0_19identity_decomposerEEEEE10hipError_tT0_T1_T2_jT3_P12ihipStream_tbPNSt15iterator_traitsISK_E10value_typeEPNSQ_ISL_E10value_typeEPSM_NS1_7vsmem_tEENKUlT_SK_SL_SM_E_clISE_PtSF_SF_EESJ_SZ_SK_SL_SM_EUlSZ_E0_NS1_11comp_targetILNS1_3genE8ELNS1_11target_archE1030ELNS1_3gpuE2ELNS1_3repE0EEENS1_38merge_mergepath_config_static_selectorELNS0_4arch9wavefront6targetE1EEEvSL_ ; -- Begin function _ZN7rocprim17ROCPRIM_400000_NS6detail17trampoline_kernelINS0_14default_configENS1_38merge_sort_block_merge_config_selectorItNS0_10empty_typeEEEZZNS1_27merge_sort_block_merge_implIS3_N6thrust23THRUST_200600_302600_NS6detail15normal_iteratorINS9_10device_ptrItEEEEPS5_jNS1_19radix_merge_compareILb0ELb1EtNS0_19identity_decomposerEEEEE10hipError_tT0_T1_T2_jT3_P12ihipStream_tbPNSt15iterator_traitsISK_E10value_typeEPNSQ_ISL_E10value_typeEPSM_NS1_7vsmem_tEENKUlT_SK_SL_SM_E_clISE_PtSF_SF_EESJ_SZ_SK_SL_SM_EUlSZ_E0_NS1_11comp_targetILNS1_3genE8ELNS1_11target_archE1030ELNS1_3gpuE2ELNS1_3repE0EEENS1_38merge_mergepath_config_static_selectorELNS0_4arch9wavefront6targetE1EEEvSL_
	.globl	_ZN7rocprim17ROCPRIM_400000_NS6detail17trampoline_kernelINS0_14default_configENS1_38merge_sort_block_merge_config_selectorItNS0_10empty_typeEEEZZNS1_27merge_sort_block_merge_implIS3_N6thrust23THRUST_200600_302600_NS6detail15normal_iteratorINS9_10device_ptrItEEEEPS5_jNS1_19radix_merge_compareILb0ELb1EtNS0_19identity_decomposerEEEEE10hipError_tT0_T1_T2_jT3_P12ihipStream_tbPNSt15iterator_traitsISK_E10value_typeEPNSQ_ISL_E10value_typeEPSM_NS1_7vsmem_tEENKUlT_SK_SL_SM_E_clISE_PtSF_SF_EESJ_SZ_SK_SL_SM_EUlSZ_E0_NS1_11comp_targetILNS1_3genE8ELNS1_11target_archE1030ELNS1_3gpuE2ELNS1_3repE0EEENS1_38merge_mergepath_config_static_selectorELNS0_4arch9wavefront6targetE1EEEvSL_
	.p2align	8
	.type	_ZN7rocprim17ROCPRIM_400000_NS6detail17trampoline_kernelINS0_14default_configENS1_38merge_sort_block_merge_config_selectorItNS0_10empty_typeEEEZZNS1_27merge_sort_block_merge_implIS3_N6thrust23THRUST_200600_302600_NS6detail15normal_iteratorINS9_10device_ptrItEEEEPS5_jNS1_19radix_merge_compareILb0ELb1EtNS0_19identity_decomposerEEEEE10hipError_tT0_T1_T2_jT3_P12ihipStream_tbPNSt15iterator_traitsISK_E10value_typeEPNSQ_ISL_E10value_typeEPSM_NS1_7vsmem_tEENKUlT_SK_SL_SM_E_clISE_PtSF_SF_EESJ_SZ_SK_SL_SM_EUlSZ_E0_NS1_11comp_targetILNS1_3genE8ELNS1_11target_archE1030ELNS1_3gpuE2ELNS1_3repE0EEENS1_38merge_mergepath_config_static_selectorELNS0_4arch9wavefront6targetE1EEEvSL_,@function
_ZN7rocprim17ROCPRIM_400000_NS6detail17trampoline_kernelINS0_14default_configENS1_38merge_sort_block_merge_config_selectorItNS0_10empty_typeEEEZZNS1_27merge_sort_block_merge_implIS3_N6thrust23THRUST_200600_302600_NS6detail15normal_iteratorINS9_10device_ptrItEEEEPS5_jNS1_19radix_merge_compareILb0ELb1EtNS0_19identity_decomposerEEEEE10hipError_tT0_T1_T2_jT3_P12ihipStream_tbPNSt15iterator_traitsISK_E10value_typeEPNSQ_ISL_E10value_typeEPSM_NS1_7vsmem_tEENKUlT_SK_SL_SM_E_clISE_PtSF_SF_EESJ_SZ_SK_SL_SM_EUlSZ_E0_NS1_11comp_targetILNS1_3genE8ELNS1_11target_archE1030ELNS1_3gpuE2ELNS1_3repE0EEENS1_38merge_mergepath_config_static_selectorELNS0_4arch9wavefront6targetE1EEEvSL_: ; @_ZN7rocprim17ROCPRIM_400000_NS6detail17trampoline_kernelINS0_14default_configENS1_38merge_sort_block_merge_config_selectorItNS0_10empty_typeEEEZZNS1_27merge_sort_block_merge_implIS3_N6thrust23THRUST_200600_302600_NS6detail15normal_iteratorINS9_10device_ptrItEEEEPS5_jNS1_19radix_merge_compareILb0ELb1EtNS0_19identity_decomposerEEEEE10hipError_tT0_T1_T2_jT3_P12ihipStream_tbPNSt15iterator_traitsISK_E10value_typeEPNSQ_ISL_E10value_typeEPSM_NS1_7vsmem_tEENKUlT_SK_SL_SM_E_clISE_PtSF_SF_EESJ_SZ_SK_SL_SM_EUlSZ_E0_NS1_11comp_targetILNS1_3genE8ELNS1_11target_archE1030ELNS1_3gpuE2ELNS1_3repE0EEENS1_38merge_mergepath_config_static_selectorELNS0_4arch9wavefront6targetE1EEEvSL_
; %bb.0:
	.section	.rodata,"a",@progbits
	.p2align	6, 0x0
	.amdhsa_kernel _ZN7rocprim17ROCPRIM_400000_NS6detail17trampoline_kernelINS0_14default_configENS1_38merge_sort_block_merge_config_selectorItNS0_10empty_typeEEEZZNS1_27merge_sort_block_merge_implIS3_N6thrust23THRUST_200600_302600_NS6detail15normal_iteratorINS9_10device_ptrItEEEEPS5_jNS1_19radix_merge_compareILb0ELb1EtNS0_19identity_decomposerEEEEE10hipError_tT0_T1_T2_jT3_P12ihipStream_tbPNSt15iterator_traitsISK_E10value_typeEPNSQ_ISL_E10value_typeEPSM_NS1_7vsmem_tEENKUlT_SK_SL_SM_E_clISE_PtSF_SF_EESJ_SZ_SK_SL_SM_EUlSZ_E0_NS1_11comp_targetILNS1_3genE8ELNS1_11target_archE1030ELNS1_3gpuE2ELNS1_3repE0EEENS1_38merge_mergepath_config_static_selectorELNS0_4arch9wavefront6targetE1EEEvSL_
		.amdhsa_group_segment_fixed_size 0
		.amdhsa_private_segment_fixed_size 0
		.amdhsa_kernarg_size 64
		.amdhsa_user_sgpr_count 6
		.amdhsa_user_sgpr_private_segment_buffer 1
		.amdhsa_user_sgpr_dispatch_ptr 0
		.amdhsa_user_sgpr_queue_ptr 0
		.amdhsa_user_sgpr_kernarg_segment_ptr 1
		.amdhsa_user_sgpr_dispatch_id 0
		.amdhsa_user_sgpr_flat_scratch_init 0
		.amdhsa_user_sgpr_kernarg_preload_length 0
		.amdhsa_user_sgpr_kernarg_preload_offset 0
		.amdhsa_user_sgpr_private_segment_size 0
		.amdhsa_uses_dynamic_stack 0
		.amdhsa_system_sgpr_private_segment_wavefront_offset 0
		.amdhsa_system_sgpr_workgroup_id_x 1
		.amdhsa_system_sgpr_workgroup_id_y 0
		.amdhsa_system_sgpr_workgroup_id_z 0
		.amdhsa_system_sgpr_workgroup_info 0
		.amdhsa_system_vgpr_workitem_id 0
		.amdhsa_next_free_vgpr 1
		.amdhsa_next_free_sgpr 0
		.amdhsa_accum_offset 4
		.amdhsa_reserve_vcc 0
		.amdhsa_reserve_flat_scratch 0
		.amdhsa_float_round_mode_32 0
		.amdhsa_float_round_mode_16_64 0
		.amdhsa_float_denorm_mode_32 3
		.amdhsa_float_denorm_mode_16_64 3
		.amdhsa_dx10_clamp 1
		.amdhsa_ieee_mode 1
		.amdhsa_fp16_overflow 0
		.amdhsa_tg_split 0
		.amdhsa_exception_fp_ieee_invalid_op 0
		.amdhsa_exception_fp_denorm_src 0
		.amdhsa_exception_fp_ieee_div_zero 0
		.amdhsa_exception_fp_ieee_overflow 0
		.amdhsa_exception_fp_ieee_underflow 0
		.amdhsa_exception_fp_ieee_inexact 0
		.amdhsa_exception_int_div_zero 0
	.end_amdhsa_kernel
	.section	.text._ZN7rocprim17ROCPRIM_400000_NS6detail17trampoline_kernelINS0_14default_configENS1_38merge_sort_block_merge_config_selectorItNS0_10empty_typeEEEZZNS1_27merge_sort_block_merge_implIS3_N6thrust23THRUST_200600_302600_NS6detail15normal_iteratorINS9_10device_ptrItEEEEPS5_jNS1_19radix_merge_compareILb0ELb1EtNS0_19identity_decomposerEEEEE10hipError_tT0_T1_T2_jT3_P12ihipStream_tbPNSt15iterator_traitsISK_E10value_typeEPNSQ_ISL_E10value_typeEPSM_NS1_7vsmem_tEENKUlT_SK_SL_SM_E_clISE_PtSF_SF_EESJ_SZ_SK_SL_SM_EUlSZ_E0_NS1_11comp_targetILNS1_3genE8ELNS1_11target_archE1030ELNS1_3gpuE2ELNS1_3repE0EEENS1_38merge_mergepath_config_static_selectorELNS0_4arch9wavefront6targetE1EEEvSL_,"axG",@progbits,_ZN7rocprim17ROCPRIM_400000_NS6detail17trampoline_kernelINS0_14default_configENS1_38merge_sort_block_merge_config_selectorItNS0_10empty_typeEEEZZNS1_27merge_sort_block_merge_implIS3_N6thrust23THRUST_200600_302600_NS6detail15normal_iteratorINS9_10device_ptrItEEEEPS5_jNS1_19radix_merge_compareILb0ELb1EtNS0_19identity_decomposerEEEEE10hipError_tT0_T1_T2_jT3_P12ihipStream_tbPNSt15iterator_traitsISK_E10value_typeEPNSQ_ISL_E10value_typeEPSM_NS1_7vsmem_tEENKUlT_SK_SL_SM_E_clISE_PtSF_SF_EESJ_SZ_SK_SL_SM_EUlSZ_E0_NS1_11comp_targetILNS1_3genE8ELNS1_11target_archE1030ELNS1_3gpuE2ELNS1_3repE0EEENS1_38merge_mergepath_config_static_selectorELNS0_4arch9wavefront6targetE1EEEvSL_,comdat
.Lfunc_end1302:
	.size	_ZN7rocprim17ROCPRIM_400000_NS6detail17trampoline_kernelINS0_14default_configENS1_38merge_sort_block_merge_config_selectorItNS0_10empty_typeEEEZZNS1_27merge_sort_block_merge_implIS3_N6thrust23THRUST_200600_302600_NS6detail15normal_iteratorINS9_10device_ptrItEEEEPS5_jNS1_19radix_merge_compareILb0ELb1EtNS0_19identity_decomposerEEEEE10hipError_tT0_T1_T2_jT3_P12ihipStream_tbPNSt15iterator_traitsISK_E10value_typeEPNSQ_ISL_E10value_typeEPSM_NS1_7vsmem_tEENKUlT_SK_SL_SM_E_clISE_PtSF_SF_EESJ_SZ_SK_SL_SM_EUlSZ_E0_NS1_11comp_targetILNS1_3genE8ELNS1_11target_archE1030ELNS1_3gpuE2ELNS1_3repE0EEENS1_38merge_mergepath_config_static_selectorELNS0_4arch9wavefront6targetE1EEEvSL_, .Lfunc_end1302-_ZN7rocprim17ROCPRIM_400000_NS6detail17trampoline_kernelINS0_14default_configENS1_38merge_sort_block_merge_config_selectorItNS0_10empty_typeEEEZZNS1_27merge_sort_block_merge_implIS3_N6thrust23THRUST_200600_302600_NS6detail15normal_iteratorINS9_10device_ptrItEEEEPS5_jNS1_19radix_merge_compareILb0ELb1EtNS0_19identity_decomposerEEEEE10hipError_tT0_T1_T2_jT3_P12ihipStream_tbPNSt15iterator_traitsISK_E10value_typeEPNSQ_ISL_E10value_typeEPSM_NS1_7vsmem_tEENKUlT_SK_SL_SM_E_clISE_PtSF_SF_EESJ_SZ_SK_SL_SM_EUlSZ_E0_NS1_11comp_targetILNS1_3genE8ELNS1_11target_archE1030ELNS1_3gpuE2ELNS1_3repE0EEENS1_38merge_mergepath_config_static_selectorELNS0_4arch9wavefront6targetE1EEEvSL_
                                        ; -- End function
	.section	.AMDGPU.csdata,"",@progbits
; Kernel info:
; codeLenInByte = 0
; NumSgprs: 4
; NumVgprs: 0
; NumAgprs: 0
; TotalNumVgprs: 0
; ScratchSize: 0
; MemoryBound: 0
; FloatMode: 240
; IeeeMode: 1
; LDSByteSize: 0 bytes/workgroup (compile time only)
; SGPRBlocks: 0
; VGPRBlocks: 0
; NumSGPRsForWavesPerEU: 4
; NumVGPRsForWavesPerEU: 1
; AccumOffset: 4
; Occupancy: 8
; WaveLimiterHint : 0
; COMPUTE_PGM_RSRC2:SCRATCH_EN: 0
; COMPUTE_PGM_RSRC2:USER_SGPR: 6
; COMPUTE_PGM_RSRC2:TRAP_HANDLER: 0
; COMPUTE_PGM_RSRC2:TGID_X_EN: 1
; COMPUTE_PGM_RSRC2:TGID_Y_EN: 0
; COMPUTE_PGM_RSRC2:TGID_Z_EN: 0
; COMPUTE_PGM_RSRC2:TIDIG_COMP_CNT: 0
; COMPUTE_PGM_RSRC3_GFX90A:ACCUM_OFFSET: 0
; COMPUTE_PGM_RSRC3_GFX90A:TG_SPLIT: 0
	.section	.text._ZN7rocprim17ROCPRIM_400000_NS6detail17trampoline_kernelINS0_14default_configENS1_38merge_sort_block_merge_config_selectorItNS0_10empty_typeEEEZZNS1_27merge_sort_block_merge_implIS3_N6thrust23THRUST_200600_302600_NS6detail15normal_iteratorINS9_10device_ptrItEEEEPS5_jNS1_19radix_merge_compareILb0ELb1EtNS0_19identity_decomposerEEEEE10hipError_tT0_T1_T2_jT3_P12ihipStream_tbPNSt15iterator_traitsISK_E10value_typeEPNSQ_ISL_E10value_typeEPSM_NS1_7vsmem_tEENKUlT_SK_SL_SM_E_clISE_PtSF_SF_EESJ_SZ_SK_SL_SM_EUlSZ_E1_NS1_11comp_targetILNS1_3genE0ELNS1_11target_archE4294967295ELNS1_3gpuE0ELNS1_3repE0EEENS1_36merge_oddeven_config_static_selectorELNS0_4arch9wavefront6targetE1EEEvSL_,"axG",@progbits,_ZN7rocprim17ROCPRIM_400000_NS6detail17trampoline_kernelINS0_14default_configENS1_38merge_sort_block_merge_config_selectorItNS0_10empty_typeEEEZZNS1_27merge_sort_block_merge_implIS3_N6thrust23THRUST_200600_302600_NS6detail15normal_iteratorINS9_10device_ptrItEEEEPS5_jNS1_19radix_merge_compareILb0ELb1EtNS0_19identity_decomposerEEEEE10hipError_tT0_T1_T2_jT3_P12ihipStream_tbPNSt15iterator_traitsISK_E10value_typeEPNSQ_ISL_E10value_typeEPSM_NS1_7vsmem_tEENKUlT_SK_SL_SM_E_clISE_PtSF_SF_EESJ_SZ_SK_SL_SM_EUlSZ_E1_NS1_11comp_targetILNS1_3genE0ELNS1_11target_archE4294967295ELNS1_3gpuE0ELNS1_3repE0EEENS1_36merge_oddeven_config_static_selectorELNS0_4arch9wavefront6targetE1EEEvSL_,comdat
	.protected	_ZN7rocprim17ROCPRIM_400000_NS6detail17trampoline_kernelINS0_14default_configENS1_38merge_sort_block_merge_config_selectorItNS0_10empty_typeEEEZZNS1_27merge_sort_block_merge_implIS3_N6thrust23THRUST_200600_302600_NS6detail15normal_iteratorINS9_10device_ptrItEEEEPS5_jNS1_19radix_merge_compareILb0ELb1EtNS0_19identity_decomposerEEEEE10hipError_tT0_T1_T2_jT3_P12ihipStream_tbPNSt15iterator_traitsISK_E10value_typeEPNSQ_ISL_E10value_typeEPSM_NS1_7vsmem_tEENKUlT_SK_SL_SM_E_clISE_PtSF_SF_EESJ_SZ_SK_SL_SM_EUlSZ_E1_NS1_11comp_targetILNS1_3genE0ELNS1_11target_archE4294967295ELNS1_3gpuE0ELNS1_3repE0EEENS1_36merge_oddeven_config_static_selectorELNS0_4arch9wavefront6targetE1EEEvSL_ ; -- Begin function _ZN7rocprim17ROCPRIM_400000_NS6detail17trampoline_kernelINS0_14default_configENS1_38merge_sort_block_merge_config_selectorItNS0_10empty_typeEEEZZNS1_27merge_sort_block_merge_implIS3_N6thrust23THRUST_200600_302600_NS6detail15normal_iteratorINS9_10device_ptrItEEEEPS5_jNS1_19radix_merge_compareILb0ELb1EtNS0_19identity_decomposerEEEEE10hipError_tT0_T1_T2_jT3_P12ihipStream_tbPNSt15iterator_traitsISK_E10value_typeEPNSQ_ISL_E10value_typeEPSM_NS1_7vsmem_tEENKUlT_SK_SL_SM_E_clISE_PtSF_SF_EESJ_SZ_SK_SL_SM_EUlSZ_E1_NS1_11comp_targetILNS1_3genE0ELNS1_11target_archE4294967295ELNS1_3gpuE0ELNS1_3repE0EEENS1_36merge_oddeven_config_static_selectorELNS0_4arch9wavefront6targetE1EEEvSL_
	.globl	_ZN7rocprim17ROCPRIM_400000_NS6detail17trampoline_kernelINS0_14default_configENS1_38merge_sort_block_merge_config_selectorItNS0_10empty_typeEEEZZNS1_27merge_sort_block_merge_implIS3_N6thrust23THRUST_200600_302600_NS6detail15normal_iteratorINS9_10device_ptrItEEEEPS5_jNS1_19radix_merge_compareILb0ELb1EtNS0_19identity_decomposerEEEEE10hipError_tT0_T1_T2_jT3_P12ihipStream_tbPNSt15iterator_traitsISK_E10value_typeEPNSQ_ISL_E10value_typeEPSM_NS1_7vsmem_tEENKUlT_SK_SL_SM_E_clISE_PtSF_SF_EESJ_SZ_SK_SL_SM_EUlSZ_E1_NS1_11comp_targetILNS1_3genE0ELNS1_11target_archE4294967295ELNS1_3gpuE0ELNS1_3repE0EEENS1_36merge_oddeven_config_static_selectorELNS0_4arch9wavefront6targetE1EEEvSL_
	.p2align	8
	.type	_ZN7rocprim17ROCPRIM_400000_NS6detail17trampoline_kernelINS0_14default_configENS1_38merge_sort_block_merge_config_selectorItNS0_10empty_typeEEEZZNS1_27merge_sort_block_merge_implIS3_N6thrust23THRUST_200600_302600_NS6detail15normal_iteratorINS9_10device_ptrItEEEEPS5_jNS1_19radix_merge_compareILb0ELb1EtNS0_19identity_decomposerEEEEE10hipError_tT0_T1_T2_jT3_P12ihipStream_tbPNSt15iterator_traitsISK_E10value_typeEPNSQ_ISL_E10value_typeEPSM_NS1_7vsmem_tEENKUlT_SK_SL_SM_E_clISE_PtSF_SF_EESJ_SZ_SK_SL_SM_EUlSZ_E1_NS1_11comp_targetILNS1_3genE0ELNS1_11target_archE4294967295ELNS1_3gpuE0ELNS1_3repE0EEENS1_36merge_oddeven_config_static_selectorELNS0_4arch9wavefront6targetE1EEEvSL_,@function
_ZN7rocprim17ROCPRIM_400000_NS6detail17trampoline_kernelINS0_14default_configENS1_38merge_sort_block_merge_config_selectorItNS0_10empty_typeEEEZZNS1_27merge_sort_block_merge_implIS3_N6thrust23THRUST_200600_302600_NS6detail15normal_iteratorINS9_10device_ptrItEEEEPS5_jNS1_19radix_merge_compareILb0ELb1EtNS0_19identity_decomposerEEEEE10hipError_tT0_T1_T2_jT3_P12ihipStream_tbPNSt15iterator_traitsISK_E10value_typeEPNSQ_ISL_E10value_typeEPSM_NS1_7vsmem_tEENKUlT_SK_SL_SM_E_clISE_PtSF_SF_EESJ_SZ_SK_SL_SM_EUlSZ_E1_NS1_11comp_targetILNS1_3genE0ELNS1_11target_archE4294967295ELNS1_3gpuE0ELNS1_3repE0EEENS1_36merge_oddeven_config_static_selectorELNS0_4arch9wavefront6targetE1EEEvSL_: ; @_ZN7rocprim17ROCPRIM_400000_NS6detail17trampoline_kernelINS0_14default_configENS1_38merge_sort_block_merge_config_selectorItNS0_10empty_typeEEEZZNS1_27merge_sort_block_merge_implIS3_N6thrust23THRUST_200600_302600_NS6detail15normal_iteratorINS9_10device_ptrItEEEEPS5_jNS1_19radix_merge_compareILb0ELb1EtNS0_19identity_decomposerEEEEE10hipError_tT0_T1_T2_jT3_P12ihipStream_tbPNSt15iterator_traitsISK_E10value_typeEPNSQ_ISL_E10value_typeEPSM_NS1_7vsmem_tEENKUlT_SK_SL_SM_E_clISE_PtSF_SF_EESJ_SZ_SK_SL_SM_EUlSZ_E1_NS1_11comp_targetILNS1_3genE0ELNS1_11target_archE4294967295ELNS1_3gpuE0ELNS1_3repE0EEENS1_36merge_oddeven_config_static_selectorELNS0_4arch9wavefront6targetE1EEEvSL_
; %bb.0:
	.section	.rodata,"a",@progbits
	.p2align	6, 0x0
	.amdhsa_kernel _ZN7rocprim17ROCPRIM_400000_NS6detail17trampoline_kernelINS0_14default_configENS1_38merge_sort_block_merge_config_selectorItNS0_10empty_typeEEEZZNS1_27merge_sort_block_merge_implIS3_N6thrust23THRUST_200600_302600_NS6detail15normal_iteratorINS9_10device_ptrItEEEEPS5_jNS1_19radix_merge_compareILb0ELb1EtNS0_19identity_decomposerEEEEE10hipError_tT0_T1_T2_jT3_P12ihipStream_tbPNSt15iterator_traitsISK_E10value_typeEPNSQ_ISL_E10value_typeEPSM_NS1_7vsmem_tEENKUlT_SK_SL_SM_E_clISE_PtSF_SF_EESJ_SZ_SK_SL_SM_EUlSZ_E1_NS1_11comp_targetILNS1_3genE0ELNS1_11target_archE4294967295ELNS1_3gpuE0ELNS1_3repE0EEENS1_36merge_oddeven_config_static_selectorELNS0_4arch9wavefront6targetE1EEEvSL_
		.amdhsa_group_segment_fixed_size 0
		.amdhsa_private_segment_fixed_size 0
		.amdhsa_kernarg_size 48
		.amdhsa_user_sgpr_count 6
		.amdhsa_user_sgpr_private_segment_buffer 1
		.amdhsa_user_sgpr_dispatch_ptr 0
		.amdhsa_user_sgpr_queue_ptr 0
		.amdhsa_user_sgpr_kernarg_segment_ptr 1
		.amdhsa_user_sgpr_dispatch_id 0
		.amdhsa_user_sgpr_flat_scratch_init 0
		.amdhsa_user_sgpr_kernarg_preload_length 0
		.amdhsa_user_sgpr_kernarg_preload_offset 0
		.amdhsa_user_sgpr_private_segment_size 0
		.amdhsa_uses_dynamic_stack 0
		.amdhsa_system_sgpr_private_segment_wavefront_offset 0
		.amdhsa_system_sgpr_workgroup_id_x 1
		.amdhsa_system_sgpr_workgroup_id_y 0
		.amdhsa_system_sgpr_workgroup_id_z 0
		.amdhsa_system_sgpr_workgroup_info 0
		.amdhsa_system_vgpr_workitem_id 0
		.amdhsa_next_free_vgpr 1
		.amdhsa_next_free_sgpr 0
		.amdhsa_accum_offset 4
		.amdhsa_reserve_vcc 0
		.amdhsa_reserve_flat_scratch 0
		.amdhsa_float_round_mode_32 0
		.amdhsa_float_round_mode_16_64 0
		.amdhsa_float_denorm_mode_32 3
		.amdhsa_float_denorm_mode_16_64 3
		.amdhsa_dx10_clamp 1
		.amdhsa_ieee_mode 1
		.amdhsa_fp16_overflow 0
		.amdhsa_tg_split 0
		.amdhsa_exception_fp_ieee_invalid_op 0
		.amdhsa_exception_fp_denorm_src 0
		.amdhsa_exception_fp_ieee_div_zero 0
		.amdhsa_exception_fp_ieee_overflow 0
		.amdhsa_exception_fp_ieee_underflow 0
		.amdhsa_exception_fp_ieee_inexact 0
		.amdhsa_exception_int_div_zero 0
	.end_amdhsa_kernel
	.section	.text._ZN7rocprim17ROCPRIM_400000_NS6detail17trampoline_kernelINS0_14default_configENS1_38merge_sort_block_merge_config_selectorItNS0_10empty_typeEEEZZNS1_27merge_sort_block_merge_implIS3_N6thrust23THRUST_200600_302600_NS6detail15normal_iteratorINS9_10device_ptrItEEEEPS5_jNS1_19radix_merge_compareILb0ELb1EtNS0_19identity_decomposerEEEEE10hipError_tT0_T1_T2_jT3_P12ihipStream_tbPNSt15iterator_traitsISK_E10value_typeEPNSQ_ISL_E10value_typeEPSM_NS1_7vsmem_tEENKUlT_SK_SL_SM_E_clISE_PtSF_SF_EESJ_SZ_SK_SL_SM_EUlSZ_E1_NS1_11comp_targetILNS1_3genE0ELNS1_11target_archE4294967295ELNS1_3gpuE0ELNS1_3repE0EEENS1_36merge_oddeven_config_static_selectorELNS0_4arch9wavefront6targetE1EEEvSL_,"axG",@progbits,_ZN7rocprim17ROCPRIM_400000_NS6detail17trampoline_kernelINS0_14default_configENS1_38merge_sort_block_merge_config_selectorItNS0_10empty_typeEEEZZNS1_27merge_sort_block_merge_implIS3_N6thrust23THRUST_200600_302600_NS6detail15normal_iteratorINS9_10device_ptrItEEEEPS5_jNS1_19radix_merge_compareILb0ELb1EtNS0_19identity_decomposerEEEEE10hipError_tT0_T1_T2_jT3_P12ihipStream_tbPNSt15iterator_traitsISK_E10value_typeEPNSQ_ISL_E10value_typeEPSM_NS1_7vsmem_tEENKUlT_SK_SL_SM_E_clISE_PtSF_SF_EESJ_SZ_SK_SL_SM_EUlSZ_E1_NS1_11comp_targetILNS1_3genE0ELNS1_11target_archE4294967295ELNS1_3gpuE0ELNS1_3repE0EEENS1_36merge_oddeven_config_static_selectorELNS0_4arch9wavefront6targetE1EEEvSL_,comdat
.Lfunc_end1303:
	.size	_ZN7rocprim17ROCPRIM_400000_NS6detail17trampoline_kernelINS0_14default_configENS1_38merge_sort_block_merge_config_selectorItNS0_10empty_typeEEEZZNS1_27merge_sort_block_merge_implIS3_N6thrust23THRUST_200600_302600_NS6detail15normal_iteratorINS9_10device_ptrItEEEEPS5_jNS1_19radix_merge_compareILb0ELb1EtNS0_19identity_decomposerEEEEE10hipError_tT0_T1_T2_jT3_P12ihipStream_tbPNSt15iterator_traitsISK_E10value_typeEPNSQ_ISL_E10value_typeEPSM_NS1_7vsmem_tEENKUlT_SK_SL_SM_E_clISE_PtSF_SF_EESJ_SZ_SK_SL_SM_EUlSZ_E1_NS1_11comp_targetILNS1_3genE0ELNS1_11target_archE4294967295ELNS1_3gpuE0ELNS1_3repE0EEENS1_36merge_oddeven_config_static_selectorELNS0_4arch9wavefront6targetE1EEEvSL_, .Lfunc_end1303-_ZN7rocprim17ROCPRIM_400000_NS6detail17trampoline_kernelINS0_14default_configENS1_38merge_sort_block_merge_config_selectorItNS0_10empty_typeEEEZZNS1_27merge_sort_block_merge_implIS3_N6thrust23THRUST_200600_302600_NS6detail15normal_iteratorINS9_10device_ptrItEEEEPS5_jNS1_19radix_merge_compareILb0ELb1EtNS0_19identity_decomposerEEEEE10hipError_tT0_T1_T2_jT3_P12ihipStream_tbPNSt15iterator_traitsISK_E10value_typeEPNSQ_ISL_E10value_typeEPSM_NS1_7vsmem_tEENKUlT_SK_SL_SM_E_clISE_PtSF_SF_EESJ_SZ_SK_SL_SM_EUlSZ_E1_NS1_11comp_targetILNS1_3genE0ELNS1_11target_archE4294967295ELNS1_3gpuE0ELNS1_3repE0EEENS1_36merge_oddeven_config_static_selectorELNS0_4arch9wavefront6targetE1EEEvSL_
                                        ; -- End function
	.section	.AMDGPU.csdata,"",@progbits
; Kernel info:
; codeLenInByte = 0
; NumSgprs: 4
; NumVgprs: 0
; NumAgprs: 0
; TotalNumVgprs: 0
; ScratchSize: 0
; MemoryBound: 0
; FloatMode: 240
; IeeeMode: 1
; LDSByteSize: 0 bytes/workgroup (compile time only)
; SGPRBlocks: 0
; VGPRBlocks: 0
; NumSGPRsForWavesPerEU: 4
; NumVGPRsForWavesPerEU: 1
; AccumOffset: 4
; Occupancy: 8
; WaveLimiterHint : 0
; COMPUTE_PGM_RSRC2:SCRATCH_EN: 0
; COMPUTE_PGM_RSRC2:USER_SGPR: 6
; COMPUTE_PGM_RSRC2:TRAP_HANDLER: 0
; COMPUTE_PGM_RSRC2:TGID_X_EN: 1
; COMPUTE_PGM_RSRC2:TGID_Y_EN: 0
; COMPUTE_PGM_RSRC2:TGID_Z_EN: 0
; COMPUTE_PGM_RSRC2:TIDIG_COMP_CNT: 0
; COMPUTE_PGM_RSRC3_GFX90A:ACCUM_OFFSET: 0
; COMPUTE_PGM_RSRC3_GFX90A:TG_SPLIT: 0
	.section	.text._ZN7rocprim17ROCPRIM_400000_NS6detail17trampoline_kernelINS0_14default_configENS1_38merge_sort_block_merge_config_selectorItNS0_10empty_typeEEEZZNS1_27merge_sort_block_merge_implIS3_N6thrust23THRUST_200600_302600_NS6detail15normal_iteratorINS9_10device_ptrItEEEEPS5_jNS1_19radix_merge_compareILb0ELb1EtNS0_19identity_decomposerEEEEE10hipError_tT0_T1_T2_jT3_P12ihipStream_tbPNSt15iterator_traitsISK_E10value_typeEPNSQ_ISL_E10value_typeEPSM_NS1_7vsmem_tEENKUlT_SK_SL_SM_E_clISE_PtSF_SF_EESJ_SZ_SK_SL_SM_EUlSZ_E1_NS1_11comp_targetILNS1_3genE10ELNS1_11target_archE1201ELNS1_3gpuE5ELNS1_3repE0EEENS1_36merge_oddeven_config_static_selectorELNS0_4arch9wavefront6targetE1EEEvSL_,"axG",@progbits,_ZN7rocprim17ROCPRIM_400000_NS6detail17trampoline_kernelINS0_14default_configENS1_38merge_sort_block_merge_config_selectorItNS0_10empty_typeEEEZZNS1_27merge_sort_block_merge_implIS3_N6thrust23THRUST_200600_302600_NS6detail15normal_iteratorINS9_10device_ptrItEEEEPS5_jNS1_19radix_merge_compareILb0ELb1EtNS0_19identity_decomposerEEEEE10hipError_tT0_T1_T2_jT3_P12ihipStream_tbPNSt15iterator_traitsISK_E10value_typeEPNSQ_ISL_E10value_typeEPSM_NS1_7vsmem_tEENKUlT_SK_SL_SM_E_clISE_PtSF_SF_EESJ_SZ_SK_SL_SM_EUlSZ_E1_NS1_11comp_targetILNS1_3genE10ELNS1_11target_archE1201ELNS1_3gpuE5ELNS1_3repE0EEENS1_36merge_oddeven_config_static_selectorELNS0_4arch9wavefront6targetE1EEEvSL_,comdat
	.protected	_ZN7rocprim17ROCPRIM_400000_NS6detail17trampoline_kernelINS0_14default_configENS1_38merge_sort_block_merge_config_selectorItNS0_10empty_typeEEEZZNS1_27merge_sort_block_merge_implIS3_N6thrust23THRUST_200600_302600_NS6detail15normal_iteratorINS9_10device_ptrItEEEEPS5_jNS1_19radix_merge_compareILb0ELb1EtNS0_19identity_decomposerEEEEE10hipError_tT0_T1_T2_jT3_P12ihipStream_tbPNSt15iterator_traitsISK_E10value_typeEPNSQ_ISL_E10value_typeEPSM_NS1_7vsmem_tEENKUlT_SK_SL_SM_E_clISE_PtSF_SF_EESJ_SZ_SK_SL_SM_EUlSZ_E1_NS1_11comp_targetILNS1_3genE10ELNS1_11target_archE1201ELNS1_3gpuE5ELNS1_3repE0EEENS1_36merge_oddeven_config_static_selectorELNS0_4arch9wavefront6targetE1EEEvSL_ ; -- Begin function _ZN7rocprim17ROCPRIM_400000_NS6detail17trampoline_kernelINS0_14default_configENS1_38merge_sort_block_merge_config_selectorItNS0_10empty_typeEEEZZNS1_27merge_sort_block_merge_implIS3_N6thrust23THRUST_200600_302600_NS6detail15normal_iteratorINS9_10device_ptrItEEEEPS5_jNS1_19radix_merge_compareILb0ELb1EtNS0_19identity_decomposerEEEEE10hipError_tT0_T1_T2_jT3_P12ihipStream_tbPNSt15iterator_traitsISK_E10value_typeEPNSQ_ISL_E10value_typeEPSM_NS1_7vsmem_tEENKUlT_SK_SL_SM_E_clISE_PtSF_SF_EESJ_SZ_SK_SL_SM_EUlSZ_E1_NS1_11comp_targetILNS1_3genE10ELNS1_11target_archE1201ELNS1_3gpuE5ELNS1_3repE0EEENS1_36merge_oddeven_config_static_selectorELNS0_4arch9wavefront6targetE1EEEvSL_
	.globl	_ZN7rocprim17ROCPRIM_400000_NS6detail17trampoline_kernelINS0_14default_configENS1_38merge_sort_block_merge_config_selectorItNS0_10empty_typeEEEZZNS1_27merge_sort_block_merge_implIS3_N6thrust23THRUST_200600_302600_NS6detail15normal_iteratorINS9_10device_ptrItEEEEPS5_jNS1_19radix_merge_compareILb0ELb1EtNS0_19identity_decomposerEEEEE10hipError_tT0_T1_T2_jT3_P12ihipStream_tbPNSt15iterator_traitsISK_E10value_typeEPNSQ_ISL_E10value_typeEPSM_NS1_7vsmem_tEENKUlT_SK_SL_SM_E_clISE_PtSF_SF_EESJ_SZ_SK_SL_SM_EUlSZ_E1_NS1_11comp_targetILNS1_3genE10ELNS1_11target_archE1201ELNS1_3gpuE5ELNS1_3repE0EEENS1_36merge_oddeven_config_static_selectorELNS0_4arch9wavefront6targetE1EEEvSL_
	.p2align	8
	.type	_ZN7rocprim17ROCPRIM_400000_NS6detail17trampoline_kernelINS0_14default_configENS1_38merge_sort_block_merge_config_selectorItNS0_10empty_typeEEEZZNS1_27merge_sort_block_merge_implIS3_N6thrust23THRUST_200600_302600_NS6detail15normal_iteratorINS9_10device_ptrItEEEEPS5_jNS1_19radix_merge_compareILb0ELb1EtNS0_19identity_decomposerEEEEE10hipError_tT0_T1_T2_jT3_P12ihipStream_tbPNSt15iterator_traitsISK_E10value_typeEPNSQ_ISL_E10value_typeEPSM_NS1_7vsmem_tEENKUlT_SK_SL_SM_E_clISE_PtSF_SF_EESJ_SZ_SK_SL_SM_EUlSZ_E1_NS1_11comp_targetILNS1_3genE10ELNS1_11target_archE1201ELNS1_3gpuE5ELNS1_3repE0EEENS1_36merge_oddeven_config_static_selectorELNS0_4arch9wavefront6targetE1EEEvSL_,@function
_ZN7rocprim17ROCPRIM_400000_NS6detail17trampoline_kernelINS0_14default_configENS1_38merge_sort_block_merge_config_selectorItNS0_10empty_typeEEEZZNS1_27merge_sort_block_merge_implIS3_N6thrust23THRUST_200600_302600_NS6detail15normal_iteratorINS9_10device_ptrItEEEEPS5_jNS1_19radix_merge_compareILb0ELb1EtNS0_19identity_decomposerEEEEE10hipError_tT0_T1_T2_jT3_P12ihipStream_tbPNSt15iterator_traitsISK_E10value_typeEPNSQ_ISL_E10value_typeEPSM_NS1_7vsmem_tEENKUlT_SK_SL_SM_E_clISE_PtSF_SF_EESJ_SZ_SK_SL_SM_EUlSZ_E1_NS1_11comp_targetILNS1_3genE10ELNS1_11target_archE1201ELNS1_3gpuE5ELNS1_3repE0EEENS1_36merge_oddeven_config_static_selectorELNS0_4arch9wavefront6targetE1EEEvSL_: ; @_ZN7rocprim17ROCPRIM_400000_NS6detail17trampoline_kernelINS0_14default_configENS1_38merge_sort_block_merge_config_selectorItNS0_10empty_typeEEEZZNS1_27merge_sort_block_merge_implIS3_N6thrust23THRUST_200600_302600_NS6detail15normal_iteratorINS9_10device_ptrItEEEEPS5_jNS1_19radix_merge_compareILb0ELb1EtNS0_19identity_decomposerEEEEE10hipError_tT0_T1_T2_jT3_P12ihipStream_tbPNSt15iterator_traitsISK_E10value_typeEPNSQ_ISL_E10value_typeEPSM_NS1_7vsmem_tEENKUlT_SK_SL_SM_E_clISE_PtSF_SF_EESJ_SZ_SK_SL_SM_EUlSZ_E1_NS1_11comp_targetILNS1_3genE10ELNS1_11target_archE1201ELNS1_3gpuE5ELNS1_3repE0EEENS1_36merge_oddeven_config_static_selectorELNS0_4arch9wavefront6targetE1EEEvSL_
; %bb.0:
	.section	.rodata,"a",@progbits
	.p2align	6, 0x0
	.amdhsa_kernel _ZN7rocprim17ROCPRIM_400000_NS6detail17trampoline_kernelINS0_14default_configENS1_38merge_sort_block_merge_config_selectorItNS0_10empty_typeEEEZZNS1_27merge_sort_block_merge_implIS3_N6thrust23THRUST_200600_302600_NS6detail15normal_iteratorINS9_10device_ptrItEEEEPS5_jNS1_19radix_merge_compareILb0ELb1EtNS0_19identity_decomposerEEEEE10hipError_tT0_T1_T2_jT3_P12ihipStream_tbPNSt15iterator_traitsISK_E10value_typeEPNSQ_ISL_E10value_typeEPSM_NS1_7vsmem_tEENKUlT_SK_SL_SM_E_clISE_PtSF_SF_EESJ_SZ_SK_SL_SM_EUlSZ_E1_NS1_11comp_targetILNS1_3genE10ELNS1_11target_archE1201ELNS1_3gpuE5ELNS1_3repE0EEENS1_36merge_oddeven_config_static_selectorELNS0_4arch9wavefront6targetE1EEEvSL_
		.amdhsa_group_segment_fixed_size 0
		.amdhsa_private_segment_fixed_size 0
		.amdhsa_kernarg_size 48
		.amdhsa_user_sgpr_count 6
		.amdhsa_user_sgpr_private_segment_buffer 1
		.amdhsa_user_sgpr_dispatch_ptr 0
		.amdhsa_user_sgpr_queue_ptr 0
		.amdhsa_user_sgpr_kernarg_segment_ptr 1
		.amdhsa_user_sgpr_dispatch_id 0
		.amdhsa_user_sgpr_flat_scratch_init 0
		.amdhsa_user_sgpr_kernarg_preload_length 0
		.amdhsa_user_sgpr_kernarg_preload_offset 0
		.amdhsa_user_sgpr_private_segment_size 0
		.amdhsa_uses_dynamic_stack 0
		.amdhsa_system_sgpr_private_segment_wavefront_offset 0
		.amdhsa_system_sgpr_workgroup_id_x 1
		.amdhsa_system_sgpr_workgroup_id_y 0
		.amdhsa_system_sgpr_workgroup_id_z 0
		.amdhsa_system_sgpr_workgroup_info 0
		.amdhsa_system_vgpr_workitem_id 0
		.amdhsa_next_free_vgpr 1
		.amdhsa_next_free_sgpr 0
		.amdhsa_accum_offset 4
		.amdhsa_reserve_vcc 0
		.amdhsa_reserve_flat_scratch 0
		.amdhsa_float_round_mode_32 0
		.amdhsa_float_round_mode_16_64 0
		.amdhsa_float_denorm_mode_32 3
		.amdhsa_float_denorm_mode_16_64 3
		.amdhsa_dx10_clamp 1
		.amdhsa_ieee_mode 1
		.amdhsa_fp16_overflow 0
		.amdhsa_tg_split 0
		.amdhsa_exception_fp_ieee_invalid_op 0
		.amdhsa_exception_fp_denorm_src 0
		.amdhsa_exception_fp_ieee_div_zero 0
		.amdhsa_exception_fp_ieee_overflow 0
		.amdhsa_exception_fp_ieee_underflow 0
		.amdhsa_exception_fp_ieee_inexact 0
		.amdhsa_exception_int_div_zero 0
	.end_amdhsa_kernel
	.section	.text._ZN7rocprim17ROCPRIM_400000_NS6detail17trampoline_kernelINS0_14default_configENS1_38merge_sort_block_merge_config_selectorItNS0_10empty_typeEEEZZNS1_27merge_sort_block_merge_implIS3_N6thrust23THRUST_200600_302600_NS6detail15normal_iteratorINS9_10device_ptrItEEEEPS5_jNS1_19radix_merge_compareILb0ELb1EtNS0_19identity_decomposerEEEEE10hipError_tT0_T1_T2_jT3_P12ihipStream_tbPNSt15iterator_traitsISK_E10value_typeEPNSQ_ISL_E10value_typeEPSM_NS1_7vsmem_tEENKUlT_SK_SL_SM_E_clISE_PtSF_SF_EESJ_SZ_SK_SL_SM_EUlSZ_E1_NS1_11comp_targetILNS1_3genE10ELNS1_11target_archE1201ELNS1_3gpuE5ELNS1_3repE0EEENS1_36merge_oddeven_config_static_selectorELNS0_4arch9wavefront6targetE1EEEvSL_,"axG",@progbits,_ZN7rocprim17ROCPRIM_400000_NS6detail17trampoline_kernelINS0_14default_configENS1_38merge_sort_block_merge_config_selectorItNS0_10empty_typeEEEZZNS1_27merge_sort_block_merge_implIS3_N6thrust23THRUST_200600_302600_NS6detail15normal_iteratorINS9_10device_ptrItEEEEPS5_jNS1_19radix_merge_compareILb0ELb1EtNS0_19identity_decomposerEEEEE10hipError_tT0_T1_T2_jT3_P12ihipStream_tbPNSt15iterator_traitsISK_E10value_typeEPNSQ_ISL_E10value_typeEPSM_NS1_7vsmem_tEENKUlT_SK_SL_SM_E_clISE_PtSF_SF_EESJ_SZ_SK_SL_SM_EUlSZ_E1_NS1_11comp_targetILNS1_3genE10ELNS1_11target_archE1201ELNS1_3gpuE5ELNS1_3repE0EEENS1_36merge_oddeven_config_static_selectorELNS0_4arch9wavefront6targetE1EEEvSL_,comdat
.Lfunc_end1304:
	.size	_ZN7rocprim17ROCPRIM_400000_NS6detail17trampoline_kernelINS0_14default_configENS1_38merge_sort_block_merge_config_selectorItNS0_10empty_typeEEEZZNS1_27merge_sort_block_merge_implIS3_N6thrust23THRUST_200600_302600_NS6detail15normal_iteratorINS9_10device_ptrItEEEEPS5_jNS1_19radix_merge_compareILb0ELb1EtNS0_19identity_decomposerEEEEE10hipError_tT0_T1_T2_jT3_P12ihipStream_tbPNSt15iterator_traitsISK_E10value_typeEPNSQ_ISL_E10value_typeEPSM_NS1_7vsmem_tEENKUlT_SK_SL_SM_E_clISE_PtSF_SF_EESJ_SZ_SK_SL_SM_EUlSZ_E1_NS1_11comp_targetILNS1_3genE10ELNS1_11target_archE1201ELNS1_3gpuE5ELNS1_3repE0EEENS1_36merge_oddeven_config_static_selectorELNS0_4arch9wavefront6targetE1EEEvSL_, .Lfunc_end1304-_ZN7rocprim17ROCPRIM_400000_NS6detail17trampoline_kernelINS0_14default_configENS1_38merge_sort_block_merge_config_selectorItNS0_10empty_typeEEEZZNS1_27merge_sort_block_merge_implIS3_N6thrust23THRUST_200600_302600_NS6detail15normal_iteratorINS9_10device_ptrItEEEEPS5_jNS1_19radix_merge_compareILb0ELb1EtNS0_19identity_decomposerEEEEE10hipError_tT0_T1_T2_jT3_P12ihipStream_tbPNSt15iterator_traitsISK_E10value_typeEPNSQ_ISL_E10value_typeEPSM_NS1_7vsmem_tEENKUlT_SK_SL_SM_E_clISE_PtSF_SF_EESJ_SZ_SK_SL_SM_EUlSZ_E1_NS1_11comp_targetILNS1_3genE10ELNS1_11target_archE1201ELNS1_3gpuE5ELNS1_3repE0EEENS1_36merge_oddeven_config_static_selectorELNS0_4arch9wavefront6targetE1EEEvSL_
                                        ; -- End function
	.section	.AMDGPU.csdata,"",@progbits
; Kernel info:
; codeLenInByte = 0
; NumSgprs: 4
; NumVgprs: 0
; NumAgprs: 0
; TotalNumVgprs: 0
; ScratchSize: 0
; MemoryBound: 0
; FloatMode: 240
; IeeeMode: 1
; LDSByteSize: 0 bytes/workgroup (compile time only)
; SGPRBlocks: 0
; VGPRBlocks: 0
; NumSGPRsForWavesPerEU: 4
; NumVGPRsForWavesPerEU: 1
; AccumOffset: 4
; Occupancy: 8
; WaveLimiterHint : 0
; COMPUTE_PGM_RSRC2:SCRATCH_EN: 0
; COMPUTE_PGM_RSRC2:USER_SGPR: 6
; COMPUTE_PGM_RSRC2:TRAP_HANDLER: 0
; COMPUTE_PGM_RSRC2:TGID_X_EN: 1
; COMPUTE_PGM_RSRC2:TGID_Y_EN: 0
; COMPUTE_PGM_RSRC2:TGID_Z_EN: 0
; COMPUTE_PGM_RSRC2:TIDIG_COMP_CNT: 0
; COMPUTE_PGM_RSRC3_GFX90A:ACCUM_OFFSET: 0
; COMPUTE_PGM_RSRC3_GFX90A:TG_SPLIT: 0
	.section	.text._ZN7rocprim17ROCPRIM_400000_NS6detail17trampoline_kernelINS0_14default_configENS1_38merge_sort_block_merge_config_selectorItNS0_10empty_typeEEEZZNS1_27merge_sort_block_merge_implIS3_N6thrust23THRUST_200600_302600_NS6detail15normal_iteratorINS9_10device_ptrItEEEEPS5_jNS1_19radix_merge_compareILb0ELb1EtNS0_19identity_decomposerEEEEE10hipError_tT0_T1_T2_jT3_P12ihipStream_tbPNSt15iterator_traitsISK_E10value_typeEPNSQ_ISL_E10value_typeEPSM_NS1_7vsmem_tEENKUlT_SK_SL_SM_E_clISE_PtSF_SF_EESJ_SZ_SK_SL_SM_EUlSZ_E1_NS1_11comp_targetILNS1_3genE5ELNS1_11target_archE942ELNS1_3gpuE9ELNS1_3repE0EEENS1_36merge_oddeven_config_static_selectorELNS0_4arch9wavefront6targetE1EEEvSL_,"axG",@progbits,_ZN7rocprim17ROCPRIM_400000_NS6detail17trampoline_kernelINS0_14default_configENS1_38merge_sort_block_merge_config_selectorItNS0_10empty_typeEEEZZNS1_27merge_sort_block_merge_implIS3_N6thrust23THRUST_200600_302600_NS6detail15normal_iteratorINS9_10device_ptrItEEEEPS5_jNS1_19radix_merge_compareILb0ELb1EtNS0_19identity_decomposerEEEEE10hipError_tT0_T1_T2_jT3_P12ihipStream_tbPNSt15iterator_traitsISK_E10value_typeEPNSQ_ISL_E10value_typeEPSM_NS1_7vsmem_tEENKUlT_SK_SL_SM_E_clISE_PtSF_SF_EESJ_SZ_SK_SL_SM_EUlSZ_E1_NS1_11comp_targetILNS1_3genE5ELNS1_11target_archE942ELNS1_3gpuE9ELNS1_3repE0EEENS1_36merge_oddeven_config_static_selectorELNS0_4arch9wavefront6targetE1EEEvSL_,comdat
	.protected	_ZN7rocprim17ROCPRIM_400000_NS6detail17trampoline_kernelINS0_14default_configENS1_38merge_sort_block_merge_config_selectorItNS0_10empty_typeEEEZZNS1_27merge_sort_block_merge_implIS3_N6thrust23THRUST_200600_302600_NS6detail15normal_iteratorINS9_10device_ptrItEEEEPS5_jNS1_19radix_merge_compareILb0ELb1EtNS0_19identity_decomposerEEEEE10hipError_tT0_T1_T2_jT3_P12ihipStream_tbPNSt15iterator_traitsISK_E10value_typeEPNSQ_ISL_E10value_typeEPSM_NS1_7vsmem_tEENKUlT_SK_SL_SM_E_clISE_PtSF_SF_EESJ_SZ_SK_SL_SM_EUlSZ_E1_NS1_11comp_targetILNS1_3genE5ELNS1_11target_archE942ELNS1_3gpuE9ELNS1_3repE0EEENS1_36merge_oddeven_config_static_selectorELNS0_4arch9wavefront6targetE1EEEvSL_ ; -- Begin function _ZN7rocprim17ROCPRIM_400000_NS6detail17trampoline_kernelINS0_14default_configENS1_38merge_sort_block_merge_config_selectorItNS0_10empty_typeEEEZZNS1_27merge_sort_block_merge_implIS3_N6thrust23THRUST_200600_302600_NS6detail15normal_iteratorINS9_10device_ptrItEEEEPS5_jNS1_19radix_merge_compareILb0ELb1EtNS0_19identity_decomposerEEEEE10hipError_tT0_T1_T2_jT3_P12ihipStream_tbPNSt15iterator_traitsISK_E10value_typeEPNSQ_ISL_E10value_typeEPSM_NS1_7vsmem_tEENKUlT_SK_SL_SM_E_clISE_PtSF_SF_EESJ_SZ_SK_SL_SM_EUlSZ_E1_NS1_11comp_targetILNS1_3genE5ELNS1_11target_archE942ELNS1_3gpuE9ELNS1_3repE0EEENS1_36merge_oddeven_config_static_selectorELNS0_4arch9wavefront6targetE1EEEvSL_
	.globl	_ZN7rocprim17ROCPRIM_400000_NS6detail17trampoline_kernelINS0_14default_configENS1_38merge_sort_block_merge_config_selectorItNS0_10empty_typeEEEZZNS1_27merge_sort_block_merge_implIS3_N6thrust23THRUST_200600_302600_NS6detail15normal_iteratorINS9_10device_ptrItEEEEPS5_jNS1_19radix_merge_compareILb0ELb1EtNS0_19identity_decomposerEEEEE10hipError_tT0_T1_T2_jT3_P12ihipStream_tbPNSt15iterator_traitsISK_E10value_typeEPNSQ_ISL_E10value_typeEPSM_NS1_7vsmem_tEENKUlT_SK_SL_SM_E_clISE_PtSF_SF_EESJ_SZ_SK_SL_SM_EUlSZ_E1_NS1_11comp_targetILNS1_3genE5ELNS1_11target_archE942ELNS1_3gpuE9ELNS1_3repE0EEENS1_36merge_oddeven_config_static_selectorELNS0_4arch9wavefront6targetE1EEEvSL_
	.p2align	8
	.type	_ZN7rocprim17ROCPRIM_400000_NS6detail17trampoline_kernelINS0_14default_configENS1_38merge_sort_block_merge_config_selectorItNS0_10empty_typeEEEZZNS1_27merge_sort_block_merge_implIS3_N6thrust23THRUST_200600_302600_NS6detail15normal_iteratorINS9_10device_ptrItEEEEPS5_jNS1_19radix_merge_compareILb0ELb1EtNS0_19identity_decomposerEEEEE10hipError_tT0_T1_T2_jT3_P12ihipStream_tbPNSt15iterator_traitsISK_E10value_typeEPNSQ_ISL_E10value_typeEPSM_NS1_7vsmem_tEENKUlT_SK_SL_SM_E_clISE_PtSF_SF_EESJ_SZ_SK_SL_SM_EUlSZ_E1_NS1_11comp_targetILNS1_3genE5ELNS1_11target_archE942ELNS1_3gpuE9ELNS1_3repE0EEENS1_36merge_oddeven_config_static_selectorELNS0_4arch9wavefront6targetE1EEEvSL_,@function
_ZN7rocprim17ROCPRIM_400000_NS6detail17trampoline_kernelINS0_14default_configENS1_38merge_sort_block_merge_config_selectorItNS0_10empty_typeEEEZZNS1_27merge_sort_block_merge_implIS3_N6thrust23THRUST_200600_302600_NS6detail15normal_iteratorINS9_10device_ptrItEEEEPS5_jNS1_19radix_merge_compareILb0ELb1EtNS0_19identity_decomposerEEEEE10hipError_tT0_T1_T2_jT3_P12ihipStream_tbPNSt15iterator_traitsISK_E10value_typeEPNSQ_ISL_E10value_typeEPSM_NS1_7vsmem_tEENKUlT_SK_SL_SM_E_clISE_PtSF_SF_EESJ_SZ_SK_SL_SM_EUlSZ_E1_NS1_11comp_targetILNS1_3genE5ELNS1_11target_archE942ELNS1_3gpuE9ELNS1_3repE0EEENS1_36merge_oddeven_config_static_selectorELNS0_4arch9wavefront6targetE1EEEvSL_: ; @_ZN7rocprim17ROCPRIM_400000_NS6detail17trampoline_kernelINS0_14default_configENS1_38merge_sort_block_merge_config_selectorItNS0_10empty_typeEEEZZNS1_27merge_sort_block_merge_implIS3_N6thrust23THRUST_200600_302600_NS6detail15normal_iteratorINS9_10device_ptrItEEEEPS5_jNS1_19radix_merge_compareILb0ELb1EtNS0_19identity_decomposerEEEEE10hipError_tT0_T1_T2_jT3_P12ihipStream_tbPNSt15iterator_traitsISK_E10value_typeEPNSQ_ISL_E10value_typeEPSM_NS1_7vsmem_tEENKUlT_SK_SL_SM_E_clISE_PtSF_SF_EESJ_SZ_SK_SL_SM_EUlSZ_E1_NS1_11comp_targetILNS1_3genE5ELNS1_11target_archE942ELNS1_3gpuE9ELNS1_3repE0EEENS1_36merge_oddeven_config_static_selectorELNS0_4arch9wavefront6targetE1EEEvSL_
; %bb.0:
	.section	.rodata,"a",@progbits
	.p2align	6, 0x0
	.amdhsa_kernel _ZN7rocprim17ROCPRIM_400000_NS6detail17trampoline_kernelINS0_14default_configENS1_38merge_sort_block_merge_config_selectorItNS0_10empty_typeEEEZZNS1_27merge_sort_block_merge_implIS3_N6thrust23THRUST_200600_302600_NS6detail15normal_iteratorINS9_10device_ptrItEEEEPS5_jNS1_19radix_merge_compareILb0ELb1EtNS0_19identity_decomposerEEEEE10hipError_tT0_T1_T2_jT3_P12ihipStream_tbPNSt15iterator_traitsISK_E10value_typeEPNSQ_ISL_E10value_typeEPSM_NS1_7vsmem_tEENKUlT_SK_SL_SM_E_clISE_PtSF_SF_EESJ_SZ_SK_SL_SM_EUlSZ_E1_NS1_11comp_targetILNS1_3genE5ELNS1_11target_archE942ELNS1_3gpuE9ELNS1_3repE0EEENS1_36merge_oddeven_config_static_selectorELNS0_4arch9wavefront6targetE1EEEvSL_
		.amdhsa_group_segment_fixed_size 0
		.amdhsa_private_segment_fixed_size 0
		.amdhsa_kernarg_size 48
		.amdhsa_user_sgpr_count 6
		.amdhsa_user_sgpr_private_segment_buffer 1
		.amdhsa_user_sgpr_dispatch_ptr 0
		.amdhsa_user_sgpr_queue_ptr 0
		.amdhsa_user_sgpr_kernarg_segment_ptr 1
		.amdhsa_user_sgpr_dispatch_id 0
		.amdhsa_user_sgpr_flat_scratch_init 0
		.amdhsa_user_sgpr_kernarg_preload_length 0
		.amdhsa_user_sgpr_kernarg_preload_offset 0
		.amdhsa_user_sgpr_private_segment_size 0
		.amdhsa_uses_dynamic_stack 0
		.amdhsa_system_sgpr_private_segment_wavefront_offset 0
		.amdhsa_system_sgpr_workgroup_id_x 1
		.amdhsa_system_sgpr_workgroup_id_y 0
		.amdhsa_system_sgpr_workgroup_id_z 0
		.amdhsa_system_sgpr_workgroup_info 0
		.amdhsa_system_vgpr_workitem_id 0
		.amdhsa_next_free_vgpr 1
		.amdhsa_next_free_sgpr 0
		.amdhsa_accum_offset 4
		.amdhsa_reserve_vcc 0
		.amdhsa_reserve_flat_scratch 0
		.amdhsa_float_round_mode_32 0
		.amdhsa_float_round_mode_16_64 0
		.amdhsa_float_denorm_mode_32 3
		.amdhsa_float_denorm_mode_16_64 3
		.amdhsa_dx10_clamp 1
		.amdhsa_ieee_mode 1
		.amdhsa_fp16_overflow 0
		.amdhsa_tg_split 0
		.amdhsa_exception_fp_ieee_invalid_op 0
		.amdhsa_exception_fp_denorm_src 0
		.amdhsa_exception_fp_ieee_div_zero 0
		.amdhsa_exception_fp_ieee_overflow 0
		.amdhsa_exception_fp_ieee_underflow 0
		.amdhsa_exception_fp_ieee_inexact 0
		.amdhsa_exception_int_div_zero 0
	.end_amdhsa_kernel
	.section	.text._ZN7rocprim17ROCPRIM_400000_NS6detail17trampoline_kernelINS0_14default_configENS1_38merge_sort_block_merge_config_selectorItNS0_10empty_typeEEEZZNS1_27merge_sort_block_merge_implIS3_N6thrust23THRUST_200600_302600_NS6detail15normal_iteratorINS9_10device_ptrItEEEEPS5_jNS1_19radix_merge_compareILb0ELb1EtNS0_19identity_decomposerEEEEE10hipError_tT0_T1_T2_jT3_P12ihipStream_tbPNSt15iterator_traitsISK_E10value_typeEPNSQ_ISL_E10value_typeEPSM_NS1_7vsmem_tEENKUlT_SK_SL_SM_E_clISE_PtSF_SF_EESJ_SZ_SK_SL_SM_EUlSZ_E1_NS1_11comp_targetILNS1_3genE5ELNS1_11target_archE942ELNS1_3gpuE9ELNS1_3repE0EEENS1_36merge_oddeven_config_static_selectorELNS0_4arch9wavefront6targetE1EEEvSL_,"axG",@progbits,_ZN7rocprim17ROCPRIM_400000_NS6detail17trampoline_kernelINS0_14default_configENS1_38merge_sort_block_merge_config_selectorItNS0_10empty_typeEEEZZNS1_27merge_sort_block_merge_implIS3_N6thrust23THRUST_200600_302600_NS6detail15normal_iteratorINS9_10device_ptrItEEEEPS5_jNS1_19radix_merge_compareILb0ELb1EtNS0_19identity_decomposerEEEEE10hipError_tT0_T1_T2_jT3_P12ihipStream_tbPNSt15iterator_traitsISK_E10value_typeEPNSQ_ISL_E10value_typeEPSM_NS1_7vsmem_tEENKUlT_SK_SL_SM_E_clISE_PtSF_SF_EESJ_SZ_SK_SL_SM_EUlSZ_E1_NS1_11comp_targetILNS1_3genE5ELNS1_11target_archE942ELNS1_3gpuE9ELNS1_3repE0EEENS1_36merge_oddeven_config_static_selectorELNS0_4arch9wavefront6targetE1EEEvSL_,comdat
.Lfunc_end1305:
	.size	_ZN7rocprim17ROCPRIM_400000_NS6detail17trampoline_kernelINS0_14default_configENS1_38merge_sort_block_merge_config_selectorItNS0_10empty_typeEEEZZNS1_27merge_sort_block_merge_implIS3_N6thrust23THRUST_200600_302600_NS6detail15normal_iteratorINS9_10device_ptrItEEEEPS5_jNS1_19radix_merge_compareILb0ELb1EtNS0_19identity_decomposerEEEEE10hipError_tT0_T1_T2_jT3_P12ihipStream_tbPNSt15iterator_traitsISK_E10value_typeEPNSQ_ISL_E10value_typeEPSM_NS1_7vsmem_tEENKUlT_SK_SL_SM_E_clISE_PtSF_SF_EESJ_SZ_SK_SL_SM_EUlSZ_E1_NS1_11comp_targetILNS1_3genE5ELNS1_11target_archE942ELNS1_3gpuE9ELNS1_3repE0EEENS1_36merge_oddeven_config_static_selectorELNS0_4arch9wavefront6targetE1EEEvSL_, .Lfunc_end1305-_ZN7rocprim17ROCPRIM_400000_NS6detail17trampoline_kernelINS0_14default_configENS1_38merge_sort_block_merge_config_selectorItNS0_10empty_typeEEEZZNS1_27merge_sort_block_merge_implIS3_N6thrust23THRUST_200600_302600_NS6detail15normal_iteratorINS9_10device_ptrItEEEEPS5_jNS1_19radix_merge_compareILb0ELb1EtNS0_19identity_decomposerEEEEE10hipError_tT0_T1_T2_jT3_P12ihipStream_tbPNSt15iterator_traitsISK_E10value_typeEPNSQ_ISL_E10value_typeEPSM_NS1_7vsmem_tEENKUlT_SK_SL_SM_E_clISE_PtSF_SF_EESJ_SZ_SK_SL_SM_EUlSZ_E1_NS1_11comp_targetILNS1_3genE5ELNS1_11target_archE942ELNS1_3gpuE9ELNS1_3repE0EEENS1_36merge_oddeven_config_static_selectorELNS0_4arch9wavefront6targetE1EEEvSL_
                                        ; -- End function
	.section	.AMDGPU.csdata,"",@progbits
; Kernel info:
; codeLenInByte = 0
; NumSgprs: 4
; NumVgprs: 0
; NumAgprs: 0
; TotalNumVgprs: 0
; ScratchSize: 0
; MemoryBound: 0
; FloatMode: 240
; IeeeMode: 1
; LDSByteSize: 0 bytes/workgroup (compile time only)
; SGPRBlocks: 0
; VGPRBlocks: 0
; NumSGPRsForWavesPerEU: 4
; NumVGPRsForWavesPerEU: 1
; AccumOffset: 4
; Occupancy: 8
; WaveLimiterHint : 0
; COMPUTE_PGM_RSRC2:SCRATCH_EN: 0
; COMPUTE_PGM_RSRC2:USER_SGPR: 6
; COMPUTE_PGM_RSRC2:TRAP_HANDLER: 0
; COMPUTE_PGM_RSRC2:TGID_X_EN: 1
; COMPUTE_PGM_RSRC2:TGID_Y_EN: 0
; COMPUTE_PGM_RSRC2:TGID_Z_EN: 0
; COMPUTE_PGM_RSRC2:TIDIG_COMP_CNT: 0
; COMPUTE_PGM_RSRC3_GFX90A:ACCUM_OFFSET: 0
; COMPUTE_PGM_RSRC3_GFX90A:TG_SPLIT: 0
	.section	.text._ZN7rocprim17ROCPRIM_400000_NS6detail17trampoline_kernelINS0_14default_configENS1_38merge_sort_block_merge_config_selectorItNS0_10empty_typeEEEZZNS1_27merge_sort_block_merge_implIS3_N6thrust23THRUST_200600_302600_NS6detail15normal_iteratorINS9_10device_ptrItEEEEPS5_jNS1_19radix_merge_compareILb0ELb1EtNS0_19identity_decomposerEEEEE10hipError_tT0_T1_T2_jT3_P12ihipStream_tbPNSt15iterator_traitsISK_E10value_typeEPNSQ_ISL_E10value_typeEPSM_NS1_7vsmem_tEENKUlT_SK_SL_SM_E_clISE_PtSF_SF_EESJ_SZ_SK_SL_SM_EUlSZ_E1_NS1_11comp_targetILNS1_3genE4ELNS1_11target_archE910ELNS1_3gpuE8ELNS1_3repE0EEENS1_36merge_oddeven_config_static_selectorELNS0_4arch9wavefront6targetE1EEEvSL_,"axG",@progbits,_ZN7rocprim17ROCPRIM_400000_NS6detail17trampoline_kernelINS0_14default_configENS1_38merge_sort_block_merge_config_selectorItNS0_10empty_typeEEEZZNS1_27merge_sort_block_merge_implIS3_N6thrust23THRUST_200600_302600_NS6detail15normal_iteratorINS9_10device_ptrItEEEEPS5_jNS1_19radix_merge_compareILb0ELb1EtNS0_19identity_decomposerEEEEE10hipError_tT0_T1_T2_jT3_P12ihipStream_tbPNSt15iterator_traitsISK_E10value_typeEPNSQ_ISL_E10value_typeEPSM_NS1_7vsmem_tEENKUlT_SK_SL_SM_E_clISE_PtSF_SF_EESJ_SZ_SK_SL_SM_EUlSZ_E1_NS1_11comp_targetILNS1_3genE4ELNS1_11target_archE910ELNS1_3gpuE8ELNS1_3repE0EEENS1_36merge_oddeven_config_static_selectorELNS0_4arch9wavefront6targetE1EEEvSL_,comdat
	.protected	_ZN7rocprim17ROCPRIM_400000_NS6detail17trampoline_kernelINS0_14default_configENS1_38merge_sort_block_merge_config_selectorItNS0_10empty_typeEEEZZNS1_27merge_sort_block_merge_implIS3_N6thrust23THRUST_200600_302600_NS6detail15normal_iteratorINS9_10device_ptrItEEEEPS5_jNS1_19radix_merge_compareILb0ELb1EtNS0_19identity_decomposerEEEEE10hipError_tT0_T1_T2_jT3_P12ihipStream_tbPNSt15iterator_traitsISK_E10value_typeEPNSQ_ISL_E10value_typeEPSM_NS1_7vsmem_tEENKUlT_SK_SL_SM_E_clISE_PtSF_SF_EESJ_SZ_SK_SL_SM_EUlSZ_E1_NS1_11comp_targetILNS1_3genE4ELNS1_11target_archE910ELNS1_3gpuE8ELNS1_3repE0EEENS1_36merge_oddeven_config_static_selectorELNS0_4arch9wavefront6targetE1EEEvSL_ ; -- Begin function _ZN7rocprim17ROCPRIM_400000_NS6detail17trampoline_kernelINS0_14default_configENS1_38merge_sort_block_merge_config_selectorItNS0_10empty_typeEEEZZNS1_27merge_sort_block_merge_implIS3_N6thrust23THRUST_200600_302600_NS6detail15normal_iteratorINS9_10device_ptrItEEEEPS5_jNS1_19radix_merge_compareILb0ELb1EtNS0_19identity_decomposerEEEEE10hipError_tT0_T1_T2_jT3_P12ihipStream_tbPNSt15iterator_traitsISK_E10value_typeEPNSQ_ISL_E10value_typeEPSM_NS1_7vsmem_tEENKUlT_SK_SL_SM_E_clISE_PtSF_SF_EESJ_SZ_SK_SL_SM_EUlSZ_E1_NS1_11comp_targetILNS1_3genE4ELNS1_11target_archE910ELNS1_3gpuE8ELNS1_3repE0EEENS1_36merge_oddeven_config_static_selectorELNS0_4arch9wavefront6targetE1EEEvSL_
	.globl	_ZN7rocprim17ROCPRIM_400000_NS6detail17trampoline_kernelINS0_14default_configENS1_38merge_sort_block_merge_config_selectorItNS0_10empty_typeEEEZZNS1_27merge_sort_block_merge_implIS3_N6thrust23THRUST_200600_302600_NS6detail15normal_iteratorINS9_10device_ptrItEEEEPS5_jNS1_19radix_merge_compareILb0ELb1EtNS0_19identity_decomposerEEEEE10hipError_tT0_T1_T2_jT3_P12ihipStream_tbPNSt15iterator_traitsISK_E10value_typeEPNSQ_ISL_E10value_typeEPSM_NS1_7vsmem_tEENKUlT_SK_SL_SM_E_clISE_PtSF_SF_EESJ_SZ_SK_SL_SM_EUlSZ_E1_NS1_11comp_targetILNS1_3genE4ELNS1_11target_archE910ELNS1_3gpuE8ELNS1_3repE0EEENS1_36merge_oddeven_config_static_selectorELNS0_4arch9wavefront6targetE1EEEvSL_
	.p2align	8
	.type	_ZN7rocprim17ROCPRIM_400000_NS6detail17trampoline_kernelINS0_14default_configENS1_38merge_sort_block_merge_config_selectorItNS0_10empty_typeEEEZZNS1_27merge_sort_block_merge_implIS3_N6thrust23THRUST_200600_302600_NS6detail15normal_iteratorINS9_10device_ptrItEEEEPS5_jNS1_19radix_merge_compareILb0ELb1EtNS0_19identity_decomposerEEEEE10hipError_tT0_T1_T2_jT3_P12ihipStream_tbPNSt15iterator_traitsISK_E10value_typeEPNSQ_ISL_E10value_typeEPSM_NS1_7vsmem_tEENKUlT_SK_SL_SM_E_clISE_PtSF_SF_EESJ_SZ_SK_SL_SM_EUlSZ_E1_NS1_11comp_targetILNS1_3genE4ELNS1_11target_archE910ELNS1_3gpuE8ELNS1_3repE0EEENS1_36merge_oddeven_config_static_selectorELNS0_4arch9wavefront6targetE1EEEvSL_,@function
_ZN7rocprim17ROCPRIM_400000_NS6detail17trampoline_kernelINS0_14default_configENS1_38merge_sort_block_merge_config_selectorItNS0_10empty_typeEEEZZNS1_27merge_sort_block_merge_implIS3_N6thrust23THRUST_200600_302600_NS6detail15normal_iteratorINS9_10device_ptrItEEEEPS5_jNS1_19radix_merge_compareILb0ELb1EtNS0_19identity_decomposerEEEEE10hipError_tT0_T1_T2_jT3_P12ihipStream_tbPNSt15iterator_traitsISK_E10value_typeEPNSQ_ISL_E10value_typeEPSM_NS1_7vsmem_tEENKUlT_SK_SL_SM_E_clISE_PtSF_SF_EESJ_SZ_SK_SL_SM_EUlSZ_E1_NS1_11comp_targetILNS1_3genE4ELNS1_11target_archE910ELNS1_3gpuE8ELNS1_3repE0EEENS1_36merge_oddeven_config_static_selectorELNS0_4arch9wavefront6targetE1EEEvSL_: ; @_ZN7rocprim17ROCPRIM_400000_NS6detail17trampoline_kernelINS0_14default_configENS1_38merge_sort_block_merge_config_selectorItNS0_10empty_typeEEEZZNS1_27merge_sort_block_merge_implIS3_N6thrust23THRUST_200600_302600_NS6detail15normal_iteratorINS9_10device_ptrItEEEEPS5_jNS1_19radix_merge_compareILb0ELb1EtNS0_19identity_decomposerEEEEE10hipError_tT0_T1_T2_jT3_P12ihipStream_tbPNSt15iterator_traitsISK_E10value_typeEPNSQ_ISL_E10value_typeEPSM_NS1_7vsmem_tEENKUlT_SK_SL_SM_E_clISE_PtSF_SF_EESJ_SZ_SK_SL_SM_EUlSZ_E1_NS1_11comp_targetILNS1_3genE4ELNS1_11target_archE910ELNS1_3gpuE8ELNS1_3repE0EEENS1_36merge_oddeven_config_static_selectorELNS0_4arch9wavefront6targetE1EEEvSL_
; %bb.0:
	s_load_dword s18, s[4:5], 0x20
	s_waitcnt lgkmcnt(0)
	s_lshr_b32 s0, s18, 8
	s_cmp_lg_u32 s6, s0
	s_cselect_b64 s[14:15], -1, 0
	s_cmp_eq_u32 s6, s0
	s_cselect_b64 s[12:13], -1, 0
	s_lshl_b32 s16, s6, 8
	s_sub_i32 s0, s18, s16
	v_cmp_gt_u32_e64 s[2:3], s0, v0
	s_or_b64 s[0:1], s[14:15], s[2:3]
	s_and_saveexec_b64 s[8:9], s[0:1]
	s_cbranch_execz .LBB1306_20
; %bb.1:
	s_load_dwordx4 s[8:11], s[4:5], 0x0
	s_load_dword s19, s[4:5], 0x24
	s_mov_b32 s17, 0
	s_lshl_b64 s[0:1], s[16:17], 1
	v_lshlrev_b32_e32 v1, 1, v0
	s_waitcnt lgkmcnt(0)
	s_add_u32 s0, s8, s0
	s_addc_u32 s1, s9, s1
	global_load_ushort v2, v1, s[0:1]
	s_lshr_b32 s0, s19, 8
	s_sub_i32 s1, 0, s0
	s_and_b32 s1, s6, s1
	s_and_b32 s0, s1, s0
	s_lshl_b32 s20, s1, 8
	s_sub_i32 s17, 0, s19
	s_cmp_eq_u32 s0, 0
	s_cselect_b64 s[0:1], -1, 0
	s_and_b64 s[6:7], s[0:1], exec
	s_cselect_b32 s17, s19, s17
	s_add_i32 s17, s17, s20
	s_cmp_lt_u32 s17, s18
	v_add_u32_e32 v0, s16, v0
	s_cbranch_scc1 .LBB1306_3
; %bb.2:
	v_cmp_gt_u32_e32 vcc, s18, v0
	s_or_b64 s[6:7], vcc, s[14:15]
	s_and_b64 s[6:7], s[6:7], exec
	s_cbranch_execz .LBB1306_4
	s_branch .LBB1306_18
.LBB1306_3:
	s_mov_b64 s[6:7], 0
.LBB1306_4:
	s_load_dword s14, s[4:5], 0x28
	s_min_u32 s15, s17, s18
	s_add_i32 s4, s15, s19
	s_min_u32 s16, s4, s18
	s_min_u32 s4, s20, s15
	s_add_i32 s20, s20, s15
	v_subrev_u32_e32 v0, s20, v0
	v_add_u32_e32 v1, s4, v0
	s_and_b64 vcc, exec, s[12:13]
	s_cbranch_vccz .LBB1306_12
; %bb.5:
                                        ; implicit-def: $vgpr0
	s_and_saveexec_b64 s[4:5], s[2:3]
	s_cbranch_execz .LBB1306_11
; %bb.6:
	s_cmp_ge_u32 s17, s16
	v_mov_b32_e32 v0, s15
	s_cbranch_scc1 .LBB1306_10
; %bb.7:
	s_waitcnt vmcnt(0) lgkmcnt(0)
	v_and_b32_e32 v3, s14, v2
	s_mov_b64 s[2:3], 0
	v_mov_b32_e32 v4, s16
	v_mov_b32_e32 v0, s15
.LBB1306_8:                             ; =>This Inner Loop Header: Depth=1
	v_add_u32_e32 v5, v0, v4
	v_and_b32_e32 v6, -2, v5
	global_load_ushort v6, v6, s[8:9]
	v_lshrrev_b32_e32 v5, 1, v5
	v_add_u32_e32 v7, 1, v5
	s_waitcnt vmcnt(0)
	v_and_b32_e32 v6, s14, v6
	v_cmp_gt_u16_e32 vcc, v3, v6
	v_cndmask_b32_e64 v8, 0, 1, vcc
	v_cmp_le_u16_e32 vcc, v6, v3
	v_cndmask_b32_e64 v6, 0, 1, vcc
	v_cndmask_b32_e64 v6, v6, v8, s[0:1]
	v_and_b32_e32 v6, 1, v6
	v_cmp_eq_u32_e32 vcc, 1, v6
	v_cndmask_b32_e32 v4, v5, v4, vcc
	v_cndmask_b32_e32 v0, v0, v7, vcc
	v_cmp_ge_u32_e32 vcc, v0, v4
	s_or_b64 s[2:3], vcc, s[2:3]
	s_andn2_b64 exec, exec, s[2:3]
	s_cbranch_execnz .LBB1306_8
; %bb.9:
	s_or_b64 exec, exec, s[2:3]
.LBB1306_10:
	v_add_u32_e32 v0, v0, v1
	s_or_b64 s[6:7], s[6:7], exec
.LBB1306_11:
	s_or_b64 exec, exec, s[4:5]
	s_branch .LBB1306_18
.LBB1306_12:
                                        ; implicit-def: $vgpr0
	s_cbranch_execz .LBB1306_18
; %bb.13:
	s_cmp_ge_u32 s17, s16
	v_mov_b32_e32 v0, s15
	s_cbranch_scc1 .LBB1306_17
; %bb.14:
	s_waitcnt vmcnt(0) lgkmcnt(0)
	v_and_b32_e32 v3, s14, v2
	s_mov_b64 s[2:3], 0
	v_mov_b32_e32 v4, s16
	v_mov_b32_e32 v0, s15
.LBB1306_15:                            ; =>This Inner Loop Header: Depth=1
	v_add_u32_e32 v5, v0, v4
	v_and_b32_e32 v6, -2, v5
	global_load_ushort v6, v6, s[8:9]
	v_lshrrev_b32_e32 v5, 1, v5
	v_add_u32_e32 v7, 1, v5
	s_waitcnt vmcnt(0)
	v_and_b32_e32 v6, s14, v6
	v_cmp_gt_u16_e32 vcc, v3, v6
	v_cndmask_b32_e64 v8, 0, 1, vcc
	v_cmp_le_u16_e32 vcc, v6, v3
	v_cndmask_b32_e64 v6, 0, 1, vcc
	v_cndmask_b32_e64 v6, v6, v8, s[0:1]
	v_and_b32_e32 v6, 1, v6
	v_cmp_eq_u32_e32 vcc, 1, v6
	v_cndmask_b32_e32 v4, v5, v4, vcc
	v_cndmask_b32_e32 v0, v0, v7, vcc
	v_cmp_ge_u32_e32 vcc, v0, v4
	s_or_b64 s[2:3], vcc, s[2:3]
	s_andn2_b64 exec, exec, s[2:3]
	s_cbranch_execnz .LBB1306_15
; %bb.16:
	s_or_b64 exec, exec, s[2:3]
.LBB1306_17:
	v_add_u32_e32 v0, v0, v1
	s_mov_b64 s[6:7], -1
.LBB1306_18:
	s_and_b64 exec, exec, s[6:7]
	s_cbranch_execz .LBB1306_20
; %bb.19:
	v_mov_b32_e32 v1, 0
	v_lshlrev_b64 v[0:1], 1, v[0:1]
	v_mov_b32_e32 v3, s11
	v_add_co_u32_e32 v0, vcc, s10, v0
	v_addc_co_u32_e32 v1, vcc, v3, v1, vcc
	s_waitcnt vmcnt(0)
	global_store_short v[0:1], v2, off
.LBB1306_20:
	s_endpgm
	.section	.rodata,"a",@progbits
	.p2align	6, 0x0
	.amdhsa_kernel _ZN7rocprim17ROCPRIM_400000_NS6detail17trampoline_kernelINS0_14default_configENS1_38merge_sort_block_merge_config_selectorItNS0_10empty_typeEEEZZNS1_27merge_sort_block_merge_implIS3_N6thrust23THRUST_200600_302600_NS6detail15normal_iteratorINS9_10device_ptrItEEEEPS5_jNS1_19radix_merge_compareILb0ELb1EtNS0_19identity_decomposerEEEEE10hipError_tT0_T1_T2_jT3_P12ihipStream_tbPNSt15iterator_traitsISK_E10value_typeEPNSQ_ISL_E10value_typeEPSM_NS1_7vsmem_tEENKUlT_SK_SL_SM_E_clISE_PtSF_SF_EESJ_SZ_SK_SL_SM_EUlSZ_E1_NS1_11comp_targetILNS1_3genE4ELNS1_11target_archE910ELNS1_3gpuE8ELNS1_3repE0EEENS1_36merge_oddeven_config_static_selectorELNS0_4arch9wavefront6targetE1EEEvSL_
		.amdhsa_group_segment_fixed_size 0
		.amdhsa_private_segment_fixed_size 0
		.amdhsa_kernarg_size 48
		.amdhsa_user_sgpr_count 6
		.amdhsa_user_sgpr_private_segment_buffer 1
		.amdhsa_user_sgpr_dispatch_ptr 0
		.amdhsa_user_sgpr_queue_ptr 0
		.amdhsa_user_sgpr_kernarg_segment_ptr 1
		.amdhsa_user_sgpr_dispatch_id 0
		.amdhsa_user_sgpr_flat_scratch_init 0
		.amdhsa_user_sgpr_kernarg_preload_length 0
		.amdhsa_user_sgpr_kernarg_preload_offset 0
		.amdhsa_user_sgpr_private_segment_size 0
		.amdhsa_uses_dynamic_stack 0
		.amdhsa_system_sgpr_private_segment_wavefront_offset 0
		.amdhsa_system_sgpr_workgroup_id_x 1
		.amdhsa_system_sgpr_workgroup_id_y 0
		.amdhsa_system_sgpr_workgroup_id_z 0
		.amdhsa_system_sgpr_workgroup_info 0
		.amdhsa_system_vgpr_workitem_id 0
		.amdhsa_next_free_vgpr 9
		.amdhsa_next_free_sgpr 21
		.amdhsa_accum_offset 12
		.amdhsa_reserve_vcc 1
		.amdhsa_reserve_flat_scratch 0
		.amdhsa_float_round_mode_32 0
		.amdhsa_float_round_mode_16_64 0
		.amdhsa_float_denorm_mode_32 3
		.amdhsa_float_denorm_mode_16_64 3
		.amdhsa_dx10_clamp 1
		.amdhsa_ieee_mode 1
		.amdhsa_fp16_overflow 0
		.amdhsa_tg_split 0
		.amdhsa_exception_fp_ieee_invalid_op 0
		.amdhsa_exception_fp_denorm_src 0
		.amdhsa_exception_fp_ieee_div_zero 0
		.amdhsa_exception_fp_ieee_overflow 0
		.amdhsa_exception_fp_ieee_underflow 0
		.amdhsa_exception_fp_ieee_inexact 0
		.amdhsa_exception_int_div_zero 0
	.end_amdhsa_kernel
	.section	.text._ZN7rocprim17ROCPRIM_400000_NS6detail17trampoline_kernelINS0_14default_configENS1_38merge_sort_block_merge_config_selectorItNS0_10empty_typeEEEZZNS1_27merge_sort_block_merge_implIS3_N6thrust23THRUST_200600_302600_NS6detail15normal_iteratorINS9_10device_ptrItEEEEPS5_jNS1_19radix_merge_compareILb0ELb1EtNS0_19identity_decomposerEEEEE10hipError_tT0_T1_T2_jT3_P12ihipStream_tbPNSt15iterator_traitsISK_E10value_typeEPNSQ_ISL_E10value_typeEPSM_NS1_7vsmem_tEENKUlT_SK_SL_SM_E_clISE_PtSF_SF_EESJ_SZ_SK_SL_SM_EUlSZ_E1_NS1_11comp_targetILNS1_3genE4ELNS1_11target_archE910ELNS1_3gpuE8ELNS1_3repE0EEENS1_36merge_oddeven_config_static_selectorELNS0_4arch9wavefront6targetE1EEEvSL_,"axG",@progbits,_ZN7rocprim17ROCPRIM_400000_NS6detail17trampoline_kernelINS0_14default_configENS1_38merge_sort_block_merge_config_selectorItNS0_10empty_typeEEEZZNS1_27merge_sort_block_merge_implIS3_N6thrust23THRUST_200600_302600_NS6detail15normal_iteratorINS9_10device_ptrItEEEEPS5_jNS1_19radix_merge_compareILb0ELb1EtNS0_19identity_decomposerEEEEE10hipError_tT0_T1_T2_jT3_P12ihipStream_tbPNSt15iterator_traitsISK_E10value_typeEPNSQ_ISL_E10value_typeEPSM_NS1_7vsmem_tEENKUlT_SK_SL_SM_E_clISE_PtSF_SF_EESJ_SZ_SK_SL_SM_EUlSZ_E1_NS1_11comp_targetILNS1_3genE4ELNS1_11target_archE910ELNS1_3gpuE8ELNS1_3repE0EEENS1_36merge_oddeven_config_static_selectorELNS0_4arch9wavefront6targetE1EEEvSL_,comdat
.Lfunc_end1306:
	.size	_ZN7rocprim17ROCPRIM_400000_NS6detail17trampoline_kernelINS0_14default_configENS1_38merge_sort_block_merge_config_selectorItNS0_10empty_typeEEEZZNS1_27merge_sort_block_merge_implIS3_N6thrust23THRUST_200600_302600_NS6detail15normal_iteratorINS9_10device_ptrItEEEEPS5_jNS1_19radix_merge_compareILb0ELb1EtNS0_19identity_decomposerEEEEE10hipError_tT0_T1_T2_jT3_P12ihipStream_tbPNSt15iterator_traitsISK_E10value_typeEPNSQ_ISL_E10value_typeEPSM_NS1_7vsmem_tEENKUlT_SK_SL_SM_E_clISE_PtSF_SF_EESJ_SZ_SK_SL_SM_EUlSZ_E1_NS1_11comp_targetILNS1_3genE4ELNS1_11target_archE910ELNS1_3gpuE8ELNS1_3repE0EEENS1_36merge_oddeven_config_static_selectorELNS0_4arch9wavefront6targetE1EEEvSL_, .Lfunc_end1306-_ZN7rocprim17ROCPRIM_400000_NS6detail17trampoline_kernelINS0_14default_configENS1_38merge_sort_block_merge_config_selectorItNS0_10empty_typeEEEZZNS1_27merge_sort_block_merge_implIS3_N6thrust23THRUST_200600_302600_NS6detail15normal_iteratorINS9_10device_ptrItEEEEPS5_jNS1_19radix_merge_compareILb0ELb1EtNS0_19identity_decomposerEEEEE10hipError_tT0_T1_T2_jT3_P12ihipStream_tbPNSt15iterator_traitsISK_E10value_typeEPNSQ_ISL_E10value_typeEPSM_NS1_7vsmem_tEENKUlT_SK_SL_SM_E_clISE_PtSF_SF_EESJ_SZ_SK_SL_SM_EUlSZ_E1_NS1_11comp_targetILNS1_3genE4ELNS1_11target_archE910ELNS1_3gpuE8ELNS1_3repE0EEENS1_36merge_oddeven_config_static_selectorELNS0_4arch9wavefront6targetE1EEEvSL_
                                        ; -- End function
	.section	.AMDGPU.csdata,"",@progbits
; Kernel info:
; codeLenInByte = 580
; NumSgprs: 25
; NumVgprs: 9
; NumAgprs: 0
; TotalNumVgprs: 9
; ScratchSize: 0
; MemoryBound: 0
; FloatMode: 240
; IeeeMode: 1
; LDSByteSize: 0 bytes/workgroup (compile time only)
; SGPRBlocks: 3
; VGPRBlocks: 1
; NumSGPRsForWavesPerEU: 25
; NumVGPRsForWavesPerEU: 9
; AccumOffset: 12
; Occupancy: 8
; WaveLimiterHint : 0
; COMPUTE_PGM_RSRC2:SCRATCH_EN: 0
; COMPUTE_PGM_RSRC2:USER_SGPR: 6
; COMPUTE_PGM_RSRC2:TRAP_HANDLER: 0
; COMPUTE_PGM_RSRC2:TGID_X_EN: 1
; COMPUTE_PGM_RSRC2:TGID_Y_EN: 0
; COMPUTE_PGM_RSRC2:TGID_Z_EN: 0
; COMPUTE_PGM_RSRC2:TIDIG_COMP_CNT: 0
; COMPUTE_PGM_RSRC3_GFX90A:ACCUM_OFFSET: 2
; COMPUTE_PGM_RSRC3_GFX90A:TG_SPLIT: 0
	.section	.text._ZN7rocprim17ROCPRIM_400000_NS6detail17trampoline_kernelINS0_14default_configENS1_38merge_sort_block_merge_config_selectorItNS0_10empty_typeEEEZZNS1_27merge_sort_block_merge_implIS3_N6thrust23THRUST_200600_302600_NS6detail15normal_iteratorINS9_10device_ptrItEEEEPS5_jNS1_19radix_merge_compareILb0ELb1EtNS0_19identity_decomposerEEEEE10hipError_tT0_T1_T2_jT3_P12ihipStream_tbPNSt15iterator_traitsISK_E10value_typeEPNSQ_ISL_E10value_typeEPSM_NS1_7vsmem_tEENKUlT_SK_SL_SM_E_clISE_PtSF_SF_EESJ_SZ_SK_SL_SM_EUlSZ_E1_NS1_11comp_targetILNS1_3genE3ELNS1_11target_archE908ELNS1_3gpuE7ELNS1_3repE0EEENS1_36merge_oddeven_config_static_selectorELNS0_4arch9wavefront6targetE1EEEvSL_,"axG",@progbits,_ZN7rocprim17ROCPRIM_400000_NS6detail17trampoline_kernelINS0_14default_configENS1_38merge_sort_block_merge_config_selectorItNS0_10empty_typeEEEZZNS1_27merge_sort_block_merge_implIS3_N6thrust23THRUST_200600_302600_NS6detail15normal_iteratorINS9_10device_ptrItEEEEPS5_jNS1_19radix_merge_compareILb0ELb1EtNS0_19identity_decomposerEEEEE10hipError_tT0_T1_T2_jT3_P12ihipStream_tbPNSt15iterator_traitsISK_E10value_typeEPNSQ_ISL_E10value_typeEPSM_NS1_7vsmem_tEENKUlT_SK_SL_SM_E_clISE_PtSF_SF_EESJ_SZ_SK_SL_SM_EUlSZ_E1_NS1_11comp_targetILNS1_3genE3ELNS1_11target_archE908ELNS1_3gpuE7ELNS1_3repE0EEENS1_36merge_oddeven_config_static_selectorELNS0_4arch9wavefront6targetE1EEEvSL_,comdat
	.protected	_ZN7rocprim17ROCPRIM_400000_NS6detail17trampoline_kernelINS0_14default_configENS1_38merge_sort_block_merge_config_selectorItNS0_10empty_typeEEEZZNS1_27merge_sort_block_merge_implIS3_N6thrust23THRUST_200600_302600_NS6detail15normal_iteratorINS9_10device_ptrItEEEEPS5_jNS1_19radix_merge_compareILb0ELb1EtNS0_19identity_decomposerEEEEE10hipError_tT0_T1_T2_jT3_P12ihipStream_tbPNSt15iterator_traitsISK_E10value_typeEPNSQ_ISL_E10value_typeEPSM_NS1_7vsmem_tEENKUlT_SK_SL_SM_E_clISE_PtSF_SF_EESJ_SZ_SK_SL_SM_EUlSZ_E1_NS1_11comp_targetILNS1_3genE3ELNS1_11target_archE908ELNS1_3gpuE7ELNS1_3repE0EEENS1_36merge_oddeven_config_static_selectorELNS0_4arch9wavefront6targetE1EEEvSL_ ; -- Begin function _ZN7rocprim17ROCPRIM_400000_NS6detail17trampoline_kernelINS0_14default_configENS1_38merge_sort_block_merge_config_selectorItNS0_10empty_typeEEEZZNS1_27merge_sort_block_merge_implIS3_N6thrust23THRUST_200600_302600_NS6detail15normal_iteratorINS9_10device_ptrItEEEEPS5_jNS1_19radix_merge_compareILb0ELb1EtNS0_19identity_decomposerEEEEE10hipError_tT0_T1_T2_jT3_P12ihipStream_tbPNSt15iterator_traitsISK_E10value_typeEPNSQ_ISL_E10value_typeEPSM_NS1_7vsmem_tEENKUlT_SK_SL_SM_E_clISE_PtSF_SF_EESJ_SZ_SK_SL_SM_EUlSZ_E1_NS1_11comp_targetILNS1_3genE3ELNS1_11target_archE908ELNS1_3gpuE7ELNS1_3repE0EEENS1_36merge_oddeven_config_static_selectorELNS0_4arch9wavefront6targetE1EEEvSL_
	.globl	_ZN7rocprim17ROCPRIM_400000_NS6detail17trampoline_kernelINS0_14default_configENS1_38merge_sort_block_merge_config_selectorItNS0_10empty_typeEEEZZNS1_27merge_sort_block_merge_implIS3_N6thrust23THRUST_200600_302600_NS6detail15normal_iteratorINS9_10device_ptrItEEEEPS5_jNS1_19radix_merge_compareILb0ELb1EtNS0_19identity_decomposerEEEEE10hipError_tT0_T1_T2_jT3_P12ihipStream_tbPNSt15iterator_traitsISK_E10value_typeEPNSQ_ISL_E10value_typeEPSM_NS1_7vsmem_tEENKUlT_SK_SL_SM_E_clISE_PtSF_SF_EESJ_SZ_SK_SL_SM_EUlSZ_E1_NS1_11comp_targetILNS1_3genE3ELNS1_11target_archE908ELNS1_3gpuE7ELNS1_3repE0EEENS1_36merge_oddeven_config_static_selectorELNS0_4arch9wavefront6targetE1EEEvSL_
	.p2align	8
	.type	_ZN7rocprim17ROCPRIM_400000_NS6detail17trampoline_kernelINS0_14default_configENS1_38merge_sort_block_merge_config_selectorItNS0_10empty_typeEEEZZNS1_27merge_sort_block_merge_implIS3_N6thrust23THRUST_200600_302600_NS6detail15normal_iteratorINS9_10device_ptrItEEEEPS5_jNS1_19radix_merge_compareILb0ELb1EtNS0_19identity_decomposerEEEEE10hipError_tT0_T1_T2_jT3_P12ihipStream_tbPNSt15iterator_traitsISK_E10value_typeEPNSQ_ISL_E10value_typeEPSM_NS1_7vsmem_tEENKUlT_SK_SL_SM_E_clISE_PtSF_SF_EESJ_SZ_SK_SL_SM_EUlSZ_E1_NS1_11comp_targetILNS1_3genE3ELNS1_11target_archE908ELNS1_3gpuE7ELNS1_3repE0EEENS1_36merge_oddeven_config_static_selectorELNS0_4arch9wavefront6targetE1EEEvSL_,@function
_ZN7rocprim17ROCPRIM_400000_NS6detail17trampoline_kernelINS0_14default_configENS1_38merge_sort_block_merge_config_selectorItNS0_10empty_typeEEEZZNS1_27merge_sort_block_merge_implIS3_N6thrust23THRUST_200600_302600_NS6detail15normal_iteratorINS9_10device_ptrItEEEEPS5_jNS1_19radix_merge_compareILb0ELb1EtNS0_19identity_decomposerEEEEE10hipError_tT0_T1_T2_jT3_P12ihipStream_tbPNSt15iterator_traitsISK_E10value_typeEPNSQ_ISL_E10value_typeEPSM_NS1_7vsmem_tEENKUlT_SK_SL_SM_E_clISE_PtSF_SF_EESJ_SZ_SK_SL_SM_EUlSZ_E1_NS1_11comp_targetILNS1_3genE3ELNS1_11target_archE908ELNS1_3gpuE7ELNS1_3repE0EEENS1_36merge_oddeven_config_static_selectorELNS0_4arch9wavefront6targetE1EEEvSL_: ; @_ZN7rocprim17ROCPRIM_400000_NS6detail17trampoline_kernelINS0_14default_configENS1_38merge_sort_block_merge_config_selectorItNS0_10empty_typeEEEZZNS1_27merge_sort_block_merge_implIS3_N6thrust23THRUST_200600_302600_NS6detail15normal_iteratorINS9_10device_ptrItEEEEPS5_jNS1_19radix_merge_compareILb0ELb1EtNS0_19identity_decomposerEEEEE10hipError_tT0_T1_T2_jT3_P12ihipStream_tbPNSt15iterator_traitsISK_E10value_typeEPNSQ_ISL_E10value_typeEPSM_NS1_7vsmem_tEENKUlT_SK_SL_SM_E_clISE_PtSF_SF_EESJ_SZ_SK_SL_SM_EUlSZ_E1_NS1_11comp_targetILNS1_3genE3ELNS1_11target_archE908ELNS1_3gpuE7ELNS1_3repE0EEENS1_36merge_oddeven_config_static_selectorELNS0_4arch9wavefront6targetE1EEEvSL_
; %bb.0:
	.section	.rodata,"a",@progbits
	.p2align	6, 0x0
	.amdhsa_kernel _ZN7rocprim17ROCPRIM_400000_NS6detail17trampoline_kernelINS0_14default_configENS1_38merge_sort_block_merge_config_selectorItNS0_10empty_typeEEEZZNS1_27merge_sort_block_merge_implIS3_N6thrust23THRUST_200600_302600_NS6detail15normal_iteratorINS9_10device_ptrItEEEEPS5_jNS1_19radix_merge_compareILb0ELb1EtNS0_19identity_decomposerEEEEE10hipError_tT0_T1_T2_jT3_P12ihipStream_tbPNSt15iterator_traitsISK_E10value_typeEPNSQ_ISL_E10value_typeEPSM_NS1_7vsmem_tEENKUlT_SK_SL_SM_E_clISE_PtSF_SF_EESJ_SZ_SK_SL_SM_EUlSZ_E1_NS1_11comp_targetILNS1_3genE3ELNS1_11target_archE908ELNS1_3gpuE7ELNS1_3repE0EEENS1_36merge_oddeven_config_static_selectorELNS0_4arch9wavefront6targetE1EEEvSL_
		.amdhsa_group_segment_fixed_size 0
		.amdhsa_private_segment_fixed_size 0
		.amdhsa_kernarg_size 48
		.amdhsa_user_sgpr_count 6
		.amdhsa_user_sgpr_private_segment_buffer 1
		.amdhsa_user_sgpr_dispatch_ptr 0
		.amdhsa_user_sgpr_queue_ptr 0
		.amdhsa_user_sgpr_kernarg_segment_ptr 1
		.amdhsa_user_sgpr_dispatch_id 0
		.amdhsa_user_sgpr_flat_scratch_init 0
		.amdhsa_user_sgpr_kernarg_preload_length 0
		.amdhsa_user_sgpr_kernarg_preload_offset 0
		.amdhsa_user_sgpr_private_segment_size 0
		.amdhsa_uses_dynamic_stack 0
		.amdhsa_system_sgpr_private_segment_wavefront_offset 0
		.amdhsa_system_sgpr_workgroup_id_x 1
		.amdhsa_system_sgpr_workgroup_id_y 0
		.amdhsa_system_sgpr_workgroup_id_z 0
		.amdhsa_system_sgpr_workgroup_info 0
		.amdhsa_system_vgpr_workitem_id 0
		.amdhsa_next_free_vgpr 1
		.amdhsa_next_free_sgpr 0
		.amdhsa_accum_offset 4
		.amdhsa_reserve_vcc 0
		.amdhsa_reserve_flat_scratch 0
		.amdhsa_float_round_mode_32 0
		.amdhsa_float_round_mode_16_64 0
		.amdhsa_float_denorm_mode_32 3
		.amdhsa_float_denorm_mode_16_64 3
		.amdhsa_dx10_clamp 1
		.amdhsa_ieee_mode 1
		.amdhsa_fp16_overflow 0
		.amdhsa_tg_split 0
		.amdhsa_exception_fp_ieee_invalid_op 0
		.amdhsa_exception_fp_denorm_src 0
		.amdhsa_exception_fp_ieee_div_zero 0
		.amdhsa_exception_fp_ieee_overflow 0
		.amdhsa_exception_fp_ieee_underflow 0
		.amdhsa_exception_fp_ieee_inexact 0
		.amdhsa_exception_int_div_zero 0
	.end_amdhsa_kernel
	.section	.text._ZN7rocprim17ROCPRIM_400000_NS6detail17trampoline_kernelINS0_14default_configENS1_38merge_sort_block_merge_config_selectorItNS0_10empty_typeEEEZZNS1_27merge_sort_block_merge_implIS3_N6thrust23THRUST_200600_302600_NS6detail15normal_iteratorINS9_10device_ptrItEEEEPS5_jNS1_19radix_merge_compareILb0ELb1EtNS0_19identity_decomposerEEEEE10hipError_tT0_T1_T2_jT3_P12ihipStream_tbPNSt15iterator_traitsISK_E10value_typeEPNSQ_ISL_E10value_typeEPSM_NS1_7vsmem_tEENKUlT_SK_SL_SM_E_clISE_PtSF_SF_EESJ_SZ_SK_SL_SM_EUlSZ_E1_NS1_11comp_targetILNS1_3genE3ELNS1_11target_archE908ELNS1_3gpuE7ELNS1_3repE0EEENS1_36merge_oddeven_config_static_selectorELNS0_4arch9wavefront6targetE1EEEvSL_,"axG",@progbits,_ZN7rocprim17ROCPRIM_400000_NS6detail17trampoline_kernelINS0_14default_configENS1_38merge_sort_block_merge_config_selectorItNS0_10empty_typeEEEZZNS1_27merge_sort_block_merge_implIS3_N6thrust23THRUST_200600_302600_NS6detail15normal_iteratorINS9_10device_ptrItEEEEPS5_jNS1_19radix_merge_compareILb0ELb1EtNS0_19identity_decomposerEEEEE10hipError_tT0_T1_T2_jT3_P12ihipStream_tbPNSt15iterator_traitsISK_E10value_typeEPNSQ_ISL_E10value_typeEPSM_NS1_7vsmem_tEENKUlT_SK_SL_SM_E_clISE_PtSF_SF_EESJ_SZ_SK_SL_SM_EUlSZ_E1_NS1_11comp_targetILNS1_3genE3ELNS1_11target_archE908ELNS1_3gpuE7ELNS1_3repE0EEENS1_36merge_oddeven_config_static_selectorELNS0_4arch9wavefront6targetE1EEEvSL_,comdat
.Lfunc_end1307:
	.size	_ZN7rocprim17ROCPRIM_400000_NS6detail17trampoline_kernelINS0_14default_configENS1_38merge_sort_block_merge_config_selectorItNS0_10empty_typeEEEZZNS1_27merge_sort_block_merge_implIS3_N6thrust23THRUST_200600_302600_NS6detail15normal_iteratorINS9_10device_ptrItEEEEPS5_jNS1_19radix_merge_compareILb0ELb1EtNS0_19identity_decomposerEEEEE10hipError_tT0_T1_T2_jT3_P12ihipStream_tbPNSt15iterator_traitsISK_E10value_typeEPNSQ_ISL_E10value_typeEPSM_NS1_7vsmem_tEENKUlT_SK_SL_SM_E_clISE_PtSF_SF_EESJ_SZ_SK_SL_SM_EUlSZ_E1_NS1_11comp_targetILNS1_3genE3ELNS1_11target_archE908ELNS1_3gpuE7ELNS1_3repE0EEENS1_36merge_oddeven_config_static_selectorELNS0_4arch9wavefront6targetE1EEEvSL_, .Lfunc_end1307-_ZN7rocprim17ROCPRIM_400000_NS6detail17trampoline_kernelINS0_14default_configENS1_38merge_sort_block_merge_config_selectorItNS0_10empty_typeEEEZZNS1_27merge_sort_block_merge_implIS3_N6thrust23THRUST_200600_302600_NS6detail15normal_iteratorINS9_10device_ptrItEEEEPS5_jNS1_19radix_merge_compareILb0ELb1EtNS0_19identity_decomposerEEEEE10hipError_tT0_T1_T2_jT3_P12ihipStream_tbPNSt15iterator_traitsISK_E10value_typeEPNSQ_ISL_E10value_typeEPSM_NS1_7vsmem_tEENKUlT_SK_SL_SM_E_clISE_PtSF_SF_EESJ_SZ_SK_SL_SM_EUlSZ_E1_NS1_11comp_targetILNS1_3genE3ELNS1_11target_archE908ELNS1_3gpuE7ELNS1_3repE0EEENS1_36merge_oddeven_config_static_selectorELNS0_4arch9wavefront6targetE1EEEvSL_
                                        ; -- End function
	.section	.AMDGPU.csdata,"",@progbits
; Kernel info:
; codeLenInByte = 0
; NumSgprs: 4
; NumVgprs: 0
; NumAgprs: 0
; TotalNumVgprs: 0
; ScratchSize: 0
; MemoryBound: 0
; FloatMode: 240
; IeeeMode: 1
; LDSByteSize: 0 bytes/workgroup (compile time only)
; SGPRBlocks: 0
; VGPRBlocks: 0
; NumSGPRsForWavesPerEU: 4
; NumVGPRsForWavesPerEU: 1
; AccumOffset: 4
; Occupancy: 8
; WaveLimiterHint : 0
; COMPUTE_PGM_RSRC2:SCRATCH_EN: 0
; COMPUTE_PGM_RSRC2:USER_SGPR: 6
; COMPUTE_PGM_RSRC2:TRAP_HANDLER: 0
; COMPUTE_PGM_RSRC2:TGID_X_EN: 1
; COMPUTE_PGM_RSRC2:TGID_Y_EN: 0
; COMPUTE_PGM_RSRC2:TGID_Z_EN: 0
; COMPUTE_PGM_RSRC2:TIDIG_COMP_CNT: 0
; COMPUTE_PGM_RSRC3_GFX90A:ACCUM_OFFSET: 0
; COMPUTE_PGM_RSRC3_GFX90A:TG_SPLIT: 0
	.section	.text._ZN7rocprim17ROCPRIM_400000_NS6detail17trampoline_kernelINS0_14default_configENS1_38merge_sort_block_merge_config_selectorItNS0_10empty_typeEEEZZNS1_27merge_sort_block_merge_implIS3_N6thrust23THRUST_200600_302600_NS6detail15normal_iteratorINS9_10device_ptrItEEEEPS5_jNS1_19radix_merge_compareILb0ELb1EtNS0_19identity_decomposerEEEEE10hipError_tT0_T1_T2_jT3_P12ihipStream_tbPNSt15iterator_traitsISK_E10value_typeEPNSQ_ISL_E10value_typeEPSM_NS1_7vsmem_tEENKUlT_SK_SL_SM_E_clISE_PtSF_SF_EESJ_SZ_SK_SL_SM_EUlSZ_E1_NS1_11comp_targetILNS1_3genE2ELNS1_11target_archE906ELNS1_3gpuE6ELNS1_3repE0EEENS1_36merge_oddeven_config_static_selectorELNS0_4arch9wavefront6targetE1EEEvSL_,"axG",@progbits,_ZN7rocprim17ROCPRIM_400000_NS6detail17trampoline_kernelINS0_14default_configENS1_38merge_sort_block_merge_config_selectorItNS0_10empty_typeEEEZZNS1_27merge_sort_block_merge_implIS3_N6thrust23THRUST_200600_302600_NS6detail15normal_iteratorINS9_10device_ptrItEEEEPS5_jNS1_19radix_merge_compareILb0ELb1EtNS0_19identity_decomposerEEEEE10hipError_tT0_T1_T2_jT3_P12ihipStream_tbPNSt15iterator_traitsISK_E10value_typeEPNSQ_ISL_E10value_typeEPSM_NS1_7vsmem_tEENKUlT_SK_SL_SM_E_clISE_PtSF_SF_EESJ_SZ_SK_SL_SM_EUlSZ_E1_NS1_11comp_targetILNS1_3genE2ELNS1_11target_archE906ELNS1_3gpuE6ELNS1_3repE0EEENS1_36merge_oddeven_config_static_selectorELNS0_4arch9wavefront6targetE1EEEvSL_,comdat
	.protected	_ZN7rocprim17ROCPRIM_400000_NS6detail17trampoline_kernelINS0_14default_configENS1_38merge_sort_block_merge_config_selectorItNS0_10empty_typeEEEZZNS1_27merge_sort_block_merge_implIS3_N6thrust23THRUST_200600_302600_NS6detail15normal_iteratorINS9_10device_ptrItEEEEPS5_jNS1_19radix_merge_compareILb0ELb1EtNS0_19identity_decomposerEEEEE10hipError_tT0_T1_T2_jT3_P12ihipStream_tbPNSt15iterator_traitsISK_E10value_typeEPNSQ_ISL_E10value_typeEPSM_NS1_7vsmem_tEENKUlT_SK_SL_SM_E_clISE_PtSF_SF_EESJ_SZ_SK_SL_SM_EUlSZ_E1_NS1_11comp_targetILNS1_3genE2ELNS1_11target_archE906ELNS1_3gpuE6ELNS1_3repE0EEENS1_36merge_oddeven_config_static_selectorELNS0_4arch9wavefront6targetE1EEEvSL_ ; -- Begin function _ZN7rocprim17ROCPRIM_400000_NS6detail17trampoline_kernelINS0_14default_configENS1_38merge_sort_block_merge_config_selectorItNS0_10empty_typeEEEZZNS1_27merge_sort_block_merge_implIS3_N6thrust23THRUST_200600_302600_NS6detail15normal_iteratorINS9_10device_ptrItEEEEPS5_jNS1_19radix_merge_compareILb0ELb1EtNS0_19identity_decomposerEEEEE10hipError_tT0_T1_T2_jT3_P12ihipStream_tbPNSt15iterator_traitsISK_E10value_typeEPNSQ_ISL_E10value_typeEPSM_NS1_7vsmem_tEENKUlT_SK_SL_SM_E_clISE_PtSF_SF_EESJ_SZ_SK_SL_SM_EUlSZ_E1_NS1_11comp_targetILNS1_3genE2ELNS1_11target_archE906ELNS1_3gpuE6ELNS1_3repE0EEENS1_36merge_oddeven_config_static_selectorELNS0_4arch9wavefront6targetE1EEEvSL_
	.globl	_ZN7rocprim17ROCPRIM_400000_NS6detail17trampoline_kernelINS0_14default_configENS1_38merge_sort_block_merge_config_selectorItNS0_10empty_typeEEEZZNS1_27merge_sort_block_merge_implIS3_N6thrust23THRUST_200600_302600_NS6detail15normal_iteratorINS9_10device_ptrItEEEEPS5_jNS1_19radix_merge_compareILb0ELb1EtNS0_19identity_decomposerEEEEE10hipError_tT0_T1_T2_jT3_P12ihipStream_tbPNSt15iterator_traitsISK_E10value_typeEPNSQ_ISL_E10value_typeEPSM_NS1_7vsmem_tEENKUlT_SK_SL_SM_E_clISE_PtSF_SF_EESJ_SZ_SK_SL_SM_EUlSZ_E1_NS1_11comp_targetILNS1_3genE2ELNS1_11target_archE906ELNS1_3gpuE6ELNS1_3repE0EEENS1_36merge_oddeven_config_static_selectorELNS0_4arch9wavefront6targetE1EEEvSL_
	.p2align	8
	.type	_ZN7rocprim17ROCPRIM_400000_NS6detail17trampoline_kernelINS0_14default_configENS1_38merge_sort_block_merge_config_selectorItNS0_10empty_typeEEEZZNS1_27merge_sort_block_merge_implIS3_N6thrust23THRUST_200600_302600_NS6detail15normal_iteratorINS9_10device_ptrItEEEEPS5_jNS1_19radix_merge_compareILb0ELb1EtNS0_19identity_decomposerEEEEE10hipError_tT0_T1_T2_jT3_P12ihipStream_tbPNSt15iterator_traitsISK_E10value_typeEPNSQ_ISL_E10value_typeEPSM_NS1_7vsmem_tEENKUlT_SK_SL_SM_E_clISE_PtSF_SF_EESJ_SZ_SK_SL_SM_EUlSZ_E1_NS1_11comp_targetILNS1_3genE2ELNS1_11target_archE906ELNS1_3gpuE6ELNS1_3repE0EEENS1_36merge_oddeven_config_static_selectorELNS0_4arch9wavefront6targetE1EEEvSL_,@function
_ZN7rocprim17ROCPRIM_400000_NS6detail17trampoline_kernelINS0_14default_configENS1_38merge_sort_block_merge_config_selectorItNS0_10empty_typeEEEZZNS1_27merge_sort_block_merge_implIS3_N6thrust23THRUST_200600_302600_NS6detail15normal_iteratorINS9_10device_ptrItEEEEPS5_jNS1_19radix_merge_compareILb0ELb1EtNS0_19identity_decomposerEEEEE10hipError_tT0_T1_T2_jT3_P12ihipStream_tbPNSt15iterator_traitsISK_E10value_typeEPNSQ_ISL_E10value_typeEPSM_NS1_7vsmem_tEENKUlT_SK_SL_SM_E_clISE_PtSF_SF_EESJ_SZ_SK_SL_SM_EUlSZ_E1_NS1_11comp_targetILNS1_3genE2ELNS1_11target_archE906ELNS1_3gpuE6ELNS1_3repE0EEENS1_36merge_oddeven_config_static_selectorELNS0_4arch9wavefront6targetE1EEEvSL_: ; @_ZN7rocprim17ROCPRIM_400000_NS6detail17trampoline_kernelINS0_14default_configENS1_38merge_sort_block_merge_config_selectorItNS0_10empty_typeEEEZZNS1_27merge_sort_block_merge_implIS3_N6thrust23THRUST_200600_302600_NS6detail15normal_iteratorINS9_10device_ptrItEEEEPS5_jNS1_19radix_merge_compareILb0ELb1EtNS0_19identity_decomposerEEEEE10hipError_tT0_T1_T2_jT3_P12ihipStream_tbPNSt15iterator_traitsISK_E10value_typeEPNSQ_ISL_E10value_typeEPSM_NS1_7vsmem_tEENKUlT_SK_SL_SM_E_clISE_PtSF_SF_EESJ_SZ_SK_SL_SM_EUlSZ_E1_NS1_11comp_targetILNS1_3genE2ELNS1_11target_archE906ELNS1_3gpuE6ELNS1_3repE0EEENS1_36merge_oddeven_config_static_selectorELNS0_4arch9wavefront6targetE1EEEvSL_
; %bb.0:
	.section	.rodata,"a",@progbits
	.p2align	6, 0x0
	.amdhsa_kernel _ZN7rocprim17ROCPRIM_400000_NS6detail17trampoline_kernelINS0_14default_configENS1_38merge_sort_block_merge_config_selectorItNS0_10empty_typeEEEZZNS1_27merge_sort_block_merge_implIS3_N6thrust23THRUST_200600_302600_NS6detail15normal_iteratorINS9_10device_ptrItEEEEPS5_jNS1_19radix_merge_compareILb0ELb1EtNS0_19identity_decomposerEEEEE10hipError_tT0_T1_T2_jT3_P12ihipStream_tbPNSt15iterator_traitsISK_E10value_typeEPNSQ_ISL_E10value_typeEPSM_NS1_7vsmem_tEENKUlT_SK_SL_SM_E_clISE_PtSF_SF_EESJ_SZ_SK_SL_SM_EUlSZ_E1_NS1_11comp_targetILNS1_3genE2ELNS1_11target_archE906ELNS1_3gpuE6ELNS1_3repE0EEENS1_36merge_oddeven_config_static_selectorELNS0_4arch9wavefront6targetE1EEEvSL_
		.amdhsa_group_segment_fixed_size 0
		.amdhsa_private_segment_fixed_size 0
		.amdhsa_kernarg_size 48
		.amdhsa_user_sgpr_count 6
		.amdhsa_user_sgpr_private_segment_buffer 1
		.amdhsa_user_sgpr_dispatch_ptr 0
		.amdhsa_user_sgpr_queue_ptr 0
		.amdhsa_user_sgpr_kernarg_segment_ptr 1
		.amdhsa_user_sgpr_dispatch_id 0
		.amdhsa_user_sgpr_flat_scratch_init 0
		.amdhsa_user_sgpr_kernarg_preload_length 0
		.amdhsa_user_sgpr_kernarg_preload_offset 0
		.amdhsa_user_sgpr_private_segment_size 0
		.amdhsa_uses_dynamic_stack 0
		.amdhsa_system_sgpr_private_segment_wavefront_offset 0
		.amdhsa_system_sgpr_workgroup_id_x 1
		.amdhsa_system_sgpr_workgroup_id_y 0
		.amdhsa_system_sgpr_workgroup_id_z 0
		.amdhsa_system_sgpr_workgroup_info 0
		.amdhsa_system_vgpr_workitem_id 0
		.amdhsa_next_free_vgpr 1
		.amdhsa_next_free_sgpr 0
		.amdhsa_accum_offset 4
		.amdhsa_reserve_vcc 0
		.amdhsa_reserve_flat_scratch 0
		.amdhsa_float_round_mode_32 0
		.amdhsa_float_round_mode_16_64 0
		.amdhsa_float_denorm_mode_32 3
		.amdhsa_float_denorm_mode_16_64 3
		.amdhsa_dx10_clamp 1
		.amdhsa_ieee_mode 1
		.amdhsa_fp16_overflow 0
		.amdhsa_tg_split 0
		.amdhsa_exception_fp_ieee_invalid_op 0
		.amdhsa_exception_fp_denorm_src 0
		.amdhsa_exception_fp_ieee_div_zero 0
		.amdhsa_exception_fp_ieee_overflow 0
		.amdhsa_exception_fp_ieee_underflow 0
		.amdhsa_exception_fp_ieee_inexact 0
		.amdhsa_exception_int_div_zero 0
	.end_amdhsa_kernel
	.section	.text._ZN7rocprim17ROCPRIM_400000_NS6detail17trampoline_kernelINS0_14default_configENS1_38merge_sort_block_merge_config_selectorItNS0_10empty_typeEEEZZNS1_27merge_sort_block_merge_implIS3_N6thrust23THRUST_200600_302600_NS6detail15normal_iteratorINS9_10device_ptrItEEEEPS5_jNS1_19radix_merge_compareILb0ELb1EtNS0_19identity_decomposerEEEEE10hipError_tT0_T1_T2_jT3_P12ihipStream_tbPNSt15iterator_traitsISK_E10value_typeEPNSQ_ISL_E10value_typeEPSM_NS1_7vsmem_tEENKUlT_SK_SL_SM_E_clISE_PtSF_SF_EESJ_SZ_SK_SL_SM_EUlSZ_E1_NS1_11comp_targetILNS1_3genE2ELNS1_11target_archE906ELNS1_3gpuE6ELNS1_3repE0EEENS1_36merge_oddeven_config_static_selectorELNS0_4arch9wavefront6targetE1EEEvSL_,"axG",@progbits,_ZN7rocprim17ROCPRIM_400000_NS6detail17trampoline_kernelINS0_14default_configENS1_38merge_sort_block_merge_config_selectorItNS0_10empty_typeEEEZZNS1_27merge_sort_block_merge_implIS3_N6thrust23THRUST_200600_302600_NS6detail15normal_iteratorINS9_10device_ptrItEEEEPS5_jNS1_19radix_merge_compareILb0ELb1EtNS0_19identity_decomposerEEEEE10hipError_tT0_T1_T2_jT3_P12ihipStream_tbPNSt15iterator_traitsISK_E10value_typeEPNSQ_ISL_E10value_typeEPSM_NS1_7vsmem_tEENKUlT_SK_SL_SM_E_clISE_PtSF_SF_EESJ_SZ_SK_SL_SM_EUlSZ_E1_NS1_11comp_targetILNS1_3genE2ELNS1_11target_archE906ELNS1_3gpuE6ELNS1_3repE0EEENS1_36merge_oddeven_config_static_selectorELNS0_4arch9wavefront6targetE1EEEvSL_,comdat
.Lfunc_end1308:
	.size	_ZN7rocprim17ROCPRIM_400000_NS6detail17trampoline_kernelINS0_14default_configENS1_38merge_sort_block_merge_config_selectorItNS0_10empty_typeEEEZZNS1_27merge_sort_block_merge_implIS3_N6thrust23THRUST_200600_302600_NS6detail15normal_iteratorINS9_10device_ptrItEEEEPS5_jNS1_19radix_merge_compareILb0ELb1EtNS0_19identity_decomposerEEEEE10hipError_tT0_T1_T2_jT3_P12ihipStream_tbPNSt15iterator_traitsISK_E10value_typeEPNSQ_ISL_E10value_typeEPSM_NS1_7vsmem_tEENKUlT_SK_SL_SM_E_clISE_PtSF_SF_EESJ_SZ_SK_SL_SM_EUlSZ_E1_NS1_11comp_targetILNS1_3genE2ELNS1_11target_archE906ELNS1_3gpuE6ELNS1_3repE0EEENS1_36merge_oddeven_config_static_selectorELNS0_4arch9wavefront6targetE1EEEvSL_, .Lfunc_end1308-_ZN7rocprim17ROCPRIM_400000_NS6detail17trampoline_kernelINS0_14default_configENS1_38merge_sort_block_merge_config_selectorItNS0_10empty_typeEEEZZNS1_27merge_sort_block_merge_implIS3_N6thrust23THRUST_200600_302600_NS6detail15normal_iteratorINS9_10device_ptrItEEEEPS5_jNS1_19radix_merge_compareILb0ELb1EtNS0_19identity_decomposerEEEEE10hipError_tT0_T1_T2_jT3_P12ihipStream_tbPNSt15iterator_traitsISK_E10value_typeEPNSQ_ISL_E10value_typeEPSM_NS1_7vsmem_tEENKUlT_SK_SL_SM_E_clISE_PtSF_SF_EESJ_SZ_SK_SL_SM_EUlSZ_E1_NS1_11comp_targetILNS1_3genE2ELNS1_11target_archE906ELNS1_3gpuE6ELNS1_3repE0EEENS1_36merge_oddeven_config_static_selectorELNS0_4arch9wavefront6targetE1EEEvSL_
                                        ; -- End function
	.section	.AMDGPU.csdata,"",@progbits
; Kernel info:
; codeLenInByte = 0
; NumSgprs: 4
; NumVgprs: 0
; NumAgprs: 0
; TotalNumVgprs: 0
; ScratchSize: 0
; MemoryBound: 0
; FloatMode: 240
; IeeeMode: 1
; LDSByteSize: 0 bytes/workgroup (compile time only)
; SGPRBlocks: 0
; VGPRBlocks: 0
; NumSGPRsForWavesPerEU: 4
; NumVGPRsForWavesPerEU: 1
; AccumOffset: 4
; Occupancy: 8
; WaveLimiterHint : 0
; COMPUTE_PGM_RSRC2:SCRATCH_EN: 0
; COMPUTE_PGM_RSRC2:USER_SGPR: 6
; COMPUTE_PGM_RSRC2:TRAP_HANDLER: 0
; COMPUTE_PGM_RSRC2:TGID_X_EN: 1
; COMPUTE_PGM_RSRC2:TGID_Y_EN: 0
; COMPUTE_PGM_RSRC2:TGID_Z_EN: 0
; COMPUTE_PGM_RSRC2:TIDIG_COMP_CNT: 0
; COMPUTE_PGM_RSRC3_GFX90A:ACCUM_OFFSET: 0
; COMPUTE_PGM_RSRC3_GFX90A:TG_SPLIT: 0
	.section	.text._ZN7rocprim17ROCPRIM_400000_NS6detail17trampoline_kernelINS0_14default_configENS1_38merge_sort_block_merge_config_selectorItNS0_10empty_typeEEEZZNS1_27merge_sort_block_merge_implIS3_N6thrust23THRUST_200600_302600_NS6detail15normal_iteratorINS9_10device_ptrItEEEEPS5_jNS1_19radix_merge_compareILb0ELb1EtNS0_19identity_decomposerEEEEE10hipError_tT0_T1_T2_jT3_P12ihipStream_tbPNSt15iterator_traitsISK_E10value_typeEPNSQ_ISL_E10value_typeEPSM_NS1_7vsmem_tEENKUlT_SK_SL_SM_E_clISE_PtSF_SF_EESJ_SZ_SK_SL_SM_EUlSZ_E1_NS1_11comp_targetILNS1_3genE9ELNS1_11target_archE1100ELNS1_3gpuE3ELNS1_3repE0EEENS1_36merge_oddeven_config_static_selectorELNS0_4arch9wavefront6targetE1EEEvSL_,"axG",@progbits,_ZN7rocprim17ROCPRIM_400000_NS6detail17trampoline_kernelINS0_14default_configENS1_38merge_sort_block_merge_config_selectorItNS0_10empty_typeEEEZZNS1_27merge_sort_block_merge_implIS3_N6thrust23THRUST_200600_302600_NS6detail15normal_iteratorINS9_10device_ptrItEEEEPS5_jNS1_19radix_merge_compareILb0ELb1EtNS0_19identity_decomposerEEEEE10hipError_tT0_T1_T2_jT3_P12ihipStream_tbPNSt15iterator_traitsISK_E10value_typeEPNSQ_ISL_E10value_typeEPSM_NS1_7vsmem_tEENKUlT_SK_SL_SM_E_clISE_PtSF_SF_EESJ_SZ_SK_SL_SM_EUlSZ_E1_NS1_11comp_targetILNS1_3genE9ELNS1_11target_archE1100ELNS1_3gpuE3ELNS1_3repE0EEENS1_36merge_oddeven_config_static_selectorELNS0_4arch9wavefront6targetE1EEEvSL_,comdat
	.protected	_ZN7rocprim17ROCPRIM_400000_NS6detail17trampoline_kernelINS0_14default_configENS1_38merge_sort_block_merge_config_selectorItNS0_10empty_typeEEEZZNS1_27merge_sort_block_merge_implIS3_N6thrust23THRUST_200600_302600_NS6detail15normal_iteratorINS9_10device_ptrItEEEEPS5_jNS1_19radix_merge_compareILb0ELb1EtNS0_19identity_decomposerEEEEE10hipError_tT0_T1_T2_jT3_P12ihipStream_tbPNSt15iterator_traitsISK_E10value_typeEPNSQ_ISL_E10value_typeEPSM_NS1_7vsmem_tEENKUlT_SK_SL_SM_E_clISE_PtSF_SF_EESJ_SZ_SK_SL_SM_EUlSZ_E1_NS1_11comp_targetILNS1_3genE9ELNS1_11target_archE1100ELNS1_3gpuE3ELNS1_3repE0EEENS1_36merge_oddeven_config_static_selectorELNS0_4arch9wavefront6targetE1EEEvSL_ ; -- Begin function _ZN7rocprim17ROCPRIM_400000_NS6detail17trampoline_kernelINS0_14default_configENS1_38merge_sort_block_merge_config_selectorItNS0_10empty_typeEEEZZNS1_27merge_sort_block_merge_implIS3_N6thrust23THRUST_200600_302600_NS6detail15normal_iteratorINS9_10device_ptrItEEEEPS5_jNS1_19radix_merge_compareILb0ELb1EtNS0_19identity_decomposerEEEEE10hipError_tT0_T1_T2_jT3_P12ihipStream_tbPNSt15iterator_traitsISK_E10value_typeEPNSQ_ISL_E10value_typeEPSM_NS1_7vsmem_tEENKUlT_SK_SL_SM_E_clISE_PtSF_SF_EESJ_SZ_SK_SL_SM_EUlSZ_E1_NS1_11comp_targetILNS1_3genE9ELNS1_11target_archE1100ELNS1_3gpuE3ELNS1_3repE0EEENS1_36merge_oddeven_config_static_selectorELNS0_4arch9wavefront6targetE1EEEvSL_
	.globl	_ZN7rocprim17ROCPRIM_400000_NS6detail17trampoline_kernelINS0_14default_configENS1_38merge_sort_block_merge_config_selectorItNS0_10empty_typeEEEZZNS1_27merge_sort_block_merge_implIS3_N6thrust23THRUST_200600_302600_NS6detail15normal_iteratorINS9_10device_ptrItEEEEPS5_jNS1_19radix_merge_compareILb0ELb1EtNS0_19identity_decomposerEEEEE10hipError_tT0_T1_T2_jT3_P12ihipStream_tbPNSt15iterator_traitsISK_E10value_typeEPNSQ_ISL_E10value_typeEPSM_NS1_7vsmem_tEENKUlT_SK_SL_SM_E_clISE_PtSF_SF_EESJ_SZ_SK_SL_SM_EUlSZ_E1_NS1_11comp_targetILNS1_3genE9ELNS1_11target_archE1100ELNS1_3gpuE3ELNS1_3repE0EEENS1_36merge_oddeven_config_static_selectorELNS0_4arch9wavefront6targetE1EEEvSL_
	.p2align	8
	.type	_ZN7rocprim17ROCPRIM_400000_NS6detail17trampoline_kernelINS0_14default_configENS1_38merge_sort_block_merge_config_selectorItNS0_10empty_typeEEEZZNS1_27merge_sort_block_merge_implIS3_N6thrust23THRUST_200600_302600_NS6detail15normal_iteratorINS9_10device_ptrItEEEEPS5_jNS1_19radix_merge_compareILb0ELb1EtNS0_19identity_decomposerEEEEE10hipError_tT0_T1_T2_jT3_P12ihipStream_tbPNSt15iterator_traitsISK_E10value_typeEPNSQ_ISL_E10value_typeEPSM_NS1_7vsmem_tEENKUlT_SK_SL_SM_E_clISE_PtSF_SF_EESJ_SZ_SK_SL_SM_EUlSZ_E1_NS1_11comp_targetILNS1_3genE9ELNS1_11target_archE1100ELNS1_3gpuE3ELNS1_3repE0EEENS1_36merge_oddeven_config_static_selectorELNS0_4arch9wavefront6targetE1EEEvSL_,@function
_ZN7rocprim17ROCPRIM_400000_NS6detail17trampoline_kernelINS0_14default_configENS1_38merge_sort_block_merge_config_selectorItNS0_10empty_typeEEEZZNS1_27merge_sort_block_merge_implIS3_N6thrust23THRUST_200600_302600_NS6detail15normal_iteratorINS9_10device_ptrItEEEEPS5_jNS1_19radix_merge_compareILb0ELb1EtNS0_19identity_decomposerEEEEE10hipError_tT0_T1_T2_jT3_P12ihipStream_tbPNSt15iterator_traitsISK_E10value_typeEPNSQ_ISL_E10value_typeEPSM_NS1_7vsmem_tEENKUlT_SK_SL_SM_E_clISE_PtSF_SF_EESJ_SZ_SK_SL_SM_EUlSZ_E1_NS1_11comp_targetILNS1_3genE9ELNS1_11target_archE1100ELNS1_3gpuE3ELNS1_3repE0EEENS1_36merge_oddeven_config_static_selectorELNS0_4arch9wavefront6targetE1EEEvSL_: ; @_ZN7rocprim17ROCPRIM_400000_NS6detail17trampoline_kernelINS0_14default_configENS1_38merge_sort_block_merge_config_selectorItNS0_10empty_typeEEEZZNS1_27merge_sort_block_merge_implIS3_N6thrust23THRUST_200600_302600_NS6detail15normal_iteratorINS9_10device_ptrItEEEEPS5_jNS1_19radix_merge_compareILb0ELb1EtNS0_19identity_decomposerEEEEE10hipError_tT0_T1_T2_jT3_P12ihipStream_tbPNSt15iterator_traitsISK_E10value_typeEPNSQ_ISL_E10value_typeEPSM_NS1_7vsmem_tEENKUlT_SK_SL_SM_E_clISE_PtSF_SF_EESJ_SZ_SK_SL_SM_EUlSZ_E1_NS1_11comp_targetILNS1_3genE9ELNS1_11target_archE1100ELNS1_3gpuE3ELNS1_3repE0EEENS1_36merge_oddeven_config_static_selectorELNS0_4arch9wavefront6targetE1EEEvSL_
; %bb.0:
	.section	.rodata,"a",@progbits
	.p2align	6, 0x0
	.amdhsa_kernel _ZN7rocprim17ROCPRIM_400000_NS6detail17trampoline_kernelINS0_14default_configENS1_38merge_sort_block_merge_config_selectorItNS0_10empty_typeEEEZZNS1_27merge_sort_block_merge_implIS3_N6thrust23THRUST_200600_302600_NS6detail15normal_iteratorINS9_10device_ptrItEEEEPS5_jNS1_19radix_merge_compareILb0ELb1EtNS0_19identity_decomposerEEEEE10hipError_tT0_T1_T2_jT3_P12ihipStream_tbPNSt15iterator_traitsISK_E10value_typeEPNSQ_ISL_E10value_typeEPSM_NS1_7vsmem_tEENKUlT_SK_SL_SM_E_clISE_PtSF_SF_EESJ_SZ_SK_SL_SM_EUlSZ_E1_NS1_11comp_targetILNS1_3genE9ELNS1_11target_archE1100ELNS1_3gpuE3ELNS1_3repE0EEENS1_36merge_oddeven_config_static_selectorELNS0_4arch9wavefront6targetE1EEEvSL_
		.amdhsa_group_segment_fixed_size 0
		.amdhsa_private_segment_fixed_size 0
		.amdhsa_kernarg_size 48
		.amdhsa_user_sgpr_count 6
		.amdhsa_user_sgpr_private_segment_buffer 1
		.amdhsa_user_sgpr_dispatch_ptr 0
		.amdhsa_user_sgpr_queue_ptr 0
		.amdhsa_user_sgpr_kernarg_segment_ptr 1
		.amdhsa_user_sgpr_dispatch_id 0
		.amdhsa_user_sgpr_flat_scratch_init 0
		.amdhsa_user_sgpr_kernarg_preload_length 0
		.amdhsa_user_sgpr_kernarg_preload_offset 0
		.amdhsa_user_sgpr_private_segment_size 0
		.amdhsa_uses_dynamic_stack 0
		.amdhsa_system_sgpr_private_segment_wavefront_offset 0
		.amdhsa_system_sgpr_workgroup_id_x 1
		.amdhsa_system_sgpr_workgroup_id_y 0
		.amdhsa_system_sgpr_workgroup_id_z 0
		.amdhsa_system_sgpr_workgroup_info 0
		.amdhsa_system_vgpr_workitem_id 0
		.amdhsa_next_free_vgpr 1
		.amdhsa_next_free_sgpr 0
		.amdhsa_accum_offset 4
		.amdhsa_reserve_vcc 0
		.amdhsa_reserve_flat_scratch 0
		.amdhsa_float_round_mode_32 0
		.amdhsa_float_round_mode_16_64 0
		.amdhsa_float_denorm_mode_32 3
		.amdhsa_float_denorm_mode_16_64 3
		.amdhsa_dx10_clamp 1
		.amdhsa_ieee_mode 1
		.amdhsa_fp16_overflow 0
		.amdhsa_tg_split 0
		.amdhsa_exception_fp_ieee_invalid_op 0
		.amdhsa_exception_fp_denorm_src 0
		.amdhsa_exception_fp_ieee_div_zero 0
		.amdhsa_exception_fp_ieee_overflow 0
		.amdhsa_exception_fp_ieee_underflow 0
		.amdhsa_exception_fp_ieee_inexact 0
		.amdhsa_exception_int_div_zero 0
	.end_amdhsa_kernel
	.section	.text._ZN7rocprim17ROCPRIM_400000_NS6detail17trampoline_kernelINS0_14default_configENS1_38merge_sort_block_merge_config_selectorItNS0_10empty_typeEEEZZNS1_27merge_sort_block_merge_implIS3_N6thrust23THRUST_200600_302600_NS6detail15normal_iteratorINS9_10device_ptrItEEEEPS5_jNS1_19radix_merge_compareILb0ELb1EtNS0_19identity_decomposerEEEEE10hipError_tT0_T1_T2_jT3_P12ihipStream_tbPNSt15iterator_traitsISK_E10value_typeEPNSQ_ISL_E10value_typeEPSM_NS1_7vsmem_tEENKUlT_SK_SL_SM_E_clISE_PtSF_SF_EESJ_SZ_SK_SL_SM_EUlSZ_E1_NS1_11comp_targetILNS1_3genE9ELNS1_11target_archE1100ELNS1_3gpuE3ELNS1_3repE0EEENS1_36merge_oddeven_config_static_selectorELNS0_4arch9wavefront6targetE1EEEvSL_,"axG",@progbits,_ZN7rocprim17ROCPRIM_400000_NS6detail17trampoline_kernelINS0_14default_configENS1_38merge_sort_block_merge_config_selectorItNS0_10empty_typeEEEZZNS1_27merge_sort_block_merge_implIS3_N6thrust23THRUST_200600_302600_NS6detail15normal_iteratorINS9_10device_ptrItEEEEPS5_jNS1_19radix_merge_compareILb0ELb1EtNS0_19identity_decomposerEEEEE10hipError_tT0_T1_T2_jT3_P12ihipStream_tbPNSt15iterator_traitsISK_E10value_typeEPNSQ_ISL_E10value_typeEPSM_NS1_7vsmem_tEENKUlT_SK_SL_SM_E_clISE_PtSF_SF_EESJ_SZ_SK_SL_SM_EUlSZ_E1_NS1_11comp_targetILNS1_3genE9ELNS1_11target_archE1100ELNS1_3gpuE3ELNS1_3repE0EEENS1_36merge_oddeven_config_static_selectorELNS0_4arch9wavefront6targetE1EEEvSL_,comdat
.Lfunc_end1309:
	.size	_ZN7rocprim17ROCPRIM_400000_NS6detail17trampoline_kernelINS0_14default_configENS1_38merge_sort_block_merge_config_selectorItNS0_10empty_typeEEEZZNS1_27merge_sort_block_merge_implIS3_N6thrust23THRUST_200600_302600_NS6detail15normal_iteratorINS9_10device_ptrItEEEEPS5_jNS1_19radix_merge_compareILb0ELb1EtNS0_19identity_decomposerEEEEE10hipError_tT0_T1_T2_jT3_P12ihipStream_tbPNSt15iterator_traitsISK_E10value_typeEPNSQ_ISL_E10value_typeEPSM_NS1_7vsmem_tEENKUlT_SK_SL_SM_E_clISE_PtSF_SF_EESJ_SZ_SK_SL_SM_EUlSZ_E1_NS1_11comp_targetILNS1_3genE9ELNS1_11target_archE1100ELNS1_3gpuE3ELNS1_3repE0EEENS1_36merge_oddeven_config_static_selectorELNS0_4arch9wavefront6targetE1EEEvSL_, .Lfunc_end1309-_ZN7rocprim17ROCPRIM_400000_NS6detail17trampoline_kernelINS0_14default_configENS1_38merge_sort_block_merge_config_selectorItNS0_10empty_typeEEEZZNS1_27merge_sort_block_merge_implIS3_N6thrust23THRUST_200600_302600_NS6detail15normal_iteratorINS9_10device_ptrItEEEEPS5_jNS1_19radix_merge_compareILb0ELb1EtNS0_19identity_decomposerEEEEE10hipError_tT0_T1_T2_jT3_P12ihipStream_tbPNSt15iterator_traitsISK_E10value_typeEPNSQ_ISL_E10value_typeEPSM_NS1_7vsmem_tEENKUlT_SK_SL_SM_E_clISE_PtSF_SF_EESJ_SZ_SK_SL_SM_EUlSZ_E1_NS1_11comp_targetILNS1_3genE9ELNS1_11target_archE1100ELNS1_3gpuE3ELNS1_3repE0EEENS1_36merge_oddeven_config_static_selectorELNS0_4arch9wavefront6targetE1EEEvSL_
                                        ; -- End function
	.section	.AMDGPU.csdata,"",@progbits
; Kernel info:
; codeLenInByte = 0
; NumSgprs: 4
; NumVgprs: 0
; NumAgprs: 0
; TotalNumVgprs: 0
; ScratchSize: 0
; MemoryBound: 0
; FloatMode: 240
; IeeeMode: 1
; LDSByteSize: 0 bytes/workgroup (compile time only)
; SGPRBlocks: 0
; VGPRBlocks: 0
; NumSGPRsForWavesPerEU: 4
; NumVGPRsForWavesPerEU: 1
; AccumOffset: 4
; Occupancy: 8
; WaveLimiterHint : 0
; COMPUTE_PGM_RSRC2:SCRATCH_EN: 0
; COMPUTE_PGM_RSRC2:USER_SGPR: 6
; COMPUTE_PGM_RSRC2:TRAP_HANDLER: 0
; COMPUTE_PGM_RSRC2:TGID_X_EN: 1
; COMPUTE_PGM_RSRC2:TGID_Y_EN: 0
; COMPUTE_PGM_RSRC2:TGID_Z_EN: 0
; COMPUTE_PGM_RSRC2:TIDIG_COMP_CNT: 0
; COMPUTE_PGM_RSRC3_GFX90A:ACCUM_OFFSET: 0
; COMPUTE_PGM_RSRC3_GFX90A:TG_SPLIT: 0
	.section	.text._ZN7rocprim17ROCPRIM_400000_NS6detail17trampoline_kernelINS0_14default_configENS1_38merge_sort_block_merge_config_selectorItNS0_10empty_typeEEEZZNS1_27merge_sort_block_merge_implIS3_N6thrust23THRUST_200600_302600_NS6detail15normal_iteratorINS9_10device_ptrItEEEEPS5_jNS1_19radix_merge_compareILb0ELb1EtNS0_19identity_decomposerEEEEE10hipError_tT0_T1_T2_jT3_P12ihipStream_tbPNSt15iterator_traitsISK_E10value_typeEPNSQ_ISL_E10value_typeEPSM_NS1_7vsmem_tEENKUlT_SK_SL_SM_E_clISE_PtSF_SF_EESJ_SZ_SK_SL_SM_EUlSZ_E1_NS1_11comp_targetILNS1_3genE8ELNS1_11target_archE1030ELNS1_3gpuE2ELNS1_3repE0EEENS1_36merge_oddeven_config_static_selectorELNS0_4arch9wavefront6targetE1EEEvSL_,"axG",@progbits,_ZN7rocprim17ROCPRIM_400000_NS6detail17trampoline_kernelINS0_14default_configENS1_38merge_sort_block_merge_config_selectorItNS0_10empty_typeEEEZZNS1_27merge_sort_block_merge_implIS3_N6thrust23THRUST_200600_302600_NS6detail15normal_iteratorINS9_10device_ptrItEEEEPS5_jNS1_19radix_merge_compareILb0ELb1EtNS0_19identity_decomposerEEEEE10hipError_tT0_T1_T2_jT3_P12ihipStream_tbPNSt15iterator_traitsISK_E10value_typeEPNSQ_ISL_E10value_typeEPSM_NS1_7vsmem_tEENKUlT_SK_SL_SM_E_clISE_PtSF_SF_EESJ_SZ_SK_SL_SM_EUlSZ_E1_NS1_11comp_targetILNS1_3genE8ELNS1_11target_archE1030ELNS1_3gpuE2ELNS1_3repE0EEENS1_36merge_oddeven_config_static_selectorELNS0_4arch9wavefront6targetE1EEEvSL_,comdat
	.protected	_ZN7rocprim17ROCPRIM_400000_NS6detail17trampoline_kernelINS0_14default_configENS1_38merge_sort_block_merge_config_selectorItNS0_10empty_typeEEEZZNS1_27merge_sort_block_merge_implIS3_N6thrust23THRUST_200600_302600_NS6detail15normal_iteratorINS9_10device_ptrItEEEEPS5_jNS1_19radix_merge_compareILb0ELb1EtNS0_19identity_decomposerEEEEE10hipError_tT0_T1_T2_jT3_P12ihipStream_tbPNSt15iterator_traitsISK_E10value_typeEPNSQ_ISL_E10value_typeEPSM_NS1_7vsmem_tEENKUlT_SK_SL_SM_E_clISE_PtSF_SF_EESJ_SZ_SK_SL_SM_EUlSZ_E1_NS1_11comp_targetILNS1_3genE8ELNS1_11target_archE1030ELNS1_3gpuE2ELNS1_3repE0EEENS1_36merge_oddeven_config_static_selectorELNS0_4arch9wavefront6targetE1EEEvSL_ ; -- Begin function _ZN7rocprim17ROCPRIM_400000_NS6detail17trampoline_kernelINS0_14default_configENS1_38merge_sort_block_merge_config_selectorItNS0_10empty_typeEEEZZNS1_27merge_sort_block_merge_implIS3_N6thrust23THRUST_200600_302600_NS6detail15normal_iteratorINS9_10device_ptrItEEEEPS5_jNS1_19radix_merge_compareILb0ELb1EtNS0_19identity_decomposerEEEEE10hipError_tT0_T1_T2_jT3_P12ihipStream_tbPNSt15iterator_traitsISK_E10value_typeEPNSQ_ISL_E10value_typeEPSM_NS1_7vsmem_tEENKUlT_SK_SL_SM_E_clISE_PtSF_SF_EESJ_SZ_SK_SL_SM_EUlSZ_E1_NS1_11comp_targetILNS1_3genE8ELNS1_11target_archE1030ELNS1_3gpuE2ELNS1_3repE0EEENS1_36merge_oddeven_config_static_selectorELNS0_4arch9wavefront6targetE1EEEvSL_
	.globl	_ZN7rocprim17ROCPRIM_400000_NS6detail17trampoline_kernelINS0_14default_configENS1_38merge_sort_block_merge_config_selectorItNS0_10empty_typeEEEZZNS1_27merge_sort_block_merge_implIS3_N6thrust23THRUST_200600_302600_NS6detail15normal_iteratorINS9_10device_ptrItEEEEPS5_jNS1_19radix_merge_compareILb0ELb1EtNS0_19identity_decomposerEEEEE10hipError_tT0_T1_T2_jT3_P12ihipStream_tbPNSt15iterator_traitsISK_E10value_typeEPNSQ_ISL_E10value_typeEPSM_NS1_7vsmem_tEENKUlT_SK_SL_SM_E_clISE_PtSF_SF_EESJ_SZ_SK_SL_SM_EUlSZ_E1_NS1_11comp_targetILNS1_3genE8ELNS1_11target_archE1030ELNS1_3gpuE2ELNS1_3repE0EEENS1_36merge_oddeven_config_static_selectorELNS0_4arch9wavefront6targetE1EEEvSL_
	.p2align	8
	.type	_ZN7rocprim17ROCPRIM_400000_NS6detail17trampoline_kernelINS0_14default_configENS1_38merge_sort_block_merge_config_selectorItNS0_10empty_typeEEEZZNS1_27merge_sort_block_merge_implIS3_N6thrust23THRUST_200600_302600_NS6detail15normal_iteratorINS9_10device_ptrItEEEEPS5_jNS1_19radix_merge_compareILb0ELb1EtNS0_19identity_decomposerEEEEE10hipError_tT0_T1_T2_jT3_P12ihipStream_tbPNSt15iterator_traitsISK_E10value_typeEPNSQ_ISL_E10value_typeEPSM_NS1_7vsmem_tEENKUlT_SK_SL_SM_E_clISE_PtSF_SF_EESJ_SZ_SK_SL_SM_EUlSZ_E1_NS1_11comp_targetILNS1_3genE8ELNS1_11target_archE1030ELNS1_3gpuE2ELNS1_3repE0EEENS1_36merge_oddeven_config_static_selectorELNS0_4arch9wavefront6targetE1EEEvSL_,@function
_ZN7rocprim17ROCPRIM_400000_NS6detail17trampoline_kernelINS0_14default_configENS1_38merge_sort_block_merge_config_selectorItNS0_10empty_typeEEEZZNS1_27merge_sort_block_merge_implIS3_N6thrust23THRUST_200600_302600_NS6detail15normal_iteratorINS9_10device_ptrItEEEEPS5_jNS1_19radix_merge_compareILb0ELb1EtNS0_19identity_decomposerEEEEE10hipError_tT0_T1_T2_jT3_P12ihipStream_tbPNSt15iterator_traitsISK_E10value_typeEPNSQ_ISL_E10value_typeEPSM_NS1_7vsmem_tEENKUlT_SK_SL_SM_E_clISE_PtSF_SF_EESJ_SZ_SK_SL_SM_EUlSZ_E1_NS1_11comp_targetILNS1_3genE8ELNS1_11target_archE1030ELNS1_3gpuE2ELNS1_3repE0EEENS1_36merge_oddeven_config_static_selectorELNS0_4arch9wavefront6targetE1EEEvSL_: ; @_ZN7rocprim17ROCPRIM_400000_NS6detail17trampoline_kernelINS0_14default_configENS1_38merge_sort_block_merge_config_selectorItNS0_10empty_typeEEEZZNS1_27merge_sort_block_merge_implIS3_N6thrust23THRUST_200600_302600_NS6detail15normal_iteratorINS9_10device_ptrItEEEEPS5_jNS1_19radix_merge_compareILb0ELb1EtNS0_19identity_decomposerEEEEE10hipError_tT0_T1_T2_jT3_P12ihipStream_tbPNSt15iterator_traitsISK_E10value_typeEPNSQ_ISL_E10value_typeEPSM_NS1_7vsmem_tEENKUlT_SK_SL_SM_E_clISE_PtSF_SF_EESJ_SZ_SK_SL_SM_EUlSZ_E1_NS1_11comp_targetILNS1_3genE8ELNS1_11target_archE1030ELNS1_3gpuE2ELNS1_3repE0EEENS1_36merge_oddeven_config_static_selectorELNS0_4arch9wavefront6targetE1EEEvSL_
; %bb.0:
	.section	.rodata,"a",@progbits
	.p2align	6, 0x0
	.amdhsa_kernel _ZN7rocprim17ROCPRIM_400000_NS6detail17trampoline_kernelINS0_14default_configENS1_38merge_sort_block_merge_config_selectorItNS0_10empty_typeEEEZZNS1_27merge_sort_block_merge_implIS3_N6thrust23THRUST_200600_302600_NS6detail15normal_iteratorINS9_10device_ptrItEEEEPS5_jNS1_19radix_merge_compareILb0ELb1EtNS0_19identity_decomposerEEEEE10hipError_tT0_T1_T2_jT3_P12ihipStream_tbPNSt15iterator_traitsISK_E10value_typeEPNSQ_ISL_E10value_typeEPSM_NS1_7vsmem_tEENKUlT_SK_SL_SM_E_clISE_PtSF_SF_EESJ_SZ_SK_SL_SM_EUlSZ_E1_NS1_11comp_targetILNS1_3genE8ELNS1_11target_archE1030ELNS1_3gpuE2ELNS1_3repE0EEENS1_36merge_oddeven_config_static_selectorELNS0_4arch9wavefront6targetE1EEEvSL_
		.amdhsa_group_segment_fixed_size 0
		.amdhsa_private_segment_fixed_size 0
		.amdhsa_kernarg_size 48
		.amdhsa_user_sgpr_count 6
		.amdhsa_user_sgpr_private_segment_buffer 1
		.amdhsa_user_sgpr_dispatch_ptr 0
		.amdhsa_user_sgpr_queue_ptr 0
		.amdhsa_user_sgpr_kernarg_segment_ptr 1
		.amdhsa_user_sgpr_dispatch_id 0
		.amdhsa_user_sgpr_flat_scratch_init 0
		.amdhsa_user_sgpr_kernarg_preload_length 0
		.amdhsa_user_sgpr_kernarg_preload_offset 0
		.amdhsa_user_sgpr_private_segment_size 0
		.amdhsa_uses_dynamic_stack 0
		.amdhsa_system_sgpr_private_segment_wavefront_offset 0
		.amdhsa_system_sgpr_workgroup_id_x 1
		.amdhsa_system_sgpr_workgroup_id_y 0
		.amdhsa_system_sgpr_workgroup_id_z 0
		.amdhsa_system_sgpr_workgroup_info 0
		.amdhsa_system_vgpr_workitem_id 0
		.amdhsa_next_free_vgpr 1
		.amdhsa_next_free_sgpr 0
		.amdhsa_accum_offset 4
		.amdhsa_reserve_vcc 0
		.amdhsa_reserve_flat_scratch 0
		.amdhsa_float_round_mode_32 0
		.amdhsa_float_round_mode_16_64 0
		.amdhsa_float_denorm_mode_32 3
		.amdhsa_float_denorm_mode_16_64 3
		.amdhsa_dx10_clamp 1
		.amdhsa_ieee_mode 1
		.amdhsa_fp16_overflow 0
		.amdhsa_tg_split 0
		.amdhsa_exception_fp_ieee_invalid_op 0
		.amdhsa_exception_fp_denorm_src 0
		.amdhsa_exception_fp_ieee_div_zero 0
		.amdhsa_exception_fp_ieee_overflow 0
		.amdhsa_exception_fp_ieee_underflow 0
		.amdhsa_exception_fp_ieee_inexact 0
		.amdhsa_exception_int_div_zero 0
	.end_amdhsa_kernel
	.section	.text._ZN7rocprim17ROCPRIM_400000_NS6detail17trampoline_kernelINS0_14default_configENS1_38merge_sort_block_merge_config_selectorItNS0_10empty_typeEEEZZNS1_27merge_sort_block_merge_implIS3_N6thrust23THRUST_200600_302600_NS6detail15normal_iteratorINS9_10device_ptrItEEEEPS5_jNS1_19radix_merge_compareILb0ELb1EtNS0_19identity_decomposerEEEEE10hipError_tT0_T1_T2_jT3_P12ihipStream_tbPNSt15iterator_traitsISK_E10value_typeEPNSQ_ISL_E10value_typeEPSM_NS1_7vsmem_tEENKUlT_SK_SL_SM_E_clISE_PtSF_SF_EESJ_SZ_SK_SL_SM_EUlSZ_E1_NS1_11comp_targetILNS1_3genE8ELNS1_11target_archE1030ELNS1_3gpuE2ELNS1_3repE0EEENS1_36merge_oddeven_config_static_selectorELNS0_4arch9wavefront6targetE1EEEvSL_,"axG",@progbits,_ZN7rocprim17ROCPRIM_400000_NS6detail17trampoline_kernelINS0_14default_configENS1_38merge_sort_block_merge_config_selectorItNS0_10empty_typeEEEZZNS1_27merge_sort_block_merge_implIS3_N6thrust23THRUST_200600_302600_NS6detail15normal_iteratorINS9_10device_ptrItEEEEPS5_jNS1_19radix_merge_compareILb0ELb1EtNS0_19identity_decomposerEEEEE10hipError_tT0_T1_T2_jT3_P12ihipStream_tbPNSt15iterator_traitsISK_E10value_typeEPNSQ_ISL_E10value_typeEPSM_NS1_7vsmem_tEENKUlT_SK_SL_SM_E_clISE_PtSF_SF_EESJ_SZ_SK_SL_SM_EUlSZ_E1_NS1_11comp_targetILNS1_3genE8ELNS1_11target_archE1030ELNS1_3gpuE2ELNS1_3repE0EEENS1_36merge_oddeven_config_static_selectorELNS0_4arch9wavefront6targetE1EEEvSL_,comdat
.Lfunc_end1310:
	.size	_ZN7rocprim17ROCPRIM_400000_NS6detail17trampoline_kernelINS0_14default_configENS1_38merge_sort_block_merge_config_selectorItNS0_10empty_typeEEEZZNS1_27merge_sort_block_merge_implIS3_N6thrust23THRUST_200600_302600_NS6detail15normal_iteratorINS9_10device_ptrItEEEEPS5_jNS1_19radix_merge_compareILb0ELb1EtNS0_19identity_decomposerEEEEE10hipError_tT0_T1_T2_jT3_P12ihipStream_tbPNSt15iterator_traitsISK_E10value_typeEPNSQ_ISL_E10value_typeEPSM_NS1_7vsmem_tEENKUlT_SK_SL_SM_E_clISE_PtSF_SF_EESJ_SZ_SK_SL_SM_EUlSZ_E1_NS1_11comp_targetILNS1_3genE8ELNS1_11target_archE1030ELNS1_3gpuE2ELNS1_3repE0EEENS1_36merge_oddeven_config_static_selectorELNS0_4arch9wavefront6targetE1EEEvSL_, .Lfunc_end1310-_ZN7rocprim17ROCPRIM_400000_NS6detail17trampoline_kernelINS0_14default_configENS1_38merge_sort_block_merge_config_selectorItNS0_10empty_typeEEEZZNS1_27merge_sort_block_merge_implIS3_N6thrust23THRUST_200600_302600_NS6detail15normal_iteratorINS9_10device_ptrItEEEEPS5_jNS1_19radix_merge_compareILb0ELb1EtNS0_19identity_decomposerEEEEE10hipError_tT0_T1_T2_jT3_P12ihipStream_tbPNSt15iterator_traitsISK_E10value_typeEPNSQ_ISL_E10value_typeEPSM_NS1_7vsmem_tEENKUlT_SK_SL_SM_E_clISE_PtSF_SF_EESJ_SZ_SK_SL_SM_EUlSZ_E1_NS1_11comp_targetILNS1_3genE8ELNS1_11target_archE1030ELNS1_3gpuE2ELNS1_3repE0EEENS1_36merge_oddeven_config_static_selectorELNS0_4arch9wavefront6targetE1EEEvSL_
                                        ; -- End function
	.section	.AMDGPU.csdata,"",@progbits
; Kernel info:
; codeLenInByte = 0
; NumSgprs: 4
; NumVgprs: 0
; NumAgprs: 0
; TotalNumVgprs: 0
; ScratchSize: 0
; MemoryBound: 0
; FloatMode: 240
; IeeeMode: 1
; LDSByteSize: 0 bytes/workgroup (compile time only)
; SGPRBlocks: 0
; VGPRBlocks: 0
; NumSGPRsForWavesPerEU: 4
; NumVGPRsForWavesPerEU: 1
; AccumOffset: 4
; Occupancy: 8
; WaveLimiterHint : 0
; COMPUTE_PGM_RSRC2:SCRATCH_EN: 0
; COMPUTE_PGM_RSRC2:USER_SGPR: 6
; COMPUTE_PGM_RSRC2:TRAP_HANDLER: 0
; COMPUTE_PGM_RSRC2:TGID_X_EN: 1
; COMPUTE_PGM_RSRC2:TGID_Y_EN: 0
; COMPUTE_PGM_RSRC2:TGID_Z_EN: 0
; COMPUTE_PGM_RSRC2:TIDIG_COMP_CNT: 0
; COMPUTE_PGM_RSRC3_GFX90A:ACCUM_OFFSET: 0
; COMPUTE_PGM_RSRC3_GFX90A:TG_SPLIT: 0
	.section	.text._ZN7rocprim17ROCPRIM_400000_NS6detail17trampoline_kernelINS0_14default_configENS1_35radix_sort_onesweep_config_selectorItNS0_10empty_typeEEEZNS1_34radix_sort_onesweep_global_offsetsIS3_Lb0EN6thrust23THRUST_200600_302600_NS6detail15normal_iteratorINS9_10device_ptrItEEEEPS5_jNS0_19identity_decomposerEEE10hipError_tT1_T2_PT3_SK_jT4_jjP12ihipStream_tbEUlT_E_NS1_11comp_targetILNS1_3genE0ELNS1_11target_archE4294967295ELNS1_3gpuE0ELNS1_3repE0EEENS1_52radix_sort_onesweep_histogram_config_static_selectorELNS0_4arch9wavefront6targetE1EEEvSI_,"axG",@progbits,_ZN7rocprim17ROCPRIM_400000_NS6detail17trampoline_kernelINS0_14default_configENS1_35radix_sort_onesweep_config_selectorItNS0_10empty_typeEEEZNS1_34radix_sort_onesweep_global_offsetsIS3_Lb0EN6thrust23THRUST_200600_302600_NS6detail15normal_iteratorINS9_10device_ptrItEEEEPS5_jNS0_19identity_decomposerEEE10hipError_tT1_T2_PT3_SK_jT4_jjP12ihipStream_tbEUlT_E_NS1_11comp_targetILNS1_3genE0ELNS1_11target_archE4294967295ELNS1_3gpuE0ELNS1_3repE0EEENS1_52radix_sort_onesweep_histogram_config_static_selectorELNS0_4arch9wavefront6targetE1EEEvSI_,comdat
	.protected	_ZN7rocprim17ROCPRIM_400000_NS6detail17trampoline_kernelINS0_14default_configENS1_35radix_sort_onesweep_config_selectorItNS0_10empty_typeEEEZNS1_34radix_sort_onesweep_global_offsetsIS3_Lb0EN6thrust23THRUST_200600_302600_NS6detail15normal_iteratorINS9_10device_ptrItEEEEPS5_jNS0_19identity_decomposerEEE10hipError_tT1_T2_PT3_SK_jT4_jjP12ihipStream_tbEUlT_E_NS1_11comp_targetILNS1_3genE0ELNS1_11target_archE4294967295ELNS1_3gpuE0ELNS1_3repE0EEENS1_52radix_sort_onesweep_histogram_config_static_selectorELNS0_4arch9wavefront6targetE1EEEvSI_ ; -- Begin function _ZN7rocprim17ROCPRIM_400000_NS6detail17trampoline_kernelINS0_14default_configENS1_35radix_sort_onesweep_config_selectorItNS0_10empty_typeEEEZNS1_34radix_sort_onesweep_global_offsetsIS3_Lb0EN6thrust23THRUST_200600_302600_NS6detail15normal_iteratorINS9_10device_ptrItEEEEPS5_jNS0_19identity_decomposerEEE10hipError_tT1_T2_PT3_SK_jT4_jjP12ihipStream_tbEUlT_E_NS1_11comp_targetILNS1_3genE0ELNS1_11target_archE4294967295ELNS1_3gpuE0ELNS1_3repE0EEENS1_52radix_sort_onesweep_histogram_config_static_selectorELNS0_4arch9wavefront6targetE1EEEvSI_
	.globl	_ZN7rocprim17ROCPRIM_400000_NS6detail17trampoline_kernelINS0_14default_configENS1_35radix_sort_onesweep_config_selectorItNS0_10empty_typeEEEZNS1_34radix_sort_onesweep_global_offsetsIS3_Lb0EN6thrust23THRUST_200600_302600_NS6detail15normal_iteratorINS9_10device_ptrItEEEEPS5_jNS0_19identity_decomposerEEE10hipError_tT1_T2_PT3_SK_jT4_jjP12ihipStream_tbEUlT_E_NS1_11comp_targetILNS1_3genE0ELNS1_11target_archE4294967295ELNS1_3gpuE0ELNS1_3repE0EEENS1_52radix_sort_onesweep_histogram_config_static_selectorELNS0_4arch9wavefront6targetE1EEEvSI_
	.p2align	8
	.type	_ZN7rocprim17ROCPRIM_400000_NS6detail17trampoline_kernelINS0_14default_configENS1_35radix_sort_onesweep_config_selectorItNS0_10empty_typeEEEZNS1_34radix_sort_onesweep_global_offsetsIS3_Lb0EN6thrust23THRUST_200600_302600_NS6detail15normal_iteratorINS9_10device_ptrItEEEEPS5_jNS0_19identity_decomposerEEE10hipError_tT1_T2_PT3_SK_jT4_jjP12ihipStream_tbEUlT_E_NS1_11comp_targetILNS1_3genE0ELNS1_11target_archE4294967295ELNS1_3gpuE0ELNS1_3repE0EEENS1_52radix_sort_onesweep_histogram_config_static_selectorELNS0_4arch9wavefront6targetE1EEEvSI_,@function
_ZN7rocprim17ROCPRIM_400000_NS6detail17trampoline_kernelINS0_14default_configENS1_35radix_sort_onesweep_config_selectorItNS0_10empty_typeEEEZNS1_34radix_sort_onesweep_global_offsetsIS3_Lb0EN6thrust23THRUST_200600_302600_NS6detail15normal_iteratorINS9_10device_ptrItEEEEPS5_jNS0_19identity_decomposerEEE10hipError_tT1_T2_PT3_SK_jT4_jjP12ihipStream_tbEUlT_E_NS1_11comp_targetILNS1_3genE0ELNS1_11target_archE4294967295ELNS1_3gpuE0ELNS1_3repE0EEENS1_52radix_sort_onesweep_histogram_config_static_selectorELNS0_4arch9wavefront6targetE1EEEvSI_: ; @_ZN7rocprim17ROCPRIM_400000_NS6detail17trampoline_kernelINS0_14default_configENS1_35radix_sort_onesweep_config_selectorItNS0_10empty_typeEEEZNS1_34radix_sort_onesweep_global_offsetsIS3_Lb0EN6thrust23THRUST_200600_302600_NS6detail15normal_iteratorINS9_10device_ptrItEEEEPS5_jNS0_19identity_decomposerEEE10hipError_tT1_T2_PT3_SK_jT4_jjP12ihipStream_tbEUlT_E_NS1_11comp_targetILNS1_3genE0ELNS1_11target_archE4294967295ELNS1_3gpuE0ELNS1_3repE0EEENS1_52radix_sort_onesweep_histogram_config_static_selectorELNS0_4arch9wavefront6targetE1EEEvSI_
; %bb.0:
	.section	.rodata,"a",@progbits
	.p2align	6, 0x0
	.amdhsa_kernel _ZN7rocprim17ROCPRIM_400000_NS6detail17trampoline_kernelINS0_14default_configENS1_35radix_sort_onesweep_config_selectorItNS0_10empty_typeEEEZNS1_34radix_sort_onesweep_global_offsetsIS3_Lb0EN6thrust23THRUST_200600_302600_NS6detail15normal_iteratorINS9_10device_ptrItEEEEPS5_jNS0_19identity_decomposerEEE10hipError_tT1_T2_PT3_SK_jT4_jjP12ihipStream_tbEUlT_E_NS1_11comp_targetILNS1_3genE0ELNS1_11target_archE4294967295ELNS1_3gpuE0ELNS1_3repE0EEENS1_52radix_sort_onesweep_histogram_config_static_selectorELNS0_4arch9wavefront6targetE1EEEvSI_
		.amdhsa_group_segment_fixed_size 0
		.amdhsa_private_segment_fixed_size 0
		.amdhsa_kernarg_size 40
		.amdhsa_user_sgpr_count 6
		.amdhsa_user_sgpr_private_segment_buffer 1
		.amdhsa_user_sgpr_dispatch_ptr 0
		.amdhsa_user_sgpr_queue_ptr 0
		.amdhsa_user_sgpr_kernarg_segment_ptr 1
		.amdhsa_user_sgpr_dispatch_id 0
		.amdhsa_user_sgpr_flat_scratch_init 0
		.amdhsa_user_sgpr_kernarg_preload_length 0
		.amdhsa_user_sgpr_kernarg_preload_offset 0
		.amdhsa_user_sgpr_private_segment_size 0
		.amdhsa_uses_dynamic_stack 0
		.amdhsa_system_sgpr_private_segment_wavefront_offset 0
		.amdhsa_system_sgpr_workgroup_id_x 1
		.amdhsa_system_sgpr_workgroup_id_y 0
		.amdhsa_system_sgpr_workgroup_id_z 0
		.amdhsa_system_sgpr_workgroup_info 0
		.amdhsa_system_vgpr_workitem_id 0
		.amdhsa_next_free_vgpr 1
		.amdhsa_next_free_sgpr 0
		.amdhsa_accum_offset 4
		.amdhsa_reserve_vcc 0
		.amdhsa_reserve_flat_scratch 0
		.amdhsa_float_round_mode_32 0
		.amdhsa_float_round_mode_16_64 0
		.amdhsa_float_denorm_mode_32 3
		.amdhsa_float_denorm_mode_16_64 3
		.amdhsa_dx10_clamp 1
		.amdhsa_ieee_mode 1
		.amdhsa_fp16_overflow 0
		.amdhsa_tg_split 0
		.amdhsa_exception_fp_ieee_invalid_op 0
		.amdhsa_exception_fp_denorm_src 0
		.amdhsa_exception_fp_ieee_div_zero 0
		.amdhsa_exception_fp_ieee_overflow 0
		.amdhsa_exception_fp_ieee_underflow 0
		.amdhsa_exception_fp_ieee_inexact 0
		.amdhsa_exception_int_div_zero 0
	.end_amdhsa_kernel
	.section	.text._ZN7rocprim17ROCPRIM_400000_NS6detail17trampoline_kernelINS0_14default_configENS1_35radix_sort_onesweep_config_selectorItNS0_10empty_typeEEEZNS1_34radix_sort_onesweep_global_offsetsIS3_Lb0EN6thrust23THRUST_200600_302600_NS6detail15normal_iteratorINS9_10device_ptrItEEEEPS5_jNS0_19identity_decomposerEEE10hipError_tT1_T2_PT3_SK_jT4_jjP12ihipStream_tbEUlT_E_NS1_11comp_targetILNS1_3genE0ELNS1_11target_archE4294967295ELNS1_3gpuE0ELNS1_3repE0EEENS1_52radix_sort_onesweep_histogram_config_static_selectorELNS0_4arch9wavefront6targetE1EEEvSI_,"axG",@progbits,_ZN7rocprim17ROCPRIM_400000_NS6detail17trampoline_kernelINS0_14default_configENS1_35radix_sort_onesweep_config_selectorItNS0_10empty_typeEEEZNS1_34radix_sort_onesweep_global_offsetsIS3_Lb0EN6thrust23THRUST_200600_302600_NS6detail15normal_iteratorINS9_10device_ptrItEEEEPS5_jNS0_19identity_decomposerEEE10hipError_tT1_T2_PT3_SK_jT4_jjP12ihipStream_tbEUlT_E_NS1_11comp_targetILNS1_3genE0ELNS1_11target_archE4294967295ELNS1_3gpuE0ELNS1_3repE0EEENS1_52radix_sort_onesweep_histogram_config_static_selectorELNS0_4arch9wavefront6targetE1EEEvSI_,comdat
.Lfunc_end1311:
	.size	_ZN7rocprim17ROCPRIM_400000_NS6detail17trampoline_kernelINS0_14default_configENS1_35radix_sort_onesweep_config_selectorItNS0_10empty_typeEEEZNS1_34radix_sort_onesweep_global_offsetsIS3_Lb0EN6thrust23THRUST_200600_302600_NS6detail15normal_iteratorINS9_10device_ptrItEEEEPS5_jNS0_19identity_decomposerEEE10hipError_tT1_T2_PT3_SK_jT4_jjP12ihipStream_tbEUlT_E_NS1_11comp_targetILNS1_3genE0ELNS1_11target_archE4294967295ELNS1_3gpuE0ELNS1_3repE0EEENS1_52radix_sort_onesweep_histogram_config_static_selectorELNS0_4arch9wavefront6targetE1EEEvSI_, .Lfunc_end1311-_ZN7rocprim17ROCPRIM_400000_NS6detail17trampoline_kernelINS0_14default_configENS1_35radix_sort_onesweep_config_selectorItNS0_10empty_typeEEEZNS1_34radix_sort_onesweep_global_offsetsIS3_Lb0EN6thrust23THRUST_200600_302600_NS6detail15normal_iteratorINS9_10device_ptrItEEEEPS5_jNS0_19identity_decomposerEEE10hipError_tT1_T2_PT3_SK_jT4_jjP12ihipStream_tbEUlT_E_NS1_11comp_targetILNS1_3genE0ELNS1_11target_archE4294967295ELNS1_3gpuE0ELNS1_3repE0EEENS1_52radix_sort_onesweep_histogram_config_static_selectorELNS0_4arch9wavefront6targetE1EEEvSI_
                                        ; -- End function
	.section	.AMDGPU.csdata,"",@progbits
; Kernel info:
; codeLenInByte = 0
; NumSgprs: 4
; NumVgprs: 0
; NumAgprs: 0
; TotalNumVgprs: 0
; ScratchSize: 0
; MemoryBound: 0
; FloatMode: 240
; IeeeMode: 1
; LDSByteSize: 0 bytes/workgroup (compile time only)
; SGPRBlocks: 0
; VGPRBlocks: 0
; NumSGPRsForWavesPerEU: 4
; NumVGPRsForWavesPerEU: 1
; AccumOffset: 4
; Occupancy: 8
; WaveLimiterHint : 0
; COMPUTE_PGM_RSRC2:SCRATCH_EN: 0
; COMPUTE_PGM_RSRC2:USER_SGPR: 6
; COMPUTE_PGM_RSRC2:TRAP_HANDLER: 0
; COMPUTE_PGM_RSRC2:TGID_X_EN: 1
; COMPUTE_PGM_RSRC2:TGID_Y_EN: 0
; COMPUTE_PGM_RSRC2:TGID_Z_EN: 0
; COMPUTE_PGM_RSRC2:TIDIG_COMP_CNT: 0
; COMPUTE_PGM_RSRC3_GFX90A:ACCUM_OFFSET: 0
; COMPUTE_PGM_RSRC3_GFX90A:TG_SPLIT: 0
	.section	.text._ZN7rocprim17ROCPRIM_400000_NS6detail17trampoline_kernelINS0_14default_configENS1_35radix_sort_onesweep_config_selectorItNS0_10empty_typeEEEZNS1_34radix_sort_onesweep_global_offsetsIS3_Lb0EN6thrust23THRUST_200600_302600_NS6detail15normal_iteratorINS9_10device_ptrItEEEEPS5_jNS0_19identity_decomposerEEE10hipError_tT1_T2_PT3_SK_jT4_jjP12ihipStream_tbEUlT_E_NS1_11comp_targetILNS1_3genE6ELNS1_11target_archE950ELNS1_3gpuE13ELNS1_3repE0EEENS1_52radix_sort_onesweep_histogram_config_static_selectorELNS0_4arch9wavefront6targetE1EEEvSI_,"axG",@progbits,_ZN7rocprim17ROCPRIM_400000_NS6detail17trampoline_kernelINS0_14default_configENS1_35radix_sort_onesweep_config_selectorItNS0_10empty_typeEEEZNS1_34radix_sort_onesweep_global_offsetsIS3_Lb0EN6thrust23THRUST_200600_302600_NS6detail15normal_iteratorINS9_10device_ptrItEEEEPS5_jNS0_19identity_decomposerEEE10hipError_tT1_T2_PT3_SK_jT4_jjP12ihipStream_tbEUlT_E_NS1_11comp_targetILNS1_3genE6ELNS1_11target_archE950ELNS1_3gpuE13ELNS1_3repE0EEENS1_52radix_sort_onesweep_histogram_config_static_selectorELNS0_4arch9wavefront6targetE1EEEvSI_,comdat
	.protected	_ZN7rocprim17ROCPRIM_400000_NS6detail17trampoline_kernelINS0_14default_configENS1_35radix_sort_onesweep_config_selectorItNS0_10empty_typeEEEZNS1_34radix_sort_onesweep_global_offsetsIS3_Lb0EN6thrust23THRUST_200600_302600_NS6detail15normal_iteratorINS9_10device_ptrItEEEEPS5_jNS0_19identity_decomposerEEE10hipError_tT1_T2_PT3_SK_jT4_jjP12ihipStream_tbEUlT_E_NS1_11comp_targetILNS1_3genE6ELNS1_11target_archE950ELNS1_3gpuE13ELNS1_3repE0EEENS1_52radix_sort_onesweep_histogram_config_static_selectorELNS0_4arch9wavefront6targetE1EEEvSI_ ; -- Begin function _ZN7rocprim17ROCPRIM_400000_NS6detail17trampoline_kernelINS0_14default_configENS1_35radix_sort_onesweep_config_selectorItNS0_10empty_typeEEEZNS1_34radix_sort_onesweep_global_offsetsIS3_Lb0EN6thrust23THRUST_200600_302600_NS6detail15normal_iteratorINS9_10device_ptrItEEEEPS5_jNS0_19identity_decomposerEEE10hipError_tT1_T2_PT3_SK_jT4_jjP12ihipStream_tbEUlT_E_NS1_11comp_targetILNS1_3genE6ELNS1_11target_archE950ELNS1_3gpuE13ELNS1_3repE0EEENS1_52radix_sort_onesweep_histogram_config_static_selectorELNS0_4arch9wavefront6targetE1EEEvSI_
	.globl	_ZN7rocprim17ROCPRIM_400000_NS6detail17trampoline_kernelINS0_14default_configENS1_35radix_sort_onesweep_config_selectorItNS0_10empty_typeEEEZNS1_34radix_sort_onesweep_global_offsetsIS3_Lb0EN6thrust23THRUST_200600_302600_NS6detail15normal_iteratorINS9_10device_ptrItEEEEPS5_jNS0_19identity_decomposerEEE10hipError_tT1_T2_PT3_SK_jT4_jjP12ihipStream_tbEUlT_E_NS1_11comp_targetILNS1_3genE6ELNS1_11target_archE950ELNS1_3gpuE13ELNS1_3repE0EEENS1_52radix_sort_onesweep_histogram_config_static_selectorELNS0_4arch9wavefront6targetE1EEEvSI_
	.p2align	8
	.type	_ZN7rocprim17ROCPRIM_400000_NS6detail17trampoline_kernelINS0_14default_configENS1_35radix_sort_onesweep_config_selectorItNS0_10empty_typeEEEZNS1_34radix_sort_onesweep_global_offsetsIS3_Lb0EN6thrust23THRUST_200600_302600_NS6detail15normal_iteratorINS9_10device_ptrItEEEEPS5_jNS0_19identity_decomposerEEE10hipError_tT1_T2_PT3_SK_jT4_jjP12ihipStream_tbEUlT_E_NS1_11comp_targetILNS1_3genE6ELNS1_11target_archE950ELNS1_3gpuE13ELNS1_3repE0EEENS1_52radix_sort_onesweep_histogram_config_static_selectorELNS0_4arch9wavefront6targetE1EEEvSI_,@function
_ZN7rocprim17ROCPRIM_400000_NS6detail17trampoline_kernelINS0_14default_configENS1_35radix_sort_onesweep_config_selectorItNS0_10empty_typeEEEZNS1_34radix_sort_onesweep_global_offsetsIS3_Lb0EN6thrust23THRUST_200600_302600_NS6detail15normal_iteratorINS9_10device_ptrItEEEEPS5_jNS0_19identity_decomposerEEE10hipError_tT1_T2_PT3_SK_jT4_jjP12ihipStream_tbEUlT_E_NS1_11comp_targetILNS1_3genE6ELNS1_11target_archE950ELNS1_3gpuE13ELNS1_3repE0EEENS1_52radix_sort_onesweep_histogram_config_static_selectorELNS0_4arch9wavefront6targetE1EEEvSI_: ; @_ZN7rocprim17ROCPRIM_400000_NS6detail17trampoline_kernelINS0_14default_configENS1_35radix_sort_onesweep_config_selectorItNS0_10empty_typeEEEZNS1_34radix_sort_onesweep_global_offsetsIS3_Lb0EN6thrust23THRUST_200600_302600_NS6detail15normal_iteratorINS9_10device_ptrItEEEEPS5_jNS0_19identity_decomposerEEE10hipError_tT1_T2_PT3_SK_jT4_jjP12ihipStream_tbEUlT_E_NS1_11comp_targetILNS1_3genE6ELNS1_11target_archE950ELNS1_3gpuE13ELNS1_3repE0EEENS1_52radix_sort_onesweep_histogram_config_static_selectorELNS0_4arch9wavefront6targetE1EEEvSI_
; %bb.0:
	.section	.rodata,"a",@progbits
	.p2align	6, 0x0
	.amdhsa_kernel _ZN7rocprim17ROCPRIM_400000_NS6detail17trampoline_kernelINS0_14default_configENS1_35radix_sort_onesweep_config_selectorItNS0_10empty_typeEEEZNS1_34radix_sort_onesweep_global_offsetsIS3_Lb0EN6thrust23THRUST_200600_302600_NS6detail15normal_iteratorINS9_10device_ptrItEEEEPS5_jNS0_19identity_decomposerEEE10hipError_tT1_T2_PT3_SK_jT4_jjP12ihipStream_tbEUlT_E_NS1_11comp_targetILNS1_3genE6ELNS1_11target_archE950ELNS1_3gpuE13ELNS1_3repE0EEENS1_52radix_sort_onesweep_histogram_config_static_selectorELNS0_4arch9wavefront6targetE1EEEvSI_
		.amdhsa_group_segment_fixed_size 0
		.amdhsa_private_segment_fixed_size 0
		.amdhsa_kernarg_size 40
		.amdhsa_user_sgpr_count 6
		.amdhsa_user_sgpr_private_segment_buffer 1
		.amdhsa_user_sgpr_dispatch_ptr 0
		.amdhsa_user_sgpr_queue_ptr 0
		.amdhsa_user_sgpr_kernarg_segment_ptr 1
		.amdhsa_user_sgpr_dispatch_id 0
		.amdhsa_user_sgpr_flat_scratch_init 0
		.amdhsa_user_sgpr_kernarg_preload_length 0
		.amdhsa_user_sgpr_kernarg_preload_offset 0
		.amdhsa_user_sgpr_private_segment_size 0
		.amdhsa_uses_dynamic_stack 0
		.amdhsa_system_sgpr_private_segment_wavefront_offset 0
		.amdhsa_system_sgpr_workgroup_id_x 1
		.amdhsa_system_sgpr_workgroup_id_y 0
		.amdhsa_system_sgpr_workgroup_id_z 0
		.amdhsa_system_sgpr_workgroup_info 0
		.amdhsa_system_vgpr_workitem_id 0
		.amdhsa_next_free_vgpr 1
		.amdhsa_next_free_sgpr 0
		.amdhsa_accum_offset 4
		.amdhsa_reserve_vcc 0
		.amdhsa_reserve_flat_scratch 0
		.amdhsa_float_round_mode_32 0
		.amdhsa_float_round_mode_16_64 0
		.amdhsa_float_denorm_mode_32 3
		.amdhsa_float_denorm_mode_16_64 3
		.amdhsa_dx10_clamp 1
		.amdhsa_ieee_mode 1
		.amdhsa_fp16_overflow 0
		.amdhsa_tg_split 0
		.amdhsa_exception_fp_ieee_invalid_op 0
		.amdhsa_exception_fp_denorm_src 0
		.amdhsa_exception_fp_ieee_div_zero 0
		.amdhsa_exception_fp_ieee_overflow 0
		.amdhsa_exception_fp_ieee_underflow 0
		.amdhsa_exception_fp_ieee_inexact 0
		.amdhsa_exception_int_div_zero 0
	.end_amdhsa_kernel
	.section	.text._ZN7rocprim17ROCPRIM_400000_NS6detail17trampoline_kernelINS0_14default_configENS1_35radix_sort_onesweep_config_selectorItNS0_10empty_typeEEEZNS1_34radix_sort_onesweep_global_offsetsIS3_Lb0EN6thrust23THRUST_200600_302600_NS6detail15normal_iteratorINS9_10device_ptrItEEEEPS5_jNS0_19identity_decomposerEEE10hipError_tT1_T2_PT3_SK_jT4_jjP12ihipStream_tbEUlT_E_NS1_11comp_targetILNS1_3genE6ELNS1_11target_archE950ELNS1_3gpuE13ELNS1_3repE0EEENS1_52radix_sort_onesweep_histogram_config_static_selectorELNS0_4arch9wavefront6targetE1EEEvSI_,"axG",@progbits,_ZN7rocprim17ROCPRIM_400000_NS6detail17trampoline_kernelINS0_14default_configENS1_35radix_sort_onesweep_config_selectorItNS0_10empty_typeEEEZNS1_34radix_sort_onesweep_global_offsetsIS3_Lb0EN6thrust23THRUST_200600_302600_NS6detail15normal_iteratorINS9_10device_ptrItEEEEPS5_jNS0_19identity_decomposerEEE10hipError_tT1_T2_PT3_SK_jT4_jjP12ihipStream_tbEUlT_E_NS1_11comp_targetILNS1_3genE6ELNS1_11target_archE950ELNS1_3gpuE13ELNS1_3repE0EEENS1_52radix_sort_onesweep_histogram_config_static_selectorELNS0_4arch9wavefront6targetE1EEEvSI_,comdat
.Lfunc_end1312:
	.size	_ZN7rocprim17ROCPRIM_400000_NS6detail17trampoline_kernelINS0_14default_configENS1_35radix_sort_onesweep_config_selectorItNS0_10empty_typeEEEZNS1_34radix_sort_onesweep_global_offsetsIS3_Lb0EN6thrust23THRUST_200600_302600_NS6detail15normal_iteratorINS9_10device_ptrItEEEEPS5_jNS0_19identity_decomposerEEE10hipError_tT1_T2_PT3_SK_jT4_jjP12ihipStream_tbEUlT_E_NS1_11comp_targetILNS1_3genE6ELNS1_11target_archE950ELNS1_3gpuE13ELNS1_3repE0EEENS1_52radix_sort_onesweep_histogram_config_static_selectorELNS0_4arch9wavefront6targetE1EEEvSI_, .Lfunc_end1312-_ZN7rocprim17ROCPRIM_400000_NS6detail17trampoline_kernelINS0_14default_configENS1_35radix_sort_onesweep_config_selectorItNS0_10empty_typeEEEZNS1_34radix_sort_onesweep_global_offsetsIS3_Lb0EN6thrust23THRUST_200600_302600_NS6detail15normal_iteratorINS9_10device_ptrItEEEEPS5_jNS0_19identity_decomposerEEE10hipError_tT1_T2_PT3_SK_jT4_jjP12ihipStream_tbEUlT_E_NS1_11comp_targetILNS1_3genE6ELNS1_11target_archE950ELNS1_3gpuE13ELNS1_3repE0EEENS1_52radix_sort_onesweep_histogram_config_static_selectorELNS0_4arch9wavefront6targetE1EEEvSI_
                                        ; -- End function
	.section	.AMDGPU.csdata,"",@progbits
; Kernel info:
; codeLenInByte = 0
; NumSgprs: 4
; NumVgprs: 0
; NumAgprs: 0
; TotalNumVgprs: 0
; ScratchSize: 0
; MemoryBound: 0
; FloatMode: 240
; IeeeMode: 1
; LDSByteSize: 0 bytes/workgroup (compile time only)
; SGPRBlocks: 0
; VGPRBlocks: 0
; NumSGPRsForWavesPerEU: 4
; NumVGPRsForWavesPerEU: 1
; AccumOffset: 4
; Occupancy: 8
; WaveLimiterHint : 0
; COMPUTE_PGM_RSRC2:SCRATCH_EN: 0
; COMPUTE_PGM_RSRC2:USER_SGPR: 6
; COMPUTE_PGM_RSRC2:TRAP_HANDLER: 0
; COMPUTE_PGM_RSRC2:TGID_X_EN: 1
; COMPUTE_PGM_RSRC2:TGID_Y_EN: 0
; COMPUTE_PGM_RSRC2:TGID_Z_EN: 0
; COMPUTE_PGM_RSRC2:TIDIG_COMP_CNT: 0
; COMPUTE_PGM_RSRC3_GFX90A:ACCUM_OFFSET: 0
; COMPUTE_PGM_RSRC3_GFX90A:TG_SPLIT: 0
	.section	.text._ZN7rocprim17ROCPRIM_400000_NS6detail17trampoline_kernelINS0_14default_configENS1_35radix_sort_onesweep_config_selectorItNS0_10empty_typeEEEZNS1_34radix_sort_onesweep_global_offsetsIS3_Lb0EN6thrust23THRUST_200600_302600_NS6detail15normal_iteratorINS9_10device_ptrItEEEEPS5_jNS0_19identity_decomposerEEE10hipError_tT1_T2_PT3_SK_jT4_jjP12ihipStream_tbEUlT_E_NS1_11comp_targetILNS1_3genE5ELNS1_11target_archE942ELNS1_3gpuE9ELNS1_3repE0EEENS1_52radix_sort_onesweep_histogram_config_static_selectorELNS0_4arch9wavefront6targetE1EEEvSI_,"axG",@progbits,_ZN7rocprim17ROCPRIM_400000_NS6detail17trampoline_kernelINS0_14default_configENS1_35radix_sort_onesweep_config_selectorItNS0_10empty_typeEEEZNS1_34radix_sort_onesweep_global_offsetsIS3_Lb0EN6thrust23THRUST_200600_302600_NS6detail15normal_iteratorINS9_10device_ptrItEEEEPS5_jNS0_19identity_decomposerEEE10hipError_tT1_T2_PT3_SK_jT4_jjP12ihipStream_tbEUlT_E_NS1_11comp_targetILNS1_3genE5ELNS1_11target_archE942ELNS1_3gpuE9ELNS1_3repE0EEENS1_52radix_sort_onesweep_histogram_config_static_selectorELNS0_4arch9wavefront6targetE1EEEvSI_,comdat
	.protected	_ZN7rocprim17ROCPRIM_400000_NS6detail17trampoline_kernelINS0_14default_configENS1_35radix_sort_onesweep_config_selectorItNS0_10empty_typeEEEZNS1_34radix_sort_onesweep_global_offsetsIS3_Lb0EN6thrust23THRUST_200600_302600_NS6detail15normal_iteratorINS9_10device_ptrItEEEEPS5_jNS0_19identity_decomposerEEE10hipError_tT1_T2_PT3_SK_jT4_jjP12ihipStream_tbEUlT_E_NS1_11comp_targetILNS1_3genE5ELNS1_11target_archE942ELNS1_3gpuE9ELNS1_3repE0EEENS1_52radix_sort_onesweep_histogram_config_static_selectorELNS0_4arch9wavefront6targetE1EEEvSI_ ; -- Begin function _ZN7rocprim17ROCPRIM_400000_NS6detail17trampoline_kernelINS0_14default_configENS1_35radix_sort_onesweep_config_selectorItNS0_10empty_typeEEEZNS1_34radix_sort_onesweep_global_offsetsIS3_Lb0EN6thrust23THRUST_200600_302600_NS6detail15normal_iteratorINS9_10device_ptrItEEEEPS5_jNS0_19identity_decomposerEEE10hipError_tT1_T2_PT3_SK_jT4_jjP12ihipStream_tbEUlT_E_NS1_11comp_targetILNS1_3genE5ELNS1_11target_archE942ELNS1_3gpuE9ELNS1_3repE0EEENS1_52radix_sort_onesweep_histogram_config_static_selectorELNS0_4arch9wavefront6targetE1EEEvSI_
	.globl	_ZN7rocprim17ROCPRIM_400000_NS6detail17trampoline_kernelINS0_14default_configENS1_35radix_sort_onesweep_config_selectorItNS0_10empty_typeEEEZNS1_34radix_sort_onesweep_global_offsetsIS3_Lb0EN6thrust23THRUST_200600_302600_NS6detail15normal_iteratorINS9_10device_ptrItEEEEPS5_jNS0_19identity_decomposerEEE10hipError_tT1_T2_PT3_SK_jT4_jjP12ihipStream_tbEUlT_E_NS1_11comp_targetILNS1_3genE5ELNS1_11target_archE942ELNS1_3gpuE9ELNS1_3repE0EEENS1_52radix_sort_onesweep_histogram_config_static_selectorELNS0_4arch9wavefront6targetE1EEEvSI_
	.p2align	8
	.type	_ZN7rocprim17ROCPRIM_400000_NS6detail17trampoline_kernelINS0_14default_configENS1_35radix_sort_onesweep_config_selectorItNS0_10empty_typeEEEZNS1_34radix_sort_onesweep_global_offsetsIS3_Lb0EN6thrust23THRUST_200600_302600_NS6detail15normal_iteratorINS9_10device_ptrItEEEEPS5_jNS0_19identity_decomposerEEE10hipError_tT1_T2_PT3_SK_jT4_jjP12ihipStream_tbEUlT_E_NS1_11comp_targetILNS1_3genE5ELNS1_11target_archE942ELNS1_3gpuE9ELNS1_3repE0EEENS1_52radix_sort_onesweep_histogram_config_static_selectorELNS0_4arch9wavefront6targetE1EEEvSI_,@function
_ZN7rocprim17ROCPRIM_400000_NS6detail17trampoline_kernelINS0_14default_configENS1_35radix_sort_onesweep_config_selectorItNS0_10empty_typeEEEZNS1_34radix_sort_onesweep_global_offsetsIS3_Lb0EN6thrust23THRUST_200600_302600_NS6detail15normal_iteratorINS9_10device_ptrItEEEEPS5_jNS0_19identity_decomposerEEE10hipError_tT1_T2_PT3_SK_jT4_jjP12ihipStream_tbEUlT_E_NS1_11comp_targetILNS1_3genE5ELNS1_11target_archE942ELNS1_3gpuE9ELNS1_3repE0EEENS1_52radix_sort_onesweep_histogram_config_static_selectorELNS0_4arch9wavefront6targetE1EEEvSI_: ; @_ZN7rocprim17ROCPRIM_400000_NS6detail17trampoline_kernelINS0_14default_configENS1_35radix_sort_onesweep_config_selectorItNS0_10empty_typeEEEZNS1_34radix_sort_onesweep_global_offsetsIS3_Lb0EN6thrust23THRUST_200600_302600_NS6detail15normal_iteratorINS9_10device_ptrItEEEEPS5_jNS0_19identity_decomposerEEE10hipError_tT1_T2_PT3_SK_jT4_jjP12ihipStream_tbEUlT_E_NS1_11comp_targetILNS1_3genE5ELNS1_11target_archE942ELNS1_3gpuE9ELNS1_3repE0EEENS1_52radix_sort_onesweep_histogram_config_static_selectorELNS0_4arch9wavefront6targetE1EEEvSI_
; %bb.0:
	.section	.rodata,"a",@progbits
	.p2align	6, 0x0
	.amdhsa_kernel _ZN7rocprim17ROCPRIM_400000_NS6detail17trampoline_kernelINS0_14default_configENS1_35radix_sort_onesweep_config_selectorItNS0_10empty_typeEEEZNS1_34radix_sort_onesweep_global_offsetsIS3_Lb0EN6thrust23THRUST_200600_302600_NS6detail15normal_iteratorINS9_10device_ptrItEEEEPS5_jNS0_19identity_decomposerEEE10hipError_tT1_T2_PT3_SK_jT4_jjP12ihipStream_tbEUlT_E_NS1_11comp_targetILNS1_3genE5ELNS1_11target_archE942ELNS1_3gpuE9ELNS1_3repE0EEENS1_52radix_sort_onesweep_histogram_config_static_selectorELNS0_4arch9wavefront6targetE1EEEvSI_
		.amdhsa_group_segment_fixed_size 0
		.amdhsa_private_segment_fixed_size 0
		.amdhsa_kernarg_size 40
		.amdhsa_user_sgpr_count 6
		.amdhsa_user_sgpr_private_segment_buffer 1
		.amdhsa_user_sgpr_dispatch_ptr 0
		.amdhsa_user_sgpr_queue_ptr 0
		.amdhsa_user_sgpr_kernarg_segment_ptr 1
		.amdhsa_user_sgpr_dispatch_id 0
		.amdhsa_user_sgpr_flat_scratch_init 0
		.amdhsa_user_sgpr_kernarg_preload_length 0
		.amdhsa_user_sgpr_kernarg_preload_offset 0
		.amdhsa_user_sgpr_private_segment_size 0
		.amdhsa_uses_dynamic_stack 0
		.amdhsa_system_sgpr_private_segment_wavefront_offset 0
		.amdhsa_system_sgpr_workgroup_id_x 1
		.amdhsa_system_sgpr_workgroup_id_y 0
		.amdhsa_system_sgpr_workgroup_id_z 0
		.amdhsa_system_sgpr_workgroup_info 0
		.amdhsa_system_vgpr_workitem_id 0
		.amdhsa_next_free_vgpr 1
		.amdhsa_next_free_sgpr 0
		.amdhsa_accum_offset 4
		.amdhsa_reserve_vcc 0
		.amdhsa_reserve_flat_scratch 0
		.amdhsa_float_round_mode_32 0
		.amdhsa_float_round_mode_16_64 0
		.amdhsa_float_denorm_mode_32 3
		.amdhsa_float_denorm_mode_16_64 3
		.amdhsa_dx10_clamp 1
		.amdhsa_ieee_mode 1
		.amdhsa_fp16_overflow 0
		.amdhsa_tg_split 0
		.amdhsa_exception_fp_ieee_invalid_op 0
		.amdhsa_exception_fp_denorm_src 0
		.amdhsa_exception_fp_ieee_div_zero 0
		.amdhsa_exception_fp_ieee_overflow 0
		.amdhsa_exception_fp_ieee_underflow 0
		.amdhsa_exception_fp_ieee_inexact 0
		.amdhsa_exception_int_div_zero 0
	.end_amdhsa_kernel
	.section	.text._ZN7rocprim17ROCPRIM_400000_NS6detail17trampoline_kernelINS0_14default_configENS1_35radix_sort_onesweep_config_selectorItNS0_10empty_typeEEEZNS1_34radix_sort_onesweep_global_offsetsIS3_Lb0EN6thrust23THRUST_200600_302600_NS6detail15normal_iteratorINS9_10device_ptrItEEEEPS5_jNS0_19identity_decomposerEEE10hipError_tT1_T2_PT3_SK_jT4_jjP12ihipStream_tbEUlT_E_NS1_11comp_targetILNS1_3genE5ELNS1_11target_archE942ELNS1_3gpuE9ELNS1_3repE0EEENS1_52radix_sort_onesweep_histogram_config_static_selectorELNS0_4arch9wavefront6targetE1EEEvSI_,"axG",@progbits,_ZN7rocprim17ROCPRIM_400000_NS6detail17trampoline_kernelINS0_14default_configENS1_35radix_sort_onesweep_config_selectorItNS0_10empty_typeEEEZNS1_34radix_sort_onesweep_global_offsetsIS3_Lb0EN6thrust23THRUST_200600_302600_NS6detail15normal_iteratorINS9_10device_ptrItEEEEPS5_jNS0_19identity_decomposerEEE10hipError_tT1_T2_PT3_SK_jT4_jjP12ihipStream_tbEUlT_E_NS1_11comp_targetILNS1_3genE5ELNS1_11target_archE942ELNS1_3gpuE9ELNS1_3repE0EEENS1_52radix_sort_onesweep_histogram_config_static_selectorELNS0_4arch9wavefront6targetE1EEEvSI_,comdat
.Lfunc_end1313:
	.size	_ZN7rocprim17ROCPRIM_400000_NS6detail17trampoline_kernelINS0_14default_configENS1_35radix_sort_onesweep_config_selectorItNS0_10empty_typeEEEZNS1_34radix_sort_onesweep_global_offsetsIS3_Lb0EN6thrust23THRUST_200600_302600_NS6detail15normal_iteratorINS9_10device_ptrItEEEEPS5_jNS0_19identity_decomposerEEE10hipError_tT1_T2_PT3_SK_jT4_jjP12ihipStream_tbEUlT_E_NS1_11comp_targetILNS1_3genE5ELNS1_11target_archE942ELNS1_3gpuE9ELNS1_3repE0EEENS1_52radix_sort_onesweep_histogram_config_static_selectorELNS0_4arch9wavefront6targetE1EEEvSI_, .Lfunc_end1313-_ZN7rocprim17ROCPRIM_400000_NS6detail17trampoline_kernelINS0_14default_configENS1_35radix_sort_onesweep_config_selectorItNS0_10empty_typeEEEZNS1_34radix_sort_onesweep_global_offsetsIS3_Lb0EN6thrust23THRUST_200600_302600_NS6detail15normal_iteratorINS9_10device_ptrItEEEEPS5_jNS0_19identity_decomposerEEE10hipError_tT1_T2_PT3_SK_jT4_jjP12ihipStream_tbEUlT_E_NS1_11comp_targetILNS1_3genE5ELNS1_11target_archE942ELNS1_3gpuE9ELNS1_3repE0EEENS1_52radix_sort_onesweep_histogram_config_static_selectorELNS0_4arch9wavefront6targetE1EEEvSI_
                                        ; -- End function
	.section	.AMDGPU.csdata,"",@progbits
; Kernel info:
; codeLenInByte = 0
; NumSgprs: 4
; NumVgprs: 0
; NumAgprs: 0
; TotalNumVgprs: 0
; ScratchSize: 0
; MemoryBound: 0
; FloatMode: 240
; IeeeMode: 1
; LDSByteSize: 0 bytes/workgroup (compile time only)
; SGPRBlocks: 0
; VGPRBlocks: 0
; NumSGPRsForWavesPerEU: 4
; NumVGPRsForWavesPerEU: 1
; AccumOffset: 4
; Occupancy: 8
; WaveLimiterHint : 0
; COMPUTE_PGM_RSRC2:SCRATCH_EN: 0
; COMPUTE_PGM_RSRC2:USER_SGPR: 6
; COMPUTE_PGM_RSRC2:TRAP_HANDLER: 0
; COMPUTE_PGM_RSRC2:TGID_X_EN: 1
; COMPUTE_PGM_RSRC2:TGID_Y_EN: 0
; COMPUTE_PGM_RSRC2:TGID_Z_EN: 0
; COMPUTE_PGM_RSRC2:TIDIG_COMP_CNT: 0
; COMPUTE_PGM_RSRC3_GFX90A:ACCUM_OFFSET: 0
; COMPUTE_PGM_RSRC3_GFX90A:TG_SPLIT: 0
	.section	.text._ZN7rocprim17ROCPRIM_400000_NS6detail17trampoline_kernelINS0_14default_configENS1_35radix_sort_onesweep_config_selectorItNS0_10empty_typeEEEZNS1_34radix_sort_onesweep_global_offsetsIS3_Lb0EN6thrust23THRUST_200600_302600_NS6detail15normal_iteratorINS9_10device_ptrItEEEEPS5_jNS0_19identity_decomposerEEE10hipError_tT1_T2_PT3_SK_jT4_jjP12ihipStream_tbEUlT_E_NS1_11comp_targetILNS1_3genE2ELNS1_11target_archE906ELNS1_3gpuE6ELNS1_3repE0EEENS1_52radix_sort_onesweep_histogram_config_static_selectorELNS0_4arch9wavefront6targetE1EEEvSI_,"axG",@progbits,_ZN7rocprim17ROCPRIM_400000_NS6detail17trampoline_kernelINS0_14default_configENS1_35radix_sort_onesweep_config_selectorItNS0_10empty_typeEEEZNS1_34radix_sort_onesweep_global_offsetsIS3_Lb0EN6thrust23THRUST_200600_302600_NS6detail15normal_iteratorINS9_10device_ptrItEEEEPS5_jNS0_19identity_decomposerEEE10hipError_tT1_T2_PT3_SK_jT4_jjP12ihipStream_tbEUlT_E_NS1_11comp_targetILNS1_3genE2ELNS1_11target_archE906ELNS1_3gpuE6ELNS1_3repE0EEENS1_52radix_sort_onesweep_histogram_config_static_selectorELNS0_4arch9wavefront6targetE1EEEvSI_,comdat
	.protected	_ZN7rocprim17ROCPRIM_400000_NS6detail17trampoline_kernelINS0_14default_configENS1_35radix_sort_onesweep_config_selectorItNS0_10empty_typeEEEZNS1_34radix_sort_onesweep_global_offsetsIS3_Lb0EN6thrust23THRUST_200600_302600_NS6detail15normal_iteratorINS9_10device_ptrItEEEEPS5_jNS0_19identity_decomposerEEE10hipError_tT1_T2_PT3_SK_jT4_jjP12ihipStream_tbEUlT_E_NS1_11comp_targetILNS1_3genE2ELNS1_11target_archE906ELNS1_3gpuE6ELNS1_3repE0EEENS1_52radix_sort_onesweep_histogram_config_static_selectorELNS0_4arch9wavefront6targetE1EEEvSI_ ; -- Begin function _ZN7rocprim17ROCPRIM_400000_NS6detail17trampoline_kernelINS0_14default_configENS1_35radix_sort_onesweep_config_selectorItNS0_10empty_typeEEEZNS1_34radix_sort_onesweep_global_offsetsIS3_Lb0EN6thrust23THRUST_200600_302600_NS6detail15normal_iteratorINS9_10device_ptrItEEEEPS5_jNS0_19identity_decomposerEEE10hipError_tT1_T2_PT3_SK_jT4_jjP12ihipStream_tbEUlT_E_NS1_11comp_targetILNS1_3genE2ELNS1_11target_archE906ELNS1_3gpuE6ELNS1_3repE0EEENS1_52radix_sort_onesweep_histogram_config_static_selectorELNS0_4arch9wavefront6targetE1EEEvSI_
	.globl	_ZN7rocprim17ROCPRIM_400000_NS6detail17trampoline_kernelINS0_14default_configENS1_35radix_sort_onesweep_config_selectorItNS0_10empty_typeEEEZNS1_34radix_sort_onesweep_global_offsetsIS3_Lb0EN6thrust23THRUST_200600_302600_NS6detail15normal_iteratorINS9_10device_ptrItEEEEPS5_jNS0_19identity_decomposerEEE10hipError_tT1_T2_PT3_SK_jT4_jjP12ihipStream_tbEUlT_E_NS1_11comp_targetILNS1_3genE2ELNS1_11target_archE906ELNS1_3gpuE6ELNS1_3repE0EEENS1_52radix_sort_onesweep_histogram_config_static_selectorELNS0_4arch9wavefront6targetE1EEEvSI_
	.p2align	8
	.type	_ZN7rocprim17ROCPRIM_400000_NS6detail17trampoline_kernelINS0_14default_configENS1_35radix_sort_onesweep_config_selectorItNS0_10empty_typeEEEZNS1_34radix_sort_onesweep_global_offsetsIS3_Lb0EN6thrust23THRUST_200600_302600_NS6detail15normal_iteratorINS9_10device_ptrItEEEEPS5_jNS0_19identity_decomposerEEE10hipError_tT1_T2_PT3_SK_jT4_jjP12ihipStream_tbEUlT_E_NS1_11comp_targetILNS1_3genE2ELNS1_11target_archE906ELNS1_3gpuE6ELNS1_3repE0EEENS1_52radix_sort_onesweep_histogram_config_static_selectorELNS0_4arch9wavefront6targetE1EEEvSI_,@function
_ZN7rocprim17ROCPRIM_400000_NS6detail17trampoline_kernelINS0_14default_configENS1_35radix_sort_onesweep_config_selectorItNS0_10empty_typeEEEZNS1_34radix_sort_onesweep_global_offsetsIS3_Lb0EN6thrust23THRUST_200600_302600_NS6detail15normal_iteratorINS9_10device_ptrItEEEEPS5_jNS0_19identity_decomposerEEE10hipError_tT1_T2_PT3_SK_jT4_jjP12ihipStream_tbEUlT_E_NS1_11comp_targetILNS1_3genE2ELNS1_11target_archE906ELNS1_3gpuE6ELNS1_3repE0EEENS1_52radix_sort_onesweep_histogram_config_static_selectorELNS0_4arch9wavefront6targetE1EEEvSI_: ; @_ZN7rocprim17ROCPRIM_400000_NS6detail17trampoline_kernelINS0_14default_configENS1_35radix_sort_onesweep_config_selectorItNS0_10empty_typeEEEZNS1_34radix_sort_onesweep_global_offsetsIS3_Lb0EN6thrust23THRUST_200600_302600_NS6detail15normal_iteratorINS9_10device_ptrItEEEEPS5_jNS0_19identity_decomposerEEE10hipError_tT1_T2_PT3_SK_jT4_jjP12ihipStream_tbEUlT_E_NS1_11comp_targetILNS1_3genE2ELNS1_11target_archE906ELNS1_3gpuE6ELNS1_3repE0EEENS1_52radix_sort_onesweep_histogram_config_static_selectorELNS0_4arch9wavefront6targetE1EEEvSI_
; %bb.0:
	.section	.rodata,"a",@progbits
	.p2align	6, 0x0
	.amdhsa_kernel _ZN7rocprim17ROCPRIM_400000_NS6detail17trampoline_kernelINS0_14default_configENS1_35radix_sort_onesweep_config_selectorItNS0_10empty_typeEEEZNS1_34radix_sort_onesweep_global_offsetsIS3_Lb0EN6thrust23THRUST_200600_302600_NS6detail15normal_iteratorINS9_10device_ptrItEEEEPS5_jNS0_19identity_decomposerEEE10hipError_tT1_T2_PT3_SK_jT4_jjP12ihipStream_tbEUlT_E_NS1_11comp_targetILNS1_3genE2ELNS1_11target_archE906ELNS1_3gpuE6ELNS1_3repE0EEENS1_52radix_sort_onesweep_histogram_config_static_selectorELNS0_4arch9wavefront6targetE1EEEvSI_
		.amdhsa_group_segment_fixed_size 0
		.amdhsa_private_segment_fixed_size 0
		.amdhsa_kernarg_size 40
		.amdhsa_user_sgpr_count 6
		.amdhsa_user_sgpr_private_segment_buffer 1
		.amdhsa_user_sgpr_dispatch_ptr 0
		.amdhsa_user_sgpr_queue_ptr 0
		.amdhsa_user_sgpr_kernarg_segment_ptr 1
		.amdhsa_user_sgpr_dispatch_id 0
		.amdhsa_user_sgpr_flat_scratch_init 0
		.amdhsa_user_sgpr_kernarg_preload_length 0
		.amdhsa_user_sgpr_kernarg_preload_offset 0
		.amdhsa_user_sgpr_private_segment_size 0
		.amdhsa_uses_dynamic_stack 0
		.amdhsa_system_sgpr_private_segment_wavefront_offset 0
		.amdhsa_system_sgpr_workgroup_id_x 1
		.amdhsa_system_sgpr_workgroup_id_y 0
		.amdhsa_system_sgpr_workgroup_id_z 0
		.amdhsa_system_sgpr_workgroup_info 0
		.amdhsa_system_vgpr_workitem_id 0
		.amdhsa_next_free_vgpr 1
		.amdhsa_next_free_sgpr 0
		.amdhsa_accum_offset 4
		.amdhsa_reserve_vcc 0
		.amdhsa_reserve_flat_scratch 0
		.amdhsa_float_round_mode_32 0
		.amdhsa_float_round_mode_16_64 0
		.amdhsa_float_denorm_mode_32 3
		.amdhsa_float_denorm_mode_16_64 3
		.amdhsa_dx10_clamp 1
		.amdhsa_ieee_mode 1
		.amdhsa_fp16_overflow 0
		.amdhsa_tg_split 0
		.amdhsa_exception_fp_ieee_invalid_op 0
		.amdhsa_exception_fp_denorm_src 0
		.amdhsa_exception_fp_ieee_div_zero 0
		.amdhsa_exception_fp_ieee_overflow 0
		.amdhsa_exception_fp_ieee_underflow 0
		.amdhsa_exception_fp_ieee_inexact 0
		.amdhsa_exception_int_div_zero 0
	.end_amdhsa_kernel
	.section	.text._ZN7rocprim17ROCPRIM_400000_NS6detail17trampoline_kernelINS0_14default_configENS1_35radix_sort_onesweep_config_selectorItNS0_10empty_typeEEEZNS1_34radix_sort_onesweep_global_offsetsIS3_Lb0EN6thrust23THRUST_200600_302600_NS6detail15normal_iteratorINS9_10device_ptrItEEEEPS5_jNS0_19identity_decomposerEEE10hipError_tT1_T2_PT3_SK_jT4_jjP12ihipStream_tbEUlT_E_NS1_11comp_targetILNS1_3genE2ELNS1_11target_archE906ELNS1_3gpuE6ELNS1_3repE0EEENS1_52radix_sort_onesweep_histogram_config_static_selectorELNS0_4arch9wavefront6targetE1EEEvSI_,"axG",@progbits,_ZN7rocprim17ROCPRIM_400000_NS6detail17trampoline_kernelINS0_14default_configENS1_35radix_sort_onesweep_config_selectorItNS0_10empty_typeEEEZNS1_34radix_sort_onesweep_global_offsetsIS3_Lb0EN6thrust23THRUST_200600_302600_NS6detail15normal_iteratorINS9_10device_ptrItEEEEPS5_jNS0_19identity_decomposerEEE10hipError_tT1_T2_PT3_SK_jT4_jjP12ihipStream_tbEUlT_E_NS1_11comp_targetILNS1_3genE2ELNS1_11target_archE906ELNS1_3gpuE6ELNS1_3repE0EEENS1_52radix_sort_onesweep_histogram_config_static_selectorELNS0_4arch9wavefront6targetE1EEEvSI_,comdat
.Lfunc_end1314:
	.size	_ZN7rocprim17ROCPRIM_400000_NS6detail17trampoline_kernelINS0_14default_configENS1_35radix_sort_onesweep_config_selectorItNS0_10empty_typeEEEZNS1_34radix_sort_onesweep_global_offsetsIS3_Lb0EN6thrust23THRUST_200600_302600_NS6detail15normal_iteratorINS9_10device_ptrItEEEEPS5_jNS0_19identity_decomposerEEE10hipError_tT1_T2_PT3_SK_jT4_jjP12ihipStream_tbEUlT_E_NS1_11comp_targetILNS1_3genE2ELNS1_11target_archE906ELNS1_3gpuE6ELNS1_3repE0EEENS1_52radix_sort_onesweep_histogram_config_static_selectorELNS0_4arch9wavefront6targetE1EEEvSI_, .Lfunc_end1314-_ZN7rocprim17ROCPRIM_400000_NS6detail17trampoline_kernelINS0_14default_configENS1_35radix_sort_onesweep_config_selectorItNS0_10empty_typeEEEZNS1_34radix_sort_onesweep_global_offsetsIS3_Lb0EN6thrust23THRUST_200600_302600_NS6detail15normal_iteratorINS9_10device_ptrItEEEEPS5_jNS0_19identity_decomposerEEE10hipError_tT1_T2_PT3_SK_jT4_jjP12ihipStream_tbEUlT_E_NS1_11comp_targetILNS1_3genE2ELNS1_11target_archE906ELNS1_3gpuE6ELNS1_3repE0EEENS1_52radix_sort_onesweep_histogram_config_static_selectorELNS0_4arch9wavefront6targetE1EEEvSI_
                                        ; -- End function
	.section	.AMDGPU.csdata,"",@progbits
; Kernel info:
; codeLenInByte = 0
; NumSgprs: 4
; NumVgprs: 0
; NumAgprs: 0
; TotalNumVgprs: 0
; ScratchSize: 0
; MemoryBound: 0
; FloatMode: 240
; IeeeMode: 1
; LDSByteSize: 0 bytes/workgroup (compile time only)
; SGPRBlocks: 0
; VGPRBlocks: 0
; NumSGPRsForWavesPerEU: 4
; NumVGPRsForWavesPerEU: 1
; AccumOffset: 4
; Occupancy: 8
; WaveLimiterHint : 0
; COMPUTE_PGM_RSRC2:SCRATCH_EN: 0
; COMPUTE_PGM_RSRC2:USER_SGPR: 6
; COMPUTE_PGM_RSRC2:TRAP_HANDLER: 0
; COMPUTE_PGM_RSRC2:TGID_X_EN: 1
; COMPUTE_PGM_RSRC2:TGID_Y_EN: 0
; COMPUTE_PGM_RSRC2:TGID_Z_EN: 0
; COMPUTE_PGM_RSRC2:TIDIG_COMP_CNT: 0
; COMPUTE_PGM_RSRC3_GFX90A:ACCUM_OFFSET: 0
; COMPUTE_PGM_RSRC3_GFX90A:TG_SPLIT: 0
	.section	.text._ZN7rocprim17ROCPRIM_400000_NS6detail17trampoline_kernelINS0_14default_configENS1_35radix_sort_onesweep_config_selectorItNS0_10empty_typeEEEZNS1_34radix_sort_onesweep_global_offsetsIS3_Lb0EN6thrust23THRUST_200600_302600_NS6detail15normal_iteratorINS9_10device_ptrItEEEEPS5_jNS0_19identity_decomposerEEE10hipError_tT1_T2_PT3_SK_jT4_jjP12ihipStream_tbEUlT_E_NS1_11comp_targetILNS1_3genE4ELNS1_11target_archE910ELNS1_3gpuE8ELNS1_3repE0EEENS1_52radix_sort_onesweep_histogram_config_static_selectorELNS0_4arch9wavefront6targetE1EEEvSI_,"axG",@progbits,_ZN7rocprim17ROCPRIM_400000_NS6detail17trampoline_kernelINS0_14default_configENS1_35radix_sort_onesweep_config_selectorItNS0_10empty_typeEEEZNS1_34radix_sort_onesweep_global_offsetsIS3_Lb0EN6thrust23THRUST_200600_302600_NS6detail15normal_iteratorINS9_10device_ptrItEEEEPS5_jNS0_19identity_decomposerEEE10hipError_tT1_T2_PT3_SK_jT4_jjP12ihipStream_tbEUlT_E_NS1_11comp_targetILNS1_3genE4ELNS1_11target_archE910ELNS1_3gpuE8ELNS1_3repE0EEENS1_52radix_sort_onesweep_histogram_config_static_selectorELNS0_4arch9wavefront6targetE1EEEvSI_,comdat
	.protected	_ZN7rocprim17ROCPRIM_400000_NS6detail17trampoline_kernelINS0_14default_configENS1_35radix_sort_onesweep_config_selectorItNS0_10empty_typeEEEZNS1_34radix_sort_onesweep_global_offsetsIS3_Lb0EN6thrust23THRUST_200600_302600_NS6detail15normal_iteratorINS9_10device_ptrItEEEEPS5_jNS0_19identity_decomposerEEE10hipError_tT1_T2_PT3_SK_jT4_jjP12ihipStream_tbEUlT_E_NS1_11comp_targetILNS1_3genE4ELNS1_11target_archE910ELNS1_3gpuE8ELNS1_3repE0EEENS1_52radix_sort_onesweep_histogram_config_static_selectorELNS0_4arch9wavefront6targetE1EEEvSI_ ; -- Begin function _ZN7rocprim17ROCPRIM_400000_NS6detail17trampoline_kernelINS0_14default_configENS1_35radix_sort_onesweep_config_selectorItNS0_10empty_typeEEEZNS1_34radix_sort_onesweep_global_offsetsIS3_Lb0EN6thrust23THRUST_200600_302600_NS6detail15normal_iteratorINS9_10device_ptrItEEEEPS5_jNS0_19identity_decomposerEEE10hipError_tT1_T2_PT3_SK_jT4_jjP12ihipStream_tbEUlT_E_NS1_11comp_targetILNS1_3genE4ELNS1_11target_archE910ELNS1_3gpuE8ELNS1_3repE0EEENS1_52radix_sort_onesweep_histogram_config_static_selectorELNS0_4arch9wavefront6targetE1EEEvSI_
	.globl	_ZN7rocprim17ROCPRIM_400000_NS6detail17trampoline_kernelINS0_14default_configENS1_35radix_sort_onesweep_config_selectorItNS0_10empty_typeEEEZNS1_34radix_sort_onesweep_global_offsetsIS3_Lb0EN6thrust23THRUST_200600_302600_NS6detail15normal_iteratorINS9_10device_ptrItEEEEPS5_jNS0_19identity_decomposerEEE10hipError_tT1_T2_PT3_SK_jT4_jjP12ihipStream_tbEUlT_E_NS1_11comp_targetILNS1_3genE4ELNS1_11target_archE910ELNS1_3gpuE8ELNS1_3repE0EEENS1_52radix_sort_onesweep_histogram_config_static_selectorELNS0_4arch9wavefront6targetE1EEEvSI_
	.p2align	8
	.type	_ZN7rocprim17ROCPRIM_400000_NS6detail17trampoline_kernelINS0_14default_configENS1_35radix_sort_onesweep_config_selectorItNS0_10empty_typeEEEZNS1_34radix_sort_onesweep_global_offsetsIS3_Lb0EN6thrust23THRUST_200600_302600_NS6detail15normal_iteratorINS9_10device_ptrItEEEEPS5_jNS0_19identity_decomposerEEE10hipError_tT1_T2_PT3_SK_jT4_jjP12ihipStream_tbEUlT_E_NS1_11comp_targetILNS1_3genE4ELNS1_11target_archE910ELNS1_3gpuE8ELNS1_3repE0EEENS1_52radix_sort_onesweep_histogram_config_static_selectorELNS0_4arch9wavefront6targetE1EEEvSI_,@function
_ZN7rocprim17ROCPRIM_400000_NS6detail17trampoline_kernelINS0_14default_configENS1_35radix_sort_onesweep_config_selectorItNS0_10empty_typeEEEZNS1_34radix_sort_onesweep_global_offsetsIS3_Lb0EN6thrust23THRUST_200600_302600_NS6detail15normal_iteratorINS9_10device_ptrItEEEEPS5_jNS0_19identity_decomposerEEE10hipError_tT1_T2_PT3_SK_jT4_jjP12ihipStream_tbEUlT_E_NS1_11comp_targetILNS1_3genE4ELNS1_11target_archE910ELNS1_3gpuE8ELNS1_3repE0EEENS1_52radix_sort_onesweep_histogram_config_static_selectorELNS0_4arch9wavefront6targetE1EEEvSI_: ; @_ZN7rocprim17ROCPRIM_400000_NS6detail17trampoline_kernelINS0_14default_configENS1_35radix_sort_onesweep_config_selectorItNS0_10empty_typeEEEZNS1_34radix_sort_onesweep_global_offsetsIS3_Lb0EN6thrust23THRUST_200600_302600_NS6detail15normal_iteratorINS9_10device_ptrItEEEEPS5_jNS0_19identity_decomposerEEE10hipError_tT1_T2_PT3_SK_jT4_jjP12ihipStream_tbEUlT_E_NS1_11comp_targetILNS1_3genE4ELNS1_11target_archE910ELNS1_3gpuE8ELNS1_3repE0EEENS1_52radix_sort_onesweep_histogram_config_static_selectorELNS0_4arch9wavefront6targetE1EEEvSI_
; %bb.0:
	s_load_dword s7, s[4:5], 0x14
	s_load_dwordx4 s[8:11], s[4:5], 0x0
	s_load_dwordx2 s[2:3], s[4:5], 0x1c
	s_mul_i32 s12, s6, 0x3000
	s_mov_b64 s[0:1], -1
	s_waitcnt lgkmcnt(0)
	s_cmp_ge_u32 s6, s7
	s_cbranch_scc0 .LBB1315_115
; %bb.1:
	s_load_dword s4, s[4:5], 0x10
	s_mulk_i32 s7, 0xd000
	s_mov_b32 s13, 0
	s_lshl_b64 s[0:1], s[12:13], 1
                                        ; implicit-def: $vgpr23
	s_waitcnt lgkmcnt(0)
	s_add_i32 s13, s4, s7
	s_add_u32 s0, s8, s0
	s_addc_u32 s1, s9, s1
	v_cmp_gt_u32_e32 vcc, s13, v0
	s_and_saveexec_b64 s[4:5], vcc
	s_cbranch_execz .LBB1315_3
; %bb.2:
	v_lshlrev_b32_e32 v1, 1, v0
	global_load_ushort v23, v1, s[0:1]
.LBB1315_3:
	s_or_b64 exec, exec, s[4:5]
	v_or_b32_e32 v24, 0x400, v0
	v_cmp_gt_u32_e32 vcc, s13, v24
                                        ; implicit-def: $vgpr21
	s_and_saveexec_b64 s[4:5], vcc
	s_cbranch_execz .LBB1315_5
; %bb.4:
	v_lshlrev_b32_e32 v1, 1, v0
	global_load_ushort v21, v1, s[0:1] offset:2048
.LBB1315_5:
	s_or_b64 exec, exec, s[4:5]
	v_or_b32_e32 v22, 0x800, v0
	v_cmp_gt_u32_e32 vcc, s13, v22
                                        ; implicit-def: $vgpr19
	s_and_saveexec_b64 s[4:5], vcc
	s_cbranch_execz .LBB1315_7
; %bb.6:
	v_lshlrev_b32_e32 v1, 1, v22
	global_load_ushort v19, v1, s[0:1]
.LBB1315_7:
	s_or_b64 exec, exec, s[4:5]
	v_or_b32_e32 v20, 0xc00, v0
	v_cmp_gt_u32_e32 vcc, s13, v20
                                        ; implicit-def: $vgpr17
	s_and_saveexec_b64 s[4:5], vcc
	s_cbranch_execz .LBB1315_9
; %bb.8:
	v_lshlrev_b32_e32 v1, 1, v20
	global_load_ushort v17, v1, s[0:1]
.LBB1315_9:
	s_or_b64 exec, exec, s[4:5]
	v_or_b32_e32 v18, 0x1000, v0
	v_cmp_gt_u32_e32 vcc, s13, v18
                                        ; implicit-def: $vgpr15
	s_and_saveexec_b64 s[4:5], vcc
	s_cbranch_execz .LBB1315_11
; %bb.10:
	v_lshlrev_b32_e32 v1, 1, v18
	global_load_ushort v15, v1, s[0:1]
.LBB1315_11:
	s_or_b64 exec, exec, s[4:5]
	v_or_b32_e32 v16, 0x1400, v0
	v_cmp_gt_u32_e32 vcc, s13, v16
                                        ; implicit-def: $vgpr13
	s_and_saveexec_b64 s[4:5], vcc
	s_cbranch_execz .LBB1315_13
; %bb.12:
	v_lshlrev_b32_e32 v1, 1, v16
	global_load_ushort v13, v1, s[0:1]
.LBB1315_13:
	s_or_b64 exec, exec, s[4:5]
	v_or_b32_e32 v14, 0x1800, v0
	v_cmp_gt_u32_e32 vcc, s13, v14
                                        ; implicit-def: $vgpr11
	s_and_saveexec_b64 s[4:5], vcc
	s_cbranch_execz .LBB1315_15
; %bb.14:
	v_lshlrev_b32_e32 v1, 1, v14
	global_load_ushort v11, v1, s[0:1]
.LBB1315_15:
	s_or_b64 exec, exec, s[4:5]
	v_or_b32_e32 v12, 0x1c00, v0
	v_cmp_gt_u32_e32 vcc, s13, v12
                                        ; implicit-def: $vgpr9
	s_and_saveexec_b64 s[4:5], vcc
	s_cbranch_execz .LBB1315_17
; %bb.16:
	v_lshlrev_b32_e32 v1, 1, v12
	global_load_ushort v9, v1, s[0:1]
.LBB1315_17:
	s_or_b64 exec, exec, s[4:5]
	v_or_b32_e32 v10, 0x2000, v0
	v_cmp_gt_u32_e32 vcc, s13, v10
                                        ; implicit-def: $vgpr7
	s_and_saveexec_b64 s[4:5], vcc
	s_cbranch_execz .LBB1315_19
; %bb.18:
	v_lshlrev_b32_e32 v1, 1, v10
	global_load_ushort v7, v1, s[0:1]
.LBB1315_19:
	s_or_b64 exec, exec, s[4:5]
	v_or_b32_e32 v8, 0x2400, v0
	v_cmp_gt_u32_e32 vcc, s13, v8
                                        ; implicit-def: $vgpr5
	s_and_saveexec_b64 s[4:5], vcc
	s_cbranch_execz .LBB1315_21
; %bb.20:
	v_lshlrev_b32_e32 v1, 1, v8
	global_load_ushort v5, v1, s[0:1]
.LBB1315_21:
	s_or_b64 exec, exec, s[4:5]
	v_or_b32_e32 v6, 0x2800, v0
	v_cmp_gt_u32_e32 vcc, s13, v6
                                        ; implicit-def: $vgpr3
	s_and_saveexec_b64 s[4:5], vcc
	s_cbranch_execz .LBB1315_23
; %bb.22:
	v_lshlrev_b32_e32 v1, 1, v6
	global_load_ushort v3, v1, s[0:1]
.LBB1315_23:
	s_or_b64 exec, exec, s[4:5]
	v_or_b32_e32 v4, 0x2c00, v0
	v_cmp_gt_u32_e32 vcc, s13, v4
                                        ; implicit-def: $vgpr1
	s_and_saveexec_b64 s[4:5], vcc
	s_cbranch_execz .LBB1315_25
; %bb.24:
	v_lshlrev_b32_e32 v1, 1, v4
	global_load_ushort v1, v1, s[0:1]
.LBB1315_25:
	s_or_b64 exec, exec, s[4:5]
	s_cmp_le_u32 s3, s2
	s_cselect_b64 s[4:5], -1, 0
	v_cmp_le_u32_e32 vcc, s13, v0
	s_and_b64 s[0:1], s[4:5], exec
	v_lshlrev_b32_e32 v25, 2, v0
	v_mov_b32_e32 v26, 0
	s_cselect_b32 s16, 8, 10
	s_or_b64 s[0:1], s[4:5], vcc
	v_and_b32_e32 v2, 3, v0
	ds_write2st64_b32 v25, v26, v26 offset1:16
	s_xor_b64 s[6:7], s[0:1], -1
	v_mov_b32_e32 v25, s16
	s_waitcnt lgkmcnt(0)
	s_barrier
	s_and_saveexec_b64 s[0:1], s[6:7]
	s_cbranch_execz .LBB1315_27
; %bb.26:
	s_sub_i32 s6, s3, s2
	s_min_u32 s6, s6, 8
	s_waitcnt vmcnt(0)
	v_lshrrev_b32_sdwa v25, s2, v23 dst_sel:DWORD dst_unused:UNUSED_PAD src0_sel:DWORD src1_sel:WORD_0
	v_bfe_u32 v25, v25, 0, s6
	v_lshlrev_b32_e32 v26, 2, v2
	v_lshl_or_b32 v25, v25, 4, v26
	v_mov_b32_e32 v26, 1
	ds_add_u32 v25, v26
	v_mov_b32_e32 v25, 0
.LBB1315_27:
	s_or_b64 exec, exec, s[0:1]
	v_cmp_gt_i32_e64 s[0:1], 10, v25
	s_mov_b64 s[6:7], -1
	s_and_saveexec_b64 s[14:15], s[0:1]
; %bb.28:
	v_cmp_eq_u32_e64 s[0:1], 0, v25
	s_orn2_b64 s[6:7], s[0:1], exec
; %bb.29:
	s_or_b64 exec, exec, s[14:15]
	s_and_saveexec_b64 s[0:1], s[6:7]
	s_cbranch_execz .LBB1315_32
; %bb.30:
	s_add_i32 s6, s2, 8
	s_cmp_gt_u32 s3, s6
	s_cselect_b64 s[14:15], -1, 0
	s_xor_b64 s[18:19], vcc, -1
	s_and_b64 s[14:15], s[14:15], s[18:19]
	s_and_b64 exec, exec, s[14:15]
	s_cbranch_execz .LBB1315_32
; %bb.31:
	s_sub_i32 s7, s3, s6
	s_min_u32 s7, s7, 8
	s_waitcnt vmcnt(0)
	v_lshrrev_b32_sdwa v23, s6, v23 dst_sel:DWORD dst_unused:UNUSED_PAD src0_sel:DWORD src1_sel:WORD_0
	v_bfe_u32 v23, v23, 0, s7
	v_lshlrev_b32_e32 v25, 2, v2
	v_lshl_or_b32 v23, v23, 4, v25
	v_mov_b32_e32 v25, 1
	ds_add_u32 v23, v25 offset:4096
.LBB1315_32:
	s_or_b64 exec, exec, s[0:1]
	v_cmp_le_u32_e32 vcc, s13, v24
	s_or_b64 s[0:1], s[4:5], vcc
	s_xor_b64 s[6:7], s[0:1], -1
	s_waitcnt vmcnt(0)
	v_mov_b32_e32 v23, s16
	s_and_saveexec_b64 s[0:1], s[6:7]
	s_cbranch_execz .LBB1315_34
; %bb.33:
	s_sub_i32 s6, s3, s2
	s_min_u32 s6, s6, 8
	v_lshrrev_b32_sdwa v23, s2, v21 dst_sel:DWORD dst_unused:UNUSED_PAD src0_sel:DWORD src1_sel:WORD_0
	v_bfe_u32 v23, v23, 0, s6
	v_lshlrev_b32_e32 v24, 2, v2
	v_lshl_or_b32 v23, v23, 4, v24
	v_mov_b32_e32 v24, 1
	ds_add_u32 v23, v24
	v_mov_b32_e32 v23, 0
.LBB1315_34:
	s_or_b64 exec, exec, s[0:1]
	v_cmp_gt_i32_e64 s[0:1], 10, v23
	s_mov_b64 s[6:7], -1
	s_and_saveexec_b64 s[14:15], s[0:1]
; %bb.35:
	v_cmp_eq_u32_e64 s[0:1], 0, v23
	s_orn2_b64 s[6:7], s[0:1], exec
; %bb.36:
	s_or_b64 exec, exec, s[14:15]
	s_and_saveexec_b64 s[0:1], s[6:7]
	s_cbranch_execz .LBB1315_39
; %bb.37:
	s_add_i32 s6, s2, 8
	s_cmp_gt_u32 s3, s6
	s_cselect_b64 s[14:15], -1, 0
	s_xor_b64 s[18:19], vcc, -1
	s_and_b64 s[14:15], s[14:15], s[18:19]
	s_and_b64 exec, exec, s[14:15]
	s_cbranch_execz .LBB1315_39
; %bb.38:
	s_sub_i32 s7, s3, s6
	s_min_u32 s7, s7, 8
	v_lshrrev_b32_sdwa v21, s6, v21 dst_sel:DWORD dst_unused:UNUSED_PAD src0_sel:DWORD src1_sel:WORD_0
	v_bfe_u32 v21, v21, 0, s7
	v_lshlrev_b32_e32 v23, 2, v2
	v_lshl_or_b32 v21, v21, 4, v23
	v_mov_b32_e32 v23, 1
	ds_add_u32 v21, v23 offset:4096
.LBB1315_39:
	s_or_b64 exec, exec, s[0:1]
	v_cmp_le_u32_e32 vcc, s13, v22
	s_or_b64 s[0:1], s[4:5], vcc
	s_xor_b64 s[6:7], s[0:1], -1
	v_mov_b32_e32 v21, s16
	s_and_saveexec_b64 s[0:1], s[6:7]
	s_cbranch_execz .LBB1315_41
; %bb.40:
	s_sub_i32 s6, s3, s2
	s_min_u32 s6, s6, 8
	v_lshrrev_b32_sdwa v21, s2, v19 dst_sel:DWORD dst_unused:UNUSED_PAD src0_sel:DWORD src1_sel:WORD_0
	v_bfe_u32 v21, v21, 0, s6
	v_lshlrev_b32_e32 v22, 2, v2
	v_lshl_or_b32 v21, v21, 4, v22
	v_mov_b32_e32 v22, 1
	ds_add_u32 v21, v22
	v_mov_b32_e32 v21, 0
.LBB1315_41:
	s_or_b64 exec, exec, s[0:1]
	v_cmp_gt_i32_e64 s[0:1], 10, v21
	s_mov_b64 s[6:7], -1
	s_and_saveexec_b64 s[14:15], s[0:1]
; %bb.42:
	v_cmp_eq_u32_e64 s[0:1], 0, v21
	s_orn2_b64 s[6:7], s[0:1], exec
; %bb.43:
	s_or_b64 exec, exec, s[14:15]
	s_and_saveexec_b64 s[0:1], s[6:7]
	s_cbranch_execz .LBB1315_46
; %bb.44:
	s_add_i32 s6, s2, 8
	s_cmp_gt_u32 s3, s6
	s_cselect_b64 s[14:15], -1, 0
	s_xor_b64 s[18:19], vcc, -1
	s_and_b64 s[14:15], s[14:15], s[18:19]
	s_and_b64 exec, exec, s[14:15]
	s_cbranch_execz .LBB1315_46
; %bb.45:
	s_sub_i32 s7, s3, s6
	s_min_u32 s7, s7, 8
	v_lshrrev_b32_sdwa v19, s6, v19 dst_sel:DWORD dst_unused:UNUSED_PAD src0_sel:DWORD src1_sel:WORD_0
	v_bfe_u32 v19, v19, 0, s7
	v_lshlrev_b32_e32 v21, 2, v2
	v_lshl_or_b32 v19, v19, 4, v21
	v_mov_b32_e32 v21, 1
	ds_add_u32 v19, v21 offset:4096
.LBB1315_46:
	s_or_b64 exec, exec, s[0:1]
	v_cmp_le_u32_e32 vcc, s13, v20
	s_or_b64 s[0:1], s[4:5], vcc
	s_xor_b64 s[6:7], s[0:1], -1
	;; [unrolled: 47-line block ×10, first 2 shown]
	v_mov_b32_e32 v3, s16
	s_and_saveexec_b64 s[0:1], s[4:5]
	s_cbranch_execz .LBB1315_104
; %bb.103:
	s_sub_i32 s4, s3, s2
	s_min_u32 s4, s4, 8
	v_lshrrev_b32_sdwa v3, s2, v1 dst_sel:DWORD dst_unused:UNUSED_PAD src0_sel:DWORD src1_sel:WORD_0
	v_bfe_u32 v3, v3, 0, s4
	v_lshlrev_b32_e32 v4, 2, v2
	v_lshl_or_b32 v3, v3, 4, v4
	v_mov_b32_e32 v4, 1
	ds_add_u32 v3, v4
	v_mov_b32_e32 v3, 0
.LBB1315_104:
	s_or_b64 exec, exec, s[0:1]
	v_cmp_gt_i32_e64 s[0:1], 10, v3
	s_mov_b64 s[4:5], -1
	s_and_saveexec_b64 s[6:7], s[0:1]
; %bb.105:
	v_cmp_eq_u32_e64 s[0:1], 0, v3
	s_orn2_b64 s[4:5], s[0:1], exec
; %bb.106:
	s_or_b64 exec, exec, s[6:7]
	s_and_saveexec_b64 s[0:1], s[4:5]
	s_cbranch_execz .LBB1315_109
; %bb.107:
	s_add_i32 s4, s2, 8
	s_cmp_gt_u32 s3, s4
	s_cselect_b64 s[6:7], -1, 0
	s_xor_b64 s[14:15], vcc, -1
	s_and_b64 s[6:7], s[6:7], s[14:15]
	s_and_b64 exec, exec, s[6:7]
	s_cbranch_execz .LBB1315_109
; %bb.108:
	s_sub_i32 s5, s3, s4
	s_min_u32 s5, s5, 8
	v_lshrrev_b32_sdwa v1, s4, v1 dst_sel:DWORD dst_unused:UNUSED_PAD src0_sel:DWORD src1_sel:WORD_0
	v_bfe_u32 v1, v1, 0, s5
	v_lshlrev_b32_e32 v2, 2, v2
	v_lshl_or_b32 v1, v1, 4, v2
	v_mov_b32_e32 v2, 1
	ds_add_u32 v1, v2 offset:4096
.LBB1315_109:
	s_or_b64 exec, exec, s[0:1]
	s_cmp_gt_u32 s3, s2
	s_waitcnt lgkmcnt(0)
	s_barrier
	s_cbranch_scc0 .LBB1315_114
; %bb.110:
	s_movk_i32 s0, 0x100
	v_cmp_gt_u32_e32 vcc, s0, v0
	v_lshlrev_b32_e32 v1, 4, v0
	v_mov_b32_e32 v3, 0
	v_mov_b32_e32 v2, v0
	s_mov_b32 s6, s2
	s_branch .LBB1315_112
.LBB1315_111:                           ;   in Loop: Header=BB1315_112 Depth=1
	s_or_b64 exec, exec, s[4:5]
	s_add_i32 s6, s6, 8
	v_add_u32_e32 v2, 0x100, v2
	s_cmp_lt_u32 s6, s3
	v_add_u32_e32 v1, 0x1000, v1
	s_cbranch_scc0 .LBB1315_114
.LBB1315_112:                           ; =>This Inner Loop Header: Depth=1
	s_and_saveexec_b64 s[4:5], vcc
	s_cbranch_execz .LBB1315_111
; %bb.113:                              ;   in Loop: Header=BB1315_112 Depth=1
	ds_read2_b32 v[4:5], v1 offset1:1
	ds_read2_b32 v[6:7], v1 offset0:2 offset1:3
	v_lshlrev_b64 v[8:9], 2, v[2:3]
	v_mov_b32_e32 v10, s11
	s_waitcnt lgkmcnt(1)
	v_add_u32_e32 v4, v5, v4
	s_waitcnt lgkmcnt(0)
	v_add3_u32 v6, v4, v6, v7
	v_add_co_u32_e64 v4, s[0:1], s10, v8
	v_addc_co_u32_e64 v5, s[0:1], v10, v9, s[0:1]
	global_atomic_add v[4:5], v6, off
	s_branch .LBB1315_111
.LBB1315_114:
	s_mov_b64 s[0:1], 0
.LBB1315_115:
	s_and_b64 vcc, exec, s[0:1]
	s_cbranch_vccz .LBB1315_151
; %bb.116:
	s_cmp_eq_u32 s2, 0
	s_cselect_b64 s[0:1], -1, 0
	s_cmp_eq_u32 s3, 16
	s_mov_b32 s13, 0
	s_cselect_b64 s[4:5], -1, 0
	s_and_b64 s[4:5], s[0:1], s[4:5]
	s_lshl_b64 s[0:1], s[12:13], 1
	s_add_u32 s0, s8, s0
	s_addc_u32 s1, s9, s1
	v_lshlrev_b32_e32 v1, 1, v0
	v_mov_b32_e32 v2, s1
	v_add_co_u32_e32 v4, vcc, s0, v1
	v_addc_co_u32_e32 v6, vcc, 0, v2, vcc
	s_movk_i32 s6, 0x1000
	v_add_co_u32_e32 v2, vcc, s6, v4
	v_addc_co_u32_e32 v3, vcc, 0, v6, vcc
	s_movk_i32 s6, 0x2000
	;; [unrolled: 3-line block ×4, first 2 shown]
	v_add_co_u32_e32 v14, vcc, s6, v4
	v_addc_co_u32_e32 v15, vcc, 0, v6, vcc
	v_add_co_u32_e32 v22, vcc, 0x5000, v4
	global_load_ushort v10, v[18:19], off
	global_load_ushort v12, v[18:19], off offset:2048
	global_load_ushort v9, v[14:15], off offset:-4096
	global_load_ushort v7, v[14:15], off
	global_load_ushort v5, v[14:15], off offset:2048
	v_addc_co_u32_e32 v23, vcc, 0, v6, vcc
	global_load_ushort v16, v1, s[0:1]
	global_load_ushort v15, v1, s[0:1] offset:2048
	global_load_ushort v13, v[2:3], off offset:2048
	global_load_ushort v11, v[20:21], off offset:2048
	global_load_ushort v6, v[22:23], off
	global_load_ushort v14, v[18:19], off offset:-4096
	global_load_ushort v4, v[22:23], off offset:2048
	v_mov_b32_e32 v2, 0
	v_lshlrev_b32_e32 v1, 2, v0
	v_and_b32_e32 v8, 3, v0
	s_mov_b64 s[0:1], -1
	s_and_b64 vcc, exec, s[4:5]
	ds_write2st64_b32 v1, v2, v2 offset1:16
	s_waitcnt lgkmcnt(0)
	s_cbranch_vccnz .LBB1315_148
; %bb.117:
	s_cmp_gt_u32 s3, s2
	s_cselect_b64 s[4:5], -1, 0
	s_and_b64 vcc, exec, s[4:5]
	s_barrier
	s_cbranch_vccz .LBB1315_142
; %bb.118:
	s_sub_i32 s0, s3, s2
	s_min_u32 s0, s0, 8
	s_lshl_b32 s0, -1, s0
	s_not_b32 s9, s0
	s_waitcnt vmcnt(6)
	v_lshrrev_b32_e32 v2, s2, v16
	v_and_b32_e32 v3, s9, v2
	v_lshlrev_b32_e32 v2, 2, v8
	v_lshl_or_b32 v17, v3, 4, v2
	v_mov_b32_e32 v3, 1
	ds_add_u32 v17, v3
	s_add_i32 s8, s2, 8
	s_cmp_gt_u32 s3, s8
	s_cselect_b64 s[6:7], -1, 0
	s_cmp_le_u32 s3, s8
	s_cbranch_scc1 .LBB1315_120
; %bb.119:
	s_sub_i32 s0, s3, s8
	s_min_u32 s0, s0, 8
	v_lshrrev_b32_e32 v17, s8, v16
	v_bfe_u32 v17, v17, 0, s0
	v_lshl_or_b32 v17, v17, 4, v2
	ds_add_u32 v17, v3 offset:4096
.LBB1315_120:
	s_waitcnt vmcnt(5)
	v_lshrrev_b32_e32 v17, s2, v15
	v_and_b32_e32 v17, s9, v17
	v_lshl_or_b32 v17, v17, 4, v2
	ds_add_u32 v17, v3
	v_cndmask_b32_e64 v3, 0, 1, s[6:7]
	v_cmp_ne_u32_e64 s[0:1], 1, v3
	s_andn2_b64 vcc, exec, s[6:7]
	s_cbranch_vccnz .LBB1315_122
; %bb.121:
	s_sub_i32 s6, s3, s8
	s_min_u32 s6, s6, 8
	v_lshrrev_b32_e32 v3, s8, v15
	v_bfe_u32 v3, v3, 0, s6
	v_lshl_or_b32 v3, v3, 4, v2
	v_mov_b32_e32 v17, 1
	ds_add_u32 v3, v17 offset:4096
.LBB1315_122:
	s_waitcnt vmcnt(1)
	v_lshrrev_b32_e32 v3, s2, v14
	v_and_b32_e32 v3, s9, v3
	v_lshl_or_b32 v17, v3, 4, v2
	v_mov_b32_e32 v3, 1
	ds_add_u32 v17, v3
	s_and_b64 vcc, exec, s[0:1]
	s_cbranch_vccnz .LBB1315_124
; %bb.123:
	s_sub_i32 s6, s3, s8
	s_min_u32 s6, s6, 8
	v_lshrrev_b32_e32 v17, s8, v14
	v_bfe_u32 v17, v17, 0, s6
	v_lshl_or_b32 v17, v17, 4, v2
	ds_add_u32 v17, v3 offset:4096
.LBB1315_124:
	v_lshrrev_b32_e32 v17, s2, v13
	v_and_b32_e32 v17, s9, v17
	v_lshl_or_b32 v17, v17, 4, v2
	ds_add_u32 v17, v3
	s_and_b64 vcc, exec, s[0:1]
	s_cbranch_vccnz .LBB1315_126
; %bb.125:
	s_sub_i32 s6, s3, s8
	s_min_u32 s6, s6, 8
	v_lshrrev_b32_e32 v3, s8, v13
	v_bfe_u32 v3, v3, 0, s6
	v_lshl_or_b32 v3, v3, 4, v2
	v_mov_b32_e32 v17, 1
	ds_add_u32 v3, v17 offset:4096
.LBB1315_126:
	v_lshrrev_b32_e32 v3, s2, v10
	v_and_b32_e32 v3, s9, v3
	v_lshl_or_b32 v17, v3, 4, v2
	v_mov_b32_e32 v3, 1
	ds_add_u32 v17, v3
	s_and_b64 vcc, exec, s[0:1]
	s_cbranch_vccnz .LBB1315_128
; %bb.127:
	s_sub_i32 s6, s3, s8
	s_min_u32 s6, s6, 8
	v_lshrrev_b32_e32 v17, s8, v10
	v_bfe_u32 v17, v17, 0, s6
	v_lshl_or_b32 v17, v17, 4, v2
	ds_add_u32 v17, v3 offset:4096
.LBB1315_128:
	v_lshrrev_b32_e32 v17, s2, v12
	v_and_b32_e32 v17, s9, v17
	v_lshl_or_b32 v17, v17, 4, v2
	ds_add_u32 v17, v3
	s_and_b64 vcc, exec, s[0:1]
	s_cbranch_vccnz .LBB1315_130
; %bb.129:
	s_sub_i32 s6, s3, s8
	s_min_u32 s6, s6, 8
	v_lshrrev_b32_e32 v3, s8, v12
	v_bfe_u32 v3, v3, 0, s6
	v_lshl_or_b32 v3, v3, 4, v2
	v_mov_b32_e32 v17, 1
	ds_add_u32 v3, v17 offset:4096
.LBB1315_130:
	;; [unrolled: 30-line block ×4, first 2 shown]
	v_lshrrev_b32_e32 v3, s2, v6
	v_and_b32_e32 v3, s9, v3
	v_lshl_or_b32 v17, v3, 4, v2
	v_mov_b32_e32 v3, 1
	ds_add_u32 v17, v3
	s_and_b64 vcc, exec, s[0:1]
	s_cbranch_vccnz .LBB1315_140
; %bb.139:
	s_sub_i32 s6, s3, s8
	s_min_u32 s6, s6, 8
	v_lshrrev_b32_e32 v17, s8, v6
	v_bfe_u32 v17, v17, 0, s6
	v_lshl_or_b32 v17, v17, 4, v2
	ds_add_u32 v17, v3 offset:4096
.LBB1315_140:
	s_waitcnt vmcnt(0)
	v_lshrrev_b32_e32 v17, s2, v4
	v_and_b32_e32 v17, s9, v17
	v_lshl_or_b32 v17, v17, 4, v2
	ds_add_u32 v17, v3
	s_and_b64 vcc, exec, s[0:1]
	s_cbranch_vccnz .LBB1315_142
; %bb.141:
	s_sub_i32 s0, s3, s8
	s_min_u32 s0, s0, 8
	v_lshrrev_b32_e32 v3, s8, v4
	v_bfe_u32 v3, v3, 0, s0
	v_lshl_or_b32 v2, v3, 4, v2
	v_mov_b32_e32 v3, 1
	ds_add_u32 v2, v3 offset:4096
.LBB1315_142:
	s_and_b64 vcc, exec, s[4:5]
	s_waitcnt lgkmcnt(0)
	s_barrier
	s_cbranch_vccz .LBB1315_147
; %bb.143:
	s_movk_i32 s0, 0x100
	v_cmp_gt_u32_e32 vcc, s0, v0
	v_lshlrev_b32_e32 v17, 4, v0
	v_mov_b32_e32 v3, 0
	v_mov_b32_e32 v2, v0
	s_branch .LBB1315_145
.LBB1315_144:                           ;   in Loop: Header=BB1315_145 Depth=1
	s_or_b64 exec, exec, s[4:5]
	s_add_i32 s2, s2, 8
	v_add_u32_e32 v2, 0x100, v2
	s_cmp_ge_u32 s2, s3
	v_add_u32_e32 v17, 0x1000, v17
	s_cbranch_scc1 .LBB1315_147
.LBB1315_145:                           ; =>This Inner Loop Header: Depth=1
	s_and_saveexec_b64 s[4:5], vcc
	s_cbranch_execz .LBB1315_144
; %bb.146:                              ;   in Loop: Header=BB1315_145 Depth=1
	ds_read2_b32 v[18:19], v17 offset1:1
	ds_read2_b32 v[20:21], v17 offset0:2 offset1:3
	v_lshlrev_b64 v[22:23], 2, v[2:3]
	v_mov_b32_e32 v24, s11
	s_waitcnt lgkmcnt(1)
	v_add_u32_e32 v18, v19, v18
	s_waitcnt lgkmcnt(0)
	v_add3_u32 v20, v18, v20, v21
	v_add_co_u32_e64 v18, s[0:1], s10, v22
	v_addc_co_u32_e64 v19, s[0:1], v24, v23, s[0:1]
	global_atomic_add v[18:19], v20, off
	s_branch .LBB1315_144
.LBB1315_147:
	s_mov_b64 s[0:1], 0
.LBB1315_148:
	s_and_b64 vcc, exec, s[0:1]
	s_cbranch_vccz .LBB1315_151
; %bb.149:
	s_waitcnt vmcnt(6)
	v_lshlrev_b32_e32 v2, 2, v16
	s_movk_i32 s0, 0x3fc
	v_and_or_b32 v2, v2, s0, v8
	v_lshlrev_b32_e32 v2, 2, v2
	v_mov_b32_e32 v3, 1
	s_barrier
	ds_add_u32 v2, v3
	v_bfe_u32 v2, v16, 8, 8
	v_lshl_or_b32 v2, v2, 2, v8
	v_lshlrev_b32_e32 v2, 2, v2
	ds_add_u32 v2, v3 offset:4096
	s_waitcnt vmcnt(5)
	v_lshlrev_b32_e32 v2, 2, v15
	v_and_or_b32 v2, v2, s0, v8
	v_lshlrev_b32_e32 v2, 2, v2
	ds_add_u32 v2, v3
	v_bfe_u32 v2, v15, 8, 8
	v_lshl_or_b32 v2, v2, 2, v8
	v_lshlrev_b32_e32 v2, 2, v2
	ds_add_u32 v2, v3 offset:4096
	s_waitcnt vmcnt(1)
	v_lshlrev_b32_e32 v2, 2, v14
	v_and_or_b32 v2, v2, s0, v8
	v_lshlrev_b32_e32 v2, 2, v2
	ds_add_u32 v2, v3
	v_bfe_u32 v2, v14, 8, 8
	v_lshl_or_b32 v2, v2, 2, v8
	v_lshlrev_b32_e32 v2, 2, v2
	ds_add_u32 v2, v3 offset:4096
	v_lshlrev_b32_e32 v2, 2, v13
	v_and_or_b32 v2, v2, s0, v8
	v_lshlrev_b32_e32 v2, 2, v2
	ds_add_u32 v2, v3
	v_bfe_u32 v2, v13, 8, 8
	v_lshl_or_b32 v2, v2, 2, v8
	v_lshlrev_b32_e32 v2, 2, v2
	ds_add_u32 v2, v3 offset:4096
	;; [unrolled: 8-line block ×9, first 2 shown]
	s_waitcnt vmcnt(0)
	v_lshlrev_b32_e32 v2, 2, v4
	v_and_or_b32 v2, v2, s0, v8
	v_lshlrev_b32_e32 v2, 2, v2
	ds_add_u32 v2, v3
	v_bfe_u32 v2, v4, 8, 8
	v_lshl_or_b32 v2, v2, 2, v8
	v_lshlrev_b32_e32 v2, 2, v2
	ds_add_u32 v2, v3 offset:4096
	s_movk_i32 s0, 0x100
	v_cmp_gt_u32_e32 vcc, s0, v0
	s_waitcnt lgkmcnt(0)
	s_barrier
	s_and_saveexec_b64 s[0:1], vcc
	s_cbranch_execz .LBB1315_151
; %bb.150:
	v_lshlrev_b32_e32 v0, 4, v0
	ds_read2_b32 v[2:3], v0 offset1:1
	ds_read2_b32 v[4:5], v0 offset0:2 offset1:3
	v_add_u32_e32 v6, 0x1000, v0
	v_add_u32_e32 v0, 0x1008, v0
	s_waitcnt lgkmcnt(1)
	v_add_u32_e32 v2, v3, v2
	s_waitcnt lgkmcnt(0)
	v_add3_u32 v2, v2, v4, v5
	global_atomic_add v1, v2, s[10:11]
	ds_read2_b32 v[2:3], v6 offset1:1
	ds_read2_b32 v[4:5], v0 offset1:1
	s_waitcnt lgkmcnt(1)
	v_add_u32_e32 v0, v3, v2
	s_waitcnt lgkmcnt(0)
	v_add3_u32 v0, v0, v4, v5
	global_atomic_add v1, v0, s[10:11] offset:1024
.LBB1315_151:
	s_endpgm
	.section	.rodata,"a",@progbits
	.p2align	6, 0x0
	.amdhsa_kernel _ZN7rocprim17ROCPRIM_400000_NS6detail17trampoline_kernelINS0_14default_configENS1_35radix_sort_onesweep_config_selectorItNS0_10empty_typeEEEZNS1_34radix_sort_onesweep_global_offsetsIS3_Lb0EN6thrust23THRUST_200600_302600_NS6detail15normal_iteratorINS9_10device_ptrItEEEEPS5_jNS0_19identity_decomposerEEE10hipError_tT1_T2_PT3_SK_jT4_jjP12ihipStream_tbEUlT_E_NS1_11comp_targetILNS1_3genE4ELNS1_11target_archE910ELNS1_3gpuE8ELNS1_3repE0EEENS1_52radix_sort_onesweep_histogram_config_static_selectorELNS0_4arch9wavefront6targetE1EEEvSI_
		.amdhsa_group_segment_fixed_size 8192
		.amdhsa_private_segment_fixed_size 0
		.amdhsa_kernarg_size 40
		.amdhsa_user_sgpr_count 6
		.amdhsa_user_sgpr_private_segment_buffer 1
		.amdhsa_user_sgpr_dispatch_ptr 0
		.amdhsa_user_sgpr_queue_ptr 0
		.amdhsa_user_sgpr_kernarg_segment_ptr 1
		.amdhsa_user_sgpr_dispatch_id 0
		.amdhsa_user_sgpr_flat_scratch_init 0
		.amdhsa_user_sgpr_kernarg_preload_length 0
		.amdhsa_user_sgpr_kernarg_preload_offset 0
		.amdhsa_user_sgpr_private_segment_size 0
		.amdhsa_uses_dynamic_stack 0
		.amdhsa_system_sgpr_private_segment_wavefront_offset 0
		.amdhsa_system_sgpr_workgroup_id_x 1
		.amdhsa_system_sgpr_workgroup_id_y 0
		.amdhsa_system_sgpr_workgroup_id_z 0
		.amdhsa_system_sgpr_workgroup_info 0
		.amdhsa_system_vgpr_workitem_id 0
		.amdhsa_next_free_vgpr 27
		.amdhsa_next_free_sgpr 20
		.amdhsa_accum_offset 28
		.amdhsa_reserve_vcc 1
		.amdhsa_reserve_flat_scratch 0
		.amdhsa_float_round_mode_32 0
		.amdhsa_float_round_mode_16_64 0
		.amdhsa_float_denorm_mode_32 3
		.amdhsa_float_denorm_mode_16_64 3
		.amdhsa_dx10_clamp 1
		.amdhsa_ieee_mode 1
		.amdhsa_fp16_overflow 0
		.amdhsa_tg_split 0
		.amdhsa_exception_fp_ieee_invalid_op 0
		.amdhsa_exception_fp_denorm_src 0
		.amdhsa_exception_fp_ieee_div_zero 0
		.amdhsa_exception_fp_ieee_overflow 0
		.amdhsa_exception_fp_ieee_underflow 0
		.amdhsa_exception_fp_ieee_inexact 0
		.amdhsa_exception_int_div_zero 0
	.end_amdhsa_kernel
	.section	.text._ZN7rocprim17ROCPRIM_400000_NS6detail17trampoline_kernelINS0_14default_configENS1_35radix_sort_onesweep_config_selectorItNS0_10empty_typeEEEZNS1_34radix_sort_onesweep_global_offsetsIS3_Lb0EN6thrust23THRUST_200600_302600_NS6detail15normal_iteratorINS9_10device_ptrItEEEEPS5_jNS0_19identity_decomposerEEE10hipError_tT1_T2_PT3_SK_jT4_jjP12ihipStream_tbEUlT_E_NS1_11comp_targetILNS1_3genE4ELNS1_11target_archE910ELNS1_3gpuE8ELNS1_3repE0EEENS1_52radix_sort_onesweep_histogram_config_static_selectorELNS0_4arch9wavefront6targetE1EEEvSI_,"axG",@progbits,_ZN7rocprim17ROCPRIM_400000_NS6detail17trampoline_kernelINS0_14default_configENS1_35radix_sort_onesweep_config_selectorItNS0_10empty_typeEEEZNS1_34radix_sort_onesweep_global_offsetsIS3_Lb0EN6thrust23THRUST_200600_302600_NS6detail15normal_iteratorINS9_10device_ptrItEEEEPS5_jNS0_19identity_decomposerEEE10hipError_tT1_T2_PT3_SK_jT4_jjP12ihipStream_tbEUlT_E_NS1_11comp_targetILNS1_3genE4ELNS1_11target_archE910ELNS1_3gpuE8ELNS1_3repE0EEENS1_52radix_sort_onesweep_histogram_config_static_selectorELNS0_4arch9wavefront6targetE1EEEvSI_,comdat
.Lfunc_end1315:
	.size	_ZN7rocprim17ROCPRIM_400000_NS6detail17trampoline_kernelINS0_14default_configENS1_35radix_sort_onesweep_config_selectorItNS0_10empty_typeEEEZNS1_34radix_sort_onesweep_global_offsetsIS3_Lb0EN6thrust23THRUST_200600_302600_NS6detail15normal_iteratorINS9_10device_ptrItEEEEPS5_jNS0_19identity_decomposerEEE10hipError_tT1_T2_PT3_SK_jT4_jjP12ihipStream_tbEUlT_E_NS1_11comp_targetILNS1_3genE4ELNS1_11target_archE910ELNS1_3gpuE8ELNS1_3repE0EEENS1_52radix_sort_onesweep_histogram_config_static_selectorELNS0_4arch9wavefront6targetE1EEEvSI_, .Lfunc_end1315-_ZN7rocprim17ROCPRIM_400000_NS6detail17trampoline_kernelINS0_14default_configENS1_35radix_sort_onesweep_config_selectorItNS0_10empty_typeEEEZNS1_34radix_sort_onesweep_global_offsetsIS3_Lb0EN6thrust23THRUST_200600_302600_NS6detail15normal_iteratorINS9_10device_ptrItEEEEPS5_jNS0_19identity_decomposerEEE10hipError_tT1_T2_PT3_SK_jT4_jjP12ihipStream_tbEUlT_E_NS1_11comp_targetILNS1_3genE4ELNS1_11target_archE910ELNS1_3gpuE8ELNS1_3repE0EEENS1_52radix_sort_onesweep_histogram_config_static_selectorELNS0_4arch9wavefront6targetE1EEEvSI_
                                        ; -- End function
	.section	.AMDGPU.csdata,"",@progbits
; Kernel info:
; codeLenInByte = 5284
; NumSgprs: 24
; NumVgprs: 27
; NumAgprs: 0
; TotalNumVgprs: 27
; ScratchSize: 0
; MemoryBound: 0
; FloatMode: 240
; IeeeMode: 1
; LDSByteSize: 8192 bytes/workgroup (compile time only)
; SGPRBlocks: 2
; VGPRBlocks: 3
; NumSGPRsForWavesPerEU: 24
; NumVGPRsForWavesPerEU: 27
; AccumOffset: 28
; Occupancy: 8
; WaveLimiterHint : 1
; COMPUTE_PGM_RSRC2:SCRATCH_EN: 0
; COMPUTE_PGM_RSRC2:USER_SGPR: 6
; COMPUTE_PGM_RSRC2:TRAP_HANDLER: 0
; COMPUTE_PGM_RSRC2:TGID_X_EN: 1
; COMPUTE_PGM_RSRC2:TGID_Y_EN: 0
; COMPUTE_PGM_RSRC2:TGID_Z_EN: 0
; COMPUTE_PGM_RSRC2:TIDIG_COMP_CNT: 0
; COMPUTE_PGM_RSRC3_GFX90A:ACCUM_OFFSET: 6
; COMPUTE_PGM_RSRC3_GFX90A:TG_SPLIT: 0
	.section	.text._ZN7rocprim17ROCPRIM_400000_NS6detail17trampoline_kernelINS0_14default_configENS1_35radix_sort_onesweep_config_selectorItNS0_10empty_typeEEEZNS1_34radix_sort_onesweep_global_offsetsIS3_Lb0EN6thrust23THRUST_200600_302600_NS6detail15normal_iteratorINS9_10device_ptrItEEEEPS5_jNS0_19identity_decomposerEEE10hipError_tT1_T2_PT3_SK_jT4_jjP12ihipStream_tbEUlT_E_NS1_11comp_targetILNS1_3genE3ELNS1_11target_archE908ELNS1_3gpuE7ELNS1_3repE0EEENS1_52radix_sort_onesweep_histogram_config_static_selectorELNS0_4arch9wavefront6targetE1EEEvSI_,"axG",@progbits,_ZN7rocprim17ROCPRIM_400000_NS6detail17trampoline_kernelINS0_14default_configENS1_35radix_sort_onesweep_config_selectorItNS0_10empty_typeEEEZNS1_34radix_sort_onesweep_global_offsetsIS3_Lb0EN6thrust23THRUST_200600_302600_NS6detail15normal_iteratorINS9_10device_ptrItEEEEPS5_jNS0_19identity_decomposerEEE10hipError_tT1_T2_PT3_SK_jT4_jjP12ihipStream_tbEUlT_E_NS1_11comp_targetILNS1_3genE3ELNS1_11target_archE908ELNS1_3gpuE7ELNS1_3repE0EEENS1_52radix_sort_onesweep_histogram_config_static_selectorELNS0_4arch9wavefront6targetE1EEEvSI_,comdat
	.protected	_ZN7rocprim17ROCPRIM_400000_NS6detail17trampoline_kernelINS0_14default_configENS1_35radix_sort_onesweep_config_selectorItNS0_10empty_typeEEEZNS1_34radix_sort_onesweep_global_offsetsIS3_Lb0EN6thrust23THRUST_200600_302600_NS6detail15normal_iteratorINS9_10device_ptrItEEEEPS5_jNS0_19identity_decomposerEEE10hipError_tT1_T2_PT3_SK_jT4_jjP12ihipStream_tbEUlT_E_NS1_11comp_targetILNS1_3genE3ELNS1_11target_archE908ELNS1_3gpuE7ELNS1_3repE0EEENS1_52radix_sort_onesweep_histogram_config_static_selectorELNS0_4arch9wavefront6targetE1EEEvSI_ ; -- Begin function _ZN7rocprim17ROCPRIM_400000_NS6detail17trampoline_kernelINS0_14default_configENS1_35radix_sort_onesweep_config_selectorItNS0_10empty_typeEEEZNS1_34radix_sort_onesweep_global_offsetsIS3_Lb0EN6thrust23THRUST_200600_302600_NS6detail15normal_iteratorINS9_10device_ptrItEEEEPS5_jNS0_19identity_decomposerEEE10hipError_tT1_T2_PT3_SK_jT4_jjP12ihipStream_tbEUlT_E_NS1_11comp_targetILNS1_3genE3ELNS1_11target_archE908ELNS1_3gpuE7ELNS1_3repE0EEENS1_52radix_sort_onesweep_histogram_config_static_selectorELNS0_4arch9wavefront6targetE1EEEvSI_
	.globl	_ZN7rocprim17ROCPRIM_400000_NS6detail17trampoline_kernelINS0_14default_configENS1_35radix_sort_onesweep_config_selectorItNS0_10empty_typeEEEZNS1_34radix_sort_onesweep_global_offsetsIS3_Lb0EN6thrust23THRUST_200600_302600_NS6detail15normal_iteratorINS9_10device_ptrItEEEEPS5_jNS0_19identity_decomposerEEE10hipError_tT1_T2_PT3_SK_jT4_jjP12ihipStream_tbEUlT_E_NS1_11comp_targetILNS1_3genE3ELNS1_11target_archE908ELNS1_3gpuE7ELNS1_3repE0EEENS1_52radix_sort_onesweep_histogram_config_static_selectorELNS0_4arch9wavefront6targetE1EEEvSI_
	.p2align	8
	.type	_ZN7rocprim17ROCPRIM_400000_NS6detail17trampoline_kernelINS0_14default_configENS1_35radix_sort_onesweep_config_selectorItNS0_10empty_typeEEEZNS1_34radix_sort_onesweep_global_offsetsIS3_Lb0EN6thrust23THRUST_200600_302600_NS6detail15normal_iteratorINS9_10device_ptrItEEEEPS5_jNS0_19identity_decomposerEEE10hipError_tT1_T2_PT3_SK_jT4_jjP12ihipStream_tbEUlT_E_NS1_11comp_targetILNS1_3genE3ELNS1_11target_archE908ELNS1_3gpuE7ELNS1_3repE0EEENS1_52radix_sort_onesweep_histogram_config_static_selectorELNS0_4arch9wavefront6targetE1EEEvSI_,@function
_ZN7rocprim17ROCPRIM_400000_NS6detail17trampoline_kernelINS0_14default_configENS1_35radix_sort_onesweep_config_selectorItNS0_10empty_typeEEEZNS1_34radix_sort_onesweep_global_offsetsIS3_Lb0EN6thrust23THRUST_200600_302600_NS6detail15normal_iteratorINS9_10device_ptrItEEEEPS5_jNS0_19identity_decomposerEEE10hipError_tT1_T2_PT3_SK_jT4_jjP12ihipStream_tbEUlT_E_NS1_11comp_targetILNS1_3genE3ELNS1_11target_archE908ELNS1_3gpuE7ELNS1_3repE0EEENS1_52radix_sort_onesweep_histogram_config_static_selectorELNS0_4arch9wavefront6targetE1EEEvSI_: ; @_ZN7rocprim17ROCPRIM_400000_NS6detail17trampoline_kernelINS0_14default_configENS1_35radix_sort_onesweep_config_selectorItNS0_10empty_typeEEEZNS1_34radix_sort_onesweep_global_offsetsIS3_Lb0EN6thrust23THRUST_200600_302600_NS6detail15normal_iteratorINS9_10device_ptrItEEEEPS5_jNS0_19identity_decomposerEEE10hipError_tT1_T2_PT3_SK_jT4_jjP12ihipStream_tbEUlT_E_NS1_11comp_targetILNS1_3genE3ELNS1_11target_archE908ELNS1_3gpuE7ELNS1_3repE0EEENS1_52radix_sort_onesweep_histogram_config_static_selectorELNS0_4arch9wavefront6targetE1EEEvSI_
; %bb.0:
	.section	.rodata,"a",@progbits
	.p2align	6, 0x0
	.amdhsa_kernel _ZN7rocprim17ROCPRIM_400000_NS6detail17trampoline_kernelINS0_14default_configENS1_35radix_sort_onesweep_config_selectorItNS0_10empty_typeEEEZNS1_34radix_sort_onesweep_global_offsetsIS3_Lb0EN6thrust23THRUST_200600_302600_NS6detail15normal_iteratorINS9_10device_ptrItEEEEPS5_jNS0_19identity_decomposerEEE10hipError_tT1_T2_PT3_SK_jT4_jjP12ihipStream_tbEUlT_E_NS1_11comp_targetILNS1_3genE3ELNS1_11target_archE908ELNS1_3gpuE7ELNS1_3repE0EEENS1_52radix_sort_onesweep_histogram_config_static_selectorELNS0_4arch9wavefront6targetE1EEEvSI_
		.amdhsa_group_segment_fixed_size 0
		.amdhsa_private_segment_fixed_size 0
		.amdhsa_kernarg_size 40
		.amdhsa_user_sgpr_count 6
		.amdhsa_user_sgpr_private_segment_buffer 1
		.amdhsa_user_sgpr_dispatch_ptr 0
		.amdhsa_user_sgpr_queue_ptr 0
		.amdhsa_user_sgpr_kernarg_segment_ptr 1
		.amdhsa_user_sgpr_dispatch_id 0
		.amdhsa_user_sgpr_flat_scratch_init 0
		.amdhsa_user_sgpr_kernarg_preload_length 0
		.amdhsa_user_sgpr_kernarg_preload_offset 0
		.amdhsa_user_sgpr_private_segment_size 0
		.amdhsa_uses_dynamic_stack 0
		.amdhsa_system_sgpr_private_segment_wavefront_offset 0
		.amdhsa_system_sgpr_workgroup_id_x 1
		.amdhsa_system_sgpr_workgroup_id_y 0
		.amdhsa_system_sgpr_workgroup_id_z 0
		.amdhsa_system_sgpr_workgroup_info 0
		.amdhsa_system_vgpr_workitem_id 0
		.amdhsa_next_free_vgpr 1
		.amdhsa_next_free_sgpr 0
		.amdhsa_accum_offset 4
		.amdhsa_reserve_vcc 0
		.amdhsa_reserve_flat_scratch 0
		.amdhsa_float_round_mode_32 0
		.amdhsa_float_round_mode_16_64 0
		.amdhsa_float_denorm_mode_32 3
		.amdhsa_float_denorm_mode_16_64 3
		.amdhsa_dx10_clamp 1
		.amdhsa_ieee_mode 1
		.amdhsa_fp16_overflow 0
		.amdhsa_tg_split 0
		.amdhsa_exception_fp_ieee_invalid_op 0
		.amdhsa_exception_fp_denorm_src 0
		.amdhsa_exception_fp_ieee_div_zero 0
		.amdhsa_exception_fp_ieee_overflow 0
		.amdhsa_exception_fp_ieee_underflow 0
		.amdhsa_exception_fp_ieee_inexact 0
		.amdhsa_exception_int_div_zero 0
	.end_amdhsa_kernel
	.section	.text._ZN7rocprim17ROCPRIM_400000_NS6detail17trampoline_kernelINS0_14default_configENS1_35radix_sort_onesweep_config_selectorItNS0_10empty_typeEEEZNS1_34radix_sort_onesweep_global_offsetsIS3_Lb0EN6thrust23THRUST_200600_302600_NS6detail15normal_iteratorINS9_10device_ptrItEEEEPS5_jNS0_19identity_decomposerEEE10hipError_tT1_T2_PT3_SK_jT4_jjP12ihipStream_tbEUlT_E_NS1_11comp_targetILNS1_3genE3ELNS1_11target_archE908ELNS1_3gpuE7ELNS1_3repE0EEENS1_52radix_sort_onesweep_histogram_config_static_selectorELNS0_4arch9wavefront6targetE1EEEvSI_,"axG",@progbits,_ZN7rocprim17ROCPRIM_400000_NS6detail17trampoline_kernelINS0_14default_configENS1_35radix_sort_onesweep_config_selectorItNS0_10empty_typeEEEZNS1_34radix_sort_onesweep_global_offsetsIS3_Lb0EN6thrust23THRUST_200600_302600_NS6detail15normal_iteratorINS9_10device_ptrItEEEEPS5_jNS0_19identity_decomposerEEE10hipError_tT1_T2_PT3_SK_jT4_jjP12ihipStream_tbEUlT_E_NS1_11comp_targetILNS1_3genE3ELNS1_11target_archE908ELNS1_3gpuE7ELNS1_3repE0EEENS1_52radix_sort_onesweep_histogram_config_static_selectorELNS0_4arch9wavefront6targetE1EEEvSI_,comdat
.Lfunc_end1316:
	.size	_ZN7rocprim17ROCPRIM_400000_NS6detail17trampoline_kernelINS0_14default_configENS1_35radix_sort_onesweep_config_selectorItNS0_10empty_typeEEEZNS1_34radix_sort_onesweep_global_offsetsIS3_Lb0EN6thrust23THRUST_200600_302600_NS6detail15normal_iteratorINS9_10device_ptrItEEEEPS5_jNS0_19identity_decomposerEEE10hipError_tT1_T2_PT3_SK_jT4_jjP12ihipStream_tbEUlT_E_NS1_11comp_targetILNS1_3genE3ELNS1_11target_archE908ELNS1_3gpuE7ELNS1_3repE0EEENS1_52radix_sort_onesweep_histogram_config_static_selectorELNS0_4arch9wavefront6targetE1EEEvSI_, .Lfunc_end1316-_ZN7rocprim17ROCPRIM_400000_NS6detail17trampoline_kernelINS0_14default_configENS1_35radix_sort_onesweep_config_selectorItNS0_10empty_typeEEEZNS1_34radix_sort_onesweep_global_offsetsIS3_Lb0EN6thrust23THRUST_200600_302600_NS6detail15normal_iteratorINS9_10device_ptrItEEEEPS5_jNS0_19identity_decomposerEEE10hipError_tT1_T2_PT3_SK_jT4_jjP12ihipStream_tbEUlT_E_NS1_11comp_targetILNS1_3genE3ELNS1_11target_archE908ELNS1_3gpuE7ELNS1_3repE0EEENS1_52radix_sort_onesweep_histogram_config_static_selectorELNS0_4arch9wavefront6targetE1EEEvSI_
                                        ; -- End function
	.section	.AMDGPU.csdata,"",@progbits
; Kernel info:
; codeLenInByte = 0
; NumSgprs: 4
; NumVgprs: 0
; NumAgprs: 0
; TotalNumVgprs: 0
; ScratchSize: 0
; MemoryBound: 0
; FloatMode: 240
; IeeeMode: 1
; LDSByteSize: 0 bytes/workgroup (compile time only)
; SGPRBlocks: 0
; VGPRBlocks: 0
; NumSGPRsForWavesPerEU: 4
; NumVGPRsForWavesPerEU: 1
; AccumOffset: 4
; Occupancy: 8
; WaveLimiterHint : 0
; COMPUTE_PGM_RSRC2:SCRATCH_EN: 0
; COMPUTE_PGM_RSRC2:USER_SGPR: 6
; COMPUTE_PGM_RSRC2:TRAP_HANDLER: 0
; COMPUTE_PGM_RSRC2:TGID_X_EN: 1
; COMPUTE_PGM_RSRC2:TGID_Y_EN: 0
; COMPUTE_PGM_RSRC2:TGID_Z_EN: 0
; COMPUTE_PGM_RSRC2:TIDIG_COMP_CNT: 0
; COMPUTE_PGM_RSRC3_GFX90A:ACCUM_OFFSET: 0
; COMPUTE_PGM_RSRC3_GFX90A:TG_SPLIT: 0
	.section	.text._ZN7rocprim17ROCPRIM_400000_NS6detail17trampoline_kernelINS0_14default_configENS1_35radix_sort_onesweep_config_selectorItNS0_10empty_typeEEEZNS1_34radix_sort_onesweep_global_offsetsIS3_Lb0EN6thrust23THRUST_200600_302600_NS6detail15normal_iteratorINS9_10device_ptrItEEEEPS5_jNS0_19identity_decomposerEEE10hipError_tT1_T2_PT3_SK_jT4_jjP12ihipStream_tbEUlT_E_NS1_11comp_targetILNS1_3genE10ELNS1_11target_archE1201ELNS1_3gpuE5ELNS1_3repE0EEENS1_52radix_sort_onesweep_histogram_config_static_selectorELNS0_4arch9wavefront6targetE1EEEvSI_,"axG",@progbits,_ZN7rocprim17ROCPRIM_400000_NS6detail17trampoline_kernelINS0_14default_configENS1_35radix_sort_onesweep_config_selectorItNS0_10empty_typeEEEZNS1_34radix_sort_onesweep_global_offsetsIS3_Lb0EN6thrust23THRUST_200600_302600_NS6detail15normal_iteratorINS9_10device_ptrItEEEEPS5_jNS0_19identity_decomposerEEE10hipError_tT1_T2_PT3_SK_jT4_jjP12ihipStream_tbEUlT_E_NS1_11comp_targetILNS1_3genE10ELNS1_11target_archE1201ELNS1_3gpuE5ELNS1_3repE0EEENS1_52radix_sort_onesweep_histogram_config_static_selectorELNS0_4arch9wavefront6targetE1EEEvSI_,comdat
	.protected	_ZN7rocprim17ROCPRIM_400000_NS6detail17trampoline_kernelINS0_14default_configENS1_35radix_sort_onesweep_config_selectorItNS0_10empty_typeEEEZNS1_34radix_sort_onesweep_global_offsetsIS3_Lb0EN6thrust23THRUST_200600_302600_NS6detail15normal_iteratorINS9_10device_ptrItEEEEPS5_jNS0_19identity_decomposerEEE10hipError_tT1_T2_PT3_SK_jT4_jjP12ihipStream_tbEUlT_E_NS1_11comp_targetILNS1_3genE10ELNS1_11target_archE1201ELNS1_3gpuE5ELNS1_3repE0EEENS1_52radix_sort_onesweep_histogram_config_static_selectorELNS0_4arch9wavefront6targetE1EEEvSI_ ; -- Begin function _ZN7rocprim17ROCPRIM_400000_NS6detail17trampoline_kernelINS0_14default_configENS1_35radix_sort_onesweep_config_selectorItNS0_10empty_typeEEEZNS1_34radix_sort_onesweep_global_offsetsIS3_Lb0EN6thrust23THRUST_200600_302600_NS6detail15normal_iteratorINS9_10device_ptrItEEEEPS5_jNS0_19identity_decomposerEEE10hipError_tT1_T2_PT3_SK_jT4_jjP12ihipStream_tbEUlT_E_NS1_11comp_targetILNS1_3genE10ELNS1_11target_archE1201ELNS1_3gpuE5ELNS1_3repE0EEENS1_52radix_sort_onesweep_histogram_config_static_selectorELNS0_4arch9wavefront6targetE1EEEvSI_
	.globl	_ZN7rocprim17ROCPRIM_400000_NS6detail17trampoline_kernelINS0_14default_configENS1_35radix_sort_onesweep_config_selectorItNS0_10empty_typeEEEZNS1_34radix_sort_onesweep_global_offsetsIS3_Lb0EN6thrust23THRUST_200600_302600_NS6detail15normal_iteratorINS9_10device_ptrItEEEEPS5_jNS0_19identity_decomposerEEE10hipError_tT1_T2_PT3_SK_jT4_jjP12ihipStream_tbEUlT_E_NS1_11comp_targetILNS1_3genE10ELNS1_11target_archE1201ELNS1_3gpuE5ELNS1_3repE0EEENS1_52radix_sort_onesweep_histogram_config_static_selectorELNS0_4arch9wavefront6targetE1EEEvSI_
	.p2align	8
	.type	_ZN7rocprim17ROCPRIM_400000_NS6detail17trampoline_kernelINS0_14default_configENS1_35radix_sort_onesweep_config_selectorItNS0_10empty_typeEEEZNS1_34radix_sort_onesweep_global_offsetsIS3_Lb0EN6thrust23THRUST_200600_302600_NS6detail15normal_iteratorINS9_10device_ptrItEEEEPS5_jNS0_19identity_decomposerEEE10hipError_tT1_T2_PT3_SK_jT4_jjP12ihipStream_tbEUlT_E_NS1_11comp_targetILNS1_3genE10ELNS1_11target_archE1201ELNS1_3gpuE5ELNS1_3repE0EEENS1_52radix_sort_onesweep_histogram_config_static_selectorELNS0_4arch9wavefront6targetE1EEEvSI_,@function
_ZN7rocprim17ROCPRIM_400000_NS6detail17trampoline_kernelINS0_14default_configENS1_35radix_sort_onesweep_config_selectorItNS0_10empty_typeEEEZNS1_34radix_sort_onesweep_global_offsetsIS3_Lb0EN6thrust23THRUST_200600_302600_NS6detail15normal_iteratorINS9_10device_ptrItEEEEPS5_jNS0_19identity_decomposerEEE10hipError_tT1_T2_PT3_SK_jT4_jjP12ihipStream_tbEUlT_E_NS1_11comp_targetILNS1_3genE10ELNS1_11target_archE1201ELNS1_3gpuE5ELNS1_3repE0EEENS1_52radix_sort_onesweep_histogram_config_static_selectorELNS0_4arch9wavefront6targetE1EEEvSI_: ; @_ZN7rocprim17ROCPRIM_400000_NS6detail17trampoline_kernelINS0_14default_configENS1_35radix_sort_onesweep_config_selectorItNS0_10empty_typeEEEZNS1_34radix_sort_onesweep_global_offsetsIS3_Lb0EN6thrust23THRUST_200600_302600_NS6detail15normal_iteratorINS9_10device_ptrItEEEEPS5_jNS0_19identity_decomposerEEE10hipError_tT1_T2_PT3_SK_jT4_jjP12ihipStream_tbEUlT_E_NS1_11comp_targetILNS1_3genE10ELNS1_11target_archE1201ELNS1_3gpuE5ELNS1_3repE0EEENS1_52radix_sort_onesweep_histogram_config_static_selectorELNS0_4arch9wavefront6targetE1EEEvSI_
; %bb.0:
	.section	.rodata,"a",@progbits
	.p2align	6, 0x0
	.amdhsa_kernel _ZN7rocprim17ROCPRIM_400000_NS6detail17trampoline_kernelINS0_14default_configENS1_35radix_sort_onesweep_config_selectorItNS0_10empty_typeEEEZNS1_34radix_sort_onesweep_global_offsetsIS3_Lb0EN6thrust23THRUST_200600_302600_NS6detail15normal_iteratorINS9_10device_ptrItEEEEPS5_jNS0_19identity_decomposerEEE10hipError_tT1_T2_PT3_SK_jT4_jjP12ihipStream_tbEUlT_E_NS1_11comp_targetILNS1_3genE10ELNS1_11target_archE1201ELNS1_3gpuE5ELNS1_3repE0EEENS1_52radix_sort_onesweep_histogram_config_static_selectorELNS0_4arch9wavefront6targetE1EEEvSI_
		.amdhsa_group_segment_fixed_size 0
		.amdhsa_private_segment_fixed_size 0
		.amdhsa_kernarg_size 40
		.amdhsa_user_sgpr_count 6
		.amdhsa_user_sgpr_private_segment_buffer 1
		.amdhsa_user_sgpr_dispatch_ptr 0
		.amdhsa_user_sgpr_queue_ptr 0
		.amdhsa_user_sgpr_kernarg_segment_ptr 1
		.amdhsa_user_sgpr_dispatch_id 0
		.amdhsa_user_sgpr_flat_scratch_init 0
		.amdhsa_user_sgpr_kernarg_preload_length 0
		.amdhsa_user_sgpr_kernarg_preload_offset 0
		.amdhsa_user_sgpr_private_segment_size 0
		.amdhsa_uses_dynamic_stack 0
		.amdhsa_system_sgpr_private_segment_wavefront_offset 0
		.amdhsa_system_sgpr_workgroup_id_x 1
		.amdhsa_system_sgpr_workgroup_id_y 0
		.amdhsa_system_sgpr_workgroup_id_z 0
		.amdhsa_system_sgpr_workgroup_info 0
		.amdhsa_system_vgpr_workitem_id 0
		.amdhsa_next_free_vgpr 1
		.amdhsa_next_free_sgpr 0
		.amdhsa_accum_offset 4
		.amdhsa_reserve_vcc 0
		.amdhsa_reserve_flat_scratch 0
		.amdhsa_float_round_mode_32 0
		.amdhsa_float_round_mode_16_64 0
		.amdhsa_float_denorm_mode_32 3
		.amdhsa_float_denorm_mode_16_64 3
		.amdhsa_dx10_clamp 1
		.amdhsa_ieee_mode 1
		.amdhsa_fp16_overflow 0
		.amdhsa_tg_split 0
		.amdhsa_exception_fp_ieee_invalid_op 0
		.amdhsa_exception_fp_denorm_src 0
		.amdhsa_exception_fp_ieee_div_zero 0
		.amdhsa_exception_fp_ieee_overflow 0
		.amdhsa_exception_fp_ieee_underflow 0
		.amdhsa_exception_fp_ieee_inexact 0
		.amdhsa_exception_int_div_zero 0
	.end_amdhsa_kernel
	.section	.text._ZN7rocprim17ROCPRIM_400000_NS6detail17trampoline_kernelINS0_14default_configENS1_35radix_sort_onesweep_config_selectorItNS0_10empty_typeEEEZNS1_34radix_sort_onesweep_global_offsetsIS3_Lb0EN6thrust23THRUST_200600_302600_NS6detail15normal_iteratorINS9_10device_ptrItEEEEPS5_jNS0_19identity_decomposerEEE10hipError_tT1_T2_PT3_SK_jT4_jjP12ihipStream_tbEUlT_E_NS1_11comp_targetILNS1_3genE10ELNS1_11target_archE1201ELNS1_3gpuE5ELNS1_3repE0EEENS1_52radix_sort_onesweep_histogram_config_static_selectorELNS0_4arch9wavefront6targetE1EEEvSI_,"axG",@progbits,_ZN7rocprim17ROCPRIM_400000_NS6detail17trampoline_kernelINS0_14default_configENS1_35radix_sort_onesweep_config_selectorItNS0_10empty_typeEEEZNS1_34radix_sort_onesweep_global_offsetsIS3_Lb0EN6thrust23THRUST_200600_302600_NS6detail15normal_iteratorINS9_10device_ptrItEEEEPS5_jNS0_19identity_decomposerEEE10hipError_tT1_T2_PT3_SK_jT4_jjP12ihipStream_tbEUlT_E_NS1_11comp_targetILNS1_3genE10ELNS1_11target_archE1201ELNS1_3gpuE5ELNS1_3repE0EEENS1_52radix_sort_onesweep_histogram_config_static_selectorELNS0_4arch9wavefront6targetE1EEEvSI_,comdat
.Lfunc_end1317:
	.size	_ZN7rocprim17ROCPRIM_400000_NS6detail17trampoline_kernelINS0_14default_configENS1_35radix_sort_onesweep_config_selectorItNS0_10empty_typeEEEZNS1_34radix_sort_onesweep_global_offsetsIS3_Lb0EN6thrust23THRUST_200600_302600_NS6detail15normal_iteratorINS9_10device_ptrItEEEEPS5_jNS0_19identity_decomposerEEE10hipError_tT1_T2_PT3_SK_jT4_jjP12ihipStream_tbEUlT_E_NS1_11comp_targetILNS1_3genE10ELNS1_11target_archE1201ELNS1_3gpuE5ELNS1_3repE0EEENS1_52radix_sort_onesweep_histogram_config_static_selectorELNS0_4arch9wavefront6targetE1EEEvSI_, .Lfunc_end1317-_ZN7rocprim17ROCPRIM_400000_NS6detail17trampoline_kernelINS0_14default_configENS1_35radix_sort_onesweep_config_selectorItNS0_10empty_typeEEEZNS1_34radix_sort_onesweep_global_offsetsIS3_Lb0EN6thrust23THRUST_200600_302600_NS6detail15normal_iteratorINS9_10device_ptrItEEEEPS5_jNS0_19identity_decomposerEEE10hipError_tT1_T2_PT3_SK_jT4_jjP12ihipStream_tbEUlT_E_NS1_11comp_targetILNS1_3genE10ELNS1_11target_archE1201ELNS1_3gpuE5ELNS1_3repE0EEENS1_52radix_sort_onesweep_histogram_config_static_selectorELNS0_4arch9wavefront6targetE1EEEvSI_
                                        ; -- End function
	.section	.AMDGPU.csdata,"",@progbits
; Kernel info:
; codeLenInByte = 0
; NumSgprs: 4
; NumVgprs: 0
; NumAgprs: 0
; TotalNumVgprs: 0
; ScratchSize: 0
; MemoryBound: 0
; FloatMode: 240
; IeeeMode: 1
; LDSByteSize: 0 bytes/workgroup (compile time only)
; SGPRBlocks: 0
; VGPRBlocks: 0
; NumSGPRsForWavesPerEU: 4
; NumVGPRsForWavesPerEU: 1
; AccumOffset: 4
; Occupancy: 8
; WaveLimiterHint : 0
; COMPUTE_PGM_RSRC2:SCRATCH_EN: 0
; COMPUTE_PGM_RSRC2:USER_SGPR: 6
; COMPUTE_PGM_RSRC2:TRAP_HANDLER: 0
; COMPUTE_PGM_RSRC2:TGID_X_EN: 1
; COMPUTE_PGM_RSRC2:TGID_Y_EN: 0
; COMPUTE_PGM_RSRC2:TGID_Z_EN: 0
; COMPUTE_PGM_RSRC2:TIDIG_COMP_CNT: 0
; COMPUTE_PGM_RSRC3_GFX90A:ACCUM_OFFSET: 0
; COMPUTE_PGM_RSRC3_GFX90A:TG_SPLIT: 0
	.section	.text._ZN7rocprim17ROCPRIM_400000_NS6detail17trampoline_kernelINS0_14default_configENS1_35radix_sort_onesweep_config_selectorItNS0_10empty_typeEEEZNS1_34radix_sort_onesweep_global_offsetsIS3_Lb0EN6thrust23THRUST_200600_302600_NS6detail15normal_iteratorINS9_10device_ptrItEEEEPS5_jNS0_19identity_decomposerEEE10hipError_tT1_T2_PT3_SK_jT4_jjP12ihipStream_tbEUlT_E_NS1_11comp_targetILNS1_3genE9ELNS1_11target_archE1100ELNS1_3gpuE3ELNS1_3repE0EEENS1_52radix_sort_onesweep_histogram_config_static_selectorELNS0_4arch9wavefront6targetE1EEEvSI_,"axG",@progbits,_ZN7rocprim17ROCPRIM_400000_NS6detail17trampoline_kernelINS0_14default_configENS1_35radix_sort_onesweep_config_selectorItNS0_10empty_typeEEEZNS1_34radix_sort_onesweep_global_offsetsIS3_Lb0EN6thrust23THRUST_200600_302600_NS6detail15normal_iteratorINS9_10device_ptrItEEEEPS5_jNS0_19identity_decomposerEEE10hipError_tT1_T2_PT3_SK_jT4_jjP12ihipStream_tbEUlT_E_NS1_11comp_targetILNS1_3genE9ELNS1_11target_archE1100ELNS1_3gpuE3ELNS1_3repE0EEENS1_52radix_sort_onesweep_histogram_config_static_selectorELNS0_4arch9wavefront6targetE1EEEvSI_,comdat
	.protected	_ZN7rocprim17ROCPRIM_400000_NS6detail17trampoline_kernelINS0_14default_configENS1_35radix_sort_onesweep_config_selectorItNS0_10empty_typeEEEZNS1_34radix_sort_onesweep_global_offsetsIS3_Lb0EN6thrust23THRUST_200600_302600_NS6detail15normal_iteratorINS9_10device_ptrItEEEEPS5_jNS0_19identity_decomposerEEE10hipError_tT1_T2_PT3_SK_jT4_jjP12ihipStream_tbEUlT_E_NS1_11comp_targetILNS1_3genE9ELNS1_11target_archE1100ELNS1_3gpuE3ELNS1_3repE0EEENS1_52radix_sort_onesweep_histogram_config_static_selectorELNS0_4arch9wavefront6targetE1EEEvSI_ ; -- Begin function _ZN7rocprim17ROCPRIM_400000_NS6detail17trampoline_kernelINS0_14default_configENS1_35radix_sort_onesweep_config_selectorItNS0_10empty_typeEEEZNS1_34radix_sort_onesweep_global_offsetsIS3_Lb0EN6thrust23THRUST_200600_302600_NS6detail15normal_iteratorINS9_10device_ptrItEEEEPS5_jNS0_19identity_decomposerEEE10hipError_tT1_T2_PT3_SK_jT4_jjP12ihipStream_tbEUlT_E_NS1_11comp_targetILNS1_3genE9ELNS1_11target_archE1100ELNS1_3gpuE3ELNS1_3repE0EEENS1_52radix_sort_onesweep_histogram_config_static_selectorELNS0_4arch9wavefront6targetE1EEEvSI_
	.globl	_ZN7rocprim17ROCPRIM_400000_NS6detail17trampoline_kernelINS0_14default_configENS1_35radix_sort_onesweep_config_selectorItNS0_10empty_typeEEEZNS1_34radix_sort_onesweep_global_offsetsIS3_Lb0EN6thrust23THRUST_200600_302600_NS6detail15normal_iteratorINS9_10device_ptrItEEEEPS5_jNS0_19identity_decomposerEEE10hipError_tT1_T2_PT3_SK_jT4_jjP12ihipStream_tbEUlT_E_NS1_11comp_targetILNS1_3genE9ELNS1_11target_archE1100ELNS1_3gpuE3ELNS1_3repE0EEENS1_52radix_sort_onesweep_histogram_config_static_selectorELNS0_4arch9wavefront6targetE1EEEvSI_
	.p2align	8
	.type	_ZN7rocprim17ROCPRIM_400000_NS6detail17trampoline_kernelINS0_14default_configENS1_35radix_sort_onesweep_config_selectorItNS0_10empty_typeEEEZNS1_34radix_sort_onesweep_global_offsetsIS3_Lb0EN6thrust23THRUST_200600_302600_NS6detail15normal_iteratorINS9_10device_ptrItEEEEPS5_jNS0_19identity_decomposerEEE10hipError_tT1_T2_PT3_SK_jT4_jjP12ihipStream_tbEUlT_E_NS1_11comp_targetILNS1_3genE9ELNS1_11target_archE1100ELNS1_3gpuE3ELNS1_3repE0EEENS1_52radix_sort_onesweep_histogram_config_static_selectorELNS0_4arch9wavefront6targetE1EEEvSI_,@function
_ZN7rocprim17ROCPRIM_400000_NS6detail17trampoline_kernelINS0_14default_configENS1_35radix_sort_onesweep_config_selectorItNS0_10empty_typeEEEZNS1_34radix_sort_onesweep_global_offsetsIS3_Lb0EN6thrust23THRUST_200600_302600_NS6detail15normal_iteratorINS9_10device_ptrItEEEEPS5_jNS0_19identity_decomposerEEE10hipError_tT1_T2_PT3_SK_jT4_jjP12ihipStream_tbEUlT_E_NS1_11comp_targetILNS1_3genE9ELNS1_11target_archE1100ELNS1_3gpuE3ELNS1_3repE0EEENS1_52radix_sort_onesweep_histogram_config_static_selectorELNS0_4arch9wavefront6targetE1EEEvSI_: ; @_ZN7rocprim17ROCPRIM_400000_NS6detail17trampoline_kernelINS0_14default_configENS1_35radix_sort_onesweep_config_selectorItNS0_10empty_typeEEEZNS1_34radix_sort_onesweep_global_offsetsIS3_Lb0EN6thrust23THRUST_200600_302600_NS6detail15normal_iteratorINS9_10device_ptrItEEEEPS5_jNS0_19identity_decomposerEEE10hipError_tT1_T2_PT3_SK_jT4_jjP12ihipStream_tbEUlT_E_NS1_11comp_targetILNS1_3genE9ELNS1_11target_archE1100ELNS1_3gpuE3ELNS1_3repE0EEENS1_52radix_sort_onesweep_histogram_config_static_selectorELNS0_4arch9wavefront6targetE1EEEvSI_
; %bb.0:
	.section	.rodata,"a",@progbits
	.p2align	6, 0x0
	.amdhsa_kernel _ZN7rocprim17ROCPRIM_400000_NS6detail17trampoline_kernelINS0_14default_configENS1_35radix_sort_onesweep_config_selectorItNS0_10empty_typeEEEZNS1_34radix_sort_onesweep_global_offsetsIS3_Lb0EN6thrust23THRUST_200600_302600_NS6detail15normal_iteratorINS9_10device_ptrItEEEEPS5_jNS0_19identity_decomposerEEE10hipError_tT1_T2_PT3_SK_jT4_jjP12ihipStream_tbEUlT_E_NS1_11comp_targetILNS1_3genE9ELNS1_11target_archE1100ELNS1_3gpuE3ELNS1_3repE0EEENS1_52radix_sort_onesweep_histogram_config_static_selectorELNS0_4arch9wavefront6targetE1EEEvSI_
		.amdhsa_group_segment_fixed_size 0
		.amdhsa_private_segment_fixed_size 0
		.amdhsa_kernarg_size 40
		.amdhsa_user_sgpr_count 6
		.amdhsa_user_sgpr_private_segment_buffer 1
		.amdhsa_user_sgpr_dispatch_ptr 0
		.amdhsa_user_sgpr_queue_ptr 0
		.amdhsa_user_sgpr_kernarg_segment_ptr 1
		.amdhsa_user_sgpr_dispatch_id 0
		.amdhsa_user_sgpr_flat_scratch_init 0
		.amdhsa_user_sgpr_kernarg_preload_length 0
		.amdhsa_user_sgpr_kernarg_preload_offset 0
		.amdhsa_user_sgpr_private_segment_size 0
		.amdhsa_uses_dynamic_stack 0
		.amdhsa_system_sgpr_private_segment_wavefront_offset 0
		.amdhsa_system_sgpr_workgroup_id_x 1
		.amdhsa_system_sgpr_workgroup_id_y 0
		.amdhsa_system_sgpr_workgroup_id_z 0
		.amdhsa_system_sgpr_workgroup_info 0
		.amdhsa_system_vgpr_workitem_id 0
		.amdhsa_next_free_vgpr 1
		.amdhsa_next_free_sgpr 0
		.amdhsa_accum_offset 4
		.amdhsa_reserve_vcc 0
		.amdhsa_reserve_flat_scratch 0
		.amdhsa_float_round_mode_32 0
		.amdhsa_float_round_mode_16_64 0
		.amdhsa_float_denorm_mode_32 3
		.amdhsa_float_denorm_mode_16_64 3
		.amdhsa_dx10_clamp 1
		.amdhsa_ieee_mode 1
		.amdhsa_fp16_overflow 0
		.amdhsa_tg_split 0
		.amdhsa_exception_fp_ieee_invalid_op 0
		.amdhsa_exception_fp_denorm_src 0
		.amdhsa_exception_fp_ieee_div_zero 0
		.amdhsa_exception_fp_ieee_overflow 0
		.amdhsa_exception_fp_ieee_underflow 0
		.amdhsa_exception_fp_ieee_inexact 0
		.amdhsa_exception_int_div_zero 0
	.end_amdhsa_kernel
	.section	.text._ZN7rocprim17ROCPRIM_400000_NS6detail17trampoline_kernelINS0_14default_configENS1_35radix_sort_onesweep_config_selectorItNS0_10empty_typeEEEZNS1_34radix_sort_onesweep_global_offsetsIS3_Lb0EN6thrust23THRUST_200600_302600_NS6detail15normal_iteratorINS9_10device_ptrItEEEEPS5_jNS0_19identity_decomposerEEE10hipError_tT1_T2_PT3_SK_jT4_jjP12ihipStream_tbEUlT_E_NS1_11comp_targetILNS1_3genE9ELNS1_11target_archE1100ELNS1_3gpuE3ELNS1_3repE0EEENS1_52radix_sort_onesweep_histogram_config_static_selectorELNS0_4arch9wavefront6targetE1EEEvSI_,"axG",@progbits,_ZN7rocprim17ROCPRIM_400000_NS6detail17trampoline_kernelINS0_14default_configENS1_35radix_sort_onesweep_config_selectorItNS0_10empty_typeEEEZNS1_34radix_sort_onesweep_global_offsetsIS3_Lb0EN6thrust23THRUST_200600_302600_NS6detail15normal_iteratorINS9_10device_ptrItEEEEPS5_jNS0_19identity_decomposerEEE10hipError_tT1_T2_PT3_SK_jT4_jjP12ihipStream_tbEUlT_E_NS1_11comp_targetILNS1_3genE9ELNS1_11target_archE1100ELNS1_3gpuE3ELNS1_3repE0EEENS1_52radix_sort_onesweep_histogram_config_static_selectorELNS0_4arch9wavefront6targetE1EEEvSI_,comdat
.Lfunc_end1318:
	.size	_ZN7rocprim17ROCPRIM_400000_NS6detail17trampoline_kernelINS0_14default_configENS1_35radix_sort_onesweep_config_selectorItNS0_10empty_typeEEEZNS1_34radix_sort_onesweep_global_offsetsIS3_Lb0EN6thrust23THRUST_200600_302600_NS6detail15normal_iteratorINS9_10device_ptrItEEEEPS5_jNS0_19identity_decomposerEEE10hipError_tT1_T2_PT3_SK_jT4_jjP12ihipStream_tbEUlT_E_NS1_11comp_targetILNS1_3genE9ELNS1_11target_archE1100ELNS1_3gpuE3ELNS1_3repE0EEENS1_52radix_sort_onesweep_histogram_config_static_selectorELNS0_4arch9wavefront6targetE1EEEvSI_, .Lfunc_end1318-_ZN7rocprim17ROCPRIM_400000_NS6detail17trampoline_kernelINS0_14default_configENS1_35radix_sort_onesweep_config_selectorItNS0_10empty_typeEEEZNS1_34radix_sort_onesweep_global_offsetsIS3_Lb0EN6thrust23THRUST_200600_302600_NS6detail15normal_iteratorINS9_10device_ptrItEEEEPS5_jNS0_19identity_decomposerEEE10hipError_tT1_T2_PT3_SK_jT4_jjP12ihipStream_tbEUlT_E_NS1_11comp_targetILNS1_3genE9ELNS1_11target_archE1100ELNS1_3gpuE3ELNS1_3repE0EEENS1_52radix_sort_onesweep_histogram_config_static_selectorELNS0_4arch9wavefront6targetE1EEEvSI_
                                        ; -- End function
	.section	.AMDGPU.csdata,"",@progbits
; Kernel info:
; codeLenInByte = 0
; NumSgprs: 4
; NumVgprs: 0
; NumAgprs: 0
; TotalNumVgprs: 0
; ScratchSize: 0
; MemoryBound: 0
; FloatMode: 240
; IeeeMode: 1
; LDSByteSize: 0 bytes/workgroup (compile time only)
; SGPRBlocks: 0
; VGPRBlocks: 0
; NumSGPRsForWavesPerEU: 4
; NumVGPRsForWavesPerEU: 1
; AccumOffset: 4
; Occupancy: 8
; WaveLimiterHint : 0
; COMPUTE_PGM_RSRC2:SCRATCH_EN: 0
; COMPUTE_PGM_RSRC2:USER_SGPR: 6
; COMPUTE_PGM_RSRC2:TRAP_HANDLER: 0
; COMPUTE_PGM_RSRC2:TGID_X_EN: 1
; COMPUTE_PGM_RSRC2:TGID_Y_EN: 0
; COMPUTE_PGM_RSRC2:TGID_Z_EN: 0
; COMPUTE_PGM_RSRC2:TIDIG_COMP_CNT: 0
; COMPUTE_PGM_RSRC3_GFX90A:ACCUM_OFFSET: 0
; COMPUTE_PGM_RSRC3_GFX90A:TG_SPLIT: 0
	.section	.text._ZN7rocprim17ROCPRIM_400000_NS6detail17trampoline_kernelINS0_14default_configENS1_35radix_sort_onesweep_config_selectorItNS0_10empty_typeEEEZNS1_34radix_sort_onesweep_global_offsetsIS3_Lb0EN6thrust23THRUST_200600_302600_NS6detail15normal_iteratorINS9_10device_ptrItEEEEPS5_jNS0_19identity_decomposerEEE10hipError_tT1_T2_PT3_SK_jT4_jjP12ihipStream_tbEUlT_E_NS1_11comp_targetILNS1_3genE8ELNS1_11target_archE1030ELNS1_3gpuE2ELNS1_3repE0EEENS1_52radix_sort_onesweep_histogram_config_static_selectorELNS0_4arch9wavefront6targetE1EEEvSI_,"axG",@progbits,_ZN7rocprim17ROCPRIM_400000_NS6detail17trampoline_kernelINS0_14default_configENS1_35radix_sort_onesweep_config_selectorItNS0_10empty_typeEEEZNS1_34radix_sort_onesweep_global_offsetsIS3_Lb0EN6thrust23THRUST_200600_302600_NS6detail15normal_iteratorINS9_10device_ptrItEEEEPS5_jNS0_19identity_decomposerEEE10hipError_tT1_T2_PT3_SK_jT4_jjP12ihipStream_tbEUlT_E_NS1_11comp_targetILNS1_3genE8ELNS1_11target_archE1030ELNS1_3gpuE2ELNS1_3repE0EEENS1_52radix_sort_onesweep_histogram_config_static_selectorELNS0_4arch9wavefront6targetE1EEEvSI_,comdat
	.protected	_ZN7rocprim17ROCPRIM_400000_NS6detail17trampoline_kernelINS0_14default_configENS1_35radix_sort_onesweep_config_selectorItNS0_10empty_typeEEEZNS1_34radix_sort_onesweep_global_offsetsIS3_Lb0EN6thrust23THRUST_200600_302600_NS6detail15normal_iteratorINS9_10device_ptrItEEEEPS5_jNS0_19identity_decomposerEEE10hipError_tT1_T2_PT3_SK_jT4_jjP12ihipStream_tbEUlT_E_NS1_11comp_targetILNS1_3genE8ELNS1_11target_archE1030ELNS1_3gpuE2ELNS1_3repE0EEENS1_52radix_sort_onesweep_histogram_config_static_selectorELNS0_4arch9wavefront6targetE1EEEvSI_ ; -- Begin function _ZN7rocprim17ROCPRIM_400000_NS6detail17trampoline_kernelINS0_14default_configENS1_35radix_sort_onesweep_config_selectorItNS0_10empty_typeEEEZNS1_34radix_sort_onesweep_global_offsetsIS3_Lb0EN6thrust23THRUST_200600_302600_NS6detail15normal_iteratorINS9_10device_ptrItEEEEPS5_jNS0_19identity_decomposerEEE10hipError_tT1_T2_PT3_SK_jT4_jjP12ihipStream_tbEUlT_E_NS1_11comp_targetILNS1_3genE8ELNS1_11target_archE1030ELNS1_3gpuE2ELNS1_3repE0EEENS1_52radix_sort_onesweep_histogram_config_static_selectorELNS0_4arch9wavefront6targetE1EEEvSI_
	.globl	_ZN7rocprim17ROCPRIM_400000_NS6detail17trampoline_kernelINS0_14default_configENS1_35radix_sort_onesweep_config_selectorItNS0_10empty_typeEEEZNS1_34radix_sort_onesweep_global_offsetsIS3_Lb0EN6thrust23THRUST_200600_302600_NS6detail15normal_iteratorINS9_10device_ptrItEEEEPS5_jNS0_19identity_decomposerEEE10hipError_tT1_T2_PT3_SK_jT4_jjP12ihipStream_tbEUlT_E_NS1_11comp_targetILNS1_3genE8ELNS1_11target_archE1030ELNS1_3gpuE2ELNS1_3repE0EEENS1_52radix_sort_onesweep_histogram_config_static_selectorELNS0_4arch9wavefront6targetE1EEEvSI_
	.p2align	8
	.type	_ZN7rocprim17ROCPRIM_400000_NS6detail17trampoline_kernelINS0_14default_configENS1_35radix_sort_onesweep_config_selectorItNS0_10empty_typeEEEZNS1_34radix_sort_onesweep_global_offsetsIS3_Lb0EN6thrust23THRUST_200600_302600_NS6detail15normal_iteratorINS9_10device_ptrItEEEEPS5_jNS0_19identity_decomposerEEE10hipError_tT1_T2_PT3_SK_jT4_jjP12ihipStream_tbEUlT_E_NS1_11comp_targetILNS1_3genE8ELNS1_11target_archE1030ELNS1_3gpuE2ELNS1_3repE0EEENS1_52radix_sort_onesweep_histogram_config_static_selectorELNS0_4arch9wavefront6targetE1EEEvSI_,@function
_ZN7rocprim17ROCPRIM_400000_NS6detail17trampoline_kernelINS0_14default_configENS1_35radix_sort_onesweep_config_selectorItNS0_10empty_typeEEEZNS1_34radix_sort_onesweep_global_offsetsIS3_Lb0EN6thrust23THRUST_200600_302600_NS6detail15normal_iteratorINS9_10device_ptrItEEEEPS5_jNS0_19identity_decomposerEEE10hipError_tT1_T2_PT3_SK_jT4_jjP12ihipStream_tbEUlT_E_NS1_11comp_targetILNS1_3genE8ELNS1_11target_archE1030ELNS1_3gpuE2ELNS1_3repE0EEENS1_52radix_sort_onesweep_histogram_config_static_selectorELNS0_4arch9wavefront6targetE1EEEvSI_: ; @_ZN7rocprim17ROCPRIM_400000_NS6detail17trampoline_kernelINS0_14default_configENS1_35radix_sort_onesweep_config_selectorItNS0_10empty_typeEEEZNS1_34radix_sort_onesweep_global_offsetsIS3_Lb0EN6thrust23THRUST_200600_302600_NS6detail15normal_iteratorINS9_10device_ptrItEEEEPS5_jNS0_19identity_decomposerEEE10hipError_tT1_T2_PT3_SK_jT4_jjP12ihipStream_tbEUlT_E_NS1_11comp_targetILNS1_3genE8ELNS1_11target_archE1030ELNS1_3gpuE2ELNS1_3repE0EEENS1_52radix_sort_onesweep_histogram_config_static_selectorELNS0_4arch9wavefront6targetE1EEEvSI_
; %bb.0:
	.section	.rodata,"a",@progbits
	.p2align	6, 0x0
	.amdhsa_kernel _ZN7rocprim17ROCPRIM_400000_NS6detail17trampoline_kernelINS0_14default_configENS1_35radix_sort_onesweep_config_selectorItNS0_10empty_typeEEEZNS1_34radix_sort_onesweep_global_offsetsIS3_Lb0EN6thrust23THRUST_200600_302600_NS6detail15normal_iteratorINS9_10device_ptrItEEEEPS5_jNS0_19identity_decomposerEEE10hipError_tT1_T2_PT3_SK_jT4_jjP12ihipStream_tbEUlT_E_NS1_11comp_targetILNS1_3genE8ELNS1_11target_archE1030ELNS1_3gpuE2ELNS1_3repE0EEENS1_52radix_sort_onesweep_histogram_config_static_selectorELNS0_4arch9wavefront6targetE1EEEvSI_
		.amdhsa_group_segment_fixed_size 0
		.amdhsa_private_segment_fixed_size 0
		.amdhsa_kernarg_size 40
		.amdhsa_user_sgpr_count 6
		.amdhsa_user_sgpr_private_segment_buffer 1
		.amdhsa_user_sgpr_dispatch_ptr 0
		.amdhsa_user_sgpr_queue_ptr 0
		.amdhsa_user_sgpr_kernarg_segment_ptr 1
		.amdhsa_user_sgpr_dispatch_id 0
		.amdhsa_user_sgpr_flat_scratch_init 0
		.amdhsa_user_sgpr_kernarg_preload_length 0
		.amdhsa_user_sgpr_kernarg_preload_offset 0
		.amdhsa_user_sgpr_private_segment_size 0
		.amdhsa_uses_dynamic_stack 0
		.amdhsa_system_sgpr_private_segment_wavefront_offset 0
		.amdhsa_system_sgpr_workgroup_id_x 1
		.amdhsa_system_sgpr_workgroup_id_y 0
		.amdhsa_system_sgpr_workgroup_id_z 0
		.amdhsa_system_sgpr_workgroup_info 0
		.amdhsa_system_vgpr_workitem_id 0
		.amdhsa_next_free_vgpr 1
		.amdhsa_next_free_sgpr 0
		.amdhsa_accum_offset 4
		.amdhsa_reserve_vcc 0
		.amdhsa_reserve_flat_scratch 0
		.amdhsa_float_round_mode_32 0
		.amdhsa_float_round_mode_16_64 0
		.amdhsa_float_denorm_mode_32 3
		.amdhsa_float_denorm_mode_16_64 3
		.amdhsa_dx10_clamp 1
		.amdhsa_ieee_mode 1
		.amdhsa_fp16_overflow 0
		.amdhsa_tg_split 0
		.amdhsa_exception_fp_ieee_invalid_op 0
		.amdhsa_exception_fp_denorm_src 0
		.amdhsa_exception_fp_ieee_div_zero 0
		.amdhsa_exception_fp_ieee_overflow 0
		.amdhsa_exception_fp_ieee_underflow 0
		.amdhsa_exception_fp_ieee_inexact 0
		.amdhsa_exception_int_div_zero 0
	.end_amdhsa_kernel
	.section	.text._ZN7rocprim17ROCPRIM_400000_NS6detail17trampoline_kernelINS0_14default_configENS1_35radix_sort_onesweep_config_selectorItNS0_10empty_typeEEEZNS1_34radix_sort_onesweep_global_offsetsIS3_Lb0EN6thrust23THRUST_200600_302600_NS6detail15normal_iteratorINS9_10device_ptrItEEEEPS5_jNS0_19identity_decomposerEEE10hipError_tT1_T2_PT3_SK_jT4_jjP12ihipStream_tbEUlT_E_NS1_11comp_targetILNS1_3genE8ELNS1_11target_archE1030ELNS1_3gpuE2ELNS1_3repE0EEENS1_52radix_sort_onesweep_histogram_config_static_selectorELNS0_4arch9wavefront6targetE1EEEvSI_,"axG",@progbits,_ZN7rocprim17ROCPRIM_400000_NS6detail17trampoline_kernelINS0_14default_configENS1_35radix_sort_onesweep_config_selectorItNS0_10empty_typeEEEZNS1_34radix_sort_onesweep_global_offsetsIS3_Lb0EN6thrust23THRUST_200600_302600_NS6detail15normal_iteratorINS9_10device_ptrItEEEEPS5_jNS0_19identity_decomposerEEE10hipError_tT1_T2_PT3_SK_jT4_jjP12ihipStream_tbEUlT_E_NS1_11comp_targetILNS1_3genE8ELNS1_11target_archE1030ELNS1_3gpuE2ELNS1_3repE0EEENS1_52radix_sort_onesweep_histogram_config_static_selectorELNS0_4arch9wavefront6targetE1EEEvSI_,comdat
.Lfunc_end1319:
	.size	_ZN7rocprim17ROCPRIM_400000_NS6detail17trampoline_kernelINS0_14default_configENS1_35radix_sort_onesweep_config_selectorItNS0_10empty_typeEEEZNS1_34radix_sort_onesweep_global_offsetsIS3_Lb0EN6thrust23THRUST_200600_302600_NS6detail15normal_iteratorINS9_10device_ptrItEEEEPS5_jNS0_19identity_decomposerEEE10hipError_tT1_T2_PT3_SK_jT4_jjP12ihipStream_tbEUlT_E_NS1_11comp_targetILNS1_3genE8ELNS1_11target_archE1030ELNS1_3gpuE2ELNS1_3repE0EEENS1_52radix_sort_onesweep_histogram_config_static_selectorELNS0_4arch9wavefront6targetE1EEEvSI_, .Lfunc_end1319-_ZN7rocprim17ROCPRIM_400000_NS6detail17trampoline_kernelINS0_14default_configENS1_35radix_sort_onesweep_config_selectorItNS0_10empty_typeEEEZNS1_34radix_sort_onesweep_global_offsetsIS3_Lb0EN6thrust23THRUST_200600_302600_NS6detail15normal_iteratorINS9_10device_ptrItEEEEPS5_jNS0_19identity_decomposerEEE10hipError_tT1_T2_PT3_SK_jT4_jjP12ihipStream_tbEUlT_E_NS1_11comp_targetILNS1_3genE8ELNS1_11target_archE1030ELNS1_3gpuE2ELNS1_3repE0EEENS1_52radix_sort_onesweep_histogram_config_static_selectorELNS0_4arch9wavefront6targetE1EEEvSI_
                                        ; -- End function
	.section	.AMDGPU.csdata,"",@progbits
; Kernel info:
; codeLenInByte = 0
; NumSgprs: 4
; NumVgprs: 0
; NumAgprs: 0
; TotalNumVgprs: 0
; ScratchSize: 0
; MemoryBound: 0
; FloatMode: 240
; IeeeMode: 1
; LDSByteSize: 0 bytes/workgroup (compile time only)
; SGPRBlocks: 0
; VGPRBlocks: 0
; NumSGPRsForWavesPerEU: 4
; NumVGPRsForWavesPerEU: 1
; AccumOffset: 4
; Occupancy: 8
; WaveLimiterHint : 0
; COMPUTE_PGM_RSRC2:SCRATCH_EN: 0
; COMPUTE_PGM_RSRC2:USER_SGPR: 6
; COMPUTE_PGM_RSRC2:TRAP_HANDLER: 0
; COMPUTE_PGM_RSRC2:TGID_X_EN: 1
; COMPUTE_PGM_RSRC2:TGID_Y_EN: 0
; COMPUTE_PGM_RSRC2:TGID_Z_EN: 0
; COMPUTE_PGM_RSRC2:TIDIG_COMP_CNT: 0
; COMPUTE_PGM_RSRC3_GFX90A:ACCUM_OFFSET: 0
; COMPUTE_PGM_RSRC3_GFX90A:TG_SPLIT: 0
	.section	.text._ZN7rocprim17ROCPRIM_400000_NS6detail17trampoline_kernelINS0_14default_configENS1_35radix_sort_onesweep_config_selectorItNS0_10empty_typeEEEZNS1_34radix_sort_onesweep_global_offsetsIS3_Lb0EN6thrust23THRUST_200600_302600_NS6detail15normal_iteratorINS9_10device_ptrItEEEEPS5_jNS0_19identity_decomposerEEE10hipError_tT1_T2_PT3_SK_jT4_jjP12ihipStream_tbEUlT_E0_NS1_11comp_targetILNS1_3genE0ELNS1_11target_archE4294967295ELNS1_3gpuE0ELNS1_3repE0EEENS1_52radix_sort_onesweep_histogram_config_static_selectorELNS0_4arch9wavefront6targetE1EEEvSI_,"axG",@progbits,_ZN7rocprim17ROCPRIM_400000_NS6detail17trampoline_kernelINS0_14default_configENS1_35radix_sort_onesweep_config_selectorItNS0_10empty_typeEEEZNS1_34radix_sort_onesweep_global_offsetsIS3_Lb0EN6thrust23THRUST_200600_302600_NS6detail15normal_iteratorINS9_10device_ptrItEEEEPS5_jNS0_19identity_decomposerEEE10hipError_tT1_T2_PT3_SK_jT4_jjP12ihipStream_tbEUlT_E0_NS1_11comp_targetILNS1_3genE0ELNS1_11target_archE4294967295ELNS1_3gpuE0ELNS1_3repE0EEENS1_52radix_sort_onesweep_histogram_config_static_selectorELNS0_4arch9wavefront6targetE1EEEvSI_,comdat
	.protected	_ZN7rocprim17ROCPRIM_400000_NS6detail17trampoline_kernelINS0_14default_configENS1_35radix_sort_onesweep_config_selectorItNS0_10empty_typeEEEZNS1_34radix_sort_onesweep_global_offsetsIS3_Lb0EN6thrust23THRUST_200600_302600_NS6detail15normal_iteratorINS9_10device_ptrItEEEEPS5_jNS0_19identity_decomposerEEE10hipError_tT1_T2_PT3_SK_jT4_jjP12ihipStream_tbEUlT_E0_NS1_11comp_targetILNS1_3genE0ELNS1_11target_archE4294967295ELNS1_3gpuE0ELNS1_3repE0EEENS1_52radix_sort_onesweep_histogram_config_static_selectorELNS0_4arch9wavefront6targetE1EEEvSI_ ; -- Begin function _ZN7rocprim17ROCPRIM_400000_NS6detail17trampoline_kernelINS0_14default_configENS1_35radix_sort_onesweep_config_selectorItNS0_10empty_typeEEEZNS1_34radix_sort_onesweep_global_offsetsIS3_Lb0EN6thrust23THRUST_200600_302600_NS6detail15normal_iteratorINS9_10device_ptrItEEEEPS5_jNS0_19identity_decomposerEEE10hipError_tT1_T2_PT3_SK_jT4_jjP12ihipStream_tbEUlT_E0_NS1_11comp_targetILNS1_3genE0ELNS1_11target_archE4294967295ELNS1_3gpuE0ELNS1_3repE0EEENS1_52radix_sort_onesweep_histogram_config_static_selectorELNS0_4arch9wavefront6targetE1EEEvSI_
	.globl	_ZN7rocprim17ROCPRIM_400000_NS6detail17trampoline_kernelINS0_14default_configENS1_35radix_sort_onesweep_config_selectorItNS0_10empty_typeEEEZNS1_34radix_sort_onesweep_global_offsetsIS3_Lb0EN6thrust23THRUST_200600_302600_NS6detail15normal_iteratorINS9_10device_ptrItEEEEPS5_jNS0_19identity_decomposerEEE10hipError_tT1_T2_PT3_SK_jT4_jjP12ihipStream_tbEUlT_E0_NS1_11comp_targetILNS1_3genE0ELNS1_11target_archE4294967295ELNS1_3gpuE0ELNS1_3repE0EEENS1_52radix_sort_onesweep_histogram_config_static_selectorELNS0_4arch9wavefront6targetE1EEEvSI_
	.p2align	8
	.type	_ZN7rocprim17ROCPRIM_400000_NS6detail17trampoline_kernelINS0_14default_configENS1_35radix_sort_onesweep_config_selectorItNS0_10empty_typeEEEZNS1_34radix_sort_onesweep_global_offsetsIS3_Lb0EN6thrust23THRUST_200600_302600_NS6detail15normal_iteratorINS9_10device_ptrItEEEEPS5_jNS0_19identity_decomposerEEE10hipError_tT1_T2_PT3_SK_jT4_jjP12ihipStream_tbEUlT_E0_NS1_11comp_targetILNS1_3genE0ELNS1_11target_archE4294967295ELNS1_3gpuE0ELNS1_3repE0EEENS1_52radix_sort_onesweep_histogram_config_static_selectorELNS0_4arch9wavefront6targetE1EEEvSI_,@function
_ZN7rocprim17ROCPRIM_400000_NS6detail17trampoline_kernelINS0_14default_configENS1_35radix_sort_onesweep_config_selectorItNS0_10empty_typeEEEZNS1_34radix_sort_onesweep_global_offsetsIS3_Lb0EN6thrust23THRUST_200600_302600_NS6detail15normal_iteratorINS9_10device_ptrItEEEEPS5_jNS0_19identity_decomposerEEE10hipError_tT1_T2_PT3_SK_jT4_jjP12ihipStream_tbEUlT_E0_NS1_11comp_targetILNS1_3genE0ELNS1_11target_archE4294967295ELNS1_3gpuE0ELNS1_3repE0EEENS1_52radix_sort_onesweep_histogram_config_static_selectorELNS0_4arch9wavefront6targetE1EEEvSI_: ; @_ZN7rocprim17ROCPRIM_400000_NS6detail17trampoline_kernelINS0_14default_configENS1_35radix_sort_onesweep_config_selectorItNS0_10empty_typeEEEZNS1_34radix_sort_onesweep_global_offsetsIS3_Lb0EN6thrust23THRUST_200600_302600_NS6detail15normal_iteratorINS9_10device_ptrItEEEEPS5_jNS0_19identity_decomposerEEE10hipError_tT1_T2_PT3_SK_jT4_jjP12ihipStream_tbEUlT_E0_NS1_11comp_targetILNS1_3genE0ELNS1_11target_archE4294967295ELNS1_3gpuE0ELNS1_3repE0EEENS1_52radix_sort_onesweep_histogram_config_static_selectorELNS0_4arch9wavefront6targetE1EEEvSI_
; %bb.0:
	.section	.rodata,"a",@progbits
	.p2align	6, 0x0
	.amdhsa_kernel _ZN7rocprim17ROCPRIM_400000_NS6detail17trampoline_kernelINS0_14default_configENS1_35radix_sort_onesweep_config_selectorItNS0_10empty_typeEEEZNS1_34radix_sort_onesweep_global_offsetsIS3_Lb0EN6thrust23THRUST_200600_302600_NS6detail15normal_iteratorINS9_10device_ptrItEEEEPS5_jNS0_19identity_decomposerEEE10hipError_tT1_T2_PT3_SK_jT4_jjP12ihipStream_tbEUlT_E0_NS1_11comp_targetILNS1_3genE0ELNS1_11target_archE4294967295ELNS1_3gpuE0ELNS1_3repE0EEENS1_52radix_sort_onesweep_histogram_config_static_selectorELNS0_4arch9wavefront6targetE1EEEvSI_
		.amdhsa_group_segment_fixed_size 0
		.amdhsa_private_segment_fixed_size 0
		.amdhsa_kernarg_size 8
		.amdhsa_user_sgpr_count 6
		.amdhsa_user_sgpr_private_segment_buffer 1
		.amdhsa_user_sgpr_dispatch_ptr 0
		.amdhsa_user_sgpr_queue_ptr 0
		.amdhsa_user_sgpr_kernarg_segment_ptr 1
		.amdhsa_user_sgpr_dispatch_id 0
		.amdhsa_user_sgpr_flat_scratch_init 0
		.amdhsa_user_sgpr_kernarg_preload_length 0
		.amdhsa_user_sgpr_kernarg_preload_offset 0
		.amdhsa_user_sgpr_private_segment_size 0
		.amdhsa_uses_dynamic_stack 0
		.amdhsa_system_sgpr_private_segment_wavefront_offset 0
		.amdhsa_system_sgpr_workgroup_id_x 1
		.amdhsa_system_sgpr_workgroup_id_y 0
		.amdhsa_system_sgpr_workgroup_id_z 0
		.amdhsa_system_sgpr_workgroup_info 0
		.amdhsa_system_vgpr_workitem_id 0
		.amdhsa_next_free_vgpr 1
		.amdhsa_next_free_sgpr 0
		.amdhsa_accum_offset 4
		.amdhsa_reserve_vcc 0
		.amdhsa_reserve_flat_scratch 0
		.amdhsa_float_round_mode_32 0
		.amdhsa_float_round_mode_16_64 0
		.amdhsa_float_denorm_mode_32 3
		.amdhsa_float_denorm_mode_16_64 3
		.amdhsa_dx10_clamp 1
		.amdhsa_ieee_mode 1
		.amdhsa_fp16_overflow 0
		.amdhsa_tg_split 0
		.amdhsa_exception_fp_ieee_invalid_op 0
		.amdhsa_exception_fp_denorm_src 0
		.amdhsa_exception_fp_ieee_div_zero 0
		.amdhsa_exception_fp_ieee_overflow 0
		.amdhsa_exception_fp_ieee_underflow 0
		.amdhsa_exception_fp_ieee_inexact 0
		.amdhsa_exception_int_div_zero 0
	.end_amdhsa_kernel
	.section	.text._ZN7rocprim17ROCPRIM_400000_NS6detail17trampoline_kernelINS0_14default_configENS1_35radix_sort_onesweep_config_selectorItNS0_10empty_typeEEEZNS1_34radix_sort_onesweep_global_offsetsIS3_Lb0EN6thrust23THRUST_200600_302600_NS6detail15normal_iteratorINS9_10device_ptrItEEEEPS5_jNS0_19identity_decomposerEEE10hipError_tT1_T2_PT3_SK_jT4_jjP12ihipStream_tbEUlT_E0_NS1_11comp_targetILNS1_3genE0ELNS1_11target_archE4294967295ELNS1_3gpuE0ELNS1_3repE0EEENS1_52radix_sort_onesweep_histogram_config_static_selectorELNS0_4arch9wavefront6targetE1EEEvSI_,"axG",@progbits,_ZN7rocprim17ROCPRIM_400000_NS6detail17trampoline_kernelINS0_14default_configENS1_35radix_sort_onesweep_config_selectorItNS0_10empty_typeEEEZNS1_34radix_sort_onesweep_global_offsetsIS3_Lb0EN6thrust23THRUST_200600_302600_NS6detail15normal_iteratorINS9_10device_ptrItEEEEPS5_jNS0_19identity_decomposerEEE10hipError_tT1_T2_PT3_SK_jT4_jjP12ihipStream_tbEUlT_E0_NS1_11comp_targetILNS1_3genE0ELNS1_11target_archE4294967295ELNS1_3gpuE0ELNS1_3repE0EEENS1_52radix_sort_onesweep_histogram_config_static_selectorELNS0_4arch9wavefront6targetE1EEEvSI_,comdat
.Lfunc_end1320:
	.size	_ZN7rocprim17ROCPRIM_400000_NS6detail17trampoline_kernelINS0_14default_configENS1_35radix_sort_onesweep_config_selectorItNS0_10empty_typeEEEZNS1_34radix_sort_onesweep_global_offsetsIS3_Lb0EN6thrust23THRUST_200600_302600_NS6detail15normal_iteratorINS9_10device_ptrItEEEEPS5_jNS0_19identity_decomposerEEE10hipError_tT1_T2_PT3_SK_jT4_jjP12ihipStream_tbEUlT_E0_NS1_11comp_targetILNS1_3genE0ELNS1_11target_archE4294967295ELNS1_3gpuE0ELNS1_3repE0EEENS1_52radix_sort_onesweep_histogram_config_static_selectorELNS0_4arch9wavefront6targetE1EEEvSI_, .Lfunc_end1320-_ZN7rocprim17ROCPRIM_400000_NS6detail17trampoline_kernelINS0_14default_configENS1_35radix_sort_onesweep_config_selectorItNS0_10empty_typeEEEZNS1_34radix_sort_onesweep_global_offsetsIS3_Lb0EN6thrust23THRUST_200600_302600_NS6detail15normal_iteratorINS9_10device_ptrItEEEEPS5_jNS0_19identity_decomposerEEE10hipError_tT1_T2_PT3_SK_jT4_jjP12ihipStream_tbEUlT_E0_NS1_11comp_targetILNS1_3genE0ELNS1_11target_archE4294967295ELNS1_3gpuE0ELNS1_3repE0EEENS1_52radix_sort_onesweep_histogram_config_static_selectorELNS0_4arch9wavefront6targetE1EEEvSI_
                                        ; -- End function
	.section	.AMDGPU.csdata,"",@progbits
; Kernel info:
; codeLenInByte = 0
; NumSgprs: 4
; NumVgprs: 0
; NumAgprs: 0
; TotalNumVgprs: 0
; ScratchSize: 0
; MemoryBound: 0
; FloatMode: 240
; IeeeMode: 1
; LDSByteSize: 0 bytes/workgroup (compile time only)
; SGPRBlocks: 0
; VGPRBlocks: 0
; NumSGPRsForWavesPerEU: 4
; NumVGPRsForWavesPerEU: 1
; AccumOffset: 4
; Occupancy: 8
; WaveLimiterHint : 0
; COMPUTE_PGM_RSRC2:SCRATCH_EN: 0
; COMPUTE_PGM_RSRC2:USER_SGPR: 6
; COMPUTE_PGM_RSRC2:TRAP_HANDLER: 0
; COMPUTE_PGM_RSRC2:TGID_X_EN: 1
; COMPUTE_PGM_RSRC2:TGID_Y_EN: 0
; COMPUTE_PGM_RSRC2:TGID_Z_EN: 0
; COMPUTE_PGM_RSRC2:TIDIG_COMP_CNT: 0
; COMPUTE_PGM_RSRC3_GFX90A:ACCUM_OFFSET: 0
; COMPUTE_PGM_RSRC3_GFX90A:TG_SPLIT: 0
	.section	.text._ZN7rocprim17ROCPRIM_400000_NS6detail17trampoline_kernelINS0_14default_configENS1_35radix_sort_onesweep_config_selectorItNS0_10empty_typeEEEZNS1_34radix_sort_onesweep_global_offsetsIS3_Lb0EN6thrust23THRUST_200600_302600_NS6detail15normal_iteratorINS9_10device_ptrItEEEEPS5_jNS0_19identity_decomposerEEE10hipError_tT1_T2_PT3_SK_jT4_jjP12ihipStream_tbEUlT_E0_NS1_11comp_targetILNS1_3genE6ELNS1_11target_archE950ELNS1_3gpuE13ELNS1_3repE0EEENS1_52radix_sort_onesweep_histogram_config_static_selectorELNS0_4arch9wavefront6targetE1EEEvSI_,"axG",@progbits,_ZN7rocprim17ROCPRIM_400000_NS6detail17trampoline_kernelINS0_14default_configENS1_35radix_sort_onesweep_config_selectorItNS0_10empty_typeEEEZNS1_34radix_sort_onesweep_global_offsetsIS3_Lb0EN6thrust23THRUST_200600_302600_NS6detail15normal_iteratorINS9_10device_ptrItEEEEPS5_jNS0_19identity_decomposerEEE10hipError_tT1_T2_PT3_SK_jT4_jjP12ihipStream_tbEUlT_E0_NS1_11comp_targetILNS1_3genE6ELNS1_11target_archE950ELNS1_3gpuE13ELNS1_3repE0EEENS1_52radix_sort_onesweep_histogram_config_static_selectorELNS0_4arch9wavefront6targetE1EEEvSI_,comdat
	.protected	_ZN7rocprim17ROCPRIM_400000_NS6detail17trampoline_kernelINS0_14default_configENS1_35radix_sort_onesweep_config_selectorItNS0_10empty_typeEEEZNS1_34radix_sort_onesweep_global_offsetsIS3_Lb0EN6thrust23THRUST_200600_302600_NS6detail15normal_iteratorINS9_10device_ptrItEEEEPS5_jNS0_19identity_decomposerEEE10hipError_tT1_T2_PT3_SK_jT4_jjP12ihipStream_tbEUlT_E0_NS1_11comp_targetILNS1_3genE6ELNS1_11target_archE950ELNS1_3gpuE13ELNS1_3repE0EEENS1_52radix_sort_onesweep_histogram_config_static_selectorELNS0_4arch9wavefront6targetE1EEEvSI_ ; -- Begin function _ZN7rocprim17ROCPRIM_400000_NS6detail17trampoline_kernelINS0_14default_configENS1_35radix_sort_onesweep_config_selectorItNS0_10empty_typeEEEZNS1_34radix_sort_onesweep_global_offsetsIS3_Lb0EN6thrust23THRUST_200600_302600_NS6detail15normal_iteratorINS9_10device_ptrItEEEEPS5_jNS0_19identity_decomposerEEE10hipError_tT1_T2_PT3_SK_jT4_jjP12ihipStream_tbEUlT_E0_NS1_11comp_targetILNS1_3genE6ELNS1_11target_archE950ELNS1_3gpuE13ELNS1_3repE0EEENS1_52radix_sort_onesweep_histogram_config_static_selectorELNS0_4arch9wavefront6targetE1EEEvSI_
	.globl	_ZN7rocprim17ROCPRIM_400000_NS6detail17trampoline_kernelINS0_14default_configENS1_35radix_sort_onesweep_config_selectorItNS0_10empty_typeEEEZNS1_34radix_sort_onesweep_global_offsetsIS3_Lb0EN6thrust23THRUST_200600_302600_NS6detail15normal_iteratorINS9_10device_ptrItEEEEPS5_jNS0_19identity_decomposerEEE10hipError_tT1_T2_PT3_SK_jT4_jjP12ihipStream_tbEUlT_E0_NS1_11comp_targetILNS1_3genE6ELNS1_11target_archE950ELNS1_3gpuE13ELNS1_3repE0EEENS1_52radix_sort_onesweep_histogram_config_static_selectorELNS0_4arch9wavefront6targetE1EEEvSI_
	.p2align	8
	.type	_ZN7rocprim17ROCPRIM_400000_NS6detail17trampoline_kernelINS0_14default_configENS1_35radix_sort_onesweep_config_selectorItNS0_10empty_typeEEEZNS1_34radix_sort_onesweep_global_offsetsIS3_Lb0EN6thrust23THRUST_200600_302600_NS6detail15normal_iteratorINS9_10device_ptrItEEEEPS5_jNS0_19identity_decomposerEEE10hipError_tT1_T2_PT3_SK_jT4_jjP12ihipStream_tbEUlT_E0_NS1_11comp_targetILNS1_3genE6ELNS1_11target_archE950ELNS1_3gpuE13ELNS1_3repE0EEENS1_52radix_sort_onesweep_histogram_config_static_selectorELNS0_4arch9wavefront6targetE1EEEvSI_,@function
_ZN7rocprim17ROCPRIM_400000_NS6detail17trampoline_kernelINS0_14default_configENS1_35radix_sort_onesweep_config_selectorItNS0_10empty_typeEEEZNS1_34radix_sort_onesweep_global_offsetsIS3_Lb0EN6thrust23THRUST_200600_302600_NS6detail15normal_iteratorINS9_10device_ptrItEEEEPS5_jNS0_19identity_decomposerEEE10hipError_tT1_T2_PT3_SK_jT4_jjP12ihipStream_tbEUlT_E0_NS1_11comp_targetILNS1_3genE6ELNS1_11target_archE950ELNS1_3gpuE13ELNS1_3repE0EEENS1_52radix_sort_onesweep_histogram_config_static_selectorELNS0_4arch9wavefront6targetE1EEEvSI_: ; @_ZN7rocprim17ROCPRIM_400000_NS6detail17trampoline_kernelINS0_14default_configENS1_35radix_sort_onesweep_config_selectorItNS0_10empty_typeEEEZNS1_34radix_sort_onesweep_global_offsetsIS3_Lb0EN6thrust23THRUST_200600_302600_NS6detail15normal_iteratorINS9_10device_ptrItEEEEPS5_jNS0_19identity_decomposerEEE10hipError_tT1_T2_PT3_SK_jT4_jjP12ihipStream_tbEUlT_E0_NS1_11comp_targetILNS1_3genE6ELNS1_11target_archE950ELNS1_3gpuE13ELNS1_3repE0EEENS1_52radix_sort_onesweep_histogram_config_static_selectorELNS0_4arch9wavefront6targetE1EEEvSI_
; %bb.0:
	.section	.rodata,"a",@progbits
	.p2align	6, 0x0
	.amdhsa_kernel _ZN7rocprim17ROCPRIM_400000_NS6detail17trampoline_kernelINS0_14default_configENS1_35radix_sort_onesweep_config_selectorItNS0_10empty_typeEEEZNS1_34radix_sort_onesweep_global_offsetsIS3_Lb0EN6thrust23THRUST_200600_302600_NS6detail15normal_iteratorINS9_10device_ptrItEEEEPS5_jNS0_19identity_decomposerEEE10hipError_tT1_T2_PT3_SK_jT4_jjP12ihipStream_tbEUlT_E0_NS1_11comp_targetILNS1_3genE6ELNS1_11target_archE950ELNS1_3gpuE13ELNS1_3repE0EEENS1_52radix_sort_onesweep_histogram_config_static_selectorELNS0_4arch9wavefront6targetE1EEEvSI_
		.amdhsa_group_segment_fixed_size 0
		.amdhsa_private_segment_fixed_size 0
		.amdhsa_kernarg_size 8
		.amdhsa_user_sgpr_count 6
		.amdhsa_user_sgpr_private_segment_buffer 1
		.amdhsa_user_sgpr_dispatch_ptr 0
		.amdhsa_user_sgpr_queue_ptr 0
		.amdhsa_user_sgpr_kernarg_segment_ptr 1
		.amdhsa_user_sgpr_dispatch_id 0
		.amdhsa_user_sgpr_flat_scratch_init 0
		.amdhsa_user_sgpr_kernarg_preload_length 0
		.amdhsa_user_sgpr_kernarg_preload_offset 0
		.amdhsa_user_sgpr_private_segment_size 0
		.amdhsa_uses_dynamic_stack 0
		.amdhsa_system_sgpr_private_segment_wavefront_offset 0
		.amdhsa_system_sgpr_workgroup_id_x 1
		.amdhsa_system_sgpr_workgroup_id_y 0
		.amdhsa_system_sgpr_workgroup_id_z 0
		.amdhsa_system_sgpr_workgroup_info 0
		.amdhsa_system_vgpr_workitem_id 0
		.amdhsa_next_free_vgpr 1
		.amdhsa_next_free_sgpr 0
		.amdhsa_accum_offset 4
		.amdhsa_reserve_vcc 0
		.amdhsa_reserve_flat_scratch 0
		.amdhsa_float_round_mode_32 0
		.amdhsa_float_round_mode_16_64 0
		.amdhsa_float_denorm_mode_32 3
		.amdhsa_float_denorm_mode_16_64 3
		.amdhsa_dx10_clamp 1
		.amdhsa_ieee_mode 1
		.amdhsa_fp16_overflow 0
		.amdhsa_tg_split 0
		.amdhsa_exception_fp_ieee_invalid_op 0
		.amdhsa_exception_fp_denorm_src 0
		.amdhsa_exception_fp_ieee_div_zero 0
		.amdhsa_exception_fp_ieee_overflow 0
		.amdhsa_exception_fp_ieee_underflow 0
		.amdhsa_exception_fp_ieee_inexact 0
		.amdhsa_exception_int_div_zero 0
	.end_amdhsa_kernel
	.section	.text._ZN7rocprim17ROCPRIM_400000_NS6detail17trampoline_kernelINS0_14default_configENS1_35radix_sort_onesweep_config_selectorItNS0_10empty_typeEEEZNS1_34radix_sort_onesweep_global_offsetsIS3_Lb0EN6thrust23THRUST_200600_302600_NS6detail15normal_iteratorINS9_10device_ptrItEEEEPS5_jNS0_19identity_decomposerEEE10hipError_tT1_T2_PT3_SK_jT4_jjP12ihipStream_tbEUlT_E0_NS1_11comp_targetILNS1_3genE6ELNS1_11target_archE950ELNS1_3gpuE13ELNS1_3repE0EEENS1_52radix_sort_onesweep_histogram_config_static_selectorELNS0_4arch9wavefront6targetE1EEEvSI_,"axG",@progbits,_ZN7rocprim17ROCPRIM_400000_NS6detail17trampoline_kernelINS0_14default_configENS1_35radix_sort_onesweep_config_selectorItNS0_10empty_typeEEEZNS1_34radix_sort_onesweep_global_offsetsIS3_Lb0EN6thrust23THRUST_200600_302600_NS6detail15normal_iteratorINS9_10device_ptrItEEEEPS5_jNS0_19identity_decomposerEEE10hipError_tT1_T2_PT3_SK_jT4_jjP12ihipStream_tbEUlT_E0_NS1_11comp_targetILNS1_3genE6ELNS1_11target_archE950ELNS1_3gpuE13ELNS1_3repE0EEENS1_52radix_sort_onesweep_histogram_config_static_selectorELNS0_4arch9wavefront6targetE1EEEvSI_,comdat
.Lfunc_end1321:
	.size	_ZN7rocprim17ROCPRIM_400000_NS6detail17trampoline_kernelINS0_14default_configENS1_35radix_sort_onesweep_config_selectorItNS0_10empty_typeEEEZNS1_34radix_sort_onesweep_global_offsetsIS3_Lb0EN6thrust23THRUST_200600_302600_NS6detail15normal_iteratorINS9_10device_ptrItEEEEPS5_jNS0_19identity_decomposerEEE10hipError_tT1_T2_PT3_SK_jT4_jjP12ihipStream_tbEUlT_E0_NS1_11comp_targetILNS1_3genE6ELNS1_11target_archE950ELNS1_3gpuE13ELNS1_3repE0EEENS1_52radix_sort_onesweep_histogram_config_static_selectorELNS0_4arch9wavefront6targetE1EEEvSI_, .Lfunc_end1321-_ZN7rocprim17ROCPRIM_400000_NS6detail17trampoline_kernelINS0_14default_configENS1_35radix_sort_onesweep_config_selectorItNS0_10empty_typeEEEZNS1_34radix_sort_onesweep_global_offsetsIS3_Lb0EN6thrust23THRUST_200600_302600_NS6detail15normal_iteratorINS9_10device_ptrItEEEEPS5_jNS0_19identity_decomposerEEE10hipError_tT1_T2_PT3_SK_jT4_jjP12ihipStream_tbEUlT_E0_NS1_11comp_targetILNS1_3genE6ELNS1_11target_archE950ELNS1_3gpuE13ELNS1_3repE0EEENS1_52radix_sort_onesweep_histogram_config_static_selectorELNS0_4arch9wavefront6targetE1EEEvSI_
                                        ; -- End function
	.section	.AMDGPU.csdata,"",@progbits
; Kernel info:
; codeLenInByte = 0
; NumSgprs: 4
; NumVgprs: 0
; NumAgprs: 0
; TotalNumVgprs: 0
; ScratchSize: 0
; MemoryBound: 0
; FloatMode: 240
; IeeeMode: 1
; LDSByteSize: 0 bytes/workgroup (compile time only)
; SGPRBlocks: 0
; VGPRBlocks: 0
; NumSGPRsForWavesPerEU: 4
; NumVGPRsForWavesPerEU: 1
; AccumOffset: 4
; Occupancy: 8
; WaveLimiterHint : 0
; COMPUTE_PGM_RSRC2:SCRATCH_EN: 0
; COMPUTE_PGM_RSRC2:USER_SGPR: 6
; COMPUTE_PGM_RSRC2:TRAP_HANDLER: 0
; COMPUTE_PGM_RSRC2:TGID_X_EN: 1
; COMPUTE_PGM_RSRC2:TGID_Y_EN: 0
; COMPUTE_PGM_RSRC2:TGID_Z_EN: 0
; COMPUTE_PGM_RSRC2:TIDIG_COMP_CNT: 0
; COMPUTE_PGM_RSRC3_GFX90A:ACCUM_OFFSET: 0
; COMPUTE_PGM_RSRC3_GFX90A:TG_SPLIT: 0
	.section	.text._ZN7rocprim17ROCPRIM_400000_NS6detail17trampoline_kernelINS0_14default_configENS1_35radix_sort_onesweep_config_selectorItNS0_10empty_typeEEEZNS1_34radix_sort_onesweep_global_offsetsIS3_Lb0EN6thrust23THRUST_200600_302600_NS6detail15normal_iteratorINS9_10device_ptrItEEEEPS5_jNS0_19identity_decomposerEEE10hipError_tT1_T2_PT3_SK_jT4_jjP12ihipStream_tbEUlT_E0_NS1_11comp_targetILNS1_3genE5ELNS1_11target_archE942ELNS1_3gpuE9ELNS1_3repE0EEENS1_52radix_sort_onesweep_histogram_config_static_selectorELNS0_4arch9wavefront6targetE1EEEvSI_,"axG",@progbits,_ZN7rocprim17ROCPRIM_400000_NS6detail17trampoline_kernelINS0_14default_configENS1_35radix_sort_onesweep_config_selectorItNS0_10empty_typeEEEZNS1_34radix_sort_onesweep_global_offsetsIS3_Lb0EN6thrust23THRUST_200600_302600_NS6detail15normal_iteratorINS9_10device_ptrItEEEEPS5_jNS0_19identity_decomposerEEE10hipError_tT1_T2_PT3_SK_jT4_jjP12ihipStream_tbEUlT_E0_NS1_11comp_targetILNS1_3genE5ELNS1_11target_archE942ELNS1_3gpuE9ELNS1_3repE0EEENS1_52radix_sort_onesweep_histogram_config_static_selectorELNS0_4arch9wavefront6targetE1EEEvSI_,comdat
	.protected	_ZN7rocprim17ROCPRIM_400000_NS6detail17trampoline_kernelINS0_14default_configENS1_35radix_sort_onesweep_config_selectorItNS0_10empty_typeEEEZNS1_34radix_sort_onesweep_global_offsetsIS3_Lb0EN6thrust23THRUST_200600_302600_NS6detail15normal_iteratorINS9_10device_ptrItEEEEPS5_jNS0_19identity_decomposerEEE10hipError_tT1_T2_PT3_SK_jT4_jjP12ihipStream_tbEUlT_E0_NS1_11comp_targetILNS1_3genE5ELNS1_11target_archE942ELNS1_3gpuE9ELNS1_3repE0EEENS1_52radix_sort_onesweep_histogram_config_static_selectorELNS0_4arch9wavefront6targetE1EEEvSI_ ; -- Begin function _ZN7rocprim17ROCPRIM_400000_NS6detail17trampoline_kernelINS0_14default_configENS1_35radix_sort_onesweep_config_selectorItNS0_10empty_typeEEEZNS1_34radix_sort_onesweep_global_offsetsIS3_Lb0EN6thrust23THRUST_200600_302600_NS6detail15normal_iteratorINS9_10device_ptrItEEEEPS5_jNS0_19identity_decomposerEEE10hipError_tT1_T2_PT3_SK_jT4_jjP12ihipStream_tbEUlT_E0_NS1_11comp_targetILNS1_3genE5ELNS1_11target_archE942ELNS1_3gpuE9ELNS1_3repE0EEENS1_52radix_sort_onesweep_histogram_config_static_selectorELNS0_4arch9wavefront6targetE1EEEvSI_
	.globl	_ZN7rocprim17ROCPRIM_400000_NS6detail17trampoline_kernelINS0_14default_configENS1_35radix_sort_onesweep_config_selectorItNS0_10empty_typeEEEZNS1_34radix_sort_onesweep_global_offsetsIS3_Lb0EN6thrust23THRUST_200600_302600_NS6detail15normal_iteratorINS9_10device_ptrItEEEEPS5_jNS0_19identity_decomposerEEE10hipError_tT1_T2_PT3_SK_jT4_jjP12ihipStream_tbEUlT_E0_NS1_11comp_targetILNS1_3genE5ELNS1_11target_archE942ELNS1_3gpuE9ELNS1_3repE0EEENS1_52radix_sort_onesweep_histogram_config_static_selectorELNS0_4arch9wavefront6targetE1EEEvSI_
	.p2align	8
	.type	_ZN7rocprim17ROCPRIM_400000_NS6detail17trampoline_kernelINS0_14default_configENS1_35radix_sort_onesweep_config_selectorItNS0_10empty_typeEEEZNS1_34radix_sort_onesweep_global_offsetsIS3_Lb0EN6thrust23THRUST_200600_302600_NS6detail15normal_iteratorINS9_10device_ptrItEEEEPS5_jNS0_19identity_decomposerEEE10hipError_tT1_T2_PT3_SK_jT4_jjP12ihipStream_tbEUlT_E0_NS1_11comp_targetILNS1_3genE5ELNS1_11target_archE942ELNS1_3gpuE9ELNS1_3repE0EEENS1_52radix_sort_onesweep_histogram_config_static_selectorELNS0_4arch9wavefront6targetE1EEEvSI_,@function
_ZN7rocprim17ROCPRIM_400000_NS6detail17trampoline_kernelINS0_14default_configENS1_35radix_sort_onesweep_config_selectorItNS0_10empty_typeEEEZNS1_34radix_sort_onesweep_global_offsetsIS3_Lb0EN6thrust23THRUST_200600_302600_NS6detail15normal_iteratorINS9_10device_ptrItEEEEPS5_jNS0_19identity_decomposerEEE10hipError_tT1_T2_PT3_SK_jT4_jjP12ihipStream_tbEUlT_E0_NS1_11comp_targetILNS1_3genE5ELNS1_11target_archE942ELNS1_3gpuE9ELNS1_3repE0EEENS1_52radix_sort_onesweep_histogram_config_static_selectorELNS0_4arch9wavefront6targetE1EEEvSI_: ; @_ZN7rocprim17ROCPRIM_400000_NS6detail17trampoline_kernelINS0_14default_configENS1_35radix_sort_onesweep_config_selectorItNS0_10empty_typeEEEZNS1_34radix_sort_onesweep_global_offsetsIS3_Lb0EN6thrust23THRUST_200600_302600_NS6detail15normal_iteratorINS9_10device_ptrItEEEEPS5_jNS0_19identity_decomposerEEE10hipError_tT1_T2_PT3_SK_jT4_jjP12ihipStream_tbEUlT_E0_NS1_11comp_targetILNS1_3genE5ELNS1_11target_archE942ELNS1_3gpuE9ELNS1_3repE0EEENS1_52radix_sort_onesweep_histogram_config_static_selectorELNS0_4arch9wavefront6targetE1EEEvSI_
; %bb.0:
	.section	.rodata,"a",@progbits
	.p2align	6, 0x0
	.amdhsa_kernel _ZN7rocprim17ROCPRIM_400000_NS6detail17trampoline_kernelINS0_14default_configENS1_35radix_sort_onesweep_config_selectorItNS0_10empty_typeEEEZNS1_34radix_sort_onesweep_global_offsetsIS3_Lb0EN6thrust23THRUST_200600_302600_NS6detail15normal_iteratorINS9_10device_ptrItEEEEPS5_jNS0_19identity_decomposerEEE10hipError_tT1_T2_PT3_SK_jT4_jjP12ihipStream_tbEUlT_E0_NS1_11comp_targetILNS1_3genE5ELNS1_11target_archE942ELNS1_3gpuE9ELNS1_3repE0EEENS1_52radix_sort_onesweep_histogram_config_static_selectorELNS0_4arch9wavefront6targetE1EEEvSI_
		.amdhsa_group_segment_fixed_size 0
		.amdhsa_private_segment_fixed_size 0
		.amdhsa_kernarg_size 8
		.amdhsa_user_sgpr_count 6
		.amdhsa_user_sgpr_private_segment_buffer 1
		.amdhsa_user_sgpr_dispatch_ptr 0
		.amdhsa_user_sgpr_queue_ptr 0
		.amdhsa_user_sgpr_kernarg_segment_ptr 1
		.amdhsa_user_sgpr_dispatch_id 0
		.amdhsa_user_sgpr_flat_scratch_init 0
		.amdhsa_user_sgpr_kernarg_preload_length 0
		.amdhsa_user_sgpr_kernarg_preload_offset 0
		.amdhsa_user_sgpr_private_segment_size 0
		.amdhsa_uses_dynamic_stack 0
		.amdhsa_system_sgpr_private_segment_wavefront_offset 0
		.amdhsa_system_sgpr_workgroup_id_x 1
		.amdhsa_system_sgpr_workgroup_id_y 0
		.amdhsa_system_sgpr_workgroup_id_z 0
		.amdhsa_system_sgpr_workgroup_info 0
		.amdhsa_system_vgpr_workitem_id 0
		.amdhsa_next_free_vgpr 1
		.amdhsa_next_free_sgpr 0
		.amdhsa_accum_offset 4
		.amdhsa_reserve_vcc 0
		.amdhsa_reserve_flat_scratch 0
		.amdhsa_float_round_mode_32 0
		.amdhsa_float_round_mode_16_64 0
		.amdhsa_float_denorm_mode_32 3
		.amdhsa_float_denorm_mode_16_64 3
		.amdhsa_dx10_clamp 1
		.amdhsa_ieee_mode 1
		.amdhsa_fp16_overflow 0
		.amdhsa_tg_split 0
		.amdhsa_exception_fp_ieee_invalid_op 0
		.amdhsa_exception_fp_denorm_src 0
		.amdhsa_exception_fp_ieee_div_zero 0
		.amdhsa_exception_fp_ieee_overflow 0
		.amdhsa_exception_fp_ieee_underflow 0
		.amdhsa_exception_fp_ieee_inexact 0
		.amdhsa_exception_int_div_zero 0
	.end_amdhsa_kernel
	.section	.text._ZN7rocprim17ROCPRIM_400000_NS6detail17trampoline_kernelINS0_14default_configENS1_35radix_sort_onesweep_config_selectorItNS0_10empty_typeEEEZNS1_34radix_sort_onesweep_global_offsetsIS3_Lb0EN6thrust23THRUST_200600_302600_NS6detail15normal_iteratorINS9_10device_ptrItEEEEPS5_jNS0_19identity_decomposerEEE10hipError_tT1_T2_PT3_SK_jT4_jjP12ihipStream_tbEUlT_E0_NS1_11comp_targetILNS1_3genE5ELNS1_11target_archE942ELNS1_3gpuE9ELNS1_3repE0EEENS1_52radix_sort_onesweep_histogram_config_static_selectorELNS0_4arch9wavefront6targetE1EEEvSI_,"axG",@progbits,_ZN7rocprim17ROCPRIM_400000_NS6detail17trampoline_kernelINS0_14default_configENS1_35radix_sort_onesweep_config_selectorItNS0_10empty_typeEEEZNS1_34radix_sort_onesweep_global_offsetsIS3_Lb0EN6thrust23THRUST_200600_302600_NS6detail15normal_iteratorINS9_10device_ptrItEEEEPS5_jNS0_19identity_decomposerEEE10hipError_tT1_T2_PT3_SK_jT4_jjP12ihipStream_tbEUlT_E0_NS1_11comp_targetILNS1_3genE5ELNS1_11target_archE942ELNS1_3gpuE9ELNS1_3repE0EEENS1_52radix_sort_onesweep_histogram_config_static_selectorELNS0_4arch9wavefront6targetE1EEEvSI_,comdat
.Lfunc_end1322:
	.size	_ZN7rocprim17ROCPRIM_400000_NS6detail17trampoline_kernelINS0_14default_configENS1_35radix_sort_onesweep_config_selectorItNS0_10empty_typeEEEZNS1_34radix_sort_onesweep_global_offsetsIS3_Lb0EN6thrust23THRUST_200600_302600_NS6detail15normal_iteratorINS9_10device_ptrItEEEEPS5_jNS0_19identity_decomposerEEE10hipError_tT1_T2_PT3_SK_jT4_jjP12ihipStream_tbEUlT_E0_NS1_11comp_targetILNS1_3genE5ELNS1_11target_archE942ELNS1_3gpuE9ELNS1_3repE0EEENS1_52radix_sort_onesweep_histogram_config_static_selectorELNS0_4arch9wavefront6targetE1EEEvSI_, .Lfunc_end1322-_ZN7rocprim17ROCPRIM_400000_NS6detail17trampoline_kernelINS0_14default_configENS1_35radix_sort_onesweep_config_selectorItNS0_10empty_typeEEEZNS1_34radix_sort_onesweep_global_offsetsIS3_Lb0EN6thrust23THRUST_200600_302600_NS6detail15normal_iteratorINS9_10device_ptrItEEEEPS5_jNS0_19identity_decomposerEEE10hipError_tT1_T2_PT3_SK_jT4_jjP12ihipStream_tbEUlT_E0_NS1_11comp_targetILNS1_3genE5ELNS1_11target_archE942ELNS1_3gpuE9ELNS1_3repE0EEENS1_52radix_sort_onesweep_histogram_config_static_selectorELNS0_4arch9wavefront6targetE1EEEvSI_
                                        ; -- End function
	.section	.AMDGPU.csdata,"",@progbits
; Kernel info:
; codeLenInByte = 0
; NumSgprs: 4
; NumVgprs: 0
; NumAgprs: 0
; TotalNumVgprs: 0
; ScratchSize: 0
; MemoryBound: 0
; FloatMode: 240
; IeeeMode: 1
; LDSByteSize: 0 bytes/workgroup (compile time only)
; SGPRBlocks: 0
; VGPRBlocks: 0
; NumSGPRsForWavesPerEU: 4
; NumVGPRsForWavesPerEU: 1
; AccumOffset: 4
; Occupancy: 8
; WaveLimiterHint : 0
; COMPUTE_PGM_RSRC2:SCRATCH_EN: 0
; COMPUTE_PGM_RSRC2:USER_SGPR: 6
; COMPUTE_PGM_RSRC2:TRAP_HANDLER: 0
; COMPUTE_PGM_RSRC2:TGID_X_EN: 1
; COMPUTE_PGM_RSRC2:TGID_Y_EN: 0
; COMPUTE_PGM_RSRC2:TGID_Z_EN: 0
; COMPUTE_PGM_RSRC2:TIDIG_COMP_CNT: 0
; COMPUTE_PGM_RSRC3_GFX90A:ACCUM_OFFSET: 0
; COMPUTE_PGM_RSRC3_GFX90A:TG_SPLIT: 0
	.section	.text._ZN7rocprim17ROCPRIM_400000_NS6detail17trampoline_kernelINS0_14default_configENS1_35radix_sort_onesweep_config_selectorItNS0_10empty_typeEEEZNS1_34radix_sort_onesweep_global_offsetsIS3_Lb0EN6thrust23THRUST_200600_302600_NS6detail15normal_iteratorINS9_10device_ptrItEEEEPS5_jNS0_19identity_decomposerEEE10hipError_tT1_T2_PT3_SK_jT4_jjP12ihipStream_tbEUlT_E0_NS1_11comp_targetILNS1_3genE2ELNS1_11target_archE906ELNS1_3gpuE6ELNS1_3repE0EEENS1_52radix_sort_onesweep_histogram_config_static_selectorELNS0_4arch9wavefront6targetE1EEEvSI_,"axG",@progbits,_ZN7rocprim17ROCPRIM_400000_NS6detail17trampoline_kernelINS0_14default_configENS1_35radix_sort_onesweep_config_selectorItNS0_10empty_typeEEEZNS1_34radix_sort_onesweep_global_offsetsIS3_Lb0EN6thrust23THRUST_200600_302600_NS6detail15normal_iteratorINS9_10device_ptrItEEEEPS5_jNS0_19identity_decomposerEEE10hipError_tT1_T2_PT3_SK_jT4_jjP12ihipStream_tbEUlT_E0_NS1_11comp_targetILNS1_3genE2ELNS1_11target_archE906ELNS1_3gpuE6ELNS1_3repE0EEENS1_52radix_sort_onesweep_histogram_config_static_selectorELNS0_4arch9wavefront6targetE1EEEvSI_,comdat
	.protected	_ZN7rocprim17ROCPRIM_400000_NS6detail17trampoline_kernelINS0_14default_configENS1_35radix_sort_onesweep_config_selectorItNS0_10empty_typeEEEZNS1_34radix_sort_onesweep_global_offsetsIS3_Lb0EN6thrust23THRUST_200600_302600_NS6detail15normal_iteratorINS9_10device_ptrItEEEEPS5_jNS0_19identity_decomposerEEE10hipError_tT1_T2_PT3_SK_jT4_jjP12ihipStream_tbEUlT_E0_NS1_11comp_targetILNS1_3genE2ELNS1_11target_archE906ELNS1_3gpuE6ELNS1_3repE0EEENS1_52radix_sort_onesweep_histogram_config_static_selectorELNS0_4arch9wavefront6targetE1EEEvSI_ ; -- Begin function _ZN7rocprim17ROCPRIM_400000_NS6detail17trampoline_kernelINS0_14default_configENS1_35radix_sort_onesweep_config_selectorItNS0_10empty_typeEEEZNS1_34radix_sort_onesweep_global_offsetsIS3_Lb0EN6thrust23THRUST_200600_302600_NS6detail15normal_iteratorINS9_10device_ptrItEEEEPS5_jNS0_19identity_decomposerEEE10hipError_tT1_T2_PT3_SK_jT4_jjP12ihipStream_tbEUlT_E0_NS1_11comp_targetILNS1_3genE2ELNS1_11target_archE906ELNS1_3gpuE6ELNS1_3repE0EEENS1_52radix_sort_onesweep_histogram_config_static_selectorELNS0_4arch9wavefront6targetE1EEEvSI_
	.globl	_ZN7rocprim17ROCPRIM_400000_NS6detail17trampoline_kernelINS0_14default_configENS1_35radix_sort_onesweep_config_selectorItNS0_10empty_typeEEEZNS1_34radix_sort_onesweep_global_offsetsIS3_Lb0EN6thrust23THRUST_200600_302600_NS6detail15normal_iteratorINS9_10device_ptrItEEEEPS5_jNS0_19identity_decomposerEEE10hipError_tT1_T2_PT3_SK_jT4_jjP12ihipStream_tbEUlT_E0_NS1_11comp_targetILNS1_3genE2ELNS1_11target_archE906ELNS1_3gpuE6ELNS1_3repE0EEENS1_52radix_sort_onesweep_histogram_config_static_selectorELNS0_4arch9wavefront6targetE1EEEvSI_
	.p2align	8
	.type	_ZN7rocprim17ROCPRIM_400000_NS6detail17trampoline_kernelINS0_14default_configENS1_35radix_sort_onesweep_config_selectorItNS0_10empty_typeEEEZNS1_34radix_sort_onesweep_global_offsetsIS3_Lb0EN6thrust23THRUST_200600_302600_NS6detail15normal_iteratorINS9_10device_ptrItEEEEPS5_jNS0_19identity_decomposerEEE10hipError_tT1_T2_PT3_SK_jT4_jjP12ihipStream_tbEUlT_E0_NS1_11comp_targetILNS1_3genE2ELNS1_11target_archE906ELNS1_3gpuE6ELNS1_3repE0EEENS1_52radix_sort_onesweep_histogram_config_static_selectorELNS0_4arch9wavefront6targetE1EEEvSI_,@function
_ZN7rocprim17ROCPRIM_400000_NS6detail17trampoline_kernelINS0_14default_configENS1_35radix_sort_onesweep_config_selectorItNS0_10empty_typeEEEZNS1_34radix_sort_onesweep_global_offsetsIS3_Lb0EN6thrust23THRUST_200600_302600_NS6detail15normal_iteratorINS9_10device_ptrItEEEEPS5_jNS0_19identity_decomposerEEE10hipError_tT1_T2_PT3_SK_jT4_jjP12ihipStream_tbEUlT_E0_NS1_11comp_targetILNS1_3genE2ELNS1_11target_archE906ELNS1_3gpuE6ELNS1_3repE0EEENS1_52radix_sort_onesweep_histogram_config_static_selectorELNS0_4arch9wavefront6targetE1EEEvSI_: ; @_ZN7rocprim17ROCPRIM_400000_NS6detail17trampoline_kernelINS0_14default_configENS1_35radix_sort_onesweep_config_selectorItNS0_10empty_typeEEEZNS1_34radix_sort_onesweep_global_offsetsIS3_Lb0EN6thrust23THRUST_200600_302600_NS6detail15normal_iteratorINS9_10device_ptrItEEEEPS5_jNS0_19identity_decomposerEEE10hipError_tT1_T2_PT3_SK_jT4_jjP12ihipStream_tbEUlT_E0_NS1_11comp_targetILNS1_3genE2ELNS1_11target_archE906ELNS1_3gpuE6ELNS1_3repE0EEENS1_52radix_sort_onesweep_histogram_config_static_selectorELNS0_4arch9wavefront6targetE1EEEvSI_
; %bb.0:
	.section	.rodata,"a",@progbits
	.p2align	6, 0x0
	.amdhsa_kernel _ZN7rocprim17ROCPRIM_400000_NS6detail17trampoline_kernelINS0_14default_configENS1_35radix_sort_onesweep_config_selectorItNS0_10empty_typeEEEZNS1_34radix_sort_onesweep_global_offsetsIS3_Lb0EN6thrust23THRUST_200600_302600_NS6detail15normal_iteratorINS9_10device_ptrItEEEEPS5_jNS0_19identity_decomposerEEE10hipError_tT1_T2_PT3_SK_jT4_jjP12ihipStream_tbEUlT_E0_NS1_11comp_targetILNS1_3genE2ELNS1_11target_archE906ELNS1_3gpuE6ELNS1_3repE0EEENS1_52radix_sort_onesweep_histogram_config_static_selectorELNS0_4arch9wavefront6targetE1EEEvSI_
		.amdhsa_group_segment_fixed_size 0
		.amdhsa_private_segment_fixed_size 0
		.amdhsa_kernarg_size 8
		.amdhsa_user_sgpr_count 6
		.amdhsa_user_sgpr_private_segment_buffer 1
		.amdhsa_user_sgpr_dispatch_ptr 0
		.amdhsa_user_sgpr_queue_ptr 0
		.amdhsa_user_sgpr_kernarg_segment_ptr 1
		.amdhsa_user_sgpr_dispatch_id 0
		.amdhsa_user_sgpr_flat_scratch_init 0
		.amdhsa_user_sgpr_kernarg_preload_length 0
		.amdhsa_user_sgpr_kernarg_preload_offset 0
		.amdhsa_user_sgpr_private_segment_size 0
		.amdhsa_uses_dynamic_stack 0
		.amdhsa_system_sgpr_private_segment_wavefront_offset 0
		.amdhsa_system_sgpr_workgroup_id_x 1
		.amdhsa_system_sgpr_workgroup_id_y 0
		.amdhsa_system_sgpr_workgroup_id_z 0
		.amdhsa_system_sgpr_workgroup_info 0
		.amdhsa_system_vgpr_workitem_id 0
		.amdhsa_next_free_vgpr 1
		.amdhsa_next_free_sgpr 0
		.amdhsa_accum_offset 4
		.amdhsa_reserve_vcc 0
		.amdhsa_reserve_flat_scratch 0
		.amdhsa_float_round_mode_32 0
		.amdhsa_float_round_mode_16_64 0
		.amdhsa_float_denorm_mode_32 3
		.amdhsa_float_denorm_mode_16_64 3
		.amdhsa_dx10_clamp 1
		.amdhsa_ieee_mode 1
		.amdhsa_fp16_overflow 0
		.amdhsa_tg_split 0
		.amdhsa_exception_fp_ieee_invalid_op 0
		.amdhsa_exception_fp_denorm_src 0
		.amdhsa_exception_fp_ieee_div_zero 0
		.amdhsa_exception_fp_ieee_overflow 0
		.amdhsa_exception_fp_ieee_underflow 0
		.amdhsa_exception_fp_ieee_inexact 0
		.amdhsa_exception_int_div_zero 0
	.end_amdhsa_kernel
	.section	.text._ZN7rocprim17ROCPRIM_400000_NS6detail17trampoline_kernelINS0_14default_configENS1_35radix_sort_onesweep_config_selectorItNS0_10empty_typeEEEZNS1_34radix_sort_onesweep_global_offsetsIS3_Lb0EN6thrust23THRUST_200600_302600_NS6detail15normal_iteratorINS9_10device_ptrItEEEEPS5_jNS0_19identity_decomposerEEE10hipError_tT1_T2_PT3_SK_jT4_jjP12ihipStream_tbEUlT_E0_NS1_11comp_targetILNS1_3genE2ELNS1_11target_archE906ELNS1_3gpuE6ELNS1_3repE0EEENS1_52radix_sort_onesweep_histogram_config_static_selectorELNS0_4arch9wavefront6targetE1EEEvSI_,"axG",@progbits,_ZN7rocprim17ROCPRIM_400000_NS6detail17trampoline_kernelINS0_14default_configENS1_35radix_sort_onesweep_config_selectorItNS0_10empty_typeEEEZNS1_34radix_sort_onesweep_global_offsetsIS3_Lb0EN6thrust23THRUST_200600_302600_NS6detail15normal_iteratorINS9_10device_ptrItEEEEPS5_jNS0_19identity_decomposerEEE10hipError_tT1_T2_PT3_SK_jT4_jjP12ihipStream_tbEUlT_E0_NS1_11comp_targetILNS1_3genE2ELNS1_11target_archE906ELNS1_3gpuE6ELNS1_3repE0EEENS1_52radix_sort_onesweep_histogram_config_static_selectorELNS0_4arch9wavefront6targetE1EEEvSI_,comdat
.Lfunc_end1323:
	.size	_ZN7rocprim17ROCPRIM_400000_NS6detail17trampoline_kernelINS0_14default_configENS1_35radix_sort_onesweep_config_selectorItNS0_10empty_typeEEEZNS1_34radix_sort_onesweep_global_offsetsIS3_Lb0EN6thrust23THRUST_200600_302600_NS6detail15normal_iteratorINS9_10device_ptrItEEEEPS5_jNS0_19identity_decomposerEEE10hipError_tT1_T2_PT3_SK_jT4_jjP12ihipStream_tbEUlT_E0_NS1_11comp_targetILNS1_3genE2ELNS1_11target_archE906ELNS1_3gpuE6ELNS1_3repE0EEENS1_52radix_sort_onesweep_histogram_config_static_selectorELNS0_4arch9wavefront6targetE1EEEvSI_, .Lfunc_end1323-_ZN7rocprim17ROCPRIM_400000_NS6detail17trampoline_kernelINS0_14default_configENS1_35radix_sort_onesweep_config_selectorItNS0_10empty_typeEEEZNS1_34radix_sort_onesweep_global_offsetsIS3_Lb0EN6thrust23THRUST_200600_302600_NS6detail15normal_iteratorINS9_10device_ptrItEEEEPS5_jNS0_19identity_decomposerEEE10hipError_tT1_T2_PT3_SK_jT4_jjP12ihipStream_tbEUlT_E0_NS1_11comp_targetILNS1_3genE2ELNS1_11target_archE906ELNS1_3gpuE6ELNS1_3repE0EEENS1_52radix_sort_onesweep_histogram_config_static_selectorELNS0_4arch9wavefront6targetE1EEEvSI_
                                        ; -- End function
	.section	.AMDGPU.csdata,"",@progbits
; Kernel info:
; codeLenInByte = 0
; NumSgprs: 4
; NumVgprs: 0
; NumAgprs: 0
; TotalNumVgprs: 0
; ScratchSize: 0
; MemoryBound: 0
; FloatMode: 240
; IeeeMode: 1
; LDSByteSize: 0 bytes/workgroup (compile time only)
; SGPRBlocks: 0
; VGPRBlocks: 0
; NumSGPRsForWavesPerEU: 4
; NumVGPRsForWavesPerEU: 1
; AccumOffset: 4
; Occupancy: 8
; WaveLimiterHint : 0
; COMPUTE_PGM_RSRC2:SCRATCH_EN: 0
; COMPUTE_PGM_RSRC2:USER_SGPR: 6
; COMPUTE_PGM_RSRC2:TRAP_HANDLER: 0
; COMPUTE_PGM_RSRC2:TGID_X_EN: 1
; COMPUTE_PGM_RSRC2:TGID_Y_EN: 0
; COMPUTE_PGM_RSRC2:TGID_Z_EN: 0
; COMPUTE_PGM_RSRC2:TIDIG_COMP_CNT: 0
; COMPUTE_PGM_RSRC3_GFX90A:ACCUM_OFFSET: 0
; COMPUTE_PGM_RSRC3_GFX90A:TG_SPLIT: 0
	.section	.text._ZN7rocprim17ROCPRIM_400000_NS6detail17trampoline_kernelINS0_14default_configENS1_35radix_sort_onesweep_config_selectorItNS0_10empty_typeEEEZNS1_34radix_sort_onesweep_global_offsetsIS3_Lb0EN6thrust23THRUST_200600_302600_NS6detail15normal_iteratorINS9_10device_ptrItEEEEPS5_jNS0_19identity_decomposerEEE10hipError_tT1_T2_PT3_SK_jT4_jjP12ihipStream_tbEUlT_E0_NS1_11comp_targetILNS1_3genE4ELNS1_11target_archE910ELNS1_3gpuE8ELNS1_3repE0EEENS1_52radix_sort_onesweep_histogram_config_static_selectorELNS0_4arch9wavefront6targetE1EEEvSI_,"axG",@progbits,_ZN7rocprim17ROCPRIM_400000_NS6detail17trampoline_kernelINS0_14default_configENS1_35radix_sort_onesweep_config_selectorItNS0_10empty_typeEEEZNS1_34radix_sort_onesweep_global_offsetsIS3_Lb0EN6thrust23THRUST_200600_302600_NS6detail15normal_iteratorINS9_10device_ptrItEEEEPS5_jNS0_19identity_decomposerEEE10hipError_tT1_T2_PT3_SK_jT4_jjP12ihipStream_tbEUlT_E0_NS1_11comp_targetILNS1_3genE4ELNS1_11target_archE910ELNS1_3gpuE8ELNS1_3repE0EEENS1_52radix_sort_onesweep_histogram_config_static_selectorELNS0_4arch9wavefront6targetE1EEEvSI_,comdat
	.protected	_ZN7rocprim17ROCPRIM_400000_NS6detail17trampoline_kernelINS0_14default_configENS1_35radix_sort_onesweep_config_selectorItNS0_10empty_typeEEEZNS1_34radix_sort_onesweep_global_offsetsIS3_Lb0EN6thrust23THRUST_200600_302600_NS6detail15normal_iteratorINS9_10device_ptrItEEEEPS5_jNS0_19identity_decomposerEEE10hipError_tT1_T2_PT3_SK_jT4_jjP12ihipStream_tbEUlT_E0_NS1_11comp_targetILNS1_3genE4ELNS1_11target_archE910ELNS1_3gpuE8ELNS1_3repE0EEENS1_52radix_sort_onesweep_histogram_config_static_selectorELNS0_4arch9wavefront6targetE1EEEvSI_ ; -- Begin function _ZN7rocprim17ROCPRIM_400000_NS6detail17trampoline_kernelINS0_14default_configENS1_35radix_sort_onesweep_config_selectorItNS0_10empty_typeEEEZNS1_34radix_sort_onesweep_global_offsetsIS3_Lb0EN6thrust23THRUST_200600_302600_NS6detail15normal_iteratorINS9_10device_ptrItEEEEPS5_jNS0_19identity_decomposerEEE10hipError_tT1_T2_PT3_SK_jT4_jjP12ihipStream_tbEUlT_E0_NS1_11comp_targetILNS1_3genE4ELNS1_11target_archE910ELNS1_3gpuE8ELNS1_3repE0EEENS1_52radix_sort_onesweep_histogram_config_static_selectorELNS0_4arch9wavefront6targetE1EEEvSI_
	.globl	_ZN7rocprim17ROCPRIM_400000_NS6detail17trampoline_kernelINS0_14default_configENS1_35radix_sort_onesweep_config_selectorItNS0_10empty_typeEEEZNS1_34radix_sort_onesweep_global_offsetsIS3_Lb0EN6thrust23THRUST_200600_302600_NS6detail15normal_iteratorINS9_10device_ptrItEEEEPS5_jNS0_19identity_decomposerEEE10hipError_tT1_T2_PT3_SK_jT4_jjP12ihipStream_tbEUlT_E0_NS1_11comp_targetILNS1_3genE4ELNS1_11target_archE910ELNS1_3gpuE8ELNS1_3repE0EEENS1_52radix_sort_onesweep_histogram_config_static_selectorELNS0_4arch9wavefront6targetE1EEEvSI_
	.p2align	8
	.type	_ZN7rocprim17ROCPRIM_400000_NS6detail17trampoline_kernelINS0_14default_configENS1_35radix_sort_onesweep_config_selectorItNS0_10empty_typeEEEZNS1_34radix_sort_onesweep_global_offsetsIS3_Lb0EN6thrust23THRUST_200600_302600_NS6detail15normal_iteratorINS9_10device_ptrItEEEEPS5_jNS0_19identity_decomposerEEE10hipError_tT1_T2_PT3_SK_jT4_jjP12ihipStream_tbEUlT_E0_NS1_11comp_targetILNS1_3genE4ELNS1_11target_archE910ELNS1_3gpuE8ELNS1_3repE0EEENS1_52radix_sort_onesweep_histogram_config_static_selectorELNS0_4arch9wavefront6targetE1EEEvSI_,@function
_ZN7rocprim17ROCPRIM_400000_NS6detail17trampoline_kernelINS0_14default_configENS1_35radix_sort_onesweep_config_selectorItNS0_10empty_typeEEEZNS1_34radix_sort_onesweep_global_offsetsIS3_Lb0EN6thrust23THRUST_200600_302600_NS6detail15normal_iteratorINS9_10device_ptrItEEEEPS5_jNS0_19identity_decomposerEEE10hipError_tT1_T2_PT3_SK_jT4_jjP12ihipStream_tbEUlT_E0_NS1_11comp_targetILNS1_3genE4ELNS1_11target_archE910ELNS1_3gpuE8ELNS1_3repE0EEENS1_52radix_sort_onesweep_histogram_config_static_selectorELNS0_4arch9wavefront6targetE1EEEvSI_: ; @_ZN7rocprim17ROCPRIM_400000_NS6detail17trampoline_kernelINS0_14default_configENS1_35radix_sort_onesweep_config_selectorItNS0_10empty_typeEEEZNS1_34radix_sort_onesweep_global_offsetsIS3_Lb0EN6thrust23THRUST_200600_302600_NS6detail15normal_iteratorINS9_10device_ptrItEEEEPS5_jNS0_19identity_decomposerEEE10hipError_tT1_T2_PT3_SK_jT4_jjP12ihipStream_tbEUlT_E0_NS1_11comp_targetILNS1_3genE4ELNS1_11target_archE910ELNS1_3gpuE8ELNS1_3repE0EEENS1_52radix_sort_onesweep_histogram_config_static_selectorELNS0_4arch9wavefront6targetE1EEEvSI_
; %bb.0:
	s_load_dwordx2 s[0:1], s[4:5], 0x0
	s_lshl_b32 s2, s6, 8
	s_mov_b32 s3, 0
	s_lshl_b64 s[2:3], s[2:3], 2
	v_lshlrev_b32_e32 v1, 2, v0
	s_waitcnt lgkmcnt(0)
	s_add_u32 s10, s0, s2
	s_movk_i32 s0, 0x100
	s_addc_u32 s11, s1, s3
	v_cmp_gt_u32_e32 vcc, s0, v0
                                        ; implicit-def: $vgpr3
	s_and_saveexec_b64 s[0:1], vcc
	s_cbranch_execz .LBB1324_2
; %bb.1:
	global_load_dword v3, v1, s[10:11]
.LBB1324_2:
	s_or_b64 exec, exec, s[0:1]
	v_mbcnt_lo_u32_b32 v2, -1, 0
	v_mbcnt_hi_u32_b32 v2, -1, v2
	v_and_b32_e32 v4, 15, v2
	s_waitcnt vmcnt(0)
	v_mov_b32_dpp v5, v3 row_shr:1 row_mask:0xf bank_mask:0xf
	v_cmp_eq_u32_e64 s[0:1], 0, v4
	v_cndmask_b32_e64 v5, v5, 0, s[0:1]
	v_add_u32_e32 v3, v5, v3
	v_cmp_lt_u32_e64 s[2:3], 1, v4
	v_cmp_lt_u32_e64 s[4:5], 3, v4
	v_mov_b32_dpp v5, v3 row_shr:2 row_mask:0xf bank_mask:0xf
	v_cndmask_b32_e64 v5, 0, v5, s[2:3]
	v_add_u32_e32 v3, v3, v5
	v_cmp_lt_u32_e64 s[6:7], 7, v4
	v_cmp_lt_u32_e64 s[8:9], 31, v2
	v_mov_b32_dpp v5, v3 row_shr:4 row_mask:0xf bank_mask:0xf
	v_cndmask_b32_e64 v5, 0, v5, s[4:5]
	v_add_u32_e32 v3, v3, v5
	s_nop 1
	v_mov_b32_dpp v5, v3 row_shr:8 row_mask:0xf bank_mask:0xf
	v_cndmask_b32_e64 v4, 0, v5, s[6:7]
	v_add_u32_e32 v3, v3, v4
	v_bfe_i32 v5, v2, 4, 1
	s_nop 0
	v_mov_b32_dpp v4, v3 row_bcast:15 row_mask:0xf bank_mask:0xf
	v_and_b32_e32 v4, v5, v4
	v_add_u32_e32 v3, v3, v4
	v_and_b32_e32 v5, 63, v0
	s_nop 0
	v_mov_b32_dpp v4, v3 row_bcast:31 row_mask:0xf bank_mask:0xf
	v_cndmask_b32_e64 v4, 0, v4, s[8:9]
	v_add_u32_e32 v3, v3, v4
	v_lshrrev_b32_e32 v4, 6, v0
	v_cmp_eq_u32_e64 s[8:9], 63, v5
	s_and_saveexec_b64 s[12:13], s[8:9]
	s_cbranch_execz .LBB1324_4
; %bb.3:
	v_lshlrev_b32_e32 v5, 2, v4
	ds_write_b32 v5, v3
.LBB1324_4:
	s_or_b64 exec, exec, s[12:13]
	v_cmp_gt_u32_e64 s[8:9], 16, v0
	s_waitcnt lgkmcnt(0)
	s_barrier
	s_and_saveexec_b64 s[12:13], s[8:9]
	s_cbranch_execz .LBB1324_6
; %bb.5:
	ds_read_b32 v5, v1
	s_waitcnt lgkmcnt(0)
	s_nop 0
	v_mov_b32_dpp v6, v5 row_shr:1 row_mask:0xf bank_mask:0xf
	v_cndmask_b32_e64 v6, v6, 0, s[0:1]
	v_add_u32_e32 v5, v6, v5
	s_nop 1
	v_mov_b32_dpp v6, v5 row_shr:2 row_mask:0xf bank_mask:0xf
	v_cndmask_b32_e64 v6, 0, v6, s[2:3]
	v_add_u32_e32 v5, v5, v6
	;; [unrolled: 4-line block ×4, first 2 shown]
	ds_write_b32 v1, v5
.LBB1324_6:
	s_or_b64 exec, exec, s[12:13]
	v_cmp_lt_u32_e64 s[0:1], 63, v0
	v_mov_b32_e32 v0, 0
	s_waitcnt lgkmcnt(0)
	s_barrier
	s_and_saveexec_b64 s[2:3], s[0:1]
	s_cbranch_execz .LBB1324_8
; %bb.7:
	v_lshl_add_u32 v0, v4, 2, -4
	ds_read_b32 v0, v0
.LBB1324_8:
	s_or_b64 exec, exec, s[2:3]
	v_add_u32_e32 v4, -1, v2
	v_and_b32_e32 v5, 64, v2
	v_cmp_lt_i32_e64 s[0:1], v4, v5
	v_cndmask_b32_e64 v4, v4, v2, s[0:1]
	s_waitcnt lgkmcnt(0)
	v_add_u32_e32 v3, v0, v3
	v_lshlrev_b32_e32 v4, 2, v4
	ds_bpermute_b32 v3, v4, v3
	s_and_saveexec_b64 s[0:1], vcc
	s_cbranch_execz .LBB1324_10
; %bb.9:
	v_cmp_eq_u32_e32 vcc, 0, v2
	s_waitcnt lgkmcnt(0)
	v_cndmask_b32_e32 v0, v3, v0, vcc
	global_store_dword v1, v0, s[10:11]
.LBB1324_10:
	s_endpgm
	.section	.rodata,"a",@progbits
	.p2align	6, 0x0
	.amdhsa_kernel _ZN7rocprim17ROCPRIM_400000_NS6detail17trampoline_kernelINS0_14default_configENS1_35radix_sort_onesweep_config_selectorItNS0_10empty_typeEEEZNS1_34radix_sort_onesweep_global_offsetsIS3_Lb0EN6thrust23THRUST_200600_302600_NS6detail15normal_iteratorINS9_10device_ptrItEEEEPS5_jNS0_19identity_decomposerEEE10hipError_tT1_T2_PT3_SK_jT4_jjP12ihipStream_tbEUlT_E0_NS1_11comp_targetILNS1_3genE4ELNS1_11target_archE910ELNS1_3gpuE8ELNS1_3repE0EEENS1_52radix_sort_onesweep_histogram_config_static_selectorELNS0_4arch9wavefront6targetE1EEEvSI_
		.amdhsa_group_segment_fixed_size 64
		.amdhsa_private_segment_fixed_size 0
		.amdhsa_kernarg_size 8
		.amdhsa_user_sgpr_count 6
		.amdhsa_user_sgpr_private_segment_buffer 1
		.amdhsa_user_sgpr_dispatch_ptr 0
		.amdhsa_user_sgpr_queue_ptr 0
		.amdhsa_user_sgpr_kernarg_segment_ptr 1
		.amdhsa_user_sgpr_dispatch_id 0
		.amdhsa_user_sgpr_flat_scratch_init 0
		.amdhsa_user_sgpr_kernarg_preload_length 0
		.amdhsa_user_sgpr_kernarg_preload_offset 0
		.amdhsa_user_sgpr_private_segment_size 0
		.amdhsa_uses_dynamic_stack 0
		.amdhsa_system_sgpr_private_segment_wavefront_offset 0
		.amdhsa_system_sgpr_workgroup_id_x 1
		.amdhsa_system_sgpr_workgroup_id_y 0
		.amdhsa_system_sgpr_workgroup_id_z 0
		.amdhsa_system_sgpr_workgroup_info 0
		.amdhsa_system_vgpr_workitem_id 0
		.amdhsa_next_free_vgpr 7
		.amdhsa_next_free_sgpr 14
		.amdhsa_accum_offset 8
		.amdhsa_reserve_vcc 1
		.amdhsa_reserve_flat_scratch 0
		.amdhsa_float_round_mode_32 0
		.amdhsa_float_round_mode_16_64 0
		.amdhsa_float_denorm_mode_32 3
		.amdhsa_float_denorm_mode_16_64 3
		.amdhsa_dx10_clamp 1
		.amdhsa_ieee_mode 1
		.amdhsa_fp16_overflow 0
		.amdhsa_tg_split 0
		.amdhsa_exception_fp_ieee_invalid_op 0
		.amdhsa_exception_fp_denorm_src 0
		.amdhsa_exception_fp_ieee_div_zero 0
		.amdhsa_exception_fp_ieee_overflow 0
		.amdhsa_exception_fp_ieee_underflow 0
		.amdhsa_exception_fp_ieee_inexact 0
		.amdhsa_exception_int_div_zero 0
	.end_amdhsa_kernel
	.section	.text._ZN7rocprim17ROCPRIM_400000_NS6detail17trampoline_kernelINS0_14default_configENS1_35radix_sort_onesweep_config_selectorItNS0_10empty_typeEEEZNS1_34radix_sort_onesweep_global_offsetsIS3_Lb0EN6thrust23THRUST_200600_302600_NS6detail15normal_iteratorINS9_10device_ptrItEEEEPS5_jNS0_19identity_decomposerEEE10hipError_tT1_T2_PT3_SK_jT4_jjP12ihipStream_tbEUlT_E0_NS1_11comp_targetILNS1_3genE4ELNS1_11target_archE910ELNS1_3gpuE8ELNS1_3repE0EEENS1_52radix_sort_onesweep_histogram_config_static_selectorELNS0_4arch9wavefront6targetE1EEEvSI_,"axG",@progbits,_ZN7rocprim17ROCPRIM_400000_NS6detail17trampoline_kernelINS0_14default_configENS1_35radix_sort_onesweep_config_selectorItNS0_10empty_typeEEEZNS1_34radix_sort_onesweep_global_offsetsIS3_Lb0EN6thrust23THRUST_200600_302600_NS6detail15normal_iteratorINS9_10device_ptrItEEEEPS5_jNS0_19identity_decomposerEEE10hipError_tT1_T2_PT3_SK_jT4_jjP12ihipStream_tbEUlT_E0_NS1_11comp_targetILNS1_3genE4ELNS1_11target_archE910ELNS1_3gpuE8ELNS1_3repE0EEENS1_52radix_sort_onesweep_histogram_config_static_selectorELNS0_4arch9wavefront6targetE1EEEvSI_,comdat
.Lfunc_end1324:
	.size	_ZN7rocprim17ROCPRIM_400000_NS6detail17trampoline_kernelINS0_14default_configENS1_35radix_sort_onesweep_config_selectorItNS0_10empty_typeEEEZNS1_34radix_sort_onesweep_global_offsetsIS3_Lb0EN6thrust23THRUST_200600_302600_NS6detail15normal_iteratorINS9_10device_ptrItEEEEPS5_jNS0_19identity_decomposerEEE10hipError_tT1_T2_PT3_SK_jT4_jjP12ihipStream_tbEUlT_E0_NS1_11comp_targetILNS1_3genE4ELNS1_11target_archE910ELNS1_3gpuE8ELNS1_3repE0EEENS1_52radix_sort_onesweep_histogram_config_static_selectorELNS0_4arch9wavefront6targetE1EEEvSI_, .Lfunc_end1324-_ZN7rocprim17ROCPRIM_400000_NS6detail17trampoline_kernelINS0_14default_configENS1_35radix_sort_onesweep_config_selectorItNS0_10empty_typeEEEZNS1_34radix_sort_onesweep_global_offsetsIS3_Lb0EN6thrust23THRUST_200600_302600_NS6detail15normal_iteratorINS9_10device_ptrItEEEEPS5_jNS0_19identity_decomposerEEE10hipError_tT1_T2_PT3_SK_jT4_jjP12ihipStream_tbEUlT_E0_NS1_11comp_targetILNS1_3genE4ELNS1_11target_archE910ELNS1_3gpuE8ELNS1_3repE0EEENS1_52radix_sort_onesweep_histogram_config_static_selectorELNS0_4arch9wavefront6targetE1EEEvSI_
                                        ; -- End function
	.section	.AMDGPU.csdata,"",@progbits
; Kernel info:
; codeLenInByte = 572
; NumSgprs: 18
; NumVgprs: 7
; NumAgprs: 0
; TotalNumVgprs: 7
; ScratchSize: 0
; MemoryBound: 0
; FloatMode: 240
; IeeeMode: 1
; LDSByteSize: 64 bytes/workgroup (compile time only)
; SGPRBlocks: 2
; VGPRBlocks: 0
; NumSGPRsForWavesPerEU: 18
; NumVGPRsForWavesPerEU: 7
; AccumOffset: 8
; Occupancy: 8
; WaveLimiterHint : 0
; COMPUTE_PGM_RSRC2:SCRATCH_EN: 0
; COMPUTE_PGM_RSRC2:USER_SGPR: 6
; COMPUTE_PGM_RSRC2:TRAP_HANDLER: 0
; COMPUTE_PGM_RSRC2:TGID_X_EN: 1
; COMPUTE_PGM_RSRC2:TGID_Y_EN: 0
; COMPUTE_PGM_RSRC2:TGID_Z_EN: 0
; COMPUTE_PGM_RSRC2:TIDIG_COMP_CNT: 0
; COMPUTE_PGM_RSRC3_GFX90A:ACCUM_OFFSET: 1
; COMPUTE_PGM_RSRC3_GFX90A:TG_SPLIT: 0
	.section	.text._ZN7rocprim17ROCPRIM_400000_NS6detail17trampoline_kernelINS0_14default_configENS1_35radix_sort_onesweep_config_selectorItNS0_10empty_typeEEEZNS1_34radix_sort_onesweep_global_offsetsIS3_Lb0EN6thrust23THRUST_200600_302600_NS6detail15normal_iteratorINS9_10device_ptrItEEEEPS5_jNS0_19identity_decomposerEEE10hipError_tT1_T2_PT3_SK_jT4_jjP12ihipStream_tbEUlT_E0_NS1_11comp_targetILNS1_3genE3ELNS1_11target_archE908ELNS1_3gpuE7ELNS1_3repE0EEENS1_52radix_sort_onesweep_histogram_config_static_selectorELNS0_4arch9wavefront6targetE1EEEvSI_,"axG",@progbits,_ZN7rocprim17ROCPRIM_400000_NS6detail17trampoline_kernelINS0_14default_configENS1_35radix_sort_onesweep_config_selectorItNS0_10empty_typeEEEZNS1_34radix_sort_onesweep_global_offsetsIS3_Lb0EN6thrust23THRUST_200600_302600_NS6detail15normal_iteratorINS9_10device_ptrItEEEEPS5_jNS0_19identity_decomposerEEE10hipError_tT1_T2_PT3_SK_jT4_jjP12ihipStream_tbEUlT_E0_NS1_11comp_targetILNS1_3genE3ELNS1_11target_archE908ELNS1_3gpuE7ELNS1_3repE0EEENS1_52radix_sort_onesweep_histogram_config_static_selectorELNS0_4arch9wavefront6targetE1EEEvSI_,comdat
	.protected	_ZN7rocprim17ROCPRIM_400000_NS6detail17trampoline_kernelINS0_14default_configENS1_35radix_sort_onesweep_config_selectorItNS0_10empty_typeEEEZNS1_34radix_sort_onesweep_global_offsetsIS3_Lb0EN6thrust23THRUST_200600_302600_NS6detail15normal_iteratorINS9_10device_ptrItEEEEPS5_jNS0_19identity_decomposerEEE10hipError_tT1_T2_PT3_SK_jT4_jjP12ihipStream_tbEUlT_E0_NS1_11comp_targetILNS1_3genE3ELNS1_11target_archE908ELNS1_3gpuE7ELNS1_3repE0EEENS1_52radix_sort_onesweep_histogram_config_static_selectorELNS0_4arch9wavefront6targetE1EEEvSI_ ; -- Begin function _ZN7rocprim17ROCPRIM_400000_NS6detail17trampoline_kernelINS0_14default_configENS1_35radix_sort_onesweep_config_selectorItNS0_10empty_typeEEEZNS1_34radix_sort_onesweep_global_offsetsIS3_Lb0EN6thrust23THRUST_200600_302600_NS6detail15normal_iteratorINS9_10device_ptrItEEEEPS5_jNS0_19identity_decomposerEEE10hipError_tT1_T2_PT3_SK_jT4_jjP12ihipStream_tbEUlT_E0_NS1_11comp_targetILNS1_3genE3ELNS1_11target_archE908ELNS1_3gpuE7ELNS1_3repE0EEENS1_52radix_sort_onesweep_histogram_config_static_selectorELNS0_4arch9wavefront6targetE1EEEvSI_
	.globl	_ZN7rocprim17ROCPRIM_400000_NS6detail17trampoline_kernelINS0_14default_configENS1_35radix_sort_onesweep_config_selectorItNS0_10empty_typeEEEZNS1_34radix_sort_onesweep_global_offsetsIS3_Lb0EN6thrust23THRUST_200600_302600_NS6detail15normal_iteratorINS9_10device_ptrItEEEEPS5_jNS0_19identity_decomposerEEE10hipError_tT1_T2_PT3_SK_jT4_jjP12ihipStream_tbEUlT_E0_NS1_11comp_targetILNS1_3genE3ELNS1_11target_archE908ELNS1_3gpuE7ELNS1_3repE0EEENS1_52radix_sort_onesweep_histogram_config_static_selectorELNS0_4arch9wavefront6targetE1EEEvSI_
	.p2align	8
	.type	_ZN7rocprim17ROCPRIM_400000_NS6detail17trampoline_kernelINS0_14default_configENS1_35radix_sort_onesweep_config_selectorItNS0_10empty_typeEEEZNS1_34radix_sort_onesweep_global_offsetsIS3_Lb0EN6thrust23THRUST_200600_302600_NS6detail15normal_iteratorINS9_10device_ptrItEEEEPS5_jNS0_19identity_decomposerEEE10hipError_tT1_T2_PT3_SK_jT4_jjP12ihipStream_tbEUlT_E0_NS1_11comp_targetILNS1_3genE3ELNS1_11target_archE908ELNS1_3gpuE7ELNS1_3repE0EEENS1_52radix_sort_onesweep_histogram_config_static_selectorELNS0_4arch9wavefront6targetE1EEEvSI_,@function
_ZN7rocprim17ROCPRIM_400000_NS6detail17trampoline_kernelINS0_14default_configENS1_35radix_sort_onesweep_config_selectorItNS0_10empty_typeEEEZNS1_34radix_sort_onesweep_global_offsetsIS3_Lb0EN6thrust23THRUST_200600_302600_NS6detail15normal_iteratorINS9_10device_ptrItEEEEPS5_jNS0_19identity_decomposerEEE10hipError_tT1_T2_PT3_SK_jT4_jjP12ihipStream_tbEUlT_E0_NS1_11comp_targetILNS1_3genE3ELNS1_11target_archE908ELNS1_3gpuE7ELNS1_3repE0EEENS1_52radix_sort_onesweep_histogram_config_static_selectorELNS0_4arch9wavefront6targetE1EEEvSI_: ; @_ZN7rocprim17ROCPRIM_400000_NS6detail17trampoline_kernelINS0_14default_configENS1_35radix_sort_onesweep_config_selectorItNS0_10empty_typeEEEZNS1_34radix_sort_onesweep_global_offsetsIS3_Lb0EN6thrust23THRUST_200600_302600_NS6detail15normal_iteratorINS9_10device_ptrItEEEEPS5_jNS0_19identity_decomposerEEE10hipError_tT1_T2_PT3_SK_jT4_jjP12ihipStream_tbEUlT_E0_NS1_11comp_targetILNS1_3genE3ELNS1_11target_archE908ELNS1_3gpuE7ELNS1_3repE0EEENS1_52radix_sort_onesweep_histogram_config_static_selectorELNS0_4arch9wavefront6targetE1EEEvSI_
; %bb.0:
	.section	.rodata,"a",@progbits
	.p2align	6, 0x0
	.amdhsa_kernel _ZN7rocprim17ROCPRIM_400000_NS6detail17trampoline_kernelINS0_14default_configENS1_35radix_sort_onesweep_config_selectorItNS0_10empty_typeEEEZNS1_34radix_sort_onesweep_global_offsetsIS3_Lb0EN6thrust23THRUST_200600_302600_NS6detail15normal_iteratorINS9_10device_ptrItEEEEPS5_jNS0_19identity_decomposerEEE10hipError_tT1_T2_PT3_SK_jT4_jjP12ihipStream_tbEUlT_E0_NS1_11comp_targetILNS1_3genE3ELNS1_11target_archE908ELNS1_3gpuE7ELNS1_3repE0EEENS1_52radix_sort_onesweep_histogram_config_static_selectorELNS0_4arch9wavefront6targetE1EEEvSI_
		.amdhsa_group_segment_fixed_size 0
		.amdhsa_private_segment_fixed_size 0
		.amdhsa_kernarg_size 8
		.amdhsa_user_sgpr_count 6
		.amdhsa_user_sgpr_private_segment_buffer 1
		.amdhsa_user_sgpr_dispatch_ptr 0
		.amdhsa_user_sgpr_queue_ptr 0
		.amdhsa_user_sgpr_kernarg_segment_ptr 1
		.amdhsa_user_sgpr_dispatch_id 0
		.amdhsa_user_sgpr_flat_scratch_init 0
		.amdhsa_user_sgpr_kernarg_preload_length 0
		.amdhsa_user_sgpr_kernarg_preload_offset 0
		.amdhsa_user_sgpr_private_segment_size 0
		.amdhsa_uses_dynamic_stack 0
		.amdhsa_system_sgpr_private_segment_wavefront_offset 0
		.amdhsa_system_sgpr_workgroup_id_x 1
		.amdhsa_system_sgpr_workgroup_id_y 0
		.amdhsa_system_sgpr_workgroup_id_z 0
		.amdhsa_system_sgpr_workgroup_info 0
		.amdhsa_system_vgpr_workitem_id 0
		.amdhsa_next_free_vgpr 1
		.amdhsa_next_free_sgpr 0
		.amdhsa_accum_offset 4
		.amdhsa_reserve_vcc 0
		.amdhsa_reserve_flat_scratch 0
		.amdhsa_float_round_mode_32 0
		.amdhsa_float_round_mode_16_64 0
		.amdhsa_float_denorm_mode_32 3
		.amdhsa_float_denorm_mode_16_64 3
		.amdhsa_dx10_clamp 1
		.amdhsa_ieee_mode 1
		.amdhsa_fp16_overflow 0
		.amdhsa_tg_split 0
		.amdhsa_exception_fp_ieee_invalid_op 0
		.amdhsa_exception_fp_denorm_src 0
		.amdhsa_exception_fp_ieee_div_zero 0
		.amdhsa_exception_fp_ieee_overflow 0
		.amdhsa_exception_fp_ieee_underflow 0
		.amdhsa_exception_fp_ieee_inexact 0
		.amdhsa_exception_int_div_zero 0
	.end_amdhsa_kernel
	.section	.text._ZN7rocprim17ROCPRIM_400000_NS6detail17trampoline_kernelINS0_14default_configENS1_35radix_sort_onesweep_config_selectorItNS0_10empty_typeEEEZNS1_34radix_sort_onesweep_global_offsetsIS3_Lb0EN6thrust23THRUST_200600_302600_NS6detail15normal_iteratorINS9_10device_ptrItEEEEPS5_jNS0_19identity_decomposerEEE10hipError_tT1_T2_PT3_SK_jT4_jjP12ihipStream_tbEUlT_E0_NS1_11comp_targetILNS1_3genE3ELNS1_11target_archE908ELNS1_3gpuE7ELNS1_3repE0EEENS1_52radix_sort_onesweep_histogram_config_static_selectorELNS0_4arch9wavefront6targetE1EEEvSI_,"axG",@progbits,_ZN7rocprim17ROCPRIM_400000_NS6detail17trampoline_kernelINS0_14default_configENS1_35radix_sort_onesweep_config_selectorItNS0_10empty_typeEEEZNS1_34radix_sort_onesweep_global_offsetsIS3_Lb0EN6thrust23THRUST_200600_302600_NS6detail15normal_iteratorINS9_10device_ptrItEEEEPS5_jNS0_19identity_decomposerEEE10hipError_tT1_T2_PT3_SK_jT4_jjP12ihipStream_tbEUlT_E0_NS1_11comp_targetILNS1_3genE3ELNS1_11target_archE908ELNS1_3gpuE7ELNS1_3repE0EEENS1_52radix_sort_onesweep_histogram_config_static_selectorELNS0_4arch9wavefront6targetE1EEEvSI_,comdat
.Lfunc_end1325:
	.size	_ZN7rocprim17ROCPRIM_400000_NS6detail17trampoline_kernelINS0_14default_configENS1_35radix_sort_onesweep_config_selectorItNS0_10empty_typeEEEZNS1_34radix_sort_onesweep_global_offsetsIS3_Lb0EN6thrust23THRUST_200600_302600_NS6detail15normal_iteratorINS9_10device_ptrItEEEEPS5_jNS0_19identity_decomposerEEE10hipError_tT1_T2_PT3_SK_jT4_jjP12ihipStream_tbEUlT_E0_NS1_11comp_targetILNS1_3genE3ELNS1_11target_archE908ELNS1_3gpuE7ELNS1_3repE0EEENS1_52radix_sort_onesweep_histogram_config_static_selectorELNS0_4arch9wavefront6targetE1EEEvSI_, .Lfunc_end1325-_ZN7rocprim17ROCPRIM_400000_NS6detail17trampoline_kernelINS0_14default_configENS1_35radix_sort_onesweep_config_selectorItNS0_10empty_typeEEEZNS1_34radix_sort_onesweep_global_offsetsIS3_Lb0EN6thrust23THRUST_200600_302600_NS6detail15normal_iteratorINS9_10device_ptrItEEEEPS5_jNS0_19identity_decomposerEEE10hipError_tT1_T2_PT3_SK_jT4_jjP12ihipStream_tbEUlT_E0_NS1_11comp_targetILNS1_3genE3ELNS1_11target_archE908ELNS1_3gpuE7ELNS1_3repE0EEENS1_52radix_sort_onesweep_histogram_config_static_selectorELNS0_4arch9wavefront6targetE1EEEvSI_
                                        ; -- End function
	.section	.AMDGPU.csdata,"",@progbits
; Kernel info:
; codeLenInByte = 0
; NumSgprs: 4
; NumVgprs: 0
; NumAgprs: 0
; TotalNumVgprs: 0
; ScratchSize: 0
; MemoryBound: 0
; FloatMode: 240
; IeeeMode: 1
; LDSByteSize: 0 bytes/workgroup (compile time only)
; SGPRBlocks: 0
; VGPRBlocks: 0
; NumSGPRsForWavesPerEU: 4
; NumVGPRsForWavesPerEU: 1
; AccumOffset: 4
; Occupancy: 8
; WaveLimiterHint : 0
; COMPUTE_PGM_RSRC2:SCRATCH_EN: 0
; COMPUTE_PGM_RSRC2:USER_SGPR: 6
; COMPUTE_PGM_RSRC2:TRAP_HANDLER: 0
; COMPUTE_PGM_RSRC2:TGID_X_EN: 1
; COMPUTE_PGM_RSRC2:TGID_Y_EN: 0
; COMPUTE_PGM_RSRC2:TGID_Z_EN: 0
; COMPUTE_PGM_RSRC2:TIDIG_COMP_CNT: 0
; COMPUTE_PGM_RSRC3_GFX90A:ACCUM_OFFSET: 0
; COMPUTE_PGM_RSRC3_GFX90A:TG_SPLIT: 0
	.section	.text._ZN7rocprim17ROCPRIM_400000_NS6detail17trampoline_kernelINS0_14default_configENS1_35radix_sort_onesweep_config_selectorItNS0_10empty_typeEEEZNS1_34radix_sort_onesweep_global_offsetsIS3_Lb0EN6thrust23THRUST_200600_302600_NS6detail15normal_iteratorINS9_10device_ptrItEEEEPS5_jNS0_19identity_decomposerEEE10hipError_tT1_T2_PT3_SK_jT4_jjP12ihipStream_tbEUlT_E0_NS1_11comp_targetILNS1_3genE10ELNS1_11target_archE1201ELNS1_3gpuE5ELNS1_3repE0EEENS1_52radix_sort_onesweep_histogram_config_static_selectorELNS0_4arch9wavefront6targetE1EEEvSI_,"axG",@progbits,_ZN7rocprim17ROCPRIM_400000_NS6detail17trampoline_kernelINS0_14default_configENS1_35radix_sort_onesweep_config_selectorItNS0_10empty_typeEEEZNS1_34radix_sort_onesweep_global_offsetsIS3_Lb0EN6thrust23THRUST_200600_302600_NS6detail15normal_iteratorINS9_10device_ptrItEEEEPS5_jNS0_19identity_decomposerEEE10hipError_tT1_T2_PT3_SK_jT4_jjP12ihipStream_tbEUlT_E0_NS1_11comp_targetILNS1_3genE10ELNS1_11target_archE1201ELNS1_3gpuE5ELNS1_3repE0EEENS1_52radix_sort_onesweep_histogram_config_static_selectorELNS0_4arch9wavefront6targetE1EEEvSI_,comdat
	.protected	_ZN7rocprim17ROCPRIM_400000_NS6detail17trampoline_kernelINS0_14default_configENS1_35radix_sort_onesweep_config_selectorItNS0_10empty_typeEEEZNS1_34radix_sort_onesweep_global_offsetsIS3_Lb0EN6thrust23THRUST_200600_302600_NS6detail15normal_iteratorINS9_10device_ptrItEEEEPS5_jNS0_19identity_decomposerEEE10hipError_tT1_T2_PT3_SK_jT4_jjP12ihipStream_tbEUlT_E0_NS1_11comp_targetILNS1_3genE10ELNS1_11target_archE1201ELNS1_3gpuE5ELNS1_3repE0EEENS1_52radix_sort_onesweep_histogram_config_static_selectorELNS0_4arch9wavefront6targetE1EEEvSI_ ; -- Begin function _ZN7rocprim17ROCPRIM_400000_NS6detail17trampoline_kernelINS0_14default_configENS1_35radix_sort_onesweep_config_selectorItNS0_10empty_typeEEEZNS1_34radix_sort_onesweep_global_offsetsIS3_Lb0EN6thrust23THRUST_200600_302600_NS6detail15normal_iteratorINS9_10device_ptrItEEEEPS5_jNS0_19identity_decomposerEEE10hipError_tT1_T2_PT3_SK_jT4_jjP12ihipStream_tbEUlT_E0_NS1_11comp_targetILNS1_3genE10ELNS1_11target_archE1201ELNS1_3gpuE5ELNS1_3repE0EEENS1_52radix_sort_onesweep_histogram_config_static_selectorELNS0_4arch9wavefront6targetE1EEEvSI_
	.globl	_ZN7rocprim17ROCPRIM_400000_NS6detail17trampoline_kernelINS0_14default_configENS1_35radix_sort_onesweep_config_selectorItNS0_10empty_typeEEEZNS1_34radix_sort_onesweep_global_offsetsIS3_Lb0EN6thrust23THRUST_200600_302600_NS6detail15normal_iteratorINS9_10device_ptrItEEEEPS5_jNS0_19identity_decomposerEEE10hipError_tT1_T2_PT3_SK_jT4_jjP12ihipStream_tbEUlT_E0_NS1_11comp_targetILNS1_3genE10ELNS1_11target_archE1201ELNS1_3gpuE5ELNS1_3repE0EEENS1_52radix_sort_onesweep_histogram_config_static_selectorELNS0_4arch9wavefront6targetE1EEEvSI_
	.p2align	8
	.type	_ZN7rocprim17ROCPRIM_400000_NS6detail17trampoline_kernelINS0_14default_configENS1_35radix_sort_onesweep_config_selectorItNS0_10empty_typeEEEZNS1_34radix_sort_onesweep_global_offsetsIS3_Lb0EN6thrust23THRUST_200600_302600_NS6detail15normal_iteratorINS9_10device_ptrItEEEEPS5_jNS0_19identity_decomposerEEE10hipError_tT1_T2_PT3_SK_jT4_jjP12ihipStream_tbEUlT_E0_NS1_11comp_targetILNS1_3genE10ELNS1_11target_archE1201ELNS1_3gpuE5ELNS1_3repE0EEENS1_52radix_sort_onesweep_histogram_config_static_selectorELNS0_4arch9wavefront6targetE1EEEvSI_,@function
_ZN7rocprim17ROCPRIM_400000_NS6detail17trampoline_kernelINS0_14default_configENS1_35radix_sort_onesweep_config_selectorItNS0_10empty_typeEEEZNS1_34radix_sort_onesweep_global_offsetsIS3_Lb0EN6thrust23THRUST_200600_302600_NS6detail15normal_iteratorINS9_10device_ptrItEEEEPS5_jNS0_19identity_decomposerEEE10hipError_tT1_T2_PT3_SK_jT4_jjP12ihipStream_tbEUlT_E0_NS1_11comp_targetILNS1_3genE10ELNS1_11target_archE1201ELNS1_3gpuE5ELNS1_3repE0EEENS1_52radix_sort_onesweep_histogram_config_static_selectorELNS0_4arch9wavefront6targetE1EEEvSI_: ; @_ZN7rocprim17ROCPRIM_400000_NS6detail17trampoline_kernelINS0_14default_configENS1_35radix_sort_onesweep_config_selectorItNS0_10empty_typeEEEZNS1_34radix_sort_onesweep_global_offsetsIS3_Lb0EN6thrust23THRUST_200600_302600_NS6detail15normal_iteratorINS9_10device_ptrItEEEEPS5_jNS0_19identity_decomposerEEE10hipError_tT1_T2_PT3_SK_jT4_jjP12ihipStream_tbEUlT_E0_NS1_11comp_targetILNS1_3genE10ELNS1_11target_archE1201ELNS1_3gpuE5ELNS1_3repE0EEENS1_52radix_sort_onesweep_histogram_config_static_selectorELNS0_4arch9wavefront6targetE1EEEvSI_
; %bb.0:
	.section	.rodata,"a",@progbits
	.p2align	6, 0x0
	.amdhsa_kernel _ZN7rocprim17ROCPRIM_400000_NS6detail17trampoline_kernelINS0_14default_configENS1_35radix_sort_onesweep_config_selectorItNS0_10empty_typeEEEZNS1_34radix_sort_onesweep_global_offsetsIS3_Lb0EN6thrust23THRUST_200600_302600_NS6detail15normal_iteratorINS9_10device_ptrItEEEEPS5_jNS0_19identity_decomposerEEE10hipError_tT1_T2_PT3_SK_jT4_jjP12ihipStream_tbEUlT_E0_NS1_11comp_targetILNS1_3genE10ELNS1_11target_archE1201ELNS1_3gpuE5ELNS1_3repE0EEENS1_52radix_sort_onesweep_histogram_config_static_selectorELNS0_4arch9wavefront6targetE1EEEvSI_
		.amdhsa_group_segment_fixed_size 0
		.amdhsa_private_segment_fixed_size 0
		.amdhsa_kernarg_size 8
		.amdhsa_user_sgpr_count 6
		.amdhsa_user_sgpr_private_segment_buffer 1
		.amdhsa_user_sgpr_dispatch_ptr 0
		.amdhsa_user_sgpr_queue_ptr 0
		.amdhsa_user_sgpr_kernarg_segment_ptr 1
		.amdhsa_user_sgpr_dispatch_id 0
		.amdhsa_user_sgpr_flat_scratch_init 0
		.amdhsa_user_sgpr_kernarg_preload_length 0
		.amdhsa_user_sgpr_kernarg_preload_offset 0
		.amdhsa_user_sgpr_private_segment_size 0
		.amdhsa_uses_dynamic_stack 0
		.amdhsa_system_sgpr_private_segment_wavefront_offset 0
		.amdhsa_system_sgpr_workgroup_id_x 1
		.amdhsa_system_sgpr_workgroup_id_y 0
		.amdhsa_system_sgpr_workgroup_id_z 0
		.amdhsa_system_sgpr_workgroup_info 0
		.amdhsa_system_vgpr_workitem_id 0
		.amdhsa_next_free_vgpr 1
		.amdhsa_next_free_sgpr 0
		.amdhsa_accum_offset 4
		.amdhsa_reserve_vcc 0
		.amdhsa_reserve_flat_scratch 0
		.amdhsa_float_round_mode_32 0
		.amdhsa_float_round_mode_16_64 0
		.amdhsa_float_denorm_mode_32 3
		.amdhsa_float_denorm_mode_16_64 3
		.amdhsa_dx10_clamp 1
		.amdhsa_ieee_mode 1
		.amdhsa_fp16_overflow 0
		.amdhsa_tg_split 0
		.amdhsa_exception_fp_ieee_invalid_op 0
		.amdhsa_exception_fp_denorm_src 0
		.amdhsa_exception_fp_ieee_div_zero 0
		.amdhsa_exception_fp_ieee_overflow 0
		.amdhsa_exception_fp_ieee_underflow 0
		.amdhsa_exception_fp_ieee_inexact 0
		.amdhsa_exception_int_div_zero 0
	.end_amdhsa_kernel
	.section	.text._ZN7rocprim17ROCPRIM_400000_NS6detail17trampoline_kernelINS0_14default_configENS1_35radix_sort_onesweep_config_selectorItNS0_10empty_typeEEEZNS1_34radix_sort_onesweep_global_offsetsIS3_Lb0EN6thrust23THRUST_200600_302600_NS6detail15normal_iteratorINS9_10device_ptrItEEEEPS5_jNS0_19identity_decomposerEEE10hipError_tT1_T2_PT3_SK_jT4_jjP12ihipStream_tbEUlT_E0_NS1_11comp_targetILNS1_3genE10ELNS1_11target_archE1201ELNS1_3gpuE5ELNS1_3repE0EEENS1_52radix_sort_onesweep_histogram_config_static_selectorELNS0_4arch9wavefront6targetE1EEEvSI_,"axG",@progbits,_ZN7rocprim17ROCPRIM_400000_NS6detail17trampoline_kernelINS0_14default_configENS1_35radix_sort_onesweep_config_selectorItNS0_10empty_typeEEEZNS1_34radix_sort_onesweep_global_offsetsIS3_Lb0EN6thrust23THRUST_200600_302600_NS6detail15normal_iteratorINS9_10device_ptrItEEEEPS5_jNS0_19identity_decomposerEEE10hipError_tT1_T2_PT3_SK_jT4_jjP12ihipStream_tbEUlT_E0_NS1_11comp_targetILNS1_3genE10ELNS1_11target_archE1201ELNS1_3gpuE5ELNS1_3repE0EEENS1_52radix_sort_onesweep_histogram_config_static_selectorELNS0_4arch9wavefront6targetE1EEEvSI_,comdat
.Lfunc_end1326:
	.size	_ZN7rocprim17ROCPRIM_400000_NS6detail17trampoline_kernelINS0_14default_configENS1_35radix_sort_onesweep_config_selectorItNS0_10empty_typeEEEZNS1_34radix_sort_onesweep_global_offsetsIS3_Lb0EN6thrust23THRUST_200600_302600_NS6detail15normal_iteratorINS9_10device_ptrItEEEEPS5_jNS0_19identity_decomposerEEE10hipError_tT1_T2_PT3_SK_jT4_jjP12ihipStream_tbEUlT_E0_NS1_11comp_targetILNS1_3genE10ELNS1_11target_archE1201ELNS1_3gpuE5ELNS1_3repE0EEENS1_52radix_sort_onesweep_histogram_config_static_selectorELNS0_4arch9wavefront6targetE1EEEvSI_, .Lfunc_end1326-_ZN7rocprim17ROCPRIM_400000_NS6detail17trampoline_kernelINS0_14default_configENS1_35radix_sort_onesweep_config_selectorItNS0_10empty_typeEEEZNS1_34radix_sort_onesweep_global_offsetsIS3_Lb0EN6thrust23THRUST_200600_302600_NS6detail15normal_iteratorINS9_10device_ptrItEEEEPS5_jNS0_19identity_decomposerEEE10hipError_tT1_T2_PT3_SK_jT4_jjP12ihipStream_tbEUlT_E0_NS1_11comp_targetILNS1_3genE10ELNS1_11target_archE1201ELNS1_3gpuE5ELNS1_3repE0EEENS1_52radix_sort_onesweep_histogram_config_static_selectorELNS0_4arch9wavefront6targetE1EEEvSI_
                                        ; -- End function
	.section	.AMDGPU.csdata,"",@progbits
; Kernel info:
; codeLenInByte = 0
; NumSgprs: 4
; NumVgprs: 0
; NumAgprs: 0
; TotalNumVgprs: 0
; ScratchSize: 0
; MemoryBound: 0
; FloatMode: 240
; IeeeMode: 1
; LDSByteSize: 0 bytes/workgroup (compile time only)
; SGPRBlocks: 0
; VGPRBlocks: 0
; NumSGPRsForWavesPerEU: 4
; NumVGPRsForWavesPerEU: 1
; AccumOffset: 4
; Occupancy: 8
; WaveLimiterHint : 0
; COMPUTE_PGM_RSRC2:SCRATCH_EN: 0
; COMPUTE_PGM_RSRC2:USER_SGPR: 6
; COMPUTE_PGM_RSRC2:TRAP_HANDLER: 0
; COMPUTE_PGM_RSRC2:TGID_X_EN: 1
; COMPUTE_PGM_RSRC2:TGID_Y_EN: 0
; COMPUTE_PGM_RSRC2:TGID_Z_EN: 0
; COMPUTE_PGM_RSRC2:TIDIG_COMP_CNT: 0
; COMPUTE_PGM_RSRC3_GFX90A:ACCUM_OFFSET: 0
; COMPUTE_PGM_RSRC3_GFX90A:TG_SPLIT: 0
	.section	.text._ZN7rocprim17ROCPRIM_400000_NS6detail17trampoline_kernelINS0_14default_configENS1_35radix_sort_onesweep_config_selectorItNS0_10empty_typeEEEZNS1_34radix_sort_onesweep_global_offsetsIS3_Lb0EN6thrust23THRUST_200600_302600_NS6detail15normal_iteratorINS9_10device_ptrItEEEEPS5_jNS0_19identity_decomposerEEE10hipError_tT1_T2_PT3_SK_jT4_jjP12ihipStream_tbEUlT_E0_NS1_11comp_targetILNS1_3genE9ELNS1_11target_archE1100ELNS1_3gpuE3ELNS1_3repE0EEENS1_52radix_sort_onesweep_histogram_config_static_selectorELNS0_4arch9wavefront6targetE1EEEvSI_,"axG",@progbits,_ZN7rocprim17ROCPRIM_400000_NS6detail17trampoline_kernelINS0_14default_configENS1_35radix_sort_onesweep_config_selectorItNS0_10empty_typeEEEZNS1_34radix_sort_onesweep_global_offsetsIS3_Lb0EN6thrust23THRUST_200600_302600_NS6detail15normal_iteratorINS9_10device_ptrItEEEEPS5_jNS0_19identity_decomposerEEE10hipError_tT1_T2_PT3_SK_jT4_jjP12ihipStream_tbEUlT_E0_NS1_11comp_targetILNS1_3genE9ELNS1_11target_archE1100ELNS1_3gpuE3ELNS1_3repE0EEENS1_52radix_sort_onesweep_histogram_config_static_selectorELNS0_4arch9wavefront6targetE1EEEvSI_,comdat
	.protected	_ZN7rocprim17ROCPRIM_400000_NS6detail17trampoline_kernelINS0_14default_configENS1_35radix_sort_onesweep_config_selectorItNS0_10empty_typeEEEZNS1_34radix_sort_onesweep_global_offsetsIS3_Lb0EN6thrust23THRUST_200600_302600_NS6detail15normal_iteratorINS9_10device_ptrItEEEEPS5_jNS0_19identity_decomposerEEE10hipError_tT1_T2_PT3_SK_jT4_jjP12ihipStream_tbEUlT_E0_NS1_11comp_targetILNS1_3genE9ELNS1_11target_archE1100ELNS1_3gpuE3ELNS1_3repE0EEENS1_52radix_sort_onesweep_histogram_config_static_selectorELNS0_4arch9wavefront6targetE1EEEvSI_ ; -- Begin function _ZN7rocprim17ROCPRIM_400000_NS6detail17trampoline_kernelINS0_14default_configENS1_35radix_sort_onesweep_config_selectorItNS0_10empty_typeEEEZNS1_34radix_sort_onesweep_global_offsetsIS3_Lb0EN6thrust23THRUST_200600_302600_NS6detail15normal_iteratorINS9_10device_ptrItEEEEPS5_jNS0_19identity_decomposerEEE10hipError_tT1_T2_PT3_SK_jT4_jjP12ihipStream_tbEUlT_E0_NS1_11comp_targetILNS1_3genE9ELNS1_11target_archE1100ELNS1_3gpuE3ELNS1_3repE0EEENS1_52radix_sort_onesweep_histogram_config_static_selectorELNS0_4arch9wavefront6targetE1EEEvSI_
	.globl	_ZN7rocprim17ROCPRIM_400000_NS6detail17trampoline_kernelINS0_14default_configENS1_35radix_sort_onesweep_config_selectorItNS0_10empty_typeEEEZNS1_34radix_sort_onesweep_global_offsetsIS3_Lb0EN6thrust23THRUST_200600_302600_NS6detail15normal_iteratorINS9_10device_ptrItEEEEPS5_jNS0_19identity_decomposerEEE10hipError_tT1_T2_PT3_SK_jT4_jjP12ihipStream_tbEUlT_E0_NS1_11comp_targetILNS1_3genE9ELNS1_11target_archE1100ELNS1_3gpuE3ELNS1_3repE0EEENS1_52radix_sort_onesweep_histogram_config_static_selectorELNS0_4arch9wavefront6targetE1EEEvSI_
	.p2align	8
	.type	_ZN7rocprim17ROCPRIM_400000_NS6detail17trampoline_kernelINS0_14default_configENS1_35radix_sort_onesweep_config_selectorItNS0_10empty_typeEEEZNS1_34radix_sort_onesweep_global_offsetsIS3_Lb0EN6thrust23THRUST_200600_302600_NS6detail15normal_iteratorINS9_10device_ptrItEEEEPS5_jNS0_19identity_decomposerEEE10hipError_tT1_T2_PT3_SK_jT4_jjP12ihipStream_tbEUlT_E0_NS1_11comp_targetILNS1_3genE9ELNS1_11target_archE1100ELNS1_3gpuE3ELNS1_3repE0EEENS1_52radix_sort_onesweep_histogram_config_static_selectorELNS0_4arch9wavefront6targetE1EEEvSI_,@function
_ZN7rocprim17ROCPRIM_400000_NS6detail17trampoline_kernelINS0_14default_configENS1_35radix_sort_onesweep_config_selectorItNS0_10empty_typeEEEZNS1_34radix_sort_onesweep_global_offsetsIS3_Lb0EN6thrust23THRUST_200600_302600_NS6detail15normal_iteratorINS9_10device_ptrItEEEEPS5_jNS0_19identity_decomposerEEE10hipError_tT1_T2_PT3_SK_jT4_jjP12ihipStream_tbEUlT_E0_NS1_11comp_targetILNS1_3genE9ELNS1_11target_archE1100ELNS1_3gpuE3ELNS1_3repE0EEENS1_52radix_sort_onesweep_histogram_config_static_selectorELNS0_4arch9wavefront6targetE1EEEvSI_: ; @_ZN7rocprim17ROCPRIM_400000_NS6detail17trampoline_kernelINS0_14default_configENS1_35radix_sort_onesweep_config_selectorItNS0_10empty_typeEEEZNS1_34radix_sort_onesweep_global_offsetsIS3_Lb0EN6thrust23THRUST_200600_302600_NS6detail15normal_iteratorINS9_10device_ptrItEEEEPS5_jNS0_19identity_decomposerEEE10hipError_tT1_T2_PT3_SK_jT4_jjP12ihipStream_tbEUlT_E0_NS1_11comp_targetILNS1_3genE9ELNS1_11target_archE1100ELNS1_3gpuE3ELNS1_3repE0EEENS1_52radix_sort_onesweep_histogram_config_static_selectorELNS0_4arch9wavefront6targetE1EEEvSI_
; %bb.0:
	.section	.rodata,"a",@progbits
	.p2align	6, 0x0
	.amdhsa_kernel _ZN7rocprim17ROCPRIM_400000_NS6detail17trampoline_kernelINS0_14default_configENS1_35radix_sort_onesweep_config_selectorItNS0_10empty_typeEEEZNS1_34radix_sort_onesweep_global_offsetsIS3_Lb0EN6thrust23THRUST_200600_302600_NS6detail15normal_iteratorINS9_10device_ptrItEEEEPS5_jNS0_19identity_decomposerEEE10hipError_tT1_T2_PT3_SK_jT4_jjP12ihipStream_tbEUlT_E0_NS1_11comp_targetILNS1_3genE9ELNS1_11target_archE1100ELNS1_3gpuE3ELNS1_3repE0EEENS1_52radix_sort_onesweep_histogram_config_static_selectorELNS0_4arch9wavefront6targetE1EEEvSI_
		.amdhsa_group_segment_fixed_size 0
		.amdhsa_private_segment_fixed_size 0
		.amdhsa_kernarg_size 8
		.amdhsa_user_sgpr_count 6
		.amdhsa_user_sgpr_private_segment_buffer 1
		.amdhsa_user_sgpr_dispatch_ptr 0
		.amdhsa_user_sgpr_queue_ptr 0
		.amdhsa_user_sgpr_kernarg_segment_ptr 1
		.amdhsa_user_sgpr_dispatch_id 0
		.amdhsa_user_sgpr_flat_scratch_init 0
		.amdhsa_user_sgpr_kernarg_preload_length 0
		.amdhsa_user_sgpr_kernarg_preload_offset 0
		.amdhsa_user_sgpr_private_segment_size 0
		.amdhsa_uses_dynamic_stack 0
		.amdhsa_system_sgpr_private_segment_wavefront_offset 0
		.amdhsa_system_sgpr_workgroup_id_x 1
		.amdhsa_system_sgpr_workgroup_id_y 0
		.amdhsa_system_sgpr_workgroup_id_z 0
		.amdhsa_system_sgpr_workgroup_info 0
		.amdhsa_system_vgpr_workitem_id 0
		.amdhsa_next_free_vgpr 1
		.amdhsa_next_free_sgpr 0
		.amdhsa_accum_offset 4
		.amdhsa_reserve_vcc 0
		.amdhsa_reserve_flat_scratch 0
		.amdhsa_float_round_mode_32 0
		.amdhsa_float_round_mode_16_64 0
		.amdhsa_float_denorm_mode_32 3
		.amdhsa_float_denorm_mode_16_64 3
		.amdhsa_dx10_clamp 1
		.amdhsa_ieee_mode 1
		.amdhsa_fp16_overflow 0
		.amdhsa_tg_split 0
		.amdhsa_exception_fp_ieee_invalid_op 0
		.amdhsa_exception_fp_denorm_src 0
		.amdhsa_exception_fp_ieee_div_zero 0
		.amdhsa_exception_fp_ieee_overflow 0
		.amdhsa_exception_fp_ieee_underflow 0
		.amdhsa_exception_fp_ieee_inexact 0
		.amdhsa_exception_int_div_zero 0
	.end_amdhsa_kernel
	.section	.text._ZN7rocprim17ROCPRIM_400000_NS6detail17trampoline_kernelINS0_14default_configENS1_35radix_sort_onesweep_config_selectorItNS0_10empty_typeEEEZNS1_34radix_sort_onesweep_global_offsetsIS3_Lb0EN6thrust23THRUST_200600_302600_NS6detail15normal_iteratorINS9_10device_ptrItEEEEPS5_jNS0_19identity_decomposerEEE10hipError_tT1_T2_PT3_SK_jT4_jjP12ihipStream_tbEUlT_E0_NS1_11comp_targetILNS1_3genE9ELNS1_11target_archE1100ELNS1_3gpuE3ELNS1_3repE0EEENS1_52radix_sort_onesweep_histogram_config_static_selectorELNS0_4arch9wavefront6targetE1EEEvSI_,"axG",@progbits,_ZN7rocprim17ROCPRIM_400000_NS6detail17trampoline_kernelINS0_14default_configENS1_35radix_sort_onesweep_config_selectorItNS0_10empty_typeEEEZNS1_34radix_sort_onesweep_global_offsetsIS3_Lb0EN6thrust23THRUST_200600_302600_NS6detail15normal_iteratorINS9_10device_ptrItEEEEPS5_jNS0_19identity_decomposerEEE10hipError_tT1_T2_PT3_SK_jT4_jjP12ihipStream_tbEUlT_E0_NS1_11comp_targetILNS1_3genE9ELNS1_11target_archE1100ELNS1_3gpuE3ELNS1_3repE0EEENS1_52radix_sort_onesweep_histogram_config_static_selectorELNS0_4arch9wavefront6targetE1EEEvSI_,comdat
.Lfunc_end1327:
	.size	_ZN7rocprim17ROCPRIM_400000_NS6detail17trampoline_kernelINS0_14default_configENS1_35radix_sort_onesweep_config_selectorItNS0_10empty_typeEEEZNS1_34radix_sort_onesweep_global_offsetsIS3_Lb0EN6thrust23THRUST_200600_302600_NS6detail15normal_iteratorINS9_10device_ptrItEEEEPS5_jNS0_19identity_decomposerEEE10hipError_tT1_T2_PT3_SK_jT4_jjP12ihipStream_tbEUlT_E0_NS1_11comp_targetILNS1_3genE9ELNS1_11target_archE1100ELNS1_3gpuE3ELNS1_3repE0EEENS1_52radix_sort_onesweep_histogram_config_static_selectorELNS0_4arch9wavefront6targetE1EEEvSI_, .Lfunc_end1327-_ZN7rocprim17ROCPRIM_400000_NS6detail17trampoline_kernelINS0_14default_configENS1_35radix_sort_onesweep_config_selectorItNS0_10empty_typeEEEZNS1_34radix_sort_onesweep_global_offsetsIS3_Lb0EN6thrust23THRUST_200600_302600_NS6detail15normal_iteratorINS9_10device_ptrItEEEEPS5_jNS0_19identity_decomposerEEE10hipError_tT1_T2_PT3_SK_jT4_jjP12ihipStream_tbEUlT_E0_NS1_11comp_targetILNS1_3genE9ELNS1_11target_archE1100ELNS1_3gpuE3ELNS1_3repE0EEENS1_52radix_sort_onesweep_histogram_config_static_selectorELNS0_4arch9wavefront6targetE1EEEvSI_
                                        ; -- End function
	.section	.AMDGPU.csdata,"",@progbits
; Kernel info:
; codeLenInByte = 0
; NumSgprs: 4
; NumVgprs: 0
; NumAgprs: 0
; TotalNumVgprs: 0
; ScratchSize: 0
; MemoryBound: 0
; FloatMode: 240
; IeeeMode: 1
; LDSByteSize: 0 bytes/workgroup (compile time only)
; SGPRBlocks: 0
; VGPRBlocks: 0
; NumSGPRsForWavesPerEU: 4
; NumVGPRsForWavesPerEU: 1
; AccumOffset: 4
; Occupancy: 8
; WaveLimiterHint : 0
; COMPUTE_PGM_RSRC2:SCRATCH_EN: 0
; COMPUTE_PGM_RSRC2:USER_SGPR: 6
; COMPUTE_PGM_RSRC2:TRAP_HANDLER: 0
; COMPUTE_PGM_RSRC2:TGID_X_EN: 1
; COMPUTE_PGM_RSRC2:TGID_Y_EN: 0
; COMPUTE_PGM_RSRC2:TGID_Z_EN: 0
; COMPUTE_PGM_RSRC2:TIDIG_COMP_CNT: 0
; COMPUTE_PGM_RSRC3_GFX90A:ACCUM_OFFSET: 0
; COMPUTE_PGM_RSRC3_GFX90A:TG_SPLIT: 0
	.section	.text._ZN7rocprim17ROCPRIM_400000_NS6detail17trampoline_kernelINS0_14default_configENS1_35radix_sort_onesweep_config_selectorItNS0_10empty_typeEEEZNS1_34radix_sort_onesweep_global_offsetsIS3_Lb0EN6thrust23THRUST_200600_302600_NS6detail15normal_iteratorINS9_10device_ptrItEEEEPS5_jNS0_19identity_decomposerEEE10hipError_tT1_T2_PT3_SK_jT4_jjP12ihipStream_tbEUlT_E0_NS1_11comp_targetILNS1_3genE8ELNS1_11target_archE1030ELNS1_3gpuE2ELNS1_3repE0EEENS1_52radix_sort_onesweep_histogram_config_static_selectorELNS0_4arch9wavefront6targetE1EEEvSI_,"axG",@progbits,_ZN7rocprim17ROCPRIM_400000_NS6detail17trampoline_kernelINS0_14default_configENS1_35radix_sort_onesweep_config_selectorItNS0_10empty_typeEEEZNS1_34radix_sort_onesweep_global_offsetsIS3_Lb0EN6thrust23THRUST_200600_302600_NS6detail15normal_iteratorINS9_10device_ptrItEEEEPS5_jNS0_19identity_decomposerEEE10hipError_tT1_T2_PT3_SK_jT4_jjP12ihipStream_tbEUlT_E0_NS1_11comp_targetILNS1_3genE8ELNS1_11target_archE1030ELNS1_3gpuE2ELNS1_3repE0EEENS1_52radix_sort_onesweep_histogram_config_static_selectorELNS0_4arch9wavefront6targetE1EEEvSI_,comdat
	.protected	_ZN7rocprim17ROCPRIM_400000_NS6detail17trampoline_kernelINS0_14default_configENS1_35radix_sort_onesweep_config_selectorItNS0_10empty_typeEEEZNS1_34radix_sort_onesweep_global_offsetsIS3_Lb0EN6thrust23THRUST_200600_302600_NS6detail15normal_iteratorINS9_10device_ptrItEEEEPS5_jNS0_19identity_decomposerEEE10hipError_tT1_T2_PT3_SK_jT4_jjP12ihipStream_tbEUlT_E0_NS1_11comp_targetILNS1_3genE8ELNS1_11target_archE1030ELNS1_3gpuE2ELNS1_3repE0EEENS1_52radix_sort_onesweep_histogram_config_static_selectorELNS0_4arch9wavefront6targetE1EEEvSI_ ; -- Begin function _ZN7rocprim17ROCPRIM_400000_NS6detail17trampoline_kernelINS0_14default_configENS1_35radix_sort_onesweep_config_selectorItNS0_10empty_typeEEEZNS1_34radix_sort_onesweep_global_offsetsIS3_Lb0EN6thrust23THRUST_200600_302600_NS6detail15normal_iteratorINS9_10device_ptrItEEEEPS5_jNS0_19identity_decomposerEEE10hipError_tT1_T2_PT3_SK_jT4_jjP12ihipStream_tbEUlT_E0_NS1_11comp_targetILNS1_3genE8ELNS1_11target_archE1030ELNS1_3gpuE2ELNS1_3repE0EEENS1_52radix_sort_onesweep_histogram_config_static_selectorELNS0_4arch9wavefront6targetE1EEEvSI_
	.globl	_ZN7rocprim17ROCPRIM_400000_NS6detail17trampoline_kernelINS0_14default_configENS1_35radix_sort_onesweep_config_selectorItNS0_10empty_typeEEEZNS1_34radix_sort_onesweep_global_offsetsIS3_Lb0EN6thrust23THRUST_200600_302600_NS6detail15normal_iteratorINS9_10device_ptrItEEEEPS5_jNS0_19identity_decomposerEEE10hipError_tT1_T2_PT3_SK_jT4_jjP12ihipStream_tbEUlT_E0_NS1_11comp_targetILNS1_3genE8ELNS1_11target_archE1030ELNS1_3gpuE2ELNS1_3repE0EEENS1_52radix_sort_onesweep_histogram_config_static_selectorELNS0_4arch9wavefront6targetE1EEEvSI_
	.p2align	8
	.type	_ZN7rocprim17ROCPRIM_400000_NS6detail17trampoline_kernelINS0_14default_configENS1_35radix_sort_onesweep_config_selectorItNS0_10empty_typeEEEZNS1_34radix_sort_onesweep_global_offsetsIS3_Lb0EN6thrust23THRUST_200600_302600_NS6detail15normal_iteratorINS9_10device_ptrItEEEEPS5_jNS0_19identity_decomposerEEE10hipError_tT1_T2_PT3_SK_jT4_jjP12ihipStream_tbEUlT_E0_NS1_11comp_targetILNS1_3genE8ELNS1_11target_archE1030ELNS1_3gpuE2ELNS1_3repE0EEENS1_52radix_sort_onesweep_histogram_config_static_selectorELNS0_4arch9wavefront6targetE1EEEvSI_,@function
_ZN7rocprim17ROCPRIM_400000_NS6detail17trampoline_kernelINS0_14default_configENS1_35radix_sort_onesweep_config_selectorItNS0_10empty_typeEEEZNS1_34radix_sort_onesweep_global_offsetsIS3_Lb0EN6thrust23THRUST_200600_302600_NS6detail15normal_iteratorINS9_10device_ptrItEEEEPS5_jNS0_19identity_decomposerEEE10hipError_tT1_T2_PT3_SK_jT4_jjP12ihipStream_tbEUlT_E0_NS1_11comp_targetILNS1_3genE8ELNS1_11target_archE1030ELNS1_3gpuE2ELNS1_3repE0EEENS1_52radix_sort_onesweep_histogram_config_static_selectorELNS0_4arch9wavefront6targetE1EEEvSI_: ; @_ZN7rocprim17ROCPRIM_400000_NS6detail17trampoline_kernelINS0_14default_configENS1_35radix_sort_onesweep_config_selectorItNS0_10empty_typeEEEZNS1_34radix_sort_onesweep_global_offsetsIS3_Lb0EN6thrust23THRUST_200600_302600_NS6detail15normal_iteratorINS9_10device_ptrItEEEEPS5_jNS0_19identity_decomposerEEE10hipError_tT1_T2_PT3_SK_jT4_jjP12ihipStream_tbEUlT_E0_NS1_11comp_targetILNS1_3genE8ELNS1_11target_archE1030ELNS1_3gpuE2ELNS1_3repE0EEENS1_52radix_sort_onesweep_histogram_config_static_selectorELNS0_4arch9wavefront6targetE1EEEvSI_
; %bb.0:
	.section	.rodata,"a",@progbits
	.p2align	6, 0x0
	.amdhsa_kernel _ZN7rocprim17ROCPRIM_400000_NS6detail17trampoline_kernelINS0_14default_configENS1_35radix_sort_onesweep_config_selectorItNS0_10empty_typeEEEZNS1_34radix_sort_onesweep_global_offsetsIS3_Lb0EN6thrust23THRUST_200600_302600_NS6detail15normal_iteratorINS9_10device_ptrItEEEEPS5_jNS0_19identity_decomposerEEE10hipError_tT1_T2_PT3_SK_jT4_jjP12ihipStream_tbEUlT_E0_NS1_11comp_targetILNS1_3genE8ELNS1_11target_archE1030ELNS1_3gpuE2ELNS1_3repE0EEENS1_52radix_sort_onesweep_histogram_config_static_selectorELNS0_4arch9wavefront6targetE1EEEvSI_
		.amdhsa_group_segment_fixed_size 0
		.amdhsa_private_segment_fixed_size 0
		.amdhsa_kernarg_size 8
		.amdhsa_user_sgpr_count 6
		.amdhsa_user_sgpr_private_segment_buffer 1
		.amdhsa_user_sgpr_dispatch_ptr 0
		.amdhsa_user_sgpr_queue_ptr 0
		.amdhsa_user_sgpr_kernarg_segment_ptr 1
		.amdhsa_user_sgpr_dispatch_id 0
		.amdhsa_user_sgpr_flat_scratch_init 0
		.amdhsa_user_sgpr_kernarg_preload_length 0
		.amdhsa_user_sgpr_kernarg_preload_offset 0
		.amdhsa_user_sgpr_private_segment_size 0
		.amdhsa_uses_dynamic_stack 0
		.amdhsa_system_sgpr_private_segment_wavefront_offset 0
		.amdhsa_system_sgpr_workgroup_id_x 1
		.amdhsa_system_sgpr_workgroup_id_y 0
		.amdhsa_system_sgpr_workgroup_id_z 0
		.amdhsa_system_sgpr_workgroup_info 0
		.amdhsa_system_vgpr_workitem_id 0
		.amdhsa_next_free_vgpr 1
		.amdhsa_next_free_sgpr 0
		.amdhsa_accum_offset 4
		.amdhsa_reserve_vcc 0
		.amdhsa_reserve_flat_scratch 0
		.amdhsa_float_round_mode_32 0
		.amdhsa_float_round_mode_16_64 0
		.amdhsa_float_denorm_mode_32 3
		.amdhsa_float_denorm_mode_16_64 3
		.amdhsa_dx10_clamp 1
		.amdhsa_ieee_mode 1
		.amdhsa_fp16_overflow 0
		.amdhsa_tg_split 0
		.amdhsa_exception_fp_ieee_invalid_op 0
		.amdhsa_exception_fp_denorm_src 0
		.amdhsa_exception_fp_ieee_div_zero 0
		.amdhsa_exception_fp_ieee_overflow 0
		.amdhsa_exception_fp_ieee_underflow 0
		.amdhsa_exception_fp_ieee_inexact 0
		.amdhsa_exception_int_div_zero 0
	.end_amdhsa_kernel
	.section	.text._ZN7rocprim17ROCPRIM_400000_NS6detail17trampoline_kernelINS0_14default_configENS1_35radix_sort_onesweep_config_selectorItNS0_10empty_typeEEEZNS1_34radix_sort_onesweep_global_offsetsIS3_Lb0EN6thrust23THRUST_200600_302600_NS6detail15normal_iteratorINS9_10device_ptrItEEEEPS5_jNS0_19identity_decomposerEEE10hipError_tT1_T2_PT3_SK_jT4_jjP12ihipStream_tbEUlT_E0_NS1_11comp_targetILNS1_3genE8ELNS1_11target_archE1030ELNS1_3gpuE2ELNS1_3repE0EEENS1_52radix_sort_onesweep_histogram_config_static_selectorELNS0_4arch9wavefront6targetE1EEEvSI_,"axG",@progbits,_ZN7rocprim17ROCPRIM_400000_NS6detail17trampoline_kernelINS0_14default_configENS1_35radix_sort_onesweep_config_selectorItNS0_10empty_typeEEEZNS1_34radix_sort_onesweep_global_offsetsIS3_Lb0EN6thrust23THRUST_200600_302600_NS6detail15normal_iteratorINS9_10device_ptrItEEEEPS5_jNS0_19identity_decomposerEEE10hipError_tT1_T2_PT3_SK_jT4_jjP12ihipStream_tbEUlT_E0_NS1_11comp_targetILNS1_3genE8ELNS1_11target_archE1030ELNS1_3gpuE2ELNS1_3repE0EEENS1_52radix_sort_onesweep_histogram_config_static_selectorELNS0_4arch9wavefront6targetE1EEEvSI_,comdat
.Lfunc_end1328:
	.size	_ZN7rocprim17ROCPRIM_400000_NS6detail17trampoline_kernelINS0_14default_configENS1_35radix_sort_onesweep_config_selectorItNS0_10empty_typeEEEZNS1_34radix_sort_onesweep_global_offsetsIS3_Lb0EN6thrust23THRUST_200600_302600_NS6detail15normal_iteratorINS9_10device_ptrItEEEEPS5_jNS0_19identity_decomposerEEE10hipError_tT1_T2_PT3_SK_jT4_jjP12ihipStream_tbEUlT_E0_NS1_11comp_targetILNS1_3genE8ELNS1_11target_archE1030ELNS1_3gpuE2ELNS1_3repE0EEENS1_52radix_sort_onesweep_histogram_config_static_selectorELNS0_4arch9wavefront6targetE1EEEvSI_, .Lfunc_end1328-_ZN7rocprim17ROCPRIM_400000_NS6detail17trampoline_kernelINS0_14default_configENS1_35radix_sort_onesweep_config_selectorItNS0_10empty_typeEEEZNS1_34radix_sort_onesweep_global_offsetsIS3_Lb0EN6thrust23THRUST_200600_302600_NS6detail15normal_iteratorINS9_10device_ptrItEEEEPS5_jNS0_19identity_decomposerEEE10hipError_tT1_T2_PT3_SK_jT4_jjP12ihipStream_tbEUlT_E0_NS1_11comp_targetILNS1_3genE8ELNS1_11target_archE1030ELNS1_3gpuE2ELNS1_3repE0EEENS1_52radix_sort_onesweep_histogram_config_static_selectorELNS0_4arch9wavefront6targetE1EEEvSI_
                                        ; -- End function
	.section	.AMDGPU.csdata,"",@progbits
; Kernel info:
; codeLenInByte = 0
; NumSgprs: 4
; NumVgprs: 0
; NumAgprs: 0
; TotalNumVgprs: 0
; ScratchSize: 0
; MemoryBound: 0
; FloatMode: 240
; IeeeMode: 1
; LDSByteSize: 0 bytes/workgroup (compile time only)
; SGPRBlocks: 0
; VGPRBlocks: 0
; NumSGPRsForWavesPerEU: 4
; NumVGPRsForWavesPerEU: 1
; AccumOffset: 4
; Occupancy: 8
; WaveLimiterHint : 0
; COMPUTE_PGM_RSRC2:SCRATCH_EN: 0
; COMPUTE_PGM_RSRC2:USER_SGPR: 6
; COMPUTE_PGM_RSRC2:TRAP_HANDLER: 0
; COMPUTE_PGM_RSRC2:TGID_X_EN: 1
; COMPUTE_PGM_RSRC2:TGID_Y_EN: 0
; COMPUTE_PGM_RSRC2:TGID_Z_EN: 0
; COMPUTE_PGM_RSRC2:TIDIG_COMP_CNT: 0
; COMPUTE_PGM_RSRC3_GFX90A:ACCUM_OFFSET: 0
; COMPUTE_PGM_RSRC3_GFX90A:TG_SPLIT: 0
	.section	.text._ZN7rocprim17ROCPRIM_400000_NS6detail17trampoline_kernelINS0_14default_configENS1_25transform_config_selectorItLb0EEEZNS1_14transform_implILb0ES3_S5_N6thrust23THRUST_200600_302600_NS6detail15normal_iteratorINS8_10device_ptrItEEEEPtNS0_8identityItEEEE10hipError_tT2_T3_mT4_P12ihipStream_tbEUlT_E_NS1_11comp_targetILNS1_3genE0ELNS1_11target_archE4294967295ELNS1_3gpuE0ELNS1_3repE0EEENS1_30default_config_static_selectorELNS0_4arch9wavefront6targetE1EEEvT1_,"axG",@progbits,_ZN7rocprim17ROCPRIM_400000_NS6detail17trampoline_kernelINS0_14default_configENS1_25transform_config_selectorItLb0EEEZNS1_14transform_implILb0ES3_S5_N6thrust23THRUST_200600_302600_NS6detail15normal_iteratorINS8_10device_ptrItEEEEPtNS0_8identityItEEEE10hipError_tT2_T3_mT4_P12ihipStream_tbEUlT_E_NS1_11comp_targetILNS1_3genE0ELNS1_11target_archE4294967295ELNS1_3gpuE0ELNS1_3repE0EEENS1_30default_config_static_selectorELNS0_4arch9wavefront6targetE1EEEvT1_,comdat
	.protected	_ZN7rocprim17ROCPRIM_400000_NS6detail17trampoline_kernelINS0_14default_configENS1_25transform_config_selectorItLb0EEEZNS1_14transform_implILb0ES3_S5_N6thrust23THRUST_200600_302600_NS6detail15normal_iteratorINS8_10device_ptrItEEEEPtNS0_8identityItEEEE10hipError_tT2_T3_mT4_P12ihipStream_tbEUlT_E_NS1_11comp_targetILNS1_3genE0ELNS1_11target_archE4294967295ELNS1_3gpuE0ELNS1_3repE0EEENS1_30default_config_static_selectorELNS0_4arch9wavefront6targetE1EEEvT1_ ; -- Begin function _ZN7rocprim17ROCPRIM_400000_NS6detail17trampoline_kernelINS0_14default_configENS1_25transform_config_selectorItLb0EEEZNS1_14transform_implILb0ES3_S5_N6thrust23THRUST_200600_302600_NS6detail15normal_iteratorINS8_10device_ptrItEEEEPtNS0_8identityItEEEE10hipError_tT2_T3_mT4_P12ihipStream_tbEUlT_E_NS1_11comp_targetILNS1_3genE0ELNS1_11target_archE4294967295ELNS1_3gpuE0ELNS1_3repE0EEENS1_30default_config_static_selectorELNS0_4arch9wavefront6targetE1EEEvT1_
	.globl	_ZN7rocprim17ROCPRIM_400000_NS6detail17trampoline_kernelINS0_14default_configENS1_25transform_config_selectorItLb0EEEZNS1_14transform_implILb0ES3_S5_N6thrust23THRUST_200600_302600_NS6detail15normal_iteratorINS8_10device_ptrItEEEEPtNS0_8identityItEEEE10hipError_tT2_T3_mT4_P12ihipStream_tbEUlT_E_NS1_11comp_targetILNS1_3genE0ELNS1_11target_archE4294967295ELNS1_3gpuE0ELNS1_3repE0EEENS1_30default_config_static_selectorELNS0_4arch9wavefront6targetE1EEEvT1_
	.p2align	8
	.type	_ZN7rocprim17ROCPRIM_400000_NS6detail17trampoline_kernelINS0_14default_configENS1_25transform_config_selectorItLb0EEEZNS1_14transform_implILb0ES3_S5_N6thrust23THRUST_200600_302600_NS6detail15normal_iteratorINS8_10device_ptrItEEEEPtNS0_8identityItEEEE10hipError_tT2_T3_mT4_P12ihipStream_tbEUlT_E_NS1_11comp_targetILNS1_3genE0ELNS1_11target_archE4294967295ELNS1_3gpuE0ELNS1_3repE0EEENS1_30default_config_static_selectorELNS0_4arch9wavefront6targetE1EEEvT1_,@function
_ZN7rocprim17ROCPRIM_400000_NS6detail17trampoline_kernelINS0_14default_configENS1_25transform_config_selectorItLb0EEEZNS1_14transform_implILb0ES3_S5_N6thrust23THRUST_200600_302600_NS6detail15normal_iteratorINS8_10device_ptrItEEEEPtNS0_8identityItEEEE10hipError_tT2_T3_mT4_P12ihipStream_tbEUlT_E_NS1_11comp_targetILNS1_3genE0ELNS1_11target_archE4294967295ELNS1_3gpuE0ELNS1_3repE0EEENS1_30default_config_static_selectorELNS0_4arch9wavefront6targetE1EEEvT1_: ; @_ZN7rocprim17ROCPRIM_400000_NS6detail17trampoline_kernelINS0_14default_configENS1_25transform_config_selectorItLb0EEEZNS1_14transform_implILb0ES3_S5_N6thrust23THRUST_200600_302600_NS6detail15normal_iteratorINS8_10device_ptrItEEEEPtNS0_8identityItEEEE10hipError_tT2_T3_mT4_P12ihipStream_tbEUlT_E_NS1_11comp_targetILNS1_3genE0ELNS1_11target_archE4294967295ELNS1_3gpuE0ELNS1_3repE0EEENS1_30default_config_static_selectorELNS0_4arch9wavefront6targetE1EEEvT1_
; %bb.0:
	.section	.rodata,"a",@progbits
	.p2align	6, 0x0
	.amdhsa_kernel _ZN7rocprim17ROCPRIM_400000_NS6detail17trampoline_kernelINS0_14default_configENS1_25transform_config_selectorItLb0EEEZNS1_14transform_implILb0ES3_S5_N6thrust23THRUST_200600_302600_NS6detail15normal_iteratorINS8_10device_ptrItEEEEPtNS0_8identityItEEEE10hipError_tT2_T3_mT4_P12ihipStream_tbEUlT_E_NS1_11comp_targetILNS1_3genE0ELNS1_11target_archE4294967295ELNS1_3gpuE0ELNS1_3repE0EEENS1_30default_config_static_selectorELNS0_4arch9wavefront6targetE1EEEvT1_
		.amdhsa_group_segment_fixed_size 0
		.amdhsa_private_segment_fixed_size 0
		.amdhsa_kernarg_size 40
		.amdhsa_user_sgpr_count 6
		.amdhsa_user_sgpr_private_segment_buffer 1
		.amdhsa_user_sgpr_dispatch_ptr 0
		.amdhsa_user_sgpr_queue_ptr 0
		.amdhsa_user_sgpr_kernarg_segment_ptr 1
		.amdhsa_user_sgpr_dispatch_id 0
		.amdhsa_user_sgpr_flat_scratch_init 0
		.amdhsa_user_sgpr_kernarg_preload_length 0
		.amdhsa_user_sgpr_kernarg_preload_offset 0
		.amdhsa_user_sgpr_private_segment_size 0
		.amdhsa_uses_dynamic_stack 0
		.amdhsa_system_sgpr_private_segment_wavefront_offset 0
		.amdhsa_system_sgpr_workgroup_id_x 1
		.amdhsa_system_sgpr_workgroup_id_y 0
		.amdhsa_system_sgpr_workgroup_id_z 0
		.amdhsa_system_sgpr_workgroup_info 0
		.amdhsa_system_vgpr_workitem_id 0
		.amdhsa_next_free_vgpr 1
		.amdhsa_next_free_sgpr 0
		.amdhsa_accum_offset 4
		.amdhsa_reserve_vcc 0
		.amdhsa_reserve_flat_scratch 0
		.amdhsa_float_round_mode_32 0
		.amdhsa_float_round_mode_16_64 0
		.amdhsa_float_denorm_mode_32 3
		.amdhsa_float_denorm_mode_16_64 3
		.amdhsa_dx10_clamp 1
		.amdhsa_ieee_mode 1
		.amdhsa_fp16_overflow 0
		.amdhsa_tg_split 0
		.amdhsa_exception_fp_ieee_invalid_op 0
		.amdhsa_exception_fp_denorm_src 0
		.amdhsa_exception_fp_ieee_div_zero 0
		.amdhsa_exception_fp_ieee_overflow 0
		.amdhsa_exception_fp_ieee_underflow 0
		.amdhsa_exception_fp_ieee_inexact 0
		.amdhsa_exception_int_div_zero 0
	.end_amdhsa_kernel
	.section	.text._ZN7rocprim17ROCPRIM_400000_NS6detail17trampoline_kernelINS0_14default_configENS1_25transform_config_selectorItLb0EEEZNS1_14transform_implILb0ES3_S5_N6thrust23THRUST_200600_302600_NS6detail15normal_iteratorINS8_10device_ptrItEEEEPtNS0_8identityItEEEE10hipError_tT2_T3_mT4_P12ihipStream_tbEUlT_E_NS1_11comp_targetILNS1_3genE0ELNS1_11target_archE4294967295ELNS1_3gpuE0ELNS1_3repE0EEENS1_30default_config_static_selectorELNS0_4arch9wavefront6targetE1EEEvT1_,"axG",@progbits,_ZN7rocprim17ROCPRIM_400000_NS6detail17trampoline_kernelINS0_14default_configENS1_25transform_config_selectorItLb0EEEZNS1_14transform_implILb0ES3_S5_N6thrust23THRUST_200600_302600_NS6detail15normal_iteratorINS8_10device_ptrItEEEEPtNS0_8identityItEEEE10hipError_tT2_T3_mT4_P12ihipStream_tbEUlT_E_NS1_11comp_targetILNS1_3genE0ELNS1_11target_archE4294967295ELNS1_3gpuE0ELNS1_3repE0EEENS1_30default_config_static_selectorELNS0_4arch9wavefront6targetE1EEEvT1_,comdat
.Lfunc_end1329:
	.size	_ZN7rocprim17ROCPRIM_400000_NS6detail17trampoline_kernelINS0_14default_configENS1_25transform_config_selectorItLb0EEEZNS1_14transform_implILb0ES3_S5_N6thrust23THRUST_200600_302600_NS6detail15normal_iteratorINS8_10device_ptrItEEEEPtNS0_8identityItEEEE10hipError_tT2_T3_mT4_P12ihipStream_tbEUlT_E_NS1_11comp_targetILNS1_3genE0ELNS1_11target_archE4294967295ELNS1_3gpuE0ELNS1_3repE0EEENS1_30default_config_static_selectorELNS0_4arch9wavefront6targetE1EEEvT1_, .Lfunc_end1329-_ZN7rocprim17ROCPRIM_400000_NS6detail17trampoline_kernelINS0_14default_configENS1_25transform_config_selectorItLb0EEEZNS1_14transform_implILb0ES3_S5_N6thrust23THRUST_200600_302600_NS6detail15normal_iteratorINS8_10device_ptrItEEEEPtNS0_8identityItEEEE10hipError_tT2_T3_mT4_P12ihipStream_tbEUlT_E_NS1_11comp_targetILNS1_3genE0ELNS1_11target_archE4294967295ELNS1_3gpuE0ELNS1_3repE0EEENS1_30default_config_static_selectorELNS0_4arch9wavefront6targetE1EEEvT1_
                                        ; -- End function
	.section	.AMDGPU.csdata,"",@progbits
; Kernel info:
; codeLenInByte = 0
; NumSgprs: 4
; NumVgprs: 0
; NumAgprs: 0
; TotalNumVgprs: 0
; ScratchSize: 0
; MemoryBound: 0
; FloatMode: 240
; IeeeMode: 1
; LDSByteSize: 0 bytes/workgroup (compile time only)
; SGPRBlocks: 0
; VGPRBlocks: 0
; NumSGPRsForWavesPerEU: 4
; NumVGPRsForWavesPerEU: 1
; AccumOffset: 4
; Occupancy: 8
; WaveLimiterHint : 0
; COMPUTE_PGM_RSRC2:SCRATCH_EN: 0
; COMPUTE_PGM_RSRC2:USER_SGPR: 6
; COMPUTE_PGM_RSRC2:TRAP_HANDLER: 0
; COMPUTE_PGM_RSRC2:TGID_X_EN: 1
; COMPUTE_PGM_RSRC2:TGID_Y_EN: 0
; COMPUTE_PGM_RSRC2:TGID_Z_EN: 0
; COMPUTE_PGM_RSRC2:TIDIG_COMP_CNT: 0
; COMPUTE_PGM_RSRC3_GFX90A:ACCUM_OFFSET: 0
; COMPUTE_PGM_RSRC3_GFX90A:TG_SPLIT: 0
	.section	.text._ZN7rocprim17ROCPRIM_400000_NS6detail17trampoline_kernelINS0_14default_configENS1_25transform_config_selectorItLb0EEEZNS1_14transform_implILb0ES3_S5_N6thrust23THRUST_200600_302600_NS6detail15normal_iteratorINS8_10device_ptrItEEEEPtNS0_8identityItEEEE10hipError_tT2_T3_mT4_P12ihipStream_tbEUlT_E_NS1_11comp_targetILNS1_3genE5ELNS1_11target_archE942ELNS1_3gpuE9ELNS1_3repE0EEENS1_30default_config_static_selectorELNS0_4arch9wavefront6targetE1EEEvT1_,"axG",@progbits,_ZN7rocprim17ROCPRIM_400000_NS6detail17trampoline_kernelINS0_14default_configENS1_25transform_config_selectorItLb0EEEZNS1_14transform_implILb0ES3_S5_N6thrust23THRUST_200600_302600_NS6detail15normal_iteratorINS8_10device_ptrItEEEEPtNS0_8identityItEEEE10hipError_tT2_T3_mT4_P12ihipStream_tbEUlT_E_NS1_11comp_targetILNS1_3genE5ELNS1_11target_archE942ELNS1_3gpuE9ELNS1_3repE0EEENS1_30default_config_static_selectorELNS0_4arch9wavefront6targetE1EEEvT1_,comdat
	.protected	_ZN7rocprim17ROCPRIM_400000_NS6detail17trampoline_kernelINS0_14default_configENS1_25transform_config_selectorItLb0EEEZNS1_14transform_implILb0ES3_S5_N6thrust23THRUST_200600_302600_NS6detail15normal_iteratorINS8_10device_ptrItEEEEPtNS0_8identityItEEEE10hipError_tT2_T3_mT4_P12ihipStream_tbEUlT_E_NS1_11comp_targetILNS1_3genE5ELNS1_11target_archE942ELNS1_3gpuE9ELNS1_3repE0EEENS1_30default_config_static_selectorELNS0_4arch9wavefront6targetE1EEEvT1_ ; -- Begin function _ZN7rocprim17ROCPRIM_400000_NS6detail17trampoline_kernelINS0_14default_configENS1_25transform_config_selectorItLb0EEEZNS1_14transform_implILb0ES3_S5_N6thrust23THRUST_200600_302600_NS6detail15normal_iteratorINS8_10device_ptrItEEEEPtNS0_8identityItEEEE10hipError_tT2_T3_mT4_P12ihipStream_tbEUlT_E_NS1_11comp_targetILNS1_3genE5ELNS1_11target_archE942ELNS1_3gpuE9ELNS1_3repE0EEENS1_30default_config_static_selectorELNS0_4arch9wavefront6targetE1EEEvT1_
	.globl	_ZN7rocprim17ROCPRIM_400000_NS6detail17trampoline_kernelINS0_14default_configENS1_25transform_config_selectorItLb0EEEZNS1_14transform_implILb0ES3_S5_N6thrust23THRUST_200600_302600_NS6detail15normal_iteratorINS8_10device_ptrItEEEEPtNS0_8identityItEEEE10hipError_tT2_T3_mT4_P12ihipStream_tbEUlT_E_NS1_11comp_targetILNS1_3genE5ELNS1_11target_archE942ELNS1_3gpuE9ELNS1_3repE0EEENS1_30default_config_static_selectorELNS0_4arch9wavefront6targetE1EEEvT1_
	.p2align	8
	.type	_ZN7rocprim17ROCPRIM_400000_NS6detail17trampoline_kernelINS0_14default_configENS1_25transform_config_selectorItLb0EEEZNS1_14transform_implILb0ES3_S5_N6thrust23THRUST_200600_302600_NS6detail15normal_iteratorINS8_10device_ptrItEEEEPtNS0_8identityItEEEE10hipError_tT2_T3_mT4_P12ihipStream_tbEUlT_E_NS1_11comp_targetILNS1_3genE5ELNS1_11target_archE942ELNS1_3gpuE9ELNS1_3repE0EEENS1_30default_config_static_selectorELNS0_4arch9wavefront6targetE1EEEvT1_,@function
_ZN7rocprim17ROCPRIM_400000_NS6detail17trampoline_kernelINS0_14default_configENS1_25transform_config_selectorItLb0EEEZNS1_14transform_implILb0ES3_S5_N6thrust23THRUST_200600_302600_NS6detail15normal_iteratorINS8_10device_ptrItEEEEPtNS0_8identityItEEEE10hipError_tT2_T3_mT4_P12ihipStream_tbEUlT_E_NS1_11comp_targetILNS1_3genE5ELNS1_11target_archE942ELNS1_3gpuE9ELNS1_3repE0EEENS1_30default_config_static_selectorELNS0_4arch9wavefront6targetE1EEEvT1_: ; @_ZN7rocprim17ROCPRIM_400000_NS6detail17trampoline_kernelINS0_14default_configENS1_25transform_config_selectorItLb0EEEZNS1_14transform_implILb0ES3_S5_N6thrust23THRUST_200600_302600_NS6detail15normal_iteratorINS8_10device_ptrItEEEEPtNS0_8identityItEEEE10hipError_tT2_T3_mT4_P12ihipStream_tbEUlT_E_NS1_11comp_targetILNS1_3genE5ELNS1_11target_archE942ELNS1_3gpuE9ELNS1_3repE0EEENS1_30default_config_static_selectorELNS0_4arch9wavefront6targetE1EEEvT1_
; %bb.0:
	.section	.rodata,"a",@progbits
	.p2align	6, 0x0
	.amdhsa_kernel _ZN7rocprim17ROCPRIM_400000_NS6detail17trampoline_kernelINS0_14default_configENS1_25transform_config_selectorItLb0EEEZNS1_14transform_implILb0ES3_S5_N6thrust23THRUST_200600_302600_NS6detail15normal_iteratorINS8_10device_ptrItEEEEPtNS0_8identityItEEEE10hipError_tT2_T3_mT4_P12ihipStream_tbEUlT_E_NS1_11comp_targetILNS1_3genE5ELNS1_11target_archE942ELNS1_3gpuE9ELNS1_3repE0EEENS1_30default_config_static_selectorELNS0_4arch9wavefront6targetE1EEEvT1_
		.amdhsa_group_segment_fixed_size 0
		.amdhsa_private_segment_fixed_size 0
		.amdhsa_kernarg_size 40
		.amdhsa_user_sgpr_count 6
		.amdhsa_user_sgpr_private_segment_buffer 1
		.amdhsa_user_sgpr_dispatch_ptr 0
		.amdhsa_user_sgpr_queue_ptr 0
		.amdhsa_user_sgpr_kernarg_segment_ptr 1
		.amdhsa_user_sgpr_dispatch_id 0
		.amdhsa_user_sgpr_flat_scratch_init 0
		.amdhsa_user_sgpr_kernarg_preload_length 0
		.amdhsa_user_sgpr_kernarg_preload_offset 0
		.amdhsa_user_sgpr_private_segment_size 0
		.amdhsa_uses_dynamic_stack 0
		.amdhsa_system_sgpr_private_segment_wavefront_offset 0
		.amdhsa_system_sgpr_workgroup_id_x 1
		.amdhsa_system_sgpr_workgroup_id_y 0
		.amdhsa_system_sgpr_workgroup_id_z 0
		.amdhsa_system_sgpr_workgroup_info 0
		.amdhsa_system_vgpr_workitem_id 0
		.amdhsa_next_free_vgpr 1
		.amdhsa_next_free_sgpr 0
		.amdhsa_accum_offset 4
		.amdhsa_reserve_vcc 0
		.amdhsa_reserve_flat_scratch 0
		.amdhsa_float_round_mode_32 0
		.amdhsa_float_round_mode_16_64 0
		.amdhsa_float_denorm_mode_32 3
		.amdhsa_float_denorm_mode_16_64 3
		.amdhsa_dx10_clamp 1
		.amdhsa_ieee_mode 1
		.amdhsa_fp16_overflow 0
		.amdhsa_tg_split 0
		.amdhsa_exception_fp_ieee_invalid_op 0
		.amdhsa_exception_fp_denorm_src 0
		.amdhsa_exception_fp_ieee_div_zero 0
		.amdhsa_exception_fp_ieee_overflow 0
		.amdhsa_exception_fp_ieee_underflow 0
		.amdhsa_exception_fp_ieee_inexact 0
		.amdhsa_exception_int_div_zero 0
	.end_amdhsa_kernel
	.section	.text._ZN7rocprim17ROCPRIM_400000_NS6detail17trampoline_kernelINS0_14default_configENS1_25transform_config_selectorItLb0EEEZNS1_14transform_implILb0ES3_S5_N6thrust23THRUST_200600_302600_NS6detail15normal_iteratorINS8_10device_ptrItEEEEPtNS0_8identityItEEEE10hipError_tT2_T3_mT4_P12ihipStream_tbEUlT_E_NS1_11comp_targetILNS1_3genE5ELNS1_11target_archE942ELNS1_3gpuE9ELNS1_3repE0EEENS1_30default_config_static_selectorELNS0_4arch9wavefront6targetE1EEEvT1_,"axG",@progbits,_ZN7rocprim17ROCPRIM_400000_NS6detail17trampoline_kernelINS0_14default_configENS1_25transform_config_selectorItLb0EEEZNS1_14transform_implILb0ES3_S5_N6thrust23THRUST_200600_302600_NS6detail15normal_iteratorINS8_10device_ptrItEEEEPtNS0_8identityItEEEE10hipError_tT2_T3_mT4_P12ihipStream_tbEUlT_E_NS1_11comp_targetILNS1_3genE5ELNS1_11target_archE942ELNS1_3gpuE9ELNS1_3repE0EEENS1_30default_config_static_selectorELNS0_4arch9wavefront6targetE1EEEvT1_,comdat
.Lfunc_end1330:
	.size	_ZN7rocprim17ROCPRIM_400000_NS6detail17trampoline_kernelINS0_14default_configENS1_25transform_config_selectorItLb0EEEZNS1_14transform_implILb0ES3_S5_N6thrust23THRUST_200600_302600_NS6detail15normal_iteratorINS8_10device_ptrItEEEEPtNS0_8identityItEEEE10hipError_tT2_T3_mT4_P12ihipStream_tbEUlT_E_NS1_11comp_targetILNS1_3genE5ELNS1_11target_archE942ELNS1_3gpuE9ELNS1_3repE0EEENS1_30default_config_static_selectorELNS0_4arch9wavefront6targetE1EEEvT1_, .Lfunc_end1330-_ZN7rocprim17ROCPRIM_400000_NS6detail17trampoline_kernelINS0_14default_configENS1_25transform_config_selectorItLb0EEEZNS1_14transform_implILb0ES3_S5_N6thrust23THRUST_200600_302600_NS6detail15normal_iteratorINS8_10device_ptrItEEEEPtNS0_8identityItEEEE10hipError_tT2_T3_mT4_P12ihipStream_tbEUlT_E_NS1_11comp_targetILNS1_3genE5ELNS1_11target_archE942ELNS1_3gpuE9ELNS1_3repE0EEENS1_30default_config_static_selectorELNS0_4arch9wavefront6targetE1EEEvT1_
                                        ; -- End function
	.section	.AMDGPU.csdata,"",@progbits
; Kernel info:
; codeLenInByte = 0
; NumSgprs: 4
; NumVgprs: 0
; NumAgprs: 0
; TotalNumVgprs: 0
; ScratchSize: 0
; MemoryBound: 0
; FloatMode: 240
; IeeeMode: 1
; LDSByteSize: 0 bytes/workgroup (compile time only)
; SGPRBlocks: 0
; VGPRBlocks: 0
; NumSGPRsForWavesPerEU: 4
; NumVGPRsForWavesPerEU: 1
; AccumOffset: 4
; Occupancy: 8
; WaveLimiterHint : 0
; COMPUTE_PGM_RSRC2:SCRATCH_EN: 0
; COMPUTE_PGM_RSRC2:USER_SGPR: 6
; COMPUTE_PGM_RSRC2:TRAP_HANDLER: 0
; COMPUTE_PGM_RSRC2:TGID_X_EN: 1
; COMPUTE_PGM_RSRC2:TGID_Y_EN: 0
; COMPUTE_PGM_RSRC2:TGID_Z_EN: 0
; COMPUTE_PGM_RSRC2:TIDIG_COMP_CNT: 0
; COMPUTE_PGM_RSRC3_GFX90A:ACCUM_OFFSET: 0
; COMPUTE_PGM_RSRC3_GFX90A:TG_SPLIT: 0
	.section	.text._ZN7rocprim17ROCPRIM_400000_NS6detail17trampoline_kernelINS0_14default_configENS1_25transform_config_selectorItLb0EEEZNS1_14transform_implILb0ES3_S5_N6thrust23THRUST_200600_302600_NS6detail15normal_iteratorINS8_10device_ptrItEEEEPtNS0_8identityItEEEE10hipError_tT2_T3_mT4_P12ihipStream_tbEUlT_E_NS1_11comp_targetILNS1_3genE4ELNS1_11target_archE910ELNS1_3gpuE8ELNS1_3repE0EEENS1_30default_config_static_selectorELNS0_4arch9wavefront6targetE1EEEvT1_,"axG",@progbits,_ZN7rocprim17ROCPRIM_400000_NS6detail17trampoline_kernelINS0_14default_configENS1_25transform_config_selectorItLb0EEEZNS1_14transform_implILb0ES3_S5_N6thrust23THRUST_200600_302600_NS6detail15normal_iteratorINS8_10device_ptrItEEEEPtNS0_8identityItEEEE10hipError_tT2_T3_mT4_P12ihipStream_tbEUlT_E_NS1_11comp_targetILNS1_3genE4ELNS1_11target_archE910ELNS1_3gpuE8ELNS1_3repE0EEENS1_30default_config_static_selectorELNS0_4arch9wavefront6targetE1EEEvT1_,comdat
	.protected	_ZN7rocprim17ROCPRIM_400000_NS6detail17trampoline_kernelINS0_14default_configENS1_25transform_config_selectorItLb0EEEZNS1_14transform_implILb0ES3_S5_N6thrust23THRUST_200600_302600_NS6detail15normal_iteratorINS8_10device_ptrItEEEEPtNS0_8identityItEEEE10hipError_tT2_T3_mT4_P12ihipStream_tbEUlT_E_NS1_11comp_targetILNS1_3genE4ELNS1_11target_archE910ELNS1_3gpuE8ELNS1_3repE0EEENS1_30default_config_static_selectorELNS0_4arch9wavefront6targetE1EEEvT1_ ; -- Begin function _ZN7rocprim17ROCPRIM_400000_NS6detail17trampoline_kernelINS0_14default_configENS1_25transform_config_selectorItLb0EEEZNS1_14transform_implILb0ES3_S5_N6thrust23THRUST_200600_302600_NS6detail15normal_iteratorINS8_10device_ptrItEEEEPtNS0_8identityItEEEE10hipError_tT2_T3_mT4_P12ihipStream_tbEUlT_E_NS1_11comp_targetILNS1_3genE4ELNS1_11target_archE910ELNS1_3gpuE8ELNS1_3repE0EEENS1_30default_config_static_selectorELNS0_4arch9wavefront6targetE1EEEvT1_
	.globl	_ZN7rocprim17ROCPRIM_400000_NS6detail17trampoline_kernelINS0_14default_configENS1_25transform_config_selectorItLb0EEEZNS1_14transform_implILb0ES3_S5_N6thrust23THRUST_200600_302600_NS6detail15normal_iteratorINS8_10device_ptrItEEEEPtNS0_8identityItEEEE10hipError_tT2_T3_mT4_P12ihipStream_tbEUlT_E_NS1_11comp_targetILNS1_3genE4ELNS1_11target_archE910ELNS1_3gpuE8ELNS1_3repE0EEENS1_30default_config_static_selectorELNS0_4arch9wavefront6targetE1EEEvT1_
	.p2align	8
	.type	_ZN7rocprim17ROCPRIM_400000_NS6detail17trampoline_kernelINS0_14default_configENS1_25transform_config_selectorItLb0EEEZNS1_14transform_implILb0ES3_S5_N6thrust23THRUST_200600_302600_NS6detail15normal_iteratorINS8_10device_ptrItEEEEPtNS0_8identityItEEEE10hipError_tT2_T3_mT4_P12ihipStream_tbEUlT_E_NS1_11comp_targetILNS1_3genE4ELNS1_11target_archE910ELNS1_3gpuE8ELNS1_3repE0EEENS1_30default_config_static_selectorELNS0_4arch9wavefront6targetE1EEEvT1_,@function
_ZN7rocprim17ROCPRIM_400000_NS6detail17trampoline_kernelINS0_14default_configENS1_25transform_config_selectorItLb0EEEZNS1_14transform_implILb0ES3_S5_N6thrust23THRUST_200600_302600_NS6detail15normal_iteratorINS8_10device_ptrItEEEEPtNS0_8identityItEEEE10hipError_tT2_T3_mT4_P12ihipStream_tbEUlT_E_NS1_11comp_targetILNS1_3genE4ELNS1_11target_archE910ELNS1_3gpuE8ELNS1_3repE0EEENS1_30default_config_static_selectorELNS0_4arch9wavefront6targetE1EEEvT1_: ; @_ZN7rocprim17ROCPRIM_400000_NS6detail17trampoline_kernelINS0_14default_configENS1_25transform_config_selectorItLb0EEEZNS1_14transform_implILb0ES3_S5_N6thrust23THRUST_200600_302600_NS6detail15normal_iteratorINS8_10device_ptrItEEEEPtNS0_8identityItEEEE10hipError_tT2_T3_mT4_P12ihipStream_tbEUlT_E_NS1_11comp_targetILNS1_3genE4ELNS1_11target_archE910ELNS1_3gpuE8ELNS1_3repE0EEENS1_30default_config_static_selectorELNS0_4arch9wavefront6targetE1EEEvT1_
; %bb.0:
	s_load_dwordx8 s[8:15], s[4:5], 0x0
	s_load_dword s2, s[4:5], 0x28
	v_lshlrev_b32_e32 v8, 1, v0
	s_waitcnt lgkmcnt(0)
	s_lshl_b64 s[0:1], s[10:11], 1
	s_add_u32 s3, s8, s0
	s_addc_u32 s4, s9, s1
	s_add_u32 s22, s14, s0
	s_addc_u32 s23, s15, s1
	s_lshl_b32 s0, s6, 9
	s_mov_b32 s1, 0
	s_add_i32 s2, s2, -1
	s_lshl_b64 s[18:19], s[0:1], 1
	s_add_u32 s24, s3, s18
	s_addc_u32 s25, s4, s19
	s_cmp_lg_u32 s6, s2
	s_cbranch_scc0 .LBB1331_2
; %bb.1:
	v_mov_b32_e32 v1, s25
	v_add_co_u32_e32 v2, vcc, s24, v8
	v_addc_co_u32_e32 v3, vcc, 0, v1, vcc
	flat_load_ushort v4, v[2:3]
	flat_load_ushort v5, v[2:3] offset:128
	flat_load_ushort v9, v[2:3] offset:256
	;; [unrolled: 1-line block ×7, first 2 shown]
	s_add_u32 s4, s22, s18
	s_addc_u32 s5, s23, s19
	v_mov_b32_e32 v2, s5
	v_add_co_u32_e32 v6, vcc, s4, v8
	v_addc_co_u32_e32 v7, vcc, 0, v2, vcc
	s_mov_b64 s[16:17], -1
	s_waitcnt vmcnt(0) lgkmcnt(0)
	global_store_short v8, v4, s[4:5]
	global_store_short v8, v5, s[4:5] offset:128
	global_store_short v8, v9, s[4:5] offset:256
	;; [unrolled: 1-line block ×6, first 2 shown]
	s_cbranch_execz .LBB1331_3
	s_branch .LBB1331_34
.LBB1331_2:
	s_mov_b64 s[16:17], 0
                                        ; implicit-def: $vgpr1
                                        ; implicit-def: $vgpr6_vgpr7
.LBB1331_3:
	s_sub_i32 s20, s12, s0
	v_cmp_gt_u32_e32 vcc, s20, v0
                                        ; implicit-def: $vgpr2_vgpr3_vgpr4_vgpr5
	s_and_saveexec_b64 s[2:3], vcc
	s_cbranch_execz .LBB1331_5
; %bb.4:
	v_mov_b32_e32 v1, s25
	v_add_co_u32_e64 v2, s[0:1], s24, v8
	v_addc_co_u32_e64 v3, s[0:1], 0, v1, s[0:1]
	flat_load_ushort v2, v[2:3]
.LBB1331_5:
	s_or_b64 exec, exec, s[2:3]
	v_or_b32_e32 v1, 64, v0
	v_cmp_gt_u32_e64 s[0:1], s20, v1
	s_and_saveexec_b64 s[4:5], s[0:1]
	s_cbranch_execz .LBB1331_7
; %bb.6:
	v_mov_b32_e32 v1, s25
	v_add_co_u32_e64 v6, s[2:3], s24, v8
	v_addc_co_u32_e64 v7, s[2:3], 0, v1, s[2:3]
	flat_load_ushort v1, v[6:7] offset:128
	s_mov_b32 s2, 0x5040100
	s_waitcnt vmcnt(0) lgkmcnt(0)
	v_perm_b32 v2, v1, v2, s2
.LBB1331_7:
	s_or_b64 exec, exec, s[4:5]
	v_or_b32_e32 v1, 0x80, v0
	v_cmp_gt_u32_e64 s[2:3], s20, v1
	s_and_saveexec_b64 s[6:7], s[2:3]
	s_cbranch_execz .LBB1331_9
; %bb.8:
	v_mov_b32_e32 v1, s25
	v_add_co_u32_e64 v6, s[4:5], s24, v8
	v_addc_co_u32_e64 v7, s[4:5], 0, v1, s[4:5]
	flat_load_ushort v1, v[6:7] offset:256
	s_mov_b32 s4, 0xffff
	s_waitcnt vmcnt(0) lgkmcnt(0)
	v_bfi_b32 v3, s4, v1, v3
.LBB1331_9:
	s_or_b64 exec, exec, s[6:7]
	v_or_b32_e32 v1, 0xc0, v0
	v_cmp_gt_u32_e64 s[4:5], s20, v1
	s_and_saveexec_b64 s[8:9], s[4:5]
	s_cbranch_execz .LBB1331_11
; %bb.10:
	v_mov_b32_e32 v1, s25
	v_add_co_u32_e64 v6, s[6:7], s24, v8
	v_addc_co_u32_e64 v7, s[6:7], 0, v1, s[6:7]
	flat_load_ushort v1, v[6:7] offset:384
	s_mov_b32 s6, 0x5040100
	s_waitcnt vmcnt(0) lgkmcnt(0)
	v_perm_b32 v3, v1, v3, s6
.LBB1331_11:
	s_or_b64 exec, exec, s[8:9]
	v_or_b32_e32 v1, 0x100, v0
	v_cmp_gt_u32_e64 s[6:7], s20, v1
	s_and_saveexec_b64 s[10:11], s[6:7]
	s_cbranch_execz .LBB1331_13
; %bb.12:
	v_mov_b32_e32 v1, s25
	v_add_co_u32_e64 v6, s[8:9], s24, v8
	v_addc_co_u32_e64 v7, s[8:9], 0, v1, s[8:9]
	flat_load_ushort v1, v[6:7] offset:512
	s_mov_b32 s8, 0xffff
	s_waitcnt vmcnt(0) lgkmcnt(0)
	v_bfi_b32 v4, s8, v1, v4
.LBB1331_13:
	;; [unrolled: 28-line block ×3, first 2 shown]
	s_or_b64 exec, exec, s[14:15]
	v_or_b32_e32 v1, 0x1c0, v0
	v_cmp_gt_u32_e64 s[12:13], s20, v1
	v_cmp_le_u32_e64 s[14:15], s20, v1
	s_and_saveexec_b64 s[20:21], s[14:15]
	s_xor_b64 s[14:15], exec, s[20:21]
; %bb.18:
	v_mov_b32_e32 v1, 0
                                        ; implicit-def: $vgpr8
; %bb.19:
	s_andn2_saveexec_b64 s[20:21], s[14:15]
	s_cbranch_execz .LBB1331_21
; %bb.20:
	v_mov_b32_e32 v1, s25
	v_add_co_u32_e64 v6, s[14:15], s24, v8
	v_addc_co_u32_e64 v7, s[14:15], 0, v1, s[14:15]
	flat_load_ushort v6, v[6:7] offset:896
	s_mov_b32 s14, 0x5040100
	v_mov_b32_e32 v1, 0
	s_waitcnt vmcnt(0) lgkmcnt(0)
	v_perm_b32 v5, v6, v5, s14
.LBB1331_21:
	s_or_b64 exec, exec, s[20:21]
	s_add_u32 s14, s22, s18
	s_addc_u32 s15, s23, s19
	v_lshlrev_b64 v[0:1], 1, v[0:1]
	v_mov_b32_e32 v7, s15
	v_add_co_u32_e64 v6, s[14:15], s14, v0
	v_addc_co_u32_e64 v7, s[14:15], v7, v1, s[14:15]
	s_and_saveexec_b64 s[14:15], vcc
	s_cbranch_execnz .LBB1331_37
; %bb.22:
	s_or_b64 exec, exec, s[14:15]
	s_and_saveexec_b64 s[14:15], s[0:1]
	s_cbranch_execnz .LBB1331_38
.LBB1331_23:
	s_or_b64 exec, exec, s[14:15]
	s_mov_b32 s14, 0xffff
	s_and_saveexec_b64 s[0:1], s[2:3]
	s_cbranch_execz .LBB1331_25
.LBB1331_24:
	global_store_short v[6:7], v3, off offset:256
.LBB1331_25:
	s_or_b64 exec, exec, s[0:1]
	v_bfi_b32 v0, s14, v3, v3
	v_cndmask_b32_e64 v0, v0, v3, s[4:5]
	s_and_saveexec_b64 s[0:1], s[4:5]
	s_cbranch_execz .LBB1331_27
; %bb.26:
	global_store_short_d16_hi v[6:7], v0, off offset:384
.LBB1331_27:
	s_or_b64 exec, exec, s[0:1]
	s_mov_b32 s2, 0xffff
	v_cndmask_b32_e64 v0, v4, v4, s[6:7]
	s_and_saveexec_b64 s[0:1], s[6:7]
	s_cbranch_execz .LBB1331_29
; %bb.28:
	global_store_short v[6:7], v0, off offset:512
.LBB1331_29:
	s_or_b64 exec, exec, s[0:1]
	v_bfi_b32 v0, s2, v0, v4
	v_cndmask_b32_e64 v0, v0, v4, s[8:9]
	s_and_saveexec_b64 s[0:1], s[8:9]
	s_cbranch_execnz .LBB1331_39
; %bb.30:
	s_or_b64 exec, exec, s[0:1]
	s_and_saveexec_b64 s[0:1], s[10:11]
	s_cbranch_execnz .LBB1331_40
.LBB1331_31:
	s_or_b64 exec, exec, s[0:1]
                                        ; implicit-def: $vgpr1
	s_and_saveexec_b64 s[0:1], s[12:13]
.LBB1331_32:
	v_cndmask_b32_e64 v0, v5, v5, s[12:13]
	v_lshrrev_b32_e32 v1, 16, v0
	s_or_b64 s[16:17], s[16:17], exec
.LBB1331_33:
	s_or_b64 exec, exec, s[0:1]
.LBB1331_34:
	s_and_saveexec_b64 s[0:1], s[16:17]
	s_cbranch_execnz .LBB1331_36
; %bb.35:
	s_endpgm
.LBB1331_36:
	global_store_short v[6:7], v1, off offset:896
	s_endpgm
.LBB1331_37:
	s_waitcnt vmcnt(0) lgkmcnt(0)
	global_store_short v[6:7], v2, off
	s_or_b64 exec, exec, s[14:15]
	s_and_saveexec_b64 s[14:15], s[0:1]
	s_cbranch_execz .LBB1331_23
.LBB1331_38:
	s_waitcnt vmcnt(0) lgkmcnt(0)
	global_store_short_d16_hi v[6:7], v2, off offset:128
	s_or_b64 exec, exec, s[14:15]
	s_mov_b32 s14, 0xffff
	s_and_saveexec_b64 s[0:1], s[2:3]
	s_cbranch_execnz .LBB1331_24
	s_branch .LBB1331_25
.LBB1331_39:
	global_store_short_d16_hi v[6:7], v0, off offset:640
	s_or_b64 exec, exec, s[0:1]
	s_and_saveexec_b64 s[0:1], s[10:11]
	s_cbranch_execz .LBB1331_31
.LBB1331_40:
	v_cndmask_b32_e64 v0, v5, v5, s[10:11]
	global_store_short v[6:7], v0, off offset:768
	s_or_b64 exec, exec, s[0:1]
                                        ; implicit-def: $vgpr1
	s_and_saveexec_b64 s[0:1], s[12:13]
	s_cbranch_execnz .LBB1331_32
	s_branch .LBB1331_33
	.section	.rodata,"a",@progbits
	.p2align	6, 0x0
	.amdhsa_kernel _ZN7rocprim17ROCPRIM_400000_NS6detail17trampoline_kernelINS0_14default_configENS1_25transform_config_selectorItLb0EEEZNS1_14transform_implILb0ES3_S5_N6thrust23THRUST_200600_302600_NS6detail15normal_iteratorINS8_10device_ptrItEEEEPtNS0_8identityItEEEE10hipError_tT2_T3_mT4_P12ihipStream_tbEUlT_E_NS1_11comp_targetILNS1_3genE4ELNS1_11target_archE910ELNS1_3gpuE8ELNS1_3repE0EEENS1_30default_config_static_selectorELNS0_4arch9wavefront6targetE1EEEvT1_
		.amdhsa_group_segment_fixed_size 0
		.amdhsa_private_segment_fixed_size 0
		.amdhsa_kernarg_size 296
		.amdhsa_user_sgpr_count 6
		.amdhsa_user_sgpr_private_segment_buffer 1
		.amdhsa_user_sgpr_dispatch_ptr 0
		.amdhsa_user_sgpr_queue_ptr 0
		.amdhsa_user_sgpr_kernarg_segment_ptr 1
		.amdhsa_user_sgpr_dispatch_id 0
		.amdhsa_user_sgpr_flat_scratch_init 0
		.amdhsa_user_sgpr_kernarg_preload_length 0
		.amdhsa_user_sgpr_kernarg_preload_offset 0
		.amdhsa_user_sgpr_private_segment_size 0
		.amdhsa_uses_dynamic_stack 0
		.amdhsa_system_sgpr_private_segment_wavefront_offset 0
		.amdhsa_system_sgpr_workgroup_id_x 1
		.amdhsa_system_sgpr_workgroup_id_y 0
		.amdhsa_system_sgpr_workgroup_id_z 0
		.amdhsa_system_sgpr_workgroup_info 0
		.amdhsa_system_vgpr_workitem_id 0
		.amdhsa_next_free_vgpr 14
		.amdhsa_next_free_sgpr 26
		.amdhsa_accum_offset 16
		.amdhsa_reserve_vcc 1
		.amdhsa_reserve_flat_scratch 0
		.amdhsa_float_round_mode_32 0
		.amdhsa_float_round_mode_16_64 0
		.amdhsa_float_denorm_mode_32 3
		.amdhsa_float_denorm_mode_16_64 3
		.amdhsa_dx10_clamp 1
		.amdhsa_ieee_mode 1
		.amdhsa_fp16_overflow 0
		.amdhsa_tg_split 0
		.amdhsa_exception_fp_ieee_invalid_op 0
		.amdhsa_exception_fp_denorm_src 0
		.amdhsa_exception_fp_ieee_div_zero 0
		.amdhsa_exception_fp_ieee_overflow 0
		.amdhsa_exception_fp_ieee_underflow 0
		.amdhsa_exception_fp_ieee_inexact 0
		.amdhsa_exception_int_div_zero 0
	.end_amdhsa_kernel
	.section	.text._ZN7rocprim17ROCPRIM_400000_NS6detail17trampoline_kernelINS0_14default_configENS1_25transform_config_selectorItLb0EEEZNS1_14transform_implILb0ES3_S5_N6thrust23THRUST_200600_302600_NS6detail15normal_iteratorINS8_10device_ptrItEEEEPtNS0_8identityItEEEE10hipError_tT2_T3_mT4_P12ihipStream_tbEUlT_E_NS1_11comp_targetILNS1_3genE4ELNS1_11target_archE910ELNS1_3gpuE8ELNS1_3repE0EEENS1_30default_config_static_selectorELNS0_4arch9wavefront6targetE1EEEvT1_,"axG",@progbits,_ZN7rocprim17ROCPRIM_400000_NS6detail17trampoline_kernelINS0_14default_configENS1_25transform_config_selectorItLb0EEEZNS1_14transform_implILb0ES3_S5_N6thrust23THRUST_200600_302600_NS6detail15normal_iteratorINS8_10device_ptrItEEEEPtNS0_8identityItEEEE10hipError_tT2_T3_mT4_P12ihipStream_tbEUlT_E_NS1_11comp_targetILNS1_3genE4ELNS1_11target_archE910ELNS1_3gpuE8ELNS1_3repE0EEENS1_30default_config_static_selectorELNS0_4arch9wavefront6targetE1EEEvT1_,comdat
.Lfunc_end1331:
	.size	_ZN7rocprim17ROCPRIM_400000_NS6detail17trampoline_kernelINS0_14default_configENS1_25transform_config_selectorItLb0EEEZNS1_14transform_implILb0ES3_S5_N6thrust23THRUST_200600_302600_NS6detail15normal_iteratorINS8_10device_ptrItEEEEPtNS0_8identityItEEEE10hipError_tT2_T3_mT4_P12ihipStream_tbEUlT_E_NS1_11comp_targetILNS1_3genE4ELNS1_11target_archE910ELNS1_3gpuE8ELNS1_3repE0EEENS1_30default_config_static_selectorELNS0_4arch9wavefront6targetE1EEEvT1_, .Lfunc_end1331-_ZN7rocprim17ROCPRIM_400000_NS6detail17trampoline_kernelINS0_14default_configENS1_25transform_config_selectorItLb0EEEZNS1_14transform_implILb0ES3_S5_N6thrust23THRUST_200600_302600_NS6detail15normal_iteratorINS8_10device_ptrItEEEEPtNS0_8identityItEEEE10hipError_tT2_T3_mT4_P12ihipStream_tbEUlT_E_NS1_11comp_targetILNS1_3genE4ELNS1_11target_archE910ELNS1_3gpuE8ELNS1_3repE0EEENS1_30default_config_static_selectorELNS0_4arch9wavefront6targetE1EEEvT1_
                                        ; -- End function
	.section	.AMDGPU.csdata,"",@progbits
; Kernel info:
; codeLenInByte = 1208
; NumSgprs: 30
; NumVgprs: 14
; NumAgprs: 0
; TotalNumVgprs: 14
; ScratchSize: 0
; MemoryBound: 0
; FloatMode: 240
; IeeeMode: 1
; LDSByteSize: 0 bytes/workgroup (compile time only)
; SGPRBlocks: 3
; VGPRBlocks: 1
; NumSGPRsForWavesPerEU: 30
; NumVGPRsForWavesPerEU: 14
; AccumOffset: 16
; Occupancy: 8
; WaveLimiterHint : 1
; COMPUTE_PGM_RSRC2:SCRATCH_EN: 0
; COMPUTE_PGM_RSRC2:USER_SGPR: 6
; COMPUTE_PGM_RSRC2:TRAP_HANDLER: 0
; COMPUTE_PGM_RSRC2:TGID_X_EN: 1
; COMPUTE_PGM_RSRC2:TGID_Y_EN: 0
; COMPUTE_PGM_RSRC2:TGID_Z_EN: 0
; COMPUTE_PGM_RSRC2:TIDIG_COMP_CNT: 0
; COMPUTE_PGM_RSRC3_GFX90A:ACCUM_OFFSET: 3
; COMPUTE_PGM_RSRC3_GFX90A:TG_SPLIT: 0
	.section	.text._ZN7rocprim17ROCPRIM_400000_NS6detail17trampoline_kernelINS0_14default_configENS1_25transform_config_selectorItLb0EEEZNS1_14transform_implILb0ES3_S5_N6thrust23THRUST_200600_302600_NS6detail15normal_iteratorINS8_10device_ptrItEEEEPtNS0_8identityItEEEE10hipError_tT2_T3_mT4_P12ihipStream_tbEUlT_E_NS1_11comp_targetILNS1_3genE3ELNS1_11target_archE908ELNS1_3gpuE7ELNS1_3repE0EEENS1_30default_config_static_selectorELNS0_4arch9wavefront6targetE1EEEvT1_,"axG",@progbits,_ZN7rocprim17ROCPRIM_400000_NS6detail17trampoline_kernelINS0_14default_configENS1_25transform_config_selectorItLb0EEEZNS1_14transform_implILb0ES3_S5_N6thrust23THRUST_200600_302600_NS6detail15normal_iteratorINS8_10device_ptrItEEEEPtNS0_8identityItEEEE10hipError_tT2_T3_mT4_P12ihipStream_tbEUlT_E_NS1_11comp_targetILNS1_3genE3ELNS1_11target_archE908ELNS1_3gpuE7ELNS1_3repE0EEENS1_30default_config_static_selectorELNS0_4arch9wavefront6targetE1EEEvT1_,comdat
	.protected	_ZN7rocprim17ROCPRIM_400000_NS6detail17trampoline_kernelINS0_14default_configENS1_25transform_config_selectorItLb0EEEZNS1_14transform_implILb0ES3_S5_N6thrust23THRUST_200600_302600_NS6detail15normal_iteratorINS8_10device_ptrItEEEEPtNS0_8identityItEEEE10hipError_tT2_T3_mT4_P12ihipStream_tbEUlT_E_NS1_11comp_targetILNS1_3genE3ELNS1_11target_archE908ELNS1_3gpuE7ELNS1_3repE0EEENS1_30default_config_static_selectorELNS0_4arch9wavefront6targetE1EEEvT1_ ; -- Begin function _ZN7rocprim17ROCPRIM_400000_NS6detail17trampoline_kernelINS0_14default_configENS1_25transform_config_selectorItLb0EEEZNS1_14transform_implILb0ES3_S5_N6thrust23THRUST_200600_302600_NS6detail15normal_iteratorINS8_10device_ptrItEEEEPtNS0_8identityItEEEE10hipError_tT2_T3_mT4_P12ihipStream_tbEUlT_E_NS1_11comp_targetILNS1_3genE3ELNS1_11target_archE908ELNS1_3gpuE7ELNS1_3repE0EEENS1_30default_config_static_selectorELNS0_4arch9wavefront6targetE1EEEvT1_
	.globl	_ZN7rocprim17ROCPRIM_400000_NS6detail17trampoline_kernelINS0_14default_configENS1_25transform_config_selectorItLb0EEEZNS1_14transform_implILb0ES3_S5_N6thrust23THRUST_200600_302600_NS6detail15normal_iteratorINS8_10device_ptrItEEEEPtNS0_8identityItEEEE10hipError_tT2_T3_mT4_P12ihipStream_tbEUlT_E_NS1_11comp_targetILNS1_3genE3ELNS1_11target_archE908ELNS1_3gpuE7ELNS1_3repE0EEENS1_30default_config_static_selectorELNS0_4arch9wavefront6targetE1EEEvT1_
	.p2align	8
	.type	_ZN7rocprim17ROCPRIM_400000_NS6detail17trampoline_kernelINS0_14default_configENS1_25transform_config_selectorItLb0EEEZNS1_14transform_implILb0ES3_S5_N6thrust23THRUST_200600_302600_NS6detail15normal_iteratorINS8_10device_ptrItEEEEPtNS0_8identityItEEEE10hipError_tT2_T3_mT4_P12ihipStream_tbEUlT_E_NS1_11comp_targetILNS1_3genE3ELNS1_11target_archE908ELNS1_3gpuE7ELNS1_3repE0EEENS1_30default_config_static_selectorELNS0_4arch9wavefront6targetE1EEEvT1_,@function
_ZN7rocprim17ROCPRIM_400000_NS6detail17trampoline_kernelINS0_14default_configENS1_25transform_config_selectorItLb0EEEZNS1_14transform_implILb0ES3_S5_N6thrust23THRUST_200600_302600_NS6detail15normal_iteratorINS8_10device_ptrItEEEEPtNS0_8identityItEEEE10hipError_tT2_T3_mT4_P12ihipStream_tbEUlT_E_NS1_11comp_targetILNS1_3genE3ELNS1_11target_archE908ELNS1_3gpuE7ELNS1_3repE0EEENS1_30default_config_static_selectorELNS0_4arch9wavefront6targetE1EEEvT1_: ; @_ZN7rocprim17ROCPRIM_400000_NS6detail17trampoline_kernelINS0_14default_configENS1_25transform_config_selectorItLb0EEEZNS1_14transform_implILb0ES3_S5_N6thrust23THRUST_200600_302600_NS6detail15normal_iteratorINS8_10device_ptrItEEEEPtNS0_8identityItEEEE10hipError_tT2_T3_mT4_P12ihipStream_tbEUlT_E_NS1_11comp_targetILNS1_3genE3ELNS1_11target_archE908ELNS1_3gpuE7ELNS1_3repE0EEENS1_30default_config_static_selectorELNS0_4arch9wavefront6targetE1EEEvT1_
; %bb.0:
	.section	.rodata,"a",@progbits
	.p2align	6, 0x0
	.amdhsa_kernel _ZN7rocprim17ROCPRIM_400000_NS6detail17trampoline_kernelINS0_14default_configENS1_25transform_config_selectorItLb0EEEZNS1_14transform_implILb0ES3_S5_N6thrust23THRUST_200600_302600_NS6detail15normal_iteratorINS8_10device_ptrItEEEEPtNS0_8identityItEEEE10hipError_tT2_T3_mT4_P12ihipStream_tbEUlT_E_NS1_11comp_targetILNS1_3genE3ELNS1_11target_archE908ELNS1_3gpuE7ELNS1_3repE0EEENS1_30default_config_static_selectorELNS0_4arch9wavefront6targetE1EEEvT1_
		.amdhsa_group_segment_fixed_size 0
		.amdhsa_private_segment_fixed_size 0
		.amdhsa_kernarg_size 40
		.amdhsa_user_sgpr_count 6
		.amdhsa_user_sgpr_private_segment_buffer 1
		.amdhsa_user_sgpr_dispatch_ptr 0
		.amdhsa_user_sgpr_queue_ptr 0
		.amdhsa_user_sgpr_kernarg_segment_ptr 1
		.amdhsa_user_sgpr_dispatch_id 0
		.amdhsa_user_sgpr_flat_scratch_init 0
		.amdhsa_user_sgpr_kernarg_preload_length 0
		.amdhsa_user_sgpr_kernarg_preload_offset 0
		.amdhsa_user_sgpr_private_segment_size 0
		.amdhsa_uses_dynamic_stack 0
		.amdhsa_system_sgpr_private_segment_wavefront_offset 0
		.amdhsa_system_sgpr_workgroup_id_x 1
		.amdhsa_system_sgpr_workgroup_id_y 0
		.amdhsa_system_sgpr_workgroup_id_z 0
		.amdhsa_system_sgpr_workgroup_info 0
		.amdhsa_system_vgpr_workitem_id 0
		.amdhsa_next_free_vgpr 1
		.amdhsa_next_free_sgpr 0
		.amdhsa_accum_offset 4
		.amdhsa_reserve_vcc 0
		.amdhsa_reserve_flat_scratch 0
		.amdhsa_float_round_mode_32 0
		.amdhsa_float_round_mode_16_64 0
		.amdhsa_float_denorm_mode_32 3
		.amdhsa_float_denorm_mode_16_64 3
		.amdhsa_dx10_clamp 1
		.amdhsa_ieee_mode 1
		.amdhsa_fp16_overflow 0
		.amdhsa_tg_split 0
		.amdhsa_exception_fp_ieee_invalid_op 0
		.amdhsa_exception_fp_denorm_src 0
		.amdhsa_exception_fp_ieee_div_zero 0
		.amdhsa_exception_fp_ieee_overflow 0
		.amdhsa_exception_fp_ieee_underflow 0
		.amdhsa_exception_fp_ieee_inexact 0
		.amdhsa_exception_int_div_zero 0
	.end_amdhsa_kernel
	.section	.text._ZN7rocprim17ROCPRIM_400000_NS6detail17trampoline_kernelINS0_14default_configENS1_25transform_config_selectorItLb0EEEZNS1_14transform_implILb0ES3_S5_N6thrust23THRUST_200600_302600_NS6detail15normal_iteratorINS8_10device_ptrItEEEEPtNS0_8identityItEEEE10hipError_tT2_T3_mT4_P12ihipStream_tbEUlT_E_NS1_11comp_targetILNS1_3genE3ELNS1_11target_archE908ELNS1_3gpuE7ELNS1_3repE0EEENS1_30default_config_static_selectorELNS0_4arch9wavefront6targetE1EEEvT1_,"axG",@progbits,_ZN7rocprim17ROCPRIM_400000_NS6detail17trampoline_kernelINS0_14default_configENS1_25transform_config_selectorItLb0EEEZNS1_14transform_implILb0ES3_S5_N6thrust23THRUST_200600_302600_NS6detail15normal_iteratorINS8_10device_ptrItEEEEPtNS0_8identityItEEEE10hipError_tT2_T3_mT4_P12ihipStream_tbEUlT_E_NS1_11comp_targetILNS1_3genE3ELNS1_11target_archE908ELNS1_3gpuE7ELNS1_3repE0EEENS1_30default_config_static_selectorELNS0_4arch9wavefront6targetE1EEEvT1_,comdat
.Lfunc_end1332:
	.size	_ZN7rocprim17ROCPRIM_400000_NS6detail17trampoline_kernelINS0_14default_configENS1_25transform_config_selectorItLb0EEEZNS1_14transform_implILb0ES3_S5_N6thrust23THRUST_200600_302600_NS6detail15normal_iteratorINS8_10device_ptrItEEEEPtNS0_8identityItEEEE10hipError_tT2_T3_mT4_P12ihipStream_tbEUlT_E_NS1_11comp_targetILNS1_3genE3ELNS1_11target_archE908ELNS1_3gpuE7ELNS1_3repE0EEENS1_30default_config_static_selectorELNS0_4arch9wavefront6targetE1EEEvT1_, .Lfunc_end1332-_ZN7rocprim17ROCPRIM_400000_NS6detail17trampoline_kernelINS0_14default_configENS1_25transform_config_selectorItLb0EEEZNS1_14transform_implILb0ES3_S5_N6thrust23THRUST_200600_302600_NS6detail15normal_iteratorINS8_10device_ptrItEEEEPtNS0_8identityItEEEE10hipError_tT2_T3_mT4_P12ihipStream_tbEUlT_E_NS1_11comp_targetILNS1_3genE3ELNS1_11target_archE908ELNS1_3gpuE7ELNS1_3repE0EEENS1_30default_config_static_selectorELNS0_4arch9wavefront6targetE1EEEvT1_
                                        ; -- End function
	.section	.AMDGPU.csdata,"",@progbits
; Kernel info:
; codeLenInByte = 0
; NumSgprs: 4
; NumVgprs: 0
; NumAgprs: 0
; TotalNumVgprs: 0
; ScratchSize: 0
; MemoryBound: 0
; FloatMode: 240
; IeeeMode: 1
; LDSByteSize: 0 bytes/workgroup (compile time only)
; SGPRBlocks: 0
; VGPRBlocks: 0
; NumSGPRsForWavesPerEU: 4
; NumVGPRsForWavesPerEU: 1
; AccumOffset: 4
; Occupancy: 8
; WaveLimiterHint : 0
; COMPUTE_PGM_RSRC2:SCRATCH_EN: 0
; COMPUTE_PGM_RSRC2:USER_SGPR: 6
; COMPUTE_PGM_RSRC2:TRAP_HANDLER: 0
; COMPUTE_PGM_RSRC2:TGID_X_EN: 1
; COMPUTE_PGM_RSRC2:TGID_Y_EN: 0
; COMPUTE_PGM_RSRC2:TGID_Z_EN: 0
; COMPUTE_PGM_RSRC2:TIDIG_COMP_CNT: 0
; COMPUTE_PGM_RSRC3_GFX90A:ACCUM_OFFSET: 0
; COMPUTE_PGM_RSRC3_GFX90A:TG_SPLIT: 0
	.section	.text._ZN7rocprim17ROCPRIM_400000_NS6detail17trampoline_kernelINS0_14default_configENS1_25transform_config_selectorItLb0EEEZNS1_14transform_implILb0ES3_S5_N6thrust23THRUST_200600_302600_NS6detail15normal_iteratorINS8_10device_ptrItEEEEPtNS0_8identityItEEEE10hipError_tT2_T3_mT4_P12ihipStream_tbEUlT_E_NS1_11comp_targetILNS1_3genE2ELNS1_11target_archE906ELNS1_3gpuE6ELNS1_3repE0EEENS1_30default_config_static_selectorELNS0_4arch9wavefront6targetE1EEEvT1_,"axG",@progbits,_ZN7rocprim17ROCPRIM_400000_NS6detail17trampoline_kernelINS0_14default_configENS1_25transform_config_selectorItLb0EEEZNS1_14transform_implILb0ES3_S5_N6thrust23THRUST_200600_302600_NS6detail15normal_iteratorINS8_10device_ptrItEEEEPtNS0_8identityItEEEE10hipError_tT2_T3_mT4_P12ihipStream_tbEUlT_E_NS1_11comp_targetILNS1_3genE2ELNS1_11target_archE906ELNS1_3gpuE6ELNS1_3repE0EEENS1_30default_config_static_selectorELNS0_4arch9wavefront6targetE1EEEvT1_,comdat
	.protected	_ZN7rocprim17ROCPRIM_400000_NS6detail17trampoline_kernelINS0_14default_configENS1_25transform_config_selectorItLb0EEEZNS1_14transform_implILb0ES3_S5_N6thrust23THRUST_200600_302600_NS6detail15normal_iteratorINS8_10device_ptrItEEEEPtNS0_8identityItEEEE10hipError_tT2_T3_mT4_P12ihipStream_tbEUlT_E_NS1_11comp_targetILNS1_3genE2ELNS1_11target_archE906ELNS1_3gpuE6ELNS1_3repE0EEENS1_30default_config_static_selectorELNS0_4arch9wavefront6targetE1EEEvT1_ ; -- Begin function _ZN7rocprim17ROCPRIM_400000_NS6detail17trampoline_kernelINS0_14default_configENS1_25transform_config_selectorItLb0EEEZNS1_14transform_implILb0ES3_S5_N6thrust23THRUST_200600_302600_NS6detail15normal_iteratorINS8_10device_ptrItEEEEPtNS0_8identityItEEEE10hipError_tT2_T3_mT4_P12ihipStream_tbEUlT_E_NS1_11comp_targetILNS1_3genE2ELNS1_11target_archE906ELNS1_3gpuE6ELNS1_3repE0EEENS1_30default_config_static_selectorELNS0_4arch9wavefront6targetE1EEEvT1_
	.globl	_ZN7rocprim17ROCPRIM_400000_NS6detail17trampoline_kernelINS0_14default_configENS1_25transform_config_selectorItLb0EEEZNS1_14transform_implILb0ES3_S5_N6thrust23THRUST_200600_302600_NS6detail15normal_iteratorINS8_10device_ptrItEEEEPtNS0_8identityItEEEE10hipError_tT2_T3_mT4_P12ihipStream_tbEUlT_E_NS1_11comp_targetILNS1_3genE2ELNS1_11target_archE906ELNS1_3gpuE6ELNS1_3repE0EEENS1_30default_config_static_selectorELNS0_4arch9wavefront6targetE1EEEvT1_
	.p2align	8
	.type	_ZN7rocprim17ROCPRIM_400000_NS6detail17trampoline_kernelINS0_14default_configENS1_25transform_config_selectorItLb0EEEZNS1_14transform_implILb0ES3_S5_N6thrust23THRUST_200600_302600_NS6detail15normal_iteratorINS8_10device_ptrItEEEEPtNS0_8identityItEEEE10hipError_tT2_T3_mT4_P12ihipStream_tbEUlT_E_NS1_11comp_targetILNS1_3genE2ELNS1_11target_archE906ELNS1_3gpuE6ELNS1_3repE0EEENS1_30default_config_static_selectorELNS0_4arch9wavefront6targetE1EEEvT1_,@function
_ZN7rocprim17ROCPRIM_400000_NS6detail17trampoline_kernelINS0_14default_configENS1_25transform_config_selectorItLb0EEEZNS1_14transform_implILb0ES3_S5_N6thrust23THRUST_200600_302600_NS6detail15normal_iteratorINS8_10device_ptrItEEEEPtNS0_8identityItEEEE10hipError_tT2_T3_mT4_P12ihipStream_tbEUlT_E_NS1_11comp_targetILNS1_3genE2ELNS1_11target_archE906ELNS1_3gpuE6ELNS1_3repE0EEENS1_30default_config_static_selectorELNS0_4arch9wavefront6targetE1EEEvT1_: ; @_ZN7rocprim17ROCPRIM_400000_NS6detail17trampoline_kernelINS0_14default_configENS1_25transform_config_selectorItLb0EEEZNS1_14transform_implILb0ES3_S5_N6thrust23THRUST_200600_302600_NS6detail15normal_iteratorINS8_10device_ptrItEEEEPtNS0_8identityItEEEE10hipError_tT2_T3_mT4_P12ihipStream_tbEUlT_E_NS1_11comp_targetILNS1_3genE2ELNS1_11target_archE906ELNS1_3gpuE6ELNS1_3repE0EEENS1_30default_config_static_selectorELNS0_4arch9wavefront6targetE1EEEvT1_
; %bb.0:
	.section	.rodata,"a",@progbits
	.p2align	6, 0x0
	.amdhsa_kernel _ZN7rocprim17ROCPRIM_400000_NS6detail17trampoline_kernelINS0_14default_configENS1_25transform_config_selectorItLb0EEEZNS1_14transform_implILb0ES3_S5_N6thrust23THRUST_200600_302600_NS6detail15normal_iteratorINS8_10device_ptrItEEEEPtNS0_8identityItEEEE10hipError_tT2_T3_mT4_P12ihipStream_tbEUlT_E_NS1_11comp_targetILNS1_3genE2ELNS1_11target_archE906ELNS1_3gpuE6ELNS1_3repE0EEENS1_30default_config_static_selectorELNS0_4arch9wavefront6targetE1EEEvT1_
		.amdhsa_group_segment_fixed_size 0
		.amdhsa_private_segment_fixed_size 0
		.amdhsa_kernarg_size 40
		.amdhsa_user_sgpr_count 6
		.amdhsa_user_sgpr_private_segment_buffer 1
		.amdhsa_user_sgpr_dispatch_ptr 0
		.amdhsa_user_sgpr_queue_ptr 0
		.amdhsa_user_sgpr_kernarg_segment_ptr 1
		.amdhsa_user_sgpr_dispatch_id 0
		.amdhsa_user_sgpr_flat_scratch_init 0
		.amdhsa_user_sgpr_kernarg_preload_length 0
		.amdhsa_user_sgpr_kernarg_preload_offset 0
		.amdhsa_user_sgpr_private_segment_size 0
		.amdhsa_uses_dynamic_stack 0
		.amdhsa_system_sgpr_private_segment_wavefront_offset 0
		.amdhsa_system_sgpr_workgroup_id_x 1
		.amdhsa_system_sgpr_workgroup_id_y 0
		.amdhsa_system_sgpr_workgroup_id_z 0
		.amdhsa_system_sgpr_workgroup_info 0
		.amdhsa_system_vgpr_workitem_id 0
		.amdhsa_next_free_vgpr 1
		.amdhsa_next_free_sgpr 0
		.amdhsa_accum_offset 4
		.amdhsa_reserve_vcc 0
		.amdhsa_reserve_flat_scratch 0
		.amdhsa_float_round_mode_32 0
		.amdhsa_float_round_mode_16_64 0
		.amdhsa_float_denorm_mode_32 3
		.amdhsa_float_denorm_mode_16_64 3
		.amdhsa_dx10_clamp 1
		.amdhsa_ieee_mode 1
		.amdhsa_fp16_overflow 0
		.amdhsa_tg_split 0
		.amdhsa_exception_fp_ieee_invalid_op 0
		.amdhsa_exception_fp_denorm_src 0
		.amdhsa_exception_fp_ieee_div_zero 0
		.amdhsa_exception_fp_ieee_overflow 0
		.amdhsa_exception_fp_ieee_underflow 0
		.amdhsa_exception_fp_ieee_inexact 0
		.amdhsa_exception_int_div_zero 0
	.end_amdhsa_kernel
	.section	.text._ZN7rocprim17ROCPRIM_400000_NS6detail17trampoline_kernelINS0_14default_configENS1_25transform_config_selectorItLb0EEEZNS1_14transform_implILb0ES3_S5_N6thrust23THRUST_200600_302600_NS6detail15normal_iteratorINS8_10device_ptrItEEEEPtNS0_8identityItEEEE10hipError_tT2_T3_mT4_P12ihipStream_tbEUlT_E_NS1_11comp_targetILNS1_3genE2ELNS1_11target_archE906ELNS1_3gpuE6ELNS1_3repE0EEENS1_30default_config_static_selectorELNS0_4arch9wavefront6targetE1EEEvT1_,"axG",@progbits,_ZN7rocprim17ROCPRIM_400000_NS6detail17trampoline_kernelINS0_14default_configENS1_25transform_config_selectorItLb0EEEZNS1_14transform_implILb0ES3_S5_N6thrust23THRUST_200600_302600_NS6detail15normal_iteratorINS8_10device_ptrItEEEEPtNS0_8identityItEEEE10hipError_tT2_T3_mT4_P12ihipStream_tbEUlT_E_NS1_11comp_targetILNS1_3genE2ELNS1_11target_archE906ELNS1_3gpuE6ELNS1_3repE0EEENS1_30default_config_static_selectorELNS0_4arch9wavefront6targetE1EEEvT1_,comdat
.Lfunc_end1333:
	.size	_ZN7rocprim17ROCPRIM_400000_NS6detail17trampoline_kernelINS0_14default_configENS1_25transform_config_selectorItLb0EEEZNS1_14transform_implILb0ES3_S5_N6thrust23THRUST_200600_302600_NS6detail15normal_iteratorINS8_10device_ptrItEEEEPtNS0_8identityItEEEE10hipError_tT2_T3_mT4_P12ihipStream_tbEUlT_E_NS1_11comp_targetILNS1_3genE2ELNS1_11target_archE906ELNS1_3gpuE6ELNS1_3repE0EEENS1_30default_config_static_selectorELNS0_4arch9wavefront6targetE1EEEvT1_, .Lfunc_end1333-_ZN7rocprim17ROCPRIM_400000_NS6detail17trampoline_kernelINS0_14default_configENS1_25transform_config_selectorItLb0EEEZNS1_14transform_implILb0ES3_S5_N6thrust23THRUST_200600_302600_NS6detail15normal_iteratorINS8_10device_ptrItEEEEPtNS0_8identityItEEEE10hipError_tT2_T3_mT4_P12ihipStream_tbEUlT_E_NS1_11comp_targetILNS1_3genE2ELNS1_11target_archE906ELNS1_3gpuE6ELNS1_3repE0EEENS1_30default_config_static_selectorELNS0_4arch9wavefront6targetE1EEEvT1_
                                        ; -- End function
	.section	.AMDGPU.csdata,"",@progbits
; Kernel info:
; codeLenInByte = 0
; NumSgprs: 4
; NumVgprs: 0
; NumAgprs: 0
; TotalNumVgprs: 0
; ScratchSize: 0
; MemoryBound: 0
; FloatMode: 240
; IeeeMode: 1
; LDSByteSize: 0 bytes/workgroup (compile time only)
; SGPRBlocks: 0
; VGPRBlocks: 0
; NumSGPRsForWavesPerEU: 4
; NumVGPRsForWavesPerEU: 1
; AccumOffset: 4
; Occupancy: 8
; WaveLimiterHint : 0
; COMPUTE_PGM_RSRC2:SCRATCH_EN: 0
; COMPUTE_PGM_RSRC2:USER_SGPR: 6
; COMPUTE_PGM_RSRC2:TRAP_HANDLER: 0
; COMPUTE_PGM_RSRC2:TGID_X_EN: 1
; COMPUTE_PGM_RSRC2:TGID_Y_EN: 0
; COMPUTE_PGM_RSRC2:TGID_Z_EN: 0
; COMPUTE_PGM_RSRC2:TIDIG_COMP_CNT: 0
; COMPUTE_PGM_RSRC3_GFX90A:ACCUM_OFFSET: 0
; COMPUTE_PGM_RSRC3_GFX90A:TG_SPLIT: 0
	.section	.text._ZN7rocprim17ROCPRIM_400000_NS6detail17trampoline_kernelINS0_14default_configENS1_25transform_config_selectorItLb0EEEZNS1_14transform_implILb0ES3_S5_N6thrust23THRUST_200600_302600_NS6detail15normal_iteratorINS8_10device_ptrItEEEEPtNS0_8identityItEEEE10hipError_tT2_T3_mT4_P12ihipStream_tbEUlT_E_NS1_11comp_targetILNS1_3genE10ELNS1_11target_archE1201ELNS1_3gpuE5ELNS1_3repE0EEENS1_30default_config_static_selectorELNS0_4arch9wavefront6targetE1EEEvT1_,"axG",@progbits,_ZN7rocprim17ROCPRIM_400000_NS6detail17trampoline_kernelINS0_14default_configENS1_25transform_config_selectorItLb0EEEZNS1_14transform_implILb0ES3_S5_N6thrust23THRUST_200600_302600_NS6detail15normal_iteratorINS8_10device_ptrItEEEEPtNS0_8identityItEEEE10hipError_tT2_T3_mT4_P12ihipStream_tbEUlT_E_NS1_11comp_targetILNS1_3genE10ELNS1_11target_archE1201ELNS1_3gpuE5ELNS1_3repE0EEENS1_30default_config_static_selectorELNS0_4arch9wavefront6targetE1EEEvT1_,comdat
	.protected	_ZN7rocprim17ROCPRIM_400000_NS6detail17trampoline_kernelINS0_14default_configENS1_25transform_config_selectorItLb0EEEZNS1_14transform_implILb0ES3_S5_N6thrust23THRUST_200600_302600_NS6detail15normal_iteratorINS8_10device_ptrItEEEEPtNS0_8identityItEEEE10hipError_tT2_T3_mT4_P12ihipStream_tbEUlT_E_NS1_11comp_targetILNS1_3genE10ELNS1_11target_archE1201ELNS1_3gpuE5ELNS1_3repE0EEENS1_30default_config_static_selectorELNS0_4arch9wavefront6targetE1EEEvT1_ ; -- Begin function _ZN7rocprim17ROCPRIM_400000_NS6detail17trampoline_kernelINS0_14default_configENS1_25transform_config_selectorItLb0EEEZNS1_14transform_implILb0ES3_S5_N6thrust23THRUST_200600_302600_NS6detail15normal_iteratorINS8_10device_ptrItEEEEPtNS0_8identityItEEEE10hipError_tT2_T3_mT4_P12ihipStream_tbEUlT_E_NS1_11comp_targetILNS1_3genE10ELNS1_11target_archE1201ELNS1_3gpuE5ELNS1_3repE0EEENS1_30default_config_static_selectorELNS0_4arch9wavefront6targetE1EEEvT1_
	.globl	_ZN7rocprim17ROCPRIM_400000_NS6detail17trampoline_kernelINS0_14default_configENS1_25transform_config_selectorItLb0EEEZNS1_14transform_implILb0ES3_S5_N6thrust23THRUST_200600_302600_NS6detail15normal_iteratorINS8_10device_ptrItEEEEPtNS0_8identityItEEEE10hipError_tT2_T3_mT4_P12ihipStream_tbEUlT_E_NS1_11comp_targetILNS1_3genE10ELNS1_11target_archE1201ELNS1_3gpuE5ELNS1_3repE0EEENS1_30default_config_static_selectorELNS0_4arch9wavefront6targetE1EEEvT1_
	.p2align	8
	.type	_ZN7rocprim17ROCPRIM_400000_NS6detail17trampoline_kernelINS0_14default_configENS1_25transform_config_selectorItLb0EEEZNS1_14transform_implILb0ES3_S5_N6thrust23THRUST_200600_302600_NS6detail15normal_iteratorINS8_10device_ptrItEEEEPtNS0_8identityItEEEE10hipError_tT2_T3_mT4_P12ihipStream_tbEUlT_E_NS1_11comp_targetILNS1_3genE10ELNS1_11target_archE1201ELNS1_3gpuE5ELNS1_3repE0EEENS1_30default_config_static_selectorELNS0_4arch9wavefront6targetE1EEEvT1_,@function
_ZN7rocprim17ROCPRIM_400000_NS6detail17trampoline_kernelINS0_14default_configENS1_25transform_config_selectorItLb0EEEZNS1_14transform_implILb0ES3_S5_N6thrust23THRUST_200600_302600_NS6detail15normal_iteratorINS8_10device_ptrItEEEEPtNS0_8identityItEEEE10hipError_tT2_T3_mT4_P12ihipStream_tbEUlT_E_NS1_11comp_targetILNS1_3genE10ELNS1_11target_archE1201ELNS1_3gpuE5ELNS1_3repE0EEENS1_30default_config_static_selectorELNS0_4arch9wavefront6targetE1EEEvT1_: ; @_ZN7rocprim17ROCPRIM_400000_NS6detail17trampoline_kernelINS0_14default_configENS1_25transform_config_selectorItLb0EEEZNS1_14transform_implILb0ES3_S5_N6thrust23THRUST_200600_302600_NS6detail15normal_iteratorINS8_10device_ptrItEEEEPtNS0_8identityItEEEE10hipError_tT2_T3_mT4_P12ihipStream_tbEUlT_E_NS1_11comp_targetILNS1_3genE10ELNS1_11target_archE1201ELNS1_3gpuE5ELNS1_3repE0EEENS1_30default_config_static_selectorELNS0_4arch9wavefront6targetE1EEEvT1_
; %bb.0:
	.section	.rodata,"a",@progbits
	.p2align	6, 0x0
	.amdhsa_kernel _ZN7rocprim17ROCPRIM_400000_NS6detail17trampoline_kernelINS0_14default_configENS1_25transform_config_selectorItLb0EEEZNS1_14transform_implILb0ES3_S5_N6thrust23THRUST_200600_302600_NS6detail15normal_iteratorINS8_10device_ptrItEEEEPtNS0_8identityItEEEE10hipError_tT2_T3_mT4_P12ihipStream_tbEUlT_E_NS1_11comp_targetILNS1_3genE10ELNS1_11target_archE1201ELNS1_3gpuE5ELNS1_3repE0EEENS1_30default_config_static_selectorELNS0_4arch9wavefront6targetE1EEEvT1_
		.amdhsa_group_segment_fixed_size 0
		.amdhsa_private_segment_fixed_size 0
		.amdhsa_kernarg_size 40
		.amdhsa_user_sgpr_count 6
		.amdhsa_user_sgpr_private_segment_buffer 1
		.amdhsa_user_sgpr_dispatch_ptr 0
		.amdhsa_user_sgpr_queue_ptr 0
		.amdhsa_user_sgpr_kernarg_segment_ptr 1
		.amdhsa_user_sgpr_dispatch_id 0
		.amdhsa_user_sgpr_flat_scratch_init 0
		.amdhsa_user_sgpr_kernarg_preload_length 0
		.amdhsa_user_sgpr_kernarg_preload_offset 0
		.amdhsa_user_sgpr_private_segment_size 0
		.amdhsa_uses_dynamic_stack 0
		.amdhsa_system_sgpr_private_segment_wavefront_offset 0
		.amdhsa_system_sgpr_workgroup_id_x 1
		.amdhsa_system_sgpr_workgroup_id_y 0
		.amdhsa_system_sgpr_workgroup_id_z 0
		.amdhsa_system_sgpr_workgroup_info 0
		.amdhsa_system_vgpr_workitem_id 0
		.amdhsa_next_free_vgpr 1
		.amdhsa_next_free_sgpr 0
		.amdhsa_accum_offset 4
		.amdhsa_reserve_vcc 0
		.amdhsa_reserve_flat_scratch 0
		.amdhsa_float_round_mode_32 0
		.amdhsa_float_round_mode_16_64 0
		.amdhsa_float_denorm_mode_32 3
		.amdhsa_float_denorm_mode_16_64 3
		.amdhsa_dx10_clamp 1
		.amdhsa_ieee_mode 1
		.amdhsa_fp16_overflow 0
		.amdhsa_tg_split 0
		.amdhsa_exception_fp_ieee_invalid_op 0
		.amdhsa_exception_fp_denorm_src 0
		.amdhsa_exception_fp_ieee_div_zero 0
		.amdhsa_exception_fp_ieee_overflow 0
		.amdhsa_exception_fp_ieee_underflow 0
		.amdhsa_exception_fp_ieee_inexact 0
		.amdhsa_exception_int_div_zero 0
	.end_amdhsa_kernel
	.section	.text._ZN7rocprim17ROCPRIM_400000_NS6detail17trampoline_kernelINS0_14default_configENS1_25transform_config_selectorItLb0EEEZNS1_14transform_implILb0ES3_S5_N6thrust23THRUST_200600_302600_NS6detail15normal_iteratorINS8_10device_ptrItEEEEPtNS0_8identityItEEEE10hipError_tT2_T3_mT4_P12ihipStream_tbEUlT_E_NS1_11comp_targetILNS1_3genE10ELNS1_11target_archE1201ELNS1_3gpuE5ELNS1_3repE0EEENS1_30default_config_static_selectorELNS0_4arch9wavefront6targetE1EEEvT1_,"axG",@progbits,_ZN7rocprim17ROCPRIM_400000_NS6detail17trampoline_kernelINS0_14default_configENS1_25transform_config_selectorItLb0EEEZNS1_14transform_implILb0ES3_S5_N6thrust23THRUST_200600_302600_NS6detail15normal_iteratorINS8_10device_ptrItEEEEPtNS0_8identityItEEEE10hipError_tT2_T3_mT4_P12ihipStream_tbEUlT_E_NS1_11comp_targetILNS1_3genE10ELNS1_11target_archE1201ELNS1_3gpuE5ELNS1_3repE0EEENS1_30default_config_static_selectorELNS0_4arch9wavefront6targetE1EEEvT1_,comdat
.Lfunc_end1334:
	.size	_ZN7rocprim17ROCPRIM_400000_NS6detail17trampoline_kernelINS0_14default_configENS1_25transform_config_selectorItLb0EEEZNS1_14transform_implILb0ES3_S5_N6thrust23THRUST_200600_302600_NS6detail15normal_iteratorINS8_10device_ptrItEEEEPtNS0_8identityItEEEE10hipError_tT2_T3_mT4_P12ihipStream_tbEUlT_E_NS1_11comp_targetILNS1_3genE10ELNS1_11target_archE1201ELNS1_3gpuE5ELNS1_3repE0EEENS1_30default_config_static_selectorELNS0_4arch9wavefront6targetE1EEEvT1_, .Lfunc_end1334-_ZN7rocprim17ROCPRIM_400000_NS6detail17trampoline_kernelINS0_14default_configENS1_25transform_config_selectorItLb0EEEZNS1_14transform_implILb0ES3_S5_N6thrust23THRUST_200600_302600_NS6detail15normal_iteratorINS8_10device_ptrItEEEEPtNS0_8identityItEEEE10hipError_tT2_T3_mT4_P12ihipStream_tbEUlT_E_NS1_11comp_targetILNS1_3genE10ELNS1_11target_archE1201ELNS1_3gpuE5ELNS1_3repE0EEENS1_30default_config_static_selectorELNS0_4arch9wavefront6targetE1EEEvT1_
                                        ; -- End function
	.section	.AMDGPU.csdata,"",@progbits
; Kernel info:
; codeLenInByte = 0
; NumSgprs: 4
; NumVgprs: 0
; NumAgprs: 0
; TotalNumVgprs: 0
; ScratchSize: 0
; MemoryBound: 0
; FloatMode: 240
; IeeeMode: 1
; LDSByteSize: 0 bytes/workgroup (compile time only)
; SGPRBlocks: 0
; VGPRBlocks: 0
; NumSGPRsForWavesPerEU: 4
; NumVGPRsForWavesPerEU: 1
; AccumOffset: 4
; Occupancy: 8
; WaveLimiterHint : 0
; COMPUTE_PGM_RSRC2:SCRATCH_EN: 0
; COMPUTE_PGM_RSRC2:USER_SGPR: 6
; COMPUTE_PGM_RSRC2:TRAP_HANDLER: 0
; COMPUTE_PGM_RSRC2:TGID_X_EN: 1
; COMPUTE_PGM_RSRC2:TGID_Y_EN: 0
; COMPUTE_PGM_RSRC2:TGID_Z_EN: 0
; COMPUTE_PGM_RSRC2:TIDIG_COMP_CNT: 0
; COMPUTE_PGM_RSRC3_GFX90A:ACCUM_OFFSET: 0
; COMPUTE_PGM_RSRC3_GFX90A:TG_SPLIT: 0
	.section	.text._ZN7rocprim17ROCPRIM_400000_NS6detail17trampoline_kernelINS0_14default_configENS1_25transform_config_selectorItLb0EEEZNS1_14transform_implILb0ES3_S5_N6thrust23THRUST_200600_302600_NS6detail15normal_iteratorINS8_10device_ptrItEEEEPtNS0_8identityItEEEE10hipError_tT2_T3_mT4_P12ihipStream_tbEUlT_E_NS1_11comp_targetILNS1_3genE10ELNS1_11target_archE1200ELNS1_3gpuE4ELNS1_3repE0EEENS1_30default_config_static_selectorELNS0_4arch9wavefront6targetE1EEEvT1_,"axG",@progbits,_ZN7rocprim17ROCPRIM_400000_NS6detail17trampoline_kernelINS0_14default_configENS1_25transform_config_selectorItLb0EEEZNS1_14transform_implILb0ES3_S5_N6thrust23THRUST_200600_302600_NS6detail15normal_iteratorINS8_10device_ptrItEEEEPtNS0_8identityItEEEE10hipError_tT2_T3_mT4_P12ihipStream_tbEUlT_E_NS1_11comp_targetILNS1_3genE10ELNS1_11target_archE1200ELNS1_3gpuE4ELNS1_3repE0EEENS1_30default_config_static_selectorELNS0_4arch9wavefront6targetE1EEEvT1_,comdat
	.protected	_ZN7rocprim17ROCPRIM_400000_NS6detail17trampoline_kernelINS0_14default_configENS1_25transform_config_selectorItLb0EEEZNS1_14transform_implILb0ES3_S5_N6thrust23THRUST_200600_302600_NS6detail15normal_iteratorINS8_10device_ptrItEEEEPtNS0_8identityItEEEE10hipError_tT2_T3_mT4_P12ihipStream_tbEUlT_E_NS1_11comp_targetILNS1_3genE10ELNS1_11target_archE1200ELNS1_3gpuE4ELNS1_3repE0EEENS1_30default_config_static_selectorELNS0_4arch9wavefront6targetE1EEEvT1_ ; -- Begin function _ZN7rocprim17ROCPRIM_400000_NS6detail17trampoline_kernelINS0_14default_configENS1_25transform_config_selectorItLb0EEEZNS1_14transform_implILb0ES3_S5_N6thrust23THRUST_200600_302600_NS6detail15normal_iteratorINS8_10device_ptrItEEEEPtNS0_8identityItEEEE10hipError_tT2_T3_mT4_P12ihipStream_tbEUlT_E_NS1_11comp_targetILNS1_3genE10ELNS1_11target_archE1200ELNS1_3gpuE4ELNS1_3repE0EEENS1_30default_config_static_selectorELNS0_4arch9wavefront6targetE1EEEvT1_
	.globl	_ZN7rocprim17ROCPRIM_400000_NS6detail17trampoline_kernelINS0_14default_configENS1_25transform_config_selectorItLb0EEEZNS1_14transform_implILb0ES3_S5_N6thrust23THRUST_200600_302600_NS6detail15normal_iteratorINS8_10device_ptrItEEEEPtNS0_8identityItEEEE10hipError_tT2_T3_mT4_P12ihipStream_tbEUlT_E_NS1_11comp_targetILNS1_3genE10ELNS1_11target_archE1200ELNS1_3gpuE4ELNS1_3repE0EEENS1_30default_config_static_selectorELNS0_4arch9wavefront6targetE1EEEvT1_
	.p2align	8
	.type	_ZN7rocprim17ROCPRIM_400000_NS6detail17trampoline_kernelINS0_14default_configENS1_25transform_config_selectorItLb0EEEZNS1_14transform_implILb0ES3_S5_N6thrust23THRUST_200600_302600_NS6detail15normal_iteratorINS8_10device_ptrItEEEEPtNS0_8identityItEEEE10hipError_tT2_T3_mT4_P12ihipStream_tbEUlT_E_NS1_11comp_targetILNS1_3genE10ELNS1_11target_archE1200ELNS1_3gpuE4ELNS1_3repE0EEENS1_30default_config_static_selectorELNS0_4arch9wavefront6targetE1EEEvT1_,@function
_ZN7rocprim17ROCPRIM_400000_NS6detail17trampoline_kernelINS0_14default_configENS1_25transform_config_selectorItLb0EEEZNS1_14transform_implILb0ES3_S5_N6thrust23THRUST_200600_302600_NS6detail15normal_iteratorINS8_10device_ptrItEEEEPtNS0_8identityItEEEE10hipError_tT2_T3_mT4_P12ihipStream_tbEUlT_E_NS1_11comp_targetILNS1_3genE10ELNS1_11target_archE1200ELNS1_3gpuE4ELNS1_3repE0EEENS1_30default_config_static_selectorELNS0_4arch9wavefront6targetE1EEEvT1_: ; @_ZN7rocprim17ROCPRIM_400000_NS6detail17trampoline_kernelINS0_14default_configENS1_25transform_config_selectorItLb0EEEZNS1_14transform_implILb0ES3_S5_N6thrust23THRUST_200600_302600_NS6detail15normal_iteratorINS8_10device_ptrItEEEEPtNS0_8identityItEEEE10hipError_tT2_T3_mT4_P12ihipStream_tbEUlT_E_NS1_11comp_targetILNS1_3genE10ELNS1_11target_archE1200ELNS1_3gpuE4ELNS1_3repE0EEENS1_30default_config_static_selectorELNS0_4arch9wavefront6targetE1EEEvT1_
; %bb.0:
	.section	.rodata,"a",@progbits
	.p2align	6, 0x0
	.amdhsa_kernel _ZN7rocprim17ROCPRIM_400000_NS6detail17trampoline_kernelINS0_14default_configENS1_25transform_config_selectorItLb0EEEZNS1_14transform_implILb0ES3_S5_N6thrust23THRUST_200600_302600_NS6detail15normal_iteratorINS8_10device_ptrItEEEEPtNS0_8identityItEEEE10hipError_tT2_T3_mT4_P12ihipStream_tbEUlT_E_NS1_11comp_targetILNS1_3genE10ELNS1_11target_archE1200ELNS1_3gpuE4ELNS1_3repE0EEENS1_30default_config_static_selectorELNS0_4arch9wavefront6targetE1EEEvT1_
		.amdhsa_group_segment_fixed_size 0
		.amdhsa_private_segment_fixed_size 0
		.amdhsa_kernarg_size 40
		.amdhsa_user_sgpr_count 6
		.amdhsa_user_sgpr_private_segment_buffer 1
		.amdhsa_user_sgpr_dispatch_ptr 0
		.amdhsa_user_sgpr_queue_ptr 0
		.amdhsa_user_sgpr_kernarg_segment_ptr 1
		.amdhsa_user_sgpr_dispatch_id 0
		.amdhsa_user_sgpr_flat_scratch_init 0
		.amdhsa_user_sgpr_kernarg_preload_length 0
		.amdhsa_user_sgpr_kernarg_preload_offset 0
		.amdhsa_user_sgpr_private_segment_size 0
		.amdhsa_uses_dynamic_stack 0
		.amdhsa_system_sgpr_private_segment_wavefront_offset 0
		.amdhsa_system_sgpr_workgroup_id_x 1
		.amdhsa_system_sgpr_workgroup_id_y 0
		.amdhsa_system_sgpr_workgroup_id_z 0
		.amdhsa_system_sgpr_workgroup_info 0
		.amdhsa_system_vgpr_workitem_id 0
		.amdhsa_next_free_vgpr 1
		.amdhsa_next_free_sgpr 0
		.amdhsa_accum_offset 4
		.amdhsa_reserve_vcc 0
		.amdhsa_reserve_flat_scratch 0
		.amdhsa_float_round_mode_32 0
		.amdhsa_float_round_mode_16_64 0
		.amdhsa_float_denorm_mode_32 3
		.amdhsa_float_denorm_mode_16_64 3
		.amdhsa_dx10_clamp 1
		.amdhsa_ieee_mode 1
		.amdhsa_fp16_overflow 0
		.amdhsa_tg_split 0
		.amdhsa_exception_fp_ieee_invalid_op 0
		.amdhsa_exception_fp_denorm_src 0
		.amdhsa_exception_fp_ieee_div_zero 0
		.amdhsa_exception_fp_ieee_overflow 0
		.amdhsa_exception_fp_ieee_underflow 0
		.amdhsa_exception_fp_ieee_inexact 0
		.amdhsa_exception_int_div_zero 0
	.end_amdhsa_kernel
	.section	.text._ZN7rocprim17ROCPRIM_400000_NS6detail17trampoline_kernelINS0_14default_configENS1_25transform_config_selectorItLb0EEEZNS1_14transform_implILb0ES3_S5_N6thrust23THRUST_200600_302600_NS6detail15normal_iteratorINS8_10device_ptrItEEEEPtNS0_8identityItEEEE10hipError_tT2_T3_mT4_P12ihipStream_tbEUlT_E_NS1_11comp_targetILNS1_3genE10ELNS1_11target_archE1200ELNS1_3gpuE4ELNS1_3repE0EEENS1_30default_config_static_selectorELNS0_4arch9wavefront6targetE1EEEvT1_,"axG",@progbits,_ZN7rocprim17ROCPRIM_400000_NS6detail17trampoline_kernelINS0_14default_configENS1_25transform_config_selectorItLb0EEEZNS1_14transform_implILb0ES3_S5_N6thrust23THRUST_200600_302600_NS6detail15normal_iteratorINS8_10device_ptrItEEEEPtNS0_8identityItEEEE10hipError_tT2_T3_mT4_P12ihipStream_tbEUlT_E_NS1_11comp_targetILNS1_3genE10ELNS1_11target_archE1200ELNS1_3gpuE4ELNS1_3repE0EEENS1_30default_config_static_selectorELNS0_4arch9wavefront6targetE1EEEvT1_,comdat
.Lfunc_end1335:
	.size	_ZN7rocprim17ROCPRIM_400000_NS6detail17trampoline_kernelINS0_14default_configENS1_25transform_config_selectorItLb0EEEZNS1_14transform_implILb0ES3_S5_N6thrust23THRUST_200600_302600_NS6detail15normal_iteratorINS8_10device_ptrItEEEEPtNS0_8identityItEEEE10hipError_tT2_T3_mT4_P12ihipStream_tbEUlT_E_NS1_11comp_targetILNS1_3genE10ELNS1_11target_archE1200ELNS1_3gpuE4ELNS1_3repE0EEENS1_30default_config_static_selectorELNS0_4arch9wavefront6targetE1EEEvT1_, .Lfunc_end1335-_ZN7rocprim17ROCPRIM_400000_NS6detail17trampoline_kernelINS0_14default_configENS1_25transform_config_selectorItLb0EEEZNS1_14transform_implILb0ES3_S5_N6thrust23THRUST_200600_302600_NS6detail15normal_iteratorINS8_10device_ptrItEEEEPtNS0_8identityItEEEE10hipError_tT2_T3_mT4_P12ihipStream_tbEUlT_E_NS1_11comp_targetILNS1_3genE10ELNS1_11target_archE1200ELNS1_3gpuE4ELNS1_3repE0EEENS1_30default_config_static_selectorELNS0_4arch9wavefront6targetE1EEEvT1_
                                        ; -- End function
	.section	.AMDGPU.csdata,"",@progbits
; Kernel info:
; codeLenInByte = 0
; NumSgprs: 4
; NumVgprs: 0
; NumAgprs: 0
; TotalNumVgprs: 0
; ScratchSize: 0
; MemoryBound: 0
; FloatMode: 240
; IeeeMode: 1
; LDSByteSize: 0 bytes/workgroup (compile time only)
; SGPRBlocks: 0
; VGPRBlocks: 0
; NumSGPRsForWavesPerEU: 4
; NumVGPRsForWavesPerEU: 1
; AccumOffset: 4
; Occupancy: 8
; WaveLimiterHint : 0
; COMPUTE_PGM_RSRC2:SCRATCH_EN: 0
; COMPUTE_PGM_RSRC2:USER_SGPR: 6
; COMPUTE_PGM_RSRC2:TRAP_HANDLER: 0
; COMPUTE_PGM_RSRC2:TGID_X_EN: 1
; COMPUTE_PGM_RSRC2:TGID_Y_EN: 0
; COMPUTE_PGM_RSRC2:TGID_Z_EN: 0
; COMPUTE_PGM_RSRC2:TIDIG_COMP_CNT: 0
; COMPUTE_PGM_RSRC3_GFX90A:ACCUM_OFFSET: 0
; COMPUTE_PGM_RSRC3_GFX90A:TG_SPLIT: 0
	.section	.text._ZN7rocprim17ROCPRIM_400000_NS6detail17trampoline_kernelINS0_14default_configENS1_25transform_config_selectorItLb0EEEZNS1_14transform_implILb0ES3_S5_N6thrust23THRUST_200600_302600_NS6detail15normal_iteratorINS8_10device_ptrItEEEEPtNS0_8identityItEEEE10hipError_tT2_T3_mT4_P12ihipStream_tbEUlT_E_NS1_11comp_targetILNS1_3genE9ELNS1_11target_archE1100ELNS1_3gpuE3ELNS1_3repE0EEENS1_30default_config_static_selectorELNS0_4arch9wavefront6targetE1EEEvT1_,"axG",@progbits,_ZN7rocprim17ROCPRIM_400000_NS6detail17trampoline_kernelINS0_14default_configENS1_25transform_config_selectorItLb0EEEZNS1_14transform_implILb0ES3_S5_N6thrust23THRUST_200600_302600_NS6detail15normal_iteratorINS8_10device_ptrItEEEEPtNS0_8identityItEEEE10hipError_tT2_T3_mT4_P12ihipStream_tbEUlT_E_NS1_11comp_targetILNS1_3genE9ELNS1_11target_archE1100ELNS1_3gpuE3ELNS1_3repE0EEENS1_30default_config_static_selectorELNS0_4arch9wavefront6targetE1EEEvT1_,comdat
	.protected	_ZN7rocprim17ROCPRIM_400000_NS6detail17trampoline_kernelINS0_14default_configENS1_25transform_config_selectorItLb0EEEZNS1_14transform_implILb0ES3_S5_N6thrust23THRUST_200600_302600_NS6detail15normal_iteratorINS8_10device_ptrItEEEEPtNS0_8identityItEEEE10hipError_tT2_T3_mT4_P12ihipStream_tbEUlT_E_NS1_11comp_targetILNS1_3genE9ELNS1_11target_archE1100ELNS1_3gpuE3ELNS1_3repE0EEENS1_30default_config_static_selectorELNS0_4arch9wavefront6targetE1EEEvT1_ ; -- Begin function _ZN7rocprim17ROCPRIM_400000_NS6detail17trampoline_kernelINS0_14default_configENS1_25transform_config_selectorItLb0EEEZNS1_14transform_implILb0ES3_S5_N6thrust23THRUST_200600_302600_NS6detail15normal_iteratorINS8_10device_ptrItEEEEPtNS0_8identityItEEEE10hipError_tT2_T3_mT4_P12ihipStream_tbEUlT_E_NS1_11comp_targetILNS1_3genE9ELNS1_11target_archE1100ELNS1_3gpuE3ELNS1_3repE0EEENS1_30default_config_static_selectorELNS0_4arch9wavefront6targetE1EEEvT1_
	.globl	_ZN7rocprim17ROCPRIM_400000_NS6detail17trampoline_kernelINS0_14default_configENS1_25transform_config_selectorItLb0EEEZNS1_14transform_implILb0ES3_S5_N6thrust23THRUST_200600_302600_NS6detail15normal_iteratorINS8_10device_ptrItEEEEPtNS0_8identityItEEEE10hipError_tT2_T3_mT4_P12ihipStream_tbEUlT_E_NS1_11comp_targetILNS1_3genE9ELNS1_11target_archE1100ELNS1_3gpuE3ELNS1_3repE0EEENS1_30default_config_static_selectorELNS0_4arch9wavefront6targetE1EEEvT1_
	.p2align	8
	.type	_ZN7rocprim17ROCPRIM_400000_NS6detail17trampoline_kernelINS0_14default_configENS1_25transform_config_selectorItLb0EEEZNS1_14transform_implILb0ES3_S5_N6thrust23THRUST_200600_302600_NS6detail15normal_iteratorINS8_10device_ptrItEEEEPtNS0_8identityItEEEE10hipError_tT2_T3_mT4_P12ihipStream_tbEUlT_E_NS1_11comp_targetILNS1_3genE9ELNS1_11target_archE1100ELNS1_3gpuE3ELNS1_3repE0EEENS1_30default_config_static_selectorELNS0_4arch9wavefront6targetE1EEEvT1_,@function
_ZN7rocprim17ROCPRIM_400000_NS6detail17trampoline_kernelINS0_14default_configENS1_25transform_config_selectorItLb0EEEZNS1_14transform_implILb0ES3_S5_N6thrust23THRUST_200600_302600_NS6detail15normal_iteratorINS8_10device_ptrItEEEEPtNS0_8identityItEEEE10hipError_tT2_T3_mT4_P12ihipStream_tbEUlT_E_NS1_11comp_targetILNS1_3genE9ELNS1_11target_archE1100ELNS1_3gpuE3ELNS1_3repE0EEENS1_30default_config_static_selectorELNS0_4arch9wavefront6targetE1EEEvT1_: ; @_ZN7rocprim17ROCPRIM_400000_NS6detail17trampoline_kernelINS0_14default_configENS1_25transform_config_selectorItLb0EEEZNS1_14transform_implILb0ES3_S5_N6thrust23THRUST_200600_302600_NS6detail15normal_iteratorINS8_10device_ptrItEEEEPtNS0_8identityItEEEE10hipError_tT2_T3_mT4_P12ihipStream_tbEUlT_E_NS1_11comp_targetILNS1_3genE9ELNS1_11target_archE1100ELNS1_3gpuE3ELNS1_3repE0EEENS1_30default_config_static_selectorELNS0_4arch9wavefront6targetE1EEEvT1_
; %bb.0:
	.section	.rodata,"a",@progbits
	.p2align	6, 0x0
	.amdhsa_kernel _ZN7rocprim17ROCPRIM_400000_NS6detail17trampoline_kernelINS0_14default_configENS1_25transform_config_selectorItLb0EEEZNS1_14transform_implILb0ES3_S5_N6thrust23THRUST_200600_302600_NS6detail15normal_iteratorINS8_10device_ptrItEEEEPtNS0_8identityItEEEE10hipError_tT2_T3_mT4_P12ihipStream_tbEUlT_E_NS1_11comp_targetILNS1_3genE9ELNS1_11target_archE1100ELNS1_3gpuE3ELNS1_3repE0EEENS1_30default_config_static_selectorELNS0_4arch9wavefront6targetE1EEEvT1_
		.amdhsa_group_segment_fixed_size 0
		.amdhsa_private_segment_fixed_size 0
		.amdhsa_kernarg_size 40
		.amdhsa_user_sgpr_count 6
		.amdhsa_user_sgpr_private_segment_buffer 1
		.amdhsa_user_sgpr_dispatch_ptr 0
		.amdhsa_user_sgpr_queue_ptr 0
		.amdhsa_user_sgpr_kernarg_segment_ptr 1
		.amdhsa_user_sgpr_dispatch_id 0
		.amdhsa_user_sgpr_flat_scratch_init 0
		.amdhsa_user_sgpr_kernarg_preload_length 0
		.amdhsa_user_sgpr_kernarg_preload_offset 0
		.amdhsa_user_sgpr_private_segment_size 0
		.amdhsa_uses_dynamic_stack 0
		.amdhsa_system_sgpr_private_segment_wavefront_offset 0
		.amdhsa_system_sgpr_workgroup_id_x 1
		.amdhsa_system_sgpr_workgroup_id_y 0
		.amdhsa_system_sgpr_workgroup_id_z 0
		.amdhsa_system_sgpr_workgroup_info 0
		.amdhsa_system_vgpr_workitem_id 0
		.amdhsa_next_free_vgpr 1
		.amdhsa_next_free_sgpr 0
		.amdhsa_accum_offset 4
		.amdhsa_reserve_vcc 0
		.amdhsa_reserve_flat_scratch 0
		.amdhsa_float_round_mode_32 0
		.amdhsa_float_round_mode_16_64 0
		.amdhsa_float_denorm_mode_32 3
		.amdhsa_float_denorm_mode_16_64 3
		.amdhsa_dx10_clamp 1
		.amdhsa_ieee_mode 1
		.amdhsa_fp16_overflow 0
		.amdhsa_tg_split 0
		.amdhsa_exception_fp_ieee_invalid_op 0
		.amdhsa_exception_fp_denorm_src 0
		.amdhsa_exception_fp_ieee_div_zero 0
		.amdhsa_exception_fp_ieee_overflow 0
		.amdhsa_exception_fp_ieee_underflow 0
		.amdhsa_exception_fp_ieee_inexact 0
		.amdhsa_exception_int_div_zero 0
	.end_amdhsa_kernel
	.section	.text._ZN7rocprim17ROCPRIM_400000_NS6detail17trampoline_kernelINS0_14default_configENS1_25transform_config_selectorItLb0EEEZNS1_14transform_implILb0ES3_S5_N6thrust23THRUST_200600_302600_NS6detail15normal_iteratorINS8_10device_ptrItEEEEPtNS0_8identityItEEEE10hipError_tT2_T3_mT4_P12ihipStream_tbEUlT_E_NS1_11comp_targetILNS1_3genE9ELNS1_11target_archE1100ELNS1_3gpuE3ELNS1_3repE0EEENS1_30default_config_static_selectorELNS0_4arch9wavefront6targetE1EEEvT1_,"axG",@progbits,_ZN7rocprim17ROCPRIM_400000_NS6detail17trampoline_kernelINS0_14default_configENS1_25transform_config_selectorItLb0EEEZNS1_14transform_implILb0ES3_S5_N6thrust23THRUST_200600_302600_NS6detail15normal_iteratorINS8_10device_ptrItEEEEPtNS0_8identityItEEEE10hipError_tT2_T3_mT4_P12ihipStream_tbEUlT_E_NS1_11comp_targetILNS1_3genE9ELNS1_11target_archE1100ELNS1_3gpuE3ELNS1_3repE0EEENS1_30default_config_static_selectorELNS0_4arch9wavefront6targetE1EEEvT1_,comdat
.Lfunc_end1336:
	.size	_ZN7rocprim17ROCPRIM_400000_NS6detail17trampoline_kernelINS0_14default_configENS1_25transform_config_selectorItLb0EEEZNS1_14transform_implILb0ES3_S5_N6thrust23THRUST_200600_302600_NS6detail15normal_iteratorINS8_10device_ptrItEEEEPtNS0_8identityItEEEE10hipError_tT2_T3_mT4_P12ihipStream_tbEUlT_E_NS1_11comp_targetILNS1_3genE9ELNS1_11target_archE1100ELNS1_3gpuE3ELNS1_3repE0EEENS1_30default_config_static_selectorELNS0_4arch9wavefront6targetE1EEEvT1_, .Lfunc_end1336-_ZN7rocprim17ROCPRIM_400000_NS6detail17trampoline_kernelINS0_14default_configENS1_25transform_config_selectorItLb0EEEZNS1_14transform_implILb0ES3_S5_N6thrust23THRUST_200600_302600_NS6detail15normal_iteratorINS8_10device_ptrItEEEEPtNS0_8identityItEEEE10hipError_tT2_T3_mT4_P12ihipStream_tbEUlT_E_NS1_11comp_targetILNS1_3genE9ELNS1_11target_archE1100ELNS1_3gpuE3ELNS1_3repE0EEENS1_30default_config_static_selectorELNS0_4arch9wavefront6targetE1EEEvT1_
                                        ; -- End function
	.section	.AMDGPU.csdata,"",@progbits
; Kernel info:
; codeLenInByte = 0
; NumSgprs: 4
; NumVgprs: 0
; NumAgprs: 0
; TotalNumVgprs: 0
; ScratchSize: 0
; MemoryBound: 0
; FloatMode: 240
; IeeeMode: 1
; LDSByteSize: 0 bytes/workgroup (compile time only)
; SGPRBlocks: 0
; VGPRBlocks: 0
; NumSGPRsForWavesPerEU: 4
; NumVGPRsForWavesPerEU: 1
; AccumOffset: 4
; Occupancy: 8
; WaveLimiterHint : 0
; COMPUTE_PGM_RSRC2:SCRATCH_EN: 0
; COMPUTE_PGM_RSRC2:USER_SGPR: 6
; COMPUTE_PGM_RSRC2:TRAP_HANDLER: 0
; COMPUTE_PGM_RSRC2:TGID_X_EN: 1
; COMPUTE_PGM_RSRC2:TGID_Y_EN: 0
; COMPUTE_PGM_RSRC2:TGID_Z_EN: 0
; COMPUTE_PGM_RSRC2:TIDIG_COMP_CNT: 0
; COMPUTE_PGM_RSRC3_GFX90A:ACCUM_OFFSET: 0
; COMPUTE_PGM_RSRC3_GFX90A:TG_SPLIT: 0
	.section	.text._ZN7rocprim17ROCPRIM_400000_NS6detail17trampoline_kernelINS0_14default_configENS1_25transform_config_selectorItLb0EEEZNS1_14transform_implILb0ES3_S5_N6thrust23THRUST_200600_302600_NS6detail15normal_iteratorINS8_10device_ptrItEEEEPtNS0_8identityItEEEE10hipError_tT2_T3_mT4_P12ihipStream_tbEUlT_E_NS1_11comp_targetILNS1_3genE8ELNS1_11target_archE1030ELNS1_3gpuE2ELNS1_3repE0EEENS1_30default_config_static_selectorELNS0_4arch9wavefront6targetE1EEEvT1_,"axG",@progbits,_ZN7rocprim17ROCPRIM_400000_NS6detail17trampoline_kernelINS0_14default_configENS1_25transform_config_selectorItLb0EEEZNS1_14transform_implILb0ES3_S5_N6thrust23THRUST_200600_302600_NS6detail15normal_iteratorINS8_10device_ptrItEEEEPtNS0_8identityItEEEE10hipError_tT2_T3_mT4_P12ihipStream_tbEUlT_E_NS1_11comp_targetILNS1_3genE8ELNS1_11target_archE1030ELNS1_3gpuE2ELNS1_3repE0EEENS1_30default_config_static_selectorELNS0_4arch9wavefront6targetE1EEEvT1_,comdat
	.protected	_ZN7rocprim17ROCPRIM_400000_NS6detail17trampoline_kernelINS0_14default_configENS1_25transform_config_selectorItLb0EEEZNS1_14transform_implILb0ES3_S5_N6thrust23THRUST_200600_302600_NS6detail15normal_iteratorINS8_10device_ptrItEEEEPtNS0_8identityItEEEE10hipError_tT2_T3_mT4_P12ihipStream_tbEUlT_E_NS1_11comp_targetILNS1_3genE8ELNS1_11target_archE1030ELNS1_3gpuE2ELNS1_3repE0EEENS1_30default_config_static_selectorELNS0_4arch9wavefront6targetE1EEEvT1_ ; -- Begin function _ZN7rocprim17ROCPRIM_400000_NS6detail17trampoline_kernelINS0_14default_configENS1_25transform_config_selectorItLb0EEEZNS1_14transform_implILb0ES3_S5_N6thrust23THRUST_200600_302600_NS6detail15normal_iteratorINS8_10device_ptrItEEEEPtNS0_8identityItEEEE10hipError_tT2_T3_mT4_P12ihipStream_tbEUlT_E_NS1_11comp_targetILNS1_3genE8ELNS1_11target_archE1030ELNS1_3gpuE2ELNS1_3repE0EEENS1_30default_config_static_selectorELNS0_4arch9wavefront6targetE1EEEvT1_
	.globl	_ZN7rocprim17ROCPRIM_400000_NS6detail17trampoline_kernelINS0_14default_configENS1_25transform_config_selectorItLb0EEEZNS1_14transform_implILb0ES3_S5_N6thrust23THRUST_200600_302600_NS6detail15normal_iteratorINS8_10device_ptrItEEEEPtNS0_8identityItEEEE10hipError_tT2_T3_mT4_P12ihipStream_tbEUlT_E_NS1_11comp_targetILNS1_3genE8ELNS1_11target_archE1030ELNS1_3gpuE2ELNS1_3repE0EEENS1_30default_config_static_selectorELNS0_4arch9wavefront6targetE1EEEvT1_
	.p2align	8
	.type	_ZN7rocprim17ROCPRIM_400000_NS6detail17trampoline_kernelINS0_14default_configENS1_25transform_config_selectorItLb0EEEZNS1_14transform_implILb0ES3_S5_N6thrust23THRUST_200600_302600_NS6detail15normal_iteratorINS8_10device_ptrItEEEEPtNS0_8identityItEEEE10hipError_tT2_T3_mT4_P12ihipStream_tbEUlT_E_NS1_11comp_targetILNS1_3genE8ELNS1_11target_archE1030ELNS1_3gpuE2ELNS1_3repE0EEENS1_30default_config_static_selectorELNS0_4arch9wavefront6targetE1EEEvT1_,@function
_ZN7rocprim17ROCPRIM_400000_NS6detail17trampoline_kernelINS0_14default_configENS1_25transform_config_selectorItLb0EEEZNS1_14transform_implILb0ES3_S5_N6thrust23THRUST_200600_302600_NS6detail15normal_iteratorINS8_10device_ptrItEEEEPtNS0_8identityItEEEE10hipError_tT2_T3_mT4_P12ihipStream_tbEUlT_E_NS1_11comp_targetILNS1_3genE8ELNS1_11target_archE1030ELNS1_3gpuE2ELNS1_3repE0EEENS1_30default_config_static_selectorELNS0_4arch9wavefront6targetE1EEEvT1_: ; @_ZN7rocprim17ROCPRIM_400000_NS6detail17trampoline_kernelINS0_14default_configENS1_25transform_config_selectorItLb0EEEZNS1_14transform_implILb0ES3_S5_N6thrust23THRUST_200600_302600_NS6detail15normal_iteratorINS8_10device_ptrItEEEEPtNS0_8identityItEEEE10hipError_tT2_T3_mT4_P12ihipStream_tbEUlT_E_NS1_11comp_targetILNS1_3genE8ELNS1_11target_archE1030ELNS1_3gpuE2ELNS1_3repE0EEENS1_30default_config_static_selectorELNS0_4arch9wavefront6targetE1EEEvT1_
; %bb.0:
	.section	.rodata,"a",@progbits
	.p2align	6, 0x0
	.amdhsa_kernel _ZN7rocprim17ROCPRIM_400000_NS6detail17trampoline_kernelINS0_14default_configENS1_25transform_config_selectorItLb0EEEZNS1_14transform_implILb0ES3_S5_N6thrust23THRUST_200600_302600_NS6detail15normal_iteratorINS8_10device_ptrItEEEEPtNS0_8identityItEEEE10hipError_tT2_T3_mT4_P12ihipStream_tbEUlT_E_NS1_11comp_targetILNS1_3genE8ELNS1_11target_archE1030ELNS1_3gpuE2ELNS1_3repE0EEENS1_30default_config_static_selectorELNS0_4arch9wavefront6targetE1EEEvT1_
		.amdhsa_group_segment_fixed_size 0
		.amdhsa_private_segment_fixed_size 0
		.amdhsa_kernarg_size 40
		.amdhsa_user_sgpr_count 6
		.amdhsa_user_sgpr_private_segment_buffer 1
		.amdhsa_user_sgpr_dispatch_ptr 0
		.amdhsa_user_sgpr_queue_ptr 0
		.amdhsa_user_sgpr_kernarg_segment_ptr 1
		.amdhsa_user_sgpr_dispatch_id 0
		.amdhsa_user_sgpr_flat_scratch_init 0
		.amdhsa_user_sgpr_kernarg_preload_length 0
		.amdhsa_user_sgpr_kernarg_preload_offset 0
		.amdhsa_user_sgpr_private_segment_size 0
		.amdhsa_uses_dynamic_stack 0
		.amdhsa_system_sgpr_private_segment_wavefront_offset 0
		.amdhsa_system_sgpr_workgroup_id_x 1
		.amdhsa_system_sgpr_workgroup_id_y 0
		.amdhsa_system_sgpr_workgroup_id_z 0
		.amdhsa_system_sgpr_workgroup_info 0
		.amdhsa_system_vgpr_workitem_id 0
		.amdhsa_next_free_vgpr 1
		.amdhsa_next_free_sgpr 0
		.amdhsa_accum_offset 4
		.amdhsa_reserve_vcc 0
		.amdhsa_reserve_flat_scratch 0
		.amdhsa_float_round_mode_32 0
		.amdhsa_float_round_mode_16_64 0
		.amdhsa_float_denorm_mode_32 3
		.amdhsa_float_denorm_mode_16_64 3
		.amdhsa_dx10_clamp 1
		.amdhsa_ieee_mode 1
		.amdhsa_fp16_overflow 0
		.amdhsa_tg_split 0
		.amdhsa_exception_fp_ieee_invalid_op 0
		.amdhsa_exception_fp_denorm_src 0
		.amdhsa_exception_fp_ieee_div_zero 0
		.amdhsa_exception_fp_ieee_overflow 0
		.amdhsa_exception_fp_ieee_underflow 0
		.amdhsa_exception_fp_ieee_inexact 0
		.amdhsa_exception_int_div_zero 0
	.end_amdhsa_kernel
	.section	.text._ZN7rocprim17ROCPRIM_400000_NS6detail17trampoline_kernelINS0_14default_configENS1_25transform_config_selectorItLb0EEEZNS1_14transform_implILb0ES3_S5_N6thrust23THRUST_200600_302600_NS6detail15normal_iteratorINS8_10device_ptrItEEEEPtNS0_8identityItEEEE10hipError_tT2_T3_mT4_P12ihipStream_tbEUlT_E_NS1_11comp_targetILNS1_3genE8ELNS1_11target_archE1030ELNS1_3gpuE2ELNS1_3repE0EEENS1_30default_config_static_selectorELNS0_4arch9wavefront6targetE1EEEvT1_,"axG",@progbits,_ZN7rocprim17ROCPRIM_400000_NS6detail17trampoline_kernelINS0_14default_configENS1_25transform_config_selectorItLb0EEEZNS1_14transform_implILb0ES3_S5_N6thrust23THRUST_200600_302600_NS6detail15normal_iteratorINS8_10device_ptrItEEEEPtNS0_8identityItEEEE10hipError_tT2_T3_mT4_P12ihipStream_tbEUlT_E_NS1_11comp_targetILNS1_3genE8ELNS1_11target_archE1030ELNS1_3gpuE2ELNS1_3repE0EEENS1_30default_config_static_selectorELNS0_4arch9wavefront6targetE1EEEvT1_,comdat
.Lfunc_end1337:
	.size	_ZN7rocprim17ROCPRIM_400000_NS6detail17trampoline_kernelINS0_14default_configENS1_25transform_config_selectorItLb0EEEZNS1_14transform_implILb0ES3_S5_N6thrust23THRUST_200600_302600_NS6detail15normal_iteratorINS8_10device_ptrItEEEEPtNS0_8identityItEEEE10hipError_tT2_T3_mT4_P12ihipStream_tbEUlT_E_NS1_11comp_targetILNS1_3genE8ELNS1_11target_archE1030ELNS1_3gpuE2ELNS1_3repE0EEENS1_30default_config_static_selectorELNS0_4arch9wavefront6targetE1EEEvT1_, .Lfunc_end1337-_ZN7rocprim17ROCPRIM_400000_NS6detail17trampoline_kernelINS0_14default_configENS1_25transform_config_selectorItLb0EEEZNS1_14transform_implILb0ES3_S5_N6thrust23THRUST_200600_302600_NS6detail15normal_iteratorINS8_10device_ptrItEEEEPtNS0_8identityItEEEE10hipError_tT2_T3_mT4_P12ihipStream_tbEUlT_E_NS1_11comp_targetILNS1_3genE8ELNS1_11target_archE1030ELNS1_3gpuE2ELNS1_3repE0EEENS1_30default_config_static_selectorELNS0_4arch9wavefront6targetE1EEEvT1_
                                        ; -- End function
	.section	.AMDGPU.csdata,"",@progbits
; Kernel info:
; codeLenInByte = 0
; NumSgprs: 4
; NumVgprs: 0
; NumAgprs: 0
; TotalNumVgprs: 0
; ScratchSize: 0
; MemoryBound: 0
; FloatMode: 240
; IeeeMode: 1
; LDSByteSize: 0 bytes/workgroup (compile time only)
; SGPRBlocks: 0
; VGPRBlocks: 0
; NumSGPRsForWavesPerEU: 4
; NumVGPRsForWavesPerEU: 1
; AccumOffset: 4
; Occupancy: 8
; WaveLimiterHint : 0
; COMPUTE_PGM_RSRC2:SCRATCH_EN: 0
; COMPUTE_PGM_RSRC2:USER_SGPR: 6
; COMPUTE_PGM_RSRC2:TRAP_HANDLER: 0
; COMPUTE_PGM_RSRC2:TGID_X_EN: 1
; COMPUTE_PGM_RSRC2:TGID_Y_EN: 0
; COMPUTE_PGM_RSRC2:TGID_Z_EN: 0
; COMPUTE_PGM_RSRC2:TIDIG_COMP_CNT: 0
; COMPUTE_PGM_RSRC3_GFX90A:ACCUM_OFFSET: 0
; COMPUTE_PGM_RSRC3_GFX90A:TG_SPLIT: 0
	.section	.text._ZN7rocprim17ROCPRIM_400000_NS6detail17trampoline_kernelINS0_14default_configENS1_35radix_sort_onesweep_config_selectorItNS0_10empty_typeEEEZZNS1_29radix_sort_onesweep_iterationIS3_Lb0EN6thrust23THRUST_200600_302600_NS6detail15normal_iteratorINS9_10device_ptrItEEEESE_PS5_SF_jNS0_19identity_decomposerENS1_16block_id_wrapperIjLb1EEEEE10hipError_tT1_PNSt15iterator_traitsISK_E10value_typeET2_T3_PNSL_ISQ_E10value_typeET4_T5_PSV_SW_PNS1_23onesweep_lookback_stateEbbT6_jjT7_P12ihipStream_tbENKUlT_T0_SK_SP_E_clISE_SE_SF_SF_EEDaS13_S14_SK_SP_EUlS13_E_NS1_11comp_targetILNS1_3genE0ELNS1_11target_archE4294967295ELNS1_3gpuE0ELNS1_3repE0EEENS1_47radix_sort_onesweep_sort_config_static_selectorELNS0_4arch9wavefront6targetE1EEEvSK_,"axG",@progbits,_ZN7rocprim17ROCPRIM_400000_NS6detail17trampoline_kernelINS0_14default_configENS1_35radix_sort_onesweep_config_selectorItNS0_10empty_typeEEEZZNS1_29radix_sort_onesweep_iterationIS3_Lb0EN6thrust23THRUST_200600_302600_NS6detail15normal_iteratorINS9_10device_ptrItEEEESE_PS5_SF_jNS0_19identity_decomposerENS1_16block_id_wrapperIjLb1EEEEE10hipError_tT1_PNSt15iterator_traitsISK_E10value_typeET2_T3_PNSL_ISQ_E10value_typeET4_T5_PSV_SW_PNS1_23onesweep_lookback_stateEbbT6_jjT7_P12ihipStream_tbENKUlT_T0_SK_SP_E_clISE_SE_SF_SF_EEDaS13_S14_SK_SP_EUlS13_E_NS1_11comp_targetILNS1_3genE0ELNS1_11target_archE4294967295ELNS1_3gpuE0ELNS1_3repE0EEENS1_47radix_sort_onesweep_sort_config_static_selectorELNS0_4arch9wavefront6targetE1EEEvSK_,comdat
	.protected	_ZN7rocprim17ROCPRIM_400000_NS6detail17trampoline_kernelINS0_14default_configENS1_35radix_sort_onesweep_config_selectorItNS0_10empty_typeEEEZZNS1_29radix_sort_onesweep_iterationIS3_Lb0EN6thrust23THRUST_200600_302600_NS6detail15normal_iteratorINS9_10device_ptrItEEEESE_PS5_SF_jNS0_19identity_decomposerENS1_16block_id_wrapperIjLb1EEEEE10hipError_tT1_PNSt15iterator_traitsISK_E10value_typeET2_T3_PNSL_ISQ_E10value_typeET4_T5_PSV_SW_PNS1_23onesweep_lookback_stateEbbT6_jjT7_P12ihipStream_tbENKUlT_T0_SK_SP_E_clISE_SE_SF_SF_EEDaS13_S14_SK_SP_EUlS13_E_NS1_11comp_targetILNS1_3genE0ELNS1_11target_archE4294967295ELNS1_3gpuE0ELNS1_3repE0EEENS1_47radix_sort_onesweep_sort_config_static_selectorELNS0_4arch9wavefront6targetE1EEEvSK_ ; -- Begin function _ZN7rocprim17ROCPRIM_400000_NS6detail17trampoline_kernelINS0_14default_configENS1_35radix_sort_onesweep_config_selectorItNS0_10empty_typeEEEZZNS1_29radix_sort_onesweep_iterationIS3_Lb0EN6thrust23THRUST_200600_302600_NS6detail15normal_iteratorINS9_10device_ptrItEEEESE_PS5_SF_jNS0_19identity_decomposerENS1_16block_id_wrapperIjLb1EEEEE10hipError_tT1_PNSt15iterator_traitsISK_E10value_typeET2_T3_PNSL_ISQ_E10value_typeET4_T5_PSV_SW_PNS1_23onesweep_lookback_stateEbbT6_jjT7_P12ihipStream_tbENKUlT_T0_SK_SP_E_clISE_SE_SF_SF_EEDaS13_S14_SK_SP_EUlS13_E_NS1_11comp_targetILNS1_3genE0ELNS1_11target_archE4294967295ELNS1_3gpuE0ELNS1_3repE0EEENS1_47radix_sort_onesweep_sort_config_static_selectorELNS0_4arch9wavefront6targetE1EEEvSK_
	.globl	_ZN7rocprim17ROCPRIM_400000_NS6detail17trampoline_kernelINS0_14default_configENS1_35radix_sort_onesweep_config_selectorItNS0_10empty_typeEEEZZNS1_29radix_sort_onesweep_iterationIS3_Lb0EN6thrust23THRUST_200600_302600_NS6detail15normal_iteratorINS9_10device_ptrItEEEESE_PS5_SF_jNS0_19identity_decomposerENS1_16block_id_wrapperIjLb1EEEEE10hipError_tT1_PNSt15iterator_traitsISK_E10value_typeET2_T3_PNSL_ISQ_E10value_typeET4_T5_PSV_SW_PNS1_23onesweep_lookback_stateEbbT6_jjT7_P12ihipStream_tbENKUlT_T0_SK_SP_E_clISE_SE_SF_SF_EEDaS13_S14_SK_SP_EUlS13_E_NS1_11comp_targetILNS1_3genE0ELNS1_11target_archE4294967295ELNS1_3gpuE0ELNS1_3repE0EEENS1_47radix_sort_onesweep_sort_config_static_selectorELNS0_4arch9wavefront6targetE1EEEvSK_
	.p2align	8
	.type	_ZN7rocprim17ROCPRIM_400000_NS6detail17trampoline_kernelINS0_14default_configENS1_35radix_sort_onesweep_config_selectorItNS0_10empty_typeEEEZZNS1_29radix_sort_onesweep_iterationIS3_Lb0EN6thrust23THRUST_200600_302600_NS6detail15normal_iteratorINS9_10device_ptrItEEEESE_PS5_SF_jNS0_19identity_decomposerENS1_16block_id_wrapperIjLb1EEEEE10hipError_tT1_PNSt15iterator_traitsISK_E10value_typeET2_T3_PNSL_ISQ_E10value_typeET4_T5_PSV_SW_PNS1_23onesweep_lookback_stateEbbT6_jjT7_P12ihipStream_tbENKUlT_T0_SK_SP_E_clISE_SE_SF_SF_EEDaS13_S14_SK_SP_EUlS13_E_NS1_11comp_targetILNS1_3genE0ELNS1_11target_archE4294967295ELNS1_3gpuE0ELNS1_3repE0EEENS1_47radix_sort_onesweep_sort_config_static_selectorELNS0_4arch9wavefront6targetE1EEEvSK_,@function
_ZN7rocprim17ROCPRIM_400000_NS6detail17trampoline_kernelINS0_14default_configENS1_35radix_sort_onesweep_config_selectorItNS0_10empty_typeEEEZZNS1_29radix_sort_onesweep_iterationIS3_Lb0EN6thrust23THRUST_200600_302600_NS6detail15normal_iteratorINS9_10device_ptrItEEEESE_PS5_SF_jNS0_19identity_decomposerENS1_16block_id_wrapperIjLb1EEEEE10hipError_tT1_PNSt15iterator_traitsISK_E10value_typeET2_T3_PNSL_ISQ_E10value_typeET4_T5_PSV_SW_PNS1_23onesweep_lookback_stateEbbT6_jjT7_P12ihipStream_tbENKUlT_T0_SK_SP_E_clISE_SE_SF_SF_EEDaS13_S14_SK_SP_EUlS13_E_NS1_11comp_targetILNS1_3genE0ELNS1_11target_archE4294967295ELNS1_3gpuE0ELNS1_3repE0EEENS1_47radix_sort_onesweep_sort_config_static_selectorELNS0_4arch9wavefront6targetE1EEEvSK_: ; @_ZN7rocprim17ROCPRIM_400000_NS6detail17trampoline_kernelINS0_14default_configENS1_35radix_sort_onesweep_config_selectorItNS0_10empty_typeEEEZZNS1_29radix_sort_onesweep_iterationIS3_Lb0EN6thrust23THRUST_200600_302600_NS6detail15normal_iteratorINS9_10device_ptrItEEEESE_PS5_SF_jNS0_19identity_decomposerENS1_16block_id_wrapperIjLb1EEEEE10hipError_tT1_PNSt15iterator_traitsISK_E10value_typeET2_T3_PNSL_ISQ_E10value_typeET4_T5_PSV_SW_PNS1_23onesweep_lookback_stateEbbT6_jjT7_P12ihipStream_tbENKUlT_T0_SK_SP_E_clISE_SE_SF_SF_EEDaS13_S14_SK_SP_EUlS13_E_NS1_11comp_targetILNS1_3genE0ELNS1_11target_archE4294967295ELNS1_3gpuE0ELNS1_3repE0EEENS1_47radix_sort_onesweep_sort_config_static_selectorELNS0_4arch9wavefront6targetE1EEEvSK_
; %bb.0:
	.section	.rodata,"a",@progbits
	.p2align	6, 0x0
	.amdhsa_kernel _ZN7rocprim17ROCPRIM_400000_NS6detail17trampoline_kernelINS0_14default_configENS1_35radix_sort_onesweep_config_selectorItNS0_10empty_typeEEEZZNS1_29radix_sort_onesweep_iterationIS3_Lb0EN6thrust23THRUST_200600_302600_NS6detail15normal_iteratorINS9_10device_ptrItEEEESE_PS5_SF_jNS0_19identity_decomposerENS1_16block_id_wrapperIjLb1EEEEE10hipError_tT1_PNSt15iterator_traitsISK_E10value_typeET2_T3_PNSL_ISQ_E10value_typeET4_T5_PSV_SW_PNS1_23onesweep_lookback_stateEbbT6_jjT7_P12ihipStream_tbENKUlT_T0_SK_SP_E_clISE_SE_SF_SF_EEDaS13_S14_SK_SP_EUlS13_E_NS1_11comp_targetILNS1_3genE0ELNS1_11target_archE4294967295ELNS1_3gpuE0ELNS1_3repE0EEENS1_47radix_sort_onesweep_sort_config_static_selectorELNS0_4arch9wavefront6targetE1EEEvSK_
		.amdhsa_group_segment_fixed_size 0
		.amdhsa_private_segment_fixed_size 0
		.amdhsa_kernarg_size 88
		.amdhsa_user_sgpr_count 6
		.amdhsa_user_sgpr_private_segment_buffer 1
		.amdhsa_user_sgpr_dispatch_ptr 0
		.amdhsa_user_sgpr_queue_ptr 0
		.amdhsa_user_sgpr_kernarg_segment_ptr 1
		.amdhsa_user_sgpr_dispatch_id 0
		.amdhsa_user_sgpr_flat_scratch_init 0
		.amdhsa_user_sgpr_kernarg_preload_length 0
		.amdhsa_user_sgpr_kernarg_preload_offset 0
		.amdhsa_user_sgpr_private_segment_size 0
		.amdhsa_uses_dynamic_stack 0
		.amdhsa_system_sgpr_private_segment_wavefront_offset 0
		.amdhsa_system_sgpr_workgroup_id_x 1
		.amdhsa_system_sgpr_workgroup_id_y 0
		.amdhsa_system_sgpr_workgroup_id_z 0
		.amdhsa_system_sgpr_workgroup_info 0
		.amdhsa_system_vgpr_workitem_id 0
		.amdhsa_next_free_vgpr 1
		.amdhsa_next_free_sgpr 0
		.amdhsa_accum_offset 4
		.amdhsa_reserve_vcc 0
		.amdhsa_reserve_flat_scratch 0
		.amdhsa_float_round_mode_32 0
		.amdhsa_float_round_mode_16_64 0
		.amdhsa_float_denorm_mode_32 3
		.amdhsa_float_denorm_mode_16_64 3
		.amdhsa_dx10_clamp 1
		.amdhsa_ieee_mode 1
		.amdhsa_fp16_overflow 0
		.amdhsa_tg_split 0
		.amdhsa_exception_fp_ieee_invalid_op 0
		.amdhsa_exception_fp_denorm_src 0
		.amdhsa_exception_fp_ieee_div_zero 0
		.amdhsa_exception_fp_ieee_overflow 0
		.amdhsa_exception_fp_ieee_underflow 0
		.amdhsa_exception_fp_ieee_inexact 0
		.amdhsa_exception_int_div_zero 0
	.end_amdhsa_kernel
	.section	.text._ZN7rocprim17ROCPRIM_400000_NS6detail17trampoline_kernelINS0_14default_configENS1_35radix_sort_onesweep_config_selectorItNS0_10empty_typeEEEZZNS1_29radix_sort_onesweep_iterationIS3_Lb0EN6thrust23THRUST_200600_302600_NS6detail15normal_iteratorINS9_10device_ptrItEEEESE_PS5_SF_jNS0_19identity_decomposerENS1_16block_id_wrapperIjLb1EEEEE10hipError_tT1_PNSt15iterator_traitsISK_E10value_typeET2_T3_PNSL_ISQ_E10value_typeET4_T5_PSV_SW_PNS1_23onesweep_lookback_stateEbbT6_jjT7_P12ihipStream_tbENKUlT_T0_SK_SP_E_clISE_SE_SF_SF_EEDaS13_S14_SK_SP_EUlS13_E_NS1_11comp_targetILNS1_3genE0ELNS1_11target_archE4294967295ELNS1_3gpuE0ELNS1_3repE0EEENS1_47radix_sort_onesweep_sort_config_static_selectorELNS0_4arch9wavefront6targetE1EEEvSK_,"axG",@progbits,_ZN7rocprim17ROCPRIM_400000_NS6detail17trampoline_kernelINS0_14default_configENS1_35radix_sort_onesweep_config_selectorItNS0_10empty_typeEEEZZNS1_29radix_sort_onesweep_iterationIS3_Lb0EN6thrust23THRUST_200600_302600_NS6detail15normal_iteratorINS9_10device_ptrItEEEESE_PS5_SF_jNS0_19identity_decomposerENS1_16block_id_wrapperIjLb1EEEEE10hipError_tT1_PNSt15iterator_traitsISK_E10value_typeET2_T3_PNSL_ISQ_E10value_typeET4_T5_PSV_SW_PNS1_23onesweep_lookback_stateEbbT6_jjT7_P12ihipStream_tbENKUlT_T0_SK_SP_E_clISE_SE_SF_SF_EEDaS13_S14_SK_SP_EUlS13_E_NS1_11comp_targetILNS1_3genE0ELNS1_11target_archE4294967295ELNS1_3gpuE0ELNS1_3repE0EEENS1_47radix_sort_onesweep_sort_config_static_selectorELNS0_4arch9wavefront6targetE1EEEvSK_,comdat
.Lfunc_end1338:
	.size	_ZN7rocprim17ROCPRIM_400000_NS6detail17trampoline_kernelINS0_14default_configENS1_35radix_sort_onesweep_config_selectorItNS0_10empty_typeEEEZZNS1_29radix_sort_onesweep_iterationIS3_Lb0EN6thrust23THRUST_200600_302600_NS6detail15normal_iteratorINS9_10device_ptrItEEEESE_PS5_SF_jNS0_19identity_decomposerENS1_16block_id_wrapperIjLb1EEEEE10hipError_tT1_PNSt15iterator_traitsISK_E10value_typeET2_T3_PNSL_ISQ_E10value_typeET4_T5_PSV_SW_PNS1_23onesweep_lookback_stateEbbT6_jjT7_P12ihipStream_tbENKUlT_T0_SK_SP_E_clISE_SE_SF_SF_EEDaS13_S14_SK_SP_EUlS13_E_NS1_11comp_targetILNS1_3genE0ELNS1_11target_archE4294967295ELNS1_3gpuE0ELNS1_3repE0EEENS1_47radix_sort_onesweep_sort_config_static_selectorELNS0_4arch9wavefront6targetE1EEEvSK_, .Lfunc_end1338-_ZN7rocprim17ROCPRIM_400000_NS6detail17trampoline_kernelINS0_14default_configENS1_35radix_sort_onesweep_config_selectorItNS0_10empty_typeEEEZZNS1_29radix_sort_onesweep_iterationIS3_Lb0EN6thrust23THRUST_200600_302600_NS6detail15normal_iteratorINS9_10device_ptrItEEEESE_PS5_SF_jNS0_19identity_decomposerENS1_16block_id_wrapperIjLb1EEEEE10hipError_tT1_PNSt15iterator_traitsISK_E10value_typeET2_T3_PNSL_ISQ_E10value_typeET4_T5_PSV_SW_PNS1_23onesweep_lookback_stateEbbT6_jjT7_P12ihipStream_tbENKUlT_T0_SK_SP_E_clISE_SE_SF_SF_EEDaS13_S14_SK_SP_EUlS13_E_NS1_11comp_targetILNS1_3genE0ELNS1_11target_archE4294967295ELNS1_3gpuE0ELNS1_3repE0EEENS1_47radix_sort_onesweep_sort_config_static_selectorELNS0_4arch9wavefront6targetE1EEEvSK_
                                        ; -- End function
	.section	.AMDGPU.csdata,"",@progbits
; Kernel info:
; codeLenInByte = 0
; NumSgprs: 4
; NumVgprs: 0
; NumAgprs: 0
; TotalNumVgprs: 0
; ScratchSize: 0
; MemoryBound: 0
; FloatMode: 240
; IeeeMode: 1
; LDSByteSize: 0 bytes/workgroup (compile time only)
; SGPRBlocks: 0
; VGPRBlocks: 0
; NumSGPRsForWavesPerEU: 4
; NumVGPRsForWavesPerEU: 1
; AccumOffset: 4
; Occupancy: 8
; WaveLimiterHint : 0
; COMPUTE_PGM_RSRC2:SCRATCH_EN: 0
; COMPUTE_PGM_RSRC2:USER_SGPR: 6
; COMPUTE_PGM_RSRC2:TRAP_HANDLER: 0
; COMPUTE_PGM_RSRC2:TGID_X_EN: 1
; COMPUTE_PGM_RSRC2:TGID_Y_EN: 0
; COMPUTE_PGM_RSRC2:TGID_Z_EN: 0
; COMPUTE_PGM_RSRC2:TIDIG_COMP_CNT: 0
; COMPUTE_PGM_RSRC3_GFX90A:ACCUM_OFFSET: 0
; COMPUTE_PGM_RSRC3_GFX90A:TG_SPLIT: 0
	.section	.text._ZN7rocprim17ROCPRIM_400000_NS6detail17trampoline_kernelINS0_14default_configENS1_35radix_sort_onesweep_config_selectorItNS0_10empty_typeEEEZZNS1_29radix_sort_onesweep_iterationIS3_Lb0EN6thrust23THRUST_200600_302600_NS6detail15normal_iteratorINS9_10device_ptrItEEEESE_PS5_SF_jNS0_19identity_decomposerENS1_16block_id_wrapperIjLb1EEEEE10hipError_tT1_PNSt15iterator_traitsISK_E10value_typeET2_T3_PNSL_ISQ_E10value_typeET4_T5_PSV_SW_PNS1_23onesweep_lookback_stateEbbT6_jjT7_P12ihipStream_tbENKUlT_T0_SK_SP_E_clISE_SE_SF_SF_EEDaS13_S14_SK_SP_EUlS13_E_NS1_11comp_targetILNS1_3genE6ELNS1_11target_archE950ELNS1_3gpuE13ELNS1_3repE0EEENS1_47radix_sort_onesweep_sort_config_static_selectorELNS0_4arch9wavefront6targetE1EEEvSK_,"axG",@progbits,_ZN7rocprim17ROCPRIM_400000_NS6detail17trampoline_kernelINS0_14default_configENS1_35radix_sort_onesweep_config_selectorItNS0_10empty_typeEEEZZNS1_29radix_sort_onesweep_iterationIS3_Lb0EN6thrust23THRUST_200600_302600_NS6detail15normal_iteratorINS9_10device_ptrItEEEESE_PS5_SF_jNS0_19identity_decomposerENS1_16block_id_wrapperIjLb1EEEEE10hipError_tT1_PNSt15iterator_traitsISK_E10value_typeET2_T3_PNSL_ISQ_E10value_typeET4_T5_PSV_SW_PNS1_23onesweep_lookback_stateEbbT6_jjT7_P12ihipStream_tbENKUlT_T0_SK_SP_E_clISE_SE_SF_SF_EEDaS13_S14_SK_SP_EUlS13_E_NS1_11comp_targetILNS1_3genE6ELNS1_11target_archE950ELNS1_3gpuE13ELNS1_3repE0EEENS1_47radix_sort_onesweep_sort_config_static_selectorELNS0_4arch9wavefront6targetE1EEEvSK_,comdat
	.protected	_ZN7rocprim17ROCPRIM_400000_NS6detail17trampoline_kernelINS0_14default_configENS1_35radix_sort_onesweep_config_selectorItNS0_10empty_typeEEEZZNS1_29radix_sort_onesweep_iterationIS3_Lb0EN6thrust23THRUST_200600_302600_NS6detail15normal_iteratorINS9_10device_ptrItEEEESE_PS5_SF_jNS0_19identity_decomposerENS1_16block_id_wrapperIjLb1EEEEE10hipError_tT1_PNSt15iterator_traitsISK_E10value_typeET2_T3_PNSL_ISQ_E10value_typeET4_T5_PSV_SW_PNS1_23onesweep_lookback_stateEbbT6_jjT7_P12ihipStream_tbENKUlT_T0_SK_SP_E_clISE_SE_SF_SF_EEDaS13_S14_SK_SP_EUlS13_E_NS1_11comp_targetILNS1_3genE6ELNS1_11target_archE950ELNS1_3gpuE13ELNS1_3repE0EEENS1_47radix_sort_onesweep_sort_config_static_selectorELNS0_4arch9wavefront6targetE1EEEvSK_ ; -- Begin function _ZN7rocprim17ROCPRIM_400000_NS6detail17trampoline_kernelINS0_14default_configENS1_35radix_sort_onesweep_config_selectorItNS0_10empty_typeEEEZZNS1_29radix_sort_onesweep_iterationIS3_Lb0EN6thrust23THRUST_200600_302600_NS6detail15normal_iteratorINS9_10device_ptrItEEEESE_PS5_SF_jNS0_19identity_decomposerENS1_16block_id_wrapperIjLb1EEEEE10hipError_tT1_PNSt15iterator_traitsISK_E10value_typeET2_T3_PNSL_ISQ_E10value_typeET4_T5_PSV_SW_PNS1_23onesweep_lookback_stateEbbT6_jjT7_P12ihipStream_tbENKUlT_T0_SK_SP_E_clISE_SE_SF_SF_EEDaS13_S14_SK_SP_EUlS13_E_NS1_11comp_targetILNS1_3genE6ELNS1_11target_archE950ELNS1_3gpuE13ELNS1_3repE0EEENS1_47radix_sort_onesweep_sort_config_static_selectorELNS0_4arch9wavefront6targetE1EEEvSK_
	.globl	_ZN7rocprim17ROCPRIM_400000_NS6detail17trampoline_kernelINS0_14default_configENS1_35radix_sort_onesweep_config_selectorItNS0_10empty_typeEEEZZNS1_29radix_sort_onesweep_iterationIS3_Lb0EN6thrust23THRUST_200600_302600_NS6detail15normal_iteratorINS9_10device_ptrItEEEESE_PS5_SF_jNS0_19identity_decomposerENS1_16block_id_wrapperIjLb1EEEEE10hipError_tT1_PNSt15iterator_traitsISK_E10value_typeET2_T3_PNSL_ISQ_E10value_typeET4_T5_PSV_SW_PNS1_23onesweep_lookback_stateEbbT6_jjT7_P12ihipStream_tbENKUlT_T0_SK_SP_E_clISE_SE_SF_SF_EEDaS13_S14_SK_SP_EUlS13_E_NS1_11comp_targetILNS1_3genE6ELNS1_11target_archE950ELNS1_3gpuE13ELNS1_3repE0EEENS1_47radix_sort_onesweep_sort_config_static_selectorELNS0_4arch9wavefront6targetE1EEEvSK_
	.p2align	8
	.type	_ZN7rocprim17ROCPRIM_400000_NS6detail17trampoline_kernelINS0_14default_configENS1_35radix_sort_onesweep_config_selectorItNS0_10empty_typeEEEZZNS1_29radix_sort_onesweep_iterationIS3_Lb0EN6thrust23THRUST_200600_302600_NS6detail15normal_iteratorINS9_10device_ptrItEEEESE_PS5_SF_jNS0_19identity_decomposerENS1_16block_id_wrapperIjLb1EEEEE10hipError_tT1_PNSt15iterator_traitsISK_E10value_typeET2_T3_PNSL_ISQ_E10value_typeET4_T5_PSV_SW_PNS1_23onesweep_lookback_stateEbbT6_jjT7_P12ihipStream_tbENKUlT_T0_SK_SP_E_clISE_SE_SF_SF_EEDaS13_S14_SK_SP_EUlS13_E_NS1_11comp_targetILNS1_3genE6ELNS1_11target_archE950ELNS1_3gpuE13ELNS1_3repE0EEENS1_47radix_sort_onesweep_sort_config_static_selectorELNS0_4arch9wavefront6targetE1EEEvSK_,@function
_ZN7rocprim17ROCPRIM_400000_NS6detail17trampoline_kernelINS0_14default_configENS1_35radix_sort_onesweep_config_selectorItNS0_10empty_typeEEEZZNS1_29radix_sort_onesweep_iterationIS3_Lb0EN6thrust23THRUST_200600_302600_NS6detail15normal_iteratorINS9_10device_ptrItEEEESE_PS5_SF_jNS0_19identity_decomposerENS1_16block_id_wrapperIjLb1EEEEE10hipError_tT1_PNSt15iterator_traitsISK_E10value_typeET2_T3_PNSL_ISQ_E10value_typeET4_T5_PSV_SW_PNS1_23onesweep_lookback_stateEbbT6_jjT7_P12ihipStream_tbENKUlT_T0_SK_SP_E_clISE_SE_SF_SF_EEDaS13_S14_SK_SP_EUlS13_E_NS1_11comp_targetILNS1_3genE6ELNS1_11target_archE950ELNS1_3gpuE13ELNS1_3repE0EEENS1_47radix_sort_onesweep_sort_config_static_selectorELNS0_4arch9wavefront6targetE1EEEvSK_: ; @_ZN7rocprim17ROCPRIM_400000_NS6detail17trampoline_kernelINS0_14default_configENS1_35radix_sort_onesweep_config_selectorItNS0_10empty_typeEEEZZNS1_29radix_sort_onesweep_iterationIS3_Lb0EN6thrust23THRUST_200600_302600_NS6detail15normal_iteratorINS9_10device_ptrItEEEESE_PS5_SF_jNS0_19identity_decomposerENS1_16block_id_wrapperIjLb1EEEEE10hipError_tT1_PNSt15iterator_traitsISK_E10value_typeET2_T3_PNSL_ISQ_E10value_typeET4_T5_PSV_SW_PNS1_23onesweep_lookback_stateEbbT6_jjT7_P12ihipStream_tbENKUlT_T0_SK_SP_E_clISE_SE_SF_SF_EEDaS13_S14_SK_SP_EUlS13_E_NS1_11comp_targetILNS1_3genE6ELNS1_11target_archE950ELNS1_3gpuE13ELNS1_3repE0EEENS1_47radix_sort_onesweep_sort_config_static_selectorELNS0_4arch9wavefront6targetE1EEEvSK_
; %bb.0:
	.section	.rodata,"a",@progbits
	.p2align	6, 0x0
	.amdhsa_kernel _ZN7rocprim17ROCPRIM_400000_NS6detail17trampoline_kernelINS0_14default_configENS1_35radix_sort_onesweep_config_selectorItNS0_10empty_typeEEEZZNS1_29radix_sort_onesweep_iterationIS3_Lb0EN6thrust23THRUST_200600_302600_NS6detail15normal_iteratorINS9_10device_ptrItEEEESE_PS5_SF_jNS0_19identity_decomposerENS1_16block_id_wrapperIjLb1EEEEE10hipError_tT1_PNSt15iterator_traitsISK_E10value_typeET2_T3_PNSL_ISQ_E10value_typeET4_T5_PSV_SW_PNS1_23onesweep_lookback_stateEbbT6_jjT7_P12ihipStream_tbENKUlT_T0_SK_SP_E_clISE_SE_SF_SF_EEDaS13_S14_SK_SP_EUlS13_E_NS1_11comp_targetILNS1_3genE6ELNS1_11target_archE950ELNS1_3gpuE13ELNS1_3repE0EEENS1_47radix_sort_onesweep_sort_config_static_selectorELNS0_4arch9wavefront6targetE1EEEvSK_
		.amdhsa_group_segment_fixed_size 0
		.amdhsa_private_segment_fixed_size 0
		.amdhsa_kernarg_size 88
		.amdhsa_user_sgpr_count 6
		.amdhsa_user_sgpr_private_segment_buffer 1
		.amdhsa_user_sgpr_dispatch_ptr 0
		.amdhsa_user_sgpr_queue_ptr 0
		.amdhsa_user_sgpr_kernarg_segment_ptr 1
		.amdhsa_user_sgpr_dispatch_id 0
		.amdhsa_user_sgpr_flat_scratch_init 0
		.amdhsa_user_sgpr_kernarg_preload_length 0
		.amdhsa_user_sgpr_kernarg_preload_offset 0
		.amdhsa_user_sgpr_private_segment_size 0
		.amdhsa_uses_dynamic_stack 0
		.amdhsa_system_sgpr_private_segment_wavefront_offset 0
		.amdhsa_system_sgpr_workgroup_id_x 1
		.amdhsa_system_sgpr_workgroup_id_y 0
		.amdhsa_system_sgpr_workgroup_id_z 0
		.amdhsa_system_sgpr_workgroup_info 0
		.amdhsa_system_vgpr_workitem_id 0
		.amdhsa_next_free_vgpr 1
		.amdhsa_next_free_sgpr 0
		.amdhsa_accum_offset 4
		.amdhsa_reserve_vcc 0
		.amdhsa_reserve_flat_scratch 0
		.amdhsa_float_round_mode_32 0
		.amdhsa_float_round_mode_16_64 0
		.amdhsa_float_denorm_mode_32 3
		.amdhsa_float_denorm_mode_16_64 3
		.amdhsa_dx10_clamp 1
		.amdhsa_ieee_mode 1
		.amdhsa_fp16_overflow 0
		.amdhsa_tg_split 0
		.amdhsa_exception_fp_ieee_invalid_op 0
		.amdhsa_exception_fp_denorm_src 0
		.amdhsa_exception_fp_ieee_div_zero 0
		.amdhsa_exception_fp_ieee_overflow 0
		.amdhsa_exception_fp_ieee_underflow 0
		.amdhsa_exception_fp_ieee_inexact 0
		.amdhsa_exception_int_div_zero 0
	.end_amdhsa_kernel
	.section	.text._ZN7rocprim17ROCPRIM_400000_NS6detail17trampoline_kernelINS0_14default_configENS1_35radix_sort_onesweep_config_selectorItNS0_10empty_typeEEEZZNS1_29radix_sort_onesweep_iterationIS3_Lb0EN6thrust23THRUST_200600_302600_NS6detail15normal_iteratorINS9_10device_ptrItEEEESE_PS5_SF_jNS0_19identity_decomposerENS1_16block_id_wrapperIjLb1EEEEE10hipError_tT1_PNSt15iterator_traitsISK_E10value_typeET2_T3_PNSL_ISQ_E10value_typeET4_T5_PSV_SW_PNS1_23onesweep_lookback_stateEbbT6_jjT7_P12ihipStream_tbENKUlT_T0_SK_SP_E_clISE_SE_SF_SF_EEDaS13_S14_SK_SP_EUlS13_E_NS1_11comp_targetILNS1_3genE6ELNS1_11target_archE950ELNS1_3gpuE13ELNS1_3repE0EEENS1_47radix_sort_onesweep_sort_config_static_selectorELNS0_4arch9wavefront6targetE1EEEvSK_,"axG",@progbits,_ZN7rocprim17ROCPRIM_400000_NS6detail17trampoline_kernelINS0_14default_configENS1_35radix_sort_onesweep_config_selectorItNS0_10empty_typeEEEZZNS1_29radix_sort_onesweep_iterationIS3_Lb0EN6thrust23THRUST_200600_302600_NS6detail15normal_iteratorINS9_10device_ptrItEEEESE_PS5_SF_jNS0_19identity_decomposerENS1_16block_id_wrapperIjLb1EEEEE10hipError_tT1_PNSt15iterator_traitsISK_E10value_typeET2_T3_PNSL_ISQ_E10value_typeET4_T5_PSV_SW_PNS1_23onesweep_lookback_stateEbbT6_jjT7_P12ihipStream_tbENKUlT_T0_SK_SP_E_clISE_SE_SF_SF_EEDaS13_S14_SK_SP_EUlS13_E_NS1_11comp_targetILNS1_3genE6ELNS1_11target_archE950ELNS1_3gpuE13ELNS1_3repE0EEENS1_47radix_sort_onesweep_sort_config_static_selectorELNS0_4arch9wavefront6targetE1EEEvSK_,comdat
.Lfunc_end1339:
	.size	_ZN7rocprim17ROCPRIM_400000_NS6detail17trampoline_kernelINS0_14default_configENS1_35radix_sort_onesweep_config_selectorItNS0_10empty_typeEEEZZNS1_29radix_sort_onesweep_iterationIS3_Lb0EN6thrust23THRUST_200600_302600_NS6detail15normal_iteratorINS9_10device_ptrItEEEESE_PS5_SF_jNS0_19identity_decomposerENS1_16block_id_wrapperIjLb1EEEEE10hipError_tT1_PNSt15iterator_traitsISK_E10value_typeET2_T3_PNSL_ISQ_E10value_typeET4_T5_PSV_SW_PNS1_23onesweep_lookback_stateEbbT6_jjT7_P12ihipStream_tbENKUlT_T0_SK_SP_E_clISE_SE_SF_SF_EEDaS13_S14_SK_SP_EUlS13_E_NS1_11comp_targetILNS1_3genE6ELNS1_11target_archE950ELNS1_3gpuE13ELNS1_3repE0EEENS1_47radix_sort_onesweep_sort_config_static_selectorELNS0_4arch9wavefront6targetE1EEEvSK_, .Lfunc_end1339-_ZN7rocprim17ROCPRIM_400000_NS6detail17trampoline_kernelINS0_14default_configENS1_35radix_sort_onesweep_config_selectorItNS0_10empty_typeEEEZZNS1_29radix_sort_onesweep_iterationIS3_Lb0EN6thrust23THRUST_200600_302600_NS6detail15normal_iteratorINS9_10device_ptrItEEEESE_PS5_SF_jNS0_19identity_decomposerENS1_16block_id_wrapperIjLb1EEEEE10hipError_tT1_PNSt15iterator_traitsISK_E10value_typeET2_T3_PNSL_ISQ_E10value_typeET4_T5_PSV_SW_PNS1_23onesweep_lookback_stateEbbT6_jjT7_P12ihipStream_tbENKUlT_T0_SK_SP_E_clISE_SE_SF_SF_EEDaS13_S14_SK_SP_EUlS13_E_NS1_11comp_targetILNS1_3genE6ELNS1_11target_archE950ELNS1_3gpuE13ELNS1_3repE0EEENS1_47radix_sort_onesweep_sort_config_static_selectorELNS0_4arch9wavefront6targetE1EEEvSK_
                                        ; -- End function
	.section	.AMDGPU.csdata,"",@progbits
; Kernel info:
; codeLenInByte = 0
; NumSgprs: 4
; NumVgprs: 0
; NumAgprs: 0
; TotalNumVgprs: 0
; ScratchSize: 0
; MemoryBound: 0
; FloatMode: 240
; IeeeMode: 1
; LDSByteSize: 0 bytes/workgroup (compile time only)
; SGPRBlocks: 0
; VGPRBlocks: 0
; NumSGPRsForWavesPerEU: 4
; NumVGPRsForWavesPerEU: 1
; AccumOffset: 4
; Occupancy: 8
; WaveLimiterHint : 0
; COMPUTE_PGM_RSRC2:SCRATCH_EN: 0
; COMPUTE_PGM_RSRC2:USER_SGPR: 6
; COMPUTE_PGM_RSRC2:TRAP_HANDLER: 0
; COMPUTE_PGM_RSRC2:TGID_X_EN: 1
; COMPUTE_PGM_RSRC2:TGID_Y_EN: 0
; COMPUTE_PGM_RSRC2:TGID_Z_EN: 0
; COMPUTE_PGM_RSRC2:TIDIG_COMP_CNT: 0
; COMPUTE_PGM_RSRC3_GFX90A:ACCUM_OFFSET: 0
; COMPUTE_PGM_RSRC3_GFX90A:TG_SPLIT: 0
	.section	.text._ZN7rocprim17ROCPRIM_400000_NS6detail17trampoline_kernelINS0_14default_configENS1_35radix_sort_onesweep_config_selectorItNS0_10empty_typeEEEZZNS1_29radix_sort_onesweep_iterationIS3_Lb0EN6thrust23THRUST_200600_302600_NS6detail15normal_iteratorINS9_10device_ptrItEEEESE_PS5_SF_jNS0_19identity_decomposerENS1_16block_id_wrapperIjLb1EEEEE10hipError_tT1_PNSt15iterator_traitsISK_E10value_typeET2_T3_PNSL_ISQ_E10value_typeET4_T5_PSV_SW_PNS1_23onesweep_lookback_stateEbbT6_jjT7_P12ihipStream_tbENKUlT_T0_SK_SP_E_clISE_SE_SF_SF_EEDaS13_S14_SK_SP_EUlS13_E_NS1_11comp_targetILNS1_3genE5ELNS1_11target_archE942ELNS1_3gpuE9ELNS1_3repE0EEENS1_47radix_sort_onesweep_sort_config_static_selectorELNS0_4arch9wavefront6targetE1EEEvSK_,"axG",@progbits,_ZN7rocprim17ROCPRIM_400000_NS6detail17trampoline_kernelINS0_14default_configENS1_35radix_sort_onesweep_config_selectorItNS0_10empty_typeEEEZZNS1_29radix_sort_onesweep_iterationIS3_Lb0EN6thrust23THRUST_200600_302600_NS6detail15normal_iteratorINS9_10device_ptrItEEEESE_PS5_SF_jNS0_19identity_decomposerENS1_16block_id_wrapperIjLb1EEEEE10hipError_tT1_PNSt15iterator_traitsISK_E10value_typeET2_T3_PNSL_ISQ_E10value_typeET4_T5_PSV_SW_PNS1_23onesweep_lookback_stateEbbT6_jjT7_P12ihipStream_tbENKUlT_T0_SK_SP_E_clISE_SE_SF_SF_EEDaS13_S14_SK_SP_EUlS13_E_NS1_11comp_targetILNS1_3genE5ELNS1_11target_archE942ELNS1_3gpuE9ELNS1_3repE0EEENS1_47radix_sort_onesweep_sort_config_static_selectorELNS0_4arch9wavefront6targetE1EEEvSK_,comdat
	.protected	_ZN7rocprim17ROCPRIM_400000_NS6detail17trampoline_kernelINS0_14default_configENS1_35radix_sort_onesweep_config_selectorItNS0_10empty_typeEEEZZNS1_29radix_sort_onesweep_iterationIS3_Lb0EN6thrust23THRUST_200600_302600_NS6detail15normal_iteratorINS9_10device_ptrItEEEESE_PS5_SF_jNS0_19identity_decomposerENS1_16block_id_wrapperIjLb1EEEEE10hipError_tT1_PNSt15iterator_traitsISK_E10value_typeET2_T3_PNSL_ISQ_E10value_typeET4_T5_PSV_SW_PNS1_23onesweep_lookback_stateEbbT6_jjT7_P12ihipStream_tbENKUlT_T0_SK_SP_E_clISE_SE_SF_SF_EEDaS13_S14_SK_SP_EUlS13_E_NS1_11comp_targetILNS1_3genE5ELNS1_11target_archE942ELNS1_3gpuE9ELNS1_3repE0EEENS1_47radix_sort_onesweep_sort_config_static_selectorELNS0_4arch9wavefront6targetE1EEEvSK_ ; -- Begin function _ZN7rocprim17ROCPRIM_400000_NS6detail17trampoline_kernelINS0_14default_configENS1_35radix_sort_onesweep_config_selectorItNS0_10empty_typeEEEZZNS1_29radix_sort_onesweep_iterationIS3_Lb0EN6thrust23THRUST_200600_302600_NS6detail15normal_iteratorINS9_10device_ptrItEEEESE_PS5_SF_jNS0_19identity_decomposerENS1_16block_id_wrapperIjLb1EEEEE10hipError_tT1_PNSt15iterator_traitsISK_E10value_typeET2_T3_PNSL_ISQ_E10value_typeET4_T5_PSV_SW_PNS1_23onesweep_lookback_stateEbbT6_jjT7_P12ihipStream_tbENKUlT_T0_SK_SP_E_clISE_SE_SF_SF_EEDaS13_S14_SK_SP_EUlS13_E_NS1_11comp_targetILNS1_3genE5ELNS1_11target_archE942ELNS1_3gpuE9ELNS1_3repE0EEENS1_47radix_sort_onesweep_sort_config_static_selectorELNS0_4arch9wavefront6targetE1EEEvSK_
	.globl	_ZN7rocprim17ROCPRIM_400000_NS6detail17trampoline_kernelINS0_14default_configENS1_35radix_sort_onesweep_config_selectorItNS0_10empty_typeEEEZZNS1_29radix_sort_onesweep_iterationIS3_Lb0EN6thrust23THRUST_200600_302600_NS6detail15normal_iteratorINS9_10device_ptrItEEEESE_PS5_SF_jNS0_19identity_decomposerENS1_16block_id_wrapperIjLb1EEEEE10hipError_tT1_PNSt15iterator_traitsISK_E10value_typeET2_T3_PNSL_ISQ_E10value_typeET4_T5_PSV_SW_PNS1_23onesweep_lookback_stateEbbT6_jjT7_P12ihipStream_tbENKUlT_T0_SK_SP_E_clISE_SE_SF_SF_EEDaS13_S14_SK_SP_EUlS13_E_NS1_11comp_targetILNS1_3genE5ELNS1_11target_archE942ELNS1_3gpuE9ELNS1_3repE0EEENS1_47radix_sort_onesweep_sort_config_static_selectorELNS0_4arch9wavefront6targetE1EEEvSK_
	.p2align	8
	.type	_ZN7rocprim17ROCPRIM_400000_NS6detail17trampoline_kernelINS0_14default_configENS1_35radix_sort_onesweep_config_selectorItNS0_10empty_typeEEEZZNS1_29radix_sort_onesweep_iterationIS3_Lb0EN6thrust23THRUST_200600_302600_NS6detail15normal_iteratorINS9_10device_ptrItEEEESE_PS5_SF_jNS0_19identity_decomposerENS1_16block_id_wrapperIjLb1EEEEE10hipError_tT1_PNSt15iterator_traitsISK_E10value_typeET2_T3_PNSL_ISQ_E10value_typeET4_T5_PSV_SW_PNS1_23onesweep_lookback_stateEbbT6_jjT7_P12ihipStream_tbENKUlT_T0_SK_SP_E_clISE_SE_SF_SF_EEDaS13_S14_SK_SP_EUlS13_E_NS1_11comp_targetILNS1_3genE5ELNS1_11target_archE942ELNS1_3gpuE9ELNS1_3repE0EEENS1_47radix_sort_onesweep_sort_config_static_selectorELNS0_4arch9wavefront6targetE1EEEvSK_,@function
_ZN7rocprim17ROCPRIM_400000_NS6detail17trampoline_kernelINS0_14default_configENS1_35radix_sort_onesweep_config_selectorItNS0_10empty_typeEEEZZNS1_29radix_sort_onesweep_iterationIS3_Lb0EN6thrust23THRUST_200600_302600_NS6detail15normal_iteratorINS9_10device_ptrItEEEESE_PS5_SF_jNS0_19identity_decomposerENS1_16block_id_wrapperIjLb1EEEEE10hipError_tT1_PNSt15iterator_traitsISK_E10value_typeET2_T3_PNSL_ISQ_E10value_typeET4_T5_PSV_SW_PNS1_23onesweep_lookback_stateEbbT6_jjT7_P12ihipStream_tbENKUlT_T0_SK_SP_E_clISE_SE_SF_SF_EEDaS13_S14_SK_SP_EUlS13_E_NS1_11comp_targetILNS1_3genE5ELNS1_11target_archE942ELNS1_3gpuE9ELNS1_3repE0EEENS1_47radix_sort_onesweep_sort_config_static_selectorELNS0_4arch9wavefront6targetE1EEEvSK_: ; @_ZN7rocprim17ROCPRIM_400000_NS6detail17trampoline_kernelINS0_14default_configENS1_35radix_sort_onesweep_config_selectorItNS0_10empty_typeEEEZZNS1_29radix_sort_onesweep_iterationIS3_Lb0EN6thrust23THRUST_200600_302600_NS6detail15normal_iteratorINS9_10device_ptrItEEEESE_PS5_SF_jNS0_19identity_decomposerENS1_16block_id_wrapperIjLb1EEEEE10hipError_tT1_PNSt15iterator_traitsISK_E10value_typeET2_T3_PNSL_ISQ_E10value_typeET4_T5_PSV_SW_PNS1_23onesweep_lookback_stateEbbT6_jjT7_P12ihipStream_tbENKUlT_T0_SK_SP_E_clISE_SE_SF_SF_EEDaS13_S14_SK_SP_EUlS13_E_NS1_11comp_targetILNS1_3genE5ELNS1_11target_archE942ELNS1_3gpuE9ELNS1_3repE0EEENS1_47radix_sort_onesweep_sort_config_static_selectorELNS0_4arch9wavefront6targetE1EEEvSK_
; %bb.0:
	.section	.rodata,"a",@progbits
	.p2align	6, 0x0
	.amdhsa_kernel _ZN7rocprim17ROCPRIM_400000_NS6detail17trampoline_kernelINS0_14default_configENS1_35radix_sort_onesweep_config_selectorItNS0_10empty_typeEEEZZNS1_29radix_sort_onesweep_iterationIS3_Lb0EN6thrust23THRUST_200600_302600_NS6detail15normal_iteratorINS9_10device_ptrItEEEESE_PS5_SF_jNS0_19identity_decomposerENS1_16block_id_wrapperIjLb1EEEEE10hipError_tT1_PNSt15iterator_traitsISK_E10value_typeET2_T3_PNSL_ISQ_E10value_typeET4_T5_PSV_SW_PNS1_23onesweep_lookback_stateEbbT6_jjT7_P12ihipStream_tbENKUlT_T0_SK_SP_E_clISE_SE_SF_SF_EEDaS13_S14_SK_SP_EUlS13_E_NS1_11comp_targetILNS1_3genE5ELNS1_11target_archE942ELNS1_3gpuE9ELNS1_3repE0EEENS1_47radix_sort_onesweep_sort_config_static_selectorELNS0_4arch9wavefront6targetE1EEEvSK_
		.amdhsa_group_segment_fixed_size 0
		.amdhsa_private_segment_fixed_size 0
		.amdhsa_kernarg_size 88
		.amdhsa_user_sgpr_count 6
		.amdhsa_user_sgpr_private_segment_buffer 1
		.amdhsa_user_sgpr_dispatch_ptr 0
		.amdhsa_user_sgpr_queue_ptr 0
		.amdhsa_user_sgpr_kernarg_segment_ptr 1
		.amdhsa_user_sgpr_dispatch_id 0
		.amdhsa_user_sgpr_flat_scratch_init 0
		.amdhsa_user_sgpr_kernarg_preload_length 0
		.amdhsa_user_sgpr_kernarg_preload_offset 0
		.amdhsa_user_sgpr_private_segment_size 0
		.amdhsa_uses_dynamic_stack 0
		.amdhsa_system_sgpr_private_segment_wavefront_offset 0
		.amdhsa_system_sgpr_workgroup_id_x 1
		.amdhsa_system_sgpr_workgroup_id_y 0
		.amdhsa_system_sgpr_workgroup_id_z 0
		.amdhsa_system_sgpr_workgroup_info 0
		.amdhsa_system_vgpr_workitem_id 0
		.amdhsa_next_free_vgpr 1
		.amdhsa_next_free_sgpr 0
		.amdhsa_accum_offset 4
		.amdhsa_reserve_vcc 0
		.amdhsa_reserve_flat_scratch 0
		.amdhsa_float_round_mode_32 0
		.amdhsa_float_round_mode_16_64 0
		.amdhsa_float_denorm_mode_32 3
		.amdhsa_float_denorm_mode_16_64 3
		.amdhsa_dx10_clamp 1
		.amdhsa_ieee_mode 1
		.amdhsa_fp16_overflow 0
		.amdhsa_tg_split 0
		.amdhsa_exception_fp_ieee_invalid_op 0
		.amdhsa_exception_fp_denorm_src 0
		.amdhsa_exception_fp_ieee_div_zero 0
		.amdhsa_exception_fp_ieee_overflow 0
		.amdhsa_exception_fp_ieee_underflow 0
		.amdhsa_exception_fp_ieee_inexact 0
		.amdhsa_exception_int_div_zero 0
	.end_amdhsa_kernel
	.section	.text._ZN7rocprim17ROCPRIM_400000_NS6detail17trampoline_kernelINS0_14default_configENS1_35radix_sort_onesweep_config_selectorItNS0_10empty_typeEEEZZNS1_29radix_sort_onesweep_iterationIS3_Lb0EN6thrust23THRUST_200600_302600_NS6detail15normal_iteratorINS9_10device_ptrItEEEESE_PS5_SF_jNS0_19identity_decomposerENS1_16block_id_wrapperIjLb1EEEEE10hipError_tT1_PNSt15iterator_traitsISK_E10value_typeET2_T3_PNSL_ISQ_E10value_typeET4_T5_PSV_SW_PNS1_23onesweep_lookback_stateEbbT6_jjT7_P12ihipStream_tbENKUlT_T0_SK_SP_E_clISE_SE_SF_SF_EEDaS13_S14_SK_SP_EUlS13_E_NS1_11comp_targetILNS1_3genE5ELNS1_11target_archE942ELNS1_3gpuE9ELNS1_3repE0EEENS1_47radix_sort_onesweep_sort_config_static_selectorELNS0_4arch9wavefront6targetE1EEEvSK_,"axG",@progbits,_ZN7rocprim17ROCPRIM_400000_NS6detail17trampoline_kernelINS0_14default_configENS1_35radix_sort_onesweep_config_selectorItNS0_10empty_typeEEEZZNS1_29radix_sort_onesweep_iterationIS3_Lb0EN6thrust23THRUST_200600_302600_NS6detail15normal_iteratorINS9_10device_ptrItEEEESE_PS5_SF_jNS0_19identity_decomposerENS1_16block_id_wrapperIjLb1EEEEE10hipError_tT1_PNSt15iterator_traitsISK_E10value_typeET2_T3_PNSL_ISQ_E10value_typeET4_T5_PSV_SW_PNS1_23onesweep_lookback_stateEbbT6_jjT7_P12ihipStream_tbENKUlT_T0_SK_SP_E_clISE_SE_SF_SF_EEDaS13_S14_SK_SP_EUlS13_E_NS1_11comp_targetILNS1_3genE5ELNS1_11target_archE942ELNS1_3gpuE9ELNS1_3repE0EEENS1_47radix_sort_onesweep_sort_config_static_selectorELNS0_4arch9wavefront6targetE1EEEvSK_,comdat
.Lfunc_end1340:
	.size	_ZN7rocprim17ROCPRIM_400000_NS6detail17trampoline_kernelINS0_14default_configENS1_35radix_sort_onesweep_config_selectorItNS0_10empty_typeEEEZZNS1_29radix_sort_onesweep_iterationIS3_Lb0EN6thrust23THRUST_200600_302600_NS6detail15normal_iteratorINS9_10device_ptrItEEEESE_PS5_SF_jNS0_19identity_decomposerENS1_16block_id_wrapperIjLb1EEEEE10hipError_tT1_PNSt15iterator_traitsISK_E10value_typeET2_T3_PNSL_ISQ_E10value_typeET4_T5_PSV_SW_PNS1_23onesweep_lookback_stateEbbT6_jjT7_P12ihipStream_tbENKUlT_T0_SK_SP_E_clISE_SE_SF_SF_EEDaS13_S14_SK_SP_EUlS13_E_NS1_11comp_targetILNS1_3genE5ELNS1_11target_archE942ELNS1_3gpuE9ELNS1_3repE0EEENS1_47radix_sort_onesweep_sort_config_static_selectorELNS0_4arch9wavefront6targetE1EEEvSK_, .Lfunc_end1340-_ZN7rocprim17ROCPRIM_400000_NS6detail17trampoline_kernelINS0_14default_configENS1_35radix_sort_onesweep_config_selectorItNS0_10empty_typeEEEZZNS1_29radix_sort_onesweep_iterationIS3_Lb0EN6thrust23THRUST_200600_302600_NS6detail15normal_iteratorINS9_10device_ptrItEEEESE_PS5_SF_jNS0_19identity_decomposerENS1_16block_id_wrapperIjLb1EEEEE10hipError_tT1_PNSt15iterator_traitsISK_E10value_typeET2_T3_PNSL_ISQ_E10value_typeET4_T5_PSV_SW_PNS1_23onesweep_lookback_stateEbbT6_jjT7_P12ihipStream_tbENKUlT_T0_SK_SP_E_clISE_SE_SF_SF_EEDaS13_S14_SK_SP_EUlS13_E_NS1_11comp_targetILNS1_3genE5ELNS1_11target_archE942ELNS1_3gpuE9ELNS1_3repE0EEENS1_47radix_sort_onesweep_sort_config_static_selectorELNS0_4arch9wavefront6targetE1EEEvSK_
                                        ; -- End function
	.section	.AMDGPU.csdata,"",@progbits
; Kernel info:
; codeLenInByte = 0
; NumSgprs: 4
; NumVgprs: 0
; NumAgprs: 0
; TotalNumVgprs: 0
; ScratchSize: 0
; MemoryBound: 0
; FloatMode: 240
; IeeeMode: 1
; LDSByteSize: 0 bytes/workgroup (compile time only)
; SGPRBlocks: 0
; VGPRBlocks: 0
; NumSGPRsForWavesPerEU: 4
; NumVGPRsForWavesPerEU: 1
; AccumOffset: 4
; Occupancy: 8
; WaveLimiterHint : 0
; COMPUTE_PGM_RSRC2:SCRATCH_EN: 0
; COMPUTE_PGM_RSRC2:USER_SGPR: 6
; COMPUTE_PGM_RSRC2:TRAP_HANDLER: 0
; COMPUTE_PGM_RSRC2:TGID_X_EN: 1
; COMPUTE_PGM_RSRC2:TGID_Y_EN: 0
; COMPUTE_PGM_RSRC2:TGID_Z_EN: 0
; COMPUTE_PGM_RSRC2:TIDIG_COMP_CNT: 0
; COMPUTE_PGM_RSRC3_GFX90A:ACCUM_OFFSET: 0
; COMPUTE_PGM_RSRC3_GFX90A:TG_SPLIT: 0
	.section	.text._ZN7rocprim17ROCPRIM_400000_NS6detail17trampoline_kernelINS0_14default_configENS1_35radix_sort_onesweep_config_selectorItNS0_10empty_typeEEEZZNS1_29radix_sort_onesweep_iterationIS3_Lb0EN6thrust23THRUST_200600_302600_NS6detail15normal_iteratorINS9_10device_ptrItEEEESE_PS5_SF_jNS0_19identity_decomposerENS1_16block_id_wrapperIjLb1EEEEE10hipError_tT1_PNSt15iterator_traitsISK_E10value_typeET2_T3_PNSL_ISQ_E10value_typeET4_T5_PSV_SW_PNS1_23onesweep_lookback_stateEbbT6_jjT7_P12ihipStream_tbENKUlT_T0_SK_SP_E_clISE_SE_SF_SF_EEDaS13_S14_SK_SP_EUlS13_E_NS1_11comp_targetILNS1_3genE2ELNS1_11target_archE906ELNS1_3gpuE6ELNS1_3repE0EEENS1_47radix_sort_onesweep_sort_config_static_selectorELNS0_4arch9wavefront6targetE1EEEvSK_,"axG",@progbits,_ZN7rocprim17ROCPRIM_400000_NS6detail17trampoline_kernelINS0_14default_configENS1_35radix_sort_onesweep_config_selectorItNS0_10empty_typeEEEZZNS1_29radix_sort_onesweep_iterationIS3_Lb0EN6thrust23THRUST_200600_302600_NS6detail15normal_iteratorINS9_10device_ptrItEEEESE_PS5_SF_jNS0_19identity_decomposerENS1_16block_id_wrapperIjLb1EEEEE10hipError_tT1_PNSt15iterator_traitsISK_E10value_typeET2_T3_PNSL_ISQ_E10value_typeET4_T5_PSV_SW_PNS1_23onesweep_lookback_stateEbbT6_jjT7_P12ihipStream_tbENKUlT_T0_SK_SP_E_clISE_SE_SF_SF_EEDaS13_S14_SK_SP_EUlS13_E_NS1_11comp_targetILNS1_3genE2ELNS1_11target_archE906ELNS1_3gpuE6ELNS1_3repE0EEENS1_47radix_sort_onesweep_sort_config_static_selectorELNS0_4arch9wavefront6targetE1EEEvSK_,comdat
	.protected	_ZN7rocprim17ROCPRIM_400000_NS6detail17trampoline_kernelINS0_14default_configENS1_35radix_sort_onesweep_config_selectorItNS0_10empty_typeEEEZZNS1_29radix_sort_onesweep_iterationIS3_Lb0EN6thrust23THRUST_200600_302600_NS6detail15normal_iteratorINS9_10device_ptrItEEEESE_PS5_SF_jNS0_19identity_decomposerENS1_16block_id_wrapperIjLb1EEEEE10hipError_tT1_PNSt15iterator_traitsISK_E10value_typeET2_T3_PNSL_ISQ_E10value_typeET4_T5_PSV_SW_PNS1_23onesweep_lookback_stateEbbT6_jjT7_P12ihipStream_tbENKUlT_T0_SK_SP_E_clISE_SE_SF_SF_EEDaS13_S14_SK_SP_EUlS13_E_NS1_11comp_targetILNS1_3genE2ELNS1_11target_archE906ELNS1_3gpuE6ELNS1_3repE0EEENS1_47radix_sort_onesweep_sort_config_static_selectorELNS0_4arch9wavefront6targetE1EEEvSK_ ; -- Begin function _ZN7rocprim17ROCPRIM_400000_NS6detail17trampoline_kernelINS0_14default_configENS1_35radix_sort_onesweep_config_selectorItNS0_10empty_typeEEEZZNS1_29radix_sort_onesweep_iterationIS3_Lb0EN6thrust23THRUST_200600_302600_NS6detail15normal_iteratorINS9_10device_ptrItEEEESE_PS5_SF_jNS0_19identity_decomposerENS1_16block_id_wrapperIjLb1EEEEE10hipError_tT1_PNSt15iterator_traitsISK_E10value_typeET2_T3_PNSL_ISQ_E10value_typeET4_T5_PSV_SW_PNS1_23onesweep_lookback_stateEbbT6_jjT7_P12ihipStream_tbENKUlT_T0_SK_SP_E_clISE_SE_SF_SF_EEDaS13_S14_SK_SP_EUlS13_E_NS1_11comp_targetILNS1_3genE2ELNS1_11target_archE906ELNS1_3gpuE6ELNS1_3repE0EEENS1_47radix_sort_onesweep_sort_config_static_selectorELNS0_4arch9wavefront6targetE1EEEvSK_
	.globl	_ZN7rocprim17ROCPRIM_400000_NS6detail17trampoline_kernelINS0_14default_configENS1_35radix_sort_onesweep_config_selectorItNS0_10empty_typeEEEZZNS1_29radix_sort_onesweep_iterationIS3_Lb0EN6thrust23THRUST_200600_302600_NS6detail15normal_iteratorINS9_10device_ptrItEEEESE_PS5_SF_jNS0_19identity_decomposerENS1_16block_id_wrapperIjLb1EEEEE10hipError_tT1_PNSt15iterator_traitsISK_E10value_typeET2_T3_PNSL_ISQ_E10value_typeET4_T5_PSV_SW_PNS1_23onesweep_lookback_stateEbbT6_jjT7_P12ihipStream_tbENKUlT_T0_SK_SP_E_clISE_SE_SF_SF_EEDaS13_S14_SK_SP_EUlS13_E_NS1_11comp_targetILNS1_3genE2ELNS1_11target_archE906ELNS1_3gpuE6ELNS1_3repE0EEENS1_47radix_sort_onesweep_sort_config_static_selectorELNS0_4arch9wavefront6targetE1EEEvSK_
	.p2align	8
	.type	_ZN7rocprim17ROCPRIM_400000_NS6detail17trampoline_kernelINS0_14default_configENS1_35radix_sort_onesweep_config_selectorItNS0_10empty_typeEEEZZNS1_29radix_sort_onesweep_iterationIS3_Lb0EN6thrust23THRUST_200600_302600_NS6detail15normal_iteratorINS9_10device_ptrItEEEESE_PS5_SF_jNS0_19identity_decomposerENS1_16block_id_wrapperIjLb1EEEEE10hipError_tT1_PNSt15iterator_traitsISK_E10value_typeET2_T3_PNSL_ISQ_E10value_typeET4_T5_PSV_SW_PNS1_23onesweep_lookback_stateEbbT6_jjT7_P12ihipStream_tbENKUlT_T0_SK_SP_E_clISE_SE_SF_SF_EEDaS13_S14_SK_SP_EUlS13_E_NS1_11comp_targetILNS1_3genE2ELNS1_11target_archE906ELNS1_3gpuE6ELNS1_3repE0EEENS1_47radix_sort_onesweep_sort_config_static_selectorELNS0_4arch9wavefront6targetE1EEEvSK_,@function
_ZN7rocprim17ROCPRIM_400000_NS6detail17trampoline_kernelINS0_14default_configENS1_35radix_sort_onesweep_config_selectorItNS0_10empty_typeEEEZZNS1_29radix_sort_onesweep_iterationIS3_Lb0EN6thrust23THRUST_200600_302600_NS6detail15normal_iteratorINS9_10device_ptrItEEEESE_PS5_SF_jNS0_19identity_decomposerENS1_16block_id_wrapperIjLb1EEEEE10hipError_tT1_PNSt15iterator_traitsISK_E10value_typeET2_T3_PNSL_ISQ_E10value_typeET4_T5_PSV_SW_PNS1_23onesweep_lookback_stateEbbT6_jjT7_P12ihipStream_tbENKUlT_T0_SK_SP_E_clISE_SE_SF_SF_EEDaS13_S14_SK_SP_EUlS13_E_NS1_11comp_targetILNS1_3genE2ELNS1_11target_archE906ELNS1_3gpuE6ELNS1_3repE0EEENS1_47radix_sort_onesweep_sort_config_static_selectorELNS0_4arch9wavefront6targetE1EEEvSK_: ; @_ZN7rocprim17ROCPRIM_400000_NS6detail17trampoline_kernelINS0_14default_configENS1_35radix_sort_onesweep_config_selectorItNS0_10empty_typeEEEZZNS1_29radix_sort_onesweep_iterationIS3_Lb0EN6thrust23THRUST_200600_302600_NS6detail15normal_iteratorINS9_10device_ptrItEEEESE_PS5_SF_jNS0_19identity_decomposerENS1_16block_id_wrapperIjLb1EEEEE10hipError_tT1_PNSt15iterator_traitsISK_E10value_typeET2_T3_PNSL_ISQ_E10value_typeET4_T5_PSV_SW_PNS1_23onesweep_lookback_stateEbbT6_jjT7_P12ihipStream_tbENKUlT_T0_SK_SP_E_clISE_SE_SF_SF_EEDaS13_S14_SK_SP_EUlS13_E_NS1_11comp_targetILNS1_3genE2ELNS1_11target_archE906ELNS1_3gpuE6ELNS1_3repE0EEENS1_47radix_sort_onesweep_sort_config_static_selectorELNS0_4arch9wavefront6targetE1EEEvSK_
; %bb.0:
	.section	.rodata,"a",@progbits
	.p2align	6, 0x0
	.amdhsa_kernel _ZN7rocprim17ROCPRIM_400000_NS6detail17trampoline_kernelINS0_14default_configENS1_35radix_sort_onesweep_config_selectorItNS0_10empty_typeEEEZZNS1_29radix_sort_onesweep_iterationIS3_Lb0EN6thrust23THRUST_200600_302600_NS6detail15normal_iteratorINS9_10device_ptrItEEEESE_PS5_SF_jNS0_19identity_decomposerENS1_16block_id_wrapperIjLb1EEEEE10hipError_tT1_PNSt15iterator_traitsISK_E10value_typeET2_T3_PNSL_ISQ_E10value_typeET4_T5_PSV_SW_PNS1_23onesweep_lookback_stateEbbT6_jjT7_P12ihipStream_tbENKUlT_T0_SK_SP_E_clISE_SE_SF_SF_EEDaS13_S14_SK_SP_EUlS13_E_NS1_11comp_targetILNS1_3genE2ELNS1_11target_archE906ELNS1_3gpuE6ELNS1_3repE0EEENS1_47radix_sort_onesweep_sort_config_static_selectorELNS0_4arch9wavefront6targetE1EEEvSK_
		.amdhsa_group_segment_fixed_size 0
		.amdhsa_private_segment_fixed_size 0
		.amdhsa_kernarg_size 88
		.amdhsa_user_sgpr_count 6
		.amdhsa_user_sgpr_private_segment_buffer 1
		.amdhsa_user_sgpr_dispatch_ptr 0
		.amdhsa_user_sgpr_queue_ptr 0
		.amdhsa_user_sgpr_kernarg_segment_ptr 1
		.amdhsa_user_sgpr_dispatch_id 0
		.amdhsa_user_sgpr_flat_scratch_init 0
		.amdhsa_user_sgpr_kernarg_preload_length 0
		.amdhsa_user_sgpr_kernarg_preload_offset 0
		.amdhsa_user_sgpr_private_segment_size 0
		.amdhsa_uses_dynamic_stack 0
		.amdhsa_system_sgpr_private_segment_wavefront_offset 0
		.amdhsa_system_sgpr_workgroup_id_x 1
		.amdhsa_system_sgpr_workgroup_id_y 0
		.amdhsa_system_sgpr_workgroup_id_z 0
		.amdhsa_system_sgpr_workgroup_info 0
		.amdhsa_system_vgpr_workitem_id 0
		.amdhsa_next_free_vgpr 1
		.amdhsa_next_free_sgpr 0
		.amdhsa_accum_offset 4
		.amdhsa_reserve_vcc 0
		.amdhsa_reserve_flat_scratch 0
		.amdhsa_float_round_mode_32 0
		.amdhsa_float_round_mode_16_64 0
		.amdhsa_float_denorm_mode_32 3
		.amdhsa_float_denorm_mode_16_64 3
		.amdhsa_dx10_clamp 1
		.amdhsa_ieee_mode 1
		.amdhsa_fp16_overflow 0
		.amdhsa_tg_split 0
		.amdhsa_exception_fp_ieee_invalid_op 0
		.amdhsa_exception_fp_denorm_src 0
		.amdhsa_exception_fp_ieee_div_zero 0
		.amdhsa_exception_fp_ieee_overflow 0
		.amdhsa_exception_fp_ieee_underflow 0
		.amdhsa_exception_fp_ieee_inexact 0
		.amdhsa_exception_int_div_zero 0
	.end_amdhsa_kernel
	.section	.text._ZN7rocprim17ROCPRIM_400000_NS6detail17trampoline_kernelINS0_14default_configENS1_35radix_sort_onesweep_config_selectorItNS0_10empty_typeEEEZZNS1_29radix_sort_onesweep_iterationIS3_Lb0EN6thrust23THRUST_200600_302600_NS6detail15normal_iteratorINS9_10device_ptrItEEEESE_PS5_SF_jNS0_19identity_decomposerENS1_16block_id_wrapperIjLb1EEEEE10hipError_tT1_PNSt15iterator_traitsISK_E10value_typeET2_T3_PNSL_ISQ_E10value_typeET4_T5_PSV_SW_PNS1_23onesweep_lookback_stateEbbT6_jjT7_P12ihipStream_tbENKUlT_T0_SK_SP_E_clISE_SE_SF_SF_EEDaS13_S14_SK_SP_EUlS13_E_NS1_11comp_targetILNS1_3genE2ELNS1_11target_archE906ELNS1_3gpuE6ELNS1_3repE0EEENS1_47radix_sort_onesweep_sort_config_static_selectorELNS0_4arch9wavefront6targetE1EEEvSK_,"axG",@progbits,_ZN7rocprim17ROCPRIM_400000_NS6detail17trampoline_kernelINS0_14default_configENS1_35radix_sort_onesweep_config_selectorItNS0_10empty_typeEEEZZNS1_29radix_sort_onesweep_iterationIS3_Lb0EN6thrust23THRUST_200600_302600_NS6detail15normal_iteratorINS9_10device_ptrItEEEESE_PS5_SF_jNS0_19identity_decomposerENS1_16block_id_wrapperIjLb1EEEEE10hipError_tT1_PNSt15iterator_traitsISK_E10value_typeET2_T3_PNSL_ISQ_E10value_typeET4_T5_PSV_SW_PNS1_23onesweep_lookback_stateEbbT6_jjT7_P12ihipStream_tbENKUlT_T0_SK_SP_E_clISE_SE_SF_SF_EEDaS13_S14_SK_SP_EUlS13_E_NS1_11comp_targetILNS1_3genE2ELNS1_11target_archE906ELNS1_3gpuE6ELNS1_3repE0EEENS1_47radix_sort_onesweep_sort_config_static_selectorELNS0_4arch9wavefront6targetE1EEEvSK_,comdat
.Lfunc_end1341:
	.size	_ZN7rocprim17ROCPRIM_400000_NS6detail17trampoline_kernelINS0_14default_configENS1_35radix_sort_onesweep_config_selectorItNS0_10empty_typeEEEZZNS1_29radix_sort_onesweep_iterationIS3_Lb0EN6thrust23THRUST_200600_302600_NS6detail15normal_iteratorINS9_10device_ptrItEEEESE_PS5_SF_jNS0_19identity_decomposerENS1_16block_id_wrapperIjLb1EEEEE10hipError_tT1_PNSt15iterator_traitsISK_E10value_typeET2_T3_PNSL_ISQ_E10value_typeET4_T5_PSV_SW_PNS1_23onesweep_lookback_stateEbbT6_jjT7_P12ihipStream_tbENKUlT_T0_SK_SP_E_clISE_SE_SF_SF_EEDaS13_S14_SK_SP_EUlS13_E_NS1_11comp_targetILNS1_3genE2ELNS1_11target_archE906ELNS1_3gpuE6ELNS1_3repE0EEENS1_47radix_sort_onesweep_sort_config_static_selectorELNS0_4arch9wavefront6targetE1EEEvSK_, .Lfunc_end1341-_ZN7rocprim17ROCPRIM_400000_NS6detail17trampoline_kernelINS0_14default_configENS1_35radix_sort_onesweep_config_selectorItNS0_10empty_typeEEEZZNS1_29radix_sort_onesweep_iterationIS3_Lb0EN6thrust23THRUST_200600_302600_NS6detail15normal_iteratorINS9_10device_ptrItEEEESE_PS5_SF_jNS0_19identity_decomposerENS1_16block_id_wrapperIjLb1EEEEE10hipError_tT1_PNSt15iterator_traitsISK_E10value_typeET2_T3_PNSL_ISQ_E10value_typeET4_T5_PSV_SW_PNS1_23onesweep_lookback_stateEbbT6_jjT7_P12ihipStream_tbENKUlT_T0_SK_SP_E_clISE_SE_SF_SF_EEDaS13_S14_SK_SP_EUlS13_E_NS1_11comp_targetILNS1_3genE2ELNS1_11target_archE906ELNS1_3gpuE6ELNS1_3repE0EEENS1_47radix_sort_onesweep_sort_config_static_selectorELNS0_4arch9wavefront6targetE1EEEvSK_
                                        ; -- End function
	.section	.AMDGPU.csdata,"",@progbits
; Kernel info:
; codeLenInByte = 0
; NumSgprs: 4
; NumVgprs: 0
; NumAgprs: 0
; TotalNumVgprs: 0
; ScratchSize: 0
; MemoryBound: 0
; FloatMode: 240
; IeeeMode: 1
; LDSByteSize: 0 bytes/workgroup (compile time only)
; SGPRBlocks: 0
; VGPRBlocks: 0
; NumSGPRsForWavesPerEU: 4
; NumVGPRsForWavesPerEU: 1
; AccumOffset: 4
; Occupancy: 8
; WaveLimiterHint : 0
; COMPUTE_PGM_RSRC2:SCRATCH_EN: 0
; COMPUTE_PGM_RSRC2:USER_SGPR: 6
; COMPUTE_PGM_RSRC2:TRAP_HANDLER: 0
; COMPUTE_PGM_RSRC2:TGID_X_EN: 1
; COMPUTE_PGM_RSRC2:TGID_Y_EN: 0
; COMPUTE_PGM_RSRC2:TGID_Z_EN: 0
; COMPUTE_PGM_RSRC2:TIDIG_COMP_CNT: 0
; COMPUTE_PGM_RSRC3_GFX90A:ACCUM_OFFSET: 0
; COMPUTE_PGM_RSRC3_GFX90A:TG_SPLIT: 0
	.section	.text._ZN7rocprim17ROCPRIM_400000_NS6detail17trampoline_kernelINS0_14default_configENS1_35radix_sort_onesweep_config_selectorItNS0_10empty_typeEEEZZNS1_29radix_sort_onesweep_iterationIS3_Lb0EN6thrust23THRUST_200600_302600_NS6detail15normal_iteratorINS9_10device_ptrItEEEESE_PS5_SF_jNS0_19identity_decomposerENS1_16block_id_wrapperIjLb1EEEEE10hipError_tT1_PNSt15iterator_traitsISK_E10value_typeET2_T3_PNSL_ISQ_E10value_typeET4_T5_PSV_SW_PNS1_23onesweep_lookback_stateEbbT6_jjT7_P12ihipStream_tbENKUlT_T0_SK_SP_E_clISE_SE_SF_SF_EEDaS13_S14_SK_SP_EUlS13_E_NS1_11comp_targetILNS1_3genE4ELNS1_11target_archE910ELNS1_3gpuE8ELNS1_3repE0EEENS1_47radix_sort_onesweep_sort_config_static_selectorELNS0_4arch9wavefront6targetE1EEEvSK_,"axG",@progbits,_ZN7rocprim17ROCPRIM_400000_NS6detail17trampoline_kernelINS0_14default_configENS1_35radix_sort_onesweep_config_selectorItNS0_10empty_typeEEEZZNS1_29radix_sort_onesweep_iterationIS3_Lb0EN6thrust23THRUST_200600_302600_NS6detail15normal_iteratorINS9_10device_ptrItEEEESE_PS5_SF_jNS0_19identity_decomposerENS1_16block_id_wrapperIjLb1EEEEE10hipError_tT1_PNSt15iterator_traitsISK_E10value_typeET2_T3_PNSL_ISQ_E10value_typeET4_T5_PSV_SW_PNS1_23onesweep_lookback_stateEbbT6_jjT7_P12ihipStream_tbENKUlT_T0_SK_SP_E_clISE_SE_SF_SF_EEDaS13_S14_SK_SP_EUlS13_E_NS1_11comp_targetILNS1_3genE4ELNS1_11target_archE910ELNS1_3gpuE8ELNS1_3repE0EEENS1_47radix_sort_onesweep_sort_config_static_selectorELNS0_4arch9wavefront6targetE1EEEvSK_,comdat
	.protected	_ZN7rocprim17ROCPRIM_400000_NS6detail17trampoline_kernelINS0_14default_configENS1_35radix_sort_onesweep_config_selectorItNS0_10empty_typeEEEZZNS1_29radix_sort_onesweep_iterationIS3_Lb0EN6thrust23THRUST_200600_302600_NS6detail15normal_iteratorINS9_10device_ptrItEEEESE_PS5_SF_jNS0_19identity_decomposerENS1_16block_id_wrapperIjLb1EEEEE10hipError_tT1_PNSt15iterator_traitsISK_E10value_typeET2_T3_PNSL_ISQ_E10value_typeET4_T5_PSV_SW_PNS1_23onesweep_lookback_stateEbbT6_jjT7_P12ihipStream_tbENKUlT_T0_SK_SP_E_clISE_SE_SF_SF_EEDaS13_S14_SK_SP_EUlS13_E_NS1_11comp_targetILNS1_3genE4ELNS1_11target_archE910ELNS1_3gpuE8ELNS1_3repE0EEENS1_47radix_sort_onesweep_sort_config_static_selectorELNS0_4arch9wavefront6targetE1EEEvSK_ ; -- Begin function _ZN7rocprim17ROCPRIM_400000_NS6detail17trampoline_kernelINS0_14default_configENS1_35radix_sort_onesweep_config_selectorItNS0_10empty_typeEEEZZNS1_29radix_sort_onesweep_iterationIS3_Lb0EN6thrust23THRUST_200600_302600_NS6detail15normal_iteratorINS9_10device_ptrItEEEESE_PS5_SF_jNS0_19identity_decomposerENS1_16block_id_wrapperIjLb1EEEEE10hipError_tT1_PNSt15iterator_traitsISK_E10value_typeET2_T3_PNSL_ISQ_E10value_typeET4_T5_PSV_SW_PNS1_23onesweep_lookback_stateEbbT6_jjT7_P12ihipStream_tbENKUlT_T0_SK_SP_E_clISE_SE_SF_SF_EEDaS13_S14_SK_SP_EUlS13_E_NS1_11comp_targetILNS1_3genE4ELNS1_11target_archE910ELNS1_3gpuE8ELNS1_3repE0EEENS1_47radix_sort_onesweep_sort_config_static_selectorELNS0_4arch9wavefront6targetE1EEEvSK_
	.globl	_ZN7rocprim17ROCPRIM_400000_NS6detail17trampoline_kernelINS0_14default_configENS1_35radix_sort_onesweep_config_selectorItNS0_10empty_typeEEEZZNS1_29radix_sort_onesweep_iterationIS3_Lb0EN6thrust23THRUST_200600_302600_NS6detail15normal_iteratorINS9_10device_ptrItEEEESE_PS5_SF_jNS0_19identity_decomposerENS1_16block_id_wrapperIjLb1EEEEE10hipError_tT1_PNSt15iterator_traitsISK_E10value_typeET2_T3_PNSL_ISQ_E10value_typeET4_T5_PSV_SW_PNS1_23onesweep_lookback_stateEbbT6_jjT7_P12ihipStream_tbENKUlT_T0_SK_SP_E_clISE_SE_SF_SF_EEDaS13_S14_SK_SP_EUlS13_E_NS1_11comp_targetILNS1_3genE4ELNS1_11target_archE910ELNS1_3gpuE8ELNS1_3repE0EEENS1_47radix_sort_onesweep_sort_config_static_selectorELNS0_4arch9wavefront6targetE1EEEvSK_
	.p2align	8
	.type	_ZN7rocprim17ROCPRIM_400000_NS6detail17trampoline_kernelINS0_14default_configENS1_35radix_sort_onesweep_config_selectorItNS0_10empty_typeEEEZZNS1_29radix_sort_onesweep_iterationIS3_Lb0EN6thrust23THRUST_200600_302600_NS6detail15normal_iteratorINS9_10device_ptrItEEEESE_PS5_SF_jNS0_19identity_decomposerENS1_16block_id_wrapperIjLb1EEEEE10hipError_tT1_PNSt15iterator_traitsISK_E10value_typeET2_T3_PNSL_ISQ_E10value_typeET4_T5_PSV_SW_PNS1_23onesweep_lookback_stateEbbT6_jjT7_P12ihipStream_tbENKUlT_T0_SK_SP_E_clISE_SE_SF_SF_EEDaS13_S14_SK_SP_EUlS13_E_NS1_11comp_targetILNS1_3genE4ELNS1_11target_archE910ELNS1_3gpuE8ELNS1_3repE0EEENS1_47radix_sort_onesweep_sort_config_static_selectorELNS0_4arch9wavefront6targetE1EEEvSK_,@function
_ZN7rocprim17ROCPRIM_400000_NS6detail17trampoline_kernelINS0_14default_configENS1_35radix_sort_onesweep_config_selectorItNS0_10empty_typeEEEZZNS1_29radix_sort_onesweep_iterationIS3_Lb0EN6thrust23THRUST_200600_302600_NS6detail15normal_iteratorINS9_10device_ptrItEEEESE_PS5_SF_jNS0_19identity_decomposerENS1_16block_id_wrapperIjLb1EEEEE10hipError_tT1_PNSt15iterator_traitsISK_E10value_typeET2_T3_PNSL_ISQ_E10value_typeET4_T5_PSV_SW_PNS1_23onesweep_lookback_stateEbbT6_jjT7_P12ihipStream_tbENKUlT_T0_SK_SP_E_clISE_SE_SF_SF_EEDaS13_S14_SK_SP_EUlS13_E_NS1_11comp_targetILNS1_3genE4ELNS1_11target_archE910ELNS1_3gpuE8ELNS1_3repE0EEENS1_47radix_sort_onesweep_sort_config_static_selectorELNS0_4arch9wavefront6targetE1EEEvSK_: ; @_ZN7rocprim17ROCPRIM_400000_NS6detail17trampoline_kernelINS0_14default_configENS1_35radix_sort_onesweep_config_selectorItNS0_10empty_typeEEEZZNS1_29radix_sort_onesweep_iterationIS3_Lb0EN6thrust23THRUST_200600_302600_NS6detail15normal_iteratorINS9_10device_ptrItEEEESE_PS5_SF_jNS0_19identity_decomposerENS1_16block_id_wrapperIjLb1EEEEE10hipError_tT1_PNSt15iterator_traitsISK_E10value_typeET2_T3_PNSL_ISQ_E10value_typeET4_T5_PSV_SW_PNS1_23onesweep_lookback_stateEbbT6_jjT7_P12ihipStream_tbENKUlT_T0_SK_SP_E_clISE_SE_SF_SF_EEDaS13_S14_SK_SP_EUlS13_E_NS1_11comp_targetILNS1_3genE4ELNS1_11target_archE910ELNS1_3gpuE8ELNS1_3repE0EEENS1_47radix_sort_onesweep_sort_config_static_selectorELNS0_4arch9wavefront6targetE1EEEvSK_
; %bb.0:
	s_load_dwordx4 s[16:19], s[4:5], 0x28
	s_load_dwordx2 s[14:15], s[4:5], 0x38
	s_load_dwordx4 s[20:23], s[4:5], 0x44
	v_and_b32_e32 v2, 0x3ff, v0
	v_cmp_eq_u32_e64 s[0:1], 0, v2
	s_and_saveexec_b64 s[2:3], s[0:1]
	s_cbranch_execz .LBB1342_4
; %bb.1:
	s_mov_b64 s[10:11], exec
	v_mbcnt_lo_u32_b32 v1, s10, 0
	v_mbcnt_hi_u32_b32 v1, s11, v1
	v_cmp_eq_u32_e32 vcc, 0, v1
                                        ; implicit-def: $vgpr3
	s_and_saveexec_b64 s[8:9], vcc
	s_cbranch_execz .LBB1342_3
; %bb.2:
	s_load_dwordx2 s[12:13], s[4:5], 0x50
	s_bcnt1_i32_b64 s7, s[10:11]
	v_mov_b32_e32 v3, 0
	v_mov_b32_e32 v4, s7
	s_waitcnt lgkmcnt(0)
	global_atomic_add v3, v3, v4, s[12:13] glc
.LBB1342_3:
	s_or_b64 exec, exec, s[8:9]
	s_waitcnt vmcnt(0)
	v_readfirstlane_b32 s7, v3
	v_add_u32_e32 v1, s7, v1
	v_mov_b32_e32 v3, 0
	ds_write_b32 v3, v1 offset:25600
.LBB1342_4:
	s_or_b64 exec, exec, s[2:3]
	v_mov_b32_e32 v1, 0
	s_load_dwordx4 s[24:27], s[4:5], 0x0
	s_load_dword s2, s[4:5], 0x20
	s_waitcnt lgkmcnt(0)
	s_barrier
	ds_read_b32 v1, v1 offset:25600
	s_waitcnt lgkmcnt(0)
	s_barrier
	v_readfirstlane_b32 s30, v1
	v_cmp_le_u32_e32 vcc, s22, v1
	s_mul_i32 s28, s30, 0x3000
	v_mbcnt_lo_u32_b32 v1, -1, 0
	s_cbranch_vccz .LBB1342_100
; %bb.5:
	s_mul_i32 s7, s22, 0xffffd000
	s_mov_b32 s29, 0
	s_add_i32 s7, s7, s2
	s_lshl_b64 s[2:3], s[28:29], 1
	v_mbcnt_hi_u32_b32 v13, -1, v1
	s_add_u32 s2, s24, s2
	v_and_b32_e32 v3, 63, v13
	v_and_b32_e32 v4, 0x3c0, v2
	s_addc_u32 s3, s25, s3
	v_mul_u32_u24_e32 v6, 12, v4
	v_lshlrev_b32_e32 v4, 1, v3
	v_mov_b32_e32 v5, s3
	v_add_co_u32_e32 v4, vcc, s2, v4
	v_addc_co_u32_e32 v5, vcc, 0, v5, vcc
	v_lshlrev_b32_e32 v7, 1, v6
	v_add_co_u32_e32 v4, vcc, v4, v7
	v_addc_co_u32_e32 v5, vcc, 0, v5, vcc
	v_or_b32_e32 v6, v3, v6
	v_cmp_gt_u32_e32 vcc, s7, v6
	v_mov_b32_e32 v3, -1
	v_mov_b32_e32 v8, -1
	s_and_saveexec_b64 s[2:3], vcc
	s_cbranch_execz .LBB1342_7
; %bb.6:
	global_load_ushort v8, v[4:5], off
.LBB1342_7:
	s_or_b64 exec, exec, s[2:3]
	v_or_b32_e32 v7, 64, v6
	v_cmp_gt_u32_e32 vcc, s7, v7
	s_and_saveexec_b64 s[2:3], vcc
	s_cbranch_execz .LBB1342_9
; %bb.8:
	global_load_ushort v3, v[4:5], off offset:128
.LBB1342_9:
	s_or_b64 exec, exec, s[2:3]
	v_or_b32_e32 v7, 0x80, v6
	v_cmp_gt_u32_e32 vcc, s7, v7
	v_mov_b32_e32 v9, -1
	v_mov_b32_e32 v10, -1
	s_and_saveexec_b64 s[2:3], vcc
	s_cbranch_execz .LBB1342_11
; %bb.10:
	global_load_ushort v10, v[4:5], off offset:256
.LBB1342_11:
	s_or_b64 exec, exec, s[2:3]
	v_or_b32_e32 v7, 0xc0, v6
	v_cmp_gt_u32_e32 vcc, s7, v7
	s_and_saveexec_b64 s[2:3], vcc
	s_cbranch_execz .LBB1342_13
; %bb.12:
	global_load_ushort v9, v[4:5], off offset:384
.LBB1342_13:
	s_or_b64 exec, exec, s[2:3]
	v_add_u32_e32 v7, 0x100, v6
	v_cmp_gt_u32_e32 vcc, s7, v7
	v_mov_b32_e32 v11, -1
	v_mov_b32_e32 v12, -1
	s_and_saveexec_b64 s[2:3], vcc
	s_cbranch_execz .LBB1342_15
; %bb.14:
	global_load_ushort v12, v[4:5], off offset:512
.LBB1342_15:
	s_or_b64 exec, exec, s[2:3]
	v_add_u32_e32 v7, 0x140, v6
	v_cmp_gt_u32_e32 vcc, s7, v7
	s_and_saveexec_b64 s[2:3], vcc
	s_cbranch_execz .LBB1342_17
; %bb.16:
	global_load_ushort v11, v[4:5], off offset:640
.LBB1342_17:
	s_or_b64 exec, exec, s[2:3]
	v_add_u32_e32 v7, 0x180, v6
	v_cmp_gt_u32_e32 vcc, s7, v7
	v_mov_b32_e32 v14, -1
	v_mov_b32_e32 v15, -1
	s_and_saveexec_b64 s[2:3], vcc
	s_cbranch_execz .LBB1342_19
; %bb.18:
	global_load_ushort v15, v[4:5], off offset:768
.LBB1342_19:
	s_or_b64 exec, exec, s[2:3]
	v_add_u32_e32 v7, 0x1c0, v6
	;; [unrolled: 18-line block ×4, first 2 shown]
	v_cmp_gt_u32_e32 vcc, s7, v6
	s_and_saveexec_b64 s[2:3], vcc
	s_cbranch_execz .LBB1342_29
; %bb.28:
	global_load_ushort v18, v[4:5], off offset:1408
.LBB1342_29:
	s_or_b64 exec, exec, s[2:3]
	s_load_dword s2, s[4:5], 0x64
	s_load_dword s29, s[4:5], 0x58
	s_add_u32 s3, s4, 0x58
	s_addc_u32 s8, s5, 0
	v_mov_b32_e32 v4, 0
	s_waitcnt lgkmcnt(0)
	s_lshr_b32 s9, s2, 16
	s_cmp_lt_u32 s6, s29
	s_cselect_b32 s2, 12, 18
	s_add_u32 s2, s3, s2
	s_addc_u32 s3, s8, 0
	global_load_ushort v6, v4, s[2:3]
	s_lshl_b32 s2, -1, s21
	s_waitcnt vmcnt(1)
	v_lshrrev_b32_sdwa v21, s20, v8 dst_sel:DWORD dst_unused:UNUSED_PAD src0_sel:DWORD src1_sel:WORD_0
	s_not_b32 s31, s2
	v_and_b32_e32 v21, s31, v21
	v_and_b32_e32 v23, 1, v21
	v_bfe_u32 v5, v0, 10, 10
	v_bfe_u32 v7, v0, 20, 10
	v_add_co_u32_e32 v24, vcc, -1, v23
	v_mad_u32_u24 v7, v7, s9, v5
	v_lshlrev_b32_e32 v5, 30, v21
	v_addc_co_u32_e64 v25, s[2:3], 0, -1, vcc
	v_cmp_ne_u32_e32 vcc, 0, v23
	v_cmp_gt_i64_e64 s[2:3], 0, v[4:5]
	v_not_b32_e32 v23, v5
	v_lshlrev_b32_e32 v5, 29, v21
	v_xor_b32_e32 v25, vcc_hi, v25
	v_xor_b32_e32 v24, vcc_lo, v24
	v_ashrrev_i32_e32 v23, 31, v23
	v_cmp_gt_i64_e32 vcc, 0, v[4:5]
	v_not_b32_e32 v26, v5
	v_lshlrev_b32_e32 v5, 28, v21
	v_and_b32_e32 v25, exec_hi, v25
	v_and_b32_e32 v24, exec_lo, v24
	v_xor_b32_e32 v27, s3, v23
	v_xor_b32_e32 v23, s2, v23
	v_ashrrev_i32_e32 v26, 31, v26
	v_cmp_gt_i64_e64 s[2:3], 0, v[4:5]
	v_not_b32_e32 v28, v5
	v_lshlrev_b32_e32 v5, 27, v21
	v_and_b32_e32 v25, v25, v27
	v_and_b32_e32 v23, v24, v23
	v_xor_b32_e32 v24, vcc_hi, v26
	v_xor_b32_e32 v26, vcc_lo, v26
	v_ashrrev_i32_e32 v27, 31, v28
	v_cmp_gt_i64_e32 vcc, 0, v[4:5]
	v_not_b32_e32 v28, v5
	v_lshlrev_b32_e32 v5, 26, v21
	v_and_b32_e32 v24, v25, v24
	v_and_b32_e32 v23, v23, v26
	v_xor_b32_e32 v25, s3, v27
	v_xor_b32_e32 v26, s2, v27
	v_ashrrev_i32_e32 v27, 31, v28
	v_cmp_gt_i64_e64 s[2:3], 0, v[4:5]
	v_not_b32_e32 v28, v5
	v_lshlrev_b32_e32 v5, 25, v21
	v_and_b32_e32 v24, v24, v25
	v_and_b32_e32 v23, v23, v26
	v_xor_b32_e32 v25, vcc_hi, v27
	v_xor_b32_e32 v26, vcc_lo, v27
	v_ashrrev_i32_e32 v27, 31, v28
	v_cmp_gt_i64_e32 vcc, 0, v[4:5]
	v_not_b32_e32 v28, v5
	v_lshlrev_b32_e32 v5, 24, v21
	v_mul_u32_u24_e32 v22, 17, v21
	v_and_b32_e32 v21, v24, v25
	v_and_b32_e32 v23, v23, v26
	v_xor_b32_e32 v24, s3, v27
	v_xor_b32_e32 v25, s2, v27
	v_ashrrev_i32_e32 v26, 31, v28
	v_cmp_gt_i64_e64 s[2:3], 0, v[4:5]
	v_not_b32_e32 v5, v5
	v_and_b32_e32 v21, v21, v24
	v_and_b32_e32 v23, v23, v25
	v_xor_b32_e32 v24, vcc_hi, v26
	v_xor_b32_e32 v25, vcc_lo, v26
	v_ashrrev_i32_e32 v5, 31, v5
	v_and_b32_e32 v21, v21, v24
	v_and_b32_e32 v24, v23, v25
	v_mul_u32_u24_e32 v20, 5, v2
	v_lshlrev_b32_e32 v20, 2, v20
	ds_write2_b32 v20, v4, v4 offset0:16 offset1:17
	ds_write2_b32 v20, v4, v4 offset0:18 offset1:19
	ds_write_b32 v20, v4 offset:80
	s_waitcnt lgkmcnt(0)
	s_barrier
	s_waitcnt lgkmcnt(0)
	; wave barrier
	s_waitcnt vmcnt(0)
	v_mad_u64_u32 v[6:7], s[8:9], v7, v6, v[2:3]
	v_lshrrev_b32_e32 v30, 6, v6
	v_xor_b32_e32 v6, s3, v5
	v_xor_b32_e32 v5, s2, v5
	v_and_b32_e32 v7, v21, v6
	v_and_b32_e32 v6, v24, v5
	v_mbcnt_lo_u32_b32 v5, v6, 0
	v_mbcnt_hi_u32_b32 v21, v7, v5
	v_cmp_eq_u32_e32 vcc, 0, v21
	v_cmp_ne_u64_e64 s[2:3], 0, v[6:7]
	v_add_lshl_u32 v23, v30, v22, 2
	s_and_b64 s[8:9], s[2:3], vcc
	s_and_saveexec_b64 s[2:3], s[8:9]
	s_cbranch_execz .LBB1342_31
; %bb.30:
	v_bcnt_u32_b32 v5, v6, 0
	v_bcnt_u32_b32 v5, v7, v5
	ds_write_b32 v23, v5 offset:64
.LBB1342_31:
	s_or_b64 exec, exec, s[2:3]
	v_lshrrev_b32_sdwa v5, s20, v3 dst_sel:DWORD dst_unused:UNUSED_PAD src0_sel:DWORD src1_sel:WORD_0
	v_and_b32_e32 v6, s31, v5
	v_mul_u32_u24_e32 v5, 17, v6
	v_add_lshl_u32 v24, v30, v5, 2
	v_and_b32_e32 v5, 1, v6
	v_add_co_u32_e32 v7, vcc, -1, v5
	v_addc_co_u32_e64 v25, s[2:3], 0, -1, vcc
	v_cmp_ne_u32_e32 vcc, 0, v5
	v_xor_b32_e32 v5, vcc_hi, v25
	v_and_b32_e32 v25, exec_hi, v5
	v_lshlrev_b32_e32 v5, 30, v6
	v_xor_b32_e32 v7, vcc_lo, v7
	v_cmp_gt_i64_e32 vcc, 0, v[4:5]
	v_not_b32_e32 v5, v5
	v_ashrrev_i32_e32 v5, 31, v5
	v_and_b32_e32 v7, exec_lo, v7
	v_xor_b32_e32 v26, vcc_hi, v5
	v_xor_b32_e32 v5, vcc_lo, v5
	v_and_b32_e32 v7, v7, v5
	v_lshlrev_b32_e32 v5, 29, v6
	v_cmp_gt_i64_e32 vcc, 0, v[4:5]
	v_not_b32_e32 v5, v5
	v_ashrrev_i32_e32 v5, 31, v5
	v_and_b32_e32 v25, v25, v26
	v_xor_b32_e32 v26, vcc_hi, v5
	v_xor_b32_e32 v5, vcc_lo, v5
	v_and_b32_e32 v7, v7, v5
	v_lshlrev_b32_e32 v5, 28, v6
	v_cmp_gt_i64_e32 vcc, 0, v[4:5]
	v_not_b32_e32 v5, v5
	v_ashrrev_i32_e32 v5, 31, v5
	v_and_b32_e32 v25, v25, v26
	;; [unrolled: 8-line block ×5, first 2 shown]
	v_xor_b32_e32 v26, vcc_hi, v5
	v_xor_b32_e32 v5, vcc_lo, v5
	v_and_b32_e32 v7, v7, v5
	v_lshlrev_b32_e32 v5, 24, v6
	v_cmp_gt_i64_e32 vcc, 0, v[4:5]
	v_not_b32_e32 v4, v5
	v_ashrrev_i32_e32 v4, 31, v4
	v_xor_b32_e32 v5, vcc_hi, v4
	v_xor_b32_e32 v4, vcc_lo, v4
	; wave barrier
	ds_read_b32 v22, v24 offset:64
	v_and_b32_e32 v25, v25, v26
	v_and_b32_e32 v4, v7, v4
	;; [unrolled: 1-line block ×3, first 2 shown]
	v_mbcnt_lo_u32_b32 v6, v4, 0
	v_mbcnt_hi_u32_b32 v25, v5, v6
	v_cmp_eq_u32_e32 vcc, 0, v25
	v_cmp_ne_u64_e64 s[2:3], 0, v[4:5]
	s_and_b64 s[8:9], s[2:3], vcc
	; wave barrier
	s_and_saveexec_b64 s[2:3], s[8:9]
	s_cbranch_execz .LBB1342_33
; %bb.32:
	v_bcnt_u32_b32 v4, v4, 0
	v_bcnt_u32_b32 v4, v5, v4
	s_waitcnt lgkmcnt(0)
	v_add_u32_e32 v4, v22, v4
	ds_write_b32 v24, v4 offset:64
.LBB1342_33:
	s_or_b64 exec, exec, s[2:3]
	v_lshrrev_b32_sdwa v4, s20, v10 dst_sel:DWORD dst_unused:UNUSED_PAD src0_sel:DWORD src1_sel:WORD_0
	v_and_b32_e32 v6, s31, v4
	v_and_b32_e32 v5, 1, v6
	v_add_co_u32_e32 v7, vcc, -1, v5
	v_addc_co_u32_e64 v28, s[2:3], 0, -1, vcc
	v_cmp_ne_u32_e32 vcc, 0, v5
	v_mul_u32_u24_e32 v4, 17, v6
	v_xor_b32_e32 v5, vcc_hi, v28
	v_add_lshl_u32 v27, v30, v4, 2
	v_mov_b32_e32 v4, 0
	v_and_b32_e32 v28, exec_hi, v5
	v_lshlrev_b32_e32 v5, 30, v6
	v_xor_b32_e32 v7, vcc_lo, v7
	v_cmp_gt_i64_e32 vcc, 0, v[4:5]
	v_not_b32_e32 v5, v5
	v_ashrrev_i32_e32 v5, 31, v5
	v_and_b32_e32 v7, exec_lo, v7
	v_xor_b32_e32 v29, vcc_hi, v5
	v_xor_b32_e32 v5, vcc_lo, v5
	v_and_b32_e32 v7, v7, v5
	v_lshlrev_b32_e32 v5, 29, v6
	v_cmp_gt_i64_e32 vcc, 0, v[4:5]
	v_not_b32_e32 v5, v5
	v_ashrrev_i32_e32 v5, 31, v5
	v_and_b32_e32 v28, v28, v29
	v_xor_b32_e32 v29, vcc_hi, v5
	v_xor_b32_e32 v5, vcc_lo, v5
	v_and_b32_e32 v7, v7, v5
	v_lshlrev_b32_e32 v5, 28, v6
	v_cmp_gt_i64_e32 vcc, 0, v[4:5]
	v_not_b32_e32 v5, v5
	v_ashrrev_i32_e32 v5, 31, v5
	v_and_b32_e32 v28, v28, v29
	;; [unrolled: 8-line block ×5, first 2 shown]
	v_xor_b32_e32 v29, vcc_hi, v5
	v_xor_b32_e32 v5, vcc_lo, v5
	v_and_b32_e32 v28, v28, v29
	v_and_b32_e32 v29, v7, v5
	v_lshlrev_b32_e32 v5, 24, v6
	v_cmp_gt_i64_e32 vcc, 0, v[4:5]
	v_not_b32_e32 v5, v5
	v_ashrrev_i32_e32 v5, 31, v5
	v_xor_b32_e32 v6, vcc_hi, v5
	v_xor_b32_e32 v5, vcc_lo, v5
	; wave barrier
	ds_read_b32 v26, v27 offset:64
	v_and_b32_e32 v7, v28, v6
	v_and_b32_e32 v6, v29, v5
	v_mbcnt_lo_u32_b32 v5, v6, 0
	v_mbcnt_hi_u32_b32 v28, v7, v5
	v_cmp_eq_u32_e32 vcc, 0, v28
	v_cmp_ne_u64_e64 s[2:3], 0, v[6:7]
	s_and_b64 s[8:9], s[2:3], vcc
	; wave barrier
	s_and_saveexec_b64 s[2:3], s[8:9]
	s_cbranch_execz .LBB1342_35
; %bb.34:
	v_bcnt_u32_b32 v5, v6, 0
	v_bcnt_u32_b32 v5, v7, v5
	s_waitcnt lgkmcnt(0)
	v_add_u32_e32 v5, v26, v5
	ds_write_b32 v27, v5 offset:64
.LBB1342_35:
	s_or_b64 exec, exec, s[2:3]
	v_lshrrev_b32_sdwa v5, s20, v9 dst_sel:DWORD dst_unused:UNUSED_PAD src0_sel:DWORD src1_sel:WORD_0
	v_and_b32_e32 v6, s31, v5
	v_mul_u32_u24_e32 v5, 17, v6
	v_add_lshl_u32 v31, v30, v5, 2
	v_and_b32_e32 v5, 1, v6
	v_add_co_u32_e32 v7, vcc, -1, v5
	v_addc_co_u32_e64 v32, s[2:3], 0, -1, vcc
	v_cmp_ne_u32_e32 vcc, 0, v5
	v_xor_b32_e32 v5, vcc_hi, v32
	v_and_b32_e32 v32, exec_hi, v5
	v_lshlrev_b32_e32 v5, 30, v6
	v_xor_b32_e32 v7, vcc_lo, v7
	v_cmp_gt_i64_e32 vcc, 0, v[4:5]
	v_not_b32_e32 v5, v5
	v_ashrrev_i32_e32 v5, 31, v5
	v_and_b32_e32 v7, exec_lo, v7
	v_xor_b32_e32 v33, vcc_hi, v5
	v_xor_b32_e32 v5, vcc_lo, v5
	v_and_b32_e32 v7, v7, v5
	v_lshlrev_b32_e32 v5, 29, v6
	v_cmp_gt_i64_e32 vcc, 0, v[4:5]
	v_not_b32_e32 v5, v5
	v_ashrrev_i32_e32 v5, 31, v5
	v_and_b32_e32 v32, v32, v33
	v_xor_b32_e32 v33, vcc_hi, v5
	v_xor_b32_e32 v5, vcc_lo, v5
	v_and_b32_e32 v7, v7, v5
	v_lshlrev_b32_e32 v5, 28, v6
	v_cmp_gt_i64_e32 vcc, 0, v[4:5]
	v_not_b32_e32 v5, v5
	v_ashrrev_i32_e32 v5, 31, v5
	v_and_b32_e32 v32, v32, v33
	;; [unrolled: 8-line block ×5, first 2 shown]
	v_xor_b32_e32 v33, vcc_hi, v5
	v_xor_b32_e32 v5, vcc_lo, v5
	v_and_b32_e32 v7, v7, v5
	v_lshlrev_b32_e32 v5, 24, v6
	v_cmp_gt_i64_e32 vcc, 0, v[4:5]
	v_not_b32_e32 v4, v5
	v_ashrrev_i32_e32 v4, 31, v4
	v_xor_b32_e32 v5, vcc_hi, v4
	v_xor_b32_e32 v4, vcc_lo, v4
	; wave barrier
	ds_read_b32 v29, v31 offset:64
	v_and_b32_e32 v32, v32, v33
	v_and_b32_e32 v4, v7, v4
	;; [unrolled: 1-line block ×3, first 2 shown]
	v_mbcnt_lo_u32_b32 v6, v4, 0
	v_mbcnt_hi_u32_b32 v32, v5, v6
	v_cmp_eq_u32_e32 vcc, 0, v32
	v_cmp_ne_u64_e64 s[2:3], 0, v[4:5]
	s_and_b64 s[8:9], s[2:3], vcc
	; wave barrier
	s_and_saveexec_b64 s[2:3], s[8:9]
	s_cbranch_execz .LBB1342_37
; %bb.36:
	v_bcnt_u32_b32 v4, v4, 0
	v_bcnt_u32_b32 v4, v5, v4
	s_waitcnt lgkmcnt(0)
	v_add_u32_e32 v4, v29, v4
	ds_write_b32 v31, v4 offset:64
.LBB1342_37:
	s_or_b64 exec, exec, s[2:3]
	v_lshrrev_b32_sdwa v4, s20, v12 dst_sel:DWORD dst_unused:UNUSED_PAD src0_sel:DWORD src1_sel:WORD_0
	v_and_b32_e32 v6, s31, v4
	v_and_b32_e32 v5, 1, v6
	v_add_co_u32_e32 v7, vcc, -1, v5
	v_addc_co_u32_e64 v35, s[2:3], 0, -1, vcc
	v_cmp_ne_u32_e32 vcc, 0, v5
	v_mul_u32_u24_e32 v4, 17, v6
	v_xor_b32_e32 v5, vcc_hi, v35
	v_add_lshl_u32 v34, v30, v4, 2
	v_mov_b32_e32 v4, 0
	v_and_b32_e32 v35, exec_hi, v5
	v_lshlrev_b32_e32 v5, 30, v6
	v_xor_b32_e32 v7, vcc_lo, v7
	v_cmp_gt_i64_e32 vcc, 0, v[4:5]
	v_not_b32_e32 v5, v5
	v_ashrrev_i32_e32 v5, 31, v5
	v_and_b32_e32 v7, exec_lo, v7
	v_xor_b32_e32 v36, vcc_hi, v5
	v_xor_b32_e32 v5, vcc_lo, v5
	v_and_b32_e32 v7, v7, v5
	v_lshlrev_b32_e32 v5, 29, v6
	v_cmp_gt_i64_e32 vcc, 0, v[4:5]
	v_not_b32_e32 v5, v5
	v_ashrrev_i32_e32 v5, 31, v5
	v_and_b32_e32 v35, v35, v36
	v_xor_b32_e32 v36, vcc_hi, v5
	v_xor_b32_e32 v5, vcc_lo, v5
	v_and_b32_e32 v7, v7, v5
	v_lshlrev_b32_e32 v5, 28, v6
	v_cmp_gt_i64_e32 vcc, 0, v[4:5]
	v_not_b32_e32 v5, v5
	v_ashrrev_i32_e32 v5, 31, v5
	v_and_b32_e32 v35, v35, v36
	;; [unrolled: 8-line block ×5, first 2 shown]
	v_xor_b32_e32 v36, vcc_hi, v5
	v_xor_b32_e32 v5, vcc_lo, v5
	v_and_b32_e32 v35, v35, v36
	v_and_b32_e32 v36, v7, v5
	v_lshlrev_b32_e32 v5, 24, v6
	v_cmp_gt_i64_e32 vcc, 0, v[4:5]
	v_not_b32_e32 v5, v5
	v_ashrrev_i32_e32 v5, 31, v5
	v_xor_b32_e32 v6, vcc_hi, v5
	v_xor_b32_e32 v5, vcc_lo, v5
	; wave barrier
	ds_read_b32 v33, v34 offset:64
	v_and_b32_e32 v7, v35, v6
	v_and_b32_e32 v6, v36, v5
	v_mbcnt_lo_u32_b32 v5, v6, 0
	v_mbcnt_hi_u32_b32 v35, v7, v5
	v_cmp_eq_u32_e32 vcc, 0, v35
	v_cmp_ne_u64_e64 s[2:3], 0, v[6:7]
	s_and_b64 s[8:9], s[2:3], vcc
	; wave barrier
	s_and_saveexec_b64 s[2:3], s[8:9]
	s_cbranch_execz .LBB1342_39
; %bb.38:
	v_bcnt_u32_b32 v5, v6, 0
	v_bcnt_u32_b32 v5, v7, v5
	s_waitcnt lgkmcnt(0)
	v_add_u32_e32 v5, v33, v5
	ds_write_b32 v34, v5 offset:64
.LBB1342_39:
	s_or_b64 exec, exec, s[2:3]
	v_lshrrev_b32_sdwa v5, s20, v11 dst_sel:DWORD dst_unused:UNUSED_PAD src0_sel:DWORD src1_sel:WORD_0
	v_and_b32_e32 v6, s31, v5
	v_mul_u32_u24_e32 v5, 17, v6
	v_add_lshl_u32 v37, v30, v5, 2
	v_and_b32_e32 v5, 1, v6
	v_add_co_u32_e32 v7, vcc, -1, v5
	v_addc_co_u32_e64 v38, s[2:3], 0, -1, vcc
	v_cmp_ne_u32_e32 vcc, 0, v5
	v_xor_b32_e32 v5, vcc_hi, v38
	v_and_b32_e32 v38, exec_hi, v5
	v_lshlrev_b32_e32 v5, 30, v6
	v_xor_b32_e32 v7, vcc_lo, v7
	v_cmp_gt_i64_e32 vcc, 0, v[4:5]
	v_not_b32_e32 v5, v5
	v_ashrrev_i32_e32 v5, 31, v5
	v_and_b32_e32 v7, exec_lo, v7
	v_xor_b32_e32 v39, vcc_hi, v5
	v_xor_b32_e32 v5, vcc_lo, v5
	v_and_b32_e32 v7, v7, v5
	v_lshlrev_b32_e32 v5, 29, v6
	v_cmp_gt_i64_e32 vcc, 0, v[4:5]
	v_not_b32_e32 v5, v5
	v_ashrrev_i32_e32 v5, 31, v5
	v_and_b32_e32 v38, v38, v39
	v_xor_b32_e32 v39, vcc_hi, v5
	v_xor_b32_e32 v5, vcc_lo, v5
	v_and_b32_e32 v7, v7, v5
	v_lshlrev_b32_e32 v5, 28, v6
	v_cmp_gt_i64_e32 vcc, 0, v[4:5]
	v_not_b32_e32 v5, v5
	v_ashrrev_i32_e32 v5, 31, v5
	v_and_b32_e32 v38, v38, v39
	;; [unrolled: 8-line block ×5, first 2 shown]
	v_xor_b32_e32 v39, vcc_hi, v5
	v_xor_b32_e32 v5, vcc_lo, v5
	v_and_b32_e32 v7, v7, v5
	v_lshlrev_b32_e32 v5, 24, v6
	v_cmp_gt_i64_e32 vcc, 0, v[4:5]
	v_not_b32_e32 v4, v5
	v_ashrrev_i32_e32 v4, 31, v4
	v_xor_b32_e32 v5, vcc_hi, v4
	v_xor_b32_e32 v4, vcc_lo, v4
	; wave barrier
	ds_read_b32 v36, v37 offset:64
	v_and_b32_e32 v38, v38, v39
	v_and_b32_e32 v4, v7, v4
	;; [unrolled: 1-line block ×3, first 2 shown]
	v_mbcnt_lo_u32_b32 v6, v4, 0
	v_mbcnt_hi_u32_b32 v38, v5, v6
	v_cmp_eq_u32_e32 vcc, 0, v38
	v_cmp_ne_u64_e64 s[2:3], 0, v[4:5]
	s_and_b64 s[8:9], s[2:3], vcc
	; wave barrier
	s_and_saveexec_b64 s[2:3], s[8:9]
	s_cbranch_execz .LBB1342_41
; %bb.40:
	v_bcnt_u32_b32 v4, v4, 0
	v_bcnt_u32_b32 v4, v5, v4
	s_waitcnt lgkmcnt(0)
	v_add_u32_e32 v4, v36, v4
	ds_write_b32 v37, v4 offset:64
.LBB1342_41:
	s_or_b64 exec, exec, s[2:3]
	v_lshrrev_b32_sdwa v4, s20, v15 dst_sel:DWORD dst_unused:UNUSED_PAD src0_sel:DWORD src1_sel:WORD_0
	v_and_b32_e32 v6, s31, v4
	v_and_b32_e32 v5, 1, v6
	v_add_co_u32_e32 v7, vcc, -1, v5
	v_addc_co_u32_e64 v41, s[2:3], 0, -1, vcc
	v_cmp_ne_u32_e32 vcc, 0, v5
	v_mul_u32_u24_e32 v4, 17, v6
	v_xor_b32_e32 v5, vcc_hi, v41
	v_add_lshl_u32 v40, v30, v4, 2
	v_mov_b32_e32 v4, 0
	v_and_b32_e32 v41, exec_hi, v5
	v_lshlrev_b32_e32 v5, 30, v6
	v_xor_b32_e32 v7, vcc_lo, v7
	v_cmp_gt_i64_e32 vcc, 0, v[4:5]
	v_not_b32_e32 v5, v5
	v_ashrrev_i32_e32 v5, 31, v5
	v_and_b32_e32 v7, exec_lo, v7
	v_xor_b32_e32 v42, vcc_hi, v5
	v_xor_b32_e32 v5, vcc_lo, v5
	v_and_b32_e32 v7, v7, v5
	v_lshlrev_b32_e32 v5, 29, v6
	v_cmp_gt_i64_e32 vcc, 0, v[4:5]
	v_not_b32_e32 v5, v5
	v_ashrrev_i32_e32 v5, 31, v5
	v_and_b32_e32 v41, v41, v42
	v_xor_b32_e32 v42, vcc_hi, v5
	v_xor_b32_e32 v5, vcc_lo, v5
	v_and_b32_e32 v7, v7, v5
	v_lshlrev_b32_e32 v5, 28, v6
	v_cmp_gt_i64_e32 vcc, 0, v[4:5]
	v_not_b32_e32 v5, v5
	v_ashrrev_i32_e32 v5, 31, v5
	v_and_b32_e32 v41, v41, v42
	;; [unrolled: 8-line block ×5, first 2 shown]
	v_xor_b32_e32 v42, vcc_hi, v5
	v_xor_b32_e32 v5, vcc_lo, v5
	v_and_b32_e32 v41, v41, v42
	v_and_b32_e32 v42, v7, v5
	v_lshlrev_b32_e32 v5, 24, v6
	v_cmp_gt_i64_e32 vcc, 0, v[4:5]
	v_not_b32_e32 v5, v5
	v_ashrrev_i32_e32 v5, 31, v5
	v_xor_b32_e32 v6, vcc_hi, v5
	v_xor_b32_e32 v5, vcc_lo, v5
	; wave barrier
	ds_read_b32 v39, v40 offset:64
	v_and_b32_e32 v7, v41, v6
	v_and_b32_e32 v6, v42, v5
	v_mbcnt_lo_u32_b32 v5, v6, 0
	v_mbcnt_hi_u32_b32 v41, v7, v5
	v_cmp_eq_u32_e32 vcc, 0, v41
	v_cmp_ne_u64_e64 s[2:3], 0, v[6:7]
	s_and_b64 s[8:9], s[2:3], vcc
	; wave barrier
	s_and_saveexec_b64 s[2:3], s[8:9]
	s_cbranch_execz .LBB1342_43
; %bb.42:
	v_bcnt_u32_b32 v5, v6, 0
	v_bcnt_u32_b32 v5, v7, v5
	s_waitcnt lgkmcnt(0)
	v_add_u32_e32 v5, v39, v5
	ds_write_b32 v40, v5 offset:64
.LBB1342_43:
	s_or_b64 exec, exec, s[2:3]
	v_lshrrev_b32_sdwa v5, s20, v14 dst_sel:DWORD dst_unused:UNUSED_PAD src0_sel:DWORD src1_sel:WORD_0
	v_and_b32_e32 v6, s31, v5
	v_mul_u32_u24_e32 v5, 17, v6
	v_add_lshl_u32 v43, v30, v5, 2
	v_and_b32_e32 v5, 1, v6
	v_add_co_u32_e32 v7, vcc, -1, v5
	v_addc_co_u32_e64 v44, s[2:3], 0, -1, vcc
	v_cmp_ne_u32_e32 vcc, 0, v5
	v_xor_b32_e32 v5, vcc_hi, v44
	v_and_b32_e32 v44, exec_hi, v5
	v_lshlrev_b32_e32 v5, 30, v6
	v_xor_b32_e32 v7, vcc_lo, v7
	v_cmp_gt_i64_e32 vcc, 0, v[4:5]
	v_not_b32_e32 v5, v5
	v_ashrrev_i32_e32 v5, 31, v5
	v_and_b32_e32 v7, exec_lo, v7
	v_xor_b32_e32 v45, vcc_hi, v5
	v_xor_b32_e32 v5, vcc_lo, v5
	v_and_b32_e32 v7, v7, v5
	v_lshlrev_b32_e32 v5, 29, v6
	v_cmp_gt_i64_e32 vcc, 0, v[4:5]
	v_not_b32_e32 v5, v5
	v_ashrrev_i32_e32 v5, 31, v5
	v_and_b32_e32 v44, v44, v45
	v_xor_b32_e32 v45, vcc_hi, v5
	v_xor_b32_e32 v5, vcc_lo, v5
	v_and_b32_e32 v7, v7, v5
	v_lshlrev_b32_e32 v5, 28, v6
	v_cmp_gt_i64_e32 vcc, 0, v[4:5]
	v_not_b32_e32 v5, v5
	v_ashrrev_i32_e32 v5, 31, v5
	v_and_b32_e32 v44, v44, v45
	;; [unrolled: 8-line block ×5, first 2 shown]
	v_xor_b32_e32 v45, vcc_hi, v5
	v_xor_b32_e32 v5, vcc_lo, v5
	v_and_b32_e32 v7, v7, v5
	v_lshlrev_b32_e32 v5, 24, v6
	v_cmp_gt_i64_e32 vcc, 0, v[4:5]
	v_not_b32_e32 v4, v5
	v_ashrrev_i32_e32 v4, 31, v4
	v_xor_b32_e32 v5, vcc_hi, v4
	v_xor_b32_e32 v4, vcc_lo, v4
	; wave barrier
	ds_read_b32 v42, v43 offset:64
	v_and_b32_e32 v44, v44, v45
	v_and_b32_e32 v4, v7, v4
	;; [unrolled: 1-line block ×3, first 2 shown]
	v_mbcnt_lo_u32_b32 v6, v4, 0
	v_mbcnt_hi_u32_b32 v44, v5, v6
	v_cmp_eq_u32_e32 vcc, 0, v44
	v_cmp_ne_u64_e64 s[2:3], 0, v[4:5]
	s_and_b64 s[8:9], s[2:3], vcc
	; wave barrier
	s_and_saveexec_b64 s[2:3], s[8:9]
	s_cbranch_execz .LBB1342_45
; %bb.44:
	v_bcnt_u32_b32 v4, v4, 0
	v_bcnt_u32_b32 v4, v5, v4
	s_waitcnt lgkmcnt(0)
	v_add_u32_e32 v4, v42, v4
	ds_write_b32 v43, v4 offset:64
.LBB1342_45:
	s_or_b64 exec, exec, s[2:3]
	v_lshrrev_b32_sdwa v4, s20, v17 dst_sel:DWORD dst_unused:UNUSED_PAD src0_sel:DWORD src1_sel:WORD_0
	v_and_b32_e32 v6, s31, v4
	v_and_b32_e32 v5, 1, v6
	v_add_co_u32_e32 v7, vcc, -1, v5
	v_addc_co_u32_e64 v47, s[2:3], 0, -1, vcc
	v_cmp_ne_u32_e32 vcc, 0, v5
	v_mul_u32_u24_e32 v4, 17, v6
	v_xor_b32_e32 v5, vcc_hi, v47
	v_add_lshl_u32 v46, v30, v4, 2
	v_mov_b32_e32 v4, 0
	v_and_b32_e32 v47, exec_hi, v5
	v_lshlrev_b32_e32 v5, 30, v6
	v_xor_b32_e32 v7, vcc_lo, v7
	v_cmp_gt_i64_e32 vcc, 0, v[4:5]
	v_not_b32_e32 v5, v5
	v_ashrrev_i32_e32 v5, 31, v5
	v_and_b32_e32 v7, exec_lo, v7
	v_xor_b32_e32 v48, vcc_hi, v5
	v_xor_b32_e32 v5, vcc_lo, v5
	v_and_b32_e32 v7, v7, v5
	v_lshlrev_b32_e32 v5, 29, v6
	v_cmp_gt_i64_e32 vcc, 0, v[4:5]
	v_not_b32_e32 v5, v5
	v_ashrrev_i32_e32 v5, 31, v5
	v_and_b32_e32 v47, v47, v48
	v_xor_b32_e32 v48, vcc_hi, v5
	v_xor_b32_e32 v5, vcc_lo, v5
	v_and_b32_e32 v7, v7, v5
	v_lshlrev_b32_e32 v5, 28, v6
	v_cmp_gt_i64_e32 vcc, 0, v[4:5]
	v_not_b32_e32 v5, v5
	v_ashrrev_i32_e32 v5, 31, v5
	v_and_b32_e32 v47, v47, v48
	;; [unrolled: 8-line block ×5, first 2 shown]
	v_xor_b32_e32 v48, vcc_hi, v5
	v_xor_b32_e32 v5, vcc_lo, v5
	v_and_b32_e32 v47, v47, v48
	v_and_b32_e32 v48, v7, v5
	v_lshlrev_b32_e32 v5, 24, v6
	v_cmp_gt_i64_e32 vcc, 0, v[4:5]
	v_not_b32_e32 v5, v5
	v_ashrrev_i32_e32 v5, 31, v5
	v_xor_b32_e32 v6, vcc_hi, v5
	v_xor_b32_e32 v5, vcc_lo, v5
	; wave barrier
	ds_read_b32 v45, v46 offset:64
	v_and_b32_e32 v7, v47, v6
	v_and_b32_e32 v6, v48, v5
	v_mbcnt_lo_u32_b32 v5, v6, 0
	v_mbcnt_hi_u32_b32 v47, v7, v5
	v_cmp_eq_u32_e32 vcc, 0, v47
	v_cmp_ne_u64_e64 s[2:3], 0, v[6:7]
	s_and_b64 s[8:9], s[2:3], vcc
	; wave barrier
	s_and_saveexec_b64 s[2:3], s[8:9]
	s_cbranch_execz .LBB1342_47
; %bb.46:
	v_bcnt_u32_b32 v5, v6, 0
	v_bcnt_u32_b32 v5, v7, v5
	s_waitcnt lgkmcnt(0)
	v_add_u32_e32 v5, v45, v5
	ds_write_b32 v46, v5 offset:64
.LBB1342_47:
	s_or_b64 exec, exec, s[2:3]
	v_lshrrev_b32_sdwa v5, s20, v16 dst_sel:DWORD dst_unused:UNUSED_PAD src0_sel:DWORD src1_sel:WORD_0
	v_and_b32_e32 v6, s31, v5
	v_mul_u32_u24_e32 v5, 17, v6
	v_add_lshl_u32 v49, v30, v5, 2
	v_and_b32_e32 v5, 1, v6
	v_add_co_u32_e32 v7, vcc, -1, v5
	v_addc_co_u32_e64 v50, s[2:3], 0, -1, vcc
	v_cmp_ne_u32_e32 vcc, 0, v5
	v_xor_b32_e32 v5, vcc_hi, v50
	v_and_b32_e32 v50, exec_hi, v5
	v_lshlrev_b32_e32 v5, 30, v6
	v_xor_b32_e32 v7, vcc_lo, v7
	v_cmp_gt_i64_e32 vcc, 0, v[4:5]
	v_not_b32_e32 v5, v5
	v_ashrrev_i32_e32 v5, 31, v5
	v_and_b32_e32 v7, exec_lo, v7
	v_xor_b32_e32 v51, vcc_hi, v5
	v_xor_b32_e32 v5, vcc_lo, v5
	v_and_b32_e32 v7, v7, v5
	v_lshlrev_b32_e32 v5, 29, v6
	v_cmp_gt_i64_e32 vcc, 0, v[4:5]
	v_not_b32_e32 v5, v5
	v_ashrrev_i32_e32 v5, 31, v5
	v_and_b32_e32 v50, v50, v51
	v_xor_b32_e32 v51, vcc_hi, v5
	v_xor_b32_e32 v5, vcc_lo, v5
	v_and_b32_e32 v7, v7, v5
	v_lshlrev_b32_e32 v5, 28, v6
	v_cmp_gt_i64_e32 vcc, 0, v[4:5]
	v_not_b32_e32 v5, v5
	v_ashrrev_i32_e32 v5, 31, v5
	v_and_b32_e32 v50, v50, v51
	;; [unrolled: 8-line block ×5, first 2 shown]
	v_xor_b32_e32 v51, vcc_hi, v5
	v_xor_b32_e32 v5, vcc_lo, v5
	v_and_b32_e32 v7, v7, v5
	v_lshlrev_b32_e32 v5, 24, v6
	v_cmp_gt_i64_e32 vcc, 0, v[4:5]
	v_not_b32_e32 v4, v5
	v_ashrrev_i32_e32 v4, 31, v4
	v_xor_b32_e32 v5, vcc_hi, v4
	v_xor_b32_e32 v4, vcc_lo, v4
	; wave barrier
	ds_read_b32 v48, v49 offset:64
	v_and_b32_e32 v50, v50, v51
	v_and_b32_e32 v4, v7, v4
	;; [unrolled: 1-line block ×3, first 2 shown]
	v_mbcnt_lo_u32_b32 v6, v4, 0
	v_mbcnt_hi_u32_b32 v50, v5, v6
	v_cmp_eq_u32_e32 vcc, 0, v50
	v_cmp_ne_u64_e64 s[2:3], 0, v[4:5]
	s_and_b64 s[8:9], s[2:3], vcc
	; wave barrier
	s_and_saveexec_b64 s[2:3], s[8:9]
	s_cbranch_execz .LBB1342_49
; %bb.48:
	v_bcnt_u32_b32 v4, v4, 0
	v_bcnt_u32_b32 v4, v5, v4
	s_waitcnt lgkmcnt(0)
	v_add_u32_e32 v4, v48, v4
	ds_write_b32 v49, v4 offset:64
.LBB1342_49:
	s_or_b64 exec, exec, s[2:3]
	v_lshrrev_b32_sdwa v4, s20, v19 dst_sel:DWORD dst_unused:UNUSED_PAD src0_sel:DWORD src1_sel:WORD_0
	v_and_b32_e32 v6, s31, v4
	v_and_b32_e32 v5, 1, v6
	v_add_co_u32_e32 v7, vcc, -1, v5
	v_addc_co_u32_e64 v53, s[2:3], 0, -1, vcc
	v_cmp_ne_u32_e32 vcc, 0, v5
	v_mul_u32_u24_e32 v4, 17, v6
	v_xor_b32_e32 v5, vcc_hi, v53
	v_add_lshl_u32 v52, v30, v4, 2
	v_mov_b32_e32 v4, 0
	v_and_b32_e32 v53, exec_hi, v5
	v_lshlrev_b32_e32 v5, 30, v6
	v_xor_b32_e32 v7, vcc_lo, v7
	v_cmp_gt_i64_e32 vcc, 0, v[4:5]
	v_not_b32_e32 v5, v5
	v_ashrrev_i32_e32 v5, 31, v5
	v_and_b32_e32 v7, exec_lo, v7
	v_xor_b32_e32 v54, vcc_hi, v5
	v_xor_b32_e32 v5, vcc_lo, v5
	v_and_b32_e32 v7, v7, v5
	v_lshlrev_b32_e32 v5, 29, v6
	v_cmp_gt_i64_e32 vcc, 0, v[4:5]
	v_not_b32_e32 v5, v5
	v_ashrrev_i32_e32 v5, 31, v5
	v_and_b32_e32 v53, v53, v54
	v_xor_b32_e32 v54, vcc_hi, v5
	v_xor_b32_e32 v5, vcc_lo, v5
	v_and_b32_e32 v7, v7, v5
	v_lshlrev_b32_e32 v5, 28, v6
	v_cmp_gt_i64_e32 vcc, 0, v[4:5]
	v_not_b32_e32 v5, v5
	v_ashrrev_i32_e32 v5, 31, v5
	v_and_b32_e32 v53, v53, v54
	;; [unrolled: 8-line block ×5, first 2 shown]
	v_xor_b32_e32 v54, vcc_hi, v5
	v_xor_b32_e32 v5, vcc_lo, v5
	v_and_b32_e32 v53, v53, v54
	v_and_b32_e32 v54, v7, v5
	v_lshlrev_b32_e32 v5, 24, v6
	v_cmp_gt_i64_e32 vcc, 0, v[4:5]
	v_not_b32_e32 v5, v5
	v_ashrrev_i32_e32 v5, 31, v5
	v_xor_b32_e32 v6, vcc_hi, v5
	v_xor_b32_e32 v5, vcc_lo, v5
	; wave barrier
	ds_read_b32 v51, v52 offset:64
	v_and_b32_e32 v7, v53, v6
	v_and_b32_e32 v6, v54, v5
	v_mbcnt_lo_u32_b32 v5, v6, 0
	v_mbcnt_hi_u32_b32 v53, v7, v5
	v_cmp_eq_u32_e32 vcc, 0, v53
	v_cmp_ne_u64_e64 s[2:3], 0, v[6:7]
	s_and_b64 s[8:9], s[2:3], vcc
	; wave barrier
	s_and_saveexec_b64 s[2:3], s[8:9]
	s_cbranch_execz .LBB1342_51
; %bb.50:
	v_bcnt_u32_b32 v5, v6, 0
	v_bcnt_u32_b32 v5, v7, v5
	s_waitcnt lgkmcnt(0)
	v_add_u32_e32 v5, v51, v5
	ds_write_b32 v52, v5 offset:64
.LBB1342_51:
	s_or_b64 exec, exec, s[2:3]
	v_lshrrev_b32_sdwa v5, s20, v18 dst_sel:DWORD dst_unused:UNUSED_PAD src0_sel:DWORD src1_sel:WORD_0
	v_and_b32_e32 v6, s31, v5
	v_mul_u32_u24_e32 v5, 17, v6
	v_add_lshl_u32 v54, v30, v5, 2
	v_and_b32_e32 v5, 1, v6
	v_add_co_u32_e32 v7, vcc, -1, v5
	v_addc_co_u32_e64 v56, s[2:3], 0, -1, vcc
	v_cmp_ne_u32_e32 vcc, 0, v5
	v_xor_b32_e32 v5, vcc_hi, v56
	v_and_b32_e32 v56, exec_hi, v5
	v_lshlrev_b32_e32 v5, 30, v6
	v_xor_b32_e32 v7, vcc_lo, v7
	v_cmp_gt_i64_e32 vcc, 0, v[4:5]
	v_not_b32_e32 v5, v5
	v_ashrrev_i32_e32 v5, 31, v5
	v_and_b32_e32 v7, exec_lo, v7
	v_xor_b32_e32 v57, vcc_hi, v5
	v_xor_b32_e32 v5, vcc_lo, v5
	v_and_b32_e32 v7, v7, v5
	v_lshlrev_b32_e32 v5, 29, v6
	v_cmp_gt_i64_e32 vcc, 0, v[4:5]
	v_not_b32_e32 v5, v5
	v_ashrrev_i32_e32 v5, 31, v5
	v_and_b32_e32 v56, v56, v57
	v_xor_b32_e32 v57, vcc_hi, v5
	v_xor_b32_e32 v5, vcc_lo, v5
	v_and_b32_e32 v7, v7, v5
	v_lshlrev_b32_e32 v5, 28, v6
	v_cmp_gt_i64_e32 vcc, 0, v[4:5]
	v_not_b32_e32 v5, v5
	v_ashrrev_i32_e32 v5, 31, v5
	v_and_b32_e32 v56, v56, v57
	;; [unrolled: 8-line block ×5, first 2 shown]
	v_xor_b32_e32 v57, vcc_hi, v5
	v_xor_b32_e32 v5, vcc_lo, v5
	v_and_b32_e32 v7, v7, v5
	v_lshlrev_b32_e32 v5, 24, v6
	v_cmp_gt_i64_e32 vcc, 0, v[4:5]
	v_not_b32_e32 v4, v5
	v_ashrrev_i32_e32 v4, 31, v4
	v_xor_b32_e32 v5, vcc_hi, v4
	v_xor_b32_e32 v4, vcc_lo, v4
	; wave barrier
	ds_read_b32 v30, v54 offset:64
	v_and_b32_e32 v56, v56, v57
	v_and_b32_e32 v4, v7, v4
	;; [unrolled: 1-line block ×3, first 2 shown]
	v_mbcnt_lo_u32_b32 v6, v4, 0
	v_mbcnt_hi_u32_b32 v56, v5, v6
	v_cmp_eq_u32_e32 vcc, 0, v56
	v_cmp_ne_u64_e64 s[2:3], 0, v[4:5]
	v_add_u32_e32 v55, 64, v20
	s_and_b64 s[8:9], s[2:3], vcc
	; wave barrier
	s_and_saveexec_b64 s[2:3], s[8:9]
	s_cbranch_execz .LBB1342_53
; %bb.52:
	v_bcnt_u32_b32 v4, v4, 0
	v_bcnt_u32_b32 v4, v5, v4
	s_waitcnt lgkmcnt(0)
	v_add_u32_e32 v4, v30, v4
	ds_write_b32 v54, v4 offset:64
.LBB1342_53:
	s_or_b64 exec, exec, s[2:3]
	; wave barrier
	s_waitcnt lgkmcnt(0)
	s_barrier
	ds_read2_b32 v[6:7], v20 offset0:16 offset1:17
	ds_read2_b32 v[4:5], v55 offset0:2 offset1:3
	ds_read_b32 v57, v55 offset:16
	v_cmp_lt_u32_e64 s[12:13], 31, v13
	s_waitcnt lgkmcnt(1)
	v_add3_u32 v58, v7, v6, v4
	s_waitcnt lgkmcnt(0)
	v_add3_u32 v57, v58, v5, v57
	v_and_b32_e32 v58, 15, v13
	v_cmp_eq_u32_e32 vcc, 0, v58
	v_mov_b32_dpp v59, v57 row_shr:1 row_mask:0xf bank_mask:0xf
	v_cndmask_b32_e64 v59, v59, 0, vcc
	v_add_u32_e32 v57, v59, v57
	v_cmp_lt_u32_e64 s[2:3], 1, v58
	v_cmp_lt_u32_e64 s[10:11], 3, v58
	v_mov_b32_dpp v59, v57 row_shr:2 row_mask:0xf bank_mask:0xf
	v_cndmask_b32_e64 v59, 0, v59, s[2:3]
	v_add_u32_e32 v57, v57, v59
	v_cmp_lt_u32_e64 s[8:9], 7, v58
	s_nop 0
	v_mov_b32_dpp v59, v57 row_shr:4 row_mask:0xf bank_mask:0xf
	v_cndmask_b32_e64 v59, 0, v59, s[10:11]
	v_add_u32_e32 v57, v57, v59
	s_nop 1
	v_mov_b32_dpp v59, v57 row_shr:8 row_mask:0xf bank_mask:0xf
	v_cndmask_b32_e64 v58, 0, v59, s[8:9]
	v_add_u32_e32 v57, v57, v58
	v_bfe_i32 v59, v13, 4, 1
	s_nop 0
	v_mov_b32_dpp v58, v57 row_bcast:15 row_mask:0xf bank_mask:0xf
	v_and_b32_e32 v58, v59, v58
	v_add_u32_e32 v57, v57, v58
	v_and_b32_e32 v59, 63, v2
	s_nop 0
	v_mov_b32_dpp v58, v57 row_bcast:31 row_mask:0xf bank_mask:0xf
	v_cndmask_b32_e64 v58, 0, v58, s[12:13]
	v_add_u32_e32 v57, v57, v58
	v_lshrrev_b32_e32 v58, 6, v2
	v_cmp_eq_u32_e64 s[12:13], 63, v59
	s_and_saveexec_b64 s[22:23], s[12:13]
	s_cbranch_execz .LBB1342_55
; %bb.54:
	v_lshlrev_b32_e32 v59, 2, v58
	ds_write_b32 v59, v57
.LBB1342_55:
	s_or_b64 exec, exec, s[22:23]
	v_cmp_gt_u32_e64 s[12:13], 16, v2
	s_waitcnt lgkmcnt(0)
	s_barrier
	s_and_saveexec_b64 s[22:23], s[12:13]
	s_cbranch_execz .LBB1342_57
; %bb.56:
	v_lshlrev_b32_e32 v59, 2, v2
	ds_read_b32 v60, v59
	s_waitcnt lgkmcnt(0)
	s_nop 0
	v_mov_b32_dpp v61, v60 row_shr:1 row_mask:0xf bank_mask:0xf
	v_cndmask_b32_e64 v61, v61, 0, vcc
	v_add_u32_e32 v60, v61, v60
	s_nop 1
	v_mov_b32_dpp v61, v60 row_shr:2 row_mask:0xf bank_mask:0xf
	v_cndmask_b32_e64 v61, 0, v61, s[2:3]
	v_add_u32_e32 v60, v60, v61
	s_nop 1
	v_mov_b32_dpp v61, v60 row_shr:4 row_mask:0xf bank_mask:0xf
	v_cndmask_b32_e64 v61, 0, v61, s[10:11]
	;; [unrolled: 4-line block ×3, first 2 shown]
	v_add_u32_e32 v60, v60, v61
	ds_write_b32 v59, v60
.LBB1342_57:
	s_or_b64 exec, exec, s[22:23]
	v_cmp_lt_u32_e32 vcc, 63, v2
	v_mov_b32_e32 v59, 0
	s_waitcnt lgkmcnt(0)
	s_barrier
	s_and_saveexec_b64 s[2:3], vcc
	s_cbranch_execz .LBB1342_59
; %bb.58:
	v_lshl_add_u32 v58, v58, 2, -4
	ds_read_b32 v59, v58
.LBB1342_59:
	s_or_b64 exec, exec, s[2:3]
	v_add_u32_e32 v58, -1, v13
	v_and_b32_e32 v60, 64, v13
	v_cmp_lt_i32_e32 vcc, v58, v60
	v_cndmask_b32_e32 v58, v58, v13, vcc
	s_waitcnt lgkmcnt(0)
	v_add_u32_e32 v57, v59, v57
	v_lshlrev_b32_e32 v58, 2, v58
	ds_bpermute_b32 v57, v58, v57
	v_cmp_eq_u32_e32 vcc, 0, v13
	s_movk_i32 s2, 0x100
	s_waitcnt lgkmcnt(0)
	v_cndmask_b32_e32 v13, v57, v59, vcc
	v_cndmask_b32_e64 v13, v13, 0, s[0:1]
	v_add_u32_e32 v6, v13, v6
	v_add_u32_e32 v7, v6, v7
	;; [unrolled: 1-line block ×4, first 2 shown]
	ds_write2_b32 v20, v13, v6 offset0:16 offset1:17
	ds_write2_b32 v55, v7, v4 offset0:2 offset1:3
	ds_write_b32 v55, v5 offset:16
	s_waitcnt lgkmcnt(0)
	s_barrier
	ds_read_b32 v59, v23 offset:64
	ds_read_b32 v58, v24 offset:64
	;; [unrolled: 1-line block ×12, first 2 shown]
	v_cmp_gt_u32_e32 vcc, s2, v2
                                        ; implicit-def: $vgpr13
                                        ; implicit-def: $vgpr20
	s_and_saveexec_b64 s[8:9], vcc
	s_cbranch_execz .LBB1342_63
; %bb.60:
	v_mul_u32_u24_e32 v13, 17, v2
	v_lshlrev_b32_e32 v34, 2, v13
	ds_read_b32 v13, v34 offset:64
	s_movk_i32 s2, 0xff
	v_cmp_ne_u32_e64 s[2:3], s2, v2
	v_mov_b32_e32 v20, 0x3000
	s_and_saveexec_b64 s[10:11], s[2:3]
	s_cbranch_execz .LBB1342_62
; %bb.61:
	ds_read_b32 v20, v34 offset:132
.LBB1342_62:
	s_or_b64 exec, exec, s[10:11]
	s_waitcnt lgkmcnt(0)
	v_sub_u32_e32 v20, v20, v13
.LBB1342_63:
	s_or_b64 exec, exec, s[8:9]
	v_add_u32_e32 v22, v25, v22
	s_waitcnt lgkmcnt(11)
	v_add_lshl_u32 v21, v59, v21, 1
	v_add_u32_e32 v26, v28, v26
	s_waitcnt lgkmcnt(0)
	s_barrier
	ds_write_b16 v21, v8 offset:1024
	v_add_lshl_u32 v8, v22, v58, 1
	v_add_u32_e32 v29, v32, v29
	ds_write_b16 v8, v3 offset:1024
	v_add_lshl_u32 v3, v26, v57, 1
	v_add_u32_e32 v33, v35, v33
	;; [unrolled: 3-line block ×9, first 2 shown]
	ds_write_b16 v3, v16 offset:1024
	v_add_lshl_u32 v3, v34, v5, 1
	ds_write_b16 v3, v19 offset:1024
	v_add_lshl_u32 v3, v30, v4, 1
	ds_write_b16 v3, v18 offset:1024
	s_and_saveexec_b64 s[8:9], vcc
	s_cbranch_execz .LBB1342_73
; %bb.64:
	v_lshl_or_b32 v4, s30, 8, v2
	v_mov_b32_e32 v5, 0
	v_lshlrev_b64 v[6:7], 2, v[4:5]
	v_mov_b32_e32 v3, s15
	v_add_co_u32_e64 v6, s[2:3], s14, v6
	v_addc_co_u32_e64 v7, s[2:3], v3, v7, s[2:3]
	v_or_b32_e32 v4, 2.0, v20
	s_mov_b64 s[10:11], 0
	s_brev_b32 s33, 1
	s_mov_b32 s34, s30
	v_mov_b32_e32 v10, 0
	global_store_dword v[6:7], v4, off
                                        ; implicit-def: $sgpr2_sgpr3
	s_branch .LBB1342_66
.LBB1342_65:                            ;   in Loop: Header=BB1342_66 Depth=1
	s_or_b64 exec, exec, s[12:13]
	v_and_b32_e32 v8, 0x3fffffff, v11
	v_add_u32_e32 v10, v8, v10
	v_cmp_eq_u32_e64 s[2:3], s33, v4
	s_and_b64 s[12:13], exec, s[2:3]
	s_or_b64 s[10:11], s[12:13], s[10:11]
	s_andn2_b64 exec, exec, s[10:11]
	s_cbranch_execz .LBB1342_72
.LBB1342_66:                            ; =>This Loop Header: Depth=1
                                        ;     Child Loop BB1342_69 Depth 2
	s_or_b64 s[2:3], s[2:3], exec
	s_cmp_eq_u32 s34, 0
	s_cbranch_scc1 .LBB1342_71
; %bb.67:                               ;   in Loop: Header=BB1342_66 Depth=1
	s_add_i32 s34, s34, -1
	v_lshl_or_b32 v4, s34, 8, v2
	v_lshlrev_b64 v[8:9], 2, v[4:5]
	v_add_co_u32_e64 v8, s[2:3], s14, v8
	v_addc_co_u32_e64 v9, s[2:3], v3, v9, s[2:3]
	global_load_dword v11, v[8:9], off glc
	s_waitcnt vmcnt(0)
	v_and_b32_e32 v4, -2.0, v11
	v_cmp_eq_u32_e64 s[2:3], 0, v4
	s_and_saveexec_b64 s[12:13], s[2:3]
	s_cbranch_execz .LBB1342_65
; %bb.68:                               ;   in Loop: Header=BB1342_66 Depth=1
	s_mov_b64 s[22:23], 0
.LBB1342_69:                            ;   Parent Loop BB1342_66 Depth=1
                                        ; =>  This Inner Loop Header: Depth=2
	global_load_dword v11, v[8:9], off glc
	s_waitcnt vmcnt(0)
	v_and_b32_e32 v4, -2.0, v11
	v_cmp_ne_u32_e64 s[2:3], 0, v4
	s_or_b64 s[22:23], s[2:3], s[22:23]
	s_andn2_b64 exec, exec, s[22:23]
	s_cbranch_execnz .LBB1342_69
; %bb.70:                               ;   in Loop: Header=BB1342_66 Depth=1
	s_or_b64 exec, exec, s[22:23]
	s_branch .LBB1342_65
.LBB1342_71:                            ;   in Loop: Header=BB1342_66 Depth=1
                                        ; implicit-def: $sgpr34
	s_and_b64 s[12:13], exec, s[2:3]
	s_or_b64 s[10:11], s[12:13], s[10:11]
	s_andn2_b64 exec, exec, s[10:11]
	s_cbranch_execnz .LBB1342_66
.LBB1342_72:
	s_or_b64 exec, exec, s[10:11]
	v_add_u32_e32 v3, v10, v20
	v_or_b32_e32 v3, 0x80000000, v3
	global_store_dword v[6:7], v3, off
	v_lshlrev_b32_e32 v3, 2, v2
	global_load_dword v4, v3, s[16:17]
	v_sub_u32_e32 v5, v10, v13
	s_waitcnt vmcnt(0)
	v_add_u32_e32 v4, v5, v4
	ds_write_b32 v3, v4
.LBB1342_73:
	s_or_b64 exec, exec, s[8:9]
	v_cmp_gt_u32_e64 s[2:3], s7, v2
	s_waitcnt lgkmcnt(0)
	s_barrier
	s_and_saveexec_b64 s[8:9], s[2:3]
	s_cbranch_execz .LBB1342_75
; %bb.74:
	v_lshlrev_b32_e32 v3, 1, v2
	ds_read_u16 v3, v3 offset:1024
	v_mov_b32_e32 v5, 0
	v_mov_b32_e32 v6, s27
	s_waitcnt lgkmcnt(0)
	v_lshrrev_b32_sdwa v4, s20, v3 dst_sel:DWORD dst_unused:UNUSED_PAD src0_sel:DWORD src1_sel:WORD_0
	v_and_b32_e32 v4, s31, v4
	v_lshlrev_b32_e32 v4, 2, v4
	ds_read_b32 v4, v4
	s_waitcnt lgkmcnt(0)
	v_add_u32_e32 v4, v4, v2
	v_lshlrev_b64 v[4:5], 1, v[4:5]
	v_add_co_u32_e64 v4, s[2:3], s26, v4
	v_addc_co_u32_e64 v5, s[2:3], v6, v5, s[2:3]
	global_store_short v[4:5], v3, off
.LBB1342_75:
	s_or_b64 exec, exec, s[8:9]
	v_or_b32_e32 v3, 0x400, v2
	v_cmp_gt_u32_e64 s[2:3], s7, v3
	s_and_saveexec_b64 s[8:9], s[2:3]
	s_cbranch_execz .LBB1342_77
; %bb.76:
	v_lshlrev_b32_e32 v4, 1, v2
	ds_read_u16 v6, v4 offset:3072
	v_mov_b32_e32 v5, 0
	v_mov_b32_e32 v7, s27
	s_waitcnt lgkmcnt(0)
	v_lshrrev_b32_sdwa v4, s20, v6 dst_sel:DWORD dst_unused:UNUSED_PAD src0_sel:DWORD src1_sel:WORD_0
	v_and_b32_e32 v4, s31, v4
	v_lshlrev_b32_e32 v4, 2, v4
	ds_read_b32 v4, v4
	s_waitcnt lgkmcnt(0)
	v_add_u32_e32 v4, v4, v3
	v_lshlrev_b64 v[4:5], 1, v[4:5]
	v_add_co_u32_e64 v4, s[2:3], s26, v4
	v_addc_co_u32_e64 v5, s[2:3], v7, v5, s[2:3]
	global_store_short v[4:5], v6, off
.LBB1342_77:
	s_or_b64 exec, exec, s[8:9]
	v_or_b32_e32 v3, 0x800, v2
	v_cmp_gt_u32_e64 s[2:3], s7, v3
	;; [unrolled: 22-line block ×11, first 2 shown]
	s_and_saveexec_b64 s[8:9], s[2:3]
	s_cbranch_execz .LBB1342_97
; %bb.96:
	v_lshlrev_b32_e32 v4, 1, v2
	ds_read_u16 v6, v4 offset:23552
	v_mov_b32_e32 v5, 0
	v_mov_b32_e32 v7, s27
	s_waitcnt lgkmcnt(0)
	v_lshrrev_b32_sdwa v4, s20, v6 dst_sel:DWORD dst_unused:UNUSED_PAD src0_sel:DWORD src1_sel:WORD_0
	v_and_b32_e32 v4, s31, v4
	v_lshlrev_b32_e32 v4, 2, v4
	ds_read_b32 v4, v4
	s_waitcnt lgkmcnt(0)
	v_add_u32_e32 v4, v4, v3
	v_lshlrev_b64 v[4:5], 1, v[4:5]
	v_add_co_u32_e64 v4, s[2:3], s26, v4
	v_addc_co_u32_e64 v5, s[2:3], v7, v5, s[2:3]
	global_store_short v[4:5], v6, off
.LBB1342_97:
	s_or_b64 exec, exec, s[8:9]
	s_add_i32 s29, s29, -1
	s_cmp_eq_u32 s29, s30
	s_cselect_b64 s[2:3], -1, 0
	s_and_b64 s[8:9], vcc, s[2:3]
	s_mov_b64 s[2:3], 0
	s_mov_b64 s[10:11], 0
                                        ; implicit-def: $vgpr4
	s_and_saveexec_b64 s[12:13], s[8:9]
	s_xor_b64 s[8:9], exec, s[12:13]
; %bb.98:
	s_mov_b64 s[10:11], exec
	v_add_u32_e32 v4, v13, v20
	v_mov_b32_e32 v3, 0
; %bb.99:
	s_or_b64 exec, exec, s[8:9]
	s_and_b64 vcc, exec, s[2:3]
	s_cbranch_vccnz .LBB1342_101
	s_branch .LBB1342_150
.LBB1342_100:
	s_mov_b64 s[10:11], 0
                                        ; implicit-def: $vgpr4
	s_cbranch_execz .LBB1342_150
.LBB1342_101:
	s_mov_b32 s29, 0
	v_mbcnt_hi_u32_b32 v17, -1, v1
	s_lshl_b64 s[2:3], s[28:29], 1
	v_and_b32_e32 v1, 63, v17
	s_add_u32 s2, s24, s2
	v_lshlrev_b32_e32 v1, 1, v1
	v_add_co_u32_e32 v1, vcc, s2, v1
	s_load_dword s22, s[4:5], 0x58
	s_load_dword s2, s[4:5], 0x64
	s_addc_u32 s3, s25, s3
	v_and_b32_e32 v3, 0x3c0, v2
	v_mul_u32_u24_e32 v3, 12, v3
	v_mov_b32_e32 v5, s3
	s_add_u32 s3, s4, 0x58
	v_addc_co_u32_e32 v5, vcc, 0, v5, vcc
	v_lshlrev_b32_e32 v3, 1, v3
	s_addc_u32 s4, s5, 0
	s_waitcnt lgkmcnt(0)
	s_lshr_b32 s5, s2, 16
	v_add_co_u32_e32 v20, vcc, v1, v3
	s_cmp_lt_u32 s6, s22
	v_addc_co_u32_e32 v21, vcc, 0, v5, vcc
	s_cselect_b32 s2, 12, 18
	global_load_ushort v3, v[20:21], off
	s_add_u32 s2, s3, s2
	v_mov_b32_e32 v4, 0
	s_addc_u32 s3, s4, 0
	global_load_ushort v1, v4, s[2:3]
	v_mul_u32_u24_e32 v6, 5, v2
	v_lshlrev_b32_e32 v18, 2, v6
	ds_write2_b32 v18, v4, v4 offset0:16 offset1:17
	ds_write2_b32 v18, v4, v4 offset0:18 offset1:19
	ds_write_b32 v18, v4 offset:80
	global_load_ushort v16, v[20:21], off offset:128
	global_load_ushort v15, v[20:21], off offset:256
	global_load_ushort v14, v[20:21], off offset:384
	global_load_ushort v13, v[20:21], off offset:512
	global_load_ushort v12, v[20:21], off offset:640
	global_load_ushort v11, v[20:21], off offset:768
	global_load_ushort v10, v[20:21], off offset:896
	global_load_ushort v9, v[20:21], off offset:1024
	global_load_ushort v8, v[20:21], off offset:1152
	global_load_ushort v7, v[20:21], off offset:1280
	global_load_ushort v6, v[20:21], off offset:1408
	v_bfe_u32 v5, v0, 10, 10
	v_bfe_u32 v0, v0, 20, 10
	s_lshl_b32 s2, -1, s21
	v_mad_u32_u24 v0, v0, s5, v5
	s_not_b32 s21, s2
	s_waitcnt lgkmcnt(0)
	s_barrier
	s_waitcnt lgkmcnt(0)
	; wave barrier
	s_waitcnt vmcnt(12)
	v_lshrrev_b32_sdwa v5, s20, v3 dst_sel:DWORD dst_unused:UNUSED_PAD src0_sel:DWORD src1_sel:WORD_0
	v_and_b32_e32 v20, s21, v5
	v_and_b32_e32 v21, 1, v20
	v_lshlrev_b32_e32 v5, 30, v20
	s_waitcnt vmcnt(11)
	v_mad_u64_u32 v[0:1], s[2:3], v0, v1, v[2:3]
	v_add_co_u32_e32 v1, vcc, -1, v21
	v_addc_co_u32_e64 v22, s[2:3], 0, -1, vcc
	v_cmp_ne_u32_e32 vcc, 0, v21
	v_cmp_gt_i64_e64 s[2:3], 0, v[4:5]
	v_not_b32_e32 v21, v5
	v_lshlrev_b32_e32 v5, 29, v20
	v_lshrrev_b32_e32 v26, 6, v0
	v_xor_b32_e32 v0, vcc_hi, v22
	v_xor_b32_e32 v1, vcc_lo, v1
	v_ashrrev_i32_e32 v21, 31, v21
	v_cmp_gt_i64_e32 vcc, 0, v[4:5]
	v_not_b32_e32 v22, v5
	v_lshlrev_b32_e32 v5, 28, v20
	v_and_b32_e32 v0, exec_hi, v0
	v_and_b32_e32 v1, exec_lo, v1
	v_xor_b32_e32 v23, s3, v21
	v_xor_b32_e32 v21, s2, v21
	v_ashrrev_i32_e32 v22, 31, v22
	v_cmp_gt_i64_e64 s[2:3], 0, v[4:5]
	v_not_b32_e32 v5, v5
	v_and_b32_e32 v0, v0, v23
	v_and_b32_e32 v1, v1, v21
	v_xor_b32_e32 v21, vcc_hi, v22
	v_xor_b32_e32 v22, vcc_lo, v22
	v_ashrrev_i32_e32 v5, 31, v5
	v_and_b32_e32 v0, v0, v21
	v_and_b32_e32 v1, v1, v22
	v_xor_b32_e32 v21, s3, v5
	v_xor_b32_e32 v5, s2, v5
	v_and_b32_e32 v1, v1, v5
	v_lshlrev_b32_e32 v5, 27, v20
	v_cmp_gt_i64_e32 vcc, 0, v[4:5]
	v_not_b32_e32 v5, v5
	v_ashrrev_i32_e32 v5, 31, v5
	v_and_b32_e32 v0, v0, v21
	v_xor_b32_e32 v21, vcc_hi, v5
	v_xor_b32_e32 v5, vcc_lo, v5
	v_and_b32_e32 v1, v1, v5
	v_lshlrev_b32_e32 v5, 26, v20
	v_cmp_gt_i64_e32 vcc, 0, v[4:5]
	v_not_b32_e32 v5, v5
	v_ashrrev_i32_e32 v5, 31, v5
	v_and_b32_e32 v0, v0, v21
	v_xor_b32_e32 v21, vcc_hi, v5
	v_xor_b32_e32 v5, vcc_lo, v5
	;; [unrolled: 8-line block ×3, first 2 shown]
	v_and_b32_e32 v0, v0, v21
	v_and_b32_e32 v21, v1, v5
	v_lshlrev_b32_e32 v5, 24, v20
	v_not_b32_e32 v1, v5
	v_cmp_gt_i64_e32 vcc, 0, v[4:5]
	v_ashrrev_i32_e32 v1, 31, v1
	v_mul_u32_u24_e32 v19, 17, v20
	v_xor_b32_e32 v5, vcc_hi, v1
	v_xor_b32_e32 v20, vcc_lo, v1
	v_and_b32_e32 v1, v0, v5
	v_and_b32_e32 v0, v21, v20
	v_mbcnt_lo_u32_b32 v5, v0, 0
	v_mbcnt_hi_u32_b32 v20, v1, v5
	v_cmp_eq_u32_e32 vcc, 0, v20
	v_cmp_ne_u64_e64 s[2:3], 0, v[0:1]
	v_add_lshl_u32 v19, v26, v19, 2
	s_and_b64 s[4:5], s[2:3], vcc
	s_and_saveexec_b64 s[2:3], s[4:5]
	s_cbranch_execz .LBB1342_103
; %bb.102:
	v_bcnt_u32_b32 v0, v0, 0
	v_bcnt_u32_b32 v0, v1, v0
	ds_write_b32 v19, v0 offset:64
.LBB1342_103:
	s_or_b64 exec, exec, s[2:3]
	s_waitcnt vmcnt(10)
	v_lshrrev_b32_sdwa v0, s20, v16 dst_sel:DWORD dst_unused:UNUSED_PAD src0_sel:DWORD src1_sel:WORD_0
	v_and_b32_e32 v0, s21, v0
	v_mul_u32_u24_e32 v1, 17, v0
	v_add_lshl_u32 v22, v26, v1, 2
	v_and_b32_e32 v1, 1, v0
	v_add_co_u32_e32 v5, vcc, -1, v1
	v_addc_co_u32_e64 v23, s[2:3], 0, -1, vcc
	v_cmp_ne_u32_e32 vcc, 0, v1
	v_xor_b32_e32 v5, vcc_lo, v5
	v_xor_b32_e32 v1, vcc_hi, v23
	v_and_b32_e32 v23, exec_lo, v5
	v_lshlrev_b32_e32 v5, 30, v0
	v_cmp_gt_i64_e32 vcc, 0, v[4:5]
	v_not_b32_e32 v5, v5
	v_ashrrev_i32_e32 v5, 31, v5
	v_xor_b32_e32 v24, vcc_hi, v5
	v_xor_b32_e32 v5, vcc_lo, v5
	v_and_b32_e32 v23, v23, v5
	v_lshlrev_b32_e32 v5, 29, v0
	v_cmp_gt_i64_e32 vcc, 0, v[4:5]
	v_not_b32_e32 v5, v5
	v_and_b32_e32 v1, exec_hi, v1
	v_ashrrev_i32_e32 v5, 31, v5
	v_and_b32_e32 v1, v1, v24
	v_xor_b32_e32 v24, vcc_hi, v5
	v_xor_b32_e32 v5, vcc_lo, v5
	v_and_b32_e32 v23, v23, v5
	v_lshlrev_b32_e32 v5, 28, v0
	v_cmp_gt_i64_e32 vcc, 0, v[4:5]
	v_not_b32_e32 v5, v5
	v_ashrrev_i32_e32 v5, 31, v5
	v_and_b32_e32 v1, v1, v24
	v_xor_b32_e32 v24, vcc_hi, v5
	v_xor_b32_e32 v5, vcc_lo, v5
	v_and_b32_e32 v23, v23, v5
	v_lshlrev_b32_e32 v5, 27, v0
	v_cmp_gt_i64_e32 vcc, 0, v[4:5]
	v_not_b32_e32 v5, v5
	;; [unrolled: 8-line block ×4, first 2 shown]
	v_ashrrev_i32_e32 v5, 31, v5
	v_and_b32_e32 v1, v1, v24
	v_xor_b32_e32 v24, vcc_hi, v5
	v_xor_b32_e32 v5, vcc_lo, v5
	v_and_b32_e32 v23, v23, v5
	v_lshlrev_b32_e32 v5, 24, v0
	v_not_b32_e32 v0, v5
	v_cmp_gt_i64_e32 vcc, 0, v[4:5]
	v_ashrrev_i32_e32 v0, 31, v0
	v_xor_b32_e32 v4, vcc_hi, v0
	v_xor_b32_e32 v0, vcc_lo, v0
	; wave barrier
	ds_read_b32 v21, v22 offset:64
	v_and_b32_e32 v1, v1, v24
	v_and_b32_e32 v0, v23, v0
	;; [unrolled: 1-line block ×3, first 2 shown]
	v_mbcnt_lo_u32_b32 v4, v0, 0
	v_mbcnt_hi_u32_b32 v23, v1, v4
	v_cmp_eq_u32_e32 vcc, 0, v23
	v_cmp_ne_u64_e64 s[2:3], 0, v[0:1]
	s_and_b64 s[4:5], s[2:3], vcc
	; wave barrier
	s_and_saveexec_b64 s[2:3], s[4:5]
	s_cbranch_execz .LBB1342_105
; %bb.104:
	v_bcnt_u32_b32 v0, v0, 0
	v_bcnt_u32_b32 v0, v1, v0
	s_waitcnt lgkmcnt(0)
	v_add_u32_e32 v0, v21, v0
	ds_write_b32 v22, v0 offset:64
.LBB1342_105:
	s_or_b64 exec, exec, s[2:3]
	s_waitcnt vmcnt(9)
	v_lshrrev_b32_sdwa v0, s20, v15 dst_sel:DWORD dst_unused:UNUSED_PAD src0_sel:DWORD src1_sel:WORD_0
	v_and_b32_e32 v4, s21, v0
	v_and_b32_e32 v1, 1, v4
	v_add_co_u32_e32 v5, vcc, -1, v1
	v_addc_co_u32_e64 v27, s[2:3], 0, -1, vcc
	v_cmp_ne_u32_e32 vcc, 0, v1
	v_mul_u32_u24_e32 v0, 17, v4
	v_xor_b32_e32 v1, vcc_hi, v27
	v_add_lshl_u32 v25, v26, v0, 2
	v_mov_b32_e32 v0, 0
	v_and_b32_e32 v27, exec_hi, v1
	v_lshlrev_b32_e32 v1, 30, v4
	v_xor_b32_e32 v5, vcc_lo, v5
	v_cmp_gt_i64_e32 vcc, 0, v[0:1]
	v_not_b32_e32 v1, v1
	v_ashrrev_i32_e32 v1, 31, v1
	v_and_b32_e32 v5, exec_lo, v5
	v_xor_b32_e32 v28, vcc_hi, v1
	v_xor_b32_e32 v1, vcc_lo, v1
	v_and_b32_e32 v5, v5, v1
	v_lshlrev_b32_e32 v1, 29, v4
	v_cmp_gt_i64_e32 vcc, 0, v[0:1]
	v_not_b32_e32 v1, v1
	v_ashrrev_i32_e32 v1, 31, v1
	v_and_b32_e32 v27, v27, v28
	v_xor_b32_e32 v28, vcc_hi, v1
	v_xor_b32_e32 v1, vcc_lo, v1
	v_and_b32_e32 v5, v5, v1
	v_lshlrev_b32_e32 v1, 28, v4
	v_cmp_gt_i64_e32 vcc, 0, v[0:1]
	v_not_b32_e32 v1, v1
	v_ashrrev_i32_e32 v1, 31, v1
	v_and_b32_e32 v27, v27, v28
	;; [unrolled: 8-line block ×5, first 2 shown]
	v_xor_b32_e32 v28, vcc_hi, v1
	v_xor_b32_e32 v1, vcc_lo, v1
	v_and_b32_e32 v27, v27, v28
	v_and_b32_e32 v28, v5, v1
	v_lshlrev_b32_e32 v1, 24, v4
	v_cmp_gt_i64_e32 vcc, 0, v[0:1]
	v_not_b32_e32 v1, v1
	v_ashrrev_i32_e32 v1, 31, v1
	v_xor_b32_e32 v4, vcc_hi, v1
	v_xor_b32_e32 v1, vcc_lo, v1
	; wave barrier
	ds_read_b32 v24, v25 offset:64
	v_and_b32_e32 v5, v27, v4
	v_and_b32_e32 v4, v28, v1
	v_mbcnt_lo_u32_b32 v1, v4, 0
	v_mbcnt_hi_u32_b32 v27, v5, v1
	v_cmp_eq_u32_e32 vcc, 0, v27
	v_cmp_ne_u64_e64 s[2:3], 0, v[4:5]
	s_and_b64 s[4:5], s[2:3], vcc
	; wave barrier
	s_and_saveexec_b64 s[2:3], s[4:5]
	s_cbranch_execz .LBB1342_107
; %bb.106:
	v_bcnt_u32_b32 v1, v4, 0
	v_bcnt_u32_b32 v1, v5, v1
	s_waitcnt lgkmcnt(0)
	v_add_u32_e32 v1, v24, v1
	ds_write_b32 v25, v1 offset:64
.LBB1342_107:
	s_or_b64 exec, exec, s[2:3]
	s_waitcnt vmcnt(8)
	v_lshrrev_b32_sdwa v1, s20, v14 dst_sel:DWORD dst_unused:UNUSED_PAD src0_sel:DWORD src1_sel:WORD_0
	v_and_b32_e32 v4, s21, v1
	v_mul_u32_u24_e32 v1, 17, v4
	v_add_lshl_u32 v29, v26, v1, 2
	v_and_b32_e32 v1, 1, v4
	v_add_co_u32_e32 v5, vcc, -1, v1
	v_addc_co_u32_e64 v30, s[2:3], 0, -1, vcc
	v_cmp_ne_u32_e32 vcc, 0, v1
	v_xor_b32_e32 v1, vcc_hi, v30
	v_and_b32_e32 v30, exec_hi, v1
	v_lshlrev_b32_e32 v1, 30, v4
	v_xor_b32_e32 v5, vcc_lo, v5
	v_cmp_gt_i64_e32 vcc, 0, v[0:1]
	v_not_b32_e32 v1, v1
	v_ashrrev_i32_e32 v1, 31, v1
	v_and_b32_e32 v5, exec_lo, v5
	v_xor_b32_e32 v31, vcc_hi, v1
	v_xor_b32_e32 v1, vcc_lo, v1
	v_and_b32_e32 v5, v5, v1
	v_lshlrev_b32_e32 v1, 29, v4
	v_cmp_gt_i64_e32 vcc, 0, v[0:1]
	v_not_b32_e32 v1, v1
	v_ashrrev_i32_e32 v1, 31, v1
	v_and_b32_e32 v30, v30, v31
	v_xor_b32_e32 v31, vcc_hi, v1
	v_xor_b32_e32 v1, vcc_lo, v1
	v_and_b32_e32 v5, v5, v1
	v_lshlrev_b32_e32 v1, 28, v4
	v_cmp_gt_i64_e32 vcc, 0, v[0:1]
	v_not_b32_e32 v1, v1
	v_ashrrev_i32_e32 v1, 31, v1
	v_and_b32_e32 v30, v30, v31
	;; [unrolled: 8-line block ×5, first 2 shown]
	v_xor_b32_e32 v31, vcc_hi, v1
	v_xor_b32_e32 v1, vcc_lo, v1
	v_and_b32_e32 v5, v5, v1
	v_lshlrev_b32_e32 v1, 24, v4
	v_cmp_gt_i64_e32 vcc, 0, v[0:1]
	v_not_b32_e32 v0, v1
	v_ashrrev_i32_e32 v0, 31, v0
	v_xor_b32_e32 v1, vcc_hi, v0
	v_xor_b32_e32 v0, vcc_lo, v0
	; wave barrier
	ds_read_b32 v28, v29 offset:64
	v_and_b32_e32 v30, v30, v31
	v_and_b32_e32 v0, v5, v0
	;; [unrolled: 1-line block ×3, first 2 shown]
	v_mbcnt_lo_u32_b32 v4, v0, 0
	v_mbcnt_hi_u32_b32 v30, v1, v4
	v_cmp_eq_u32_e32 vcc, 0, v30
	v_cmp_ne_u64_e64 s[2:3], 0, v[0:1]
	s_and_b64 s[4:5], s[2:3], vcc
	; wave barrier
	s_and_saveexec_b64 s[2:3], s[4:5]
	s_cbranch_execz .LBB1342_109
; %bb.108:
	v_bcnt_u32_b32 v0, v0, 0
	v_bcnt_u32_b32 v0, v1, v0
	s_waitcnt lgkmcnt(0)
	v_add_u32_e32 v0, v28, v0
	ds_write_b32 v29, v0 offset:64
.LBB1342_109:
	s_or_b64 exec, exec, s[2:3]
	s_waitcnt vmcnt(7)
	v_lshrrev_b32_sdwa v0, s20, v13 dst_sel:DWORD dst_unused:UNUSED_PAD src0_sel:DWORD src1_sel:WORD_0
	v_and_b32_e32 v4, s21, v0
	v_and_b32_e32 v1, 1, v4
	v_add_co_u32_e32 v5, vcc, -1, v1
	v_addc_co_u32_e64 v33, s[2:3], 0, -1, vcc
	v_cmp_ne_u32_e32 vcc, 0, v1
	v_mul_u32_u24_e32 v0, 17, v4
	v_xor_b32_e32 v1, vcc_hi, v33
	v_add_lshl_u32 v32, v26, v0, 2
	v_mov_b32_e32 v0, 0
	v_and_b32_e32 v33, exec_hi, v1
	v_lshlrev_b32_e32 v1, 30, v4
	v_xor_b32_e32 v5, vcc_lo, v5
	v_cmp_gt_i64_e32 vcc, 0, v[0:1]
	v_not_b32_e32 v1, v1
	v_ashrrev_i32_e32 v1, 31, v1
	v_and_b32_e32 v5, exec_lo, v5
	v_xor_b32_e32 v34, vcc_hi, v1
	v_xor_b32_e32 v1, vcc_lo, v1
	v_and_b32_e32 v5, v5, v1
	v_lshlrev_b32_e32 v1, 29, v4
	v_cmp_gt_i64_e32 vcc, 0, v[0:1]
	v_not_b32_e32 v1, v1
	v_ashrrev_i32_e32 v1, 31, v1
	v_and_b32_e32 v33, v33, v34
	v_xor_b32_e32 v34, vcc_hi, v1
	v_xor_b32_e32 v1, vcc_lo, v1
	v_and_b32_e32 v5, v5, v1
	v_lshlrev_b32_e32 v1, 28, v4
	v_cmp_gt_i64_e32 vcc, 0, v[0:1]
	v_not_b32_e32 v1, v1
	v_ashrrev_i32_e32 v1, 31, v1
	v_and_b32_e32 v33, v33, v34
	;; [unrolled: 8-line block ×5, first 2 shown]
	v_xor_b32_e32 v34, vcc_hi, v1
	v_xor_b32_e32 v1, vcc_lo, v1
	v_and_b32_e32 v33, v33, v34
	v_and_b32_e32 v34, v5, v1
	v_lshlrev_b32_e32 v1, 24, v4
	v_cmp_gt_i64_e32 vcc, 0, v[0:1]
	v_not_b32_e32 v1, v1
	v_ashrrev_i32_e32 v1, 31, v1
	v_xor_b32_e32 v4, vcc_hi, v1
	v_xor_b32_e32 v1, vcc_lo, v1
	; wave barrier
	ds_read_b32 v31, v32 offset:64
	v_and_b32_e32 v5, v33, v4
	v_and_b32_e32 v4, v34, v1
	v_mbcnt_lo_u32_b32 v1, v4, 0
	v_mbcnt_hi_u32_b32 v33, v5, v1
	v_cmp_eq_u32_e32 vcc, 0, v33
	v_cmp_ne_u64_e64 s[2:3], 0, v[4:5]
	s_and_b64 s[4:5], s[2:3], vcc
	; wave barrier
	s_and_saveexec_b64 s[2:3], s[4:5]
	s_cbranch_execz .LBB1342_111
; %bb.110:
	v_bcnt_u32_b32 v1, v4, 0
	v_bcnt_u32_b32 v1, v5, v1
	s_waitcnt lgkmcnt(0)
	v_add_u32_e32 v1, v31, v1
	ds_write_b32 v32, v1 offset:64
.LBB1342_111:
	s_or_b64 exec, exec, s[2:3]
	s_waitcnt vmcnt(6)
	v_lshrrev_b32_sdwa v1, s20, v12 dst_sel:DWORD dst_unused:UNUSED_PAD src0_sel:DWORD src1_sel:WORD_0
	v_and_b32_e32 v4, s21, v1
	v_mul_u32_u24_e32 v1, 17, v4
	v_add_lshl_u32 v35, v26, v1, 2
	v_and_b32_e32 v1, 1, v4
	v_add_co_u32_e32 v5, vcc, -1, v1
	v_addc_co_u32_e64 v36, s[2:3], 0, -1, vcc
	v_cmp_ne_u32_e32 vcc, 0, v1
	v_xor_b32_e32 v1, vcc_hi, v36
	v_and_b32_e32 v36, exec_hi, v1
	v_lshlrev_b32_e32 v1, 30, v4
	v_xor_b32_e32 v5, vcc_lo, v5
	v_cmp_gt_i64_e32 vcc, 0, v[0:1]
	v_not_b32_e32 v1, v1
	v_ashrrev_i32_e32 v1, 31, v1
	v_and_b32_e32 v5, exec_lo, v5
	v_xor_b32_e32 v37, vcc_hi, v1
	v_xor_b32_e32 v1, vcc_lo, v1
	v_and_b32_e32 v5, v5, v1
	v_lshlrev_b32_e32 v1, 29, v4
	v_cmp_gt_i64_e32 vcc, 0, v[0:1]
	v_not_b32_e32 v1, v1
	v_ashrrev_i32_e32 v1, 31, v1
	v_and_b32_e32 v36, v36, v37
	v_xor_b32_e32 v37, vcc_hi, v1
	v_xor_b32_e32 v1, vcc_lo, v1
	v_and_b32_e32 v5, v5, v1
	v_lshlrev_b32_e32 v1, 28, v4
	v_cmp_gt_i64_e32 vcc, 0, v[0:1]
	v_not_b32_e32 v1, v1
	v_ashrrev_i32_e32 v1, 31, v1
	v_and_b32_e32 v36, v36, v37
	;; [unrolled: 8-line block ×5, first 2 shown]
	v_xor_b32_e32 v37, vcc_hi, v1
	v_xor_b32_e32 v1, vcc_lo, v1
	v_and_b32_e32 v5, v5, v1
	v_lshlrev_b32_e32 v1, 24, v4
	v_cmp_gt_i64_e32 vcc, 0, v[0:1]
	v_not_b32_e32 v0, v1
	v_ashrrev_i32_e32 v0, 31, v0
	v_xor_b32_e32 v1, vcc_hi, v0
	v_xor_b32_e32 v0, vcc_lo, v0
	; wave barrier
	ds_read_b32 v34, v35 offset:64
	v_and_b32_e32 v36, v36, v37
	v_and_b32_e32 v0, v5, v0
	;; [unrolled: 1-line block ×3, first 2 shown]
	v_mbcnt_lo_u32_b32 v4, v0, 0
	v_mbcnt_hi_u32_b32 v36, v1, v4
	v_cmp_eq_u32_e32 vcc, 0, v36
	v_cmp_ne_u64_e64 s[2:3], 0, v[0:1]
	s_and_b64 s[4:5], s[2:3], vcc
	; wave barrier
	s_and_saveexec_b64 s[2:3], s[4:5]
	s_cbranch_execz .LBB1342_113
; %bb.112:
	v_bcnt_u32_b32 v0, v0, 0
	v_bcnt_u32_b32 v0, v1, v0
	s_waitcnt lgkmcnt(0)
	v_add_u32_e32 v0, v34, v0
	ds_write_b32 v35, v0 offset:64
.LBB1342_113:
	s_or_b64 exec, exec, s[2:3]
	s_waitcnt vmcnt(5)
	v_lshrrev_b32_sdwa v0, s20, v11 dst_sel:DWORD dst_unused:UNUSED_PAD src0_sel:DWORD src1_sel:WORD_0
	v_and_b32_e32 v4, s21, v0
	v_and_b32_e32 v1, 1, v4
	v_add_co_u32_e32 v5, vcc, -1, v1
	v_addc_co_u32_e64 v39, s[2:3], 0, -1, vcc
	v_cmp_ne_u32_e32 vcc, 0, v1
	v_mul_u32_u24_e32 v0, 17, v4
	v_xor_b32_e32 v1, vcc_hi, v39
	v_add_lshl_u32 v38, v26, v0, 2
	v_mov_b32_e32 v0, 0
	v_and_b32_e32 v39, exec_hi, v1
	v_lshlrev_b32_e32 v1, 30, v4
	v_xor_b32_e32 v5, vcc_lo, v5
	v_cmp_gt_i64_e32 vcc, 0, v[0:1]
	v_not_b32_e32 v1, v1
	v_ashrrev_i32_e32 v1, 31, v1
	v_and_b32_e32 v5, exec_lo, v5
	v_xor_b32_e32 v40, vcc_hi, v1
	v_xor_b32_e32 v1, vcc_lo, v1
	v_and_b32_e32 v5, v5, v1
	v_lshlrev_b32_e32 v1, 29, v4
	v_cmp_gt_i64_e32 vcc, 0, v[0:1]
	v_not_b32_e32 v1, v1
	v_ashrrev_i32_e32 v1, 31, v1
	v_and_b32_e32 v39, v39, v40
	v_xor_b32_e32 v40, vcc_hi, v1
	v_xor_b32_e32 v1, vcc_lo, v1
	v_and_b32_e32 v5, v5, v1
	v_lshlrev_b32_e32 v1, 28, v4
	v_cmp_gt_i64_e32 vcc, 0, v[0:1]
	v_not_b32_e32 v1, v1
	v_ashrrev_i32_e32 v1, 31, v1
	v_and_b32_e32 v39, v39, v40
	;; [unrolled: 8-line block ×5, first 2 shown]
	v_xor_b32_e32 v40, vcc_hi, v1
	v_xor_b32_e32 v1, vcc_lo, v1
	v_and_b32_e32 v39, v39, v40
	v_and_b32_e32 v40, v5, v1
	v_lshlrev_b32_e32 v1, 24, v4
	v_cmp_gt_i64_e32 vcc, 0, v[0:1]
	v_not_b32_e32 v1, v1
	v_ashrrev_i32_e32 v1, 31, v1
	v_xor_b32_e32 v4, vcc_hi, v1
	v_xor_b32_e32 v1, vcc_lo, v1
	; wave barrier
	ds_read_b32 v37, v38 offset:64
	v_and_b32_e32 v5, v39, v4
	v_and_b32_e32 v4, v40, v1
	v_mbcnt_lo_u32_b32 v1, v4, 0
	v_mbcnt_hi_u32_b32 v39, v5, v1
	v_cmp_eq_u32_e32 vcc, 0, v39
	v_cmp_ne_u64_e64 s[2:3], 0, v[4:5]
	s_and_b64 s[4:5], s[2:3], vcc
	; wave barrier
	s_and_saveexec_b64 s[2:3], s[4:5]
	s_cbranch_execz .LBB1342_115
; %bb.114:
	v_bcnt_u32_b32 v1, v4, 0
	v_bcnt_u32_b32 v1, v5, v1
	s_waitcnt lgkmcnt(0)
	v_add_u32_e32 v1, v37, v1
	ds_write_b32 v38, v1 offset:64
.LBB1342_115:
	s_or_b64 exec, exec, s[2:3]
	s_waitcnt vmcnt(4)
	v_lshrrev_b32_sdwa v1, s20, v10 dst_sel:DWORD dst_unused:UNUSED_PAD src0_sel:DWORD src1_sel:WORD_0
	v_and_b32_e32 v4, s21, v1
	v_mul_u32_u24_e32 v1, 17, v4
	v_add_lshl_u32 v41, v26, v1, 2
	v_and_b32_e32 v1, 1, v4
	v_add_co_u32_e32 v5, vcc, -1, v1
	v_addc_co_u32_e64 v42, s[2:3], 0, -1, vcc
	v_cmp_ne_u32_e32 vcc, 0, v1
	v_xor_b32_e32 v1, vcc_hi, v42
	v_and_b32_e32 v42, exec_hi, v1
	v_lshlrev_b32_e32 v1, 30, v4
	v_xor_b32_e32 v5, vcc_lo, v5
	v_cmp_gt_i64_e32 vcc, 0, v[0:1]
	v_not_b32_e32 v1, v1
	v_ashrrev_i32_e32 v1, 31, v1
	v_and_b32_e32 v5, exec_lo, v5
	v_xor_b32_e32 v43, vcc_hi, v1
	v_xor_b32_e32 v1, vcc_lo, v1
	v_and_b32_e32 v5, v5, v1
	v_lshlrev_b32_e32 v1, 29, v4
	v_cmp_gt_i64_e32 vcc, 0, v[0:1]
	v_not_b32_e32 v1, v1
	v_ashrrev_i32_e32 v1, 31, v1
	v_and_b32_e32 v42, v42, v43
	v_xor_b32_e32 v43, vcc_hi, v1
	v_xor_b32_e32 v1, vcc_lo, v1
	v_and_b32_e32 v5, v5, v1
	v_lshlrev_b32_e32 v1, 28, v4
	v_cmp_gt_i64_e32 vcc, 0, v[0:1]
	v_not_b32_e32 v1, v1
	v_ashrrev_i32_e32 v1, 31, v1
	v_and_b32_e32 v42, v42, v43
	;; [unrolled: 8-line block ×5, first 2 shown]
	v_xor_b32_e32 v43, vcc_hi, v1
	v_xor_b32_e32 v1, vcc_lo, v1
	v_and_b32_e32 v5, v5, v1
	v_lshlrev_b32_e32 v1, 24, v4
	v_cmp_gt_i64_e32 vcc, 0, v[0:1]
	v_not_b32_e32 v0, v1
	v_ashrrev_i32_e32 v0, 31, v0
	v_xor_b32_e32 v1, vcc_hi, v0
	v_xor_b32_e32 v0, vcc_lo, v0
	; wave barrier
	ds_read_b32 v40, v41 offset:64
	v_and_b32_e32 v42, v42, v43
	v_and_b32_e32 v0, v5, v0
	;; [unrolled: 1-line block ×3, first 2 shown]
	v_mbcnt_lo_u32_b32 v4, v0, 0
	v_mbcnt_hi_u32_b32 v42, v1, v4
	v_cmp_eq_u32_e32 vcc, 0, v42
	v_cmp_ne_u64_e64 s[2:3], 0, v[0:1]
	s_and_b64 s[4:5], s[2:3], vcc
	; wave barrier
	s_and_saveexec_b64 s[2:3], s[4:5]
	s_cbranch_execz .LBB1342_117
; %bb.116:
	v_bcnt_u32_b32 v0, v0, 0
	v_bcnt_u32_b32 v0, v1, v0
	s_waitcnt lgkmcnt(0)
	v_add_u32_e32 v0, v40, v0
	ds_write_b32 v41, v0 offset:64
.LBB1342_117:
	s_or_b64 exec, exec, s[2:3]
	s_waitcnt vmcnt(3)
	v_lshrrev_b32_sdwa v0, s20, v9 dst_sel:DWORD dst_unused:UNUSED_PAD src0_sel:DWORD src1_sel:WORD_0
	v_and_b32_e32 v4, s21, v0
	v_and_b32_e32 v1, 1, v4
	v_add_co_u32_e32 v5, vcc, -1, v1
	v_addc_co_u32_e64 v45, s[2:3], 0, -1, vcc
	v_cmp_ne_u32_e32 vcc, 0, v1
	v_mul_u32_u24_e32 v0, 17, v4
	v_xor_b32_e32 v1, vcc_hi, v45
	v_add_lshl_u32 v44, v26, v0, 2
	v_mov_b32_e32 v0, 0
	v_and_b32_e32 v45, exec_hi, v1
	v_lshlrev_b32_e32 v1, 30, v4
	v_xor_b32_e32 v5, vcc_lo, v5
	v_cmp_gt_i64_e32 vcc, 0, v[0:1]
	v_not_b32_e32 v1, v1
	v_ashrrev_i32_e32 v1, 31, v1
	v_and_b32_e32 v5, exec_lo, v5
	v_xor_b32_e32 v46, vcc_hi, v1
	v_xor_b32_e32 v1, vcc_lo, v1
	v_and_b32_e32 v5, v5, v1
	v_lshlrev_b32_e32 v1, 29, v4
	v_cmp_gt_i64_e32 vcc, 0, v[0:1]
	v_not_b32_e32 v1, v1
	v_ashrrev_i32_e32 v1, 31, v1
	v_and_b32_e32 v45, v45, v46
	v_xor_b32_e32 v46, vcc_hi, v1
	v_xor_b32_e32 v1, vcc_lo, v1
	v_and_b32_e32 v5, v5, v1
	v_lshlrev_b32_e32 v1, 28, v4
	v_cmp_gt_i64_e32 vcc, 0, v[0:1]
	v_not_b32_e32 v1, v1
	v_ashrrev_i32_e32 v1, 31, v1
	v_and_b32_e32 v45, v45, v46
	;; [unrolled: 8-line block ×5, first 2 shown]
	v_xor_b32_e32 v46, vcc_hi, v1
	v_xor_b32_e32 v1, vcc_lo, v1
	v_and_b32_e32 v45, v45, v46
	v_and_b32_e32 v46, v5, v1
	v_lshlrev_b32_e32 v1, 24, v4
	v_cmp_gt_i64_e32 vcc, 0, v[0:1]
	v_not_b32_e32 v1, v1
	v_ashrrev_i32_e32 v1, 31, v1
	v_xor_b32_e32 v4, vcc_hi, v1
	v_xor_b32_e32 v1, vcc_lo, v1
	; wave barrier
	ds_read_b32 v43, v44 offset:64
	v_and_b32_e32 v5, v45, v4
	v_and_b32_e32 v4, v46, v1
	v_mbcnt_lo_u32_b32 v1, v4, 0
	v_mbcnt_hi_u32_b32 v45, v5, v1
	v_cmp_eq_u32_e32 vcc, 0, v45
	v_cmp_ne_u64_e64 s[2:3], 0, v[4:5]
	s_and_b64 s[4:5], s[2:3], vcc
	; wave barrier
	s_and_saveexec_b64 s[2:3], s[4:5]
	s_cbranch_execz .LBB1342_119
; %bb.118:
	v_bcnt_u32_b32 v1, v4, 0
	v_bcnt_u32_b32 v1, v5, v1
	s_waitcnt lgkmcnt(0)
	v_add_u32_e32 v1, v43, v1
	ds_write_b32 v44, v1 offset:64
.LBB1342_119:
	s_or_b64 exec, exec, s[2:3]
	s_waitcnt vmcnt(2)
	v_lshrrev_b32_sdwa v1, s20, v8 dst_sel:DWORD dst_unused:UNUSED_PAD src0_sel:DWORD src1_sel:WORD_0
	v_and_b32_e32 v4, s21, v1
	v_mul_u32_u24_e32 v1, 17, v4
	v_add_lshl_u32 v47, v26, v1, 2
	v_and_b32_e32 v1, 1, v4
	v_add_co_u32_e32 v5, vcc, -1, v1
	v_addc_co_u32_e64 v48, s[2:3], 0, -1, vcc
	v_cmp_ne_u32_e32 vcc, 0, v1
	v_xor_b32_e32 v1, vcc_hi, v48
	v_and_b32_e32 v48, exec_hi, v1
	v_lshlrev_b32_e32 v1, 30, v4
	v_xor_b32_e32 v5, vcc_lo, v5
	v_cmp_gt_i64_e32 vcc, 0, v[0:1]
	v_not_b32_e32 v1, v1
	v_ashrrev_i32_e32 v1, 31, v1
	v_and_b32_e32 v5, exec_lo, v5
	v_xor_b32_e32 v49, vcc_hi, v1
	v_xor_b32_e32 v1, vcc_lo, v1
	v_and_b32_e32 v5, v5, v1
	v_lshlrev_b32_e32 v1, 29, v4
	v_cmp_gt_i64_e32 vcc, 0, v[0:1]
	v_not_b32_e32 v1, v1
	v_ashrrev_i32_e32 v1, 31, v1
	v_and_b32_e32 v48, v48, v49
	v_xor_b32_e32 v49, vcc_hi, v1
	v_xor_b32_e32 v1, vcc_lo, v1
	v_and_b32_e32 v5, v5, v1
	v_lshlrev_b32_e32 v1, 28, v4
	v_cmp_gt_i64_e32 vcc, 0, v[0:1]
	v_not_b32_e32 v1, v1
	v_ashrrev_i32_e32 v1, 31, v1
	v_and_b32_e32 v48, v48, v49
	;; [unrolled: 8-line block ×5, first 2 shown]
	v_xor_b32_e32 v49, vcc_hi, v1
	v_xor_b32_e32 v1, vcc_lo, v1
	v_and_b32_e32 v5, v5, v1
	v_lshlrev_b32_e32 v1, 24, v4
	v_cmp_gt_i64_e32 vcc, 0, v[0:1]
	v_not_b32_e32 v0, v1
	v_ashrrev_i32_e32 v0, 31, v0
	v_xor_b32_e32 v1, vcc_hi, v0
	v_xor_b32_e32 v0, vcc_lo, v0
	; wave barrier
	ds_read_b32 v46, v47 offset:64
	v_and_b32_e32 v48, v48, v49
	v_and_b32_e32 v0, v5, v0
	;; [unrolled: 1-line block ×3, first 2 shown]
	v_mbcnt_lo_u32_b32 v4, v0, 0
	v_mbcnt_hi_u32_b32 v48, v1, v4
	v_cmp_eq_u32_e32 vcc, 0, v48
	v_cmp_ne_u64_e64 s[2:3], 0, v[0:1]
	s_and_b64 s[4:5], s[2:3], vcc
	; wave barrier
	s_and_saveexec_b64 s[2:3], s[4:5]
	s_cbranch_execz .LBB1342_121
; %bb.120:
	v_bcnt_u32_b32 v0, v0, 0
	v_bcnt_u32_b32 v0, v1, v0
	s_waitcnt lgkmcnt(0)
	v_add_u32_e32 v0, v46, v0
	ds_write_b32 v47, v0 offset:64
.LBB1342_121:
	s_or_b64 exec, exec, s[2:3]
	s_waitcnt vmcnt(1)
	v_lshrrev_b32_sdwa v0, s20, v7 dst_sel:DWORD dst_unused:UNUSED_PAD src0_sel:DWORD src1_sel:WORD_0
	v_and_b32_e32 v4, s21, v0
	v_and_b32_e32 v1, 1, v4
	v_add_co_u32_e32 v5, vcc, -1, v1
	v_addc_co_u32_e64 v51, s[2:3], 0, -1, vcc
	v_cmp_ne_u32_e32 vcc, 0, v1
	v_mul_u32_u24_e32 v0, 17, v4
	v_xor_b32_e32 v1, vcc_hi, v51
	v_add_lshl_u32 v50, v26, v0, 2
	v_mov_b32_e32 v0, 0
	v_and_b32_e32 v51, exec_hi, v1
	v_lshlrev_b32_e32 v1, 30, v4
	v_xor_b32_e32 v5, vcc_lo, v5
	v_cmp_gt_i64_e32 vcc, 0, v[0:1]
	v_not_b32_e32 v1, v1
	v_ashrrev_i32_e32 v1, 31, v1
	v_and_b32_e32 v5, exec_lo, v5
	v_xor_b32_e32 v52, vcc_hi, v1
	v_xor_b32_e32 v1, vcc_lo, v1
	v_and_b32_e32 v5, v5, v1
	v_lshlrev_b32_e32 v1, 29, v4
	v_cmp_gt_i64_e32 vcc, 0, v[0:1]
	v_not_b32_e32 v1, v1
	v_ashrrev_i32_e32 v1, 31, v1
	v_and_b32_e32 v51, v51, v52
	v_xor_b32_e32 v52, vcc_hi, v1
	v_xor_b32_e32 v1, vcc_lo, v1
	v_and_b32_e32 v5, v5, v1
	v_lshlrev_b32_e32 v1, 28, v4
	v_cmp_gt_i64_e32 vcc, 0, v[0:1]
	v_not_b32_e32 v1, v1
	v_ashrrev_i32_e32 v1, 31, v1
	v_and_b32_e32 v51, v51, v52
	;; [unrolled: 8-line block ×5, first 2 shown]
	v_xor_b32_e32 v52, vcc_hi, v1
	v_xor_b32_e32 v1, vcc_lo, v1
	v_and_b32_e32 v51, v51, v52
	v_and_b32_e32 v52, v5, v1
	v_lshlrev_b32_e32 v1, 24, v4
	v_cmp_gt_i64_e32 vcc, 0, v[0:1]
	v_not_b32_e32 v1, v1
	v_ashrrev_i32_e32 v1, 31, v1
	v_xor_b32_e32 v4, vcc_hi, v1
	v_xor_b32_e32 v1, vcc_lo, v1
	; wave barrier
	ds_read_b32 v49, v50 offset:64
	v_and_b32_e32 v5, v51, v4
	v_and_b32_e32 v4, v52, v1
	v_mbcnt_lo_u32_b32 v1, v4, 0
	v_mbcnt_hi_u32_b32 v51, v5, v1
	v_cmp_eq_u32_e32 vcc, 0, v51
	v_cmp_ne_u64_e64 s[2:3], 0, v[4:5]
	s_and_b64 s[4:5], s[2:3], vcc
	; wave barrier
	s_and_saveexec_b64 s[2:3], s[4:5]
	s_cbranch_execz .LBB1342_123
; %bb.122:
	v_bcnt_u32_b32 v1, v4, 0
	v_bcnt_u32_b32 v1, v5, v1
	s_waitcnt lgkmcnt(0)
	v_add_u32_e32 v1, v49, v1
	ds_write_b32 v50, v1 offset:64
.LBB1342_123:
	s_or_b64 exec, exec, s[2:3]
	s_waitcnt vmcnt(0)
	v_lshrrev_b32_sdwa v1, s20, v6 dst_sel:DWORD dst_unused:UNUSED_PAD src0_sel:DWORD src1_sel:WORD_0
	v_and_b32_e32 v4, s21, v1
	v_mul_u32_u24_e32 v1, 17, v4
	v_add_lshl_u32 v53, v26, v1, 2
	v_and_b32_e32 v1, 1, v4
	v_add_co_u32_e32 v5, vcc, -1, v1
	v_addc_co_u32_e64 v26, s[2:3], 0, -1, vcc
	v_cmp_ne_u32_e32 vcc, 0, v1
	v_xor_b32_e32 v1, vcc_hi, v26
	v_and_b32_e32 v26, exec_hi, v1
	v_lshlrev_b32_e32 v1, 30, v4
	v_xor_b32_e32 v5, vcc_lo, v5
	v_cmp_gt_i64_e32 vcc, 0, v[0:1]
	v_not_b32_e32 v1, v1
	v_ashrrev_i32_e32 v1, 31, v1
	v_and_b32_e32 v5, exec_lo, v5
	v_xor_b32_e32 v55, vcc_hi, v1
	v_xor_b32_e32 v1, vcc_lo, v1
	v_and_b32_e32 v5, v5, v1
	v_lshlrev_b32_e32 v1, 29, v4
	v_cmp_gt_i64_e32 vcc, 0, v[0:1]
	v_not_b32_e32 v1, v1
	v_ashrrev_i32_e32 v1, 31, v1
	v_and_b32_e32 v26, v26, v55
	v_xor_b32_e32 v55, vcc_hi, v1
	v_xor_b32_e32 v1, vcc_lo, v1
	v_and_b32_e32 v5, v5, v1
	v_lshlrev_b32_e32 v1, 28, v4
	v_cmp_gt_i64_e32 vcc, 0, v[0:1]
	v_not_b32_e32 v1, v1
	v_ashrrev_i32_e32 v1, 31, v1
	v_and_b32_e32 v26, v26, v55
	;; [unrolled: 8-line block ×5, first 2 shown]
	v_xor_b32_e32 v55, vcc_hi, v1
	v_xor_b32_e32 v1, vcc_lo, v1
	v_and_b32_e32 v5, v5, v1
	v_lshlrev_b32_e32 v1, 24, v4
	v_cmp_gt_i64_e32 vcc, 0, v[0:1]
	v_not_b32_e32 v0, v1
	v_ashrrev_i32_e32 v0, 31, v0
	v_xor_b32_e32 v1, vcc_hi, v0
	v_xor_b32_e32 v0, vcc_lo, v0
	; wave barrier
	ds_read_b32 v52, v53 offset:64
	v_and_b32_e32 v26, v26, v55
	v_and_b32_e32 v0, v5, v0
	v_and_b32_e32 v1, v26, v1
	v_mbcnt_lo_u32_b32 v4, v0, 0
	v_mbcnt_hi_u32_b32 v55, v1, v4
	v_cmp_eq_u32_e32 vcc, 0, v55
	v_cmp_ne_u64_e64 s[2:3], 0, v[0:1]
	v_add_u32_e32 v54, 64, v18
	s_and_b64 s[4:5], s[2:3], vcc
	; wave barrier
	s_and_saveexec_b64 s[2:3], s[4:5]
	s_cbranch_execz .LBB1342_125
; %bb.124:
	v_bcnt_u32_b32 v0, v0, 0
	v_bcnt_u32_b32 v0, v1, v0
	s_waitcnt lgkmcnt(0)
	v_add_u32_e32 v0, v52, v0
	ds_write_b32 v53, v0 offset:64
.LBB1342_125:
	s_or_b64 exec, exec, s[2:3]
	; wave barrier
	s_waitcnt lgkmcnt(0)
	s_barrier
	ds_read2_b32 v[4:5], v18 offset0:16 offset1:17
	ds_read2_b32 v[0:1], v54 offset0:2 offset1:3
	ds_read_b32 v26, v54 offset:16
	v_cmp_lt_u32_e64 s[8:9], 31, v17
	s_waitcnt lgkmcnt(1)
	v_add3_u32 v56, v5, v4, v0
	s_waitcnt lgkmcnt(0)
	v_add3_u32 v26, v56, v1, v26
	v_and_b32_e32 v56, 15, v17
	v_cmp_eq_u32_e32 vcc, 0, v56
	v_mov_b32_dpp v57, v26 row_shr:1 row_mask:0xf bank_mask:0xf
	v_cndmask_b32_e64 v57, v57, 0, vcc
	v_add_u32_e32 v26, v57, v26
	v_cmp_lt_u32_e64 s[2:3], 1, v56
	v_cmp_lt_u32_e64 s[4:5], 3, v56
	v_mov_b32_dpp v57, v26 row_shr:2 row_mask:0xf bank_mask:0xf
	v_cndmask_b32_e64 v57, 0, v57, s[2:3]
	v_add_u32_e32 v26, v26, v57
	v_cmp_lt_u32_e64 s[6:7], 7, v56
	s_nop 0
	v_mov_b32_dpp v57, v26 row_shr:4 row_mask:0xf bank_mask:0xf
	v_cndmask_b32_e64 v57, 0, v57, s[4:5]
	v_add_u32_e32 v26, v26, v57
	s_nop 1
	v_mov_b32_dpp v57, v26 row_shr:8 row_mask:0xf bank_mask:0xf
	v_cndmask_b32_e64 v56, 0, v57, s[6:7]
	v_add_u32_e32 v26, v26, v56
	v_bfe_i32 v57, v17, 4, 1
	s_nop 0
	v_mov_b32_dpp v56, v26 row_bcast:15 row_mask:0xf bank_mask:0xf
	v_and_b32_e32 v56, v57, v56
	v_add_u32_e32 v26, v26, v56
	v_lshrrev_b32_e32 v57, 6, v2
	s_nop 0
	v_mov_b32_dpp v56, v26 row_bcast:31 row_mask:0xf bank_mask:0xf
	v_cndmask_b32_e64 v56, 0, v56, s[8:9]
	v_add_u32_e32 v56, v26, v56
	v_and_b32_e32 v26, 63, v2
	v_cmp_eq_u32_e64 s[8:9], 63, v26
	s_and_saveexec_b64 s[12:13], s[8:9]
	s_cbranch_execz .LBB1342_127
; %bb.126:
	v_lshlrev_b32_e32 v26, 2, v57
	ds_write_b32 v26, v56
.LBB1342_127:
	s_or_b64 exec, exec, s[12:13]
	v_cmp_gt_u32_e64 s[8:9], 16, v2
	v_lshlrev_b32_e32 v26, 2, v2
	s_waitcnt lgkmcnt(0)
	s_barrier
	s_and_saveexec_b64 s[12:13], s[8:9]
	s_cbranch_execz .LBB1342_129
; %bb.128:
	ds_read_b32 v58, v26
	s_waitcnt lgkmcnt(0)
	s_nop 0
	v_mov_b32_dpp v59, v58 row_shr:1 row_mask:0xf bank_mask:0xf
	v_cndmask_b32_e64 v59, v59, 0, vcc
	v_add_u32_e32 v58, v59, v58
	s_nop 1
	v_mov_b32_dpp v59, v58 row_shr:2 row_mask:0xf bank_mask:0xf
	v_cndmask_b32_e64 v59, 0, v59, s[2:3]
	v_add_u32_e32 v58, v58, v59
	s_nop 1
	v_mov_b32_dpp v59, v58 row_shr:4 row_mask:0xf bank_mask:0xf
	v_cndmask_b32_e64 v59, 0, v59, s[4:5]
	;; [unrolled: 4-line block ×3, first 2 shown]
	v_add_u32_e32 v58, v58, v59
	ds_write_b32 v26, v58
.LBB1342_129:
	s_or_b64 exec, exec, s[12:13]
	v_cmp_lt_u32_e32 vcc, 63, v2
	v_mov_b32_e32 v58, 0
	s_waitcnt lgkmcnt(0)
	s_barrier
	s_and_saveexec_b64 s[2:3], vcc
	s_cbranch_execz .LBB1342_131
; %bb.130:
	v_lshl_add_u32 v57, v57, 2, -4
	ds_read_b32 v58, v57
.LBB1342_131:
	s_or_b64 exec, exec, s[2:3]
	v_add_u32_e32 v57, -1, v17
	v_and_b32_e32 v59, 64, v17
	v_cmp_lt_i32_e32 vcc, v57, v59
	v_cndmask_b32_e32 v57, v57, v17, vcc
	s_waitcnt lgkmcnt(0)
	v_add_u32_e32 v56, v58, v56
	v_lshlrev_b32_e32 v57, 2, v57
	ds_bpermute_b32 v56, v57, v56
	v_cmp_eq_u32_e32 vcc, 0, v17
	s_movk_i32 s2, 0xff
	s_movk_i32 s3, 0x100
	s_waitcnt lgkmcnt(0)
	v_cndmask_b32_e32 v17, v56, v58, vcc
	v_cndmask_b32_e64 v17, v17, 0, s[0:1]
	v_add_u32_e32 v4, v17, v4
	v_add_u32_e32 v5, v4, v5
	;; [unrolled: 1-line block ×4, first 2 shown]
	ds_write2_b32 v18, v17, v4 offset0:16 offset1:17
	ds_write2_b32 v54, v5, v0 offset0:2 offset1:3
	ds_write_b32 v54, v1 offset:16
	s_waitcnt lgkmcnt(0)
	s_barrier
	ds_read_b32 v58, v19 offset:64
	ds_read_b32 v57, v22 offset:64
	;; [unrolled: 1-line block ×12, first 2 shown]
	v_cmp_lt_u32_e64 s[0:1], s2, v2
	v_cmp_gt_u32_e32 vcc, s3, v2
                                        ; implicit-def: $vgpr17
                                        ; implicit-def: $vgpr18
	s_and_saveexec_b64 s[4:5], vcc
	s_cbranch_execz .LBB1342_135
; %bb.132:
	v_mul_u32_u24_e32 v17, 17, v2
	v_lshlrev_b32_e32 v32, 2, v17
	ds_read_b32 v17, v32 offset:64
	v_cmp_ne_u32_e64 s[2:3], s2, v2
	v_mov_b32_e32 v18, 0x3000
	s_and_saveexec_b64 s[6:7], s[2:3]
	s_cbranch_execz .LBB1342_134
; %bb.133:
	ds_read_b32 v18, v32 offset:132
.LBB1342_134:
	s_or_b64 exec, exec, s[6:7]
	s_waitcnt lgkmcnt(0)
	v_sub_u32_e32 v18, v18, v17
.LBB1342_135:
	s_or_b64 exec, exec, s[4:5]
	v_add_u32_e32 v21, v23, v21
	s_waitcnt lgkmcnt(11)
	v_add_lshl_u32 v20, v58, v20, 1
	v_add_u32_e32 v24, v27, v24
	s_waitcnt lgkmcnt(0)
	s_barrier
	ds_write_b16 v20, v3 offset:1024
	v_add_lshl_u32 v3, v21, v57, 1
	v_add_u32_e32 v28, v30, v28
	ds_write_b16 v3, v16 offset:1024
	v_add_lshl_u32 v3, v24, v56, 1
	v_add_u32_e32 v31, v33, v31
	;; [unrolled: 3-line block ×7, first 2 shown]
	v_add_u32_e32 v35, v51, v49
	v_add_u32_e32 v38, v48, v46
	ds_write_b16 v3, v10 offset:1024
	v_add_lshl_u32 v3, v41, v5, 1
	ds_write_b16 v3, v9 offset:1024
	v_add_lshl_u32 v3, v38, v4, 1
	v_add_lshl_u32 v1, v35, v1, 1
	v_add_lshl_u32 v0, v32, v0, 1
	ds_write_b16 v3, v8 offset:1024
	ds_write_b16 v1, v7 offset:1024
	;; [unrolled: 1-line block ×3, first 2 shown]
	s_and_saveexec_b64 s[2:3], s[0:1]
	s_xor_b64 s[0:1], exec, s[2:3]
; %bb.136:
	v_mov_b32_e32 v3, 0
                                        ; implicit-def: $vgpr26
; %bb.137:
	s_andn2_saveexec_b64 s[2:3], s[0:1]
	s_cbranch_execz .LBB1342_147
; %bb.138:
	v_lshl_or_b32 v0, s30, 8, v2
	v_mov_b32_e32 v1, 0
	v_lshlrev_b64 v[4:5], 2, v[0:1]
	v_mov_b32_e32 v3, s15
	v_add_co_u32_e64 v4, s[0:1], s14, v4
	v_addc_co_u32_e64 v5, s[0:1], v3, v5, s[0:1]
	v_or_b32_e32 v0, 2.0, v18
	s_mov_b64 s[4:5], 0
	s_brev_b32 s12, 1
	s_mov_b32 s13, s30
	v_mov_b32_e32 v8, 0
	global_store_dword v[4:5], v0, off
                                        ; implicit-def: $sgpr0_sgpr1
	s_branch .LBB1342_141
.LBB1342_139:                           ;   in Loop: Header=BB1342_141 Depth=1
	s_or_b64 exec, exec, s[8:9]
.LBB1342_140:                           ;   in Loop: Header=BB1342_141 Depth=1
	s_or_b64 exec, exec, s[6:7]
	v_and_b32_e32 v6, 0x3fffffff, v9
	v_add_u32_e32 v8, v6, v8
	v_cmp_eq_u32_e64 s[0:1], s12, v0
	s_and_b64 s[6:7], exec, s[0:1]
	s_or_b64 s[4:5], s[6:7], s[4:5]
	s_andn2_b64 exec, exec, s[4:5]
	s_cbranch_execz .LBB1342_146
.LBB1342_141:                           ; =>This Loop Header: Depth=1
                                        ;     Child Loop BB1342_144 Depth 2
	s_or_b64 s[0:1], s[0:1], exec
	s_cmp_eq_u32 s13, 0
	s_cbranch_scc1 .LBB1342_145
; %bb.142:                              ;   in Loop: Header=BB1342_141 Depth=1
	s_add_i32 s13, s13, -1
	v_lshl_or_b32 v0, s13, 8, v2
	v_lshlrev_b64 v[6:7], 2, v[0:1]
	v_add_co_u32_e64 v6, s[0:1], s14, v6
	v_addc_co_u32_e64 v7, s[0:1], v3, v7, s[0:1]
	global_load_dword v9, v[6:7], off glc
	s_waitcnt vmcnt(0)
	v_and_b32_e32 v0, -2.0, v9
	v_cmp_eq_u32_e64 s[0:1], 0, v0
	s_and_saveexec_b64 s[6:7], s[0:1]
	s_cbranch_execz .LBB1342_140
; %bb.143:                              ;   in Loop: Header=BB1342_141 Depth=1
	s_mov_b64 s[8:9], 0
.LBB1342_144:                           ;   Parent Loop BB1342_141 Depth=1
                                        ; =>  This Inner Loop Header: Depth=2
	global_load_dword v9, v[6:7], off glc
	s_waitcnt vmcnt(0)
	v_and_b32_e32 v0, -2.0, v9
	v_cmp_ne_u32_e64 s[0:1], 0, v0
	s_or_b64 s[8:9], s[0:1], s[8:9]
	s_andn2_b64 exec, exec, s[8:9]
	s_cbranch_execnz .LBB1342_144
	s_branch .LBB1342_139
.LBB1342_145:                           ;   in Loop: Header=BB1342_141 Depth=1
                                        ; implicit-def: $sgpr13
	s_and_b64 s[6:7], exec, s[0:1]
	s_or_b64 s[4:5], s[6:7], s[4:5]
	s_andn2_b64 exec, exec, s[4:5]
	s_cbranch_execnz .LBB1342_141
.LBB1342_146:
	s_or_b64 exec, exec, s[4:5]
	v_add_u32_e32 v0, v8, v18
	v_or_b32_e32 v0, 0x80000000, v0
	global_store_dword v[4:5], v0, off
	global_load_dword v0, v26, s[16:17]
	v_sub_u32_e32 v1, v8, v17
	v_mov_b32_e32 v3, 0
	s_waitcnt vmcnt(0)
	v_add_u32_e32 v0, v1, v0
	ds_write_b32 v26, v0
.LBB1342_147:
	s_or_b64 exec, exec, s[2:3]
	v_lshlrev_b32_e32 v0, 1, v2
	s_waitcnt lgkmcnt(0)
	s_barrier
	v_lshlrev_b32_e32 v1, 1, v2
	ds_read_u16 v6, v0 offset:1024
	ds_read_u16 v7, v1 offset:3072
	;; [unrolled: 1-line block ×7, first 2 shown]
	s_waitcnt lgkmcnt(6)
	v_lshrrev_b32_sdwa v0, s20, v6 dst_sel:DWORD dst_unused:UNUSED_PAD src0_sel:DWORD src1_sel:WORD_0
	s_waitcnt lgkmcnt(4)
	v_lshrrev_b32_sdwa v5, s20, v8 dst_sel:DWORD dst_unused:UNUSED_PAD src0_sel:DWORD src1_sel:WORD_0
	v_and_b32_e32 v0, s21, v0
	v_lshrrev_b32_sdwa v4, s20, v7 dst_sel:DWORD dst_unused:UNUSED_PAD src0_sel:DWORD src1_sel:WORD_0
	v_and_b32_e32 v5, s21, v5
	v_lshlrev_b32_e32 v0, 2, v0
	v_and_b32_e32 v4, s21, v4
	v_lshlrev_b32_e32 v5, 2, v5
	v_lshlrev_b32_e32 v4, 2, v4
	ds_read_b32 v13, v5
	ds_read_b32 v0, v0
	ds_read_u16 v14, v1 offset:5120
	ds_read_u16 v15, v1 offset:9216
	;; [unrolled: 1-line block ×4, first 2 shown]
	ds_read_b32 v20, v4
	ds_read_u16 v21, v1 offset:21504
	s_waitcnt lgkmcnt(6)
	v_add_u32_e32 v0, v0, v2
	v_mov_b32_e32 v1, 0
	v_lshlrev_b64 v[4:5], 1, v[0:1]
	v_mov_b32_e32 v0, s27
	v_add_co_u32_e64 v4, s[0:1], s26, v4
	v_addc_co_u32_e64 v5, s[0:1], v0, v5, s[0:1]
	s_movk_i32 s0, 0x400
	s_waitcnt lgkmcnt(1)
	v_add3_u32 v0, v20, v2, s0
	global_store_short v[4:5], v6, off
	v_lshlrev_b64 v[4:5], 1, v[0:1]
	v_mov_b32_e32 v0, s27
	v_add_co_u32_e64 v4, s[0:1], s26, v4
	v_addc_co_u32_e64 v5, s[0:1], v0, v5, s[0:1]
	global_store_short v[4:5], v7, off
	v_lshrrev_b32_sdwa v0, s20, v14 dst_sel:DWORD dst_unused:UNUSED_PAD src0_sel:DWORD src1_sel:WORD_0
	v_lshrrev_b32_sdwa v6, s20, v16 dst_sel:DWORD dst_unused:UNUSED_PAD src0_sel:DWORD src1_sel:WORD_0
	;; [unrolled: 1-line block ×5, first 2 shown]
	s_waitcnt lgkmcnt(0)
	v_lshrrev_b32_sdwa v23, s20, v21 dst_sel:DWORD dst_unused:UNUSED_PAD src0_sel:DWORD src1_sel:WORD_0
	v_and_b32_e32 v0, s21, v0
	v_lshrrev_b32_sdwa v4, s20, v15 dst_sel:DWORD dst_unused:UNUSED_PAD src0_sel:DWORD src1_sel:WORD_0
	v_lshrrev_b32_sdwa v5, s20, v9 dst_sel:DWORD dst_unused:UNUSED_PAD src0_sel:DWORD src1_sel:WORD_0
	v_and_b32_e32 v6, s21, v6
	v_and_b32_e32 v7, s21, v7
	;; [unrolled: 1-line block ×5, first 2 shown]
	v_lshlrev_b32_e32 v0, 2, v0
	v_and_b32_e32 v4, s21, v4
	v_and_b32_e32 v5, s21, v5
	v_lshlrev_b32_e32 v6, 2, v6
	v_lshlrev_b32_e32 v7, 2, v7
	;; [unrolled: 1-line block ×5, first 2 shown]
	s_movk_i32 s0, 0x800
	v_lshlrev_b32_e32 v4, 2, v4
	v_lshlrev_b32_e32 v5, 2, v5
	ds_read_b32 v0, v0
	ds_read_b32 v24, v4
	;; [unrolled: 1-line block ×8, first 2 shown]
	s_waitcnt lgkmcnt(7)
	v_add3_u32 v0, v0, v2, s0
	v_lshlrev_b64 v[4:5], 1, v[0:1]
	v_mov_b32_e32 v0, s27
	v_add_co_u32_e64 v4, s[0:1], s26, v4
	v_addc_co_u32_e64 v5, s[0:1], v0, v5, s[0:1]
	s_movk_i32 s0, 0xc00
	v_add3_u32 v0, v13, v2, s0
	global_store_short v[4:5], v14, off
	v_lshlrev_b64 v[4:5], 1, v[0:1]
	v_mov_b32_e32 v0, s27
	v_add_co_u32_e64 v4, s[0:1], s26, v4
	v_addc_co_u32_e64 v5, s[0:1], v0, v5, s[0:1]
	s_movk_i32 s0, 0x1000
	s_waitcnt lgkmcnt(6)
	v_add3_u32 v0, v24, v2, s0
	global_store_short v[4:5], v8, off
	v_lshlrev_b64 v[4:5], 1, v[0:1]
	v_mov_b32_e32 v0, s27
	v_add_co_u32_e64 v4, s[0:1], s26, v4
	v_addc_co_u32_e64 v5, s[0:1], v0, v5, s[0:1]
	s_movk_i32 s0, 0x1400
	s_waitcnt lgkmcnt(5)
	;; [unrolled: 8-line block ×6, first 2 shown]
	v_add3_u32 v0, v22, v2, s0
	global_store_short v[4:5], v19, off
	v_lshlrev_b64 v[4:5], 1, v[0:1]
	v_mov_b32_e32 v0, s27
	v_add_co_u32_e64 v4, s[0:1], s26, v4
	v_lshrrev_b32_sdwa v6, s20, v12 dst_sel:DWORD dst_unused:UNUSED_PAD src0_sel:DWORD src1_sel:WORD_0
	v_addc_co_u32_e64 v5, s[0:1], v0, v5, s[0:1]
	v_and_b32_e32 v6, s21, v6
	s_movk_i32 s0, 0x2800
	v_lshlrev_b32_e32 v6, 2, v6
	s_waitcnt lgkmcnt(0)
	v_add3_u32 v0, v23, v2, s0
	ds_read_b32 v6, v6
	global_store_short v[4:5], v11, off
	v_lshlrev_b64 v[4:5], 1, v[0:1]
	v_mov_b32_e32 v0, s27
	v_add_co_u32_e64 v4, s[0:1], s26, v4
	v_addc_co_u32_e64 v5, s[0:1], v0, v5, s[0:1]
	s_movk_i32 s0, 0x2c00
	s_waitcnt lgkmcnt(0)
	v_add3_u32 v0, v6, v2, s0
	v_lshlrev_b64 v[0:1], 1, v[0:1]
	global_store_short v[4:5], v21, off
	v_mov_b32_e32 v4, s27
	v_add_co_u32_e64 v0, s[0:1], s26, v0
	s_add_i32 s22, s22, -1
	v_addc_co_u32_e64 v1, s[0:1], v4, v1, s[0:1]
	s_cmp_eq_u32 s22, s30
	s_cselect_b64 s[0:1], -1, 0
	s_and_b64 s[2:3], vcc, s[0:1]
	global_store_short v[0:1], v12, off
                                        ; implicit-def: $vgpr4
	s_and_saveexec_b64 s[0:1], s[2:3]
; %bb.148:
	v_add_u32_e32 v4, v17, v18
	s_or_b64 s[10:11], s[10:11], exec
; %bb.149:
	s_or_b64 exec, exec, s[0:1]
.LBB1342_150:
	s_and_saveexec_b64 s[0:1], s[10:11]
	s_cbranch_execnz .LBB1342_152
; %bb.151:
	s_endpgm
.LBB1342_152:
	v_lshlrev_b32_e32 v5, 2, v2
	v_lshlrev_b64 v[0:1], 2, v[2:3]
	ds_read_b32 v3, v5
	v_mov_b32_e32 v2, s19
	v_add_co_u32_e32 v0, vcc, s18, v0
	v_addc_co_u32_e32 v1, vcc, v2, v1, vcc
	s_waitcnt lgkmcnt(0)
	v_add_u32_e32 v2, v3, v4
	global_store_dword v[0:1], v2, off
	s_endpgm
	.section	.rodata,"a",@progbits
	.p2align	6, 0x0
	.amdhsa_kernel _ZN7rocprim17ROCPRIM_400000_NS6detail17trampoline_kernelINS0_14default_configENS1_35radix_sort_onesweep_config_selectorItNS0_10empty_typeEEEZZNS1_29radix_sort_onesweep_iterationIS3_Lb0EN6thrust23THRUST_200600_302600_NS6detail15normal_iteratorINS9_10device_ptrItEEEESE_PS5_SF_jNS0_19identity_decomposerENS1_16block_id_wrapperIjLb1EEEEE10hipError_tT1_PNSt15iterator_traitsISK_E10value_typeET2_T3_PNSL_ISQ_E10value_typeET4_T5_PSV_SW_PNS1_23onesweep_lookback_stateEbbT6_jjT7_P12ihipStream_tbENKUlT_T0_SK_SP_E_clISE_SE_SF_SF_EEDaS13_S14_SK_SP_EUlS13_E_NS1_11comp_targetILNS1_3genE4ELNS1_11target_archE910ELNS1_3gpuE8ELNS1_3repE0EEENS1_47radix_sort_onesweep_sort_config_static_selectorELNS0_4arch9wavefront6targetE1EEEvSK_
		.amdhsa_group_segment_fixed_size 25608
		.amdhsa_private_segment_fixed_size 0
		.amdhsa_kernarg_size 344
		.amdhsa_user_sgpr_count 6
		.amdhsa_user_sgpr_private_segment_buffer 1
		.amdhsa_user_sgpr_dispatch_ptr 0
		.amdhsa_user_sgpr_queue_ptr 0
		.amdhsa_user_sgpr_kernarg_segment_ptr 1
		.amdhsa_user_sgpr_dispatch_id 0
		.amdhsa_user_sgpr_flat_scratch_init 0
		.amdhsa_user_sgpr_kernarg_preload_length 0
		.amdhsa_user_sgpr_kernarg_preload_offset 0
		.amdhsa_user_sgpr_private_segment_size 0
		.amdhsa_uses_dynamic_stack 0
		.amdhsa_system_sgpr_private_segment_wavefront_offset 0
		.amdhsa_system_sgpr_workgroup_id_x 1
		.amdhsa_system_sgpr_workgroup_id_y 0
		.amdhsa_system_sgpr_workgroup_id_z 0
		.amdhsa_system_sgpr_workgroup_info 0
		.amdhsa_system_vgpr_workitem_id 2
		.amdhsa_next_free_vgpr 62
		.amdhsa_next_free_sgpr 35
		.amdhsa_accum_offset 64
		.amdhsa_reserve_vcc 1
		.amdhsa_reserve_flat_scratch 0
		.amdhsa_float_round_mode_32 0
		.amdhsa_float_round_mode_16_64 0
		.amdhsa_float_denorm_mode_32 3
		.amdhsa_float_denorm_mode_16_64 3
		.amdhsa_dx10_clamp 1
		.amdhsa_ieee_mode 1
		.amdhsa_fp16_overflow 0
		.amdhsa_tg_split 0
		.amdhsa_exception_fp_ieee_invalid_op 0
		.amdhsa_exception_fp_denorm_src 0
		.amdhsa_exception_fp_ieee_div_zero 0
		.amdhsa_exception_fp_ieee_overflow 0
		.amdhsa_exception_fp_ieee_underflow 0
		.amdhsa_exception_fp_ieee_inexact 0
		.amdhsa_exception_int_div_zero 0
	.end_amdhsa_kernel
	.section	.text._ZN7rocprim17ROCPRIM_400000_NS6detail17trampoline_kernelINS0_14default_configENS1_35radix_sort_onesweep_config_selectorItNS0_10empty_typeEEEZZNS1_29radix_sort_onesweep_iterationIS3_Lb0EN6thrust23THRUST_200600_302600_NS6detail15normal_iteratorINS9_10device_ptrItEEEESE_PS5_SF_jNS0_19identity_decomposerENS1_16block_id_wrapperIjLb1EEEEE10hipError_tT1_PNSt15iterator_traitsISK_E10value_typeET2_T3_PNSL_ISQ_E10value_typeET4_T5_PSV_SW_PNS1_23onesweep_lookback_stateEbbT6_jjT7_P12ihipStream_tbENKUlT_T0_SK_SP_E_clISE_SE_SF_SF_EEDaS13_S14_SK_SP_EUlS13_E_NS1_11comp_targetILNS1_3genE4ELNS1_11target_archE910ELNS1_3gpuE8ELNS1_3repE0EEENS1_47radix_sort_onesweep_sort_config_static_selectorELNS0_4arch9wavefront6targetE1EEEvSK_,"axG",@progbits,_ZN7rocprim17ROCPRIM_400000_NS6detail17trampoline_kernelINS0_14default_configENS1_35radix_sort_onesweep_config_selectorItNS0_10empty_typeEEEZZNS1_29radix_sort_onesweep_iterationIS3_Lb0EN6thrust23THRUST_200600_302600_NS6detail15normal_iteratorINS9_10device_ptrItEEEESE_PS5_SF_jNS0_19identity_decomposerENS1_16block_id_wrapperIjLb1EEEEE10hipError_tT1_PNSt15iterator_traitsISK_E10value_typeET2_T3_PNSL_ISQ_E10value_typeET4_T5_PSV_SW_PNS1_23onesweep_lookback_stateEbbT6_jjT7_P12ihipStream_tbENKUlT_T0_SK_SP_E_clISE_SE_SF_SF_EEDaS13_S14_SK_SP_EUlS13_E_NS1_11comp_targetILNS1_3genE4ELNS1_11target_archE910ELNS1_3gpuE8ELNS1_3repE0EEENS1_47radix_sort_onesweep_sort_config_static_selectorELNS0_4arch9wavefront6targetE1EEEvSK_,comdat
.Lfunc_end1342:
	.size	_ZN7rocprim17ROCPRIM_400000_NS6detail17trampoline_kernelINS0_14default_configENS1_35radix_sort_onesweep_config_selectorItNS0_10empty_typeEEEZZNS1_29radix_sort_onesweep_iterationIS3_Lb0EN6thrust23THRUST_200600_302600_NS6detail15normal_iteratorINS9_10device_ptrItEEEESE_PS5_SF_jNS0_19identity_decomposerENS1_16block_id_wrapperIjLb1EEEEE10hipError_tT1_PNSt15iterator_traitsISK_E10value_typeET2_T3_PNSL_ISQ_E10value_typeET4_T5_PSV_SW_PNS1_23onesweep_lookback_stateEbbT6_jjT7_P12ihipStream_tbENKUlT_T0_SK_SP_E_clISE_SE_SF_SF_EEDaS13_S14_SK_SP_EUlS13_E_NS1_11comp_targetILNS1_3genE4ELNS1_11target_archE910ELNS1_3gpuE8ELNS1_3repE0EEENS1_47radix_sort_onesweep_sort_config_static_selectorELNS0_4arch9wavefront6targetE1EEEvSK_, .Lfunc_end1342-_ZN7rocprim17ROCPRIM_400000_NS6detail17trampoline_kernelINS0_14default_configENS1_35radix_sort_onesweep_config_selectorItNS0_10empty_typeEEEZZNS1_29radix_sort_onesweep_iterationIS3_Lb0EN6thrust23THRUST_200600_302600_NS6detail15normal_iteratorINS9_10device_ptrItEEEESE_PS5_SF_jNS0_19identity_decomposerENS1_16block_id_wrapperIjLb1EEEEE10hipError_tT1_PNSt15iterator_traitsISK_E10value_typeET2_T3_PNSL_ISQ_E10value_typeET4_T5_PSV_SW_PNS1_23onesweep_lookback_stateEbbT6_jjT7_P12ihipStream_tbENKUlT_T0_SK_SP_E_clISE_SE_SF_SF_EEDaS13_S14_SK_SP_EUlS13_E_NS1_11comp_targetILNS1_3genE4ELNS1_11target_archE910ELNS1_3gpuE8ELNS1_3repE0EEENS1_47radix_sort_onesweep_sort_config_static_selectorELNS0_4arch9wavefront6targetE1EEEvSK_
                                        ; -- End function
	.section	.AMDGPU.csdata,"",@progbits
; Kernel info:
; codeLenInByte = 15372
; NumSgprs: 39
; NumVgprs: 62
; NumAgprs: 0
; TotalNumVgprs: 62
; ScratchSize: 0
; MemoryBound: 0
; FloatMode: 240
; IeeeMode: 1
; LDSByteSize: 25608 bytes/workgroup (compile time only)
; SGPRBlocks: 4
; VGPRBlocks: 7
; NumSGPRsForWavesPerEU: 39
; NumVGPRsForWavesPerEU: 62
; AccumOffset: 64
; Occupancy: 8
; WaveLimiterHint : 1
; COMPUTE_PGM_RSRC2:SCRATCH_EN: 0
; COMPUTE_PGM_RSRC2:USER_SGPR: 6
; COMPUTE_PGM_RSRC2:TRAP_HANDLER: 0
; COMPUTE_PGM_RSRC2:TGID_X_EN: 1
; COMPUTE_PGM_RSRC2:TGID_Y_EN: 0
; COMPUTE_PGM_RSRC2:TGID_Z_EN: 0
; COMPUTE_PGM_RSRC2:TIDIG_COMP_CNT: 2
; COMPUTE_PGM_RSRC3_GFX90A:ACCUM_OFFSET: 15
; COMPUTE_PGM_RSRC3_GFX90A:TG_SPLIT: 0
	.section	.text._ZN7rocprim17ROCPRIM_400000_NS6detail17trampoline_kernelINS0_14default_configENS1_35radix_sort_onesweep_config_selectorItNS0_10empty_typeEEEZZNS1_29radix_sort_onesweep_iterationIS3_Lb0EN6thrust23THRUST_200600_302600_NS6detail15normal_iteratorINS9_10device_ptrItEEEESE_PS5_SF_jNS0_19identity_decomposerENS1_16block_id_wrapperIjLb1EEEEE10hipError_tT1_PNSt15iterator_traitsISK_E10value_typeET2_T3_PNSL_ISQ_E10value_typeET4_T5_PSV_SW_PNS1_23onesweep_lookback_stateEbbT6_jjT7_P12ihipStream_tbENKUlT_T0_SK_SP_E_clISE_SE_SF_SF_EEDaS13_S14_SK_SP_EUlS13_E_NS1_11comp_targetILNS1_3genE3ELNS1_11target_archE908ELNS1_3gpuE7ELNS1_3repE0EEENS1_47radix_sort_onesweep_sort_config_static_selectorELNS0_4arch9wavefront6targetE1EEEvSK_,"axG",@progbits,_ZN7rocprim17ROCPRIM_400000_NS6detail17trampoline_kernelINS0_14default_configENS1_35radix_sort_onesweep_config_selectorItNS0_10empty_typeEEEZZNS1_29radix_sort_onesweep_iterationIS3_Lb0EN6thrust23THRUST_200600_302600_NS6detail15normal_iteratorINS9_10device_ptrItEEEESE_PS5_SF_jNS0_19identity_decomposerENS1_16block_id_wrapperIjLb1EEEEE10hipError_tT1_PNSt15iterator_traitsISK_E10value_typeET2_T3_PNSL_ISQ_E10value_typeET4_T5_PSV_SW_PNS1_23onesweep_lookback_stateEbbT6_jjT7_P12ihipStream_tbENKUlT_T0_SK_SP_E_clISE_SE_SF_SF_EEDaS13_S14_SK_SP_EUlS13_E_NS1_11comp_targetILNS1_3genE3ELNS1_11target_archE908ELNS1_3gpuE7ELNS1_3repE0EEENS1_47radix_sort_onesweep_sort_config_static_selectorELNS0_4arch9wavefront6targetE1EEEvSK_,comdat
	.protected	_ZN7rocprim17ROCPRIM_400000_NS6detail17trampoline_kernelINS0_14default_configENS1_35radix_sort_onesweep_config_selectorItNS0_10empty_typeEEEZZNS1_29radix_sort_onesweep_iterationIS3_Lb0EN6thrust23THRUST_200600_302600_NS6detail15normal_iteratorINS9_10device_ptrItEEEESE_PS5_SF_jNS0_19identity_decomposerENS1_16block_id_wrapperIjLb1EEEEE10hipError_tT1_PNSt15iterator_traitsISK_E10value_typeET2_T3_PNSL_ISQ_E10value_typeET4_T5_PSV_SW_PNS1_23onesweep_lookback_stateEbbT6_jjT7_P12ihipStream_tbENKUlT_T0_SK_SP_E_clISE_SE_SF_SF_EEDaS13_S14_SK_SP_EUlS13_E_NS1_11comp_targetILNS1_3genE3ELNS1_11target_archE908ELNS1_3gpuE7ELNS1_3repE0EEENS1_47radix_sort_onesweep_sort_config_static_selectorELNS0_4arch9wavefront6targetE1EEEvSK_ ; -- Begin function _ZN7rocprim17ROCPRIM_400000_NS6detail17trampoline_kernelINS0_14default_configENS1_35radix_sort_onesweep_config_selectorItNS0_10empty_typeEEEZZNS1_29radix_sort_onesweep_iterationIS3_Lb0EN6thrust23THRUST_200600_302600_NS6detail15normal_iteratorINS9_10device_ptrItEEEESE_PS5_SF_jNS0_19identity_decomposerENS1_16block_id_wrapperIjLb1EEEEE10hipError_tT1_PNSt15iterator_traitsISK_E10value_typeET2_T3_PNSL_ISQ_E10value_typeET4_T5_PSV_SW_PNS1_23onesweep_lookback_stateEbbT6_jjT7_P12ihipStream_tbENKUlT_T0_SK_SP_E_clISE_SE_SF_SF_EEDaS13_S14_SK_SP_EUlS13_E_NS1_11comp_targetILNS1_3genE3ELNS1_11target_archE908ELNS1_3gpuE7ELNS1_3repE0EEENS1_47radix_sort_onesweep_sort_config_static_selectorELNS0_4arch9wavefront6targetE1EEEvSK_
	.globl	_ZN7rocprim17ROCPRIM_400000_NS6detail17trampoline_kernelINS0_14default_configENS1_35radix_sort_onesweep_config_selectorItNS0_10empty_typeEEEZZNS1_29radix_sort_onesweep_iterationIS3_Lb0EN6thrust23THRUST_200600_302600_NS6detail15normal_iteratorINS9_10device_ptrItEEEESE_PS5_SF_jNS0_19identity_decomposerENS1_16block_id_wrapperIjLb1EEEEE10hipError_tT1_PNSt15iterator_traitsISK_E10value_typeET2_T3_PNSL_ISQ_E10value_typeET4_T5_PSV_SW_PNS1_23onesweep_lookback_stateEbbT6_jjT7_P12ihipStream_tbENKUlT_T0_SK_SP_E_clISE_SE_SF_SF_EEDaS13_S14_SK_SP_EUlS13_E_NS1_11comp_targetILNS1_3genE3ELNS1_11target_archE908ELNS1_3gpuE7ELNS1_3repE0EEENS1_47radix_sort_onesweep_sort_config_static_selectorELNS0_4arch9wavefront6targetE1EEEvSK_
	.p2align	8
	.type	_ZN7rocprim17ROCPRIM_400000_NS6detail17trampoline_kernelINS0_14default_configENS1_35radix_sort_onesweep_config_selectorItNS0_10empty_typeEEEZZNS1_29radix_sort_onesweep_iterationIS3_Lb0EN6thrust23THRUST_200600_302600_NS6detail15normal_iteratorINS9_10device_ptrItEEEESE_PS5_SF_jNS0_19identity_decomposerENS1_16block_id_wrapperIjLb1EEEEE10hipError_tT1_PNSt15iterator_traitsISK_E10value_typeET2_T3_PNSL_ISQ_E10value_typeET4_T5_PSV_SW_PNS1_23onesweep_lookback_stateEbbT6_jjT7_P12ihipStream_tbENKUlT_T0_SK_SP_E_clISE_SE_SF_SF_EEDaS13_S14_SK_SP_EUlS13_E_NS1_11comp_targetILNS1_3genE3ELNS1_11target_archE908ELNS1_3gpuE7ELNS1_3repE0EEENS1_47radix_sort_onesweep_sort_config_static_selectorELNS0_4arch9wavefront6targetE1EEEvSK_,@function
_ZN7rocprim17ROCPRIM_400000_NS6detail17trampoline_kernelINS0_14default_configENS1_35radix_sort_onesweep_config_selectorItNS0_10empty_typeEEEZZNS1_29radix_sort_onesweep_iterationIS3_Lb0EN6thrust23THRUST_200600_302600_NS6detail15normal_iteratorINS9_10device_ptrItEEEESE_PS5_SF_jNS0_19identity_decomposerENS1_16block_id_wrapperIjLb1EEEEE10hipError_tT1_PNSt15iterator_traitsISK_E10value_typeET2_T3_PNSL_ISQ_E10value_typeET4_T5_PSV_SW_PNS1_23onesweep_lookback_stateEbbT6_jjT7_P12ihipStream_tbENKUlT_T0_SK_SP_E_clISE_SE_SF_SF_EEDaS13_S14_SK_SP_EUlS13_E_NS1_11comp_targetILNS1_3genE3ELNS1_11target_archE908ELNS1_3gpuE7ELNS1_3repE0EEENS1_47radix_sort_onesweep_sort_config_static_selectorELNS0_4arch9wavefront6targetE1EEEvSK_: ; @_ZN7rocprim17ROCPRIM_400000_NS6detail17trampoline_kernelINS0_14default_configENS1_35radix_sort_onesweep_config_selectorItNS0_10empty_typeEEEZZNS1_29radix_sort_onesweep_iterationIS3_Lb0EN6thrust23THRUST_200600_302600_NS6detail15normal_iteratorINS9_10device_ptrItEEEESE_PS5_SF_jNS0_19identity_decomposerENS1_16block_id_wrapperIjLb1EEEEE10hipError_tT1_PNSt15iterator_traitsISK_E10value_typeET2_T3_PNSL_ISQ_E10value_typeET4_T5_PSV_SW_PNS1_23onesweep_lookback_stateEbbT6_jjT7_P12ihipStream_tbENKUlT_T0_SK_SP_E_clISE_SE_SF_SF_EEDaS13_S14_SK_SP_EUlS13_E_NS1_11comp_targetILNS1_3genE3ELNS1_11target_archE908ELNS1_3gpuE7ELNS1_3repE0EEENS1_47radix_sort_onesweep_sort_config_static_selectorELNS0_4arch9wavefront6targetE1EEEvSK_
; %bb.0:
	.section	.rodata,"a",@progbits
	.p2align	6, 0x0
	.amdhsa_kernel _ZN7rocprim17ROCPRIM_400000_NS6detail17trampoline_kernelINS0_14default_configENS1_35radix_sort_onesweep_config_selectorItNS0_10empty_typeEEEZZNS1_29radix_sort_onesweep_iterationIS3_Lb0EN6thrust23THRUST_200600_302600_NS6detail15normal_iteratorINS9_10device_ptrItEEEESE_PS5_SF_jNS0_19identity_decomposerENS1_16block_id_wrapperIjLb1EEEEE10hipError_tT1_PNSt15iterator_traitsISK_E10value_typeET2_T3_PNSL_ISQ_E10value_typeET4_T5_PSV_SW_PNS1_23onesweep_lookback_stateEbbT6_jjT7_P12ihipStream_tbENKUlT_T0_SK_SP_E_clISE_SE_SF_SF_EEDaS13_S14_SK_SP_EUlS13_E_NS1_11comp_targetILNS1_3genE3ELNS1_11target_archE908ELNS1_3gpuE7ELNS1_3repE0EEENS1_47radix_sort_onesweep_sort_config_static_selectorELNS0_4arch9wavefront6targetE1EEEvSK_
		.amdhsa_group_segment_fixed_size 0
		.amdhsa_private_segment_fixed_size 0
		.amdhsa_kernarg_size 88
		.amdhsa_user_sgpr_count 6
		.amdhsa_user_sgpr_private_segment_buffer 1
		.amdhsa_user_sgpr_dispatch_ptr 0
		.amdhsa_user_sgpr_queue_ptr 0
		.amdhsa_user_sgpr_kernarg_segment_ptr 1
		.amdhsa_user_sgpr_dispatch_id 0
		.amdhsa_user_sgpr_flat_scratch_init 0
		.amdhsa_user_sgpr_kernarg_preload_length 0
		.amdhsa_user_sgpr_kernarg_preload_offset 0
		.amdhsa_user_sgpr_private_segment_size 0
		.amdhsa_uses_dynamic_stack 0
		.amdhsa_system_sgpr_private_segment_wavefront_offset 0
		.amdhsa_system_sgpr_workgroup_id_x 1
		.amdhsa_system_sgpr_workgroup_id_y 0
		.amdhsa_system_sgpr_workgroup_id_z 0
		.amdhsa_system_sgpr_workgroup_info 0
		.amdhsa_system_vgpr_workitem_id 0
		.amdhsa_next_free_vgpr 1
		.amdhsa_next_free_sgpr 0
		.amdhsa_accum_offset 4
		.amdhsa_reserve_vcc 0
		.amdhsa_reserve_flat_scratch 0
		.amdhsa_float_round_mode_32 0
		.amdhsa_float_round_mode_16_64 0
		.amdhsa_float_denorm_mode_32 3
		.amdhsa_float_denorm_mode_16_64 3
		.amdhsa_dx10_clamp 1
		.amdhsa_ieee_mode 1
		.amdhsa_fp16_overflow 0
		.amdhsa_tg_split 0
		.amdhsa_exception_fp_ieee_invalid_op 0
		.amdhsa_exception_fp_denorm_src 0
		.amdhsa_exception_fp_ieee_div_zero 0
		.amdhsa_exception_fp_ieee_overflow 0
		.amdhsa_exception_fp_ieee_underflow 0
		.amdhsa_exception_fp_ieee_inexact 0
		.amdhsa_exception_int_div_zero 0
	.end_amdhsa_kernel
	.section	.text._ZN7rocprim17ROCPRIM_400000_NS6detail17trampoline_kernelINS0_14default_configENS1_35radix_sort_onesweep_config_selectorItNS0_10empty_typeEEEZZNS1_29radix_sort_onesweep_iterationIS3_Lb0EN6thrust23THRUST_200600_302600_NS6detail15normal_iteratorINS9_10device_ptrItEEEESE_PS5_SF_jNS0_19identity_decomposerENS1_16block_id_wrapperIjLb1EEEEE10hipError_tT1_PNSt15iterator_traitsISK_E10value_typeET2_T3_PNSL_ISQ_E10value_typeET4_T5_PSV_SW_PNS1_23onesweep_lookback_stateEbbT6_jjT7_P12ihipStream_tbENKUlT_T0_SK_SP_E_clISE_SE_SF_SF_EEDaS13_S14_SK_SP_EUlS13_E_NS1_11comp_targetILNS1_3genE3ELNS1_11target_archE908ELNS1_3gpuE7ELNS1_3repE0EEENS1_47radix_sort_onesweep_sort_config_static_selectorELNS0_4arch9wavefront6targetE1EEEvSK_,"axG",@progbits,_ZN7rocprim17ROCPRIM_400000_NS6detail17trampoline_kernelINS0_14default_configENS1_35radix_sort_onesweep_config_selectorItNS0_10empty_typeEEEZZNS1_29radix_sort_onesweep_iterationIS3_Lb0EN6thrust23THRUST_200600_302600_NS6detail15normal_iteratorINS9_10device_ptrItEEEESE_PS5_SF_jNS0_19identity_decomposerENS1_16block_id_wrapperIjLb1EEEEE10hipError_tT1_PNSt15iterator_traitsISK_E10value_typeET2_T3_PNSL_ISQ_E10value_typeET4_T5_PSV_SW_PNS1_23onesweep_lookback_stateEbbT6_jjT7_P12ihipStream_tbENKUlT_T0_SK_SP_E_clISE_SE_SF_SF_EEDaS13_S14_SK_SP_EUlS13_E_NS1_11comp_targetILNS1_3genE3ELNS1_11target_archE908ELNS1_3gpuE7ELNS1_3repE0EEENS1_47radix_sort_onesweep_sort_config_static_selectorELNS0_4arch9wavefront6targetE1EEEvSK_,comdat
.Lfunc_end1343:
	.size	_ZN7rocprim17ROCPRIM_400000_NS6detail17trampoline_kernelINS0_14default_configENS1_35radix_sort_onesweep_config_selectorItNS0_10empty_typeEEEZZNS1_29radix_sort_onesweep_iterationIS3_Lb0EN6thrust23THRUST_200600_302600_NS6detail15normal_iteratorINS9_10device_ptrItEEEESE_PS5_SF_jNS0_19identity_decomposerENS1_16block_id_wrapperIjLb1EEEEE10hipError_tT1_PNSt15iterator_traitsISK_E10value_typeET2_T3_PNSL_ISQ_E10value_typeET4_T5_PSV_SW_PNS1_23onesweep_lookback_stateEbbT6_jjT7_P12ihipStream_tbENKUlT_T0_SK_SP_E_clISE_SE_SF_SF_EEDaS13_S14_SK_SP_EUlS13_E_NS1_11comp_targetILNS1_3genE3ELNS1_11target_archE908ELNS1_3gpuE7ELNS1_3repE0EEENS1_47radix_sort_onesweep_sort_config_static_selectorELNS0_4arch9wavefront6targetE1EEEvSK_, .Lfunc_end1343-_ZN7rocprim17ROCPRIM_400000_NS6detail17trampoline_kernelINS0_14default_configENS1_35radix_sort_onesweep_config_selectorItNS0_10empty_typeEEEZZNS1_29radix_sort_onesweep_iterationIS3_Lb0EN6thrust23THRUST_200600_302600_NS6detail15normal_iteratorINS9_10device_ptrItEEEESE_PS5_SF_jNS0_19identity_decomposerENS1_16block_id_wrapperIjLb1EEEEE10hipError_tT1_PNSt15iterator_traitsISK_E10value_typeET2_T3_PNSL_ISQ_E10value_typeET4_T5_PSV_SW_PNS1_23onesweep_lookback_stateEbbT6_jjT7_P12ihipStream_tbENKUlT_T0_SK_SP_E_clISE_SE_SF_SF_EEDaS13_S14_SK_SP_EUlS13_E_NS1_11comp_targetILNS1_3genE3ELNS1_11target_archE908ELNS1_3gpuE7ELNS1_3repE0EEENS1_47radix_sort_onesweep_sort_config_static_selectorELNS0_4arch9wavefront6targetE1EEEvSK_
                                        ; -- End function
	.section	.AMDGPU.csdata,"",@progbits
; Kernel info:
; codeLenInByte = 0
; NumSgprs: 4
; NumVgprs: 0
; NumAgprs: 0
; TotalNumVgprs: 0
; ScratchSize: 0
; MemoryBound: 0
; FloatMode: 240
; IeeeMode: 1
; LDSByteSize: 0 bytes/workgroup (compile time only)
; SGPRBlocks: 0
; VGPRBlocks: 0
; NumSGPRsForWavesPerEU: 4
; NumVGPRsForWavesPerEU: 1
; AccumOffset: 4
; Occupancy: 8
; WaveLimiterHint : 0
; COMPUTE_PGM_RSRC2:SCRATCH_EN: 0
; COMPUTE_PGM_RSRC2:USER_SGPR: 6
; COMPUTE_PGM_RSRC2:TRAP_HANDLER: 0
; COMPUTE_PGM_RSRC2:TGID_X_EN: 1
; COMPUTE_PGM_RSRC2:TGID_Y_EN: 0
; COMPUTE_PGM_RSRC2:TGID_Z_EN: 0
; COMPUTE_PGM_RSRC2:TIDIG_COMP_CNT: 0
; COMPUTE_PGM_RSRC3_GFX90A:ACCUM_OFFSET: 0
; COMPUTE_PGM_RSRC3_GFX90A:TG_SPLIT: 0
	.section	.text._ZN7rocprim17ROCPRIM_400000_NS6detail17trampoline_kernelINS0_14default_configENS1_35radix_sort_onesweep_config_selectorItNS0_10empty_typeEEEZZNS1_29radix_sort_onesweep_iterationIS3_Lb0EN6thrust23THRUST_200600_302600_NS6detail15normal_iteratorINS9_10device_ptrItEEEESE_PS5_SF_jNS0_19identity_decomposerENS1_16block_id_wrapperIjLb1EEEEE10hipError_tT1_PNSt15iterator_traitsISK_E10value_typeET2_T3_PNSL_ISQ_E10value_typeET4_T5_PSV_SW_PNS1_23onesweep_lookback_stateEbbT6_jjT7_P12ihipStream_tbENKUlT_T0_SK_SP_E_clISE_SE_SF_SF_EEDaS13_S14_SK_SP_EUlS13_E_NS1_11comp_targetILNS1_3genE10ELNS1_11target_archE1201ELNS1_3gpuE5ELNS1_3repE0EEENS1_47radix_sort_onesweep_sort_config_static_selectorELNS0_4arch9wavefront6targetE1EEEvSK_,"axG",@progbits,_ZN7rocprim17ROCPRIM_400000_NS6detail17trampoline_kernelINS0_14default_configENS1_35radix_sort_onesweep_config_selectorItNS0_10empty_typeEEEZZNS1_29radix_sort_onesweep_iterationIS3_Lb0EN6thrust23THRUST_200600_302600_NS6detail15normal_iteratorINS9_10device_ptrItEEEESE_PS5_SF_jNS0_19identity_decomposerENS1_16block_id_wrapperIjLb1EEEEE10hipError_tT1_PNSt15iterator_traitsISK_E10value_typeET2_T3_PNSL_ISQ_E10value_typeET4_T5_PSV_SW_PNS1_23onesweep_lookback_stateEbbT6_jjT7_P12ihipStream_tbENKUlT_T0_SK_SP_E_clISE_SE_SF_SF_EEDaS13_S14_SK_SP_EUlS13_E_NS1_11comp_targetILNS1_3genE10ELNS1_11target_archE1201ELNS1_3gpuE5ELNS1_3repE0EEENS1_47radix_sort_onesweep_sort_config_static_selectorELNS0_4arch9wavefront6targetE1EEEvSK_,comdat
	.protected	_ZN7rocprim17ROCPRIM_400000_NS6detail17trampoline_kernelINS0_14default_configENS1_35radix_sort_onesweep_config_selectorItNS0_10empty_typeEEEZZNS1_29radix_sort_onesweep_iterationIS3_Lb0EN6thrust23THRUST_200600_302600_NS6detail15normal_iteratorINS9_10device_ptrItEEEESE_PS5_SF_jNS0_19identity_decomposerENS1_16block_id_wrapperIjLb1EEEEE10hipError_tT1_PNSt15iterator_traitsISK_E10value_typeET2_T3_PNSL_ISQ_E10value_typeET4_T5_PSV_SW_PNS1_23onesweep_lookback_stateEbbT6_jjT7_P12ihipStream_tbENKUlT_T0_SK_SP_E_clISE_SE_SF_SF_EEDaS13_S14_SK_SP_EUlS13_E_NS1_11comp_targetILNS1_3genE10ELNS1_11target_archE1201ELNS1_3gpuE5ELNS1_3repE0EEENS1_47radix_sort_onesweep_sort_config_static_selectorELNS0_4arch9wavefront6targetE1EEEvSK_ ; -- Begin function _ZN7rocprim17ROCPRIM_400000_NS6detail17trampoline_kernelINS0_14default_configENS1_35radix_sort_onesweep_config_selectorItNS0_10empty_typeEEEZZNS1_29radix_sort_onesweep_iterationIS3_Lb0EN6thrust23THRUST_200600_302600_NS6detail15normal_iteratorINS9_10device_ptrItEEEESE_PS5_SF_jNS0_19identity_decomposerENS1_16block_id_wrapperIjLb1EEEEE10hipError_tT1_PNSt15iterator_traitsISK_E10value_typeET2_T3_PNSL_ISQ_E10value_typeET4_T5_PSV_SW_PNS1_23onesweep_lookback_stateEbbT6_jjT7_P12ihipStream_tbENKUlT_T0_SK_SP_E_clISE_SE_SF_SF_EEDaS13_S14_SK_SP_EUlS13_E_NS1_11comp_targetILNS1_3genE10ELNS1_11target_archE1201ELNS1_3gpuE5ELNS1_3repE0EEENS1_47radix_sort_onesweep_sort_config_static_selectorELNS0_4arch9wavefront6targetE1EEEvSK_
	.globl	_ZN7rocprim17ROCPRIM_400000_NS6detail17trampoline_kernelINS0_14default_configENS1_35radix_sort_onesweep_config_selectorItNS0_10empty_typeEEEZZNS1_29radix_sort_onesweep_iterationIS3_Lb0EN6thrust23THRUST_200600_302600_NS6detail15normal_iteratorINS9_10device_ptrItEEEESE_PS5_SF_jNS0_19identity_decomposerENS1_16block_id_wrapperIjLb1EEEEE10hipError_tT1_PNSt15iterator_traitsISK_E10value_typeET2_T3_PNSL_ISQ_E10value_typeET4_T5_PSV_SW_PNS1_23onesweep_lookback_stateEbbT6_jjT7_P12ihipStream_tbENKUlT_T0_SK_SP_E_clISE_SE_SF_SF_EEDaS13_S14_SK_SP_EUlS13_E_NS1_11comp_targetILNS1_3genE10ELNS1_11target_archE1201ELNS1_3gpuE5ELNS1_3repE0EEENS1_47radix_sort_onesweep_sort_config_static_selectorELNS0_4arch9wavefront6targetE1EEEvSK_
	.p2align	8
	.type	_ZN7rocprim17ROCPRIM_400000_NS6detail17trampoline_kernelINS0_14default_configENS1_35radix_sort_onesweep_config_selectorItNS0_10empty_typeEEEZZNS1_29radix_sort_onesweep_iterationIS3_Lb0EN6thrust23THRUST_200600_302600_NS6detail15normal_iteratorINS9_10device_ptrItEEEESE_PS5_SF_jNS0_19identity_decomposerENS1_16block_id_wrapperIjLb1EEEEE10hipError_tT1_PNSt15iterator_traitsISK_E10value_typeET2_T3_PNSL_ISQ_E10value_typeET4_T5_PSV_SW_PNS1_23onesweep_lookback_stateEbbT6_jjT7_P12ihipStream_tbENKUlT_T0_SK_SP_E_clISE_SE_SF_SF_EEDaS13_S14_SK_SP_EUlS13_E_NS1_11comp_targetILNS1_3genE10ELNS1_11target_archE1201ELNS1_3gpuE5ELNS1_3repE0EEENS1_47radix_sort_onesweep_sort_config_static_selectorELNS0_4arch9wavefront6targetE1EEEvSK_,@function
_ZN7rocprim17ROCPRIM_400000_NS6detail17trampoline_kernelINS0_14default_configENS1_35radix_sort_onesweep_config_selectorItNS0_10empty_typeEEEZZNS1_29radix_sort_onesweep_iterationIS3_Lb0EN6thrust23THRUST_200600_302600_NS6detail15normal_iteratorINS9_10device_ptrItEEEESE_PS5_SF_jNS0_19identity_decomposerENS1_16block_id_wrapperIjLb1EEEEE10hipError_tT1_PNSt15iterator_traitsISK_E10value_typeET2_T3_PNSL_ISQ_E10value_typeET4_T5_PSV_SW_PNS1_23onesweep_lookback_stateEbbT6_jjT7_P12ihipStream_tbENKUlT_T0_SK_SP_E_clISE_SE_SF_SF_EEDaS13_S14_SK_SP_EUlS13_E_NS1_11comp_targetILNS1_3genE10ELNS1_11target_archE1201ELNS1_3gpuE5ELNS1_3repE0EEENS1_47radix_sort_onesweep_sort_config_static_selectorELNS0_4arch9wavefront6targetE1EEEvSK_: ; @_ZN7rocprim17ROCPRIM_400000_NS6detail17trampoline_kernelINS0_14default_configENS1_35radix_sort_onesweep_config_selectorItNS0_10empty_typeEEEZZNS1_29radix_sort_onesweep_iterationIS3_Lb0EN6thrust23THRUST_200600_302600_NS6detail15normal_iteratorINS9_10device_ptrItEEEESE_PS5_SF_jNS0_19identity_decomposerENS1_16block_id_wrapperIjLb1EEEEE10hipError_tT1_PNSt15iterator_traitsISK_E10value_typeET2_T3_PNSL_ISQ_E10value_typeET4_T5_PSV_SW_PNS1_23onesweep_lookback_stateEbbT6_jjT7_P12ihipStream_tbENKUlT_T0_SK_SP_E_clISE_SE_SF_SF_EEDaS13_S14_SK_SP_EUlS13_E_NS1_11comp_targetILNS1_3genE10ELNS1_11target_archE1201ELNS1_3gpuE5ELNS1_3repE0EEENS1_47radix_sort_onesweep_sort_config_static_selectorELNS0_4arch9wavefront6targetE1EEEvSK_
; %bb.0:
	.section	.rodata,"a",@progbits
	.p2align	6, 0x0
	.amdhsa_kernel _ZN7rocprim17ROCPRIM_400000_NS6detail17trampoline_kernelINS0_14default_configENS1_35radix_sort_onesweep_config_selectorItNS0_10empty_typeEEEZZNS1_29radix_sort_onesweep_iterationIS3_Lb0EN6thrust23THRUST_200600_302600_NS6detail15normal_iteratorINS9_10device_ptrItEEEESE_PS5_SF_jNS0_19identity_decomposerENS1_16block_id_wrapperIjLb1EEEEE10hipError_tT1_PNSt15iterator_traitsISK_E10value_typeET2_T3_PNSL_ISQ_E10value_typeET4_T5_PSV_SW_PNS1_23onesweep_lookback_stateEbbT6_jjT7_P12ihipStream_tbENKUlT_T0_SK_SP_E_clISE_SE_SF_SF_EEDaS13_S14_SK_SP_EUlS13_E_NS1_11comp_targetILNS1_3genE10ELNS1_11target_archE1201ELNS1_3gpuE5ELNS1_3repE0EEENS1_47radix_sort_onesweep_sort_config_static_selectorELNS0_4arch9wavefront6targetE1EEEvSK_
		.amdhsa_group_segment_fixed_size 0
		.amdhsa_private_segment_fixed_size 0
		.amdhsa_kernarg_size 88
		.amdhsa_user_sgpr_count 6
		.amdhsa_user_sgpr_private_segment_buffer 1
		.amdhsa_user_sgpr_dispatch_ptr 0
		.amdhsa_user_sgpr_queue_ptr 0
		.amdhsa_user_sgpr_kernarg_segment_ptr 1
		.amdhsa_user_sgpr_dispatch_id 0
		.amdhsa_user_sgpr_flat_scratch_init 0
		.amdhsa_user_sgpr_kernarg_preload_length 0
		.amdhsa_user_sgpr_kernarg_preload_offset 0
		.amdhsa_user_sgpr_private_segment_size 0
		.amdhsa_uses_dynamic_stack 0
		.amdhsa_system_sgpr_private_segment_wavefront_offset 0
		.amdhsa_system_sgpr_workgroup_id_x 1
		.amdhsa_system_sgpr_workgroup_id_y 0
		.amdhsa_system_sgpr_workgroup_id_z 0
		.amdhsa_system_sgpr_workgroup_info 0
		.amdhsa_system_vgpr_workitem_id 0
		.amdhsa_next_free_vgpr 1
		.amdhsa_next_free_sgpr 0
		.amdhsa_accum_offset 4
		.amdhsa_reserve_vcc 0
		.amdhsa_reserve_flat_scratch 0
		.amdhsa_float_round_mode_32 0
		.amdhsa_float_round_mode_16_64 0
		.amdhsa_float_denorm_mode_32 3
		.amdhsa_float_denorm_mode_16_64 3
		.amdhsa_dx10_clamp 1
		.amdhsa_ieee_mode 1
		.amdhsa_fp16_overflow 0
		.amdhsa_tg_split 0
		.amdhsa_exception_fp_ieee_invalid_op 0
		.amdhsa_exception_fp_denorm_src 0
		.amdhsa_exception_fp_ieee_div_zero 0
		.amdhsa_exception_fp_ieee_overflow 0
		.amdhsa_exception_fp_ieee_underflow 0
		.amdhsa_exception_fp_ieee_inexact 0
		.amdhsa_exception_int_div_zero 0
	.end_amdhsa_kernel
	.section	.text._ZN7rocprim17ROCPRIM_400000_NS6detail17trampoline_kernelINS0_14default_configENS1_35radix_sort_onesweep_config_selectorItNS0_10empty_typeEEEZZNS1_29radix_sort_onesweep_iterationIS3_Lb0EN6thrust23THRUST_200600_302600_NS6detail15normal_iteratorINS9_10device_ptrItEEEESE_PS5_SF_jNS0_19identity_decomposerENS1_16block_id_wrapperIjLb1EEEEE10hipError_tT1_PNSt15iterator_traitsISK_E10value_typeET2_T3_PNSL_ISQ_E10value_typeET4_T5_PSV_SW_PNS1_23onesweep_lookback_stateEbbT6_jjT7_P12ihipStream_tbENKUlT_T0_SK_SP_E_clISE_SE_SF_SF_EEDaS13_S14_SK_SP_EUlS13_E_NS1_11comp_targetILNS1_3genE10ELNS1_11target_archE1201ELNS1_3gpuE5ELNS1_3repE0EEENS1_47radix_sort_onesweep_sort_config_static_selectorELNS0_4arch9wavefront6targetE1EEEvSK_,"axG",@progbits,_ZN7rocprim17ROCPRIM_400000_NS6detail17trampoline_kernelINS0_14default_configENS1_35radix_sort_onesweep_config_selectorItNS0_10empty_typeEEEZZNS1_29radix_sort_onesweep_iterationIS3_Lb0EN6thrust23THRUST_200600_302600_NS6detail15normal_iteratorINS9_10device_ptrItEEEESE_PS5_SF_jNS0_19identity_decomposerENS1_16block_id_wrapperIjLb1EEEEE10hipError_tT1_PNSt15iterator_traitsISK_E10value_typeET2_T3_PNSL_ISQ_E10value_typeET4_T5_PSV_SW_PNS1_23onesweep_lookback_stateEbbT6_jjT7_P12ihipStream_tbENKUlT_T0_SK_SP_E_clISE_SE_SF_SF_EEDaS13_S14_SK_SP_EUlS13_E_NS1_11comp_targetILNS1_3genE10ELNS1_11target_archE1201ELNS1_3gpuE5ELNS1_3repE0EEENS1_47radix_sort_onesweep_sort_config_static_selectorELNS0_4arch9wavefront6targetE1EEEvSK_,comdat
.Lfunc_end1344:
	.size	_ZN7rocprim17ROCPRIM_400000_NS6detail17trampoline_kernelINS0_14default_configENS1_35radix_sort_onesweep_config_selectorItNS0_10empty_typeEEEZZNS1_29radix_sort_onesweep_iterationIS3_Lb0EN6thrust23THRUST_200600_302600_NS6detail15normal_iteratorINS9_10device_ptrItEEEESE_PS5_SF_jNS0_19identity_decomposerENS1_16block_id_wrapperIjLb1EEEEE10hipError_tT1_PNSt15iterator_traitsISK_E10value_typeET2_T3_PNSL_ISQ_E10value_typeET4_T5_PSV_SW_PNS1_23onesweep_lookback_stateEbbT6_jjT7_P12ihipStream_tbENKUlT_T0_SK_SP_E_clISE_SE_SF_SF_EEDaS13_S14_SK_SP_EUlS13_E_NS1_11comp_targetILNS1_3genE10ELNS1_11target_archE1201ELNS1_3gpuE5ELNS1_3repE0EEENS1_47radix_sort_onesweep_sort_config_static_selectorELNS0_4arch9wavefront6targetE1EEEvSK_, .Lfunc_end1344-_ZN7rocprim17ROCPRIM_400000_NS6detail17trampoline_kernelINS0_14default_configENS1_35radix_sort_onesweep_config_selectorItNS0_10empty_typeEEEZZNS1_29radix_sort_onesweep_iterationIS3_Lb0EN6thrust23THRUST_200600_302600_NS6detail15normal_iteratorINS9_10device_ptrItEEEESE_PS5_SF_jNS0_19identity_decomposerENS1_16block_id_wrapperIjLb1EEEEE10hipError_tT1_PNSt15iterator_traitsISK_E10value_typeET2_T3_PNSL_ISQ_E10value_typeET4_T5_PSV_SW_PNS1_23onesweep_lookback_stateEbbT6_jjT7_P12ihipStream_tbENKUlT_T0_SK_SP_E_clISE_SE_SF_SF_EEDaS13_S14_SK_SP_EUlS13_E_NS1_11comp_targetILNS1_3genE10ELNS1_11target_archE1201ELNS1_3gpuE5ELNS1_3repE0EEENS1_47radix_sort_onesweep_sort_config_static_selectorELNS0_4arch9wavefront6targetE1EEEvSK_
                                        ; -- End function
	.section	.AMDGPU.csdata,"",@progbits
; Kernel info:
; codeLenInByte = 0
; NumSgprs: 4
; NumVgprs: 0
; NumAgprs: 0
; TotalNumVgprs: 0
; ScratchSize: 0
; MemoryBound: 0
; FloatMode: 240
; IeeeMode: 1
; LDSByteSize: 0 bytes/workgroup (compile time only)
; SGPRBlocks: 0
; VGPRBlocks: 0
; NumSGPRsForWavesPerEU: 4
; NumVGPRsForWavesPerEU: 1
; AccumOffset: 4
; Occupancy: 8
; WaveLimiterHint : 0
; COMPUTE_PGM_RSRC2:SCRATCH_EN: 0
; COMPUTE_PGM_RSRC2:USER_SGPR: 6
; COMPUTE_PGM_RSRC2:TRAP_HANDLER: 0
; COMPUTE_PGM_RSRC2:TGID_X_EN: 1
; COMPUTE_PGM_RSRC2:TGID_Y_EN: 0
; COMPUTE_PGM_RSRC2:TGID_Z_EN: 0
; COMPUTE_PGM_RSRC2:TIDIG_COMP_CNT: 0
; COMPUTE_PGM_RSRC3_GFX90A:ACCUM_OFFSET: 0
; COMPUTE_PGM_RSRC3_GFX90A:TG_SPLIT: 0
	.section	.text._ZN7rocprim17ROCPRIM_400000_NS6detail17trampoline_kernelINS0_14default_configENS1_35radix_sort_onesweep_config_selectorItNS0_10empty_typeEEEZZNS1_29radix_sort_onesweep_iterationIS3_Lb0EN6thrust23THRUST_200600_302600_NS6detail15normal_iteratorINS9_10device_ptrItEEEESE_PS5_SF_jNS0_19identity_decomposerENS1_16block_id_wrapperIjLb1EEEEE10hipError_tT1_PNSt15iterator_traitsISK_E10value_typeET2_T3_PNSL_ISQ_E10value_typeET4_T5_PSV_SW_PNS1_23onesweep_lookback_stateEbbT6_jjT7_P12ihipStream_tbENKUlT_T0_SK_SP_E_clISE_SE_SF_SF_EEDaS13_S14_SK_SP_EUlS13_E_NS1_11comp_targetILNS1_3genE9ELNS1_11target_archE1100ELNS1_3gpuE3ELNS1_3repE0EEENS1_47radix_sort_onesweep_sort_config_static_selectorELNS0_4arch9wavefront6targetE1EEEvSK_,"axG",@progbits,_ZN7rocprim17ROCPRIM_400000_NS6detail17trampoline_kernelINS0_14default_configENS1_35radix_sort_onesweep_config_selectorItNS0_10empty_typeEEEZZNS1_29radix_sort_onesweep_iterationIS3_Lb0EN6thrust23THRUST_200600_302600_NS6detail15normal_iteratorINS9_10device_ptrItEEEESE_PS5_SF_jNS0_19identity_decomposerENS1_16block_id_wrapperIjLb1EEEEE10hipError_tT1_PNSt15iterator_traitsISK_E10value_typeET2_T3_PNSL_ISQ_E10value_typeET4_T5_PSV_SW_PNS1_23onesweep_lookback_stateEbbT6_jjT7_P12ihipStream_tbENKUlT_T0_SK_SP_E_clISE_SE_SF_SF_EEDaS13_S14_SK_SP_EUlS13_E_NS1_11comp_targetILNS1_3genE9ELNS1_11target_archE1100ELNS1_3gpuE3ELNS1_3repE0EEENS1_47radix_sort_onesweep_sort_config_static_selectorELNS0_4arch9wavefront6targetE1EEEvSK_,comdat
	.protected	_ZN7rocprim17ROCPRIM_400000_NS6detail17trampoline_kernelINS0_14default_configENS1_35radix_sort_onesweep_config_selectorItNS0_10empty_typeEEEZZNS1_29radix_sort_onesweep_iterationIS3_Lb0EN6thrust23THRUST_200600_302600_NS6detail15normal_iteratorINS9_10device_ptrItEEEESE_PS5_SF_jNS0_19identity_decomposerENS1_16block_id_wrapperIjLb1EEEEE10hipError_tT1_PNSt15iterator_traitsISK_E10value_typeET2_T3_PNSL_ISQ_E10value_typeET4_T5_PSV_SW_PNS1_23onesweep_lookback_stateEbbT6_jjT7_P12ihipStream_tbENKUlT_T0_SK_SP_E_clISE_SE_SF_SF_EEDaS13_S14_SK_SP_EUlS13_E_NS1_11comp_targetILNS1_3genE9ELNS1_11target_archE1100ELNS1_3gpuE3ELNS1_3repE0EEENS1_47radix_sort_onesweep_sort_config_static_selectorELNS0_4arch9wavefront6targetE1EEEvSK_ ; -- Begin function _ZN7rocprim17ROCPRIM_400000_NS6detail17trampoline_kernelINS0_14default_configENS1_35radix_sort_onesweep_config_selectorItNS0_10empty_typeEEEZZNS1_29radix_sort_onesweep_iterationIS3_Lb0EN6thrust23THRUST_200600_302600_NS6detail15normal_iteratorINS9_10device_ptrItEEEESE_PS5_SF_jNS0_19identity_decomposerENS1_16block_id_wrapperIjLb1EEEEE10hipError_tT1_PNSt15iterator_traitsISK_E10value_typeET2_T3_PNSL_ISQ_E10value_typeET4_T5_PSV_SW_PNS1_23onesweep_lookback_stateEbbT6_jjT7_P12ihipStream_tbENKUlT_T0_SK_SP_E_clISE_SE_SF_SF_EEDaS13_S14_SK_SP_EUlS13_E_NS1_11comp_targetILNS1_3genE9ELNS1_11target_archE1100ELNS1_3gpuE3ELNS1_3repE0EEENS1_47radix_sort_onesweep_sort_config_static_selectorELNS0_4arch9wavefront6targetE1EEEvSK_
	.globl	_ZN7rocprim17ROCPRIM_400000_NS6detail17trampoline_kernelINS0_14default_configENS1_35radix_sort_onesweep_config_selectorItNS0_10empty_typeEEEZZNS1_29radix_sort_onesweep_iterationIS3_Lb0EN6thrust23THRUST_200600_302600_NS6detail15normal_iteratorINS9_10device_ptrItEEEESE_PS5_SF_jNS0_19identity_decomposerENS1_16block_id_wrapperIjLb1EEEEE10hipError_tT1_PNSt15iterator_traitsISK_E10value_typeET2_T3_PNSL_ISQ_E10value_typeET4_T5_PSV_SW_PNS1_23onesweep_lookback_stateEbbT6_jjT7_P12ihipStream_tbENKUlT_T0_SK_SP_E_clISE_SE_SF_SF_EEDaS13_S14_SK_SP_EUlS13_E_NS1_11comp_targetILNS1_3genE9ELNS1_11target_archE1100ELNS1_3gpuE3ELNS1_3repE0EEENS1_47radix_sort_onesweep_sort_config_static_selectorELNS0_4arch9wavefront6targetE1EEEvSK_
	.p2align	8
	.type	_ZN7rocprim17ROCPRIM_400000_NS6detail17trampoline_kernelINS0_14default_configENS1_35radix_sort_onesweep_config_selectorItNS0_10empty_typeEEEZZNS1_29radix_sort_onesweep_iterationIS3_Lb0EN6thrust23THRUST_200600_302600_NS6detail15normal_iteratorINS9_10device_ptrItEEEESE_PS5_SF_jNS0_19identity_decomposerENS1_16block_id_wrapperIjLb1EEEEE10hipError_tT1_PNSt15iterator_traitsISK_E10value_typeET2_T3_PNSL_ISQ_E10value_typeET4_T5_PSV_SW_PNS1_23onesweep_lookback_stateEbbT6_jjT7_P12ihipStream_tbENKUlT_T0_SK_SP_E_clISE_SE_SF_SF_EEDaS13_S14_SK_SP_EUlS13_E_NS1_11comp_targetILNS1_3genE9ELNS1_11target_archE1100ELNS1_3gpuE3ELNS1_3repE0EEENS1_47radix_sort_onesweep_sort_config_static_selectorELNS0_4arch9wavefront6targetE1EEEvSK_,@function
_ZN7rocprim17ROCPRIM_400000_NS6detail17trampoline_kernelINS0_14default_configENS1_35radix_sort_onesweep_config_selectorItNS0_10empty_typeEEEZZNS1_29radix_sort_onesweep_iterationIS3_Lb0EN6thrust23THRUST_200600_302600_NS6detail15normal_iteratorINS9_10device_ptrItEEEESE_PS5_SF_jNS0_19identity_decomposerENS1_16block_id_wrapperIjLb1EEEEE10hipError_tT1_PNSt15iterator_traitsISK_E10value_typeET2_T3_PNSL_ISQ_E10value_typeET4_T5_PSV_SW_PNS1_23onesweep_lookback_stateEbbT6_jjT7_P12ihipStream_tbENKUlT_T0_SK_SP_E_clISE_SE_SF_SF_EEDaS13_S14_SK_SP_EUlS13_E_NS1_11comp_targetILNS1_3genE9ELNS1_11target_archE1100ELNS1_3gpuE3ELNS1_3repE0EEENS1_47radix_sort_onesweep_sort_config_static_selectorELNS0_4arch9wavefront6targetE1EEEvSK_: ; @_ZN7rocprim17ROCPRIM_400000_NS6detail17trampoline_kernelINS0_14default_configENS1_35radix_sort_onesweep_config_selectorItNS0_10empty_typeEEEZZNS1_29radix_sort_onesweep_iterationIS3_Lb0EN6thrust23THRUST_200600_302600_NS6detail15normal_iteratorINS9_10device_ptrItEEEESE_PS5_SF_jNS0_19identity_decomposerENS1_16block_id_wrapperIjLb1EEEEE10hipError_tT1_PNSt15iterator_traitsISK_E10value_typeET2_T3_PNSL_ISQ_E10value_typeET4_T5_PSV_SW_PNS1_23onesweep_lookback_stateEbbT6_jjT7_P12ihipStream_tbENKUlT_T0_SK_SP_E_clISE_SE_SF_SF_EEDaS13_S14_SK_SP_EUlS13_E_NS1_11comp_targetILNS1_3genE9ELNS1_11target_archE1100ELNS1_3gpuE3ELNS1_3repE0EEENS1_47radix_sort_onesweep_sort_config_static_selectorELNS0_4arch9wavefront6targetE1EEEvSK_
; %bb.0:
	.section	.rodata,"a",@progbits
	.p2align	6, 0x0
	.amdhsa_kernel _ZN7rocprim17ROCPRIM_400000_NS6detail17trampoline_kernelINS0_14default_configENS1_35radix_sort_onesweep_config_selectorItNS0_10empty_typeEEEZZNS1_29radix_sort_onesweep_iterationIS3_Lb0EN6thrust23THRUST_200600_302600_NS6detail15normal_iteratorINS9_10device_ptrItEEEESE_PS5_SF_jNS0_19identity_decomposerENS1_16block_id_wrapperIjLb1EEEEE10hipError_tT1_PNSt15iterator_traitsISK_E10value_typeET2_T3_PNSL_ISQ_E10value_typeET4_T5_PSV_SW_PNS1_23onesweep_lookback_stateEbbT6_jjT7_P12ihipStream_tbENKUlT_T0_SK_SP_E_clISE_SE_SF_SF_EEDaS13_S14_SK_SP_EUlS13_E_NS1_11comp_targetILNS1_3genE9ELNS1_11target_archE1100ELNS1_3gpuE3ELNS1_3repE0EEENS1_47radix_sort_onesweep_sort_config_static_selectorELNS0_4arch9wavefront6targetE1EEEvSK_
		.amdhsa_group_segment_fixed_size 0
		.amdhsa_private_segment_fixed_size 0
		.amdhsa_kernarg_size 88
		.amdhsa_user_sgpr_count 6
		.amdhsa_user_sgpr_private_segment_buffer 1
		.amdhsa_user_sgpr_dispatch_ptr 0
		.amdhsa_user_sgpr_queue_ptr 0
		.amdhsa_user_sgpr_kernarg_segment_ptr 1
		.amdhsa_user_sgpr_dispatch_id 0
		.amdhsa_user_sgpr_flat_scratch_init 0
		.amdhsa_user_sgpr_kernarg_preload_length 0
		.amdhsa_user_sgpr_kernarg_preload_offset 0
		.amdhsa_user_sgpr_private_segment_size 0
		.amdhsa_uses_dynamic_stack 0
		.amdhsa_system_sgpr_private_segment_wavefront_offset 0
		.amdhsa_system_sgpr_workgroup_id_x 1
		.amdhsa_system_sgpr_workgroup_id_y 0
		.amdhsa_system_sgpr_workgroup_id_z 0
		.amdhsa_system_sgpr_workgroup_info 0
		.amdhsa_system_vgpr_workitem_id 0
		.amdhsa_next_free_vgpr 1
		.amdhsa_next_free_sgpr 0
		.amdhsa_accum_offset 4
		.amdhsa_reserve_vcc 0
		.amdhsa_reserve_flat_scratch 0
		.amdhsa_float_round_mode_32 0
		.amdhsa_float_round_mode_16_64 0
		.amdhsa_float_denorm_mode_32 3
		.amdhsa_float_denorm_mode_16_64 3
		.amdhsa_dx10_clamp 1
		.amdhsa_ieee_mode 1
		.amdhsa_fp16_overflow 0
		.amdhsa_tg_split 0
		.amdhsa_exception_fp_ieee_invalid_op 0
		.amdhsa_exception_fp_denorm_src 0
		.amdhsa_exception_fp_ieee_div_zero 0
		.amdhsa_exception_fp_ieee_overflow 0
		.amdhsa_exception_fp_ieee_underflow 0
		.amdhsa_exception_fp_ieee_inexact 0
		.amdhsa_exception_int_div_zero 0
	.end_amdhsa_kernel
	.section	.text._ZN7rocprim17ROCPRIM_400000_NS6detail17trampoline_kernelINS0_14default_configENS1_35radix_sort_onesweep_config_selectorItNS0_10empty_typeEEEZZNS1_29radix_sort_onesweep_iterationIS3_Lb0EN6thrust23THRUST_200600_302600_NS6detail15normal_iteratorINS9_10device_ptrItEEEESE_PS5_SF_jNS0_19identity_decomposerENS1_16block_id_wrapperIjLb1EEEEE10hipError_tT1_PNSt15iterator_traitsISK_E10value_typeET2_T3_PNSL_ISQ_E10value_typeET4_T5_PSV_SW_PNS1_23onesweep_lookback_stateEbbT6_jjT7_P12ihipStream_tbENKUlT_T0_SK_SP_E_clISE_SE_SF_SF_EEDaS13_S14_SK_SP_EUlS13_E_NS1_11comp_targetILNS1_3genE9ELNS1_11target_archE1100ELNS1_3gpuE3ELNS1_3repE0EEENS1_47radix_sort_onesweep_sort_config_static_selectorELNS0_4arch9wavefront6targetE1EEEvSK_,"axG",@progbits,_ZN7rocprim17ROCPRIM_400000_NS6detail17trampoline_kernelINS0_14default_configENS1_35radix_sort_onesweep_config_selectorItNS0_10empty_typeEEEZZNS1_29radix_sort_onesweep_iterationIS3_Lb0EN6thrust23THRUST_200600_302600_NS6detail15normal_iteratorINS9_10device_ptrItEEEESE_PS5_SF_jNS0_19identity_decomposerENS1_16block_id_wrapperIjLb1EEEEE10hipError_tT1_PNSt15iterator_traitsISK_E10value_typeET2_T3_PNSL_ISQ_E10value_typeET4_T5_PSV_SW_PNS1_23onesweep_lookback_stateEbbT6_jjT7_P12ihipStream_tbENKUlT_T0_SK_SP_E_clISE_SE_SF_SF_EEDaS13_S14_SK_SP_EUlS13_E_NS1_11comp_targetILNS1_3genE9ELNS1_11target_archE1100ELNS1_3gpuE3ELNS1_3repE0EEENS1_47radix_sort_onesweep_sort_config_static_selectorELNS0_4arch9wavefront6targetE1EEEvSK_,comdat
.Lfunc_end1345:
	.size	_ZN7rocprim17ROCPRIM_400000_NS6detail17trampoline_kernelINS0_14default_configENS1_35radix_sort_onesweep_config_selectorItNS0_10empty_typeEEEZZNS1_29radix_sort_onesweep_iterationIS3_Lb0EN6thrust23THRUST_200600_302600_NS6detail15normal_iteratorINS9_10device_ptrItEEEESE_PS5_SF_jNS0_19identity_decomposerENS1_16block_id_wrapperIjLb1EEEEE10hipError_tT1_PNSt15iterator_traitsISK_E10value_typeET2_T3_PNSL_ISQ_E10value_typeET4_T5_PSV_SW_PNS1_23onesweep_lookback_stateEbbT6_jjT7_P12ihipStream_tbENKUlT_T0_SK_SP_E_clISE_SE_SF_SF_EEDaS13_S14_SK_SP_EUlS13_E_NS1_11comp_targetILNS1_3genE9ELNS1_11target_archE1100ELNS1_3gpuE3ELNS1_3repE0EEENS1_47radix_sort_onesweep_sort_config_static_selectorELNS0_4arch9wavefront6targetE1EEEvSK_, .Lfunc_end1345-_ZN7rocprim17ROCPRIM_400000_NS6detail17trampoline_kernelINS0_14default_configENS1_35radix_sort_onesweep_config_selectorItNS0_10empty_typeEEEZZNS1_29radix_sort_onesweep_iterationIS3_Lb0EN6thrust23THRUST_200600_302600_NS6detail15normal_iteratorINS9_10device_ptrItEEEESE_PS5_SF_jNS0_19identity_decomposerENS1_16block_id_wrapperIjLb1EEEEE10hipError_tT1_PNSt15iterator_traitsISK_E10value_typeET2_T3_PNSL_ISQ_E10value_typeET4_T5_PSV_SW_PNS1_23onesweep_lookback_stateEbbT6_jjT7_P12ihipStream_tbENKUlT_T0_SK_SP_E_clISE_SE_SF_SF_EEDaS13_S14_SK_SP_EUlS13_E_NS1_11comp_targetILNS1_3genE9ELNS1_11target_archE1100ELNS1_3gpuE3ELNS1_3repE0EEENS1_47radix_sort_onesweep_sort_config_static_selectorELNS0_4arch9wavefront6targetE1EEEvSK_
                                        ; -- End function
	.section	.AMDGPU.csdata,"",@progbits
; Kernel info:
; codeLenInByte = 0
; NumSgprs: 4
; NumVgprs: 0
; NumAgprs: 0
; TotalNumVgprs: 0
; ScratchSize: 0
; MemoryBound: 0
; FloatMode: 240
; IeeeMode: 1
; LDSByteSize: 0 bytes/workgroup (compile time only)
; SGPRBlocks: 0
; VGPRBlocks: 0
; NumSGPRsForWavesPerEU: 4
; NumVGPRsForWavesPerEU: 1
; AccumOffset: 4
; Occupancy: 8
; WaveLimiterHint : 0
; COMPUTE_PGM_RSRC2:SCRATCH_EN: 0
; COMPUTE_PGM_RSRC2:USER_SGPR: 6
; COMPUTE_PGM_RSRC2:TRAP_HANDLER: 0
; COMPUTE_PGM_RSRC2:TGID_X_EN: 1
; COMPUTE_PGM_RSRC2:TGID_Y_EN: 0
; COMPUTE_PGM_RSRC2:TGID_Z_EN: 0
; COMPUTE_PGM_RSRC2:TIDIG_COMP_CNT: 0
; COMPUTE_PGM_RSRC3_GFX90A:ACCUM_OFFSET: 0
; COMPUTE_PGM_RSRC3_GFX90A:TG_SPLIT: 0
	.section	.text._ZN7rocprim17ROCPRIM_400000_NS6detail17trampoline_kernelINS0_14default_configENS1_35radix_sort_onesweep_config_selectorItNS0_10empty_typeEEEZZNS1_29radix_sort_onesweep_iterationIS3_Lb0EN6thrust23THRUST_200600_302600_NS6detail15normal_iteratorINS9_10device_ptrItEEEESE_PS5_SF_jNS0_19identity_decomposerENS1_16block_id_wrapperIjLb1EEEEE10hipError_tT1_PNSt15iterator_traitsISK_E10value_typeET2_T3_PNSL_ISQ_E10value_typeET4_T5_PSV_SW_PNS1_23onesweep_lookback_stateEbbT6_jjT7_P12ihipStream_tbENKUlT_T0_SK_SP_E_clISE_SE_SF_SF_EEDaS13_S14_SK_SP_EUlS13_E_NS1_11comp_targetILNS1_3genE8ELNS1_11target_archE1030ELNS1_3gpuE2ELNS1_3repE0EEENS1_47radix_sort_onesweep_sort_config_static_selectorELNS0_4arch9wavefront6targetE1EEEvSK_,"axG",@progbits,_ZN7rocprim17ROCPRIM_400000_NS6detail17trampoline_kernelINS0_14default_configENS1_35radix_sort_onesweep_config_selectorItNS0_10empty_typeEEEZZNS1_29radix_sort_onesweep_iterationIS3_Lb0EN6thrust23THRUST_200600_302600_NS6detail15normal_iteratorINS9_10device_ptrItEEEESE_PS5_SF_jNS0_19identity_decomposerENS1_16block_id_wrapperIjLb1EEEEE10hipError_tT1_PNSt15iterator_traitsISK_E10value_typeET2_T3_PNSL_ISQ_E10value_typeET4_T5_PSV_SW_PNS1_23onesweep_lookback_stateEbbT6_jjT7_P12ihipStream_tbENKUlT_T0_SK_SP_E_clISE_SE_SF_SF_EEDaS13_S14_SK_SP_EUlS13_E_NS1_11comp_targetILNS1_3genE8ELNS1_11target_archE1030ELNS1_3gpuE2ELNS1_3repE0EEENS1_47radix_sort_onesweep_sort_config_static_selectorELNS0_4arch9wavefront6targetE1EEEvSK_,comdat
	.protected	_ZN7rocprim17ROCPRIM_400000_NS6detail17trampoline_kernelINS0_14default_configENS1_35radix_sort_onesweep_config_selectorItNS0_10empty_typeEEEZZNS1_29radix_sort_onesweep_iterationIS3_Lb0EN6thrust23THRUST_200600_302600_NS6detail15normal_iteratorINS9_10device_ptrItEEEESE_PS5_SF_jNS0_19identity_decomposerENS1_16block_id_wrapperIjLb1EEEEE10hipError_tT1_PNSt15iterator_traitsISK_E10value_typeET2_T3_PNSL_ISQ_E10value_typeET4_T5_PSV_SW_PNS1_23onesweep_lookback_stateEbbT6_jjT7_P12ihipStream_tbENKUlT_T0_SK_SP_E_clISE_SE_SF_SF_EEDaS13_S14_SK_SP_EUlS13_E_NS1_11comp_targetILNS1_3genE8ELNS1_11target_archE1030ELNS1_3gpuE2ELNS1_3repE0EEENS1_47radix_sort_onesweep_sort_config_static_selectorELNS0_4arch9wavefront6targetE1EEEvSK_ ; -- Begin function _ZN7rocprim17ROCPRIM_400000_NS6detail17trampoline_kernelINS0_14default_configENS1_35radix_sort_onesweep_config_selectorItNS0_10empty_typeEEEZZNS1_29radix_sort_onesweep_iterationIS3_Lb0EN6thrust23THRUST_200600_302600_NS6detail15normal_iteratorINS9_10device_ptrItEEEESE_PS5_SF_jNS0_19identity_decomposerENS1_16block_id_wrapperIjLb1EEEEE10hipError_tT1_PNSt15iterator_traitsISK_E10value_typeET2_T3_PNSL_ISQ_E10value_typeET4_T5_PSV_SW_PNS1_23onesweep_lookback_stateEbbT6_jjT7_P12ihipStream_tbENKUlT_T0_SK_SP_E_clISE_SE_SF_SF_EEDaS13_S14_SK_SP_EUlS13_E_NS1_11comp_targetILNS1_3genE8ELNS1_11target_archE1030ELNS1_3gpuE2ELNS1_3repE0EEENS1_47radix_sort_onesweep_sort_config_static_selectorELNS0_4arch9wavefront6targetE1EEEvSK_
	.globl	_ZN7rocprim17ROCPRIM_400000_NS6detail17trampoline_kernelINS0_14default_configENS1_35radix_sort_onesweep_config_selectorItNS0_10empty_typeEEEZZNS1_29radix_sort_onesweep_iterationIS3_Lb0EN6thrust23THRUST_200600_302600_NS6detail15normal_iteratorINS9_10device_ptrItEEEESE_PS5_SF_jNS0_19identity_decomposerENS1_16block_id_wrapperIjLb1EEEEE10hipError_tT1_PNSt15iterator_traitsISK_E10value_typeET2_T3_PNSL_ISQ_E10value_typeET4_T5_PSV_SW_PNS1_23onesweep_lookback_stateEbbT6_jjT7_P12ihipStream_tbENKUlT_T0_SK_SP_E_clISE_SE_SF_SF_EEDaS13_S14_SK_SP_EUlS13_E_NS1_11comp_targetILNS1_3genE8ELNS1_11target_archE1030ELNS1_3gpuE2ELNS1_3repE0EEENS1_47radix_sort_onesweep_sort_config_static_selectorELNS0_4arch9wavefront6targetE1EEEvSK_
	.p2align	8
	.type	_ZN7rocprim17ROCPRIM_400000_NS6detail17trampoline_kernelINS0_14default_configENS1_35radix_sort_onesweep_config_selectorItNS0_10empty_typeEEEZZNS1_29radix_sort_onesweep_iterationIS3_Lb0EN6thrust23THRUST_200600_302600_NS6detail15normal_iteratorINS9_10device_ptrItEEEESE_PS5_SF_jNS0_19identity_decomposerENS1_16block_id_wrapperIjLb1EEEEE10hipError_tT1_PNSt15iterator_traitsISK_E10value_typeET2_T3_PNSL_ISQ_E10value_typeET4_T5_PSV_SW_PNS1_23onesweep_lookback_stateEbbT6_jjT7_P12ihipStream_tbENKUlT_T0_SK_SP_E_clISE_SE_SF_SF_EEDaS13_S14_SK_SP_EUlS13_E_NS1_11comp_targetILNS1_3genE8ELNS1_11target_archE1030ELNS1_3gpuE2ELNS1_3repE0EEENS1_47radix_sort_onesweep_sort_config_static_selectorELNS0_4arch9wavefront6targetE1EEEvSK_,@function
_ZN7rocprim17ROCPRIM_400000_NS6detail17trampoline_kernelINS0_14default_configENS1_35radix_sort_onesweep_config_selectorItNS0_10empty_typeEEEZZNS1_29radix_sort_onesweep_iterationIS3_Lb0EN6thrust23THRUST_200600_302600_NS6detail15normal_iteratorINS9_10device_ptrItEEEESE_PS5_SF_jNS0_19identity_decomposerENS1_16block_id_wrapperIjLb1EEEEE10hipError_tT1_PNSt15iterator_traitsISK_E10value_typeET2_T3_PNSL_ISQ_E10value_typeET4_T5_PSV_SW_PNS1_23onesweep_lookback_stateEbbT6_jjT7_P12ihipStream_tbENKUlT_T0_SK_SP_E_clISE_SE_SF_SF_EEDaS13_S14_SK_SP_EUlS13_E_NS1_11comp_targetILNS1_3genE8ELNS1_11target_archE1030ELNS1_3gpuE2ELNS1_3repE0EEENS1_47radix_sort_onesweep_sort_config_static_selectorELNS0_4arch9wavefront6targetE1EEEvSK_: ; @_ZN7rocprim17ROCPRIM_400000_NS6detail17trampoline_kernelINS0_14default_configENS1_35radix_sort_onesweep_config_selectorItNS0_10empty_typeEEEZZNS1_29radix_sort_onesweep_iterationIS3_Lb0EN6thrust23THRUST_200600_302600_NS6detail15normal_iteratorINS9_10device_ptrItEEEESE_PS5_SF_jNS0_19identity_decomposerENS1_16block_id_wrapperIjLb1EEEEE10hipError_tT1_PNSt15iterator_traitsISK_E10value_typeET2_T3_PNSL_ISQ_E10value_typeET4_T5_PSV_SW_PNS1_23onesweep_lookback_stateEbbT6_jjT7_P12ihipStream_tbENKUlT_T0_SK_SP_E_clISE_SE_SF_SF_EEDaS13_S14_SK_SP_EUlS13_E_NS1_11comp_targetILNS1_3genE8ELNS1_11target_archE1030ELNS1_3gpuE2ELNS1_3repE0EEENS1_47radix_sort_onesweep_sort_config_static_selectorELNS0_4arch9wavefront6targetE1EEEvSK_
; %bb.0:
	.section	.rodata,"a",@progbits
	.p2align	6, 0x0
	.amdhsa_kernel _ZN7rocprim17ROCPRIM_400000_NS6detail17trampoline_kernelINS0_14default_configENS1_35radix_sort_onesweep_config_selectorItNS0_10empty_typeEEEZZNS1_29radix_sort_onesweep_iterationIS3_Lb0EN6thrust23THRUST_200600_302600_NS6detail15normal_iteratorINS9_10device_ptrItEEEESE_PS5_SF_jNS0_19identity_decomposerENS1_16block_id_wrapperIjLb1EEEEE10hipError_tT1_PNSt15iterator_traitsISK_E10value_typeET2_T3_PNSL_ISQ_E10value_typeET4_T5_PSV_SW_PNS1_23onesweep_lookback_stateEbbT6_jjT7_P12ihipStream_tbENKUlT_T0_SK_SP_E_clISE_SE_SF_SF_EEDaS13_S14_SK_SP_EUlS13_E_NS1_11comp_targetILNS1_3genE8ELNS1_11target_archE1030ELNS1_3gpuE2ELNS1_3repE0EEENS1_47radix_sort_onesweep_sort_config_static_selectorELNS0_4arch9wavefront6targetE1EEEvSK_
		.amdhsa_group_segment_fixed_size 0
		.amdhsa_private_segment_fixed_size 0
		.amdhsa_kernarg_size 88
		.amdhsa_user_sgpr_count 6
		.amdhsa_user_sgpr_private_segment_buffer 1
		.amdhsa_user_sgpr_dispatch_ptr 0
		.amdhsa_user_sgpr_queue_ptr 0
		.amdhsa_user_sgpr_kernarg_segment_ptr 1
		.amdhsa_user_sgpr_dispatch_id 0
		.amdhsa_user_sgpr_flat_scratch_init 0
		.amdhsa_user_sgpr_kernarg_preload_length 0
		.amdhsa_user_sgpr_kernarg_preload_offset 0
		.amdhsa_user_sgpr_private_segment_size 0
		.amdhsa_uses_dynamic_stack 0
		.amdhsa_system_sgpr_private_segment_wavefront_offset 0
		.amdhsa_system_sgpr_workgroup_id_x 1
		.amdhsa_system_sgpr_workgroup_id_y 0
		.amdhsa_system_sgpr_workgroup_id_z 0
		.amdhsa_system_sgpr_workgroup_info 0
		.amdhsa_system_vgpr_workitem_id 0
		.amdhsa_next_free_vgpr 1
		.amdhsa_next_free_sgpr 0
		.amdhsa_accum_offset 4
		.amdhsa_reserve_vcc 0
		.amdhsa_reserve_flat_scratch 0
		.amdhsa_float_round_mode_32 0
		.amdhsa_float_round_mode_16_64 0
		.amdhsa_float_denorm_mode_32 3
		.amdhsa_float_denorm_mode_16_64 3
		.amdhsa_dx10_clamp 1
		.amdhsa_ieee_mode 1
		.amdhsa_fp16_overflow 0
		.amdhsa_tg_split 0
		.amdhsa_exception_fp_ieee_invalid_op 0
		.amdhsa_exception_fp_denorm_src 0
		.amdhsa_exception_fp_ieee_div_zero 0
		.amdhsa_exception_fp_ieee_overflow 0
		.amdhsa_exception_fp_ieee_underflow 0
		.amdhsa_exception_fp_ieee_inexact 0
		.amdhsa_exception_int_div_zero 0
	.end_amdhsa_kernel
	.section	.text._ZN7rocprim17ROCPRIM_400000_NS6detail17trampoline_kernelINS0_14default_configENS1_35radix_sort_onesweep_config_selectorItNS0_10empty_typeEEEZZNS1_29radix_sort_onesweep_iterationIS3_Lb0EN6thrust23THRUST_200600_302600_NS6detail15normal_iteratorINS9_10device_ptrItEEEESE_PS5_SF_jNS0_19identity_decomposerENS1_16block_id_wrapperIjLb1EEEEE10hipError_tT1_PNSt15iterator_traitsISK_E10value_typeET2_T3_PNSL_ISQ_E10value_typeET4_T5_PSV_SW_PNS1_23onesweep_lookback_stateEbbT6_jjT7_P12ihipStream_tbENKUlT_T0_SK_SP_E_clISE_SE_SF_SF_EEDaS13_S14_SK_SP_EUlS13_E_NS1_11comp_targetILNS1_3genE8ELNS1_11target_archE1030ELNS1_3gpuE2ELNS1_3repE0EEENS1_47radix_sort_onesweep_sort_config_static_selectorELNS0_4arch9wavefront6targetE1EEEvSK_,"axG",@progbits,_ZN7rocprim17ROCPRIM_400000_NS6detail17trampoline_kernelINS0_14default_configENS1_35radix_sort_onesweep_config_selectorItNS0_10empty_typeEEEZZNS1_29radix_sort_onesweep_iterationIS3_Lb0EN6thrust23THRUST_200600_302600_NS6detail15normal_iteratorINS9_10device_ptrItEEEESE_PS5_SF_jNS0_19identity_decomposerENS1_16block_id_wrapperIjLb1EEEEE10hipError_tT1_PNSt15iterator_traitsISK_E10value_typeET2_T3_PNSL_ISQ_E10value_typeET4_T5_PSV_SW_PNS1_23onesweep_lookback_stateEbbT6_jjT7_P12ihipStream_tbENKUlT_T0_SK_SP_E_clISE_SE_SF_SF_EEDaS13_S14_SK_SP_EUlS13_E_NS1_11comp_targetILNS1_3genE8ELNS1_11target_archE1030ELNS1_3gpuE2ELNS1_3repE0EEENS1_47radix_sort_onesweep_sort_config_static_selectorELNS0_4arch9wavefront6targetE1EEEvSK_,comdat
.Lfunc_end1346:
	.size	_ZN7rocprim17ROCPRIM_400000_NS6detail17trampoline_kernelINS0_14default_configENS1_35radix_sort_onesweep_config_selectorItNS0_10empty_typeEEEZZNS1_29radix_sort_onesweep_iterationIS3_Lb0EN6thrust23THRUST_200600_302600_NS6detail15normal_iteratorINS9_10device_ptrItEEEESE_PS5_SF_jNS0_19identity_decomposerENS1_16block_id_wrapperIjLb1EEEEE10hipError_tT1_PNSt15iterator_traitsISK_E10value_typeET2_T3_PNSL_ISQ_E10value_typeET4_T5_PSV_SW_PNS1_23onesweep_lookback_stateEbbT6_jjT7_P12ihipStream_tbENKUlT_T0_SK_SP_E_clISE_SE_SF_SF_EEDaS13_S14_SK_SP_EUlS13_E_NS1_11comp_targetILNS1_3genE8ELNS1_11target_archE1030ELNS1_3gpuE2ELNS1_3repE0EEENS1_47radix_sort_onesweep_sort_config_static_selectorELNS0_4arch9wavefront6targetE1EEEvSK_, .Lfunc_end1346-_ZN7rocprim17ROCPRIM_400000_NS6detail17trampoline_kernelINS0_14default_configENS1_35radix_sort_onesweep_config_selectorItNS0_10empty_typeEEEZZNS1_29radix_sort_onesweep_iterationIS3_Lb0EN6thrust23THRUST_200600_302600_NS6detail15normal_iteratorINS9_10device_ptrItEEEESE_PS5_SF_jNS0_19identity_decomposerENS1_16block_id_wrapperIjLb1EEEEE10hipError_tT1_PNSt15iterator_traitsISK_E10value_typeET2_T3_PNSL_ISQ_E10value_typeET4_T5_PSV_SW_PNS1_23onesweep_lookback_stateEbbT6_jjT7_P12ihipStream_tbENKUlT_T0_SK_SP_E_clISE_SE_SF_SF_EEDaS13_S14_SK_SP_EUlS13_E_NS1_11comp_targetILNS1_3genE8ELNS1_11target_archE1030ELNS1_3gpuE2ELNS1_3repE0EEENS1_47radix_sort_onesweep_sort_config_static_selectorELNS0_4arch9wavefront6targetE1EEEvSK_
                                        ; -- End function
	.section	.AMDGPU.csdata,"",@progbits
; Kernel info:
; codeLenInByte = 0
; NumSgprs: 4
; NumVgprs: 0
; NumAgprs: 0
; TotalNumVgprs: 0
; ScratchSize: 0
; MemoryBound: 0
; FloatMode: 240
; IeeeMode: 1
; LDSByteSize: 0 bytes/workgroup (compile time only)
; SGPRBlocks: 0
; VGPRBlocks: 0
; NumSGPRsForWavesPerEU: 4
; NumVGPRsForWavesPerEU: 1
; AccumOffset: 4
; Occupancy: 8
; WaveLimiterHint : 0
; COMPUTE_PGM_RSRC2:SCRATCH_EN: 0
; COMPUTE_PGM_RSRC2:USER_SGPR: 6
; COMPUTE_PGM_RSRC2:TRAP_HANDLER: 0
; COMPUTE_PGM_RSRC2:TGID_X_EN: 1
; COMPUTE_PGM_RSRC2:TGID_Y_EN: 0
; COMPUTE_PGM_RSRC2:TGID_Z_EN: 0
; COMPUTE_PGM_RSRC2:TIDIG_COMP_CNT: 0
; COMPUTE_PGM_RSRC3_GFX90A:ACCUM_OFFSET: 0
; COMPUTE_PGM_RSRC3_GFX90A:TG_SPLIT: 0
	.section	.text._ZN7rocprim17ROCPRIM_400000_NS6detail17trampoline_kernelINS0_14default_configENS1_35radix_sort_onesweep_config_selectorItNS0_10empty_typeEEEZZNS1_29radix_sort_onesweep_iterationIS3_Lb0EN6thrust23THRUST_200600_302600_NS6detail15normal_iteratorINS9_10device_ptrItEEEESE_PS5_SF_jNS0_19identity_decomposerENS1_16block_id_wrapperIjLb1EEEEE10hipError_tT1_PNSt15iterator_traitsISK_E10value_typeET2_T3_PNSL_ISQ_E10value_typeET4_T5_PSV_SW_PNS1_23onesweep_lookback_stateEbbT6_jjT7_P12ihipStream_tbENKUlT_T0_SK_SP_E_clISE_PtSF_SF_EEDaS13_S14_SK_SP_EUlS13_E_NS1_11comp_targetILNS1_3genE0ELNS1_11target_archE4294967295ELNS1_3gpuE0ELNS1_3repE0EEENS1_47radix_sort_onesweep_sort_config_static_selectorELNS0_4arch9wavefront6targetE1EEEvSK_,"axG",@progbits,_ZN7rocprim17ROCPRIM_400000_NS6detail17trampoline_kernelINS0_14default_configENS1_35radix_sort_onesweep_config_selectorItNS0_10empty_typeEEEZZNS1_29radix_sort_onesweep_iterationIS3_Lb0EN6thrust23THRUST_200600_302600_NS6detail15normal_iteratorINS9_10device_ptrItEEEESE_PS5_SF_jNS0_19identity_decomposerENS1_16block_id_wrapperIjLb1EEEEE10hipError_tT1_PNSt15iterator_traitsISK_E10value_typeET2_T3_PNSL_ISQ_E10value_typeET4_T5_PSV_SW_PNS1_23onesweep_lookback_stateEbbT6_jjT7_P12ihipStream_tbENKUlT_T0_SK_SP_E_clISE_PtSF_SF_EEDaS13_S14_SK_SP_EUlS13_E_NS1_11comp_targetILNS1_3genE0ELNS1_11target_archE4294967295ELNS1_3gpuE0ELNS1_3repE0EEENS1_47radix_sort_onesweep_sort_config_static_selectorELNS0_4arch9wavefront6targetE1EEEvSK_,comdat
	.protected	_ZN7rocprim17ROCPRIM_400000_NS6detail17trampoline_kernelINS0_14default_configENS1_35radix_sort_onesweep_config_selectorItNS0_10empty_typeEEEZZNS1_29radix_sort_onesweep_iterationIS3_Lb0EN6thrust23THRUST_200600_302600_NS6detail15normal_iteratorINS9_10device_ptrItEEEESE_PS5_SF_jNS0_19identity_decomposerENS1_16block_id_wrapperIjLb1EEEEE10hipError_tT1_PNSt15iterator_traitsISK_E10value_typeET2_T3_PNSL_ISQ_E10value_typeET4_T5_PSV_SW_PNS1_23onesweep_lookback_stateEbbT6_jjT7_P12ihipStream_tbENKUlT_T0_SK_SP_E_clISE_PtSF_SF_EEDaS13_S14_SK_SP_EUlS13_E_NS1_11comp_targetILNS1_3genE0ELNS1_11target_archE4294967295ELNS1_3gpuE0ELNS1_3repE0EEENS1_47radix_sort_onesweep_sort_config_static_selectorELNS0_4arch9wavefront6targetE1EEEvSK_ ; -- Begin function _ZN7rocprim17ROCPRIM_400000_NS6detail17trampoline_kernelINS0_14default_configENS1_35radix_sort_onesweep_config_selectorItNS0_10empty_typeEEEZZNS1_29radix_sort_onesweep_iterationIS3_Lb0EN6thrust23THRUST_200600_302600_NS6detail15normal_iteratorINS9_10device_ptrItEEEESE_PS5_SF_jNS0_19identity_decomposerENS1_16block_id_wrapperIjLb1EEEEE10hipError_tT1_PNSt15iterator_traitsISK_E10value_typeET2_T3_PNSL_ISQ_E10value_typeET4_T5_PSV_SW_PNS1_23onesweep_lookback_stateEbbT6_jjT7_P12ihipStream_tbENKUlT_T0_SK_SP_E_clISE_PtSF_SF_EEDaS13_S14_SK_SP_EUlS13_E_NS1_11comp_targetILNS1_3genE0ELNS1_11target_archE4294967295ELNS1_3gpuE0ELNS1_3repE0EEENS1_47radix_sort_onesweep_sort_config_static_selectorELNS0_4arch9wavefront6targetE1EEEvSK_
	.globl	_ZN7rocprim17ROCPRIM_400000_NS6detail17trampoline_kernelINS0_14default_configENS1_35radix_sort_onesweep_config_selectorItNS0_10empty_typeEEEZZNS1_29radix_sort_onesweep_iterationIS3_Lb0EN6thrust23THRUST_200600_302600_NS6detail15normal_iteratorINS9_10device_ptrItEEEESE_PS5_SF_jNS0_19identity_decomposerENS1_16block_id_wrapperIjLb1EEEEE10hipError_tT1_PNSt15iterator_traitsISK_E10value_typeET2_T3_PNSL_ISQ_E10value_typeET4_T5_PSV_SW_PNS1_23onesweep_lookback_stateEbbT6_jjT7_P12ihipStream_tbENKUlT_T0_SK_SP_E_clISE_PtSF_SF_EEDaS13_S14_SK_SP_EUlS13_E_NS1_11comp_targetILNS1_3genE0ELNS1_11target_archE4294967295ELNS1_3gpuE0ELNS1_3repE0EEENS1_47radix_sort_onesweep_sort_config_static_selectorELNS0_4arch9wavefront6targetE1EEEvSK_
	.p2align	8
	.type	_ZN7rocprim17ROCPRIM_400000_NS6detail17trampoline_kernelINS0_14default_configENS1_35radix_sort_onesweep_config_selectorItNS0_10empty_typeEEEZZNS1_29radix_sort_onesweep_iterationIS3_Lb0EN6thrust23THRUST_200600_302600_NS6detail15normal_iteratorINS9_10device_ptrItEEEESE_PS5_SF_jNS0_19identity_decomposerENS1_16block_id_wrapperIjLb1EEEEE10hipError_tT1_PNSt15iterator_traitsISK_E10value_typeET2_T3_PNSL_ISQ_E10value_typeET4_T5_PSV_SW_PNS1_23onesweep_lookback_stateEbbT6_jjT7_P12ihipStream_tbENKUlT_T0_SK_SP_E_clISE_PtSF_SF_EEDaS13_S14_SK_SP_EUlS13_E_NS1_11comp_targetILNS1_3genE0ELNS1_11target_archE4294967295ELNS1_3gpuE0ELNS1_3repE0EEENS1_47radix_sort_onesweep_sort_config_static_selectorELNS0_4arch9wavefront6targetE1EEEvSK_,@function
_ZN7rocprim17ROCPRIM_400000_NS6detail17trampoline_kernelINS0_14default_configENS1_35radix_sort_onesweep_config_selectorItNS0_10empty_typeEEEZZNS1_29radix_sort_onesweep_iterationIS3_Lb0EN6thrust23THRUST_200600_302600_NS6detail15normal_iteratorINS9_10device_ptrItEEEESE_PS5_SF_jNS0_19identity_decomposerENS1_16block_id_wrapperIjLb1EEEEE10hipError_tT1_PNSt15iterator_traitsISK_E10value_typeET2_T3_PNSL_ISQ_E10value_typeET4_T5_PSV_SW_PNS1_23onesweep_lookback_stateEbbT6_jjT7_P12ihipStream_tbENKUlT_T0_SK_SP_E_clISE_PtSF_SF_EEDaS13_S14_SK_SP_EUlS13_E_NS1_11comp_targetILNS1_3genE0ELNS1_11target_archE4294967295ELNS1_3gpuE0ELNS1_3repE0EEENS1_47radix_sort_onesweep_sort_config_static_selectorELNS0_4arch9wavefront6targetE1EEEvSK_: ; @_ZN7rocprim17ROCPRIM_400000_NS6detail17trampoline_kernelINS0_14default_configENS1_35radix_sort_onesweep_config_selectorItNS0_10empty_typeEEEZZNS1_29radix_sort_onesweep_iterationIS3_Lb0EN6thrust23THRUST_200600_302600_NS6detail15normal_iteratorINS9_10device_ptrItEEEESE_PS5_SF_jNS0_19identity_decomposerENS1_16block_id_wrapperIjLb1EEEEE10hipError_tT1_PNSt15iterator_traitsISK_E10value_typeET2_T3_PNSL_ISQ_E10value_typeET4_T5_PSV_SW_PNS1_23onesweep_lookback_stateEbbT6_jjT7_P12ihipStream_tbENKUlT_T0_SK_SP_E_clISE_PtSF_SF_EEDaS13_S14_SK_SP_EUlS13_E_NS1_11comp_targetILNS1_3genE0ELNS1_11target_archE4294967295ELNS1_3gpuE0ELNS1_3repE0EEENS1_47radix_sort_onesweep_sort_config_static_selectorELNS0_4arch9wavefront6targetE1EEEvSK_
; %bb.0:
	.section	.rodata,"a",@progbits
	.p2align	6, 0x0
	.amdhsa_kernel _ZN7rocprim17ROCPRIM_400000_NS6detail17trampoline_kernelINS0_14default_configENS1_35radix_sort_onesweep_config_selectorItNS0_10empty_typeEEEZZNS1_29radix_sort_onesweep_iterationIS3_Lb0EN6thrust23THRUST_200600_302600_NS6detail15normal_iteratorINS9_10device_ptrItEEEESE_PS5_SF_jNS0_19identity_decomposerENS1_16block_id_wrapperIjLb1EEEEE10hipError_tT1_PNSt15iterator_traitsISK_E10value_typeET2_T3_PNSL_ISQ_E10value_typeET4_T5_PSV_SW_PNS1_23onesweep_lookback_stateEbbT6_jjT7_P12ihipStream_tbENKUlT_T0_SK_SP_E_clISE_PtSF_SF_EEDaS13_S14_SK_SP_EUlS13_E_NS1_11comp_targetILNS1_3genE0ELNS1_11target_archE4294967295ELNS1_3gpuE0ELNS1_3repE0EEENS1_47radix_sort_onesweep_sort_config_static_selectorELNS0_4arch9wavefront6targetE1EEEvSK_
		.amdhsa_group_segment_fixed_size 0
		.amdhsa_private_segment_fixed_size 0
		.amdhsa_kernarg_size 88
		.amdhsa_user_sgpr_count 6
		.amdhsa_user_sgpr_private_segment_buffer 1
		.amdhsa_user_sgpr_dispatch_ptr 0
		.amdhsa_user_sgpr_queue_ptr 0
		.amdhsa_user_sgpr_kernarg_segment_ptr 1
		.amdhsa_user_sgpr_dispatch_id 0
		.amdhsa_user_sgpr_flat_scratch_init 0
		.amdhsa_user_sgpr_kernarg_preload_length 0
		.amdhsa_user_sgpr_kernarg_preload_offset 0
		.amdhsa_user_sgpr_private_segment_size 0
		.amdhsa_uses_dynamic_stack 0
		.amdhsa_system_sgpr_private_segment_wavefront_offset 0
		.amdhsa_system_sgpr_workgroup_id_x 1
		.amdhsa_system_sgpr_workgroup_id_y 0
		.amdhsa_system_sgpr_workgroup_id_z 0
		.amdhsa_system_sgpr_workgroup_info 0
		.amdhsa_system_vgpr_workitem_id 0
		.amdhsa_next_free_vgpr 1
		.amdhsa_next_free_sgpr 0
		.amdhsa_accum_offset 4
		.amdhsa_reserve_vcc 0
		.amdhsa_reserve_flat_scratch 0
		.amdhsa_float_round_mode_32 0
		.amdhsa_float_round_mode_16_64 0
		.amdhsa_float_denorm_mode_32 3
		.amdhsa_float_denorm_mode_16_64 3
		.amdhsa_dx10_clamp 1
		.amdhsa_ieee_mode 1
		.amdhsa_fp16_overflow 0
		.amdhsa_tg_split 0
		.amdhsa_exception_fp_ieee_invalid_op 0
		.amdhsa_exception_fp_denorm_src 0
		.amdhsa_exception_fp_ieee_div_zero 0
		.amdhsa_exception_fp_ieee_overflow 0
		.amdhsa_exception_fp_ieee_underflow 0
		.amdhsa_exception_fp_ieee_inexact 0
		.amdhsa_exception_int_div_zero 0
	.end_amdhsa_kernel
	.section	.text._ZN7rocprim17ROCPRIM_400000_NS6detail17trampoline_kernelINS0_14default_configENS1_35radix_sort_onesweep_config_selectorItNS0_10empty_typeEEEZZNS1_29radix_sort_onesweep_iterationIS3_Lb0EN6thrust23THRUST_200600_302600_NS6detail15normal_iteratorINS9_10device_ptrItEEEESE_PS5_SF_jNS0_19identity_decomposerENS1_16block_id_wrapperIjLb1EEEEE10hipError_tT1_PNSt15iterator_traitsISK_E10value_typeET2_T3_PNSL_ISQ_E10value_typeET4_T5_PSV_SW_PNS1_23onesweep_lookback_stateEbbT6_jjT7_P12ihipStream_tbENKUlT_T0_SK_SP_E_clISE_PtSF_SF_EEDaS13_S14_SK_SP_EUlS13_E_NS1_11comp_targetILNS1_3genE0ELNS1_11target_archE4294967295ELNS1_3gpuE0ELNS1_3repE0EEENS1_47radix_sort_onesweep_sort_config_static_selectorELNS0_4arch9wavefront6targetE1EEEvSK_,"axG",@progbits,_ZN7rocprim17ROCPRIM_400000_NS6detail17trampoline_kernelINS0_14default_configENS1_35radix_sort_onesweep_config_selectorItNS0_10empty_typeEEEZZNS1_29radix_sort_onesweep_iterationIS3_Lb0EN6thrust23THRUST_200600_302600_NS6detail15normal_iteratorINS9_10device_ptrItEEEESE_PS5_SF_jNS0_19identity_decomposerENS1_16block_id_wrapperIjLb1EEEEE10hipError_tT1_PNSt15iterator_traitsISK_E10value_typeET2_T3_PNSL_ISQ_E10value_typeET4_T5_PSV_SW_PNS1_23onesweep_lookback_stateEbbT6_jjT7_P12ihipStream_tbENKUlT_T0_SK_SP_E_clISE_PtSF_SF_EEDaS13_S14_SK_SP_EUlS13_E_NS1_11comp_targetILNS1_3genE0ELNS1_11target_archE4294967295ELNS1_3gpuE0ELNS1_3repE0EEENS1_47radix_sort_onesweep_sort_config_static_selectorELNS0_4arch9wavefront6targetE1EEEvSK_,comdat
.Lfunc_end1347:
	.size	_ZN7rocprim17ROCPRIM_400000_NS6detail17trampoline_kernelINS0_14default_configENS1_35radix_sort_onesweep_config_selectorItNS0_10empty_typeEEEZZNS1_29radix_sort_onesweep_iterationIS3_Lb0EN6thrust23THRUST_200600_302600_NS6detail15normal_iteratorINS9_10device_ptrItEEEESE_PS5_SF_jNS0_19identity_decomposerENS1_16block_id_wrapperIjLb1EEEEE10hipError_tT1_PNSt15iterator_traitsISK_E10value_typeET2_T3_PNSL_ISQ_E10value_typeET4_T5_PSV_SW_PNS1_23onesweep_lookback_stateEbbT6_jjT7_P12ihipStream_tbENKUlT_T0_SK_SP_E_clISE_PtSF_SF_EEDaS13_S14_SK_SP_EUlS13_E_NS1_11comp_targetILNS1_3genE0ELNS1_11target_archE4294967295ELNS1_3gpuE0ELNS1_3repE0EEENS1_47radix_sort_onesweep_sort_config_static_selectorELNS0_4arch9wavefront6targetE1EEEvSK_, .Lfunc_end1347-_ZN7rocprim17ROCPRIM_400000_NS6detail17trampoline_kernelINS0_14default_configENS1_35radix_sort_onesweep_config_selectorItNS0_10empty_typeEEEZZNS1_29radix_sort_onesweep_iterationIS3_Lb0EN6thrust23THRUST_200600_302600_NS6detail15normal_iteratorINS9_10device_ptrItEEEESE_PS5_SF_jNS0_19identity_decomposerENS1_16block_id_wrapperIjLb1EEEEE10hipError_tT1_PNSt15iterator_traitsISK_E10value_typeET2_T3_PNSL_ISQ_E10value_typeET4_T5_PSV_SW_PNS1_23onesweep_lookback_stateEbbT6_jjT7_P12ihipStream_tbENKUlT_T0_SK_SP_E_clISE_PtSF_SF_EEDaS13_S14_SK_SP_EUlS13_E_NS1_11comp_targetILNS1_3genE0ELNS1_11target_archE4294967295ELNS1_3gpuE0ELNS1_3repE0EEENS1_47radix_sort_onesweep_sort_config_static_selectorELNS0_4arch9wavefront6targetE1EEEvSK_
                                        ; -- End function
	.section	.AMDGPU.csdata,"",@progbits
; Kernel info:
; codeLenInByte = 0
; NumSgprs: 4
; NumVgprs: 0
; NumAgprs: 0
; TotalNumVgprs: 0
; ScratchSize: 0
; MemoryBound: 0
; FloatMode: 240
; IeeeMode: 1
; LDSByteSize: 0 bytes/workgroup (compile time only)
; SGPRBlocks: 0
; VGPRBlocks: 0
; NumSGPRsForWavesPerEU: 4
; NumVGPRsForWavesPerEU: 1
; AccumOffset: 4
; Occupancy: 8
; WaveLimiterHint : 0
; COMPUTE_PGM_RSRC2:SCRATCH_EN: 0
; COMPUTE_PGM_RSRC2:USER_SGPR: 6
; COMPUTE_PGM_RSRC2:TRAP_HANDLER: 0
; COMPUTE_PGM_RSRC2:TGID_X_EN: 1
; COMPUTE_PGM_RSRC2:TGID_Y_EN: 0
; COMPUTE_PGM_RSRC2:TGID_Z_EN: 0
; COMPUTE_PGM_RSRC2:TIDIG_COMP_CNT: 0
; COMPUTE_PGM_RSRC3_GFX90A:ACCUM_OFFSET: 0
; COMPUTE_PGM_RSRC3_GFX90A:TG_SPLIT: 0
	.section	.text._ZN7rocprim17ROCPRIM_400000_NS6detail17trampoline_kernelINS0_14default_configENS1_35radix_sort_onesweep_config_selectorItNS0_10empty_typeEEEZZNS1_29radix_sort_onesweep_iterationIS3_Lb0EN6thrust23THRUST_200600_302600_NS6detail15normal_iteratorINS9_10device_ptrItEEEESE_PS5_SF_jNS0_19identity_decomposerENS1_16block_id_wrapperIjLb1EEEEE10hipError_tT1_PNSt15iterator_traitsISK_E10value_typeET2_T3_PNSL_ISQ_E10value_typeET4_T5_PSV_SW_PNS1_23onesweep_lookback_stateEbbT6_jjT7_P12ihipStream_tbENKUlT_T0_SK_SP_E_clISE_PtSF_SF_EEDaS13_S14_SK_SP_EUlS13_E_NS1_11comp_targetILNS1_3genE6ELNS1_11target_archE950ELNS1_3gpuE13ELNS1_3repE0EEENS1_47radix_sort_onesweep_sort_config_static_selectorELNS0_4arch9wavefront6targetE1EEEvSK_,"axG",@progbits,_ZN7rocprim17ROCPRIM_400000_NS6detail17trampoline_kernelINS0_14default_configENS1_35radix_sort_onesweep_config_selectorItNS0_10empty_typeEEEZZNS1_29radix_sort_onesweep_iterationIS3_Lb0EN6thrust23THRUST_200600_302600_NS6detail15normal_iteratorINS9_10device_ptrItEEEESE_PS5_SF_jNS0_19identity_decomposerENS1_16block_id_wrapperIjLb1EEEEE10hipError_tT1_PNSt15iterator_traitsISK_E10value_typeET2_T3_PNSL_ISQ_E10value_typeET4_T5_PSV_SW_PNS1_23onesweep_lookback_stateEbbT6_jjT7_P12ihipStream_tbENKUlT_T0_SK_SP_E_clISE_PtSF_SF_EEDaS13_S14_SK_SP_EUlS13_E_NS1_11comp_targetILNS1_3genE6ELNS1_11target_archE950ELNS1_3gpuE13ELNS1_3repE0EEENS1_47radix_sort_onesweep_sort_config_static_selectorELNS0_4arch9wavefront6targetE1EEEvSK_,comdat
	.protected	_ZN7rocprim17ROCPRIM_400000_NS6detail17trampoline_kernelINS0_14default_configENS1_35radix_sort_onesweep_config_selectorItNS0_10empty_typeEEEZZNS1_29radix_sort_onesweep_iterationIS3_Lb0EN6thrust23THRUST_200600_302600_NS6detail15normal_iteratorINS9_10device_ptrItEEEESE_PS5_SF_jNS0_19identity_decomposerENS1_16block_id_wrapperIjLb1EEEEE10hipError_tT1_PNSt15iterator_traitsISK_E10value_typeET2_T3_PNSL_ISQ_E10value_typeET4_T5_PSV_SW_PNS1_23onesweep_lookback_stateEbbT6_jjT7_P12ihipStream_tbENKUlT_T0_SK_SP_E_clISE_PtSF_SF_EEDaS13_S14_SK_SP_EUlS13_E_NS1_11comp_targetILNS1_3genE6ELNS1_11target_archE950ELNS1_3gpuE13ELNS1_3repE0EEENS1_47radix_sort_onesweep_sort_config_static_selectorELNS0_4arch9wavefront6targetE1EEEvSK_ ; -- Begin function _ZN7rocprim17ROCPRIM_400000_NS6detail17trampoline_kernelINS0_14default_configENS1_35radix_sort_onesweep_config_selectorItNS0_10empty_typeEEEZZNS1_29radix_sort_onesweep_iterationIS3_Lb0EN6thrust23THRUST_200600_302600_NS6detail15normal_iteratorINS9_10device_ptrItEEEESE_PS5_SF_jNS0_19identity_decomposerENS1_16block_id_wrapperIjLb1EEEEE10hipError_tT1_PNSt15iterator_traitsISK_E10value_typeET2_T3_PNSL_ISQ_E10value_typeET4_T5_PSV_SW_PNS1_23onesweep_lookback_stateEbbT6_jjT7_P12ihipStream_tbENKUlT_T0_SK_SP_E_clISE_PtSF_SF_EEDaS13_S14_SK_SP_EUlS13_E_NS1_11comp_targetILNS1_3genE6ELNS1_11target_archE950ELNS1_3gpuE13ELNS1_3repE0EEENS1_47radix_sort_onesweep_sort_config_static_selectorELNS0_4arch9wavefront6targetE1EEEvSK_
	.globl	_ZN7rocprim17ROCPRIM_400000_NS6detail17trampoline_kernelINS0_14default_configENS1_35radix_sort_onesweep_config_selectorItNS0_10empty_typeEEEZZNS1_29radix_sort_onesweep_iterationIS3_Lb0EN6thrust23THRUST_200600_302600_NS6detail15normal_iteratorINS9_10device_ptrItEEEESE_PS5_SF_jNS0_19identity_decomposerENS1_16block_id_wrapperIjLb1EEEEE10hipError_tT1_PNSt15iterator_traitsISK_E10value_typeET2_T3_PNSL_ISQ_E10value_typeET4_T5_PSV_SW_PNS1_23onesweep_lookback_stateEbbT6_jjT7_P12ihipStream_tbENKUlT_T0_SK_SP_E_clISE_PtSF_SF_EEDaS13_S14_SK_SP_EUlS13_E_NS1_11comp_targetILNS1_3genE6ELNS1_11target_archE950ELNS1_3gpuE13ELNS1_3repE0EEENS1_47radix_sort_onesweep_sort_config_static_selectorELNS0_4arch9wavefront6targetE1EEEvSK_
	.p2align	8
	.type	_ZN7rocprim17ROCPRIM_400000_NS6detail17trampoline_kernelINS0_14default_configENS1_35radix_sort_onesweep_config_selectorItNS0_10empty_typeEEEZZNS1_29radix_sort_onesweep_iterationIS3_Lb0EN6thrust23THRUST_200600_302600_NS6detail15normal_iteratorINS9_10device_ptrItEEEESE_PS5_SF_jNS0_19identity_decomposerENS1_16block_id_wrapperIjLb1EEEEE10hipError_tT1_PNSt15iterator_traitsISK_E10value_typeET2_T3_PNSL_ISQ_E10value_typeET4_T5_PSV_SW_PNS1_23onesweep_lookback_stateEbbT6_jjT7_P12ihipStream_tbENKUlT_T0_SK_SP_E_clISE_PtSF_SF_EEDaS13_S14_SK_SP_EUlS13_E_NS1_11comp_targetILNS1_3genE6ELNS1_11target_archE950ELNS1_3gpuE13ELNS1_3repE0EEENS1_47radix_sort_onesweep_sort_config_static_selectorELNS0_4arch9wavefront6targetE1EEEvSK_,@function
_ZN7rocprim17ROCPRIM_400000_NS6detail17trampoline_kernelINS0_14default_configENS1_35radix_sort_onesweep_config_selectorItNS0_10empty_typeEEEZZNS1_29radix_sort_onesweep_iterationIS3_Lb0EN6thrust23THRUST_200600_302600_NS6detail15normal_iteratorINS9_10device_ptrItEEEESE_PS5_SF_jNS0_19identity_decomposerENS1_16block_id_wrapperIjLb1EEEEE10hipError_tT1_PNSt15iterator_traitsISK_E10value_typeET2_T3_PNSL_ISQ_E10value_typeET4_T5_PSV_SW_PNS1_23onesweep_lookback_stateEbbT6_jjT7_P12ihipStream_tbENKUlT_T0_SK_SP_E_clISE_PtSF_SF_EEDaS13_S14_SK_SP_EUlS13_E_NS1_11comp_targetILNS1_3genE6ELNS1_11target_archE950ELNS1_3gpuE13ELNS1_3repE0EEENS1_47radix_sort_onesweep_sort_config_static_selectorELNS0_4arch9wavefront6targetE1EEEvSK_: ; @_ZN7rocprim17ROCPRIM_400000_NS6detail17trampoline_kernelINS0_14default_configENS1_35radix_sort_onesweep_config_selectorItNS0_10empty_typeEEEZZNS1_29radix_sort_onesweep_iterationIS3_Lb0EN6thrust23THRUST_200600_302600_NS6detail15normal_iteratorINS9_10device_ptrItEEEESE_PS5_SF_jNS0_19identity_decomposerENS1_16block_id_wrapperIjLb1EEEEE10hipError_tT1_PNSt15iterator_traitsISK_E10value_typeET2_T3_PNSL_ISQ_E10value_typeET4_T5_PSV_SW_PNS1_23onesweep_lookback_stateEbbT6_jjT7_P12ihipStream_tbENKUlT_T0_SK_SP_E_clISE_PtSF_SF_EEDaS13_S14_SK_SP_EUlS13_E_NS1_11comp_targetILNS1_3genE6ELNS1_11target_archE950ELNS1_3gpuE13ELNS1_3repE0EEENS1_47radix_sort_onesweep_sort_config_static_selectorELNS0_4arch9wavefront6targetE1EEEvSK_
; %bb.0:
	.section	.rodata,"a",@progbits
	.p2align	6, 0x0
	.amdhsa_kernel _ZN7rocprim17ROCPRIM_400000_NS6detail17trampoline_kernelINS0_14default_configENS1_35radix_sort_onesweep_config_selectorItNS0_10empty_typeEEEZZNS1_29radix_sort_onesweep_iterationIS3_Lb0EN6thrust23THRUST_200600_302600_NS6detail15normal_iteratorINS9_10device_ptrItEEEESE_PS5_SF_jNS0_19identity_decomposerENS1_16block_id_wrapperIjLb1EEEEE10hipError_tT1_PNSt15iterator_traitsISK_E10value_typeET2_T3_PNSL_ISQ_E10value_typeET4_T5_PSV_SW_PNS1_23onesweep_lookback_stateEbbT6_jjT7_P12ihipStream_tbENKUlT_T0_SK_SP_E_clISE_PtSF_SF_EEDaS13_S14_SK_SP_EUlS13_E_NS1_11comp_targetILNS1_3genE6ELNS1_11target_archE950ELNS1_3gpuE13ELNS1_3repE0EEENS1_47radix_sort_onesweep_sort_config_static_selectorELNS0_4arch9wavefront6targetE1EEEvSK_
		.amdhsa_group_segment_fixed_size 0
		.amdhsa_private_segment_fixed_size 0
		.amdhsa_kernarg_size 88
		.amdhsa_user_sgpr_count 6
		.amdhsa_user_sgpr_private_segment_buffer 1
		.amdhsa_user_sgpr_dispatch_ptr 0
		.amdhsa_user_sgpr_queue_ptr 0
		.amdhsa_user_sgpr_kernarg_segment_ptr 1
		.amdhsa_user_sgpr_dispatch_id 0
		.amdhsa_user_sgpr_flat_scratch_init 0
		.amdhsa_user_sgpr_kernarg_preload_length 0
		.amdhsa_user_sgpr_kernarg_preload_offset 0
		.amdhsa_user_sgpr_private_segment_size 0
		.amdhsa_uses_dynamic_stack 0
		.amdhsa_system_sgpr_private_segment_wavefront_offset 0
		.amdhsa_system_sgpr_workgroup_id_x 1
		.amdhsa_system_sgpr_workgroup_id_y 0
		.amdhsa_system_sgpr_workgroup_id_z 0
		.amdhsa_system_sgpr_workgroup_info 0
		.amdhsa_system_vgpr_workitem_id 0
		.amdhsa_next_free_vgpr 1
		.amdhsa_next_free_sgpr 0
		.amdhsa_accum_offset 4
		.amdhsa_reserve_vcc 0
		.amdhsa_reserve_flat_scratch 0
		.amdhsa_float_round_mode_32 0
		.amdhsa_float_round_mode_16_64 0
		.amdhsa_float_denorm_mode_32 3
		.amdhsa_float_denorm_mode_16_64 3
		.amdhsa_dx10_clamp 1
		.amdhsa_ieee_mode 1
		.amdhsa_fp16_overflow 0
		.amdhsa_tg_split 0
		.amdhsa_exception_fp_ieee_invalid_op 0
		.amdhsa_exception_fp_denorm_src 0
		.amdhsa_exception_fp_ieee_div_zero 0
		.amdhsa_exception_fp_ieee_overflow 0
		.amdhsa_exception_fp_ieee_underflow 0
		.amdhsa_exception_fp_ieee_inexact 0
		.amdhsa_exception_int_div_zero 0
	.end_amdhsa_kernel
	.section	.text._ZN7rocprim17ROCPRIM_400000_NS6detail17trampoline_kernelINS0_14default_configENS1_35radix_sort_onesweep_config_selectorItNS0_10empty_typeEEEZZNS1_29radix_sort_onesweep_iterationIS3_Lb0EN6thrust23THRUST_200600_302600_NS6detail15normal_iteratorINS9_10device_ptrItEEEESE_PS5_SF_jNS0_19identity_decomposerENS1_16block_id_wrapperIjLb1EEEEE10hipError_tT1_PNSt15iterator_traitsISK_E10value_typeET2_T3_PNSL_ISQ_E10value_typeET4_T5_PSV_SW_PNS1_23onesweep_lookback_stateEbbT6_jjT7_P12ihipStream_tbENKUlT_T0_SK_SP_E_clISE_PtSF_SF_EEDaS13_S14_SK_SP_EUlS13_E_NS1_11comp_targetILNS1_3genE6ELNS1_11target_archE950ELNS1_3gpuE13ELNS1_3repE0EEENS1_47radix_sort_onesweep_sort_config_static_selectorELNS0_4arch9wavefront6targetE1EEEvSK_,"axG",@progbits,_ZN7rocprim17ROCPRIM_400000_NS6detail17trampoline_kernelINS0_14default_configENS1_35radix_sort_onesweep_config_selectorItNS0_10empty_typeEEEZZNS1_29radix_sort_onesweep_iterationIS3_Lb0EN6thrust23THRUST_200600_302600_NS6detail15normal_iteratorINS9_10device_ptrItEEEESE_PS5_SF_jNS0_19identity_decomposerENS1_16block_id_wrapperIjLb1EEEEE10hipError_tT1_PNSt15iterator_traitsISK_E10value_typeET2_T3_PNSL_ISQ_E10value_typeET4_T5_PSV_SW_PNS1_23onesweep_lookback_stateEbbT6_jjT7_P12ihipStream_tbENKUlT_T0_SK_SP_E_clISE_PtSF_SF_EEDaS13_S14_SK_SP_EUlS13_E_NS1_11comp_targetILNS1_3genE6ELNS1_11target_archE950ELNS1_3gpuE13ELNS1_3repE0EEENS1_47radix_sort_onesweep_sort_config_static_selectorELNS0_4arch9wavefront6targetE1EEEvSK_,comdat
.Lfunc_end1348:
	.size	_ZN7rocprim17ROCPRIM_400000_NS6detail17trampoline_kernelINS0_14default_configENS1_35radix_sort_onesweep_config_selectorItNS0_10empty_typeEEEZZNS1_29radix_sort_onesweep_iterationIS3_Lb0EN6thrust23THRUST_200600_302600_NS6detail15normal_iteratorINS9_10device_ptrItEEEESE_PS5_SF_jNS0_19identity_decomposerENS1_16block_id_wrapperIjLb1EEEEE10hipError_tT1_PNSt15iterator_traitsISK_E10value_typeET2_T3_PNSL_ISQ_E10value_typeET4_T5_PSV_SW_PNS1_23onesweep_lookback_stateEbbT6_jjT7_P12ihipStream_tbENKUlT_T0_SK_SP_E_clISE_PtSF_SF_EEDaS13_S14_SK_SP_EUlS13_E_NS1_11comp_targetILNS1_3genE6ELNS1_11target_archE950ELNS1_3gpuE13ELNS1_3repE0EEENS1_47radix_sort_onesweep_sort_config_static_selectorELNS0_4arch9wavefront6targetE1EEEvSK_, .Lfunc_end1348-_ZN7rocprim17ROCPRIM_400000_NS6detail17trampoline_kernelINS0_14default_configENS1_35radix_sort_onesweep_config_selectorItNS0_10empty_typeEEEZZNS1_29radix_sort_onesweep_iterationIS3_Lb0EN6thrust23THRUST_200600_302600_NS6detail15normal_iteratorINS9_10device_ptrItEEEESE_PS5_SF_jNS0_19identity_decomposerENS1_16block_id_wrapperIjLb1EEEEE10hipError_tT1_PNSt15iterator_traitsISK_E10value_typeET2_T3_PNSL_ISQ_E10value_typeET4_T5_PSV_SW_PNS1_23onesweep_lookback_stateEbbT6_jjT7_P12ihipStream_tbENKUlT_T0_SK_SP_E_clISE_PtSF_SF_EEDaS13_S14_SK_SP_EUlS13_E_NS1_11comp_targetILNS1_3genE6ELNS1_11target_archE950ELNS1_3gpuE13ELNS1_3repE0EEENS1_47radix_sort_onesweep_sort_config_static_selectorELNS0_4arch9wavefront6targetE1EEEvSK_
                                        ; -- End function
	.section	.AMDGPU.csdata,"",@progbits
; Kernel info:
; codeLenInByte = 0
; NumSgprs: 4
; NumVgprs: 0
; NumAgprs: 0
; TotalNumVgprs: 0
; ScratchSize: 0
; MemoryBound: 0
; FloatMode: 240
; IeeeMode: 1
; LDSByteSize: 0 bytes/workgroup (compile time only)
; SGPRBlocks: 0
; VGPRBlocks: 0
; NumSGPRsForWavesPerEU: 4
; NumVGPRsForWavesPerEU: 1
; AccumOffset: 4
; Occupancy: 8
; WaveLimiterHint : 0
; COMPUTE_PGM_RSRC2:SCRATCH_EN: 0
; COMPUTE_PGM_RSRC2:USER_SGPR: 6
; COMPUTE_PGM_RSRC2:TRAP_HANDLER: 0
; COMPUTE_PGM_RSRC2:TGID_X_EN: 1
; COMPUTE_PGM_RSRC2:TGID_Y_EN: 0
; COMPUTE_PGM_RSRC2:TGID_Z_EN: 0
; COMPUTE_PGM_RSRC2:TIDIG_COMP_CNT: 0
; COMPUTE_PGM_RSRC3_GFX90A:ACCUM_OFFSET: 0
; COMPUTE_PGM_RSRC3_GFX90A:TG_SPLIT: 0
	.section	.text._ZN7rocprim17ROCPRIM_400000_NS6detail17trampoline_kernelINS0_14default_configENS1_35radix_sort_onesweep_config_selectorItNS0_10empty_typeEEEZZNS1_29radix_sort_onesweep_iterationIS3_Lb0EN6thrust23THRUST_200600_302600_NS6detail15normal_iteratorINS9_10device_ptrItEEEESE_PS5_SF_jNS0_19identity_decomposerENS1_16block_id_wrapperIjLb1EEEEE10hipError_tT1_PNSt15iterator_traitsISK_E10value_typeET2_T3_PNSL_ISQ_E10value_typeET4_T5_PSV_SW_PNS1_23onesweep_lookback_stateEbbT6_jjT7_P12ihipStream_tbENKUlT_T0_SK_SP_E_clISE_PtSF_SF_EEDaS13_S14_SK_SP_EUlS13_E_NS1_11comp_targetILNS1_3genE5ELNS1_11target_archE942ELNS1_3gpuE9ELNS1_3repE0EEENS1_47radix_sort_onesweep_sort_config_static_selectorELNS0_4arch9wavefront6targetE1EEEvSK_,"axG",@progbits,_ZN7rocprim17ROCPRIM_400000_NS6detail17trampoline_kernelINS0_14default_configENS1_35radix_sort_onesweep_config_selectorItNS0_10empty_typeEEEZZNS1_29radix_sort_onesweep_iterationIS3_Lb0EN6thrust23THRUST_200600_302600_NS6detail15normal_iteratorINS9_10device_ptrItEEEESE_PS5_SF_jNS0_19identity_decomposerENS1_16block_id_wrapperIjLb1EEEEE10hipError_tT1_PNSt15iterator_traitsISK_E10value_typeET2_T3_PNSL_ISQ_E10value_typeET4_T5_PSV_SW_PNS1_23onesweep_lookback_stateEbbT6_jjT7_P12ihipStream_tbENKUlT_T0_SK_SP_E_clISE_PtSF_SF_EEDaS13_S14_SK_SP_EUlS13_E_NS1_11comp_targetILNS1_3genE5ELNS1_11target_archE942ELNS1_3gpuE9ELNS1_3repE0EEENS1_47radix_sort_onesweep_sort_config_static_selectorELNS0_4arch9wavefront6targetE1EEEvSK_,comdat
	.protected	_ZN7rocprim17ROCPRIM_400000_NS6detail17trampoline_kernelINS0_14default_configENS1_35radix_sort_onesweep_config_selectorItNS0_10empty_typeEEEZZNS1_29radix_sort_onesweep_iterationIS3_Lb0EN6thrust23THRUST_200600_302600_NS6detail15normal_iteratorINS9_10device_ptrItEEEESE_PS5_SF_jNS0_19identity_decomposerENS1_16block_id_wrapperIjLb1EEEEE10hipError_tT1_PNSt15iterator_traitsISK_E10value_typeET2_T3_PNSL_ISQ_E10value_typeET4_T5_PSV_SW_PNS1_23onesweep_lookback_stateEbbT6_jjT7_P12ihipStream_tbENKUlT_T0_SK_SP_E_clISE_PtSF_SF_EEDaS13_S14_SK_SP_EUlS13_E_NS1_11comp_targetILNS1_3genE5ELNS1_11target_archE942ELNS1_3gpuE9ELNS1_3repE0EEENS1_47radix_sort_onesweep_sort_config_static_selectorELNS0_4arch9wavefront6targetE1EEEvSK_ ; -- Begin function _ZN7rocprim17ROCPRIM_400000_NS6detail17trampoline_kernelINS0_14default_configENS1_35radix_sort_onesweep_config_selectorItNS0_10empty_typeEEEZZNS1_29radix_sort_onesweep_iterationIS3_Lb0EN6thrust23THRUST_200600_302600_NS6detail15normal_iteratorINS9_10device_ptrItEEEESE_PS5_SF_jNS0_19identity_decomposerENS1_16block_id_wrapperIjLb1EEEEE10hipError_tT1_PNSt15iterator_traitsISK_E10value_typeET2_T3_PNSL_ISQ_E10value_typeET4_T5_PSV_SW_PNS1_23onesweep_lookback_stateEbbT6_jjT7_P12ihipStream_tbENKUlT_T0_SK_SP_E_clISE_PtSF_SF_EEDaS13_S14_SK_SP_EUlS13_E_NS1_11comp_targetILNS1_3genE5ELNS1_11target_archE942ELNS1_3gpuE9ELNS1_3repE0EEENS1_47radix_sort_onesweep_sort_config_static_selectorELNS0_4arch9wavefront6targetE1EEEvSK_
	.globl	_ZN7rocprim17ROCPRIM_400000_NS6detail17trampoline_kernelINS0_14default_configENS1_35radix_sort_onesweep_config_selectorItNS0_10empty_typeEEEZZNS1_29radix_sort_onesweep_iterationIS3_Lb0EN6thrust23THRUST_200600_302600_NS6detail15normal_iteratorINS9_10device_ptrItEEEESE_PS5_SF_jNS0_19identity_decomposerENS1_16block_id_wrapperIjLb1EEEEE10hipError_tT1_PNSt15iterator_traitsISK_E10value_typeET2_T3_PNSL_ISQ_E10value_typeET4_T5_PSV_SW_PNS1_23onesweep_lookback_stateEbbT6_jjT7_P12ihipStream_tbENKUlT_T0_SK_SP_E_clISE_PtSF_SF_EEDaS13_S14_SK_SP_EUlS13_E_NS1_11comp_targetILNS1_3genE5ELNS1_11target_archE942ELNS1_3gpuE9ELNS1_3repE0EEENS1_47radix_sort_onesweep_sort_config_static_selectorELNS0_4arch9wavefront6targetE1EEEvSK_
	.p2align	8
	.type	_ZN7rocprim17ROCPRIM_400000_NS6detail17trampoline_kernelINS0_14default_configENS1_35radix_sort_onesweep_config_selectorItNS0_10empty_typeEEEZZNS1_29radix_sort_onesweep_iterationIS3_Lb0EN6thrust23THRUST_200600_302600_NS6detail15normal_iteratorINS9_10device_ptrItEEEESE_PS5_SF_jNS0_19identity_decomposerENS1_16block_id_wrapperIjLb1EEEEE10hipError_tT1_PNSt15iterator_traitsISK_E10value_typeET2_T3_PNSL_ISQ_E10value_typeET4_T5_PSV_SW_PNS1_23onesweep_lookback_stateEbbT6_jjT7_P12ihipStream_tbENKUlT_T0_SK_SP_E_clISE_PtSF_SF_EEDaS13_S14_SK_SP_EUlS13_E_NS1_11comp_targetILNS1_3genE5ELNS1_11target_archE942ELNS1_3gpuE9ELNS1_3repE0EEENS1_47radix_sort_onesweep_sort_config_static_selectorELNS0_4arch9wavefront6targetE1EEEvSK_,@function
_ZN7rocprim17ROCPRIM_400000_NS6detail17trampoline_kernelINS0_14default_configENS1_35radix_sort_onesweep_config_selectorItNS0_10empty_typeEEEZZNS1_29radix_sort_onesweep_iterationIS3_Lb0EN6thrust23THRUST_200600_302600_NS6detail15normal_iteratorINS9_10device_ptrItEEEESE_PS5_SF_jNS0_19identity_decomposerENS1_16block_id_wrapperIjLb1EEEEE10hipError_tT1_PNSt15iterator_traitsISK_E10value_typeET2_T3_PNSL_ISQ_E10value_typeET4_T5_PSV_SW_PNS1_23onesweep_lookback_stateEbbT6_jjT7_P12ihipStream_tbENKUlT_T0_SK_SP_E_clISE_PtSF_SF_EEDaS13_S14_SK_SP_EUlS13_E_NS1_11comp_targetILNS1_3genE5ELNS1_11target_archE942ELNS1_3gpuE9ELNS1_3repE0EEENS1_47radix_sort_onesweep_sort_config_static_selectorELNS0_4arch9wavefront6targetE1EEEvSK_: ; @_ZN7rocprim17ROCPRIM_400000_NS6detail17trampoline_kernelINS0_14default_configENS1_35radix_sort_onesweep_config_selectorItNS0_10empty_typeEEEZZNS1_29radix_sort_onesweep_iterationIS3_Lb0EN6thrust23THRUST_200600_302600_NS6detail15normal_iteratorINS9_10device_ptrItEEEESE_PS5_SF_jNS0_19identity_decomposerENS1_16block_id_wrapperIjLb1EEEEE10hipError_tT1_PNSt15iterator_traitsISK_E10value_typeET2_T3_PNSL_ISQ_E10value_typeET4_T5_PSV_SW_PNS1_23onesweep_lookback_stateEbbT6_jjT7_P12ihipStream_tbENKUlT_T0_SK_SP_E_clISE_PtSF_SF_EEDaS13_S14_SK_SP_EUlS13_E_NS1_11comp_targetILNS1_3genE5ELNS1_11target_archE942ELNS1_3gpuE9ELNS1_3repE0EEENS1_47radix_sort_onesweep_sort_config_static_selectorELNS0_4arch9wavefront6targetE1EEEvSK_
; %bb.0:
	.section	.rodata,"a",@progbits
	.p2align	6, 0x0
	.amdhsa_kernel _ZN7rocprim17ROCPRIM_400000_NS6detail17trampoline_kernelINS0_14default_configENS1_35radix_sort_onesweep_config_selectorItNS0_10empty_typeEEEZZNS1_29radix_sort_onesweep_iterationIS3_Lb0EN6thrust23THRUST_200600_302600_NS6detail15normal_iteratorINS9_10device_ptrItEEEESE_PS5_SF_jNS0_19identity_decomposerENS1_16block_id_wrapperIjLb1EEEEE10hipError_tT1_PNSt15iterator_traitsISK_E10value_typeET2_T3_PNSL_ISQ_E10value_typeET4_T5_PSV_SW_PNS1_23onesweep_lookback_stateEbbT6_jjT7_P12ihipStream_tbENKUlT_T0_SK_SP_E_clISE_PtSF_SF_EEDaS13_S14_SK_SP_EUlS13_E_NS1_11comp_targetILNS1_3genE5ELNS1_11target_archE942ELNS1_3gpuE9ELNS1_3repE0EEENS1_47radix_sort_onesweep_sort_config_static_selectorELNS0_4arch9wavefront6targetE1EEEvSK_
		.amdhsa_group_segment_fixed_size 0
		.amdhsa_private_segment_fixed_size 0
		.amdhsa_kernarg_size 88
		.amdhsa_user_sgpr_count 6
		.amdhsa_user_sgpr_private_segment_buffer 1
		.amdhsa_user_sgpr_dispatch_ptr 0
		.amdhsa_user_sgpr_queue_ptr 0
		.amdhsa_user_sgpr_kernarg_segment_ptr 1
		.amdhsa_user_sgpr_dispatch_id 0
		.amdhsa_user_sgpr_flat_scratch_init 0
		.amdhsa_user_sgpr_kernarg_preload_length 0
		.amdhsa_user_sgpr_kernarg_preload_offset 0
		.amdhsa_user_sgpr_private_segment_size 0
		.amdhsa_uses_dynamic_stack 0
		.amdhsa_system_sgpr_private_segment_wavefront_offset 0
		.amdhsa_system_sgpr_workgroup_id_x 1
		.amdhsa_system_sgpr_workgroup_id_y 0
		.amdhsa_system_sgpr_workgroup_id_z 0
		.amdhsa_system_sgpr_workgroup_info 0
		.amdhsa_system_vgpr_workitem_id 0
		.amdhsa_next_free_vgpr 1
		.amdhsa_next_free_sgpr 0
		.amdhsa_accum_offset 4
		.amdhsa_reserve_vcc 0
		.amdhsa_reserve_flat_scratch 0
		.amdhsa_float_round_mode_32 0
		.amdhsa_float_round_mode_16_64 0
		.amdhsa_float_denorm_mode_32 3
		.amdhsa_float_denorm_mode_16_64 3
		.amdhsa_dx10_clamp 1
		.amdhsa_ieee_mode 1
		.amdhsa_fp16_overflow 0
		.amdhsa_tg_split 0
		.amdhsa_exception_fp_ieee_invalid_op 0
		.amdhsa_exception_fp_denorm_src 0
		.amdhsa_exception_fp_ieee_div_zero 0
		.amdhsa_exception_fp_ieee_overflow 0
		.amdhsa_exception_fp_ieee_underflow 0
		.amdhsa_exception_fp_ieee_inexact 0
		.amdhsa_exception_int_div_zero 0
	.end_amdhsa_kernel
	.section	.text._ZN7rocprim17ROCPRIM_400000_NS6detail17trampoline_kernelINS0_14default_configENS1_35radix_sort_onesweep_config_selectorItNS0_10empty_typeEEEZZNS1_29radix_sort_onesweep_iterationIS3_Lb0EN6thrust23THRUST_200600_302600_NS6detail15normal_iteratorINS9_10device_ptrItEEEESE_PS5_SF_jNS0_19identity_decomposerENS1_16block_id_wrapperIjLb1EEEEE10hipError_tT1_PNSt15iterator_traitsISK_E10value_typeET2_T3_PNSL_ISQ_E10value_typeET4_T5_PSV_SW_PNS1_23onesweep_lookback_stateEbbT6_jjT7_P12ihipStream_tbENKUlT_T0_SK_SP_E_clISE_PtSF_SF_EEDaS13_S14_SK_SP_EUlS13_E_NS1_11comp_targetILNS1_3genE5ELNS1_11target_archE942ELNS1_3gpuE9ELNS1_3repE0EEENS1_47radix_sort_onesweep_sort_config_static_selectorELNS0_4arch9wavefront6targetE1EEEvSK_,"axG",@progbits,_ZN7rocprim17ROCPRIM_400000_NS6detail17trampoline_kernelINS0_14default_configENS1_35radix_sort_onesweep_config_selectorItNS0_10empty_typeEEEZZNS1_29radix_sort_onesweep_iterationIS3_Lb0EN6thrust23THRUST_200600_302600_NS6detail15normal_iteratorINS9_10device_ptrItEEEESE_PS5_SF_jNS0_19identity_decomposerENS1_16block_id_wrapperIjLb1EEEEE10hipError_tT1_PNSt15iterator_traitsISK_E10value_typeET2_T3_PNSL_ISQ_E10value_typeET4_T5_PSV_SW_PNS1_23onesweep_lookback_stateEbbT6_jjT7_P12ihipStream_tbENKUlT_T0_SK_SP_E_clISE_PtSF_SF_EEDaS13_S14_SK_SP_EUlS13_E_NS1_11comp_targetILNS1_3genE5ELNS1_11target_archE942ELNS1_3gpuE9ELNS1_3repE0EEENS1_47radix_sort_onesweep_sort_config_static_selectorELNS0_4arch9wavefront6targetE1EEEvSK_,comdat
.Lfunc_end1349:
	.size	_ZN7rocprim17ROCPRIM_400000_NS6detail17trampoline_kernelINS0_14default_configENS1_35radix_sort_onesweep_config_selectorItNS0_10empty_typeEEEZZNS1_29radix_sort_onesweep_iterationIS3_Lb0EN6thrust23THRUST_200600_302600_NS6detail15normal_iteratorINS9_10device_ptrItEEEESE_PS5_SF_jNS0_19identity_decomposerENS1_16block_id_wrapperIjLb1EEEEE10hipError_tT1_PNSt15iterator_traitsISK_E10value_typeET2_T3_PNSL_ISQ_E10value_typeET4_T5_PSV_SW_PNS1_23onesweep_lookback_stateEbbT6_jjT7_P12ihipStream_tbENKUlT_T0_SK_SP_E_clISE_PtSF_SF_EEDaS13_S14_SK_SP_EUlS13_E_NS1_11comp_targetILNS1_3genE5ELNS1_11target_archE942ELNS1_3gpuE9ELNS1_3repE0EEENS1_47radix_sort_onesweep_sort_config_static_selectorELNS0_4arch9wavefront6targetE1EEEvSK_, .Lfunc_end1349-_ZN7rocprim17ROCPRIM_400000_NS6detail17trampoline_kernelINS0_14default_configENS1_35radix_sort_onesweep_config_selectorItNS0_10empty_typeEEEZZNS1_29radix_sort_onesweep_iterationIS3_Lb0EN6thrust23THRUST_200600_302600_NS6detail15normal_iteratorINS9_10device_ptrItEEEESE_PS5_SF_jNS0_19identity_decomposerENS1_16block_id_wrapperIjLb1EEEEE10hipError_tT1_PNSt15iterator_traitsISK_E10value_typeET2_T3_PNSL_ISQ_E10value_typeET4_T5_PSV_SW_PNS1_23onesweep_lookback_stateEbbT6_jjT7_P12ihipStream_tbENKUlT_T0_SK_SP_E_clISE_PtSF_SF_EEDaS13_S14_SK_SP_EUlS13_E_NS1_11comp_targetILNS1_3genE5ELNS1_11target_archE942ELNS1_3gpuE9ELNS1_3repE0EEENS1_47radix_sort_onesweep_sort_config_static_selectorELNS0_4arch9wavefront6targetE1EEEvSK_
                                        ; -- End function
	.section	.AMDGPU.csdata,"",@progbits
; Kernel info:
; codeLenInByte = 0
; NumSgprs: 4
; NumVgprs: 0
; NumAgprs: 0
; TotalNumVgprs: 0
; ScratchSize: 0
; MemoryBound: 0
; FloatMode: 240
; IeeeMode: 1
; LDSByteSize: 0 bytes/workgroup (compile time only)
; SGPRBlocks: 0
; VGPRBlocks: 0
; NumSGPRsForWavesPerEU: 4
; NumVGPRsForWavesPerEU: 1
; AccumOffset: 4
; Occupancy: 8
; WaveLimiterHint : 0
; COMPUTE_PGM_RSRC2:SCRATCH_EN: 0
; COMPUTE_PGM_RSRC2:USER_SGPR: 6
; COMPUTE_PGM_RSRC2:TRAP_HANDLER: 0
; COMPUTE_PGM_RSRC2:TGID_X_EN: 1
; COMPUTE_PGM_RSRC2:TGID_Y_EN: 0
; COMPUTE_PGM_RSRC2:TGID_Z_EN: 0
; COMPUTE_PGM_RSRC2:TIDIG_COMP_CNT: 0
; COMPUTE_PGM_RSRC3_GFX90A:ACCUM_OFFSET: 0
; COMPUTE_PGM_RSRC3_GFX90A:TG_SPLIT: 0
	.section	.text._ZN7rocprim17ROCPRIM_400000_NS6detail17trampoline_kernelINS0_14default_configENS1_35radix_sort_onesweep_config_selectorItNS0_10empty_typeEEEZZNS1_29radix_sort_onesweep_iterationIS3_Lb0EN6thrust23THRUST_200600_302600_NS6detail15normal_iteratorINS9_10device_ptrItEEEESE_PS5_SF_jNS0_19identity_decomposerENS1_16block_id_wrapperIjLb1EEEEE10hipError_tT1_PNSt15iterator_traitsISK_E10value_typeET2_T3_PNSL_ISQ_E10value_typeET4_T5_PSV_SW_PNS1_23onesweep_lookback_stateEbbT6_jjT7_P12ihipStream_tbENKUlT_T0_SK_SP_E_clISE_PtSF_SF_EEDaS13_S14_SK_SP_EUlS13_E_NS1_11comp_targetILNS1_3genE2ELNS1_11target_archE906ELNS1_3gpuE6ELNS1_3repE0EEENS1_47radix_sort_onesweep_sort_config_static_selectorELNS0_4arch9wavefront6targetE1EEEvSK_,"axG",@progbits,_ZN7rocprim17ROCPRIM_400000_NS6detail17trampoline_kernelINS0_14default_configENS1_35radix_sort_onesweep_config_selectorItNS0_10empty_typeEEEZZNS1_29radix_sort_onesweep_iterationIS3_Lb0EN6thrust23THRUST_200600_302600_NS6detail15normal_iteratorINS9_10device_ptrItEEEESE_PS5_SF_jNS0_19identity_decomposerENS1_16block_id_wrapperIjLb1EEEEE10hipError_tT1_PNSt15iterator_traitsISK_E10value_typeET2_T3_PNSL_ISQ_E10value_typeET4_T5_PSV_SW_PNS1_23onesweep_lookback_stateEbbT6_jjT7_P12ihipStream_tbENKUlT_T0_SK_SP_E_clISE_PtSF_SF_EEDaS13_S14_SK_SP_EUlS13_E_NS1_11comp_targetILNS1_3genE2ELNS1_11target_archE906ELNS1_3gpuE6ELNS1_3repE0EEENS1_47radix_sort_onesweep_sort_config_static_selectorELNS0_4arch9wavefront6targetE1EEEvSK_,comdat
	.protected	_ZN7rocprim17ROCPRIM_400000_NS6detail17trampoline_kernelINS0_14default_configENS1_35radix_sort_onesweep_config_selectorItNS0_10empty_typeEEEZZNS1_29radix_sort_onesweep_iterationIS3_Lb0EN6thrust23THRUST_200600_302600_NS6detail15normal_iteratorINS9_10device_ptrItEEEESE_PS5_SF_jNS0_19identity_decomposerENS1_16block_id_wrapperIjLb1EEEEE10hipError_tT1_PNSt15iterator_traitsISK_E10value_typeET2_T3_PNSL_ISQ_E10value_typeET4_T5_PSV_SW_PNS1_23onesweep_lookback_stateEbbT6_jjT7_P12ihipStream_tbENKUlT_T0_SK_SP_E_clISE_PtSF_SF_EEDaS13_S14_SK_SP_EUlS13_E_NS1_11comp_targetILNS1_3genE2ELNS1_11target_archE906ELNS1_3gpuE6ELNS1_3repE0EEENS1_47radix_sort_onesweep_sort_config_static_selectorELNS0_4arch9wavefront6targetE1EEEvSK_ ; -- Begin function _ZN7rocprim17ROCPRIM_400000_NS6detail17trampoline_kernelINS0_14default_configENS1_35radix_sort_onesweep_config_selectorItNS0_10empty_typeEEEZZNS1_29radix_sort_onesweep_iterationIS3_Lb0EN6thrust23THRUST_200600_302600_NS6detail15normal_iteratorINS9_10device_ptrItEEEESE_PS5_SF_jNS0_19identity_decomposerENS1_16block_id_wrapperIjLb1EEEEE10hipError_tT1_PNSt15iterator_traitsISK_E10value_typeET2_T3_PNSL_ISQ_E10value_typeET4_T5_PSV_SW_PNS1_23onesweep_lookback_stateEbbT6_jjT7_P12ihipStream_tbENKUlT_T0_SK_SP_E_clISE_PtSF_SF_EEDaS13_S14_SK_SP_EUlS13_E_NS1_11comp_targetILNS1_3genE2ELNS1_11target_archE906ELNS1_3gpuE6ELNS1_3repE0EEENS1_47radix_sort_onesweep_sort_config_static_selectorELNS0_4arch9wavefront6targetE1EEEvSK_
	.globl	_ZN7rocprim17ROCPRIM_400000_NS6detail17trampoline_kernelINS0_14default_configENS1_35radix_sort_onesweep_config_selectorItNS0_10empty_typeEEEZZNS1_29radix_sort_onesweep_iterationIS3_Lb0EN6thrust23THRUST_200600_302600_NS6detail15normal_iteratorINS9_10device_ptrItEEEESE_PS5_SF_jNS0_19identity_decomposerENS1_16block_id_wrapperIjLb1EEEEE10hipError_tT1_PNSt15iterator_traitsISK_E10value_typeET2_T3_PNSL_ISQ_E10value_typeET4_T5_PSV_SW_PNS1_23onesweep_lookback_stateEbbT6_jjT7_P12ihipStream_tbENKUlT_T0_SK_SP_E_clISE_PtSF_SF_EEDaS13_S14_SK_SP_EUlS13_E_NS1_11comp_targetILNS1_3genE2ELNS1_11target_archE906ELNS1_3gpuE6ELNS1_3repE0EEENS1_47radix_sort_onesweep_sort_config_static_selectorELNS0_4arch9wavefront6targetE1EEEvSK_
	.p2align	8
	.type	_ZN7rocprim17ROCPRIM_400000_NS6detail17trampoline_kernelINS0_14default_configENS1_35radix_sort_onesweep_config_selectorItNS0_10empty_typeEEEZZNS1_29radix_sort_onesweep_iterationIS3_Lb0EN6thrust23THRUST_200600_302600_NS6detail15normal_iteratorINS9_10device_ptrItEEEESE_PS5_SF_jNS0_19identity_decomposerENS1_16block_id_wrapperIjLb1EEEEE10hipError_tT1_PNSt15iterator_traitsISK_E10value_typeET2_T3_PNSL_ISQ_E10value_typeET4_T5_PSV_SW_PNS1_23onesweep_lookback_stateEbbT6_jjT7_P12ihipStream_tbENKUlT_T0_SK_SP_E_clISE_PtSF_SF_EEDaS13_S14_SK_SP_EUlS13_E_NS1_11comp_targetILNS1_3genE2ELNS1_11target_archE906ELNS1_3gpuE6ELNS1_3repE0EEENS1_47radix_sort_onesweep_sort_config_static_selectorELNS0_4arch9wavefront6targetE1EEEvSK_,@function
_ZN7rocprim17ROCPRIM_400000_NS6detail17trampoline_kernelINS0_14default_configENS1_35radix_sort_onesweep_config_selectorItNS0_10empty_typeEEEZZNS1_29radix_sort_onesweep_iterationIS3_Lb0EN6thrust23THRUST_200600_302600_NS6detail15normal_iteratorINS9_10device_ptrItEEEESE_PS5_SF_jNS0_19identity_decomposerENS1_16block_id_wrapperIjLb1EEEEE10hipError_tT1_PNSt15iterator_traitsISK_E10value_typeET2_T3_PNSL_ISQ_E10value_typeET4_T5_PSV_SW_PNS1_23onesweep_lookback_stateEbbT6_jjT7_P12ihipStream_tbENKUlT_T0_SK_SP_E_clISE_PtSF_SF_EEDaS13_S14_SK_SP_EUlS13_E_NS1_11comp_targetILNS1_3genE2ELNS1_11target_archE906ELNS1_3gpuE6ELNS1_3repE0EEENS1_47radix_sort_onesweep_sort_config_static_selectorELNS0_4arch9wavefront6targetE1EEEvSK_: ; @_ZN7rocprim17ROCPRIM_400000_NS6detail17trampoline_kernelINS0_14default_configENS1_35radix_sort_onesweep_config_selectorItNS0_10empty_typeEEEZZNS1_29radix_sort_onesweep_iterationIS3_Lb0EN6thrust23THRUST_200600_302600_NS6detail15normal_iteratorINS9_10device_ptrItEEEESE_PS5_SF_jNS0_19identity_decomposerENS1_16block_id_wrapperIjLb1EEEEE10hipError_tT1_PNSt15iterator_traitsISK_E10value_typeET2_T3_PNSL_ISQ_E10value_typeET4_T5_PSV_SW_PNS1_23onesweep_lookback_stateEbbT6_jjT7_P12ihipStream_tbENKUlT_T0_SK_SP_E_clISE_PtSF_SF_EEDaS13_S14_SK_SP_EUlS13_E_NS1_11comp_targetILNS1_3genE2ELNS1_11target_archE906ELNS1_3gpuE6ELNS1_3repE0EEENS1_47radix_sort_onesweep_sort_config_static_selectorELNS0_4arch9wavefront6targetE1EEEvSK_
; %bb.0:
	.section	.rodata,"a",@progbits
	.p2align	6, 0x0
	.amdhsa_kernel _ZN7rocprim17ROCPRIM_400000_NS6detail17trampoline_kernelINS0_14default_configENS1_35radix_sort_onesweep_config_selectorItNS0_10empty_typeEEEZZNS1_29radix_sort_onesweep_iterationIS3_Lb0EN6thrust23THRUST_200600_302600_NS6detail15normal_iteratorINS9_10device_ptrItEEEESE_PS5_SF_jNS0_19identity_decomposerENS1_16block_id_wrapperIjLb1EEEEE10hipError_tT1_PNSt15iterator_traitsISK_E10value_typeET2_T3_PNSL_ISQ_E10value_typeET4_T5_PSV_SW_PNS1_23onesweep_lookback_stateEbbT6_jjT7_P12ihipStream_tbENKUlT_T0_SK_SP_E_clISE_PtSF_SF_EEDaS13_S14_SK_SP_EUlS13_E_NS1_11comp_targetILNS1_3genE2ELNS1_11target_archE906ELNS1_3gpuE6ELNS1_3repE0EEENS1_47radix_sort_onesweep_sort_config_static_selectorELNS0_4arch9wavefront6targetE1EEEvSK_
		.amdhsa_group_segment_fixed_size 0
		.amdhsa_private_segment_fixed_size 0
		.amdhsa_kernarg_size 88
		.amdhsa_user_sgpr_count 6
		.amdhsa_user_sgpr_private_segment_buffer 1
		.amdhsa_user_sgpr_dispatch_ptr 0
		.amdhsa_user_sgpr_queue_ptr 0
		.amdhsa_user_sgpr_kernarg_segment_ptr 1
		.amdhsa_user_sgpr_dispatch_id 0
		.amdhsa_user_sgpr_flat_scratch_init 0
		.amdhsa_user_sgpr_kernarg_preload_length 0
		.amdhsa_user_sgpr_kernarg_preload_offset 0
		.amdhsa_user_sgpr_private_segment_size 0
		.amdhsa_uses_dynamic_stack 0
		.amdhsa_system_sgpr_private_segment_wavefront_offset 0
		.amdhsa_system_sgpr_workgroup_id_x 1
		.amdhsa_system_sgpr_workgroup_id_y 0
		.amdhsa_system_sgpr_workgroup_id_z 0
		.amdhsa_system_sgpr_workgroup_info 0
		.amdhsa_system_vgpr_workitem_id 0
		.amdhsa_next_free_vgpr 1
		.amdhsa_next_free_sgpr 0
		.amdhsa_accum_offset 4
		.amdhsa_reserve_vcc 0
		.amdhsa_reserve_flat_scratch 0
		.amdhsa_float_round_mode_32 0
		.amdhsa_float_round_mode_16_64 0
		.amdhsa_float_denorm_mode_32 3
		.amdhsa_float_denorm_mode_16_64 3
		.amdhsa_dx10_clamp 1
		.amdhsa_ieee_mode 1
		.amdhsa_fp16_overflow 0
		.amdhsa_tg_split 0
		.amdhsa_exception_fp_ieee_invalid_op 0
		.amdhsa_exception_fp_denorm_src 0
		.amdhsa_exception_fp_ieee_div_zero 0
		.amdhsa_exception_fp_ieee_overflow 0
		.amdhsa_exception_fp_ieee_underflow 0
		.amdhsa_exception_fp_ieee_inexact 0
		.amdhsa_exception_int_div_zero 0
	.end_amdhsa_kernel
	.section	.text._ZN7rocprim17ROCPRIM_400000_NS6detail17trampoline_kernelINS0_14default_configENS1_35radix_sort_onesweep_config_selectorItNS0_10empty_typeEEEZZNS1_29radix_sort_onesweep_iterationIS3_Lb0EN6thrust23THRUST_200600_302600_NS6detail15normal_iteratorINS9_10device_ptrItEEEESE_PS5_SF_jNS0_19identity_decomposerENS1_16block_id_wrapperIjLb1EEEEE10hipError_tT1_PNSt15iterator_traitsISK_E10value_typeET2_T3_PNSL_ISQ_E10value_typeET4_T5_PSV_SW_PNS1_23onesweep_lookback_stateEbbT6_jjT7_P12ihipStream_tbENKUlT_T0_SK_SP_E_clISE_PtSF_SF_EEDaS13_S14_SK_SP_EUlS13_E_NS1_11comp_targetILNS1_3genE2ELNS1_11target_archE906ELNS1_3gpuE6ELNS1_3repE0EEENS1_47radix_sort_onesweep_sort_config_static_selectorELNS0_4arch9wavefront6targetE1EEEvSK_,"axG",@progbits,_ZN7rocprim17ROCPRIM_400000_NS6detail17trampoline_kernelINS0_14default_configENS1_35radix_sort_onesweep_config_selectorItNS0_10empty_typeEEEZZNS1_29radix_sort_onesweep_iterationIS3_Lb0EN6thrust23THRUST_200600_302600_NS6detail15normal_iteratorINS9_10device_ptrItEEEESE_PS5_SF_jNS0_19identity_decomposerENS1_16block_id_wrapperIjLb1EEEEE10hipError_tT1_PNSt15iterator_traitsISK_E10value_typeET2_T3_PNSL_ISQ_E10value_typeET4_T5_PSV_SW_PNS1_23onesweep_lookback_stateEbbT6_jjT7_P12ihipStream_tbENKUlT_T0_SK_SP_E_clISE_PtSF_SF_EEDaS13_S14_SK_SP_EUlS13_E_NS1_11comp_targetILNS1_3genE2ELNS1_11target_archE906ELNS1_3gpuE6ELNS1_3repE0EEENS1_47radix_sort_onesweep_sort_config_static_selectorELNS0_4arch9wavefront6targetE1EEEvSK_,comdat
.Lfunc_end1350:
	.size	_ZN7rocprim17ROCPRIM_400000_NS6detail17trampoline_kernelINS0_14default_configENS1_35radix_sort_onesweep_config_selectorItNS0_10empty_typeEEEZZNS1_29radix_sort_onesweep_iterationIS3_Lb0EN6thrust23THRUST_200600_302600_NS6detail15normal_iteratorINS9_10device_ptrItEEEESE_PS5_SF_jNS0_19identity_decomposerENS1_16block_id_wrapperIjLb1EEEEE10hipError_tT1_PNSt15iterator_traitsISK_E10value_typeET2_T3_PNSL_ISQ_E10value_typeET4_T5_PSV_SW_PNS1_23onesweep_lookback_stateEbbT6_jjT7_P12ihipStream_tbENKUlT_T0_SK_SP_E_clISE_PtSF_SF_EEDaS13_S14_SK_SP_EUlS13_E_NS1_11comp_targetILNS1_3genE2ELNS1_11target_archE906ELNS1_3gpuE6ELNS1_3repE0EEENS1_47radix_sort_onesweep_sort_config_static_selectorELNS0_4arch9wavefront6targetE1EEEvSK_, .Lfunc_end1350-_ZN7rocprim17ROCPRIM_400000_NS6detail17trampoline_kernelINS0_14default_configENS1_35radix_sort_onesweep_config_selectorItNS0_10empty_typeEEEZZNS1_29radix_sort_onesweep_iterationIS3_Lb0EN6thrust23THRUST_200600_302600_NS6detail15normal_iteratorINS9_10device_ptrItEEEESE_PS5_SF_jNS0_19identity_decomposerENS1_16block_id_wrapperIjLb1EEEEE10hipError_tT1_PNSt15iterator_traitsISK_E10value_typeET2_T3_PNSL_ISQ_E10value_typeET4_T5_PSV_SW_PNS1_23onesweep_lookback_stateEbbT6_jjT7_P12ihipStream_tbENKUlT_T0_SK_SP_E_clISE_PtSF_SF_EEDaS13_S14_SK_SP_EUlS13_E_NS1_11comp_targetILNS1_3genE2ELNS1_11target_archE906ELNS1_3gpuE6ELNS1_3repE0EEENS1_47radix_sort_onesweep_sort_config_static_selectorELNS0_4arch9wavefront6targetE1EEEvSK_
                                        ; -- End function
	.section	.AMDGPU.csdata,"",@progbits
; Kernel info:
; codeLenInByte = 0
; NumSgprs: 4
; NumVgprs: 0
; NumAgprs: 0
; TotalNumVgprs: 0
; ScratchSize: 0
; MemoryBound: 0
; FloatMode: 240
; IeeeMode: 1
; LDSByteSize: 0 bytes/workgroup (compile time only)
; SGPRBlocks: 0
; VGPRBlocks: 0
; NumSGPRsForWavesPerEU: 4
; NumVGPRsForWavesPerEU: 1
; AccumOffset: 4
; Occupancy: 8
; WaveLimiterHint : 0
; COMPUTE_PGM_RSRC2:SCRATCH_EN: 0
; COMPUTE_PGM_RSRC2:USER_SGPR: 6
; COMPUTE_PGM_RSRC2:TRAP_HANDLER: 0
; COMPUTE_PGM_RSRC2:TGID_X_EN: 1
; COMPUTE_PGM_RSRC2:TGID_Y_EN: 0
; COMPUTE_PGM_RSRC2:TGID_Z_EN: 0
; COMPUTE_PGM_RSRC2:TIDIG_COMP_CNT: 0
; COMPUTE_PGM_RSRC3_GFX90A:ACCUM_OFFSET: 0
; COMPUTE_PGM_RSRC3_GFX90A:TG_SPLIT: 0
	.section	.text._ZN7rocprim17ROCPRIM_400000_NS6detail17trampoline_kernelINS0_14default_configENS1_35radix_sort_onesweep_config_selectorItNS0_10empty_typeEEEZZNS1_29radix_sort_onesweep_iterationIS3_Lb0EN6thrust23THRUST_200600_302600_NS6detail15normal_iteratorINS9_10device_ptrItEEEESE_PS5_SF_jNS0_19identity_decomposerENS1_16block_id_wrapperIjLb1EEEEE10hipError_tT1_PNSt15iterator_traitsISK_E10value_typeET2_T3_PNSL_ISQ_E10value_typeET4_T5_PSV_SW_PNS1_23onesweep_lookback_stateEbbT6_jjT7_P12ihipStream_tbENKUlT_T0_SK_SP_E_clISE_PtSF_SF_EEDaS13_S14_SK_SP_EUlS13_E_NS1_11comp_targetILNS1_3genE4ELNS1_11target_archE910ELNS1_3gpuE8ELNS1_3repE0EEENS1_47radix_sort_onesweep_sort_config_static_selectorELNS0_4arch9wavefront6targetE1EEEvSK_,"axG",@progbits,_ZN7rocprim17ROCPRIM_400000_NS6detail17trampoline_kernelINS0_14default_configENS1_35radix_sort_onesweep_config_selectorItNS0_10empty_typeEEEZZNS1_29radix_sort_onesweep_iterationIS3_Lb0EN6thrust23THRUST_200600_302600_NS6detail15normal_iteratorINS9_10device_ptrItEEEESE_PS5_SF_jNS0_19identity_decomposerENS1_16block_id_wrapperIjLb1EEEEE10hipError_tT1_PNSt15iterator_traitsISK_E10value_typeET2_T3_PNSL_ISQ_E10value_typeET4_T5_PSV_SW_PNS1_23onesweep_lookback_stateEbbT6_jjT7_P12ihipStream_tbENKUlT_T0_SK_SP_E_clISE_PtSF_SF_EEDaS13_S14_SK_SP_EUlS13_E_NS1_11comp_targetILNS1_3genE4ELNS1_11target_archE910ELNS1_3gpuE8ELNS1_3repE0EEENS1_47radix_sort_onesweep_sort_config_static_selectorELNS0_4arch9wavefront6targetE1EEEvSK_,comdat
	.protected	_ZN7rocprim17ROCPRIM_400000_NS6detail17trampoline_kernelINS0_14default_configENS1_35radix_sort_onesweep_config_selectorItNS0_10empty_typeEEEZZNS1_29radix_sort_onesweep_iterationIS3_Lb0EN6thrust23THRUST_200600_302600_NS6detail15normal_iteratorINS9_10device_ptrItEEEESE_PS5_SF_jNS0_19identity_decomposerENS1_16block_id_wrapperIjLb1EEEEE10hipError_tT1_PNSt15iterator_traitsISK_E10value_typeET2_T3_PNSL_ISQ_E10value_typeET4_T5_PSV_SW_PNS1_23onesweep_lookback_stateEbbT6_jjT7_P12ihipStream_tbENKUlT_T0_SK_SP_E_clISE_PtSF_SF_EEDaS13_S14_SK_SP_EUlS13_E_NS1_11comp_targetILNS1_3genE4ELNS1_11target_archE910ELNS1_3gpuE8ELNS1_3repE0EEENS1_47radix_sort_onesweep_sort_config_static_selectorELNS0_4arch9wavefront6targetE1EEEvSK_ ; -- Begin function _ZN7rocprim17ROCPRIM_400000_NS6detail17trampoline_kernelINS0_14default_configENS1_35radix_sort_onesweep_config_selectorItNS0_10empty_typeEEEZZNS1_29radix_sort_onesweep_iterationIS3_Lb0EN6thrust23THRUST_200600_302600_NS6detail15normal_iteratorINS9_10device_ptrItEEEESE_PS5_SF_jNS0_19identity_decomposerENS1_16block_id_wrapperIjLb1EEEEE10hipError_tT1_PNSt15iterator_traitsISK_E10value_typeET2_T3_PNSL_ISQ_E10value_typeET4_T5_PSV_SW_PNS1_23onesweep_lookback_stateEbbT6_jjT7_P12ihipStream_tbENKUlT_T0_SK_SP_E_clISE_PtSF_SF_EEDaS13_S14_SK_SP_EUlS13_E_NS1_11comp_targetILNS1_3genE4ELNS1_11target_archE910ELNS1_3gpuE8ELNS1_3repE0EEENS1_47radix_sort_onesweep_sort_config_static_selectorELNS0_4arch9wavefront6targetE1EEEvSK_
	.globl	_ZN7rocprim17ROCPRIM_400000_NS6detail17trampoline_kernelINS0_14default_configENS1_35radix_sort_onesweep_config_selectorItNS0_10empty_typeEEEZZNS1_29radix_sort_onesweep_iterationIS3_Lb0EN6thrust23THRUST_200600_302600_NS6detail15normal_iteratorINS9_10device_ptrItEEEESE_PS5_SF_jNS0_19identity_decomposerENS1_16block_id_wrapperIjLb1EEEEE10hipError_tT1_PNSt15iterator_traitsISK_E10value_typeET2_T3_PNSL_ISQ_E10value_typeET4_T5_PSV_SW_PNS1_23onesweep_lookback_stateEbbT6_jjT7_P12ihipStream_tbENKUlT_T0_SK_SP_E_clISE_PtSF_SF_EEDaS13_S14_SK_SP_EUlS13_E_NS1_11comp_targetILNS1_3genE4ELNS1_11target_archE910ELNS1_3gpuE8ELNS1_3repE0EEENS1_47radix_sort_onesweep_sort_config_static_selectorELNS0_4arch9wavefront6targetE1EEEvSK_
	.p2align	8
	.type	_ZN7rocprim17ROCPRIM_400000_NS6detail17trampoline_kernelINS0_14default_configENS1_35radix_sort_onesweep_config_selectorItNS0_10empty_typeEEEZZNS1_29radix_sort_onesweep_iterationIS3_Lb0EN6thrust23THRUST_200600_302600_NS6detail15normal_iteratorINS9_10device_ptrItEEEESE_PS5_SF_jNS0_19identity_decomposerENS1_16block_id_wrapperIjLb1EEEEE10hipError_tT1_PNSt15iterator_traitsISK_E10value_typeET2_T3_PNSL_ISQ_E10value_typeET4_T5_PSV_SW_PNS1_23onesweep_lookback_stateEbbT6_jjT7_P12ihipStream_tbENKUlT_T0_SK_SP_E_clISE_PtSF_SF_EEDaS13_S14_SK_SP_EUlS13_E_NS1_11comp_targetILNS1_3genE4ELNS1_11target_archE910ELNS1_3gpuE8ELNS1_3repE0EEENS1_47radix_sort_onesweep_sort_config_static_selectorELNS0_4arch9wavefront6targetE1EEEvSK_,@function
_ZN7rocprim17ROCPRIM_400000_NS6detail17trampoline_kernelINS0_14default_configENS1_35radix_sort_onesweep_config_selectorItNS0_10empty_typeEEEZZNS1_29radix_sort_onesweep_iterationIS3_Lb0EN6thrust23THRUST_200600_302600_NS6detail15normal_iteratorINS9_10device_ptrItEEEESE_PS5_SF_jNS0_19identity_decomposerENS1_16block_id_wrapperIjLb1EEEEE10hipError_tT1_PNSt15iterator_traitsISK_E10value_typeET2_T3_PNSL_ISQ_E10value_typeET4_T5_PSV_SW_PNS1_23onesweep_lookback_stateEbbT6_jjT7_P12ihipStream_tbENKUlT_T0_SK_SP_E_clISE_PtSF_SF_EEDaS13_S14_SK_SP_EUlS13_E_NS1_11comp_targetILNS1_3genE4ELNS1_11target_archE910ELNS1_3gpuE8ELNS1_3repE0EEENS1_47radix_sort_onesweep_sort_config_static_selectorELNS0_4arch9wavefront6targetE1EEEvSK_: ; @_ZN7rocprim17ROCPRIM_400000_NS6detail17trampoline_kernelINS0_14default_configENS1_35radix_sort_onesweep_config_selectorItNS0_10empty_typeEEEZZNS1_29radix_sort_onesweep_iterationIS3_Lb0EN6thrust23THRUST_200600_302600_NS6detail15normal_iteratorINS9_10device_ptrItEEEESE_PS5_SF_jNS0_19identity_decomposerENS1_16block_id_wrapperIjLb1EEEEE10hipError_tT1_PNSt15iterator_traitsISK_E10value_typeET2_T3_PNSL_ISQ_E10value_typeET4_T5_PSV_SW_PNS1_23onesweep_lookback_stateEbbT6_jjT7_P12ihipStream_tbENKUlT_T0_SK_SP_E_clISE_PtSF_SF_EEDaS13_S14_SK_SP_EUlS13_E_NS1_11comp_targetILNS1_3genE4ELNS1_11target_archE910ELNS1_3gpuE8ELNS1_3repE0EEENS1_47radix_sort_onesweep_sort_config_static_selectorELNS0_4arch9wavefront6targetE1EEEvSK_
; %bb.0:
	s_load_dwordx4 s[16:19], s[4:5], 0x28
	s_load_dwordx2 s[14:15], s[4:5], 0x38
	s_load_dwordx4 s[20:23], s[4:5], 0x44
	v_and_b32_e32 v2, 0x3ff, v0
	v_cmp_eq_u32_e64 s[0:1], 0, v2
	s_and_saveexec_b64 s[2:3], s[0:1]
	s_cbranch_execz .LBB1351_4
; %bb.1:
	s_mov_b64 s[10:11], exec
	v_mbcnt_lo_u32_b32 v1, s10, 0
	v_mbcnt_hi_u32_b32 v1, s11, v1
	v_cmp_eq_u32_e32 vcc, 0, v1
                                        ; implicit-def: $vgpr3
	s_and_saveexec_b64 s[8:9], vcc
	s_cbranch_execz .LBB1351_3
; %bb.2:
	s_load_dwordx2 s[12:13], s[4:5], 0x50
	s_bcnt1_i32_b64 s7, s[10:11]
	v_mov_b32_e32 v3, 0
	v_mov_b32_e32 v4, s7
	s_waitcnt lgkmcnt(0)
	global_atomic_add v3, v3, v4, s[12:13] glc
.LBB1351_3:
	s_or_b64 exec, exec, s[8:9]
	s_waitcnt vmcnt(0)
	v_readfirstlane_b32 s7, v3
	v_add_u32_e32 v1, s7, v1
	v_mov_b32_e32 v3, 0
	ds_write_b32 v3, v1 offset:25600
.LBB1351_4:
	s_or_b64 exec, exec, s[2:3]
	v_mov_b32_e32 v1, 0
	s_load_dwordx4 s[24:27], s[4:5], 0x0
	s_load_dword s2, s[4:5], 0x20
	s_waitcnt lgkmcnt(0)
	s_barrier
	ds_read_b32 v1, v1 offset:25600
	s_waitcnt lgkmcnt(0)
	s_barrier
	v_readfirstlane_b32 s30, v1
	v_cmp_le_u32_e32 vcc, s22, v1
	s_mul_i32 s28, s30, 0x3000
	v_mbcnt_lo_u32_b32 v1, -1, 0
	s_cbranch_vccz .LBB1351_100
; %bb.5:
	s_mul_i32 s7, s22, 0xffffd000
	s_mov_b32 s29, 0
	s_add_i32 s7, s7, s2
	s_lshl_b64 s[2:3], s[28:29], 1
	v_mbcnt_hi_u32_b32 v13, -1, v1
	s_add_u32 s2, s24, s2
	v_and_b32_e32 v3, 63, v13
	v_and_b32_e32 v4, 0x3c0, v2
	s_addc_u32 s3, s25, s3
	v_mul_u32_u24_e32 v6, 12, v4
	v_lshlrev_b32_e32 v4, 1, v3
	v_mov_b32_e32 v5, s3
	v_add_co_u32_e32 v4, vcc, s2, v4
	v_addc_co_u32_e32 v5, vcc, 0, v5, vcc
	v_lshlrev_b32_e32 v7, 1, v6
	v_add_co_u32_e32 v4, vcc, v4, v7
	v_addc_co_u32_e32 v5, vcc, 0, v5, vcc
	v_or_b32_e32 v6, v3, v6
	v_cmp_gt_u32_e32 vcc, s7, v6
	v_mov_b32_e32 v3, -1
	v_mov_b32_e32 v8, -1
	s_and_saveexec_b64 s[2:3], vcc
	s_cbranch_execz .LBB1351_7
; %bb.6:
	global_load_ushort v8, v[4:5], off
.LBB1351_7:
	s_or_b64 exec, exec, s[2:3]
	v_or_b32_e32 v7, 64, v6
	v_cmp_gt_u32_e32 vcc, s7, v7
	s_and_saveexec_b64 s[2:3], vcc
	s_cbranch_execz .LBB1351_9
; %bb.8:
	global_load_ushort v3, v[4:5], off offset:128
.LBB1351_9:
	s_or_b64 exec, exec, s[2:3]
	v_or_b32_e32 v7, 0x80, v6
	v_cmp_gt_u32_e32 vcc, s7, v7
	v_mov_b32_e32 v9, -1
	v_mov_b32_e32 v10, -1
	s_and_saveexec_b64 s[2:3], vcc
	s_cbranch_execz .LBB1351_11
; %bb.10:
	global_load_ushort v10, v[4:5], off offset:256
.LBB1351_11:
	s_or_b64 exec, exec, s[2:3]
	v_or_b32_e32 v7, 0xc0, v6
	v_cmp_gt_u32_e32 vcc, s7, v7
	s_and_saveexec_b64 s[2:3], vcc
	s_cbranch_execz .LBB1351_13
; %bb.12:
	global_load_ushort v9, v[4:5], off offset:384
.LBB1351_13:
	s_or_b64 exec, exec, s[2:3]
	v_add_u32_e32 v7, 0x100, v6
	v_cmp_gt_u32_e32 vcc, s7, v7
	v_mov_b32_e32 v11, -1
	v_mov_b32_e32 v12, -1
	s_and_saveexec_b64 s[2:3], vcc
	s_cbranch_execz .LBB1351_15
; %bb.14:
	global_load_ushort v12, v[4:5], off offset:512
.LBB1351_15:
	s_or_b64 exec, exec, s[2:3]
	v_add_u32_e32 v7, 0x140, v6
	v_cmp_gt_u32_e32 vcc, s7, v7
	s_and_saveexec_b64 s[2:3], vcc
	s_cbranch_execz .LBB1351_17
; %bb.16:
	global_load_ushort v11, v[4:5], off offset:640
.LBB1351_17:
	s_or_b64 exec, exec, s[2:3]
	v_add_u32_e32 v7, 0x180, v6
	v_cmp_gt_u32_e32 vcc, s7, v7
	v_mov_b32_e32 v14, -1
	v_mov_b32_e32 v15, -1
	s_and_saveexec_b64 s[2:3], vcc
	s_cbranch_execz .LBB1351_19
; %bb.18:
	global_load_ushort v15, v[4:5], off offset:768
.LBB1351_19:
	s_or_b64 exec, exec, s[2:3]
	v_add_u32_e32 v7, 0x1c0, v6
	;; [unrolled: 18-line block ×4, first 2 shown]
	v_cmp_gt_u32_e32 vcc, s7, v6
	s_and_saveexec_b64 s[2:3], vcc
	s_cbranch_execz .LBB1351_29
; %bb.28:
	global_load_ushort v18, v[4:5], off offset:1408
.LBB1351_29:
	s_or_b64 exec, exec, s[2:3]
	s_load_dword s2, s[4:5], 0x64
	s_load_dword s29, s[4:5], 0x58
	s_add_u32 s3, s4, 0x58
	s_addc_u32 s8, s5, 0
	v_mov_b32_e32 v4, 0
	s_waitcnt lgkmcnt(0)
	s_lshr_b32 s9, s2, 16
	s_cmp_lt_u32 s6, s29
	s_cselect_b32 s2, 12, 18
	s_add_u32 s2, s3, s2
	s_addc_u32 s3, s8, 0
	global_load_ushort v6, v4, s[2:3]
	s_lshl_b32 s2, -1, s21
	s_waitcnt vmcnt(1)
	v_lshrrev_b32_sdwa v21, s20, v8 dst_sel:DWORD dst_unused:UNUSED_PAD src0_sel:DWORD src1_sel:WORD_0
	s_not_b32 s31, s2
	v_and_b32_e32 v21, s31, v21
	v_and_b32_e32 v23, 1, v21
	v_bfe_u32 v5, v0, 10, 10
	v_bfe_u32 v7, v0, 20, 10
	v_add_co_u32_e32 v24, vcc, -1, v23
	v_mad_u32_u24 v7, v7, s9, v5
	v_lshlrev_b32_e32 v5, 30, v21
	v_addc_co_u32_e64 v25, s[2:3], 0, -1, vcc
	v_cmp_ne_u32_e32 vcc, 0, v23
	v_cmp_gt_i64_e64 s[2:3], 0, v[4:5]
	v_not_b32_e32 v23, v5
	v_lshlrev_b32_e32 v5, 29, v21
	v_xor_b32_e32 v25, vcc_hi, v25
	v_xor_b32_e32 v24, vcc_lo, v24
	v_ashrrev_i32_e32 v23, 31, v23
	v_cmp_gt_i64_e32 vcc, 0, v[4:5]
	v_not_b32_e32 v26, v5
	v_lshlrev_b32_e32 v5, 28, v21
	v_and_b32_e32 v25, exec_hi, v25
	v_and_b32_e32 v24, exec_lo, v24
	v_xor_b32_e32 v27, s3, v23
	v_xor_b32_e32 v23, s2, v23
	v_ashrrev_i32_e32 v26, 31, v26
	v_cmp_gt_i64_e64 s[2:3], 0, v[4:5]
	v_not_b32_e32 v28, v5
	v_lshlrev_b32_e32 v5, 27, v21
	v_and_b32_e32 v25, v25, v27
	v_and_b32_e32 v23, v24, v23
	v_xor_b32_e32 v24, vcc_hi, v26
	v_xor_b32_e32 v26, vcc_lo, v26
	v_ashrrev_i32_e32 v27, 31, v28
	v_cmp_gt_i64_e32 vcc, 0, v[4:5]
	v_not_b32_e32 v28, v5
	v_lshlrev_b32_e32 v5, 26, v21
	v_and_b32_e32 v24, v25, v24
	v_and_b32_e32 v23, v23, v26
	v_xor_b32_e32 v25, s3, v27
	v_xor_b32_e32 v26, s2, v27
	v_ashrrev_i32_e32 v27, 31, v28
	v_cmp_gt_i64_e64 s[2:3], 0, v[4:5]
	v_not_b32_e32 v28, v5
	v_lshlrev_b32_e32 v5, 25, v21
	v_and_b32_e32 v24, v24, v25
	v_and_b32_e32 v23, v23, v26
	v_xor_b32_e32 v25, vcc_hi, v27
	v_xor_b32_e32 v26, vcc_lo, v27
	v_ashrrev_i32_e32 v27, 31, v28
	v_cmp_gt_i64_e32 vcc, 0, v[4:5]
	v_not_b32_e32 v28, v5
	v_lshlrev_b32_e32 v5, 24, v21
	v_mul_u32_u24_e32 v22, 17, v21
	v_and_b32_e32 v21, v24, v25
	v_and_b32_e32 v23, v23, v26
	v_xor_b32_e32 v24, s3, v27
	v_xor_b32_e32 v25, s2, v27
	v_ashrrev_i32_e32 v26, 31, v28
	v_cmp_gt_i64_e64 s[2:3], 0, v[4:5]
	v_not_b32_e32 v5, v5
	v_and_b32_e32 v21, v21, v24
	v_and_b32_e32 v23, v23, v25
	v_xor_b32_e32 v24, vcc_hi, v26
	v_xor_b32_e32 v25, vcc_lo, v26
	v_ashrrev_i32_e32 v5, 31, v5
	v_and_b32_e32 v21, v21, v24
	v_and_b32_e32 v24, v23, v25
	v_mul_u32_u24_e32 v20, 5, v2
	v_lshlrev_b32_e32 v20, 2, v20
	ds_write2_b32 v20, v4, v4 offset0:16 offset1:17
	ds_write2_b32 v20, v4, v4 offset0:18 offset1:19
	ds_write_b32 v20, v4 offset:80
	s_waitcnt lgkmcnt(0)
	s_barrier
	s_waitcnt lgkmcnt(0)
	; wave barrier
	s_waitcnt vmcnt(0)
	v_mad_u64_u32 v[6:7], s[8:9], v7, v6, v[2:3]
	v_lshrrev_b32_e32 v30, 6, v6
	v_xor_b32_e32 v6, s3, v5
	v_xor_b32_e32 v5, s2, v5
	v_and_b32_e32 v7, v21, v6
	v_and_b32_e32 v6, v24, v5
	v_mbcnt_lo_u32_b32 v5, v6, 0
	v_mbcnt_hi_u32_b32 v21, v7, v5
	v_cmp_eq_u32_e32 vcc, 0, v21
	v_cmp_ne_u64_e64 s[2:3], 0, v[6:7]
	v_add_lshl_u32 v23, v30, v22, 2
	s_and_b64 s[8:9], s[2:3], vcc
	s_and_saveexec_b64 s[2:3], s[8:9]
	s_cbranch_execz .LBB1351_31
; %bb.30:
	v_bcnt_u32_b32 v5, v6, 0
	v_bcnt_u32_b32 v5, v7, v5
	ds_write_b32 v23, v5 offset:64
.LBB1351_31:
	s_or_b64 exec, exec, s[2:3]
	v_lshrrev_b32_sdwa v5, s20, v3 dst_sel:DWORD dst_unused:UNUSED_PAD src0_sel:DWORD src1_sel:WORD_0
	v_and_b32_e32 v6, s31, v5
	v_mul_u32_u24_e32 v5, 17, v6
	v_add_lshl_u32 v24, v30, v5, 2
	v_and_b32_e32 v5, 1, v6
	v_add_co_u32_e32 v7, vcc, -1, v5
	v_addc_co_u32_e64 v25, s[2:3], 0, -1, vcc
	v_cmp_ne_u32_e32 vcc, 0, v5
	v_xor_b32_e32 v5, vcc_hi, v25
	v_and_b32_e32 v25, exec_hi, v5
	v_lshlrev_b32_e32 v5, 30, v6
	v_xor_b32_e32 v7, vcc_lo, v7
	v_cmp_gt_i64_e32 vcc, 0, v[4:5]
	v_not_b32_e32 v5, v5
	v_ashrrev_i32_e32 v5, 31, v5
	v_and_b32_e32 v7, exec_lo, v7
	v_xor_b32_e32 v26, vcc_hi, v5
	v_xor_b32_e32 v5, vcc_lo, v5
	v_and_b32_e32 v7, v7, v5
	v_lshlrev_b32_e32 v5, 29, v6
	v_cmp_gt_i64_e32 vcc, 0, v[4:5]
	v_not_b32_e32 v5, v5
	v_ashrrev_i32_e32 v5, 31, v5
	v_and_b32_e32 v25, v25, v26
	v_xor_b32_e32 v26, vcc_hi, v5
	v_xor_b32_e32 v5, vcc_lo, v5
	v_and_b32_e32 v7, v7, v5
	v_lshlrev_b32_e32 v5, 28, v6
	v_cmp_gt_i64_e32 vcc, 0, v[4:5]
	v_not_b32_e32 v5, v5
	v_ashrrev_i32_e32 v5, 31, v5
	v_and_b32_e32 v25, v25, v26
	;; [unrolled: 8-line block ×5, first 2 shown]
	v_xor_b32_e32 v26, vcc_hi, v5
	v_xor_b32_e32 v5, vcc_lo, v5
	v_and_b32_e32 v7, v7, v5
	v_lshlrev_b32_e32 v5, 24, v6
	v_cmp_gt_i64_e32 vcc, 0, v[4:5]
	v_not_b32_e32 v4, v5
	v_ashrrev_i32_e32 v4, 31, v4
	v_xor_b32_e32 v5, vcc_hi, v4
	v_xor_b32_e32 v4, vcc_lo, v4
	; wave barrier
	ds_read_b32 v22, v24 offset:64
	v_and_b32_e32 v25, v25, v26
	v_and_b32_e32 v4, v7, v4
	;; [unrolled: 1-line block ×3, first 2 shown]
	v_mbcnt_lo_u32_b32 v6, v4, 0
	v_mbcnt_hi_u32_b32 v25, v5, v6
	v_cmp_eq_u32_e32 vcc, 0, v25
	v_cmp_ne_u64_e64 s[2:3], 0, v[4:5]
	s_and_b64 s[8:9], s[2:3], vcc
	; wave barrier
	s_and_saveexec_b64 s[2:3], s[8:9]
	s_cbranch_execz .LBB1351_33
; %bb.32:
	v_bcnt_u32_b32 v4, v4, 0
	v_bcnt_u32_b32 v4, v5, v4
	s_waitcnt lgkmcnt(0)
	v_add_u32_e32 v4, v22, v4
	ds_write_b32 v24, v4 offset:64
.LBB1351_33:
	s_or_b64 exec, exec, s[2:3]
	v_lshrrev_b32_sdwa v4, s20, v10 dst_sel:DWORD dst_unused:UNUSED_PAD src0_sel:DWORD src1_sel:WORD_0
	v_and_b32_e32 v6, s31, v4
	v_and_b32_e32 v5, 1, v6
	v_add_co_u32_e32 v7, vcc, -1, v5
	v_addc_co_u32_e64 v28, s[2:3], 0, -1, vcc
	v_cmp_ne_u32_e32 vcc, 0, v5
	v_mul_u32_u24_e32 v4, 17, v6
	v_xor_b32_e32 v5, vcc_hi, v28
	v_add_lshl_u32 v27, v30, v4, 2
	v_mov_b32_e32 v4, 0
	v_and_b32_e32 v28, exec_hi, v5
	v_lshlrev_b32_e32 v5, 30, v6
	v_xor_b32_e32 v7, vcc_lo, v7
	v_cmp_gt_i64_e32 vcc, 0, v[4:5]
	v_not_b32_e32 v5, v5
	v_ashrrev_i32_e32 v5, 31, v5
	v_and_b32_e32 v7, exec_lo, v7
	v_xor_b32_e32 v29, vcc_hi, v5
	v_xor_b32_e32 v5, vcc_lo, v5
	v_and_b32_e32 v7, v7, v5
	v_lshlrev_b32_e32 v5, 29, v6
	v_cmp_gt_i64_e32 vcc, 0, v[4:5]
	v_not_b32_e32 v5, v5
	v_ashrrev_i32_e32 v5, 31, v5
	v_and_b32_e32 v28, v28, v29
	v_xor_b32_e32 v29, vcc_hi, v5
	v_xor_b32_e32 v5, vcc_lo, v5
	v_and_b32_e32 v7, v7, v5
	v_lshlrev_b32_e32 v5, 28, v6
	v_cmp_gt_i64_e32 vcc, 0, v[4:5]
	v_not_b32_e32 v5, v5
	v_ashrrev_i32_e32 v5, 31, v5
	v_and_b32_e32 v28, v28, v29
	v_xor_b32_e32 v29, vcc_hi, v5
	v_xor_b32_e32 v5, vcc_lo, v5
	v_and_b32_e32 v7, v7, v5
	v_lshlrev_b32_e32 v5, 27, v6
	v_cmp_gt_i64_e32 vcc, 0, v[4:5]
	v_not_b32_e32 v5, v5
	v_ashrrev_i32_e32 v5, 31, v5
	v_and_b32_e32 v28, v28, v29
	v_xor_b32_e32 v29, vcc_hi, v5
	v_xor_b32_e32 v5, vcc_lo, v5
	v_and_b32_e32 v7, v7, v5
	v_lshlrev_b32_e32 v5, 26, v6
	v_cmp_gt_i64_e32 vcc, 0, v[4:5]
	v_not_b32_e32 v5, v5
	v_ashrrev_i32_e32 v5, 31, v5
	v_and_b32_e32 v28, v28, v29
	v_xor_b32_e32 v29, vcc_hi, v5
	v_xor_b32_e32 v5, vcc_lo, v5
	v_and_b32_e32 v7, v7, v5
	v_lshlrev_b32_e32 v5, 25, v6
	v_cmp_gt_i64_e32 vcc, 0, v[4:5]
	v_not_b32_e32 v5, v5
	v_ashrrev_i32_e32 v5, 31, v5
	v_and_b32_e32 v28, v28, v29
	v_xor_b32_e32 v29, vcc_hi, v5
	v_xor_b32_e32 v5, vcc_lo, v5
	v_and_b32_e32 v28, v28, v29
	v_and_b32_e32 v29, v7, v5
	v_lshlrev_b32_e32 v5, 24, v6
	v_cmp_gt_i64_e32 vcc, 0, v[4:5]
	v_not_b32_e32 v5, v5
	v_ashrrev_i32_e32 v5, 31, v5
	v_xor_b32_e32 v6, vcc_hi, v5
	v_xor_b32_e32 v5, vcc_lo, v5
	; wave barrier
	ds_read_b32 v26, v27 offset:64
	v_and_b32_e32 v7, v28, v6
	v_and_b32_e32 v6, v29, v5
	v_mbcnt_lo_u32_b32 v5, v6, 0
	v_mbcnt_hi_u32_b32 v28, v7, v5
	v_cmp_eq_u32_e32 vcc, 0, v28
	v_cmp_ne_u64_e64 s[2:3], 0, v[6:7]
	s_and_b64 s[8:9], s[2:3], vcc
	; wave barrier
	s_and_saveexec_b64 s[2:3], s[8:9]
	s_cbranch_execz .LBB1351_35
; %bb.34:
	v_bcnt_u32_b32 v5, v6, 0
	v_bcnt_u32_b32 v5, v7, v5
	s_waitcnt lgkmcnt(0)
	v_add_u32_e32 v5, v26, v5
	ds_write_b32 v27, v5 offset:64
.LBB1351_35:
	s_or_b64 exec, exec, s[2:3]
	v_lshrrev_b32_sdwa v5, s20, v9 dst_sel:DWORD dst_unused:UNUSED_PAD src0_sel:DWORD src1_sel:WORD_0
	v_and_b32_e32 v6, s31, v5
	v_mul_u32_u24_e32 v5, 17, v6
	v_add_lshl_u32 v31, v30, v5, 2
	v_and_b32_e32 v5, 1, v6
	v_add_co_u32_e32 v7, vcc, -1, v5
	v_addc_co_u32_e64 v32, s[2:3], 0, -1, vcc
	v_cmp_ne_u32_e32 vcc, 0, v5
	v_xor_b32_e32 v5, vcc_hi, v32
	v_and_b32_e32 v32, exec_hi, v5
	v_lshlrev_b32_e32 v5, 30, v6
	v_xor_b32_e32 v7, vcc_lo, v7
	v_cmp_gt_i64_e32 vcc, 0, v[4:5]
	v_not_b32_e32 v5, v5
	v_ashrrev_i32_e32 v5, 31, v5
	v_and_b32_e32 v7, exec_lo, v7
	v_xor_b32_e32 v33, vcc_hi, v5
	v_xor_b32_e32 v5, vcc_lo, v5
	v_and_b32_e32 v7, v7, v5
	v_lshlrev_b32_e32 v5, 29, v6
	v_cmp_gt_i64_e32 vcc, 0, v[4:5]
	v_not_b32_e32 v5, v5
	v_ashrrev_i32_e32 v5, 31, v5
	v_and_b32_e32 v32, v32, v33
	v_xor_b32_e32 v33, vcc_hi, v5
	v_xor_b32_e32 v5, vcc_lo, v5
	v_and_b32_e32 v7, v7, v5
	v_lshlrev_b32_e32 v5, 28, v6
	v_cmp_gt_i64_e32 vcc, 0, v[4:5]
	v_not_b32_e32 v5, v5
	v_ashrrev_i32_e32 v5, 31, v5
	v_and_b32_e32 v32, v32, v33
	;; [unrolled: 8-line block ×5, first 2 shown]
	v_xor_b32_e32 v33, vcc_hi, v5
	v_xor_b32_e32 v5, vcc_lo, v5
	v_and_b32_e32 v7, v7, v5
	v_lshlrev_b32_e32 v5, 24, v6
	v_cmp_gt_i64_e32 vcc, 0, v[4:5]
	v_not_b32_e32 v4, v5
	v_ashrrev_i32_e32 v4, 31, v4
	v_xor_b32_e32 v5, vcc_hi, v4
	v_xor_b32_e32 v4, vcc_lo, v4
	; wave barrier
	ds_read_b32 v29, v31 offset:64
	v_and_b32_e32 v32, v32, v33
	v_and_b32_e32 v4, v7, v4
	;; [unrolled: 1-line block ×3, first 2 shown]
	v_mbcnt_lo_u32_b32 v6, v4, 0
	v_mbcnt_hi_u32_b32 v32, v5, v6
	v_cmp_eq_u32_e32 vcc, 0, v32
	v_cmp_ne_u64_e64 s[2:3], 0, v[4:5]
	s_and_b64 s[8:9], s[2:3], vcc
	; wave barrier
	s_and_saveexec_b64 s[2:3], s[8:9]
	s_cbranch_execz .LBB1351_37
; %bb.36:
	v_bcnt_u32_b32 v4, v4, 0
	v_bcnt_u32_b32 v4, v5, v4
	s_waitcnt lgkmcnt(0)
	v_add_u32_e32 v4, v29, v4
	ds_write_b32 v31, v4 offset:64
.LBB1351_37:
	s_or_b64 exec, exec, s[2:3]
	v_lshrrev_b32_sdwa v4, s20, v12 dst_sel:DWORD dst_unused:UNUSED_PAD src0_sel:DWORD src1_sel:WORD_0
	v_and_b32_e32 v6, s31, v4
	v_and_b32_e32 v5, 1, v6
	v_add_co_u32_e32 v7, vcc, -1, v5
	v_addc_co_u32_e64 v35, s[2:3], 0, -1, vcc
	v_cmp_ne_u32_e32 vcc, 0, v5
	v_mul_u32_u24_e32 v4, 17, v6
	v_xor_b32_e32 v5, vcc_hi, v35
	v_add_lshl_u32 v34, v30, v4, 2
	v_mov_b32_e32 v4, 0
	v_and_b32_e32 v35, exec_hi, v5
	v_lshlrev_b32_e32 v5, 30, v6
	v_xor_b32_e32 v7, vcc_lo, v7
	v_cmp_gt_i64_e32 vcc, 0, v[4:5]
	v_not_b32_e32 v5, v5
	v_ashrrev_i32_e32 v5, 31, v5
	v_and_b32_e32 v7, exec_lo, v7
	v_xor_b32_e32 v36, vcc_hi, v5
	v_xor_b32_e32 v5, vcc_lo, v5
	v_and_b32_e32 v7, v7, v5
	v_lshlrev_b32_e32 v5, 29, v6
	v_cmp_gt_i64_e32 vcc, 0, v[4:5]
	v_not_b32_e32 v5, v5
	v_ashrrev_i32_e32 v5, 31, v5
	v_and_b32_e32 v35, v35, v36
	v_xor_b32_e32 v36, vcc_hi, v5
	v_xor_b32_e32 v5, vcc_lo, v5
	v_and_b32_e32 v7, v7, v5
	v_lshlrev_b32_e32 v5, 28, v6
	v_cmp_gt_i64_e32 vcc, 0, v[4:5]
	v_not_b32_e32 v5, v5
	v_ashrrev_i32_e32 v5, 31, v5
	v_and_b32_e32 v35, v35, v36
	;; [unrolled: 8-line block ×5, first 2 shown]
	v_xor_b32_e32 v36, vcc_hi, v5
	v_xor_b32_e32 v5, vcc_lo, v5
	v_and_b32_e32 v35, v35, v36
	v_and_b32_e32 v36, v7, v5
	v_lshlrev_b32_e32 v5, 24, v6
	v_cmp_gt_i64_e32 vcc, 0, v[4:5]
	v_not_b32_e32 v5, v5
	v_ashrrev_i32_e32 v5, 31, v5
	v_xor_b32_e32 v6, vcc_hi, v5
	v_xor_b32_e32 v5, vcc_lo, v5
	; wave barrier
	ds_read_b32 v33, v34 offset:64
	v_and_b32_e32 v7, v35, v6
	v_and_b32_e32 v6, v36, v5
	v_mbcnt_lo_u32_b32 v5, v6, 0
	v_mbcnt_hi_u32_b32 v35, v7, v5
	v_cmp_eq_u32_e32 vcc, 0, v35
	v_cmp_ne_u64_e64 s[2:3], 0, v[6:7]
	s_and_b64 s[8:9], s[2:3], vcc
	; wave barrier
	s_and_saveexec_b64 s[2:3], s[8:9]
	s_cbranch_execz .LBB1351_39
; %bb.38:
	v_bcnt_u32_b32 v5, v6, 0
	v_bcnt_u32_b32 v5, v7, v5
	s_waitcnt lgkmcnt(0)
	v_add_u32_e32 v5, v33, v5
	ds_write_b32 v34, v5 offset:64
.LBB1351_39:
	s_or_b64 exec, exec, s[2:3]
	v_lshrrev_b32_sdwa v5, s20, v11 dst_sel:DWORD dst_unused:UNUSED_PAD src0_sel:DWORD src1_sel:WORD_0
	v_and_b32_e32 v6, s31, v5
	v_mul_u32_u24_e32 v5, 17, v6
	v_add_lshl_u32 v37, v30, v5, 2
	v_and_b32_e32 v5, 1, v6
	v_add_co_u32_e32 v7, vcc, -1, v5
	v_addc_co_u32_e64 v38, s[2:3], 0, -1, vcc
	v_cmp_ne_u32_e32 vcc, 0, v5
	v_xor_b32_e32 v5, vcc_hi, v38
	v_and_b32_e32 v38, exec_hi, v5
	v_lshlrev_b32_e32 v5, 30, v6
	v_xor_b32_e32 v7, vcc_lo, v7
	v_cmp_gt_i64_e32 vcc, 0, v[4:5]
	v_not_b32_e32 v5, v5
	v_ashrrev_i32_e32 v5, 31, v5
	v_and_b32_e32 v7, exec_lo, v7
	v_xor_b32_e32 v39, vcc_hi, v5
	v_xor_b32_e32 v5, vcc_lo, v5
	v_and_b32_e32 v7, v7, v5
	v_lshlrev_b32_e32 v5, 29, v6
	v_cmp_gt_i64_e32 vcc, 0, v[4:5]
	v_not_b32_e32 v5, v5
	v_ashrrev_i32_e32 v5, 31, v5
	v_and_b32_e32 v38, v38, v39
	v_xor_b32_e32 v39, vcc_hi, v5
	v_xor_b32_e32 v5, vcc_lo, v5
	v_and_b32_e32 v7, v7, v5
	v_lshlrev_b32_e32 v5, 28, v6
	v_cmp_gt_i64_e32 vcc, 0, v[4:5]
	v_not_b32_e32 v5, v5
	v_ashrrev_i32_e32 v5, 31, v5
	v_and_b32_e32 v38, v38, v39
	;; [unrolled: 8-line block ×5, first 2 shown]
	v_xor_b32_e32 v39, vcc_hi, v5
	v_xor_b32_e32 v5, vcc_lo, v5
	v_and_b32_e32 v7, v7, v5
	v_lshlrev_b32_e32 v5, 24, v6
	v_cmp_gt_i64_e32 vcc, 0, v[4:5]
	v_not_b32_e32 v4, v5
	v_ashrrev_i32_e32 v4, 31, v4
	v_xor_b32_e32 v5, vcc_hi, v4
	v_xor_b32_e32 v4, vcc_lo, v4
	; wave barrier
	ds_read_b32 v36, v37 offset:64
	v_and_b32_e32 v38, v38, v39
	v_and_b32_e32 v4, v7, v4
	;; [unrolled: 1-line block ×3, first 2 shown]
	v_mbcnt_lo_u32_b32 v6, v4, 0
	v_mbcnt_hi_u32_b32 v38, v5, v6
	v_cmp_eq_u32_e32 vcc, 0, v38
	v_cmp_ne_u64_e64 s[2:3], 0, v[4:5]
	s_and_b64 s[8:9], s[2:3], vcc
	; wave barrier
	s_and_saveexec_b64 s[2:3], s[8:9]
	s_cbranch_execz .LBB1351_41
; %bb.40:
	v_bcnt_u32_b32 v4, v4, 0
	v_bcnt_u32_b32 v4, v5, v4
	s_waitcnt lgkmcnt(0)
	v_add_u32_e32 v4, v36, v4
	ds_write_b32 v37, v4 offset:64
.LBB1351_41:
	s_or_b64 exec, exec, s[2:3]
	v_lshrrev_b32_sdwa v4, s20, v15 dst_sel:DWORD dst_unused:UNUSED_PAD src0_sel:DWORD src1_sel:WORD_0
	v_and_b32_e32 v6, s31, v4
	v_and_b32_e32 v5, 1, v6
	v_add_co_u32_e32 v7, vcc, -1, v5
	v_addc_co_u32_e64 v41, s[2:3], 0, -1, vcc
	v_cmp_ne_u32_e32 vcc, 0, v5
	v_mul_u32_u24_e32 v4, 17, v6
	v_xor_b32_e32 v5, vcc_hi, v41
	v_add_lshl_u32 v40, v30, v4, 2
	v_mov_b32_e32 v4, 0
	v_and_b32_e32 v41, exec_hi, v5
	v_lshlrev_b32_e32 v5, 30, v6
	v_xor_b32_e32 v7, vcc_lo, v7
	v_cmp_gt_i64_e32 vcc, 0, v[4:5]
	v_not_b32_e32 v5, v5
	v_ashrrev_i32_e32 v5, 31, v5
	v_and_b32_e32 v7, exec_lo, v7
	v_xor_b32_e32 v42, vcc_hi, v5
	v_xor_b32_e32 v5, vcc_lo, v5
	v_and_b32_e32 v7, v7, v5
	v_lshlrev_b32_e32 v5, 29, v6
	v_cmp_gt_i64_e32 vcc, 0, v[4:5]
	v_not_b32_e32 v5, v5
	v_ashrrev_i32_e32 v5, 31, v5
	v_and_b32_e32 v41, v41, v42
	v_xor_b32_e32 v42, vcc_hi, v5
	v_xor_b32_e32 v5, vcc_lo, v5
	v_and_b32_e32 v7, v7, v5
	v_lshlrev_b32_e32 v5, 28, v6
	v_cmp_gt_i64_e32 vcc, 0, v[4:5]
	v_not_b32_e32 v5, v5
	v_ashrrev_i32_e32 v5, 31, v5
	v_and_b32_e32 v41, v41, v42
	;; [unrolled: 8-line block ×5, first 2 shown]
	v_xor_b32_e32 v42, vcc_hi, v5
	v_xor_b32_e32 v5, vcc_lo, v5
	v_and_b32_e32 v41, v41, v42
	v_and_b32_e32 v42, v7, v5
	v_lshlrev_b32_e32 v5, 24, v6
	v_cmp_gt_i64_e32 vcc, 0, v[4:5]
	v_not_b32_e32 v5, v5
	v_ashrrev_i32_e32 v5, 31, v5
	v_xor_b32_e32 v6, vcc_hi, v5
	v_xor_b32_e32 v5, vcc_lo, v5
	; wave barrier
	ds_read_b32 v39, v40 offset:64
	v_and_b32_e32 v7, v41, v6
	v_and_b32_e32 v6, v42, v5
	v_mbcnt_lo_u32_b32 v5, v6, 0
	v_mbcnt_hi_u32_b32 v41, v7, v5
	v_cmp_eq_u32_e32 vcc, 0, v41
	v_cmp_ne_u64_e64 s[2:3], 0, v[6:7]
	s_and_b64 s[8:9], s[2:3], vcc
	; wave barrier
	s_and_saveexec_b64 s[2:3], s[8:9]
	s_cbranch_execz .LBB1351_43
; %bb.42:
	v_bcnt_u32_b32 v5, v6, 0
	v_bcnt_u32_b32 v5, v7, v5
	s_waitcnt lgkmcnt(0)
	v_add_u32_e32 v5, v39, v5
	ds_write_b32 v40, v5 offset:64
.LBB1351_43:
	s_or_b64 exec, exec, s[2:3]
	v_lshrrev_b32_sdwa v5, s20, v14 dst_sel:DWORD dst_unused:UNUSED_PAD src0_sel:DWORD src1_sel:WORD_0
	v_and_b32_e32 v6, s31, v5
	v_mul_u32_u24_e32 v5, 17, v6
	v_add_lshl_u32 v43, v30, v5, 2
	v_and_b32_e32 v5, 1, v6
	v_add_co_u32_e32 v7, vcc, -1, v5
	v_addc_co_u32_e64 v44, s[2:3], 0, -1, vcc
	v_cmp_ne_u32_e32 vcc, 0, v5
	v_xor_b32_e32 v5, vcc_hi, v44
	v_and_b32_e32 v44, exec_hi, v5
	v_lshlrev_b32_e32 v5, 30, v6
	v_xor_b32_e32 v7, vcc_lo, v7
	v_cmp_gt_i64_e32 vcc, 0, v[4:5]
	v_not_b32_e32 v5, v5
	v_ashrrev_i32_e32 v5, 31, v5
	v_and_b32_e32 v7, exec_lo, v7
	v_xor_b32_e32 v45, vcc_hi, v5
	v_xor_b32_e32 v5, vcc_lo, v5
	v_and_b32_e32 v7, v7, v5
	v_lshlrev_b32_e32 v5, 29, v6
	v_cmp_gt_i64_e32 vcc, 0, v[4:5]
	v_not_b32_e32 v5, v5
	v_ashrrev_i32_e32 v5, 31, v5
	v_and_b32_e32 v44, v44, v45
	v_xor_b32_e32 v45, vcc_hi, v5
	v_xor_b32_e32 v5, vcc_lo, v5
	v_and_b32_e32 v7, v7, v5
	v_lshlrev_b32_e32 v5, 28, v6
	v_cmp_gt_i64_e32 vcc, 0, v[4:5]
	v_not_b32_e32 v5, v5
	v_ashrrev_i32_e32 v5, 31, v5
	v_and_b32_e32 v44, v44, v45
	;; [unrolled: 8-line block ×5, first 2 shown]
	v_xor_b32_e32 v45, vcc_hi, v5
	v_xor_b32_e32 v5, vcc_lo, v5
	v_and_b32_e32 v7, v7, v5
	v_lshlrev_b32_e32 v5, 24, v6
	v_cmp_gt_i64_e32 vcc, 0, v[4:5]
	v_not_b32_e32 v4, v5
	v_ashrrev_i32_e32 v4, 31, v4
	v_xor_b32_e32 v5, vcc_hi, v4
	v_xor_b32_e32 v4, vcc_lo, v4
	; wave barrier
	ds_read_b32 v42, v43 offset:64
	v_and_b32_e32 v44, v44, v45
	v_and_b32_e32 v4, v7, v4
	;; [unrolled: 1-line block ×3, first 2 shown]
	v_mbcnt_lo_u32_b32 v6, v4, 0
	v_mbcnt_hi_u32_b32 v44, v5, v6
	v_cmp_eq_u32_e32 vcc, 0, v44
	v_cmp_ne_u64_e64 s[2:3], 0, v[4:5]
	s_and_b64 s[8:9], s[2:3], vcc
	; wave barrier
	s_and_saveexec_b64 s[2:3], s[8:9]
	s_cbranch_execz .LBB1351_45
; %bb.44:
	v_bcnt_u32_b32 v4, v4, 0
	v_bcnt_u32_b32 v4, v5, v4
	s_waitcnt lgkmcnt(0)
	v_add_u32_e32 v4, v42, v4
	ds_write_b32 v43, v4 offset:64
.LBB1351_45:
	s_or_b64 exec, exec, s[2:3]
	v_lshrrev_b32_sdwa v4, s20, v17 dst_sel:DWORD dst_unused:UNUSED_PAD src0_sel:DWORD src1_sel:WORD_0
	v_and_b32_e32 v6, s31, v4
	v_and_b32_e32 v5, 1, v6
	v_add_co_u32_e32 v7, vcc, -1, v5
	v_addc_co_u32_e64 v47, s[2:3], 0, -1, vcc
	v_cmp_ne_u32_e32 vcc, 0, v5
	v_mul_u32_u24_e32 v4, 17, v6
	v_xor_b32_e32 v5, vcc_hi, v47
	v_add_lshl_u32 v46, v30, v4, 2
	v_mov_b32_e32 v4, 0
	v_and_b32_e32 v47, exec_hi, v5
	v_lshlrev_b32_e32 v5, 30, v6
	v_xor_b32_e32 v7, vcc_lo, v7
	v_cmp_gt_i64_e32 vcc, 0, v[4:5]
	v_not_b32_e32 v5, v5
	v_ashrrev_i32_e32 v5, 31, v5
	v_and_b32_e32 v7, exec_lo, v7
	v_xor_b32_e32 v48, vcc_hi, v5
	v_xor_b32_e32 v5, vcc_lo, v5
	v_and_b32_e32 v7, v7, v5
	v_lshlrev_b32_e32 v5, 29, v6
	v_cmp_gt_i64_e32 vcc, 0, v[4:5]
	v_not_b32_e32 v5, v5
	v_ashrrev_i32_e32 v5, 31, v5
	v_and_b32_e32 v47, v47, v48
	v_xor_b32_e32 v48, vcc_hi, v5
	v_xor_b32_e32 v5, vcc_lo, v5
	v_and_b32_e32 v7, v7, v5
	v_lshlrev_b32_e32 v5, 28, v6
	v_cmp_gt_i64_e32 vcc, 0, v[4:5]
	v_not_b32_e32 v5, v5
	v_ashrrev_i32_e32 v5, 31, v5
	v_and_b32_e32 v47, v47, v48
	v_xor_b32_e32 v48, vcc_hi, v5
	v_xor_b32_e32 v5, vcc_lo, v5
	v_and_b32_e32 v7, v7, v5
	v_lshlrev_b32_e32 v5, 27, v6
	v_cmp_gt_i64_e32 vcc, 0, v[4:5]
	v_not_b32_e32 v5, v5
	v_ashrrev_i32_e32 v5, 31, v5
	v_and_b32_e32 v47, v47, v48
	v_xor_b32_e32 v48, vcc_hi, v5
	v_xor_b32_e32 v5, vcc_lo, v5
	v_and_b32_e32 v7, v7, v5
	v_lshlrev_b32_e32 v5, 26, v6
	v_cmp_gt_i64_e32 vcc, 0, v[4:5]
	v_not_b32_e32 v5, v5
	v_ashrrev_i32_e32 v5, 31, v5
	v_and_b32_e32 v47, v47, v48
	v_xor_b32_e32 v48, vcc_hi, v5
	v_xor_b32_e32 v5, vcc_lo, v5
	v_and_b32_e32 v7, v7, v5
	v_lshlrev_b32_e32 v5, 25, v6
	v_cmp_gt_i64_e32 vcc, 0, v[4:5]
	v_not_b32_e32 v5, v5
	v_ashrrev_i32_e32 v5, 31, v5
	v_and_b32_e32 v47, v47, v48
	v_xor_b32_e32 v48, vcc_hi, v5
	v_xor_b32_e32 v5, vcc_lo, v5
	v_and_b32_e32 v47, v47, v48
	v_and_b32_e32 v48, v7, v5
	v_lshlrev_b32_e32 v5, 24, v6
	v_cmp_gt_i64_e32 vcc, 0, v[4:5]
	v_not_b32_e32 v5, v5
	v_ashrrev_i32_e32 v5, 31, v5
	v_xor_b32_e32 v6, vcc_hi, v5
	v_xor_b32_e32 v5, vcc_lo, v5
	; wave barrier
	ds_read_b32 v45, v46 offset:64
	v_and_b32_e32 v7, v47, v6
	v_and_b32_e32 v6, v48, v5
	v_mbcnt_lo_u32_b32 v5, v6, 0
	v_mbcnt_hi_u32_b32 v47, v7, v5
	v_cmp_eq_u32_e32 vcc, 0, v47
	v_cmp_ne_u64_e64 s[2:3], 0, v[6:7]
	s_and_b64 s[8:9], s[2:3], vcc
	; wave barrier
	s_and_saveexec_b64 s[2:3], s[8:9]
	s_cbranch_execz .LBB1351_47
; %bb.46:
	v_bcnt_u32_b32 v5, v6, 0
	v_bcnt_u32_b32 v5, v7, v5
	s_waitcnt lgkmcnt(0)
	v_add_u32_e32 v5, v45, v5
	ds_write_b32 v46, v5 offset:64
.LBB1351_47:
	s_or_b64 exec, exec, s[2:3]
	v_lshrrev_b32_sdwa v5, s20, v16 dst_sel:DWORD dst_unused:UNUSED_PAD src0_sel:DWORD src1_sel:WORD_0
	v_and_b32_e32 v6, s31, v5
	v_mul_u32_u24_e32 v5, 17, v6
	v_add_lshl_u32 v49, v30, v5, 2
	v_and_b32_e32 v5, 1, v6
	v_add_co_u32_e32 v7, vcc, -1, v5
	v_addc_co_u32_e64 v50, s[2:3], 0, -1, vcc
	v_cmp_ne_u32_e32 vcc, 0, v5
	v_xor_b32_e32 v5, vcc_hi, v50
	v_and_b32_e32 v50, exec_hi, v5
	v_lshlrev_b32_e32 v5, 30, v6
	v_xor_b32_e32 v7, vcc_lo, v7
	v_cmp_gt_i64_e32 vcc, 0, v[4:5]
	v_not_b32_e32 v5, v5
	v_ashrrev_i32_e32 v5, 31, v5
	v_and_b32_e32 v7, exec_lo, v7
	v_xor_b32_e32 v51, vcc_hi, v5
	v_xor_b32_e32 v5, vcc_lo, v5
	v_and_b32_e32 v7, v7, v5
	v_lshlrev_b32_e32 v5, 29, v6
	v_cmp_gt_i64_e32 vcc, 0, v[4:5]
	v_not_b32_e32 v5, v5
	v_ashrrev_i32_e32 v5, 31, v5
	v_and_b32_e32 v50, v50, v51
	v_xor_b32_e32 v51, vcc_hi, v5
	v_xor_b32_e32 v5, vcc_lo, v5
	v_and_b32_e32 v7, v7, v5
	v_lshlrev_b32_e32 v5, 28, v6
	v_cmp_gt_i64_e32 vcc, 0, v[4:5]
	v_not_b32_e32 v5, v5
	v_ashrrev_i32_e32 v5, 31, v5
	v_and_b32_e32 v50, v50, v51
	;; [unrolled: 8-line block ×5, first 2 shown]
	v_xor_b32_e32 v51, vcc_hi, v5
	v_xor_b32_e32 v5, vcc_lo, v5
	v_and_b32_e32 v7, v7, v5
	v_lshlrev_b32_e32 v5, 24, v6
	v_cmp_gt_i64_e32 vcc, 0, v[4:5]
	v_not_b32_e32 v4, v5
	v_ashrrev_i32_e32 v4, 31, v4
	v_xor_b32_e32 v5, vcc_hi, v4
	v_xor_b32_e32 v4, vcc_lo, v4
	; wave barrier
	ds_read_b32 v48, v49 offset:64
	v_and_b32_e32 v50, v50, v51
	v_and_b32_e32 v4, v7, v4
	;; [unrolled: 1-line block ×3, first 2 shown]
	v_mbcnt_lo_u32_b32 v6, v4, 0
	v_mbcnt_hi_u32_b32 v50, v5, v6
	v_cmp_eq_u32_e32 vcc, 0, v50
	v_cmp_ne_u64_e64 s[2:3], 0, v[4:5]
	s_and_b64 s[8:9], s[2:3], vcc
	; wave barrier
	s_and_saveexec_b64 s[2:3], s[8:9]
	s_cbranch_execz .LBB1351_49
; %bb.48:
	v_bcnt_u32_b32 v4, v4, 0
	v_bcnt_u32_b32 v4, v5, v4
	s_waitcnt lgkmcnt(0)
	v_add_u32_e32 v4, v48, v4
	ds_write_b32 v49, v4 offset:64
.LBB1351_49:
	s_or_b64 exec, exec, s[2:3]
	v_lshrrev_b32_sdwa v4, s20, v19 dst_sel:DWORD dst_unused:UNUSED_PAD src0_sel:DWORD src1_sel:WORD_0
	v_and_b32_e32 v6, s31, v4
	v_and_b32_e32 v5, 1, v6
	v_add_co_u32_e32 v7, vcc, -1, v5
	v_addc_co_u32_e64 v53, s[2:3], 0, -1, vcc
	v_cmp_ne_u32_e32 vcc, 0, v5
	v_mul_u32_u24_e32 v4, 17, v6
	v_xor_b32_e32 v5, vcc_hi, v53
	v_add_lshl_u32 v52, v30, v4, 2
	v_mov_b32_e32 v4, 0
	v_and_b32_e32 v53, exec_hi, v5
	v_lshlrev_b32_e32 v5, 30, v6
	v_xor_b32_e32 v7, vcc_lo, v7
	v_cmp_gt_i64_e32 vcc, 0, v[4:5]
	v_not_b32_e32 v5, v5
	v_ashrrev_i32_e32 v5, 31, v5
	v_and_b32_e32 v7, exec_lo, v7
	v_xor_b32_e32 v54, vcc_hi, v5
	v_xor_b32_e32 v5, vcc_lo, v5
	v_and_b32_e32 v7, v7, v5
	v_lshlrev_b32_e32 v5, 29, v6
	v_cmp_gt_i64_e32 vcc, 0, v[4:5]
	v_not_b32_e32 v5, v5
	v_ashrrev_i32_e32 v5, 31, v5
	v_and_b32_e32 v53, v53, v54
	v_xor_b32_e32 v54, vcc_hi, v5
	v_xor_b32_e32 v5, vcc_lo, v5
	v_and_b32_e32 v7, v7, v5
	v_lshlrev_b32_e32 v5, 28, v6
	v_cmp_gt_i64_e32 vcc, 0, v[4:5]
	v_not_b32_e32 v5, v5
	v_ashrrev_i32_e32 v5, 31, v5
	v_and_b32_e32 v53, v53, v54
	;; [unrolled: 8-line block ×5, first 2 shown]
	v_xor_b32_e32 v54, vcc_hi, v5
	v_xor_b32_e32 v5, vcc_lo, v5
	v_and_b32_e32 v53, v53, v54
	v_and_b32_e32 v54, v7, v5
	v_lshlrev_b32_e32 v5, 24, v6
	v_cmp_gt_i64_e32 vcc, 0, v[4:5]
	v_not_b32_e32 v5, v5
	v_ashrrev_i32_e32 v5, 31, v5
	v_xor_b32_e32 v6, vcc_hi, v5
	v_xor_b32_e32 v5, vcc_lo, v5
	; wave barrier
	ds_read_b32 v51, v52 offset:64
	v_and_b32_e32 v7, v53, v6
	v_and_b32_e32 v6, v54, v5
	v_mbcnt_lo_u32_b32 v5, v6, 0
	v_mbcnt_hi_u32_b32 v53, v7, v5
	v_cmp_eq_u32_e32 vcc, 0, v53
	v_cmp_ne_u64_e64 s[2:3], 0, v[6:7]
	s_and_b64 s[8:9], s[2:3], vcc
	; wave barrier
	s_and_saveexec_b64 s[2:3], s[8:9]
	s_cbranch_execz .LBB1351_51
; %bb.50:
	v_bcnt_u32_b32 v5, v6, 0
	v_bcnt_u32_b32 v5, v7, v5
	s_waitcnt lgkmcnt(0)
	v_add_u32_e32 v5, v51, v5
	ds_write_b32 v52, v5 offset:64
.LBB1351_51:
	s_or_b64 exec, exec, s[2:3]
	v_lshrrev_b32_sdwa v5, s20, v18 dst_sel:DWORD dst_unused:UNUSED_PAD src0_sel:DWORD src1_sel:WORD_0
	v_and_b32_e32 v6, s31, v5
	v_mul_u32_u24_e32 v5, 17, v6
	v_add_lshl_u32 v54, v30, v5, 2
	v_and_b32_e32 v5, 1, v6
	v_add_co_u32_e32 v7, vcc, -1, v5
	v_addc_co_u32_e64 v56, s[2:3], 0, -1, vcc
	v_cmp_ne_u32_e32 vcc, 0, v5
	v_xor_b32_e32 v5, vcc_hi, v56
	v_and_b32_e32 v56, exec_hi, v5
	v_lshlrev_b32_e32 v5, 30, v6
	v_xor_b32_e32 v7, vcc_lo, v7
	v_cmp_gt_i64_e32 vcc, 0, v[4:5]
	v_not_b32_e32 v5, v5
	v_ashrrev_i32_e32 v5, 31, v5
	v_and_b32_e32 v7, exec_lo, v7
	v_xor_b32_e32 v57, vcc_hi, v5
	v_xor_b32_e32 v5, vcc_lo, v5
	v_and_b32_e32 v7, v7, v5
	v_lshlrev_b32_e32 v5, 29, v6
	v_cmp_gt_i64_e32 vcc, 0, v[4:5]
	v_not_b32_e32 v5, v5
	v_ashrrev_i32_e32 v5, 31, v5
	v_and_b32_e32 v56, v56, v57
	v_xor_b32_e32 v57, vcc_hi, v5
	v_xor_b32_e32 v5, vcc_lo, v5
	v_and_b32_e32 v7, v7, v5
	v_lshlrev_b32_e32 v5, 28, v6
	v_cmp_gt_i64_e32 vcc, 0, v[4:5]
	v_not_b32_e32 v5, v5
	v_ashrrev_i32_e32 v5, 31, v5
	v_and_b32_e32 v56, v56, v57
	;; [unrolled: 8-line block ×5, first 2 shown]
	v_xor_b32_e32 v57, vcc_hi, v5
	v_xor_b32_e32 v5, vcc_lo, v5
	v_and_b32_e32 v7, v7, v5
	v_lshlrev_b32_e32 v5, 24, v6
	v_cmp_gt_i64_e32 vcc, 0, v[4:5]
	v_not_b32_e32 v4, v5
	v_ashrrev_i32_e32 v4, 31, v4
	v_xor_b32_e32 v5, vcc_hi, v4
	v_xor_b32_e32 v4, vcc_lo, v4
	; wave barrier
	ds_read_b32 v30, v54 offset:64
	v_and_b32_e32 v56, v56, v57
	v_and_b32_e32 v4, v7, v4
	;; [unrolled: 1-line block ×3, first 2 shown]
	v_mbcnt_lo_u32_b32 v6, v4, 0
	v_mbcnt_hi_u32_b32 v56, v5, v6
	v_cmp_eq_u32_e32 vcc, 0, v56
	v_cmp_ne_u64_e64 s[2:3], 0, v[4:5]
	v_add_u32_e32 v55, 64, v20
	s_and_b64 s[8:9], s[2:3], vcc
	; wave barrier
	s_and_saveexec_b64 s[2:3], s[8:9]
	s_cbranch_execz .LBB1351_53
; %bb.52:
	v_bcnt_u32_b32 v4, v4, 0
	v_bcnt_u32_b32 v4, v5, v4
	s_waitcnt lgkmcnt(0)
	v_add_u32_e32 v4, v30, v4
	ds_write_b32 v54, v4 offset:64
.LBB1351_53:
	s_or_b64 exec, exec, s[2:3]
	; wave barrier
	s_waitcnt lgkmcnt(0)
	s_barrier
	ds_read2_b32 v[6:7], v20 offset0:16 offset1:17
	ds_read2_b32 v[4:5], v55 offset0:2 offset1:3
	ds_read_b32 v57, v55 offset:16
	v_cmp_lt_u32_e64 s[12:13], 31, v13
	s_waitcnt lgkmcnt(1)
	v_add3_u32 v58, v7, v6, v4
	s_waitcnt lgkmcnt(0)
	v_add3_u32 v57, v58, v5, v57
	v_and_b32_e32 v58, 15, v13
	v_cmp_eq_u32_e32 vcc, 0, v58
	v_mov_b32_dpp v59, v57 row_shr:1 row_mask:0xf bank_mask:0xf
	v_cndmask_b32_e64 v59, v59, 0, vcc
	v_add_u32_e32 v57, v59, v57
	v_cmp_lt_u32_e64 s[2:3], 1, v58
	v_cmp_lt_u32_e64 s[10:11], 3, v58
	v_mov_b32_dpp v59, v57 row_shr:2 row_mask:0xf bank_mask:0xf
	v_cndmask_b32_e64 v59, 0, v59, s[2:3]
	v_add_u32_e32 v57, v57, v59
	v_cmp_lt_u32_e64 s[8:9], 7, v58
	s_nop 0
	v_mov_b32_dpp v59, v57 row_shr:4 row_mask:0xf bank_mask:0xf
	v_cndmask_b32_e64 v59, 0, v59, s[10:11]
	v_add_u32_e32 v57, v57, v59
	s_nop 1
	v_mov_b32_dpp v59, v57 row_shr:8 row_mask:0xf bank_mask:0xf
	v_cndmask_b32_e64 v58, 0, v59, s[8:9]
	v_add_u32_e32 v57, v57, v58
	v_bfe_i32 v59, v13, 4, 1
	s_nop 0
	v_mov_b32_dpp v58, v57 row_bcast:15 row_mask:0xf bank_mask:0xf
	v_and_b32_e32 v58, v59, v58
	v_add_u32_e32 v57, v57, v58
	v_and_b32_e32 v59, 63, v2
	s_nop 0
	v_mov_b32_dpp v58, v57 row_bcast:31 row_mask:0xf bank_mask:0xf
	v_cndmask_b32_e64 v58, 0, v58, s[12:13]
	v_add_u32_e32 v57, v57, v58
	v_lshrrev_b32_e32 v58, 6, v2
	v_cmp_eq_u32_e64 s[12:13], 63, v59
	s_and_saveexec_b64 s[22:23], s[12:13]
	s_cbranch_execz .LBB1351_55
; %bb.54:
	v_lshlrev_b32_e32 v59, 2, v58
	ds_write_b32 v59, v57
.LBB1351_55:
	s_or_b64 exec, exec, s[22:23]
	v_cmp_gt_u32_e64 s[12:13], 16, v2
	s_waitcnt lgkmcnt(0)
	s_barrier
	s_and_saveexec_b64 s[22:23], s[12:13]
	s_cbranch_execz .LBB1351_57
; %bb.56:
	v_lshlrev_b32_e32 v59, 2, v2
	ds_read_b32 v60, v59
	s_waitcnt lgkmcnt(0)
	s_nop 0
	v_mov_b32_dpp v61, v60 row_shr:1 row_mask:0xf bank_mask:0xf
	v_cndmask_b32_e64 v61, v61, 0, vcc
	v_add_u32_e32 v60, v61, v60
	s_nop 1
	v_mov_b32_dpp v61, v60 row_shr:2 row_mask:0xf bank_mask:0xf
	v_cndmask_b32_e64 v61, 0, v61, s[2:3]
	v_add_u32_e32 v60, v60, v61
	s_nop 1
	v_mov_b32_dpp v61, v60 row_shr:4 row_mask:0xf bank_mask:0xf
	v_cndmask_b32_e64 v61, 0, v61, s[10:11]
	v_add_u32_e32 v60, v60, v61
	s_nop 1
	v_mov_b32_dpp v61, v60 row_shr:8 row_mask:0xf bank_mask:0xf
	v_cndmask_b32_e64 v61, 0, v61, s[8:9]
	v_add_u32_e32 v60, v60, v61
	ds_write_b32 v59, v60
.LBB1351_57:
	s_or_b64 exec, exec, s[22:23]
	v_cmp_lt_u32_e32 vcc, 63, v2
	v_mov_b32_e32 v59, 0
	s_waitcnt lgkmcnt(0)
	s_barrier
	s_and_saveexec_b64 s[2:3], vcc
	s_cbranch_execz .LBB1351_59
; %bb.58:
	v_lshl_add_u32 v58, v58, 2, -4
	ds_read_b32 v59, v58
.LBB1351_59:
	s_or_b64 exec, exec, s[2:3]
	v_add_u32_e32 v58, -1, v13
	v_and_b32_e32 v60, 64, v13
	v_cmp_lt_i32_e32 vcc, v58, v60
	v_cndmask_b32_e32 v58, v58, v13, vcc
	s_waitcnt lgkmcnt(0)
	v_add_u32_e32 v57, v59, v57
	v_lshlrev_b32_e32 v58, 2, v58
	ds_bpermute_b32 v57, v58, v57
	v_cmp_eq_u32_e32 vcc, 0, v13
	s_movk_i32 s2, 0x100
	s_waitcnt lgkmcnt(0)
	v_cndmask_b32_e32 v13, v57, v59, vcc
	v_cndmask_b32_e64 v13, v13, 0, s[0:1]
	v_add_u32_e32 v6, v13, v6
	v_add_u32_e32 v7, v6, v7
	;; [unrolled: 1-line block ×4, first 2 shown]
	ds_write2_b32 v20, v13, v6 offset0:16 offset1:17
	ds_write2_b32 v55, v7, v4 offset0:2 offset1:3
	ds_write_b32 v55, v5 offset:16
	s_waitcnt lgkmcnt(0)
	s_barrier
	ds_read_b32 v59, v23 offset:64
	ds_read_b32 v58, v24 offset:64
	;; [unrolled: 1-line block ×12, first 2 shown]
	v_cmp_gt_u32_e32 vcc, s2, v2
                                        ; implicit-def: $vgpr13
                                        ; implicit-def: $vgpr20
	s_and_saveexec_b64 s[8:9], vcc
	s_cbranch_execz .LBB1351_63
; %bb.60:
	v_mul_u32_u24_e32 v13, 17, v2
	v_lshlrev_b32_e32 v34, 2, v13
	ds_read_b32 v13, v34 offset:64
	s_movk_i32 s2, 0xff
	v_cmp_ne_u32_e64 s[2:3], s2, v2
	v_mov_b32_e32 v20, 0x3000
	s_and_saveexec_b64 s[10:11], s[2:3]
	s_cbranch_execz .LBB1351_62
; %bb.61:
	ds_read_b32 v20, v34 offset:132
.LBB1351_62:
	s_or_b64 exec, exec, s[10:11]
	s_waitcnt lgkmcnt(0)
	v_sub_u32_e32 v20, v20, v13
.LBB1351_63:
	s_or_b64 exec, exec, s[8:9]
	v_add_u32_e32 v22, v25, v22
	s_waitcnt lgkmcnt(11)
	v_add_lshl_u32 v21, v59, v21, 1
	v_add_u32_e32 v26, v28, v26
	s_waitcnt lgkmcnt(0)
	s_barrier
	ds_write_b16 v21, v8 offset:1024
	v_add_lshl_u32 v8, v22, v58, 1
	v_add_u32_e32 v29, v32, v29
	ds_write_b16 v8, v3 offset:1024
	v_add_lshl_u32 v3, v26, v57, 1
	v_add_u32_e32 v33, v35, v33
	;; [unrolled: 3-line block ×9, first 2 shown]
	ds_write_b16 v3, v16 offset:1024
	v_add_lshl_u32 v3, v34, v5, 1
	ds_write_b16 v3, v19 offset:1024
	v_add_lshl_u32 v3, v30, v4, 1
	ds_write_b16 v3, v18 offset:1024
	s_and_saveexec_b64 s[8:9], vcc
	s_cbranch_execz .LBB1351_73
; %bb.64:
	v_lshl_or_b32 v4, s30, 8, v2
	v_mov_b32_e32 v5, 0
	v_lshlrev_b64 v[6:7], 2, v[4:5]
	v_mov_b32_e32 v3, s15
	v_add_co_u32_e64 v6, s[2:3], s14, v6
	v_addc_co_u32_e64 v7, s[2:3], v3, v7, s[2:3]
	v_or_b32_e32 v4, 2.0, v20
	s_mov_b64 s[10:11], 0
	s_brev_b32 s33, 1
	s_mov_b32 s34, s30
	v_mov_b32_e32 v10, 0
	global_store_dword v[6:7], v4, off
                                        ; implicit-def: $sgpr2_sgpr3
	s_branch .LBB1351_66
.LBB1351_65:                            ;   in Loop: Header=BB1351_66 Depth=1
	s_or_b64 exec, exec, s[12:13]
	v_and_b32_e32 v8, 0x3fffffff, v11
	v_add_u32_e32 v10, v8, v10
	v_cmp_eq_u32_e64 s[2:3], s33, v4
	s_and_b64 s[12:13], exec, s[2:3]
	s_or_b64 s[10:11], s[12:13], s[10:11]
	s_andn2_b64 exec, exec, s[10:11]
	s_cbranch_execz .LBB1351_72
.LBB1351_66:                            ; =>This Loop Header: Depth=1
                                        ;     Child Loop BB1351_69 Depth 2
	s_or_b64 s[2:3], s[2:3], exec
	s_cmp_eq_u32 s34, 0
	s_cbranch_scc1 .LBB1351_71
; %bb.67:                               ;   in Loop: Header=BB1351_66 Depth=1
	s_add_i32 s34, s34, -1
	v_lshl_or_b32 v4, s34, 8, v2
	v_lshlrev_b64 v[8:9], 2, v[4:5]
	v_add_co_u32_e64 v8, s[2:3], s14, v8
	v_addc_co_u32_e64 v9, s[2:3], v3, v9, s[2:3]
	global_load_dword v11, v[8:9], off glc
	s_waitcnt vmcnt(0)
	v_and_b32_e32 v4, -2.0, v11
	v_cmp_eq_u32_e64 s[2:3], 0, v4
	s_and_saveexec_b64 s[12:13], s[2:3]
	s_cbranch_execz .LBB1351_65
; %bb.68:                               ;   in Loop: Header=BB1351_66 Depth=1
	s_mov_b64 s[22:23], 0
.LBB1351_69:                            ;   Parent Loop BB1351_66 Depth=1
                                        ; =>  This Inner Loop Header: Depth=2
	global_load_dword v11, v[8:9], off glc
	s_waitcnt vmcnt(0)
	v_and_b32_e32 v4, -2.0, v11
	v_cmp_ne_u32_e64 s[2:3], 0, v4
	s_or_b64 s[22:23], s[2:3], s[22:23]
	s_andn2_b64 exec, exec, s[22:23]
	s_cbranch_execnz .LBB1351_69
; %bb.70:                               ;   in Loop: Header=BB1351_66 Depth=1
	s_or_b64 exec, exec, s[22:23]
	s_branch .LBB1351_65
.LBB1351_71:                            ;   in Loop: Header=BB1351_66 Depth=1
                                        ; implicit-def: $sgpr34
	s_and_b64 s[12:13], exec, s[2:3]
	s_or_b64 s[10:11], s[12:13], s[10:11]
	s_andn2_b64 exec, exec, s[10:11]
	s_cbranch_execnz .LBB1351_66
.LBB1351_72:
	s_or_b64 exec, exec, s[10:11]
	v_add_u32_e32 v3, v10, v20
	v_or_b32_e32 v3, 0x80000000, v3
	global_store_dword v[6:7], v3, off
	v_lshlrev_b32_e32 v3, 2, v2
	global_load_dword v4, v3, s[16:17]
	v_sub_u32_e32 v5, v10, v13
	s_waitcnt vmcnt(0)
	v_add_u32_e32 v4, v5, v4
	ds_write_b32 v3, v4
.LBB1351_73:
	s_or_b64 exec, exec, s[8:9]
	v_cmp_gt_u32_e64 s[2:3], s7, v2
	s_waitcnt lgkmcnt(0)
	s_barrier
	s_and_saveexec_b64 s[8:9], s[2:3]
	s_cbranch_execz .LBB1351_75
; %bb.74:
	v_lshlrev_b32_e32 v3, 1, v2
	ds_read_u16 v3, v3 offset:1024
	v_mov_b32_e32 v5, 0
	v_mov_b32_e32 v6, s27
	s_waitcnt lgkmcnt(0)
	v_lshrrev_b32_sdwa v4, s20, v3 dst_sel:DWORD dst_unused:UNUSED_PAD src0_sel:DWORD src1_sel:WORD_0
	v_and_b32_e32 v4, s31, v4
	v_lshlrev_b32_e32 v4, 2, v4
	ds_read_b32 v4, v4
	s_waitcnt lgkmcnt(0)
	v_add_u32_e32 v4, v4, v2
	v_lshlrev_b64 v[4:5], 1, v[4:5]
	v_add_co_u32_e64 v4, s[2:3], s26, v4
	v_addc_co_u32_e64 v5, s[2:3], v6, v5, s[2:3]
	global_store_short v[4:5], v3, off
.LBB1351_75:
	s_or_b64 exec, exec, s[8:9]
	v_or_b32_e32 v3, 0x400, v2
	v_cmp_gt_u32_e64 s[2:3], s7, v3
	s_and_saveexec_b64 s[8:9], s[2:3]
	s_cbranch_execz .LBB1351_77
; %bb.76:
	v_lshlrev_b32_e32 v4, 1, v2
	ds_read_u16 v6, v4 offset:3072
	v_mov_b32_e32 v5, 0
	v_mov_b32_e32 v7, s27
	s_waitcnt lgkmcnt(0)
	v_lshrrev_b32_sdwa v4, s20, v6 dst_sel:DWORD dst_unused:UNUSED_PAD src0_sel:DWORD src1_sel:WORD_0
	v_and_b32_e32 v4, s31, v4
	v_lshlrev_b32_e32 v4, 2, v4
	ds_read_b32 v4, v4
	s_waitcnt lgkmcnt(0)
	v_add_u32_e32 v4, v4, v3
	v_lshlrev_b64 v[4:5], 1, v[4:5]
	v_add_co_u32_e64 v4, s[2:3], s26, v4
	v_addc_co_u32_e64 v5, s[2:3], v7, v5, s[2:3]
	global_store_short v[4:5], v6, off
.LBB1351_77:
	s_or_b64 exec, exec, s[8:9]
	v_or_b32_e32 v3, 0x800, v2
	v_cmp_gt_u32_e64 s[2:3], s7, v3
	;; [unrolled: 22-line block ×11, first 2 shown]
	s_and_saveexec_b64 s[8:9], s[2:3]
	s_cbranch_execz .LBB1351_97
; %bb.96:
	v_lshlrev_b32_e32 v4, 1, v2
	ds_read_u16 v6, v4 offset:23552
	v_mov_b32_e32 v5, 0
	v_mov_b32_e32 v7, s27
	s_waitcnt lgkmcnt(0)
	v_lshrrev_b32_sdwa v4, s20, v6 dst_sel:DWORD dst_unused:UNUSED_PAD src0_sel:DWORD src1_sel:WORD_0
	v_and_b32_e32 v4, s31, v4
	v_lshlrev_b32_e32 v4, 2, v4
	ds_read_b32 v4, v4
	s_waitcnt lgkmcnt(0)
	v_add_u32_e32 v4, v4, v3
	v_lshlrev_b64 v[4:5], 1, v[4:5]
	v_add_co_u32_e64 v4, s[2:3], s26, v4
	v_addc_co_u32_e64 v5, s[2:3], v7, v5, s[2:3]
	global_store_short v[4:5], v6, off
.LBB1351_97:
	s_or_b64 exec, exec, s[8:9]
	s_add_i32 s29, s29, -1
	s_cmp_eq_u32 s29, s30
	s_cselect_b64 s[2:3], -1, 0
	s_and_b64 s[8:9], vcc, s[2:3]
	s_mov_b64 s[2:3], 0
	s_mov_b64 s[10:11], 0
                                        ; implicit-def: $vgpr4
	s_and_saveexec_b64 s[12:13], s[8:9]
	s_xor_b64 s[8:9], exec, s[12:13]
; %bb.98:
	s_mov_b64 s[10:11], exec
	v_add_u32_e32 v4, v13, v20
	v_mov_b32_e32 v3, 0
; %bb.99:
	s_or_b64 exec, exec, s[8:9]
	s_and_b64 vcc, exec, s[2:3]
	s_cbranch_vccnz .LBB1351_101
	s_branch .LBB1351_150
.LBB1351_100:
	s_mov_b64 s[10:11], 0
                                        ; implicit-def: $vgpr4
	s_cbranch_execz .LBB1351_150
.LBB1351_101:
	s_mov_b32 s29, 0
	v_mbcnt_hi_u32_b32 v17, -1, v1
	s_lshl_b64 s[2:3], s[28:29], 1
	v_and_b32_e32 v1, 63, v17
	s_add_u32 s2, s24, s2
	v_lshlrev_b32_e32 v1, 1, v1
	v_add_co_u32_e32 v1, vcc, s2, v1
	s_load_dword s22, s[4:5], 0x58
	s_load_dword s2, s[4:5], 0x64
	s_addc_u32 s3, s25, s3
	v_and_b32_e32 v3, 0x3c0, v2
	v_mul_u32_u24_e32 v3, 12, v3
	v_mov_b32_e32 v5, s3
	s_add_u32 s3, s4, 0x58
	v_addc_co_u32_e32 v5, vcc, 0, v5, vcc
	v_lshlrev_b32_e32 v3, 1, v3
	s_addc_u32 s4, s5, 0
	s_waitcnt lgkmcnt(0)
	s_lshr_b32 s5, s2, 16
	v_add_co_u32_e32 v20, vcc, v1, v3
	s_cmp_lt_u32 s6, s22
	v_addc_co_u32_e32 v21, vcc, 0, v5, vcc
	s_cselect_b32 s2, 12, 18
	global_load_ushort v3, v[20:21], off
	s_add_u32 s2, s3, s2
	v_mov_b32_e32 v4, 0
	s_addc_u32 s3, s4, 0
	global_load_ushort v1, v4, s[2:3]
	v_mul_u32_u24_e32 v6, 5, v2
	v_lshlrev_b32_e32 v18, 2, v6
	ds_write2_b32 v18, v4, v4 offset0:16 offset1:17
	ds_write2_b32 v18, v4, v4 offset0:18 offset1:19
	ds_write_b32 v18, v4 offset:80
	global_load_ushort v16, v[20:21], off offset:128
	global_load_ushort v15, v[20:21], off offset:256
	;; [unrolled: 1-line block ×11, first 2 shown]
	v_bfe_u32 v5, v0, 10, 10
	v_bfe_u32 v0, v0, 20, 10
	s_lshl_b32 s2, -1, s21
	v_mad_u32_u24 v0, v0, s5, v5
	s_not_b32 s21, s2
	s_waitcnt lgkmcnt(0)
	s_barrier
	s_waitcnt lgkmcnt(0)
	; wave barrier
	s_waitcnt vmcnt(12)
	v_lshrrev_b32_sdwa v5, s20, v3 dst_sel:DWORD dst_unused:UNUSED_PAD src0_sel:DWORD src1_sel:WORD_0
	v_and_b32_e32 v20, s21, v5
	v_and_b32_e32 v21, 1, v20
	v_lshlrev_b32_e32 v5, 30, v20
	s_waitcnt vmcnt(11)
	v_mad_u64_u32 v[0:1], s[2:3], v0, v1, v[2:3]
	v_add_co_u32_e32 v1, vcc, -1, v21
	v_addc_co_u32_e64 v22, s[2:3], 0, -1, vcc
	v_cmp_ne_u32_e32 vcc, 0, v21
	v_cmp_gt_i64_e64 s[2:3], 0, v[4:5]
	v_not_b32_e32 v21, v5
	v_lshlrev_b32_e32 v5, 29, v20
	v_lshrrev_b32_e32 v26, 6, v0
	v_xor_b32_e32 v0, vcc_hi, v22
	v_xor_b32_e32 v1, vcc_lo, v1
	v_ashrrev_i32_e32 v21, 31, v21
	v_cmp_gt_i64_e32 vcc, 0, v[4:5]
	v_not_b32_e32 v22, v5
	v_lshlrev_b32_e32 v5, 28, v20
	v_and_b32_e32 v0, exec_hi, v0
	v_and_b32_e32 v1, exec_lo, v1
	v_xor_b32_e32 v23, s3, v21
	v_xor_b32_e32 v21, s2, v21
	v_ashrrev_i32_e32 v22, 31, v22
	v_cmp_gt_i64_e64 s[2:3], 0, v[4:5]
	v_not_b32_e32 v5, v5
	v_and_b32_e32 v0, v0, v23
	v_and_b32_e32 v1, v1, v21
	v_xor_b32_e32 v21, vcc_hi, v22
	v_xor_b32_e32 v22, vcc_lo, v22
	v_ashrrev_i32_e32 v5, 31, v5
	v_and_b32_e32 v0, v0, v21
	v_and_b32_e32 v1, v1, v22
	v_xor_b32_e32 v21, s3, v5
	v_xor_b32_e32 v5, s2, v5
	v_and_b32_e32 v1, v1, v5
	v_lshlrev_b32_e32 v5, 27, v20
	v_cmp_gt_i64_e32 vcc, 0, v[4:5]
	v_not_b32_e32 v5, v5
	v_ashrrev_i32_e32 v5, 31, v5
	v_and_b32_e32 v0, v0, v21
	v_xor_b32_e32 v21, vcc_hi, v5
	v_xor_b32_e32 v5, vcc_lo, v5
	v_and_b32_e32 v1, v1, v5
	v_lshlrev_b32_e32 v5, 26, v20
	v_cmp_gt_i64_e32 vcc, 0, v[4:5]
	v_not_b32_e32 v5, v5
	v_ashrrev_i32_e32 v5, 31, v5
	v_and_b32_e32 v0, v0, v21
	v_xor_b32_e32 v21, vcc_hi, v5
	v_xor_b32_e32 v5, vcc_lo, v5
	;; [unrolled: 8-line block ×3, first 2 shown]
	v_and_b32_e32 v0, v0, v21
	v_and_b32_e32 v21, v1, v5
	v_lshlrev_b32_e32 v5, 24, v20
	v_not_b32_e32 v1, v5
	v_cmp_gt_i64_e32 vcc, 0, v[4:5]
	v_ashrrev_i32_e32 v1, 31, v1
	v_mul_u32_u24_e32 v19, 17, v20
	v_xor_b32_e32 v5, vcc_hi, v1
	v_xor_b32_e32 v20, vcc_lo, v1
	v_and_b32_e32 v1, v0, v5
	v_and_b32_e32 v0, v21, v20
	v_mbcnt_lo_u32_b32 v5, v0, 0
	v_mbcnt_hi_u32_b32 v20, v1, v5
	v_cmp_eq_u32_e32 vcc, 0, v20
	v_cmp_ne_u64_e64 s[2:3], 0, v[0:1]
	v_add_lshl_u32 v19, v26, v19, 2
	s_and_b64 s[4:5], s[2:3], vcc
	s_and_saveexec_b64 s[2:3], s[4:5]
	s_cbranch_execz .LBB1351_103
; %bb.102:
	v_bcnt_u32_b32 v0, v0, 0
	v_bcnt_u32_b32 v0, v1, v0
	ds_write_b32 v19, v0 offset:64
.LBB1351_103:
	s_or_b64 exec, exec, s[2:3]
	s_waitcnt vmcnt(10)
	v_lshrrev_b32_sdwa v0, s20, v16 dst_sel:DWORD dst_unused:UNUSED_PAD src0_sel:DWORD src1_sel:WORD_0
	v_and_b32_e32 v0, s21, v0
	v_mul_u32_u24_e32 v1, 17, v0
	v_add_lshl_u32 v22, v26, v1, 2
	v_and_b32_e32 v1, 1, v0
	v_add_co_u32_e32 v5, vcc, -1, v1
	v_addc_co_u32_e64 v23, s[2:3], 0, -1, vcc
	v_cmp_ne_u32_e32 vcc, 0, v1
	v_xor_b32_e32 v5, vcc_lo, v5
	v_xor_b32_e32 v1, vcc_hi, v23
	v_and_b32_e32 v23, exec_lo, v5
	v_lshlrev_b32_e32 v5, 30, v0
	v_cmp_gt_i64_e32 vcc, 0, v[4:5]
	v_not_b32_e32 v5, v5
	v_ashrrev_i32_e32 v5, 31, v5
	v_xor_b32_e32 v24, vcc_hi, v5
	v_xor_b32_e32 v5, vcc_lo, v5
	v_and_b32_e32 v23, v23, v5
	v_lshlrev_b32_e32 v5, 29, v0
	v_cmp_gt_i64_e32 vcc, 0, v[4:5]
	v_not_b32_e32 v5, v5
	v_and_b32_e32 v1, exec_hi, v1
	v_ashrrev_i32_e32 v5, 31, v5
	v_and_b32_e32 v1, v1, v24
	v_xor_b32_e32 v24, vcc_hi, v5
	v_xor_b32_e32 v5, vcc_lo, v5
	v_and_b32_e32 v23, v23, v5
	v_lshlrev_b32_e32 v5, 28, v0
	v_cmp_gt_i64_e32 vcc, 0, v[4:5]
	v_not_b32_e32 v5, v5
	v_ashrrev_i32_e32 v5, 31, v5
	v_and_b32_e32 v1, v1, v24
	v_xor_b32_e32 v24, vcc_hi, v5
	v_xor_b32_e32 v5, vcc_lo, v5
	v_and_b32_e32 v23, v23, v5
	v_lshlrev_b32_e32 v5, 27, v0
	v_cmp_gt_i64_e32 vcc, 0, v[4:5]
	v_not_b32_e32 v5, v5
	;; [unrolled: 8-line block ×4, first 2 shown]
	v_ashrrev_i32_e32 v5, 31, v5
	v_and_b32_e32 v1, v1, v24
	v_xor_b32_e32 v24, vcc_hi, v5
	v_xor_b32_e32 v5, vcc_lo, v5
	v_and_b32_e32 v23, v23, v5
	v_lshlrev_b32_e32 v5, 24, v0
	v_not_b32_e32 v0, v5
	v_cmp_gt_i64_e32 vcc, 0, v[4:5]
	v_ashrrev_i32_e32 v0, 31, v0
	v_xor_b32_e32 v4, vcc_hi, v0
	v_xor_b32_e32 v0, vcc_lo, v0
	; wave barrier
	ds_read_b32 v21, v22 offset:64
	v_and_b32_e32 v1, v1, v24
	v_and_b32_e32 v0, v23, v0
	;; [unrolled: 1-line block ×3, first 2 shown]
	v_mbcnt_lo_u32_b32 v4, v0, 0
	v_mbcnt_hi_u32_b32 v23, v1, v4
	v_cmp_eq_u32_e32 vcc, 0, v23
	v_cmp_ne_u64_e64 s[2:3], 0, v[0:1]
	s_and_b64 s[4:5], s[2:3], vcc
	; wave barrier
	s_and_saveexec_b64 s[2:3], s[4:5]
	s_cbranch_execz .LBB1351_105
; %bb.104:
	v_bcnt_u32_b32 v0, v0, 0
	v_bcnt_u32_b32 v0, v1, v0
	s_waitcnt lgkmcnt(0)
	v_add_u32_e32 v0, v21, v0
	ds_write_b32 v22, v0 offset:64
.LBB1351_105:
	s_or_b64 exec, exec, s[2:3]
	s_waitcnt vmcnt(9)
	v_lshrrev_b32_sdwa v0, s20, v15 dst_sel:DWORD dst_unused:UNUSED_PAD src0_sel:DWORD src1_sel:WORD_0
	v_and_b32_e32 v4, s21, v0
	v_and_b32_e32 v1, 1, v4
	v_add_co_u32_e32 v5, vcc, -1, v1
	v_addc_co_u32_e64 v27, s[2:3], 0, -1, vcc
	v_cmp_ne_u32_e32 vcc, 0, v1
	v_mul_u32_u24_e32 v0, 17, v4
	v_xor_b32_e32 v1, vcc_hi, v27
	v_add_lshl_u32 v25, v26, v0, 2
	v_mov_b32_e32 v0, 0
	v_and_b32_e32 v27, exec_hi, v1
	v_lshlrev_b32_e32 v1, 30, v4
	v_xor_b32_e32 v5, vcc_lo, v5
	v_cmp_gt_i64_e32 vcc, 0, v[0:1]
	v_not_b32_e32 v1, v1
	v_ashrrev_i32_e32 v1, 31, v1
	v_and_b32_e32 v5, exec_lo, v5
	v_xor_b32_e32 v28, vcc_hi, v1
	v_xor_b32_e32 v1, vcc_lo, v1
	v_and_b32_e32 v5, v5, v1
	v_lshlrev_b32_e32 v1, 29, v4
	v_cmp_gt_i64_e32 vcc, 0, v[0:1]
	v_not_b32_e32 v1, v1
	v_ashrrev_i32_e32 v1, 31, v1
	v_and_b32_e32 v27, v27, v28
	v_xor_b32_e32 v28, vcc_hi, v1
	v_xor_b32_e32 v1, vcc_lo, v1
	v_and_b32_e32 v5, v5, v1
	v_lshlrev_b32_e32 v1, 28, v4
	v_cmp_gt_i64_e32 vcc, 0, v[0:1]
	v_not_b32_e32 v1, v1
	v_ashrrev_i32_e32 v1, 31, v1
	v_and_b32_e32 v27, v27, v28
	;; [unrolled: 8-line block ×5, first 2 shown]
	v_xor_b32_e32 v28, vcc_hi, v1
	v_xor_b32_e32 v1, vcc_lo, v1
	v_and_b32_e32 v27, v27, v28
	v_and_b32_e32 v28, v5, v1
	v_lshlrev_b32_e32 v1, 24, v4
	v_cmp_gt_i64_e32 vcc, 0, v[0:1]
	v_not_b32_e32 v1, v1
	v_ashrrev_i32_e32 v1, 31, v1
	v_xor_b32_e32 v4, vcc_hi, v1
	v_xor_b32_e32 v1, vcc_lo, v1
	; wave barrier
	ds_read_b32 v24, v25 offset:64
	v_and_b32_e32 v5, v27, v4
	v_and_b32_e32 v4, v28, v1
	v_mbcnt_lo_u32_b32 v1, v4, 0
	v_mbcnt_hi_u32_b32 v27, v5, v1
	v_cmp_eq_u32_e32 vcc, 0, v27
	v_cmp_ne_u64_e64 s[2:3], 0, v[4:5]
	s_and_b64 s[4:5], s[2:3], vcc
	; wave barrier
	s_and_saveexec_b64 s[2:3], s[4:5]
	s_cbranch_execz .LBB1351_107
; %bb.106:
	v_bcnt_u32_b32 v1, v4, 0
	v_bcnt_u32_b32 v1, v5, v1
	s_waitcnt lgkmcnt(0)
	v_add_u32_e32 v1, v24, v1
	ds_write_b32 v25, v1 offset:64
.LBB1351_107:
	s_or_b64 exec, exec, s[2:3]
	s_waitcnt vmcnt(8)
	v_lshrrev_b32_sdwa v1, s20, v14 dst_sel:DWORD dst_unused:UNUSED_PAD src0_sel:DWORD src1_sel:WORD_0
	v_and_b32_e32 v4, s21, v1
	v_mul_u32_u24_e32 v1, 17, v4
	v_add_lshl_u32 v29, v26, v1, 2
	v_and_b32_e32 v1, 1, v4
	v_add_co_u32_e32 v5, vcc, -1, v1
	v_addc_co_u32_e64 v30, s[2:3], 0, -1, vcc
	v_cmp_ne_u32_e32 vcc, 0, v1
	v_xor_b32_e32 v1, vcc_hi, v30
	v_and_b32_e32 v30, exec_hi, v1
	v_lshlrev_b32_e32 v1, 30, v4
	v_xor_b32_e32 v5, vcc_lo, v5
	v_cmp_gt_i64_e32 vcc, 0, v[0:1]
	v_not_b32_e32 v1, v1
	v_ashrrev_i32_e32 v1, 31, v1
	v_and_b32_e32 v5, exec_lo, v5
	v_xor_b32_e32 v31, vcc_hi, v1
	v_xor_b32_e32 v1, vcc_lo, v1
	v_and_b32_e32 v5, v5, v1
	v_lshlrev_b32_e32 v1, 29, v4
	v_cmp_gt_i64_e32 vcc, 0, v[0:1]
	v_not_b32_e32 v1, v1
	v_ashrrev_i32_e32 v1, 31, v1
	v_and_b32_e32 v30, v30, v31
	v_xor_b32_e32 v31, vcc_hi, v1
	v_xor_b32_e32 v1, vcc_lo, v1
	v_and_b32_e32 v5, v5, v1
	v_lshlrev_b32_e32 v1, 28, v4
	v_cmp_gt_i64_e32 vcc, 0, v[0:1]
	v_not_b32_e32 v1, v1
	v_ashrrev_i32_e32 v1, 31, v1
	v_and_b32_e32 v30, v30, v31
	;; [unrolled: 8-line block ×5, first 2 shown]
	v_xor_b32_e32 v31, vcc_hi, v1
	v_xor_b32_e32 v1, vcc_lo, v1
	v_and_b32_e32 v5, v5, v1
	v_lshlrev_b32_e32 v1, 24, v4
	v_cmp_gt_i64_e32 vcc, 0, v[0:1]
	v_not_b32_e32 v0, v1
	v_ashrrev_i32_e32 v0, 31, v0
	v_xor_b32_e32 v1, vcc_hi, v0
	v_xor_b32_e32 v0, vcc_lo, v0
	; wave barrier
	ds_read_b32 v28, v29 offset:64
	v_and_b32_e32 v30, v30, v31
	v_and_b32_e32 v0, v5, v0
	;; [unrolled: 1-line block ×3, first 2 shown]
	v_mbcnt_lo_u32_b32 v4, v0, 0
	v_mbcnt_hi_u32_b32 v30, v1, v4
	v_cmp_eq_u32_e32 vcc, 0, v30
	v_cmp_ne_u64_e64 s[2:3], 0, v[0:1]
	s_and_b64 s[4:5], s[2:3], vcc
	; wave barrier
	s_and_saveexec_b64 s[2:3], s[4:5]
	s_cbranch_execz .LBB1351_109
; %bb.108:
	v_bcnt_u32_b32 v0, v0, 0
	v_bcnt_u32_b32 v0, v1, v0
	s_waitcnt lgkmcnt(0)
	v_add_u32_e32 v0, v28, v0
	ds_write_b32 v29, v0 offset:64
.LBB1351_109:
	s_or_b64 exec, exec, s[2:3]
	s_waitcnt vmcnt(7)
	v_lshrrev_b32_sdwa v0, s20, v13 dst_sel:DWORD dst_unused:UNUSED_PAD src0_sel:DWORD src1_sel:WORD_0
	v_and_b32_e32 v4, s21, v0
	v_and_b32_e32 v1, 1, v4
	v_add_co_u32_e32 v5, vcc, -1, v1
	v_addc_co_u32_e64 v33, s[2:3], 0, -1, vcc
	v_cmp_ne_u32_e32 vcc, 0, v1
	v_mul_u32_u24_e32 v0, 17, v4
	v_xor_b32_e32 v1, vcc_hi, v33
	v_add_lshl_u32 v32, v26, v0, 2
	v_mov_b32_e32 v0, 0
	v_and_b32_e32 v33, exec_hi, v1
	v_lshlrev_b32_e32 v1, 30, v4
	v_xor_b32_e32 v5, vcc_lo, v5
	v_cmp_gt_i64_e32 vcc, 0, v[0:1]
	v_not_b32_e32 v1, v1
	v_ashrrev_i32_e32 v1, 31, v1
	v_and_b32_e32 v5, exec_lo, v5
	v_xor_b32_e32 v34, vcc_hi, v1
	v_xor_b32_e32 v1, vcc_lo, v1
	v_and_b32_e32 v5, v5, v1
	v_lshlrev_b32_e32 v1, 29, v4
	v_cmp_gt_i64_e32 vcc, 0, v[0:1]
	v_not_b32_e32 v1, v1
	v_ashrrev_i32_e32 v1, 31, v1
	v_and_b32_e32 v33, v33, v34
	v_xor_b32_e32 v34, vcc_hi, v1
	v_xor_b32_e32 v1, vcc_lo, v1
	v_and_b32_e32 v5, v5, v1
	v_lshlrev_b32_e32 v1, 28, v4
	v_cmp_gt_i64_e32 vcc, 0, v[0:1]
	v_not_b32_e32 v1, v1
	v_ashrrev_i32_e32 v1, 31, v1
	v_and_b32_e32 v33, v33, v34
	;; [unrolled: 8-line block ×5, first 2 shown]
	v_xor_b32_e32 v34, vcc_hi, v1
	v_xor_b32_e32 v1, vcc_lo, v1
	v_and_b32_e32 v33, v33, v34
	v_and_b32_e32 v34, v5, v1
	v_lshlrev_b32_e32 v1, 24, v4
	v_cmp_gt_i64_e32 vcc, 0, v[0:1]
	v_not_b32_e32 v1, v1
	v_ashrrev_i32_e32 v1, 31, v1
	v_xor_b32_e32 v4, vcc_hi, v1
	v_xor_b32_e32 v1, vcc_lo, v1
	; wave barrier
	ds_read_b32 v31, v32 offset:64
	v_and_b32_e32 v5, v33, v4
	v_and_b32_e32 v4, v34, v1
	v_mbcnt_lo_u32_b32 v1, v4, 0
	v_mbcnt_hi_u32_b32 v33, v5, v1
	v_cmp_eq_u32_e32 vcc, 0, v33
	v_cmp_ne_u64_e64 s[2:3], 0, v[4:5]
	s_and_b64 s[4:5], s[2:3], vcc
	; wave barrier
	s_and_saveexec_b64 s[2:3], s[4:5]
	s_cbranch_execz .LBB1351_111
; %bb.110:
	v_bcnt_u32_b32 v1, v4, 0
	v_bcnt_u32_b32 v1, v5, v1
	s_waitcnt lgkmcnt(0)
	v_add_u32_e32 v1, v31, v1
	ds_write_b32 v32, v1 offset:64
.LBB1351_111:
	s_or_b64 exec, exec, s[2:3]
	s_waitcnt vmcnt(6)
	v_lshrrev_b32_sdwa v1, s20, v12 dst_sel:DWORD dst_unused:UNUSED_PAD src0_sel:DWORD src1_sel:WORD_0
	v_and_b32_e32 v4, s21, v1
	v_mul_u32_u24_e32 v1, 17, v4
	v_add_lshl_u32 v35, v26, v1, 2
	v_and_b32_e32 v1, 1, v4
	v_add_co_u32_e32 v5, vcc, -1, v1
	v_addc_co_u32_e64 v36, s[2:3], 0, -1, vcc
	v_cmp_ne_u32_e32 vcc, 0, v1
	v_xor_b32_e32 v1, vcc_hi, v36
	v_and_b32_e32 v36, exec_hi, v1
	v_lshlrev_b32_e32 v1, 30, v4
	v_xor_b32_e32 v5, vcc_lo, v5
	v_cmp_gt_i64_e32 vcc, 0, v[0:1]
	v_not_b32_e32 v1, v1
	v_ashrrev_i32_e32 v1, 31, v1
	v_and_b32_e32 v5, exec_lo, v5
	v_xor_b32_e32 v37, vcc_hi, v1
	v_xor_b32_e32 v1, vcc_lo, v1
	v_and_b32_e32 v5, v5, v1
	v_lshlrev_b32_e32 v1, 29, v4
	v_cmp_gt_i64_e32 vcc, 0, v[0:1]
	v_not_b32_e32 v1, v1
	v_ashrrev_i32_e32 v1, 31, v1
	v_and_b32_e32 v36, v36, v37
	v_xor_b32_e32 v37, vcc_hi, v1
	v_xor_b32_e32 v1, vcc_lo, v1
	v_and_b32_e32 v5, v5, v1
	v_lshlrev_b32_e32 v1, 28, v4
	v_cmp_gt_i64_e32 vcc, 0, v[0:1]
	v_not_b32_e32 v1, v1
	v_ashrrev_i32_e32 v1, 31, v1
	v_and_b32_e32 v36, v36, v37
	;; [unrolled: 8-line block ×5, first 2 shown]
	v_xor_b32_e32 v37, vcc_hi, v1
	v_xor_b32_e32 v1, vcc_lo, v1
	v_and_b32_e32 v5, v5, v1
	v_lshlrev_b32_e32 v1, 24, v4
	v_cmp_gt_i64_e32 vcc, 0, v[0:1]
	v_not_b32_e32 v0, v1
	v_ashrrev_i32_e32 v0, 31, v0
	v_xor_b32_e32 v1, vcc_hi, v0
	v_xor_b32_e32 v0, vcc_lo, v0
	; wave barrier
	ds_read_b32 v34, v35 offset:64
	v_and_b32_e32 v36, v36, v37
	v_and_b32_e32 v0, v5, v0
	;; [unrolled: 1-line block ×3, first 2 shown]
	v_mbcnt_lo_u32_b32 v4, v0, 0
	v_mbcnt_hi_u32_b32 v36, v1, v4
	v_cmp_eq_u32_e32 vcc, 0, v36
	v_cmp_ne_u64_e64 s[2:3], 0, v[0:1]
	s_and_b64 s[4:5], s[2:3], vcc
	; wave barrier
	s_and_saveexec_b64 s[2:3], s[4:5]
	s_cbranch_execz .LBB1351_113
; %bb.112:
	v_bcnt_u32_b32 v0, v0, 0
	v_bcnt_u32_b32 v0, v1, v0
	s_waitcnt lgkmcnt(0)
	v_add_u32_e32 v0, v34, v0
	ds_write_b32 v35, v0 offset:64
.LBB1351_113:
	s_or_b64 exec, exec, s[2:3]
	s_waitcnt vmcnt(5)
	v_lshrrev_b32_sdwa v0, s20, v11 dst_sel:DWORD dst_unused:UNUSED_PAD src0_sel:DWORD src1_sel:WORD_0
	v_and_b32_e32 v4, s21, v0
	v_and_b32_e32 v1, 1, v4
	v_add_co_u32_e32 v5, vcc, -1, v1
	v_addc_co_u32_e64 v39, s[2:3], 0, -1, vcc
	v_cmp_ne_u32_e32 vcc, 0, v1
	v_mul_u32_u24_e32 v0, 17, v4
	v_xor_b32_e32 v1, vcc_hi, v39
	v_add_lshl_u32 v38, v26, v0, 2
	v_mov_b32_e32 v0, 0
	v_and_b32_e32 v39, exec_hi, v1
	v_lshlrev_b32_e32 v1, 30, v4
	v_xor_b32_e32 v5, vcc_lo, v5
	v_cmp_gt_i64_e32 vcc, 0, v[0:1]
	v_not_b32_e32 v1, v1
	v_ashrrev_i32_e32 v1, 31, v1
	v_and_b32_e32 v5, exec_lo, v5
	v_xor_b32_e32 v40, vcc_hi, v1
	v_xor_b32_e32 v1, vcc_lo, v1
	v_and_b32_e32 v5, v5, v1
	v_lshlrev_b32_e32 v1, 29, v4
	v_cmp_gt_i64_e32 vcc, 0, v[0:1]
	v_not_b32_e32 v1, v1
	v_ashrrev_i32_e32 v1, 31, v1
	v_and_b32_e32 v39, v39, v40
	v_xor_b32_e32 v40, vcc_hi, v1
	v_xor_b32_e32 v1, vcc_lo, v1
	v_and_b32_e32 v5, v5, v1
	v_lshlrev_b32_e32 v1, 28, v4
	v_cmp_gt_i64_e32 vcc, 0, v[0:1]
	v_not_b32_e32 v1, v1
	v_ashrrev_i32_e32 v1, 31, v1
	v_and_b32_e32 v39, v39, v40
	;; [unrolled: 8-line block ×5, first 2 shown]
	v_xor_b32_e32 v40, vcc_hi, v1
	v_xor_b32_e32 v1, vcc_lo, v1
	v_and_b32_e32 v39, v39, v40
	v_and_b32_e32 v40, v5, v1
	v_lshlrev_b32_e32 v1, 24, v4
	v_cmp_gt_i64_e32 vcc, 0, v[0:1]
	v_not_b32_e32 v1, v1
	v_ashrrev_i32_e32 v1, 31, v1
	v_xor_b32_e32 v4, vcc_hi, v1
	v_xor_b32_e32 v1, vcc_lo, v1
	; wave barrier
	ds_read_b32 v37, v38 offset:64
	v_and_b32_e32 v5, v39, v4
	v_and_b32_e32 v4, v40, v1
	v_mbcnt_lo_u32_b32 v1, v4, 0
	v_mbcnt_hi_u32_b32 v39, v5, v1
	v_cmp_eq_u32_e32 vcc, 0, v39
	v_cmp_ne_u64_e64 s[2:3], 0, v[4:5]
	s_and_b64 s[4:5], s[2:3], vcc
	; wave barrier
	s_and_saveexec_b64 s[2:3], s[4:5]
	s_cbranch_execz .LBB1351_115
; %bb.114:
	v_bcnt_u32_b32 v1, v4, 0
	v_bcnt_u32_b32 v1, v5, v1
	s_waitcnt lgkmcnt(0)
	v_add_u32_e32 v1, v37, v1
	ds_write_b32 v38, v1 offset:64
.LBB1351_115:
	s_or_b64 exec, exec, s[2:3]
	s_waitcnt vmcnt(4)
	v_lshrrev_b32_sdwa v1, s20, v10 dst_sel:DWORD dst_unused:UNUSED_PAD src0_sel:DWORD src1_sel:WORD_0
	v_and_b32_e32 v4, s21, v1
	v_mul_u32_u24_e32 v1, 17, v4
	v_add_lshl_u32 v41, v26, v1, 2
	v_and_b32_e32 v1, 1, v4
	v_add_co_u32_e32 v5, vcc, -1, v1
	v_addc_co_u32_e64 v42, s[2:3], 0, -1, vcc
	v_cmp_ne_u32_e32 vcc, 0, v1
	v_xor_b32_e32 v1, vcc_hi, v42
	v_and_b32_e32 v42, exec_hi, v1
	v_lshlrev_b32_e32 v1, 30, v4
	v_xor_b32_e32 v5, vcc_lo, v5
	v_cmp_gt_i64_e32 vcc, 0, v[0:1]
	v_not_b32_e32 v1, v1
	v_ashrrev_i32_e32 v1, 31, v1
	v_and_b32_e32 v5, exec_lo, v5
	v_xor_b32_e32 v43, vcc_hi, v1
	v_xor_b32_e32 v1, vcc_lo, v1
	v_and_b32_e32 v5, v5, v1
	v_lshlrev_b32_e32 v1, 29, v4
	v_cmp_gt_i64_e32 vcc, 0, v[0:1]
	v_not_b32_e32 v1, v1
	v_ashrrev_i32_e32 v1, 31, v1
	v_and_b32_e32 v42, v42, v43
	v_xor_b32_e32 v43, vcc_hi, v1
	v_xor_b32_e32 v1, vcc_lo, v1
	v_and_b32_e32 v5, v5, v1
	v_lshlrev_b32_e32 v1, 28, v4
	v_cmp_gt_i64_e32 vcc, 0, v[0:1]
	v_not_b32_e32 v1, v1
	v_ashrrev_i32_e32 v1, 31, v1
	v_and_b32_e32 v42, v42, v43
	;; [unrolled: 8-line block ×5, first 2 shown]
	v_xor_b32_e32 v43, vcc_hi, v1
	v_xor_b32_e32 v1, vcc_lo, v1
	v_and_b32_e32 v5, v5, v1
	v_lshlrev_b32_e32 v1, 24, v4
	v_cmp_gt_i64_e32 vcc, 0, v[0:1]
	v_not_b32_e32 v0, v1
	v_ashrrev_i32_e32 v0, 31, v0
	v_xor_b32_e32 v1, vcc_hi, v0
	v_xor_b32_e32 v0, vcc_lo, v0
	; wave barrier
	ds_read_b32 v40, v41 offset:64
	v_and_b32_e32 v42, v42, v43
	v_and_b32_e32 v0, v5, v0
	;; [unrolled: 1-line block ×3, first 2 shown]
	v_mbcnt_lo_u32_b32 v4, v0, 0
	v_mbcnt_hi_u32_b32 v42, v1, v4
	v_cmp_eq_u32_e32 vcc, 0, v42
	v_cmp_ne_u64_e64 s[2:3], 0, v[0:1]
	s_and_b64 s[4:5], s[2:3], vcc
	; wave barrier
	s_and_saveexec_b64 s[2:3], s[4:5]
	s_cbranch_execz .LBB1351_117
; %bb.116:
	v_bcnt_u32_b32 v0, v0, 0
	v_bcnt_u32_b32 v0, v1, v0
	s_waitcnt lgkmcnt(0)
	v_add_u32_e32 v0, v40, v0
	ds_write_b32 v41, v0 offset:64
.LBB1351_117:
	s_or_b64 exec, exec, s[2:3]
	s_waitcnt vmcnt(3)
	v_lshrrev_b32_sdwa v0, s20, v9 dst_sel:DWORD dst_unused:UNUSED_PAD src0_sel:DWORD src1_sel:WORD_0
	v_and_b32_e32 v4, s21, v0
	v_and_b32_e32 v1, 1, v4
	v_add_co_u32_e32 v5, vcc, -1, v1
	v_addc_co_u32_e64 v45, s[2:3], 0, -1, vcc
	v_cmp_ne_u32_e32 vcc, 0, v1
	v_mul_u32_u24_e32 v0, 17, v4
	v_xor_b32_e32 v1, vcc_hi, v45
	v_add_lshl_u32 v44, v26, v0, 2
	v_mov_b32_e32 v0, 0
	v_and_b32_e32 v45, exec_hi, v1
	v_lshlrev_b32_e32 v1, 30, v4
	v_xor_b32_e32 v5, vcc_lo, v5
	v_cmp_gt_i64_e32 vcc, 0, v[0:1]
	v_not_b32_e32 v1, v1
	v_ashrrev_i32_e32 v1, 31, v1
	v_and_b32_e32 v5, exec_lo, v5
	v_xor_b32_e32 v46, vcc_hi, v1
	v_xor_b32_e32 v1, vcc_lo, v1
	v_and_b32_e32 v5, v5, v1
	v_lshlrev_b32_e32 v1, 29, v4
	v_cmp_gt_i64_e32 vcc, 0, v[0:1]
	v_not_b32_e32 v1, v1
	v_ashrrev_i32_e32 v1, 31, v1
	v_and_b32_e32 v45, v45, v46
	v_xor_b32_e32 v46, vcc_hi, v1
	v_xor_b32_e32 v1, vcc_lo, v1
	v_and_b32_e32 v5, v5, v1
	v_lshlrev_b32_e32 v1, 28, v4
	v_cmp_gt_i64_e32 vcc, 0, v[0:1]
	v_not_b32_e32 v1, v1
	v_ashrrev_i32_e32 v1, 31, v1
	v_and_b32_e32 v45, v45, v46
	;; [unrolled: 8-line block ×5, first 2 shown]
	v_xor_b32_e32 v46, vcc_hi, v1
	v_xor_b32_e32 v1, vcc_lo, v1
	v_and_b32_e32 v45, v45, v46
	v_and_b32_e32 v46, v5, v1
	v_lshlrev_b32_e32 v1, 24, v4
	v_cmp_gt_i64_e32 vcc, 0, v[0:1]
	v_not_b32_e32 v1, v1
	v_ashrrev_i32_e32 v1, 31, v1
	v_xor_b32_e32 v4, vcc_hi, v1
	v_xor_b32_e32 v1, vcc_lo, v1
	; wave barrier
	ds_read_b32 v43, v44 offset:64
	v_and_b32_e32 v5, v45, v4
	v_and_b32_e32 v4, v46, v1
	v_mbcnt_lo_u32_b32 v1, v4, 0
	v_mbcnt_hi_u32_b32 v45, v5, v1
	v_cmp_eq_u32_e32 vcc, 0, v45
	v_cmp_ne_u64_e64 s[2:3], 0, v[4:5]
	s_and_b64 s[4:5], s[2:3], vcc
	; wave barrier
	s_and_saveexec_b64 s[2:3], s[4:5]
	s_cbranch_execz .LBB1351_119
; %bb.118:
	v_bcnt_u32_b32 v1, v4, 0
	v_bcnt_u32_b32 v1, v5, v1
	s_waitcnt lgkmcnt(0)
	v_add_u32_e32 v1, v43, v1
	ds_write_b32 v44, v1 offset:64
.LBB1351_119:
	s_or_b64 exec, exec, s[2:3]
	s_waitcnt vmcnt(2)
	v_lshrrev_b32_sdwa v1, s20, v8 dst_sel:DWORD dst_unused:UNUSED_PAD src0_sel:DWORD src1_sel:WORD_0
	v_and_b32_e32 v4, s21, v1
	v_mul_u32_u24_e32 v1, 17, v4
	v_add_lshl_u32 v47, v26, v1, 2
	v_and_b32_e32 v1, 1, v4
	v_add_co_u32_e32 v5, vcc, -1, v1
	v_addc_co_u32_e64 v48, s[2:3], 0, -1, vcc
	v_cmp_ne_u32_e32 vcc, 0, v1
	v_xor_b32_e32 v1, vcc_hi, v48
	v_and_b32_e32 v48, exec_hi, v1
	v_lshlrev_b32_e32 v1, 30, v4
	v_xor_b32_e32 v5, vcc_lo, v5
	v_cmp_gt_i64_e32 vcc, 0, v[0:1]
	v_not_b32_e32 v1, v1
	v_ashrrev_i32_e32 v1, 31, v1
	v_and_b32_e32 v5, exec_lo, v5
	v_xor_b32_e32 v49, vcc_hi, v1
	v_xor_b32_e32 v1, vcc_lo, v1
	v_and_b32_e32 v5, v5, v1
	v_lshlrev_b32_e32 v1, 29, v4
	v_cmp_gt_i64_e32 vcc, 0, v[0:1]
	v_not_b32_e32 v1, v1
	v_ashrrev_i32_e32 v1, 31, v1
	v_and_b32_e32 v48, v48, v49
	v_xor_b32_e32 v49, vcc_hi, v1
	v_xor_b32_e32 v1, vcc_lo, v1
	v_and_b32_e32 v5, v5, v1
	v_lshlrev_b32_e32 v1, 28, v4
	v_cmp_gt_i64_e32 vcc, 0, v[0:1]
	v_not_b32_e32 v1, v1
	v_ashrrev_i32_e32 v1, 31, v1
	v_and_b32_e32 v48, v48, v49
	;; [unrolled: 8-line block ×5, first 2 shown]
	v_xor_b32_e32 v49, vcc_hi, v1
	v_xor_b32_e32 v1, vcc_lo, v1
	v_and_b32_e32 v5, v5, v1
	v_lshlrev_b32_e32 v1, 24, v4
	v_cmp_gt_i64_e32 vcc, 0, v[0:1]
	v_not_b32_e32 v0, v1
	v_ashrrev_i32_e32 v0, 31, v0
	v_xor_b32_e32 v1, vcc_hi, v0
	v_xor_b32_e32 v0, vcc_lo, v0
	; wave barrier
	ds_read_b32 v46, v47 offset:64
	v_and_b32_e32 v48, v48, v49
	v_and_b32_e32 v0, v5, v0
	;; [unrolled: 1-line block ×3, first 2 shown]
	v_mbcnt_lo_u32_b32 v4, v0, 0
	v_mbcnt_hi_u32_b32 v48, v1, v4
	v_cmp_eq_u32_e32 vcc, 0, v48
	v_cmp_ne_u64_e64 s[2:3], 0, v[0:1]
	s_and_b64 s[4:5], s[2:3], vcc
	; wave barrier
	s_and_saveexec_b64 s[2:3], s[4:5]
	s_cbranch_execz .LBB1351_121
; %bb.120:
	v_bcnt_u32_b32 v0, v0, 0
	v_bcnt_u32_b32 v0, v1, v0
	s_waitcnt lgkmcnt(0)
	v_add_u32_e32 v0, v46, v0
	ds_write_b32 v47, v0 offset:64
.LBB1351_121:
	s_or_b64 exec, exec, s[2:3]
	s_waitcnt vmcnt(1)
	v_lshrrev_b32_sdwa v0, s20, v7 dst_sel:DWORD dst_unused:UNUSED_PAD src0_sel:DWORD src1_sel:WORD_0
	v_and_b32_e32 v4, s21, v0
	v_and_b32_e32 v1, 1, v4
	v_add_co_u32_e32 v5, vcc, -1, v1
	v_addc_co_u32_e64 v51, s[2:3], 0, -1, vcc
	v_cmp_ne_u32_e32 vcc, 0, v1
	v_mul_u32_u24_e32 v0, 17, v4
	v_xor_b32_e32 v1, vcc_hi, v51
	v_add_lshl_u32 v50, v26, v0, 2
	v_mov_b32_e32 v0, 0
	v_and_b32_e32 v51, exec_hi, v1
	v_lshlrev_b32_e32 v1, 30, v4
	v_xor_b32_e32 v5, vcc_lo, v5
	v_cmp_gt_i64_e32 vcc, 0, v[0:1]
	v_not_b32_e32 v1, v1
	v_ashrrev_i32_e32 v1, 31, v1
	v_and_b32_e32 v5, exec_lo, v5
	v_xor_b32_e32 v52, vcc_hi, v1
	v_xor_b32_e32 v1, vcc_lo, v1
	v_and_b32_e32 v5, v5, v1
	v_lshlrev_b32_e32 v1, 29, v4
	v_cmp_gt_i64_e32 vcc, 0, v[0:1]
	v_not_b32_e32 v1, v1
	v_ashrrev_i32_e32 v1, 31, v1
	v_and_b32_e32 v51, v51, v52
	v_xor_b32_e32 v52, vcc_hi, v1
	v_xor_b32_e32 v1, vcc_lo, v1
	v_and_b32_e32 v5, v5, v1
	v_lshlrev_b32_e32 v1, 28, v4
	v_cmp_gt_i64_e32 vcc, 0, v[0:1]
	v_not_b32_e32 v1, v1
	v_ashrrev_i32_e32 v1, 31, v1
	v_and_b32_e32 v51, v51, v52
	;; [unrolled: 8-line block ×5, first 2 shown]
	v_xor_b32_e32 v52, vcc_hi, v1
	v_xor_b32_e32 v1, vcc_lo, v1
	v_and_b32_e32 v51, v51, v52
	v_and_b32_e32 v52, v5, v1
	v_lshlrev_b32_e32 v1, 24, v4
	v_cmp_gt_i64_e32 vcc, 0, v[0:1]
	v_not_b32_e32 v1, v1
	v_ashrrev_i32_e32 v1, 31, v1
	v_xor_b32_e32 v4, vcc_hi, v1
	v_xor_b32_e32 v1, vcc_lo, v1
	; wave barrier
	ds_read_b32 v49, v50 offset:64
	v_and_b32_e32 v5, v51, v4
	v_and_b32_e32 v4, v52, v1
	v_mbcnt_lo_u32_b32 v1, v4, 0
	v_mbcnt_hi_u32_b32 v51, v5, v1
	v_cmp_eq_u32_e32 vcc, 0, v51
	v_cmp_ne_u64_e64 s[2:3], 0, v[4:5]
	s_and_b64 s[4:5], s[2:3], vcc
	; wave barrier
	s_and_saveexec_b64 s[2:3], s[4:5]
	s_cbranch_execz .LBB1351_123
; %bb.122:
	v_bcnt_u32_b32 v1, v4, 0
	v_bcnt_u32_b32 v1, v5, v1
	s_waitcnt lgkmcnt(0)
	v_add_u32_e32 v1, v49, v1
	ds_write_b32 v50, v1 offset:64
.LBB1351_123:
	s_or_b64 exec, exec, s[2:3]
	s_waitcnt vmcnt(0)
	v_lshrrev_b32_sdwa v1, s20, v6 dst_sel:DWORD dst_unused:UNUSED_PAD src0_sel:DWORD src1_sel:WORD_0
	v_and_b32_e32 v4, s21, v1
	v_mul_u32_u24_e32 v1, 17, v4
	v_add_lshl_u32 v53, v26, v1, 2
	v_and_b32_e32 v1, 1, v4
	v_add_co_u32_e32 v5, vcc, -1, v1
	v_addc_co_u32_e64 v26, s[2:3], 0, -1, vcc
	v_cmp_ne_u32_e32 vcc, 0, v1
	v_xor_b32_e32 v1, vcc_hi, v26
	v_and_b32_e32 v26, exec_hi, v1
	v_lshlrev_b32_e32 v1, 30, v4
	v_xor_b32_e32 v5, vcc_lo, v5
	v_cmp_gt_i64_e32 vcc, 0, v[0:1]
	v_not_b32_e32 v1, v1
	v_ashrrev_i32_e32 v1, 31, v1
	v_and_b32_e32 v5, exec_lo, v5
	v_xor_b32_e32 v55, vcc_hi, v1
	v_xor_b32_e32 v1, vcc_lo, v1
	v_and_b32_e32 v5, v5, v1
	v_lshlrev_b32_e32 v1, 29, v4
	v_cmp_gt_i64_e32 vcc, 0, v[0:1]
	v_not_b32_e32 v1, v1
	v_ashrrev_i32_e32 v1, 31, v1
	v_and_b32_e32 v26, v26, v55
	v_xor_b32_e32 v55, vcc_hi, v1
	v_xor_b32_e32 v1, vcc_lo, v1
	v_and_b32_e32 v5, v5, v1
	v_lshlrev_b32_e32 v1, 28, v4
	v_cmp_gt_i64_e32 vcc, 0, v[0:1]
	v_not_b32_e32 v1, v1
	v_ashrrev_i32_e32 v1, 31, v1
	v_and_b32_e32 v26, v26, v55
	;; [unrolled: 8-line block ×5, first 2 shown]
	v_xor_b32_e32 v55, vcc_hi, v1
	v_xor_b32_e32 v1, vcc_lo, v1
	v_and_b32_e32 v5, v5, v1
	v_lshlrev_b32_e32 v1, 24, v4
	v_cmp_gt_i64_e32 vcc, 0, v[0:1]
	v_not_b32_e32 v0, v1
	v_ashrrev_i32_e32 v0, 31, v0
	v_xor_b32_e32 v1, vcc_hi, v0
	v_xor_b32_e32 v0, vcc_lo, v0
	; wave barrier
	ds_read_b32 v52, v53 offset:64
	v_and_b32_e32 v26, v26, v55
	v_and_b32_e32 v0, v5, v0
	;; [unrolled: 1-line block ×3, first 2 shown]
	v_mbcnt_lo_u32_b32 v4, v0, 0
	v_mbcnt_hi_u32_b32 v55, v1, v4
	v_cmp_eq_u32_e32 vcc, 0, v55
	v_cmp_ne_u64_e64 s[2:3], 0, v[0:1]
	v_add_u32_e32 v54, 64, v18
	s_and_b64 s[4:5], s[2:3], vcc
	; wave barrier
	s_and_saveexec_b64 s[2:3], s[4:5]
	s_cbranch_execz .LBB1351_125
; %bb.124:
	v_bcnt_u32_b32 v0, v0, 0
	v_bcnt_u32_b32 v0, v1, v0
	s_waitcnt lgkmcnt(0)
	v_add_u32_e32 v0, v52, v0
	ds_write_b32 v53, v0 offset:64
.LBB1351_125:
	s_or_b64 exec, exec, s[2:3]
	; wave barrier
	s_waitcnt lgkmcnt(0)
	s_barrier
	ds_read2_b32 v[4:5], v18 offset0:16 offset1:17
	ds_read2_b32 v[0:1], v54 offset0:2 offset1:3
	ds_read_b32 v26, v54 offset:16
	v_cmp_lt_u32_e64 s[8:9], 31, v17
	s_waitcnt lgkmcnt(1)
	v_add3_u32 v56, v5, v4, v0
	s_waitcnt lgkmcnt(0)
	v_add3_u32 v26, v56, v1, v26
	v_and_b32_e32 v56, 15, v17
	v_cmp_eq_u32_e32 vcc, 0, v56
	v_mov_b32_dpp v57, v26 row_shr:1 row_mask:0xf bank_mask:0xf
	v_cndmask_b32_e64 v57, v57, 0, vcc
	v_add_u32_e32 v26, v57, v26
	v_cmp_lt_u32_e64 s[2:3], 1, v56
	v_cmp_lt_u32_e64 s[4:5], 3, v56
	v_mov_b32_dpp v57, v26 row_shr:2 row_mask:0xf bank_mask:0xf
	v_cndmask_b32_e64 v57, 0, v57, s[2:3]
	v_add_u32_e32 v26, v26, v57
	v_cmp_lt_u32_e64 s[6:7], 7, v56
	s_nop 0
	v_mov_b32_dpp v57, v26 row_shr:4 row_mask:0xf bank_mask:0xf
	v_cndmask_b32_e64 v57, 0, v57, s[4:5]
	v_add_u32_e32 v26, v26, v57
	s_nop 1
	v_mov_b32_dpp v57, v26 row_shr:8 row_mask:0xf bank_mask:0xf
	v_cndmask_b32_e64 v56, 0, v57, s[6:7]
	v_add_u32_e32 v26, v26, v56
	v_bfe_i32 v57, v17, 4, 1
	s_nop 0
	v_mov_b32_dpp v56, v26 row_bcast:15 row_mask:0xf bank_mask:0xf
	v_and_b32_e32 v56, v57, v56
	v_add_u32_e32 v26, v26, v56
	v_lshrrev_b32_e32 v57, 6, v2
	s_nop 0
	v_mov_b32_dpp v56, v26 row_bcast:31 row_mask:0xf bank_mask:0xf
	v_cndmask_b32_e64 v56, 0, v56, s[8:9]
	v_add_u32_e32 v56, v26, v56
	v_and_b32_e32 v26, 63, v2
	v_cmp_eq_u32_e64 s[8:9], 63, v26
	s_and_saveexec_b64 s[12:13], s[8:9]
	s_cbranch_execz .LBB1351_127
; %bb.126:
	v_lshlrev_b32_e32 v26, 2, v57
	ds_write_b32 v26, v56
.LBB1351_127:
	s_or_b64 exec, exec, s[12:13]
	v_cmp_gt_u32_e64 s[8:9], 16, v2
	v_lshlrev_b32_e32 v26, 2, v2
	s_waitcnt lgkmcnt(0)
	s_barrier
	s_and_saveexec_b64 s[12:13], s[8:9]
	s_cbranch_execz .LBB1351_129
; %bb.128:
	ds_read_b32 v58, v26
	s_waitcnt lgkmcnt(0)
	s_nop 0
	v_mov_b32_dpp v59, v58 row_shr:1 row_mask:0xf bank_mask:0xf
	v_cndmask_b32_e64 v59, v59, 0, vcc
	v_add_u32_e32 v58, v59, v58
	s_nop 1
	v_mov_b32_dpp v59, v58 row_shr:2 row_mask:0xf bank_mask:0xf
	v_cndmask_b32_e64 v59, 0, v59, s[2:3]
	v_add_u32_e32 v58, v58, v59
	s_nop 1
	v_mov_b32_dpp v59, v58 row_shr:4 row_mask:0xf bank_mask:0xf
	v_cndmask_b32_e64 v59, 0, v59, s[4:5]
	;; [unrolled: 4-line block ×3, first 2 shown]
	v_add_u32_e32 v58, v58, v59
	ds_write_b32 v26, v58
.LBB1351_129:
	s_or_b64 exec, exec, s[12:13]
	v_cmp_lt_u32_e32 vcc, 63, v2
	v_mov_b32_e32 v58, 0
	s_waitcnt lgkmcnt(0)
	s_barrier
	s_and_saveexec_b64 s[2:3], vcc
	s_cbranch_execz .LBB1351_131
; %bb.130:
	v_lshl_add_u32 v57, v57, 2, -4
	ds_read_b32 v58, v57
.LBB1351_131:
	s_or_b64 exec, exec, s[2:3]
	v_add_u32_e32 v57, -1, v17
	v_and_b32_e32 v59, 64, v17
	v_cmp_lt_i32_e32 vcc, v57, v59
	v_cndmask_b32_e32 v57, v57, v17, vcc
	s_waitcnt lgkmcnt(0)
	v_add_u32_e32 v56, v58, v56
	v_lshlrev_b32_e32 v57, 2, v57
	ds_bpermute_b32 v56, v57, v56
	v_cmp_eq_u32_e32 vcc, 0, v17
	s_movk_i32 s2, 0xff
	s_movk_i32 s3, 0x100
	s_waitcnt lgkmcnt(0)
	v_cndmask_b32_e32 v17, v56, v58, vcc
	v_cndmask_b32_e64 v17, v17, 0, s[0:1]
	v_add_u32_e32 v4, v17, v4
	v_add_u32_e32 v5, v4, v5
	;; [unrolled: 1-line block ×4, first 2 shown]
	ds_write2_b32 v18, v17, v4 offset0:16 offset1:17
	ds_write2_b32 v54, v5, v0 offset0:2 offset1:3
	ds_write_b32 v54, v1 offset:16
	s_waitcnt lgkmcnt(0)
	s_barrier
	ds_read_b32 v58, v19 offset:64
	ds_read_b32 v57, v22 offset:64
	;; [unrolled: 1-line block ×12, first 2 shown]
	v_cmp_lt_u32_e64 s[0:1], s2, v2
	v_cmp_gt_u32_e32 vcc, s3, v2
                                        ; implicit-def: $vgpr17
                                        ; implicit-def: $vgpr18
	s_and_saveexec_b64 s[4:5], vcc
	s_cbranch_execz .LBB1351_135
; %bb.132:
	v_mul_u32_u24_e32 v17, 17, v2
	v_lshlrev_b32_e32 v32, 2, v17
	ds_read_b32 v17, v32 offset:64
	v_cmp_ne_u32_e64 s[2:3], s2, v2
	v_mov_b32_e32 v18, 0x3000
	s_and_saveexec_b64 s[6:7], s[2:3]
	s_cbranch_execz .LBB1351_134
; %bb.133:
	ds_read_b32 v18, v32 offset:132
.LBB1351_134:
	s_or_b64 exec, exec, s[6:7]
	s_waitcnt lgkmcnt(0)
	v_sub_u32_e32 v18, v18, v17
.LBB1351_135:
	s_or_b64 exec, exec, s[4:5]
	v_add_u32_e32 v21, v23, v21
	s_waitcnt lgkmcnt(11)
	v_add_lshl_u32 v20, v58, v20, 1
	v_add_u32_e32 v24, v27, v24
	s_waitcnt lgkmcnt(0)
	s_barrier
	ds_write_b16 v20, v3 offset:1024
	v_add_lshl_u32 v3, v21, v57, 1
	v_add_u32_e32 v28, v30, v28
	ds_write_b16 v3, v16 offset:1024
	v_add_lshl_u32 v3, v24, v56, 1
	v_add_u32_e32 v31, v33, v31
	;; [unrolled: 3-line block ×7, first 2 shown]
	v_add_u32_e32 v35, v51, v49
	v_add_u32_e32 v38, v48, v46
	ds_write_b16 v3, v10 offset:1024
	v_add_lshl_u32 v3, v41, v5, 1
	ds_write_b16 v3, v9 offset:1024
	v_add_lshl_u32 v3, v38, v4, 1
	v_add_lshl_u32 v1, v35, v1, 1
	;; [unrolled: 1-line block ×3, first 2 shown]
	ds_write_b16 v3, v8 offset:1024
	ds_write_b16 v1, v7 offset:1024
	;; [unrolled: 1-line block ×3, first 2 shown]
	s_and_saveexec_b64 s[2:3], s[0:1]
	s_xor_b64 s[0:1], exec, s[2:3]
; %bb.136:
	v_mov_b32_e32 v3, 0
                                        ; implicit-def: $vgpr26
; %bb.137:
	s_andn2_saveexec_b64 s[2:3], s[0:1]
	s_cbranch_execz .LBB1351_147
; %bb.138:
	v_lshl_or_b32 v0, s30, 8, v2
	v_mov_b32_e32 v1, 0
	v_lshlrev_b64 v[4:5], 2, v[0:1]
	v_mov_b32_e32 v3, s15
	v_add_co_u32_e64 v4, s[0:1], s14, v4
	v_addc_co_u32_e64 v5, s[0:1], v3, v5, s[0:1]
	v_or_b32_e32 v0, 2.0, v18
	s_mov_b64 s[4:5], 0
	s_brev_b32 s12, 1
	s_mov_b32 s13, s30
	v_mov_b32_e32 v8, 0
	global_store_dword v[4:5], v0, off
                                        ; implicit-def: $sgpr0_sgpr1
	s_branch .LBB1351_141
.LBB1351_139:                           ;   in Loop: Header=BB1351_141 Depth=1
	s_or_b64 exec, exec, s[8:9]
.LBB1351_140:                           ;   in Loop: Header=BB1351_141 Depth=1
	s_or_b64 exec, exec, s[6:7]
	v_and_b32_e32 v6, 0x3fffffff, v9
	v_add_u32_e32 v8, v6, v8
	v_cmp_eq_u32_e64 s[0:1], s12, v0
	s_and_b64 s[6:7], exec, s[0:1]
	s_or_b64 s[4:5], s[6:7], s[4:5]
	s_andn2_b64 exec, exec, s[4:5]
	s_cbranch_execz .LBB1351_146
.LBB1351_141:                           ; =>This Loop Header: Depth=1
                                        ;     Child Loop BB1351_144 Depth 2
	s_or_b64 s[0:1], s[0:1], exec
	s_cmp_eq_u32 s13, 0
	s_cbranch_scc1 .LBB1351_145
; %bb.142:                              ;   in Loop: Header=BB1351_141 Depth=1
	s_add_i32 s13, s13, -1
	v_lshl_or_b32 v0, s13, 8, v2
	v_lshlrev_b64 v[6:7], 2, v[0:1]
	v_add_co_u32_e64 v6, s[0:1], s14, v6
	v_addc_co_u32_e64 v7, s[0:1], v3, v7, s[0:1]
	global_load_dword v9, v[6:7], off glc
	s_waitcnt vmcnt(0)
	v_and_b32_e32 v0, -2.0, v9
	v_cmp_eq_u32_e64 s[0:1], 0, v0
	s_and_saveexec_b64 s[6:7], s[0:1]
	s_cbranch_execz .LBB1351_140
; %bb.143:                              ;   in Loop: Header=BB1351_141 Depth=1
	s_mov_b64 s[8:9], 0
.LBB1351_144:                           ;   Parent Loop BB1351_141 Depth=1
                                        ; =>  This Inner Loop Header: Depth=2
	global_load_dword v9, v[6:7], off glc
	s_waitcnt vmcnt(0)
	v_and_b32_e32 v0, -2.0, v9
	v_cmp_ne_u32_e64 s[0:1], 0, v0
	s_or_b64 s[8:9], s[0:1], s[8:9]
	s_andn2_b64 exec, exec, s[8:9]
	s_cbranch_execnz .LBB1351_144
	s_branch .LBB1351_139
.LBB1351_145:                           ;   in Loop: Header=BB1351_141 Depth=1
                                        ; implicit-def: $sgpr13
	s_and_b64 s[6:7], exec, s[0:1]
	s_or_b64 s[4:5], s[6:7], s[4:5]
	s_andn2_b64 exec, exec, s[4:5]
	s_cbranch_execnz .LBB1351_141
.LBB1351_146:
	s_or_b64 exec, exec, s[4:5]
	v_add_u32_e32 v0, v8, v18
	v_or_b32_e32 v0, 0x80000000, v0
	global_store_dword v[4:5], v0, off
	global_load_dword v0, v26, s[16:17]
	v_sub_u32_e32 v1, v8, v17
	v_mov_b32_e32 v3, 0
	s_waitcnt vmcnt(0)
	v_add_u32_e32 v0, v1, v0
	ds_write_b32 v26, v0
.LBB1351_147:
	s_or_b64 exec, exec, s[2:3]
	v_lshlrev_b32_e32 v0, 1, v2
	s_waitcnt lgkmcnt(0)
	s_barrier
	v_lshlrev_b32_e32 v1, 1, v2
	ds_read_u16 v6, v0 offset:1024
	ds_read_u16 v7, v1 offset:3072
	;; [unrolled: 1-line block ×7, first 2 shown]
	s_waitcnt lgkmcnt(6)
	v_lshrrev_b32_sdwa v0, s20, v6 dst_sel:DWORD dst_unused:UNUSED_PAD src0_sel:DWORD src1_sel:WORD_0
	s_waitcnt lgkmcnt(4)
	v_lshrrev_b32_sdwa v5, s20, v8 dst_sel:DWORD dst_unused:UNUSED_PAD src0_sel:DWORD src1_sel:WORD_0
	v_and_b32_e32 v0, s21, v0
	v_lshrrev_b32_sdwa v4, s20, v7 dst_sel:DWORD dst_unused:UNUSED_PAD src0_sel:DWORD src1_sel:WORD_0
	v_and_b32_e32 v5, s21, v5
	v_lshlrev_b32_e32 v0, 2, v0
	v_and_b32_e32 v4, s21, v4
	v_lshlrev_b32_e32 v5, 2, v5
	v_lshlrev_b32_e32 v4, 2, v4
	ds_read_b32 v13, v5
	ds_read_b32 v0, v0
	ds_read_u16 v14, v1 offset:5120
	ds_read_u16 v15, v1 offset:9216
	;; [unrolled: 1-line block ×4, first 2 shown]
	ds_read_b32 v20, v4
	ds_read_u16 v21, v1 offset:21504
	s_waitcnt lgkmcnt(6)
	v_add_u32_e32 v0, v0, v2
	v_mov_b32_e32 v1, 0
	v_lshlrev_b64 v[4:5], 1, v[0:1]
	v_mov_b32_e32 v0, s27
	v_add_co_u32_e64 v4, s[0:1], s26, v4
	v_addc_co_u32_e64 v5, s[0:1], v0, v5, s[0:1]
	s_movk_i32 s0, 0x400
	s_waitcnt lgkmcnt(1)
	v_add3_u32 v0, v20, v2, s0
	global_store_short v[4:5], v6, off
	v_lshlrev_b64 v[4:5], 1, v[0:1]
	v_mov_b32_e32 v0, s27
	v_add_co_u32_e64 v4, s[0:1], s26, v4
	v_addc_co_u32_e64 v5, s[0:1], v0, v5, s[0:1]
	global_store_short v[4:5], v7, off
	v_lshrrev_b32_sdwa v0, s20, v14 dst_sel:DWORD dst_unused:UNUSED_PAD src0_sel:DWORD src1_sel:WORD_0
	v_lshrrev_b32_sdwa v6, s20, v16 dst_sel:DWORD dst_unused:UNUSED_PAD src0_sel:DWORD src1_sel:WORD_0
	;; [unrolled: 1-line block ×5, first 2 shown]
	s_waitcnt lgkmcnt(0)
	v_lshrrev_b32_sdwa v23, s20, v21 dst_sel:DWORD dst_unused:UNUSED_PAD src0_sel:DWORD src1_sel:WORD_0
	v_and_b32_e32 v0, s21, v0
	v_lshrrev_b32_sdwa v4, s20, v15 dst_sel:DWORD dst_unused:UNUSED_PAD src0_sel:DWORD src1_sel:WORD_0
	v_lshrrev_b32_sdwa v5, s20, v9 dst_sel:DWORD dst_unused:UNUSED_PAD src0_sel:DWORD src1_sel:WORD_0
	v_and_b32_e32 v6, s21, v6
	v_and_b32_e32 v7, s21, v7
	;; [unrolled: 1-line block ×5, first 2 shown]
	v_lshlrev_b32_e32 v0, 2, v0
	v_and_b32_e32 v4, s21, v4
	v_and_b32_e32 v5, s21, v5
	v_lshlrev_b32_e32 v6, 2, v6
	v_lshlrev_b32_e32 v7, 2, v7
	;; [unrolled: 1-line block ×5, first 2 shown]
	s_movk_i32 s0, 0x800
	v_lshlrev_b32_e32 v4, 2, v4
	v_lshlrev_b32_e32 v5, 2, v5
	ds_read_b32 v0, v0
	ds_read_b32 v24, v4
	;; [unrolled: 1-line block ×8, first 2 shown]
	s_waitcnt lgkmcnt(7)
	v_add3_u32 v0, v0, v2, s0
	v_lshlrev_b64 v[4:5], 1, v[0:1]
	v_mov_b32_e32 v0, s27
	v_add_co_u32_e64 v4, s[0:1], s26, v4
	v_addc_co_u32_e64 v5, s[0:1], v0, v5, s[0:1]
	s_movk_i32 s0, 0xc00
	v_add3_u32 v0, v13, v2, s0
	global_store_short v[4:5], v14, off
	v_lshlrev_b64 v[4:5], 1, v[0:1]
	v_mov_b32_e32 v0, s27
	v_add_co_u32_e64 v4, s[0:1], s26, v4
	v_addc_co_u32_e64 v5, s[0:1], v0, v5, s[0:1]
	s_movk_i32 s0, 0x1000
	s_waitcnt lgkmcnt(6)
	v_add3_u32 v0, v24, v2, s0
	global_store_short v[4:5], v8, off
	v_lshlrev_b64 v[4:5], 1, v[0:1]
	v_mov_b32_e32 v0, s27
	v_add_co_u32_e64 v4, s[0:1], s26, v4
	v_addc_co_u32_e64 v5, s[0:1], v0, v5, s[0:1]
	s_movk_i32 s0, 0x1400
	s_waitcnt lgkmcnt(5)
	;; [unrolled: 8-line block ×6, first 2 shown]
	v_add3_u32 v0, v22, v2, s0
	global_store_short v[4:5], v19, off
	v_lshlrev_b64 v[4:5], 1, v[0:1]
	v_mov_b32_e32 v0, s27
	v_add_co_u32_e64 v4, s[0:1], s26, v4
	v_lshrrev_b32_sdwa v6, s20, v12 dst_sel:DWORD dst_unused:UNUSED_PAD src0_sel:DWORD src1_sel:WORD_0
	v_addc_co_u32_e64 v5, s[0:1], v0, v5, s[0:1]
	v_and_b32_e32 v6, s21, v6
	s_movk_i32 s0, 0x2800
	v_lshlrev_b32_e32 v6, 2, v6
	s_waitcnt lgkmcnt(0)
	v_add3_u32 v0, v23, v2, s0
	ds_read_b32 v6, v6
	global_store_short v[4:5], v11, off
	v_lshlrev_b64 v[4:5], 1, v[0:1]
	v_mov_b32_e32 v0, s27
	v_add_co_u32_e64 v4, s[0:1], s26, v4
	v_addc_co_u32_e64 v5, s[0:1], v0, v5, s[0:1]
	s_movk_i32 s0, 0x2c00
	s_waitcnt lgkmcnt(0)
	v_add3_u32 v0, v6, v2, s0
	v_lshlrev_b64 v[0:1], 1, v[0:1]
	global_store_short v[4:5], v21, off
	v_mov_b32_e32 v4, s27
	v_add_co_u32_e64 v0, s[0:1], s26, v0
	s_add_i32 s22, s22, -1
	v_addc_co_u32_e64 v1, s[0:1], v4, v1, s[0:1]
	s_cmp_eq_u32 s22, s30
	s_cselect_b64 s[0:1], -1, 0
	s_and_b64 s[2:3], vcc, s[0:1]
	global_store_short v[0:1], v12, off
                                        ; implicit-def: $vgpr4
	s_and_saveexec_b64 s[0:1], s[2:3]
; %bb.148:
	v_add_u32_e32 v4, v17, v18
	s_or_b64 s[10:11], s[10:11], exec
; %bb.149:
	s_or_b64 exec, exec, s[0:1]
.LBB1351_150:
	s_and_saveexec_b64 s[0:1], s[10:11]
	s_cbranch_execnz .LBB1351_152
; %bb.151:
	s_endpgm
.LBB1351_152:
	v_lshlrev_b32_e32 v5, 2, v2
	v_lshlrev_b64 v[0:1], 2, v[2:3]
	ds_read_b32 v3, v5
	v_mov_b32_e32 v2, s19
	v_add_co_u32_e32 v0, vcc, s18, v0
	v_addc_co_u32_e32 v1, vcc, v2, v1, vcc
	s_waitcnt lgkmcnt(0)
	v_add_u32_e32 v2, v3, v4
	global_store_dword v[0:1], v2, off
	s_endpgm
	.section	.rodata,"a",@progbits
	.p2align	6, 0x0
	.amdhsa_kernel _ZN7rocprim17ROCPRIM_400000_NS6detail17trampoline_kernelINS0_14default_configENS1_35radix_sort_onesweep_config_selectorItNS0_10empty_typeEEEZZNS1_29radix_sort_onesweep_iterationIS3_Lb0EN6thrust23THRUST_200600_302600_NS6detail15normal_iteratorINS9_10device_ptrItEEEESE_PS5_SF_jNS0_19identity_decomposerENS1_16block_id_wrapperIjLb1EEEEE10hipError_tT1_PNSt15iterator_traitsISK_E10value_typeET2_T3_PNSL_ISQ_E10value_typeET4_T5_PSV_SW_PNS1_23onesweep_lookback_stateEbbT6_jjT7_P12ihipStream_tbENKUlT_T0_SK_SP_E_clISE_PtSF_SF_EEDaS13_S14_SK_SP_EUlS13_E_NS1_11comp_targetILNS1_3genE4ELNS1_11target_archE910ELNS1_3gpuE8ELNS1_3repE0EEENS1_47radix_sort_onesweep_sort_config_static_selectorELNS0_4arch9wavefront6targetE1EEEvSK_
		.amdhsa_group_segment_fixed_size 25608
		.amdhsa_private_segment_fixed_size 0
		.amdhsa_kernarg_size 344
		.amdhsa_user_sgpr_count 6
		.amdhsa_user_sgpr_private_segment_buffer 1
		.amdhsa_user_sgpr_dispatch_ptr 0
		.amdhsa_user_sgpr_queue_ptr 0
		.amdhsa_user_sgpr_kernarg_segment_ptr 1
		.amdhsa_user_sgpr_dispatch_id 0
		.amdhsa_user_sgpr_flat_scratch_init 0
		.amdhsa_user_sgpr_kernarg_preload_length 0
		.amdhsa_user_sgpr_kernarg_preload_offset 0
		.amdhsa_user_sgpr_private_segment_size 0
		.amdhsa_uses_dynamic_stack 0
		.amdhsa_system_sgpr_private_segment_wavefront_offset 0
		.amdhsa_system_sgpr_workgroup_id_x 1
		.amdhsa_system_sgpr_workgroup_id_y 0
		.amdhsa_system_sgpr_workgroup_id_z 0
		.amdhsa_system_sgpr_workgroup_info 0
		.amdhsa_system_vgpr_workitem_id 2
		.amdhsa_next_free_vgpr 62
		.amdhsa_next_free_sgpr 35
		.amdhsa_accum_offset 64
		.amdhsa_reserve_vcc 1
		.amdhsa_reserve_flat_scratch 0
		.amdhsa_float_round_mode_32 0
		.amdhsa_float_round_mode_16_64 0
		.amdhsa_float_denorm_mode_32 3
		.amdhsa_float_denorm_mode_16_64 3
		.amdhsa_dx10_clamp 1
		.amdhsa_ieee_mode 1
		.amdhsa_fp16_overflow 0
		.amdhsa_tg_split 0
		.amdhsa_exception_fp_ieee_invalid_op 0
		.amdhsa_exception_fp_denorm_src 0
		.amdhsa_exception_fp_ieee_div_zero 0
		.amdhsa_exception_fp_ieee_overflow 0
		.amdhsa_exception_fp_ieee_underflow 0
		.amdhsa_exception_fp_ieee_inexact 0
		.amdhsa_exception_int_div_zero 0
	.end_amdhsa_kernel
	.section	.text._ZN7rocprim17ROCPRIM_400000_NS6detail17trampoline_kernelINS0_14default_configENS1_35radix_sort_onesweep_config_selectorItNS0_10empty_typeEEEZZNS1_29radix_sort_onesweep_iterationIS3_Lb0EN6thrust23THRUST_200600_302600_NS6detail15normal_iteratorINS9_10device_ptrItEEEESE_PS5_SF_jNS0_19identity_decomposerENS1_16block_id_wrapperIjLb1EEEEE10hipError_tT1_PNSt15iterator_traitsISK_E10value_typeET2_T3_PNSL_ISQ_E10value_typeET4_T5_PSV_SW_PNS1_23onesweep_lookback_stateEbbT6_jjT7_P12ihipStream_tbENKUlT_T0_SK_SP_E_clISE_PtSF_SF_EEDaS13_S14_SK_SP_EUlS13_E_NS1_11comp_targetILNS1_3genE4ELNS1_11target_archE910ELNS1_3gpuE8ELNS1_3repE0EEENS1_47radix_sort_onesweep_sort_config_static_selectorELNS0_4arch9wavefront6targetE1EEEvSK_,"axG",@progbits,_ZN7rocprim17ROCPRIM_400000_NS6detail17trampoline_kernelINS0_14default_configENS1_35radix_sort_onesweep_config_selectorItNS0_10empty_typeEEEZZNS1_29radix_sort_onesweep_iterationIS3_Lb0EN6thrust23THRUST_200600_302600_NS6detail15normal_iteratorINS9_10device_ptrItEEEESE_PS5_SF_jNS0_19identity_decomposerENS1_16block_id_wrapperIjLb1EEEEE10hipError_tT1_PNSt15iterator_traitsISK_E10value_typeET2_T3_PNSL_ISQ_E10value_typeET4_T5_PSV_SW_PNS1_23onesweep_lookback_stateEbbT6_jjT7_P12ihipStream_tbENKUlT_T0_SK_SP_E_clISE_PtSF_SF_EEDaS13_S14_SK_SP_EUlS13_E_NS1_11comp_targetILNS1_3genE4ELNS1_11target_archE910ELNS1_3gpuE8ELNS1_3repE0EEENS1_47radix_sort_onesweep_sort_config_static_selectorELNS0_4arch9wavefront6targetE1EEEvSK_,comdat
.Lfunc_end1351:
	.size	_ZN7rocprim17ROCPRIM_400000_NS6detail17trampoline_kernelINS0_14default_configENS1_35radix_sort_onesweep_config_selectorItNS0_10empty_typeEEEZZNS1_29radix_sort_onesweep_iterationIS3_Lb0EN6thrust23THRUST_200600_302600_NS6detail15normal_iteratorINS9_10device_ptrItEEEESE_PS5_SF_jNS0_19identity_decomposerENS1_16block_id_wrapperIjLb1EEEEE10hipError_tT1_PNSt15iterator_traitsISK_E10value_typeET2_T3_PNSL_ISQ_E10value_typeET4_T5_PSV_SW_PNS1_23onesweep_lookback_stateEbbT6_jjT7_P12ihipStream_tbENKUlT_T0_SK_SP_E_clISE_PtSF_SF_EEDaS13_S14_SK_SP_EUlS13_E_NS1_11comp_targetILNS1_3genE4ELNS1_11target_archE910ELNS1_3gpuE8ELNS1_3repE0EEENS1_47radix_sort_onesweep_sort_config_static_selectorELNS0_4arch9wavefront6targetE1EEEvSK_, .Lfunc_end1351-_ZN7rocprim17ROCPRIM_400000_NS6detail17trampoline_kernelINS0_14default_configENS1_35radix_sort_onesweep_config_selectorItNS0_10empty_typeEEEZZNS1_29radix_sort_onesweep_iterationIS3_Lb0EN6thrust23THRUST_200600_302600_NS6detail15normal_iteratorINS9_10device_ptrItEEEESE_PS5_SF_jNS0_19identity_decomposerENS1_16block_id_wrapperIjLb1EEEEE10hipError_tT1_PNSt15iterator_traitsISK_E10value_typeET2_T3_PNSL_ISQ_E10value_typeET4_T5_PSV_SW_PNS1_23onesweep_lookback_stateEbbT6_jjT7_P12ihipStream_tbENKUlT_T0_SK_SP_E_clISE_PtSF_SF_EEDaS13_S14_SK_SP_EUlS13_E_NS1_11comp_targetILNS1_3genE4ELNS1_11target_archE910ELNS1_3gpuE8ELNS1_3repE0EEENS1_47radix_sort_onesweep_sort_config_static_selectorELNS0_4arch9wavefront6targetE1EEEvSK_
                                        ; -- End function
	.section	.AMDGPU.csdata,"",@progbits
; Kernel info:
; codeLenInByte = 15372
; NumSgprs: 39
; NumVgprs: 62
; NumAgprs: 0
; TotalNumVgprs: 62
; ScratchSize: 0
; MemoryBound: 0
; FloatMode: 240
; IeeeMode: 1
; LDSByteSize: 25608 bytes/workgroup (compile time only)
; SGPRBlocks: 4
; VGPRBlocks: 7
; NumSGPRsForWavesPerEU: 39
; NumVGPRsForWavesPerEU: 62
; AccumOffset: 64
; Occupancy: 8
; WaveLimiterHint : 1
; COMPUTE_PGM_RSRC2:SCRATCH_EN: 0
; COMPUTE_PGM_RSRC2:USER_SGPR: 6
; COMPUTE_PGM_RSRC2:TRAP_HANDLER: 0
; COMPUTE_PGM_RSRC2:TGID_X_EN: 1
; COMPUTE_PGM_RSRC2:TGID_Y_EN: 0
; COMPUTE_PGM_RSRC2:TGID_Z_EN: 0
; COMPUTE_PGM_RSRC2:TIDIG_COMP_CNT: 2
; COMPUTE_PGM_RSRC3_GFX90A:ACCUM_OFFSET: 15
; COMPUTE_PGM_RSRC3_GFX90A:TG_SPLIT: 0
	.section	.text._ZN7rocprim17ROCPRIM_400000_NS6detail17trampoline_kernelINS0_14default_configENS1_35radix_sort_onesweep_config_selectorItNS0_10empty_typeEEEZZNS1_29radix_sort_onesweep_iterationIS3_Lb0EN6thrust23THRUST_200600_302600_NS6detail15normal_iteratorINS9_10device_ptrItEEEESE_PS5_SF_jNS0_19identity_decomposerENS1_16block_id_wrapperIjLb1EEEEE10hipError_tT1_PNSt15iterator_traitsISK_E10value_typeET2_T3_PNSL_ISQ_E10value_typeET4_T5_PSV_SW_PNS1_23onesweep_lookback_stateEbbT6_jjT7_P12ihipStream_tbENKUlT_T0_SK_SP_E_clISE_PtSF_SF_EEDaS13_S14_SK_SP_EUlS13_E_NS1_11comp_targetILNS1_3genE3ELNS1_11target_archE908ELNS1_3gpuE7ELNS1_3repE0EEENS1_47radix_sort_onesweep_sort_config_static_selectorELNS0_4arch9wavefront6targetE1EEEvSK_,"axG",@progbits,_ZN7rocprim17ROCPRIM_400000_NS6detail17trampoline_kernelINS0_14default_configENS1_35radix_sort_onesweep_config_selectorItNS0_10empty_typeEEEZZNS1_29radix_sort_onesweep_iterationIS3_Lb0EN6thrust23THRUST_200600_302600_NS6detail15normal_iteratorINS9_10device_ptrItEEEESE_PS5_SF_jNS0_19identity_decomposerENS1_16block_id_wrapperIjLb1EEEEE10hipError_tT1_PNSt15iterator_traitsISK_E10value_typeET2_T3_PNSL_ISQ_E10value_typeET4_T5_PSV_SW_PNS1_23onesweep_lookback_stateEbbT6_jjT7_P12ihipStream_tbENKUlT_T0_SK_SP_E_clISE_PtSF_SF_EEDaS13_S14_SK_SP_EUlS13_E_NS1_11comp_targetILNS1_3genE3ELNS1_11target_archE908ELNS1_3gpuE7ELNS1_3repE0EEENS1_47radix_sort_onesweep_sort_config_static_selectorELNS0_4arch9wavefront6targetE1EEEvSK_,comdat
	.protected	_ZN7rocprim17ROCPRIM_400000_NS6detail17trampoline_kernelINS0_14default_configENS1_35radix_sort_onesweep_config_selectorItNS0_10empty_typeEEEZZNS1_29radix_sort_onesweep_iterationIS3_Lb0EN6thrust23THRUST_200600_302600_NS6detail15normal_iteratorINS9_10device_ptrItEEEESE_PS5_SF_jNS0_19identity_decomposerENS1_16block_id_wrapperIjLb1EEEEE10hipError_tT1_PNSt15iterator_traitsISK_E10value_typeET2_T3_PNSL_ISQ_E10value_typeET4_T5_PSV_SW_PNS1_23onesweep_lookback_stateEbbT6_jjT7_P12ihipStream_tbENKUlT_T0_SK_SP_E_clISE_PtSF_SF_EEDaS13_S14_SK_SP_EUlS13_E_NS1_11comp_targetILNS1_3genE3ELNS1_11target_archE908ELNS1_3gpuE7ELNS1_3repE0EEENS1_47radix_sort_onesweep_sort_config_static_selectorELNS0_4arch9wavefront6targetE1EEEvSK_ ; -- Begin function _ZN7rocprim17ROCPRIM_400000_NS6detail17trampoline_kernelINS0_14default_configENS1_35radix_sort_onesweep_config_selectorItNS0_10empty_typeEEEZZNS1_29radix_sort_onesweep_iterationIS3_Lb0EN6thrust23THRUST_200600_302600_NS6detail15normal_iteratorINS9_10device_ptrItEEEESE_PS5_SF_jNS0_19identity_decomposerENS1_16block_id_wrapperIjLb1EEEEE10hipError_tT1_PNSt15iterator_traitsISK_E10value_typeET2_T3_PNSL_ISQ_E10value_typeET4_T5_PSV_SW_PNS1_23onesweep_lookback_stateEbbT6_jjT7_P12ihipStream_tbENKUlT_T0_SK_SP_E_clISE_PtSF_SF_EEDaS13_S14_SK_SP_EUlS13_E_NS1_11comp_targetILNS1_3genE3ELNS1_11target_archE908ELNS1_3gpuE7ELNS1_3repE0EEENS1_47radix_sort_onesweep_sort_config_static_selectorELNS0_4arch9wavefront6targetE1EEEvSK_
	.globl	_ZN7rocprim17ROCPRIM_400000_NS6detail17trampoline_kernelINS0_14default_configENS1_35radix_sort_onesweep_config_selectorItNS0_10empty_typeEEEZZNS1_29radix_sort_onesweep_iterationIS3_Lb0EN6thrust23THRUST_200600_302600_NS6detail15normal_iteratorINS9_10device_ptrItEEEESE_PS5_SF_jNS0_19identity_decomposerENS1_16block_id_wrapperIjLb1EEEEE10hipError_tT1_PNSt15iterator_traitsISK_E10value_typeET2_T3_PNSL_ISQ_E10value_typeET4_T5_PSV_SW_PNS1_23onesweep_lookback_stateEbbT6_jjT7_P12ihipStream_tbENKUlT_T0_SK_SP_E_clISE_PtSF_SF_EEDaS13_S14_SK_SP_EUlS13_E_NS1_11comp_targetILNS1_3genE3ELNS1_11target_archE908ELNS1_3gpuE7ELNS1_3repE0EEENS1_47radix_sort_onesweep_sort_config_static_selectorELNS0_4arch9wavefront6targetE1EEEvSK_
	.p2align	8
	.type	_ZN7rocprim17ROCPRIM_400000_NS6detail17trampoline_kernelINS0_14default_configENS1_35radix_sort_onesweep_config_selectorItNS0_10empty_typeEEEZZNS1_29radix_sort_onesweep_iterationIS3_Lb0EN6thrust23THRUST_200600_302600_NS6detail15normal_iteratorINS9_10device_ptrItEEEESE_PS5_SF_jNS0_19identity_decomposerENS1_16block_id_wrapperIjLb1EEEEE10hipError_tT1_PNSt15iterator_traitsISK_E10value_typeET2_T3_PNSL_ISQ_E10value_typeET4_T5_PSV_SW_PNS1_23onesweep_lookback_stateEbbT6_jjT7_P12ihipStream_tbENKUlT_T0_SK_SP_E_clISE_PtSF_SF_EEDaS13_S14_SK_SP_EUlS13_E_NS1_11comp_targetILNS1_3genE3ELNS1_11target_archE908ELNS1_3gpuE7ELNS1_3repE0EEENS1_47radix_sort_onesweep_sort_config_static_selectorELNS0_4arch9wavefront6targetE1EEEvSK_,@function
_ZN7rocprim17ROCPRIM_400000_NS6detail17trampoline_kernelINS0_14default_configENS1_35radix_sort_onesweep_config_selectorItNS0_10empty_typeEEEZZNS1_29radix_sort_onesweep_iterationIS3_Lb0EN6thrust23THRUST_200600_302600_NS6detail15normal_iteratorINS9_10device_ptrItEEEESE_PS5_SF_jNS0_19identity_decomposerENS1_16block_id_wrapperIjLb1EEEEE10hipError_tT1_PNSt15iterator_traitsISK_E10value_typeET2_T3_PNSL_ISQ_E10value_typeET4_T5_PSV_SW_PNS1_23onesweep_lookback_stateEbbT6_jjT7_P12ihipStream_tbENKUlT_T0_SK_SP_E_clISE_PtSF_SF_EEDaS13_S14_SK_SP_EUlS13_E_NS1_11comp_targetILNS1_3genE3ELNS1_11target_archE908ELNS1_3gpuE7ELNS1_3repE0EEENS1_47radix_sort_onesweep_sort_config_static_selectorELNS0_4arch9wavefront6targetE1EEEvSK_: ; @_ZN7rocprim17ROCPRIM_400000_NS6detail17trampoline_kernelINS0_14default_configENS1_35radix_sort_onesweep_config_selectorItNS0_10empty_typeEEEZZNS1_29radix_sort_onesweep_iterationIS3_Lb0EN6thrust23THRUST_200600_302600_NS6detail15normal_iteratorINS9_10device_ptrItEEEESE_PS5_SF_jNS0_19identity_decomposerENS1_16block_id_wrapperIjLb1EEEEE10hipError_tT1_PNSt15iterator_traitsISK_E10value_typeET2_T3_PNSL_ISQ_E10value_typeET4_T5_PSV_SW_PNS1_23onesweep_lookback_stateEbbT6_jjT7_P12ihipStream_tbENKUlT_T0_SK_SP_E_clISE_PtSF_SF_EEDaS13_S14_SK_SP_EUlS13_E_NS1_11comp_targetILNS1_3genE3ELNS1_11target_archE908ELNS1_3gpuE7ELNS1_3repE0EEENS1_47radix_sort_onesweep_sort_config_static_selectorELNS0_4arch9wavefront6targetE1EEEvSK_
; %bb.0:
	.section	.rodata,"a",@progbits
	.p2align	6, 0x0
	.amdhsa_kernel _ZN7rocprim17ROCPRIM_400000_NS6detail17trampoline_kernelINS0_14default_configENS1_35radix_sort_onesweep_config_selectorItNS0_10empty_typeEEEZZNS1_29radix_sort_onesweep_iterationIS3_Lb0EN6thrust23THRUST_200600_302600_NS6detail15normal_iteratorINS9_10device_ptrItEEEESE_PS5_SF_jNS0_19identity_decomposerENS1_16block_id_wrapperIjLb1EEEEE10hipError_tT1_PNSt15iterator_traitsISK_E10value_typeET2_T3_PNSL_ISQ_E10value_typeET4_T5_PSV_SW_PNS1_23onesweep_lookback_stateEbbT6_jjT7_P12ihipStream_tbENKUlT_T0_SK_SP_E_clISE_PtSF_SF_EEDaS13_S14_SK_SP_EUlS13_E_NS1_11comp_targetILNS1_3genE3ELNS1_11target_archE908ELNS1_3gpuE7ELNS1_3repE0EEENS1_47radix_sort_onesweep_sort_config_static_selectorELNS0_4arch9wavefront6targetE1EEEvSK_
		.amdhsa_group_segment_fixed_size 0
		.amdhsa_private_segment_fixed_size 0
		.amdhsa_kernarg_size 88
		.amdhsa_user_sgpr_count 6
		.amdhsa_user_sgpr_private_segment_buffer 1
		.amdhsa_user_sgpr_dispatch_ptr 0
		.amdhsa_user_sgpr_queue_ptr 0
		.amdhsa_user_sgpr_kernarg_segment_ptr 1
		.amdhsa_user_sgpr_dispatch_id 0
		.amdhsa_user_sgpr_flat_scratch_init 0
		.amdhsa_user_sgpr_kernarg_preload_length 0
		.amdhsa_user_sgpr_kernarg_preload_offset 0
		.amdhsa_user_sgpr_private_segment_size 0
		.amdhsa_uses_dynamic_stack 0
		.amdhsa_system_sgpr_private_segment_wavefront_offset 0
		.amdhsa_system_sgpr_workgroup_id_x 1
		.amdhsa_system_sgpr_workgroup_id_y 0
		.amdhsa_system_sgpr_workgroup_id_z 0
		.amdhsa_system_sgpr_workgroup_info 0
		.amdhsa_system_vgpr_workitem_id 0
		.amdhsa_next_free_vgpr 1
		.amdhsa_next_free_sgpr 0
		.amdhsa_accum_offset 4
		.amdhsa_reserve_vcc 0
		.amdhsa_reserve_flat_scratch 0
		.amdhsa_float_round_mode_32 0
		.amdhsa_float_round_mode_16_64 0
		.amdhsa_float_denorm_mode_32 3
		.amdhsa_float_denorm_mode_16_64 3
		.amdhsa_dx10_clamp 1
		.amdhsa_ieee_mode 1
		.amdhsa_fp16_overflow 0
		.amdhsa_tg_split 0
		.amdhsa_exception_fp_ieee_invalid_op 0
		.amdhsa_exception_fp_denorm_src 0
		.amdhsa_exception_fp_ieee_div_zero 0
		.amdhsa_exception_fp_ieee_overflow 0
		.amdhsa_exception_fp_ieee_underflow 0
		.amdhsa_exception_fp_ieee_inexact 0
		.amdhsa_exception_int_div_zero 0
	.end_amdhsa_kernel
	.section	.text._ZN7rocprim17ROCPRIM_400000_NS6detail17trampoline_kernelINS0_14default_configENS1_35radix_sort_onesweep_config_selectorItNS0_10empty_typeEEEZZNS1_29radix_sort_onesweep_iterationIS3_Lb0EN6thrust23THRUST_200600_302600_NS6detail15normal_iteratorINS9_10device_ptrItEEEESE_PS5_SF_jNS0_19identity_decomposerENS1_16block_id_wrapperIjLb1EEEEE10hipError_tT1_PNSt15iterator_traitsISK_E10value_typeET2_T3_PNSL_ISQ_E10value_typeET4_T5_PSV_SW_PNS1_23onesweep_lookback_stateEbbT6_jjT7_P12ihipStream_tbENKUlT_T0_SK_SP_E_clISE_PtSF_SF_EEDaS13_S14_SK_SP_EUlS13_E_NS1_11comp_targetILNS1_3genE3ELNS1_11target_archE908ELNS1_3gpuE7ELNS1_3repE0EEENS1_47radix_sort_onesweep_sort_config_static_selectorELNS0_4arch9wavefront6targetE1EEEvSK_,"axG",@progbits,_ZN7rocprim17ROCPRIM_400000_NS6detail17trampoline_kernelINS0_14default_configENS1_35radix_sort_onesweep_config_selectorItNS0_10empty_typeEEEZZNS1_29radix_sort_onesweep_iterationIS3_Lb0EN6thrust23THRUST_200600_302600_NS6detail15normal_iteratorINS9_10device_ptrItEEEESE_PS5_SF_jNS0_19identity_decomposerENS1_16block_id_wrapperIjLb1EEEEE10hipError_tT1_PNSt15iterator_traitsISK_E10value_typeET2_T3_PNSL_ISQ_E10value_typeET4_T5_PSV_SW_PNS1_23onesweep_lookback_stateEbbT6_jjT7_P12ihipStream_tbENKUlT_T0_SK_SP_E_clISE_PtSF_SF_EEDaS13_S14_SK_SP_EUlS13_E_NS1_11comp_targetILNS1_3genE3ELNS1_11target_archE908ELNS1_3gpuE7ELNS1_3repE0EEENS1_47radix_sort_onesweep_sort_config_static_selectorELNS0_4arch9wavefront6targetE1EEEvSK_,comdat
.Lfunc_end1352:
	.size	_ZN7rocprim17ROCPRIM_400000_NS6detail17trampoline_kernelINS0_14default_configENS1_35radix_sort_onesweep_config_selectorItNS0_10empty_typeEEEZZNS1_29radix_sort_onesweep_iterationIS3_Lb0EN6thrust23THRUST_200600_302600_NS6detail15normal_iteratorINS9_10device_ptrItEEEESE_PS5_SF_jNS0_19identity_decomposerENS1_16block_id_wrapperIjLb1EEEEE10hipError_tT1_PNSt15iterator_traitsISK_E10value_typeET2_T3_PNSL_ISQ_E10value_typeET4_T5_PSV_SW_PNS1_23onesweep_lookback_stateEbbT6_jjT7_P12ihipStream_tbENKUlT_T0_SK_SP_E_clISE_PtSF_SF_EEDaS13_S14_SK_SP_EUlS13_E_NS1_11comp_targetILNS1_3genE3ELNS1_11target_archE908ELNS1_3gpuE7ELNS1_3repE0EEENS1_47radix_sort_onesweep_sort_config_static_selectorELNS0_4arch9wavefront6targetE1EEEvSK_, .Lfunc_end1352-_ZN7rocprim17ROCPRIM_400000_NS6detail17trampoline_kernelINS0_14default_configENS1_35radix_sort_onesweep_config_selectorItNS0_10empty_typeEEEZZNS1_29radix_sort_onesweep_iterationIS3_Lb0EN6thrust23THRUST_200600_302600_NS6detail15normal_iteratorINS9_10device_ptrItEEEESE_PS5_SF_jNS0_19identity_decomposerENS1_16block_id_wrapperIjLb1EEEEE10hipError_tT1_PNSt15iterator_traitsISK_E10value_typeET2_T3_PNSL_ISQ_E10value_typeET4_T5_PSV_SW_PNS1_23onesweep_lookback_stateEbbT6_jjT7_P12ihipStream_tbENKUlT_T0_SK_SP_E_clISE_PtSF_SF_EEDaS13_S14_SK_SP_EUlS13_E_NS1_11comp_targetILNS1_3genE3ELNS1_11target_archE908ELNS1_3gpuE7ELNS1_3repE0EEENS1_47radix_sort_onesweep_sort_config_static_selectorELNS0_4arch9wavefront6targetE1EEEvSK_
                                        ; -- End function
	.section	.AMDGPU.csdata,"",@progbits
; Kernel info:
; codeLenInByte = 0
; NumSgprs: 4
; NumVgprs: 0
; NumAgprs: 0
; TotalNumVgprs: 0
; ScratchSize: 0
; MemoryBound: 0
; FloatMode: 240
; IeeeMode: 1
; LDSByteSize: 0 bytes/workgroup (compile time only)
; SGPRBlocks: 0
; VGPRBlocks: 0
; NumSGPRsForWavesPerEU: 4
; NumVGPRsForWavesPerEU: 1
; AccumOffset: 4
; Occupancy: 8
; WaveLimiterHint : 0
; COMPUTE_PGM_RSRC2:SCRATCH_EN: 0
; COMPUTE_PGM_RSRC2:USER_SGPR: 6
; COMPUTE_PGM_RSRC2:TRAP_HANDLER: 0
; COMPUTE_PGM_RSRC2:TGID_X_EN: 1
; COMPUTE_PGM_RSRC2:TGID_Y_EN: 0
; COMPUTE_PGM_RSRC2:TGID_Z_EN: 0
; COMPUTE_PGM_RSRC2:TIDIG_COMP_CNT: 0
; COMPUTE_PGM_RSRC3_GFX90A:ACCUM_OFFSET: 0
; COMPUTE_PGM_RSRC3_GFX90A:TG_SPLIT: 0
	.section	.text._ZN7rocprim17ROCPRIM_400000_NS6detail17trampoline_kernelINS0_14default_configENS1_35radix_sort_onesweep_config_selectorItNS0_10empty_typeEEEZZNS1_29radix_sort_onesweep_iterationIS3_Lb0EN6thrust23THRUST_200600_302600_NS6detail15normal_iteratorINS9_10device_ptrItEEEESE_PS5_SF_jNS0_19identity_decomposerENS1_16block_id_wrapperIjLb1EEEEE10hipError_tT1_PNSt15iterator_traitsISK_E10value_typeET2_T3_PNSL_ISQ_E10value_typeET4_T5_PSV_SW_PNS1_23onesweep_lookback_stateEbbT6_jjT7_P12ihipStream_tbENKUlT_T0_SK_SP_E_clISE_PtSF_SF_EEDaS13_S14_SK_SP_EUlS13_E_NS1_11comp_targetILNS1_3genE10ELNS1_11target_archE1201ELNS1_3gpuE5ELNS1_3repE0EEENS1_47radix_sort_onesweep_sort_config_static_selectorELNS0_4arch9wavefront6targetE1EEEvSK_,"axG",@progbits,_ZN7rocprim17ROCPRIM_400000_NS6detail17trampoline_kernelINS0_14default_configENS1_35radix_sort_onesweep_config_selectorItNS0_10empty_typeEEEZZNS1_29radix_sort_onesweep_iterationIS3_Lb0EN6thrust23THRUST_200600_302600_NS6detail15normal_iteratorINS9_10device_ptrItEEEESE_PS5_SF_jNS0_19identity_decomposerENS1_16block_id_wrapperIjLb1EEEEE10hipError_tT1_PNSt15iterator_traitsISK_E10value_typeET2_T3_PNSL_ISQ_E10value_typeET4_T5_PSV_SW_PNS1_23onesweep_lookback_stateEbbT6_jjT7_P12ihipStream_tbENKUlT_T0_SK_SP_E_clISE_PtSF_SF_EEDaS13_S14_SK_SP_EUlS13_E_NS1_11comp_targetILNS1_3genE10ELNS1_11target_archE1201ELNS1_3gpuE5ELNS1_3repE0EEENS1_47radix_sort_onesweep_sort_config_static_selectorELNS0_4arch9wavefront6targetE1EEEvSK_,comdat
	.protected	_ZN7rocprim17ROCPRIM_400000_NS6detail17trampoline_kernelINS0_14default_configENS1_35radix_sort_onesweep_config_selectorItNS0_10empty_typeEEEZZNS1_29radix_sort_onesweep_iterationIS3_Lb0EN6thrust23THRUST_200600_302600_NS6detail15normal_iteratorINS9_10device_ptrItEEEESE_PS5_SF_jNS0_19identity_decomposerENS1_16block_id_wrapperIjLb1EEEEE10hipError_tT1_PNSt15iterator_traitsISK_E10value_typeET2_T3_PNSL_ISQ_E10value_typeET4_T5_PSV_SW_PNS1_23onesweep_lookback_stateEbbT6_jjT7_P12ihipStream_tbENKUlT_T0_SK_SP_E_clISE_PtSF_SF_EEDaS13_S14_SK_SP_EUlS13_E_NS1_11comp_targetILNS1_3genE10ELNS1_11target_archE1201ELNS1_3gpuE5ELNS1_3repE0EEENS1_47radix_sort_onesweep_sort_config_static_selectorELNS0_4arch9wavefront6targetE1EEEvSK_ ; -- Begin function _ZN7rocprim17ROCPRIM_400000_NS6detail17trampoline_kernelINS0_14default_configENS1_35radix_sort_onesweep_config_selectorItNS0_10empty_typeEEEZZNS1_29radix_sort_onesweep_iterationIS3_Lb0EN6thrust23THRUST_200600_302600_NS6detail15normal_iteratorINS9_10device_ptrItEEEESE_PS5_SF_jNS0_19identity_decomposerENS1_16block_id_wrapperIjLb1EEEEE10hipError_tT1_PNSt15iterator_traitsISK_E10value_typeET2_T3_PNSL_ISQ_E10value_typeET4_T5_PSV_SW_PNS1_23onesweep_lookback_stateEbbT6_jjT7_P12ihipStream_tbENKUlT_T0_SK_SP_E_clISE_PtSF_SF_EEDaS13_S14_SK_SP_EUlS13_E_NS1_11comp_targetILNS1_3genE10ELNS1_11target_archE1201ELNS1_3gpuE5ELNS1_3repE0EEENS1_47radix_sort_onesweep_sort_config_static_selectorELNS0_4arch9wavefront6targetE1EEEvSK_
	.globl	_ZN7rocprim17ROCPRIM_400000_NS6detail17trampoline_kernelINS0_14default_configENS1_35radix_sort_onesweep_config_selectorItNS0_10empty_typeEEEZZNS1_29radix_sort_onesweep_iterationIS3_Lb0EN6thrust23THRUST_200600_302600_NS6detail15normal_iteratorINS9_10device_ptrItEEEESE_PS5_SF_jNS0_19identity_decomposerENS1_16block_id_wrapperIjLb1EEEEE10hipError_tT1_PNSt15iterator_traitsISK_E10value_typeET2_T3_PNSL_ISQ_E10value_typeET4_T5_PSV_SW_PNS1_23onesweep_lookback_stateEbbT6_jjT7_P12ihipStream_tbENKUlT_T0_SK_SP_E_clISE_PtSF_SF_EEDaS13_S14_SK_SP_EUlS13_E_NS1_11comp_targetILNS1_3genE10ELNS1_11target_archE1201ELNS1_3gpuE5ELNS1_3repE0EEENS1_47radix_sort_onesweep_sort_config_static_selectorELNS0_4arch9wavefront6targetE1EEEvSK_
	.p2align	8
	.type	_ZN7rocprim17ROCPRIM_400000_NS6detail17trampoline_kernelINS0_14default_configENS1_35radix_sort_onesweep_config_selectorItNS0_10empty_typeEEEZZNS1_29radix_sort_onesweep_iterationIS3_Lb0EN6thrust23THRUST_200600_302600_NS6detail15normal_iteratorINS9_10device_ptrItEEEESE_PS5_SF_jNS0_19identity_decomposerENS1_16block_id_wrapperIjLb1EEEEE10hipError_tT1_PNSt15iterator_traitsISK_E10value_typeET2_T3_PNSL_ISQ_E10value_typeET4_T5_PSV_SW_PNS1_23onesweep_lookback_stateEbbT6_jjT7_P12ihipStream_tbENKUlT_T0_SK_SP_E_clISE_PtSF_SF_EEDaS13_S14_SK_SP_EUlS13_E_NS1_11comp_targetILNS1_3genE10ELNS1_11target_archE1201ELNS1_3gpuE5ELNS1_3repE0EEENS1_47radix_sort_onesweep_sort_config_static_selectorELNS0_4arch9wavefront6targetE1EEEvSK_,@function
_ZN7rocprim17ROCPRIM_400000_NS6detail17trampoline_kernelINS0_14default_configENS1_35radix_sort_onesweep_config_selectorItNS0_10empty_typeEEEZZNS1_29radix_sort_onesweep_iterationIS3_Lb0EN6thrust23THRUST_200600_302600_NS6detail15normal_iteratorINS9_10device_ptrItEEEESE_PS5_SF_jNS0_19identity_decomposerENS1_16block_id_wrapperIjLb1EEEEE10hipError_tT1_PNSt15iterator_traitsISK_E10value_typeET2_T3_PNSL_ISQ_E10value_typeET4_T5_PSV_SW_PNS1_23onesweep_lookback_stateEbbT6_jjT7_P12ihipStream_tbENKUlT_T0_SK_SP_E_clISE_PtSF_SF_EEDaS13_S14_SK_SP_EUlS13_E_NS1_11comp_targetILNS1_3genE10ELNS1_11target_archE1201ELNS1_3gpuE5ELNS1_3repE0EEENS1_47radix_sort_onesweep_sort_config_static_selectorELNS0_4arch9wavefront6targetE1EEEvSK_: ; @_ZN7rocprim17ROCPRIM_400000_NS6detail17trampoline_kernelINS0_14default_configENS1_35radix_sort_onesweep_config_selectorItNS0_10empty_typeEEEZZNS1_29radix_sort_onesweep_iterationIS3_Lb0EN6thrust23THRUST_200600_302600_NS6detail15normal_iteratorINS9_10device_ptrItEEEESE_PS5_SF_jNS0_19identity_decomposerENS1_16block_id_wrapperIjLb1EEEEE10hipError_tT1_PNSt15iterator_traitsISK_E10value_typeET2_T3_PNSL_ISQ_E10value_typeET4_T5_PSV_SW_PNS1_23onesweep_lookback_stateEbbT6_jjT7_P12ihipStream_tbENKUlT_T0_SK_SP_E_clISE_PtSF_SF_EEDaS13_S14_SK_SP_EUlS13_E_NS1_11comp_targetILNS1_3genE10ELNS1_11target_archE1201ELNS1_3gpuE5ELNS1_3repE0EEENS1_47radix_sort_onesweep_sort_config_static_selectorELNS0_4arch9wavefront6targetE1EEEvSK_
; %bb.0:
	.section	.rodata,"a",@progbits
	.p2align	6, 0x0
	.amdhsa_kernel _ZN7rocprim17ROCPRIM_400000_NS6detail17trampoline_kernelINS0_14default_configENS1_35radix_sort_onesweep_config_selectorItNS0_10empty_typeEEEZZNS1_29radix_sort_onesweep_iterationIS3_Lb0EN6thrust23THRUST_200600_302600_NS6detail15normal_iteratorINS9_10device_ptrItEEEESE_PS5_SF_jNS0_19identity_decomposerENS1_16block_id_wrapperIjLb1EEEEE10hipError_tT1_PNSt15iterator_traitsISK_E10value_typeET2_T3_PNSL_ISQ_E10value_typeET4_T5_PSV_SW_PNS1_23onesweep_lookback_stateEbbT6_jjT7_P12ihipStream_tbENKUlT_T0_SK_SP_E_clISE_PtSF_SF_EEDaS13_S14_SK_SP_EUlS13_E_NS1_11comp_targetILNS1_3genE10ELNS1_11target_archE1201ELNS1_3gpuE5ELNS1_3repE0EEENS1_47radix_sort_onesweep_sort_config_static_selectorELNS0_4arch9wavefront6targetE1EEEvSK_
		.amdhsa_group_segment_fixed_size 0
		.amdhsa_private_segment_fixed_size 0
		.amdhsa_kernarg_size 88
		.amdhsa_user_sgpr_count 6
		.amdhsa_user_sgpr_private_segment_buffer 1
		.amdhsa_user_sgpr_dispatch_ptr 0
		.amdhsa_user_sgpr_queue_ptr 0
		.amdhsa_user_sgpr_kernarg_segment_ptr 1
		.amdhsa_user_sgpr_dispatch_id 0
		.amdhsa_user_sgpr_flat_scratch_init 0
		.amdhsa_user_sgpr_kernarg_preload_length 0
		.amdhsa_user_sgpr_kernarg_preload_offset 0
		.amdhsa_user_sgpr_private_segment_size 0
		.amdhsa_uses_dynamic_stack 0
		.amdhsa_system_sgpr_private_segment_wavefront_offset 0
		.amdhsa_system_sgpr_workgroup_id_x 1
		.amdhsa_system_sgpr_workgroup_id_y 0
		.amdhsa_system_sgpr_workgroup_id_z 0
		.amdhsa_system_sgpr_workgroup_info 0
		.amdhsa_system_vgpr_workitem_id 0
		.amdhsa_next_free_vgpr 1
		.amdhsa_next_free_sgpr 0
		.amdhsa_accum_offset 4
		.amdhsa_reserve_vcc 0
		.amdhsa_reserve_flat_scratch 0
		.amdhsa_float_round_mode_32 0
		.amdhsa_float_round_mode_16_64 0
		.amdhsa_float_denorm_mode_32 3
		.amdhsa_float_denorm_mode_16_64 3
		.amdhsa_dx10_clamp 1
		.amdhsa_ieee_mode 1
		.amdhsa_fp16_overflow 0
		.amdhsa_tg_split 0
		.amdhsa_exception_fp_ieee_invalid_op 0
		.amdhsa_exception_fp_denorm_src 0
		.amdhsa_exception_fp_ieee_div_zero 0
		.amdhsa_exception_fp_ieee_overflow 0
		.amdhsa_exception_fp_ieee_underflow 0
		.amdhsa_exception_fp_ieee_inexact 0
		.amdhsa_exception_int_div_zero 0
	.end_amdhsa_kernel
	.section	.text._ZN7rocprim17ROCPRIM_400000_NS6detail17trampoline_kernelINS0_14default_configENS1_35radix_sort_onesweep_config_selectorItNS0_10empty_typeEEEZZNS1_29radix_sort_onesweep_iterationIS3_Lb0EN6thrust23THRUST_200600_302600_NS6detail15normal_iteratorINS9_10device_ptrItEEEESE_PS5_SF_jNS0_19identity_decomposerENS1_16block_id_wrapperIjLb1EEEEE10hipError_tT1_PNSt15iterator_traitsISK_E10value_typeET2_T3_PNSL_ISQ_E10value_typeET4_T5_PSV_SW_PNS1_23onesweep_lookback_stateEbbT6_jjT7_P12ihipStream_tbENKUlT_T0_SK_SP_E_clISE_PtSF_SF_EEDaS13_S14_SK_SP_EUlS13_E_NS1_11comp_targetILNS1_3genE10ELNS1_11target_archE1201ELNS1_3gpuE5ELNS1_3repE0EEENS1_47radix_sort_onesweep_sort_config_static_selectorELNS0_4arch9wavefront6targetE1EEEvSK_,"axG",@progbits,_ZN7rocprim17ROCPRIM_400000_NS6detail17trampoline_kernelINS0_14default_configENS1_35radix_sort_onesweep_config_selectorItNS0_10empty_typeEEEZZNS1_29radix_sort_onesweep_iterationIS3_Lb0EN6thrust23THRUST_200600_302600_NS6detail15normal_iteratorINS9_10device_ptrItEEEESE_PS5_SF_jNS0_19identity_decomposerENS1_16block_id_wrapperIjLb1EEEEE10hipError_tT1_PNSt15iterator_traitsISK_E10value_typeET2_T3_PNSL_ISQ_E10value_typeET4_T5_PSV_SW_PNS1_23onesweep_lookback_stateEbbT6_jjT7_P12ihipStream_tbENKUlT_T0_SK_SP_E_clISE_PtSF_SF_EEDaS13_S14_SK_SP_EUlS13_E_NS1_11comp_targetILNS1_3genE10ELNS1_11target_archE1201ELNS1_3gpuE5ELNS1_3repE0EEENS1_47radix_sort_onesweep_sort_config_static_selectorELNS0_4arch9wavefront6targetE1EEEvSK_,comdat
.Lfunc_end1353:
	.size	_ZN7rocprim17ROCPRIM_400000_NS6detail17trampoline_kernelINS0_14default_configENS1_35radix_sort_onesweep_config_selectorItNS0_10empty_typeEEEZZNS1_29radix_sort_onesweep_iterationIS3_Lb0EN6thrust23THRUST_200600_302600_NS6detail15normal_iteratorINS9_10device_ptrItEEEESE_PS5_SF_jNS0_19identity_decomposerENS1_16block_id_wrapperIjLb1EEEEE10hipError_tT1_PNSt15iterator_traitsISK_E10value_typeET2_T3_PNSL_ISQ_E10value_typeET4_T5_PSV_SW_PNS1_23onesweep_lookback_stateEbbT6_jjT7_P12ihipStream_tbENKUlT_T0_SK_SP_E_clISE_PtSF_SF_EEDaS13_S14_SK_SP_EUlS13_E_NS1_11comp_targetILNS1_3genE10ELNS1_11target_archE1201ELNS1_3gpuE5ELNS1_3repE0EEENS1_47radix_sort_onesweep_sort_config_static_selectorELNS0_4arch9wavefront6targetE1EEEvSK_, .Lfunc_end1353-_ZN7rocprim17ROCPRIM_400000_NS6detail17trampoline_kernelINS0_14default_configENS1_35radix_sort_onesweep_config_selectorItNS0_10empty_typeEEEZZNS1_29radix_sort_onesweep_iterationIS3_Lb0EN6thrust23THRUST_200600_302600_NS6detail15normal_iteratorINS9_10device_ptrItEEEESE_PS5_SF_jNS0_19identity_decomposerENS1_16block_id_wrapperIjLb1EEEEE10hipError_tT1_PNSt15iterator_traitsISK_E10value_typeET2_T3_PNSL_ISQ_E10value_typeET4_T5_PSV_SW_PNS1_23onesweep_lookback_stateEbbT6_jjT7_P12ihipStream_tbENKUlT_T0_SK_SP_E_clISE_PtSF_SF_EEDaS13_S14_SK_SP_EUlS13_E_NS1_11comp_targetILNS1_3genE10ELNS1_11target_archE1201ELNS1_3gpuE5ELNS1_3repE0EEENS1_47radix_sort_onesweep_sort_config_static_selectorELNS0_4arch9wavefront6targetE1EEEvSK_
                                        ; -- End function
	.section	.AMDGPU.csdata,"",@progbits
; Kernel info:
; codeLenInByte = 0
; NumSgprs: 4
; NumVgprs: 0
; NumAgprs: 0
; TotalNumVgprs: 0
; ScratchSize: 0
; MemoryBound: 0
; FloatMode: 240
; IeeeMode: 1
; LDSByteSize: 0 bytes/workgroup (compile time only)
; SGPRBlocks: 0
; VGPRBlocks: 0
; NumSGPRsForWavesPerEU: 4
; NumVGPRsForWavesPerEU: 1
; AccumOffset: 4
; Occupancy: 8
; WaveLimiterHint : 0
; COMPUTE_PGM_RSRC2:SCRATCH_EN: 0
; COMPUTE_PGM_RSRC2:USER_SGPR: 6
; COMPUTE_PGM_RSRC2:TRAP_HANDLER: 0
; COMPUTE_PGM_RSRC2:TGID_X_EN: 1
; COMPUTE_PGM_RSRC2:TGID_Y_EN: 0
; COMPUTE_PGM_RSRC2:TGID_Z_EN: 0
; COMPUTE_PGM_RSRC2:TIDIG_COMP_CNT: 0
; COMPUTE_PGM_RSRC3_GFX90A:ACCUM_OFFSET: 0
; COMPUTE_PGM_RSRC3_GFX90A:TG_SPLIT: 0
	.section	.text._ZN7rocprim17ROCPRIM_400000_NS6detail17trampoline_kernelINS0_14default_configENS1_35radix_sort_onesweep_config_selectorItNS0_10empty_typeEEEZZNS1_29radix_sort_onesweep_iterationIS3_Lb0EN6thrust23THRUST_200600_302600_NS6detail15normal_iteratorINS9_10device_ptrItEEEESE_PS5_SF_jNS0_19identity_decomposerENS1_16block_id_wrapperIjLb1EEEEE10hipError_tT1_PNSt15iterator_traitsISK_E10value_typeET2_T3_PNSL_ISQ_E10value_typeET4_T5_PSV_SW_PNS1_23onesweep_lookback_stateEbbT6_jjT7_P12ihipStream_tbENKUlT_T0_SK_SP_E_clISE_PtSF_SF_EEDaS13_S14_SK_SP_EUlS13_E_NS1_11comp_targetILNS1_3genE9ELNS1_11target_archE1100ELNS1_3gpuE3ELNS1_3repE0EEENS1_47radix_sort_onesweep_sort_config_static_selectorELNS0_4arch9wavefront6targetE1EEEvSK_,"axG",@progbits,_ZN7rocprim17ROCPRIM_400000_NS6detail17trampoline_kernelINS0_14default_configENS1_35radix_sort_onesweep_config_selectorItNS0_10empty_typeEEEZZNS1_29radix_sort_onesweep_iterationIS3_Lb0EN6thrust23THRUST_200600_302600_NS6detail15normal_iteratorINS9_10device_ptrItEEEESE_PS5_SF_jNS0_19identity_decomposerENS1_16block_id_wrapperIjLb1EEEEE10hipError_tT1_PNSt15iterator_traitsISK_E10value_typeET2_T3_PNSL_ISQ_E10value_typeET4_T5_PSV_SW_PNS1_23onesweep_lookback_stateEbbT6_jjT7_P12ihipStream_tbENKUlT_T0_SK_SP_E_clISE_PtSF_SF_EEDaS13_S14_SK_SP_EUlS13_E_NS1_11comp_targetILNS1_3genE9ELNS1_11target_archE1100ELNS1_3gpuE3ELNS1_3repE0EEENS1_47radix_sort_onesweep_sort_config_static_selectorELNS0_4arch9wavefront6targetE1EEEvSK_,comdat
	.protected	_ZN7rocprim17ROCPRIM_400000_NS6detail17trampoline_kernelINS0_14default_configENS1_35radix_sort_onesweep_config_selectorItNS0_10empty_typeEEEZZNS1_29radix_sort_onesweep_iterationIS3_Lb0EN6thrust23THRUST_200600_302600_NS6detail15normal_iteratorINS9_10device_ptrItEEEESE_PS5_SF_jNS0_19identity_decomposerENS1_16block_id_wrapperIjLb1EEEEE10hipError_tT1_PNSt15iterator_traitsISK_E10value_typeET2_T3_PNSL_ISQ_E10value_typeET4_T5_PSV_SW_PNS1_23onesweep_lookback_stateEbbT6_jjT7_P12ihipStream_tbENKUlT_T0_SK_SP_E_clISE_PtSF_SF_EEDaS13_S14_SK_SP_EUlS13_E_NS1_11comp_targetILNS1_3genE9ELNS1_11target_archE1100ELNS1_3gpuE3ELNS1_3repE0EEENS1_47radix_sort_onesweep_sort_config_static_selectorELNS0_4arch9wavefront6targetE1EEEvSK_ ; -- Begin function _ZN7rocprim17ROCPRIM_400000_NS6detail17trampoline_kernelINS0_14default_configENS1_35radix_sort_onesweep_config_selectorItNS0_10empty_typeEEEZZNS1_29radix_sort_onesweep_iterationIS3_Lb0EN6thrust23THRUST_200600_302600_NS6detail15normal_iteratorINS9_10device_ptrItEEEESE_PS5_SF_jNS0_19identity_decomposerENS1_16block_id_wrapperIjLb1EEEEE10hipError_tT1_PNSt15iterator_traitsISK_E10value_typeET2_T3_PNSL_ISQ_E10value_typeET4_T5_PSV_SW_PNS1_23onesweep_lookback_stateEbbT6_jjT7_P12ihipStream_tbENKUlT_T0_SK_SP_E_clISE_PtSF_SF_EEDaS13_S14_SK_SP_EUlS13_E_NS1_11comp_targetILNS1_3genE9ELNS1_11target_archE1100ELNS1_3gpuE3ELNS1_3repE0EEENS1_47radix_sort_onesweep_sort_config_static_selectorELNS0_4arch9wavefront6targetE1EEEvSK_
	.globl	_ZN7rocprim17ROCPRIM_400000_NS6detail17trampoline_kernelINS0_14default_configENS1_35radix_sort_onesweep_config_selectorItNS0_10empty_typeEEEZZNS1_29radix_sort_onesweep_iterationIS3_Lb0EN6thrust23THRUST_200600_302600_NS6detail15normal_iteratorINS9_10device_ptrItEEEESE_PS5_SF_jNS0_19identity_decomposerENS1_16block_id_wrapperIjLb1EEEEE10hipError_tT1_PNSt15iterator_traitsISK_E10value_typeET2_T3_PNSL_ISQ_E10value_typeET4_T5_PSV_SW_PNS1_23onesweep_lookback_stateEbbT6_jjT7_P12ihipStream_tbENKUlT_T0_SK_SP_E_clISE_PtSF_SF_EEDaS13_S14_SK_SP_EUlS13_E_NS1_11comp_targetILNS1_3genE9ELNS1_11target_archE1100ELNS1_3gpuE3ELNS1_3repE0EEENS1_47radix_sort_onesweep_sort_config_static_selectorELNS0_4arch9wavefront6targetE1EEEvSK_
	.p2align	8
	.type	_ZN7rocprim17ROCPRIM_400000_NS6detail17trampoline_kernelINS0_14default_configENS1_35radix_sort_onesweep_config_selectorItNS0_10empty_typeEEEZZNS1_29radix_sort_onesweep_iterationIS3_Lb0EN6thrust23THRUST_200600_302600_NS6detail15normal_iteratorINS9_10device_ptrItEEEESE_PS5_SF_jNS0_19identity_decomposerENS1_16block_id_wrapperIjLb1EEEEE10hipError_tT1_PNSt15iterator_traitsISK_E10value_typeET2_T3_PNSL_ISQ_E10value_typeET4_T5_PSV_SW_PNS1_23onesweep_lookback_stateEbbT6_jjT7_P12ihipStream_tbENKUlT_T0_SK_SP_E_clISE_PtSF_SF_EEDaS13_S14_SK_SP_EUlS13_E_NS1_11comp_targetILNS1_3genE9ELNS1_11target_archE1100ELNS1_3gpuE3ELNS1_3repE0EEENS1_47radix_sort_onesweep_sort_config_static_selectorELNS0_4arch9wavefront6targetE1EEEvSK_,@function
_ZN7rocprim17ROCPRIM_400000_NS6detail17trampoline_kernelINS0_14default_configENS1_35radix_sort_onesweep_config_selectorItNS0_10empty_typeEEEZZNS1_29radix_sort_onesweep_iterationIS3_Lb0EN6thrust23THRUST_200600_302600_NS6detail15normal_iteratorINS9_10device_ptrItEEEESE_PS5_SF_jNS0_19identity_decomposerENS1_16block_id_wrapperIjLb1EEEEE10hipError_tT1_PNSt15iterator_traitsISK_E10value_typeET2_T3_PNSL_ISQ_E10value_typeET4_T5_PSV_SW_PNS1_23onesweep_lookback_stateEbbT6_jjT7_P12ihipStream_tbENKUlT_T0_SK_SP_E_clISE_PtSF_SF_EEDaS13_S14_SK_SP_EUlS13_E_NS1_11comp_targetILNS1_3genE9ELNS1_11target_archE1100ELNS1_3gpuE3ELNS1_3repE0EEENS1_47radix_sort_onesweep_sort_config_static_selectorELNS0_4arch9wavefront6targetE1EEEvSK_: ; @_ZN7rocprim17ROCPRIM_400000_NS6detail17trampoline_kernelINS0_14default_configENS1_35radix_sort_onesweep_config_selectorItNS0_10empty_typeEEEZZNS1_29radix_sort_onesweep_iterationIS3_Lb0EN6thrust23THRUST_200600_302600_NS6detail15normal_iteratorINS9_10device_ptrItEEEESE_PS5_SF_jNS0_19identity_decomposerENS1_16block_id_wrapperIjLb1EEEEE10hipError_tT1_PNSt15iterator_traitsISK_E10value_typeET2_T3_PNSL_ISQ_E10value_typeET4_T5_PSV_SW_PNS1_23onesweep_lookback_stateEbbT6_jjT7_P12ihipStream_tbENKUlT_T0_SK_SP_E_clISE_PtSF_SF_EEDaS13_S14_SK_SP_EUlS13_E_NS1_11comp_targetILNS1_3genE9ELNS1_11target_archE1100ELNS1_3gpuE3ELNS1_3repE0EEENS1_47radix_sort_onesweep_sort_config_static_selectorELNS0_4arch9wavefront6targetE1EEEvSK_
; %bb.0:
	.section	.rodata,"a",@progbits
	.p2align	6, 0x0
	.amdhsa_kernel _ZN7rocprim17ROCPRIM_400000_NS6detail17trampoline_kernelINS0_14default_configENS1_35radix_sort_onesweep_config_selectorItNS0_10empty_typeEEEZZNS1_29radix_sort_onesweep_iterationIS3_Lb0EN6thrust23THRUST_200600_302600_NS6detail15normal_iteratorINS9_10device_ptrItEEEESE_PS5_SF_jNS0_19identity_decomposerENS1_16block_id_wrapperIjLb1EEEEE10hipError_tT1_PNSt15iterator_traitsISK_E10value_typeET2_T3_PNSL_ISQ_E10value_typeET4_T5_PSV_SW_PNS1_23onesweep_lookback_stateEbbT6_jjT7_P12ihipStream_tbENKUlT_T0_SK_SP_E_clISE_PtSF_SF_EEDaS13_S14_SK_SP_EUlS13_E_NS1_11comp_targetILNS1_3genE9ELNS1_11target_archE1100ELNS1_3gpuE3ELNS1_3repE0EEENS1_47radix_sort_onesweep_sort_config_static_selectorELNS0_4arch9wavefront6targetE1EEEvSK_
		.amdhsa_group_segment_fixed_size 0
		.amdhsa_private_segment_fixed_size 0
		.amdhsa_kernarg_size 88
		.amdhsa_user_sgpr_count 6
		.amdhsa_user_sgpr_private_segment_buffer 1
		.amdhsa_user_sgpr_dispatch_ptr 0
		.amdhsa_user_sgpr_queue_ptr 0
		.amdhsa_user_sgpr_kernarg_segment_ptr 1
		.amdhsa_user_sgpr_dispatch_id 0
		.amdhsa_user_sgpr_flat_scratch_init 0
		.amdhsa_user_sgpr_kernarg_preload_length 0
		.amdhsa_user_sgpr_kernarg_preload_offset 0
		.amdhsa_user_sgpr_private_segment_size 0
		.amdhsa_uses_dynamic_stack 0
		.amdhsa_system_sgpr_private_segment_wavefront_offset 0
		.amdhsa_system_sgpr_workgroup_id_x 1
		.amdhsa_system_sgpr_workgroup_id_y 0
		.amdhsa_system_sgpr_workgroup_id_z 0
		.amdhsa_system_sgpr_workgroup_info 0
		.amdhsa_system_vgpr_workitem_id 0
		.amdhsa_next_free_vgpr 1
		.amdhsa_next_free_sgpr 0
		.amdhsa_accum_offset 4
		.amdhsa_reserve_vcc 0
		.amdhsa_reserve_flat_scratch 0
		.amdhsa_float_round_mode_32 0
		.amdhsa_float_round_mode_16_64 0
		.amdhsa_float_denorm_mode_32 3
		.amdhsa_float_denorm_mode_16_64 3
		.amdhsa_dx10_clamp 1
		.amdhsa_ieee_mode 1
		.amdhsa_fp16_overflow 0
		.amdhsa_tg_split 0
		.amdhsa_exception_fp_ieee_invalid_op 0
		.amdhsa_exception_fp_denorm_src 0
		.amdhsa_exception_fp_ieee_div_zero 0
		.amdhsa_exception_fp_ieee_overflow 0
		.amdhsa_exception_fp_ieee_underflow 0
		.amdhsa_exception_fp_ieee_inexact 0
		.amdhsa_exception_int_div_zero 0
	.end_amdhsa_kernel
	.section	.text._ZN7rocprim17ROCPRIM_400000_NS6detail17trampoline_kernelINS0_14default_configENS1_35radix_sort_onesweep_config_selectorItNS0_10empty_typeEEEZZNS1_29radix_sort_onesweep_iterationIS3_Lb0EN6thrust23THRUST_200600_302600_NS6detail15normal_iteratorINS9_10device_ptrItEEEESE_PS5_SF_jNS0_19identity_decomposerENS1_16block_id_wrapperIjLb1EEEEE10hipError_tT1_PNSt15iterator_traitsISK_E10value_typeET2_T3_PNSL_ISQ_E10value_typeET4_T5_PSV_SW_PNS1_23onesweep_lookback_stateEbbT6_jjT7_P12ihipStream_tbENKUlT_T0_SK_SP_E_clISE_PtSF_SF_EEDaS13_S14_SK_SP_EUlS13_E_NS1_11comp_targetILNS1_3genE9ELNS1_11target_archE1100ELNS1_3gpuE3ELNS1_3repE0EEENS1_47radix_sort_onesweep_sort_config_static_selectorELNS0_4arch9wavefront6targetE1EEEvSK_,"axG",@progbits,_ZN7rocprim17ROCPRIM_400000_NS6detail17trampoline_kernelINS0_14default_configENS1_35radix_sort_onesweep_config_selectorItNS0_10empty_typeEEEZZNS1_29radix_sort_onesweep_iterationIS3_Lb0EN6thrust23THRUST_200600_302600_NS6detail15normal_iteratorINS9_10device_ptrItEEEESE_PS5_SF_jNS0_19identity_decomposerENS1_16block_id_wrapperIjLb1EEEEE10hipError_tT1_PNSt15iterator_traitsISK_E10value_typeET2_T3_PNSL_ISQ_E10value_typeET4_T5_PSV_SW_PNS1_23onesweep_lookback_stateEbbT6_jjT7_P12ihipStream_tbENKUlT_T0_SK_SP_E_clISE_PtSF_SF_EEDaS13_S14_SK_SP_EUlS13_E_NS1_11comp_targetILNS1_3genE9ELNS1_11target_archE1100ELNS1_3gpuE3ELNS1_3repE0EEENS1_47radix_sort_onesweep_sort_config_static_selectorELNS0_4arch9wavefront6targetE1EEEvSK_,comdat
.Lfunc_end1354:
	.size	_ZN7rocprim17ROCPRIM_400000_NS6detail17trampoline_kernelINS0_14default_configENS1_35radix_sort_onesweep_config_selectorItNS0_10empty_typeEEEZZNS1_29radix_sort_onesweep_iterationIS3_Lb0EN6thrust23THRUST_200600_302600_NS6detail15normal_iteratorINS9_10device_ptrItEEEESE_PS5_SF_jNS0_19identity_decomposerENS1_16block_id_wrapperIjLb1EEEEE10hipError_tT1_PNSt15iterator_traitsISK_E10value_typeET2_T3_PNSL_ISQ_E10value_typeET4_T5_PSV_SW_PNS1_23onesweep_lookback_stateEbbT6_jjT7_P12ihipStream_tbENKUlT_T0_SK_SP_E_clISE_PtSF_SF_EEDaS13_S14_SK_SP_EUlS13_E_NS1_11comp_targetILNS1_3genE9ELNS1_11target_archE1100ELNS1_3gpuE3ELNS1_3repE0EEENS1_47radix_sort_onesweep_sort_config_static_selectorELNS0_4arch9wavefront6targetE1EEEvSK_, .Lfunc_end1354-_ZN7rocprim17ROCPRIM_400000_NS6detail17trampoline_kernelINS0_14default_configENS1_35radix_sort_onesweep_config_selectorItNS0_10empty_typeEEEZZNS1_29radix_sort_onesweep_iterationIS3_Lb0EN6thrust23THRUST_200600_302600_NS6detail15normal_iteratorINS9_10device_ptrItEEEESE_PS5_SF_jNS0_19identity_decomposerENS1_16block_id_wrapperIjLb1EEEEE10hipError_tT1_PNSt15iterator_traitsISK_E10value_typeET2_T3_PNSL_ISQ_E10value_typeET4_T5_PSV_SW_PNS1_23onesweep_lookback_stateEbbT6_jjT7_P12ihipStream_tbENKUlT_T0_SK_SP_E_clISE_PtSF_SF_EEDaS13_S14_SK_SP_EUlS13_E_NS1_11comp_targetILNS1_3genE9ELNS1_11target_archE1100ELNS1_3gpuE3ELNS1_3repE0EEENS1_47radix_sort_onesweep_sort_config_static_selectorELNS0_4arch9wavefront6targetE1EEEvSK_
                                        ; -- End function
	.section	.AMDGPU.csdata,"",@progbits
; Kernel info:
; codeLenInByte = 0
; NumSgprs: 4
; NumVgprs: 0
; NumAgprs: 0
; TotalNumVgprs: 0
; ScratchSize: 0
; MemoryBound: 0
; FloatMode: 240
; IeeeMode: 1
; LDSByteSize: 0 bytes/workgroup (compile time only)
; SGPRBlocks: 0
; VGPRBlocks: 0
; NumSGPRsForWavesPerEU: 4
; NumVGPRsForWavesPerEU: 1
; AccumOffset: 4
; Occupancy: 8
; WaveLimiterHint : 0
; COMPUTE_PGM_RSRC2:SCRATCH_EN: 0
; COMPUTE_PGM_RSRC2:USER_SGPR: 6
; COMPUTE_PGM_RSRC2:TRAP_HANDLER: 0
; COMPUTE_PGM_RSRC2:TGID_X_EN: 1
; COMPUTE_PGM_RSRC2:TGID_Y_EN: 0
; COMPUTE_PGM_RSRC2:TGID_Z_EN: 0
; COMPUTE_PGM_RSRC2:TIDIG_COMP_CNT: 0
; COMPUTE_PGM_RSRC3_GFX90A:ACCUM_OFFSET: 0
; COMPUTE_PGM_RSRC3_GFX90A:TG_SPLIT: 0
	.section	.text._ZN7rocprim17ROCPRIM_400000_NS6detail17trampoline_kernelINS0_14default_configENS1_35radix_sort_onesweep_config_selectorItNS0_10empty_typeEEEZZNS1_29radix_sort_onesweep_iterationIS3_Lb0EN6thrust23THRUST_200600_302600_NS6detail15normal_iteratorINS9_10device_ptrItEEEESE_PS5_SF_jNS0_19identity_decomposerENS1_16block_id_wrapperIjLb1EEEEE10hipError_tT1_PNSt15iterator_traitsISK_E10value_typeET2_T3_PNSL_ISQ_E10value_typeET4_T5_PSV_SW_PNS1_23onesweep_lookback_stateEbbT6_jjT7_P12ihipStream_tbENKUlT_T0_SK_SP_E_clISE_PtSF_SF_EEDaS13_S14_SK_SP_EUlS13_E_NS1_11comp_targetILNS1_3genE8ELNS1_11target_archE1030ELNS1_3gpuE2ELNS1_3repE0EEENS1_47radix_sort_onesweep_sort_config_static_selectorELNS0_4arch9wavefront6targetE1EEEvSK_,"axG",@progbits,_ZN7rocprim17ROCPRIM_400000_NS6detail17trampoline_kernelINS0_14default_configENS1_35radix_sort_onesweep_config_selectorItNS0_10empty_typeEEEZZNS1_29radix_sort_onesweep_iterationIS3_Lb0EN6thrust23THRUST_200600_302600_NS6detail15normal_iteratorINS9_10device_ptrItEEEESE_PS5_SF_jNS0_19identity_decomposerENS1_16block_id_wrapperIjLb1EEEEE10hipError_tT1_PNSt15iterator_traitsISK_E10value_typeET2_T3_PNSL_ISQ_E10value_typeET4_T5_PSV_SW_PNS1_23onesweep_lookback_stateEbbT6_jjT7_P12ihipStream_tbENKUlT_T0_SK_SP_E_clISE_PtSF_SF_EEDaS13_S14_SK_SP_EUlS13_E_NS1_11comp_targetILNS1_3genE8ELNS1_11target_archE1030ELNS1_3gpuE2ELNS1_3repE0EEENS1_47radix_sort_onesweep_sort_config_static_selectorELNS0_4arch9wavefront6targetE1EEEvSK_,comdat
	.protected	_ZN7rocprim17ROCPRIM_400000_NS6detail17trampoline_kernelINS0_14default_configENS1_35radix_sort_onesweep_config_selectorItNS0_10empty_typeEEEZZNS1_29radix_sort_onesweep_iterationIS3_Lb0EN6thrust23THRUST_200600_302600_NS6detail15normal_iteratorINS9_10device_ptrItEEEESE_PS5_SF_jNS0_19identity_decomposerENS1_16block_id_wrapperIjLb1EEEEE10hipError_tT1_PNSt15iterator_traitsISK_E10value_typeET2_T3_PNSL_ISQ_E10value_typeET4_T5_PSV_SW_PNS1_23onesweep_lookback_stateEbbT6_jjT7_P12ihipStream_tbENKUlT_T0_SK_SP_E_clISE_PtSF_SF_EEDaS13_S14_SK_SP_EUlS13_E_NS1_11comp_targetILNS1_3genE8ELNS1_11target_archE1030ELNS1_3gpuE2ELNS1_3repE0EEENS1_47radix_sort_onesweep_sort_config_static_selectorELNS0_4arch9wavefront6targetE1EEEvSK_ ; -- Begin function _ZN7rocprim17ROCPRIM_400000_NS6detail17trampoline_kernelINS0_14default_configENS1_35radix_sort_onesweep_config_selectorItNS0_10empty_typeEEEZZNS1_29radix_sort_onesweep_iterationIS3_Lb0EN6thrust23THRUST_200600_302600_NS6detail15normal_iteratorINS9_10device_ptrItEEEESE_PS5_SF_jNS0_19identity_decomposerENS1_16block_id_wrapperIjLb1EEEEE10hipError_tT1_PNSt15iterator_traitsISK_E10value_typeET2_T3_PNSL_ISQ_E10value_typeET4_T5_PSV_SW_PNS1_23onesweep_lookback_stateEbbT6_jjT7_P12ihipStream_tbENKUlT_T0_SK_SP_E_clISE_PtSF_SF_EEDaS13_S14_SK_SP_EUlS13_E_NS1_11comp_targetILNS1_3genE8ELNS1_11target_archE1030ELNS1_3gpuE2ELNS1_3repE0EEENS1_47radix_sort_onesweep_sort_config_static_selectorELNS0_4arch9wavefront6targetE1EEEvSK_
	.globl	_ZN7rocprim17ROCPRIM_400000_NS6detail17trampoline_kernelINS0_14default_configENS1_35radix_sort_onesweep_config_selectorItNS0_10empty_typeEEEZZNS1_29radix_sort_onesweep_iterationIS3_Lb0EN6thrust23THRUST_200600_302600_NS6detail15normal_iteratorINS9_10device_ptrItEEEESE_PS5_SF_jNS0_19identity_decomposerENS1_16block_id_wrapperIjLb1EEEEE10hipError_tT1_PNSt15iterator_traitsISK_E10value_typeET2_T3_PNSL_ISQ_E10value_typeET4_T5_PSV_SW_PNS1_23onesweep_lookback_stateEbbT6_jjT7_P12ihipStream_tbENKUlT_T0_SK_SP_E_clISE_PtSF_SF_EEDaS13_S14_SK_SP_EUlS13_E_NS1_11comp_targetILNS1_3genE8ELNS1_11target_archE1030ELNS1_3gpuE2ELNS1_3repE0EEENS1_47radix_sort_onesweep_sort_config_static_selectorELNS0_4arch9wavefront6targetE1EEEvSK_
	.p2align	8
	.type	_ZN7rocprim17ROCPRIM_400000_NS6detail17trampoline_kernelINS0_14default_configENS1_35radix_sort_onesweep_config_selectorItNS0_10empty_typeEEEZZNS1_29radix_sort_onesweep_iterationIS3_Lb0EN6thrust23THRUST_200600_302600_NS6detail15normal_iteratorINS9_10device_ptrItEEEESE_PS5_SF_jNS0_19identity_decomposerENS1_16block_id_wrapperIjLb1EEEEE10hipError_tT1_PNSt15iterator_traitsISK_E10value_typeET2_T3_PNSL_ISQ_E10value_typeET4_T5_PSV_SW_PNS1_23onesweep_lookback_stateEbbT6_jjT7_P12ihipStream_tbENKUlT_T0_SK_SP_E_clISE_PtSF_SF_EEDaS13_S14_SK_SP_EUlS13_E_NS1_11comp_targetILNS1_3genE8ELNS1_11target_archE1030ELNS1_3gpuE2ELNS1_3repE0EEENS1_47radix_sort_onesweep_sort_config_static_selectorELNS0_4arch9wavefront6targetE1EEEvSK_,@function
_ZN7rocprim17ROCPRIM_400000_NS6detail17trampoline_kernelINS0_14default_configENS1_35radix_sort_onesweep_config_selectorItNS0_10empty_typeEEEZZNS1_29radix_sort_onesweep_iterationIS3_Lb0EN6thrust23THRUST_200600_302600_NS6detail15normal_iteratorINS9_10device_ptrItEEEESE_PS5_SF_jNS0_19identity_decomposerENS1_16block_id_wrapperIjLb1EEEEE10hipError_tT1_PNSt15iterator_traitsISK_E10value_typeET2_T3_PNSL_ISQ_E10value_typeET4_T5_PSV_SW_PNS1_23onesweep_lookback_stateEbbT6_jjT7_P12ihipStream_tbENKUlT_T0_SK_SP_E_clISE_PtSF_SF_EEDaS13_S14_SK_SP_EUlS13_E_NS1_11comp_targetILNS1_3genE8ELNS1_11target_archE1030ELNS1_3gpuE2ELNS1_3repE0EEENS1_47radix_sort_onesweep_sort_config_static_selectorELNS0_4arch9wavefront6targetE1EEEvSK_: ; @_ZN7rocprim17ROCPRIM_400000_NS6detail17trampoline_kernelINS0_14default_configENS1_35radix_sort_onesweep_config_selectorItNS0_10empty_typeEEEZZNS1_29radix_sort_onesweep_iterationIS3_Lb0EN6thrust23THRUST_200600_302600_NS6detail15normal_iteratorINS9_10device_ptrItEEEESE_PS5_SF_jNS0_19identity_decomposerENS1_16block_id_wrapperIjLb1EEEEE10hipError_tT1_PNSt15iterator_traitsISK_E10value_typeET2_T3_PNSL_ISQ_E10value_typeET4_T5_PSV_SW_PNS1_23onesweep_lookback_stateEbbT6_jjT7_P12ihipStream_tbENKUlT_T0_SK_SP_E_clISE_PtSF_SF_EEDaS13_S14_SK_SP_EUlS13_E_NS1_11comp_targetILNS1_3genE8ELNS1_11target_archE1030ELNS1_3gpuE2ELNS1_3repE0EEENS1_47radix_sort_onesweep_sort_config_static_selectorELNS0_4arch9wavefront6targetE1EEEvSK_
; %bb.0:
	.section	.rodata,"a",@progbits
	.p2align	6, 0x0
	.amdhsa_kernel _ZN7rocprim17ROCPRIM_400000_NS6detail17trampoline_kernelINS0_14default_configENS1_35radix_sort_onesweep_config_selectorItNS0_10empty_typeEEEZZNS1_29radix_sort_onesweep_iterationIS3_Lb0EN6thrust23THRUST_200600_302600_NS6detail15normal_iteratorINS9_10device_ptrItEEEESE_PS5_SF_jNS0_19identity_decomposerENS1_16block_id_wrapperIjLb1EEEEE10hipError_tT1_PNSt15iterator_traitsISK_E10value_typeET2_T3_PNSL_ISQ_E10value_typeET4_T5_PSV_SW_PNS1_23onesweep_lookback_stateEbbT6_jjT7_P12ihipStream_tbENKUlT_T0_SK_SP_E_clISE_PtSF_SF_EEDaS13_S14_SK_SP_EUlS13_E_NS1_11comp_targetILNS1_3genE8ELNS1_11target_archE1030ELNS1_3gpuE2ELNS1_3repE0EEENS1_47radix_sort_onesweep_sort_config_static_selectorELNS0_4arch9wavefront6targetE1EEEvSK_
		.amdhsa_group_segment_fixed_size 0
		.amdhsa_private_segment_fixed_size 0
		.amdhsa_kernarg_size 88
		.amdhsa_user_sgpr_count 6
		.amdhsa_user_sgpr_private_segment_buffer 1
		.amdhsa_user_sgpr_dispatch_ptr 0
		.amdhsa_user_sgpr_queue_ptr 0
		.amdhsa_user_sgpr_kernarg_segment_ptr 1
		.amdhsa_user_sgpr_dispatch_id 0
		.amdhsa_user_sgpr_flat_scratch_init 0
		.amdhsa_user_sgpr_kernarg_preload_length 0
		.amdhsa_user_sgpr_kernarg_preload_offset 0
		.amdhsa_user_sgpr_private_segment_size 0
		.amdhsa_uses_dynamic_stack 0
		.amdhsa_system_sgpr_private_segment_wavefront_offset 0
		.amdhsa_system_sgpr_workgroup_id_x 1
		.amdhsa_system_sgpr_workgroup_id_y 0
		.amdhsa_system_sgpr_workgroup_id_z 0
		.amdhsa_system_sgpr_workgroup_info 0
		.amdhsa_system_vgpr_workitem_id 0
		.amdhsa_next_free_vgpr 1
		.amdhsa_next_free_sgpr 0
		.amdhsa_accum_offset 4
		.amdhsa_reserve_vcc 0
		.amdhsa_reserve_flat_scratch 0
		.amdhsa_float_round_mode_32 0
		.amdhsa_float_round_mode_16_64 0
		.amdhsa_float_denorm_mode_32 3
		.amdhsa_float_denorm_mode_16_64 3
		.amdhsa_dx10_clamp 1
		.amdhsa_ieee_mode 1
		.amdhsa_fp16_overflow 0
		.amdhsa_tg_split 0
		.amdhsa_exception_fp_ieee_invalid_op 0
		.amdhsa_exception_fp_denorm_src 0
		.amdhsa_exception_fp_ieee_div_zero 0
		.amdhsa_exception_fp_ieee_overflow 0
		.amdhsa_exception_fp_ieee_underflow 0
		.amdhsa_exception_fp_ieee_inexact 0
		.amdhsa_exception_int_div_zero 0
	.end_amdhsa_kernel
	.section	.text._ZN7rocprim17ROCPRIM_400000_NS6detail17trampoline_kernelINS0_14default_configENS1_35radix_sort_onesweep_config_selectorItNS0_10empty_typeEEEZZNS1_29radix_sort_onesweep_iterationIS3_Lb0EN6thrust23THRUST_200600_302600_NS6detail15normal_iteratorINS9_10device_ptrItEEEESE_PS5_SF_jNS0_19identity_decomposerENS1_16block_id_wrapperIjLb1EEEEE10hipError_tT1_PNSt15iterator_traitsISK_E10value_typeET2_T3_PNSL_ISQ_E10value_typeET4_T5_PSV_SW_PNS1_23onesweep_lookback_stateEbbT6_jjT7_P12ihipStream_tbENKUlT_T0_SK_SP_E_clISE_PtSF_SF_EEDaS13_S14_SK_SP_EUlS13_E_NS1_11comp_targetILNS1_3genE8ELNS1_11target_archE1030ELNS1_3gpuE2ELNS1_3repE0EEENS1_47radix_sort_onesweep_sort_config_static_selectorELNS0_4arch9wavefront6targetE1EEEvSK_,"axG",@progbits,_ZN7rocprim17ROCPRIM_400000_NS6detail17trampoline_kernelINS0_14default_configENS1_35radix_sort_onesweep_config_selectorItNS0_10empty_typeEEEZZNS1_29radix_sort_onesweep_iterationIS3_Lb0EN6thrust23THRUST_200600_302600_NS6detail15normal_iteratorINS9_10device_ptrItEEEESE_PS5_SF_jNS0_19identity_decomposerENS1_16block_id_wrapperIjLb1EEEEE10hipError_tT1_PNSt15iterator_traitsISK_E10value_typeET2_T3_PNSL_ISQ_E10value_typeET4_T5_PSV_SW_PNS1_23onesweep_lookback_stateEbbT6_jjT7_P12ihipStream_tbENKUlT_T0_SK_SP_E_clISE_PtSF_SF_EEDaS13_S14_SK_SP_EUlS13_E_NS1_11comp_targetILNS1_3genE8ELNS1_11target_archE1030ELNS1_3gpuE2ELNS1_3repE0EEENS1_47radix_sort_onesweep_sort_config_static_selectorELNS0_4arch9wavefront6targetE1EEEvSK_,comdat
.Lfunc_end1355:
	.size	_ZN7rocprim17ROCPRIM_400000_NS6detail17trampoline_kernelINS0_14default_configENS1_35radix_sort_onesweep_config_selectorItNS0_10empty_typeEEEZZNS1_29radix_sort_onesweep_iterationIS3_Lb0EN6thrust23THRUST_200600_302600_NS6detail15normal_iteratorINS9_10device_ptrItEEEESE_PS5_SF_jNS0_19identity_decomposerENS1_16block_id_wrapperIjLb1EEEEE10hipError_tT1_PNSt15iterator_traitsISK_E10value_typeET2_T3_PNSL_ISQ_E10value_typeET4_T5_PSV_SW_PNS1_23onesweep_lookback_stateEbbT6_jjT7_P12ihipStream_tbENKUlT_T0_SK_SP_E_clISE_PtSF_SF_EEDaS13_S14_SK_SP_EUlS13_E_NS1_11comp_targetILNS1_3genE8ELNS1_11target_archE1030ELNS1_3gpuE2ELNS1_3repE0EEENS1_47radix_sort_onesweep_sort_config_static_selectorELNS0_4arch9wavefront6targetE1EEEvSK_, .Lfunc_end1355-_ZN7rocprim17ROCPRIM_400000_NS6detail17trampoline_kernelINS0_14default_configENS1_35radix_sort_onesweep_config_selectorItNS0_10empty_typeEEEZZNS1_29radix_sort_onesweep_iterationIS3_Lb0EN6thrust23THRUST_200600_302600_NS6detail15normal_iteratorINS9_10device_ptrItEEEESE_PS5_SF_jNS0_19identity_decomposerENS1_16block_id_wrapperIjLb1EEEEE10hipError_tT1_PNSt15iterator_traitsISK_E10value_typeET2_T3_PNSL_ISQ_E10value_typeET4_T5_PSV_SW_PNS1_23onesweep_lookback_stateEbbT6_jjT7_P12ihipStream_tbENKUlT_T0_SK_SP_E_clISE_PtSF_SF_EEDaS13_S14_SK_SP_EUlS13_E_NS1_11comp_targetILNS1_3genE8ELNS1_11target_archE1030ELNS1_3gpuE2ELNS1_3repE0EEENS1_47radix_sort_onesweep_sort_config_static_selectorELNS0_4arch9wavefront6targetE1EEEvSK_
                                        ; -- End function
	.section	.AMDGPU.csdata,"",@progbits
; Kernel info:
; codeLenInByte = 0
; NumSgprs: 4
; NumVgprs: 0
; NumAgprs: 0
; TotalNumVgprs: 0
; ScratchSize: 0
; MemoryBound: 0
; FloatMode: 240
; IeeeMode: 1
; LDSByteSize: 0 bytes/workgroup (compile time only)
; SGPRBlocks: 0
; VGPRBlocks: 0
; NumSGPRsForWavesPerEU: 4
; NumVGPRsForWavesPerEU: 1
; AccumOffset: 4
; Occupancy: 8
; WaveLimiterHint : 0
; COMPUTE_PGM_RSRC2:SCRATCH_EN: 0
; COMPUTE_PGM_RSRC2:USER_SGPR: 6
; COMPUTE_PGM_RSRC2:TRAP_HANDLER: 0
; COMPUTE_PGM_RSRC2:TGID_X_EN: 1
; COMPUTE_PGM_RSRC2:TGID_Y_EN: 0
; COMPUTE_PGM_RSRC2:TGID_Z_EN: 0
; COMPUTE_PGM_RSRC2:TIDIG_COMP_CNT: 0
; COMPUTE_PGM_RSRC3_GFX90A:ACCUM_OFFSET: 0
; COMPUTE_PGM_RSRC3_GFX90A:TG_SPLIT: 0
	.section	.text._ZN7rocprim17ROCPRIM_400000_NS6detail17trampoline_kernelINS0_14default_configENS1_35radix_sort_onesweep_config_selectorItNS0_10empty_typeEEEZZNS1_29radix_sort_onesweep_iterationIS3_Lb0EN6thrust23THRUST_200600_302600_NS6detail15normal_iteratorINS9_10device_ptrItEEEESE_PS5_SF_jNS0_19identity_decomposerENS1_16block_id_wrapperIjLb1EEEEE10hipError_tT1_PNSt15iterator_traitsISK_E10value_typeET2_T3_PNSL_ISQ_E10value_typeET4_T5_PSV_SW_PNS1_23onesweep_lookback_stateEbbT6_jjT7_P12ihipStream_tbENKUlT_T0_SK_SP_E_clIPtSE_SF_SF_EEDaS13_S14_SK_SP_EUlS13_E_NS1_11comp_targetILNS1_3genE0ELNS1_11target_archE4294967295ELNS1_3gpuE0ELNS1_3repE0EEENS1_47radix_sort_onesweep_sort_config_static_selectorELNS0_4arch9wavefront6targetE1EEEvSK_,"axG",@progbits,_ZN7rocprim17ROCPRIM_400000_NS6detail17trampoline_kernelINS0_14default_configENS1_35radix_sort_onesweep_config_selectorItNS0_10empty_typeEEEZZNS1_29radix_sort_onesweep_iterationIS3_Lb0EN6thrust23THRUST_200600_302600_NS6detail15normal_iteratorINS9_10device_ptrItEEEESE_PS5_SF_jNS0_19identity_decomposerENS1_16block_id_wrapperIjLb1EEEEE10hipError_tT1_PNSt15iterator_traitsISK_E10value_typeET2_T3_PNSL_ISQ_E10value_typeET4_T5_PSV_SW_PNS1_23onesweep_lookback_stateEbbT6_jjT7_P12ihipStream_tbENKUlT_T0_SK_SP_E_clIPtSE_SF_SF_EEDaS13_S14_SK_SP_EUlS13_E_NS1_11comp_targetILNS1_3genE0ELNS1_11target_archE4294967295ELNS1_3gpuE0ELNS1_3repE0EEENS1_47radix_sort_onesweep_sort_config_static_selectorELNS0_4arch9wavefront6targetE1EEEvSK_,comdat
	.protected	_ZN7rocprim17ROCPRIM_400000_NS6detail17trampoline_kernelINS0_14default_configENS1_35radix_sort_onesweep_config_selectorItNS0_10empty_typeEEEZZNS1_29radix_sort_onesweep_iterationIS3_Lb0EN6thrust23THRUST_200600_302600_NS6detail15normal_iteratorINS9_10device_ptrItEEEESE_PS5_SF_jNS0_19identity_decomposerENS1_16block_id_wrapperIjLb1EEEEE10hipError_tT1_PNSt15iterator_traitsISK_E10value_typeET2_T3_PNSL_ISQ_E10value_typeET4_T5_PSV_SW_PNS1_23onesweep_lookback_stateEbbT6_jjT7_P12ihipStream_tbENKUlT_T0_SK_SP_E_clIPtSE_SF_SF_EEDaS13_S14_SK_SP_EUlS13_E_NS1_11comp_targetILNS1_3genE0ELNS1_11target_archE4294967295ELNS1_3gpuE0ELNS1_3repE0EEENS1_47radix_sort_onesweep_sort_config_static_selectorELNS0_4arch9wavefront6targetE1EEEvSK_ ; -- Begin function _ZN7rocprim17ROCPRIM_400000_NS6detail17trampoline_kernelINS0_14default_configENS1_35radix_sort_onesweep_config_selectorItNS0_10empty_typeEEEZZNS1_29radix_sort_onesweep_iterationIS3_Lb0EN6thrust23THRUST_200600_302600_NS6detail15normal_iteratorINS9_10device_ptrItEEEESE_PS5_SF_jNS0_19identity_decomposerENS1_16block_id_wrapperIjLb1EEEEE10hipError_tT1_PNSt15iterator_traitsISK_E10value_typeET2_T3_PNSL_ISQ_E10value_typeET4_T5_PSV_SW_PNS1_23onesweep_lookback_stateEbbT6_jjT7_P12ihipStream_tbENKUlT_T0_SK_SP_E_clIPtSE_SF_SF_EEDaS13_S14_SK_SP_EUlS13_E_NS1_11comp_targetILNS1_3genE0ELNS1_11target_archE4294967295ELNS1_3gpuE0ELNS1_3repE0EEENS1_47radix_sort_onesweep_sort_config_static_selectorELNS0_4arch9wavefront6targetE1EEEvSK_
	.globl	_ZN7rocprim17ROCPRIM_400000_NS6detail17trampoline_kernelINS0_14default_configENS1_35radix_sort_onesweep_config_selectorItNS0_10empty_typeEEEZZNS1_29radix_sort_onesweep_iterationIS3_Lb0EN6thrust23THRUST_200600_302600_NS6detail15normal_iteratorINS9_10device_ptrItEEEESE_PS5_SF_jNS0_19identity_decomposerENS1_16block_id_wrapperIjLb1EEEEE10hipError_tT1_PNSt15iterator_traitsISK_E10value_typeET2_T3_PNSL_ISQ_E10value_typeET4_T5_PSV_SW_PNS1_23onesweep_lookback_stateEbbT6_jjT7_P12ihipStream_tbENKUlT_T0_SK_SP_E_clIPtSE_SF_SF_EEDaS13_S14_SK_SP_EUlS13_E_NS1_11comp_targetILNS1_3genE0ELNS1_11target_archE4294967295ELNS1_3gpuE0ELNS1_3repE0EEENS1_47radix_sort_onesweep_sort_config_static_selectorELNS0_4arch9wavefront6targetE1EEEvSK_
	.p2align	8
	.type	_ZN7rocprim17ROCPRIM_400000_NS6detail17trampoline_kernelINS0_14default_configENS1_35radix_sort_onesweep_config_selectorItNS0_10empty_typeEEEZZNS1_29radix_sort_onesweep_iterationIS3_Lb0EN6thrust23THRUST_200600_302600_NS6detail15normal_iteratorINS9_10device_ptrItEEEESE_PS5_SF_jNS0_19identity_decomposerENS1_16block_id_wrapperIjLb1EEEEE10hipError_tT1_PNSt15iterator_traitsISK_E10value_typeET2_T3_PNSL_ISQ_E10value_typeET4_T5_PSV_SW_PNS1_23onesweep_lookback_stateEbbT6_jjT7_P12ihipStream_tbENKUlT_T0_SK_SP_E_clIPtSE_SF_SF_EEDaS13_S14_SK_SP_EUlS13_E_NS1_11comp_targetILNS1_3genE0ELNS1_11target_archE4294967295ELNS1_3gpuE0ELNS1_3repE0EEENS1_47radix_sort_onesweep_sort_config_static_selectorELNS0_4arch9wavefront6targetE1EEEvSK_,@function
_ZN7rocprim17ROCPRIM_400000_NS6detail17trampoline_kernelINS0_14default_configENS1_35radix_sort_onesweep_config_selectorItNS0_10empty_typeEEEZZNS1_29radix_sort_onesweep_iterationIS3_Lb0EN6thrust23THRUST_200600_302600_NS6detail15normal_iteratorINS9_10device_ptrItEEEESE_PS5_SF_jNS0_19identity_decomposerENS1_16block_id_wrapperIjLb1EEEEE10hipError_tT1_PNSt15iterator_traitsISK_E10value_typeET2_T3_PNSL_ISQ_E10value_typeET4_T5_PSV_SW_PNS1_23onesweep_lookback_stateEbbT6_jjT7_P12ihipStream_tbENKUlT_T0_SK_SP_E_clIPtSE_SF_SF_EEDaS13_S14_SK_SP_EUlS13_E_NS1_11comp_targetILNS1_3genE0ELNS1_11target_archE4294967295ELNS1_3gpuE0ELNS1_3repE0EEENS1_47radix_sort_onesweep_sort_config_static_selectorELNS0_4arch9wavefront6targetE1EEEvSK_: ; @_ZN7rocprim17ROCPRIM_400000_NS6detail17trampoline_kernelINS0_14default_configENS1_35radix_sort_onesweep_config_selectorItNS0_10empty_typeEEEZZNS1_29radix_sort_onesweep_iterationIS3_Lb0EN6thrust23THRUST_200600_302600_NS6detail15normal_iteratorINS9_10device_ptrItEEEESE_PS5_SF_jNS0_19identity_decomposerENS1_16block_id_wrapperIjLb1EEEEE10hipError_tT1_PNSt15iterator_traitsISK_E10value_typeET2_T3_PNSL_ISQ_E10value_typeET4_T5_PSV_SW_PNS1_23onesweep_lookback_stateEbbT6_jjT7_P12ihipStream_tbENKUlT_T0_SK_SP_E_clIPtSE_SF_SF_EEDaS13_S14_SK_SP_EUlS13_E_NS1_11comp_targetILNS1_3genE0ELNS1_11target_archE4294967295ELNS1_3gpuE0ELNS1_3repE0EEENS1_47radix_sort_onesweep_sort_config_static_selectorELNS0_4arch9wavefront6targetE1EEEvSK_
; %bb.0:
	.section	.rodata,"a",@progbits
	.p2align	6, 0x0
	.amdhsa_kernel _ZN7rocprim17ROCPRIM_400000_NS6detail17trampoline_kernelINS0_14default_configENS1_35radix_sort_onesweep_config_selectorItNS0_10empty_typeEEEZZNS1_29radix_sort_onesweep_iterationIS3_Lb0EN6thrust23THRUST_200600_302600_NS6detail15normal_iteratorINS9_10device_ptrItEEEESE_PS5_SF_jNS0_19identity_decomposerENS1_16block_id_wrapperIjLb1EEEEE10hipError_tT1_PNSt15iterator_traitsISK_E10value_typeET2_T3_PNSL_ISQ_E10value_typeET4_T5_PSV_SW_PNS1_23onesweep_lookback_stateEbbT6_jjT7_P12ihipStream_tbENKUlT_T0_SK_SP_E_clIPtSE_SF_SF_EEDaS13_S14_SK_SP_EUlS13_E_NS1_11comp_targetILNS1_3genE0ELNS1_11target_archE4294967295ELNS1_3gpuE0ELNS1_3repE0EEENS1_47radix_sort_onesweep_sort_config_static_selectorELNS0_4arch9wavefront6targetE1EEEvSK_
		.amdhsa_group_segment_fixed_size 0
		.amdhsa_private_segment_fixed_size 0
		.amdhsa_kernarg_size 88
		.amdhsa_user_sgpr_count 6
		.amdhsa_user_sgpr_private_segment_buffer 1
		.amdhsa_user_sgpr_dispatch_ptr 0
		.amdhsa_user_sgpr_queue_ptr 0
		.amdhsa_user_sgpr_kernarg_segment_ptr 1
		.amdhsa_user_sgpr_dispatch_id 0
		.amdhsa_user_sgpr_flat_scratch_init 0
		.amdhsa_user_sgpr_kernarg_preload_length 0
		.amdhsa_user_sgpr_kernarg_preload_offset 0
		.amdhsa_user_sgpr_private_segment_size 0
		.amdhsa_uses_dynamic_stack 0
		.amdhsa_system_sgpr_private_segment_wavefront_offset 0
		.amdhsa_system_sgpr_workgroup_id_x 1
		.amdhsa_system_sgpr_workgroup_id_y 0
		.amdhsa_system_sgpr_workgroup_id_z 0
		.amdhsa_system_sgpr_workgroup_info 0
		.amdhsa_system_vgpr_workitem_id 0
		.amdhsa_next_free_vgpr 1
		.amdhsa_next_free_sgpr 0
		.amdhsa_accum_offset 4
		.amdhsa_reserve_vcc 0
		.amdhsa_reserve_flat_scratch 0
		.amdhsa_float_round_mode_32 0
		.amdhsa_float_round_mode_16_64 0
		.amdhsa_float_denorm_mode_32 3
		.amdhsa_float_denorm_mode_16_64 3
		.amdhsa_dx10_clamp 1
		.amdhsa_ieee_mode 1
		.amdhsa_fp16_overflow 0
		.amdhsa_tg_split 0
		.amdhsa_exception_fp_ieee_invalid_op 0
		.amdhsa_exception_fp_denorm_src 0
		.amdhsa_exception_fp_ieee_div_zero 0
		.amdhsa_exception_fp_ieee_overflow 0
		.amdhsa_exception_fp_ieee_underflow 0
		.amdhsa_exception_fp_ieee_inexact 0
		.amdhsa_exception_int_div_zero 0
	.end_amdhsa_kernel
	.section	.text._ZN7rocprim17ROCPRIM_400000_NS6detail17trampoline_kernelINS0_14default_configENS1_35radix_sort_onesweep_config_selectorItNS0_10empty_typeEEEZZNS1_29radix_sort_onesweep_iterationIS3_Lb0EN6thrust23THRUST_200600_302600_NS6detail15normal_iteratorINS9_10device_ptrItEEEESE_PS5_SF_jNS0_19identity_decomposerENS1_16block_id_wrapperIjLb1EEEEE10hipError_tT1_PNSt15iterator_traitsISK_E10value_typeET2_T3_PNSL_ISQ_E10value_typeET4_T5_PSV_SW_PNS1_23onesweep_lookback_stateEbbT6_jjT7_P12ihipStream_tbENKUlT_T0_SK_SP_E_clIPtSE_SF_SF_EEDaS13_S14_SK_SP_EUlS13_E_NS1_11comp_targetILNS1_3genE0ELNS1_11target_archE4294967295ELNS1_3gpuE0ELNS1_3repE0EEENS1_47radix_sort_onesweep_sort_config_static_selectorELNS0_4arch9wavefront6targetE1EEEvSK_,"axG",@progbits,_ZN7rocprim17ROCPRIM_400000_NS6detail17trampoline_kernelINS0_14default_configENS1_35radix_sort_onesweep_config_selectorItNS0_10empty_typeEEEZZNS1_29radix_sort_onesweep_iterationIS3_Lb0EN6thrust23THRUST_200600_302600_NS6detail15normal_iteratorINS9_10device_ptrItEEEESE_PS5_SF_jNS0_19identity_decomposerENS1_16block_id_wrapperIjLb1EEEEE10hipError_tT1_PNSt15iterator_traitsISK_E10value_typeET2_T3_PNSL_ISQ_E10value_typeET4_T5_PSV_SW_PNS1_23onesweep_lookback_stateEbbT6_jjT7_P12ihipStream_tbENKUlT_T0_SK_SP_E_clIPtSE_SF_SF_EEDaS13_S14_SK_SP_EUlS13_E_NS1_11comp_targetILNS1_3genE0ELNS1_11target_archE4294967295ELNS1_3gpuE0ELNS1_3repE0EEENS1_47radix_sort_onesweep_sort_config_static_selectorELNS0_4arch9wavefront6targetE1EEEvSK_,comdat
.Lfunc_end1356:
	.size	_ZN7rocprim17ROCPRIM_400000_NS6detail17trampoline_kernelINS0_14default_configENS1_35radix_sort_onesweep_config_selectorItNS0_10empty_typeEEEZZNS1_29radix_sort_onesweep_iterationIS3_Lb0EN6thrust23THRUST_200600_302600_NS6detail15normal_iteratorINS9_10device_ptrItEEEESE_PS5_SF_jNS0_19identity_decomposerENS1_16block_id_wrapperIjLb1EEEEE10hipError_tT1_PNSt15iterator_traitsISK_E10value_typeET2_T3_PNSL_ISQ_E10value_typeET4_T5_PSV_SW_PNS1_23onesweep_lookback_stateEbbT6_jjT7_P12ihipStream_tbENKUlT_T0_SK_SP_E_clIPtSE_SF_SF_EEDaS13_S14_SK_SP_EUlS13_E_NS1_11comp_targetILNS1_3genE0ELNS1_11target_archE4294967295ELNS1_3gpuE0ELNS1_3repE0EEENS1_47radix_sort_onesweep_sort_config_static_selectorELNS0_4arch9wavefront6targetE1EEEvSK_, .Lfunc_end1356-_ZN7rocprim17ROCPRIM_400000_NS6detail17trampoline_kernelINS0_14default_configENS1_35radix_sort_onesweep_config_selectorItNS0_10empty_typeEEEZZNS1_29radix_sort_onesweep_iterationIS3_Lb0EN6thrust23THRUST_200600_302600_NS6detail15normal_iteratorINS9_10device_ptrItEEEESE_PS5_SF_jNS0_19identity_decomposerENS1_16block_id_wrapperIjLb1EEEEE10hipError_tT1_PNSt15iterator_traitsISK_E10value_typeET2_T3_PNSL_ISQ_E10value_typeET4_T5_PSV_SW_PNS1_23onesweep_lookback_stateEbbT6_jjT7_P12ihipStream_tbENKUlT_T0_SK_SP_E_clIPtSE_SF_SF_EEDaS13_S14_SK_SP_EUlS13_E_NS1_11comp_targetILNS1_3genE0ELNS1_11target_archE4294967295ELNS1_3gpuE0ELNS1_3repE0EEENS1_47radix_sort_onesweep_sort_config_static_selectorELNS0_4arch9wavefront6targetE1EEEvSK_
                                        ; -- End function
	.section	.AMDGPU.csdata,"",@progbits
; Kernel info:
; codeLenInByte = 0
; NumSgprs: 4
; NumVgprs: 0
; NumAgprs: 0
; TotalNumVgprs: 0
; ScratchSize: 0
; MemoryBound: 0
; FloatMode: 240
; IeeeMode: 1
; LDSByteSize: 0 bytes/workgroup (compile time only)
; SGPRBlocks: 0
; VGPRBlocks: 0
; NumSGPRsForWavesPerEU: 4
; NumVGPRsForWavesPerEU: 1
; AccumOffset: 4
; Occupancy: 8
; WaveLimiterHint : 0
; COMPUTE_PGM_RSRC2:SCRATCH_EN: 0
; COMPUTE_PGM_RSRC2:USER_SGPR: 6
; COMPUTE_PGM_RSRC2:TRAP_HANDLER: 0
; COMPUTE_PGM_RSRC2:TGID_X_EN: 1
; COMPUTE_PGM_RSRC2:TGID_Y_EN: 0
; COMPUTE_PGM_RSRC2:TGID_Z_EN: 0
; COMPUTE_PGM_RSRC2:TIDIG_COMP_CNT: 0
; COMPUTE_PGM_RSRC3_GFX90A:ACCUM_OFFSET: 0
; COMPUTE_PGM_RSRC3_GFX90A:TG_SPLIT: 0
	.section	.text._ZN7rocprim17ROCPRIM_400000_NS6detail17trampoline_kernelINS0_14default_configENS1_35radix_sort_onesweep_config_selectorItNS0_10empty_typeEEEZZNS1_29radix_sort_onesweep_iterationIS3_Lb0EN6thrust23THRUST_200600_302600_NS6detail15normal_iteratorINS9_10device_ptrItEEEESE_PS5_SF_jNS0_19identity_decomposerENS1_16block_id_wrapperIjLb1EEEEE10hipError_tT1_PNSt15iterator_traitsISK_E10value_typeET2_T3_PNSL_ISQ_E10value_typeET4_T5_PSV_SW_PNS1_23onesweep_lookback_stateEbbT6_jjT7_P12ihipStream_tbENKUlT_T0_SK_SP_E_clIPtSE_SF_SF_EEDaS13_S14_SK_SP_EUlS13_E_NS1_11comp_targetILNS1_3genE6ELNS1_11target_archE950ELNS1_3gpuE13ELNS1_3repE0EEENS1_47radix_sort_onesweep_sort_config_static_selectorELNS0_4arch9wavefront6targetE1EEEvSK_,"axG",@progbits,_ZN7rocprim17ROCPRIM_400000_NS6detail17trampoline_kernelINS0_14default_configENS1_35radix_sort_onesweep_config_selectorItNS0_10empty_typeEEEZZNS1_29radix_sort_onesweep_iterationIS3_Lb0EN6thrust23THRUST_200600_302600_NS6detail15normal_iteratorINS9_10device_ptrItEEEESE_PS5_SF_jNS0_19identity_decomposerENS1_16block_id_wrapperIjLb1EEEEE10hipError_tT1_PNSt15iterator_traitsISK_E10value_typeET2_T3_PNSL_ISQ_E10value_typeET4_T5_PSV_SW_PNS1_23onesweep_lookback_stateEbbT6_jjT7_P12ihipStream_tbENKUlT_T0_SK_SP_E_clIPtSE_SF_SF_EEDaS13_S14_SK_SP_EUlS13_E_NS1_11comp_targetILNS1_3genE6ELNS1_11target_archE950ELNS1_3gpuE13ELNS1_3repE0EEENS1_47radix_sort_onesweep_sort_config_static_selectorELNS0_4arch9wavefront6targetE1EEEvSK_,comdat
	.protected	_ZN7rocprim17ROCPRIM_400000_NS6detail17trampoline_kernelINS0_14default_configENS1_35radix_sort_onesweep_config_selectorItNS0_10empty_typeEEEZZNS1_29radix_sort_onesweep_iterationIS3_Lb0EN6thrust23THRUST_200600_302600_NS6detail15normal_iteratorINS9_10device_ptrItEEEESE_PS5_SF_jNS0_19identity_decomposerENS1_16block_id_wrapperIjLb1EEEEE10hipError_tT1_PNSt15iterator_traitsISK_E10value_typeET2_T3_PNSL_ISQ_E10value_typeET4_T5_PSV_SW_PNS1_23onesweep_lookback_stateEbbT6_jjT7_P12ihipStream_tbENKUlT_T0_SK_SP_E_clIPtSE_SF_SF_EEDaS13_S14_SK_SP_EUlS13_E_NS1_11comp_targetILNS1_3genE6ELNS1_11target_archE950ELNS1_3gpuE13ELNS1_3repE0EEENS1_47radix_sort_onesweep_sort_config_static_selectorELNS0_4arch9wavefront6targetE1EEEvSK_ ; -- Begin function _ZN7rocprim17ROCPRIM_400000_NS6detail17trampoline_kernelINS0_14default_configENS1_35radix_sort_onesweep_config_selectorItNS0_10empty_typeEEEZZNS1_29radix_sort_onesweep_iterationIS3_Lb0EN6thrust23THRUST_200600_302600_NS6detail15normal_iteratorINS9_10device_ptrItEEEESE_PS5_SF_jNS0_19identity_decomposerENS1_16block_id_wrapperIjLb1EEEEE10hipError_tT1_PNSt15iterator_traitsISK_E10value_typeET2_T3_PNSL_ISQ_E10value_typeET4_T5_PSV_SW_PNS1_23onesweep_lookback_stateEbbT6_jjT7_P12ihipStream_tbENKUlT_T0_SK_SP_E_clIPtSE_SF_SF_EEDaS13_S14_SK_SP_EUlS13_E_NS1_11comp_targetILNS1_3genE6ELNS1_11target_archE950ELNS1_3gpuE13ELNS1_3repE0EEENS1_47radix_sort_onesweep_sort_config_static_selectorELNS0_4arch9wavefront6targetE1EEEvSK_
	.globl	_ZN7rocprim17ROCPRIM_400000_NS6detail17trampoline_kernelINS0_14default_configENS1_35radix_sort_onesweep_config_selectorItNS0_10empty_typeEEEZZNS1_29radix_sort_onesweep_iterationIS3_Lb0EN6thrust23THRUST_200600_302600_NS6detail15normal_iteratorINS9_10device_ptrItEEEESE_PS5_SF_jNS0_19identity_decomposerENS1_16block_id_wrapperIjLb1EEEEE10hipError_tT1_PNSt15iterator_traitsISK_E10value_typeET2_T3_PNSL_ISQ_E10value_typeET4_T5_PSV_SW_PNS1_23onesweep_lookback_stateEbbT6_jjT7_P12ihipStream_tbENKUlT_T0_SK_SP_E_clIPtSE_SF_SF_EEDaS13_S14_SK_SP_EUlS13_E_NS1_11comp_targetILNS1_3genE6ELNS1_11target_archE950ELNS1_3gpuE13ELNS1_3repE0EEENS1_47radix_sort_onesweep_sort_config_static_selectorELNS0_4arch9wavefront6targetE1EEEvSK_
	.p2align	8
	.type	_ZN7rocprim17ROCPRIM_400000_NS6detail17trampoline_kernelINS0_14default_configENS1_35radix_sort_onesweep_config_selectorItNS0_10empty_typeEEEZZNS1_29radix_sort_onesweep_iterationIS3_Lb0EN6thrust23THRUST_200600_302600_NS6detail15normal_iteratorINS9_10device_ptrItEEEESE_PS5_SF_jNS0_19identity_decomposerENS1_16block_id_wrapperIjLb1EEEEE10hipError_tT1_PNSt15iterator_traitsISK_E10value_typeET2_T3_PNSL_ISQ_E10value_typeET4_T5_PSV_SW_PNS1_23onesweep_lookback_stateEbbT6_jjT7_P12ihipStream_tbENKUlT_T0_SK_SP_E_clIPtSE_SF_SF_EEDaS13_S14_SK_SP_EUlS13_E_NS1_11comp_targetILNS1_3genE6ELNS1_11target_archE950ELNS1_3gpuE13ELNS1_3repE0EEENS1_47radix_sort_onesweep_sort_config_static_selectorELNS0_4arch9wavefront6targetE1EEEvSK_,@function
_ZN7rocprim17ROCPRIM_400000_NS6detail17trampoline_kernelINS0_14default_configENS1_35radix_sort_onesweep_config_selectorItNS0_10empty_typeEEEZZNS1_29radix_sort_onesweep_iterationIS3_Lb0EN6thrust23THRUST_200600_302600_NS6detail15normal_iteratorINS9_10device_ptrItEEEESE_PS5_SF_jNS0_19identity_decomposerENS1_16block_id_wrapperIjLb1EEEEE10hipError_tT1_PNSt15iterator_traitsISK_E10value_typeET2_T3_PNSL_ISQ_E10value_typeET4_T5_PSV_SW_PNS1_23onesweep_lookback_stateEbbT6_jjT7_P12ihipStream_tbENKUlT_T0_SK_SP_E_clIPtSE_SF_SF_EEDaS13_S14_SK_SP_EUlS13_E_NS1_11comp_targetILNS1_3genE6ELNS1_11target_archE950ELNS1_3gpuE13ELNS1_3repE0EEENS1_47radix_sort_onesweep_sort_config_static_selectorELNS0_4arch9wavefront6targetE1EEEvSK_: ; @_ZN7rocprim17ROCPRIM_400000_NS6detail17trampoline_kernelINS0_14default_configENS1_35radix_sort_onesweep_config_selectorItNS0_10empty_typeEEEZZNS1_29radix_sort_onesweep_iterationIS3_Lb0EN6thrust23THRUST_200600_302600_NS6detail15normal_iteratorINS9_10device_ptrItEEEESE_PS5_SF_jNS0_19identity_decomposerENS1_16block_id_wrapperIjLb1EEEEE10hipError_tT1_PNSt15iterator_traitsISK_E10value_typeET2_T3_PNSL_ISQ_E10value_typeET4_T5_PSV_SW_PNS1_23onesweep_lookback_stateEbbT6_jjT7_P12ihipStream_tbENKUlT_T0_SK_SP_E_clIPtSE_SF_SF_EEDaS13_S14_SK_SP_EUlS13_E_NS1_11comp_targetILNS1_3genE6ELNS1_11target_archE950ELNS1_3gpuE13ELNS1_3repE0EEENS1_47radix_sort_onesweep_sort_config_static_selectorELNS0_4arch9wavefront6targetE1EEEvSK_
; %bb.0:
	.section	.rodata,"a",@progbits
	.p2align	6, 0x0
	.amdhsa_kernel _ZN7rocprim17ROCPRIM_400000_NS6detail17trampoline_kernelINS0_14default_configENS1_35radix_sort_onesweep_config_selectorItNS0_10empty_typeEEEZZNS1_29radix_sort_onesweep_iterationIS3_Lb0EN6thrust23THRUST_200600_302600_NS6detail15normal_iteratorINS9_10device_ptrItEEEESE_PS5_SF_jNS0_19identity_decomposerENS1_16block_id_wrapperIjLb1EEEEE10hipError_tT1_PNSt15iterator_traitsISK_E10value_typeET2_T3_PNSL_ISQ_E10value_typeET4_T5_PSV_SW_PNS1_23onesweep_lookback_stateEbbT6_jjT7_P12ihipStream_tbENKUlT_T0_SK_SP_E_clIPtSE_SF_SF_EEDaS13_S14_SK_SP_EUlS13_E_NS1_11comp_targetILNS1_3genE6ELNS1_11target_archE950ELNS1_3gpuE13ELNS1_3repE0EEENS1_47radix_sort_onesweep_sort_config_static_selectorELNS0_4arch9wavefront6targetE1EEEvSK_
		.amdhsa_group_segment_fixed_size 0
		.amdhsa_private_segment_fixed_size 0
		.amdhsa_kernarg_size 88
		.amdhsa_user_sgpr_count 6
		.amdhsa_user_sgpr_private_segment_buffer 1
		.amdhsa_user_sgpr_dispatch_ptr 0
		.amdhsa_user_sgpr_queue_ptr 0
		.amdhsa_user_sgpr_kernarg_segment_ptr 1
		.amdhsa_user_sgpr_dispatch_id 0
		.amdhsa_user_sgpr_flat_scratch_init 0
		.amdhsa_user_sgpr_kernarg_preload_length 0
		.amdhsa_user_sgpr_kernarg_preload_offset 0
		.amdhsa_user_sgpr_private_segment_size 0
		.amdhsa_uses_dynamic_stack 0
		.amdhsa_system_sgpr_private_segment_wavefront_offset 0
		.amdhsa_system_sgpr_workgroup_id_x 1
		.amdhsa_system_sgpr_workgroup_id_y 0
		.amdhsa_system_sgpr_workgroup_id_z 0
		.amdhsa_system_sgpr_workgroup_info 0
		.amdhsa_system_vgpr_workitem_id 0
		.amdhsa_next_free_vgpr 1
		.amdhsa_next_free_sgpr 0
		.amdhsa_accum_offset 4
		.amdhsa_reserve_vcc 0
		.amdhsa_reserve_flat_scratch 0
		.amdhsa_float_round_mode_32 0
		.amdhsa_float_round_mode_16_64 0
		.amdhsa_float_denorm_mode_32 3
		.amdhsa_float_denorm_mode_16_64 3
		.amdhsa_dx10_clamp 1
		.amdhsa_ieee_mode 1
		.amdhsa_fp16_overflow 0
		.amdhsa_tg_split 0
		.amdhsa_exception_fp_ieee_invalid_op 0
		.amdhsa_exception_fp_denorm_src 0
		.amdhsa_exception_fp_ieee_div_zero 0
		.amdhsa_exception_fp_ieee_overflow 0
		.amdhsa_exception_fp_ieee_underflow 0
		.amdhsa_exception_fp_ieee_inexact 0
		.amdhsa_exception_int_div_zero 0
	.end_amdhsa_kernel
	.section	.text._ZN7rocprim17ROCPRIM_400000_NS6detail17trampoline_kernelINS0_14default_configENS1_35radix_sort_onesweep_config_selectorItNS0_10empty_typeEEEZZNS1_29radix_sort_onesweep_iterationIS3_Lb0EN6thrust23THRUST_200600_302600_NS6detail15normal_iteratorINS9_10device_ptrItEEEESE_PS5_SF_jNS0_19identity_decomposerENS1_16block_id_wrapperIjLb1EEEEE10hipError_tT1_PNSt15iterator_traitsISK_E10value_typeET2_T3_PNSL_ISQ_E10value_typeET4_T5_PSV_SW_PNS1_23onesweep_lookback_stateEbbT6_jjT7_P12ihipStream_tbENKUlT_T0_SK_SP_E_clIPtSE_SF_SF_EEDaS13_S14_SK_SP_EUlS13_E_NS1_11comp_targetILNS1_3genE6ELNS1_11target_archE950ELNS1_3gpuE13ELNS1_3repE0EEENS1_47radix_sort_onesweep_sort_config_static_selectorELNS0_4arch9wavefront6targetE1EEEvSK_,"axG",@progbits,_ZN7rocprim17ROCPRIM_400000_NS6detail17trampoline_kernelINS0_14default_configENS1_35radix_sort_onesweep_config_selectorItNS0_10empty_typeEEEZZNS1_29radix_sort_onesweep_iterationIS3_Lb0EN6thrust23THRUST_200600_302600_NS6detail15normal_iteratorINS9_10device_ptrItEEEESE_PS5_SF_jNS0_19identity_decomposerENS1_16block_id_wrapperIjLb1EEEEE10hipError_tT1_PNSt15iterator_traitsISK_E10value_typeET2_T3_PNSL_ISQ_E10value_typeET4_T5_PSV_SW_PNS1_23onesweep_lookback_stateEbbT6_jjT7_P12ihipStream_tbENKUlT_T0_SK_SP_E_clIPtSE_SF_SF_EEDaS13_S14_SK_SP_EUlS13_E_NS1_11comp_targetILNS1_3genE6ELNS1_11target_archE950ELNS1_3gpuE13ELNS1_3repE0EEENS1_47radix_sort_onesweep_sort_config_static_selectorELNS0_4arch9wavefront6targetE1EEEvSK_,comdat
.Lfunc_end1357:
	.size	_ZN7rocprim17ROCPRIM_400000_NS6detail17trampoline_kernelINS0_14default_configENS1_35radix_sort_onesweep_config_selectorItNS0_10empty_typeEEEZZNS1_29radix_sort_onesweep_iterationIS3_Lb0EN6thrust23THRUST_200600_302600_NS6detail15normal_iteratorINS9_10device_ptrItEEEESE_PS5_SF_jNS0_19identity_decomposerENS1_16block_id_wrapperIjLb1EEEEE10hipError_tT1_PNSt15iterator_traitsISK_E10value_typeET2_T3_PNSL_ISQ_E10value_typeET4_T5_PSV_SW_PNS1_23onesweep_lookback_stateEbbT6_jjT7_P12ihipStream_tbENKUlT_T0_SK_SP_E_clIPtSE_SF_SF_EEDaS13_S14_SK_SP_EUlS13_E_NS1_11comp_targetILNS1_3genE6ELNS1_11target_archE950ELNS1_3gpuE13ELNS1_3repE0EEENS1_47radix_sort_onesweep_sort_config_static_selectorELNS0_4arch9wavefront6targetE1EEEvSK_, .Lfunc_end1357-_ZN7rocprim17ROCPRIM_400000_NS6detail17trampoline_kernelINS0_14default_configENS1_35radix_sort_onesweep_config_selectorItNS0_10empty_typeEEEZZNS1_29radix_sort_onesweep_iterationIS3_Lb0EN6thrust23THRUST_200600_302600_NS6detail15normal_iteratorINS9_10device_ptrItEEEESE_PS5_SF_jNS0_19identity_decomposerENS1_16block_id_wrapperIjLb1EEEEE10hipError_tT1_PNSt15iterator_traitsISK_E10value_typeET2_T3_PNSL_ISQ_E10value_typeET4_T5_PSV_SW_PNS1_23onesweep_lookback_stateEbbT6_jjT7_P12ihipStream_tbENKUlT_T0_SK_SP_E_clIPtSE_SF_SF_EEDaS13_S14_SK_SP_EUlS13_E_NS1_11comp_targetILNS1_3genE6ELNS1_11target_archE950ELNS1_3gpuE13ELNS1_3repE0EEENS1_47radix_sort_onesweep_sort_config_static_selectorELNS0_4arch9wavefront6targetE1EEEvSK_
                                        ; -- End function
	.section	.AMDGPU.csdata,"",@progbits
; Kernel info:
; codeLenInByte = 0
; NumSgprs: 4
; NumVgprs: 0
; NumAgprs: 0
; TotalNumVgprs: 0
; ScratchSize: 0
; MemoryBound: 0
; FloatMode: 240
; IeeeMode: 1
; LDSByteSize: 0 bytes/workgroup (compile time only)
; SGPRBlocks: 0
; VGPRBlocks: 0
; NumSGPRsForWavesPerEU: 4
; NumVGPRsForWavesPerEU: 1
; AccumOffset: 4
; Occupancy: 8
; WaveLimiterHint : 0
; COMPUTE_PGM_RSRC2:SCRATCH_EN: 0
; COMPUTE_PGM_RSRC2:USER_SGPR: 6
; COMPUTE_PGM_RSRC2:TRAP_HANDLER: 0
; COMPUTE_PGM_RSRC2:TGID_X_EN: 1
; COMPUTE_PGM_RSRC2:TGID_Y_EN: 0
; COMPUTE_PGM_RSRC2:TGID_Z_EN: 0
; COMPUTE_PGM_RSRC2:TIDIG_COMP_CNT: 0
; COMPUTE_PGM_RSRC3_GFX90A:ACCUM_OFFSET: 0
; COMPUTE_PGM_RSRC3_GFX90A:TG_SPLIT: 0
	.section	.text._ZN7rocprim17ROCPRIM_400000_NS6detail17trampoline_kernelINS0_14default_configENS1_35radix_sort_onesweep_config_selectorItNS0_10empty_typeEEEZZNS1_29radix_sort_onesweep_iterationIS3_Lb0EN6thrust23THRUST_200600_302600_NS6detail15normal_iteratorINS9_10device_ptrItEEEESE_PS5_SF_jNS0_19identity_decomposerENS1_16block_id_wrapperIjLb1EEEEE10hipError_tT1_PNSt15iterator_traitsISK_E10value_typeET2_T3_PNSL_ISQ_E10value_typeET4_T5_PSV_SW_PNS1_23onesweep_lookback_stateEbbT6_jjT7_P12ihipStream_tbENKUlT_T0_SK_SP_E_clIPtSE_SF_SF_EEDaS13_S14_SK_SP_EUlS13_E_NS1_11comp_targetILNS1_3genE5ELNS1_11target_archE942ELNS1_3gpuE9ELNS1_3repE0EEENS1_47radix_sort_onesweep_sort_config_static_selectorELNS0_4arch9wavefront6targetE1EEEvSK_,"axG",@progbits,_ZN7rocprim17ROCPRIM_400000_NS6detail17trampoline_kernelINS0_14default_configENS1_35radix_sort_onesweep_config_selectorItNS0_10empty_typeEEEZZNS1_29radix_sort_onesweep_iterationIS3_Lb0EN6thrust23THRUST_200600_302600_NS6detail15normal_iteratorINS9_10device_ptrItEEEESE_PS5_SF_jNS0_19identity_decomposerENS1_16block_id_wrapperIjLb1EEEEE10hipError_tT1_PNSt15iterator_traitsISK_E10value_typeET2_T3_PNSL_ISQ_E10value_typeET4_T5_PSV_SW_PNS1_23onesweep_lookback_stateEbbT6_jjT7_P12ihipStream_tbENKUlT_T0_SK_SP_E_clIPtSE_SF_SF_EEDaS13_S14_SK_SP_EUlS13_E_NS1_11comp_targetILNS1_3genE5ELNS1_11target_archE942ELNS1_3gpuE9ELNS1_3repE0EEENS1_47radix_sort_onesweep_sort_config_static_selectorELNS0_4arch9wavefront6targetE1EEEvSK_,comdat
	.protected	_ZN7rocprim17ROCPRIM_400000_NS6detail17trampoline_kernelINS0_14default_configENS1_35radix_sort_onesweep_config_selectorItNS0_10empty_typeEEEZZNS1_29radix_sort_onesweep_iterationIS3_Lb0EN6thrust23THRUST_200600_302600_NS6detail15normal_iteratorINS9_10device_ptrItEEEESE_PS5_SF_jNS0_19identity_decomposerENS1_16block_id_wrapperIjLb1EEEEE10hipError_tT1_PNSt15iterator_traitsISK_E10value_typeET2_T3_PNSL_ISQ_E10value_typeET4_T5_PSV_SW_PNS1_23onesweep_lookback_stateEbbT6_jjT7_P12ihipStream_tbENKUlT_T0_SK_SP_E_clIPtSE_SF_SF_EEDaS13_S14_SK_SP_EUlS13_E_NS1_11comp_targetILNS1_3genE5ELNS1_11target_archE942ELNS1_3gpuE9ELNS1_3repE0EEENS1_47radix_sort_onesweep_sort_config_static_selectorELNS0_4arch9wavefront6targetE1EEEvSK_ ; -- Begin function _ZN7rocprim17ROCPRIM_400000_NS6detail17trampoline_kernelINS0_14default_configENS1_35radix_sort_onesweep_config_selectorItNS0_10empty_typeEEEZZNS1_29radix_sort_onesweep_iterationIS3_Lb0EN6thrust23THRUST_200600_302600_NS6detail15normal_iteratorINS9_10device_ptrItEEEESE_PS5_SF_jNS0_19identity_decomposerENS1_16block_id_wrapperIjLb1EEEEE10hipError_tT1_PNSt15iterator_traitsISK_E10value_typeET2_T3_PNSL_ISQ_E10value_typeET4_T5_PSV_SW_PNS1_23onesweep_lookback_stateEbbT6_jjT7_P12ihipStream_tbENKUlT_T0_SK_SP_E_clIPtSE_SF_SF_EEDaS13_S14_SK_SP_EUlS13_E_NS1_11comp_targetILNS1_3genE5ELNS1_11target_archE942ELNS1_3gpuE9ELNS1_3repE0EEENS1_47radix_sort_onesweep_sort_config_static_selectorELNS0_4arch9wavefront6targetE1EEEvSK_
	.globl	_ZN7rocprim17ROCPRIM_400000_NS6detail17trampoline_kernelINS0_14default_configENS1_35radix_sort_onesweep_config_selectorItNS0_10empty_typeEEEZZNS1_29radix_sort_onesweep_iterationIS3_Lb0EN6thrust23THRUST_200600_302600_NS6detail15normal_iteratorINS9_10device_ptrItEEEESE_PS5_SF_jNS0_19identity_decomposerENS1_16block_id_wrapperIjLb1EEEEE10hipError_tT1_PNSt15iterator_traitsISK_E10value_typeET2_T3_PNSL_ISQ_E10value_typeET4_T5_PSV_SW_PNS1_23onesweep_lookback_stateEbbT6_jjT7_P12ihipStream_tbENKUlT_T0_SK_SP_E_clIPtSE_SF_SF_EEDaS13_S14_SK_SP_EUlS13_E_NS1_11comp_targetILNS1_3genE5ELNS1_11target_archE942ELNS1_3gpuE9ELNS1_3repE0EEENS1_47radix_sort_onesweep_sort_config_static_selectorELNS0_4arch9wavefront6targetE1EEEvSK_
	.p2align	8
	.type	_ZN7rocprim17ROCPRIM_400000_NS6detail17trampoline_kernelINS0_14default_configENS1_35radix_sort_onesweep_config_selectorItNS0_10empty_typeEEEZZNS1_29radix_sort_onesweep_iterationIS3_Lb0EN6thrust23THRUST_200600_302600_NS6detail15normal_iteratorINS9_10device_ptrItEEEESE_PS5_SF_jNS0_19identity_decomposerENS1_16block_id_wrapperIjLb1EEEEE10hipError_tT1_PNSt15iterator_traitsISK_E10value_typeET2_T3_PNSL_ISQ_E10value_typeET4_T5_PSV_SW_PNS1_23onesweep_lookback_stateEbbT6_jjT7_P12ihipStream_tbENKUlT_T0_SK_SP_E_clIPtSE_SF_SF_EEDaS13_S14_SK_SP_EUlS13_E_NS1_11comp_targetILNS1_3genE5ELNS1_11target_archE942ELNS1_3gpuE9ELNS1_3repE0EEENS1_47radix_sort_onesweep_sort_config_static_selectorELNS0_4arch9wavefront6targetE1EEEvSK_,@function
_ZN7rocprim17ROCPRIM_400000_NS6detail17trampoline_kernelINS0_14default_configENS1_35radix_sort_onesweep_config_selectorItNS0_10empty_typeEEEZZNS1_29radix_sort_onesweep_iterationIS3_Lb0EN6thrust23THRUST_200600_302600_NS6detail15normal_iteratorINS9_10device_ptrItEEEESE_PS5_SF_jNS0_19identity_decomposerENS1_16block_id_wrapperIjLb1EEEEE10hipError_tT1_PNSt15iterator_traitsISK_E10value_typeET2_T3_PNSL_ISQ_E10value_typeET4_T5_PSV_SW_PNS1_23onesweep_lookback_stateEbbT6_jjT7_P12ihipStream_tbENKUlT_T0_SK_SP_E_clIPtSE_SF_SF_EEDaS13_S14_SK_SP_EUlS13_E_NS1_11comp_targetILNS1_3genE5ELNS1_11target_archE942ELNS1_3gpuE9ELNS1_3repE0EEENS1_47radix_sort_onesweep_sort_config_static_selectorELNS0_4arch9wavefront6targetE1EEEvSK_: ; @_ZN7rocprim17ROCPRIM_400000_NS6detail17trampoline_kernelINS0_14default_configENS1_35radix_sort_onesweep_config_selectorItNS0_10empty_typeEEEZZNS1_29radix_sort_onesweep_iterationIS3_Lb0EN6thrust23THRUST_200600_302600_NS6detail15normal_iteratorINS9_10device_ptrItEEEESE_PS5_SF_jNS0_19identity_decomposerENS1_16block_id_wrapperIjLb1EEEEE10hipError_tT1_PNSt15iterator_traitsISK_E10value_typeET2_T3_PNSL_ISQ_E10value_typeET4_T5_PSV_SW_PNS1_23onesweep_lookback_stateEbbT6_jjT7_P12ihipStream_tbENKUlT_T0_SK_SP_E_clIPtSE_SF_SF_EEDaS13_S14_SK_SP_EUlS13_E_NS1_11comp_targetILNS1_3genE5ELNS1_11target_archE942ELNS1_3gpuE9ELNS1_3repE0EEENS1_47radix_sort_onesweep_sort_config_static_selectorELNS0_4arch9wavefront6targetE1EEEvSK_
; %bb.0:
	.section	.rodata,"a",@progbits
	.p2align	6, 0x0
	.amdhsa_kernel _ZN7rocprim17ROCPRIM_400000_NS6detail17trampoline_kernelINS0_14default_configENS1_35radix_sort_onesweep_config_selectorItNS0_10empty_typeEEEZZNS1_29radix_sort_onesweep_iterationIS3_Lb0EN6thrust23THRUST_200600_302600_NS6detail15normal_iteratorINS9_10device_ptrItEEEESE_PS5_SF_jNS0_19identity_decomposerENS1_16block_id_wrapperIjLb1EEEEE10hipError_tT1_PNSt15iterator_traitsISK_E10value_typeET2_T3_PNSL_ISQ_E10value_typeET4_T5_PSV_SW_PNS1_23onesweep_lookback_stateEbbT6_jjT7_P12ihipStream_tbENKUlT_T0_SK_SP_E_clIPtSE_SF_SF_EEDaS13_S14_SK_SP_EUlS13_E_NS1_11comp_targetILNS1_3genE5ELNS1_11target_archE942ELNS1_3gpuE9ELNS1_3repE0EEENS1_47radix_sort_onesweep_sort_config_static_selectorELNS0_4arch9wavefront6targetE1EEEvSK_
		.amdhsa_group_segment_fixed_size 0
		.amdhsa_private_segment_fixed_size 0
		.amdhsa_kernarg_size 88
		.amdhsa_user_sgpr_count 6
		.amdhsa_user_sgpr_private_segment_buffer 1
		.amdhsa_user_sgpr_dispatch_ptr 0
		.amdhsa_user_sgpr_queue_ptr 0
		.amdhsa_user_sgpr_kernarg_segment_ptr 1
		.amdhsa_user_sgpr_dispatch_id 0
		.amdhsa_user_sgpr_flat_scratch_init 0
		.amdhsa_user_sgpr_kernarg_preload_length 0
		.amdhsa_user_sgpr_kernarg_preload_offset 0
		.amdhsa_user_sgpr_private_segment_size 0
		.amdhsa_uses_dynamic_stack 0
		.amdhsa_system_sgpr_private_segment_wavefront_offset 0
		.amdhsa_system_sgpr_workgroup_id_x 1
		.amdhsa_system_sgpr_workgroup_id_y 0
		.amdhsa_system_sgpr_workgroup_id_z 0
		.amdhsa_system_sgpr_workgroup_info 0
		.amdhsa_system_vgpr_workitem_id 0
		.amdhsa_next_free_vgpr 1
		.amdhsa_next_free_sgpr 0
		.amdhsa_accum_offset 4
		.amdhsa_reserve_vcc 0
		.amdhsa_reserve_flat_scratch 0
		.amdhsa_float_round_mode_32 0
		.amdhsa_float_round_mode_16_64 0
		.amdhsa_float_denorm_mode_32 3
		.amdhsa_float_denorm_mode_16_64 3
		.amdhsa_dx10_clamp 1
		.amdhsa_ieee_mode 1
		.amdhsa_fp16_overflow 0
		.amdhsa_tg_split 0
		.amdhsa_exception_fp_ieee_invalid_op 0
		.amdhsa_exception_fp_denorm_src 0
		.amdhsa_exception_fp_ieee_div_zero 0
		.amdhsa_exception_fp_ieee_overflow 0
		.amdhsa_exception_fp_ieee_underflow 0
		.amdhsa_exception_fp_ieee_inexact 0
		.amdhsa_exception_int_div_zero 0
	.end_amdhsa_kernel
	.section	.text._ZN7rocprim17ROCPRIM_400000_NS6detail17trampoline_kernelINS0_14default_configENS1_35radix_sort_onesweep_config_selectorItNS0_10empty_typeEEEZZNS1_29radix_sort_onesweep_iterationIS3_Lb0EN6thrust23THRUST_200600_302600_NS6detail15normal_iteratorINS9_10device_ptrItEEEESE_PS5_SF_jNS0_19identity_decomposerENS1_16block_id_wrapperIjLb1EEEEE10hipError_tT1_PNSt15iterator_traitsISK_E10value_typeET2_T3_PNSL_ISQ_E10value_typeET4_T5_PSV_SW_PNS1_23onesweep_lookback_stateEbbT6_jjT7_P12ihipStream_tbENKUlT_T0_SK_SP_E_clIPtSE_SF_SF_EEDaS13_S14_SK_SP_EUlS13_E_NS1_11comp_targetILNS1_3genE5ELNS1_11target_archE942ELNS1_3gpuE9ELNS1_3repE0EEENS1_47radix_sort_onesweep_sort_config_static_selectorELNS0_4arch9wavefront6targetE1EEEvSK_,"axG",@progbits,_ZN7rocprim17ROCPRIM_400000_NS6detail17trampoline_kernelINS0_14default_configENS1_35radix_sort_onesweep_config_selectorItNS0_10empty_typeEEEZZNS1_29radix_sort_onesweep_iterationIS3_Lb0EN6thrust23THRUST_200600_302600_NS6detail15normal_iteratorINS9_10device_ptrItEEEESE_PS5_SF_jNS0_19identity_decomposerENS1_16block_id_wrapperIjLb1EEEEE10hipError_tT1_PNSt15iterator_traitsISK_E10value_typeET2_T3_PNSL_ISQ_E10value_typeET4_T5_PSV_SW_PNS1_23onesweep_lookback_stateEbbT6_jjT7_P12ihipStream_tbENKUlT_T0_SK_SP_E_clIPtSE_SF_SF_EEDaS13_S14_SK_SP_EUlS13_E_NS1_11comp_targetILNS1_3genE5ELNS1_11target_archE942ELNS1_3gpuE9ELNS1_3repE0EEENS1_47radix_sort_onesweep_sort_config_static_selectorELNS0_4arch9wavefront6targetE1EEEvSK_,comdat
.Lfunc_end1358:
	.size	_ZN7rocprim17ROCPRIM_400000_NS6detail17trampoline_kernelINS0_14default_configENS1_35radix_sort_onesweep_config_selectorItNS0_10empty_typeEEEZZNS1_29radix_sort_onesweep_iterationIS3_Lb0EN6thrust23THRUST_200600_302600_NS6detail15normal_iteratorINS9_10device_ptrItEEEESE_PS5_SF_jNS0_19identity_decomposerENS1_16block_id_wrapperIjLb1EEEEE10hipError_tT1_PNSt15iterator_traitsISK_E10value_typeET2_T3_PNSL_ISQ_E10value_typeET4_T5_PSV_SW_PNS1_23onesweep_lookback_stateEbbT6_jjT7_P12ihipStream_tbENKUlT_T0_SK_SP_E_clIPtSE_SF_SF_EEDaS13_S14_SK_SP_EUlS13_E_NS1_11comp_targetILNS1_3genE5ELNS1_11target_archE942ELNS1_3gpuE9ELNS1_3repE0EEENS1_47radix_sort_onesweep_sort_config_static_selectorELNS0_4arch9wavefront6targetE1EEEvSK_, .Lfunc_end1358-_ZN7rocprim17ROCPRIM_400000_NS6detail17trampoline_kernelINS0_14default_configENS1_35radix_sort_onesweep_config_selectorItNS0_10empty_typeEEEZZNS1_29radix_sort_onesweep_iterationIS3_Lb0EN6thrust23THRUST_200600_302600_NS6detail15normal_iteratorINS9_10device_ptrItEEEESE_PS5_SF_jNS0_19identity_decomposerENS1_16block_id_wrapperIjLb1EEEEE10hipError_tT1_PNSt15iterator_traitsISK_E10value_typeET2_T3_PNSL_ISQ_E10value_typeET4_T5_PSV_SW_PNS1_23onesweep_lookback_stateEbbT6_jjT7_P12ihipStream_tbENKUlT_T0_SK_SP_E_clIPtSE_SF_SF_EEDaS13_S14_SK_SP_EUlS13_E_NS1_11comp_targetILNS1_3genE5ELNS1_11target_archE942ELNS1_3gpuE9ELNS1_3repE0EEENS1_47radix_sort_onesweep_sort_config_static_selectorELNS0_4arch9wavefront6targetE1EEEvSK_
                                        ; -- End function
	.section	.AMDGPU.csdata,"",@progbits
; Kernel info:
; codeLenInByte = 0
; NumSgprs: 4
; NumVgprs: 0
; NumAgprs: 0
; TotalNumVgprs: 0
; ScratchSize: 0
; MemoryBound: 0
; FloatMode: 240
; IeeeMode: 1
; LDSByteSize: 0 bytes/workgroup (compile time only)
; SGPRBlocks: 0
; VGPRBlocks: 0
; NumSGPRsForWavesPerEU: 4
; NumVGPRsForWavesPerEU: 1
; AccumOffset: 4
; Occupancy: 8
; WaveLimiterHint : 0
; COMPUTE_PGM_RSRC2:SCRATCH_EN: 0
; COMPUTE_PGM_RSRC2:USER_SGPR: 6
; COMPUTE_PGM_RSRC2:TRAP_HANDLER: 0
; COMPUTE_PGM_RSRC2:TGID_X_EN: 1
; COMPUTE_PGM_RSRC2:TGID_Y_EN: 0
; COMPUTE_PGM_RSRC2:TGID_Z_EN: 0
; COMPUTE_PGM_RSRC2:TIDIG_COMP_CNT: 0
; COMPUTE_PGM_RSRC3_GFX90A:ACCUM_OFFSET: 0
; COMPUTE_PGM_RSRC3_GFX90A:TG_SPLIT: 0
	.section	.text._ZN7rocprim17ROCPRIM_400000_NS6detail17trampoline_kernelINS0_14default_configENS1_35radix_sort_onesweep_config_selectorItNS0_10empty_typeEEEZZNS1_29radix_sort_onesweep_iterationIS3_Lb0EN6thrust23THRUST_200600_302600_NS6detail15normal_iteratorINS9_10device_ptrItEEEESE_PS5_SF_jNS0_19identity_decomposerENS1_16block_id_wrapperIjLb1EEEEE10hipError_tT1_PNSt15iterator_traitsISK_E10value_typeET2_T3_PNSL_ISQ_E10value_typeET4_T5_PSV_SW_PNS1_23onesweep_lookback_stateEbbT6_jjT7_P12ihipStream_tbENKUlT_T0_SK_SP_E_clIPtSE_SF_SF_EEDaS13_S14_SK_SP_EUlS13_E_NS1_11comp_targetILNS1_3genE2ELNS1_11target_archE906ELNS1_3gpuE6ELNS1_3repE0EEENS1_47radix_sort_onesweep_sort_config_static_selectorELNS0_4arch9wavefront6targetE1EEEvSK_,"axG",@progbits,_ZN7rocprim17ROCPRIM_400000_NS6detail17trampoline_kernelINS0_14default_configENS1_35radix_sort_onesweep_config_selectorItNS0_10empty_typeEEEZZNS1_29radix_sort_onesweep_iterationIS3_Lb0EN6thrust23THRUST_200600_302600_NS6detail15normal_iteratorINS9_10device_ptrItEEEESE_PS5_SF_jNS0_19identity_decomposerENS1_16block_id_wrapperIjLb1EEEEE10hipError_tT1_PNSt15iterator_traitsISK_E10value_typeET2_T3_PNSL_ISQ_E10value_typeET4_T5_PSV_SW_PNS1_23onesweep_lookback_stateEbbT6_jjT7_P12ihipStream_tbENKUlT_T0_SK_SP_E_clIPtSE_SF_SF_EEDaS13_S14_SK_SP_EUlS13_E_NS1_11comp_targetILNS1_3genE2ELNS1_11target_archE906ELNS1_3gpuE6ELNS1_3repE0EEENS1_47radix_sort_onesweep_sort_config_static_selectorELNS0_4arch9wavefront6targetE1EEEvSK_,comdat
	.protected	_ZN7rocprim17ROCPRIM_400000_NS6detail17trampoline_kernelINS0_14default_configENS1_35radix_sort_onesweep_config_selectorItNS0_10empty_typeEEEZZNS1_29radix_sort_onesweep_iterationIS3_Lb0EN6thrust23THRUST_200600_302600_NS6detail15normal_iteratorINS9_10device_ptrItEEEESE_PS5_SF_jNS0_19identity_decomposerENS1_16block_id_wrapperIjLb1EEEEE10hipError_tT1_PNSt15iterator_traitsISK_E10value_typeET2_T3_PNSL_ISQ_E10value_typeET4_T5_PSV_SW_PNS1_23onesweep_lookback_stateEbbT6_jjT7_P12ihipStream_tbENKUlT_T0_SK_SP_E_clIPtSE_SF_SF_EEDaS13_S14_SK_SP_EUlS13_E_NS1_11comp_targetILNS1_3genE2ELNS1_11target_archE906ELNS1_3gpuE6ELNS1_3repE0EEENS1_47radix_sort_onesweep_sort_config_static_selectorELNS0_4arch9wavefront6targetE1EEEvSK_ ; -- Begin function _ZN7rocprim17ROCPRIM_400000_NS6detail17trampoline_kernelINS0_14default_configENS1_35radix_sort_onesweep_config_selectorItNS0_10empty_typeEEEZZNS1_29radix_sort_onesweep_iterationIS3_Lb0EN6thrust23THRUST_200600_302600_NS6detail15normal_iteratorINS9_10device_ptrItEEEESE_PS5_SF_jNS0_19identity_decomposerENS1_16block_id_wrapperIjLb1EEEEE10hipError_tT1_PNSt15iterator_traitsISK_E10value_typeET2_T3_PNSL_ISQ_E10value_typeET4_T5_PSV_SW_PNS1_23onesweep_lookback_stateEbbT6_jjT7_P12ihipStream_tbENKUlT_T0_SK_SP_E_clIPtSE_SF_SF_EEDaS13_S14_SK_SP_EUlS13_E_NS1_11comp_targetILNS1_3genE2ELNS1_11target_archE906ELNS1_3gpuE6ELNS1_3repE0EEENS1_47radix_sort_onesweep_sort_config_static_selectorELNS0_4arch9wavefront6targetE1EEEvSK_
	.globl	_ZN7rocprim17ROCPRIM_400000_NS6detail17trampoline_kernelINS0_14default_configENS1_35radix_sort_onesweep_config_selectorItNS0_10empty_typeEEEZZNS1_29radix_sort_onesweep_iterationIS3_Lb0EN6thrust23THRUST_200600_302600_NS6detail15normal_iteratorINS9_10device_ptrItEEEESE_PS5_SF_jNS0_19identity_decomposerENS1_16block_id_wrapperIjLb1EEEEE10hipError_tT1_PNSt15iterator_traitsISK_E10value_typeET2_T3_PNSL_ISQ_E10value_typeET4_T5_PSV_SW_PNS1_23onesweep_lookback_stateEbbT6_jjT7_P12ihipStream_tbENKUlT_T0_SK_SP_E_clIPtSE_SF_SF_EEDaS13_S14_SK_SP_EUlS13_E_NS1_11comp_targetILNS1_3genE2ELNS1_11target_archE906ELNS1_3gpuE6ELNS1_3repE0EEENS1_47radix_sort_onesweep_sort_config_static_selectorELNS0_4arch9wavefront6targetE1EEEvSK_
	.p2align	8
	.type	_ZN7rocprim17ROCPRIM_400000_NS6detail17trampoline_kernelINS0_14default_configENS1_35radix_sort_onesweep_config_selectorItNS0_10empty_typeEEEZZNS1_29radix_sort_onesweep_iterationIS3_Lb0EN6thrust23THRUST_200600_302600_NS6detail15normal_iteratorINS9_10device_ptrItEEEESE_PS5_SF_jNS0_19identity_decomposerENS1_16block_id_wrapperIjLb1EEEEE10hipError_tT1_PNSt15iterator_traitsISK_E10value_typeET2_T3_PNSL_ISQ_E10value_typeET4_T5_PSV_SW_PNS1_23onesweep_lookback_stateEbbT6_jjT7_P12ihipStream_tbENKUlT_T0_SK_SP_E_clIPtSE_SF_SF_EEDaS13_S14_SK_SP_EUlS13_E_NS1_11comp_targetILNS1_3genE2ELNS1_11target_archE906ELNS1_3gpuE6ELNS1_3repE0EEENS1_47radix_sort_onesweep_sort_config_static_selectorELNS0_4arch9wavefront6targetE1EEEvSK_,@function
_ZN7rocprim17ROCPRIM_400000_NS6detail17trampoline_kernelINS0_14default_configENS1_35radix_sort_onesweep_config_selectorItNS0_10empty_typeEEEZZNS1_29radix_sort_onesweep_iterationIS3_Lb0EN6thrust23THRUST_200600_302600_NS6detail15normal_iteratorINS9_10device_ptrItEEEESE_PS5_SF_jNS0_19identity_decomposerENS1_16block_id_wrapperIjLb1EEEEE10hipError_tT1_PNSt15iterator_traitsISK_E10value_typeET2_T3_PNSL_ISQ_E10value_typeET4_T5_PSV_SW_PNS1_23onesweep_lookback_stateEbbT6_jjT7_P12ihipStream_tbENKUlT_T0_SK_SP_E_clIPtSE_SF_SF_EEDaS13_S14_SK_SP_EUlS13_E_NS1_11comp_targetILNS1_3genE2ELNS1_11target_archE906ELNS1_3gpuE6ELNS1_3repE0EEENS1_47radix_sort_onesweep_sort_config_static_selectorELNS0_4arch9wavefront6targetE1EEEvSK_: ; @_ZN7rocprim17ROCPRIM_400000_NS6detail17trampoline_kernelINS0_14default_configENS1_35radix_sort_onesweep_config_selectorItNS0_10empty_typeEEEZZNS1_29radix_sort_onesweep_iterationIS3_Lb0EN6thrust23THRUST_200600_302600_NS6detail15normal_iteratorINS9_10device_ptrItEEEESE_PS5_SF_jNS0_19identity_decomposerENS1_16block_id_wrapperIjLb1EEEEE10hipError_tT1_PNSt15iterator_traitsISK_E10value_typeET2_T3_PNSL_ISQ_E10value_typeET4_T5_PSV_SW_PNS1_23onesweep_lookback_stateEbbT6_jjT7_P12ihipStream_tbENKUlT_T0_SK_SP_E_clIPtSE_SF_SF_EEDaS13_S14_SK_SP_EUlS13_E_NS1_11comp_targetILNS1_3genE2ELNS1_11target_archE906ELNS1_3gpuE6ELNS1_3repE0EEENS1_47radix_sort_onesweep_sort_config_static_selectorELNS0_4arch9wavefront6targetE1EEEvSK_
; %bb.0:
	.section	.rodata,"a",@progbits
	.p2align	6, 0x0
	.amdhsa_kernel _ZN7rocprim17ROCPRIM_400000_NS6detail17trampoline_kernelINS0_14default_configENS1_35radix_sort_onesweep_config_selectorItNS0_10empty_typeEEEZZNS1_29radix_sort_onesweep_iterationIS3_Lb0EN6thrust23THRUST_200600_302600_NS6detail15normal_iteratorINS9_10device_ptrItEEEESE_PS5_SF_jNS0_19identity_decomposerENS1_16block_id_wrapperIjLb1EEEEE10hipError_tT1_PNSt15iterator_traitsISK_E10value_typeET2_T3_PNSL_ISQ_E10value_typeET4_T5_PSV_SW_PNS1_23onesweep_lookback_stateEbbT6_jjT7_P12ihipStream_tbENKUlT_T0_SK_SP_E_clIPtSE_SF_SF_EEDaS13_S14_SK_SP_EUlS13_E_NS1_11comp_targetILNS1_3genE2ELNS1_11target_archE906ELNS1_3gpuE6ELNS1_3repE0EEENS1_47radix_sort_onesweep_sort_config_static_selectorELNS0_4arch9wavefront6targetE1EEEvSK_
		.amdhsa_group_segment_fixed_size 0
		.amdhsa_private_segment_fixed_size 0
		.amdhsa_kernarg_size 88
		.amdhsa_user_sgpr_count 6
		.amdhsa_user_sgpr_private_segment_buffer 1
		.amdhsa_user_sgpr_dispatch_ptr 0
		.amdhsa_user_sgpr_queue_ptr 0
		.amdhsa_user_sgpr_kernarg_segment_ptr 1
		.amdhsa_user_sgpr_dispatch_id 0
		.amdhsa_user_sgpr_flat_scratch_init 0
		.amdhsa_user_sgpr_kernarg_preload_length 0
		.amdhsa_user_sgpr_kernarg_preload_offset 0
		.amdhsa_user_sgpr_private_segment_size 0
		.amdhsa_uses_dynamic_stack 0
		.amdhsa_system_sgpr_private_segment_wavefront_offset 0
		.amdhsa_system_sgpr_workgroup_id_x 1
		.amdhsa_system_sgpr_workgroup_id_y 0
		.amdhsa_system_sgpr_workgroup_id_z 0
		.amdhsa_system_sgpr_workgroup_info 0
		.amdhsa_system_vgpr_workitem_id 0
		.amdhsa_next_free_vgpr 1
		.amdhsa_next_free_sgpr 0
		.amdhsa_accum_offset 4
		.amdhsa_reserve_vcc 0
		.amdhsa_reserve_flat_scratch 0
		.amdhsa_float_round_mode_32 0
		.amdhsa_float_round_mode_16_64 0
		.amdhsa_float_denorm_mode_32 3
		.amdhsa_float_denorm_mode_16_64 3
		.amdhsa_dx10_clamp 1
		.amdhsa_ieee_mode 1
		.amdhsa_fp16_overflow 0
		.amdhsa_tg_split 0
		.amdhsa_exception_fp_ieee_invalid_op 0
		.amdhsa_exception_fp_denorm_src 0
		.amdhsa_exception_fp_ieee_div_zero 0
		.amdhsa_exception_fp_ieee_overflow 0
		.amdhsa_exception_fp_ieee_underflow 0
		.amdhsa_exception_fp_ieee_inexact 0
		.amdhsa_exception_int_div_zero 0
	.end_amdhsa_kernel
	.section	.text._ZN7rocprim17ROCPRIM_400000_NS6detail17trampoline_kernelINS0_14default_configENS1_35radix_sort_onesweep_config_selectorItNS0_10empty_typeEEEZZNS1_29radix_sort_onesweep_iterationIS3_Lb0EN6thrust23THRUST_200600_302600_NS6detail15normal_iteratorINS9_10device_ptrItEEEESE_PS5_SF_jNS0_19identity_decomposerENS1_16block_id_wrapperIjLb1EEEEE10hipError_tT1_PNSt15iterator_traitsISK_E10value_typeET2_T3_PNSL_ISQ_E10value_typeET4_T5_PSV_SW_PNS1_23onesweep_lookback_stateEbbT6_jjT7_P12ihipStream_tbENKUlT_T0_SK_SP_E_clIPtSE_SF_SF_EEDaS13_S14_SK_SP_EUlS13_E_NS1_11comp_targetILNS1_3genE2ELNS1_11target_archE906ELNS1_3gpuE6ELNS1_3repE0EEENS1_47radix_sort_onesweep_sort_config_static_selectorELNS0_4arch9wavefront6targetE1EEEvSK_,"axG",@progbits,_ZN7rocprim17ROCPRIM_400000_NS6detail17trampoline_kernelINS0_14default_configENS1_35radix_sort_onesweep_config_selectorItNS0_10empty_typeEEEZZNS1_29radix_sort_onesweep_iterationIS3_Lb0EN6thrust23THRUST_200600_302600_NS6detail15normal_iteratorINS9_10device_ptrItEEEESE_PS5_SF_jNS0_19identity_decomposerENS1_16block_id_wrapperIjLb1EEEEE10hipError_tT1_PNSt15iterator_traitsISK_E10value_typeET2_T3_PNSL_ISQ_E10value_typeET4_T5_PSV_SW_PNS1_23onesweep_lookback_stateEbbT6_jjT7_P12ihipStream_tbENKUlT_T0_SK_SP_E_clIPtSE_SF_SF_EEDaS13_S14_SK_SP_EUlS13_E_NS1_11comp_targetILNS1_3genE2ELNS1_11target_archE906ELNS1_3gpuE6ELNS1_3repE0EEENS1_47radix_sort_onesweep_sort_config_static_selectorELNS0_4arch9wavefront6targetE1EEEvSK_,comdat
.Lfunc_end1359:
	.size	_ZN7rocprim17ROCPRIM_400000_NS6detail17trampoline_kernelINS0_14default_configENS1_35radix_sort_onesweep_config_selectorItNS0_10empty_typeEEEZZNS1_29radix_sort_onesweep_iterationIS3_Lb0EN6thrust23THRUST_200600_302600_NS6detail15normal_iteratorINS9_10device_ptrItEEEESE_PS5_SF_jNS0_19identity_decomposerENS1_16block_id_wrapperIjLb1EEEEE10hipError_tT1_PNSt15iterator_traitsISK_E10value_typeET2_T3_PNSL_ISQ_E10value_typeET4_T5_PSV_SW_PNS1_23onesweep_lookback_stateEbbT6_jjT7_P12ihipStream_tbENKUlT_T0_SK_SP_E_clIPtSE_SF_SF_EEDaS13_S14_SK_SP_EUlS13_E_NS1_11comp_targetILNS1_3genE2ELNS1_11target_archE906ELNS1_3gpuE6ELNS1_3repE0EEENS1_47radix_sort_onesweep_sort_config_static_selectorELNS0_4arch9wavefront6targetE1EEEvSK_, .Lfunc_end1359-_ZN7rocprim17ROCPRIM_400000_NS6detail17trampoline_kernelINS0_14default_configENS1_35radix_sort_onesweep_config_selectorItNS0_10empty_typeEEEZZNS1_29radix_sort_onesweep_iterationIS3_Lb0EN6thrust23THRUST_200600_302600_NS6detail15normal_iteratorINS9_10device_ptrItEEEESE_PS5_SF_jNS0_19identity_decomposerENS1_16block_id_wrapperIjLb1EEEEE10hipError_tT1_PNSt15iterator_traitsISK_E10value_typeET2_T3_PNSL_ISQ_E10value_typeET4_T5_PSV_SW_PNS1_23onesweep_lookback_stateEbbT6_jjT7_P12ihipStream_tbENKUlT_T0_SK_SP_E_clIPtSE_SF_SF_EEDaS13_S14_SK_SP_EUlS13_E_NS1_11comp_targetILNS1_3genE2ELNS1_11target_archE906ELNS1_3gpuE6ELNS1_3repE0EEENS1_47radix_sort_onesweep_sort_config_static_selectorELNS0_4arch9wavefront6targetE1EEEvSK_
                                        ; -- End function
	.section	.AMDGPU.csdata,"",@progbits
; Kernel info:
; codeLenInByte = 0
; NumSgprs: 4
; NumVgprs: 0
; NumAgprs: 0
; TotalNumVgprs: 0
; ScratchSize: 0
; MemoryBound: 0
; FloatMode: 240
; IeeeMode: 1
; LDSByteSize: 0 bytes/workgroup (compile time only)
; SGPRBlocks: 0
; VGPRBlocks: 0
; NumSGPRsForWavesPerEU: 4
; NumVGPRsForWavesPerEU: 1
; AccumOffset: 4
; Occupancy: 8
; WaveLimiterHint : 0
; COMPUTE_PGM_RSRC2:SCRATCH_EN: 0
; COMPUTE_PGM_RSRC2:USER_SGPR: 6
; COMPUTE_PGM_RSRC2:TRAP_HANDLER: 0
; COMPUTE_PGM_RSRC2:TGID_X_EN: 1
; COMPUTE_PGM_RSRC2:TGID_Y_EN: 0
; COMPUTE_PGM_RSRC2:TGID_Z_EN: 0
; COMPUTE_PGM_RSRC2:TIDIG_COMP_CNT: 0
; COMPUTE_PGM_RSRC3_GFX90A:ACCUM_OFFSET: 0
; COMPUTE_PGM_RSRC3_GFX90A:TG_SPLIT: 0
	.section	.text._ZN7rocprim17ROCPRIM_400000_NS6detail17trampoline_kernelINS0_14default_configENS1_35radix_sort_onesweep_config_selectorItNS0_10empty_typeEEEZZNS1_29radix_sort_onesweep_iterationIS3_Lb0EN6thrust23THRUST_200600_302600_NS6detail15normal_iteratorINS9_10device_ptrItEEEESE_PS5_SF_jNS0_19identity_decomposerENS1_16block_id_wrapperIjLb1EEEEE10hipError_tT1_PNSt15iterator_traitsISK_E10value_typeET2_T3_PNSL_ISQ_E10value_typeET4_T5_PSV_SW_PNS1_23onesweep_lookback_stateEbbT6_jjT7_P12ihipStream_tbENKUlT_T0_SK_SP_E_clIPtSE_SF_SF_EEDaS13_S14_SK_SP_EUlS13_E_NS1_11comp_targetILNS1_3genE4ELNS1_11target_archE910ELNS1_3gpuE8ELNS1_3repE0EEENS1_47radix_sort_onesweep_sort_config_static_selectorELNS0_4arch9wavefront6targetE1EEEvSK_,"axG",@progbits,_ZN7rocprim17ROCPRIM_400000_NS6detail17trampoline_kernelINS0_14default_configENS1_35radix_sort_onesweep_config_selectorItNS0_10empty_typeEEEZZNS1_29radix_sort_onesweep_iterationIS3_Lb0EN6thrust23THRUST_200600_302600_NS6detail15normal_iteratorINS9_10device_ptrItEEEESE_PS5_SF_jNS0_19identity_decomposerENS1_16block_id_wrapperIjLb1EEEEE10hipError_tT1_PNSt15iterator_traitsISK_E10value_typeET2_T3_PNSL_ISQ_E10value_typeET4_T5_PSV_SW_PNS1_23onesweep_lookback_stateEbbT6_jjT7_P12ihipStream_tbENKUlT_T0_SK_SP_E_clIPtSE_SF_SF_EEDaS13_S14_SK_SP_EUlS13_E_NS1_11comp_targetILNS1_3genE4ELNS1_11target_archE910ELNS1_3gpuE8ELNS1_3repE0EEENS1_47radix_sort_onesweep_sort_config_static_selectorELNS0_4arch9wavefront6targetE1EEEvSK_,comdat
	.protected	_ZN7rocprim17ROCPRIM_400000_NS6detail17trampoline_kernelINS0_14default_configENS1_35radix_sort_onesweep_config_selectorItNS0_10empty_typeEEEZZNS1_29radix_sort_onesweep_iterationIS3_Lb0EN6thrust23THRUST_200600_302600_NS6detail15normal_iteratorINS9_10device_ptrItEEEESE_PS5_SF_jNS0_19identity_decomposerENS1_16block_id_wrapperIjLb1EEEEE10hipError_tT1_PNSt15iterator_traitsISK_E10value_typeET2_T3_PNSL_ISQ_E10value_typeET4_T5_PSV_SW_PNS1_23onesweep_lookback_stateEbbT6_jjT7_P12ihipStream_tbENKUlT_T0_SK_SP_E_clIPtSE_SF_SF_EEDaS13_S14_SK_SP_EUlS13_E_NS1_11comp_targetILNS1_3genE4ELNS1_11target_archE910ELNS1_3gpuE8ELNS1_3repE0EEENS1_47radix_sort_onesweep_sort_config_static_selectorELNS0_4arch9wavefront6targetE1EEEvSK_ ; -- Begin function _ZN7rocprim17ROCPRIM_400000_NS6detail17trampoline_kernelINS0_14default_configENS1_35radix_sort_onesweep_config_selectorItNS0_10empty_typeEEEZZNS1_29radix_sort_onesweep_iterationIS3_Lb0EN6thrust23THRUST_200600_302600_NS6detail15normal_iteratorINS9_10device_ptrItEEEESE_PS5_SF_jNS0_19identity_decomposerENS1_16block_id_wrapperIjLb1EEEEE10hipError_tT1_PNSt15iterator_traitsISK_E10value_typeET2_T3_PNSL_ISQ_E10value_typeET4_T5_PSV_SW_PNS1_23onesweep_lookback_stateEbbT6_jjT7_P12ihipStream_tbENKUlT_T0_SK_SP_E_clIPtSE_SF_SF_EEDaS13_S14_SK_SP_EUlS13_E_NS1_11comp_targetILNS1_3genE4ELNS1_11target_archE910ELNS1_3gpuE8ELNS1_3repE0EEENS1_47radix_sort_onesweep_sort_config_static_selectorELNS0_4arch9wavefront6targetE1EEEvSK_
	.globl	_ZN7rocprim17ROCPRIM_400000_NS6detail17trampoline_kernelINS0_14default_configENS1_35radix_sort_onesweep_config_selectorItNS0_10empty_typeEEEZZNS1_29radix_sort_onesweep_iterationIS3_Lb0EN6thrust23THRUST_200600_302600_NS6detail15normal_iteratorINS9_10device_ptrItEEEESE_PS5_SF_jNS0_19identity_decomposerENS1_16block_id_wrapperIjLb1EEEEE10hipError_tT1_PNSt15iterator_traitsISK_E10value_typeET2_T3_PNSL_ISQ_E10value_typeET4_T5_PSV_SW_PNS1_23onesweep_lookback_stateEbbT6_jjT7_P12ihipStream_tbENKUlT_T0_SK_SP_E_clIPtSE_SF_SF_EEDaS13_S14_SK_SP_EUlS13_E_NS1_11comp_targetILNS1_3genE4ELNS1_11target_archE910ELNS1_3gpuE8ELNS1_3repE0EEENS1_47radix_sort_onesweep_sort_config_static_selectorELNS0_4arch9wavefront6targetE1EEEvSK_
	.p2align	8
	.type	_ZN7rocprim17ROCPRIM_400000_NS6detail17trampoline_kernelINS0_14default_configENS1_35radix_sort_onesweep_config_selectorItNS0_10empty_typeEEEZZNS1_29radix_sort_onesweep_iterationIS3_Lb0EN6thrust23THRUST_200600_302600_NS6detail15normal_iteratorINS9_10device_ptrItEEEESE_PS5_SF_jNS0_19identity_decomposerENS1_16block_id_wrapperIjLb1EEEEE10hipError_tT1_PNSt15iterator_traitsISK_E10value_typeET2_T3_PNSL_ISQ_E10value_typeET4_T5_PSV_SW_PNS1_23onesweep_lookback_stateEbbT6_jjT7_P12ihipStream_tbENKUlT_T0_SK_SP_E_clIPtSE_SF_SF_EEDaS13_S14_SK_SP_EUlS13_E_NS1_11comp_targetILNS1_3genE4ELNS1_11target_archE910ELNS1_3gpuE8ELNS1_3repE0EEENS1_47radix_sort_onesweep_sort_config_static_selectorELNS0_4arch9wavefront6targetE1EEEvSK_,@function
_ZN7rocprim17ROCPRIM_400000_NS6detail17trampoline_kernelINS0_14default_configENS1_35radix_sort_onesweep_config_selectorItNS0_10empty_typeEEEZZNS1_29radix_sort_onesweep_iterationIS3_Lb0EN6thrust23THRUST_200600_302600_NS6detail15normal_iteratorINS9_10device_ptrItEEEESE_PS5_SF_jNS0_19identity_decomposerENS1_16block_id_wrapperIjLb1EEEEE10hipError_tT1_PNSt15iterator_traitsISK_E10value_typeET2_T3_PNSL_ISQ_E10value_typeET4_T5_PSV_SW_PNS1_23onesweep_lookback_stateEbbT6_jjT7_P12ihipStream_tbENKUlT_T0_SK_SP_E_clIPtSE_SF_SF_EEDaS13_S14_SK_SP_EUlS13_E_NS1_11comp_targetILNS1_3genE4ELNS1_11target_archE910ELNS1_3gpuE8ELNS1_3repE0EEENS1_47radix_sort_onesweep_sort_config_static_selectorELNS0_4arch9wavefront6targetE1EEEvSK_: ; @_ZN7rocprim17ROCPRIM_400000_NS6detail17trampoline_kernelINS0_14default_configENS1_35radix_sort_onesweep_config_selectorItNS0_10empty_typeEEEZZNS1_29radix_sort_onesweep_iterationIS3_Lb0EN6thrust23THRUST_200600_302600_NS6detail15normal_iteratorINS9_10device_ptrItEEEESE_PS5_SF_jNS0_19identity_decomposerENS1_16block_id_wrapperIjLb1EEEEE10hipError_tT1_PNSt15iterator_traitsISK_E10value_typeET2_T3_PNSL_ISQ_E10value_typeET4_T5_PSV_SW_PNS1_23onesweep_lookback_stateEbbT6_jjT7_P12ihipStream_tbENKUlT_T0_SK_SP_E_clIPtSE_SF_SF_EEDaS13_S14_SK_SP_EUlS13_E_NS1_11comp_targetILNS1_3genE4ELNS1_11target_archE910ELNS1_3gpuE8ELNS1_3repE0EEENS1_47radix_sort_onesweep_sort_config_static_selectorELNS0_4arch9wavefront6targetE1EEEvSK_
; %bb.0:
	s_load_dwordx4 s[16:19], s[4:5], 0x28
	s_load_dwordx2 s[14:15], s[4:5], 0x38
	s_load_dwordx4 s[20:23], s[4:5], 0x44
	v_and_b32_e32 v2, 0x3ff, v0
	v_cmp_eq_u32_e64 s[0:1], 0, v2
	s_and_saveexec_b64 s[2:3], s[0:1]
	s_cbranch_execz .LBB1360_4
; %bb.1:
	s_mov_b64 s[10:11], exec
	v_mbcnt_lo_u32_b32 v1, s10, 0
	v_mbcnt_hi_u32_b32 v1, s11, v1
	v_cmp_eq_u32_e32 vcc, 0, v1
                                        ; implicit-def: $vgpr3
	s_and_saveexec_b64 s[8:9], vcc
	s_cbranch_execz .LBB1360_3
; %bb.2:
	s_load_dwordx2 s[12:13], s[4:5], 0x50
	s_bcnt1_i32_b64 s7, s[10:11]
	v_mov_b32_e32 v3, 0
	v_mov_b32_e32 v4, s7
	s_waitcnt lgkmcnt(0)
	global_atomic_add v3, v3, v4, s[12:13] glc
.LBB1360_3:
	s_or_b64 exec, exec, s[8:9]
	s_waitcnt vmcnt(0)
	v_readfirstlane_b32 s7, v3
	v_add_u32_e32 v1, s7, v1
	v_mov_b32_e32 v3, 0
	ds_write_b32 v3, v1 offset:25600
.LBB1360_4:
	s_or_b64 exec, exec, s[2:3]
	v_mov_b32_e32 v1, 0
	s_load_dwordx4 s[24:27], s[4:5], 0x0
	s_load_dword s2, s[4:5], 0x20
	s_waitcnt lgkmcnt(0)
	s_barrier
	ds_read_b32 v1, v1 offset:25600
	s_waitcnt lgkmcnt(0)
	s_barrier
	v_readfirstlane_b32 s30, v1
	v_cmp_le_u32_e32 vcc, s22, v1
	s_mul_i32 s28, s30, 0x3000
	v_mbcnt_lo_u32_b32 v1, -1, 0
	s_cbranch_vccz .LBB1360_100
; %bb.5:
	s_mul_i32 s7, s22, 0xffffd000
	s_mov_b32 s29, 0
	s_add_i32 s7, s7, s2
	s_lshl_b64 s[2:3], s[28:29], 1
	v_mbcnt_hi_u32_b32 v13, -1, v1
	s_add_u32 s2, s24, s2
	v_and_b32_e32 v3, 63, v13
	v_and_b32_e32 v4, 0x3c0, v2
	s_addc_u32 s3, s25, s3
	v_mul_u32_u24_e32 v6, 12, v4
	v_lshlrev_b32_e32 v4, 1, v3
	v_mov_b32_e32 v5, s3
	v_add_co_u32_e32 v4, vcc, s2, v4
	v_addc_co_u32_e32 v5, vcc, 0, v5, vcc
	v_lshlrev_b32_e32 v7, 1, v6
	v_add_co_u32_e32 v4, vcc, v4, v7
	v_addc_co_u32_e32 v5, vcc, 0, v5, vcc
	v_or_b32_e32 v6, v3, v6
	v_cmp_gt_u32_e32 vcc, s7, v6
	v_mov_b32_e32 v3, -1
	v_mov_b32_e32 v8, -1
	s_and_saveexec_b64 s[2:3], vcc
	s_cbranch_execz .LBB1360_7
; %bb.6:
	global_load_ushort v8, v[4:5], off
.LBB1360_7:
	s_or_b64 exec, exec, s[2:3]
	v_or_b32_e32 v7, 64, v6
	v_cmp_gt_u32_e32 vcc, s7, v7
	s_and_saveexec_b64 s[2:3], vcc
	s_cbranch_execz .LBB1360_9
; %bb.8:
	global_load_ushort v3, v[4:5], off offset:128
.LBB1360_9:
	s_or_b64 exec, exec, s[2:3]
	v_or_b32_e32 v7, 0x80, v6
	v_cmp_gt_u32_e32 vcc, s7, v7
	v_mov_b32_e32 v9, -1
	v_mov_b32_e32 v10, -1
	s_and_saveexec_b64 s[2:3], vcc
	s_cbranch_execz .LBB1360_11
; %bb.10:
	global_load_ushort v10, v[4:5], off offset:256
.LBB1360_11:
	s_or_b64 exec, exec, s[2:3]
	v_or_b32_e32 v7, 0xc0, v6
	v_cmp_gt_u32_e32 vcc, s7, v7
	s_and_saveexec_b64 s[2:3], vcc
	s_cbranch_execz .LBB1360_13
; %bb.12:
	global_load_ushort v9, v[4:5], off offset:384
.LBB1360_13:
	s_or_b64 exec, exec, s[2:3]
	v_add_u32_e32 v7, 0x100, v6
	v_cmp_gt_u32_e32 vcc, s7, v7
	v_mov_b32_e32 v11, -1
	v_mov_b32_e32 v12, -1
	s_and_saveexec_b64 s[2:3], vcc
	s_cbranch_execz .LBB1360_15
; %bb.14:
	global_load_ushort v12, v[4:5], off offset:512
.LBB1360_15:
	s_or_b64 exec, exec, s[2:3]
	v_add_u32_e32 v7, 0x140, v6
	v_cmp_gt_u32_e32 vcc, s7, v7
	s_and_saveexec_b64 s[2:3], vcc
	s_cbranch_execz .LBB1360_17
; %bb.16:
	global_load_ushort v11, v[4:5], off offset:640
.LBB1360_17:
	s_or_b64 exec, exec, s[2:3]
	v_add_u32_e32 v7, 0x180, v6
	v_cmp_gt_u32_e32 vcc, s7, v7
	v_mov_b32_e32 v14, -1
	v_mov_b32_e32 v15, -1
	s_and_saveexec_b64 s[2:3], vcc
	s_cbranch_execz .LBB1360_19
; %bb.18:
	global_load_ushort v15, v[4:5], off offset:768
.LBB1360_19:
	s_or_b64 exec, exec, s[2:3]
	v_add_u32_e32 v7, 0x1c0, v6
	;; [unrolled: 18-line block ×4, first 2 shown]
	v_cmp_gt_u32_e32 vcc, s7, v6
	s_and_saveexec_b64 s[2:3], vcc
	s_cbranch_execz .LBB1360_29
; %bb.28:
	global_load_ushort v18, v[4:5], off offset:1408
.LBB1360_29:
	s_or_b64 exec, exec, s[2:3]
	s_load_dword s2, s[4:5], 0x64
	s_load_dword s29, s[4:5], 0x58
	s_add_u32 s3, s4, 0x58
	s_addc_u32 s8, s5, 0
	v_mov_b32_e32 v4, 0
	s_waitcnt lgkmcnt(0)
	s_lshr_b32 s9, s2, 16
	s_cmp_lt_u32 s6, s29
	s_cselect_b32 s2, 12, 18
	s_add_u32 s2, s3, s2
	s_addc_u32 s3, s8, 0
	global_load_ushort v6, v4, s[2:3]
	s_lshl_b32 s2, -1, s21
	s_waitcnt vmcnt(1)
	v_lshrrev_b32_sdwa v21, s20, v8 dst_sel:DWORD dst_unused:UNUSED_PAD src0_sel:DWORD src1_sel:WORD_0
	s_not_b32 s31, s2
	v_and_b32_e32 v21, s31, v21
	v_and_b32_e32 v23, 1, v21
	v_bfe_u32 v5, v0, 10, 10
	v_bfe_u32 v7, v0, 20, 10
	v_add_co_u32_e32 v24, vcc, -1, v23
	v_mad_u32_u24 v7, v7, s9, v5
	v_lshlrev_b32_e32 v5, 30, v21
	v_addc_co_u32_e64 v25, s[2:3], 0, -1, vcc
	v_cmp_ne_u32_e32 vcc, 0, v23
	v_cmp_gt_i64_e64 s[2:3], 0, v[4:5]
	v_not_b32_e32 v23, v5
	v_lshlrev_b32_e32 v5, 29, v21
	v_xor_b32_e32 v25, vcc_hi, v25
	v_xor_b32_e32 v24, vcc_lo, v24
	v_ashrrev_i32_e32 v23, 31, v23
	v_cmp_gt_i64_e32 vcc, 0, v[4:5]
	v_not_b32_e32 v26, v5
	v_lshlrev_b32_e32 v5, 28, v21
	v_and_b32_e32 v25, exec_hi, v25
	v_and_b32_e32 v24, exec_lo, v24
	v_xor_b32_e32 v27, s3, v23
	v_xor_b32_e32 v23, s2, v23
	v_ashrrev_i32_e32 v26, 31, v26
	v_cmp_gt_i64_e64 s[2:3], 0, v[4:5]
	v_not_b32_e32 v28, v5
	v_lshlrev_b32_e32 v5, 27, v21
	v_and_b32_e32 v25, v25, v27
	v_and_b32_e32 v23, v24, v23
	v_xor_b32_e32 v24, vcc_hi, v26
	v_xor_b32_e32 v26, vcc_lo, v26
	v_ashrrev_i32_e32 v27, 31, v28
	v_cmp_gt_i64_e32 vcc, 0, v[4:5]
	v_not_b32_e32 v28, v5
	v_lshlrev_b32_e32 v5, 26, v21
	v_and_b32_e32 v24, v25, v24
	v_and_b32_e32 v23, v23, v26
	v_xor_b32_e32 v25, s3, v27
	v_xor_b32_e32 v26, s2, v27
	v_ashrrev_i32_e32 v27, 31, v28
	v_cmp_gt_i64_e64 s[2:3], 0, v[4:5]
	v_not_b32_e32 v28, v5
	v_lshlrev_b32_e32 v5, 25, v21
	v_and_b32_e32 v24, v24, v25
	v_and_b32_e32 v23, v23, v26
	v_xor_b32_e32 v25, vcc_hi, v27
	v_xor_b32_e32 v26, vcc_lo, v27
	v_ashrrev_i32_e32 v27, 31, v28
	v_cmp_gt_i64_e32 vcc, 0, v[4:5]
	v_not_b32_e32 v28, v5
	v_lshlrev_b32_e32 v5, 24, v21
	v_mul_u32_u24_e32 v22, 17, v21
	v_and_b32_e32 v21, v24, v25
	v_and_b32_e32 v23, v23, v26
	v_xor_b32_e32 v24, s3, v27
	v_xor_b32_e32 v25, s2, v27
	v_ashrrev_i32_e32 v26, 31, v28
	v_cmp_gt_i64_e64 s[2:3], 0, v[4:5]
	v_not_b32_e32 v5, v5
	v_and_b32_e32 v21, v21, v24
	v_and_b32_e32 v23, v23, v25
	v_xor_b32_e32 v24, vcc_hi, v26
	v_xor_b32_e32 v25, vcc_lo, v26
	v_ashrrev_i32_e32 v5, 31, v5
	v_and_b32_e32 v21, v21, v24
	v_and_b32_e32 v24, v23, v25
	v_mul_u32_u24_e32 v20, 5, v2
	v_lshlrev_b32_e32 v20, 2, v20
	ds_write2_b32 v20, v4, v4 offset0:16 offset1:17
	ds_write2_b32 v20, v4, v4 offset0:18 offset1:19
	ds_write_b32 v20, v4 offset:80
	s_waitcnt lgkmcnt(0)
	s_barrier
	s_waitcnt lgkmcnt(0)
	; wave barrier
	s_waitcnt vmcnt(0)
	v_mad_u64_u32 v[6:7], s[8:9], v7, v6, v[2:3]
	v_lshrrev_b32_e32 v30, 6, v6
	v_xor_b32_e32 v6, s3, v5
	v_xor_b32_e32 v5, s2, v5
	v_and_b32_e32 v7, v21, v6
	v_and_b32_e32 v6, v24, v5
	v_mbcnt_lo_u32_b32 v5, v6, 0
	v_mbcnt_hi_u32_b32 v21, v7, v5
	v_cmp_eq_u32_e32 vcc, 0, v21
	v_cmp_ne_u64_e64 s[2:3], 0, v[6:7]
	v_add_lshl_u32 v23, v30, v22, 2
	s_and_b64 s[8:9], s[2:3], vcc
	s_and_saveexec_b64 s[2:3], s[8:9]
	s_cbranch_execz .LBB1360_31
; %bb.30:
	v_bcnt_u32_b32 v5, v6, 0
	v_bcnt_u32_b32 v5, v7, v5
	ds_write_b32 v23, v5 offset:64
.LBB1360_31:
	s_or_b64 exec, exec, s[2:3]
	v_lshrrev_b32_sdwa v5, s20, v3 dst_sel:DWORD dst_unused:UNUSED_PAD src0_sel:DWORD src1_sel:WORD_0
	v_and_b32_e32 v6, s31, v5
	v_mul_u32_u24_e32 v5, 17, v6
	v_add_lshl_u32 v24, v30, v5, 2
	v_and_b32_e32 v5, 1, v6
	v_add_co_u32_e32 v7, vcc, -1, v5
	v_addc_co_u32_e64 v25, s[2:3], 0, -1, vcc
	v_cmp_ne_u32_e32 vcc, 0, v5
	v_xor_b32_e32 v5, vcc_hi, v25
	v_and_b32_e32 v25, exec_hi, v5
	v_lshlrev_b32_e32 v5, 30, v6
	v_xor_b32_e32 v7, vcc_lo, v7
	v_cmp_gt_i64_e32 vcc, 0, v[4:5]
	v_not_b32_e32 v5, v5
	v_ashrrev_i32_e32 v5, 31, v5
	v_and_b32_e32 v7, exec_lo, v7
	v_xor_b32_e32 v26, vcc_hi, v5
	v_xor_b32_e32 v5, vcc_lo, v5
	v_and_b32_e32 v7, v7, v5
	v_lshlrev_b32_e32 v5, 29, v6
	v_cmp_gt_i64_e32 vcc, 0, v[4:5]
	v_not_b32_e32 v5, v5
	v_ashrrev_i32_e32 v5, 31, v5
	v_and_b32_e32 v25, v25, v26
	v_xor_b32_e32 v26, vcc_hi, v5
	v_xor_b32_e32 v5, vcc_lo, v5
	v_and_b32_e32 v7, v7, v5
	v_lshlrev_b32_e32 v5, 28, v6
	v_cmp_gt_i64_e32 vcc, 0, v[4:5]
	v_not_b32_e32 v5, v5
	v_ashrrev_i32_e32 v5, 31, v5
	v_and_b32_e32 v25, v25, v26
	v_xor_b32_e32 v26, vcc_hi, v5
	v_xor_b32_e32 v5, vcc_lo, v5
	v_and_b32_e32 v7, v7, v5
	v_lshlrev_b32_e32 v5, 27, v6
	v_cmp_gt_i64_e32 vcc, 0, v[4:5]
	v_not_b32_e32 v5, v5
	v_ashrrev_i32_e32 v5, 31, v5
	v_and_b32_e32 v25, v25, v26
	v_xor_b32_e32 v26, vcc_hi, v5
	v_xor_b32_e32 v5, vcc_lo, v5
	v_and_b32_e32 v7, v7, v5
	v_lshlrev_b32_e32 v5, 26, v6
	v_cmp_gt_i64_e32 vcc, 0, v[4:5]
	v_not_b32_e32 v5, v5
	v_ashrrev_i32_e32 v5, 31, v5
	v_and_b32_e32 v25, v25, v26
	v_xor_b32_e32 v26, vcc_hi, v5
	v_xor_b32_e32 v5, vcc_lo, v5
	v_and_b32_e32 v7, v7, v5
	v_lshlrev_b32_e32 v5, 25, v6
	v_cmp_gt_i64_e32 vcc, 0, v[4:5]
	v_not_b32_e32 v5, v5
	v_ashrrev_i32_e32 v5, 31, v5
	v_and_b32_e32 v25, v25, v26
	v_xor_b32_e32 v26, vcc_hi, v5
	v_xor_b32_e32 v5, vcc_lo, v5
	v_and_b32_e32 v7, v7, v5
	v_lshlrev_b32_e32 v5, 24, v6
	v_cmp_gt_i64_e32 vcc, 0, v[4:5]
	v_not_b32_e32 v4, v5
	v_ashrrev_i32_e32 v4, 31, v4
	v_xor_b32_e32 v5, vcc_hi, v4
	v_xor_b32_e32 v4, vcc_lo, v4
	; wave barrier
	ds_read_b32 v22, v24 offset:64
	v_and_b32_e32 v25, v25, v26
	v_and_b32_e32 v4, v7, v4
	;; [unrolled: 1-line block ×3, first 2 shown]
	v_mbcnt_lo_u32_b32 v6, v4, 0
	v_mbcnt_hi_u32_b32 v25, v5, v6
	v_cmp_eq_u32_e32 vcc, 0, v25
	v_cmp_ne_u64_e64 s[2:3], 0, v[4:5]
	s_and_b64 s[8:9], s[2:3], vcc
	; wave barrier
	s_and_saveexec_b64 s[2:3], s[8:9]
	s_cbranch_execz .LBB1360_33
; %bb.32:
	v_bcnt_u32_b32 v4, v4, 0
	v_bcnt_u32_b32 v4, v5, v4
	s_waitcnt lgkmcnt(0)
	v_add_u32_e32 v4, v22, v4
	ds_write_b32 v24, v4 offset:64
.LBB1360_33:
	s_or_b64 exec, exec, s[2:3]
	v_lshrrev_b32_sdwa v4, s20, v10 dst_sel:DWORD dst_unused:UNUSED_PAD src0_sel:DWORD src1_sel:WORD_0
	v_and_b32_e32 v6, s31, v4
	v_and_b32_e32 v5, 1, v6
	v_add_co_u32_e32 v7, vcc, -1, v5
	v_addc_co_u32_e64 v28, s[2:3], 0, -1, vcc
	v_cmp_ne_u32_e32 vcc, 0, v5
	v_mul_u32_u24_e32 v4, 17, v6
	v_xor_b32_e32 v5, vcc_hi, v28
	v_add_lshl_u32 v27, v30, v4, 2
	v_mov_b32_e32 v4, 0
	v_and_b32_e32 v28, exec_hi, v5
	v_lshlrev_b32_e32 v5, 30, v6
	v_xor_b32_e32 v7, vcc_lo, v7
	v_cmp_gt_i64_e32 vcc, 0, v[4:5]
	v_not_b32_e32 v5, v5
	v_ashrrev_i32_e32 v5, 31, v5
	v_and_b32_e32 v7, exec_lo, v7
	v_xor_b32_e32 v29, vcc_hi, v5
	v_xor_b32_e32 v5, vcc_lo, v5
	v_and_b32_e32 v7, v7, v5
	v_lshlrev_b32_e32 v5, 29, v6
	v_cmp_gt_i64_e32 vcc, 0, v[4:5]
	v_not_b32_e32 v5, v5
	v_ashrrev_i32_e32 v5, 31, v5
	v_and_b32_e32 v28, v28, v29
	v_xor_b32_e32 v29, vcc_hi, v5
	v_xor_b32_e32 v5, vcc_lo, v5
	v_and_b32_e32 v7, v7, v5
	v_lshlrev_b32_e32 v5, 28, v6
	v_cmp_gt_i64_e32 vcc, 0, v[4:5]
	v_not_b32_e32 v5, v5
	v_ashrrev_i32_e32 v5, 31, v5
	v_and_b32_e32 v28, v28, v29
	;; [unrolled: 8-line block ×5, first 2 shown]
	v_xor_b32_e32 v29, vcc_hi, v5
	v_xor_b32_e32 v5, vcc_lo, v5
	v_and_b32_e32 v28, v28, v29
	v_and_b32_e32 v29, v7, v5
	v_lshlrev_b32_e32 v5, 24, v6
	v_cmp_gt_i64_e32 vcc, 0, v[4:5]
	v_not_b32_e32 v5, v5
	v_ashrrev_i32_e32 v5, 31, v5
	v_xor_b32_e32 v6, vcc_hi, v5
	v_xor_b32_e32 v5, vcc_lo, v5
	; wave barrier
	ds_read_b32 v26, v27 offset:64
	v_and_b32_e32 v7, v28, v6
	v_and_b32_e32 v6, v29, v5
	v_mbcnt_lo_u32_b32 v5, v6, 0
	v_mbcnt_hi_u32_b32 v28, v7, v5
	v_cmp_eq_u32_e32 vcc, 0, v28
	v_cmp_ne_u64_e64 s[2:3], 0, v[6:7]
	s_and_b64 s[8:9], s[2:3], vcc
	; wave barrier
	s_and_saveexec_b64 s[2:3], s[8:9]
	s_cbranch_execz .LBB1360_35
; %bb.34:
	v_bcnt_u32_b32 v5, v6, 0
	v_bcnt_u32_b32 v5, v7, v5
	s_waitcnt lgkmcnt(0)
	v_add_u32_e32 v5, v26, v5
	ds_write_b32 v27, v5 offset:64
.LBB1360_35:
	s_or_b64 exec, exec, s[2:3]
	v_lshrrev_b32_sdwa v5, s20, v9 dst_sel:DWORD dst_unused:UNUSED_PAD src0_sel:DWORD src1_sel:WORD_0
	v_and_b32_e32 v6, s31, v5
	v_mul_u32_u24_e32 v5, 17, v6
	v_add_lshl_u32 v31, v30, v5, 2
	v_and_b32_e32 v5, 1, v6
	v_add_co_u32_e32 v7, vcc, -1, v5
	v_addc_co_u32_e64 v32, s[2:3], 0, -1, vcc
	v_cmp_ne_u32_e32 vcc, 0, v5
	v_xor_b32_e32 v5, vcc_hi, v32
	v_and_b32_e32 v32, exec_hi, v5
	v_lshlrev_b32_e32 v5, 30, v6
	v_xor_b32_e32 v7, vcc_lo, v7
	v_cmp_gt_i64_e32 vcc, 0, v[4:5]
	v_not_b32_e32 v5, v5
	v_ashrrev_i32_e32 v5, 31, v5
	v_and_b32_e32 v7, exec_lo, v7
	v_xor_b32_e32 v33, vcc_hi, v5
	v_xor_b32_e32 v5, vcc_lo, v5
	v_and_b32_e32 v7, v7, v5
	v_lshlrev_b32_e32 v5, 29, v6
	v_cmp_gt_i64_e32 vcc, 0, v[4:5]
	v_not_b32_e32 v5, v5
	v_ashrrev_i32_e32 v5, 31, v5
	v_and_b32_e32 v32, v32, v33
	v_xor_b32_e32 v33, vcc_hi, v5
	v_xor_b32_e32 v5, vcc_lo, v5
	v_and_b32_e32 v7, v7, v5
	v_lshlrev_b32_e32 v5, 28, v6
	v_cmp_gt_i64_e32 vcc, 0, v[4:5]
	v_not_b32_e32 v5, v5
	v_ashrrev_i32_e32 v5, 31, v5
	v_and_b32_e32 v32, v32, v33
	;; [unrolled: 8-line block ×5, first 2 shown]
	v_xor_b32_e32 v33, vcc_hi, v5
	v_xor_b32_e32 v5, vcc_lo, v5
	v_and_b32_e32 v7, v7, v5
	v_lshlrev_b32_e32 v5, 24, v6
	v_cmp_gt_i64_e32 vcc, 0, v[4:5]
	v_not_b32_e32 v4, v5
	v_ashrrev_i32_e32 v4, 31, v4
	v_xor_b32_e32 v5, vcc_hi, v4
	v_xor_b32_e32 v4, vcc_lo, v4
	; wave barrier
	ds_read_b32 v29, v31 offset:64
	v_and_b32_e32 v32, v32, v33
	v_and_b32_e32 v4, v7, v4
	;; [unrolled: 1-line block ×3, first 2 shown]
	v_mbcnt_lo_u32_b32 v6, v4, 0
	v_mbcnt_hi_u32_b32 v32, v5, v6
	v_cmp_eq_u32_e32 vcc, 0, v32
	v_cmp_ne_u64_e64 s[2:3], 0, v[4:5]
	s_and_b64 s[8:9], s[2:3], vcc
	; wave barrier
	s_and_saveexec_b64 s[2:3], s[8:9]
	s_cbranch_execz .LBB1360_37
; %bb.36:
	v_bcnt_u32_b32 v4, v4, 0
	v_bcnt_u32_b32 v4, v5, v4
	s_waitcnt lgkmcnt(0)
	v_add_u32_e32 v4, v29, v4
	ds_write_b32 v31, v4 offset:64
.LBB1360_37:
	s_or_b64 exec, exec, s[2:3]
	v_lshrrev_b32_sdwa v4, s20, v12 dst_sel:DWORD dst_unused:UNUSED_PAD src0_sel:DWORD src1_sel:WORD_0
	v_and_b32_e32 v6, s31, v4
	v_and_b32_e32 v5, 1, v6
	v_add_co_u32_e32 v7, vcc, -1, v5
	v_addc_co_u32_e64 v35, s[2:3], 0, -1, vcc
	v_cmp_ne_u32_e32 vcc, 0, v5
	v_mul_u32_u24_e32 v4, 17, v6
	v_xor_b32_e32 v5, vcc_hi, v35
	v_add_lshl_u32 v34, v30, v4, 2
	v_mov_b32_e32 v4, 0
	v_and_b32_e32 v35, exec_hi, v5
	v_lshlrev_b32_e32 v5, 30, v6
	v_xor_b32_e32 v7, vcc_lo, v7
	v_cmp_gt_i64_e32 vcc, 0, v[4:5]
	v_not_b32_e32 v5, v5
	v_ashrrev_i32_e32 v5, 31, v5
	v_and_b32_e32 v7, exec_lo, v7
	v_xor_b32_e32 v36, vcc_hi, v5
	v_xor_b32_e32 v5, vcc_lo, v5
	v_and_b32_e32 v7, v7, v5
	v_lshlrev_b32_e32 v5, 29, v6
	v_cmp_gt_i64_e32 vcc, 0, v[4:5]
	v_not_b32_e32 v5, v5
	v_ashrrev_i32_e32 v5, 31, v5
	v_and_b32_e32 v35, v35, v36
	v_xor_b32_e32 v36, vcc_hi, v5
	v_xor_b32_e32 v5, vcc_lo, v5
	v_and_b32_e32 v7, v7, v5
	v_lshlrev_b32_e32 v5, 28, v6
	v_cmp_gt_i64_e32 vcc, 0, v[4:5]
	v_not_b32_e32 v5, v5
	v_ashrrev_i32_e32 v5, 31, v5
	v_and_b32_e32 v35, v35, v36
	;; [unrolled: 8-line block ×5, first 2 shown]
	v_xor_b32_e32 v36, vcc_hi, v5
	v_xor_b32_e32 v5, vcc_lo, v5
	v_and_b32_e32 v35, v35, v36
	v_and_b32_e32 v36, v7, v5
	v_lshlrev_b32_e32 v5, 24, v6
	v_cmp_gt_i64_e32 vcc, 0, v[4:5]
	v_not_b32_e32 v5, v5
	v_ashrrev_i32_e32 v5, 31, v5
	v_xor_b32_e32 v6, vcc_hi, v5
	v_xor_b32_e32 v5, vcc_lo, v5
	; wave barrier
	ds_read_b32 v33, v34 offset:64
	v_and_b32_e32 v7, v35, v6
	v_and_b32_e32 v6, v36, v5
	v_mbcnt_lo_u32_b32 v5, v6, 0
	v_mbcnt_hi_u32_b32 v35, v7, v5
	v_cmp_eq_u32_e32 vcc, 0, v35
	v_cmp_ne_u64_e64 s[2:3], 0, v[6:7]
	s_and_b64 s[8:9], s[2:3], vcc
	; wave barrier
	s_and_saveexec_b64 s[2:3], s[8:9]
	s_cbranch_execz .LBB1360_39
; %bb.38:
	v_bcnt_u32_b32 v5, v6, 0
	v_bcnt_u32_b32 v5, v7, v5
	s_waitcnt lgkmcnt(0)
	v_add_u32_e32 v5, v33, v5
	ds_write_b32 v34, v5 offset:64
.LBB1360_39:
	s_or_b64 exec, exec, s[2:3]
	v_lshrrev_b32_sdwa v5, s20, v11 dst_sel:DWORD dst_unused:UNUSED_PAD src0_sel:DWORD src1_sel:WORD_0
	v_and_b32_e32 v6, s31, v5
	v_mul_u32_u24_e32 v5, 17, v6
	v_add_lshl_u32 v37, v30, v5, 2
	v_and_b32_e32 v5, 1, v6
	v_add_co_u32_e32 v7, vcc, -1, v5
	v_addc_co_u32_e64 v38, s[2:3], 0, -1, vcc
	v_cmp_ne_u32_e32 vcc, 0, v5
	v_xor_b32_e32 v5, vcc_hi, v38
	v_and_b32_e32 v38, exec_hi, v5
	v_lshlrev_b32_e32 v5, 30, v6
	v_xor_b32_e32 v7, vcc_lo, v7
	v_cmp_gt_i64_e32 vcc, 0, v[4:5]
	v_not_b32_e32 v5, v5
	v_ashrrev_i32_e32 v5, 31, v5
	v_and_b32_e32 v7, exec_lo, v7
	v_xor_b32_e32 v39, vcc_hi, v5
	v_xor_b32_e32 v5, vcc_lo, v5
	v_and_b32_e32 v7, v7, v5
	v_lshlrev_b32_e32 v5, 29, v6
	v_cmp_gt_i64_e32 vcc, 0, v[4:5]
	v_not_b32_e32 v5, v5
	v_ashrrev_i32_e32 v5, 31, v5
	v_and_b32_e32 v38, v38, v39
	v_xor_b32_e32 v39, vcc_hi, v5
	v_xor_b32_e32 v5, vcc_lo, v5
	v_and_b32_e32 v7, v7, v5
	v_lshlrev_b32_e32 v5, 28, v6
	v_cmp_gt_i64_e32 vcc, 0, v[4:5]
	v_not_b32_e32 v5, v5
	v_ashrrev_i32_e32 v5, 31, v5
	v_and_b32_e32 v38, v38, v39
	;; [unrolled: 8-line block ×5, first 2 shown]
	v_xor_b32_e32 v39, vcc_hi, v5
	v_xor_b32_e32 v5, vcc_lo, v5
	v_and_b32_e32 v7, v7, v5
	v_lshlrev_b32_e32 v5, 24, v6
	v_cmp_gt_i64_e32 vcc, 0, v[4:5]
	v_not_b32_e32 v4, v5
	v_ashrrev_i32_e32 v4, 31, v4
	v_xor_b32_e32 v5, vcc_hi, v4
	v_xor_b32_e32 v4, vcc_lo, v4
	; wave barrier
	ds_read_b32 v36, v37 offset:64
	v_and_b32_e32 v38, v38, v39
	v_and_b32_e32 v4, v7, v4
	;; [unrolled: 1-line block ×3, first 2 shown]
	v_mbcnt_lo_u32_b32 v6, v4, 0
	v_mbcnt_hi_u32_b32 v38, v5, v6
	v_cmp_eq_u32_e32 vcc, 0, v38
	v_cmp_ne_u64_e64 s[2:3], 0, v[4:5]
	s_and_b64 s[8:9], s[2:3], vcc
	; wave barrier
	s_and_saveexec_b64 s[2:3], s[8:9]
	s_cbranch_execz .LBB1360_41
; %bb.40:
	v_bcnt_u32_b32 v4, v4, 0
	v_bcnt_u32_b32 v4, v5, v4
	s_waitcnt lgkmcnt(0)
	v_add_u32_e32 v4, v36, v4
	ds_write_b32 v37, v4 offset:64
.LBB1360_41:
	s_or_b64 exec, exec, s[2:3]
	v_lshrrev_b32_sdwa v4, s20, v15 dst_sel:DWORD dst_unused:UNUSED_PAD src0_sel:DWORD src1_sel:WORD_0
	v_and_b32_e32 v6, s31, v4
	v_and_b32_e32 v5, 1, v6
	v_add_co_u32_e32 v7, vcc, -1, v5
	v_addc_co_u32_e64 v41, s[2:3], 0, -1, vcc
	v_cmp_ne_u32_e32 vcc, 0, v5
	v_mul_u32_u24_e32 v4, 17, v6
	v_xor_b32_e32 v5, vcc_hi, v41
	v_add_lshl_u32 v40, v30, v4, 2
	v_mov_b32_e32 v4, 0
	v_and_b32_e32 v41, exec_hi, v5
	v_lshlrev_b32_e32 v5, 30, v6
	v_xor_b32_e32 v7, vcc_lo, v7
	v_cmp_gt_i64_e32 vcc, 0, v[4:5]
	v_not_b32_e32 v5, v5
	v_ashrrev_i32_e32 v5, 31, v5
	v_and_b32_e32 v7, exec_lo, v7
	v_xor_b32_e32 v42, vcc_hi, v5
	v_xor_b32_e32 v5, vcc_lo, v5
	v_and_b32_e32 v7, v7, v5
	v_lshlrev_b32_e32 v5, 29, v6
	v_cmp_gt_i64_e32 vcc, 0, v[4:5]
	v_not_b32_e32 v5, v5
	v_ashrrev_i32_e32 v5, 31, v5
	v_and_b32_e32 v41, v41, v42
	v_xor_b32_e32 v42, vcc_hi, v5
	v_xor_b32_e32 v5, vcc_lo, v5
	v_and_b32_e32 v7, v7, v5
	v_lshlrev_b32_e32 v5, 28, v6
	v_cmp_gt_i64_e32 vcc, 0, v[4:5]
	v_not_b32_e32 v5, v5
	v_ashrrev_i32_e32 v5, 31, v5
	v_and_b32_e32 v41, v41, v42
	;; [unrolled: 8-line block ×5, first 2 shown]
	v_xor_b32_e32 v42, vcc_hi, v5
	v_xor_b32_e32 v5, vcc_lo, v5
	v_and_b32_e32 v41, v41, v42
	v_and_b32_e32 v42, v7, v5
	v_lshlrev_b32_e32 v5, 24, v6
	v_cmp_gt_i64_e32 vcc, 0, v[4:5]
	v_not_b32_e32 v5, v5
	v_ashrrev_i32_e32 v5, 31, v5
	v_xor_b32_e32 v6, vcc_hi, v5
	v_xor_b32_e32 v5, vcc_lo, v5
	; wave barrier
	ds_read_b32 v39, v40 offset:64
	v_and_b32_e32 v7, v41, v6
	v_and_b32_e32 v6, v42, v5
	v_mbcnt_lo_u32_b32 v5, v6, 0
	v_mbcnt_hi_u32_b32 v41, v7, v5
	v_cmp_eq_u32_e32 vcc, 0, v41
	v_cmp_ne_u64_e64 s[2:3], 0, v[6:7]
	s_and_b64 s[8:9], s[2:3], vcc
	; wave barrier
	s_and_saveexec_b64 s[2:3], s[8:9]
	s_cbranch_execz .LBB1360_43
; %bb.42:
	v_bcnt_u32_b32 v5, v6, 0
	v_bcnt_u32_b32 v5, v7, v5
	s_waitcnt lgkmcnt(0)
	v_add_u32_e32 v5, v39, v5
	ds_write_b32 v40, v5 offset:64
.LBB1360_43:
	s_or_b64 exec, exec, s[2:3]
	v_lshrrev_b32_sdwa v5, s20, v14 dst_sel:DWORD dst_unused:UNUSED_PAD src0_sel:DWORD src1_sel:WORD_0
	v_and_b32_e32 v6, s31, v5
	v_mul_u32_u24_e32 v5, 17, v6
	v_add_lshl_u32 v43, v30, v5, 2
	v_and_b32_e32 v5, 1, v6
	v_add_co_u32_e32 v7, vcc, -1, v5
	v_addc_co_u32_e64 v44, s[2:3], 0, -1, vcc
	v_cmp_ne_u32_e32 vcc, 0, v5
	v_xor_b32_e32 v5, vcc_hi, v44
	v_and_b32_e32 v44, exec_hi, v5
	v_lshlrev_b32_e32 v5, 30, v6
	v_xor_b32_e32 v7, vcc_lo, v7
	v_cmp_gt_i64_e32 vcc, 0, v[4:5]
	v_not_b32_e32 v5, v5
	v_ashrrev_i32_e32 v5, 31, v5
	v_and_b32_e32 v7, exec_lo, v7
	v_xor_b32_e32 v45, vcc_hi, v5
	v_xor_b32_e32 v5, vcc_lo, v5
	v_and_b32_e32 v7, v7, v5
	v_lshlrev_b32_e32 v5, 29, v6
	v_cmp_gt_i64_e32 vcc, 0, v[4:5]
	v_not_b32_e32 v5, v5
	v_ashrrev_i32_e32 v5, 31, v5
	v_and_b32_e32 v44, v44, v45
	v_xor_b32_e32 v45, vcc_hi, v5
	v_xor_b32_e32 v5, vcc_lo, v5
	v_and_b32_e32 v7, v7, v5
	v_lshlrev_b32_e32 v5, 28, v6
	v_cmp_gt_i64_e32 vcc, 0, v[4:5]
	v_not_b32_e32 v5, v5
	v_ashrrev_i32_e32 v5, 31, v5
	v_and_b32_e32 v44, v44, v45
	;; [unrolled: 8-line block ×5, first 2 shown]
	v_xor_b32_e32 v45, vcc_hi, v5
	v_xor_b32_e32 v5, vcc_lo, v5
	v_and_b32_e32 v7, v7, v5
	v_lshlrev_b32_e32 v5, 24, v6
	v_cmp_gt_i64_e32 vcc, 0, v[4:5]
	v_not_b32_e32 v4, v5
	v_ashrrev_i32_e32 v4, 31, v4
	v_xor_b32_e32 v5, vcc_hi, v4
	v_xor_b32_e32 v4, vcc_lo, v4
	; wave barrier
	ds_read_b32 v42, v43 offset:64
	v_and_b32_e32 v44, v44, v45
	v_and_b32_e32 v4, v7, v4
	;; [unrolled: 1-line block ×3, first 2 shown]
	v_mbcnt_lo_u32_b32 v6, v4, 0
	v_mbcnt_hi_u32_b32 v44, v5, v6
	v_cmp_eq_u32_e32 vcc, 0, v44
	v_cmp_ne_u64_e64 s[2:3], 0, v[4:5]
	s_and_b64 s[8:9], s[2:3], vcc
	; wave barrier
	s_and_saveexec_b64 s[2:3], s[8:9]
	s_cbranch_execz .LBB1360_45
; %bb.44:
	v_bcnt_u32_b32 v4, v4, 0
	v_bcnt_u32_b32 v4, v5, v4
	s_waitcnt lgkmcnt(0)
	v_add_u32_e32 v4, v42, v4
	ds_write_b32 v43, v4 offset:64
.LBB1360_45:
	s_or_b64 exec, exec, s[2:3]
	v_lshrrev_b32_sdwa v4, s20, v17 dst_sel:DWORD dst_unused:UNUSED_PAD src0_sel:DWORD src1_sel:WORD_0
	v_and_b32_e32 v6, s31, v4
	v_and_b32_e32 v5, 1, v6
	v_add_co_u32_e32 v7, vcc, -1, v5
	v_addc_co_u32_e64 v47, s[2:3], 0, -1, vcc
	v_cmp_ne_u32_e32 vcc, 0, v5
	v_mul_u32_u24_e32 v4, 17, v6
	v_xor_b32_e32 v5, vcc_hi, v47
	v_add_lshl_u32 v46, v30, v4, 2
	v_mov_b32_e32 v4, 0
	v_and_b32_e32 v47, exec_hi, v5
	v_lshlrev_b32_e32 v5, 30, v6
	v_xor_b32_e32 v7, vcc_lo, v7
	v_cmp_gt_i64_e32 vcc, 0, v[4:5]
	v_not_b32_e32 v5, v5
	v_ashrrev_i32_e32 v5, 31, v5
	v_and_b32_e32 v7, exec_lo, v7
	v_xor_b32_e32 v48, vcc_hi, v5
	v_xor_b32_e32 v5, vcc_lo, v5
	v_and_b32_e32 v7, v7, v5
	v_lshlrev_b32_e32 v5, 29, v6
	v_cmp_gt_i64_e32 vcc, 0, v[4:5]
	v_not_b32_e32 v5, v5
	v_ashrrev_i32_e32 v5, 31, v5
	v_and_b32_e32 v47, v47, v48
	v_xor_b32_e32 v48, vcc_hi, v5
	v_xor_b32_e32 v5, vcc_lo, v5
	v_and_b32_e32 v7, v7, v5
	v_lshlrev_b32_e32 v5, 28, v6
	v_cmp_gt_i64_e32 vcc, 0, v[4:5]
	v_not_b32_e32 v5, v5
	v_ashrrev_i32_e32 v5, 31, v5
	v_and_b32_e32 v47, v47, v48
	;; [unrolled: 8-line block ×5, first 2 shown]
	v_xor_b32_e32 v48, vcc_hi, v5
	v_xor_b32_e32 v5, vcc_lo, v5
	v_and_b32_e32 v47, v47, v48
	v_and_b32_e32 v48, v7, v5
	v_lshlrev_b32_e32 v5, 24, v6
	v_cmp_gt_i64_e32 vcc, 0, v[4:5]
	v_not_b32_e32 v5, v5
	v_ashrrev_i32_e32 v5, 31, v5
	v_xor_b32_e32 v6, vcc_hi, v5
	v_xor_b32_e32 v5, vcc_lo, v5
	; wave barrier
	ds_read_b32 v45, v46 offset:64
	v_and_b32_e32 v7, v47, v6
	v_and_b32_e32 v6, v48, v5
	v_mbcnt_lo_u32_b32 v5, v6, 0
	v_mbcnt_hi_u32_b32 v47, v7, v5
	v_cmp_eq_u32_e32 vcc, 0, v47
	v_cmp_ne_u64_e64 s[2:3], 0, v[6:7]
	s_and_b64 s[8:9], s[2:3], vcc
	; wave barrier
	s_and_saveexec_b64 s[2:3], s[8:9]
	s_cbranch_execz .LBB1360_47
; %bb.46:
	v_bcnt_u32_b32 v5, v6, 0
	v_bcnt_u32_b32 v5, v7, v5
	s_waitcnt lgkmcnt(0)
	v_add_u32_e32 v5, v45, v5
	ds_write_b32 v46, v5 offset:64
.LBB1360_47:
	s_or_b64 exec, exec, s[2:3]
	v_lshrrev_b32_sdwa v5, s20, v16 dst_sel:DWORD dst_unused:UNUSED_PAD src0_sel:DWORD src1_sel:WORD_0
	v_and_b32_e32 v6, s31, v5
	v_mul_u32_u24_e32 v5, 17, v6
	v_add_lshl_u32 v49, v30, v5, 2
	v_and_b32_e32 v5, 1, v6
	v_add_co_u32_e32 v7, vcc, -1, v5
	v_addc_co_u32_e64 v50, s[2:3], 0, -1, vcc
	v_cmp_ne_u32_e32 vcc, 0, v5
	v_xor_b32_e32 v5, vcc_hi, v50
	v_and_b32_e32 v50, exec_hi, v5
	v_lshlrev_b32_e32 v5, 30, v6
	v_xor_b32_e32 v7, vcc_lo, v7
	v_cmp_gt_i64_e32 vcc, 0, v[4:5]
	v_not_b32_e32 v5, v5
	v_ashrrev_i32_e32 v5, 31, v5
	v_and_b32_e32 v7, exec_lo, v7
	v_xor_b32_e32 v51, vcc_hi, v5
	v_xor_b32_e32 v5, vcc_lo, v5
	v_and_b32_e32 v7, v7, v5
	v_lshlrev_b32_e32 v5, 29, v6
	v_cmp_gt_i64_e32 vcc, 0, v[4:5]
	v_not_b32_e32 v5, v5
	v_ashrrev_i32_e32 v5, 31, v5
	v_and_b32_e32 v50, v50, v51
	v_xor_b32_e32 v51, vcc_hi, v5
	v_xor_b32_e32 v5, vcc_lo, v5
	v_and_b32_e32 v7, v7, v5
	v_lshlrev_b32_e32 v5, 28, v6
	v_cmp_gt_i64_e32 vcc, 0, v[4:5]
	v_not_b32_e32 v5, v5
	v_ashrrev_i32_e32 v5, 31, v5
	v_and_b32_e32 v50, v50, v51
	;; [unrolled: 8-line block ×5, first 2 shown]
	v_xor_b32_e32 v51, vcc_hi, v5
	v_xor_b32_e32 v5, vcc_lo, v5
	v_and_b32_e32 v7, v7, v5
	v_lshlrev_b32_e32 v5, 24, v6
	v_cmp_gt_i64_e32 vcc, 0, v[4:5]
	v_not_b32_e32 v4, v5
	v_ashrrev_i32_e32 v4, 31, v4
	v_xor_b32_e32 v5, vcc_hi, v4
	v_xor_b32_e32 v4, vcc_lo, v4
	; wave barrier
	ds_read_b32 v48, v49 offset:64
	v_and_b32_e32 v50, v50, v51
	v_and_b32_e32 v4, v7, v4
	;; [unrolled: 1-line block ×3, first 2 shown]
	v_mbcnt_lo_u32_b32 v6, v4, 0
	v_mbcnt_hi_u32_b32 v50, v5, v6
	v_cmp_eq_u32_e32 vcc, 0, v50
	v_cmp_ne_u64_e64 s[2:3], 0, v[4:5]
	s_and_b64 s[8:9], s[2:3], vcc
	; wave barrier
	s_and_saveexec_b64 s[2:3], s[8:9]
	s_cbranch_execz .LBB1360_49
; %bb.48:
	v_bcnt_u32_b32 v4, v4, 0
	v_bcnt_u32_b32 v4, v5, v4
	s_waitcnt lgkmcnt(0)
	v_add_u32_e32 v4, v48, v4
	ds_write_b32 v49, v4 offset:64
.LBB1360_49:
	s_or_b64 exec, exec, s[2:3]
	v_lshrrev_b32_sdwa v4, s20, v19 dst_sel:DWORD dst_unused:UNUSED_PAD src0_sel:DWORD src1_sel:WORD_0
	v_and_b32_e32 v6, s31, v4
	v_and_b32_e32 v5, 1, v6
	v_add_co_u32_e32 v7, vcc, -1, v5
	v_addc_co_u32_e64 v53, s[2:3], 0, -1, vcc
	v_cmp_ne_u32_e32 vcc, 0, v5
	v_mul_u32_u24_e32 v4, 17, v6
	v_xor_b32_e32 v5, vcc_hi, v53
	v_add_lshl_u32 v52, v30, v4, 2
	v_mov_b32_e32 v4, 0
	v_and_b32_e32 v53, exec_hi, v5
	v_lshlrev_b32_e32 v5, 30, v6
	v_xor_b32_e32 v7, vcc_lo, v7
	v_cmp_gt_i64_e32 vcc, 0, v[4:5]
	v_not_b32_e32 v5, v5
	v_ashrrev_i32_e32 v5, 31, v5
	v_and_b32_e32 v7, exec_lo, v7
	v_xor_b32_e32 v54, vcc_hi, v5
	v_xor_b32_e32 v5, vcc_lo, v5
	v_and_b32_e32 v7, v7, v5
	v_lshlrev_b32_e32 v5, 29, v6
	v_cmp_gt_i64_e32 vcc, 0, v[4:5]
	v_not_b32_e32 v5, v5
	v_ashrrev_i32_e32 v5, 31, v5
	v_and_b32_e32 v53, v53, v54
	v_xor_b32_e32 v54, vcc_hi, v5
	v_xor_b32_e32 v5, vcc_lo, v5
	v_and_b32_e32 v7, v7, v5
	v_lshlrev_b32_e32 v5, 28, v6
	v_cmp_gt_i64_e32 vcc, 0, v[4:5]
	v_not_b32_e32 v5, v5
	v_ashrrev_i32_e32 v5, 31, v5
	v_and_b32_e32 v53, v53, v54
	;; [unrolled: 8-line block ×5, first 2 shown]
	v_xor_b32_e32 v54, vcc_hi, v5
	v_xor_b32_e32 v5, vcc_lo, v5
	v_and_b32_e32 v53, v53, v54
	v_and_b32_e32 v54, v7, v5
	v_lshlrev_b32_e32 v5, 24, v6
	v_cmp_gt_i64_e32 vcc, 0, v[4:5]
	v_not_b32_e32 v5, v5
	v_ashrrev_i32_e32 v5, 31, v5
	v_xor_b32_e32 v6, vcc_hi, v5
	v_xor_b32_e32 v5, vcc_lo, v5
	; wave barrier
	ds_read_b32 v51, v52 offset:64
	v_and_b32_e32 v7, v53, v6
	v_and_b32_e32 v6, v54, v5
	v_mbcnt_lo_u32_b32 v5, v6, 0
	v_mbcnt_hi_u32_b32 v53, v7, v5
	v_cmp_eq_u32_e32 vcc, 0, v53
	v_cmp_ne_u64_e64 s[2:3], 0, v[6:7]
	s_and_b64 s[8:9], s[2:3], vcc
	; wave barrier
	s_and_saveexec_b64 s[2:3], s[8:9]
	s_cbranch_execz .LBB1360_51
; %bb.50:
	v_bcnt_u32_b32 v5, v6, 0
	v_bcnt_u32_b32 v5, v7, v5
	s_waitcnt lgkmcnt(0)
	v_add_u32_e32 v5, v51, v5
	ds_write_b32 v52, v5 offset:64
.LBB1360_51:
	s_or_b64 exec, exec, s[2:3]
	v_lshrrev_b32_sdwa v5, s20, v18 dst_sel:DWORD dst_unused:UNUSED_PAD src0_sel:DWORD src1_sel:WORD_0
	v_and_b32_e32 v6, s31, v5
	v_mul_u32_u24_e32 v5, 17, v6
	v_add_lshl_u32 v54, v30, v5, 2
	v_and_b32_e32 v5, 1, v6
	v_add_co_u32_e32 v7, vcc, -1, v5
	v_addc_co_u32_e64 v56, s[2:3], 0, -1, vcc
	v_cmp_ne_u32_e32 vcc, 0, v5
	v_xor_b32_e32 v5, vcc_hi, v56
	v_and_b32_e32 v56, exec_hi, v5
	v_lshlrev_b32_e32 v5, 30, v6
	v_xor_b32_e32 v7, vcc_lo, v7
	v_cmp_gt_i64_e32 vcc, 0, v[4:5]
	v_not_b32_e32 v5, v5
	v_ashrrev_i32_e32 v5, 31, v5
	v_and_b32_e32 v7, exec_lo, v7
	v_xor_b32_e32 v57, vcc_hi, v5
	v_xor_b32_e32 v5, vcc_lo, v5
	v_and_b32_e32 v7, v7, v5
	v_lshlrev_b32_e32 v5, 29, v6
	v_cmp_gt_i64_e32 vcc, 0, v[4:5]
	v_not_b32_e32 v5, v5
	v_ashrrev_i32_e32 v5, 31, v5
	v_and_b32_e32 v56, v56, v57
	v_xor_b32_e32 v57, vcc_hi, v5
	v_xor_b32_e32 v5, vcc_lo, v5
	v_and_b32_e32 v7, v7, v5
	v_lshlrev_b32_e32 v5, 28, v6
	v_cmp_gt_i64_e32 vcc, 0, v[4:5]
	v_not_b32_e32 v5, v5
	v_ashrrev_i32_e32 v5, 31, v5
	v_and_b32_e32 v56, v56, v57
	;; [unrolled: 8-line block ×5, first 2 shown]
	v_xor_b32_e32 v57, vcc_hi, v5
	v_xor_b32_e32 v5, vcc_lo, v5
	v_and_b32_e32 v7, v7, v5
	v_lshlrev_b32_e32 v5, 24, v6
	v_cmp_gt_i64_e32 vcc, 0, v[4:5]
	v_not_b32_e32 v4, v5
	v_ashrrev_i32_e32 v4, 31, v4
	v_xor_b32_e32 v5, vcc_hi, v4
	v_xor_b32_e32 v4, vcc_lo, v4
	; wave barrier
	ds_read_b32 v30, v54 offset:64
	v_and_b32_e32 v56, v56, v57
	v_and_b32_e32 v4, v7, v4
	;; [unrolled: 1-line block ×3, first 2 shown]
	v_mbcnt_lo_u32_b32 v6, v4, 0
	v_mbcnt_hi_u32_b32 v56, v5, v6
	v_cmp_eq_u32_e32 vcc, 0, v56
	v_cmp_ne_u64_e64 s[2:3], 0, v[4:5]
	v_add_u32_e32 v55, 64, v20
	s_and_b64 s[8:9], s[2:3], vcc
	; wave barrier
	s_and_saveexec_b64 s[2:3], s[8:9]
	s_cbranch_execz .LBB1360_53
; %bb.52:
	v_bcnt_u32_b32 v4, v4, 0
	v_bcnt_u32_b32 v4, v5, v4
	s_waitcnt lgkmcnt(0)
	v_add_u32_e32 v4, v30, v4
	ds_write_b32 v54, v4 offset:64
.LBB1360_53:
	s_or_b64 exec, exec, s[2:3]
	; wave barrier
	s_waitcnt lgkmcnt(0)
	s_barrier
	ds_read2_b32 v[6:7], v20 offset0:16 offset1:17
	ds_read2_b32 v[4:5], v55 offset0:2 offset1:3
	ds_read_b32 v57, v55 offset:16
	v_cmp_lt_u32_e64 s[12:13], 31, v13
	s_waitcnt lgkmcnt(1)
	v_add3_u32 v58, v7, v6, v4
	s_waitcnt lgkmcnt(0)
	v_add3_u32 v57, v58, v5, v57
	v_and_b32_e32 v58, 15, v13
	v_cmp_eq_u32_e32 vcc, 0, v58
	v_mov_b32_dpp v59, v57 row_shr:1 row_mask:0xf bank_mask:0xf
	v_cndmask_b32_e64 v59, v59, 0, vcc
	v_add_u32_e32 v57, v59, v57
	v_cmp_lt_u32_e64 s[2:3], 1, v58
	v_cmp_lt_u32_e64 s[10:11], 3, v58
	v_mov_b32_dpp v59, v57 row_shr:2 row_mask:0xf bank_mask:0xf
	v_cndmask_b32_e64 v59, 0, v59, s[2:3]
	v_add_u32_e32 v57, v57, v59
	v_cmp_lt_u32_e64 s[8:9], 7, v58
	s_nop 0
	v_mov_b32_dpp v59, v57 row_shr:4 row_mask:0xf bank_mask:0xf
	v_cndmask_b32_e64 v59, 0, v59, s[10:11]
	v_add_u32_e32 v57, v57, v59
	s_nop 1
	v_mov_b32_dpp v59, v57 row_shr:8 row_mask:0xf bank_mask:0xf
	v_cndmask_b32_e64 v58, 0, v59, s[8:9]
	v_add_u32_e32 v57, v57, v58
	v_bfe_i32 v59, v13, 4, 1
	s_nop 0
	v_mov_b32_dpp v58, v57 row_bcast:15 row_mask:0xf bank_mask:0xf
	v_and_b32_e32 v58, v59, v58
	v_add_u32_e32 v57, v57, v58
	v_and_b32_e32 v59, 63, v2
	s_nop 0
	v_mov_b32_dpp v58, v57 row_bcast:31 row_mask:0xf bank_mask:0xf
	v_cndmask_b32_e64 v58, 0, v58, s[12:13]
	v_add_u32_e32 v57, v57, v58
	v_lshrrev_b32_e32 v58, 6, v2
	v_cmp_eq_u32_e64 s[12:13], 63, v59
	s_and_saveexec_b64 s[22:23], s[12:13]
	s_cbranch_execz .LBB1360_55
; %bb.54:
	v_lshlrev_b32_e32 v59, 2, v58
	ds_write_b32 v59, v57
.LBB1360_55:
	s_or_b64 exec, exec, s[22:23]
	v_cmp_gt_u32_e64 s[12:13], 16, v2
	s_waitcnt lgkmcnt(0)
	s_barrier
	s_and_saveexec_b64 s[22:23], s[12:13]
	s_cbranch_execz .LBB1360_57
; %bb.56:
	v_lshlrev_b32_e32 v59, 2, v2
	ds_read_b32 v60, v59
	s_waitcnt lgkmcnt(0)
	s_nop 0
	v_mov_b32_dpp v61, v60 row_shr:1 row_mask:0xf bank_mask:0xf
	v_cndmask_b32_e64 v61, v61, 0, vcc
	v_add_u32_e32 v60, v61, v60
	s_nop 1
	v_mov_b32_dpp v61, v60 row_shr:2 row_mask:0xf bank_mask:0xf
	v_cndmask_b32_e64 v61, 0, v61, s[2:3]
	v_add_u32_e32 v60, v60, v61
	s_nop 1
	v_mov_b32_dpp v61, v60 row_shr:4 row_mask:0xf bank_mask:0xf
	v_cndmask_b32_e64 v61, 0, v61, s[10:11]
	;; [unrolled: 4-line block ×3, first 2 shown]
	v_add_u32_e32 v60, v60, v61
	ds_write_b32 v59, v60
.LBB1360_57:
	s_or_b64 exec, exec, s[22:23]
	v_cmp_lt_u32_e32 vcc, 63, v2
	v_mov_b32_e32 v59, 0
	s_waitcnt lgkmcnt(0)
	s_barrier
	s_and_saveexec_b64 s[2:3], vcc
	s_cbranch_execz .LBB1360_59
; %bb.58:
	v_lshl_add_u32 v58, v58, 2, -4
	ds_read_b32 v59, v58
.LBB1360_59:
	s_or_b64 exec, exec, s[2:3]
	v_add_u32_e32 v58, -1, v13
	v_and_b32_e32 v60, 64, v13
	v_cmp_lt_i32_e32 vcc, v58, v60
	v_cndmask_b32_e32 v58, v58, v13, vcc
	s_waitcnt lgkmcnt(0)
	v_add_u32_e32 v57, v59, v57
	v_lshlrev_b32_e32 v58, 2, v58
	ds_bpermute_b32 v57, v58, v57
	v_cmp_eq_u32_e32 vcc, 0, v13
	s_movk_i32 s2, 0x100
	s_waitcnt lgkmcnt(0)
	v_cndmask_b32_e32 v13, v57, v59, vcc
	v_cndmask_b32_e64 v13, v13, 0, s[0:1]
	v_add_u32_e32 v6, v13, v6
	v_add_u32_e32 v7, v6, v7
	;; [unrolled: 1-line block ×4, first 2 shown]
	ds_write2_b32 v20, v13, v6 offset0:16 offset1:17
	ds_write2_b32 v55, v7, v4 offset0:2 offset1:3
	ds_write_b32 v55, v5 offset:16
	s_waitcnt lgkmcnt(0)
	s_barrier
	ds_read_b32 v59, v23 offset:64
	ds_read_b32 v58, v24 offset:64
	;; [unrolled: 1-line block ×12, first 2 shown]
	v_cmp_gt_u32_e32 vcc, s2, v2
                                        ; implicit-def: $vgpr13
                                        ; implicit-def: $vgpr20
	s_and_saveexec_b64 s[8:9], vcc
	s_cbranch_execz .LBB1360_63
; %bb.60:
	v_mul_u32_u24_e32 v13, 17, v2
	v_lshlrev_b32_e32 v34, 2, v13
	ds_read_b32 v13, v34 offset:64
	s_movk_i32 s2, 0xff
	v_cmp_ne_u32_e64 s[2:3], s2, v2
	v_mov_b32_e32 v20, 0x3000
	s_and_saveexec_b64 s[10:11], s[2:3]
	s_cbranch_execz .LBB1360_62
; %bb.61:
	ds_read_b32 v20, v34 offset:132
.LBB1360_62:
	s_or_b64 exec, exec, s[10:11]
	s_waitcnt lgkmcnt(0)
	v_sub_u32_e32 v20, v20, v13
.LBB1360_63:
	s_or_b64 exec, exec, s[8:9]
	v_add_u32_e32 v22, v25, v22
	s_waitcnt lgkmcnt(11)
	v_add_lshl_u32 v21, v59, v21, 1
	v_add_u32_e32 v26, v28, v26
	s_waitcnt lgkmcnt(0)
	s_barrier
	ds_write_b16 v21, v8 offset:1024
	v_add_lshl_u32 v8, v22, v58, 1
	v_add_u32_e32 v29, v32, v29
	ds_write_b16 v8, v3 offset:1024
	v_add_lshl_u32 v3, v26, v57, 1
	v_add_u32_e32 v33, v35, v33
	;; [unrolled: 3-line block ×9, first 2 shown]
	ds_write_b16 v3, v16 offset:1024
	v_add_lshl_u32 v3, v34, v5, 1
	ds_write_b16 v3, v19 offset:1024
	v_add_lshl_u32 v3, v30, v4, 1
	ds_write_b16 v3, v18 offset:1024
	s_and_saveexec_b64 s[8:9], vcc
	s_cbranch_execz .LBB1360_73
; %bb.64:
	v_lshl_or_b32 v4, s30, 8, v2
	v_mov_b32_e32 v5, 0
	v_lshlrev_b64 v[6:7], 2, v[4:5]
	v_mov_b32_e32 v3, s15
	v_add_co_u32_e64 v6, s[2:3], s14, v6
	v_addc_co_u32_e64 v7, s[2:3], v3, v7, s[2:3]
	v_or_b32_e32 v4, 2.0, v20
	s_mov_b64 s[10:11], 0
	s_brev_b32 s33, 1
	s_mov_b32 s34, s30
	v_mov_b32_e32 v10, 0
	global_store_dword v[6:7], v4, off
                                        ; implicit-def: $sgpr2_sgpr3
	s_branch .LBB1360_66
.LBB1360_65:                            ;   in Loop: Header=BB1360_66 Depth=1
	s_or_b64 exec, exec, s[12:13]
	v_and_b32_e32 v8, 0x3fffffff, v11
	v_add_u32_e32 v10, v8, v10
	v_cmp_eq_u32_e64 s[2:3], s33, v4
	s_and_b64 s[12:13], exec, s[2:3]
	s_or_b64 s[10:11], s[12:13], s[10:11]
	s_andn2_b64 exec, exec, s[10:11]
	s_cbranch_execz .LBB1360_72
.LBB1360_66:                            ; =>This Loop Header: Depth=1
                                        ;     Child Loop BB1360_69 Depth 2
	s_or_b64 s[2:3], s[2:3], exec
	s_cmp_eq_u32 s34, 0
	s_cbranch_scc1 .LBB1360_71
; %bb.67:                               ;   in Loop: Header=BB1360_66 Depth=1
	s_add_i32 s34, s34, -1
	v_lshl_or_b32 v4, s34, 8, v2
	v_lshlrev_b64 v[8:9], 2, v[4:5]
	v_add_co_u32_e64 v8, s[2:3], s14, v8
	v_addc_co_u32_e64 v9, s[2:3], v3, v9, s[2:3]
	global_load_dword v11, v[8:9], off glc
	s_waitcnt vmcnt(0)
	v_and_b32_e32 v4, -2.0, v11
	v_cmp_eq_u32_e64 s[2:3], 0, v4
	s_and_saveexec_b64 s[12:13], s[2:3]
	s_cbranch_execz .LBB1360_65
; %bb.68:                               ;   in Loop: Header=BB1360_66 Depth=1
	s_mov_b64 s[22:23], 0
.LBB1360_69:                            ;   Parent Loop BB1360_66 Depth=1
                                        ; =>  This Inner Loop Header: Depth=2
	global_load_dword v11, v[8:9], off glc
	s_waitcnt vmcnt(0)
	v_and_b32_e32 v4, -2.0, v11
	v_cmp_ne_u32_e64 s[2:3], 0, v4
	s_or_b64 s[22:23], s[2:3], s[22:23]
	s_andn2_b64 exec, exec, s[22:23]
	s_cbranch_execnz .LBB1360_69
; %bb.70:                               ;   in Loop: Header=BB1360_66 Depth=1
	s_or_b64 exec, exec, s[22:23]
	s_branch .LBB1360_65
.LBB1360_71:                            ;   in Loop: Header=BB1360_66 Depth=1
                                        ; implicit-def: $sgpr34
	s_and_b64 s[12:13], exec, s[2:3]
	s_or_b64 s[10:11], s[12:13], s[10:11]
	s_andn2_b64 exec, exec, s[10:11]
	s_cbranch_execnz .LBB1360_66
.LBB1360_72:
	s_or_b64 exec, exec, s[10:11]
	v_add_u32_e32 v3, v10, v20
	v_or_b32_e32 v3, 0x80000000, v3
	global_store_dword v[6:7], v3, off
	v_lshlrev_b32_e32 v3, 2, v2
	global_load_dword v4, v3, s[16:17]
	v_sub_u32_e32 v5, v10, v13
	s_waitcnt vmcnt(0)
	v_add_u32_e32 v4, v5, v4
	ds_write_b32 v3, v4
.LBB1360_73:
	s_or_b64 exec, exec, s[8:9]
	v_cmp_gt_u32_e64 s[2:3], s7, v2
	s_waitcnt lgkmcnt(0)
	s_barrier
	s_and_saveexec_b64 s[8:9], s[2:3]
	s_cbranch_execz .LBB1360_75
; %bb.74:
	v_lshlrev_b32_e32 v3, 1, v2
	ds_read_u16 v3, v3 offset:1024
	v_mov_b32_e32 v5, 0
	v_mov_b32_e32 v6, s27
	s_waitcnt lgkmcnt(0)
	v_lshrrev_b32_sdwa v4, s20, v3 dst_sel:DWORD dst_unused:UNUSED_PAD src0_sel:DWORD src1_sel:WORD_0
	v_and_b32_e32 v4, s31, v4
	v_lshlrev_b32_e32 v4, 2, v4
	ds_read_b32 v4, v4
	s_waitcnt lgkmcnt(0)
	v_add_u32_e32 v4, v4, v2
	v_lshlrev_b64 v[4:5], 1, v[4:5]
	v_add_co_u32_e64 v4, s[2:3], s26, v4
	v_addc_co_u32_e64 v5, s[2:3], v6, v5, s[2:3]
	global_store_short v[4:5], v3, off
.LBB1360_75:
	s_or_b64 exec, exec, s[8:9]
	v_or_b32_e32 v3, 0x400, v2
	v_cmp_gt_u32_e64 s[2:3], s7, v3
	s_and_saveexec_b64 s[8:9], s[2:3]
	s_cbranch_execz .LBB1360_77
; %bb.76:
	v_lshlrev_b32_e32 v4, 1, v2
	ds_read_u16 v6, v4 offset:3072
	v_mov_b32_e32 v5, 0
	v_mov_b32_e32 v7, s27
	s_waitcnt lgkmcnt(0)
	v_lshrrev_b32_sdwa v4, s20, v6 dst_sel:DWORD dst_unused:UNUSED_PAD src0_sel:DWORD src1_sel:WORD_0
	v_and_b32_e32 v4, s31, v4
	v_lshlrev_b32_e32 v4, 2, v4
	ds_read_b32 v4, v4
	s_waitcnt lgkmcnt(0)
	v_add_u32_e32 v4, v4, v3
	v_lshlrev_b64 v[4:5], 1, v[4:5]
	v_add_co_u32_e64 v4, s[2:3], s26, v4
	v_addc_co_u32_e64 v5, s[2:3], v7, v5, s[2:3]
	global_store_short v[4:5], v6, off
.LBB1360_77:
	s_or_b64 exec, exec, s[8:9]
	v_or_b32_e32 v3, 0x800, v2
	v_cmp_gt_u32_e64 s[2:3], s7, v3
	;; [unrolled: 22-line block ×11, first 2 shown]
	s_and_saveexec_b64 s[8:9], s[2:3]
	s_cbranch_execz .LBB1360_97
; %bb.96:
	v_lshlrev_b32_e32 v4, 1, v2
	ds_read_u16 v6, v4 offset:23552
	v_mov_b32_e32 v5, 0
	v_mov_b32_e32 v7, s27
	s_waitcnt lgkmcnt(0)
	v_lshrrev_b32_sdwa v4, s20, v6 dst_sel:DWORD dst_unused:UNUSED_PAD src0_sel:DWORD src1_sel:WORD_0
	v_and_b32_e32 v4, s31, v4
	v_lshlrev_b32_e32 v4, 2, v4
	ds_read_b32 v4, v4
	s_waitcnt lgkmcnt(0)
	v_add_u32_e32 v4, v4, v3
	v_lshlrev_b64 v[4:5], 1, v[4:5]
	v_add_co_u32_e64 v4, s[2:3], s26, v4
	v_addc_co_u32_e64 v5, s[2:3], v7, v5, s[2:3]
	global_store_short v[4:5], v6, off
.LBB1360_97:
	s_or_b64 exec, exec, s[8:9]
	s_add_i32 s29, s29, -1
	s_cmp_eq_u32 s29, s30
	s_cselect_b64 s[2:3], -1, 0
	s_and_b64 s[8:9], vcc, s[2:3]
	s_mov_b64 s[2:3], 0
	s_mov_b64 s[10:11], 0
                                        ; implicit-def: $vgpr4
	s_and_saveexec_b64 s[12:13], s[8:9]
	s_xor_b64 s[8:9], exec, s[12:13]
; %bb.98:
	s_mov_b64 s[10:11], exec
	v_add_u32_e32 v4, v13, v20
	v_mov_b32_e32 v3, 0
; %bb.99:
	s_or_b64 exec, exec, s[8:9]
	s_and_b64 vcc, exec, s[2:3]
	s_cbranch_vccnz .LBB1360_101
	s_branch .LBB1360_150
.LBB1360_100:
	s_mov_b64 s[10:11], 0
                                        ; implicit-def: $vgpr4
	s_cbranch_execz .LBB1360_150
.LBB1360_101:
	s_mov_b32 s29, 0
	v_mbcnt_hi_u32_b32 v17, -1, v1
	s_lshl_b64 s[2:3], s[28:29], 1
	v_and_b32_e32 v1, 63, v17
	s_add_u32 s2, s24, s2
	v_lshlrev_b32_e32 v1, 1, v1
	v_add_co_u32_e32 v1, vcc, s2, v1
	s_load_dword s22, s[4:5], 0x58
	s_load_dword s2, s[4:5], 0x64
	s_addc_u32 s3, s25, s3
	v_and_b32_e32 v3, 0x3c0, v2
	v_mul_u32_u24_e32 v3, 12, v3
	v_mov_b32_e32 v5, s3
	s_add_u32 s3, s4, 0x58
	v_addc_co_u32_e32 v5, vcc, 0, v5, vcc
	v_lshlrev_b32_e32 v3, 1, v3
	s_addc_u32 s4, s5, 0
	s_waitcnt lgkmcnt(0)
	s_lshr_b32 s5, s2, 16
	v_add_co_u32_e32 v20, vcc, v1, v3
	s_cmp_lt_u32 s6, s22
	v_addc_co_u32_e32 v21, vcc, 0, v5, vcc
	s_cselect_b32 s2, 12, 18
	global_load_ushort v3, v[20:21], off
	s_add_u32 s2, s3, s2
	v_mov_b32_e32 v4, 0
	s_addc_u32 s3, s4, 0
	global_load_ushort v1, v4, s[2:3]
	v_mul_u32_u24_e32 v6, 5, v2
	v_lshlrev_b32_e32 v18, 2, v6
	ds_write2_b32 v18, v4, v4 offset0:16 offset1:17
	ds_write2_b32 v18, v4, v4 offset0:18 offset1:19
	ds_write_b32 v18, v4 offset:80
	global_load_ushort v16, v[20:21], off offset:128
	global_load_ushort v15, v[20:21], off offset:256
	;; [unrolled: 1-line block ×11, first 2 shown]
	v_bfe_u32 v5, v0, 10, 10
	v_bfe_u32 v0, v0, 20, 10
	s_lshl_b32 s2, -1, s21
	v_mad_u32_u24 v0, v0, s5, v5
	s_not_b32 s21, s2
	s_waitcnt lgkmcnt(0)
	s_barrier
	s_waitcnt lgkmcnt(0)
	; wave barrier
	s_waitcnt vmcnt(12)
	v_lshrrev_b32_sdwa v5, s20, v3 dst_sel:DWORD dst_unused:UNUSED_PAD src0_sel:DWORD src1_sel:WORD_0
	v_and_b32_e32 v20, s21, v5
	v_and_b32_e32 v21, 1, v20
	v_lshlrev_b32_e32 v5, 30, v20
	s_waitcnt vmcnt(11)
	v_mad_u64_u32 v[0:1], s[2:3], v0, v1, v[2:3]
	v_add_co_u32_e32 v1, vcc, -1, v21
	v_addc_co_u32_e64 v22, s[2:3], 0, -1, vcc
	v_cmp_ne_u32_e32 vcc, 0, v21
	v_cmp_gt_i64_e64 s[2:3], 0, v[4:5]
	v_not_b32_e32 v21, v5
	v_lshlrev_b32_e32 v5, 29, v20
	v_lshrrev_b32_e32 v26, 6, v0
	v_xor_b32_e32 v0, vcc_hi, v22
	v_xor_b32_e32 v1, vcc_lo, v1
	v_ashrrev_i32_e32 v21, 31, v21
	v_cmp_gt_i64_e32 vcc, 0, v[4:5]
	v_not_b32_e32 v22, v5
	v_lshlrev_b32_e32 v5, 28, v20
	v_and_b32_e32 v0, exec_hi, v0
	v_and_b32_e32 v1, exec_lo, v1
	v_xor_b32_e32 v23, s3, v21
	v_xor_b32_e32 v21, s2, v21
	v_ashrrev_i32_e32 v22, 31, v22
	v_cmp_gt_i64_e64 s[2:3], 0, v[4:5]
	v_not_b32_e32 v5, v5
	v_and_b32_e32 v0, v0, v23
	v_and_b32_e32 v1, v1, v21
	v_xor_b32_e32 v21, vcc_hi, v22
	v_xor_b32_e32 v22, vcc_lo, v22
	v_ashrrev_i32_e32 v5, 31, v5
	v_and_b32_e32 v0, v0, v21
	v_and_b32_e32 v1, v1, v22
	v_xor_b32_e32 v21, s3, v5
	v_xor_b32_e32 v5, s2, v5
	v_and_b32_e32 v1, v1, v5
	v_lshlrev_b32_e32 v5, 27, v20
	v_cmp_gt_i64_e32 vcc, 0, v[4:5]
	v_not_b32_e32 v5, v5
	v_ashrrev_i32_e32 v5, 31, v5
	v_and_b32_e32 v0, v0, v21
	v_xor_b32_e32 v21, vcc_hi, v5
	v_xor_b32_e32 v5, vcc_lo, v5
	v_and_b32_e32 v1, v1, v5
	v_lshlrev_b32_e32 v5, 26, v20
	v_cmp_gt_i64_e32 vcc, 0, v[4:5]
	v_not_b32_e32 v5, v5
	v_ashrrev_i32_e32 v5, 31, v5
	v_and_b32_e32 v0, v0, v21
	v_xor_b32_e32 v21, vcc_hi, v5
	v_xor_b32_e32 v5, vcc_lo, v5
	;; [unrolled: 8-line block ×3, first 2 shown]
	v_and_b32_e32 v0, v0, v21
	v_and_b32_e32 v21, v1, v5
	v_lshlrev_b32_e32 v5, 24, v20
	v_not_b32_e32 v1, v5
	v_cmp_gt_i64_e32 vcc, 0, v[4:5]
	v_ashrrev_i32_e32 v1, 31, v1
	v_mul_u32_u24_e32 v19, 17, v20
	v_xor_b32_e32 v5, vcc_hi, v1
	v_xor_b32_e32 v20, vcc_lo, v1
	v_and_b32_e32 v1, v0, v5
	v_and_b32_e32 v0, v21, v20
	v_mbcnt_lo_u32_b32 v5, v0, 0
	v_mbcnt_hi_u32_b32 v20, v1, v5
	v_cmp_eq_u32_e32 vcc, 0, v20
	v_cmp_ne_u64_e64 s[2:3], 0, v[0:1]
	v_add_lshl_u32 v19, v26, v19, 2
	s_and_b64 s[4:5], s[2:3], vcc
	s_and_saveexec_b64 s[2:3], s[4:5]
	s_cbranch_execz .LBB1360_103
; %bb.102:
	v_bcnt_u32_b32 v0, v0, 0
	v_bcnt_u32_b32 v0, v1, v0
	ds_write_b32 v19, v0 offset:64
.LBB1360_103:
	s_or_b64 exec, exec, s[2:3]
	s_waitcnt vmcnt(10)
	v_lshrrev_b32_sdwa v0, s20, v16 dst_sel:DWORD dst_unused:UNUSED_PAD src0_sel:DWORD src1_sel:WORD_0
	v_and_b32_e32 v0, s21, v0
	v_mul_u32_u24_e32 v1, 17, v0
	v_add_lshl_u32 v22, v26, v1, 2
	v_and_b32_e32 v1, 1, v0
	v_add_co_u32_e32 v5, vcc, -1, v1
	v_addc_co_u32_e64 v23, s[2:3], 0, -1, vcc
	v_cmp_ne_u32_e32 vcc, 0, v1
	v_xor_b32_e32 v5, vcc_lo, v5
	v_xor_b32_e32 v1, vcc_hi, v23
	v_and_b32_e32 v23, exec_lo, v5
	v_lshlrev_b32_e32 v5, 30, v0
	v_cmp_gt_i64_e32 vcc, 0, v[4:5]
	v_not_b32_e32 v5, v5
	v_ashrrev_i32_e32 v5, 31, v5
	v_xor_b32_e32 v24, vcc_hi, v5
	v_xor_b32_e32 v5, vcc_lo, v5
	v_and_b32_e32 v23, v23, v5
	v_lshlrev_b32_e32 v5, 29, v0
	v_cmp_gt_i64_e32 vcc, 0, v[4:5]
	v_not_b32_e32 v5, v5
	v_and_b32_e32 v1, exec_hi, v1
	v_ashrrev_i32_e32 v5, 31, v5
	v_and_b32_e32 v1, v1, v24
	v_xor_b32_e32 v24, vcc_hi, v5
	v_xor_b32_e32 v5, vcc_lo, v5
	v_and_b32_e32 v23, v23, v5
	v_lshlrev_b32_e32 v5, 28, v0
	v_cmp_gt_i64_e32 vcc, 0, v[4:5]
	v_not_b32_e32 v5, v5
	v_ashrrev_i32_e32 v5, 31, v5
	v_and_b32_e32 v1, v1, v24
	v_xor_b32_e32 v24, vcc_hi, v5
	v_xor_b32_e32 v5, vcc_lo, v5
	v_and_b32_e32 v23, v23, v5
	v_lshlrev_b32_e32 v5, 27, v0
	v_cmp_gt_i64_e32 vcc, 0, v[4:5]
	v_not_b32_e32 v5, v5
	;; [unrolled: 8-line block ×4, first 2 shown]
	v_ashrrev_i32_e32 v5, 31, v5
	v_and_b32_e32 v1, v1, v24
	v_xor_b32_e32 v24, vcc_hi, v5
	v_xor_b32_e32 v5, vcc_lo, v5
	v_and_b32_e32 v23, v23, v5
	v_lshlrev_b32_e32 v5, 24, v0
	v_not_b32_e32 v0, v5
	v_cmp_gt_i64_e32 vcc, 0, v[4:5]
	v_ashrrev_i32_e32 v0, 31, v0
	v_xor_b32_e32 v4, vcc_hi, v0
	v_xor_b32_e32 v0, vcc_lo, v0
	; wave barrier
	ds_read_b32 v21, v22 offset:64
	v_and_b32_e32 v1, v1, v24
	v_and_b32_e32 v0, v23, v0
	;; [unrolled: 1-line block ×3, first 2 shown]
	v_mbcnt_lo_u32_b32 v4, v0, 0
	v_mbcnt_hi_u32_b32 v23, v1, v4
	v_cmp_eq_u32_e32 vcc, 0, v23
	v_cmp_ne_u64_e64 s[2:3], 0, v[0:1]
	s_and_b64 s[4:5], s[2:3], vcc
	; wave barrier
	s_and_saveexec_b64 s[2:3], s[4:5]
	s_cbranch_execz .LBB1360_105
; %bb.104:
	v_bcnt_u32_b32 v0, v0, 0
	v_bcnt_u32_b32 v0, v1, v0
	s_waitcnt lgkmcnt(0)
	v_add_u32_e32 v0, v21, v0
	ds_write_b32 v22, v0 offset:64
.LBB1360_105:
	s_or_b64 exec, exec, s[2:3]
	s_waitcnt vmcnt(9)
	v_lshrrev_b32_sdwa v0, s20, v15 dst_sel:DWORD dst_unused:UNUSED_PAD src0_sel:DWORD src1_sel:WORD_0
	v_and_b32_e32 v4, s21, v0
	v_and_b32_e32 v1, 1, v4
	v_add_co_u32_e32 v5, vcc, -1, v1
	v_addc_co_u32_e64 v27, s[2:3], 0, -1, vcc
	v_cmp_ne_u32_e32 vcc, 0, v1
	v_mul_u32_u24_e32 v0, 17, v4
	v_xor_b32_e32 v1, vcc_hi, v27
	v_add_lshl_u32 v25, v26, v0, 2
	v_mov_b32_e32 v0, 0
	v_and_b32_e32 v27, exec_hi, v1
	v_lshlrev_b32_e32 v1, 30, v4
	v_xor_b32_e32 v5, vcc_lo, v5
	v_cmp_gt_i64_e32 vcc, 0, v[0:1]
	v_not_b32_e32 v1, v1
	v_ashrrev_i32_e32 v1, 31, v1
	v_and_b32_e32 v5, exec_lo, v5
	v_xor_b32_e32 v28, vcc_hi, v1
	v_xor_b32_e32 v1, vcc_lo, v1
	v_and_b32_e32 v5, v5, v1
	v_lshlrev_b32_e32 v1, 29, v4
	v_cmp_gt_i64_e32 vcc, 0, v[0:1]
	v_not_b32_e32 v1, v1
	v_ashrrev_i32_e32 v1, 31, v1
	v_and_b32_e32 v27, v27, v28
	v_xor_b32_e32 v28, vcc_hi, v1
	v_xor_b32_e32 v1, vcc_lo, v1
	v_and_b32_e32 v5, v5, v1
	v_lshlrev_b32_e32 v1, 28, v4
	v_cmp_gt_i64_e32 vcc, 0, v[0:1]
	v_not_b32_e32 v1, v1
	v_ashrrev_i32_e32 v1, 31, v1
	v_and_b32_e32 v27, v27, v28
	;; [unrolled: 8-line block ×5, first 2 shown]
	v_xor_b32_e32 v28, vcc_hi, v1
	v_xor_b32_e32 v1, vcc_lo, v1
	v_and_b32_e32 v27, v27, v28
	v_and_b32_e32 v28, v5, v1
	v_lshlrev_b32_e32 v1, 24, v4
	v_cmp_gt_i64_e32 vcc, 0, v[0:1]
	v_not_b32_e32 v1, v1
	v_ashrrev_i32_e32 v1, 31, v1
	v_xor_b32_e32 v4, vcc_hi, v1
	v_xor_b32_e32 v1, vcc_lo, v1
	; wave barrier
	ds_read_b32 v24, v25 offset:64
	v_and_b32_e32 v5, v27, v4
	v_and_b32_e32 v4, v28, v1
	v_mbcnt_lo_u32_b32 v1, v4, 0
	v_mbcnt_hi_u32_b32 v27, v5, v1
	v_cmp_eq_u32_e32 vcc, 0, v27
	v_cmp_ne_u64_e64 s[2:3], 0, v[4:5]
	s_and_b64 s[4:5], s[2:3], vcc
	; wave barrier
	s_and_saveexec_b64 s[2:3], s[4:5]
	s_cbranch_execz .LBB1360_107
; %bb.106:
	v_bcnt_u32_b32 v1, v4, 0
	v_bcnt_u32_b32 v1, v5, v1
	s_waitcnt lgkmcnt(0)
	v_add_u32_e32 v1, v24, v1
	ds_write_b32 v25, v1 offset:64
.LBB1360_107:
	s_or_b64 exec, exec, s[2:3]
	s_waitcnt vmcnt(8)
	v_lshrrev_b32_sdwa v1, s20, v14 dst_sel:DWORD dst_unused:UNUSED_PAD src0_sel:DWORD src1_sel:WORD_0
	v_and_b32_e32 v4, s21, v1
	v_mul_u32_u24_e32 v1, 17, v4
	v_add_lshl_u32 v29, v26, v1, 2
	v_and_b32_e32 v1, 1, v4
	v_add_co_u32_e32 v5, vcc, -1, v1
	v_addc_co_u32_e64 v30, s[2:3], 0, -1, vcc
	v_cmp_ne_u32_e32 vcc, 0, v1
	v_xor_b32_e32 v1, vcc_hi, v30
	v_and_b32_e32 v30, exec_hi, v1
	v_lshlrev_b32_e32 v1, 30, v4
	v_xor_b32_e32 v5, vcc_lo, v5
	v_cmp_gt_i64_e32 vcc, 0, v[0:1]
	v_not_b32_e32 v1, v1
	v_ashrrev_i32_e32 v1, 31, v1
	v_and_b32_e32 v5, exec_lo, v5
	v_xor_b32_e32 v31, vcc_hi, v1
	v_xor_b32_e32 v1, vcc_lo, v1
	v_and_b32_e32 v5, v5, v1
	v_lshlrev_b32_e32 v1, 29, v4
	v_cmp_gt_i64_e32 vcc, 0, v[0:1]
	v_not_b32_e32 v1, v1
	v_ashrrev_i32_e32 v1, 31, v1
	v_and_b32_e32 v30, v30, v31
	v_xor_b32_e32 v31, vcc_hi, v1
	v_xor_b32_e32 v1, vcc_lo, v1
	v_and_b32_e32 v5, v5, v1
	v_lshlrev_b32_e32 v1, 28, v4
	v_cmp_gt_i64_e32 vcc, 0, v[0:1]
	v_not_b32_e32 v1, v1
	v_ashrrev_i32_e32 v1, 31, v1
	v_and_b32_e32 v30, v30, v31
	;; [unrolled: 8-line block ×5, first 2 shown]
	v_xor_b32_e32 v31, vcc_hi, v1
	v_xor_b32_e32 v1, vcc_lo, v1
	v_and_b32_e32 v5, v5, v1
	v_lshlrev_b32_e32 v1, 24, v4
	v_cmp_gt_i64_e32 vcc, 0, v[0:1]
	v_not_b32_e32 v0, v1
	v_ashrrev_i32_e32 v0, 31, v0
	v_xor_b32_e32 v1, vcc_hi, v0
	v_xor_b32_e32 v0, vcc_lo, v0
	; wave barrier
	ds_read_b32 v28, v29 offset:64
	v_and_b32_e32 v30, v30, v31
	v_and_b32_e32 v0, v5, v0
	;; [unrolled: 1-line block ×3, first 2 shown]
	v_mbcnt_lo_u32_b32 v4, v0, 0
	v_mbcnt_hi_u32_b32 v30, v1, v4
	v_cmp_eq_u32_e32 vcc, 0, v30
	v_cmp_ne_u64_e64 s[2:3], 0, v[0:1]
	s_and_b64 s[4:5], s[2:3], vcc
	; wave barrier
	s_and_saveexec_b64 s[2:3], s[4:5]
	s_cbranch_execz .LBB1360_109
; %bb.108:
	v_bcnt_u32_b32 v0, v0, 0
	v_bcnt_u32_b32 v0, v1, v0
	s_waitcnt lgkmcnt(0)
	v_add_u32_e32 v0, v28, v0
	ds_write_b32 v29, v0 offset:64
.LBB1360_109:
	s_or_b64 exec, exec, s[2:3]
	s_waitcnt vmcnt(7)
	v_lshrrev_b32_sdwa v0, s20, v13 dst_sel:DWORD dst_unused:UNUSED_PAD src0_sel:DWORD src1_sel:WORD_0
	v_and_b32_e32 v4, s21, v0
	v_and_b32_e32 v1, 1, v4
	v_add_co_u32_e32 v5, vcc, -1, v1
	v_addc_co_u32_e64 v33, s[2:3], 0, -1, vcc
	v_cmp_ne_u32_e32 vcc, 0, v1
	v_mul_u32_u24_e32 v0, 17, v4
	v_xor_b32_e32 v1, vcc_hi, v33
	v_add_lshl_u32 v32, v26, v0, 2
	v_mov_b32_e32 v0, 0
	v_and_b32_e32 v33, exec_hi, v1
	v_lshlrev_b32_e32 v1, 30, v4
	v_xor_b32_e32 v5, vcc_lo, v5
	v_cmp_gt_i64_e32 vcc, 0, v[0:1]
	v_not_b32_e32 v1, v1
	v_ashrrev_i32_e32 v1, 31, v1
	v_and_b32_e32 v5, exec_lo, v5
	v_xor_b32_e32 v34, vcc_hi, v1
	v_xor_b32_e32 v1, vcc_lo, v1
	v_and_b32_e32 v5, v5, v1
	v_lshlrev_b32_e32 v1, 29, v4
	v_cmp_gt_i64_e32 vcc, 0, v[0:1]
	v_not_b32_e32 v1, v1
	v_ashrrev_i32_e32 v1, 31, v1
	v_and_b32_e32 v33, v33, v34
	v_xor_b32_e32 v34, vcc_hi, v1
	v_xor_b32_e32 v1, vcc_lo, v1
	v_and_b32_e32 v5, v5, v1
	v_lshlrev_b32_e32 v1, 28, v4
	v_cmp_gt_i64_e32 vcc, 0, v[0:1]
	v_not_b32_e32 v1, v1
	v_ashrrev_i32_e32 v1, 31, v1
	v_and_b32_e32 v33, v33, v34
	;; [unrolled: 8-line block ×5, first 2 shown]
	v_xor_b32_e32 v34, vcc_hi, v1
	v_xor_b32_e32 v1, vcc_lo, v1
	v_and_b32_e32 v33, v33, v34
	v_and_b32_e32 v34, v5, v1
	v_lshlrev_b32_e32 v1, 24, v4
	v_cmp_gt_i64_e32 vcc, 0, v[0:1]
	v_not_b32_e32 v1, v1
	v_ashrrev_i32_e32 v1, 31, v1
	v_xor_b32_e32 v4, vcc_hi, v1
	v_xor_b32_e32 v1, vcc_lo, v1
	; wave barrier
	ds_read_b32 v31, v32 offset:64
	v_and_b32_e32 v5, v33, v4
	v_and_b32_e32 v4, v34, v1
	v_mbcnt_lo_u32_b32 v1, v4, 0
	v_mbcnt_hi_u32_b32 v33, v5, v1
	v_cmp_eq_u32_e32 vcc, 0, v33
	v_cmp_ne_u64_e64 s[2:3], 0, v[4:5]
	s_and_b64 s[4:5], s[2:3], vcc
	; wave barrier
	s_and_saveexec_b64 s[2:3], s[4:5]
	s_cbranch_execz .LBB1360_111
; %bb.110:
	v_bcnt_u32_b32 v1, v4, 0
	v_bcnt_u32_b32 v1, v5, v1
	s_waitcnt lgkmcnt(0)
	v_add_u32_e32 v1, v31, v1
	ds_write_b32 v32, v1 offset:64
.LBB1360_111:
	s_or_b64 exec, exec, s[2:3]
	s_waitcnt vmcnt(6)
	v_lshrrev_b32_sdwa v1, s20, v12 dst_sel:DWORD dst_unused:UNUSED_PAD src0_sel:DWORD src1_sel:WORD_0
	v_and_b32_e32 v4, s21, v1
	v_mul_u32_u24_e32 v1, 17, v4
	v_add_lshl_u32 v35, v26, v1, 2
	v_and_b32_e32 v1, 1, v4
	v_add_co_u32_e32 v5, vcc, -1, v1
	v_addc_co_u32_e64 v36, s[2:3], 0, -1, vcc
	v_cmp_ne_u32_e32 vcc, 0, v1
	v_xor_b32_e32 v1, vcc_hi, v36
	v_and_b32_e32 v36, exec_hi, v1
	v_lshlrev_b32_e32 v1, 30, v4
	v_xor_b32_e32 v5, vcc_lo, v5
	v_cmp_gt_i64_e32 vcc, 0, v[0:1]
	v_not_b32_e32 v1, v1
	v_ashrrev_i32_e32 v1, 31, v1
	v_and_b32_e32 v5, exec_lo, v5
	v_xor_b32_e32 v37, vcc_hi, v1
	v_xor_b32_e32 v1, vcc_lo, v1
	v_and_b32_e32 v5, v5, v1
	v_lshlrev_b32_e32 v1, 29, v4
	v_cmp_gt_i64_e32 vcc, 0, v[0:1]
	v_not_b32_e32 v1, v1
	v_ashrrev_i32_e32 v1, 31, v1
	v_and_b32_e32 v36, v36, v37
	v_xor_b32_e32 v37, vcc_hi, v1
	v_xor_b32_e32 v1, vcc_lo, v1
	v_and_b32_e32 v5, v5, v1
	v_lshlrev_b32_e32 v1, 28, v4
	v_cmp_gt_i64_e32 vcc, 0, v[0:1]
	v_not_b32_e32 v1, v1
	v_ashrrev_i32_e32 v1, 31, v1
	v_and_b32_e32 v36, v36, v37
	;; [unrolled: 8-line block ×5, first 2 shown]
	v_xor_b32_e32 v37, vcc_hi, v1
	v_xor_b32_e32 v1, vcc_lo, v1
	v_and_b32_e32 v5, v5, v1
	v_lshlrev_b32_e32 v1, 24, v4
	v_cmp_gt_i64_e32 vcc, 0, v[0:1]
	v_not_b32_e32 v0, v1
	v_ashrrev_i32_e32 v0, 31, v0
	v_xor_b32_e32 v1, vcc_hi, v0
	v_xor_b32_e32 v0, vcc_lo, v0
	; wave barrier
	ds_read_b32 v34, v35 offset:64
	v_and_b32_e32 v36, v36, v37
	v_and_b32_e32 v0, v5, v0
	;; [unrolled: 1-line block ×3, first 2 shown]
	v_mbcnt_lo_u32_b32 v4, v0, 0
	v_mbcnt_hi_u32_b32 v36, v1, v4
	v_cmp_eq_u32_e32 vcc, 0, v36
	v_cmp_ne_u64_e64 s[2:3], 0, v[0:1]
	s_and_b64 s[4:5], s[2:3], vcc
	; wave barrier
	s_and_saveexec_b64 s[2:3], s[4:5]
	s_cbranch_execz .LBB1360_113
; %bb.112:
	v_bcnt_u32_b32 v0, v0, 0
	v_bcnt_u32_b32 v0, v1, v0
	s_waitcnt lgkmcnt(0)
	v_add_u32_e32 v0, v34, v0
	ds_write_b32 v35, v0 offset:64
.LBB1360_113:
	s_or_b64 exec, exec, s[2:3]
	s_waitcnt vmcnt(5)
	v_lshrrev_b32_sdwa v0, s20, v11 dst_sel:DWORD dst_unused:UNUSED_PAD src0_sel:DWORD src1_sel:WORD_0
	v_and_b32_e32 v4, s21, v0
	v_and_b32_e32 v1, 1, v4
	v_add_co_u32_e32 v5, vcc, -1, v1
	v_addc_co_u32_e64 v39, s[2:3], 0, -1, vcc
	v_cmp_ne_u32_e32 vcc, 0, v1
	v_mul_u32_u24_e32 v0, 17, v4
	v_xor_b32_e32 v1, vcc_hi, v39
	v_add_lshl_u32 v38, v26, v0, 2
	v_mov_b32_e32 v0, 0
	v_and_b32_e32 v39, exec_hi, v1
	v_lshlrev_b32_e32 v1, 30, v4
	v_xor_b32_e32 v5, vcc_lo, v5
	v_cmp_gt_i64_e32 vcc, 0, v[0:1]
	v_not_b32_e32 v1, v1
	v_ashrrev_i32_e32 v1, 31, v1
	v_and_b32_e32 v5, exec_lo, v5
	v_xor_b32_e32 v40, vcc_hi, v1
	v_xor_b32_e32 v1, vcc_lo, v1
	v_and_b32_e32 v5, v5, v1
	v_lshlrev_b32_e32 v1, 29, v4
	v_cmp_gt_i64_e32 vcc, 0, v[0:1]
	v_not_b32_e32 v1, v1
	v_ashrrev_i32_e32 v1, 31, v1
	v_and_b32_e32 v39, v39, v40
	v_xor_b32_e32 v40, vcc_hi, v1
	v_xor_b32_e32 v1, vcc_lo, v1
	v_and_b32_e32 v5, v5, v1
	v_lshlrev_b32_e32 v1, 28, v4
	v_cmp_gt_i64_e32 vcc, 0, v[0:1]
	v_not_b32_e32 v1, v1
	v_ashrrev_i32_e32 v1, 31, v1
	v_and_b32_e32 v39, v39, v40
	;; [unrolled: 8-line block ×5, first 2 shown]
	v_xor_b32_e32 v40, vcc_hi, v1
	v_xor_b32_e32 v1, vcc_lo, v1
	v_and_b32_e32 v39, v39, v40
	v_and_b32_e32 v40, v5, v1
	v_lshlrev_b32_e32 v1, 24, v4
	v_cmp_gt_i64_e32 vcc, 0, v[0:1]
	v_not_b32_e32 v1, v1
	v_ashrrev_i32_e32 v1, 31, v1
	v_xor_b32_e32 v4, vcc_hi, v1
	v_xor_b32_e32 v1, vcc_lo, v1
	; wave barrier
	ds_read_b32 v37, v38 offset:64
	v_and_b32_e32 v5, v39, v4
	v_and_b32_e32 v4, v40, v1
	v_mbcnt_lo_u32_b32 v1, v4, 0
	v_mbcnt_hi_u32_b32 v39, v5, v1
	v_cmp_eq_u32_e32 vcc, 0, v39
	v_cmp_ne_u64_e64 s[2:3], 0, v[4:5]
	s_and_b64 s[4:5], s[2:3], vcc
	; wave barrier
	s_and_saveexec_b64 s[2:3], s[4:5]
	s_cbranch_execz .LBB1360_115
; %bb.114:
	v_bcnt_u32_b32 v1, v4, 0
	v_bcnt_u32_b32 v1, v5, v1
	s_waitcnt lgkmcnt(0)
	v_add_u32_e32 v1, v37, v1
	ds_write_b32 v38, v1 offset:64
.LBB1360_115:
	s_or_b64 exec, exec, s[2:3]
	s_waitcnt vmcnt(4)
	v_lshrrev_b32_sdwa v1, s20, v10 dst_sel:DWORD dst_unused:UNUSED_PAD src0_sel:DWORD src1_sel:WORD_0
	v_and_b32_e32 v4, s21, v1
	v_mul_u32_u24_e32 v1, 17, v4
	v_add_lshl_u32 v41, v26, v1, 2
	v_and_b32_e32 v1, 1, v4
	v_add_co_u32_e32 v5, vcc, -1, v1
	v_addc_co_u32_e64 v42, s[2:3], 0, -1, vcc
	v_cmp_ne_u32_e32 vcc, 0, v1
	v_xor_b32_e32 v1, vcc_hi, v42
	v_and_b32_e32 v42, exec_hi, v1
	v_lshlrev_b32_e32 v1, 30, v4
	v_xor_b32_e32 v5, vcc_lo, v5
	v_cmp_gt_i64_e32 vcc, 0, v[0:1]
	v_not_b32_e32 v1, v1
	v_ashrrev_i32_e32 v1, 31, v1
	v_and_b32_e32 v5, exec_lo, v5
	v_xor_b32_e32 v43, vcc_hi, v1
	v_xor_b32_e32 v1, vcc_lo, v1
	v_and_b32_e32 v5, v5, v1
	v_lshlrev_b32_e32 v1, 29, v4
	v_cmp_gt_i64_e32 vcc, 0, v[0:1]
	v_not_b32_e32 v1, v1
	v_ashrrev_i32_e32 v1, 31, v1
	v_and_b32_e32 v42, v42, v43
	v_xor_b32_e32 v43, vcc_hi, v1
	v_xor_b32_e32 v1, vcc_lo, v1
	v_and_b32_e32 v5, v5, v1
	v_lshlrev_b32_e32 v1, 28, v4
	v_cmp_gt_i64_e32 vcc, 0, v[0:1]
	v_not_b32_e32 v1, v1
	v_ashrrev_i32_e32 v1, 31, v1
	v_and_b32_e32 v42, v42, v43
	;; [unrolled: 8-line block ×5, first 2 shown]
	v_xor_b32_e32 v43, vcc_hi, v1
	v_xor_b32_e32 v1, vcc_lo, v1
	v_and_b32_e32 v5, v5, v1
	v_lshlrev_b32_e32 v1, 24, v4
	v_cmp_gt_i64_e32 vcc, 0, v[0:1]
	v_not_b32_e32 v0, v1
	v_ashrrev_i32_e32 v0, 31, v0
	v_xor_b32_e32 v1, vcc_hi, v0
	v_xor_b32_e32 v0, vcc_lo, v0
	; wave barrier
	ds_read_b32 v40, v41 offset:64
	v_and_b32_e32 v42, v42, v43
	v_and_b32_e32 v0, v5, v0
	;; [unrolled: 1-line block ×3, first 2 shown]
	v_mbcnt_lo_u32_b32 v4, v0, 0
	v_mbcnt_hi_u32_b32 v42, v1, v4
	v_cmp_eq_u32_e32 vcc, 0, v42
	v_cmp_ne_u64_e64 s[2:3], 0, v[0:1]
	s_and_b64 s[4:5], s[2:3], vcc
	; wave barrier
	s_and_saveexec_b64 s[2:3], s[4:5]
	s_cbranch_execz .LBB1360_117
; %bb.116:
	v_bcnt_u32_b32 v0, v0, 0
	v_bcnt_u32_b32 v0, v1, v0
	s_waitcnt lgkmcnt(0)
	v_add_u32_e32 v0, v40, v0
	ds_write_b32 v41, v0 offset:64
.LBB1360_117:
	s_or_b64 exec, exec, s[2:3]
	s_waitcnt vmcnt(3)
	v_lshrrev_b32_sdwa v0, s20, v9 dst_sel:DWORD dst_unused:UNUSED_PAD src0_sel:DWORD src1_sel:WORD_0
	v_and_b32_e32 v4, s21, v0
	v_and_b32_e32 v1, 1, v4
	v_add_co_u32_e32 v5, vcc, -1, v1
	v_addc_co_u32_e64 v45, s[2:3], 0, -1, vcc
	v_cmp_ne_u32_e32 vcc, 0, v1
	v_mul_u32_u24_e32 v0, 17, v4
	v_xor_b32_e32 v1, vcc_hi, v45
	v_add_lshl_u32 v44, v26, v0, 2
	v_mov_b32_e32 v0, 0
	v_and_b32_e32 v45, exec_hi, v1
	v_lshlrev_b32_e32 v1, 30, v4
	v_xor_b32_e32 v5, vcc_lo, v5
	v_cmp_gt_i64_e32 vcc, 0, v[0:1]
	v_not_b32_e32 v1, v1
	v_ashrrev_i32_e32 v1, 31, v1
	v_and_b32_e32 v5, exec_lo, v5
	v_xor_b32_e32 v46, vcc_hi, v1
	v_xor_b32_e32 v1, vcc_lo, v1
	v_and_b32_e32 v5, v5, v1
	v_lshlrev_b32_e32 v1, 29, v4
	v_cmp_gt_i64_e32 vcc, 0, v[0:1]
	v_not_b32_e32 v1, v1
	v_ashrrev_i32_e32 v1, 31, v1
	v_and_b32_e32 v45, v45, v46
	v_xor_b32_e32 v46, vcc_hi, v1
	v_xor_b32_e32 v1, vcc_lo, v1
	v_and_b32_e32 v5, v5, v1
	v_lshlrev_b32_e32 v1, 28, v4
	v_cmp_gt_i64_e32 vcc, 0, v[0:1]
	v_not_b32_e32 v1, v1
	v_ashrrev_i32_e32 v1, 31, v1
	v_and_b32_e32 v45, v45, v46
	;; [unrolled: 8-line block ×5, first 2 shown]
	v_xor_b32_e32 v46, vcc_hi, v1
	v_xor_b32_e32 v1, vcc_lo, v1
	v_and_b32_e32 v45, v45, v46
	v_and_b32_e32 v46, v5, v1
	v_lshlrev_b32_e32 v1, 24, v4
	v_cmp_gt_i64_e32 vcc, 0, v[0:1]
	v_not_b32_e32 v1, v1
	v_ashrrev_i32_e32 v1, 31, v1
	v_xor_b32_e32 v4, vcc_hi, v1
	v_xor_b32_e32 v1, vcc_lo, v1
	; wave barrier
	ds_read_b32 v43, v44 offset:64
	v_and_b32_e32 v5, v45, v4
	v_and_b32_e32 v4, v46, v1
	v_mbcnt_lo_u32_b32 v1, v4, 0
	v_mbcnt_hi_u32_b32 v45, v5, v1
	v_cmp_eq_u32_e32 vcc, 0, v45
	v_cmp_ne_u64_e64 s[2:3], 0, v[4:5]
	s_and_b64 s[4:5], s[2:3], vcc
	; wave barrier
	s_and_saveexec_b64 s[2:3], s[4:5]
	s_cbranch_execz .LBB1360_119
; %bb.118:
	v_bcnt_u32_b32 v1, v4, 0
	v_bcnt_u32_b32 v1, v5, v1
	s_waitcnt lgkmcnt(0)
	v_add_u32_e32 v1, v43, v1
	ds_write_b32 v44, v1 offset:64
.LBB1360_119:
	s_or_b64 exec, exec, s[2:3]
	s_waitcnt vmcnt(2)
	v_lshrrev_b32_sdwa v1, s20, v8 dst_sel:DWORD dst_unused:UNUSED_PAD src0_sel:DWORD src1_sel:WORD_0
	v_and_b32_e32 v4, s21, v1
	v_mul_u32_u24_e32 v1, 17, v4
	v_add_lshl_u32 v47, v26, v1, 2
	v_and_b32_e32 v1, 1, v4
	v_add_co_u32_e32 v5, vcc, -1, v1
	v_addc_co_u32_e64 v48, s[2:3], 0, -1, vcc
	v_cmp_ne_u32_e32 vcc, 0, v1
	v_xor_b32_e32 v1, vcc_hi, v48
	v_and_b32_e32 v48, exec_hi, v1
	v_lshlrev_b32_e32 v1, 30, v4
	v_xor_b32_e32 v5, vcc_lo, v5
	v_cmp_gt_i64_e32 vcc, 0, v[0:1]
	v_not_b32_e32 v1, v1
	v_ashrrev_i32_e32 v1, 31, v1
	v_and_b32_e32 v5, exec_lo, v5
	v_xor_b32_e32 v49, vcc_hi, v1
	v_xor_b32_e32 v1, vcc_lo, v1
	v_and_b32_e32 v5, v5, v1
	v_lshlrev_b32_e32 v1, 29, v4
	v_cmp_gt_i64_e32 vcc, 0, v[0:1]
	v_not_b32_e32 v1, v1
	v_ashrrev_i32_e32 v1, 31, v1
	v_and_b32_e32 v48, v48, v49
	v_xor_b32_e32 v49, vcc_hi, v1
	v_xor_b32_e32 v1, vcc_lo, v1
	v_and_b32_e32 v5, v5, v1
	v_lshlrev_b32_e32 v1, 28, v4
	v_cmp_gt_i64_e32 vcc, 0, v[0:1]
	v_not_b32_e32 v1, v1
	v_ashrrev_i32_e32 v1, 31, v1
	v_and_b32_e32 v48, v48, v49
	;; [unrolled: 8-line block ×5, first 2 shown]
	v_xor_b32_e32 v49, vcc_hi, v1
	v_xor_b32_e32 v1, vcc_lo, v1
	v_and_b32_e32 v5, v5, v1
	v_lshlrev_b32_e32 v1, 24, v4
	v_cmp_gt_i64_e32 vcc, 0, v[0:1]
	v_not_b32_e32 v0, v1
	v_ashrrev_i32_e32 v0, 31, v0
	v_xor_b32_e32 v1, vcc_hi, v0
	v_xor_b32_e32 v0, vcc_lo, v0
	; wave barrier
	ds_read_b32 v46, v47 offset:64
	v_and_b32_e32 v48, v48, v49
	v_and_b32_e32 v0, v5, v0
	;; [unrolled: 1-line block ×3, first 2 shown]
	v_mbcnt_lo_u32_b32 v4, v0, 0
	v_mbcnt_hi_u32_b32 v48, v1, v4
	v_cmp_eq_u32_e32 vcc, 0, v48
	v_cmp_ne_u64_e64 s[2:3], 0, v[0:1]
	s_and_b64 s[4:5], s[2:3], vcc
	; wave barrier
	s_and_saveexec_b64 s[2:3], s[4:5]
	s_cbranch_execz .LBB1360_121
; %bb.120:
	v_bcnt_u32_b32 v0, v0, 0
	v_bcnt_u32_b32 v0, v1, v0
	s_waitcnt lgkmcnt(0)
	v_add_u32_e32 v0, v46, v0
	ds_write_b32 v47, v0 offset:64
.LBB1360_121:
	s_or_b64 exec, exec, s[2:3]
	s_waitcnt vmcnt(1)
	v_lshrrev_b32_sdwa v0, s20, v7 dst_sel:DWORD dst_unused:UNUSED_PAD src0_sel:DWORD src1_sel:WORD_0
	v_and_b32_e32 v4, s21, v0
	v_and_b32_e32 v1, 1, v4
	v_add_co_u32_e32 v5, vcc, -1, v1
	v_addc_co_u32_e64 v51, s[2:3], 0, -1, vcc
	v_cmp_ne_u32_e32 vcc, 0, v1
	v_mul_u32_u24_e32 v0, 17, v4
	v_xor_b32_e32 v1, vcc_hi, v51
	v_add_lshl_u32 v50, v26, v0, 2
	v_mov_b32_e32 v0, 0
	v_and_b32_e32 v51, exec_hi, v1
	v_lshlrev_b32_e32 v1, 30, v4
	v_xor_b32_e32 v5, vcc_lo, v5
	v_cmp_gt_i64_e32 vcc, 0, v[0:1]
	v_not_b32_e32 v1, v1
	v_ashrrev_i32_e32 v1, 31, v1
	v_and_b32_e32 v5, exec_lo, v5
	v_xor_b32_e32 v52, vcc_hi, v1
	v_xor_b32_e32 v1, vcc_lo, v1
	v_and_b32_e32 v5, v5, v1
	v_lshlrev_b32_e32 v1, 29, v4
	v_cmp_gt_i64_e32 vcc, 0, v[0:1]
	v_not_b32_e32 v1, v1
	v_ashrrev_i32_e32 v1, 31, v1
	v_and_b32_e32 v51, v51, v52
	v_xor_b32_e32 v52, vcc_hi, v1
	v_xor_b32_e32 v1, vcc_lo, v1
	v_and_b32_e32 v5, v5, v1
	v_lshlrev_b32_e32 v1, 28, v4
	v_cmp_gt_i64_e32 vcc, 0, v[0:1]
	v_not_b32_e32 v1, v1
	v_ashrrev_i32_e32 v1, 31, v1
	v_and_b32_e32 v51, v51, v52
	;; [unrolled: 8-line block ×5, first 2 shown]
	v_xor_b32_e32 v52, vcc_hi, v1
	v_xor_b32_e32 v1, vcc_lo, v1
	v_and_b32_e32 v51, v51, v52
	v_and_b32_e32 v52, v5, v1
	v_lshlrev_b32_e32 v1, 24, v4
	v_cmp_gt_i64_e32 vcc, 0, v[0:1]
	v_not_b32_e32 v1, v1
	v_ashrrev_i32_e32 v1, 31, v1
	v_xor_b32_e32 v4, vcc_hi, v1
	v_xor_b32_e32 v1, vcc_lo, v1
	; wave barrier
	ds_read_b32 v49, v50 offset:64
	v_and_b32_e32 v5, v51, v4
	v_and_b32_e32 v4, v52, v1
	v_mbcnt_lo_u32_b32 v1, v4, 0
	v_mbcnt_hi_u32_b32 v51, v5, v1
	v_cmp_eq_u32_e32 vcc, 0, v51
	v_cmp_ne_u64_e64 s[2:3], 0, v[4:5]
	s_and_b64 s[4:5], s[2:3], vcc
	; wave barrier
	s_and_saveexec_b64 s[2:3], s[4:5]
	s_cbranch_execz .LBB1360_123
; %bb.122:
	v_bcnt_u32_b32 v1, v4, 0
	v_bcnt_u32_b32 v1, v5, v1
	s_waitcnt lgkmcnt(0)
	v_add_u32_e32 v1, v49, v1
	ds_write_b32 v50, v1 offset:64
.LBB1360_123:
	s_or_b64 exec, exec, s[2:3]
	s_waitcnt vmcnt(0)
	v_lshrrev_b32_sdwa v1, s20, v6 dst_sel:DWORD dst_unused:UNUSED_PAD src0_sel:DWORD src1_sel:WORD_0
	v_and_b32_e32 v4, s21, v1
	v_mul_u32_u24_e32 v1, 17, v4
	v_add_lshl_u32 v53, v26, v1, 2
	v_and_b32_e32 v1, 1, v4
	v_add_co_u32_e32 v5, vcc, -1, v1
	v_addc_co_u32_e64 v26, s[2:3], 0, -1, vcc
	v_cmp_ne_u32_e32 vcc, 0, v1
	v_xor_b32_e32 v1, vcc_hi, v26
	v_and_b32_e32 v26, exec_hi, v1
	v_lshlrev_b32_e32 v1, 30, v4
	v_xor_b32_e32 v5, vcc_lo, v5
	v_cmp_gt_i64_e32 vcc, 0, v[0:1]
	v_not_b32_e32 v1, v1
	v_ashrrev_i32_e32 v1, 31, v1
	v_and_b32_e32 v5, exec_lo, v5
	v_xor_b32_e32 v55, vcc_hi, v1
	v_xor_b32_e32 v1, vcc_lo, v1
	v_and_b32_e32 v5, v5, v1
	v_lshlrev_b32_e32 v1, 29, v4
	v_cmp_gt_i64_e32 vcc, 0, v[0:1]
	v_not_b32_e32 v1, v1
	v_ashrrev_i32_e32 v1, 31, v1
	v_and_b32_e32 v26, v26, v55
	v_xor_b32_e32 v55, vcc_hi, v1
	v_xor_b32_e32 v1, vcc_lo, v1
	v_and_b32_e32 v5, v5, v1
	v_lshlrev_b32_e32 v1, 28, v4
	v_cmp_gt_i64_e32 vcc, 0, v[0:1]
	v_not_b32_e32 v1, v1
	v_ashrrev_i32_e32 v1, 31, v1
	v_and_b32_e32 v26, v26, v55
	;; [unrolled: 8-line block ×5, first 2 shown]
	v_xor_b32_e32 v55, vcc_hi, v1
	v_xor_b32_e32 v1, vcc_lo, v1
	v_and_b32_e32 v5, v5, v1
	v_lshlrev_b32_e32 v1, 24, v4
	v_cmp_gt_i64_e32 vcc, 0, v[0:1]
	v_not_b32_e32 v0, v1
	v_ashrrev_i32_e32 v0, 31, v0
	v_xor_b32_e32 v1, vcc_hi, v0
	v_xor_b32_e32 v0, vcc_lo, v0
	; wave barrier
	ds_read_b32 v52, v53 offset:64
	v_and_b32_e32 v26, v26, v55
	v_and_b32_e32 v0, v5, v0
	;; [unrolled: 1-line block ×3, first 2 shown]
	v_mbcnt_lo_u32_b32 v4, v0, 0
	v_mbcnt_hi_u32_b32 v55, v1, v4
	v_cmp_eq_u32_e32 vcc, 0, v55
	v_cmp_ne_u64_e64 s[2:3], 0, v[0:1]
	v_add_u32_e32 v54, 64, v18
	s_and_b64 s[4:5], s[2:3], vcc
	; wave barrier
	s_and_saveexec_b64 s[2:3], s[4:5]
	s_cbranch_execz .LBB1360_125
; %bb.124:
	v_bcnt_u32_b32 v0, v0, 0
	v_bcnt_u32_b32 v0, v1, v0
	s_waitcnt lgkmcnt(0)
	v_add_u32_e32 v0, v52, v0
	ds_write_b32 v53, v0 offset:64
.LBB1360_125:
	s_or_b64 exec, exec, s[2:3]
	; wave barrier
	s_waitcnt lgkmcnt(0)
	s_barrier
	ds_read2_b32 v[4:5], v18 offset0:16 offset1:17
	ds_read2_b32 v[0:1], v54 offset0:2 offset1:3
	ds_read_b32 v26, v54 offset:16
	v_cmp_lt_u32_e64 s[8:9], 31, v17
	s_waitcnt lgkmcnt(1)
	v_add3_u32 v56, v5, v4, v0
	s_waitcnt lgkmcnt(0)
	v_add3_u32 v26, v56, v1, v26
	v_and_b32_e32 v56, 15, v17
	v_cmp_eq_u32_e32 vcc, 0, v56
	v_mov_b32_dpp v57, v26 row_shr:1 row_mask:0xf bank_mask:0xf
	v_cndmask_b32_e64 v57, v57, 0, vcc
	v_add_u32_e32 v26, v57, v26
	v_cmp_lt_u32_e64 s[2:3], 1, v56
	v_cmp_lt_u32_e64 s[4:5], 3, v56
	v_mov_b32_dpp v57, v26 row_shr:2 row_mask:0xf bank_mask:0xf
	v_cndmask_b32_e64 v57, 0, v57, s[2:3]
	v_add_u32_e32 v26, v26, v57
	v_cmp_lt_u32_e64 s[6:7], 7, v56
	s_nop 0
	v_mov_b32_dpp v57, v26 row_shr:4 row_mask:0xf bank_mask:0xf
	v_cndmask_b32_e64 v57, 0, v57, s[4:5]
	v_add_u32_e32 v26, v26, v57
	s_nop 1
	v_mov_b32_dpp v57, v26 row_shr:8 row_mask:0xf bank_mask:0xf
	v_cndmask_b32_e64 v56, 0, v57, s[6:7]
	v_add_u32_e32 v26, v26, v56
	v_bfe_i32 v57, v17, 4, 1
	s_nop 0
	v_mov_b32_dpp v56, v26 row_bcast:15 row_mask:0xf bank_mask:0xf
	v_and_b32_e32 v56, v57, v56
	v_add_u32_e32 v26, v26, v56
	v_lshrrev_b32_e32 v57, 6, v2
	s_nop 0
	v_mov_b32_dpp v56, v26 row_bcast:31 row_mask:0xf bank_mask:0xf
	v_cndmask_b32_e64 v56, 0, v56, s[8:9]
	v_add_u32_e32 v56, v26, v56
	v_and_b32_e32 v26, 63, v2
	v_cmp_eq_u32_e64 s[8:9], 63, v26
	s_and_saveexec_b64 s[12:13], s[8:9]
	s_cbranch_execz .LBB1360_127
; %bb.126:
	v_lshlrev_b32_e32 v26, 2, v57
	ds_write_b32 v26, v56
.LBB1360_127:
	s_or_b64 exec, exec, s[12:13]
	v_cmp_gt_u32_e64 s[8:9], 16, v2
	v_lshlrev_b32_e32 v26, 2, v2
	s_waitcnt lgkmcnt(0)
	s_barrier
	s_and_saveexec_b64 s[12:13], s[8:9]
	s_cbranch_execz .LBB1360_129
; %bb.128:
	ds_read_b32 v58, v26
	s_waitcnt lgkmcnt(0)
	s_nop 0
	v_mov_b32_dpp v59, v58 row_shr:1 row_mask:0xf bank_mask:0xf
	v_cndmask_b32_e64 v59, v59, 0, vcc
	v_add_u32_e32 v58, v59, v58
	s_nop 1
	v_mov_b32_dpp v59, v58 row_shr:2 row_mask:0xf bank_mask:0xf
	v_cndmask_b32_e64 v59, 0, v59, s[2:3]
	v_add_u32_e32 v58, v58, v59
	s_nop 1
	v_mov_b32_dpp v59, v58 row_shr:4 row_mask:0xf bank_mask:0xf
	v_cndmask_b32_e64 v59, 0, v59, s[4:5]
	;; [unrolled: 4-line block ×3, first 2 shown]
	v_add_u32_e32 v58, v58, v59
	ds_write_b32 v26, v58
.LBB1360_129:
	s_or_b64 exec, exec, s[12:13]
	v_cmp_lt_u32_e32 vcc, 63, v2
	v_mov_b32_e32 v58, 0
	s_waitcnt lgkmcnt(0)
	s_barrier
	s_and_saveexec_b64 s[2:3], vcc
	s_cbranch_execz .LBB1360_131
; %bb.130:
	v_lshl_add_u32 v57, v57, 2, -4
	ds_read_b32 v58, v57
.LBB1360_131:
	s_or_b64 exec, exec, s[2:3]
	v_add_u32_e32 v57, -1, v17
	v_and_b32_e32 v59, 64, v17
	v_cmp_lt_i32_e32 vcc, v57, v59
	v_cndmask_b32_e32 v57, v57, v17, vcc
	s_waitcnt lgkmcnt(0)
	v_add_u32_e32 v56, v58, v56
	v_lshlrev_b32_e32 v57, 2, v57
	ds_bpermute_b32 v56, v57, v56
	v_cmp_eq_u32_e32 vcc, 0, v17
	s_movk_i32 s2, 0xff
	s_movk_i32 s3, 0x100
	s_waitcnt lgkmcnt(0)
	v_cndmask_b32_e32 v17, v56, v58, vcc
	v_cndmask_b32_e64 v17, v17, 0, s[0:1]
	v_add_u32_e32 v4, v17, v4
	v_add_u32_e32 v5, v4, v5
	v_add_u32_e32 v0, v5, v0
	v_add_u32_e32 v1, v0, v1
	ds_write2_b32 v18, v17, v4 offset0:16 offset1:17
	ds_write2_b32 v54, v5, v0 offset0:2 offset1:3
	ds_write_b32 v54, v1 offset:16
	s_waitcnt lgkmcnt(0)
	s_barrier
	ds_read_b32 v58, v19 offset:64
	ds_read_b32 v57, v22 offset:64
	;; [unrolled: 1-line block ×12, first 2 shown]
	v_cmp_lt_u32_e64 s[0:1], s2, v2
	v_cmp_gt_u32_e32 vcc, s3, v2
                                        ; implicit-def: $vgpr17
                                        ; implicit-def: $vgpr18
	s_and_saveexec_b64 s[4:5], vcc
	s_cbranch_execz .LBB1360_135
; %bb.132:
	v_mul_u32_u24_e32 v17, 17, v2
	v_lshlrev_b32_e32 v32, 2, v17
	ds_read_b32 v17, v32 offset:64
	v_cmp_ne_u32_e64 s[2:3], s2, v2
	v_mov_b32_e32 v18, 0x3000
	s_and_saveexec_b64 s[6:7], s[2:3]
	s_cbranch_execz .LBB1360_134
; %bb.133:
	ds_read_b32 v18, v32 offset:132
.LBB1360_134:
	s_or_b64 exec, exec, s[6:7]
	s_waitcnt lgkmcnt(0)
	v_sub_u32_e32 v18, v18, v17
.LBB1360_135:
	s_or_b64 exec, exec, s[4:5]
	v_add_u32_e32 v21, v23, v21
	s_waitcnt lgkmcnt(11)
	v_add_lshl_u32 v20, v58, v20, 1
	v_add_u32_e32 v24, v27, v24
	s_waitcnt lgkmcnt(0)
	s_barrier
	ds_write_b16 v20, v3 offset:1024
	v_add_lshl_u32 v3, v21, v57, 1
	v_add_u32_e32 v28, v30, v28
	ds_write_b16 v3, v16 offset:1024
	v_add_lshl_u32 v3, v24, v56, 1
	v_add_u32_e32 v31, v33, v31
	;; [unrolled: 3-line block ×7, first 2 shown]
	v_add_u32_e32 v35, v51, v49
	v_add_u32_e32 v38, v48, v46
	ds_write_b16 v3, v10 offset:1024
	v_add_lshl_u32 v3, v41, v5, 1
	ds_write_b16 v3, v9 offset:1024
	v_add_lshl_u32 v3, v38, v4, 1
	v_add_lshl_u32 v1, v35, v1, 1
	v_add_lshl_u32 v0, v32, v0, 1
	ds_write_b16 v3, v8 offset:1024
	ds_write_b16 v1, v7 offset:1024
	ds_write_b16 v0, v6 offset:1024
	s_and_saveexec_b64 s[2:3], s[0:1]
	s_xor_b64 s[0:1], exec, s[2:3]
; %bb.136:
	v_mov_b32_e32 v3, 0
                                        ; implicit-def: $vgpr26
; %bb.137:
	s_andn2_saveexec_b64 s[2:3], s[0:1]
	s_cbranch_execz .LBB1360_147
; %bb.138:
	v_lshl_or_b32 v0, s30, 8, v2
	v_mov_b32_e32 v1, 0
	v_lshlrev_b64 v[4:5], 2, v[0:1]
	v_mov_b32_e32 v3, s15
	v_add_co_u32_e64 v4, s[0:1], s14, v4
	v_addc_co_u32_e64 v5, s[0:1], v3, v5, s[0:1]
	v_or_b32_e32 v0, 2.0, v18
	s_mov_b64 s[4:5], 0
	s_brev_b32 s12, 1
	s_mov_b32 s13, s30
	v_mov_b32_e32 v8, 0
	global_store_dword v[4:5], v0, off
                                        ; implicit-def: $sgpr0_sgpr1
	s_branch .LBB1360_141
.LBB1360_139:                           ;   in Loop: Header=BB1360_141 Depth=1
	s_or_b64 exec, exec, s[8:9]
.LBB1360_140:                           ;   in Loop: Header=BB1360_141 Depth=1
	s_or_b64 exec, exec, s[6:7]
	v_and_b32_e32 v6, 0x3fffffff, v9
	v_add_u32_e32 v8, v6, v8
	v_cmp_eq_u32_e64 s[0:1], s12, v0
	s_and_b64 s[6:7], exec, s[0:1]
	s_or_b64 s[4:5], s[6:7], s[4:5]
	s_andn2_b64 exec, exec, s[4:5]
	s_cbranch_execz .LBB1360_146
.LBB1360_141:                           ; =>This Loop Header: Depth=1
                                        ;     Child Loop BB1360_144 Depth 2
	s_or_b64 s[0:1], s[0:1], exec
	s_cmp_eq_u32 s13, 0
	s_cbranch_scc1 .LBB1360_145
; %bb.142:                              ;   in Loop: Header=BB1360_141 Depth=1
	s_add_i32 s13, s13, -1
	v_lshl_or_b32 v0, s13, 8, v2
	v_lshlrev_b64 v[6:7], 2, v[0:1]
	v_add_co_u32_e64 v6, s[0:1], s14, v6
	v_addc_co_u32_e64 v7, s[0:1], v3, v7, s[0:1]
	global_load_dword v9, v[6:7], off glc
	s_waitcnt vmcnt(0)
	v_and_b32_e32 v0, -2.0, v9
	v_cmp_eq_u32_e64 s[0:1], 0, v0
	s_and_saveexec_b64 s[6:7], s[0:1]
	s_cbranch_execz .LBB1360_140
; %bb.143:                              ;   in Loop: Header=BB1360_141 Depth=1
	s_mov_b64 s[8:9], 0
.LBB1360_144:                           ;   Parent Loop BB1360_141 Depth=1
                                        ; =>  This Inner Loop Header: Depth=2
	global_load_dword v9, v[6:7], off glc
	s_waitcnt vmcnt(0)
	v_and_b32_e32 v0, -2.0, v9
	v_cmp_ne_u32_e64 s[0:1], 0, v0
	s_or_b64 s[8:9], s[0:1], s[8:9]
	s_andn2_b64 exec, exec, s[8:9]
	s_cbranch_execnz .LBB1360_144
	s_branch .LBB1360_139
.LBB1360_145:                           ;   in Loop: Header=BB1360_141 Depth=1
                                        ; implicit-def: $sgpr13
	s_and_b64 s[6:7], exec, s[0:1]
	s_or_b64 s[4:5], s[6:7], s[4:5]
	s_andn2_b64 exec, exec, s[4:5]
	s_cbranch_execnz .LBB1360_141
.LBB1360_146:
	s_or_b64 exec, exec, s[4:5]
	v_add_u32_e32 v0, v8, v18
	v_or_b32_e32 v0, 0x80000000, v0
	global_store_dword v[4:5], v0, off
	global_load_dword v0, v26, s[16:17]
	v_sub_u32_e32 v1, v8, v17
	v_mov_b32_e32 v3, 0
	s_waitcnt vmcnt(0)
	v_add_u32_e32 v0, v1, v0
	ds_write_b32 v26, v0
.LBB1360_147:
	s_or_b64 exec, exec, s[2:3]
	v_lshlrev_b32_e32 v0, 1, v2
	s_waitcnt lgkmcnt(0)
	s_barrier
	v_lshlrev_b32_e32 v1, 1, v2
	ds_read_u16 v6, v0 offset:1024
	ds_read_u16 v7, v1 offset:3072
	;; [unrolled: 1-line block ×7, first 2 shown]
	s_waitcnt lgkmcnt(6)
	v_lshrrev_b32_sdwa v0, s20, v6 dst_sel:DWORD dst_unused:UNUSED_PAD src0_sel:DWORD src1_sel:WORD_0
	s_waitcnt lgkmcnt(4)
	v_lshrrev_b32_sdwa v5, s20, v8 dst_sel:DWORD dst_unused:UNUSED_PAD src0_sel:DWORD src1_sel:WORD_0
	v_and_b32_e32 v0, s21, v0
	v_lshrrev_b32_sdwa v4, s20, v7 dst_sel:DWORD dst_unused:UNUSED_PAD src0_sel:DWORD src1_sel:WORD_0
	v_and_b32_e32 v5, s21, v5
	v_lshlrev_b32_e32 v0, 2, v0
	v_and_b32_e32 v4, s21, v4
	v_lshlrev_b32_e32 v5, 2, v5
	v_lshlrev_b32_e32 v4, 2, v4
	ds_read_b32 v13, v5
	ds_read_b32 v0, v0
	ds_read_u16 v14, v1 offset:5120
	ds_read_u16 v15, v1 offset:9216
	;; [unrolled: 1-line block ×4, first 2 shown]
	ds_read_b32 v20, v4
	ds_read_u16 v21, v1 offset:21504
	s_waitcnt lgkmcnt(6)
	v_add_u32_e32 v0, v0, v2
	v_mov_b32_e32 v1, 0
	v_lshlrev_b64 v[4:5], 1, v[0:1]
	v_mov_b32_e32 v0, s27
	v_add_co_u32_e64 v4, s[0:1], s26, v4
	v_addc_co_u32_e64 v5, s[0:1], v0, v5, s[0:1]
	s_movk_i32 s0, 0x400
	s_waitcnt lgkmcnt(1)
	v_add3_u32 v0, v20, v2, s0
	global_store_short v[4:5], v6, off
	v_lshlrev_b64 v[4:5], 1, v[0:1]
	v_mov_b32_e32 v0, s27
	v_add_co_u32_e64 v4, s[0:1], s26, v4
	v_addc_co_u32_e64 v5, s[0:1], v0, v5, s[0:1]
	global_store_short v[4:5], v7, off
	v_lshrrev_b32_sdwa v0, s20, v14 dst_sel:DWORD dst_unused:UNUSED_PAD src0_sel:DWORD src1_sel:WORD_0
	v_lshrrev_b32_sdwa v6, s20, v16 dst_sel:DWORD dst_unused:UNUSED_PAD src0_sel:DWORD src1_sel:WORD_0
	;; [unrolled: 1-line block ×5, first 2 shown]
	s_waitcnt lgkmcnt(0)
	v_lshrrev_b32_sdwa v23, s20, v21 dst_sel:DWORD dst_unused:UNUSED_PAD src0_sel:DWORD src1_sel:WORD_0
	v_and_b32_e32 v0, s21, v0
	v_lshrrev_b32_sdwa v4, s20, v15 dst_sel:DWORD dst_unused:UNUSED_PAD src0_sel:DWORD src1_sel:WORD_0
	v_lshrrev_b32_sdwa v5, s20, v9 dst_sel:DWORD dst_unused:UNUSED_PAD src0_sel:DWORD src1_sel:WORD_0
	v_and_b32_e32 v6, s21, v6
	v_and_b32_e32 v7, s21, v7
	;; [unrolled: 1-line block ×5, first 2 shown]
	v_lshlrev_b32_e32 v0, 2, v0
	v_and_b32_e32 v4, s21, v4
	v_and_b32_e32 v5, s21, v5
	v_lshlrev_b32_e32 v6, 2, v6
	v_lshlrev_b32_e32 v7, 2, v7
	;; [unrolled: 1-line block ×5, first 2 shown]
	s_movk_i32 s0, 0x800
	v_lshlrev_b32_e32 v4, 2, v4
	v_lshlrev_b32_e32 v5, 2, v5
	ds_read_b32 v0, v0
	ds_read_b32 v24, v4
	;; [unrolled: 1-line block ×8, first 2 shown]
	s_waitcnt lgkmcnt(7)
	v_add3_u32 v0, v0, v2, s0
	v_lshlrev_b64 v[4:5], 1, v[0:1]
	v_mov_b32_e32 v0, s27
	v_add_co_u32_e64 v4, s[0:1], s26, v4
	v_addc_co_u32_e64 v5, s[0:1], v0, v5, s[0:1]
	s_movk_i32 s0, 0xc00
	v_add3_u32 v0, v13, v2, s0
	global_store_short v[4:5], v14, off
	v_lshlrev_b64 v[4:5], 1, v[0:1]
	v_mov_b32_e32 v0, s27
	v_add_co_u32_e64 v4, s[0:1], s26, v4
	v_addc_co_u32_e64 v5, s[0:1], v0, v5, s[0:1]
	s_movk_i32 s0, 0x1000
	s_waitcnt lgkmcnt(6)
	v_add3_u32 v0, v24, v2, s0
	global_store_short v[4:5], v8, off
	v_lshlrev_b64 v[4:5], 1, v[0:1]
	v_mov_b32_e32 v0, s27
	v_add_co_u32_e64 v4, s[0:1], s26, v4
	v_addc_co_u32_e64 v5, s[0:1], v0, v5, s[0:1]
	s_movk_i32 s0, 0x1400
	s_waitcnt lgkmcnt(5)
	v_add3_u32 v0, v25, v2, s0
	global_store_short v[4:5], v15, off
	v_lshlrev_b64 v[4:5], 1, v[0:1]
	v_mov_b32_e32 v0, s27
	v_add_co_u32_e64 v4, s[0:1], s26, v4
	v_addc_co_u32_e64 v5, s[0:1], v0, v5, s[0:1]
	s_movk_i32 s0, 0x1800
	s_waitcnt lgkmcnt(4)
	v_add3_u32 v0, v6, v2, s0
	global_store_short v[4:5], v9, off
	v_lshlrev_b64 v[4:5], 1, v[0:1]
	v_mov_b32_e32 v0, s27
	v_add_co_u32_e64 v4, s[0:1], s26, v4
	v_addc_co_u32_e64 v5, s[0:1], v0, v5, s[0:1]
	s_movk_i32 s0, 0x1c00
	s_waitcnt lgkmcnt(3)
	v_add3_u32 v0, v7, v2, s0
	global_store_short v[4:5], v16, off
	v_lshlrev_b64 v[4:5], 1, v[0:1]
	v_mov_b32_e32 v0, s27
	v_add_co_u32_e64 v4, s[0:1], s26, v4
	v_addc_co_u32_e64 v5, s[0:1], v0, v5, s[0:1]
	s_movk_i32 s0, 0x2000
	s_waitcnt lgkmcnt(2)
	v_add3_u32 v0, v20, v2, s0
	global_store_short v[4:5], v10, off
	v_lshlrev_b64 v[4:5], 1, v[0:1]
	v_mov_b32_e32 v0, s27
	v_add_co_u32_e64 v4, s[0:1], s26, v4
	v_addc_co_u32_e64 v5, s[0:1], v0, v5, s[0:1]
	s_movk_i32 s0, 0x2400
	s_waitcnt lgkmcnt(1)
	v_add3_u32 v0, v22, v2, s0
	global_store_short v[4:5], v19, off
	v_lshlrev_b64 v[4:5], 1, v[0:1]
	v_mov_b32_e32 v0, s27
	v_add_co_u32_e64 v4, s[0:1], s26, v4
	v_lshrrev_b32_sdwa v6, s20, v12 dst_sel:DWORD dst_unused:UNUSED_PAD src0_sel:DWORD src1_sel:WORD_0
	v_addc_co_u32_e64 v5, s[0:1], v0, v5, s[0:1]
	v_and_b32_e32 v6, s21, v6
	s_movk_i32 s0, 0x2800
	v_lshlrev_b32_e32 v6, 2, v6
	s_waitcnt lgkmcnt(0)
	v_add3_u32 v0, v23, v2, s0
	ds_read_b32 v6, v6
	global_store_short v[4:5], v11, off
	v_lshlrev_b64 v[4:5], 1, v[0:1]
	v_mov_b32_e32 v0, s27
	v_add_co_u32_e64 v4, s[0:1], s26, v4
	v_addc_co_u32_e64 v5, s[0:1], v0, v5, s[0:1]
	s_movk_i32 s0, 0x2c00
	s_waitcnt lgkmcnt(0)
	v_add3_u32 v0, v6, v2, s0
	v_lshlrev_b64 v[0:1], 1, v[0:1]
	global_store_short v[4:5], v21, off
	v_mov_b32_e32 v4, s27
	v_add_co_u32_e64 v0, s[0:1], s26, v0
	s_add_i32 s22, s22, -1
	v_addc_co_u32_e64 v1, s[0:1], v4, v1, s[0:1]
	s_cmp_eq_u32 s22, s30
	s_cselect_b64 s[0:1], -1, 0
	s_and_b64 s[2:3], vcc, s[0:1]
	global_store_short v[0:1], v12, off
                                        ; implicit-def: $vgpr4
	s_and_saveexec_b64 s[0:1], s[2:3]
; %bb.148:
	v_add_u32_e32 v4, v17, v18
	s_or_b64 s[10:11], s[10:11], exec
; %bb.149:
	s_or_b64 exec, exec, s[0:1]
.LBB1360_150:
	s_and_saveexec_b64 s[0:1], s[10:11]
	s_cbranch_execnz .LBB1360_152
; %bb.151:
	s_endpgm
.LBB1360_152:
	v_lshlrev_b32_e32 v5, 2, v2
	v_lshlrev_b64 v[0:1], 2, v[2:3]
	ds_read_b32 v3, v5
	v_mov_b32_e32 v2, s19
	v_add_co_u32_e32 v0, vcc, s18, v0
	v_addc_co_u32_e32 v1, vcc, v2, v1, vcc
	s_waitcnt lgkmcnt(0)
	v_add_u32_e32 v2, v3, v4
	global_store_dword v[0:1], v2, off
	s_endpgm
	.section	.rodata,"a",@progbits
	.p2align	6, 0x0
	.amdhsa_kernel _ZN7rocprim17ROCPRIM_400000_NS6detail17trampoline_kernelINS0_14default_configENS1_35radix_sort_onesweep_config_selectorItNS0_10empty_typeEEEZZNS1_29radix_sort_onesweep_iterationIS3_Lb0EN6thrust23THRUST_200600_302600_NS6detail15normal_iteratorINS9_10device_ptrItEEEESE_PS5_SF_jNS0_19identity_decomposerENS1_16block_id_wrapperIjLb1EEEEE10hipError_tT1_PNSt15iterator_traitsISK_E10value_typeET2_T3_PNSL_ISQ_E10value_typeET4_T5_PSV_SW_PNS1_23onesweep_lookback_stateEbbT6_jjT7_P12ihipStream_tbENKUlT_T0_SK_SP_E_clIPtSE_SF_SF_EEDaS13_S14_SK_SP_EUlS13_E_NS1_11comp_targetILNS1_3genE4ELNS1_11target_archE910ELNS1_3gpuE8ELNS1_3repE0EEENS1_47radix_sort_onesweep_sort_config_static_selectorELNS0_4arch9wavefront6targetE1EEEvSK_
		.amdhsa_group_segment_fixed_size 25608
		.amdhsa_private_segment_fixed_size 0
		.amdhsa_kernarg_size 344
		.amdhsa_user_sgpr_count 6
		.amdhsa_user_sgpr_private_segment_buffer 1
		.amdhsa_user_sgpr_dispatch_ptr 0
		.amdhsa_user_sgpr_queue_ptr 0
		.amdhsa_user_sgpr_kernarg_segment_ptr 1
		.amdhsa_user_sgpr_dispatch_id 0
		.amdhsa_user_sgpr_flat_scratch_init 0
		.amdhsa_user_sgpr_kernarg_preload_length 0
		.amdhsa_user_sgpr_kernarg_preload_offset 0
		.amdhsa_user_sgpr_private_segment_size 0
		.amdhsa_uses_dynamic_stack 0
		.amdhsa_system_sgpr_private_segment_wavefront_offset 0
		.amdhsa_system_sgpr_workgroup_id_x 1
		.amdhsa_system_sgpr_workgroup_id_y 0
		.amdhsa_system_sgpr_workgroup_id_z 0
		.amdhsa_system_sgpr_workgroup_info 0
		.amdhsa_system_vgpr_workitem_id 2
		.amdhsa_next_free_vgpr 62
		.amdhsa_next_free_sgpr 35
		.amdhsa_accum_offset 64
		.amdhsa_reserve_vcc 1
		.amdhsa_reserve_flat_scratch 0
		.amdhsa_float_round_mode_32 0
		.amdhsa_float_round_mode_16_64 0
		.amdhsa_float_denorm_mode_32 3
		.amdhsa_float_denorm_mode_16_64 3
		.amdhsa_dx10_clamp 1
		.amdhsa_ieee_mode 1
		.amdhsa_fp16_overflow 0
		.amdhsa_tg_split 0
		.amdhsa_exception_fp_ieee_invalid_op 0
		.amdhsa_exception_fp_denorm_src 0
		.amdhsa_exception_fp_ieee_div_zero 0
		.amdhsa_exception_fp_ieee_overflow 0
		.amdhsa_exception_fp_ieee_underflow 0
		.amdhsa_exception_fp_ieee_inexact 0
		.amdhsa_exception_int_div_zero 0
	.end_amdhsa_kernel
	.section	.text._ZN7rocprim17ROCPRIM_400000_NS6detail17trampoline_kernelINS0_14default_configENS1_35radix_sort_onesweep_config_selectorItNS0_10empty_typeEEEZZNS1_29radix_sort_onesweep_iterationIS3_Lb0EN6thrust23THRUST_200600_302600_NS6detail15normal_iteratorINS9_10device_ptrItEEEESE_PS5_SF_jNS0_19identity_decomposerENS1_16block_id_wrapperIjLb1EEEEE10hipError_tT1_PNSt15iterator_traitsISK_E10value_typeET2_T3_PNSL_ISQ_E10value_typeET4_T5_PSV_SW_PNS1_23onesweep_lookback_stateEbbT6_jjT7_P12ihipStream_tbENKUlT_T0_SK_SP_E_clIPtSE_SF_SF_EEDaS13_S14_SK_SP_EUlS13_E_NS1_11comp_targetILNS1_3genE4ELNS1_11target_archE910ELNS1_3gpuE8ELNS1_3repE0EEENS1_47radix_sort_onesweep_sort_config_static_selectorELNS0_4arch9wavefront6targetE1EEEvSK_,"axG",@progbits,_ZN7rocprim17ROCPRIM_400000_NS6detail17trampoline_kernelINS0_14default_configENS1_35radix_sort_onesweep_config_selectorItNS0_10empty_typeEEEZZNS1_29radix_sort_onesweep_iterationIS3_Lb0EN6thrust23THRUST_200600_302600_NS6detail15normal_iteratorINS9_10device_ptrItEEEESE_PS5_SF_jNS0_19identity_decomposerENS1_16block_id_wrapperIjLb1EEEEE10hipError_tT1_PNSt15iterator_traitsISK_E10value_typeET2_T3_PNSL_ISQ_E10value_typeET4_T5_PSV_SW_PNS1_23onesweep_lookback_stateEbbT6_jjT7_P12ihipStream_tbENKUlT_T0_SK_SP_E_clIPtSE_SF_SF_EEDaS13_S14_SK_SP_EUlS13_E_NS1_11comp_targetILNS1_3genE4ELNS1_11target_archE910ELNS1_3gpuE8ELNS1_3repE0EEENS1_47radix_sort_onesweep_sort_config_static_selectorELNS0_4arch9wavefront6targetE1EEEvSK_,comdat
.Lfunc_end1360:
	.size	_ZN7rocprim17ROCPRIM_400000_NS6detail17trampoline_kernelINS0_14default_configENS1_35radix_sort_onesweep_config_selectorItNS0_10empty_typeEEEZZNS1_29radix_sort_onesweep_iterationIS3_Lb0EN6thrust23THRUST_200600_302600_NS6detail15normal_iteratorINS9_10device_ptrItEEEESE_PS5_SF_jNS0_19identity_decomposerENS1_16block_id_wrapperIjLb1EEEEE10hipError_tT1_PNSt15iterator_traitsISK_E10value_typeET2_T3_PNSL_ISQ_E10value_typeET4_T5_PSV_SW_PNS1_23onesweep_lookback_stateEbbT6_jjT7_P12ihipStream_tbENKUlT_T0_SK_SP_E_clIPtSE_SF_SF_EEDaS13_S14_SK_SP_EUlS13_E_NS1_11comp_targetILNS1_3genE4ELNS1_11target_archE910ELNS1_3gpuE8ELNS1_3repE0EEENS1_47radix_sort_onesweep_sort_config_static_selectorELNS0_4arch9wavefront6targetE1EEEvSK_, .Lfunc_end1360-_ZN7rocprim17ROCPRIM_400000_NS6detail17trampoline_kernelINS0_14default_configENS1_35radix_sort_onesweep_config_selectorItNS0_10empty_typeEEEZZNS1_29radix_sort_onesweep_iterationIS3_Lb0EN6thrust23THRUST_200600_302600_NS6detail15normal_iteratorINS9_10device_ptrItEEEESE_PS5_SF_jNS0_19identity_decomposerENS1_16block_id_wrapperIjLb1EEEEE10hipError_tT1_PNSt15iterator_traitsISK_E10value_typeET2_T3_PNSL_ISQ_E10value_typeET4_T5_PSV_SW_PNS1_23onesweep_lookback_stateEbbT6_jjT7_P12ihipStream_tbENKUlT_T0_SK_SP_E_clIPtSE_SF_SF_EEDaS13_S14_SK_SP_EUlS13_E_NS1_11comp_targetILNS1_3genE4ELNS1_11target_archE910ELNS1_3gpuE8ELNS1_3repE0EEENS1_47radix_sort_onesweep_sort_config_static_selectorELNS0_4arch9wavefront6targetE1EEEvSK_
                                        ; -- End function
	.section	.AMDGPU.csdata,"",@progbits
; Kernel info:
; codeLenInByte = 15372
; NumSgprs: 39
; NumVgprs: 62
; NumAgprs: 0
; TotalNumVgprs: 62
; ScratchSize: 0
; MemoryBound: 0
; FloatMode: 240
; IeeeMode: 1
; LDSByteSize: 25608 bytes/workgroup (compile time only)
; SGPRBlocks: 4
; VGPRBlocks: 7
; NumSGPRsForWavesPerEU: 39
; NumVGPRsForWavesPerEU: 62
; AccumOffset: 64
; Occupancy: 8
; WaveLimiterHint : 1
; COMPUTE_PGM_RSRC2:SCRATCH_EN: 0
; COMPUTE_PGM_RSRC2:USER_SGPR: 6
; COMPUTE_PGM_RSRC2:TRAP_HANDLER: 0
; COMPUTE_PGM_RSRC2:TGID_X_EN: 1
; COMPUTE_PGM_RSRC2:TGID_Y_EN: 0
; COMPUTE_PGM_RSRC2:TGID_Z_EN: 0
; COMPUTE_PGM_RSRC2:TIDIG_COMP_CNT: 2
; COMPUTE_PGM_RSRC3_GFX90A:ACCUM_OFFSET: 15
; COMPUTE_PGM_RSRC3_GFX90A:TG_SPLIT: 0
	.section	.text._ZN7rocprim17ROCPRIM_400000_NS6detail17trampoline_kernelINS0_14default_configENS1_35radix_sort_onesweep_config_selectorItNS0_10empty_typeEEEZZNS1_29radix_sort_onesweep_iterationIS3_Lb0EN6thrust23THRUST_200600_302600_NS6detail15normal_iteratorINS9_10device_ptrItEEEESE_PS5_SF_jNS0_19identity_decomposerENS1_16block_id_wrapperIjLb1EEEEE10hipError_tT1_PNSt15iterator_traitsISK_E10value_typeET2_T3_PNSL_ISQ_E10value_typeET4_T5_PSV_SW_PNS1_23onesweep_lookback_stateEbbT6_jjT7_P12ihipStream_tbENKUlT_T0_SK_SP_E_clIPtSE_SF_SF_EEDaS13_S14_SK_SP_EUlS13_E_NS1_11comp_targetILNS1_3genE3ELNS1_11target_archE908ELNS1_3gpuE7ELNS1_3repE0EEENS1_47radix_sort_onesweep_sort_config_static_selectorELNS0_4arch9wavefront6targetE1EEEvSK_,"axG",@progbits,_ZN7rocprim17ROCPRIM_400000_NS6detail17trampoline_kernelINS0_14default_configENS1_35radix_sort_onesweep_config_selectorItNS0_10empty_typeEEEZZNS1_29radix_sort_onesweep_iterationIS3_Lb0EN6thrust23THRUST_200600_302600_NS6detail15normal_iteratorINS9_10device_ptrItEEEESE_PS5_SF_jNS0_19identity_decomposerENS1_16block_id_wrapperIjLb1EEEEE10hipError_tT1_PNSt15iterator_traitsISK_E10value_typeET2_T3_PNSL_ISQ_E10value_typeET4_T5_PSV_SW_PNS1_23onesweep_lookback_stateEbbT6_jjT7_P12ihipStream_tbENKUlT_T0_SK_SP_E_clIPtSE_SF_SF_EEDaS13_S14_SK_SP_EUlS13_E_NS1_11comp_targetILNS1_3genE3ELNS1_11target_archE908ELNS1_3gpuE7ELNS1_3repE0EEENS1_47radix_sort_onesweep_sort_config_static_selectorELNS0_4arch9wavefront6targetE1EEEvSK_,comdat
	.protected	_ZN7rocprim17ROCPRIM_400000_NS6detail17trampoline_kernelINS0_14default_configENS1_35radix_sort_onesweep_config_selectorItNS0_10empty_typeEEEZZNS1_29radix_sort_onesweep_iterationIS3_Lb0EN6thrust23THRUST_200600_302600_NS6detail15normal_iteratorINS9_10device_ptrItEEEESE_PS5_SF_jNS0_19identity_decomposerENS1_16block_id_wrapperIjLb1EEEEE10hipError_tT1_PNSt15iterator_traitsISK_E10value_typeET2_T3_PNSL_ISQ_E10value_typeET4_T5_PSV_SW_PNS1_23onesweep_lookback_stateEbbT6_jjT7_P12ihipStream_tbENKUlT_T0_SK_SP_E_clIPtSE_SF_SF_EEDaS13_S14_SK_SP_EUlS13_E_NS1_11comp_targetILNS1_3genE3ELNS1_11target_archE908ELNS1_3gpuE7ELNS1_3repE0EEENS1_47radix_sort_onesweep_sort_config_static_selectorELNS0_4arch9wavefront6targetE1EEEvSK_ ; -- Begin function _ZN7rocprim17ROCPRIM_400000_NS6detail17trampoline_kernelINS0_14default_configENS1_35radix_sort_onesweep_config_selectorItNS0_10empty_typeEEEZZNS1_29radix_sort_onesweep_iterationIS3_Lb0EN6thrust23THRUST_200600_302600_NS6detail15normal_iteratorINS9_10device_ptrItEEEESE_PS5_SF_jNS0_19identity_decomposerENS1_16block_id_wrapperIjLb1EEEEE10hipError_tT1_PNSt15iterator_traitsISK_E10value_typeET2_T3_PNSL_ISQ_E10value_typeET4_T5_PSV_SW_PNS1_23onesweep_lookback_stateEbbT6_jjT7_P12ihipStream_tbENKUlT_T0_SK_SP_E_clIPtSE_SF_SF_EEDaS13_S14_SK_SP_EUlS13_E_NS1_11comp_targetILNS1_3genE3ELNS1_11target_archE908ELNS1_3gpuE7ELNS1_3repE0EEENS1_47radix_sort_onesweep_sort_config_static_selectorELNS0_4arch9wavefront6targetE1EEEvSK_
	.globl	_ZN7rocprim17ROCPRIM_400000_NS6detail17trampoline_kernelINS0_14default_configENS1_35radix_sort_onesweep_config_selectorItNS0_10empty_typeEEEZZNS1_29radix_sort_onesweep_iterationIS3_Lb0EN6thrust23THRUST_200600_302600_NS6detail15normal_iteratorINS9_10device_ptrItEEEESE_PS5_SF_jNS0_19identity_decomposerENS1_16block_id_wrapperIjLb1EEEEE10hipError_tT1_PNSt15iterator_traitsISK_E10value_typeET2_T3_PNSL_ISQ_E10value_typeET4_T5_PSV_SW_PNS1_23onesweep_lookback_stateEbbT6_jjT7_P12ihipStream_tbENKUlT_T0_SK_SP_E_clIPtSE_SF_SF_EEDaS13_S14_SK_SP_EUlS13_E_NS1_11comp_targetILNS1_3genE3ELNS1_11target_archE908ELNS1_3gpuE7ELNS1_3repE0EEENS1_47radix_sort_onesweep_sort_config_static_selectorELNS0_4arch9wavefront6targetE1EEEvSK_
	.p2align	8
	.type	_ZN7rocprim17ROCPRIM_400000_NS6detail17trampoline_kernelINS0_14default_configENS1_35radix_sort_onesweep_config_selectorItNS0_10empty_typeEEEZZNS1_29radix_sort_onesweep_iterationIS3_Lb0EN6thrust23THRUST_200600_302600_NS6detail15normal_iteratorINS9_10device_ptrItEEEESE_PS5_SF_jNS0_19identity_decomposerENS1_16block_id_wrapperIjLb1EEEEE10hipError_tT1_PNSt15iterator_traitsISK_E10value_typeET2_T3_PNSL_ISQ_E10value_typeET4_T5_PSV_SW_PNS1_23onesweep_lookback_stateEbbT6_jjT7_P12ihipStream_tbENKUlT_T0_SK_SP_E_clIPtSE_SF_SF_EEDaS13_S14_SK_SP_EUlS13_E_NS1_11comp_targetILNS1_3genE3ELNS1_11target_archE908ELNS1_3gpuE7ELNS1_3repE0EEENS1_47radix_sort_onesweep_sort_config_static_selectorELNS0_4arch9wavefront6targetE1EEEvSK_,@function
_ZN7rocprim17ROCPRIM_400000_NS6detail17trampoline_kernelINS0_14default_configENS1_35radix_sort_onesweep_config_selectorItNS0_10empty_typeEEEZZNS1_29radix_sort_onesweep_iterationIS3_Lb0EN6thrust23THRUST_200600_302600_NS6detail15normal_iteratorINS9_10device_ptrItEEEESE_PS5_SF_jNS0_19identity_decomposerENS1_16block_id_wrapperIjLb1EEEEE10hipError_tT1_PNSt15iterator_traitsISK_E10value_typeET2_T3_PNSL_ISQ_E10value_typeET4_T5_PSV_SW_PNS1_23onesweep_lookback_stateEbbT6_jjT7_P12ihipStream_tbENKUlT_T0_SK_SP_E_clIPtSE_SF_SF_EEDaS13_S14_SK_SP_EUlS13_E_NS1_11comp_targetILNS1_3genE3ELNS1_11target_archE908ELNS1_3gpuE7ELNS1_3repE0EEENS1_47radix_sort_onesweep_sort_config_static_selectorELNS0_4arch9wavefront6targetE1EEEvSK_: ; @_ZN7rocprim17ROCPRIM_400000_NS6detail17trampoline_kernelINS0_14default_configENS1_35radix_sort_onesweep_config_selectorItNS0_10empty_typeEEEZZNS1_29radix_sort_onesweep_iterationIS3_Lb0EN6thrust23THRUST_200600_302600_NS6detail15normal_iteratorINS9_10device_ptrItEEEESE_PS5_SF_jNS0_19identity_decomposerENS1_16block_id_wrapperIjLb1EEEEE10hipError_tT1_PNSt15iterator_traitsISK_E10value_typeET2_T3_PNSL_ISQ_E10value_typeET4_T5_PSV_SW_PNS1_23onesweep_lookback_stateEbbT6_jjT7_P12ihipStream_tbENKUlT_T0_SK_SP_E_clIPtSE_SF_SF_EEDaS13_S14_SK_SP_EUlS13_E_NS1_11comp_targetILNS1_3genE3ELNS1_11target_archE908ELNS1_3gpuE7ELNS1_3repE0EEENS1_47radix_sort_onesweep_sort_config_static_selectorELNS0_4arch9wavefront6targetE1EEEvSK_
; %bb.0:
	.section	.rodata,"a",@progbits
	.p2align	6, 0x0
	.amdhsa_kernel _ZN7rocprim17ROCPRIM_400000_NS6detail17trampoline_kernelINS0_14default_configENS1_35radix_sort_onesweep_config_selectorItNS0_10empty_typeEEEZZNS1_29radix_sort_onesweep_iterationIS3_Lb0EN6thrust23THRUST_200600_302600_NS6detail15normal_iteratorINS9_10device_ptrItEEEESE_PS5_SF_jNS0_19identity_decomposerENS1_16block_id_wrapperIjLb1EEEEE10hipError_tT1_PNSt15iterator_traitsISK_E10value_typeET2_T3_PNSL_ISQ_E10value_typeET4_T5_PSV_SW_PNS1_23onesweep_lookback_stateEbbT6_jjT7_P12ihipStream_tbENKUlT_T0_SK_SP_E_clIPtSE_SF_SF_EEDaS13_S14_SK_SP_EUlS13_E_NS1_11comp_targetILNS1_3genE3ELNS1_11target_archE908ELNS1_3gpuE7ELNS1_3repE0EEENS1_47radix_sort_onesweep_sort_config_static_selectorELNS0_4arch9wavefront6targetE1EEEvSK_
		.amdhsa_group_segment_fixed_size 0
		.amdhsa_private_segment_fixed_size 0
		.amdhsa_kernarg_size 88
		.amdhsa_user_sgpr_count 6
		.amdhsa_user_sgpr_private_segment_buffer 1
		.amdhsa_user_sgpr_dispatch_ptr 0
		.amdhsa_user_sgpr_queue_ptr 0
		.amdhsa_user_sgpr_kernarg_segment_ptr 1
		.amdhsa_user_sgpr_dispatch_id 0
		.amdhsa_user_sgpr_flat_scratch_init 0
		.amdhsa_user_sgpr_kernarg_preload_length 0
		.amdhsa_user_sgpr_kernarg_preload_offset 0
		.amdhsa_user_sgpr_private_segment_size 0
		.amdhsa_uses_dynamic_stack 0
		.amdhsa_system_sgpr_private_segment_wavefront_offset 0
		.amdhsa_system_sgpr_workgroup_id_x 1
		.amdhsa_system_sgpr_workgroup_id_y 0
		.amdhsa_system_sgpr_workgroup_id_z 0
		.amdhsa_system_sgpr_workgroup_info 0
		.amdhsa_system_vgpr_workitem_id 0
		.amdhsa_next_free_vgpr 1
		.amdhsa_next_free_sgpr 0
		.amdhsa_accum_offset 4
		.amdhsa_reserve_vcc 0
		.amdhsa_reserve_flat_scratch 0
		.amdhsa_float_round_mode_32 0
		.amdhsa_float_round_mode_16_64 0
		.amdhsa_float_denorm_mode_32 3
		.amdhsa_float_denorm_mode_16_64 3
		.amdhsa_dx10_clamp 1
		.amdhsa_ieee_mode 1
		.amdhsa_fp16_overflow 0
		.amdhsa_tg_split 0
		.amdhsa_exception_fp_ieee_invalid_op 0
		.amdhsa_exception_fp_denorm_src 0
		.amdhsa_exception_fp_ieee_div_zero 0
		.amdhsa_exception_fp_ieee_overflow 0
		.amdhsa_exception_fp_ieee_underflow 0
		.amdhsa_exception_fp_ieee_inexact 0
		.amdhsa_exception_int_div_zero 0
	.end_amdhsa_kernel
	.section	.text._ZN7rocprim17ROCPRIM_400000_NS6detail17trampoline_kernelINS0_14default_configENS1_35radix_sort_onesweep_config_selectorItNS0_10empty_typeEEEZZNS1_29radix_sort_onesweep_iterationIS3_Lb0EN6thrust23THRUST_200600_302600_NS6detail15normal_iteratorINS9_10device_ptrItEEEESE_PS5_SF_jNS0_19identity_decomposerENS1_16block_id_wrapperIjLb1EEEEE10hipError_tT1_PNSt15iterator_traitsISK_E10value_typeET2_T3_PNSL_ISQ_E10value_typeET4_T5_PSV_SW_PNS1_23onesweep_lookback_stateEbbT6_jjT7_P12ihipStream_tbENKUlT_T0_SK_SP_E_clIPtSE_SF_SF_EEDaS13_S14_SK_SP_EUlS13_E_NS1_11comp_targetILNS1_3genE3ELNS1_11target_archE908ELNS1_3gpuE7ELNS1_3repE0EEENS1_47radix_sort_onesweep_sort_config_static_selectorELNS0_4arch9wavefront6targetE1EEEvSK_,"axG",@progbits,_ZN7rocprim17ROCPRIM_400000_NS6detail17trampoline_kernelINS0_14default_configENS1_35radix_sort_onesweep_config_selectorItNS0_10empty_typeEEEZZNS1_29radix_sort_onesweep_iterationIS3_Lb0EN6thrust23THRUST_200600_302600_NS6detail15normal_iteratorINS9_10device_ptrItEEEESE_PS5_SF_jNS0_19identity_decomposerENS1_16block_id_wrapperIjLb1EEEEE10hipError_tT1_PNSt15iterator_traitsISK_E10value_typeET2_T3_PNSL_ISQ_E10value_typeET4_T5_PSV_SW_PNS1_23onesweep_lookback_stateEbbT6_jjT7_P12ihipStream_tbENKUlT_T0_SK_SP_E_clIPtSE_SF_SF_EEDaS13_S14_SK_SP_EUlS13_E_NS1_11comp_targetILNS1_3genE3ELNS1_11target_archE908ELNS1_3gpuE7ELNS1_3repE0EEENS1_47radix_sort_onesweep_sort_config_static_selectorELNS0_4arch9wavefront6targetE1EEEvSK_,comdat
.Lfunc_end1361:
	.size	_ZN7rocprim17ROCPRIM_400000_NS6detail17trampoline_kernelINS0_14default_configENS1_35radix_sort_onesweep_config_selectorItNS0_10empty_typeEEEZZNS1_29radix_sort_onesweep_iterationIS3_Lb0EN6thrust23THRUST_200600_302600_NS6detail15normal_iteratorINS9_10device_ptrItEEEESE_PS5_SF_jNS0_19identity_decomposerENS1_16block_id_wrapperIjLb1EEEEE10hipError_tT1_PNSt15iterator_traitsISK_E10value_typeET2_T3_PNSL_ISQ_E10value_typeET4_T5_PSV_SW_PNS1_23onesweep_lookback_stateEbbT6_jjT7_P12ihipStream_tbENKUlT_T0_SK_SP_E_clIPtSE_SF_SF_EEDaS13_S14_SK_SP_EUlS13_E_NS1_11comp_targetILNS1_3genE3ELNS1_11target_archE908ELNS1_3gpuE7ELNS1_3repE0EEENS1_47radix_sort_onesweep_sort_config_static_selectorELNS0_4arch9wavefront6targetE1EEEvSK_, .Lfunc_end1361-_ZN7rocprim17ROCPRIM_400000_NS6detail17trampoline_kernelINS0_14default_configENS1_35radix_sort_onesweep_config_selectorItNS0_10empty_typeEEEZZNS1_29radix_sort_onesweep_iterationIS3_Lb0EN6thrust23THRUST_200600_302600_NS6detail15normal_iteratorINS9_10device_ptrItEEEESE_PS5_SF_jNS0_19identity_decomposerENS1_16block_id_wrapperIjLb1EEEEE10hipError_tT1_PNSt15iterator_traitsISK_E10value_typeET2_T3_PNSL_ISQ_E10value_typeET4_T5_PSV_SW_PNS1_23onesweep_lookback_stateEbbT6_jjT7_P12ihipStream_tbENKUlT_T0_SK_SP_E_clIPtSE_SF_SF_EEDaS13_S14_SK_SP_EUlS13_E_NS1_11comp_targetILNS1_3genE3ELNS1_11target_archE908ELNS1_3gpuE7ELNS1_3repE0EEENS1_47radix_sort_onesweep_sort_config_static_selectorELNS0_4arch9wavefront6targetE1EEEvSK_
                                        ; -- End function
	.section	.AMDGPU.csdata,"",@progbits
; Kernel info:
; codeLenInByte = 0
; NumSgprs: 4
; NumVgprs: 0
; NumAgprs: 0
; TotalNumVgprs: 0
; ScratchSize: 0
; MemoryBound: 0
; FloatMode: 240
; IeeeMode: 1
; LDSByteSize: 0 bytes/workgroup (compile time only)
; SGPRBlocks: 0
; VGPRBlocks: 0
; NumSGPRsForWavesPerEU: 4
; NumVGPRsForWavesPerEU: 1
; AccumOffset: 4
; Occupancy: 8
; WaveLimiterHint : 0
; COMPUTE_PGM_RSRC2:SCRATCH_EN: 0
; COMPUTE_PGM_RSRC2:USER_SGPR: 6
; COMPUTE_PGM_RSRC2:TRAP_HANDLER: 0
; COMPUTE_PGM_RSRC2:TGID_X_EN: 1
; COMPUTE_PGM_RSRC2:TGID_Y_EN: 0
; COMPUTE_PGM_RSRC2:TGID_Z_EN: 0
; COMPUTE_PGM_RSRC2:TIDIG_COMP_CNT: 0
; COMPUTE_PGM_RSRC3_GFX90A:ACCUM_OFFSET: 0
; COMPUTE_PGM_RSRC3_GFX90A:TG_SPLIT: 0
	.section	.text._ZN7rocprim17ROCPRIM_400000_NS6detail17trampoline_kernelINS0_14default_configENS1_35radix_sort_onesweep_config_selectorItNS0_10empty_typeEEEZZNS1_29radix_sort_onesweep_iterationIS3_Lb0EN6thrust23THRUST_200600_302600_NS6detail15normal_iteratorINS9_10device_ptrItEEEESE_PS5_SF_jNS0_19identity_decomposerENS1_16block_id_wrapperIjLb1EEEEE10hipError_tT1_PNSt15iterator_traitsISK_E10value_typeET2_T3_PNSL_ISQ_E10value_typeET4_T5_PSV_SW_PNS1_23onesweep_lookback_stateEbbT6_jjT7_P12ihipStream_tbENKUlT_T0_SK_SP_E_clIPtSE_SF_SF_EEDaS13_S14_SK_SP_EUlS13_E_NS1_11comp_targetILNS1_3genE10ELNS1_11target_archE1201ELNS1_3gpuE5ELNS1_3repE0EEENS1_47radix_sort_onesweep_sort_config_static_selectorELNS0_4arch9wavefront6targetE1EEEvSK_,"axG",@progbits,_ZN7rocprim17ROCPRIM_400000_NS6detail17trampoline_kernelINS0_14default_configENS1_35radix_sort_onesweep_config_selectorItNS0_10empty_typeEEEZZNS1_29radix_sort_onesweep_iterationIS3_Lb0EN6thrust23THRUST_200600_302600_NS6detail15normal_iteratorINS9_10device_ptrItEEEESE_PS5_SF_jNS0_19identity_decomposerENS1_16block_id_wrapperIjLb1EEEEE10hipError_tT1_PNSt15iterator_traitsISK_E10value_typeET2_T3_PNSL_ISQ_E10value_typeET4_T5_PSV_SW_PNS1_23onesweep_lookback_stateEbbT6_jjT7_P12ihipStream_tbENKUlT_T0_SK_SP_E_clIPtSE_SF_SF_EEDaS13_S14_SK_SP_EUlS13_E_NS1_11comp_targetILNS1_3genE10ELNS1_11target_archE1201ELNS1_3gpuE5ELNS1_3repE0EEENS1_47radix_sort_onesweep_sort_config_static_selectorELNS0_4arch9wavefront6targetE1EEEvSK_,comdat
	.protected	_ZN7rocprim17ROCPRIM_400000_NS6detail17trampoline_kernelINS0_14default_configENS1_35radix_sort_onesweep_config_selectorItNS0_10empty_typeEEEZZNS1_29radix_sort_onesweep_iterationIS3_Lb0EN6thrust23THRUST_200600_302600_NS6detail15normal_iteratorINS9_10device_ptrItEEEESE_PS5_SF_jNS0_19identity_decomposerENS1_16block_id_wrapperIjLb1EEEEE10hipError_tT1_PNSt15iterator_traitsISK_E10value_typeET2_T3_PNSL_ISQ_E10value_typeET4_T5_PSV_SW_PNS1_23onesweep_lookback_stateEbbT6_jjT7_P12ihipStream_tbENKUlT_T0_SK_SP_E_clIPtSE_SF_SF_EEDaS13_S14_SK_SP_EUlS13_E_NS1_11comp_targetILNS1_3genE10ELNS1_11target_archE1201ELNS1_3gpuE5ELNS1_3repE0EEENS1_47radix_sort_onesweep_sort_config_static_selectorELNS0_4arch9wavefront6targetE1EEEvSK_ ; -- Begin function _ZN7rocprim17ROCPRIM_400000_NS6detail17trampoline_kernelINS0_14default_configENS1_35radix_sort_onesweep_config_selectorItNS0_10empty_typeEEEZZNS1_29radix_sort_onesweep_iterationIS3_Lb0EN6thrust23THRUST_200600_302600_NS6detail15normal_iteratorINS9_10device_ptrItEEEESE_PS5_SF_jNS0_19identity_decomposerENS1_16block_id_wrapperIjLb1EEEEE10hipError_tT1_PNSt15iterator_traitsISK_E10value_typeET2_T3_PNSL_ISQ_E10value_typeET4_T5_PSV_SW_PNS1_23onesweep_lookback_stateEbbT6_jjT7_P12ihipStream_tbENKUlT_T0_SK_SP_E_clIPtSE_SF_SF_EEDaS13_S14_SK_SP_EUlS13_E_NS1_11comp_targetILNS1_3genE10ELNS1_11target_archE1201ELNS1_3gpuE5ELNS1_3repE0EEENS1_47radix_sort_onesweep_sort_config_static_selectorELNS0_4arch9wavefront6targetE1EEEvSK_
	.globl	_ZN7rocprim17ROCPRIM_400000_NS6detail17trampoline_kernelINS0_14default_configENS1_35radix_sort_onesweep_config_selectorItNS0_10empty_typeEEEZZNS1_29radix_sort_onesweep_iterationIS3_Lb0EN6thrust23THRUST_200600_302600_NS6detail15normal_iteratorINS9_10device_ptrItEEEESE_PS5_SF_jNS0_19identity_decomposerENS1_16block_id_wrapperIjLb1EEEEE10hipError_tT1_PNSt15iterator_traitsISK_E10value_typeET2_T3_PNSL_ISQ_E10value_typeET4_T5_PSV_SW_PNS1_23onesweep_lookback_stateEbbT6_jjT7_P12ihipStream_tbENKUlT_T0_SK_SP_E_clIPtSE_SF_SF_EEDaS13_S14_SK_SP_EUlS13_E_NS1_11comp_targetILNS1_3genE10ELNS1_11target_archE1201ELNS1_3gpuE5ELNS1_3repE0EEENS1_47radix_sort_onesweep_sort_config_static_selectorELNS0_4arch9wavefront6targetE1EEEvSK_
	.p2align	8
	.type	_ZN7rocprim17ROCPRIM_400000_NS6detail17trampoline_kernelINS0_14default_configENS1_35radix_sort_onesweep_config_selectorItNS0_10empty_typeEEEZZNS1_29radix_sort_onesweep_iterationIS3_Lb0EN6thrust23THRUST_200600_302600_NS6detail15normal_iteratorINS9_10device_ptrItEEEESE_PS5_SF_jNS0_19identity_decomposerENS1_16block_id_wrapperIjLb1EEEEE10hipError_tT1_PNSt15iterator_traitsISK_E10value_typeET2_T3_PNSL_ISQ_E10value_typeET4_T5_PSV_SW_PNS1_23onesweep_lookback_stateEbbT6_jjT7_P12ihipStream_tbENKUlT_T0_SK_SP_E_clIPtSE_SF_SF_EEDaS13_S14_SK_SP_EUlS13_E_NS1_11comp_targetILNS1_3genE10ELNS1_11target_archE1201ELNS1_3gpuE5ELNS1_3repE0EEENS1_47radix_sort_onesweep_sort_config_static_selectorELNS0_4arch9wavefront6targetE1EEEvSK_,@function
_ZN7rocprim17ROCPRIM_400000_NS6detail17trampoline_kernelINS0_14default_configENS1_35radix_sort_onesweep_config_selectorItNS0_10empty_typeEEEZZNS1_29radix_sort_onesweep_iterationIS3_Lb0EN6thrust23THRUST_200600_302600_NS6detail15normal_iteratorINS9_10device_ptrItEEEESE_PS5_SF_jNS0_19identity_decomposerENS1_16block_id_wrapperIjLb1EEEEE10hipError_tT1_PNSt15iterator_traitsISK_E10value_typeET2_T3_PNSL_ISQ_E10value_typeET4_T5_PSV_SW_PNS1_23onesweep_lookback_stateEbbT6_jjT7_P12ihipStream_tbENKUlT_T0_SK_SP_E_clIPtSE_SF_SF_EEDaS13_S14_SK_SP_EUlS13_E_NS1_11comp_targetILNS1_3genE10ELNS1_11target_archE1201ELNS1_3gpuE5ELNS1_3repE0EEENS1_47radix_sort_onesweep_sort_config_static_selectorELNS0_4arch9wavefront6targetE1EEEvSK_: ; @_ZN7rocprim17ROCPRIM_400000_NS6detail17trampoline_kernelINS0_14default_configENS1_35radix_sort_onesweep_config_selectorItNS0_10empty_typeEEEZZNS1_29radix_sort_onesweep_iterationIS3_Lb0EN6thrust23THRUST_200600_302600_NS6detail15normal_iteratorINS9_10device_ptrItEEEESE_PS5_SF_jNS0_19identity_decomposerENS1_16block_id_wrapperIjLb1EEEEE10hipError_tT1_PNSt15iterator_traitsISK_E10value_typeET2_T3_PNSL_ISQ_E10value_typeET4_T5_PSV_SW_PNS1_23onesweep_lookback_stateEbbT6_jjT7_P12ihipStream_tbENKUlT_T0_SK_SP_E_clIPtSE_SF_SF_EEDaS13_S14_SK_SP_EUlS13_E_NS1_11comp_targetILNS1_3genE10ELNS1_11target_archE1201ELNS1_3gpuE5ELNS1_3repE0EEENS1_47radix_sort_onesweep_sort_config_static_selectorELNS0_4arch9wavefront6targetE1EEEvSK_
; %bb.0:
	.section	.rodata,"a",@progbits
	.p2align	6, 0x0
	.amdhsa_kernel _ZN7rocprim17ROCPRIM_400000_NS6detail17trampoline_kernelINS0_14default_configENS1_35radix_sort_onesweep_config_selectorItNS0_10empty_typeEEEZZNS1_29radix_sort_onesweep_iterationIS3_Lb0EN6thrust23THRUST_200600_302600_NS6detail15normal_iteratorINS9_10device_ptrItEEEESE_PS5_SF_jNS0_19identity_decomposerENS1_16block_id_wrapperIjLb1EEEEE10hipError_tT1_PNSt15iterator_traitsISK_E10value_typeET2_T3_PNSL_ISQ_E10value_typeET4_T5_PSV_SW_PNS1_23onesweep_lookback_stateEbbT6_jjT7_P12ihipStream_tbENKUlT_T0_SK_SP_E_clIPtSE_SF_SF_EEDaS13_S14_SK_SP_EUlS13_E_NS1_11comp_targetILNS1_3genE10ELNS1_11target_archE1201ELNS1_3gpuE5ELNS1_3repE0EEENS1_47radix_sort_onesweep_sort_config_static_selectorELNS0_4arch9wavefront6targetE1EEEvSK_
		.amdhsa_group_segment_fixed_size 0
		.amdhsa_private_segment_fixed_size 0
		.amdhsa_kernarg_size 88
		.amdhsa_user_sgpr_count 6
		.amdhsa_user_sgpr_private_segment_buffer 1
		.amdhsa_user_sgpr_dispatch_ptr 0
		.amdhsa_user_sgpr_queue_ptr 0
		.amdhsa_user_sgpr_kernarg_segment_ptr 1
		.amdhsa_user_sgpr_dispatch_id 0
		.amdhsa_user_sgpr_flat_scratch_init 0
		.amdhsa_user_sgpr_kernarg_preload_length 0
		.amdhsa_user_sgpr_kernarg_preload_offset 0
		.amdhsa_user_sgpr_private_segment_size 0
		.amdhsa_uses_dynamic_stack 0
		.amdhsa_system_sgpr_private_segment_wavefront_offset 0
		.amdhsa_system_sgpr_workgroup_id_x 1
		.amdhsa_system_sgpr_workgroup_id_y 0
		.amdhsa_system_sgpr_workgroup_id_z 0
		.amdhsa_system_sgpr_workgroup_info 0
		.amdhsa_system_vgpr_workitem_id 0
		.amdhsa_next_free_vgpr 1
		.amdhsa_next_free_sgpr 0
		.amdhsa_accum_offset 4
		.amdhsa_reserve_vcc 0
		.amdhsa_reserve_flat_scratch 0
		.amdhsa_float_round_mode_32 0
		.amdhsa_float_round_mode_16_64 0
		.amdhsa_float_denorm_mode_32 3
		.amdhsa_float_denorm_mode_16_64 3
		.amdhsa_dx10_clamp 1
		.amdhsa_ieee_mode 1
		.amdhsa_fp16_overflow 0
		.amdhsa_tg_split 0
		.amdhsa_exception_fp_ieee_invalid_op 0
		.amdhsa_exception_fp_denorm_src 0
		.amdhsa_exception_fp_ieee_div_zero 0
		.amdhsa_exception_fp_ieee_overflow 0
		.amdhsa_exception_fp_ieee_underflow 0
		.amdhsa_exception_fp_ieee_inexact 0
		.amdhsa_exception_int_div_zero 0
	.end_amdhsa_kernel
	.section	.text._ZN7rocprim17ROCPRIM_400000_NS6detail17trampoline_kernelINS0_14default_configENS1_35radix_sort_onesweep_config_selectorItNS0_10empty_typeEEEZZNS1_29radix_sort_onesweep_iterationIS3_Lb0EN6thrust23THRUST_200600_302600_NS6detail15normal_iteratorINS9_10device_ptrItEEEESE_PS5_SF_jNS0_19identity_decomposerENS1_16block_id_wrapperIjLb1EEEEE10hipError_tT1_PNSt15iterator_traitsISK_E10value_typeET2_T3_PNSL_ISQ_E10value_typeET4_T5_PSV_SW_PNS1_23onesweep_lookback_stateEbbT6_jjT7_P12ihipStream_tbENKUlT_T0_SK_SP_E_clIPtSE_SF_SF_EEDaS13_S14_SK_SP_EUlS13_E_NS1_11comp_targetILNS1_3genE10ELNS1_11target_archE1201ELNS1_3gpuE5ELNS1_3repE0EEENS1_47radix_sort_onesweep_sort_config_static_selectorELNS0_4arch9wavefront6targetE1EEEvSK_,"axG",@progbits,_ZN7rocprim17ROCPRIM_400000_NS6detail17trampoline_kernelINS0_14default_configENS1_35radix_sort_onesweep_config_selectorItNS0_10empty_typeEEEZZNS1_29radix_sort_onesweep_iterationIS3_Lb0EN6thrust23THRUST_200600_302600_NS6detail15normal_iteratorINS9_10device_ptrItEEEESE_PS5_SF_jNS0_19identity_decomposerENS1_16block_id_wrapperIjLb1EEEEE10hipError_tT1_PNSt15iterator_traitsISK_E10value_typeET2_T3_PNSL_ISQ_E10value_typeET4_T5_PSV_SW_PNS1_23onesweep_lookback_stateEbbT6_jjT7_P12ihipStream_tbENKUlT_T0_SK_SP_E_clIPtSE_SF_SF_EEDaS13_S14_SK_SP_EUlS13_E_NS1_11comp_targetILNS1_3genE10ELNS1_11target_archE1201ELNS1_3gpuE5ELNS1_3repE0EEENS1_47radix_sort_onesweep_sort_config_static_selectorELNS0_4arch9wavefront6targetE1EEEvSK_,comdat
.Lfunc_end1362:
	.size	_ZN7rocprim17ROCPRIM_400000_NS6detail17trampoline_kernelINS0_14default_configENS1_35radix_sort_onesweep_config_selectorItNS0_10empty_typeEEEZZNS1_29radix_sort_onesweep_iterationIS3_Lb0EN6thrust23THRUST_200600_302600_NS6detail15normal_iteratorINS9_10device_ptrItEEEESE_PS5_SF_jNS0_19identity_decomposerENS1_16block_id_wrapperIjLb1EEEEE10hipError_tT1_PNSt15iterator_traitsISK_E10value_typeET2_T3_PNSL_ISQ_E10value_typeET4_T5_PSV_SW_PNS1_23onesweep_lookback_stateEbbT6_jjT7_P12ihipStream_tbENKUlT_T0_SK_SP_E_clIPtSE_SF_SF_EEDaS13_S14_SK_SP_EUlS13_E_NS1_11comp_targetILNS1_3genE10ELNS1_11target_archE1201ELNS1_3gpuE5ELNS1_3repE0EEENS1_47radix_sort_onesweep_sort_config_static_selectorELNS0_4arch9wavefront6targetE1EEEvSK_, .Lfunc_end1362-_ZN7rocprim17ROCPRIM_400000_NS6detail17trampoline_kernelINS0_14default_configENS1_35radix_sort_onesweep_config_selectorItNS0_10empty_typeEEEZZNS1_29radix_sort_onesweep_iterationIS3_Lb0EN6thrust23THRUST_200600_302600_NS6detail15normal_iteratorINS9_10device_ptrItEEEESE_PS5_SF_jNS0_19identity_decomposerENS1_16block_id_wrapperIjLb1EEEEE10hipError_tT1_PNSt15iterator_traitsISK_E10value_typeET2_T3_PNSL_ISQ_E10value_typeET4_T5_PSV_SW_PNS1_23onesweep_lookback_stateEbbT6_jjT7_P12ihipStream_tbENKUlT_T0_SK_SP_E_clIPtSE_SF_SF_EEDaS13_S14_SK_SP_EUlS13_E_NS1_11comp_targetILNS1_3genE10ELNS1_11target_archE1201ELNS1_3gpuE5ELNS1_3repE0EEENS1_47radix_sort_onesweep_sort_config_static_selectorELNS0_4arch9wavefront6targetE1EEEvSK_
                                        ; -- End function
	.section	.AMDGPU.csdata,"",@progbits
; Kernel info:
; codeLenInByte = 0
; NumSgprs: 4
; NumVgprs: 0
; NumAgprs: 0
; TotalNumVgprs: 0
; ScratchSize: 0
; MemoryBound: 0
; FloatMode: 240
; IeeeMode: 1
; LDSByteSize: 0 bytes/workgroup (compile time only)
; SGPRBlocks: 0
; VGPRBlocks: 0
; NumSGPRsForWavesPerEU: 4
; NumVGPRsForWavesPerEU: 1
; AccumOffset: 4
; Occupancy: 8
; WaveLimiterHint : 0
; COMPUTE_PGM_RSRC2:SCRATCH_EN: 0
; COMPUTE_PGM_RSRC2:USER_SGPR: 6
; COMPUTE_PGM_RSRC2:TRAP_HANDLER: 0
; COMPUTE_PGM_RSRC2:TGID_X_EN: 1
; COMPUTE_PGM_RSRC2:TGID_Y_EN: 0
; COMPUTE_PGM_RSRC2:TGID_Z_EN: 0
; COMPUTE_PGM_RSRC2:TIDIG_COMP_CNT: 0
; COMPUTE_PGM_RSRC3_GFX90A:ACCUM_OFFSET: 0
; COMPUTE_PGM_RSRC3_GFX90A:TG_SPLIT: 0
	.section	.text._ZN7rocprim17ROCPRIM_400000_NS6detail17trampoline_kernelINS0_14default_configENS1_35radix_sort_onesweep_config_selectorItNS0_10empty_typeEEEZZNS1_29radix_sort_onesweep_iterationIS3_Lb0EN6thrust23THRUST_200600_302600_NS6detail15normal_iteratorINS9_10device_ptrItEEEESE_PS5_SF_jNS0_19identity_decomposerENS1_16block_id_wrapperIjLb1EEEEE10hipError_tT1_PNSt15iterator_traitsISK_E10value_typeET2_T3_PNSL_ISQ_E10value_typeET4_T5_PSV_SW_PNS1_23onesweep_lookback_stateEbbT6_jjT7_P12ihipStream_tbENKUlT_T0_SK_SP_E_clIPtSE_SF_SF_EEDaS13_S14_SK_SP_EUlS13_E_NS1_11comp_targetILNS1_3genE9ELNS1_11target_archE1100ELNS1_3gpuE3ELNS1_3repE0EEENS1_47radix_sort_onesweep_sort_config_static_selectorELNS0_4arch9wavefront6targetE1EEEvSK_,"axG",@progbits,_ZN7rocprim17ROCPRIM_400000_NS6detail17trampoline_kernelINS0_14default_configENS1_35radix_sort_onesweep_config_selectorItNS0_10empty_typeEEEZZNS1_29radix_sort_onesweep_iterationIS3_Lb0EN6thrust23THRUST_200600_302600_NS6detail15normal_iteratorINS9_10device_ptrItEEEESE_PS5_SF_jNS0_19identity_decomposerENS1_16block_id_wrapperIjLb1EEEEE10hipError_tT1_PNSt15iterator_traitsISK_E10value_typeET2_T3_PNSL_ISQ_E10value_typeET4_T5_PSV_SW_PNS1_23onesweep_lookback_stateEbbT6_jjT7_P12ihipStream_tbENKUlT_T0_SK_SP_E_clIPtSE_SF_SF_EEDaS13_S14_SK_SP_EUlS13_E_NS1_11comp_targetILNS1_3genE9ELNS1_11target_archE1100ELNS1_3gpuE3ELNS1_3repE0EEENS1_47radix_sort_onesweep_sort_config_static_selectorELNS0_4arch9wavefront6targetE1EEEvSK_,comdat
	.protected	_ZN7rocprim17ROCPRIM_400000_NS6detail17trampoline_kernelINS0_14default_configENS1_35radix_sort_onesweep_config_selectorItNS0_10empty_typeEEEZZNS1_29radix_sort_onesweep_iterationIS3_Lb0EN6thrust23THRUST_200600_302600_NS6detail15normal_iteratorINS9_10device_ptrItEEEESE_PS5_SF_jNS0_19identity_decomposerENS1_16block_id_wrapperIjLb1EEEEE10hipError_tT1_PNSt15iterator_traitsISK_E10value_typeET2_T3_PNSL_ISQ_E10value_typeET4_T5_PSV_SW_PNS1_23onesweep_lookback_stateEbbT6_jjT7_P12ihipStream_tbENKUlT_T0_SK_SP_E_clIPtSE_SF_SF_EEDaS13_S14_SK_SP_EUlS13_E_NS1_11comp_targetILNS1_3genE9ELNS1_11target_archE1100ELNS1_3gpuE3ELNS1_3repE0EEENS1_47radix_sort_onesweep_sort_config_static_selectorELNS0_4arch9wavefront6targetE1EEEvSK_ ; -- Begin function _ZN7rocprim17ROCPRIM_400000_NS6detail17trampoline_kernelINS0_14default_configENS1_35radix_sort_onesweep_config_selectorItNS0_10empty_typeEEEZZNS1_29radix_sort_onesweep_iterationIS3_Lb0EN6thrust23THRUST_200600_302600_NS6detail15normal_iteratorINS9_10device_ptrItEEEESE_PS5_SF_jNS0_19identity_decomposerENS1_16block_id_wrapperIjLb1EEEEE10hipError_tT1_PNSt15iterator_traitsISK_E10value_typeET2_T3_PNSL_ISQ_E10value_typeET4_T5_PSV_SW_PNS1_23onesweep_lookback_stateEbbT6_jjT7_P12ihipStream_tbENKUlT_T0_SK_SP_E_clIPtSE_SF_SF_EEDaS13_S14_SK_SP_EUlS13_E_NS1_11comp_targetILNS1_3genE9ELNS1_11target_archE1100ELNS1_3gpuE3ELNS1_3repE0EEENS1_47radix_sort_onesweep_sort_config_static_selectorELNS0_4arch9wavefront6targetE1EEEvSK_
	.globl	_ZN7rocprim17ROCPRIM_400000_NS6detail17trampoline_kernelINS0_14default_configENS1_35radix_sort_onesweep_config_selectorItNS0_10empty_typeEEEZZNS1_29radix_sort_onesweep_iterationIS3_Lb0EN6thrust23THRUST_200600_302600_NS6detail15normal_iteratorINS9_10device_ptrItEEEESE_PS5_SF_jNS0_19identity_decomposerENS1_16block_id_wrapperIjLb1EEEEE10hipError_tT1_PNSt15iterator_traitsISK_E10value_typeET2_T3_PNSL_ISQ_E10value_typeET4_T5_PSV_SW_PNS1_23onesweep_lookback_stateEbbT6_jjT7_P12ihipStream_tbENKUlT_T0_SK_SP_E_clIPtSE_SF_SF_EEDaS13_S14_SK_SP_EUlS13_E_NS1_11comp_targetILNS1_3genE9ELNS1_11target_archE1100ELNS1_3gpuE3ELNS1_3repE0EEENS1_47radix_sort_onesweep_sort_config_static_selectorELNS0_4arch9wavefront6targetE1EEEvSK_
	.p2align	8
	.type	_ZN7rocprim17ROCPRIM_400000_NS6detail17trampoline_kernelINS0_14default_configENS1_35radix_sort_onesweep_config_selectorItNS0_10empty_typeEEEZZNS1_29radix_sort_onesweep_iterationIS3_Lb0EN6thrust23THRUST_200600_302600_NS6detail15normal_iteratorINS9_10device_ptrItEEEESE_PS5_SF_jNS0_19identity_decomposerENS1_16block_id_wrapperIjLb1EEEEE10hipError_tT1_PNSt15iterator_traitsISK_E10value_typeET2_T3_PNSL_ISQ_E10value_typeET4_T5_PSV_SW_PNS1_23onesweep_lookback_stateEbbT6_jjT7_P12ihipStream_tbENKUlT_T0_SK_SP_E_clIPtSE_SF_SF_EEDaS13_S14_SK_SP_EUlS13_E_NS1_11comp_targetILNS1_3genE9ELNS1_11target_archE1100ELNS1_3gpuE3ELNS1_3repE0EEENS1_47radix_sort_onesweep_sort_config_static_selectorELNS0_4arch9wavefront6targetE1EEEvSK_,@function
_ZN7rocprim17ROCPRIM_400000_NS6detail17trampoline_kernelINS0_14default_configENS1_35radix_sort_onesweep_config_selectorItNS0_10empty_typeEEEZZNS1_29radix_sort_onesweep_iterationIS3_Lb0EN6thrust23THRUST_200600_302600_NS6detail15normal_iteratorINS9_10device_ptrItEEEESE_PS5_SF_jNS0_19identity_decomposerENS1_16block_id_wrapperIjLb1EEEEE10hipError_tT1_PNSt15iterator_traitsISK_E10value_typeET2_T3_PNSL_ISQ_E10value_typeET4_T5_PSV_SW_PNS1_23onesweep_lookback_stateEbbT6_jjT7_P12ihipStream_tbENKUlT_T0_SK_SP_E_clIPtSE_SF_SF_EEDaS13_S14_SK_SP_EUlS13_E_NS1_11comp_targetILNS1_3genE9ELNS1_11target_archE1100ELNS1_3gpuE3ELNS1_3repE0EEENS1_47radix_sort_onesweep_sort_config_static_selectorELNS0_4arch9wavefront6targetE1EEEvSK_: ; @_ZN7rocprim17ROCPRIM_400000_NS6detail17trampoline_kernelINS0_14default_configENS1_35radix_sort_onesweep_config_selectorItNS0_10empty_typeEEEZZNS1_29radix_sort_onesweep_iterationIS3_Lb0EN6thrust23THRUST_200600_302600_NS6detail15normal_iteratorINS9_10device_ptrItEEEESE_PS5_SF_jNS0_19identity_decomposerENS1_16block_id_wrapperIjLb1EEEEE10hipError_tT1_PNSt15iterator_traitsISK_E10value_typeET2_T3_PNSL_ISQ_E10value_typeET4_T5_PSV_SW_PNS1_23onesweep_lookback_stateEbbT6_jjT7_P12ihipStream_tbENKUlT_T0_SK_SP_E_clIPtSE_SF_SF_EEDaS13_S14_SK_SP_EUlS13_E_NS1_11comp_targetILNS1_3genE9ELNS1_11target_archE1100ELNS1_3gpuE3ELNS1_3repE0EEENS1_47radix_sort_onesweep_sort_config_static_selectorELNS0_4arch9wavefront6targetE1EEEvSK_
; %bb.0:
	.section	.rodata,"a",@progbits
	.p2align	6, 0x0
	.amdhsa_kernel _ZN7rocprim17ROCPRIM_400000_NS6detail17trampoline_kernelINS0_14default_configENS1_35radix_sort_onesweep_config_selectorItNS0_10empty_typeEEEZZNS1_29radix_sort_onesweep_iterationIS3_Lb0EN6thrust23THRUST_200600_302600_NS6detail15normal_iteratorINS9_10device_ptrItEEEESE_PS5_SF_jNS0_19identity_decomposerENS1_16block_id_wrapperIjLb1EEEEE10hipError_tT1_PNSt15iterator_traitsISK_E10value_typeET2_T3_PNSL_ISQ_E10value_typeET4_T5_PSV_SW_PNS1_23onesweep_lookback_stateEbbT6_jjT7_P12ihipStream_tbENKUlT_T0_SK_SP_E_clIPtSE_SF_SF_EEDaS13_S14_SK_SP_EUlS13_E_NS1_11comp_targetILNS1_3genE9ELNS1_11target_archE1100ELNS1_3gpuE3ELNS1_3repE0EEENS1_47radix_sort_onesweep_sort_config_static_selectorELNS0_4arch9wavefront6targetE1EEEvSK_
		.amdhsa_group_segment_fixed_size 0
		.amdhsa_private_segment_fixed_size 0
		.amdhsa_kernarg_size 88
		.amdhsa_user_sgpr_count 6
		.amdhsa_user_sgpr_private_segment_buffer 1
		.amdhsa_user_sgpr_dispatch_ptr 0
		.amdhsa_user_sgpr_queue_ptr 0
		.amdhsa_user_sgpr_kernarg_segment_ptr 1
		.amdhsa_user_sgpr_dispatch_id 0
		.amdhsa_user_sgpr_flat_scratch_init 0
		.amdhsa_user_sgpr_kernarg_preload_length 0
		.amdhsa_user_sgpr_kernarg_preload_offset 0
		.amdhsa_user_sgpr_private_segment_size 0
		.amdhsa_uses_dynamic_stack 0
		.amdhsa_system_sgpr_private_segment_wavefront_offset 0
		.amdhsa_system_sgpr_workgroup_id_x 1
		.amdhsa_system_sgpr_workgroup_id_y 0
		.amdhsa_system_sgpr_workgroup_id_z 0
		.amdhsa_system_sgpr_workgroup_info 0
		.amdhsa_system_vgpr_workitem_id 0
		.amdhsa_next_free_vgpr 1
		.amdhsa_next_free_sgpr 0
		.amdhsa_accum_offset 4
		.amdhsa_reserve_vcc 0
		.amdhsa_reserve_flat_scratch 0
		.amdhsa_float_round_mode_32 0
		.amdhsa_float_round_mode_16_64 0
		.amdhsa_float_denorm_mode_32 3
		.amdhsa_float_denorm_mode_16_64 3
		.amdhsa_dx10_clamp 1
		.amdhsa_ieee_mode 1
		.amdhsa_fp16_overflow 0
		.amdhsa_tg_split 0
		.amdhsa_exception_fp_ieee_invalid_op 0
		.amdhsa_exception_fp_denorm_src 0
		.amdhsa_exception_fp_ieee_div_zero 0
		.amdhsa_exception_fp_ieee_overflow 0
		.amdhsa_exception_fp_ieee_underflow 0
		.amdhsa_exception_fp_ieee_inexact 0
		.amdhsa_exception_int_div_zero 0
	.end_amdhsa_kernel
	.section	.text._ZN7rocprim17ROCPRIM_400000_NS6detail17trampoline_kernelINS0_14default_configENS1_35radix_sort_onesweep_config_selectorItNS0_10empty_typeEEEZZNS1_29radix_sort_onesweep_iterationIS3_Lb0EN6thrust23THRUST_200600_302600_NS6detail15normal_iteratorINS9_10device_ptrItEEEESE_PS5_SF_jNS0_19identity_decomposerENS1_16block_id_wrapperIjLb1EEEEE10hipError_tT1_PNSt15iterator_traitsISK_E10value_typeET2_T3_PNSL_ISQ_E10value_typeET4_T5_PSV_SW_PNS1_23onesweep_lookback_stateEbbT6_jjT7_P12ihipStream_tbENKUlT_T0_SK_SP_E_clIPtSE_SF_SF_EEDaS13_S14_SK_SP_EUlS13_E_NS1_11comp_targetILNS1_3genE9ELNS1_11target_archE1100ELNS1_3gpuE3ELNS1_3repE0EEENS1_47radix_sort_onesweep_sort_config_static_selectorELNS0_4arch9wavefront6targetE1EEEvSK_,"axG",@progbits,_ZN7rocprim17ROCPRIM_400000_NS6detail17trampoline_kernelINS0_14default_configENS1_35radix_sort_onesweep_config_selectorItNS0_10empty_typeEEEZZNS1_29radix_sort_onesweep_iterationIS3_Lb0EN6thrust23THRUST_200600_302600_NS6detail15normal_iteratorINS9_10device_ptrItEEEESE_PS5_SF_jNS0_19identity_decomposerENS1_16block_id_wrapperIjLb1EEEEE10hipError_tT1_PNSt15iterator_traitsISK_E10value_typeET2_T3_PNSL_ISQ_E10value_typeET4_T5_PSV_SW_PNS1_23onesweep_lookback_stateEbbT6_jjT7_P12ihipStream_tbENKUlT_T0_SK_SP_E_clIPtSE_SF_SF_EEDaS13_S14_SK_SP_EUlS13_E_NS1_11comp_targetILNS1_3genE9ELNS1_11target_archE1100ELNS1_3gpuE3ELNS1_3repE0EEENS1_47radix_sort_onesweep_sort_config_static_selectorELNS0_4arch9wavefront6targetE1EEEvSK_,comdat
.Lfunc_end1363:
	.size	_ZN7rocprim17ROCPRIM_400000_NS6detail17trampoline_kernelINS0_14default_configENS1_35radix_sort_onesweep_config_selectorItNS0_10empty_typeEEEZZNS1_29radix_sort_onesweep_iterationIS3_Lb0EN6thrust23THRUST_200600_302600_NS6detail15normal_iteratorINS9_10device_ptrItEEEESE_PS5_SF_jNS0_19identity_decomposerENS1_16block_id_wrapperIjLb1EEEEE10hipError_tT1_PNSt15iterator_traitsISK_E10value_typeET2_T3_PNSL_ISQ_E10value_typeET4_T5_PSV_SW_PNS1_23onesweep_lookback_stateEbbT6_jjT7_P12ihipStream_tbENKUlT_T0_SK_SP_E_clIPtSE_SF_SF_EEDaS13_S14_SK_SP_EUlS13_E_NS1_11comp_targetILNS1_3genE9ELNS1_11target_archE1100ELNS1_3gpuE3ELNS1_3repE0EEENS1_47radix_sort_onesweep_sort_config_static_selectorELNS0_4arch9wavefront6targetE1EEEvSK_, .Lfunc_end1363-_ZN7rocprim17ROCPRIM_400000_NS6detail17trampoline_kernelINS0_14default_configENS1_35radix_sort_onesweep_config_selectorItNS0_10empty_typeEEEZZNS1_29radix_sort_onesweep_iterationIS3_Lb0EN6thrust23THRUST_200600_302600_NS6detail15normal_iteratorINS9_10device_ptrItEEEESE_PS5_SF_jNS0_19identity_decomposerENS1_16block_id_wrapperIjLb1EEEEE10hipError_tT1_PNSt15iterator_traitsISK_E10value_typeET2_T3_PNSL_ISQ_E10value_typeET4_T5_PSV_SW_PNS1_23onesweep_lookback_stateEbbT6_jjT7_P12ihipStream_tbENKUlT_T0_SK_SP_E_clIPtSE_SF_SF_EEDaS13_S14_SK_SP_EUlS13_E_NS1_11comp_targetILNS1_3genE9ELNS1_11target_archE1100ELNS1_3gpuE3ELNS1_3repE0EEENS1_47radix_sort_onesweep_sort_config_static_selectorELNS0_4arch9wavefront6targetE1EEEvSK_
                                        ; -- End function
	.section	.AMDGPU.csdata,"",@progbits
; Kernel info:
; codeLenInByte = 0
; NumSgprs: 4
; NumVgprs: 0
; NumAgprs: 0
; TotalNumVgprs: 0
; ScratchSize: 0
; MemoryBound: 0
; FloatMode: 240
; IeeeMode: 1
; LDSByteSize: 0 bytes/workgroup (compile time only)
; SGPRBlocks: 0
; VGPRBlocks: 0
; NumSGPRsForWavesPerEU: 4
; NumVGPRsForWavesPerEU: 1
; AccumOffset: 4
; Occupancy: 8
; WaveLimiterHint : 0
; COMPUTE_PGM_RSRC2:SCRATCH_EN: 0
; COMPUTE_PGM_RSRC2:USER_SGPR: 6
; COMPUTE_PGM_RSRC2:TRAP_HANDLER: 0
; COMPUTE_PGM_RSRC2:TGID_X_EN: 1
; COMPUTE_PGM_RSRC2:TGID_Y_EN: 0
; COMPUTE_PGM_RSRC2:TGID_Z_EN: 0
; COMPUTE_PGM_RSRC2:TIDIG_COMP_CNT: 0
; COMPUTE_PGM_RSRC3_GFX90A:ACCUM_OFFSET: 0
; COMPUTE_PGM_RSRC3_GFX90A:TG_SPLIT: 0
	.section	.text._ZN7rocprim17ROCPRIM_400000_NS6detail17trampoline_kernelINS0_14default_configENS1_35radix_sort_onesweep_config_selectorItNS0_10empty_typeEEEZZNS1_29radix_sort_onesweep_iterationIS3_Lb0EN6thrust23THRUST_200600_302600_NS6detail15normal_iteratorINS9_10device_ptrItEEEESE_PS5_SF_jNS0_19identity_decomposerENS1_16block_id_wrapperIjLb1EEEEE10hipError_tT1_PNSt15iterator_traitsISK_E10value_typeET2_T3_PNSL_ISQ_E10value_typeET4_T5_PSV_SW_PNS1_23onesweep_lookback_stateEbbT6_jjT7_P12ihipStream_tbENKUlT_T0_SK_SP_E_clIPtSE_SF_SF_EEDaS13_S14_SK_SP_EUlS13_E_NS1_11comp_targetILNS1_3genE8ELNS1_11target_archE1030ELNS1_3gpuE2ELNS1_3repE0EEENS1_47radix_sort_onesweep_sort_config_static_selectorELNS0_4arch9wavefront6targetE1EEEvSK_,"axG",@progbits,_ZN7rocprim17ROCPRIM_400000_NS6detail17trampoline_kernelINS0_14default_configENS1_35radix_sort_onesweep_config_selectorItNS0_10empty_typeEEEZZNS1_29radix_sort_onesweep_iterationIS3_Lb0EN6thrust23THRUST_200600_302600_NS6detail15normal_iteratorINS9_10device_ptrItEEEESE_PS5_SF_jNS0_19identity_decomposerENS1_16block_id_wrapperIjLb1EEEEE10hipError_tT1_PNSt15iterator_traitsISK_E10value_typeET2_T3_PNSL_ISQ_E10value_typeET4_T5_PSV_SW_PNS1_23onesweep_lookback_stateEbbT6_jjT7_P12ihipStream_tbENKUlT_T0_SK_SP_E_clIPtSE_SF_SF_EEDaS13_S14_SK_SP_EUlS13_E_NS1_11comp_targetILNS1_3genE8ELNS1_11target_archE1030ELNS1_3gpuE2ELNS1_3repE0EEENS1_47radix_sort_onesweep_sort_config_static_selectorELNS0_4arch9wavefront6targetE1EEEvSK_,comdat
	.protected	_ZN7rocprim17ROCPRIM_400000_NS6detail17trampoline_kernelINS0_14default_configENS1_35radix_sort_onesweep_config_selectorItNS0_10empty_typeEEEZZNS1_29radix_sort_onesweep_iterationIS3_Lb0EN6thrust23THRUST_200600_302600_NS6detail15normal_iteratorINS9_10device_ptrItEEEESE_PS5_SF_jNS0_19identity_decomposerENS1_16block_id_wrapperIjLb1EEEEE10hipError_tT1_PNSt15iterator_traitsISK_E10value_typeET2_T3_PNSL_ISQ_E10value_typeET4_T5_PSV_SW_PNS1_23onesweep_lookback_stateEbbT6_jjT7_P12ihipStream_tbENKUlT_T0_SK_SP_E_clIPtSE_SF_SF_EEDaS13_S14_SK_SP_EUlS13_E_NS1_11comp_targetILNS1_3genE8ELNS1_11target_archE1030ELNS1_3gpuE2ELNS1_3repE0EEENS1_47radix_sort_onesweep_sort_config_static_selectorELNS0_4arch9wavefront6targetE1EEEvSK_ ; -- Begin function _ZN7rocprim17ROCPRIM_400000_NS6detail17trampoline_kernelINS0_14default_configENS1_35radix_sort_onesweep_config_selectorItNS0_10empty_typeEEEZZNS1_29radix_sort_onesweep_iterationIS3_Lb0EN6thrust23THRUST_200600_302600_NS6detail15normal_iteratorINS9_10device_ptrItEEEESE_PS5_SF_jNS0_19identity_decomposerENS1_16block_id_wrapperIjLb1EEEEE10hipError_tT1_PNSt15iterator_traitsISK_E10value_typeET2_T3_PNSL_ISQ_E10value_typeET4_T5_PSV_SW_PNS1_23onesweep_lookback_stateEbbT6_jjT7_P12ihipStream_tbENKUlT_T0_SK_SP_E_clIPtSE_SF_SF_EEDaS13_S14_SK_SP_EUlS13_E_NS1_11comp_targetILNS1_3genE8ELNS1_11target_archE1030ELNS1_3gpuE2ELNS1_3repE0EEENS1_47radix_sort_onesweep_sort_config_static_selectorELNS0_4arch9wavefront6targetE1EEEvSK_
	.globl	_ZN7rocprim17ROCPRIM_400000_NS6detail17trampoline_kernelINS0_14default_configENS1_35radix_sort_onesweep_config_selectorItNS0_10empty_typeEEEZZNS1_29radix_sort_onesweep_iterationIS3_Lb0EN6thrust23THRUST_200600_302600_NS6detail15normal_iteratorINS9_10device_ptrItEEEESE_PS5_SF_jNS0_19identity_decomposerENS1_16block_id_wrapperIjLb1EEEEE10hipError_tT1_PNSt15iterator_traitsISK_E10value_typeET2_T3_PNSL_ISQ_E10value_typeET4_T5_PSV_SW_PNS1_23onesweep_lookback_stateEbbT6_jjT7_P12ihipStream_tbENKUlT_T0_SK_SP_E_clIPtSE_SF_SF_EEDaS13_S14_SK_SP_EUlS13_E_NS1_11comp_targetILNS1_3genE8ELNS1_11target_archE1030ELNS1_3gpuE2ELNS1_3repE0EEENS1_47radix_sort_onesweep_sort_config_static_selectorELNS0_4arch9wavefront6targetE1EEEvSK_
	.p2align	8
	.type	_ZN7rocprim17ROCPRIM_400000_NS6detail17trampoline_kernelINS0_14default_configENS1_35radix_sort_onesweep_config_selectorItNS0_10empty_typeEEEZZNS1_29radix_sort_onesweep_iterationIS3_Lb0EN6thrust23THRUST_200600_302600_NS6detail15normal_iteratorINS9_10device_ptrItEEEESE_PS5_SF_jNS0_19identity_decomposerENS1_16block_id_wrapperIjLb1EEEEE10hipError_tT1_PNSt15iterator_traitsISK_E10value_typeET2_T3_PNSL_ISQ_E10value_typeET4_T5_PSV_SW_PNS1_23onesweep_lookback_stateEbbT6_jjT7_P12ihipStream_tbENKUlT_T0_SK_SP_E_clIPtSE_SF_SF_EEDaS13_S14_SK_SP_EUlS13_E_NS1_11comp_targetILNS1_3genE8ELNS1_11target_archE1030ELNS1_3gpuE2ELNS1_3repE0EEENS1_47radix_sort_onesweep_sort_config_static_selectorELNS0_4arch9wavefront6targetE1EEEvSK_,@function
_ZN7rocprim17ROCPRIM_400000_NS6detail17trampoline_kernelINS0_14default_configENS1_35radix_sort_onesweep_config_selectorItNS0_10empty_typeEEEZZNS1_29radix_sort_onesweep_iterationIS3_Lb0EN6thrust23THRUST_200600_302600_NS6detail15normal_iteratorINS9_10device_ptrItEEEESE_PS5_SF_jNS0_19identity_decomposerENS1_16block_id_wrapperIjLb1EEEEE10hipError_tT1_PNSt15iterator_traitsISK_E10value_typeET2_T3_PNSL_ISQ_E10value_typeET4_T5_PSV_SW_PNS1_23onesweep_lookback_stateEbbT6_jjT7_P12ihipStream_tbENKUlT_T0_SK_SP_E_clIPtSE_SF_SF_EEDaS13_S14_SK_SP_EUlS13_E_NS1_11comp_targetILNS1_3genE8ELNS1_11target_archE1030ELNS1_3gpuE2ELNS1_3repE0EEENS1_47radix_sort_onesweep_sort_config_static_selectorELNS0_4arch9wavefront6targetE1EEEvSK_: ; @_ZN7rocprim17ROCPRIM_400000_NS6detail17trampoline_kernelINS0_14default_configENS1_35radix_sort_onesweep_config_selectorItNS0_10empty_typeEEEZZNS1_29radix_sort_onesweep_iterationIS3_Lb0EN6thrust23THRUST_200600_302600_NS6detail15normal_iteratorINS9_10device_ptrItEEEESE_PS5_SF_jNS0_19identity_decomposerENS1_16block_id_wrapperIjLb1EEEEE10hipError_tT1_PNSt15iterator_traitsISK_E10value_typeET2_T3_PNSL_ISQ_E10value_typeET4_T5_PSV_SW_PNS1_23onesweep_lookback_stateEbbT6_jjT7_P12ihipStream_tbENKUlT_T0_SK_SP_E_clIPtSE_SF_SF_EEDaS13_S14_SK_SP_EUlS13_E_NS1_11comp_targetILNS1_3genE8ELNS1_11target_archE1030ELNS1_3gpuE2ELNS1_3repE0EEENS1_47radix_sort_onesweep_sort_config_static_selectorELNS0_4arch9wavefront6targetE1EEEvSK_
; %bb.0:
	.section	.rodata,"a",@progbits
	.p2align	6, 0x0
	.amdhsa_kernel _ZN7rocprim17ROCPRIM_400000_NS6detail17trampoline_kernelINS0_14default_configENS1_35radix_sort_onesweep_config_selectorItNS0_10empty_typeEEEZZNS1_29radix_sort_onesweep_iterationIS3_Lb0EN6thrust23THRUST_200600_302600_NS6detail15normal_iteratorINS9_10device_ptrItEEEESE_PS5_SF_jNS0_19identity_decomposerENS1_16block_id_wrapperIjLb1EEEEE10hipError_tT1_PNSt15iterator_traitsISK_E10value_typeET2_T3_PNSL_ISQ_E10value_typeET4_T5_PSV_SW_PNS1_23onesweep_lookback_stateEbbT6_jjT7_P12ihipStream_tbENKUlT_T0_SK_SP_E_clIPtSE_SF_SF_EEDaS13_S14_SK_SP_EUlS13_E_NS1_11comp_targetILNS1_3genE8ELNS1_11target_archE1030ELNS1_3gpuE2ELNS1_3repE0EEENS1_47radix_sort_onesweep_sort_config_static_selectorELNS0_4arch9wavefront6targetE1EEEvSK_
		.amdhsa_group_segment_fixed_size 0
		.amdhsa_private_segment_fixed_size 0
		.amdhsa_kernarg_size 88
		.amdhsa_user_sgpr_count 6
		.amdhsa_user_sgpr_private_segment_buffer 1
		.amdhsa_user_sgpr_dispatch_ptr 0
		.amdhsa_user_sgpr_queue_ptr 0
		.amdhsa_user_sgpr_kernarg_segment_ptr 1
		.amdhsa_user_sgpr_dispatch_id 0
		.amdhsa_user_sgpr_flat_scratch_init 0
		.amdhsa_user_sgpr_kernarg_preload_length 0
		.amdhsa_user_sgpr_kernarg_preload_offset 0
		.amdhsa_user_sgpr_private_segment_size 0
		.amdhsa_uses_dynamic_stack 0
		.amdhsa_system_sgpr_private_segment_wavefront_offset 0
		.amdhsa_system_sgpr_workgroup_id_x 1
		.amdhsa_system_sgpr_workgroup_id_y 0
		.amdhsa_system_sgpr_workgroup_id_z 0
		.amdhsa_system_sgpr_workgroup_info 0
		.amdhsa_system_vgpr_workitem_id 0
		.amdhsa_next_free_vgpr 1
		.amdhsa_next_free_sgpr 0
		.amdhsa_accum_offset 4
		.amdhsa_reserve_vcc 0
		.amdhsa_reserve_flat_scratch 0
		.amdhsa_float_round_mode_32 0
		.amdhsa_float_round_mode_16_64 0
		.amdhsa_float_denorm_mode_32 3
		.amdhsa_float_denorm_mode_16_64 3
		.amdhsa_dx10_clamp 1
		.amdhsa_ieee_mode 1
		.amdhsa_fp16_overflow 0
		.amdhsa_tg_split 0
		.amdhsa_exception_fp_ieee_invalid_op 0
		.amdhsa_exception_fp_denorm_src 0
		.amdhsa_exception_fp_ieee_div_zero 0
		.amdhsa_exception_fp_ieee_overflow 0
		.amdhsa_exception_fp_ieee_underflow 0
		.amdhsa_exception_fp_ieee_inexact 0
		.amdhsa_exception_int_div_zero 0
	.end_amdhsa_kernel
	.section	.text._ZN7rocprim17ROCPRIM_400000_NS6detail17trampoline_kernelINS0_14default_configENS1_35radix_sort_onesweep_config_selectorItNS0_10empty_typeEEEZZNS1_29radix_sort_onesweep_iterationIS3_Lb0EN6thrust23THRUST_200600_302600_NS6detail15normal_iteratorINS9_10device_ptrItEEEESE_PS5_SF_jNS0_19identity_decomposerENS1_16block_id_wrapperIjLb1EEEEE10hipError_tT1_PNSt15iterator_traitsISK_E10value_typeET2_T3_PNSL_ISQ_E10value_typeET4_T5_PSV_SW_PNS1_23onesweep_lookback_stateEbbT6_jjT7_P12ihipStream_tbENKUlT_T0_SK_SP_E_clIPtSE_SF_SF_EEDaS13_S14_SK_SP_EUlS13_E_NS1_11comp_targetILNS1_3genE8ELNS1_11target_archE1030ELNS1_3gpuE2ELNS1_3repE0EEENS1_47radix_sort_onesweep_sort_config_static_selectorELNS0_4arch9wavefront6targetE1EEEvSK_,"axG",@progbits,_ZN7rocprim17ROCPRIM_400000_NS6detail17trampoline_kernelINS0_14default_configENS1_35radix_sort_onesweep_config_selectorItNS0_10empty_typeEEEZZNS1_29radix_sort_onesweep_iterationIS3_Lb0EN6thrust23THRUST_200600_302600_NS6detail15normal_iteratorINS9_10device_ptrItEEEESE_PS5_SF_jNS0_19identity_decomposerENS1_16block_id_wrapperIjLb1EEEEE10hipError_tT1_PNSt15iterator_traitsISK_E10value_typeET2_T3_PNSL_ISQ_E10value_typeET4_T5_PSV_SW_PNS1_23onesweep_lookback_stateEbbT6_jjT7_P12ihipStream_tbENKUlT_T0_SK_SP_E_clIPtSE_SF_SF_EEDaS13_S14_SK_SP_EUlS13_E_NS1_11comp_targetILNS1_3genE8ELNS1_11target_archE1030ELNS1_3gpuE2ELNS1_3repE0EEENS1_47radix_sort_onesweep_sort_config_static_selectorELNS0_4arch9wavefront6targetE1EEEvSK_,comdat
.Lfunc_end1364:
	.size	_ZN7rocprim17ROCPRIM_400000_NS6detail17trampoline_kernelINS0_14default_configENS1_35radix_sort_onesweep_config_selectorItNS0_10empty_typeEEEZZNS1_29radix_sort_onesweep_iterationIS3_Lb0EN6thrust23THRUST_200600_302600_NS6detail15normal_iteratorINS9_10device_ptrItEEEESE_PS5_SF_jNS0_19identity_decomposerENS1_16block_id_wrapperIjLb1EEEEE10hipError_tT1_PNSt15iterator_traitsISK_E10value_typeET2_T3_PNSL_ISQ_E10value_typeET4_T5_PSV_SW_PNS1_23onesweep_lookback_stateEbbT6_jjT7_P12ihipStream_tbENKUlT_T0_SK_SP_E_clIPtSE_SF_SF_EEDaS13_S14_SK_SP_EUlS13_E_NS1_11comp_targetILNS1_3genE8ELNS1_11target_archE1030ELNS1_3gpuE2ELNS1_3repE0EEENS1_47radix_sort_onesweep_sort_config_static_selectorELNS0_4arch9wavefront6targetE1EEEvSK_, .Lfunc_end1364-_ZN7rocprim17ROCPRIM_400000_NS6detail17trampoline_kernelINS0_14default_configENS1_35radix_sort_onesweep_config_selectorItNS0_10empty_typeEEEZZNS1_29radix_sort_onesweep_iterationIS3_Lb0EN6thrust23THRUST_200600_302600_NS6detail15normal_iteratorINS9_10device_ptrItEEEESE_PS5_SF_jNS0_19identity_decomposerENS1_16block_id_wrapperIjLb1EEEEE10hipError_tT1_PNSt15iterator_traitsISK_E10value_typeET2_T3_PNSL_ISQ_E10value_typeET4_T5_PSV_SW_PNS1_23onesweep_lookback_stateEbbT6_jjT7_P12ihipStream_tbENKUlT_T0_SK_SP_E_clIPtSE_SF_SF_EEDaS13_S14_SK_SP_EUlS13_E_NS1_11comp_targetILNS1_3genE8ELNS1_11target_archE1030ELNS1_3gpuE2ELNS1_3repE0EEENS1_47radix_sort_onesweep_sort_config_static_selectorELNS0_4arch9wavefront6targetE1EEEvSK_
                                        ; -- End function
	.section	.AMDGPU.csdata,"",@progbits
; Kernel info:
; codeLenInByte = 0
; NumSgprs: 4
; NumVgprs: 0
; NumAgprs: 0
; TotalNumVgprs: 0
; ScratchSize: 0
; MemoryBound: 0
; FloatMode: 240
; IeeeMode: 1
; LDSByteSize: 0 bytes/workgroup (compile time only)
; SGPRBlocks: 0
; VGPRBlocks: 0
; NumSGPRsForWavesPerEU: 4
; NumVGPRsForWavesPerEU: 1
; AccumOffset: 4
; Occupancy: 8
; WaveLimiterHint : 0
; COMPUTE_PGM_RSRC2:SCRATCH_EN: 0
; COMPUTE_PGM_RSRC2:USER_SGPR: 6
; COMPUTE_PGM_RSRC2:TRAP_HANDLER: 0
; COMPUTE_PGM_RSRC2:TGID_X_EN: 1
; COMPUTE_PGM_RSRC2:TGID_Y_EN: 0
; COMPUTE_PGM_RSRC2:TGID_Z_EN: 0
; COMPUTE_PGM_RSRC2:TIDIG_COMP_CNT: 0
; COMPUTE_PGM_RSRC3_GFX90A:ACCUM_OFFSET: 0
; COMPUTE_PGM_RSRC3_GFX90A:TG_SPLIT: 0
	.section	.text._ZN7rocprim17ROCPRIM_400000_NS6detail17trampoline_kernelINS0_14default_configENS1_35radix_sort_onesweep_config_selectorItNS0_10empty_typeEEEZZNS1_29radix_sort_onesweep_iterationIS3_Lb0EN6thrust23THRUST_200600_302600_NS6detail15normal_iteratorINS9_10device_ptrItEEEESE_PS5_SF_jNS0_19identity_decomposerENS1_16block_id_wrapperIjLb0EEEEE10hipError_tT1_PNSt15iterator_traitsISK_E10value_typeET2_T3_PNSL_ISQ_E10value_typeET4_T5_PSV_SW_PNS1_23onesweep_lookback_stateEbbT6_jjT7_P12ihipStream_tbENKUlT_T0_SK_SP_E_clISE_SE_SF_SF_EEDaS13_S14_SK_SP_EUlS13_E_NS1_11comp_targetILNS1_3genE0ELNS1_11target_archE4294967295ELNS1_3gpuE0ELNS1_3repE0EEENS1_47radix_sort_onesweep_sort_config_static_selectorELNS0_4arch9wavefront6targetE1EEEvSK_,"axG",@progbits,_ZN7rocprim17ROCPRIM_400000_NS6detail17trampoline_kernelINS0_14default_configENS1_35radix_sort_onesweep_config_selectorItNS0_10empty_typeEEEZZNS1_29radix_sort_onesweep_iterationIS3_Lb0EN6thrust23THRUST_200600_302600_NS6detail15normal_iteratorINS9_10device_ptrItEEEESE_PS5_SF_jNS0_19identity_decomposerENS1_16block_id_wrapperIjLb0EEEEE10hipError_tT1_PNSt15iterator_traitsISK_E10value_typeET2_T3_PNSL_ISQ_E10value_typeET4_T5_PSV_SW_PNS1_23onesweep_lookback_stateEbbT6_jjT7_P12ihipStream_tbENKUlT_T0_SK_SP_E_clISE_SE_SF_SF_EEDaS13_S14_SK_SP_EUlS13_E_NS1_11comp_targetILNS1_3genE0ELNS1_11target_archE4294967295ELNS1_3gpuE0ELNS1_3repE0EEENS1_47radix_sort_onesweep_sort_config_static_selectorELNS0_4arch9wavefront6targetE1EEEvSK_,comdat
	.protected	_ZN7rocprim17ROCPRIM_400000_NS6detail17trampoline_kernelINS0_14default_configENS1_35radix_sort_onesweep_config_selectorItNS0_10empty_typeEEEZZNS1_29radix_sort_onesweep_iterationIS3_Lb0EN6thrust23THRUST_200600_302600_NS6detail15normal_iteratorINS9_10device_ptrItEEEESE_PS5_SF_jNS0_19identity_decomposerENS1_16block_id_wrapperIjLb0EEEEE10hipError_tT1_PNSt15iterator_traitsISK_E10value_typeET2_T3_PNSL_ISQ_E10value_typeET4_T5_PSV_SW_PNS1_23onesweep_lookback_stateEbbT6_jjT7_P12ihipStream_tbENKUlT_T0_SK_SP_E_clISE_SE_SF_SF_EEDaS13_S14_SK_SP_EUlS13_E_NS1_11comp_targetILNS1_3genE0ELNS1_11target_archE4294967295ELNS1_3gpuE0ELNS1_3repE0EEENS1_47radix_sort_onesweep_sort_config_static_selectorELNS0_4arch9wavefront6targetE1EEEvSK_ ; -- Begin function _ZN7rocprim17ROCPRIM_400000_NS6detail17trampoline_kernelINS0_14default_configENS1_35radix_sort_onesweep_config_selectorItNS0_10empty_typeEEEZZNS1_29radix_sort_onesweep_iterationIS3_Lb0EN6thrust23THRUST_200600_302600_NS6detail15normal_iteratorINS9_10device_ptrItEEEESE_PS5_SF_jNS0_19identity_decomposerENS1_16block_id_wrapperIjLb0EEEEE10hipError_tT1_PNSt15iterator_traitsISK_E10value_typeET2_T3_PNSL_ISQ_E10value_typeET4_T5_PSV_SW_PNS1_23onesweep_lookback_stateEbbT6_jjT7_P12ihipStream_tbENKUlT_T0_SK_SP_E_clISE_SE_SF_SF_EEDaS13_S14_SK_SP_EUlS13_E_NS1_11comp_targetILNS1_3genE0ELNS1_11target_archE4294967295ELNS1_3gpuE0ELNS1_3repE0EEENS1_47radix_sort_onesweep_sort_config_static_selectorELNS0_4arch9wavefront6targetE1EEEvSK_
	.globl	_ZN7rocprim17ROCPRIM_400000_NS6detail17trampoline_kernelINS0_14default_configENS1_35radix_sort_onesweep_config_selectorItNS0_10empty_typeEEEZZNS1_29radix_sort_onesweep_iterationIS3_Lb0EN6thrust23THRUST_200600_302600_NS6detail15normal_iteratorINS9_10device_ptrItEEEESE_PS5_SF_jNS0_19identity_decomposerENS1_16block_id_wrapperIjLb0EEEEE10hipError_tT1_PNSt15iterator_traitsISK_E10value_typeET2_T3_PNSL_ISQ_E10value_typeET4_T5_PSV_SW_PNS1_23onesweep_lookback_stateEbbT6_jjT7_P12ihipStream_tbENKUlT_T0_SK_SP_E_clISE_SE_SF_SF_EEDaS13_S14_SK_SP_EUlS13_E_NS1_11comp_targetILNS1_3genE0ELNS1_11target_archE4294967295ELNS1_3gpuE0ELNS1_3repE0EEENS1_47radix_sort_onesweep_sort_config_static_selectorELNS0_4arch9wavefront6targetE1EEEvSK_
	.p2align	8
	.type	_ZN7rocprim17ROCPRIM_400000_NS6detail17trampoline_kernelINS0_14default_configENS1_35radix_sort_onesweep_config_selectorItNS0_10empty_typeEEEZZNS1_29radix_sort_onesweep_iterationIS3_Lb0EN6thrust23THRUST_200600_302600_NS6detail15normal_iteratorINS9_10device_ptrItEEEESE_PS5_SF_jNS0_19identity_decomposerENS1_16block_id_wrapperIjLb0EEEEE10hipError_tT1_PNSt15iterator_traitsISK_E10value_typeET2_T3_PNSL_ISQ_E10value_typeET4_T5_PSV_SW_PNS1_23onesweep_lookback_stateEbbT6_jjT7_P12ihipStream_tbENKUlT_T0_SK_SP_E_clISE_SE_SF_SF_EEDaS13_S14_SK_SP_EUlS13_E_NS1_11comp_targetILNS1_3genE0ELNS1_11target_archE4294967295ELNS1_3gpuE0ELNS1_3repE0EEENS1_47radix_sort_onesweep_sort_config_static_selectorELNS0_4arch9wavefront6targetE1EEEvSK_,@function
_ZN7rocprim17ROCPRIM_400000_NS6detail17trampoline_kernelINS0_14default_configENS1_35radix_sort_onesweep_config_selectorItNS0_10empty_typeEEEZZNS1_29radix_sort_onesweep_iterationIS3_Lb0EN6thrust23THRUST_200600_302600_NS6detail15normal_iteratorINS9_10device_ptrItEEEESE_PS5_SF_jNS0_19identity_decomposerENS1_16block_id_wrapperIjLb0EEEEE10hipError_tT1_PNSt15iterator_traitsISK_E10value_typeET2_T3_PNSL_ISQ_E10value_typeET4_T5_PSV_SW_PNS1_23onesweep_lookback_stateEbbT6_jjT7_P12ihipStream_tbENKUlT_T0_SK_SP_E_clISE_SE_SF_SF_EEDaS13_S14_SK_SP_EUlS13_E_NS1_11comp_targetILNS1_3genE0ELNS1_11target_archE4294967295ELNS1_3gpuE0ELNS1_3repE0EEENS1_47radix_sort_onesweep_sort_config_static_selectorELNS0_4arch9wavefront6targetE1EEEvSK_: ; @_ZN7rocprim17ROCPRIM_400000_NS6detail17trampoline_kernelINS0_14default_configENS1_35radix_sort_onesweep_config_selectorItNS0_10empty_typeEEEZZNS1_29radix_sort_onesweep_iterationIS3_Lb0EN6thrust23THRUST_200600_302600_NS6detail15normal_iteratorINS9_10device_ptrItEEEESE_PS5_SF_jNS0_19identity_decomposerENS1_16block_id_wrapperIjLb0EEEEE10hipError_tT1_PNSt15iterator_traitsISK_E10value_typeET2_T3_PNSL_ISQ_E10value_typeET4_T5_PSV_SW_PNS1_23onesweep_lookback_stateEbbT6_jjT7_P12ihipStream_tbENKUlT_T0_SK_SP_E_clISE_SE_SF_SF_EEDaS13_S14_SK_SP_EUlS13_E_NS1_11comp_targetILNS1_3genE0ELNS1_11target_archE4294967295ELNS1_3gpuE0ELNS1_3repE0EEENS1_47radix_sort_onesweep_sort_config_static_selectorELNS0_4arch9wavefront6targetE1EEEvSK_
; %bb.0:
	.section	.rodata,"a",@progbits
	.p2align	6, 0x0
	.amdhsa_kernel _ZN7rocprim17ROCPRIM_400000_NS6detail17trampoline_kernelINS0_14default_configENS1_35radix_sort_onesweep_config_selectorItNS0_10empty_typeEEEZZNS1_29radix_sort_onesweep_iterationIS3_Lb0EN6thrust23THRUST_200600_302600_NS6detail15normal_iteratorINS9_10device_ptrItEEEESE_PS5_SF_jNS0_19identity_decomposerENS1_16block_id_wrapperIjLb0EEEEE10hipError_tT1_PNSt15iterator_traitsISK_E10value_typeET2_T3_PNSL_ISQ_E10value_typeET4_T5_PSV_SW_PNS1_23onesweep_lookback_stateEbbT6_jjT7_P12ihipStream_tbENKUlT_T0_SK_SP_E_clISE_SE_SF_SF_EEDaS13_S14_SK_SP_EUlS13_E_NS1_11comp_targetILNS1_3genE0ELNS1_11target_archE4294967295ELNS1_3gpuE0ELNS1_3repE0EEENS1_47radix_sort_onesweep_sort_config_static_selectorELNS0_4arch9wavefront6targetE1EEEvSK_
		.amdhsa_group_segment_fixed_size 0
		.amdhsa_private_segment_fixed_size 0
		.amdhsa_kernarg_size 88
		.amdhsa_user_sgpr_count 6
		.amdhsa_user_sgpr_private_segment_buffer 1
		.amdhsa_user_sgpr_dispatch_ptr 0
		.amdhsa_user_sgpr_queue_ptr 0
		.amdhsa_user_sgpr_kernarg_segment_ptr 1
		.amdhsa_user_sgpr_dispatch_id 0
		.amdhsa_user_sgpr_flat_scratch_init 0
		.amdhsa_user_sgpr_kernarg_preload_length 0
		.amdhsa_user_sgpr_kernarg_preload_offset 0
		.amdhsa_user_sgpr_private_segment_size 0
		.amdhsa_uses_dynamic_stack 0
		.amdhsa_system_sgpr_private_segment_wavefront_offset 0
		.amdhsa_system_sgpr_workgroup_id_x 1
		.amdhsa_system_sgpr_workgroup_id_y 0
		.amdhsa_system_sgpr_workgroup_id_z 0
		.amdhsa_system_sgpr_workgroup_info 0
		.amdhsa_system_vgpr_workitem_id 0
		.amdhsa_next_free_vgpr 1
		.amdhsa_next_free_sgpr 0
		.amdhsa_accum_offset 4
		.amdhsa_reserve_vcc 0
		.amdhsa_reserve_flat_scratch 0
		.amdhsa_float_round_mode_32 0
		.amdhsa_float_round_mode_16_64 0
		.amdhsa_float_denorm_mode_32 3
		.amdhsa_float_denorm_mode_16_64 3
		.amdhsa_dx10_clamp 1
		.amdhsa_ieee_mode 1
		.amdhsa_fp16_overflow 0
		.amdhsa_tg_split 0
		.amdhsa_exception_fp_ieee_invalid_op 0
		.amdhsa_exception_fp_denorm_src 0
		.amdhsa_exception_fp_ieee_div_zero 0
		.amdhsa_exception_fp_ieee_overflow 0
		.amdhsa_exception_fp_ieee_underflow 0
		.amdhsa_exception_fp_ieee_inexact 0
		.amdhsa_exception_int_div_zero 0
	.end_amdhsa_kernel
	.section	.text._ZN7rocprim17ROCPRIM_400000_NS6detail17trampoline_kernelINS0_14default_configENS1_35radix_sort_onesweep_config_selectorItNS0_10empty_typeEEEZZNS1_29radix_sort_onesweep_iterationIS3_Lb0EN6thrust23THRUST_200600_302600_NS6detail15normal_iteratorINS9_10device_ptrItEEEESE_PS5_SF_jNS0_19identity_decomposerENS1_16block_id_wrapperIjLb0EEEEE10hipError_tT1_PNSt15iterator_traitsISK_E10value_typeET2_T3_PNSL_ISQ_E10value_typeET4_T5_PSV_SW_PNS1_23onesweep_lookback_stateEbbT6_jjT7_P12ihipStream_tbENKUlT_T0_SK_SP_E_clISE_SE_SF_SF_EEDaS13_S14_SK_SP_EUlS13_E_NS1_11comp_targetILNS1_3genE0ELNS1_11target_archE4294967295ELNS1_3gpuE0ELNS1_3repE0EEENS1_47radix_sort_onesweep_sort_config_static_selectorELNS0_4arch9wavefront6targetE1EEEvSK_,"axG",@progbits,_ZN7rocprim17ROCPRIM_400000_NS6detail17trampoline_kernelINS0_14default_configENS1_35radix_sort_onesweep_config_selectorItNS0_10empty_typeEEEZZNS1_29radix_sort_onesweep_iterationIS3_Lb0EN6thrust23THRUST_200600_302600_NS6detail15normal_iteratorINS9_10device_ptrItEEEESE_PS5_SF_jNS0_19identity_decomposerENS1_16block_id_wrapperIjLb0EEEEE10hipError_tT1_PNSt15iterator_traitsISK_E10value_typeET2_T3_PNSL_ISQ_E10value_typeET4_T5_PSV_SW_PNS1_23onesweep_lookback_stateEbbT6_jjT7_P12ihipStream_tbENKUlT_T0_SK_SP_E_clISE_SE_SF_SF_EEDaS13_S14_SK_SP_EUlS13_E_NS1_11comp_targetILNS1_3genE0ELNS1_11target_archE4294967295ELNS1_3gpuE0ELNS1_3repE0EEENS1_47radix_sort_onesweep_sort_config_static_selectorELNS0_4arch9wavefront6targetE1EEEvSK_,comdat
.Lfunc_end1365:
	.size	_ZN7rocprim17ROCPRIM_400000_NS6detail17trampoline_kernelINS0_14default_configENS1_35radix_sort_onesweep_config_selectorItNS0_10empty_typeEEEZZNS1_29radix_sort_onesweep_iterationIS3_Lb0EN6thrust23THRUST_200600_302600_NS6detail15normal_iteratorINS9_10device_ptrItEEEESE_PS5_SF_jNS0_19identity_decomposerENS1_16block_id_wrapperIjLb0EEEEE10hipError_tT1_PNSt15iterator_traitsISK_E10value_typeET2_T3_PNSL_ISQ_E10value_typeET4_T5_PSV_SW_PNS1_23onesweep_lookback_stateEbbT6_jjT7_P12ihipStream_tbENKUlT_T0_SK_SP_E_clISE_SE_SF_SF_EEDaS13_S14_SK_SP_EUlS13_E_NS1_11comp_targetILNS1_3genE0ELNS1_11target_archE4294967295ELNS1_3gpuE0ELNS1_3repE0EEENS1_47radix_sort_onesweep_sort_config_static_selectorELNS0_4arch9wavefront6targetE1EEEvSK_, .Lfunc_end1365-_ZN7rocprim17ROCPRIM_400000_NS6detail17trampoline_kernelINS0_14default_configENS1_35radix_sort_onesweep_config_selectorItNS0_10empty_typeEEEZZNS1_29radix_sort_onesweep_iterationIS3_Lb0EN6thrust23THRUST_200600_302600_NS6detail15normal_iteratorINS9_10device_ptrItEEEESE_PS5_SF_jNS0_19identity_decomposerENS1_16block_id_wrapperIjLb0EEEEE10hipError_tT1_PNSt15iterator_traitsISK_E10value_typeET2_T3_PNSL_ISQ_E10value_typeET4_T5_PSV_SW_PNS1_23onesweep_lookback_stateEbbT6_jjT7_P12ihipStream_tbENKUlT_T0_SK_SP_E_clISE_SE_SF_SF_EEDaS13_S14_SK_SP_EUlS13_E_NS1_11comp_targetILNS1_3genE0ELNS1_11target_archE4294967295ELNS1_3gpuE0ELNS1_3repE0EEENS1_47radix_sort_onesweep_sort_config_static_selectorELNS0_4arch9wavefront6targetE1EEEvSK_
                                        ; -- End function
	.section	.AMDGPU.csdata,"",@progbits
; Kernel info:
; codeLenInByte = 0
; NumSgprs: 4
; NumVgprs: 0
; NumAgprs: 0
; TotalNumVgprs: 0
; ScratchSize: 0
; MemoryBound: 0
; FloatMode: 240
; IeeeMode: 1
; LDSByteSize: 0 bytes/workgroup (compile time only)
; SGPRBlocks: 0
; VGPRBlocks: 0
; NumSGPRsForWavesPerEU: 4
; NumVGPRsForWavesPerEU: 1
; AccumOffset: 4
; Occupancy: 8
; WaveLimiterHint : 0
; COMPUTE_PGM_RSRC2:SCRATCH_EN: 0
; COMPUTE_PGM_RSRC2:USER_SGPR: 6
; COMPUTE_PGM_RSRC2:TRAP_HANDLER: 0
; COMPUTE_PGM_RSRC2:TGID_X_EN: 1
; COMPUTE_PGM_RSRC2:TGID_Y_EN: 0
; COMPUTE_PGM_RSRC2:TGID_Z_EN: 0
; COMPUTE_PGM_RSRC2:TIDIG_COMP_CNT: 0
; COMPUTE_PGM_RSRC3_GFX90A:ACCUM_OFFSET: 0
; COMPUTE_PGM_RSRC3_GFX90A:TG_SPLIT: 0
	.section	.text._ZN7rocprim17ROCPRIM_400000_NS6detail17trampoline_kernelINS0_14default_configENS1_35radix_sort_onesweep_config_selectorItNS0_10empty_typeEEEZZNS1_29radix_sort_onesweep_iterationIS3_Lb0EN6thrust23THRUST_200600_302600_NS6detail15normal_iteratorINS9_10device_ptrItEEEESE_PS5_SF_jNS0_19identity_decomposerENS1_16block_id_wrapperIjLb0EEEEE10hipError_tT1_PNSt15iterator_traitsISK_E10value_typeET2_T3_PNSL_ISQ_E10value_typeET4_T5_PSV_SW_PNS1_23onesweep_lookback_stateEbbT6_jjT7_P12ihipStream_tbENKUlT_T0_SK_SP_E_clISE_SE_SF_SF_EEDaS13_S14_SK_SP_EUlS13_E_NS1_11comp_targetILNS1_3genE6ELNS1_11target_archE950ELNS1_3gpuE13ELNS1_3repE0EEENS1_47radix_sort_onesweep_sort_config_static_selectorELNS0_4arch9wavefront6targetE1EEEvSK_,"axG",@progbits,_ZN7rocprim17ROCPRIM_400000_NS6detail17trampoline_kernelINS0_14default_configENS1_35radix_sort_onesweep_config_selectorItNS0_10empty_typeEEEZZNS1_29radix_sort_onesweep_iterationIS3_Lb0EN6thrust23THRUST_200600_302600_NS6detail15normal_iteratorINS9_10device_ptrItEEEESE_PS5_SF_jNS0_19identity_decomposerENS1_16block_id_wrapperIjLb0EEEEE10hipError_tT1_PNSt15iterator_traitsISK_E10value_typeET2_T3_PNSL_ISQ_E10value_typeET4_T5_PSV_SW_PNS1_23onesweep_lookback_stateEbbT6_jjT7_P12ihipStream_tbENKUlT_T0_SK_SP_E_clISE_SE_SF_SF_EEDaS13_S14_SK_SP_EUlS13_E_NS1_11comp_targetILNS1_3genE6ELNS1_11target_archE950ELNS1_3gpuE13ELNS1_3repE0EEENS1_47radix_sort_onesweep_sort_config_static_selectorELNS0_4arch9wavefront6targetE1EEEvSK_,comdat
	.protected	_ZN7rocprim17ROCPRIM_400000_NS6detail17trampoline_kernelINS0_14default_configENS1_35radix_sort_onesweep_config_selectorItNS0_10empty_typeEEEZZNS1_29radix_sort_onesweep_iterationIS3_Lb0EN6thrust23THRUST_200600_302600_NS6detail15normal_iteratorINS9_10device_ptrItEEEESE_PS5_SF_jNS0_19identity_decomposerENS1_16block_id_wrapperIjLb0EEEEE10hipError_tT1_PNSt15iterator_traitsISK_E10value_typeET2_T3_PNSL_ISQ_E10value_typeET4_T5_PSV_SW_PNS1_23onesweep_lookback_stateEbbT6_jjT7_P12ihipStream_tbENKUlT_T0_SK_SP_E_clISE_SE_SF_SF_EEDaS13_S14_SK_SP_EUlS13_E_NS1_11comp_targetILNS1_3genE6ELNS1_11target_archE950ELNS1_3gpuE13ELNS1_3repE0EEENS1_47radix_sort_onesweep_sort_config_static_selectorELNS0_4arch9wavefront6targetE1EEEvSK_ ; -- Begin function _ZN7rocprim17ROCPRIM_400000_NS6detail17trampoline_kernelINS0_14default_configENS1_35radix_sort_onesweep_config_selectorItNS0_10empty_typeEEEZZNS1_29radix_sort_onesweep_iterationIS3_Lb0EN6thrust23THRUST_200600_302600_NS6detail15normal_iteratorINS9_10device_ptrItEEEESE_PS5_SF_jNS0_19identity_decomposerENS1_16block_id_wrapperIjLb0EEEEE10hipError_tT1_PNSt15iterator_traitsISK_E10value_typeET2_T3_PNSL_ISQ_E10value_typeET4_T5_PSV_SW_PNS1_23onesweep_lookback_stateEbbT6_jjT7_P12ihipStream_tbENKUlT_T0_SK_SP_E_clISE_SE_SF_SF_EEDaS13_S14_SK_SP_EUlS13_E_NS1_11comp_targetILNS1_3genE6ELNS1_11target_archE950ELNS1_3gpuE13ELNS1_3repE0EEENS1_47radix_sort_onesweep_sort_config_static_selectorELNS0_4arch9wavefront6targetE1EEEvSK_
	.globl	_ZN7rocprim17ROCPRIM_400000_NS6detail17trampoline_kernelINS0_14default_configENS1_35radix_sort_onesweep_config_selectorItNS0_10empty_typeEEEZZNS1_29radix_sort_onesweep_iterationIS3_Lb0EN6thrust23THRUST_200600_302600_NS6detail15normal_iteratorINS9_10device_ptrItEEEESE_PS5_SF_jNS0_19identity_decomposerENS1_16block_id_wrapperIjLb0EEEEE10hipError_tT1_PNSt15iterator_traitsISK_E10value_typeET2_T3_PNSL_ISQ_E10value_typeET4_T5_PSV_SW_PNS1_23onesweep_lookback_stateEbbT6_jjT7_P12ihipStream_tbENKUlT_T0_SK_SP_E_clISE_SE_SF_SF_EEDaS13_S14_SK_SP_EUlS13_E_NS1_11comp_targetILNS1_3genE6ELNS1_11target_archE950ELNS1_3gpuE13ELNS1_3repE0EEENS1_47radix_sort_onesweep_sort_config_static_selectorELNS0_4arch9wavefront6targetE1EEEvSK_
	.p2align	8
	.type	_ZN7rocprim17ROCPRIM_400000_NS6detail17trampoline_kernelINS0_14default_configENS1_35radix_sort_onesweep_config_selectorItNS0_10empty_typeEEEZZNS1_29radix_sort_onesweep_iterationIS3_Lb0EN6thrust23THRUST_200600_302600_NS6detail15normal_iteratorINS9_10device_ptrItEEEESE_PS5_SF_jNS0_19identity_decomposerENS1_16block_id_wrapperIjLb0EEEEE10hipError_tT1_PNSt15iterator_traitsISK_E10value_typeET2_T3_PNSL_ISQ_E10value_typeET4_T5_PSV_SW_PNS1_23onesweep_lookback_stateEbbT6_jjT7_P12ihipStream_tbENKUlT_T0_SK_SP_E_clISE_SE_SF_SF_EEDaS13_S14_SK_SP_EUlS13_E_NS1_11comp_targetILNS1_3genE6ELNS1_11target_archE950ELNS1_3gpuE13ELNS1_3repE0EEENS1_47radix_sort_onesweep_sort_config_static_selectorELNS0_4arch9wavefront6targetE1EEEvSK_,@function
_ZN7rocprim17ROCPRIM_400000_NS6detail17trampoline_kernelINS0_14default_configENS1_35radix_sort_onesweep_config_selectorItNS0_10empty_typeEEEZZNS1_29radix_sort_onesweep_iterationIS3_Lb0EN6thrust23THRUST_200600_302600_NS6detail15normal_iteratorINS9_10device_ptrItEEEESE_PS5_SF_jNS0_19identity_decomposerENS1_16block_id_wrapperIjLb0EEEEE10hipError_tT1_PNSt15iterator_traitsISK_E10value_typeET2_T3_PNSL_ISQ_E10value_typeET4_T5_PSV_SW_PNS1_23onesweep_lookback_stateEbbT6_jjT7_P12ihipStream_tbENKUlT_T0_SK_SP_E_clISE_SE_SF_SF_EEDaS13_S14_SK_SP_EUlS13_E_NS1_11comp_targetILNS1_3genE6ELNS1_11target_archE950ELNS1_3gpuE13ELNS1_3repE0EEENS1_47radix_sort_onesweep_sort_config_static_selectorELNS0_4arch9wavefront6targetE1EEEvSK_: ; @_ZN7rocprim17ROCPRIM_400000_NS6detail17trampoline_kernelINS0_14default_configENS1_35radix_sort_onesweep_config_selectorItNS0_10empty_typeEEEZZNS1_29radix_sort_onesweep_iterationIS3_Lb0EN6thrust23THRUST_200600_302600_NS6detail15normal_iteratorINS9_10device_ptrItEEEESE_PS5_SF_jNS0_19identity_decomposerENS1_16block_id_wrapperIjLb0EEEEE10hipError_tT1_PNSt15iterator_traitsISK_E10value_typeET2_T3_PNSL_ISQ_E10value_typeET4_T5_PSV_SW_PNS1_23onesweep_lookback_stateEbbT6_jjT7_P12ihipStream_tbENKUlT_T0_SK_SP_E_clISE_SE_SF_SF_EEDaS13_S14_SK_SP_EUlS13_E_NS1_11comp_targetILNS1_3genE6ELNS1_11target_archE950ELNS1_3gpuE13ELNS1_3repE0EEENS1_47radix_sort_onesweep_sort_config_static_selectorELNS0_4arch9wavefront6targetE1EEEvSK_
; %bb.0:
	.section	.rodata,"a",@progbits
	.p2align	6, 0x0
	.amdhsa_kernel _ZN7rocprim17ROCPRIM_400000_NS6detail17trampoline_kernelINS0_14default_configENS1_35radix_sort_onesweep_config_selectorItNS0_10empty_typeEEEZZNS1_29radix_sort_onesweep_iterationIS3_Lb0EN6thrust23THRUST_200600_302600_NS6detail15normal_iteratorINS9_10device_ptrItEEEESE_PS5_SF_jNS0_19identity_decomposerENS1_16block_id_wrapperIjLb0EEEEE10hipError_tT1_PNSt15iterator_traitsISK_E10value_typeET2_T3_PNSL_ISQ_E10value_typeET4_T5_PSV_SW_PNS1_23onesweep_lookback_stateEbbT6_jjT7_P12ihipStream_tbENKUlT_T0_SK_SP_E_clISE_SE_SF_SF_EEDaS13_S14_SK_SP_EUlS13_E_NS1_11comp_targetILNS1_3genE6ELNS1_11target_archE950ELNS1_3gpuE13ELNS1_3repE0EEENS1_47radix_sort_onesweep_sort_config_static_selectorELNS0_4arch9wavefront6targetE1EEEvSK_
		.amdhsa_group_segment_fixed_size 0
		.amdhsa_private_segment_fixed_size 0
		.amdhsa_kernarg_size 88
		.amdhsa_user_sgpr_count 6
		.amdhsa_user_sgpr_private_segment_buffer 1
		.amdhsa_user_sgpr_dispatch_ptr 0
		.amdhsa_user_sgpr_queue_ptr 0
		.amdhsa_user_sgpr_kernarg_segment_ptr 1
		.amdhsa_user_sgpr_dispatch_id 0
		.amdhsa_user_sgpr_flat_scratch_init 0
		.amdhsa_user_sgpr_kernarg_preload_length 0
		.amdhsa_user_sgpr_kernarg_preload_offset 0
		.amdhsa_user_sgpr_private_segment_size 0
		.amdhsa_uses_dynamic_stack 0
		.amdhsa_system_sgpr_private_segment_wavefront_offset 0
		.amdhsa_system_sgpr_workgroup_id_x 1
		.amdhsa_system_sgpr_workgroup_id_y 0
		.amdhsa_system_sgpr_workgroup_id_z 0
		.amdhsa_system_sgpr_workgroup_info 0
		.amdhsa_system_vgpr_workitem_id 0
		.amdhsa_next_free_vgpr 1
		.amdhsa_next_free_sgpr 0
		.amdhsa_accum_offset 4
		.amdhsa_reserve_vcc 0
		.amdhsa_reserve_flat_scratch 0
		.amdhsa_float_round_mode_32 0
		.amdhsa_float_round_mode_16_64 0
		.amdhsa_float_denorm_mode_32 3
		.amdhsa_float_denorm_mode_16_64 3
		.amdhsa_dx10_clamp 1
		.amdhsa_ieee_mode 1
		.amdhsa_fp16_overflow 0
		.amdhsa_tg_split 0
		.amdhsa_exception_fp_ieee_invalid_op 0
		.amdhsa_exception_fp_denorm_src 0
		.amdhsa_exception_fp_ieee_div_zero 0
		.amdhsa_exception_fp_ieee_overflow 0
		.amdhsa_exception_fp_ieee_underflow 0
		.amdhsa_exception_fp_ieee_inexact 0
		.amdhsa_exception_int_div_zero 0
	.end_amdhsa_kernel
	.section	.text._ZN7rocprim17ROCPRIM_400000_NS6detail17trampoline_kernelINS0_14default_configENS1_35radix_sort_onesweep_config_selectorItNS0_10empty_typeEEEZZNS1_29radix_sort_onesweep_iterationIS3_Lb0EN6thrust23THRUST_200600_302600_NS6detail15normal_iteratorINS9_10device_ptrItEEEESE_PS5_SF_jNS0_19identity_decomposerENS1_16block_id_wrapperIjLb0EEEEE10hipError_tT1_PNSt15iterator_traitsISK_E10value_typeET2_T3_PNSL_ISQ_E10value_typeET4_T5_PSV_SW_PNS1_23onesweep_lookback_stateEbbT6_jjT7_P12ihipStream_tbENKUlT_T0_SK_SP_E_clISE_SE_SF_SF_EEDaS13_S14_SK_SP_EUlS13_E_NS1_11comp_targetILNS1_3genE6ELNS1_11target_archE950ELNS1_3gpuE13ELNS1_3repE0EEENS1_47radix_sort_onesweep_sort_config_static_selectorELNS0_4arch9wavefront6targetE1EEEvSK_,"axG",@progbits,_ZN7rocprim17ROCPRIM_400000_NS6detail17trampoline_kernelINS0_14default_configENS1_35radix_sort_onesweep_config_selectorItNS0_10empty_typeEEEZZNS1_29radix_sort_onesweep_iterationIS3_Lb0EN6thrust23THRUST_200600_302600_NS6detail15normal_iteratorINS9_10device_ptrItEEEESE_PS5_SF_jNS0_19identity_decomposerENS1_16block_id_wrapperIjLb0EEEEE10hipError_tT1_PNSt15iterator_traitsISK_E10value_typeET2_T3_PNSL_ISQ_E10value_typeET4_T5_PSV_SW_PNS1_23onesweep_lookback_stateEbbT6_jjT7_P12ihipStream_tbENKUlT_T0_SK_SP_E_clISE_SE_SF_SF_EEDaS13_S14_SK_SP_EUlS13_E_NS1_11comp_targetILNS1_3genE6ELNS1_11target_archE950ELNS1_3gpuE13ELNS1_3repE0EEENS1_47radix_sort_onesweep_sort_config_static_selectorELNS0_4arch9wavefront6targetE1EEEvSK_,comdat
.Lfunc_end1366:
	.size	_ZN7rocprim17ROCPRIM_400000_NS6detail17trampoline_kernelINS0_14default_configENS1_35radix_sort_onesweep_config_selectorItNS0_10empty_typeEEEZZNS1_29radix_sort_onesweep_iterationIS3_Lb0EN6thrust23THRUST_200600_302600_NS6detail15normal_iteratorINS9_10device_ptrItEEEESE_PS5_SF_jNS0_19identity_decomposerENS1_16block_id_wrapperIjLb0EEEEE10hipError_tT1_PNSt15iterator_traitsISK_E10value_typeET2_T3_PNSL_ISQ_E10value_typeET4_T5_PSV_SW_PNS1_23onesweep_lookback_stateEbbT6_jjT7_P12ihipStream_tbENKUlT_T0_SK_SP_E_clISE_SE_SF_SF_EEDaS13_S14_SK_SP_EUlS13_E_NS1_11comp_targetILNS1_3genE6ELNS1_11target_archE950ELNS1_3gpuE13ELNS1_3repE0EEENS1_47radix_sort_onesweep_sort_config_static_selectorELNS0_4arch9wavefront6targetE1EEEvSK_, .Lfunc_end1366-_ZN7rocprim17ROCPRIM_400000_NS6detail17trampoline_kernelINS0_14default_configENS1_35radix_sort_onesweep_config_selectorItNS0_10empty_typeEEEZZNS1_29radix_sort_onesweep_iterationIS3_Lb0EN6thrust23THRUST_200600_302600_NS6detail15normal_iteratorINS9_10device_ptrItEEEESE_PS5_SF_jNS0_19identity_decomposerENS1_16block_id_wrapperIjLb0EEEEE10hipError_tT1_PNSt15iterator_traitsISK_E10value_typeET2_T3_PNSL_ISQ_E10value_typeET4_T5_PSV_SW_PNS1_23onesweep_lookback_stateEbbT6_jjT7_P12ihipStream_tbENKUlT_T0_SK_SP_E_clISE_SE_SF_SF_EEDaS13_S14_SK_SP_EUlS13_E_NS1_11comp_targetILNS1_3genE6ELNS1_11target_archE950ELNS1_3gpuE13ELNS1_3repE0EEENS1_47radix_sort_onesweep_sort_config_static_selectorELNS0_4arch9wavefront6targetE1EEEvSK_
                                        ; -- End function
	.section	.AMDGPU.csdata,"",@progbits
; Kernel info:
; codeLenInByte = 0
; NumSgprs: 4
; NumVgprs: 0
; NumAgprs: 0
; TotalNumVgprs: 0
; ScratchSize: 0
; MemoryBound: 0
; FloatMode: 240
; IeeeMode: 1
; LDSByteSize: 0 bytes/workgroup (compile time only)
; SGPRBlocks: 0
; VGPRBlocks: 0
; NumSGPRsForWavesPerEU: 4
; NumVGPRsForWavesPerEU: 1
; AccumOffset: 4
; Occupancy: 8
; WaveLimiterHint : 0
; COMPUTE_PGM_RSRC2:SCRATCH_EN: 0
; COMPUTE_PGM_RSRC2:USER_SGPR: 6
; COMPUTE_PGM_RSRC2:TRAP_HANDLER: 0
; COMPUTE_PGM_RSRC2:TGID_X_EN: 1
; COMPUTE_PGM_RSRC2:TGID_Y_EN: 0
; COMPUTE_PGM_RSRC2:TGID_Z_EN: 0
; COMPUTE_PGM_RSRC2:TIDIG_COMP_CNT: 0
; COMPUTE_PGM_RSRC3_GFX90A:ACCUM_OFFSET: 0
; COMPUTE_PGM_RSRC3_GFX90A:TG_SPLIT: 0
	.section	.text._ZN7rocprim17ROCPRIM_400000_NS6detail17trampoline_kernelINS0_14default_configENS1_35radix_sort_onesweep_config_selectorItNS0_10empty_typeEEEZZNS1_29radix_sort_onesweep_iterationIS3_Lb0EN6thrust23THRUST_200600_302600_NS6detail15normal_iteratorINS9_10device_ptrItEEEESE_PS5_SF_jNS0_19identity_decomposerENS1_16block_id_wrapperIjLb0EEEEE10hipError_tT1_PNSt15iterator_traitsISK_E10value_typeET2_T3_PNSL_ISQ_E10value_typeET4_T5_PSV_SW_PNS1_23onesweep_lookback_stateEbbT6_jjT7_P12ihipStream_tbENKUlT_T0_SK_SP_E_clISE_SE_SF_SF_EEDaS13_S14_SK_SP_EUlS13_E_NS1_11comp_targetILNS1_3genE5ELNS1_11target_archE942ELNS1_3gpuE9ELNS1_3repE0EEENS1_47radix_sort_onesweep_sort_config_static_selectorELNS0_4arch9wavefront6targetE1EEEvSK_,"axG",@progbits,_ZN7rocprim17ROCPRIM_400000_NS6detail17trampoline_kernelINS0_14default_configENS1_35radix_sort_onesweep_config_selectorItNS0_10empty_typeEEEZZNS1_29radix_sort_onesweep_iterationIS3_Lb0EN6thrust23THRUST_200600_302600_NS6detail15normal_iteratorINS9_10device_ptrItEEEESE_PS5_SF_jNS0_19identity_decomposerENS1_16block_id_wrapperIjLb0EEEEE10hipError_tT1_PNSt15iterator_traitsISK_E10value_typeET2_T3_PNSL_ISQ_E10value_typeET4_T5_PSV_SW_PNS1_23onesweep_lookback_stateEbbT6_jjT7_P12ihipStream_tbENKUlT_T0_SK_SP_E_clISE_SE_SF_SF_EEDaS13_S14_SK_SP_EUlS13_E_NS1_11comp_targetILNS1_3genE5ELNS1_11target_archE942ELNS1_3gpuE9ELNS1_3repE0EEENS1_47radix_sort_onesweep_sort_config_static_selectorELNS0_4arch9wavefront6targetE1EEEvSK_,comdat
	.protected	_ZN7rocprim17ROCPRIM_400000_NS6detail17trampoline_kernelINS0_14default_configENS1_35radix_sort_onesweep_config_selectorItNS0_10empty_typeEEEZZNS1_29radix_sort_onesweep_iterationIS3_Lb0EN6thrust23THRUST_200600_302600_NS6detail15normal_iteratorINS9_10device_ptrItEEEESE_PS5_SF_jNS0_19identity_decomposerENS1_16block_id_wrapperIjLb0EEEEE10hipError_tT1_PNSt15iterator_traitsISK_E10value_typeET2_T3_PNSL_ISQ_E10value_typeET4_T5_PSV_SW_PNS1_23onesweep_lookback_stateEbbT6_jjT7_P12ihipStream_tbENKUlT_T0_SK_SP_E_clISE_SE_SF_SF_EEDaS13_S14_SK_SP_EUlS13_E_NS1_11comp_targetILNS1_3genE5ELNS1_11target_archE942ELNS1_3gpuE9ELNS1_3repE0EEENS1_47radix_sort_onesweep_sort_config_static_selectorELNS0_4arch9wavefront6targetE1EEEvSK_ ; -- Begin function _ZN7rocprim17ROCPRIM_400000_NS6detail17trampoline_kernelINS0_14default_configENS1_35radix_sort_onesweep_config_selectorItNS0_10empty_typeEEEZZNS1_29radix_sort_onesweep_iterationIS3_Lb0EN6thrust23THRUST_200600_302600_NS6detail15normal_iteratorINS9_10device_ptrItEEEESE_PS5_SF_jNS0_19identity_decomposerENS1_16block_id_wrapperIjLb0EEEEE10hipError_tT1_PNSt15iterator_traitsISK_E10value_typeET2_T3_PNSL_ISQ_E10value_typeET4_T5_PSV_SW_PNS1_23onesweep_lookback_stateEbbT6_jjT7_P12ihipStream_tbENKUlT_T0_SK_SP_E_clISE_SE_SF_SF_EEDaS13_S14_SK_SP_EUlS13_E_NS1_11comp_targetILNS1_3genE5ELNS1_11target_archE942ELNS1_3gpuE9ELNS1_3repE0EEENS1_47radix_sort_onesweep_sort_config_static_selectorELNS0_4arch9wavefront6targetE1EEEvSK_
	.globl	_ZN7rocprim17ROCPRIM_400000_NS6detail17trampoline_kernelINS0_14default_configENS1_35radix_sort_onesweep_config_selectorItNS0_10empty_typeEEEZZNS1_29radix_sort_onesweep_iterationIS3_Lb0EN6thrust23THRUST_200600_302600_NS6detail15normal_iteratorINS9_10device_ptrItEEEESE_PS5_SF_jNS0_19identity_decomposerENS1_16block_id_wrapperIjLb0EEEEE10hipError_tT1_PNSt15iterator_traitsISK_E10value_typeET2_T3_PNSL_ISQ_E10value_typeET4_T5_PSV_SW_PNS1_23onesweep_lookback_stateEbbT6_jjT7_P12ihipStream_tbENKUlT_T0_SK_SP_E_clISE_SE_SF_SF_EEDaS13_S14_SK_SP_EUlS13_E_NS1_11comp_targetILNS1_3genE5ELNS1_11target_archE942ELNS1_3gpuE9ELNS1_3repE0EEENS1_47radix_sort_onesweep_sort_config_static_selectorELNS0_4arch9wavefront6targetE1EEEvSK_
	.p2align	8
	.type	_ZN7rocprim17ROCPRIM_400000_NS6detail17trampoline_kernelINS0_14default_configENS1_35radix_sort_onesweep_config_selectorItNS0_10empty_typeEEEZZNS1_29radix_sort_onesweep_iterationIS3_Lb0EN6thrust23THRUST_200600_302600_NS6detail15normal_iteratorINS9_10device_ptrItEEEESE_PS5_SF_jNS0_19identity_decomposerENS1_16block_id_wrapperIjLb0EEEEE10hipError_tT1_PNSt15iterator_traitsISK_E10value_typeET2_T3_PNSL_ISQ_E10value_typeET4_T5_PSV_SW_PNS1_23onesweep_lookback_stateEbbT6_jjT7_P12ihipStream_tbENKUlT_T0_SK_SP_E_clISE_SE_SF_SF_EEDaS13_S14_SK_SP_EUlS13_E_NS1_11comp_targetILNS1_3genE5ELNS1_11target_archE942ELNS1_3gpuE9ELNS1_3repE0EEENS1_47radix_sort_onesweep_sort_config_static_selectorELNS0_4arch9wavefront6targetE1EEEvSK_,@function
_ZN7rocprim17ROCPRIM_400000_NS6detail17trampoline_kernelINS0_14default_configENS1_35radix_sort_onesweep_config_selectorItNS0_10empty_typeEEEZZNS1_29radix_sort_onesweep_iterationIS3_Lb0EN6thrust23THRUST_200600_302600_NS6detail15normal_iteratorINS9_10device_ptrItEEEESE_PS5_SF_jNS0_19identity_decomposerENS1_16block_id_wrapperIjLb0EEEEE10hipError_tT1_PNSt15iterator_traitsISK_E10value_typeET2_T3_PNSL_ISQ_E10value_typeET4_T5_PSV_SW_PNS1_23onesweep_lookback_stateEbbT6_jjT7_P12ihipStream_tbENKUlT_T0_SK_SP_E_clISE_SE_SF_SF_EEDaS13_S14_SK_SP_EUlS13_E_NS1_11comp_targetILNS1_3genE5ELNS1_11target_archE942ELNS1_3gpuE9ELNS1_3repE0EEENS1_47radix_sort_onesweep_sort_config_static_selectorELNS0_4arch9wavefront6targetE1EEEvSK_: ; @_ZN7rocprim17ROCPRIM_400000_NS6detail17trampoline_kernelINS0_14default_configENS1_35radix_sort_onesweep_config_selectorItNS0_10empty_typeEEEZZNS1_29radix_sort_onesweep_iterationIS3_Lb0EN6thrust23THRUST_200600_302600_NS6detail15normal_iteratorINS9_10device_ptrItEEEESE_PS5_SF_jNS0_19identity_decomposerENS1_16block_id_wrapperIjLb0EEEEE10hipError_tT1_PNSt15iterator_traitsISK_E10value_typeET2_T3_PNSL_ISQ_E10value_typeET4_T5_PSV_SW_PNS1_23onesweep_lookback_stateEbbT6_jjT7_P12ihipStream_tbENKUlT_T0_SK_SP_E_clISE_SE_SF_SF_EEDaS13_S14_SK_SP_EUlS13_E_NS1_11comp_targetILNS1_3genE5ELNS1_11target_archE942ELNS1_3gpuE9ELNS1_3repE0EEENS1_47radix_sort_onesweep_sort_config_static_selectorELNS0_4arch9wavefront6targetE1EEEvSK_
; %bb.0:
	.section	.rodata,"a",@progbits
	.p2align	6, 0x0
	.amdhsa_kernel _ZN7rocprim17ROCPRIM_400000_NS6detail17trampoline_kernelINS0_14default_configENS1_35radix_sort_onesweep_config_selectorItNS0_10empty_typeEEEZZNS1_29radix_sort_onesweep_iterationIS3_Lb0EN6thrust23THRUST_200600_302600_NS6detail15normal_iteratorINS9_10device_ptrItEEEESE_PS5_SF_jNS0_19identity_decomposerENS1_16block_id_wrapperIjLb0EEEEE10hipError_tT1_PNSt15iterator_traitsISK_E10value_typeET2_T3_PNSL_ISQ_E10value_typeET4_T5_PSV_SW_PNS1_23onesweep_lookback_stateEbbT6_jjT7_P12ihipStream_tbENKUlT_T0_SK_SP_E_clISE_SE_SF_SF_EEDaS13_S14_SK_SP_EUlS13_E_NS1_11comp_targetILNS1_3genE5ELNS1_11target_archE942ELNS1_3gpuE9ELNS1_3repE0EEENS1_47radix_sort_onesweep_sort_config_static_selectorELNS0_4arch9wavefront6targetE1EEEvSK_
		.amdhsa_group_segment_fixed_size 0
		.amdhsa_private_segment_fixed_size 0
		.amdhsa_kernarg_size 88
		.amdhsa_user_sgpr_count 6
		.amdhsa_user_sgpr_private_segment_buffer 1
		.amdhsa_user_sgpr_dispatch_ptr 0
		.amdhsa_user_sgpr_queue_ptr 0
		.amdhsa_user_sgpr_kernarg_segment_ptr 1
		.amdhsa_user_sgpr_dispatch_id 0
		.amdhsa_user_sgpr_flat_scratch_init 0
		.amdhsa_user_sgpr_kernarg_preload_length 0
		.amdhsa_user_sgpr_kernarg_preload_offset 0
		.amdhsa_user_sgpr_private_segment_size 0
		.amdhsa_uses_dynamic_stack 0
		.amdhsa_system_sgpr_private_segment_wavefront_offset 0
		.amdhsa_system_sgpr_workgroup_id_x 1
		.amdhsa_system_sgpr_workgroup_id_y 0
		.amdhsa_system_sgpr_workgroup_id_z 0
		.amdhsa_system_sgpr_workgroup_info 0
		.amdhsa_system_vgpr_workitem_id 0
		.amdhsa_next_free_vgpr 1
		.amdhsa_next_free_sgpr 0
		.amdhsa_accum_offset 4
		.amdhsa_reserve_vcc 0
		.amdhsa_reserve_flat_scratch 0
		.amdhsa_float_round_mode_32 0
		.amdhsa_float_round_mode_16_64 0
		.amdhsa_float_denorm_mode_32 3
		.amdhsa_float_denorm_mode_16_64 3
		.amdhsa_dx10_clamp 1
		.amdhsa_ieee_mode 1
		.amdhsa_fp16_overflow 0
		.amdhsa_tg_split 0
		.amdhsa_exception_fp_ieee_invalid_op 0
		.amdhsa_exception_fp_denorm_src 0
		.amdhsa_exception_fp_ieee_div_zero 0
		.amdhsa_exception_fp_ieee_overflow 0
		.amdhsa_exception_fp_ieee_underflow 0
		.amdhsa_exception_fp_ieee_inexact 0
		.amdhsa_exception_int_div_zero 0
	.end_amdhsa_kernel
	.section	.text._ZN7rocprim17ROCPRIM_400000_NS6detail17trampoline_kernelINS0_14default_configENS1_35radix_sort_onesweep_config_selectorItNS0_10empty_typeEEEZZNS1_29radix_sort_onesweep_iterationIS3_Lb0EN6thrust23THRUST_200600_302600_NS6detail15normal_iteratorINS9_10device_ptrItEEEESE_PS5_SF_jNS0_19identity_decomposerENS1_16block_id_wrapperIjLb0EEEEE10hipError_tT1_PNSt15iterator_traitsISK_E10value_typeET2_T3_PNSL_ISQ_E10value_typeET4_T5_PSV_SW_PNS1_23onesweep_lookback_stateEbbT6_jjT7_P12ihipStream_tbENKUlT_T0_SK_SP_E_clISE_SE_SF_SF_EEDaS13_S14_SK_SP_EUlS13_E_NS1_11comp_targetILNS1_3genE5ELNS1_11target_archE942ELNS1_3gpuE9ELNS1_3repE0EEENS1_47radix_sort_onesweep_sort_config_static_selectorELNS0_4arch9wavefront6targetE1EEEvSK_,"axG",@progbits,_ZN7rocprim17ROCPRIM_400000_NS6detail17trampoline_kernelINS0_14default_configENS1_35radix_sort_onesweep_config_selectorItNS0_10empty_typeEEEZZNS1_29radix_sort_onesweep_iterationIS3_Lb0EN6thrust23THRUST_200600_302600_NS6detail15normal_iteratorINS9_10device_ptrItEEEESE_PS5_SF_jNS0_19identity_decomposerENS1_16block_id_wrapperIjLb0EEEEE10hipError_tT1_PNSt15iterator_traitsISK_E10value_typeET2_T3_PNSL_ISQ_E10value_typeET4_T5_PSV_SW_PNS1_23onesweep_lookback_stateEbbT6_jjT7_P12ihipStream_tbENKUlT_T0_SK_SP_E_clISE_SE_SF_SF_EEDaS13_S14_SK_SP_EUlS13_E_NS1_11comp_targetILNS1_3genE5ELNS1_11target_archE942ELNS1_3gpuE9ELNS1_3repE0EEENS1_47radix_sort_onesweep_sort_config_static_selectorELNS0_4arch9wavefront6targetE1EEEvSK_,comdat
.Lfunc_end1367:
	.size	_ZN7rocprim17ROCPRIM_400000_NS6detail17trampoline_kernelINS0_14default_configENS1_35radix_sort_onesweep_config_selectorItNS0_10empty_typeEEEZZNS1_29radix_sort_onesweep_iterationIS3_Lb0EN6thrust23THRUST_200600_302600_NS6detail15normal_iteratorINS9_10device_ptrItEEEESE_PS5_SF_jNS0_19identity_decomposerENS1_16block_id_wrapperIjLb0EEEEE10hipError_tT1_PNSt15iterator_traitsISK_E10value_typeET2_T3_PNSL_ISQ_E10value_typeET4_T5_PSV_SW_PNS1_23onesweep_lookback_stateEbbT6_jjT7_P12ihipStream_tbENKUlT_T0_SK_SP_E_clISE_SE_SF_SF_EEDaS13_S14_SK_SP_EUlS13_E_NS1_11comp_targetILNS1_3genE5ELNS1_11target_archE942ELNS1_3gpuE9ELNS1_3repE0EEENS1_47radix_sort_onesweep_sort_config_static_selectorELNS0_4arch9wavefront6targetE1EEEvSK_, .Lfunc_end1367-_ZN7rocprim17ROCPRIM_400000_NS6detail17trampoline_kernelINS0_14default_configENS1_35radix_sort_onesweep_config_selectorItNS0_10empty_typeEEEZZNS1_29radix_sort_onesweep_iterationIS3_Lb0EN6thrust23THRUST_200600_302600_NS6detail15normal_iteratorINS9_10device_ptrItEEEESE_PS5_SF_jNS0_19identity_decomposerENS1_16block_id_wrapperIjLb0EEEEE10hipError_tT1_PNSt15iterator_traitsISK_E10value_typeET2_T3_PNSL_ISQ_E10value_typeET4_T5_PSV_SW_PNS1_23onesweep_lookback_stateEbbT6_jjT7_P12ihipStream_tbENKUlT_T0_SK_SP_E_clISE_SE_SF_SF_EEDaS13_S14_SK_SP_EUlS13_E_NS1_11comp_targetILNS1_3genE5ELNS1_11target_archE942ELNS1_3gpuE9ELNS1_3repE0EEENS1_47radix_sort_onesweep_sort_config_static_selectorELNS0_4arch9wavefront6targetE1EEEvSK_
                                        ; -- End function
	.section	.AMDGPU.csdata,"",@progbits
; Kernel info:
; codeLenInByte = 0
; NumSgprs: 4
; NumVgprs: 0
; NumAgprs: 0
; TotalNumVgprs: 0
; ScratchSize: 0
; MemoryBound: 0
; FloatMode: 240
; IeeeMode: 1
; LDSByteSize: 0 bytes/workgroup (compile time only)
; SGPRBlocks: 0
; VGPRBlocks: 0
; NumSGPRsForWavesPerEU: 4
; NumVGPRsForWavesPerEU: 1
; AccumOffset: 4
; Occupancy: 8
; WaveLimiterHint : 0
; COMPUTE_PGM_RSRC2:SCRATCH_EN: 0
; COMPUTE_PGM_RSRC2:USER_SGPR: 6
; COMPUTE_PGM_RSRC2:TRAP_HANDLER: 0
; COMPUTE_PGM_RSRC2:TGID_X_EN: 1
; COMPUTE_PGM_RSRC2:TGID_Y_EN: 0
; COMPUTE_PGM_RSRC2:TGID_Z_EN: 0
; COMPUTE_PGM_RSRC2:TIDIG_COMP_CNT: 0
; COMPUTE_PGM_RSRC3_GFX90A:ACCUM_OFFSET: 0
; COMPUTE_PGM_RSRC3_GFX90A:TG_SPLIT: 0
	.section	.text._ZN7rocprim17ROCPRIM_400000_NS6detail17trampoline_kernelINS0_14default_configENS1_35radix_sort_onesweep_config_selectorItNS0_10empty_typeEEEZZNS1_29radix_sort_onesweep_iterationIS3_Lb0EN6thrust23THRUST_200600_302600_NS6detail15normal_iteratorINS9_10device_ptrItEEEESE_PS5_SF_jNS0_19identity_decomposerENS1_16block_id_wrapperIjLb0EEEEE10hipError_tT1_PNSt15iterator_traitsISK_E10value_typeET2_T3_PNSL_ISQ_E10value_typeET4_T5_PSV_SW_PNS1_23onesweep_lookback_stateEbbT6_jjT7_P12ihipStream_tbENKUlT_T0_SK_SP_E_clISE_SE_SF_SF_EEDaS13_S14_SK_SP_EUlS13_E_NS1_11comp_targetILNS1_3genE2ELNS1_11target_archE906ELNS1_3gpuE6ELNS1_3repE0EEENS1_47radix_sort_onesweep_sort_config_static_selectorELNS0_4arch9wavefront6targetE1EEEvSK_,"axG",@progbits,_ZN7rocprim17ROCPRIM_400000_NS6detail17trampoline_kernelINS0_14default_configENS1_35radix_sort_onesweep_config_selectorItNS0_10empty_typeEEEZZNS1_29radix_sort_onesweep_iterationIS3_Lb0EN6thrust23THRUST_200600_302600_NS6detail15normal_iteratorINS9_10device_ptrItEEEESE_PS5_SF_jNS0_19identity_decomposerENS1_16block_id_wrapperIjLb0EEEEE10hipError_tT1_PNSt15iterator_traitsISK_E10value_typeET2_T3_PNSL_ISQ_E10value_typeET4_T5_PSV_SW_PNS1_23onesweep_lookback_stateEbbT6_jjT7_P12ihipStream_tbENKUlT_T0_SK_SP_E_clISE_SE_SF_SF_EEDaS13_S14_SK_SP_EUlS13_E_NS1_11comp_targetILNS1_3genE2ELNS1_11target_archE906ELNS1_3gpuE6ELNS1_3repE0EEENS1_47radix_sort_onesweep_sort_config_static_selectorELNS0_4arch9wavefront6targetE1EEEvSK_,comdat
	.protected	_ZN7rocprim17ROCPRIM_400000_NS6detail17trampoline_kernelINS0_14default_configENS1_35radix_sort_onesweep_config_selectorItNS0_10empty_typeEEEZZNS1_29radix_sort_onesweep_iterationIS3_Lb0EN6thrust23THRUST_200600_302600_NS6detail15normal_iteratorINS9_10device_ptrItEEEESE_PS5_SF_jNS0_19identity_decomposerENS1_16block_id_wrapperIjLb0EEEEE10hipError_tT1_PNSt15iterator_traitsISK_E10value_typeET2_T3_PNSL_ISQ_E10value_typeET4_T5_PSV_SW_PNS1_23onesweep_lookback_stateEbbT6_jjT7_P12ihipStream_tbENKUlT_T0_SK_SP_E_clISE_SE_SF_SF_EEDaS13_S14_SK_SP_EUlS13_E_NS1_11comp_targetILNS1_3genE2ELNS1_11target_archE906ELNS1_3gpuE6ELNS1_3repE0EEENS1_47radix_sort_onesweep_sort_config_static_selectorELNS0_4arch9wavefront6targetE1EEEvSK_ ; -- Begin function _ZN7rocprim17ROCPRIM_400000_NS6detail17trampoline_kernelINS0_14default_configENS1_35radix_sort_onesweep_config_selectorItNS0_10empty_typeEEEZZNS1_29radix_sort_onesweep_iterationIS3_Lb0EN6thrust23THRUST_200600_302600_NS6detail15normal_iteratorINS9_10device_ptrItEEEESE_PS5_SF_jNS0_19identity_decomposerENS1_16block_id_wrapperIjLb0EEEEE10hipError_tT1_PNSt15iterator_traitsISK_E10value_typeET2_T3_PNSL_ISQ_E10value_typeET4_T5_PSV_SW_PNS1_23onesweep_lookback_stateEbbT6_jjT7_P12ihipStream_tbENKUlT_T0_SK_SP_E_clISE_SE_SF_SF_EEDaS13_S14_SK_SP_EUlS13_E_NS1_11comp_targetILNS1_3genE2ELNS1_11target_archE906ELNS1_3gpuE6ELNS1_3repE0EEENS1_47radix_sort_onesweep_sort_config_static_selectorELNS0_4arch9wavefront6targetE1EEEvSK_
	.globl	_ZN7rocprim17ROCPRIM_400000_NS6detail17trampoline_kernelINS0_14default_configENS1_35radix_sort_onesweep_config_selectorItNS0_10empty_typeEEEZZNS1_29radix_sort_onesweep_iterationIS3_Lb0EN6thrust23THRUST_200600_302600_NS6detail15normal_iteratorINS9_10device_ptrItEEEESE_PS5_SF_jNS0_19identity_decomposerENS1_16block_id_wrapperIjLb0EEEEE10hipError_tT1_PNSt15iterator_traitsISK_E10value_typeET2_T3_PNSL_ISQ_E10value_typeET4_T5_PSV_SW_PNS1_23onesweep_lookback_stateEbbT6_jjT7_P12ihipStream_tbENKUlT_T0_SK_SP_E_clISE_SE_SF_SF_EEDaS13_S14_SK_SP_EUlS13_E_NS1_11comp_targetILNS1_3genE2ELNS1_11target_archE906ELNS1_3gpuE6ELNS1_3repE0EEENS1_47radix_sort_onesweep_sort_config_static_selectorELNS0_4arch9wavefront6targetE1EEEvSK_
	.p2align	8
	.type	_ZN7rocprim17ROCPRIM_400000_NS6detail17trampoline_kernelINS0_14default_configENS1_35radix_sort_onesweep_config_selectorItNS0_10empty_typeEEEZZNS1_29radix_sort_onesweep_iterationIS3_Lb0EN6thrust23THRUST_200600_302600_NS6detail15normal_iteratorINS9_10device_ptrItEEEESE_PS5_SF_jNS0_19identity_decomposerENS1_16block_id_wrapperIjLb0EEEEE10hipError_tT1_PNSt15iterator_traitsISK_E10value_typeET2_T3_PNSL_ISQ_E10value_typeET4_T5_PSV_SW_PNS1_23onesweep_lookback_stateEbbT6_jjT7_P12ihipStream_tbENKUlT_T0_SK_SP_E_clISE_SE_SF_SF_EEDaS13_S14_SK_SP_EUlS13_E_NS1_11comp_targetILNS1_3genE2ELNS1_11target_archE906ELNS1_3gpuE6ELNS1_3repE0EEENS1_47radix_sort_onesweep_sort_config_static_selectorELNS0_4arch9wavefront6targetE1EEEvSK_,@function
_ZN7rocprim17ROCPRIM_400000_NS6detail17trampoline_kernelINS0_14default_configENS1_35radix_sort_onesweep_config_selectorItNS0_10empty_typeEEEZZNS1_29radix_sort_onesweep_iterationIS3_Lb0EN6thrust23THRUST_200600_302600_NS6detail15normal_iteratorINS9_10device_ptrItEEEESE_PS5_SF_jNS0_19identity_decomposerENS1_16block_id_wrapperIjLb0EEEEE10hipError_tT1_PNSt15iterator_traitsISK_E10value_typeET2_T3_PNSL_ISQ_E10value_typeET4_T5_PSV_SW_PNS1_23onesweep_lookback_stateEbbT6_jjT7_P12ihipStream_tbENKUlT_T0_SK_SP_E_clISE_SE_SF_SF_EEDaS13_S14_SK_SP_EUlS13_E_NS1_11comp_targetILNS1_3genE2ELNS1_11target_archE906ELNS1_3gpuE6ELNS1_3repE0EEENS1_47radix_sort_onesweep_sort_config_static_selectorELNS0_4arch9wavefront6targetE1EEEvSK_: ; @_ZN7rocprim17ROCPRIM_400000_NS6detail17trampoline_kernelINS0_14default_configENS1_35radix_sort_onesweep_config_selectorItNS0_10empty_typeEEEZZNS1_29radix_sort_onesweep_iterationIS3_Lb0EN6thrust23THRUST_200600_302600_NS6detail15normal_iteratorINS9_10device_ptrItEEEESE_PS5_SF_jNS0_19identity_decomposerENS1_16block_id_wrapperIjLb0EEEEE10hipError_tT1_PNSt15iterator_traitsISK_E10value_typeET2_T3_PNSL_ISQ_E10value_typeET4_T5_PSV_SW_PNS1_23onesweep_lookback_stateEbbT6_jjT7_P12ihipStream_tbENKUlT_T0_SK_SP_E_clISE_SE_SF_SF_EEDaS13_S14_SK_SP_EUlS13_E_NS1_11comp_targetILNS1_3genE2ELNS1_11target_archE906ELNS1_3gpuE6ELNS1_3repE0EEENS1_47radix_sort_onesweep_sort_config_static_selectorELNS0_4arch9wavefront6targetE1EEEvSK_
; %bb.0:
	.section	.rodata,"a",@progbits
	.p2align	6, 0x0
	.amdhsa_kernel _ZN7rocprim17ROCPRIM_400000_NS6detail17trampoline_kernelINS0_14default_configENS1_35radix_sort_onesweep_config_selectorItNS0_10empty_typeEEEZZNS1_29radix_sort_onesweep_iterationIS3_Lb0EN6thrust23THRUST_200600_302600_NS6detail15normal_iteratorINS9_10device_ptrItEEEESE_PS5_SF_jNS0_19identity_decomposerENS1_16block_id_wrapperIjLb0EEEEE10hipError_tT1_PNSt15iterator_traitsISK_E10value_typeET2_T3_PNSL_ISQ_E10value_typeET4_T5_PSV_SW_PNS1_23onesweep_lookback_stateEbbT6_jjT7_P12ihipStream_tbENKUlT_T0_SK_SP_E_clISE_SE_SF_SF_EEDaS13_S14_SK_SP_EUlS13_E_NS1_11comp_targetILNS1_3genE2ELNS1_11target_archE906ELNS1_3gpuE6ELNS1_3repE0EEENS1_47radix_sort_onesweep_sort_config_static_selectorELNS0_4arch9wavefront6targetE1EEEvSK_
		.amdhsa_group_segment_fixed_size 0
		.amdhsa_private_segment_fixed_size 0
		.amdhsa_kernarg_size 88
		.amdhsa_user_sgpr_count 6
		.amdhsa_user_sgpr_private_segment_buffer 1
		.amdhsa_user_sgpr_dispatch_ptr 0
		.amdhsa_user_sgpr_queue_ptr 0
		.amdhsa_user_sgpr_kernarg_segment_ptr 1
		.amdhsa_user_sgpr_dispatch_id 0
		.amdhsa_user_sgpr_flat_scratch_init 0
		.amdhsa_user_sgpr_kernarg_preload_length 0
		.amdhsa_user_sgpr_kernarg_preload_offset 0
		.amdhsa_user_sgpr_private_segment_size 0
		.amdhsa_uses_dynamic_stack 0
		.amdhsa_system_sgpr_private_segment_wavefront_offset 0
		.amdhsa_system_sgpr_workgroup_id_x 1
		.amdhsa_system_sgpr_workgroup_id_y 0
		.amdhsa_system_sgpr_workgroup_id_z 0
		.amdhsa_system_sgpr_workgroup_info 0
		.amdhsa_system_vgpr_workitem_id 0
		.amdhsa_next_free_vgpr 1
		.amdhsa_next_free_sgpr 0
		.amdhsa_accum_offset 4
		.amdhsa_reserve_vcc 0
		.amdhsa_reserve_flat_scratch 0
		.amdhsa_float_round_mode_32 0
		.amdhsa_float_round_mode_16_64 0
		.amdhsa_float_denorm_mode_32 3
		.amdhsa_float_denorm_mode_16_64 3
		.amdhsa_dx10_clamp 1
		.amdhsa_ieee_mode 1
		.amdhsa_fp16_overflow 0
		.amdhsa_tg_split 0
		.amdhsa_exception_fp_ieee_invalid_op 0
		.amdhsa_exception_fp_denorm_src 0
		.amdhsa_exception_fp_ieee_div_zero 0
		.amdhsa_exception_fp_ieee_overflow 0
		.amdhsa_exception_fp_ieee_underflow 0
		.amdhsa_exception_fp_ieee_inexact 0
		.amdhsa_exception_int_div_zero 0
	.end_amdhsa_kernel
	.section	.text._ZN7rocprim17ROCPRIM_400000_NS6detail17trampoline_kernelINS0_14default_configENS1_35radix_sort_onesweep_config_selectorItNS0_10empty_typeEEEZZNS1_29radix_sort_onesweep_iterationIS3_Lb0EN6thrust23THRUST_200600_302600_NS6detail15normal_iteratorINS9_10device_ptrItEEEESE_PS5_SF_jNS0_19identity_decomposerENS1_16block_id_wrapperIjLb0EEEEE10hipError_tT1_PNSt15iterator_traitsISK_E10value_typeET2_T3_PNSL_ISQ_E10value_typeET4_T5_PSV_SW_PNS1_23onesweep_lookback_stateEbbT6_jjT7_P12ihipStream_tbENKUlT_T0_SK_SP_E_clISE_SE_SF_SF_EEDaS13_S14_SK_SP_EUlS13_E_NS1_11comp_targetILNS1_3genE2ELNS1_11target_archE906ELNS1_3gpuE6ELNS1_3repE0EEENS1_47radix_sort_onesweep_sort_config_static_selectorELNS0_4arch9wavefront6targetE1EEEvSK_,"axG",@progbits,_ZN7rocprim17ROCPRIM_400000_NS6detail17trampoline_kernelINS0_14default_configENS1_35radix_sort_onesweep_config_selectorItNS0_10empty_typeEEEZZNS1_29radix_sort_onesweep_iterationIS3_Lb0EN6thrust23THRUST_200600_302600_NS6detail15normal_iteratorINS9_10device_ptrItEEEESE_PS5_SF_jNS0_19identity_decomposerENS1_16block_id_wrapperIjLb0EEEEE10hipError_tT1_PNSt15iterator_traitsISK_E10value_typeET2_T3_PNSL_ISQ_E10value_typeET4_T5_PSV_SW_PNS1_23onesweep_lookback_stateEbbT6_jjT7_P12ihipStream_tbENKUlT_T0_SK_SP_E_clISE_SE_SF_SF_EEDaS13_S14_SK_SP_EUlS13_E_NS1_11comp_targetILNS1_3genE2ELNS1_11target_archE906ELNS1_3gpuE6ELNS1_3repE0EEENS1_47radix_sort_onesweep_sort_config_static_selectorELNS0_4arch9wavefront6targetE1EEEvSK_,comdat
.Lfunc_end1368:
	.size	_ZN7rocprim17ROCPRIM_400000_NS6detail17trampoline_kernelINS0_14default_configENS1_35radix_sort_onesweep_config_selectorItNS0_10empty_typeEEEZZNS1_29radix_sort_onesweep_iterationIS3_Lb0EN6thrust23THRUST_200600_302600_NS6detail15normal_iteratorINS9_10device_ptrItEEEESE_PS5_SF_jNS0_19identity_decomposerENS1_16block_id_wrapperIjLb0EEEEE10hipError_tT1_PNSt15iterator_traitsISK_E10value_typeET2_T3_PNSL_ISQ_E10value_typeET4_T5_PSV_SW_PNS1_23onesweep_lookback_stateEbbT6_jjT7_P12ihipStream_tbENKUlT_T0_SK_SP_E_clISE_SE_SF_SF_EEDaS13_S14_SK_SP_EUlS13_E_NS1_11comp_targetILNS1_3genE2ELNS1_11target_archE906ELNS1_3gpuE6ELNS1_3repE0EEENS1_47radix_sort_onesweep_sort_config_static_selectorELNS0_4arch9wavefront6targetE1EEEvSK_, .Lfunc_end1368-_ZN7rocprim17ROCPRIM_400000_NS6detail17trampoline_kernelINS0_14default_configENS1_35radix_sort_onesweep_config_selectorItNS0_10empty_typeEEEZZNS1_29radix_sort_onesweep_iterationIS3_Lb0EN6thrust23THRUST_200600_302600_NS6detail15normal_iteratorINS9_10device_ptrItEEEESE_PS5_SF_jNS0_19identity_decomposerENS1_16block_id_wrapperIjLb0EEEEE10hipError_tT1_PNSt15iterator_traitsISK_E10value_typeET2_T3_PNSL_ISQ_E10value_typeET4_T5_PSV_SW_PNS1_23onesweep_lookback_stateEbbT6_jjT7_P12ihipStream_tbENKUlT_T0_SK_SP_E_clISE_SE_SF_SF_EEDaS13_S14_SK_SP_EUlS13_E_NS1_11comp_targetILNS1_3genE2ELNS1_11target_archE906ELNS1_3gpuE6ELNS1_3repE0EEENS1_47radix_sort_onesweep_sort_config_static_selectorELNS0_4arch9wavefront6targetE1EEEvSK_
                                        ; -- End function
	.section	.AMDGPU.csdata,"",@progbits
; Kernel info:
; codeLenInByte = 0
; NumSgprs: 4
; NumVgprs: 0
; NumAgprs: 0
; TotalNumVgprs: 0
; ScratchSize: 0
; MemoryBound: 0
; FloatMode: 240
; IeeeMode: 1
; LDSByteSize: 0 bytes/workgroup (compile time only)
; SGPRBlocks: 0
; VGPRBlocks: 0
; NumSGPRsForWavesPerEU: 4
; NumVGPRsForWavesPerEU: 1
; AccumOffset: 4
; Occupancy: 8
; WaveLimiterHint : 0
; COMPUTE_PGM_RSRC2:SCRATCH_EN: 0
; COMPUTE_PGM_RSRC2:USER_SGPR: 6
; COMPUTE_PGM_RSRC2:TRAP_HANDLER: 0
; COMPUTE_PGM_RSRC2:TGID_X_EN: 1
; COMPUTE_PGM_RSRC2:TGID_Y_EN: 0
; COMPUTE_PGM_RSRC2:TGID_Z_EN: 0
; COMPUTE_PGM_RSRC2:TIDIG_COMP_CNT: 0
; COMPUTE_PGM_RSRC3_GFX90A:ACCUM_OFFSET: 0
; COMPUTE_PGM_RSRC3_GFX90A:TG_SPLIT: 0
	.section	.text._ZN7rocprim17ROCPRIM_400000_NS6detail17trampoline_kernelINS0_14default_configENS1_35radix_sort_onesweep_config_selectorItNS0_10empty_typeEEEZZNS1_29radix_sort_onesweep_iterationIS3_Lb0EN6thrust23THRUST_200600_302600_NS6detail15normal_iteratorINS9_10device_ptrItEEEESE_PS5_SF_jNS0_19identity_decomposerENS1_16block_id_wrapperIjLb0EEEEE10hipError_tT1_PNSt15iterator_traitsISK_E10value_typeET2_T3_PNSL_ISQ_E10value_typeET4_T5_PSV_SW_PNS1_23onesweep_lookback_stateEbbT6_jjT7_P12ihipStream_tbENKUlT_T0_SK_SP_E_clISE_SE_SF_SF_EEDaS13_S14_SK_SP_EUlS13_E_NS1_11comp_targetILNS1_3genE4ELNS1_11target_archE910ELNS1_3gpuE8ELNS1_3repE0EEENS1_47radix_sort_onesweep_sort_config_static_selectorELNS0_4arch9wavefront6targetE1EEEvSK_,"axG",@progbits,_ZN7rocprim17ROCPRIM_400000_NS6detail17trampoline_kernelINS0_14default_configENS1_35radix_sort_onesweep_config_selectorItNS0_10empty_typeEEEZZNS1_29radix_sort_onesweep_iterationIS3_Lb0EN6thrust23THRUST_200600_302600_NS6detail15normal_iteratorINS9_10device_ptrItEEEESE_PS5_SF_jNS0_19identity_decomposerENS1_16block_id_wrapperIjLb0EEEEE10hipError_tT1_PNSt15iterator_traitsISK_E10value_typeET2_T3_PNSL_ISQ_E10value_typeET4_T5_PSV_SW_PNS1_23onesweep_lookback_stateEbbT6_jjT7_P12ihipStream_tbENKUlT_T0_SK_SP_E_clISE_SE_SF_SF_EEDaS13_S14_SK_SP_EUlS13_E_NS1_11comp_targetILNS1_3genE4ELNS1_11target_archE910ELNS1_3gpuE8ELNS1_3repE0EEENS1_47radix_sort_onesweep_sort_config_static_selectorELNS0_4arch9wavefront6targetE1EEEvSK_,comdat
	.protected	_ZN7rocprim17ROCPRIM_400000_NS6detail17trampoline_kernelINS0_14default_configENS1_35radix_sort_onesweep_config_selectorItNS0_10empty_typeEEEZZNS1_29radix_sort_onesweep_iterationIS3_Lb0EN6thrust23THRUST_200600_302600_NS6detail15normal_iteratorINS9_10device_ptrItEEEESE_PS5_SF_jNS0_19identity_decomposerENS1_16block_id_wrapperIjLb0EEEEE10hipError_tT1_PNSt15iterator_traitsISK_E10value_typeET2_T3_PNSL_ISQ_E10value_typeET4_T5_PSV_SW_PNS1_23onesweep_lookback_stateEbbT6_jjT7_P12ihipStream_tbENKUlT_T0_SK_SP_E_clISE_SE_SF_SF_EEDaS13_S14_SK_SP_EUlS13_E_NS1_11comp_targetILNS1_3genE4ELNS1_11target_archE910ELNS1_3gpuE8ELNS1_3repE0EEENS1_47radix_sort_onesweep_sort_config_static_selectorELNS0_4arch9wavefront6targetE1EEEvSK_ ; -- Begin function _ZN7rocprim17ROCPRIM_400000_NS6detail17trampoline_kernelINS0_14default_configENS1_35radix_sort_onesweep_config_selectorItNS0_10empty_typeEEEZZNS1_29radix_sort_onesweep_iterationIS3_Lb0EN6thrust23THRUST_200600_302600_NS6detail15normal_iteratorINS9_10device_ptrItEEEESE_PS5_SF_jNS0_19identity_decomposerENS1_16block_id_wrapperIjLb0EEEEE10hipError_tT1_PNSt15iterator_traitsISK_E10value_typeET2_T3_PNSL_ISQ_E10value_typeET4_T5_PSV_SW_PNS1_23onesweep_lookback_stateEbbT6_jjT7_P12ihipStream_tbENKUlT_T0_SK_SP_E_clISE_SE_SF_SF_EEDaS13_S14_SK_SP_EUlS13_E_NS1_11comp_targetILNS1_3genE4ELNS1_11target_archE910ELNS1_3gpuE8ELNS1_3repE0EEENS1_47radix_sort_onesweep_sort_config_static_selectorELNS0_4arch9wavefront6targetE1EEEvSK_
	.globl	_ZN7rocprim17ROCPRIM_400000_NS6detail17trampoline_kernelINS0_14default_configENS1_35radix_sort_onesweep_config_selectorItNS0_10empty_typeEEEZZNS1_29radix_sort_onesweep_iterationIS3_Lb0EN6thrust23THRUST_200600_302600_NS6detail15normal_iteratorINS9_10device_ptrItEEEESE_PS5_SF_jNS0_19identity_decomposerENS1_16block_id_wrapperIjLb0EEEEE10hipError_tT1_PNSt15iterator_traitsISK_E10value_typeET2_T3_PNSL_ISQ_E10value_typeET4_T5_PSV_SW_PNS1_23onesweep_lookback_stateEbbT6_jjT7_P12ihipStream_tbENKUlT_T0_SK_SP_E_clISE_SE_SF_SF_EEDaS13_S14_SK_SP_EUlS13_E_NS1_11comp_targetILNS1_3genE4ELNS1_11target_archE910ELNS1_3gpuE8ELNS1_3repE0EEENS1_47radix_sort_onesweep_sort_config_static_selectorELNS0_4arch9wavefront6targetE1EEEvSK_
	.p2align	8
	.type	_ZN7rocprim17ROCPRIM_400000_NS6detail17trampoline_kernelINS0_14default_configENS1_35radix_sort_onesweep_config_selectorItNS0_10empty_typeEEEZZNS1_29radix_sort_onesweep_iterationIS3_Lb0EN6thrust23THRUST_200600_302600_NS6detail15normal_iteratorINS9_10device_ptrItEEEESE_PS5_SF_jNS0_19identity_decomposerENS1_16block_id_wrapperIjLb0EEEEE10hipError_tT1_PNSt15iterator_traitsISK_E10value_typeET2_T3_PNSL_ISQ_E10value_typeET4_T5_PSV_SW_PNS1_23onesweep_lookback_stateEbbT6_jjT7_P12ihipStream_tbENKUlT_T0_SK_SP_E_clISE_SE_SF_SF_EEDaS13_S14_SK_SP_EUlS13_E_NS1_11comp_targetILNS1_3genE4ELNS1_11target_archE910ELNS1_3gpuE8ELNS1_3repE0EEENS1_47radix_sort_onesweep_sort_config_static_selectorELNS0_4arch9wavefront6targetE1EEEvSK_,@function
_ZN7rocprim17ROCPRIM_400000_NS6detail17trampoline_kernelINS0_14default_configENS1_35radix_sort_onesweep_config_selectorItNS0_10empty_typeEEEZZNS1_29radix_sort_onesweep_iterationIS3_Lb0EN6thrust23THRUST_200600_302600_NS6detail15normal_iteratorINS9_10device_ptrItEEEESE_PS5_SF_jNS0_19identity_decomposerENS1_16block_id_wrapperIjLb0EEEEE10hipError_tT1_PNSt15iterator_traitsISK_E10value_typeET2_T3_PNSL_ISQ_E10value_typeET4_T5_PSV_SW_PNS1_23onesweep_lookback_stateEbbT6_jjT7_P12ihipStream_tbENKUlT_T0_SK_SP_E_clISE_SE_SF_SF_EEDaS13_S14_SK_SP_EUlS13_E_NS1_11comp_targetILNS1_3genE4ELNS1_11target_archE910ELNS1_3gpuE8ELNS1_3repE0EEENS1_47radix_sort_onesweep_sort_config_static_selectorELNS0_4arch9wavefront6targetE1EEEvSK_: ; @_ZN7rocprim17ROCPRIM_400000_NS6detail17trampoline_kernelINS0_14default_configENS1_35radix_sort_onesweep_config_selectorItNS0_10empty_typeEEEZZNS1_29radix_sort_onesweep_iterationIS3_Lb0EN6thrust23THRUST_200600_302600_NS6detail15normal_iteratorINS9_10device_ptrItEEEESE_PS5_SF_jNS0_19identity_decomposerENS1_16block_id_wrapperIjLb0EEEEE10hipError_tT1_PNSt15iterator_traitsISK_E10value_typeET2_T3_PNSL_ISQ_E10value_typeET4_T5_PSV_SW_PNS1_23onesweep_lookback_stateEbbT6_jjT7_P12ihipStream_tbENKUlT_T0_SK_SP_E_clISE_SE_SF_SF_EEDaS13_S14_SK_SP_EUlS13_E_NS1_11comp_targetILNS1_3genE4ELNS1_11target_archE910ELNS1_3gpuE8ELNS1_3repE0EEENS1_47radix_sort_onesweep_sort_config_static_selectorELNS0_4arch9wavefront6targetE1EEEvSK_
; %bb.0:
	s_load_dwordx4 s[20:23], s[4:5], 0x44
	s_load_dwordx2 s[24:25], s[4:5], 0x38
	s_load_dwordx4 s[16:19], s[4:5], 0x0
	s_load_dwordx4 s[12:15], s[4:5], 0x28
	s_mul_i32 s26, s6, 0x3000
	s_waitcnt lgkmcnt(0)
	s_cmp_ge_u32 s6, s22
	v_mbcnt_lo_u32_b32 v1, -1, 0
	s_cbranch_scc0 .LBB1369_96
; %bb.1:
	s_load_dword s7, s[4:5], 0x20
	s_mul_i32 s2, s22, 0xffffd000
	s_mov_b32 s27, 0
	v_and_b32_e32 v2, 0x3ff, v0
	s_lshl_b64 s[0:1], s[26:27], 1
	s_waitcnt lgkmcnt(0)
	s_add_i32 s7, s7, s2
	v_mbcnt_hi_u32_b32 v13, -1, v1
	s_add_u32 s0, s16, s0
	v_and_b32_e32 v3, 63, v13
	v_and_b32_e32 v4, 0x3c0, v2
	s_addc_u32 s1, s17, s1
	v_mul_u32_u24_e32 v6, 12, v4
	v_lshlrev_b32_e32 v4, 1, v3
	v_mov_b32_e32 v5, s1
	v_add_co_u32_e32 v4, vcc, s0, v4
	v_addc_co_u32_e32 v5, vcc, 0, v5, vcc
	v_lshlrev_b32_e32 v7, 1, v6
	v_add_co_u32_e32 v4, vcc, v4, v7
	v_addc_co_u32_e32 v5, vcc, 0, v5, vcc
	v_or_b32_e32 v6, v3, v6
	v_cmp_gt_u32_e32 vcc, s7, v6
	v_mov_b32_e32 v3, -1
	v_mov_b32_e32 v8, -1
	s_and_saveexec_b64 s[0:1], vcc
	s_cbranch_execz .LBB1369_3
; %bb.2:
	global_load_ushort v8, v[4:5], off
.LBB1369_3:
	s_or_b64 exec, exec, s[0:1]
	v_or_b32_e32 v7, 64, v6
	v_cmp_gt_u32_e32 vcc, s7, v7
	s_and_saveexec_b64 s[0:1], vcc
	s_cbranch_execz .LBB1369_5
; %bb.4:
	global_load_ushort v3, v[4:5], off offset:128
.LBB1369_5:
	s_or_b64 exec, exec, s[0:1]
	v_or_b32_e32 v7, 0x80, v6
	v_cmp_gt_u32_e32 vcc, s7, v7
	v_mov_b32_e32 v9, -1
	v_mov_b32_e32 v10, -1
	s_and_saveexec_b64 s[0:1], vcc
	s_cbranch_execz .LBB1369_7
; %bb.6:
	global_load_ushort v10, v[4:5], off offset:256
.LBB1369_7:
	s_or_b64 exec, exec, s[0:1]
	v_or_b32_e32 v7, 0xc0, v6
	v_cmp_gt_u32_e32 vcc, s7, v7
	s_and_saveexec_b64 s[0:1], vcc
	s_cbranch_execz .LBB1369_9
; %bb.8:
	global_load_ushort v9, v[4:5], off offset:384
.LBB1369_9:
	s_or_b64 exec, exec, s[0:1]
	v_add_u32_e32 v7, 0x100, v6
	v_cmp_gt_u32_e32 vcc, s7, v7
	v_mov_b32_e32 v11, -1
	v_mov_b32_e32 v12, -1
	s_and_saveexec_b64 s[0:1], vcc
	s_cbranch_execz .LBB1369_11
; %bb.10:
	global_load_ushort v12, v[4:5], off offset:512
.LBB1369_11:
	s_or_b64 exec, exec, s[0:1]
	v_add_u32_e32 v7, 0x140, v6
	v_cmp_gt_u32_e32 vcc, s7, v7
	s_and_saveexec_b64 s[0:1], vcc
	s_cbranch_execz .LBB1369_13
; %bb.12:
	global_load_ushort v11, v[4:5], off offset:640
.LBB1369_13:
	s_or_b64 exec, exec, s[0:1]
	v_add_u32_e32 v7, 0x180, v6
	v_cmp_gt_u32_e32 vcc, s7, v7
	v_mov_b32_e32 v14, -1
	v_mov_b32_e32 v15, -1
	s_and_saveexec_b64 s[0:1], vcc
	s_cbranch_execz .LBB1369_15
; %bb.14:
	global_load_ushort v15, v[4:5], off offset:768
.LBB1369_15:
	s_or_b64 exec, exec, s[0:1]
	v_add_u32_e32 v7, 0x1c0, v6
	v_cmp_gt_u32_e32 vcc, s7, v7
	s_and_saveexec_b64 s[0:1], vcc
	s_cbranch_execz .LBB1369_17
; %bb.16:
	global_load_ushort v14, v[4:5], off offset:896
.LBB1369_17:
	s_or_b64 exec, exec, s[0:1]
	v_add_u32_e32 v7, 0x200, v6
	v_cmp_gt_u32_e32 vcc, s7, v7
	v_mov_b32_e32 v16, -1
	v_mov_b32_e32 v17, -1
	s_and_saveexec_b64 s[0:1], vcc
	s_cbranch_execz .LBB1369_19
; %bb.18:
	global_load_ushort v17, v[4:5], off offset:1024
.LBB1369_19:
	s_or_b64 exec, exec, s[0:1]
	v_add_u32_e32 v7, 0x240, v6
	v_cmp_gt_u32_e32 vcc, s7, v7
	s_and_saveexec_b64 s[0:1], vcc
	s_cbranch_execz .LBB1369_21
; %bb.20:
	global_load_ushort v16, v[4:5], off offset:1152
.LBB1369_21:
	s_or_b64 exec, exec, s[0:1]
	v_add_u32_e32 v7, 0x280, v6
	v_cmp_gt_u32_e32 vcc, s7, v7
	v_mov_b32_e32 v18, -1
	v_mov_b32_e32 v19, -1
	s_and_saveexec_b64 s[0:1], vcc
	s_cbranch_execz .LBB1369_23
; %bb.22:
	global_load_ushort v19, v[4:5], off offset:1280
.LBB1369_23:
	s_or_b64 exec, exec, s[0:1]
	v_add_u32_e32 v6, 0x2c0, v6
	v_cmp_gt_u32_e32 vcc, s7, v6
	s_and_saveexec_b64 s[0:1], vcc
	s_cbranch_execz .LBB1369_25
; %bb.24:
	global_load_ushort v18, v[4:5], off offset:1408
.LBB1369_25:
	s_or_b64 exec, exec, s[0:1]
	s_load_dword s0, s[4:5], 0x64
	s_load_dword s27, s[4:5], 0x58
	s_add_u32 s1, s4, 0x58
	s_addc_u32 s2, s5, 0
	v_mov_b32_e32 v4, 0
	s_waitcnt lgkmcnt(0)
	s_lshr_b32 s3, s0, 16
	s_cmp_lt_u32 s6, s27
	s_cselect_b32 s0, 12, 18
	s_add_u32 s0, s1, s0
	s_addc_u32 s1, s2, 0
	global_load_ushort v6, v4, s[0:1]
	s_lshl_b32 s0, -1, s21
	s_waitcnt vmcnt(1)
	v_lshrrev_b32_sdwa v21, s20, v8 dst_sel:DWORD dst_unused:UNUSED_PAD src0_sel:DWORD src1_sel:WORD_0
	s_not_b32 s28, s0
	v_and_b32_e32 v21, s28, v21
	v_and_b32_e32 v23, 1, v21
	v_bfe_u32 v5, v0, 10, 10
	v_bfe_u32 v7, v0, 20, 10
	v_add_co_u32_e32 v24, vcc, -1, v23
	v_mad_u32_u24 v7, v7, s3, v5
	v_lshlrev_b32_e32 v5, 30, v21
	v_addc_co_u32_e64 v25, s[0:1], 0, -1, vcc
	v_cmp_ne_u32_e32 vcc, 0, v23
	v_cmp_gt_i64_e64 s[0:1], 0, v[4:5]
	v_not_b32_e32 v23, v5
	v_lshlrev_b32_e32 v5, 29, v21
	v_xor_b32_e32 v25, vcc_hi, v25
	v_xor_b32_e32 v24, vcc_lo, v24
	v_ashrrev_i32_e32 v23, 31, v23
	v_cmp_gt_i64_e32 vcc, 0, v[4:5]
	v_not_b32_e32 v26, v5
	v_lshlrev_b32_e32 v5, 28, v21
	v_and_b32_e32 v25, exec_hi, v25
	v_and_b32_e32 v24, exec_lo, v24
	v_xor_b32_e32 v27, s1, v23
	v_xor_b32_e32 v23, s0, v23
	v_ashrrev_i32_e32 v26, 31, v26
	v_cmp_gt_i64_e64 s[0:1], 0, v[4:5]
	v_not_b32_e32 v28, v5
	v_lshlrev_b32_e32 v5, 27, v21
	v_and_b32_e32 v25, v25, v27
	v_and_b32_e32 v23, v24, v23
	v_xor_b32_e32 v24, vcc_hi, v26
	v_xor_b32_e32 v26, vcc_lo, v26
	v_ashrrev_i32_e32 v27, 31, v28
	v_cmp_gt_i64_e32 vcc, 0, v[4:5]
	v_not_b32_e32 v28, v5
	v_lshlrev_b32_e32 v5, 26, v21
	v_and_b32_e32 v24, v25, v24
	v_and_b32_e32 v23, v23, v26
	v_xor_b32_e32 v25, s1, v27
	v_xor_b32_e32 v26, s0, v27
	v_ashrrev_i32_e32 v27, 31, v28
	v_cmp_gt_i64_e64 s[0:1], 0, v[4:5]
	v_not_b32_e32 v28, v5
	v_lshlrev_b32_e32 v5, 25, v21
	v_and_b32_e32 v24, v24, v25
	v_and_b32_e32 v23, v23, v26
	v_xor_b32_e32 v25, vcc_hi, v27
	v_xor_b32_e32 v26, vcc_lo, v27
	v_ashrrev_i32_e32 v27, 31, v28
	v_cmp_gt_i64_e32 vcc, 0, v[4:5]
	v_not_b32_e32 v28, v5
	v_lshlrev_b32_e32 v5, 24, v21
	v_mul_u32_u24_e32 v22, 17, v21
	v_and_b32_e32 v21, v24, v25
	v_and_b32_e32 v23, v23, v26
	v_xor_b32_e32 v24, s1, v27
	v_xor_b32_e32 v25, s0, v27
	v_ashrrev_i32_e32 v26, 31, v28
	v_cmp_gt_i64_e64 s[0:1], 0, v[4:5]
	v_not_b32_e32 v5, v5
	v_and_b32_e32 v21, v21, v24
	v_and_b32_e32 v23, v23, v25
	v_xor_b32_e32 v24, vcc_hi, v26
	v_xor_b32_e32 v25, vcc_lo, v26
	v_ashrrev_i32_e32 v5, 31, v5
	v_and_b32_e32 v21, v21, v24
	v_and_b32_e32 v24, v23, v25
	v_mul_u32_u24_e32 v20, 5, v2
	v_lshlrev_b32_e32 v20, 2, v20
	ds_write2_b32 v20, v4, v4 offset0:16 offset1:17
	ds_write2_b32 v20, v4, v4 offset0:18 offset1:19
	ds_write_b32 v20, v4 offset:80
	s_waitcnt lgkmcnt(0)
	s_barrier
	s_waitcnt lgkmcnt(0)
	; wave barrier
	s_waitcnt vmcnt(0)
	v_mad_u64_u32 v[6:7], s[2:3], v7, v6, v[2:3]
	v_lshrrev_b32_e32 v30, 6, v6
	v_xor_b32_e32 v6, s1, v5
	v_xor_b32_e32 v5, s0, v5
	v_and_b32_e32 v7, v21, v6
	v_and_b32_e32 v6, v24, v5
	v_mbcnt_lo_u32_b32 v5, v6, 0
	v_mbcnt_hi_u32_b32 v21, v7, v5
	v_cmp_eq_u32_e32 vcc, 0, v21
	v_cmp_ne_u64_e64 s[0:1], 0, v[6:7]
	v_add_lshl_u32 v23, v30, v22, 2
	s_and_b64 s[2:3], s[0:1], vcc
	s_and_saveexec_b64 s[0:1], s[2:3]
	s_cbranch_execz .LBB1369_27
; %bb.26:
	v_bcnt_u32_b32 v5, v6, 0
	v_bcnt_u32_b32 v5, v7, v5
	ds_write_b32 v23, v5 offset:64
.LBB1369_27:
	s_or_b64 exec, exec, s[0:1]
	v_lshrrev_b32_sdwa v5, s20, v3 dst_sel:DWORD dst_unused:UNUSED_PAD src0_sel:DWORD src1_sel:WORD_0
	v_and_b32_e32 v6, s28, v5
	v_mul_u32_u24_e32 v5, 17, v6
	v_add_lshl_u32 v24, v30, v5, 2
	v_and_b32_e32 v5, 1, v6
	v_add_co_u32_e32 v7, vcc, -1, v5
	v_addc_co_u32_e64 v25, s[0:1], 0, -1, vcc
	v_cmp_ne_u32_e32 vcc, 0, v5
	v_xor_b32_e32 v5, vcc_hi, v25
	v_and_b32_e32 v25, exec_hi, v5
	v_lshlrev_b32_e32 v5, 30, v6
	v_xor_b32_e32 v7, vcc_lo, v7
	v_cmp_gt_i64_e32 vcc, 0, v[4:5]
	v_not_b32_e32 v5, v5
	v_ashrrev_i32_e32 v5, 31, v5
	v_and_b32_e32 v7, exec_lo, v7
	v_xor_b32_e32 v26, vcc_hi, v5
	v_xor_b32_e32 v5, vcc_lo, v5
	v_and_b32_e32 v7, v7, v5
	v_lshlrev_b32_e32 v5, 29, v6
	v_cmp_gt_i64_e32 vcc, 0, v[4:5]
	v_not_b32_e32 v5, v5
	v_ashrrev_i32_e32 v5, 31, v5
	v_and_b32_e32 v25, v25, v26
	v_xor_b32_e32 v26, vcc_hi, v5
	v_xor_b32_e32 v5, vcc_lo, v5
	v_and_b32_e32 v7, v7, v5
	v_lshlrev_b32_e32 v5, 28, v6
	v_cmp_gt_i64_e32 vcc, 0, v[4:5]
	v_not_b32_e32 v5, v5
	v_ashrrev_i32_e32 v5, 31, v5
	v_and_b32_e32 v25, v25, v26
	;; [unrolled: 8-line block ×5, first 2 shown]
	v_xor_b32_e32 v26, vcc_hi, v5
	v_xor_b32_e32 v5, vcc_lo, v5
	v_and_b32_e32 v7, v7, v5
	v_lshlrev_b32_e32 v5, 24, v6
	v_cmp_gt_i64_e32 vcc, 0, v[4:5]
	v_not_b32_e32 v4, v5
	v_ashrrev_i32_e32 v4, 31, v4
	v_xor_b32_e32 v5, vcc_hi, v4
	v_xor_b32_e32 v4, vcc_lo, v4
	; wave barrier
	ds_read_b32 v22, v24 offset:64
	v_and_b32_e32 v25, v25, v26
	v_and_b32_e32 v4, v7, v4
	;; [unrolled: 1-line block ×3, first 2 shown]
	v_mbcnt_lo_u32_b32 v6, v4, 0
	v_mbcnt_hi_u32_b32 v25, v5, v6
	v_cmp_eq_u32_e32 vcc, 0, v25
	v_cmp_ne_u64_e64 s[0:1], 0, v[4:5]
	s_and_b64 s[2:3], s[0:1], vcc
	; wave barrier
	s_and_saveexec_b64 s[0:1], s[2:3]
	s_cbranch_execz .LBB1369_29
; %bb.28:
	v_bcnt_u32_b32 v4, v4, 0
	v_bcnt_u32_b32 v4, v5, v4
	s_waitcnt lgkmcnt(0)
	v_add_u32_e32 v4, v22, v4
	ds_write_b32 v24, v4 offset:64
.LBB1369_29:
	s_or_b64 exec, exec, s[0:1]
	v_lshrrev_b32_sdwa v4, s20, v10 dst_sel:DWORD dst_unused:UNUSED_PAD src0_sel:DWORD src1_sel:WORD_0
	v_and_b32_e32 v6, s28, v4
	v_and_b32_e32 v5, 1, v6
	v_add_co_u32_e32 v7, vcc, -1, v5
	v_addc_co_u32_e64 v28, s[0:1], 0, -1, vcc
	v_cmp_ne_u32_e32 vcc, 0, v5
	v_mul_u32_u24_e32 v4, 17, v6
	v_xor_b32_e32 v5, vcc_hi, v28
	v_add_lshl_u32 v27, v30, v4, 2
	v_mov_b32_e32 v4, 0
	v_and_b32_e32 v28, exec_hi, v5
	v_lshlrev_b32_e32 v5, 30, v6
	v_xor_b32_e32 v7, vcc_lo, v7
	v_cmp_gt_i64_e32 vcc, 0, v[4:5]
	v_not_b32_e32 v5, v5
	v_ashrrev_i32_e32 v5, 31, v5
	v_and_b32_e32 v7, exec_lo, v7
	v_xor_b32_e32 v29, vcc_hi, v5
	v_xor_b32_e32 v5, vcc_lo, v5
	v_and_b32_e32 v7, v7, v5
	v_lshlrev_b32_e32 v5, 29, v6
	v_cmp_gt_i64_e32 vcc, 0, v[4:5]
	v_not_b32_e32 v5, v5
	v_ashrrev_i32_e32 v5, 31, v5
	v_and_b32_e32 v28, v28, v29
	v_xor_b32_e32 v29, vcc_hi, v5
	v_xor_b32_e32 v5, vcc_lo, v5
	v_and_b32_e32 v7, v7, v5
	v_lshlrev_b32_e32 v5, 28, v6
	v_cmp_gt_i64_e32 vcc, 0, v[4:5]
	v_not_b32_e32 v5, v5
	v_ashrrev_i32_e32 v5, 31, v5
	v_and_b32_e32 v28, v28, v29
	;; [unrolled: 8-line block ×5, first 2 shown]
	v_xor_b32_e32 v29, vcc_hi, v5
	v_xor_b32_e32 v5, vcc_lo, v5
	v_and_b32_e32 v28, v28, v29
	v_and_b32_e32 v29, v7, v5
	v_lshlrev_b32_e32 v5, 24, v6
	v_cmp_gt_i64_e32 vcc, 0, v[4:5]
	v_not_b32_e32 v5, v5
	v_ashrrev_i32_e32 v5, 31, v5
	v_xor_b32_e32 v6, vcc_hi, v5
	v_xor_b32_e32 v5, vcc_lo, v5
	; wave barrier
	ds_read_b32 v26, v27 offset:64
	v_and_b32_e32 v7, v28, v6
	v_and_b32_e32 v6, v29, v5
	v_mbcnt_lo_u32_b32 v5, v6, 0
	v_mbcnt_hi_u32_b32 v28, v7, v5
	v_cmp_eq_u32_e32 vcc, 0, v28
	v_cmp_ne_u64_e64 s[0:1], 0, v[6:7]
	s_and_b64 s[2:3], s[0:1], vcc
	; wave barrier
	s_and_saveexec_b64 s[0:1], s[2:3]
	s_cbranch_execz .LBB1369_31
; %bb.30:
	v_bcnt_u32_b32 v5, v6, 0
	v_bcnt_u32_b32 v5, v7, v5
	s_waitcnt lgkmcnt(0)
	v_add_u32_e32 v5, v26, v5
	ds_write_b32 v27, v5 offset:64
.LBB1369_31:
	s_or_b64 exec, exec, s[0:1]
	v_lshrrev_b32_sdwa v5, s20, v9 dst_sel:DWORD dst_unused:UNUSED_PAD src0_sel:DWORD src1_sel:WORD_0
	v_and_b32_e32 v6, s28, v5
	v_mul_u32_u24_e32 v5, 17, v6
	v_add_lshl_u32 v31, v30, v5, 2
	v_and_b32_e32 v5, 1, v6
	v_add_co_u32_e32 v7, vcc, -1, v5
	v_addc_co_u32_e64 v32, s[0:1], 0, -1, vcc
	v_cmp_ne_u32_e32 vcc, 0, v5
	v_xor_b32_e32 v5, vcc_hi, v32
	v_and_b32_e32 v32, exec_hi, v5
	v_lshlrev_b32_e32 v5, 30, v6
	v_xor_b32_e32 v7, vcc_lo, v7
	v_cmp_gt_i64_e32 vcc, 0, v[4:5]
	v_not_b32_e32 v5, v5
	v_ashrrev_i32_e32 v5, 31, v5
	v_and_b32_e32 v7, exec_lo, v7
	v_xor_b32_e32 v33, vcc_hi, v5
	v_xor_b32_e32 v5, vcc_lo, v5
	v_and_b32_e32 v7, v7, v5
	v_lshlrev_b32_e32 v5, 29, v6
	v_cmp_gt_i64_e32 vcc, 0, v[4:5]
	v_not_b32_e32 v5, v5
	v_ashrrev_i32_e32 v5, 31, v5
	v_and_b32_e32 v32, v32, v33
	v_xor_b32_e32 v33, vcc_hi, v5
	v_xor_b32_e32 v5, vcc_lo, v5
	v_and_b32_e32 v7, v7, v5
	v_lshlrev_b32_e32 v5, 28, v6
	v_cmp_gt_i64_e32 vcc, 0, v[4:5]
	v_not_b32_e32 v5, v5
	v_ashrrev_i32_e32 v5, 31, v5
	v_and_b32_e32 v32, v32, v33
	;; [unrolled: 8-line block ×5, first 2 shown]
	v_xor_b32_e32 v33, vcc_hi, v5
	v_xor_b32_e32 v5, vcc_lo, v5
	v_and_b32_e32 v7, v7, v5
	v_lshlrev_b32_e32 v5, 24, v6
	v_cmp_gt_i64_e32 vcc, 0, v[4:5]
	v_not_b32_e32 v4, v5
	v_ashrrev_i32_e32 v4, 31, v4
	v_xor_b32_e32 v5, vcc_hi, v4
	v_xor_b32_e32 v4, vcc_lo, v4
	; wave barrier
	ds_read_b32 v29, v31 offset:64
	v_and_b32_e32 v32, v32, v33
	v_and_b32_e32 v4, v7, v4
	v_and_b32_e32 v5, v32, v5
	v_mbcnt_lo_u32_b32 v6, v4, 0
	v_mbcnt_hi_u32_b32 v32, v5, v6
	v_cmp_eq_u32_e32 vcc, 0, v32
	v_cmp_ne_u64_e64 s[0:1], 0, v[4:5]
	s_and_b64 s[2:3], s[0:1], vcc
	; wave barrier
	s_and_saveexec_b64 s[0:1], s[2:3]
	s_cbranch_execz .LBB1369_33
; %bb.32:
	v_bcnt_u32_b32 v4, v4, 0
	v_bcnt_u32_b32 v4, v5, v4
	s_waitcnt lgkmcnt(0)
	v_add_u32_e32 v4, v29, v4
	ds_write_b32 v31, v4 offset:64
.LBB1369_33:
	s_or_b64 exec, exec, s[0:1]
	v_lshrrev_b32_sdwa v4, s20, v12 dst_sel:DWORD dst_unused:UNUSED_PAD src0_sel:DWORD src1_sel:WORD_0
	v_and_b32_e32 v6, s28, v4
	v_and_b32_e32 v5, 1, v6
	v_add_co_u32_e32 v7, vcc, -1, v5
	v_addc_co_u32_e64 v35, s[0:1], 0, -1, vcc
	v_cmp_ne_u32_e32 vcc, 0, v5
	v_mul_u32_u24_e32 v4, 17, v6
	v_xor_b32_e32 v5, vcc_hi, v35
	v_add_lshl_u32 v34, v30, v4, 2
	v_mov_b32_e32 v4, 0
	v_and_b32_e32 v35, exec_hi, v5
	v_lshlrev_b32_e32 v5, 30, v6
	v_xor_b32_e32 v7, vcc_lo, v7
	v_cmp_gt_i64_e32 vcc, 0, v[4:5]
	v_not_b32_e32 v5, v5
	v_ashrrev_i32_e32 v5, 31, v5
	v_and_b32_e32 v7, exec_lo, v7
	v_xor_b32_e32 v36, vcc_hi, v5
	v_xor_b32_e32 v5, vcc_lo, v5
	v_and_b32_e32 v7, v7, v5
	v_lshlrev_b32_e32 v5, 29, v6
	v_cmp_gt_i64_e32 vcc, 0, v[4:5]
	v_not_b32_e32 v5, v5
	v_ashrrev_i32_e32 v5, 31, v5
	v_and_b32_e32 v35, v35, v36
	v_xor_b32_e32 v36, vcc_hi, v5
	v_xor_b32_e32 v5, vcc_lo, v5
	v_and_b32_e32 v7, v7, v5
	v_lshlrev_b32_e32 v5, 28, v6
	v_cmp_gt_i64_e32 vcc, 0, v[4:5]
	v_not_b32_e32 v5, v5
	v_ashrrev_i32_e32 v5, 31, v5
	v_and_b32_e32 v35, v35, v36
	;; [unrolled: 8-line block ×5, first 2 shown]
	v_xor_b32_e32 v36, vcc_hi, v5
	v_xor_b32_e32 v5, vcc_lo, v5
	v_and_b32_e32 v35, v35, v36
	v_and_b32_e32 v36, v7, v5
	v_lshlrev_b32_e32 v5, 24, v6
	v_cmp_gt_i64_e32 vcc, 0, v[4:5]
	v_not_b32_e32 v5, v5
	v_ashrrev_i32_e32 v5, 31, v5
	v_xor_b32_e32 v6, vcc_hi, v5
	v_xor_b32_e32 v5, vcc_lo, v5
	; wave barrier
	ds_read_b32 v33, v34 offset:64
	v_and_b32_e32 v7, v35, v6
	v_and_b32_e32 v6, v36, v5
	v_mbcnt_lo_u32_b32 v5, v6, 0
	v_mbcnt_hi_u32_b32 v35, v7, v5
	v_cmp_eq_u32_e32 vcc, 0, v35
	v_cmp_ne_u64_e64 s[0:1], 0, v[6:7]
	s_and_b64 s[2:3], s[0:1], vcc
	; wave barrier
	s_and_saveexec_b64 s[0:1], s[2:3]
	s_cbranch_execz .LBB1369_35
; %bb.34:
	v_bcnt_u32_b32 v5, v6, 0
	v_bcnt_u32_b32 v5, v7, v5
	s_waitcnt lgkmcnt(0)
	v_add_u32_e32 v5, v33, v5
	ds_write_b32 v34, v5 offset:64
.LBB1369_35:
	s_or_b64 exec, exec, s[0:1]
	v_lshrrev_b32_sdwa v5, s20, v11 dst_sel:DWORD dst_unused:UNUSED_PAD src0_sel:DWORD src1_sel:WORD_0
	v_and_b32_e32 v6, s28, v5
	v_mul_u32_u24_e32 v5, 17, v6
	v_add_lshl_u32 v37, v30, v5, 2
	v_and_b32_e32 v5, 1, v6
	v_add_co_u32_e32 v7, vcc, -1, v5
	v_addc_co_u32_e64 v38, s[0:1], 0, -1, vcc
	v_cmp_ne_u32_e32 vcc, 0, v5
	v_xor_b32_e32 v5, vcc_hi, v38
	v_and_b32_e32 v38, exec_hi, v5
	v_lshlrev_b32_e32 v5, 30, v6
	v_xor_b32_e32 v7, vcc_lo, v7
	v_cmp_gt_i64_e32 vcc, 0, v[4:5]
	v_not_b32_e32 v5, v5
	v_ashrrev_i32_e32 v5, 31, v5
	v_and_b32_e32 v7, exec_lo, v7
	v_xor_b32_e32 v39, vcc_hi, v5
	v_xor_b32_e32 v5, vcc_lo, v5
	v_and_b32_e32 v7, v7, v5
	v_lshlrev_b32_e32 v5, 29, v6
	v_cmp_gt_i64_e32 vcc, 0, v[4:5]
	v_not_b32_e32 v5, v5
	v_ashrrev_i32_e32 v5, 31, v5
	v_and_b32_e32 v38, v38, v39
	v_xor_b32_e32 v39, vcc_hi, v5
	v_xor_b32_e32 v5, vcc_lo, v5
	v_and_b32_e32 v7, v7, v5
	v_lshlrev_b32_e32 v5, 28, v6
	v_cmp_gt_i64_e32 vcc, 0, v[4:5]
	v_not_b32_e32 v5, v5
	v_ashrrev_i32_e32 v5, 31, v5
	v_and_b32_e32 v38, v38, v39
	v_xor_b32_e32 v39, vcc_hi, v5
	v_xor_b32_e32 v5, vcc_lo, v5
	v_and_b32_e32 v7, v7, v5
	v_lshlrev_b32_e32 v5, 27, v6
	v_cmp_gt_i64_e32 vcc, 0, v[4:5]
	v_not_b32_e32 v5, v5
	v_ashrrev_i32_e32 v5, 31, v5
	v_and_b32_e32 v38, v38, v39
	v_xor_b32_e32 v39, vcc_hi, v5
	v_xor_b32_e32 v5, vcc_lo, v5
	v_and_b32_e32 v7, v7, v5
	v_lshlrev_b32_e32 v5, 26, v6
	v_cmp_gt_i64_e32 vcc, 0, v[4:5]
	v_not_b32_e32 v5, v5
	v_ashrrev_i32_e32 v5, 31, v5
	v_and_b32_e32 v38, v38, v39
	v_xor_b32_e32 v39, vcc_hi, v5
	v_xor_b32_e32 v5, vcc_lo, v5
	v_and_b32_e32 v7, v7, v5
	v_lshlrev_b32_e32 v5, 25, v6
	v_cmp_gt_i64_e32 vcc, 0, v[4:5]
	v_not_b32_e32 v5, v5
	v_ashrrev_i32_e32 v5, 31, v5
	v_and_b32_e32 v38, v38, v39
	v_xor_b32_e32 v39, vcc_hi, v5
	v_xor_b32_e32 v5, vcc_lo, v5
	v_and_b32_e32 v7, v7, v5
	v_lshlrev_b32_e32 v5, 24, v6
	v_cmp_gt_i64_e32 vcc, 0, v[4:5]
	v_not_b32_e32 v4, v5
	v_ashrrev_i32_e32 v4, 31, v4
	v_xor_b32_e32 v5, vcc_hi, v4
	v_xor_b32_e32 v4, vcc_lo, v4
	; wave barrier
	ds_read_b32 v36, v37 offset:64
	v_and_b32_e32 v38, v38, v39
	v_and_b32_e32 v4, v7, v4
	;; [unrolled: 1-line block ×3, first 2 shown]
	v_mbcnt_lo_u32_b32 v6, v4, 0
	v_mbcnt_hi_u32_b32 v38, v5, v6
	v_cmp_eq_u32_e32 vcc, 0, v38
	v_cmp_ne_u64_e64 s[0:1], 0, v[4:5]
	s_and_b64 s[2:3], s[0:1], vcc
	; wave barrier
	s_and_saveexec_b64 s[0:1], s[2:3]
	s_cbranch_execz .LBB1369_37
; %bb.36:
	v_bcnt_u32_b32 v4, v4, 0
	v_bcnt_u32_b32 v4, v5, v4
	s_waitcnt lgkmcnt(0)
	v_add_u32_e32 v4, v36, v4
	ds_write_b32 v37, v4 offset:64
.LBB1369_37:
	s_or_b64 exec, exec, s[0:1]
	v_lshrrev_b32_sdwa v4, s20, v15 dst_sel:DWORD dst_unused:UNUSED_PAD src0_sel:DWORD src1_sel:WORD_0
	v_and_b32_e32 v6, s28, v4
	v_and_b32_e32 v5, 1, v6
	v_add_co_u32_e32 v7, vcc, -1, v5
	v_addc_co_u32_e64 v41, s[0:1], 0, -1, vcc
	v_cmp_ne_u32_e32 vcc, 0, v5
	v_mul_u32_u24_e32 v4, 17, v6
	v_xor_b32_e32 v5, vcc_hi, v41
	v_add_lshl_u32 v40, v30, v4, 2
	v_mov_b32_e32 v4, 0
	v_and_b32_e32 v41, exec_hi, v5
	v_lshlrev_b32_e32 v5, 30, v6
	v_xor_b32_e32 v7, vcc_lo, v7
	v_cmp_gt_i64_e32 vcc, 0, v[4:5]
	v_not_b32_e32 v5, v5
	v_ashrrev_i32_e32 v5, 31, v5
	v_and_b32_e32 v7, exec_lo, v7
	v_xor_b32_e32 v42, vcc_hi, v5
	v_xor_b32_e32 v5, vcc_lo, v5
	v_and_b32_e32 v7, v7, v5
	v_lshlrev_b32_e32 v5, 29, v6
	v_cmp_gt_i64_e32 vcc, 0, v[4:5]
	v_not_b32_e32 v5, v5
	v_ashrrev_i32_e32 v5, 31, v5
	v_and_b32_e32 v41, v41, v42
	v_xor_b32_e32 v42, vcc_hi, v5
	v_xor_b32_e32 v5, vcc_lo, v5
	v_and_b32_e32 v7, v7, v5
	v_lshlrev_b32_e32 v5, 28, v6
	v_cmp_gt_i64_e32 vcc, 0, v[4:5]
	v_not_b32_e32 v5, v5
	v_ashrrev_i32_e32 v5, 31, v5
	v_and_b32_e32 v41, v41, v42
	;; [unrolled: 8-line block ×5, first 2 shown]
	v_xor_b32_e32 v42, vcc_hi, v5
	v_xor_b32_e32 v5, vcc_lo, v5
	v_and_b32_e32 v41, v41, v42
	v_and_b32_e32 v42, v7, v5
	v_lshlrev_b32_e32 v5, 24, v6
	v_cmp_gt_i64_e32 vcc, 0, v[4:5]
	v_not_b32_e32 v5, v5
	v_ashrrev_i32_e32 v5, 31, v5
	v_xor_b32_e32 v6, vcc_hi, v5
	v_xor_b32_e32 v5, vcc_lo, v5
	; wave barrier
	ds_read_b32 v39, v40 offset:64
	v_and_b32_e32 v7, v41, v6
	v_and_b32_e32 v6, v42, v5
	v_mbcnt_lo_u32_b32 v5, v6, 0
	v_mbcnt_hi_u32_b32 v41, v7, v5
	v_cmp_eq_u32_e32 vcc, 0, v41
	v_cmp_ne_u64_e64 s[0:1], 0, v[6:7]
	s_and_b64 s[2:3], s[0:1], vcc
	; wave barrier
	s_and_saveexec_b64 s[0:1], s[2:3]
	s_cbranch_execz .LBB1369_39
; %bb.38:
	v_bcnt_u32_b32 v5, v6, 0
	v_bcnt_u32_b32 v5, v7, v5
	s_waitcnt lgkmcnt(0)
	v_add_u32_e32 v5, v39, v5
	ds_write_b32 v40, v5 offset:64
.LBB1369_39:
	s_or_b64 exec, exec, s[0:1]
	v_lshrrev_b32_sdwa v5, s20, v14 dst_sel:DWORD dst_unused:UNUSED_PAD src0_sel:DWORD src1_sel:WORD_0
	v_and_b32_e32 v6, s28, v5
	v_mul_u32_u24_e32 v5, 17, v6
	v_add_lshl_u32 v43, v30, v5, 2
	v_and_b32_e32 v5, 1, v6
	v_add_co_u32_e32 v7, vcc, -1, v5
	v_addc_co_u32_e64 v44, s[0:1], 0, -1, vcc
	v_cmp_ne_u32_e32 vcc, 0, v5
	v_xor_b32_e32 v5, vcc_hi, v44
	v_and_b32_e32 v44, exec_hi, v5
	v_lshlrev_b32_e32 v5, 30, v6
	v_xor_b32_e32 v7, vcc_lo, v7
	v_cmp_gt_i64_e32 vcc, 0, v[4:5]
	v_not_b32_e32 v5, v5
	v_ashrrev_i32_e32 v5, 31, v5
	v_and_b32_e32 v7, exec_lo, v7
	v_xor_b32_e32 v45, vcc_hi, v5
	v_xor_b32_e32 v5, vcc_lo, v5
	v_and_b32_e32 v7, v7, v5
	v_lshlrev_b32_e32 v5, 29, v6
	v_cmp_gt_i64_e32 vcc, 0, v[4:5]
	v_not_b32_e32 v5, v5
	v_ashrrev_i32_e32 v5, 31, v5
	v_and_b32_e32 v44, v44, v45
	v_xor_b32_e32 v45, vcc_hi, v5
	v_xor_b32_e32 v5, vcc_lo, v5
	v_and_b32_e32 v7, v7, v5
	v_lshlrev_b32_e32 v5, 28, v6
	v_cmp_gt_i64_e32 vcc, 0, v[4:5]
	v_not_b32_e32 v5, v5
	v_ashrrev_i32_e32 v5, 31, v5
	v_and_b32_e32 v44, v44, v45
	;; [unrolled: 8-line block ×5, first 2 shown]
	v_xor_b32_e32 v45, vcc_hi, v5
	v_xor_b32_e32 v5, vcc_lo, v5
	v_and_b32_e32 v7, v7, v5
	v_lshlrev_b32_e32 v5, 24, v6
	v_cmp_gt_i64_e32 vcc, 0, v[4:5]
	v_not_b32_e32 v4, v5
	v_ashrrev_i32_e32 v4, 31, v4
	v_xor_b32_e32 v5, vcc_hi, v4
	v_xor_b32_e32 v4, vcc_lo, v4
	; wave barrier
	ds_read_b32 v42, v43 offset:64
	v_and_b32_e32 v44, v44, v45
	v_and_b32_e32 v4, v7, v4
	;; [unrolled: 1-line block ×3, first 2 shown]
	v_mbcnt_lo_u32_b32 v6, v4, 0
	v_mbcnt_hi_u32_b32 v44, v5, v6
	v_cmp_eq_u32_e32 vcc, 0, v44
	v_cmp_ne_u64_e64 s[0:1], 0, v[4:5]
	s_and_b64 s[2:3], s[0:1], vcc
	; wave barrier
	s_and_saveexec_b64 s[0:1], s[2:3]
	s_cbranch_execz .LBB1369_41
; %bb.40:
	v_bcnt_u32_b32 v4, v4, 0
	v_bcnt_u32_b32 v4, v5, v4
	s_waitcnt lgkmcnt(0)
	v_add_u32_e32 v4, v42, v4
	ds_write_b32 v43, v4 offset:64
.LBB1369_41:
	s_or_b64 exec, exec, s[0:1]
	v_lshrrev_b32_sdwa v4, s20, v17 dst_sel:DWORD dst_unused:UNUSED_PAD src0_sel:DWORD src1_sel:WORD_0
	v_and_b32_e32 v6, s28, v4
	v_and_b32_e32 v5, 1, v6
	v_add_co_u32_e32 v7, vcc, -1, v5
	v_addc_co_u32_e64 v47, s[0:1], 0, -1, vcc
	v_cmp_ne_u32_e32 vcc, 0, v5
	v_mul_u32_u24_e32 v4, 17, v6
	v_xor_b32_e32 v5, vcc_hi, v47
	v_add_lshl_u32 v46, v30, v4, 2
	v_mov_b32_e32 v4, 0
	v_and_b32_e32 v47, exec_hi, v5
	v_lshlrev_b32_e32 v5, 30, v6
	v_xor_b32_e32 v7, vcc_lo, v7
	v_cmp_gt_i64_e32 vcc, 0, v[4:5]
	v_not_b32_e32 v5, v5
	v_ashrrev_i32_e32 v5, 31, v5
	v_and_b32_e32 v7, exec_lo, v7
	v_xor_b32_e32 v48, vcc_hi, v5
	v_xor_b32_e32 v5, vcc_lo, v5
	v_and_b32_e32 v7, v7, v5
	v_lshlrev_b32_e32 v5, 29, v6
	v_cmp_gt_i64_e32 vcc, 0, v[4:5]
	v_not_b32_e32 v5, v5
	v_ashrrev_i32_e32 v5, 31, v5
	v_and_b32_e32 v47, v47, v48
	v_xor_b32_e32 v48, vcc_hi, v5
	v_xor_b32_e32 v5, vcc_lo, v5
	v_and_b32_e32 v7, v7, v5
	v_lshlrev_b32_e32 v5, 28, v6
	v_cmp_gt_i64_e32 vcc, 0, v[4:5]
	v_not_b32_e32 v5, v5
	v_ashrrev_i32_e32 v5, 31, v5
	v_and_b32_e32 v47, v47, v48
	;; [unrolled: 8-line block ×5, first 2 shown]
	v_xor_b32_e32 v48, vcc_hi, v5
	v_xor_b32_e32 v5, vcc_lo, v5
	v_and_b32_e32 v47, v47, v48
	v_and_b32_e32 v48, v7, v5
	v_lshlrev_b32_e32 v5, 24, v6
	v_cmp_gt_i64_e32 vcc, 0, v[4:5]
	v_not_b32_e32 v5, v5
	v_ashrrev_i32_e32 v5, 31, v5
	v_xor_b32_e32 v6, vcc_hi, v5
	v_xor_b32_e32 v5, vcc_lo, v5
	; wave barrier
	ds_read_b32 v45, v46 offset:64
	v_and_b32_e32 v7, v47, v6
	v_and_b32_e32 v6, v48, v5
	v_mbcnt_lo_u32_b32 v5, v6, 0
	v_mbcnt_hi_u32_b32 v47, v7, v5
	v_cmp_eq_u32_e32 vcc, 0, v47
	v_cmp_ne_u64_e64 s[0:1], 0, v[6:7]
	s_and_b64 s[2:3], s[0:1], vcc
	; wave barrier
	s_and_saveexec_b64 s[0:1], s[2:3]
	s_cbranch_execz .LBB1369_43
; %bb.42:
	v_bcnt_u32_b32 v5, v6, 0
	v_bcnt_u32_b32 v5, v7, v5
	s_waitcnt lgkmcnt(0)
	v_add_u32_e32 v5, v45, v5
	ds_write_b32 v46, v5 offset:64
.LBB1369_43:
	s_or_b64 exec, exec, s[0:1]
	v_lshrrev_b32_sdwa v5, s20, v16 dst_sel:DWORD dst_unused:UNUSED_PAD src0_sel:DWORD src1_sel:WORD_0
	v_and_b32_e32 v6, s28, v5
	v_mul_u32_u24_e32 v5, 17, v6
	v_add_lshl_u32 v49, v30, v5, 2
	v_and_b32_e32 v5, 1, v6
	v_add_co_u32_e32 v7, vcc, -1, v5
	v_addc_co_u32_e64 v50, s[0:1], 0, -1, vcc
	v_cmp_ne_u32_e32 vcc, 0, v5
	v_xor_b32_e32 v5, vcc_hi, v50
	v_and_b32_e32 v50, exec_hi, v5
	v_lshlrev_b32_e32 v5, 30, v6
	v_xor_b32_e32 v7, vcc_lo, v7
	v_cmp_gt_i64_e32 vcc, 0, v[4:5]
	v_not_b32_e32 v5, v5
	v_ashrrev_i32_e32 v5, 31, v5
	v_and_b32_e32 v7, exec_lo, v7
	v_xor_b32_e32 v51, vcc_hi, v5
	v_xor_b32_e32 v5, vcc_lo, v5
	v_and_b32_e32 v7, v7, v5
	v_lshlrev_b32_e32 v5, 29, v6
	v_cmp_gt_i64_e32 vcc, 0, v[4:5]
	v_not_b32_e32 v5, v5
	v_ashrrev_i32_e32 v5, 31, v5
	v_and_b32_e32 v50, v50, v51
	v_xor_b32_e32 v51, vcc_hi, v5
	v_xor_b32_e32 v5, vcc_lo, v5
	v_and_b32_e32 v7, v7, v5
	v_lshlrev_b32_e32 v5, 28, v6
	v_cmp_gt_i64_e32 vcc, 0, v[4:5]
	v_not_b32_e32 v5, v5
	v_ashrrev_i32_e32 v5, 31, v5
	v_and_b32_e32 v50, v50, v51
	;; [unrolled: 8-line block ×5, first 2 shown]
	v_xor_b32_e32 v51, vcc_hi, v5
	v_xor_b32_e32 v5, vcc_lo, v5
	v_and_b32_e32 v7, v7, v5
	v_lshlrev_b32_e32 v5, 24, v6
	v_cmp_gt_i64_e32 vcc, 0, v[4:5]
	v_not_b32_e32 v4, v5
	v_ashrrev_i32_e32 v4, 31, v4
	v_xor_b32_e32 v5, vcc_hi, v4
	v_xor_b32_e32 v4, vcc_lo, v4
	; wave barrier
	ds_read_b32 v48, v49 offset:64
	v_and_b32_e32 v50, v50, v51
	v_and_b32_e32 v4, v7, v4
	;; [unrolled: 1-line block ×3, first 2 shown]
	v_mbcnt_lo_u32_b32 v6, v4, 0
	v_mbcnt_hi_u32_b32 v50, v5, v6
	v_cmp_eq_u32_e32 vcc, 0, v50
	v_cmp_ne_u64_e64 s[0:1], 0, v[4:5]
	s_and_b64 s[2:3], s[0:1], vcc
	; wave barrier
	s_and_saveexec_b64 s[0:1], s[2:3]
	s_cbranch_execz .LBB1369_45
; %bb.44:
	v_bcnt_u32_b32 v4, v4, 0
	v_bcnt_u32_b32 v4, v5, v4
	s_waitcnt lgkmcnt(0)
	v_add_u32_e32 v4, v48, v4
	ds_write_b32 v49, v4 offset:64
.LBB1369_45:
	s_or_b64 exec, exec, s[0:1]
	v_lshrrev_b32_sdwa v4, s20, v19 dst_sel:DWORD dst_unused:UNUSED_PAD src0_sel:DWORD src1_sel:WORD_0
	v_and_b32_e32 v6, s28, v4
	v_and_b32_e32 v5, 1, v6
	v_add_co_u32_e32 v7, vcc, -1, v5
	v_addc_co_u32_e64 v53, s[0:1], 0, -1, vcc
	v_cmp_ne_u32_e32 vcc, 0, v5
	v_mul_u32_u24_e32 v4, 17, v6
	v_xor_b32_e32 v5, vcc_hi, v53
	v_add_lshl_u32 v52, v30, v4, 2
	v_mov_b32_e32 v4, 0
	v_and_b32_e32 v53, exec_hi, v5
	v_lshlrev_b32_e32 v5, 30, v6
	v_xor_b32_e32 v7, vcc_lo, v7
	v_cmp_gt_i64_e32 vcc, 0, v[4:5]
	v_not_b32_e32 v5, v5
	v_ashrrev_i32_e32 v5, 31, v5
	v_and_b32_e32 v7, exec_lo, v7
	v_xor_b32_e32 v54, vcc_hi, v5
	v_xor_b32_e32 v5, vcc_lo, v5
	v_and_b32_e32 v7, v7, v5
	v_lshlrev_b32_e32 v5, 29, v6
	v_cmp_gt_i64_e32 vcc, 0, v[4:5]
	v_not_b32_e32 v5, v5
	v_ashrrev_i32_e32 v5, 31, v5
	v_and_b32_e32 v53, v53, v54
	v_xor_b32_e32 v54, vcc_hi, v5
	v_xor_b32_e32 v5, vcc_lo, v5
	v_and_b32_e32 v7, v7, v5
	v_lshlrev_b32_e32 v5, 28, v6
	v_cmp_gt_i64_e32 vcc, 0, v[4:5]
	v_not_b32_e32 v5, v5
	v_ashrrev_i32_e32 v5, 31, v5
	v_and_b32_e32 v53, v53, v54
	;; [unrolled: 8-line block ×5, first 2 shown]
	v_xor_b32_e32 v54, vcc_hi, v5
	v_xor_b32_e32 v5, vcc_lo, v5
	v_and_b32_e32 v53, v53, v54
	v_and_b32_e32 v54, v7, v5
	v_lshlrev_b32_e32 v5, 24, v6
	v_cmp_gt_i64_e32 vcc, 0, v[4:5]
	v_not_b32_e32 v5, v5
	v_ashrrev_i32_e32 v5, 31, v5
	v_xor_b32_e32 v6, vcc_hi, v5
	v_xor_b32_e32 v5, vcc_lo, v5
	; wave barrier
	ds_read_b32 v51, v52 offset:64
	v_and_b32_e32 v7, v53, v6
	v_and_b32_e32 v6, v54, v5
	v_mbcnt_lo_u32_b32 v5, v6, 0
	v_mbcnt_hi_u32_b32 v53, v7, v5
	v_cmp_eq_u32_e32 vcc, 0, v53
	v_cmp_ne_u64_e64 s[0:1], 0, v[6:7]
	s_and_b64 s[2:3], s[0:1], vcc
	; wave barrier
	s_and_saveexec_b64 s[0:1], s[2:3]
	s_cbranch_execz .LBB1369_47
; %bb.46:
	v_bcnt_u32_b32 v5, v6, 0
	v_bcnt_u32_b32 v5, v7, v5
	s_waitcnt lgkmcnt(0)
	v_add_u32_e32 v5, v51, v5
	ds_write_b32 v52, v5 offset:64
.LBB1369_47:
	s_or_b64 exec, exec, s[0:1]
	v_lshrrev_b32_sdwa v5, s20, v18 dst_sel:DWORD dst_unused:UNUSED_PAD src0_sel:DWORD src1_sel:WORD_0
	v_and_b32_e32 v6, s28, v5
	v_mul_u32_u24_e32 v5, 17, v6
	v_add_lshl_u32 v55, v30, v5, 2
	v_and_b32_e32 v5, 1, v6
	v_add_co_u32_e32 v7, vcc, -1, v5
	v_addc_co_u32_e64 v54, s[0:1], 0, -1, vcc
	v_cmp_ne_u32_e32 vcc, 0, v5
	v_xor_b32_e32 v5, vcc_hi, v54
	v_and_b32_e32 v54, exec_hi, v5
	v_lshlrev_b32_e32 v5, 30, v6
	v_xor_b32_e32 v7, vcc_lo, v7
	v_cmp_gt_i64_e32 vcc, 0, v[4:5]
	v_not_b32_e32 v5, v5
	v_ashrrev_i32_e32 v5, 31, v5
	v_and_b32_e32 v7, exec_lo, v7
	v_xor_b32_e32 v57, vcc_hi, v5
	v_xor_b32_e32 v5, vcc_lo, v5
	v_and_b32_e32 v7, v7, v5
	v_lshlrev_b32_e32 v5, 29, v6
	v_cmp_gt_i64_e32 vcc, 0, v[4:5]
	v_not_b32_e32 v5, v5
	v_ashrrev_i32_e32 v5, 31, v5
	v_and_b32_e32 v54, v54, v57
	v_xor_b32_e32 v57, vcc_hi, v5
	v_xor_b32_e32 v5, vcc_lo, v5
	v_and_b32_e32 v7, v7, v5
	v_lshlrev_b32_e32 v5, 28, v6
	v_cmp_gt_i64_e32 vcc, 0, v[4:5]
	v_not_b32_e32 v5, v5
	v_ashrrev_i32_e32 v5, 31, v5
	v_and_b32_e32 v54, v54, v57
	;; [unrolled: 8-line block ×5, first 2 shown]
	v_xor_b32_e32 v57, vcc_hi, v5
	v_xor_b32_e32 v5, vcc_lo, v5
	v_and_b32_e32 v7, v7, v5
	v_lshlrev_b32_e32 v5, 24, v6
	v_cmp_gt_i64_e32 vcc, 0, v[4:5]
	v_not_b32_e32 v4, v5
	v_ashrrev_i32_e32 v4, 31, v4
	v_xor_b32_e32 v5, vcc_hi, v4
	v_xor_b32_e32 v4, vcc_lo, v4
	; wave barrier
	ds_read_b32 v30, v55 offset:64
	v_and_b32_e32 v54, v54, v57
	v_and_b32_e32 v4, v7, v4
	;; [unrolled: 1-line block ×3, first 2 shown]
	v_mbcnt_lo_u32_b32 v6, v4, 0
	v_mbcnt_hi_u32_b32 v57, v5, v6
	v_cmp_eq_u32_e32 vcc, 0, v57
	v_cmp_ne_u64_e64 s[0:1], 0, v[4:5]
	v_add_u32_e32 v56, 64, v20
	s_and_b64 s[2:3], s[0:1], vcc
	; wave barrier
	s_and_saveexec_b64 s[0:1], s[2:3]
	s_cbranch_execz .LBB1369_49
; %bb.48:
	v_bcnt_u32_b32 v4, v4, 0
	v_bcnt_u32_b32 v4, v5, v4
	s_waitcnt lgkmcnt(0)
	v_add_u32_e32 v4, v30, v4
	ds_write_b32 v55, v4 offset:64
.LBB1369_49:
	s_or_b64 exec, exec, s[0:1]
	; wave barrier
	s_waitcnt lgkmcnt(0)
	s_barrier
	ds_read2_b32 v[6:7], v20 offset0:16 offset1:17
	ds_read2_b32 v[4:5], v56 offset0:2 offset1:3
	ds_read_b32 v54, v56 offset:16
	v_cmp_lt_u32_e64 s[10:11], 31, v13
	s_waitcnt lgkmcnt(1)
	v_add3_u32 v58, v7, v6, v4
	s_waitcnt lgkmcnt(0)
	v_add3_u32 v54, v58, v5, v54
	v_and_b32_e32 v58, 15, v13
	v_cmp_eq_u32_e32 vcc, 0, v58
	v_mov_b32_dpp v59, v54 row_shr:1 row_mask:0xf bank_mask:0xf
	v_cndmask_b32_e64 v59, v59, 0, vcc
	v_add_u32_e32 v54, v59, v54
	v_cmp_lt_u32_e64 s[0:1], 1, v58
	v_cmp_lt_u32_e64 s[2:3], 3, v58
	v_mov_b32_dpp v59, v54 row_shr:2 row_mask:0xf bank_mask:0xf
	v_cndmask_b32_e64 v59, 0, v59, s[0:1]
	v_add_u32_e32 v54, v54, v59
	v_cmp_lt_u32_e64 s[8:9], 7, v58
	s_nop 0
	v_mov_b32_dpp v59, v54 row_shr:4 row_mask:0xf bank_mask:0xf
	v_cndmask_b32_e64 v59, 0, v59, s[2:3]
	v_add_u32_e32 v54, v54, v59
	s_nop 1
	v_mov_b32_dpp v59, v54 row_shr:8 row_mask:0xf bank_mask:0xf
	v_cndmask_b32_e64 v58, 0, v59, s[8:9]
	v_add_u32_e32 v54, v54, v58
	v_bfe_i32 v59, v13, 4, 1
	s_nop 0
	v_mov_b32_dpp v58, v54 row_bcast:15 row_mask:0xf bank_mask:0xf
	v_and_b32_e32 v58, v59, v58
	v_add_u32_e32 v54, v54, v58
	v_lshrrev_b32_e32 v59, 6, v2
	s_nop 0
	v_mov_b32_dpp v58, v54 row_bcast:31 row_mask:0xf bank_mask:0xf
	v_cndmask_b32_e64 v58, 0, v58, s[10:11]
	v_add_u32_e32 v58, v54, v58
	v_and_b32_e32 v54, 63, v2
	v_cmp_eq_u32_e64 s[10:11], 63, v54
	s_and_saveexec_b64 s[22:23], s[10:11]
	s_cbranch_execz .LBB1369_51
; %bb.50:
	v_lshlrev_b32_e32 v54, 2, v59
	ds_write_b32 v54, v58
.LBB1369_51:
	s_or_b64 exec, exec, s[22:23]
	v_cmp_gt_u32_e64 s[10:11], 16, v2
	v_lshlrev_b32_e32 v54, 2, v2
	s_waitcnt lgkmcnt(0)
	s_barrier
	s_and_saveexec_b64 s[22:23], s[10:11]
	s_cbranch_execz .LBB1369_53
; %bb.52:
	ds_read_b32 v60, v54
	s_waitcnt lgkmcnt(0)
	s_nop 0
	v_mov_b32_dpp v61, v60 row_shr:1 row_mask:0xf bank_mask:0xf
	v_cndmask_b32_e64 v61, v61, 0, vcc
	v_add_u32_e32 v60, v61, v60
	s_nop 1
	v_mov_b32_dpp v61, v60 row_shr:2 row_mask:0xf bank_mask:0xf
	v_cndmask_b32_e64 v61, 0, v61, s[0:1]
	v_add_u32_e32 v60, v60, v61
	s_nop 1
	v_mov_b32_dpp v61, v60 row_shr:4 row_mask:0xf bank_mask:0xf
	v_cndmask_b32_e64 v61, 0, v61, s[2:3]
	v_add_u32_e32 v60, v60, v61
	s_nop 1
	v_mov_b32_dpp v61, v60 row_shr:8 row_mask:0xf bank_mask:0xf
	v_cndmask_b32_e64 v61, 0, v61, s[8:9]
	v_add_u32_e32 v60, v60, v61
	ds_write_b32 v54, v60
.LBB1369_53:
	s_or_b64 exec, exec, s[22:23]
	v_cmp_lt_u32_e32 vcc, 63, v2
	v_mov_b32_e32 v60, 0
	s_waitcnt lgkmcnt(0)
	s_barrier
	s_and_saveexec_b64 s[0:1], vcc
	s_cbranch_execz .LBB1369_55
; %bb.54:
	v_lshl_add_u32 v59, v59, 2, -4
	ds_read_b32 v60, v59
.LBB1369_55:
	s_or_b64 exec, exec, s[0:1]
	v_add_u32_e32 v59, -1, v13
	v_and_b32_e32 v61, 64, v13
	v_cmp_lt_i32_e32 vcc, v59, v61
	v_cndmask_b32_e32 v59, v59, v13, vcc
	s_waitcnt lgkmcnt(0)
	v_add_u32_e32 v58, v60, v58
	v_lshlrev_b32_e32 v59, 2, v59
	ds_bpermute_b32 v58, v59, v58
	v_cmp_eq_u32_e32 vcc, 0, v13
	s_movk_i32 s0, 0x100
	s_waitcnt lgkmcnt(0)
	v_cndmask_b32_e32 v13, v58, v60, vcc
	v_cmp_ne_u32_e32 vcc, 0, v2
	v_cndmask_b32_e32 v13, 0, v13, vcc
	v_add_u32_e32 v6, v13, v6
	v_add_u32_e32 v7, v6, v7
	;; [unrolled: 1-line block ×4, first 2 shown]
	ds_write2_b32 v20, v13, v6 offset0:16 offset1:17
	ds_write2_b32 v56, v7, v4 offset0:2 offset1:3
	ds_write_b32 v56, v5 offset:16
	s_waitcnt lgkmcnt(0)
	s_barrier
	ds_read_b32 v60, v23 offset:64
	ds_read_b32 v59, v24 offset:64
	;; [unrolled: 1-line block ×12, first 2 shown]
	v_cmp_gt_u32_e32 vcc, s0, v2
                                        ; implicit-def: $vgpr13
                                        ; implicit-def: $vgpr20
	s_and_saveexec_b64 s[2:3], vcc
	s_cbranch_execz .LBB1369_59
; %bb.56:
	v_mul_u32_u24_e32 v13, 17, v2
	v_lshlrev_b32_e32 v34, 2, v13
	ds_read_b32 v13, v34 offset:64
	s_movk_i32 s0, 0xff
	v_cmp_ne_u32_e64 s[0:1], s0, v2
	v_mov_b32_e32 v20, 0x3000
	s_and_saveexec_b64 s[8:9], s[0:1]
	s_cbranch_execz .LBB1369_58
; %bb.57:
	ds_read_b32 v20, v34 offset:132
.LBB1369_58:
	s_or_b64 exec, exec, s[8:9]
	s_waitcnt lgkmcnt(0)
	v_sub_u32_e32 v20, v20, v13
.LBB1369_59:
	s_or_b64 exec, exec, s[2:3]
	v_add_u32_e32 v22, v25, v22
	s_waitcnt lgkmcnt(11)
	v_add_lshl_u32 v21, v60, v21, 1
	v_add_u32_e32 v26, v28, v26
	s_waitcnt lgkmcnt(0)
	s_barrier
	ds_write_b16 v21, v8 offset:1024
	v_add_lshl_u32 v8, v22, v59, 1
	v_add_u32_e32 v29, v32, v29
	ds_write_b16 v8, v3 offset:1024
	v_add_lshl_u32 v3, v26, v58, 1
	v_add_u32_e32 v33, v35, v33
	;; [unrolled: 3-line block ×9, first 2 shown]
	ds_write_b16 v3, v16 offset:1024
	v_add_lshl_u32 v3, v34, v5, 1
	ds_write_b16 v3, v19 offset:1024
	v_add_lshl_u32 v3, v30, v4, 1
	ds_write_b16 v3, v18 offset:1024
	s_and_saveexec_b64 s[2:3], vcc
	s_cbranch_execz .LBB1369_69
; %bb.60:
	v_lshl_or_b32 v4, s6, 8, v2
	v_mov_b32_e32 v5, 0
	v_lshlrev_b64 v[6:7], 2, v[4:5]
	v_mov_b32_e32 v3, s25
	v_add_co_u32_e64 v6, s[0:1], s24, v6
	v_addc_co_u32_e64 v7, s[0:1], v3, v7, s[0:1]
	v_or_b32_e32 v4, 2.0, v20
	s_mov_b64 s[8:9], 0
	s_brev_b32 s29, 1
	s_mov_b32 s30, s6
	v_mov_b32_e32 v10, 0
	global_store_dword v[6:7], v4, off
                                        ; implicit-def: $sgpr0_sgpr1
	s_branch .LBB1369_62
.LBB1369_61:                            ;   in Loop: Header=BB1369_62 Depth=1
	s_or_b64 exec, exec, s[10:11]
	v_and_b32_e32 v8, 0x3fffffff, v11
	v_add_u32_e32 v10, v8, v10
	v_cmp_eq_u32_e64 s[0:1], s29, v4
	s_and_b64 s[10:11], exec, s[0:1]
	s_or_b64 s[8:9], s[10:11], s[8:9]
	s_andn2_b64 exec, exec, s[8:9]
	s_cbranch_execz .LBB1369_68
.LBB1369_62:                            ; =>This Loop Header: Depth=1
                                        ;     Child Loop BB1369_65 Depth 2
	s_or_b64 s[0:1], s[0:1], exec
	s_cmp_eq_u32 s30, 0
	s_cbranch_scc1 .LBB1369_67
; %bb.63:                               ;   in Loop: Header=BB1369_62 Depth=1
	s_add_i32 s30, s30, -1
	v_lshl_or_b32 v4, s30, 8, v2
	v_lshlrev_b64 v[8:9], 2, v[4:5]
	v_add_co_u32_e64 v8, s[0:1], s24, v8
	v_addc_co_u32_e64 v9, s[0:1], v3, v9, s[0:1]
	global_load_dword v11, v[8:9], off glc
	s_waitcnt vmcnt(0)
	v_and_b32_e32 v4, -2.0, v11
	v_cmp_eq_u32_e64 s[0:1], 0, v4
	s_and_saveexec_b64 s[10:11], s[0:1]
	s_cbranch_execz .LBB1369_61
; %bb.64:                               ;   in Loop: Header=BB1369_62 Depth=1
	s_mov_b64 s[22:23], 0
.LBB1369_65:                            ;   Parent Loop BB1369_62 Depth=1
                                        ; =>  This Inner Loop Header: Depth=2
	global_load_dword v11, v[8:9], off glc
	s_waitcnt vmcnt(0)
	v_and_b32_e32 v4, -2.0, v11
	v_cmp_ne_u32_e64 s[0:1], 0, v4
	s_or_b64 s[22:23], s[0:1], s[22:23]
	s_andn2_b64 exec, exec, s[22:23]
	s_cbranch_execnz .LBB1369_65
; %bb.66:                               ;   in Loop: Header=BB1369_62 Depth=1
	s_or_b64 exec, exec, s[22:23]
	s_branch .LBB1369_61
.LBB1369_67:                            ;   in Loop: Header=BB1369_62 Depth=1
                                        ; implicit-def: $sgpr30
	s_and_b64 s[10:11], exec, s[0:1]
	s_or_b64 s[8:9], s[10:11], s[8:9]
	s_andn2_b64 exec, exec, s[8:9]
	s_cbranch_execnz .LBB1369_62
.LBB1369_68:
	s_or_b64 exec, exec, s[8:9]
	v_add_u32_e32 v3, v10, v20
	v_or_b32_e32 v3, 0x80000000, v3
	global_store_dword v[6:7], v3, off
	global_load_dword v3, v54, s[12:13]
	v_sub_u32_e32 v4, v10, v13
	s_waitcnt vmcnt(0)
	v_add_u32_e32 v3, v4, v3
	ds_write_b32 v54, v3
.LBB1369_69:
	s_or_b64 exec, exec, s[2:3]
	v_cmp_gt_u32_e64 s[0:1], s7, v2
	v_lshlrev_b32_e32 v3, 1, v2
	s_waitcnt lgkmcnt(0)
	s_barrier
	s_and_saveexec_b64 s[2:3], s[0:1]
	s_cbranch_execz .LBB1369_71
; %bb.70:
	ds_read_u16 v6, v3 offset:1024
	v_mov_b32_e32 v5, 0
	v_mov_b32_e32 v7, s19
	s_waitcnt lgkmcnt(0)
	v_lshrrev_b32_sdwa v4, s20, v6 dst_sel:DWORD dst_unused:UNUSED_PAD src0_sel:DWORD src1_sel:WORD_0
	v_and_b32_e32 v4, s28, v4
	v_lshlrev_b32_e32 v4, 2, v4
	ds_read_b32 v4, v4
	s_waitcnt lgkmcnt(0)
	v_add_u32_e32 v4, v4, v2
	v_lshlrev_b64 v[4:5], 1, v[4:5]
	v_add_co_u32_e64 v4, s[0:1], s18, v4
	v_addc_co_u32_e64 v5, s[0:1], v7, v5, s[0:1]
	global_store_short v[4:5], v6, off
.LBB1369_71:
	s_or_b64 exec, exec, s[2:3]
	v_or_b32_e32 v4, 0x400, v2
	v_cmp_gt_u32_e64 s[0:1], s7, v4
	s_and_saveexec_b64 s[2:3], s[0:1]
	s_cbranch_execz .LBB1369_73
; %bb.72:
	ds_read_u16 v6, v3 offset:3072
	v_mov_b32_e32 v8, s19
	s_waitcnt lgkmcnt(0)
	v_lshrrev_b32_sdwa v5, s20, v6 dst_sel:DWORD dst_unused:UNUSED_PAD src0_sel:DWORD src1_sel:WORD_0
	v_and_b32_e32 v5, s28, v5
	v_lshlrev_b32_e32 v5, 2, v5
	ds_read_b32 v7, v5
	v_mov_b32_e32 v5, 0
	s_waitcnt lgkmcnt(0)
	v_add_u32_e32 v4, v7, v4
	v_lshlrev_b64 v[4:5], 1, v[4:5]
	v_add_co_u32_e64 v4, s[0:1], s18, v4
	v_addc_co_u32_e64 v5, s[0:1], v8, v5, s[0:1]
	global_store_short v[4:5], v6, off
.LBB1369_73:
	s_or_b64 exec, exec, s[2:3]
	v_or_b32_e32 v4, 0x800, v2
	v_cmp_gt_u32_e64 s[0:1], s7, v4
	s_and_saveexec_b64 s[2:3], s[0:1]
	s_cbranch_execz .LBB1369_75
; %bb.74:
	ds_read_u16 v6, v3 offset:5120
	v_mov_b32_e32 v8, s19
	s_waitcnt lgkmcnt(0)
	v_lshrrev_b32_sdwa v5, s20, v6 dst_sel:DWORD dst_unused:UNUSED_PAD src0_sel:DWORD src1_sel:WORD_0
	v_and_b32_e32 v5, s28, v5
	v_lshlrev_b32_e32 v5, 2, v5
	ds_read_b32 v7, v5
	v_mov_b32_e32 v5, 0
	s_waitcnt lgkmcnt(0)
	v_add_u32_e32 v4, v7, v4
	v_lshlrev_b64 v[4:5], 1, v[4:5]
	v_add_co_u32_e64 v4, s[0:1], s18, v4
	v_addc_co_u32_e64 v5, s[0:1], v8, v5, s[0:1]
	global_store_short v[4:5], v6, off
.LBB1369_75:
	;; [unrolled: 21-line block ×11, first 2 shown]
	s_or_b64 exec, exec, s[2:3]
	s_add_i32 s27, s27, -1
	s_cmp_eq_u32 s27, s6
	s_cselect_b64 s[0:1], -1, 0
	s_and_b64 s[2:3], vcc, s[0:1]
	s_mov_b64 s[0:1], 0
	s_mov_b64 s[10:11], 0
                                        ; implicit-def: $vgpr4
	s_and_saveexec_b64 s[8:9], s[2:3]
	s_xor_b64 s[2:3], exec, s[8:9]
; %bb.94:
	s_mov_b64 s[10:11], exec
	v_add_u32_e32 v4, v13, v20
	v_mov_b32_e32 v3, 0
; %bb.95:
	s_or_b64 exec, exec, s[2:3]
	s_and_b64 vcc, exec, s[0:1]
	s_cbranch_vccnz .LBB1369_97
	s_branch .LBB1369_146
.LBB1369_96:
	s_mov_b64 s[10:11], 0
                                        ; implicit-def: $vgpr4
                                        ; implicit-def: $vgpr2_vgpr3
	s_cbranch_execz .LBB1369_146
.LBB1369_97:
	s_mov_b32 s27, 0
	v_mbcnt_hi_u32_b32 v17, -1, v1
	s_lshl_b64 s[0:1], s[26:27], 1
	v_and_b32_e32 v1, 63, v17
	s_add_u32 s0, s16, s0
	v_lshlrev_b32_e32 v1, 1, v1
	v_add_co_u32_e32 v1, vcc, s0, v1
	s_load_dword s7, s[4:5], 0x58
	s_load_dword s0, s[4:5], 0x64
	v_and_b32_e32 v2, 0x3ff, v0
	s_addc_u32 s1, s17, s1
	v_and_b32_e32 v3, 0x3c0, v2
	v_mul_u32_u24_e32 v3, 12, v3
	v_mov_b32_e32 v5, s1
	s_add_u32 s1, s4, 0x58
	v_addc_co_u32_e32 v5, vcc, 0, v5, vcc
	v_lshlrev_b32_e32 v3, 1, v3
	s_addc_u32 s2, s5, 0
	s_waitcnt lgkmcnt(0)
	s_lshr_b32 s3, s0, 16
	v_add_co_u32_e32 v20, vcc, v1, v3
	s_cmp_lt_u32 s6, s7
	v_addc_co_u32_e32 v21, vcc, 0, v5, vcc
	s_cselect_b32 s0, 12, 18
	global_load_ushort v3, v[20:21], off
	s_add_u32 s0, s1, s0
	v_mov_b32_e32 v4, 0
	s_addc_u32 s1, s2, 0
	global_load_ushort v1, v4, s[0:1]
	v_mul_u32_u24_e32 v6, 5, v2
	v_lshlrev_b32_e32 v18, 2, v6
	ds_write2_b32 v18, v4, v4 offset0:16 offset1:17
	ds_write2_b32 v18, v4, v4 offset0:18 offset1:19
	ds_write_b32 v18, v4 offset:80
	global_load_ushort v16, v[20:21], off offset:128
	global_load_ushort v15, v[20:21], off offset:256
	;; [unrolled: 1-line block ×11, first 2 shown]
	v_bfe_u32 v5, v0, 10, 10
	v_bfe_u32 v0, v0, 20, 10
	s_lshl_b32 s0, -1, s21
	v_mad_u32_u24 v0, v0, s3, v5
	s_not_b32 s21, s0
	s_waitcnt lgkmcnt(0)
	s_barrier
	s_waitcnt lgkmcnt(0)
	; wave barrier
	s_waitcnt vmcnt(12)
	v_lshrrev_b32_sdwa v5, s20, v3 dst_sel:DWORD dst_unused:UNUSED_PAD src0_sel:DWORD src1_sel:WORD_0
	v_and_b32_e32 v20, s21, v5
	v_and_b32_e32 v21, 1, v20
	v_lshlrev_b32_e32 v5, 30, v20
	s_waitcnt vmcnt(11)
	v_mad_u64_u32 v[0:1], s[0:1], v0, v1, v[2:3]
	v_add_co_u32_e32 v1, vcc, -1, v21
	v_addc_co_u32_e64 v22, s[0:1], 0, -1, vcc
	v_cmp_ne_u32_e32 vcc, 0, v21
	v_cmp_gt_i64_e64 s[0:1], 0, v[4:5]
	v_not_b32_e32 v21, v5
	v_lshlrev_b32_e32 v5, 29, v20
	v_lshrrev_b32_e32 v26, 6, v0
	v_xor_b32_e32 v0, vcc_hi, v22
	v_xor_b32_e32 v1, vcc_lo, v1
	v_ashrrev_i32_e32 v21, 31, v21
	v_cmp_gt_i64_e32 vcc, 0, v[4:5]
	v_not_b32_e32 v22, v5
	v_lshlrev_b32_e32 v5, 28, v20
	v_and_b32_e32 v0, exec_hi, v0
	v_and_b32_e32 v1, exec_lo, v1
	v_xor_b32_e32 v23, s1, v21
	v_xor_b32_e32 v21, s0, v21
	v_ashrrev_i32_e32 v22, 31, v22
	v_cmp_gt_i64_e64 s[0:1], 0, v[4:5]
	v_not_b32_e32 v5, v5
	v_and_b32_e32 v0, v0, v23
	v_and_b32_e32 v1, v1, v21
	v_xor_b32_e32 v21, vcc_hi, v22
	v_xor_b32_e32 v22, vcc_lo, v22
	v_ashrrev_i32_e32 v5, 31, v5
	v_and_b32_e32 v0, v0, v21
	v_and_b32_e32 v1, v1, v22
	v_xor_b32_e32 v21, s1, v5
	v_xor_b32_e32 v5, s0, v5
	v_and_b32_e32 v1, v1, v5
	v_lshlrev_b32_e32 v5, 27, v20
	v_cmp_gt_i64_e32 vcc, 0, v[4:5]
	v_not_b32_e32 v5, v5
	v_ashrrev_i32_e32 v5, 31, v5
	v_and_b32_e32 v0, v0, v21
	v_xor_b32_e32 v21, vcc_hi, v5
	v_xor_b32_e32 v5, vcc_lo, v5
	v_and_b32_e32 v1, v1, v5
	v_lshlrev_b32_e32 v5, 26, v20
	v_cmp_gt_i64_e32 vcc, 0, v[4:5]
	v_not_b32_e32 v5, v5
	v_ashrrev_i32_e32 v5, 31, v5
	v_and_b32_e32 v0, v0, v21
	v_xor_b32_e32 v21, vcc_hi, v5
	v_xor_b32_e32 v5, vcc_lo, v5
	;; [unrolled: 8-line block ×3, first 2 shown]
	v_and_b32_e32 v0, v0, v21
	v_and_b32_e32 v21, v1, v5
	v_lshlrev_b32_e32 v5, 24, v20
	v_not_b32_e32 v1, v5
	v_cmp_gt_i64_e32 vcc, 0, v[4:5]
	v_ashrrev_i32_e32 v1, 31, v1
	v_mul_u32_u24_e32 v19, 17, v20
	v_xor_b32_e32 v5, vcc_hi, v1
	v_xor_b32_e32 v20, vcc_lo, v1
	v_and_b32_e32 v1, v0, v5
	v_and_b32_e32 v0, v21, v20
	v_mbcnt_lo_u32_b32 v5, v0, 0
	v_mbcnt_hi_u32_b32 v20, v1, v5
	v_cmp_eq_u32_e32 vcc, 0, v20
	v_cmp_ne_u64_e64 s[0:1], 0, v[0:1]
	v_add_lshl_u32 v19, v26, v19, 2
	s_and_b64 s[2:3], s[0:1], vcc
	s_and_saveexec_b64 s[0:1], s[2:3]
	s_cbranch_execz .LBB1369_99
; %bb.98:
	v_bcnt_u32_b32 v0, v0, 0
	v_bcnt_u32_b32 v0, v1, v0
	ds_write_b32 v19, v0 offset:64
.LBB1369_99:
	s_or_b64 exec, exec, s[0:1]
	s_waitcnt vmcnt(10)
	v_lshrrev_b32_sdwa v0, s20, v16 dst_sel:DWORD dst_unused:UNUSED_PAD src0_sel:DWORD src1_sel:WORD_0
	v_and_b32_e32 v0, s21, v0
	v_mul_u32_u24_e32 v1, 17, v0
	v_add_lshl_u32 v22, v26, v1, 2
	v_and_b32_e32 v1, 1, v0
	v_add_co_u32_e32 v5, vcc, -1, v1
	v_addc_co_u32_e64 v23, s[0:1], 0, -1, vcc
	v_cmp_ne_u32_e32 vcc, 0, v1
	v_xor_b32_e32 v5, vcc_lo, v5
	v_xor_b32_e32 v1, vcc_hi, v23
	v_and_b32_e32 v23, exec_lo, v5
	v_lshlrev_b32_e32 v5, 30, v0
	v_cmp_gt_i64_e32 vcc, 0, v[4:5]
	v_not_b32_e32 v5, v5
	v_ashrrev_i32_e32 v5, 31, v5
	v_xor_b32_e32 v24, vcc_hi, v5
	v_xor_b32_e32 v5, vcc_lo, v5
	v_and_b32_e32 v23, v23, v5
	v_lshlrev_b32_e32 v5, 29, v0
	v_cmp_gt_i64_e32 vcc, 0, v[4:5]
	v_not_b32_e32 v5, v5
	v_and_b32_e32 v1, exec_hi, v1
	v_ashrrev_i32_e32 v5, 31, v5
	v_and_b32_e32 v1, v1, v24
	v_xor_b32_e32 v24, vcc_hi, v5
	v_xor_b32_e32 v5, vcc_lo, v5
	v_and_b32_e32 v23, v23, v5
	v_lshlrev_b32_e32 v5, 28, v0
	v_cmp_gt_i64_e32 vcc, 0, v[4:5]
	v_not_b32_e32 v5, v5
	v_ashrrev_i32_e32 v5, 31, v5
	v_and_b32_e32 v1, v1, v24
	v_xor_b32_e32 v24, vcc_hi, v5
	v_xor_b32_e32 v5, vcc_lo, v5
	v_and_b32_e32 v23, v23, v5
	v_lshlrev_b32_e32 v5, 27, v0
	v_cmp_gt_i64_e32 vcc, 0, v[4:5]
	v_not_b32_e32 v5, v5
	;; [unrolled: 8-line block ×4, first 2 shown]
	v_ashrrev_i32_e32 v5, 31, v5
	v_and_b32_e32 v1, v1, v24
	v_xor_b32_e32 v24, vcc_hi, v5
	v_xor_b32_e32 v5, vcc_lo, v5
	v_and_b32_e32 v23, v23, v5
	v_lshlrev_b32_e32 v5, 24, v0
	v_not_b32_e32 v0, v5
	v_cmp_gt_i64_e32 vcc, 0, v[4:5]
	v_ashrrev_i32_e32 v0, 31, v0
	v_xor_b32_e32 v4, vcc_hi, v0
	v_xor_b32_e32 v0, vcc_lo, v0
	; wave barrier
	ds_read_b32 v21, v22 offset:64
	v_and_b32_e32 v1, v1, v24
	v_and_b32_e32 v0, v23, v0
	;; [unrolled: 1-line block ×3, first 2 shown]
	v_mbcnt_lo_u32_b32 v4, v0, 0
	v_mbcnt_hi_u32_b32 v23, v1, v4
	v_cmp_eq_u32_e32 vcc, 0, v23
	v_cmp_ne_u64_e64 s[0:1], 0, v[0:1]
	s_and_b64 s[2:3], s[0:1], vcc
	; wave barrier
	s_and_saveexec_b64 s[0:1], s[2:3]
	s_cbranch_execz .LBB1369_101
; %bb.100:
	v_bcnt_u32_b32 v0, v0, 0
	v_bcnt_u32_b32 v0, v1, v0
	s_waitcnt lgkmcnt(0)
	v_add_u32_e32 v0, v21, v0
	ds_write_b32 v22, v0 offset:64
.LBB1369_101:
	s_or_b64 exec, exec, s[0:1]
	s_waitcnt vmcnt(9)
	v_lshrrev_b32_sdwa v0, s20, v15 dst_sel:DWORD dst_unused:UNUSED_PAD src0_sel:DWORD src1_sel:WORD_0
	v_and_b32_e32 v4, s21, v0
	v_and_b32_e32 v1, 1, v4
	v_add_co_u32_e32 v5, vcc, -1, v1
	v_addc_co_u32_e64 v27, s[0:1], 0, -1, vcc
	v_cmp_ne_u32_e32 vcc, 0, v1
	v_mul_u32_u24_e32 v0, 17, v4
	v_xor_b32_e32 v1, vcc_hi, v27
	v_add_lshl_u32 v25, v26, v0, 2
	v_mov_b32_e32 v0, 0
	v_and_b32_e32 v27, exec_hi, v1
	v_lshlrev_b32_e32 v1, 30, v4
	v_xor_b32_e32 v5, vcc_lo, v5
	v_cmp_gt_i64_e32 vcc, 0, v[0:1]
	v_not_b32_e32 v1, v1
	v_ashrrev_i32_e32 v1, 31, v1
	v_and_b32_e32 v5, exec_lo, v5
	v_xor_b32_e32 v28, vcc_hi, v1
	v_xor_b32_e32 v1, vcc_lo, v1
	v_and_b32_e32 v5, v5, v1
	v_lshlrev_b32_e32 v1, 29, v4
	v_cmp_gt_i64_e32 vcc, 0, v[0:1]
	v_not_b32_e32 v1, v1
	v_ashrrev_i32_e32 v1, 31, v1
	v_and_b32_e32 v27, v27, v28
	v_xor_b32_e32 v28, vcc_hi, v1
	v_xor_b32_e32 v1, vcc_lo, v1
	v_and_b32_e32 v5, v5, v1
	v_lshlrev_b32_e32 v1, 28, v4
	v_cmp_gt_i64_e32 vcc, 0, v[0:1]
	v_not_b32_e32 v1, v1
	v_ashrrev_i32_e32 v1, 31, v1
	v_and_b32_e32 v27, v27, v28
	;; [unrolled: 8-line block ×5, first 2 shown]
	v_xor_b32_e32 v28, vcc_hi, v1
	v_xor_b32_e32 v1, vcc_lo, v1
	v_and_b32_e32 v27, v27, v28
	v_and_b32_e32 v28, v5, v1
	v_lshlrev_b32_e32 v1, 24, v4
	v_cmp_gt_i64_e32 vcc, 0, v[0:1]
	v_not_b32_e32 v1, v1
	v_ashrrev_i32_e32 v1, 31, v1
	v_xor_b32_e32 v4, vcc_hi, v1
	v_xor_b32_e32 v1, vcc_lo, v1
	; wave barrier
	ds_read_b32 v24, v25 offset:64
	v_and_b32_e32 v5, v27, v4
	v_and_b32_e32 v4, v28, v1
	v_mbcnt_lo_u32_b32 v1, v4, 0
	v_mbcnt_hi_u32_b32 v27, v5, v1
	v_cmp_eq_u32_e32 vcc, 0, v27
	v_cmp_ne_u64_e64 s[0:1], 0, v[4:5]
	s_and_b64 s[2:3], s[0:1], vcc
	; wave barrier
	s_and_saveexec_b64 s[0:1], s[2:3]
	s_cbranch_execz .LBB1369_103
; %bb.102:
	v_bcnt_u32_b32 v1, v4, 0
	v_bcnt_u32_b32 v1, v5, v1
	s_waitcnt lgkmcnt(0)
	v_add_u32_e32 v1, v24, v1
	ds_write_b32 v25, v1 offset:64
.LBB1369_103:
	s_or_b64 exec, exec, s[0:1]
	s_waitcnt vmcnt(8)
	v_lshrrev_b32_sdwa v1, s20, v14 dst_sel:DWORD dst_unused:UNUSED_PAD src0_sel:DWORD src1_sel:WORD_0
	v_and_b32_e32 v4, s21, v1
	v_mul_u32_u24_e32 v1, 17, v4
	v_add_lshl_u32 v29, v26, v1, 2
	v_and_b32_e32 v1, 1, v4
	v_add_co_u32_e32 v5, vcc, -1, v1
	v_addc_co_u32_e64 v30, s[0:1], 0, -1, vcc
	v_cmp_ne_u32_e32 vcc, 0, v1
	v_xor_b32_e32 v1, vcc_hi, v30
	v_and_b32_e32 v30, exec_hi, v1
	v_lshlrev_b32_e32 v1, 30, v4
	v_xor_b32_e32 v5, vcc_lo, v5
	v_cmp_gt_i64_e32 vcc, 0, v[0:1]
	v_not_b32_e32 v1, v1
	v_ashrrev_i32_e32 v1, 31, v1
	v_and_b32_e32 v5, exec_lo, v5
	v_xor_b32_e32 v31, vcc_hi, v1
	v_xor_b32_e32 v1, vcc_lo, v1
	v_and_b32_e32 v5, v5, v1
	v_lshlrev_b32_e32 v1, 29, v4
	v_cmp_gt_i64_e32 vcc, 0, v[0:1]
	v_not_b32_e32 v1, v1
	v_ashrrev_i32_e32 v1, 31, v1
	v_and_b32_e32 v30, v30, v31
	v_xor_b32_e32 v31, vcc_hi, v1
	v_xor_b32_e32 v1, vcc_lo, v1
	v_and_b32_e32 v5, v5, v1
	v_lshlrev_b32_e32 v1, 28, v4
	v_cmp_gt_i64_e32 vcc, 0, v[0:1]
	v_not_b32_e32 v1, v1
	v_ashrrev_i32_e32 v1, 31, v1
	v_and_b32_e32 v30, v30, v31
	;; [unrolled: 8-line block ×5, first 2 shown]
	v_xor_b32_e32 v31, vcc_hi, v1
	v_xor_b32_e32 v1, vcc_lo, v1
	v_and_b32_e32 v5, v5, v1
	v_lshlrev_b32_e32 v1, 24, v4
	v_cmp_gt_i64_e32 vcc, 0, v[0:1]
	v_not_b32_e32 v0, v1
	v_ashrrev_i32_e32 v0, 31, v0
	v_xor_b32_e32 v1, vcc_hi, v0
	v_xor_b32_e32 v0, vcc_lo, v0
	; wave barrier
	ds_read_b32 v28, v29 offset:64
	v_and_b32_e32 v30, v30, v31
	v_and_b32_e32 v0, v5, v0
	;; [unrolled: 1-line block ×3, first 2 shown]
	v_mbcnt_lo_u32_b32 v4, v0, 0
	v_mbcnt_hi_u32_b32 v30, v1, v4
	v_cmp_eq_u32_e32 vcc, 0, v30
	v_cmp_ne_u64_e64 s[0:1], 0, v[0:1]
	s_and_b64 s[2:3], s[0:1], vcc
	; wave barrier
	s_and_saveexec_b64 s[0:1], s[2:3]
	s_cbranch_execz .LBB1369_105
; %bb.104:
	v_bcnt_u32_b32 v0, v0, 0
	v_bcnt_u32_b32 v0, v1, v0
	s_waitcnt lgkmcnt(0)
	v_add_u32_e32 v0, v28, v0
	ds_write_b32 v29, v0 offset:64
.LBB1369_105:
	s_or_b64 exec, exec, s[0:1]
	s_waitcnt vmcnt(7)
	v_lshrrev_b32_sdwa v0, s20, v13 dst_sel:DWORD dst_unused:UNUSED_PAD src0_sel:DWORD src1_sel:WORD_0
	v_and_b32_e32 v4, s21, v0
	v_and_b32_e32 v1, 1, v4
	v_add_co_u32_e32 v5, vcc, -1, v1
	v_addc_co_u32_e64 v33, s[0:1], 0, -1, vcc
	v_cmp_ne_u32_e32 vcc, 0, v1
	v_mul_u32_u24_e32 v0, 17, v4
	v_xor_b32_e32 v1, vcc_hi, v33
	v_add_lshl_u32 v32, v26, v0, 2
	v_mov_b32_e32 v0, 0
	v_and_b32_e32 v33, exec_hi, v1
	v_lshlrev_b32_e32 v1, 30, v4
	v_xor_b32_e32 v5, vcc_lo, v5
	v_cmp_gt_i64_e32 vcc, 0, v[0:1]
	v_not_b32_e32 v1, v1
	v_ashrrev_i32_e32 v1, 31, v1
	v_and_b32_e32 v5, exec_lo, v5
	v_xor_b32_e32 v34, vcc_hi, v1
	v_xor_b32_e32 v1, vcc_lo, v1
	v_and_b32_e32 v5, v5, v1
	v_lshlrev_b32_e32 v1, 29, v4
	v_cmp_gt_i64_e32 vcc, 0, v[0:1]
	v_not_b32_e32 v1, v1
	v_ashrrev_i32_e32 v1, 31, v1
	v_and_b32_e32 v33, v33, v34
	v_xor_b32_e32 v34, vcc_hi, v1
	v_xor_b32_e32 v1, vcc_lo, v1
	v_and_b32_e32 v5, v5, v1
	v_lshlrev_b32_e32 v1, 28, v4
	v_cmp_gt_i64_e32 vcc, 0, v[0:1]
	v_not_b32_e32 v1, v1
	v_ashrrev_i32_e32 v1, 31, v1
	v_and_b32_e32 v33, v33, v34
	;; [unrolled: 8-line block ×5, first 2 shown]
	v_xor_b32_e32 v34, vcc_hi, v1
	v_xor_b32_e32 v1, vcc_lo, v1
	v_and_b32_e32 v33, v33, v34
	v_and_b32_e32 v34, v5, v1
	v_lshlrev_b32_e32 v1, 24, v4
	v_cmp_gt_i64_e32 vcc, 0, v[0:1]
	v_not_b32_e32 v1, v1
	v_ashrrev_i32_e32 v1, 31, v1
	v_xor_b32_e32 v4, vcc_hi, v1
	v_xor_b32_e32 v1, vcc_lo, v1
	; wave barrier
	ds_read_b32 v31, v32 offset:64
	v_and_b32_e32 v5, v33, v4
	v_and_b32_e32 v4, v34, v1
	v_mbcnt_lo_u32_b32 v1, v4, 0
	v_mbcnt_hi_u32_b32 v33, v5, v1
	v_cmp_eq_u32_e32 vcc, 0, v33
	v_cmp_ne_u64_e64 s[0:1], 0, v[4:5]
	s_and_b64 s[2:3], s[0:1], vcc
	; wave barrier
	s_and_saveexec_b64 s[0:1], s[2:3]
	s_cbranch_execz .LBB1369_107
; %bb.106:
	v_bcnt_u32_b32 v1, v4, 0
	v_bcnt_u32_b32 v1, v5, v1
	s_waitcnt lgkmcnt(0)
	v_add_u32_e32 v1, v31, v1
	ds_write_b32 v32, v1 offset:64
.LBB1369_107:
	s_or_b64 exec, exec, s[0:1]
	s_waitcnt vmcnt(6)
	v_lshrrev_b32_sdwa v1, s20, v12 dst_sel:DWORD dst_unused:UNUSED_PAD src0_sel:DWORD src1_sel:WORD_0
	v_and_b32_e32 v4, s21, v1
	v_mul_u32_u24_e32 v1, 17, v4
	v_add_lshl_u32 v35, v26, v1, 2
	v_and_b32_e32 v1, 1, v4
	v_add_co_u32_e32 v5, vcc, -1, v1
	v_addc_co_u32_e64 v36, s[0:1], 0, -1, vcc
	v_cmp_ne_u32_e32 vcc, 0, v1
	v_xor_b32_e32 v1, vcc_hi, v36
	v_and_b32_e32 v36, exec_hi, v1
	v_lshlrev_b32_e32 v1, 30, v4
	v_xor_b32_e32 v5, vcc_lo, v5
	v_cmp_gt_i64_e32 vcc, 0, v[0:1]
	v_not_b32_e32 v1, v1
	v_ashrrev_i32_e32 v1, 31, v1
	v_and_b32_e32 v5, exec_lo, v5
	v_xor_b32_e32 v37, vcc_hi, v1
	v_xor_b32_e32 v1, vcc_lo, v1
	v_and_b32_e32 v5, v5, v1
	v_lshlrev_b32_e32 v1, 29, v4
	v_cmp_gt_i64_e32 vcc, 0, v[0:1]
	v_not_b32_e32 v1, v1
	v_ashrrev_i32_e32 v1, 31, v1
	v_and_b32_e32 v36, v36, v37
	v_xor_b32_e32 v37, vcc_hi, v1
	v_xor_b32_e32 v1, vcc_lo, v1
	v_and_b32_e32 v5, v5, v1
	v_lshlrev_b32_e32 v1, 28, v4
	v_cmp_gt_i64_e32 vcc, 0, v[0:1]
	v_not_b32_e32 v1, v1
	v_ashrrev_i32_e32 v1, 31, v1
	v_and_b32_e32 v36, v36, v37
	v_xor_b32_e32 v37, vcc_hi, v1
	v_xor_b32_e32 v1, vcc_lo, v1
	v_and_b32_e32 v5, v5, v1
	v_lshlrev_b32_e32 v1, 27, v4
	v_cmp_gt_i64_e32 vcc, 0, v[0:1]
	v_not_b32_e32 v1, v1
	v_ashrrev_i32_e32 v1, 31, v1
	v_and_b32_e32 v36, v36, v37
	v_xor_b32_e32 v37, vcc_hi, v1
	v_xor_b32_e32 v1, vcc_lo, v1
	v_and_b32_e32 v5, v5, v1
	v_lshlrev_b32_e32 v1, 26, v4
	v_cmp_gt_i64_e32 vcc, 0, v[0:1]
	v_not_b32_e32 v1, v1
	v_ashrrev_i32_e32 v1, 31, v1
	v_and_b32_e32 v36, v36, v37
	v_xor_b32_e32 v37, vcc_hi, v1
	v_xor_b32_e32 v1, vcc_lo, v1
	v_and_b32_e32 v5, v5, v1
	v_lshlrev_b32_e32 v1, 25, v4
	v_cmp_gt_i64_e32 vcc, 0, v[0:1]
	v_not_b32_e32 v1, v1
	v_ashrrev_i32_e32 v1, 31, v1
	v_and_b32_e32 v36, v36, v37
	v_xor_b32_e32 v37, vcc_hi, v1
	v_xor_b32_e32 v1, vcc_lo, v1
	v_and_b32_e32 v5, v5, v1
	v_lshlrev_b32_e32 v1, 24, v4
	v_cmp_gt_i64_e32 vcc, 0, v[0:1]
	v_not_b32_e32 v0, v1
	v_ashrrev_i32_e32 v0, 31, v0
	v_xor_b32_e32 v1, vcc_hi, v0
	v_xor_b32_e32 v0, vcc_lo, v0
	; wave barrier
	ds_read_b32 v34, v35 offset:64
	v_and_b32_e32 v36, v36, v37
	v_and_b32_e32 v0, v5, v0
	;; [unrolled: 1-line block ×3, first 2 shown]
	v_mbcnt_lo_u32_b32 v4, v0, 0
	v_mbcnt_hi_u32_b32 v36, v1, v4
	v_cmp_eq_u32_e32 vcc, 0, v36
	v_cmp_ne_u64_e64 s[0:1], 0, v[0:1]
	s_and_b64 s[2:3], s[0:1], vcc
	; wave barrier
	s_and_saveexec_b64 s[0:1], s[2:3]
	s_cbranch_execz .LBB1369_109
; %bb.108:
	v_bcnt_u32_b32 v0, v0, 0
	v_bcnt_u32_b32 v0, v1, v0
	s_waitcnt lgkmcnt(0)
	v_add_u32_e32 v0, v34, v0
	ds_write_b32 v35, v0 offset:64
.LBB1369_109:
	s_or_b64 exec, exec, s[0:1]
	s_waitcnt vmcnt(5)
	v_lshrrev_b32_sdwa v0, s20, v11 dst_sel:DWORD dst_unused:UNUSED_PAD src0_sel:DWORD src1_sel:WORD_0
	v_and_b32_e32 v4, s21, v0
	v_and_b32_e32 v1, 1, v4
	v_add_co_u32_e32 v5, vcc, -1, v1
	v_addc_co_u32_e64 v39, s[0:1], 0, -1, vcc
	v_cmp_ne_u32_e32 vcc, 0, v1
	v_mul_u32_u24_e32 v0, 17, v4
	v_xor_b32_e32 v1, vcc_hi, v39
	v_add_lshl_u32 v38, v26, v0, 2
	v_mov_b32_e32 v0, 0
	v_and_b32_e32 v39, exec_hi, v1
	v_lshlrev_b32_e32 v1, 30, v4
	v_xor_b32_e32 v5, vcc_lo, v5
	v_cmp_gt_i64_e32 vcc, 0, v[0:1]
	v_not_b32_e32 v1, v1
	v_ashrrev_i32_e32 v1, 31, v1
	v_and_b32_e32 v5, exec_lo, v5
	v_xor_b32_e32 v40, vcc_hi, v1
	v_xor_b32_e32 v1, vcc_lo, v1
	v_and_b32_e32 v5, v5, v1
	v_lshlrev_b32_e32 v1, 29, v4
	v_cmp_gt_i64_e32 vcc, 0, v[0:1]
	v_not_b32_e32 v1, v1
	v_ashrrev_i32_e32 v1, 31, v1
	v_and_b32_e32 v39, v39, v40
	v_xor_b32_e32 v40, vcc_hi, v1
	v_xor_b32_e32 v1, vcc_lo, v1
	v_and_b32_e32 v5, v5, v1
	v_lshlrev_b32_e32 v1, 28, v4
	v_cmp_gt_i64_e32 vcc, 0, v[0:1]
	v_not_b32_e32 v1, v1
	v_ashrrev_i32_e32 v1, 31, v1
	v_and_b32_e32 v39, v39, v40
	;; [unrolled: 8-line block ×5, first 2 shown]
	v_xor_b32_e32 v40, vcc_hi, v1
	v_xor_b32_e32 v1, vcc_lo, v1
	v_and_b32_e32 v39, v39, v40
	v_and_b32_e32 v40, v5, v1
	v_lshlrev_b32_e32 v1, 24, v4
	v_cmp_gt_i64_e32 vcc, 0, v[0:1]
	v_not_b32_e32 v1, v1
	v_ashrrev_i32_e32 v1, 31, v1
	v_xor_b32_e32 v4, vcc_hi, v1
	v_xor_b32_e32 v1, vcc_lo, v1
	; wave barrier
	ds_read_b32 v37, v38 offset:64
	v_and_b32_e32 v5, v39, v4
	v_and_b32_e32 v4, v40, v1
	v_mbcnt_lo_u32_b32 v1, v4, 0
	v_mbcnt_hi_u32_b32 v39, v5, v1
	v_cmp_eq_u32_e32 vcc, 0, v39
	v_cmp_ne_u64_e64 s[0:1], 0, v[4:5]
	s_and_b64 s[2:3], s[0:1], vcc
	; wave barrier
	s_and_saveexec_b64 s[0:1], s[2:3]
	s_cbranch_execz .LBB1369_111
; %bb.110:
	v_bcnt_u32_b32 v1, v4, 0
	v_bcnt_u32_b32 v1, v5, v1
	s_waitcnt lgkmcnt(0)
	v_add_u32_e32 v1, v37, v1
	ds_write_b32 v38, v1 offset:64
.LBB1369_111:
	s_or_b64 exec, exec, s[0:1]
	s_waitcnt vmcnt(4)
	v_lshrrev_b32_sdwa v1, s20, v10 dst_sel:DWORD dst_unused:UNUSED_PAD src0_sel:DWORD src1_sel:WORD_0
	v_and_b32_e32 v4, s21, v1
	v_mul_u32_u24_e32 v1, 17, v4
	v_add_lshl_u32 v41, v26, v1, 2
	v_and_b32_e32 v1, 1, v4
	v_add_co_u32_e32 v5, vcc, -1, v1
	v_addc_co_u32_e64 v42, s[0:1], 0, -1, vcc
	v_cmp_ne_u32_e32 vcc, 0, v1
	v_xor_b32_e32 v1, vcc_hi, v42
	v_and_b32_e32 v42, exec_hi, v1
	v_lshlrev_b32_e32 v1, 30, v4
	v_xor_b32_e32 v5, vcc_lo, v5
	v_cmp_gt_i64_e32 vcc, 0, v[0:1]
	v_not_b32_e32 v1, v1
	v_ashrrev_i32_e32 v1, 31, v1
	v_and_b32_e32 v5, exec_lo, v5
	v_xor_b32_e32 v43, vcc_hi, v1
	v_xor_b32_e32 v1, vcc_lo, v1
	v_and_b32_e32 v5, v5, v1
	v_lshlrev_b32_e32 v1, 29, v4
	v_cmp_gt_i64_e32 vcc, 0, v[0:1]
	v_not_b32_e32 v1, v1
	v_ashrrev_i32_e32 v1, 31, v1
	v_and_b32_e32 v42, v42, v43
	v_xor_b32_e32 v43, vcc_hi, v1
	v_xor_b32_e32 v1, vcc_lo, v1
	v_and_b32_e32 v5, v5, v1
	v_lshlrev_b32_e32 v1, 28, v4
	v_cmp_gt_i64_e32 vcc, 0, v[0:1]
	v_not_b32_e32 v1, v1
	v_ashrrev_i32_e32 v1, 31, v1
	v_and_b32_e32 v42, v42, v43
	;; [unrolled: 8-line block ×5, first 2 shown]
	v_xor_b32_e32 v43, vcc_hi, v1
	v_xor_b32_e32 v1, vcc_lo, v1
	v_and_b32_e32 v5, v5, v1
	v_lshlrev_b32_e32 v1, 24, v4
	v_cmp_gt_i64_e32 vcc, 0, v[0:1]
	v_not_b32_e32 v0, v1
	v_ashrrev_i32_e32 v0, 31, v0
	v_xor_b32_e32 v1, vcc_hi, v0
	v_xor_b32_e32 v0, vcc_lo, v0
	; wave barrier
	ds_read_b32 v40, v41 offset:64
	v_and_b32_e32 v42, v42, v43
	v_and_b32_e32 v0, v5, v0
	;; [unrolled: 1-line block ×3, first 2 shown]
	v_mbcnt_lo_u32_b32 v4, v0, 0
	v_mbcnt_hi_u32_b32 v42, v1, v4
	v_cmp_eq_u32_e32 vcc, 0, v42
	v_cmp_ne_u64_e64 s[0:1], 0, v[0:1]
	s_and_b64 s[2:3], s[0:1], vcc
	; wave barrier
	s_and_saveexec_b64 s[0:1], s[2:3]
	s_cbranch_execz .LBB1369_113
; %bb.112:
	v_bcnt_u32_b32 v0, v0, 0
	v_bcnt_u32_b32 v0, v1, v0
	s_waitcnt lgkmcnt(0)
	v_add_u32_e32 v0, v40, v0
	ds_write_b32 v41, v0 offset:64
.LBB1369_113:
	s_or_b64 exec, exec, s[0:1]
	s_waitcnt vmcnt(3)
	v_lshrrev_b32_sdwa v0, s20, v9 dst_sel:DWORD dst_unused:UNUSED_PAD src0_sel:DWORD src1_sel:WORD_0
	v_and_b32_e32 v4, s21, v0
	v_and_b32_e32 v1, 1, v4
	v_add_co_u32_e32 v5, vcc, -1, v1
	v_addc_co_u32_e64 v45, s[0:1], 0, -1, vcc
	v_cmp_ne_u32_e32 vcc, 0, v1
	v_mul_u32_u24_e32 v0, 17, v4
	v_xor_b32_e32 v1, vcc_hi, v45
	v_add_lshl_u32 v44, v26, v0, 2
	v_mov_b32_e32 v0, 0
	v_and_b32_e32 v45, exec_hi, v1
	v_lshlrev_b32_e32 v1, 30, v4
	v_xor_b32_e32 v5, vcc_lo, v5
	v_cmp_gt_i64_e32 vcc, 0, v[0:1]
	v_not_b32_e32 v1, v1
	v_ashrrev_i32_e32 v1, 31, v1
	v_and_b32_e32 v5, exec_lo, v5
	v_xor_b32_e32 v46, vcc_hi, v1
	v_xor_b32_e32 v1, vcc_lo, v1
	v_and_b32_e32 v5, v5, v1
	v_lshlrev_b32_e32 v1, 29, v4
	v_cmp_gt_i64_e32 vcc, 0, v[0:1]
	v_not_b32_e32 v1, v1
	v_ashrrev_i32_e32 v1, 31, v1
	v_and_b32_e32 v45, v45, v46
	v_xor_b32_e32 v46, vcc_hi, v1
	v_xor_b32_e32 v1, vcc_lo, v1
	v_and_b32_e32 v5, v5, v1
	v_lshlrev_b32_e32 v1, 28, v4
	v_cmp_gt_i64_e32 vcc, 0, v[0:1]
	v_not_b32_e32 v1, v1
	v_ashrrev_i32_e32 v1, 31, v1
	v_and_b32_e32 v45, v45, v46
	;; [unrolled: 8-line block ×5, first 2 shown]
	v_xor_b32_e32 v46, vcc_hi, v1
	v_xor_b32_e32 v1, vcc_lo, v1
	v_and_b32_e32 v45, v45, v46
	v_and_b32_e32 v46, v5, v1
	v_lshlrev_b32_e32 v1, 24, v4
	v_cmp_gt_i64_e32 vcc, 0, v[0:1]
	v_not_b32_e32 v1, v1
	v_ashrrev_i32_e32 v1, 31, v1
	v_xor_b32_e32 v4, vcc_hi, v1
	v_xor_b32_e32 v1, vcc_lo, v1
	; wave barrier
	ds_read_b32 v43, v44 offset:64
	v_and_b32_e32 v5, v45, v4
	v_and_b32_e32 v4, v46, v1
	v_mbcnt_lo_u32_b32 v1, v4, 0
	v_mbcnt_hi_u32_b32 v45, v5, v1
	v_cmp_eq_u32_e32 vcc, 0, v45
	v_cmp_ne_u64_e64 s[0:1], 0, v[4:5]
	s_and_b64 s[2:3], s[0:1], vcc
	; wave barrier
	s_and_saveexec_b64 s[0:1], s[2:3]
	s_cbranch_execz .LBB1369_115
; %bb.114:
	v_bcnt_u32_b32 v1, v4, 0
	v_bcnt_u32_b32 v1, v5, v1
	s_waitcnt lgkmcnt(0)
	v_add_u32_e32 v1, v43, v1
	ds_write_b32 v44, v1 offset:64
.LBB1369_115:
	s_or_b64 exec, exec, s[0:1]
	s_waitcnt vmcnt(2)
	v_lshrrev_b32_sdwa v1, s20, v8 dst_sel:DWORD dst_unused:UNUSED_PAD src0_sel:DWORD src1_sel:WORD_0
	v_and_b32_e32 v4, s21, v1
	v_mul_u32_u24_e32 v1, 17, v4
	v_add_lshl_u32 v47, v26, v1, 2
	v_and_b32_e32 v1, 1, v4
	v_add_co_u32_e32 v5, vcc, -1, v1
	v_addc_co_u32_e64 v48, s[0:1], 0, -1, vcc
	v_cmp_ne_u32_e32 vcc, 0, v1
	v_xor_b32_e32 v1, vcc_hi, v48
	v_and_b32_e32 v48, exec_hi, v1
	v_lshlrev_b32_e32 v1, 30, v4
	v_xor_b32_e32 v5, vcc_lo, v5
	v_cmp_gt_i64_e32 vcc, 0, v[0:1]
	v_not_b32_e32 v1, v1
	v_ashrrev_i32_e32 v1, 31, v1
	v_and_b32_e32 v5, exec_lo, v5
	v_xor_b32_e32 v49, vcc_hi, v1
	v_xor_b32_e32 v1, vcc_lo, v1
	v_and_b32_e32 v5, v5, v1
	v_lshlrev_b32_e32 v1, 29, v4
	v_cmp_gt_i64_e32 vcc, 0, v[0:1]
	v_not_b32_e32 v1, v1
	v_ashrrev_i32_e32 v1, 31, v1
	v_and_b32_e32 v48, v48, v49
	v_xor_b32_e32 v49, vcc_hi, v1
	v_xor_b32_e32 v1, vcc_lo, v1
	v_and_b32_e32 v5, v5, v1
	v_lshlrev_b32_e32 v1, 28, v4
	v_cmp_gt_i64_e32 vcc, 0, v[0:1]
	v_not_b32_e32 v1, v1
	v_ashrrev_i32_e32 v1, 31, v1
	v_and_b32_e32 v48, v48, v49
	v_xor_b32_e32 v49, vcc_hi, v1
	v_xor_b32_e32 v1, vcc_lo, v1
	v_and_b32_e32 v5, v5, v1
	v_lshlrev_b32_e32 v1, 27, v4
	v_cmp_gt_i64_e32 vcc, 0, v[0:1]
	v_not_b32_e32 v1, v1
	v_ashrrev_i32_e32 v1, 31, v1
	v_and_b32_e32 v48, v48, v49
	v_xor_b32_e32 v49, vcc_hi, v1
	v_xor_b32_e32 v1, vcc_lo, v1
	v_and_b32_e32 v5, v5, v1
	v_lshlrev_b32_e32 v1, 26, v4
	v_cmp_gt_i64_e32 vcc, 0, v[0:1]
	v_not_b32_e32 v1, v1
	v_ashrrev_i32_e32 v1, 31, v1
	v_and_b32_e32 v48, v48, v49
	v_xor_b32_e32 v49, vcc_hi, v1
	v_xor_b32_e32 v1, vcc_lo, v1
	v_and_b32_e32 v5, v5, v1
	v_lshlrev_b32_e32 v1, 25, v4
	v_cmp_gt_i64_e32 vcc, 0, v[0:1]
	v_not_b32_e32 v1, v1
	v_ashrrev_i32_e32 v1, 31, v1
	v_and_b32_e32 v48, v48, v49
	v_xor_b32_e32 v49, vcc_hi, v1
	v_xor_b32_e32 v1, vcc_lo, v1
	v_and_b32_e32 v5, v5, v1
	v_lshlrev_b32_e32 v1, 24, v4
	v_cmp_gt_i64_e32 vcc, 0, v[0:1]
	v_not_b32_e32 v0, v1
	v_ashrrev_i32_e32 v0, 31, v0
	v_xor_b32_e32 v1, vcc_hi, v0
	v_xor_b32_e32 v0, vcc_lo, v0
	; wave barrier
	ds_read_b32 v46, v47 offset:64
	v_and_b32_e32 v48, v48, v49
	v_and_b32_e32 v0, v5, v0
	;; [unrolled: 1-line block ×3, first 2 shown]
	v_mbcnt_lo_u32_b32 v4, v0, 0
	v_mbcnt_hi_u32_b32 v48, v1, v4
	v_cmp_eq_u32_e32 vcc, 0, v48
	v_cmp_ne_u64_e64 s[0:1], 0, v[0:1]
	s_and_b64 s[2:3], s[0:1], vcc
	; wave barrier
	s_and_saveexec_b64 s[0:1], s[2:3]
	s_cbranch_execz .LBB1369_117
; %bb.116:
	v_bcnt_u32_b32 v0, v0, 0
	v_bcnt_u32_b32 v0, v1, v0
	s_waitcnt lgkmcnt(0)
	v_add_u32_e32 v0, v46, v0
	ds_write_b32 v47, v0 offset:64
.LBB1369_117:
	s_or_b64 exec, exec, s[0:1]
	s_waitcnt vmcnt(1)
	v_lshrrev_b32_sdwa v0, s20, v7 dst_sel:DWORD dst_unused:UNUSED_PAD src0_sel:DWORD src1_sel:WORD_0
	v_and_b32_e32 v4, s21, v0
	v_and_b32_e32 v1, 1, v4
	v_add_co_u32_e32 v5, vcc, -1, v1
	v_addc_co_u32_e64 v51, s[0:1], 0, -1, vcc
	v_cmp_ne_u32_e32 vcc, 0, v1
	v_mul_u32_u24_e32 v0, 17, v4
	v_xor_b32_e32 v1, vcc_hi, v51
	v_add_lshl_u32 v50, v26, v0, 2
	v_mov_b32_e32 v0, 0
	v_and_b32_e32 v51, exec_hi, v1
	v_lshlrev_b32_e32 v1, 30, v4
	v_xor_b32_e32 v5, vcc_lo, v5
	v_cmp_gt_i64_e32 vcc, 0, v[0:1]
	v_not_b32_e32 v1, v1
	v_ashrrev_i32_e32 v1, 31, v1
	v_and_b32_e32 v5, exec_lo, v5
	v_xor_b32_e32 v52, vcc_hi, v1
	v_xor_b32_e32 v1, vcc_lo, v1
	v_and_b32_e32 v5, v5, v1
	v_lshlrev_b32_e32 v1, 29, v4
	v_cmp_gt_i64_e32 vcc, 0, v[0:1]
	v_not_b32_e32 v1, v1
	v_ashrrev_i32_e32 v1, 31, v1
	v_and_b32_e32 v51, v51, v52
	v_xor_b32_e32 v52, vcc_hi, v1
	v_xor_b32_e32 v1, vcc_lo, v1
	v_and_b32_e32 v5, v5, v1
	v_lshlrev_b32_e32 v1, 28, v4
	v_cmp_gt_i64_e32 vcc, 0, v[0:1]
	v_not_b32_e32 v1, v1
	v_ashrrev_i32_e32 v1, 31, v1
	v_and_b32_e32 v51, v51, v52
	;; [unrolled: 8-line block ×5, first 2 shown]
	v_xor_b32_e32 v52, vcc_hi, v1
	v_xor_b32_e32 v1, vcc_lo, v1
	v_and_b32_e32 v51, v51, v52
	v_and_b32_e32 v52, v5, v1
	v_lshlrev_b32_e32 v1, 24, v4
	v_cmp_gt_i64_e32 vcc, 0, v[0:1]
	v_not_b32_e32 v1, v1
	v_ashrrev_i32_e32 v1, 31, v1
	v_xor_b32_e32 v4, vcc_hi, v1
	v_xor_b32_e32 v1, vcc_lo, v1
	; wave barrier
	ds_read_b32 v49, v50 offset:64
	v_and_b32_e32 v5, v51, v4
	v_and_b32_e32 v4, v52, v1
	v_mbcnt_lo_u32_b32 v1, v4, 0
	v_mbcnt_hi_u32_b32 v51, v5, v1
	v_cmp_eq_u32_e32 vcc, 0, v51
	v_cmp_ne_u64_e64 s[0:1], 0, v[4:5]
	s_and_b64 s[2:3], s[0:1], vcc
	; wave barrier
	s_and_saveexec_b64 s[0:1], s[2:3]
	s_cbranch_execz .LBB1369_119
; %bb.118:
	v_bcnt_u32_b32 v1, v4, 0
	v_bcnt_u32_b32 v1, v5, v1
	s_waitcnt lgkmcnt(0)
	v_add_u32_e32 v1, v49, v1
	ds_write_b32 v50, v1 offset:64
.LBB1369_119:
	s_or_b64 exec, exec, s[0:1]
	s_waitcnt vmcnt(0)
	v_lshrrev_b32_sdwa v1, s20, v6 dst_sel:DWORD dst_unused:UNUSED_PAD src0_sel:DWORD src1_sel:WORD_0
	v_and_b32_e32 v4, s21, v1
	v_mul_u32_u24_e32 v1, 17, v4
	v_add_lshl_u32 v53, v26, v1, 2
	v_and_b32_e32 v1, 1, v4
	v_add_co_u32_e32 v5, vcc, -1, v1
	v_addc_co_u32_e64 v26, s[0:1], 0, -1, vcc
	v_cmp_ne_u32_e32 vcc, 0, v1
	v_xor_b32_e32 v1, vcc_hi, v26
	v_and_b32_e32 v26, exec_hi, v1
	v_lshlrev_b32_e32 v1, 30, v4
	v_xor_b32_e32 v5, vcc_lo, v5
	v_cmp_gt_i64_e32 vcc, 0, v[0:1]
	v_not_b32_e32 v1, v1
	v_ashrrev_i32_e32 v1, 31, v1
	v_and_b32_e32 v5, exec_lo, v5
	v_xor_b32_e32 v55, vcc_hi, v1
	v_xor_b32_e32 v1, vcc_lo, v1
	v_and_b32_e32 v5, v5, v1
	v_lshlrev_b32_e32 v1, 29, v4
	v_cmp_gt_i64_e32 vcc, 0, v[0:1]
	v_not_b32_e32 v1, v1
	v_ashrrev_i32_e32 v1, 31, v1
	v_and_b32_e32 v26, v26, v55
	v_xor_b32_e32 v55, vcc_hi, v1
	v_xor_b32_e32 v1, vcc_lo, v1
	v_and_b32_e32 v5, v5, v1
	v_lshlrev_b32_e32 v1, 28, v4
	v_cmp_gt_i64_e32 vcc, 0, v[0:1]
	v_not_b32_e32 v1, v1
	v_ashrrev_i32_e32 v1, 31, v1
	v_and_b32_e32 v26, v26, v55
	v_xor_b32_e32 v55, vcc_hi, v1
	v_xor_b32_e32 v1, vcc_lo, v1
	v_and_b32_e32 v5, v5, v1
	v_lshlrev_b32_e32 v1, 27, v4
	v_cmp_gt_i64_e32 vcc, 0, v[0:1]
	v_not_b32_e32 v1, v1
	v_ashrrev_i32_e32 v1, 31, v1
	v_and_b32_e32 v26, v26, v55
	v_xor_b32_e32 v55, vcc_hi, v1
	v_xor_b32_e32 v1, vcc_lo, v1
	v_and_b32_e32 v5, v5, v1
	v_lshlrev_b32_e32 v1, 26, v4
	v_cmp_gt_i64_e32 vcc, 0, v[0:1]
	v_not_b32_e32 v1, v1
	v_ashrrev_i32_e32 v1, 31, v1
	v_and_b32_e32 v26, v26, v55
	v_xor_b32_e32 v55, vcc_hi, v1
	v_xor_b32_e32 v1, vcc_lo, v1
	v_and_b32_e32 v5, v5, v1
	v_lshlrev_b32_e32 v1, 25, v4
	v_cmp_gt_i64_e32 vcc, 0, v[0:1]
	v_not_b32_e32 v1, v1
	v_ashrrev_i32_e32 v1, 31, v1
	v_and_b32_e32 v26, v26, v55
	v_xor_b32_e32 v55, vcc_hi, v1
	v_xor_b32_e32 v1, vcc_lo, v1
	v_and_b32_e32 v5, v5, v1
	v_lshlrev_b32_e32 v1, 24, v4
	v_cmp_gt_i64_e32 vcc, 0, v[0:1]
	v_not_b32_e32 v0, v1
	v_ashrrev_i32_e32 v0, 31, v0
	v_xor_b32_e32 v1, vcc_hi, v0
	v_xor_b32_e32 v0, vcc_lo, v0
	; wave barrier
	ds_read_b32 v52, v53 offset:64
	v_and_b32_e32 v26, v26, v55
	v_and_b32_e32 v0, v5, v0
	;; [unrolled: 1-line block ×3, first 2 shown]
	v_mbcnt_lo_u32_b32 v4, v0, 0
	v_mbcnt_hi_u32_b32 v55, v1, v4
	v_cmp_eq_u32_e32 vcc, 0, v55
	v_cmp_ne_u64_e64 s[0:1], 0, v[0:1]
	v_add_u32_e32 v54, 64, v18
	s_and_b64 s[2:3], s[0:1], vcc
	; wave barrier
	s_and_saveexec_b64 s[0:1], s[2:3]
	s_cbranch_execz .LBB1369_121
; %bb.120:
	v_bcnt_u32_b32 v0, v0, 0
	v_bcnt_u32_b32 v0, v1, v0
	s_waitcnt lgkmcnt(0)
	v_add_u32_e32 v0, v52, v0
	ds_write_b32 v53, v0 offset:64
.LBB1369_121:
	s_or_b64 exec, exec, s[0:1]
	; wave barrier
	s_waitcnt lgkmcnt(0)
	s_barrier
	ds_read2_b32 v[4:5], v18 offset0:16 offset1:17
	ds_read2_b32 v[0:1], v54 offset0:2 offset1:3
	ds_read_b32 v26, v54 offset:16
	v_cmp_lt_u32_e64 s[8:9], 31, v17
	s_waitcnt lgkmcnt(1)
	v_add3_u32 v56, v5, v4, v0
	s_waitcnt lgkmcnt(0)
	v_add3_u32 v26, v56, v1, v26
	v_and_b32_e32 v56, 15, v17
	v_cmp_eq_u32_e32 vcc, 0, v56
	v_mov_b32_dpp v57, v26 row_shr:1 row_mask:0xf bank_mask:0xf
	v_cndmask_b32_e64 v57, v57, 0, vcc
	v_add_u32_e32 v26, v57, v26
	v_cmp_lt_u32_e64 s[0:1], 1, v56
	v_cmp_lt_u32_e64 s[2:3], 3, v56
	v_mov_b32_dpp v57, v26 row_shr:2 row_mask:0xf bank_mask:0xf
	v_cndmask_b32_e64 v57, 0, v57, s[0:1]
	v_add_u32_e32 v26, v26, v57
	v_cmp_lt_u32_e64 s[4:5], 7, v56
	s_nop 0
	v_mov_b32_dpp v57, v26 row_shr:4 row_mask:0xf bank_mask:0xf
	v_cndmask_b32_e64 v57, 0, v57, s[2:3]
	v_add_u32_e32 v26, v26, v57
	s_nop 1
	v_mov_b32_dpp v57, v26 row_shr:8 row_mask:0xf bank_mask:0xf
	v_cndmask_b32_e64 v56, 0, v57, s[4:5]
	v_add_u32_e32 v26, v26, v56
	v_bfe_i32 v57, v17, 4, 1
	s_nop 0
	v_mov_b32_dpp v56, v26 row_bcast:15 row_mask:0xf bank_mask:0xf
	v_and_b32_e32 v56, v57, v56
	v_add_u32_e32 v26, v26, v56
	v_lshrrev_b32_e32 v57, 6, v2
	s_nop 0
	v_mov_b32_dpp v56, v26 row_bcast:31 row_mask:0xf bank_mask:0xf
	v_cndmask_b32_e64 v56, 0, v56, s[8:9]
	v_add_u32_e32 v56, v26, v56
	v_and_b32_e32 v26, 63, v2
	v_cmp_eq_u32_e64 s[8:9], 63, v26
	s_and_saveexec_b64 s[16:17], s[8:9]
	s_cbranch_execz .LBB1369_123
; %bb.122:
	v_lshlrev_b32_e32 v26, 2, v57
	ds_write_b32 v26, v56
.LBB1369_123:
	s_or_b64 exec, exec, s[16:17]
	v_cmp_gt_u32_e64 s[8:9], 16, v2
	v_lshlrev_b32_e32 v26, 2, v2
	s_waitcnt lgkmcnt(0)
	s_barrier
	s_and_saveexec_b64 s[16:17], s[8:9]
	s_cbranch_execz .LBB1369_125
; %bb.124:
	ds_read_b32 v58, v26
	s_waitcnt lgkmcnt(0)
	s_nop 0
	v_mov_b32_dpp v59, v58 row_shr:1 row_mask:0xf bank_mask:0xf
	v_cndmask_b32_e64 v59, v59, 0, vcc
	v_add_u32_e32 v58, v59, v58
	s_nop 1
	v_mov_b32_dpp v59, v58 row_shr:2 row_mask:0xf bank_mask:0xf
	v_cndmask_b32_e64 v59, 0, v59, s[0:1]
	v_add_u32_e32 v58, v58, v59
	s_nop 1
	v_mov_b32_dpp v59, v58 row_shr:4 row_mask:0xf bank_mask:0xf
	v_cndmask_b32_e64 v59, 0, v59, s[2:3]
	v_add_u32_e32 v58, v58, v59
	s_nop 1
	v_mov_b32_dpp v59, v58 row_shr:8 row_mask:0xf bank_mask:0xf
	v_cndmask_b32_e64 v59, 0, v59, s[4:5]
	v_add_u32_e32 v58, v58, v59
	ds_write_b32 v26, v58
.LBB1369_125:
	s_or_b64 exec, exec, s[16:17]
	v_cmp_lt_u32_e32 vcc, 63, v2
	v_mov_b32_e32 v58, 0
	s_waitcnt lgkmcnt(0)
	s_barrier
	s_and_saveexec_b64 s[0:1], vcc
	s_cbranch_execz .LBB1369_127
; %bb.126:
	v_lshl_add_u32 v57, v57, 2, -4
	ds_read_b32 v58, v57
.LBB1369_127:
	s_or_b64 exec, exec, s[0:1]
	v_add_u32_e32 v57, -1, v17
	v_and_b32_e32 v59, 64, v17
	v_cmp_lt_i32_e32 vcc, v57, v59
	v_cndmask_b32_e32 v57, v57, v17, vcc
	s_waitcnt lgkmcnt(0)
	v_add_u32_e32 v56, v58, v56
	v_lshlrev_b32_e32 v57, 2, v57
	ds_bpermute_b32 v56, v57, v56
	v_cmp_eq_u32_e32 vcc, 0, v17
	s_movk_i32 s2, 0xff
	s_movk_i32 s3, 0x100
	v_cmp_lt_u32_e64 s[0:1], s2, v2
	s_waitcnt lgkmcnt(0)
	v_cndmask_b32_e32 v17, v56, v58, vcc
	v_cmp_ne_u32_e32 vcc, 0, v2
	v_cndmask_b32_e32 v17, 0, v17, vcc
	v_add_u32_e32 v4, v17, v4
	v_add_u32_e32 v5, v4, v5
	;; [unrolled: 1-line block ×4, first 2 shown]
	ds_write2_b32 v18, v17, v4 offset0:16 offset1:17
	ds_write2_b32 v54, v5, v0 offset0:2 offset1:3
	ds_write_b32 v54, v1 offset:16
	s_waitcnt lgkmcnt(0)
	s_barrier
	ds_read_b32 v58, v19 offset:64
	ds_read_b32 v57, v22 offset:64
	;; [unrolled: 1-line block ×12, first 2 shown]
	v_cmp_gt_u32_e32 vcc, s3, v2
                                        ; implicit-def: $vgpr17
                                        ; implicit-def: $vgpr18
	s_and_saveexec_b64 s[4:5], vcc
	s_cbranch_execz .LBB1369_131
; %bb.128:
	v_mul_u32_u24_e32 v17, 17, v2
	v_lshlrev_b32_e32 v32, 2, v17
	ds_read_b32 v17, v32 offset:64
	v_cmp_ne_u32_e64 s[2:3], s2, v2
	v_mov_b32_e32 v18, 0x3000
	s_and_saveexec_b64 s[8:9], s[2:3]
	s_cbranch_execz .LBB1369_130
; %bb.129:
	ds_read_b32 v18, v32 offset:132
.LBB1369_130:
	s_or_b64 exec, exec, s[8:9]
	s_waitcnt lgkmcnt(0)
	v_sub_u32_e32 v18, v18, v17
.LBB1369_131:
	s_or_b64 exec, exec, s[4:5]
	v_add_u32_e32 v21, v23, v21
	s_waitcnt lgkmcnt(11)
	v_add_lshl_u32 v20, v58, v20, 1
	v_add_u32_e32 v24, v27, v24
	s_waitcnt lgkmcnt(0)
	s_barrier
	ds_write_b16 v20, v3 offset:1024
	v_add_lshl_u32 v3, v21, v57, 1
	v_add_u32_e32 v28, v30, v28
	ds_write_b16 v3, v16 offset:1024
	v_add_lshl_u32 v3, v24, v56, 1
	v_add_u32_e32 v31, v33, v31
	;; [unrolled: 3-line block ×7, first 2 shown]
	v_add_u32_e32 v35, v51, v49
	v_add_u32_e32 v38, v48, v46
	ds_write_b16 v3, v10 offset:1024
	v_add_lshl_u32 v3, v41, v5, 1
	ds_write_b16 v3, v9 offset:1024
	v_add_lshl_u32 v3, v38, v4, 1
	v_add_lshl_u32 v1, v35, v1, 1
	;; [unrolled: 1-line block ×3, first 2 shown]
	ds_write_b16 v3, v8 offset:1024
	ds_write_b16 v1, v7 offset:1024
	;; [unrolled: 1-line block ×3, first 2 shown]
	s_and_saveexec_b64 s[2:3], s[0:1]
	s_xor_b64 s[0:1], exec, s[2:3]
; %bb.132:
	v_mov_b32_e32 v3, 0
                                        ; implicit-def: $vgpr26
; %bb.133:
	s_andn2_saveexec_b64 s[2:3], s[0:1]
	s_cbranch_execz .LBB1369_143
; %bb.134:
	v_lshl_or_b32 v0, s6, 8, v2
	v_mov_b32_e32 v1, 0
	v_lshlrev_b64 v[4:5], 2, v[0:1]
	v_mov_b32_e32 v3, s25
	v_add_co_u32_e64 v4, s[0:1], s24, v4
	v_addc_co_u32_e64 v5, s[0:1], v3, v5, s[0:1]
	v_or_b32_e32 v0, 2.0, v18
	s_mov_b64 s[4:5], 0
	s_brev_b32 s22, 1
	s_mov_b32 s23, s6
	v_mov_b32_e32 v8, 0
	global_store_dword v[4:5], v0, off
                                        ; implicit-def: $sgpr0_sgpr1
	s_branch .LBB1369_137
.LBB1369_135:                           ;   in Loop: Header=BB1369_137 Depth=1
	s_or_b64 exec, exec, s[16:17]
.LBB1369_136:                           ;   in Loop: Header=BB1369_137 Depth=1
	s_or_b64 exec, exec, s[8:9]
	v_and_b32_e32 v6, 0x3fffffff, v9
	v_add_u32_e32 v8, v6, v8
	v_cmp_eq_u32_e64 s[0:1], s22, v0
	s_and_b64 s[8:9], exec, s[0:1]
	s_or_b64 s[4:5], s[8:9], s[4:5]
	s_andn2_b64 exec, exec, s[4:5]
	s_cbranch_execz .LBB1369_142
.LBB1369_137:                           ; =>This Loop Header: Depth=1
                                        ;     Child Loop BB1369_140 Depth 2
	s_or_b64 s[0:1], s[0:1], exec
	s_cmp_eq_u32 s23, 0
	s_cbranch_scc1 .LBB1369_141
; %bb.138:                              ;   in Loop: Header=BB1369_137 Depth=1
	s_add_i32 s23, s23, -1
	v_lshl_or_b32 v0, s23, 8, v2
	v_lshlrev_b64 v[6:7], 2, v[0:1]
	v_add_co_u32_e64 v6, s[0:1], s24, v6
	v_addc_co_u32_e64 v7, s[0:1], v3, v7, s[0:1]
	global_load_dword v9, v[6:7], off glc
	s_waitcnt vmcnt(0)
	v_and_b32_e32 v0, -2.0, v9
	v_cmp_eq_u32_e64 s[0:1], 0, v0
	s_and_saveexec_b64 s[8:9], s[0:1]
	s_cbranch_execz .LBB1369_136
; %bb.139:                              ;   in Loop: Header=BB1369_137 Depth=1
	s_mov_b64 s[16:17], 0
.LBB1369_140:                           ;   Parent Loop BB1369_137 Depth=1
                                        ; =>  This Inner Loop Header: Depth=2
	global_load_dword v9, v[6:7], off glc
	s_waitcnt vmcnt(0)
	v_and_b32_e32 v0, -2.0, v9
	v_cmp_ne_u32_e64 s[0:1], 0, v0
	s_or_b64 s[16:17], s[0:1], s[16:17]
	s_andn2_b64 exec, exec, s[16:17]
	s_cbranch_execnz .LBB1369_140
	s_branch .LBB1369_135
.LBB1369_141:                           ;   in Loop: Header=BB1369_137 Depth=1
                                        ; implicit-def: $sgpr23
	s_and_b64 s[8:9], exec, s[0:1]
	s_or_b64 s[4:5], s[8:9], s[4:5]
	s_andn2_b64 exec, exec, s[4:5]
	s_cbranch_execnz .LBB1369_137
.LBB1369_142:
	s_or_b64 exec, exec, s[4:5]
	v_add_u32_e32 v0, v8, v18
	v_or_b32_e32 v0, 0x80000000, v0
	global_store_dword v[4:5], v0, off
	global_load_dword v0, v26, s[12:13]
	v_sub_u32_e32 v1, v8, v17
	v_mov_b32_e32 v3, 0
	s_waitcnt vmcnt(0)
	v_add_u32_e32 v0, v1, v0
	ds_write_b32 v26, v0
.LBB1369_143:
	s_or_b64 exec, exec, s[2:3]
	v_lshlrev_b32_e32 v0, 1, v2
	s_waitcnt lgkmcnt(0)
	s_barrier
	v_lshlrev_b32_e32 v1, 1, v2
	ds_read_u16 v6, v0 offset:1024
	ds_read_u16 v7, v1 offset:3072
	;; [unrolled: 1-line block ×7, first 2 shown]
	s_waitcnt lgkmcnt(6)
	v_lshrrev_b32_sdwa v0, s20, v6 dst_sel:DWORD dst_unused:UNUSED_PAD src0_sel:DWORD src1_sel:WORD_0
	s_waitcnt lgkmcnt(4)
	v_lshrrev_b32_sdwa v5, s20, v8 dst_sel:DWORD dst_unused:UNUSED_PAD src0_sel:DWORD src1_sel:WORD_0
	v_and_b32_e32 v0, s21, v0
	v_lshrrev_b32_sdwa v4, s20, v7 dst_sel:DWORD dst_unused:UNUSED_PAD src0_sel:DWORD src1_sel:WORD_0
	v_and_b32_e32 v5, s21, v5
	v_lshlrev_b32_e32 v0, 2, v0
	v_and_b32_e32 v4, s21, v4
	v_lshlrev_b32_e32 v5, 2, v5
	v_lshlrev_b32_e32 v4, 2, v4
	ds_read_b32 v13, v5
	ds_read_b32 v0, v0
	ds_read_u16 v14, v1 offset:5120
	ds_read_u16 v15, v1 offset:9216
	;; [unrolled: 1-line block ×4, first 2 shown]
	ds_read_b32 v20, v4
	ds_read_u16 v21, v1 offset:21504
	s_waitcnt lgkmcnt(6)
	v_add_u32_e32 v0, v0, v2
	v_mov_b32_e32 v1, 0
	v_lshlrev_b64 v[4:5], 1, v[0:1]
	v_mov_b32_e32 v0, s19
	v_add_co_u32_e64 v4, s[0:1], s18, v4
	v_addc_co_u32_e64 v5, s[0:1], v0, v5, s[0:1]
	s_movk_i32 s0, 0x400
	s_waitcnt lgkmcnt(1)
	v_add3_u32 v0, v20, v2, s0
	global_store_short v[4:5], v6, off
	v_lshlrev_b64 v[4:5], 1, v[0:1]
	v_mov_b32_e32 v0, s19
	v_add_co_u32_e64 v4, s[0:1], s18, v4
	v_addc_co_u32_e64 v5, s[0:1], v0, v5, s[0:1]
	global_store_short v[4:5], v7, off
	v_lshrrev_b32_sdwa v0, s20, v14 dst_sel:DWORD dst_unused:UNUSED_PAD src0_sel:DWORD src1_sel:WORD_0
	v_lshrrev_b32_sdwa v6, s20, v16 dst_sel:DWORD dst_unused:UNUSED_PAD src0_sel:DWORD src1_sel:WORD_0
	;; [unrolled: 1-line block ×5, first 2 shown]
	s_waitcnt lgkmcnt(0)
	v_lshrrev_b32_sdwa v23, s20, v21 dst_sel:DWORD dst_unused:UNUSED_PAD src0_sel:DWORD src1_sel:WORD_0
	v_and_b32_e32 v0, s21, v0
	v_lshrrev_b32_sdwa v4, s20, v15 dst_sel:DWORD dst_unused:UNUSED_PAD src0_sel:DWORD src1_sel:WORD_0
	v_lshrrev_b32_sdwa v5, s20, v9 dst_sel:DWORD dst_unused:UNUSED_PAD src0_sel:DWORD src1_sel:WORD_0
	v_and_b32_e32 v6, s21, v6
	v_and_b32_e32 v7, s21, v7
	;; [unrolled: 1-line block ×5, first 2 shown]
	v_lshlrev_b32_e32 v0, 2, v0
	v_and_b32_e32 v4, s21, v4
	v_and_b32_e32 v5, s21, v5
	v_lshlrev_b32_e32 v6, 2, v6
	v_lshlrev_b32_e32 v7, 2, v7
	;; [unrolled: 1-line block ×5, first 2 shown]
	s_movk_i32 s0, 0x800
	v_lshlrev_b32_e32 v4, 2, v4
	v_lshlrev_b32_e32 v5, 2, v5
	ds_read_b32 v0, v0
	ds_read_b32 v24, v4
	;; [unrolled: 1-line block ×8, first 2 shown]
	s_waitcnt lgkmcnt(7)
	v_add3_u32 v0, v0, v2, s0
	v_lshlrev_b64 v[4:5], 1, v[0:1]
	v_mov_b32_e32 v0, s19
	v_add_co_u32_e64 v4, s[0:1], s18, v4
	v_addc_co_u32_e64 v5, s[0:1], v0, v5, s[0:1]
	s_movk_i32 s0, 0xc00
	v_add3_u32 v0, v13, v2, s0
	global_store_short v[4:5], v14, off
	v_lshlrev_b64 v[4:5], 1, v[0:1]
	v_mov_b32_e32 v0, s19
	v_add_co_u32_e64 v4, s[0:1], s18, v4
	v_addc_co_u32_e64 v5, s[0:1], v0, v5, s[0:1]
	s_movk_i32 s0, 0x1000
	s_waitcnt lgkmcnt(6)
	v_add3_u32 v0, v24, v2, s0
	global_store_short v[4:5], v8, off
	v_lshlrev_b64 v[4:5], 1, v[0:1]
	v_mov_b32_e32 v0, s19
	v_add_co_u32_e64 v4, s[0:1], s18, v4
	v_addc_co_u32_e64 v5, s[0:1], v0, v5, s[0:1]
	s_movk_i32 s0, 0x1400
	s_waitcnt lgkmcnt(5)
	;; [unrolled: 8-line block ×6, first 2 shown]
	v_add3_u32 v0, v22, v2, s0
	global_store_short v[4:5], v19, off
	v_lshlrev_b64 v[4:5], 1, v[0:1]
	v_mov_b32_e32 v0, s19
	v_add_co_u32_e64 v4, s[0:1], s18, v4
	v_lshrrev_b32_sdwa v6, s20, v12 dst_sel:DWORD dst_unused:UNUSED_PAD src0_sel:DWORD src1_sel:WORD_0
	v_addc_co_u32_e64 v5, s[0:1], v0, v5, s[0:1]
	v_and_b32_e32 v6, s21, v6
	s_movk_i32 s0, 0x2800
	v_lshlrev_b32_e32 v6, 2, v6
	s_waitcnt lgkmcnt(0)
	v_add3_u32 v0, v23, v2, s0
	ds_read_b32 v6, v6
	global_store_short v[4:5], v11, off
	v_lshlrev_b64 v[4:5], 1, v[0:1]
	v_mov_b32_e32 v0, s19
	v_add_co_u32_e64 v4, s[0:1], s18, v4
	v_addc_co_u32_e64 v5, s[0:1], v0, v5, s[0:1]
	s_movk_i32 s0, 0x2c00
	s_waitcnt lgkmcnt(0)
	v_add3_u32 v0, v6, v2, s0
	v_lshlrev_b64 v[0:1], 1, v[0:1]
	global_store_short v[4:5], v21, off
	v_mov_b32_e32 v4, s19
	v_add_co_u32_e64 v0, s[0:1], s18, v0
	s_add_i32 s7, s7, -1
	v_addc_co_u32_e64 v1, s[0:1], v4, v1, s[0:1]
	s_cmp_eq_u32 s7, s6
	s_cselect_b64 s[0:1], -1, 0
	s_and_b64 s[2:3], vcc, s[0:1]
	global_store_short v[0:1], v12, off
                                        ; implicit-def: $vgpr4
	s_and_saveexec_b64 s[0:1], s[2:3]
; %bb.144:
	v_add_u32_e32 v4, v17, v18
	s_or_b64 s[10:11], s[10:11], exec
; %bb.145:
	s_or_b64 exec, exec, s[0:1]
.LBB1369_146:
	s_and_saveexec_b64 s[0:1], s[10:11]
	s_cbranch_execnz .LBB1369_148
; %bb.147:
	s_endpgm
.LBB1369_148:
	v_lshlrev_b32_e32 v5, 2, v2
	v_lshlrev_b64 v[0:1], 2, v[2:3]
	ds_read_b32 v3, v5
	v_mov_b32_e32 v2, s15
	v_add_co_u32_e32 v0, vcc, s14, v0
	v_addc_co_u32_e32 v1, vcc, v2, v1, vcc
	s_waitcnt lgkmcnt(0)
	v_add_u32_e32 v2, v3, v4
	global_store_dword v[0:1], v2, off
	s_endpgm
	.section	.rodata,"a",@progbits
	.p2align	6, 0x0
	.amdhsa_kernel _ZN7rocprim17ROCPRIM_400000_NS6detail17trampoline_kernelINS0_14default_configENS1_35radix_sort_onesweep_config_selectorItNS0_10empty_typeEEEZZNS1_29radix_sort_onesweep_iterationIS3_Lb0EN6thrust23THRUST_200600_302600_NS6detail15normal_iteratorINS9_10device_ptrItEEEESE_PS5_SF_jNS0_19identity_decomposerENS1_16block_id_wrapperIjLb0EEEEE10hipError_tT1_PNSt15iterator_traitsISK_E10value_typeET2_T3_PNSL_ISQ_E10value_typeET4_T5_PSV_SW_PNS1_23onesweep_lookback_stateEbbT6_jjT7_P12ihipStream_tbENKUlT_T0_SK_SP_E_clISE_SE_SF_SF_EEDaS13_S14_SK_SP_EUlS13_E_NS1_11comp_targetILNS1_3genE4ELNS1_11target_archE910ELNS1_3gpuE8ELNS1_3repE0EEENS1_47radix_sort_onesweep_sort_config_static_selectorELNS0_4arch9wavefront6targetE1EEEvSK_
		.amdhsa_group_segment_fixed_size 25608
		.amdhsa_private_segment_fixed_size 0
		.amdhsa_kernarg_size 344
		.amdhsa_user_sgpr_count 6
		.amdhsa_user_sgpr_private_segment_buffer 1
		.amdhsa_user_sgpr_dispatch_ptr 0
		.amdhsa_user_sgpr_queue_ptr 0
		.amdhsa_user_sgpr_kernarg_segment_ptr 1
		.amdhsa_user_sgpr_dispatch_id 0
		.amdhsa_user_sgpr_flat_scratch_init 0
		.amdhsa_user_sgpr_kernarg_preload_length 0
		.amdhsa_user_sgpr_kernarg_preload_offset 0
		.amdhsa_user_sgpr_private_segment_size 0
		.amdhsa_uses_dynamic_stack 0
		.amdhsa_system_sgpr_private_segment_wavefront_offset 0
		.amdhsa_system_sgpr_workgroup_id_x 1
		.amdhsa_system_sgpr_workgroup_id_y 0
		.amdhsa_system_sgpr_workgroup_id_z 0
		.amdhsa_system_sgpr_workgroup_info 0
		.amdhsa_system_vgpr_workitem_id 2
		.amdhsa_next_free_vgpr 62
		.amdhsa_next_free_sgpr 31
		.amdhsa_accum_offset 64
		.amdhsa_reserve_vcc 1
		.amdhsa_reserve_flat_scratch 0
		.amdhsa_float_round_mode_32 0
		.amdhsa_float_round_mode_16_64 0
		.amdhsa_float_denorm_mode_32 3
		.amdhsa_float_denorm_mode_16_64 3
		.amdhsa_dx10_clamp 1
		.amdhsa_ieee_mode 1
		.amdhsa_fp16_overflow 0
		.amdhsa_tg_split 0
		.amdhsa_exception_fp_ieee_invalid_op 0
		.amdhsa_exception_fp_denorm_src 0
		.amdhsa_exception_fp_ieee_div_zero 0
		.amdhsa_exception_fp_ieee_overflow 0
		.amdhsa_exception_fp_ieee_underflow 0
		.amdhsa_exception_fp_ieee_inexact 0
		.amdhsa_exception_int_div_zero 0
	.end_amdhsa_kernel
	.section	.text._ZN7rocprim17ROCPRIM_400000_NS6detail17trampoline_kernelINS0_14default_configENS1_35radix_sort_onesweep_config_selectorItNS0_10empty_typeEEEZZNS1_29radix_sort_onesweep_iterationIS3_Lb0EN6thrust23THRUST_200600_302600_NS6detail15normal_iteratorINS9_10device_ptrItEEEESE_PS5_SF_jNS0_19identity_decomposerENS1_16block_id_wrapperIjLb0EEEEE10hipError_tT1_PNSt15iterator_traitsISK_E10value_typeET2_T3_PNSL_ISQ_E10value_typeET4_T5_PSV_SW_PNS1_23onesweep_lookback_stateEbbT6_jjT7_P12ihipStream_tbENKUlT_T0_SK_SP_E_clISE_SE_SF_SF_EEDaS13_S14_SK_SP_EUlS13_E_NS1_11comp_targetILNS1_3genE4ELNS1_11target_archE910ELNS1_3gpuE8ELNS1_3repE0EEENS1_47radix_sort_onesweep_sort_config_static_selectorELNS0_4arch9wavefront6targetE1EEEvSK_,"axG",@progbits,_ZN7rocprim17ROCPRIM_400000_NS6detail17trampoline_kernelINS0_14default_configENS1_35radix_sort_onesweep_config_selectorItNS0_10empty_typeEEEZZNS1_29radix_sort_onesweep_iterationIS3_Lb0EN6thrust23THRUST_200600_302600_NS6detail15normal_iteratorINS9_10device_ptrItEEEESE_PS5_SF_jNS0_19identity_decomposerENS1_16block_id_wrapperIjLb0EEEEE10hipError_tT1_PNSt15iterator_traitsISK_E10value_typeET2_T3_PNSL_ISQ_E10value_typeET4_T5_PSV_SW_PNS1_23onesweep_lookback_stateEbbT6_jjT7_P12ihipStream_tbENKUlT_T0_SK_SP_E_clISE_SE_SF_SF_EEDaS13_S14_SK_SP_EUlS13_E_NS1_11comp_targetILNS1_3genE4ELNS1_11target_archE910ELNS1_3gpuE8ELNS1_3repE0EEENS1_47radix_sort_onesweep_sort_config_static_selectorELNS0_4arch9wavefront6targetE1EEEvSK_,comdat
.Lfunc_end1369:
	.size	_ZN7rocprim17ROCPRIM_400000_NS6detail17trampoline_kernelINS0_14default_configENS1_35radix_sort_onesweep_config_selectorItNS0_10empty_typeEEEZZNS1_29radix_sort_onesweep_iterationIS3_Lb0EN6thrust23THRUST_200600_302600_NS6detail15normal_iteratorINS9_10device_ptrItEEEESE_PS5_SF_jNS0_19identity_decomposerENS1_16block_id_wrapperIjLb0EEEEE10hipError_tT1_PNSt15iterator_traitsISK_E10value_typeET2_T3_PNSL_ISQ_E10value_typeET4_T5_PSV_SW_PNS1_23onesweep_lookback_stateEbbT6_jjT7_P12ihipStream_tbENKUlT_T0_SK_SP_E_clISE_SE_SF_SF_EEDaS13_S14_SK_SP_EUlS13_E_NS1_11comp_targetILNS1_3genE4ELNS1_11target_archE910ELNS1_3gpuE8ELNS1_3repE0EEENS1_47radix_sort_onesweep_sort_config_static_selectorELNS0_4arch9wavefront6targetE1EEEvSK_, .Lfunc_end1369-_ZN7rocprim17ROCPRIM_400000_NS6detail17trampoline_kernelINS0_14default_configENS1_35radix_sort_onesweep_config_selectorItNS0_10empty_typeEEEZZNS1_29radix_sort_onesweep_iterationIS3_Lb0EN6thrust23THRUST_200600_302600_NS6detail15normal_iteratorINS9_10device_ptrItEEEESE_PS5_SF_jNS0_19identity_decomposerENS1_16block_id_wrapperIjLb0EEEEE10hipError_tT1_PNSt15iterator_traitsISK_E10value_typeET2_T3_PNSL_ISQ_E10value_typeET4_T5_PSV_SW_PNS1_23onesweep_lookback_stateEbbT6_jjT7_P12ihipStream_tbENKUlT_T0_SK_SP_E_clISE_SE_SF_SF_EEDaS13_S14_SK_SP_EUlS13_E_NS1_11comp_targetILNS1_3genE4ELNS1_11target_archE910ELNS1_3gpuE8ELNS1_3repE0EEENS1_47radix_sort_onesweep_sort_config_static_selectorELNS0_4arch9wavefront6targetE1EEEvSK_
                                        ; -- End function
	.section	.AMDGPU.csdata,"",@progbits
; Kernel info:
; codeLenInByte = 15196
; NumSgprs: 35
; NumVgprs: 62
; NumAgprs: 0
; TotalNumVgprs: 62
; ScratchSize: 0
; MemoryBound: 0
; FloatMode: 240
; IeeeMode: 1
; LDSByteSize: 25608 bytes/workgroup (compile time only)
; SGPRBlocks: 4
; VGPRBlocks: 7
; NumSGPRsForWavesPerEU: 35
; NumVGPRsForWavesPerEU: 62
; AccumOffset: 64
; Occupancy: 8
; WaveLimiterHint : 1
; COMPUTE_PGM_RSRC2:SCRATCH_EN: 0
; COMPUTE_PGM_RSRC2:USER_SGPR: 6
; COMPUTE_PGM_RSRC2:TRAP_HANDLER: 0
; COMPUTE_PGM_RSRC2:TGID_X_EN: 1
; COMPUTE_PGM_RSRC2:TGID_Y_EN: 0
; COMPUTE_PGM_RSRC2:TGID_Z_EN: 0
; COMPUTE_PGM_RSRC2:TIDIG_COMP_CNT: 2
; COMPUTE_PGM_RSRC3_GFX90A:ACCUM_OFFSET: 15
; COMPUTE_PGM_RSRC3_GFX90A:TG_SPLIT: 0
	.section	.text._ZN7rocprim17ROCPRIM_400000_NS6detail17trampoline_kernelINS0_14default_configENS1_35radix_sort_onesweep_config_selectorItNS0_10empty_typeEEEZZNS1_29radix_sort_onesweep_iterationIS3_Lb0EN6thrust23THRUST_200600_302600_NS6detail15normal_iteratorINS9_10device_ptrItEEEESE_PS5_SF_jNS0_19identity_decomposerENS1_16block_id_wrapperIjLb0EEEEE10hipError_tT1_PNSt15iterator_traitsISK_E10value_typeET2_T3_PNSL_ISQ_E10value_typeET4_T5_PSV_SW_PNS1_23onesweep_lookback_stateEbbT6_jjT7_P12ihipStream_tbENKUlT_T0_SK_SP_E_clISE_SE_SF_SF_EEDaS13_S14_SK_SP_EUlS13_E_NS1_11comp_targetILNS1_3genE3ELNS1_11target_archE908ELNS1_3gpuE7ELNS1_3repE0EEENS1_47radix_sort_onesweep_sort_config_static_selectorELNS0_4arch9wavefront6targetE1EEEvSK_,"axG",@progbits,_ZN7rocprim17ROCPRIM_400000_NS6detail17trampoline_kernelINS0_14default_configENS1_35radix_sort_onesweep_config_selectorItNS0_10empty_typeEEEZZNS1_29radix_sort_onesweep_iterationIS3_Lb0EN6thrust23THRUST_200600_302600_NS6detail15normal_iteratorINS9_10device_ptrItEEEESE_PS5_SF_jNS0_19identity_decomposerENS1_16block_id_wrapperIjLb0EEEEE10hipError_tT1_PNSt15iterator_traitsISK_E10value_typeET2_T3_PNSL_ISQ_E10value_typeET4_T5_PSV_SW_PNS1_23onesweep_lookback_stateEbbT6_jjT7_P12ihipStream_tbENKUlT_T0_SK_SP_E_clISE_SE_SF_SF_EEDaS13_S14_SK_SP_EUlS13_E_NS1_11comp_targetILNS1_3genE3ELNS1_11target_archE908ELNS1_3gpuE7ELNS1_3repE0EEENS1_47radix_sort_onesweep_sort_config_static_selectorELNS0_4arch9wavefront6targetE1EEEvSK_,comdat
	.protected	_ZN7rocprim17ROCPRIM_400000_NS6detail17trampoline_kernelINS0_14default_configENS1_35radix_sort_onesweep_config_selectorItNS0_10empty_typeEEEZZNS1_29radix_sort_onesweep_iterationIS3_Lb0EN6thrust23THRUST_200600_302600_NS6detail15normal_iteratorINS9_10device_ptrItEEEESE_PS5_SF_jNS0_19identity_decomposerENS1_16block_id_wrapperIjLb0EEEEE10hipError_tT1_PNSt15iterator_traitsISK_E10value_typeET2_T3_PNSL_ISQ_E10value_typeET4_T5_PSV_SW_PNS1_23onesweep_lookback_stateEbbT6_jjT7_P12ihipStream_tbENKUlT_T0_SK_SP_E_clISE_SE_SF_SF_EEDaS13_S14_SK_SP_EUlS13_E_NS1_11comp_targetILNS1_3genE3ELNS1_11target_archE908ELNS1_3gpuE7ELNS1_3repE0EEENS1_47radix_sort_onesweep_sort_config_static_selectorELNS0_4arch9wavefront6targetE1EEEvSK_ ; -- Begin function _ZN7rocprim17ROCPRIM_400000_NS6detail17trampoline_kernelINS0_14default_configENS1_35radix_sort_onesweep_config_selectorItNS0_10empty_typeEEEZZNS1_29radix_sort_onesweep_iterationIS3_Lb0EN6thrust23THRUST_200600_302600_NS6detail15normal_iteratorINS9_10device_ptrItEEEESE_PS5_SF_jNS0_19identity_decomposerENS1_16block_id_wrapperIjLb0EEEEE10hipError_tT1_PNSt15iterator_traitsISK_E10value_typeET2_T3_PNSL_ISQ_E10value_typeET4_T5_PSV_SW_PNS1_23onesweep_lookback_stateEbbT6_jjT7_P12ihipStream_tbENKUlT_T0_SK_SP_E_clISE_SE_SF_SF_EEDaS13_S14_SK_SP_EUlS13_E_NS1_11comp_targetILNS1_3genE3ELNS1_11target_archE908ELNS1_3gpuE7ELNS1_3repE0EEENS1_47radix_sort_onesweep_sort_config_static_selectorELNS0_4arch9wavefront6targetE1EEEvSK_
	.globl	_ZN7rocprim17ROCPRIM_400000_NS6detail17trampoline_kernelINS0_14default_configENS1_35radix_sort_onesweep_config_selectorItNS0_10empty_typeEEEZZNS1_29radix_sort_onesweep_iterationIS3_Lb0EN6thrust23THRUST_200600_302600_NS6detail15normal_iteratorINS9_10device_ptrItEEEESE_PS5_SF_jNS0_19identity_decomposerENS1_16block_id_wrapperIjLb0EEEEE10hipError_tT1_PNSt15iterator_traitsISK_E10value_typeET2_T3_PNSL_ISQ_E10value_typeET4_T5_PSV_SW_PNS1_23onesweep_lookback_stateEbbT6_jjT7_P12ihipStream_tbENKUlT_T0_SK_SP_E_clISE_SE_SF_SF_EEDaS13_S14_SK_SP_EUlS13_E_NS1_11comp_targetILNS1_3genE3ELNS1_11target_archE908ELNS1_3gpuE7ELNS1_3repE0EEENS1_47radix_sort_onesweep_sort_config_static_selectorELNS0_4arch9wavefront6targetE1EEEvSK_
	.p2align	8
	.type	_ZN7rocprim17ROCPRIM_400000_NS6detail17trampoline_kernelINS0_14default_configENS1_35radix_sort_onesweep_config_selectorItNS0_10empty_typeEEEZZNS1_29radix_sort_onesweep_iterationIS3_Lb0EN6thrust23THRUST_200600_302600_NS6detail15normal_iteratorINS9_10device_ptrItEEEESE_PS5_SF_jNS0_19identity_decomposerENS1_16block_id_wrapperIjLb0EEEEE10hipError_tT1_PNSt15iterator_traitsISK_E10value_typeET2_T3_PNSL_ISQ_E10value_typeET4_T5_PSV_SW_PNS1_23onesweep_lookback_stateEbbT6_jjT7_P12ihipStream_tbENKUlT_T0_SK_SP_E_clISE_SE_SF_SF_EEDaS13_S14_SK_SP_EUlS13_E_NS1_11comp_targetILNS1_3genE3ELNS1_11target_archE908ELNS1_3gpuE7ELNS1_3repE0EEENS1_47radix_sort_onesweep_sort_config_static_selectorELNS0_4arch9wavefront6targetE1EEEvSK_,@function
_ZN7rocprim17ROCPRIM_400000_NS6detail17trampoline_kernelINS0_14default_configENS1_35radix_sort_onesweep_config_selectorItNS0_10empty_typeEEEZZNS1_29radix_sort_onesweep_iterationIS3_Lb0EN6thrust23THRUST_200600_302600_NS6detail15normal_iteratorINS9_10device_ptrItEEEESE_PS5_SF_jNS0_19identity_decomposerENS1_16block_id_wrapperIjLb0EEEEE10hipError_tT1_PNSt15iterator_traitsISK_E10value_typeET2_T3_PNSL_ISQ_E10value_typeET4_T5_PSV_SW_PNS1_23onesweep_lookback_stateEbbT6_jjT7_P12ihipStream_tbENKUlT_T0_SK_SP_E_clISE_SE_SF_SF_EEDaS13_S14_SK_SP_EUlS13_E_NS1_11comp_targetILNS1_3genE3ELNS1_11target_archE908ELNS1_3gpuE7ELNS1_3repE0EEENS1_47radix_sort_onesweep_sort_config_static_selectorELNS0_4arch9wavefront6targetE1EEEvSK_: ; @_ZN7rocprim17ROCPRIM_400000_NS6detail17trampoline_kernelINS0_14default_configENS1_35radix_sort_onesweep_config_selectorItNS0_10empty_typeEEEZZNS1_29radix_sort_onesweep_iterationIS3_Lb0EN6thrust23THRUST_200600_302600_NS6detail15normal_iteratorINS9_10device_ptrItEEEESE_PS5_SF_jNS0_19identity_decomposerENS1_16block_id_wrapperIjLb0EEEEE10hipError_tT1_PNSt15iterator_traitsISK_E10value_typeET2_T3_PNSL_ISQ_E10value_typeET4_T5_PSV_SW_PNS1_23onesweep_lookback_stateEbbT6_jjT7_P12ihipStream_tbENKUlT_T0_SK_SP_E_clISE_SE_SF_SF_EEDaS13_S14_SK_SP_EUlS13_E_NS1_11comp_targetILNS1_3genE3ELNS1_11target_archE908ELNS1_3gpuE7ELNS1_3repE0EEENS1_47radix_sort_onesweep_sort_config_static_selectorELNS0_4arch9wavefront6targetE1EEEvSK_
; %bb.0:
	.section	.rodata,"a",@progbits
	.p2align	6, 0x0
	.amdhsa_kernel _ZN7rocprim17ROCPRIM_400000_NS6detail17trampoline_kernelINS0_14default_configENS1_35radix_sort_onesweep_config_selectorItNS0_10empty_typeEEEZZNS1_29radix_sort_onesweep_iterationIS3_Lb0EN6thrust23THRUST_200600_302600_NS6detail15normal_iteratorINS9_10device_ptrItEEEESE_PS5_SF_jNS0_19identity_decomposerENS1_16block_id_wrapperIjLb0EEEEE10hipError_tT1_PNSt15iterator_traitsISK_E10value_typeET2_T3_PNSL_ISQ_E10value_typeET4_T5_PSV_SW_PNS1_23onesweep_lookback_stateEbbT6_jjT7_P12ihipStream_tbENKUlT_T0_SK_SP_E_clISE_SE_SF_SF_EEDaS13_S14_SK_SP_EUlS13_E_NS1_11comp_targetILNS1_3genE3ELNS1_11target_archE908ELNS1_3gpuE7ELNS1_3repE0EEENS1_47radix_sort_onesweep_sort_config_static_selectorELNS0_4arch9wavefront6targetE1EEEvSK_
		.amdhsa_group_segment_fixed_size 0
		.amdhsa_private_segment_fixed_size 0
		.amdhsa_kernarg_size 88
		.amdhsa_user_sgpr_count 6
		.amdhsa_user_sgpr_private_segment_buffer 1
		.amdhsa_user_sgpr_dispatch_ptr 0
		.amdhsa_user_sgpr_queue_ptr 0
		.amdhsa_user_sgpr_kernarg_segment_ptr 1
		.amdhsa_user_sgpr_dispatch_id 0
		.amdhsa_user_sgpr_flat_scratch_init 0
		.amdhsa_user_sgpr_kernarg_preload_length 0
		.amdhsa_user_sgpr_kernarg_preload_offset 0
		.amdhsa_user_sgpr_private_segment_size 0
		.amdhsa_uses_dynamic_stack 0
		.amdhsa_system_sgpr_private_segment_wavefront_offset 0
		.amdhsa_system_sgpr_workgroup_id_x 1
		.amdhsa_system_sgpr_workgroup_id_y 0
		.amdhsa_system_sgpr_workgroup_id_z 0
		.amdhsa_system_sgpr_workgroup_info 0
		.amdhsa_system_vgpr_workitem_id 0
		.amdhsa_next_free_vgpr 1
		.amdhsa_next_free_sgpr 0
		.amdhsa_accum_offset 4
		.amdhsa_reserve_vcc 0
		.amdhsa_reserve_flat_scratch 0
		.amdhsa_float_round_mode_32 0
		.amdhsa_float_round_mode_16_64 0
		.amdhsa_float_denorm_mode_32 3
		.amdhsa_float_denorm_mode_16_64 3
		.amdhsa_dx10_clamp 1
		.amdhsa_ieee_mode 1
		.amdhsa_fp16_overflow 0
		.amdhsa_tg_split 0
		.amdhsa_exception_fp_ieee_invalid_op 0
		.amdhsa_exception_fp_denorm_src 0
		.amdhsa_exception_fp_ieee_div_zero 0
		.amdhsa_exception_fp_ieee_overflow 0
		.amdhsa_exception_fp_ieee_underflow 0
		.amdhsa_exception_fp_ieee_inexact 0
		.amdhsa_exception_int_div_zero 0
	.end_amdhsa_kernel
	.section	.text._ZN7rocprim17ROCPRIM_400000_NS6detail17trampoline_kernelINS0_14default_configENS1_35radix_sort_onesweep_config_selectorItNS0_10empty_typeEEEZZNS1_29radix_sort_onesweep_iterationIS3_Lb0EN6thrust23THRUST_200600_302600_NS6detail15normal_iteratorINS9_10device_ptrItEEEESE_PS5_SF_jNS0_19identity_decomposerENS1_16block_id_wrapperIjLb0EEEEE10hipError_tT1_PNSt15iterator_traitsISK_E10value_typeET2_T3_PNSL_ISQ_E10value_typeET4_T5_PSV_SW_PNS1_23onesweep_lookback_stateEbbT6_jjT7_P12ihipStream_tbENKUlT_T0_SK_SP_E_clISE_SE_SF_SF_EEDaS13_S14_SK_SP_EUlS13_E_NS1_11comp_targetILNS1_3genE3ELNS1_11target_archE908ELNS1_3gpuE7ELNS1_3repE0EEENS1_47radix_sort_onesweep_sort_config_static_selectorELNS0_4arch9wavefront6targetE1EEEvSK_,"axG",@progbits,_ZN7rocprim17ROCPRIM_400000_NS6detail17trampoline_kernelINS0_14default_configENS1_35radix_sort_onesweep_config_selectorItNS0_10empty_typeEEEZZNS1_29radix_sort_onesweep_iterationIS3_Lb0EN6thrust23THRUST_200600_302600_NS6detail15normal_iteratorINS9_10device_ptrItEEEESE_PS5_SF_jNS0_19identity_decomposerENS1_16block_id_wrapperIjLb0EEEEE10hipError_tT1_PNSt15iterator_traitsISK_E10value_typeET2_T3_PNSL_ISQ_E10value_typeET4_T5_PSV_SW_PNS1_23onesweep_lookback_stateEbbT6_jjT7_P12ihipStream_tbENKUlT_T0_SK_SP_E_clISE_SE_SF_SF_EEDaS13_S14_SK_SP_EUlS13_E_NS1_11comp_targetILNS1_3genE3ELNS1_11target_archE908ELNS1_3gpuE7ELNS1_3repE0EEENS1_47radix_sort_onesweep_sort_config_static_selectorELNS0_4arch9wavefront6targetE1EEEvSK_,comdat
.Lfunc_end1370:
	.size	_ZN7rocprim17ROCPRIM_400000_NS6detail17trampoline_kernelINS0_14default_configENS1_35radix_sort_onesweep_config_selectorItNS0_10empty_typeEEEZZNS1_29radix_sort_onesweep_iterationIS3_Lb0EN6thrust23THRUST_200600_302600_NS6detail15normal_iteratorINS9_10device_ptrItEEEESE_PS5_SF_jNS0_19identity_decomposerENS1_16block_id_wrapperIjLb0EEEEE10hipError_tT1_PNSt15iterator_traitsISK_E10value_typeET2_T3_PNSL_ISQ_E10value_typeET4_T5_PSV_SW_PNS1_23onesweep_lookback_stateEbbT6_jjT7_P12ihipStream_tbENKUlT_T0_SK_SP_E_clISE_SE_SF_SF_EEDaS13_S14_SK_SP_EUlS13_E_NS1_11comp_targetILNS1_3genE3ELNS1_11target_archE908ELNS1_3gpuE7ELNS1_3repE0EEENS1_47radix_sort_onesweep_sort_config_static_selectorELNS0_4arch9wavefront6targetE1EEEvSK_, .Lfunc_end1370-_ZN7rocprim17ROCPRIM_400000_NS6detail17trampoline_kernelINS0_14default_configENS1_35radix_sort_onesweep_config_selectorItNS0_10empty_typeEEEZZNS1_29radix_sort_onesweep_iterationIS3_Lb0EN6thrust23THRUST_200600_302600_NS6detail15normal_iteratorINS9_10device_ptrItEEEESE_PS5_SF_jNS0_19identity_decomposerENS1_16block_id_wrapperIjLb0EEEEE10hipError_tT1_PNSt15iterator_traitsISK_E10value_typeET2_T3_PNSL_ISQ_E10value_typeET4_T5_PSV_SW_PNS1_23onesweep_lookback_stateEbbT6_jjT7_P12ihipStream_tbENKUlT_T0_SK_SP_E_clISE_SE_SF_SF_EEDaS13_S14_SK_SP_EUlS13_E_NS1_11comp_targetILNS1_3genE3ELNS1_11target_archE908ELNS1_3gpuE7ELNS1_3repE0EEENS1_47radix_sort_onesweep_sort_config_static_selectorELNS0_4arch9wavefront6targetE1EEEvSK_
                                        ; -- End function
	.section	.AMDGPU.csdata,"",@progbits
; Kernel info:
; codeLenInByte = 0
; NumSgprs: 4
; NumVgprs: 0
; NumAgprs: 0
; TotalNumVgprs: 0
; ScratchSize: 0
; MemoryBound: 0
; FloatMode: 240
; IeeeMode: 1
; LDSByteSize: 0 bytes/workgroup (compile time only)
; SGPRBlocks: 0
; VGPRBlocks: 0
; NumSGPRsForWavesPerEU: 4
; NumVGPRsForWavesPerEU: 1
; AccumOffset: 4
; Occupancy: 8
; WaveLimiterHint : 0
; COMPUTE_PGM_RSRC2:SCRATCH_EN: 0
; COMPUTE_PGM_RSRC2:USER_SGPR: 6
; COMPUTE_PGM_RSRC2:TRAP_HANDLER: 0
; COMPUTE_PGM_RSRC2:TGID_X_EN: 1
; COMPUTE_PGM_RSRC2:TGID_Y_EN: 0
; COMPUTE_PGM_RSRC2:TGID_Z_EN: 0
; COMPUTE_PGM_RSRC2:TIDIG_COMP_CNT: 0
; COMPUTE_PGM_RSRC3_GFX90A:ACCUM_OFFSET: 0
; COMPUTE_PGM_RSRC3_GFX90A:TG_SPLIT: 0
	.section	.text._ZN7rocprim17ROCPRIM_400000_NS6detail17trampoline_kernelINS0_14default_configENS1_35radix_sort_onesweep_config_selectorItNS0_10empty_typeEEEZZNS1_29radix_sort_onesweep_iterationIS3_Lb0EN6thrust23THRUST_200600_302600_NS6detail15normal_iteratorINS9_10device_ptrItEEEESE_PS5_SF_jNS0_19identity_decomposerENS1_16block_id_wrapperIjLb0EEEEE10hipError_tT1_PNSt15iterator_traitsISK_E10value_typeET2_T3_PNSL_ISQ_E10value_typeET4_T5_PSV_SW_PNS1_23onesweep_lookback_stateEbbT6_jjT7_P12ihipStream_tbENKUlT_T0_SK_SP_E_clISE_SE_SF_SF_EEDaS13_S14_SK_SP_EUlS13_E_NS1_11comp_targetILNS1_3genE10ELNS1_11target_archE1201ELNS1_3gpuE5ELNS1_3repE0EEENS1_47radix_sort_onesweep_sort_config_static_selectorELNS0_4arch9wavefront6targetE1EEEvSK_,"axG",@progbits,_ZN7rocprim17ROCPRIM_400000_NS6detail17trampoline_kernelINS0_14default_configENS1_35radix_sort_onesweep_config_selectorItNS0_10empty_typeEEEZZNS1_29radix_sort_onesweep_iterationIS3_Lb0EN6thrust23THRUST_200600_302600_NS6detail15normal_iteratorINS9_10device_ptrItEEEESE_PS5_SF_jNS0_19identity_decomposerENS1_16block_id_wrapperIjLb0EEEEE10hipError_tT1_PNSt15iterator_traitsISK_E10value_typeET2_T3_PNSL_ISQ_E10value_typeET4_T5_PSV_SW_PNS1_23onesweep_lookback_stateEbbT6_jjT7_P12ihipStream_tbENKUlT_T0_SK_SP_E_clISE_SE_SF_SF_EEDaS13_S14_SK_SP_EUlS13_E_NS1_11comp_targetILNS1_3genE10ELNS1_11target_archE1201ELNS1_3gpuE5ELNS1_3repE0EEENS1_47radix_sort_onesweep_sort_config_static_selectorELNS0_4arch9wavefront6targetE1EEEvSK_,comdat
	.protected	_ZN7rocprim17ROCPRIM_400000_NS6detail17trampoline_kernelINS0_14default_configENS1_35radix_sort_onesweep_config_selectorItNS0_10empty_typeEEEZZNS1_29radix_sort_onesweep_iterationIS3_Lb0EN6thrust23THRUST_200600_302600_NS6detail15normal_iteratorINS9_10device_ptrItEEEESE_PS5_SF_jNS0_19identity_decomposerENS1_16block_id_wrapperIjLb0EEEEE10hipError_tT1_PNSt15iterator_traitsISK_E10value_typeET2_T3_PNSL_ISQ_E10value_typeET4_T5_PSV_SW_PNS1_23onesweep_lookback_stateEbbT6_jjT7_P12ihipStream_tbENKUlT_T0_SK_SP_E_clISE_SE_SF_SF_EEDaS13_S14_SK_SP_EUlS13_E_NS1_11comp_targetILNS1_3genE10ELNS1_11target_archE1201ELNS1_3gpuE5ELNS1_3repE0EEENS1_47radix_sort_onesweep_sort_config_static_selectorELNS0_4arch9wavefront6targetE1EEEvSK_ ; -- Begin function _ZN7rocprim17ROCPRIM_400000_NS6detail17trampoline_kernelINS0_14default_configENS1_35radix_sort_onesweep_config_selectorItNS0_10empty_typeEEEZZNS1_29radix_sort_onesweep_iterationIS3_Lb0EN6thrust23THRUST_200600_302600_NS6detail15normal_iteratorINS9_10device_ptrItEEEESE_PS5_SF_jNS0_19identity_decomposerENS1_16block_id_wrapperIjLb0EEEEE10hipError_tT1_PNSt15iterator_traitsISK_E10value_typeET2_T3_PNSL_ISQ_E10value_typeET4_T5_PSV_SW_PNS1_23onesweep_lookback_stateEbbT6_jjT7_P12ihipStream_tbENKUlT_T0_SK_SP_E_clISE_SE_SF_SF_EEDaS13_S14_SK_SP_EUlS13_E_NS1_11comp_targetILNS1_3genE10ELNS1_11target_archE1201ELNS1_3gpuE5ELNS1_3repE0EEENS1_47radix_sort_onesweep_sort_config_static_selectorELNS0_4arch9wavefront6targetE1EEEvSK_
	.globl	_ZN7rocprim17ROCPRIM_400000_NS6detail17trampoline_kernelINS0_14default_configENS1_35radix_sort_onesweep_config_selectorItNS0_10empty_typeEEEZZNS1_29radix_sort_onesweep_iterationIS3_Lb0EN6thrust23THRUST_200600_302600_NS6detail15normal_iteratorINS9_10device_ptrItEEEESE_PS5_SF_jNS0_19identity_decomposerENS1_16block_id_wrapperIjLb0EEEEE10hipError_tT1_PNSt15iterator_traitsISK_E10value_typeET2_T3_PNSL_ISQ_E10value_typeET4_T5_PSV_SW_PNS1_23onesweep_lookback_stateEbbT6_jjT7_P12ihipStream_tbENKUlT_T0_SK_SP_E_clISE_SE_SF_SF_EEDaS13_S14_SK_SP_EUlS13_E_NS1_11comp_targetILNS1_3genE10ELNS1_11target_archE1201ELNS1_3gpuE5ELNS1_3repE0EEENS1_47radix_sort_onesweep_sort_config_static_selectorELNS0_4arch9wavefront6targetE1EEEvSK_
	.p2align	8
	.type	_ZN7rocprim17ROCPRIM_400000_NS6detail17trampoline_kernelINS0_14default_configENS1_35radix_sort_onesweep_config_selectorItNS0_10empty_typeEEEZZNS1_29radix_sort_onesweep_iterationIS3_Lb0EN6thrust23THRUST_200600_302600_NS6detail15normal_iteratorINS9_10device_ptrItEEEESE_PS5_SF_jNS0_19identity_decomposerENS1_16block_id_wrapperIjLb0EEEEE10hipError_tT1_PNSt15iterator_traitsISK_E10value_typeET2_T3_PNSL_ISQ_E10value_typeET4_T5_PSV_SW_PNS1_23onesweep_lookback_stateEbbT6_jjT7_P12ihipStream_tbENKUlT_T0_SK_SP_E_clISE_SE_SF_SF_EEDaS13_S14_SK_SP_EUlS13_E_NS1_11comp_targetILNS1_3genE10ELNS1_11target_archE1201ELNS1_3gpuE5ELNS1_3repE0EEENS1_47radix_sort_onesweep_sort_config_static_selectorELNS0_4arch9wavefront6targetE1EEEvSK_,@function
_ZN7rocprim17ROCPRIM_400000_NS6detail17trampoline_kernelINS0_14default_configENS1_35radix_sort_onesweep_config_selectorItNS0_10empty_typeEEEZZNS1_29radix_sort_onesweep_iterationIS3_Lb0EN6thrust23THRUST_200600_302600_NS6detail15normal_iteratorINS9_10device_ptrItEEEESE_PS5_SF_jNS0_19identity_decomposerENS1_16block_id_wrapperIjLb0EEEEE10hipError_tT1_PNSt15iterator_traitsISK_E10value_typeET2_T3_PNSL_ISQ_E10value_typeET4_T5_PSV_SW_PNS1_23onesweep_lookback_stateEbbT6_jjT7_P12ihipStream_tbENKUlT_T0_SK_SP_E_clISE_SE_SF_SF_EEDaS13_S14_SK_SP_EUlS13_E_NS1_11comp_targetILNS1_3genE10ELNS1_11target_archE1201ELNS1_3gpuE5ELNS1_3repE0EEENS1_47radix_sort_onesweep_sort_config_static_selectorELNS0_4arch9wavefront6targetE1EEEvSK_: ; @_ZN7rocprim17ROCPRIM_400000_NS6detail17trampoline_kernelINS0_14default_configENS1_35radix_sort_onesweep_config_selectorItNS0_10empty_typeEEEZZNS1_29radix_sort_onesweep_iterationIS3_Lb0EN6thrust23THRUST_200600_302600_NS6detail15normal_iteratorINS9_10device_ptrItEEEESE_PS5_SF_jNS0_19identity_decomposerENS1_16block_id_wrapperIjLb0EEEEE10hipError_tT1_PNSt15iterator_traitsISK_E10value_typeET2_T3_PNSL_ISQ_E10value_typeET4_T5_PSV_SW_PNS1_23onesweep_lookback_stateEbbT6_jjT7_P12ihipStream_tbENKUlT_T0_SK_SP_E_clISE_SE_SF_SF_EEDaS13_S14_SK_SP_EUlS13_E_NS1_11comp_targetILNS1_3genE10ELNS1_11target_archE1201ELNS1_3gpuE5ELNS1_3repE0EEENS1_47radix_sort_onesweep_sort_config_static_selectorELNS0_4arch9wavefront6targetE1EEEvSK_
; %bb.0:
	.section	.rodata,"a",@progbits
	.p2align	6, 0x0
	.amdhsa_kernel _ZN7rocprim17ROCPRIM_400000_NS6detail17trampoline_kernelINS0_14default_configENS1_35radix_sort_onesweep_config_selectorItNS0_10empty_typeEEEZZNS1_29radix_sort_onesweep_iterationIS3_Lb0EN6thrust23THRUST_200600_302600_NS6detail15normal_iteratorINS9_10device_ptrItEEEESE_PS5_SF_jNS0_19identity_decomposerENS1_16block_id_wrapperIjLb0EEEEE10hipError_tT1_PNSt15iterator_traitsISK_E10value_typeET2_T3_PNSL_ISQ_E10value_typeET4_T5_PSV_SW_PNS1_23onesweep_lookback_stateEbbT6_jjT7_P12ihipStream_tbENKUlT_T0_SK_SP_E_clISE_SE_SF_SF_EEDaS13_S14_SK_SP_EUlS13_E_NS1_11comp_targetILNS1_3genE10ELNS1_11target_archE1201ELNS1_3gpuE5ELNS1_3repE0EEENS1_47radix_sort_onesweep_sort_config_static_selectorELNS0_4arch9wavefront6targetE1EEEvSK_
		.amdhsa_group_segment_fixed_size 0
		.amdhsa_private_segment_fixed_size 0
		.amdhsa_kernarg_size 88
		.amdhsa_user_sgpr_count 6
		.amdhsa_user_sgpr_private_segment_buffer 1
		.amdhsa_user_sgpr_dispatch_ptr 0
		.amdhsa_user_sgpr_queue_ptr 0
		.amdhsa_user_sgpr_kernarg_segment_ptr 1
		.amdhsa_user_sgpr_dispatch_id 0
		.amdhsa_user_sgpr_flat_scratch_init 0
		.amdhsa_user_sgpr_kernarg_preload_length 0
		.amdhsa_user_sgpr_kernarg_preload_offset 0
		.amdhsa_user_sgpr_private_segment_size 0
		.amdhsa_uses_dynamic_stack 0
		.amdhsa_system_sgpr_private_segment_wavefront_offset 0
		.amdhsa_system_sgpr_workgroup_id_x 1
		.amdhsa_system_sgpr_workgroup_id_y 0
		.amdhsa_system_sgpr_workgroup_id_z 0
		.amdhsa_system_sgpr_workgroup_info 0
		.amdhsa_system_vgpr_workitem_id 0
		.amdhsa_next_free_vgpr 1
		.amdhsa_next_free_sgpr 0
		.amdhsa_accum_offset 4
		.amdhsa_reserve_vcc 0
		.amdhsa_reserve_flat_scratch 0
		.amdhsa_float_round_mode_32 0
		.amdhsa_float_round_mode_16_64 0
		.amdhsa_float_denorm_mode_32 3
		.amdhsa_float_denorm_mode_16_64 3
		.amdhsa_dx10_clamp 1
		.amdhsa_ieee_mode 1
		.amdhsa_fp16_overflow 0
		.amdhsa_tg_split 0
		.amdhsa_exception_fp_ieee_invalid_op 0
		.amdhsa_exception_fp_denorm_src 0
		.amdhsa_exception_fp_ieee_div_zero 0
		.amdhsa_exception_fp_ieee_overflow 0
		.amdhsa_exception_fp_ieee_underflow 0
		.amdhsa_exception_fp_ieee_inexact 0
		.amdhsa_exception_int_div_zero 0
	.end_amdhsa_kernel
	.section	.text._ZN7rocprim17ROCPRIM_400000_NS6detail17trampoline_kernelINS0_14default_configENS1_35radix_sort_onesweep_config_selectorItNS0_10empty_typeEEEZZNS1_29radix_sort_onesweep_iterationIS3_Lb0EN6thrust23THRUST_200600_302600_NS6detail15normal_iteratorINS9_10device_ptrItEEEESE_PS5_SF_jNS0_19identity_decomposerENS1_16block_id_wrapperIjLb0EEEEE10hipError_tT1_PNSt15iterator_traitsISK_E10value_typeET2_T3_PNSL_ISQ_E10value_typeET4_T5_PSV_SW_PNS1_23onesweep_lookback_stateEbbT6_jjT7_P12ihipStream_tbENKUlT_T0_SK_SP_E_clISE_SE_SF_SF_EEDaS13_S14_SK_SP_EUlS13_E_NS1_11comp_targetILNS1_3genE10ELNS1_11target_archE1201ELNS1_3gpuE5ELNS1_3repE0EEENS1_47radix_sort_onesweep_sort_config_static_selectorELNS0_4arch9wavefront6targetE1EEEvSK_,"axG",@progbits,_ZN7rocprim17ROCPRIM_400000_NS6detail17trampoline_kernelINS0_14default_configENS1_35radix_sort_onesweep_config_selectorItNS0_10empty_typeEEEZZNS1_29radix_sort_onesweep_iterationIS3_Lb0EN6thrust23THRUST_200600_302600_NS6detail15normal_iteratorINS9_10device_ptrItEEEESE_PS5_SF_jNS0_19identity_decomposerENS1_16block_id_wrapperIjLb0EEEEE10hipError_tT1_PNSt15iterator_traitsISK_E10value_typeET2_T3_PNSL_ISQ_E10value_typeET4_T5_PSV_SW_PNS1_23onesweep_lookback_stateEbbT6_jjT7_P12ihipStream_tbENKUlT_T0_SK_SP_E_clISE_SE_SF_SF_EEDaS13_S14_SK_SP_EUlS13_E_NS1_11comp_targetILNS1_3genE10ELNS1_11target_archE1201ELNS1_3gpuE5ELNS1_3repE0EEENS1_47radix_sort_onesweep_sort_config_static_selectorELNS0_4arch9wavefront6targetE1EEEvSK_,comdat
.Lfunc_end1371:
	.size	_ZN7rocprim17ROCPRIM_400000_NS6detail17trampoline_kernelINS0_14default_configENS1_35radix_sort_onesweep_config_selectorItNS0_10empty_typeEEEZZNS1_29radix_sort_onesweep_iterationIS3_Lb0EN6thrust23THRUST_200600_302600_NS6detail15normal_iteratorINS9_10device_ptrItEEEESE_PS5_SF_jNS0_19identity_decomposerENS1_16block_id_wrapperIjLb0EEEEE10hipError_tT1_PNSt15iterator_traitsISK_E10value_typeET2_T3_PNSL_ISQ_E10value_typeET4_T5_PSV_SW_PNS1_23onesweep_lookback_stateEbbT6_jjT7_P12ihipStream_tbENKUlT_T0_SK_SP_E_clISE_SE_SF_SF_EEDaS13_S14_SK_SP_EUlS13_E_NS1_11comp_targetILNS1_3genE10ELNS1_11target_archE1201ELNS1_3gpuE5ELNS1_3repE0EEENS1_47radix_sort_onesweep_sort_config_static_selectorELNS0_4arch9wavefront6targetE1EEEvSK_, .Lfunc_end1371-_ZN7rocprim17ROCPRIM_400000_NS6detail17trampoline_kernelINS0_14default_configENS1_35radix_sort_onesweep_config_selectorItNS0_10empty_typeEEEZZNS1_29radix_sort_onesweep_iterationIS3_Lb0EN6thrust23THRUST_200600_302600_NS6detail15normal_iteratorINS9_10device_ptrItEEEESE_PS5_SF_jNS0_19identity_decomposerENS1_16block_id_wrapperIjLb0EEEEE10hipError_tT1_PNSt15iterator_traitsISK_E10value_typeET2_T3_PNSL_ISQ_E10value_typeET4_T5_PSV_SW_PNS1_23onesweep_lookback_stateEbbT6_jjT7_P12ihipStream_tbENKUlT_T0_SK_SP_E_clISE_SE_SF_SF_EEDaS13_S14_SK_SP_EUlS13_E_NS1_11comp_targetILNS1_3genE10ELNS1_11target_archE1201ELNS1_3gpuE5ELNS1_3repE0EEENS1_47radix_sort_onesweep_sort_config_static_selectorELNS0_4arch9wavefront6targetE1EEEvSK_
                                        ; -- End function
	.section	.AMDGPU.csdata,"",@progbits
; Kernel info:
; codeLenInByte = 0
; NumSgprs: 4
; NumVgprs: 0
; NumAgprs: 0
; TotalNumVgprs: 0
; ScratchSize: 0
; MemoryBound: 0
; FloatMode: 240
; IeeeMode: 1
; LDSByteSize: 0 bytes/workgroup (compile time only)
; SGPRBlocks: 0
; VGPRBlocks: 0
; NumSGPRsForWavesPerEU: 4
; NumVGPRsForWavesPerEU: 1
; AccumOffset: 4
; Occupancy: 8
; WaveLimiterHint : 0
; COMPUTE_PGM_RSRC2:SCRATCH_EN: 0
; COMPUTE_PGM_RSRC2:USER_SGPR: 6
; COMPUTE_PGM_RSRC2:TRAP_HANDLER: 0
; COMPUTE_PGM_RSRC2:TGID_X_EN: 1
; COMPUTE_PGM_RSRC2:TGID_Y_EN: 0
; COMPUTE_PGM_RSRC2:TGID_Z_EN: 0
; COMPUTE_PGM_RSRC2:TIDIG_COMP_CNT: 0
; COMPUTE_PGM_RSRC3_GFX90A:ACCUM_OFFSET: 0
; COMPUTE_PGM_RSRC3_GFX90A:TG_SPLIT: 0
	.section	.text._ZN7rocprim17ROCPRIM_400000_NS6detail17trampoline_kernelINS0_14default_configENS1_35radix_sort_onesweep_config_selectorItNS0_10empty_typeEEEZZNS1_29radix_sort_onesweep_iterationIS3_Lb0EN6thrust23THRUST_200600_302600_NS6detail15normal_iteratorINS9_10device_ptrItEEEESE_PS5_SF_jNS0_19identity_decomposerENS1_16block_id_wrapperIjLb0EEEEE10hipError_tT1_PNSt15iterator_traitsISK_E10value_typeET2_T3_PNSL_ISQ_E10value_typeET4_T5_PSV_SW_PNS1_23onesweep_lookback_stateEbbT6_jjT7_P12ihipStream_tbENKUlT_T0_SK_SP_E_clISE_SE_SF_SF_EEDaS13_S14_SK_SP_EUlS13_E_NS1_11comp_targetILNS1_3genE9ELNS1_11target_archE1100ELNS1_3gpuE3ELNS1_3repE0EEENS1_47radix_sort_onesweep_sort_config_static_selectorELNS0_4arch9wavefront6targetE1EEEvSK_,"axG",@progbits,_ZN7rocprim17ROCPRIM_400000_NS6detail17trampoline_kernelINS0_14default_configENS1_35radix_sort_onesweep_config_selectorItNS0_10empty_typeEEEZZNS1_29radix_sort_onesweep_iterationIS3_Lb0EN6thrust23THRUST_200600_302600_NS6detail15normal_iteratorINS9_10device_ptrItEEEESE_PS5_SF_jNS0_19identity_decomposerENS1_16block_id_wrapperIjLb0EEEEE10hipError_tT1_PNSt15iterator_traitsISK_E10value_typeET2_T3_PNSL_ISQ_E10value_typeET4_T5_PSV_SW_PNS1_23onesweep_lookback_stateEbbT6_jjT7_P12ihipStream_tbENKUlT_T0_SK_SP_E_clISE_SE_SF_SF_EEDaS13_S14_SK_SP_EUlS13_E_NS1_11comp_targetILNS1_3genE9ELNS1_11target_archE1100ELNS1_3gpuE3ELNS1_3repE0EEENS1_47radix_sort_onesweep_sort_config_static_selectorELNS0_4arch9wavefront6targetE1EEEvSK_,comdat
	.protected	_ZN7rocprim17ROCPRIM_400000_NS6detail17trampoline_kernelINS0_14default_configENS1_35radix_sort_onesweep_config_selectorItNS0_10empty_typeEEEZZNS1_29radix_sort_onesweep_iterationIS3_Lb0EN6thrust23THRUST_200600_302600_NS6detail15normal_iteratorINS9_10device_ptrItEEEESE_PS5_SF_jNS0_19identity_decomposerENS1_16block_id_wrapperIjLb0EEEEE10hipError_tT1_PNSt15iterator_traitsISK_E10value_typeET2_T3_PNSL_ISQ_E10value_typeET4_T5_PSV_SW_PNS1_23onesweep_lookback_stateEbbT6_jjT7_P12ihipStream_tbENKUlT_T0_SK_SP_E_clISE_SE_SF_SF_EEDaS13_S14_SK_SP_EUlS13_E_NS1_11comp_targetILNS1_3genE9ELNS1_11target_archE1100ELNS1_3gpuE3ELNS1_3repE0EEENS1_47radix_sort_onesweep_sort_config_static_selectorELNS0_4arch9wavefront6targetE1EEEvSK_ ; -- Begin function _ZN7rocprim17ROCPRIM_400000_NS6detail17trampoline_kernelINS0_14default_configENS1_35radix_sort_onesweep_config_selectorItNS0_10empty_typeEEEZZNS1_29radix_sort_onesweep_iterationIS3_Lb0EN6thrust23THRUST_200600_302600_NS6detail15normal_iteratorINS9_10device_ptrItEEEESE_PS5_SF_jNS0_19identity_decomposerENS1_16block_id_wrapperIjLb0EEEEE10hipError_tT1_PNSt15iterator_traitsISK_E10value_typeET2_T3_PNSL_ISQ_E10value_typeET4_T5_PSV_SW_PNS1_23onesweep_lookback_stateEbbT6_jjT7_P12ihipStream_tbENKUlT_T0_SK_SP_E_clISE_SE_SF_SF_EEDaS13_S14_SK_SP_EUlS13_E_NS1_11comp_targetILNS1_3genE9ELNS1_11target_archE1100ELNS1_3gpuE3ELNS1_3repE0EEENS1_47radix_sort_onesweep_sort_config_static_selectorELNS0_4arch9wavefront6targetE1EEEvSK_
	.globl	_ZN7rocprim17ROCPRIM_400000_NS6detail17trampoline_kernelINS0_14default_configENS1_35radix_sort_onesweep_config_selectorItNS0_10empty_typeEEEZZNS1_29radix_sort_onesweep_iterationIS3_Lb0EN6thrust23THRUST_200600_302600_NS6detail15normal_iteratorINS9_10device_ptrItEEEESE_PS5_SF_jNS0_19identity_decomposerENS1_16block_id_wrapperIjLb0EEEEE10hipError_tT1_PNSt15iterator_traitsISK_E10value_typeET2_T3_PNSL_ISQ_E10value_typeET4_T5_PSV_SW_PNS1_23onesweep_lookback_stateEbbT6_jjT7_P12ihipStream_tbENKUlT_T0_SK_SP_E_clISE_SE_SF_SF_EEDaS13_S14_SK_SP_EUlS13_E_NS1_11comp_targetILNS1_3genE9ELNS1_11target_archE1100ELNS1_3gpuE3ELNS1_3repE0EEENS1_47radix_sort_onesweep_sort_config_static_selectorELNS0_4arch9wavefront6targetE1EEEvSK_
	.p2align	8
	.type	_ZN7rocprim17ROCPRIM_400000_NS6detail17trampoline_kernelINS0_14default_configENS1_35radix_sort_onesweep_config_selectorItNS0_10empty_typeEEEZZNS1_29radix_sort_onesweep_iterationIS3_Lb0EN6thrust23THRUST_200600_302600_NS6detail15normal_iteratorINS9_10device_ptrItEEEESE_PS5_SF_jNS0_19identity_decomposerENS1_16block_id_wrapperIjLb0EEEEE10hipError_tT1_PNSt15iterator_traitsISK_E10value_typeET2_T3_PNSL_ISQ_E10value_typeET4_T5_PSV_SW_PNS1_23onesweep_lookback_stateEbbT6_jjT7_P12ihipStream_tbENKUlT_T0_SK_SP_E_clISE_SE_SF_SF_EEDaS13_S14_SK_SP_EUlS13_E_NS1_11comp_targetILNS1_3genE9ELNS1_11target_archE1100ELNS1_3gpuE3ELNS1_3repE0EEENS1_47radix_sort_onesweep_sort_config_static_selectorELNS0_4arch9wavefront6targetE1EEEvSK_,@function
_ZN7rocprim17ROCPRIM_400000_NS6detail17trampoline_kernelINS0_14default_configENS1_35radix_sort_onesweep_config_selectorItNS0_10empty_typeEEEZZNS1_29radix_sort_onesweep_iterationIS3_Lb0EN6thrust23THRUST_200600_302600_NS6detail15normal_iteratorINS9_10device_ptrItEEEESE_PS5_SF_jNS0_19identity_decomposerENS1_16block_id_wrapperIjLb0EEEEE10hipError_tT1_PNSt15iterator_traitsISK_E10value_typeET2_T3_PNSL_ISQ_E10value_typeET4_T5_PSV_SW_PNS1_23onesweep_lookback_stateEbbT6_jjT7_P12ihipStream_tbENKUlT_T0_SK_SP_E_clISE_SE_SF_SF_EEDaS13_S14_SK_SP_EUlS13_E_NS1_11comp_targetILNS1_3genE9ELNS1_11target_archE1100ELNS1_3gpuE3ELNS1_3repE0EEENS1_47radix_sort_onesweep_sort_config_static_selectorELNS0_4arch9wavefront6targetE1EEEvSK_: ; @_ZN7rocprim17ROCPRIM_400000_NS6detail17trampoline_kernelINS0_14default_configENS1_35radix_sort_onesweep_config_selectorItNS0_10empty_typeEEEZZNS1_29radix_sort_onesweep_iterationIS3_Lb0EN6thrust23THRUST_200600_302600_NS6detail15normal_iteratorINS9_10device_ptrItEEEESE_PS5_SF_jNS0_19identity_decomposerENS1_16block_id_wrapperIjLb0EEEEE10hipError_tT1_PNSt15iterator_traitsISK_E10value_typeET2_T3_PNSL_ISQ_E10value_typeET4_T5_PSV_SW_PNS1_23onesweep_lookback_stateEbbT6_jjT7_P12ihipStream_tbENKUlT_T0_SK_SP_E_clISE_SE_SF_SF_EEDaS13_S14_SK_SP_EUlS13_E_NS1_11comp_targetILNS1_3genE9ELNS1_11target_archE1100ELNS1_3gpuE3ELNS1_3repE0EEENS1_47radix_sort_onesweep_sort_config_static_selectorELNS0_4arch9wavefront6targetE1EEEvSK_
; %bb.0:
	.section	.rodata,"a",@progbits
	.p2align	6, 0x0
	.amdhsa_kernel _ZN7rocprim17ROCPRIM_400000_NS6detail17trampoline_kernelINS0_14default_configENS1_35radix_sort_onesweep_config_selectorItNS0_10empty_typeEEEZZNS1_29radix_sort_onesweep_iterationIS3_Lb0EN6thrust23THRUST_200600_302600_NS6detail15normal_iteratorINS9_10device_ptrItEEEESE_PS5_SF_jNS0_19identity_decomposerENS1_16block_id_wrapperIjLb0EEEEE10hipError_tT1_PNSt15iterator_traitsISK_E10value_typeET2_T3_PNSL_ISQ_E10value_typeET4_T5_PSV_SW_PNS1_23onesweep_lookback_stateEbbT6_jjT7_P12ihipStream_tbENKUlT_T0_SK_SP_E_clISE_SE_SF_SF_EEDaS13_S14_SK_SP_EUlS13_E_NS1_11comp_targetILNS1_3genE9ELNS1_11target_archE1100ELNS1_3gpuE3ELNS1_3repE0EEENS1_47radix_sort_onesweep_sort_config_static_selectorELNS0_4arch9wavefront6targetE1EEEvSK_
		.amdhsa_group_segment_fixed_size 0
		.amdhsa_private_segment_fixed_size 0
		.amdhsa_kernarg_size 88
		.amdhsa_user_sgpr_count 6
		.amdhsa_user_sgpr_private_segment_buffer 1
		.amdhsa_user_sgpr_dispatch_ptr 0
		.amdhsa_user_sgpr_queue_ptr 0
		.amdhsa_user_sgpr_kernarg_segment_ptr 1
		.amdhsa_user_sgpr_dispatch_id 0
		.amdhsa_user_sgpr_flat_scratch_init 0
		.amdhsa_user_sgpr_kernarg_preload_length 0
		.amdhsa_user_sgpr_kernarg_preload_offset 0
		.amdhsa_user_sgpr_private_segment_size 0
		.amdhsa_uses_dynamic_stack 0
		.amdhsa_system_sgpr_private_segment_wavefront_offset 0
		.amdhsa_system_sgpr_workgroup_id_x 1
		.amdhsa_system_sgpr_workgroup_id_y 0
		.amdhsa_system_sgpr_workgroup_id_z 0
		.amdhsa_system_sgpr_workgroup_info 0
		.amdhsa_system_vgpr_workitem_id 0
		.amdhsa_next_free_vgpr 1
		.amdhsa_next_free_sgpr 0
		.amdhsa_accum_offset 4
		.amdhsa_reserve_vcc 0
		.amdhsa_reserve_flat_scratch 0
		.amdhsa_float_round_mode_32 0
		.amdhsa_float_round_mode_16_64 0
		.amdhsa_float_denorm_mode_32 3
		.amdhsa_float_denorm_mode_16_64 3
		.amdhsa_dx10_clamp 1
		.amdhsa_ieee_mode 1
		.amdhsa_fp16_overflow 0
		.amdhsa_tg_split 0
		.amdhsa_exception_fp_ieee_invalid_op 0
		.amdhsa_exception_fp_denorm_src 0
		.amdhsa_exception_fp_ieee_div_zero 0
		.amdhsa_exception_fp_ieee_overflow 0
		.amdhsa_exception_fp_ieee_underflow 0
		.amdhsa_exception_fp_ieee_inexact 0
		.amdhsa_exception_int_div_zero 0
	.end_amdhsa_kernel
	.section	.text._ZN7rocprim17ROCPRIM_400000_NS6detail17trampoline_kernelINS0_14default_configENS1_35radix_sort_onesweep_config_selectorItNS0_10empty_typeEEEZZNS1_29radix_sort_onesweep_iterationIS3_Lb0EN6thrust23THRUST_200600_302600_NS6detail15normal_iteratorINS9_10device_ptrItEEEESE_PS5_SF_jNS0_19identity_decomposerENS1_16block_id_wrapperIjLb0EEEEE10hipError_tT1_PNSt15iterator_traitsISK_E10value_typeET2_T3_PNSL_ISQ_E10value_typeET4_T5_PSV_SW_PNS1_23onesweep_lookback_stateEbbT6_jjT7_P12ihipStream_tbENKUlT_T0_SK_SP_E_clISE_SE_SF_SF_EEDaS13_S14_SK_SP_EUlS13_E_NS1_11comp_targetILNS1_3genE9ELNS1_11target_archE1100ELNS1_3gpuE3ELNS1_3repE0EEENS1_47radix_sort_onesweep_sort_config_static_selectorELNS0_4arch9wavefront6targetE1EEEvSK_,"axG",@progbits,_ZN7rocprim17ROCPRIM_400000_NS6detail17trampoline_kernelINS0_14default_configENS1_35radix_sort_onesweep_config_selectorItNS0_10empty_typeEEEZZNS1_29radix_sort_onesweep_iterationIS3_Lb0EN6thrust23THRUST_200600_302600_NS6detail15normal_iteratorINS9_10device_ptrItEEEESE_PS5_SF_jNS0_19identity_decomposerENS1_16block_id_wrapperIjLb0EEEEE10hipError_tT1_PNSt15iterator_traitsISK_E10value_typeET2_T3_PNSL_ISQ_E10value_typeET4_T5_PSV_SW_PNS1_23onesweep_lookback_stateEbbT6_jjT7_P12ihipStream_tbENKUlT_T0_SK_SP_E_clISE_SE_SF_SF_EEDaS13_S14_SK_SP_EUlS13_E_NS1_11comp_targetILNS1_3genE9ELNS1_11target_archE1100ELNS1_3gpuE3ELNS1_3repE0EEENS1_47radix_sort_onesweep_sort_config_static_selectorELNS0_4arch9wavefront6targetE1EEEvSK_,comdat
.Lfunc_end1372:
	.size	_ZN7rocprim17ROCPRIM_400000_NS6detail17trampoline_kernelINS0_14default_configENS1_35radix_sort_onesweep_config_selectorItNS0_10empty_typeEEEZZNS1_29radix_sort_onesweep_iterationIS3_Lb0EN6thrust23THRUST_200600_302600_NS6detail15normal_iteratorINS9_10device_ptrItEEEESE_PS5_SF_jNS0_19identity_decomposerENS1_16block_id_wrapperIjLb0EEEEE10hipError_tT1_PNSt15iterator_traitsISK_E10value_typeET2_T3_PNSL_ISQ_E10value_typeET4_T5_PSV_SW_PNS1_23onesweep_lookback_stateEbbT6_jjT7_P12ihipStream_tbENKUlT_T0_SK_SP_E_clISE_SE_SF_SF_EEDaS13_S14_SK_SP_EUlS13_E_NS1_11comp_targetILNS1_3genE9ELNS1_11target_archE1100ELNS1_3gpuE3ELNS1_3repE0EEENS1_47radix_sort_onesweep_sort_config_static_selectorELNS0_4arch9wavefront6targetE1EEEvSK_, .Lfunc_end1372-_ZN7rocprim17ROCPRIM_400000_NS6detail17trampoline_kernelINS0_14default_configENS1_35radix_sort_onesweep_config_selectorItNS0_10empty_typeEEEZZNS1_29radix_sort_onesweep_iterationIS3_Lb0EN6thrust23THRUST_200600_302600_NS6detail15normal_iteratorINS9_10device_ptrItEEEESE_PS5_SF_jNS0_19identity_decomposerENS1_16block_id_wrapperIjLb0EEEEE10hipError_tT1_PNSt15iterator_traitsISK_E10value_typeET2_T3_PNSL_ISQ_E10value_typeET4_T5_PSV_SW_PNS1_23onesweep_lookback_stateEbbT6_jjT7_P12ihipStream_tbENKUlT_T0_SK_SP_E_clISE_SE_SF_SF_EEDaS13_S14_SK_SP_EUlS13_E_NS1_11comp_targetILNS1_3genE9ELNS1_11target_archE1100ELNS1_3gpuE3ELNS1_3repE0EEENS1_47radix_sort_onesweep_sort_config_static_selectorELNS0_4arch9wavefront6targetE1EEEvSK_
                                        ; -- End function
	.section	.AMDGPU.csdata,"",@progbits
; Kernel info:
; codeLenInByte = 0
; NumSgprs: 4
; NumVgprs: 0
; NumAgprs: 0
; TotalNumVgprs: 0
; ScratchSize: 0
; MemoryBound: 0
; FloatMode: 240
; IeeeMode: 1
; LDSByteSize: 0 bytes/workgroup (compile time only)
; SGPRBlocks: 0
; VGPRBlocks: 0
; NumSGPRsForWavesPerEU: 4
; NumVGPRsForWavesPerEU: 1
; AccumOffset: 4
; Occupancy: 8
; WaveLimiterHint : 0
; COMPUTE_PGM_RSRC2:SCRATCH_EN: 0
; COMPUTE_PGM_RSRC2:USER_SGPR: 6
; COMPUTE_PGM_RSRC2:TRAP_HANDLER: 0
; COMPUTE_PGM_RSRC2:TGID_X_EN: 1
; COMPUTE_PGM_RSRC2:TGID_Y_EN: 0
; COMPUTE_PGM_RSRC2:TGID_Z_EN: 0
; COMPUTE_PGM_RSRC2:TIDIG_COMP_CNT: 0
; COMPUTE_PGM_RSRC3_GFX90A:ACCUM_OFFSET: 0
; COMPUTE_PGM_RSRC3_GFX90A:TG_SPLIT: 0
	.section	.text._ZN7rocprim17ROCPRIM_400000_NS6detail17trampoline_kernelINS0_14default_configENS1_35radix_sort_onesweep_config_selectorItNS0_10empty_typeEEEZZNS1_29radix_sort_onesweep_iterationIS3_Lb0EN6thrust23THRUST_200600_302600_NS6detail15normal_iteratorINS9_10device_ptrItEEEESE_PS5_SF_jNS0_19identity_decomposerENS1_16block_id_wrapperIjLb0EEEEE10hipError_tT1_PNSt15iterator_traitsISK_E10value_typeET2_T3_PNSL_ISQ_E10value_typeET4_T5_PSV_SW_PNS1_23onesweep_lookback_stateEbbT6_jjT7_P12ihipStream_tbENKUlT_T0_SK_SP_E_clISE_SE_SF_SF_EEDaS13_S14_SK_SP_EUlS13_E_NS1_11comp_targetILNS1_3genE8ELNS1_11target_archE1030ELNS1_3gpuE2ELNS1_3repE0EEENS1_47radix_sort_onesweep_sort_config_static_selectorELNS0_4arch9wavefront6targetE1EEEvSK_,"axG",@progbits,_ZN7rocprim17ROCPRIM_400000_NS6detail17trampoline_kernelINS0_14default_configENS1_35radix_sort_onesweep_config_selectorItNS0_10empty_typeEEEZZNS1_29radix_sort_onesweep_iterationIS3_Lb0EN6thrust23THRUST_200600_302600_NS6detail15normal_iteratorINS9_10device_ptrItEEEESE_PS5_SF_jNS0_19identity_decomposerENS1_16block_id_wrapperIjLb0EEEEE10hipError_tT1_PNSt15iterator_traitsISK_E10value_typeET2_T3_PNSL_ISQ_E10value_typeET4_T5_PSV_SW_PNS1_23onesweep_lookback_stateEbbT6_jjT7_P12ihipStream_tbENKUlT_T0_SK_SP_E_clISE_SE_SF_SF_EEDaS13_S14_SK_SP_EUlS13_E_NS1_11comp_targetILNS1_3genE8ELNS1_11target_archE1030ELNS1_3gpuE2ELNS1_3repE0EEENS1_47radix_sort_onesweep_sort_config_static_selectorELNS0_4arch9wavefront6targetE1EEEvSK_,comdat
	.protected	_ZN7rocprim17ROCPRIM_400000_NS6detail17trampoline_kernelINS0_14default_configENS1_35radix_sort_onesweep_config_selectorItNS0_10empty_typeEEEZZNS1_29radix_sort_onesweep_iterationIS3_Lb0EN6thrust23THRUST_200600_302600_NS6detail15normal_iteratorINS9_10device_ptrItEEEESE_PS5_SF_jNS0_19identity_decomposerENS1_16block_id_wrapperIjLb0EEEEE10hipError_tT1_PNSt15iterator_traitsISK_E10value_typeET2_T3_PNSL_ISQ_E10value_typeET4_T5_PSV_SW_PNS1_23onesweep_lookback_stateEbbT6_jjT7_P12ihipStream_tbENKUlT_T0_SK_SP_E_clISE_SE_SF_SF_EEDaS13_S14_SK_SP_EUlS13_E_NS1_11comp_targetILNS1_3genE8ELNS1_11target_archE1030ELNS1_3gpuE2ELNS1_3repE0EEENS1_47radix_sort_onesweep_sort_config_static_selectorELNS0_4arch9wavefront6targetE1EEEvSK_ ; -- Begin function _ZN7rocprim17ROCPRIM_400000_NS6detail17trampoline_kernelINS0_14default_configENS1_35radix_sort_onesweep_config_selectorItNS0_10empty_typeEEEZZNS1_29radix_sort_onesweep_iterationIS3_Lb0EN6thrust23THRUST_200600_302600_NS6detail15normal_iteratorINS9_10device_ptrItEEEESE_PS5_SF_jNS0_19identity_decomposerENS1_16block_id_wrapperIjLb0EEEEE10hipError_tT1_PNSt15iterator_traitsISK_E10value_typeET2_T3_PNSL_ISQ_E10value_typeET4_T5_PSV_SW_PNS1_23onesweep_lookback_stateEbbT6_jjT7_P12ihipStream_tbENKUlT_T0_SK_SP_E_clISE_SE_SF_SF_EEDaS13_S14_SK_SP_EUlS13_E_NS1_11comp_targetILNS1_3genE8ELNS1_11target_archE1030ELNS1_3gpuE2ELNS1_3repE0EEENS1_47radix_sort_onesweep_sort_config_static_selectorELNS0_4arch9wavefront6targetE1EEEvSK_
	.globl	_ZN7rocprim17ROCPRIM_400000_NS6detail17trampoline_kernelINS0_14default_configENS1_35radix_sort_onesweep_config_selectorItNS0_10empty_typeEEEZZNS1_29radix_sort_onesweep_iterationIS3_Lb0EN6thrust23THRUST_200600_302600_NS6detail15normal_iteratorINS9_10device_ptrItEEEESE_PS5_SF_jNS0_19identity_decomposerENS1_16block_id_wrapperIjLb0EEEEE10hipError_tT1_PNSt15iterator_traitsISK_E10value_typeET2_T3_PNSL_ISQ_E10value_typeET4_T5_PSV_SW_PNS1_23onesweep_lookback_stateEbbT6_jjT7_P12ihipStream_tbENKUlT_T0_SK_SP_E_clISE_SE_SF_SF_EEDaS13_S14_SK_SP_EUlS13_E_NS1_11comp_targetILNS1_3genE8ELNS1_11target_archE1030ELNS1_3gpuE2ELNS1_3repE0EEENS1_47radix_sort_onesweep_sort_config_static_selectorELNS0_4arch9wavefront6targetE1EEEvSK_
	.p2align	8
	.type	_ZN7rocprim17ROCPRIM_400000_NS6detail17trampoline_kernelINS0_14default_configENS1_35radix_sort_onesweep_config_selectorItNS0_10empty_typeEEEZZNS1_29radix_sort_onesweep_iterationIS3_Lb0EN6thrust23THRUST_200600_302600_NS6detail15normal_iteratorINS9_10device_ptrItEEEESE_PS5_SF_jNS0_19identity_decomposerENS1_16block_id_wrapperIjLb0EEEEE10hipError_tT1_PNSt15iterator_traitsISK_E10value_typeET2_T3_PNSL_ISQ_E10value_typeET4_T5_PSV_SW_PNS1_23onesweep_lookback_stateEbbT6_jjT7_P12ihipStream_tbENKUlT_T0_SK_SP_E_clISE_SE_SF_SF_EEDaS13_S14_SK_SP_EUlS13_E_NS1_11comp_targetILNS1_3genE8ELNS1_11target_archE1030ELNS1_3gpuE2ELNS1_3repE0EEENS1_47radix_sort_onesweep_sort_config_static_selectorELNS0_4arch9wavefront6targetE1EEEvSK_,@function
_ZN7rocprim17ROCPRIM_400000_NS6detail17trampoline_kernelINS0_14default_configENS1_35radix_sort_onesweep_config_selectorItNS0_10empty_typeEEEZZNS1_29radix_sort_onesweep_iterationIS3_Lb0EN6thrust23THRUST_200600_302600_NS6detail15normal_iteratorINS9_10device_ptrItEEEESE_PS5_SF_jNS0_19identity_decomposerENS1_16block_id_wrapperIjLb0EEEEE10hipError_tT1_PNSt15iterator_traitsISK_E10value_typeET2_T3_PNSL_ISQ_E10value_typeET4_T5_PSV_SW_PNS1_23onesweep_lookback_stateEbbT6_jjT7_P12ihipStream_tbENKUlT_T0_SK_SP_E_clISE_SE_SF_SF_EEDaS13_S14_SK_SP_EUlS13_E_NS1_11comp_targetILNS1_3genE8ELNS1_11target_archE1030ELNS1_3gpuE2ELNS1_3repE0EEENS1_47radix_sort_onesweep_sort_config_static_selectorELNS0_4arch9wavefront6targetE1EEEvSK_: ; @_ZN7rocprim17ROCPRIM_400000_NS6detail17trampoline_kernelINS0_14default_configENS1_35radix_sort_onesweep_config_selectorItNS0_10empty_typeEEEZZNS1_29radix_sort_onesweep_iterationIS3_Lb0EN6thrust23THRUST_200600_302600_NS6detail15normal_iteratorINS9_10device_ptrItEEEESE_PS5_SF_jNS0_19identity_decomposerENS1_16block_id_wrapperIjLb0EEEEE10hipError_tT1_PNSt15iterator_traitsISK_E10value_typeET2_T3_PNSL_ISQ_E10value_typeET4_T5_PSV_SW_PNS1_23onesweep_lookback_stateEbbT6_jjT7_P12ihipStream_tbENKUlT_T0_SK_SP_E_clISE_SE_SF_SF_EEDaS13_S14_SK_SP_EUlS13_E_NS1_11comp_targetILNS1_3genE8ELNS1_11target_archE1030ELNS1_3gpuE2ELNS1_3repE0EEENS1_47radix_sort_onesweep_sort_config_static_selectorELNS0_4arch9wavefront6targetE1EEEvSK_
; %bb.0:
	.section	.rodata,"a",@progbits
	.p2align	6, 0x0
	.amdhsa_kernel _ZN7rocprim17ROCPRIM_400000_NS6detail17trampoline_kernelINS0_14default_configENS1_35radix_sort_onesweep_config_selectorItNS0_10empty_typeEEEZZNS1_29radix_sort_onesweep_iterationIS3_Lb0EN6thrust23THRUST_200600_302600_NS6detail15normal_iteratorINS9_10device_ptrItEEEESE_PS5_SF_jNS0_19identity_decomposerENS1_16block_id_wrapperIjLb0EEEEE10hipError_tT1_PNSt15iterator_traitsISK_E10value_typeET2_T3_PNSL_ISQ_E10value_typeET4_T5_PSV_SW_PNS1_23onesweep_lookback_stateEbbT6_jjT7_P12ihipStream_tbENKUlT_T0_SK_SP_E_clISE_SE_SF_SF_EEDaS13_S14_SK_SP_EUlS13_E_NS1_11comp_targetILNS1_3genE8ELNS1_11target_archE1030ELNS1_3gpuE2ELNS1_3repE0EEENS1_47radix_sort_onesweep_sort_config_static_selectorELNS0_4arch9wavefront6targetE1EEEvSK_
		.amdhsa_group_segment_fixed_size 0
		.amdhsa_private_segment_fixed_size 0
		.amdhsa_kernarg_size 88
		.amdhsa_user_sgpr_count 6
		.amdhsa_user_sgpr_private_segment_buffer 1
		.amdhsa_user_sgpr_dispatch_ptr 0
		.amdhsa_user_sgpr_queue_ptr 0
		.amdhsa_user_sgpr_kernarg_segment_ptr 1
		.amdhsa_user_sgpr_dispatch_id 0
		.amdhsa_user_sgpr_flat_scratch_init 0
		.amdhsa_user_sgpr_kernarg_preload_length 0
		.amdhsa_user_sgpr_kernarg_preload_offset 0
		.amdhsa_user_sgpr_private_segment_size 0
		.amdhsa_uses_dynamic_stack 0
		.amdhsa_system_sgpr_private_segment_wavefront_offset 0
		.amdhsa_system_sgpr_workgroup_id_x 1
		.amdhsa_system_sgpr_workgroup_id_y 0
		.amdhsa_system_sgpr_workgroup_id_z 0
		.amdhsa_system_sgpr_workgroup_info 0
		.amdhsa_system_vgpr_workitem_id 0
		.amdhsa_next_free_vgpr 1
		.amdhsa_next_free_sgpr 0
		.amdhsa_accum_offset 4
		.amdhsa_reserve_vcc 0
		.amdhsa_reserve_flat_scratch 0
		.amdhsa_float_round_mode_32 0
		.amdhsa_float_round_mode_16_64 0
		.amdhsa_float_denorm_mode_32 3
		.amdhsa_float_denorm_mode_16_64 3
		.amdhsa_dx10_clamp 1
		.amdhsa_ieee_mode 1
		.amdhsa_fp16_overflow 0
		.amdhsa_tg_split 0
		.amdhsa_exception_fp_ieee_invalid_op 0
		.amdhsa_exception_fp_denorm_src 0
		.amdhsa_exception_fp_ieee_div_zero 0
		.amdhsa_exception_fp_ieee_overflow 0
		.amdhsa_exception_fp_ieee_underflow 0
		.amdhsa_exception_fp_ieee_inexact 0
		.amdhsa_exception_int_div_zero 0
	.end_amdhsa_kernel
	.section	.text._ZN7rocprim17ROCPRIM_400000_NS6detail17trampoline_kernelINS0_14default_configENS1_35radix_sort_onesweep_config_selectorItNS0_10empty_typeEEEZZNS1_29radix_sort_onesweep_iterationIS3_Lb0EN6thrust23THRUST_200600_302600_NS6detail15normal_iteratorINS9_10device_ptrItEEEESE_PS5_SF_jNS0_19identity_decomposerENS1_16block_id_wrapperIjLb0EEEEE10hipError_tT1_PNSt15iterator_traitsISK_E10value_typeET2_T3_PNSL_ISQ_E10value_typeET4_T5_PSV_SW_PNS1_23onesweep_lookback_stateEbbT6_jjT7_P12ihipStream_tbENKUlT_T0_SK_SP_E_clISE_SE_SF_SF_EEDaS13_S14_SK_SP_EUlS13_E_NS1_11comp_targetILNS1_3genE8ELNS1_11target_archE1030ELNS1_3gpuE2ELNS1_3repE0EEENS1_47radix_sort_onesweep_sort_config_static_selectorELNS0_4arch9wavefront6targetE1EEEvSK_,"axG",@progbits,_ZN7rocprim17ROCPRIM_400000_NS6detail17trampoline_kernelINS0_14default_configENS1_35radix_sort_onesweep_config_selectorItNS0_10empty_typeEEEZZNS1_29radix_sort_onesweep_iterationIS3_Lb0EN6thrust23THRUST_200600_302600_NS6detail15normal_iteratorINS9_10device_ptrItEEEESE_PS5_SF_jNS0_19identity_decomposerENS1_16block_id_wrapperIjLb0EEEEE10hipError_tT1_PNSt15iterator_traitsISK_E10value_typeET2_T3_PNSL_ISQ_E10value_typeET4_T5_PSV_SW_PNS1_23onesweep_lookback_stateEbbT6_jjT7_P12ihipStream_tbENKUlT_T0_SK_SP_E_clISE_SE_SF_SF_EEDaS13_S14_SK_SP_EUlS13_E_NS1_11comp_targetILNS1_3genE8ELNS1_11target_archE1030ELNS1_3gpuE2ELNS1_3repE0EEENS1_47radix_sort_onesweep_sort_config_static_selectorELNS0_4arch9wavefront6targetE1EEEvSK_,comdat
.Lfunc_end1373:
	.size	_ZN7rocprim17ROCPRIM_400000_NS6detail17trampoline_kernelINS0_14default_configENS1_35radix_sort_onesweep_config_selectorItNS0_10empty_typeEEEZZNS1_29radix_sort_onesweep_iterationIS3_Lb0EN6thrust23THRUST_200600_302600_NS6detail15normal_iteratorINS9_10device_ptrItEEEESE_PS5_SF_jNS0_19identity_decomposerENS1_16block_id_wrapperIjLb0EEEEE10hipError_tT1_PNSt15iterator_traitsISK_E10value_typeET2_T3_PNSL_ISQ_E10value_typeET4_T5_PSV_SW_PNS1_23onesweep_lookback_stateEbbT6_jjT7_P12ihipStream_tbENKUlT_T0_SK_SP_E_clISE_SE_SF_SF_EEDaS13_S14_SK_SP_EUlS13_E_NS1_11comp_targetILNS1_3genE8ELNS1_11target_archE1030ELNS1_3gpuE2ELNS1_3repE0EEENS1_47radix_sort_onesweep_sort_config_static_selectorELNS0_4arch9wavefront6targetE1EEEvSK_, .Lfunc_end1373-_ZN7rocprim17ROCPRIM_400000_NS6detail17trampoline_kernelINS0_14default_configENS1_35radix_sort_onesweep_config_selectorItNS0_10empty_typeEEEZZNS1_29radix_sort_onesweep_iterationIS3_Lb0EN6thrust23THRUST_200600_302600_NS6detail15normal_iteratorINS9_10device_ptrItEEEESE_PS5_SF_jNS0_19identity_decomposerENS1_16block_id_wrapperIjLb0EEEEE10hipError_tT1_PNSt15iterator_traitsISK_E10value_typeET2_T3_PNSL_ISQ_E10value_typeET4_T5_PSV_SW_PNS1_23onesweep_lookback_stateEbbT6_jjT7_P12ihipStream_tbENKUlT_T0_SK_SP_E_clISE_SE_SF_SF_EEDaS13_S14_SK_SP_EUlS13_E_NS1_11comp_targetILNS1_3genE8ELNS1_11target_archE1030ELNS1_3gpuE2ELNS1_3repE0EEENS1_47radix_sort_onesweep_sort_config_static_selectorELNS0_4arch9wavefront6targetE1EEEvSK_
                                        ; -- End function
	.section	.AMDGPU.csdata,"",@progbits
; Kernel info:
; codeLenInByte = 0
; NumSgprs: 4
; NumVgprs: 0
; NumAgprs: 0
; TotalNumVgprs: 0
; ScratchSize: 0
; MemoryBound: 0
; FloatMode: 240
; IeeeMode: 1
; LDSByteSize: 0 bytes/workgroup (compile time only)
; SGPRBlocks: 0
; VGPRBlocks: 0
; NumSGPRsForWavesPerEU: 4
; NumVGPRsForWavesPerEU: 1
; AccumOffset: 4
; Occupancy: 8
; WaveLimiterHint : 0
; COMPUTE_PGM_RSRC2:SCRATCH_EN: 0
; COMPUTE_PGM_RSRC2:USER_SGPR: 6
; COMPUTE_PGM_RSRC2:TRAP_HANDLER: 0
; COMPUTE_PGM_RSRC2:TGID_X_EN: 1
; COMPUTE_PGM_RSRC2:TGID_Y_EN: 0
; COMPUTE_PGM_RSRC2:TGID_Z_EN: 0
; COMPUTE_PGM_RSRC2:TIDIG_COMP_CNT: 0
; COMPUTE_PGM_RSRC3_GFX90A:ACCUM_OFFSET: 0
; COMPUTE_PGM_RSRC3_GFX90A:TG_SPLIT: 0
	.section	.text._ZN7rocprim17ROCPRIM_400000_NS6detail17trampoline_kernelINS0_14default_configENS1_35radix_sort_onesweep_config_selectorItNS0_10empty_typeEEEZZNS1_29radix_sort_onesweep_iterationIS3_Lb0EN6thrust23THRUST_200600_302600_NS6detail15normal_iteratorINS9_10device_ptrItEEEESE_PS5_SF_jNS0_19identity_decomposerENS1_16block_id_wrapperIjLb0EEEEE10hipError_tT1_PNSt15iterator_traitsISK_E10value_typeET2_T3_PNSL_ISQ_E10value_typeET4_T5_PSV_SW_PNS1_23onesweep_lookback_stateEbbT6_jjT7_P12ihipStream_tbENKUlT_T0_SK_SP_E_clISE_PtSF_SF_EEDaS13_S14_SK_SP_EUlS13_E_NS1_11comp_targetILNS1_3genE0ELNS1_11target_archE4294967295ELNS1_3gpuE0ELNS1_3repE0EEENS1_47radix_sort_onesweep_sort_config_static_selectorELNS0_4arch9wavefront6targetE1EEEvSK_,"axG",@progbits,_ZN7rocprim17ROCPRIM_400000_NS6detail17trampoline_kernelINS0_14default_configENS1_35radix_sort_onesweep_config_selectorItNS0_10empty_typeEEEZZNS1_29radix_sort_onesweep_iterationIS3_Lb0EN6thrust23THRUST_200600_302600_NS6detail15normal_iteratorINS9_10device_ptrItEEEESE_PS5_SF_jNS0_19identity_decomposerENS1_16block_id_wrapperIjLb0EEEEE10hipError_tT1_PNSt15iterator_traitsISK_E10value_typeET2_T3_PNSL_ISQ_E10value_typeET4_T5_PSV_SW_PNS1_23onesweep_lookback_stateEbbT6_jjT7_P12ihipStream_tbENKUlT_T0_SK_SP_E_clISE_PtSF_SF_EEDaS13_S14_SK_SP_EUlS13_E_NS1_11comp_targetILNS1_3genE0ELNS1_11target_archE4294967295ELNS1_3gpuE0ELNS1_3repE0EEENS1_47radix_sort_onesweep_sort_config_static_selectorELNS0_4arch9wavefront6targetE1EEEvSK_,comdat
	.protected	_ZN7rocprim17ROCPRIM_400000_NS6detail17trampoline_kernelINS0_14default_configENS1_35radix_sort_onesweep_config_selectorItNS0_10empty_typeEEEZZNS1_29radix_sort_onesweep_iterationIS3_Lb0EN6thrust23THRUST_200600_302600_NS6detail15normal_iteratorINS9_10device_ptrItEEEESE_PS5_SF_jNS0_19identity_decomposerENS1_16block_id_wrapperIjLb0EEEEE10hipError_tT1_PNSt15iterator_traitsISK_E10value_typeET2_T3_PNSL_ISQ_E10value_typeET4_T5_PSV_SW_PNS1_23onesweep_lookback_stateEbbT6_jjT7_P12ihipStream_tbENKUlT_T0_SK_SP_E_clISE_PtSF_SF_EEDaS13_S14_SK_SP_EUlS13_E_NS1_11comp_targetILNS1_3genE0ELNS1_11target_archE4294967295ELNS1_3gpuE0ELNS1_3repE0EEENS1_47radix_sort_onesweep_sort_config_static_selectorELNS0_4arch9wavefront6targetE1EEEvSK_ ; -- Begin function _ZN7rocprim17ROCPRIM_400000_NS6detail17trampoline_kernelINS0_14default_configENS1_35radix_sort_onesweep_config_selectorItNS0_10empty_typeEEEZZNS1_29radix_sort_onesweep_iterationIS3_Lb0EN6thrust23THRUST_200600_302600_NS6detail15normal_iteratorINS9_10device_ptrItEEEESE_PS5_SF_jNS0_19identity_decomposerENS1_16block_id_wrapperIjLb0EEEEE10hipError_tT1_PNSt15iterator_traitsISK_E10value_typeET2_T3_PNSL_ISQ_E10value_typeET4_T5_PSV_SW_PNS1_23onesweep_lookback_stateEbbT6_jjT7_P12ihipStream_tbENKUlT_T0_SK_SP_E_clISE_PtSF_SF_EEDaS13_S14_SK_SP_EUlS13_E_NS1_11comp_targetILNS1_3genE0ELNS1_11target_archE4294967295ELNS1_3gpuE0ELNS1_3repE0EEENS1_47radix_sort_onesweep_sort_config_static_selectorELNS0_4arch9wavefront6targetE1EEEvSK_
	.globl	_ZN7rocprim17ROCPRIM_400000_NS6detail17trampoline_kernelINS0_14default_configENS1_35radix_sort_onesweep_config_selectorItNS0_10empty_typeEEEZZNS1_29radix_sort_onesweep_iterationIS3_Lb0EN6thrust23THRUST_200600_302600_NS6detail15normal_iteratorINS9_10device_ptrItEEEESE_PS5_SF_jNS0_19identity_decomposerENS1_16block_id_wrapperIjLb0EEEEE10hipError_tT1_PNSt15iterator_traitsISK_E10value_typeET2_T3_PNSL_ISQ_E10value_typeET4_T5_PSV_SW_PNS1_23onesweep_lookback_stateEbbT6_jjT7_P12ihipStream_tbENKUlT_T0_SK_SP_E_clISE_PtSF_SF_EEDaS13_S14_SK_SP_EUlS13_E_NS1_11comp_targetILNS1_3genE0ELNS1_11target_archE4294967295ELNS1_3gpuE0ELNS1_3repE0EEENS1_47radix_sort_onesweep_sort_config_static_selectorELNS0_4arch9wavefront6targetE1EEEvSK_
	.p2align	8
	.type	_ZN7rocprim17ROCPRIM_400000_NS6detail17trampoline_kernelINS0_14default_configENS1_35radix_sort_onesweep_config_selectorItNS0_10empty_typeEEEZZNS1_29radix_sort_onesweep_iterationIS3_Lb0EN6thrust23THRUST_200600_302600_NS6detail15normal_iteratorINS9_10device_ptrItEEEESE_PS5_SF_jNS0_19identity_decomposerENS1_16block_id_wrapperIjLb0EEEEE10hipError_tT1_PNSt15iterator_traitsISK_E10value_typeET2_T3_PNSL_ISQ_E10value_typeET4_T5_PSV_SW_PNS1_23onesweep_lookback_stateEbbT6_jjT7_P12ihipStream_tbENKUlT_T0_SK_SP_E_clISE_PtSF_SF_EEDaS13_S14_SK_SP_EUlS13_E_NS1_11comp_targetILNS1_3genE0ELNS1_11target_archE4294967295ELNS1_3gpuE0ELNS1_3repE0EEENS1_47radix_sort_onesweep_sort_config_static_selectorELNS0_4arch9wavefront6targetE1EEEvSK_,@function
_ZN7rocprim17ROCPRIM_400000_NS6detail17trampoline_kernelINS0_14default_configENS1_35radix_sort_onesweep_config_selectorItNS0_10empty_typeEEEZZNS1_29radix_sort_onesweep_iterationIS3_Lb0EN6thrust23THRUST_200600_302600_NS6detail15normal_iteratorINS9_10device_ptrItEEEESE_PS5_SF_jNS0_19identity_decomposerENS1_16block_id_wrapperIjLb0EEEEE10hipError_tT1_PNSt15iterator_traitsISK_E10value_typeET2_T3_PNSL_ISQ_E10value_typeET4_T5_PSV_SW_PNS1_23onesweep_lookback_stateEbbT6_jjT7_P12ihipStream_tbENKUlT_T0_SK_SP_E_clISE_PtSF_SF_EEDaS13_S14_SK_SP_EUlS13_E_NS1_11comp_targetILNS1_3genE0ELNS1_11target_archE4294967295ELNS1_3gpuE0ELNS1_3repE0EEENS1_47radix_sort_onesweep_sort_config_static_selectorELNS0_4arch9wavefront6targetE1EEEvSK_: ; @_ZN7rocprim17ROCPRIM_400000_NS6detail17trampoline_kernelINS0_14default_configENS1_35radix_sort_onesweep_config_selectorItNS0_10empty_typeEEEZZNS1_29radix_sort_onesweep_iterationIS3_Lb0EN6thrust23THRUST_200600_302600_NS6detail15normal_iteratorINS9_10device_ptrItEEEESE_PS5_SF_jNS0_19identity_decomposerENS1_16block_id_wrapperIjLb0EEEEE10hipError_tT1_PNSt15iterator_traitsISK_E10value_typeET2_T3_PNSL_ISQ_E10value_typeET4_T5_PSV_SW_PNS1_23onesweep_lookback_stateEbbT6_jjT7_P12ihipStream_tbENKUlT_T0_SK_SP_E_clISE_PtSF_SF_EEDaS13_S14_SK_SP_EUlS13_E_NS1_11comp_targetILNS1_3genE0ELNS1_11target_archE4294967295ELNS1_3gpuE0ELNS1_3repE0EEENS1_47radix_sort_onesweep_sort_config_static_selectorELNS0_4arch9wavefront6targetE1EEEvSK_
; %bb.0:
	.section	.rodata,"a",@progbits
	.p2align	6, 0x0
	.amdhsa_kernel _ZN7rocprim17ROCPRIM_400000_NS6detail17trampoline_kernelINS0_14default_configENS1_35radix_sort_onesweep_config_selectorItNS0_10empty_typeEEEZZNS1_29radix_sort_onesweep_iterationIS3_Lb0EN6thrust23THRUST_200600_302600_NS6detail15normal_iteratorINS9_10device_ptrItEEEESE_PS5_SF_jNS0_19identity_decomposerENS1_16block_id_wrapperIjLb0EEEEE10hipError_tT1_PNSt15iterator_traitsISK_E10value_typeET2_T3_PNSL_ISQ_E10value_typeET4_T5_PSV_SW_PNS1_23onesweep_lookback_stateEbbT6_jjT7_P12ihipStream_tbENKUlT_T0_SK_SP_E_clISE_PtSF_SF_EEDaS13_S14_SK_SP_EUlS13_E_NS1_11comp_targetILNS1_3genE0ELNS1_11target_archE4294967295ELNS1_3gpuE0ELNS1_3repE0EEENS1_47radix_sort_onesweep_sort_config_static_selectorELNS0_4arch9wavefront6targetE1EEEvSK_
		.amdhsa_group_segment_fixed_size 0
		.amdhsa_private_segment_fixed_size 0
		.amdhsa_kernarg_size 88
		.amdhsa_user_sgpr_count 6
		.amdhsa_user_sgpr_private_segment_buffer 1
		.amdhsa_user_sgpr_dispatch_ptr 0
		.amdhsa_user_sgpr_queue_ptr 0
		.amdhsa_user_sgpr_kernarg_segment_ptr 1
		.amdhsa_user_sgpr_dispatch_id 0
		.amdhsa_user_sgpr_flat_scratch_init 0
		.amdhsa_user_sgpr_kernarg_preload_length 0
		.amdhsa_user_sgpr_kernarg_preload_offset 0
		.amdhsa_user_sgpr_private_segment_size 0
		.amdhsa_uses_dynamic_stack 0
		.amdhsa_system_sgpr_private_segment_wavefront_offset 0
		.amdhsa_system_sgpr_workgroup_id_x 1
		.amdhsa_system_sgpr_workgroup_id_y 0
		.amdhsa_system_sgpr_workgroup_id_z 0
		.amdhsa_system_sgpr_workgroup_info 0
		.amdhsa_system_vgpr_workitem_id 0
		.amdhsa_next_free_vgpr 1
		.amdhsa_next_free_sgpr 0
		.amdhsa_accum_offset 4
		.amdhsa_reserve_vcc 0
		.amdhsa_reserve_flat_scratch 0
		.amdhsa_float_round_mode_32 0
		.amdhsa_float_round_mode_16_64 0
		.amdhsa_float_denorm_mode_32 3
		.amdhsa_float_denorm_mode_16_64 3
		.amdhsa_dx10_clamp 1
		.amdhsa_ieee_mode 1
		.amdhsa_fp16_overflow 0
		.amdhsa_tg_split 0
		.amdhsa_exception_fp_ieee_invalid_op 0
		.amdhsa_exception_fp_denorm_src 0
		.amdhsa_exception_fp_ieee_div_zero 0
		.amdhsa_exception_fp_ieee_overflow 0
		.amdhsa_exception_fp_ieee_underflow 0
		.amdhsa_exception_fp_ieee_inexact 0
		.amdhsa_exception_int_div_zero 0
	.end_amdhsa_kernel
	.section	.text._ZN7rocprim17ROCPRIM_400000_NS6detail17trampoline_kernelINS0_14default_configENS1_35radix_sort_onesweep_config_selectorItNS0_10empty_typeEEEZZNS1_29radix_sort_onesweep_iterationIS3_Lb0EN6thrust23THRUST_200600_302600_NS6detail15normal_iteratorINS9_10device_ptrItEEEESE_PS5_SF_jNS0_19identity_decomposerENS1_16block_id_wrapperIjLb0EEEEE10hipError_tT1_PNSt15iterator_traitsISK_E10value_typeET2_T3_PNSL_ISQ_E10value_typeET4_T5_PSV_SW_PNS1_23onesweep_lookback_stateEbbT6_jjT7_P12ihipStream_tbENKUlT_T0_SK_SP_E_clISE_PtSF_SF_EEDaS13_S14_SK_SP_EUlS13_E_NS1_11comp_targetILNS1_3genE0ELNS1_11target_archE4294967295ELNS1_3gpuE0ELNS1_3repE0EEENS1_47radix_sort_onesweep_sort_config_static_selectorELNS0_4arch9wavefront6targetE1EEEvSK_,"axG",@progbits,_ZN7rocprim17ROCPRIM_400000_NS6detail17trampoline_kernelINS0_14default_configENS1_35radix_sort_onesweep_config_selectorItNS0_10empty_typeEEEZZNS1_29radix_sort_onesweep_iterationIS3_Lb0EN6thrust23THRUST_200600_302600_NS6detail15normal_iteratorINS9_10device_ptrItEEEESE_PS5_SF_jNS0_19identity_decomposerENS1_16block_id_wrapperIjLb0EEEEE10hipError_tT1_PNSt15iterator_traitsISK_E10value_typeET2_T3_PNSL_ISQ_E10value_typeET4_T5_PSV_SW_PNS1_23onesweep_lookback_stateEbbT6_jjT7_P12ihipStream_tbENKUlT_T0_SK_SP_E_clISE_PtSF_SF_EEDaS13_S14_SK_SP_EUlS13_E_NS1_11comp_targetILNS1_3genE0ELNS1_11target_archE4294967295ELNS1_3gpuE0ELNS1_3repE0EEENS1_47radix_sort_onesweep_sort_config_static_selectorELNS0_4arch9wavefront6targetE1EEEvSK_,comdat
.Lfunc_end1374:
	.size	_ZN7rocprim17ROCPRIM_400000_NS6detail17trampoline_kernelINS0_14default_configENS1_35radix_sort_onesweep_config_selectorItNS0_10empty_typeEEEZZNS1_29radix_sort_onesweep_iterationIS3_Lb0EN6thrust23THRUST_200600_302600_NS6detail15normal_iteratorINS9_10device_ptrItEEEESE_PS5_SF_jNS0_19identity_decomposerENS1_16block_id_wrapperIjLb0EEEEE10hipError_tT1_PNSt15iterator_traitsISK_E10value_typeET2_T3_PNSL_ISQ_E10value_typeET4_T5_PSV_SW_PNS1_23onesweep_lookback_stateEbbT6_jjT7_P12ihipStream_tbENKUlT_T0_SK_SP_E_clISE_PtSF_SF_EEDaS13_S14_SK_SP_EUlS13_E_NS1_11comp_targetILNS1_3genE0ELNS1_11target_archE4294967295ELNS1_3gpuE0ELNS1_3repE0EEENS1_47radix_sort_onesweep_sort_config_static_selectorELNS0_4arch9wavefront6targetE1EEEvSK_, .Lfunc_end1374-_ZN7rocprim17ROCPRIM_400000_NS6detail17trampoline_kernelINS0_14default_configENS1_35radix_sort_onesweep_config_selectorItNS0_10empty_typeEEEZZNS1_29radix_sort_onesweep_iterationIS3_Lb0EN6thrust23THRUST_200600_302600_NS6detail15normal_iteratorINS9_10device_ptrItEEEESE_PS5_SF_jNS0_19identity_decomposerENS1_16block_id_wrapperIjLb0EEEEE10hipError_tT1_PNSt15iterator_traitsISK_E10value_typeET2_T3_PNSL_ISQ_E10value_typeET4_T5_PSV_SW_PNS1_23onesweep_lookback_stateEbbT6_jjT7_P12ihipStream_tbENKUlT_T0_SK_SP_E_clISE_PtSF_SF_EEDaS13_S14_SK_SP_EUlS13_E_NS1_11comp_targetILNS1_3genE0ELNS1_11target_archE4294967295ELNS1_3gpuE0ELNS1_3repE0EEENS1_47radix_sort_onesweep_sort_config_static_selectorELNS0_4arch9wavefront6targetE1EEEvSK_
                                        ; -- End function
	.section	.AMDGPU.csdata,"",@progbits
; Kernel info:
; codeLenInByte = 0
; NumSgprs: 4
; NumVgprs: 0
; NumAgprs: 0
; TotalNumVgprs: 0
; ScratchSize: 0
; MemoryBound: 0
; FloatMode: 240
; IeeeMode: 1
; LDSByteSize: 0 bytes/workgroup (compile time only)
; SGPRBlocks: 0
; VGPRBlocks: 0
; NumSGPRsForWavesPerEU: 4
; NumVGPRsForWavesPerEU: 1
; AccumOffset: 4
; Occupancy: 8
; WaveLimiterHint : 0
; COMPUTE_PGM_RSRC2:SCRATCH_EN: 0
; COMPUTE_PGM_RSRC2:USER_SGPR: 6
; COMPUTE_PGM_RSRC2:TRAP_HANDLER: 0
; COMPUTE_PGM_RSRC2:TGID_X_EN: 1
; COMPUTE_PGM_RSRC2:TGID_Y_EN: 0
; COMPUTE_PGM_RSRC2:TGID_Z_EN: 0
; COMPUTE_PGM_RSRC2:TIDIG_COMP_CNT: 0
; COMPUTE_PGM_RSRC3_GFX90A:ACCUM_OFFSET: 0
; COMPUTE_PGM_RSRC3_GFX90A:TG_SPLIT: 0
	.section	.text._ZN7rocprim17ROCPRIM_400000_NS6detail17trampoline_kernelINS0_14default_configENS1_35radix_sort_onesweep_config_selectorItNS0_10empty_typeEEEZZNS1_29radix_sort_onesweep_iterationIS3_Lb0EN6thrust23THRUST_200600_302600_NS6detail15normal_iteratorINS9_10device_ptrItEEEESE_PS5_SF_jNS0_19identity_decomposerENS1_16block_id_wrapperIjLb0EEEEE10hipError_tT1_PNSt15iterator_traitsISK_E10value_typeET2_T3_PNSL_ISQ_E10value_typeET4_T5_PSV_SW_PNS1_23onesweep_lookback_stateEbbT6_jjT7_P12ihipStream_tbENKUlT_T0_SK_SP_E_clISE_PtSF_SF_EEDaS13_S14_SK_SP_EUlS13_E_NS1_11comp_targetILNS1_3genE6ELNS1_11target_archE950ELNS1_3gpuE13ELNS1_3repE0EEENS1_47radix_sort_onesweep_sort_config_static_selectorELNS0_4arch9wavefront6targetE1EEEvSK_,"axG",@progbits,_ZN7rocprim17ROCPRIM_400000_NS6detail17trampoline_kernelINS0_14default_configENS1_35radix_sort_onesweep_config_selectorItNS0_10empty_typeEEEZZNS1_29radix_sort_onesweep_iterationIS3_Lb0EN6thrust23THRUST_200600_302600_NS6detail15normal_iteratorINS9_10device_ptrItEEEESE_PS5_SF_jNS0_19identity_decomposerENS1_16block_id_wrapperIjLb0EEEEE10hipError_tT1_PNSt15iterator_traitsISK_E10value_typeET2_T3_PNSL_ISQ_E10value_typeET4_T5_PSV_SW_PNS1_23onesweep_lookback_stateEbbT6_jjT7_P12ihipStream_tbENKUlT_T0_SK_SP_E_clISE_PtSF_SF_EEDaS13_S14_SK_SP_EUlS13_E_NS1_11comp_targetILNS1_3genE6ELNS1_11target_archE950ELNS1_3gpuE13ELNS1_3repE0EEENS1_47radix_sort_onesweep_sort_config_static_selectorELNS0_4arch9wavefront6targetE1EEEvSK_,comdat
	.protected	_ZN7rocprim17ROCPRIM_400000_NS6detail17trampoline_kernelINS0_14default_configENS1_35radix_sort_onesweep_config_selectorItNS0_10empty_typeEEEZZNS1_29radix_sort_onesweep_iterationIS3_Lb0EN6thrust23THRUST_200600_302600_NS6detail15normal_iteratorINS9_10device_ptrItEEEESE_PS5_SF_jNS0_19identity_decomposerENS1_16block_id_wrapperIjLb0EEEEE10hipError_tT1_PNSt15iterator_traitsISK_E10value_typeET2_T3_PNSL_ISQ_E10value_typeET4_T5_PSV_SW_PNS1_23onesweep_lookback_stateEbbT6_jjT7_P12ihipStream_tbENKUlT_T0_SK_SP_E_clISE_PtSF_SF_EEDaS13_S14_SK_SP_EUlS13_E_NS1_11comp_targetILNS1_3genE6ELNS1_11target_archE950ELNS1_3gpuE13ELNS1_3repE0EEENS1_47radix_sort_onesweep_sort_config_static_selectorELNS0_4arch9wavefront6targetE1EEEvSK_ ; -- Begin function _ZN7rocprim17ROCPRIM_400000_NS6detail17trampoline_kernelINS0_14default_configENS1_35radix_sort_onesweep_config_selectorItNS0_10empty_typeEEEZZNS1_29radix_sort_onesweep_iterationIS3_Lb0EN6thrust23THRUST_200600_302600_NS6detail15normal_iteratorINS9_10device_ptrItEEEESE_PS5_SF_jNS0_19identity_decomposerENS1_16block_id_wrapperIjLb0EEEEE10hipError_tT1_PNSt15iterator_traitsISK_E10value_typeET2_T3_PNSL_ISQ_E10value_typeET4_T5_PSV_SW_PNS1_23onesweep_lookback_stateEbbT6_jjT7_P12ihipStream_tbENKUlT_T0_SK_SP_E_clISE_PtSF_SF_EEDaS13_S14_SK_SP_EUlS13_E_NS1_11comp_targetILNS1_3genE6ELNS1_11target_archE950ELNS1_3gpuE13ELNS1_3repE0EEENS1_47radix_sort_onesweep_sort_config_static_selectorELNS0_4arch9wavefront6targetE1EEEvSK_
	.globl	_ZN7rocprim17ROCPRIM_400000_NS6detail17trampoline_kernelINS0_14default_configENS1_35radix_sort_onesweep_config_selectorItNS0_10empty_typeEEEZZNS1_29radix_sort_onesweep_iterationIS3_Lb0EN6thrust23THRUST_200600_302600_NS6detail15normal_iteratorINS9_10device_ptrItEEEESE_PS5_SF_jNS0_19identity_decomposerENS1_16block_id_wrapperIjLb0EEEEE10hipError_tT1_PNSt15iterator_traitsISK_E10value_typeET2_T3_PNSL_ISQ_E10value_typeET4_T5_PSV_SW_PNS1_23onesweep_lookback_stateEbbT6_jjT7_P12ihipStream_tbENKUlT_T0_SK_SP_E_clISE_PtSF_SF_EEDaS13_S14_SK_SP_EUlS13_E_NS1_11comp_targetILNS1_3genE6ELNS1_11target_archE950ELNS1_3gpuE13ELNS1_3repE0EEENS1_47radix_sort_onesweep_sort_config_static_selectorELNS0_4arch9wavefront6targetE1EEEvSK_
	.p2align	8
	.type	_ZN7rocprim17ROCPRIM_400000_NS6detail17trampoline_kernelINS0_14default_configENS1_35radix_sort_onesweep_config_selectorItNS0_10empty_typeEEEZZNS1_29radix_sort_onesweep_iterationIS3_Lb0EN6thrust23THRUST_200600_302600_NS6detail15normal_iteratorINS9_10device_ptrItEEEESE_PS5_SF_jNS0_19identity_decomposerENS1_16block_id_wrapperIjLb0EEEEE10hipError_tT1_PNSt15iterator_traitsISK_E10value_typeET2_T3_PNSL_ISQ_E10value_typeET4_T5_PSV_SW_PNS1_23onesweep_lookback_stateEbbT6_jjT7_P12ihipStream_tbENKUlT_T0_SK_SP_E_clISE_PtSF_SF_EEDaS13_S14_SK_SP_EUlS13_E_NS1_11comp_targetILNS1_3genE6ELNS1_11target_archE950ELNS1_3gpuE13ELNS1_3repE0EEENS1_47radix_sort_onesweep_sort_config_static_selectorELNS0_4arch9wavefront6targetE1EEEvSK_,@function
_ZN7rocprim17ROCPRIM_400000_NS6detail17trampoline_kernelINS0_14default_configENS1_35radix_sort_onesweep_config_selectorItNS0_10empty_typeEEEZZNS1_29radix_sort_onesweep_iterationIS3_Lb0EN6thrust23THRUST_200600_302600_NS6detail15normal_iteratorINS9_10device_ptrItEEEESE_PS5_SF_jNS0_19identity_decomposerENS1_16block_id_wrapperIjLb0EEEEE10hipError_tT1_PNSt15iterator_traitsISK_E10value_typeET2_T3_PNSL_ISQ_E10value_typeET4_T5_PSV_SW_PNS1_23onesweep_lookback_stateEbbT6_jjT7_P12ihipStream_tbENKUlT_T0_SK_SP_E_clISE_PtSF_SF_EEDaS13_S14_SK_SP_EUlS13_E_NS1_11comp_targetILNS1_3genE6ELNS1_11target_archE950ELNS1_3gpuE13ELNS1_3repE0EEENS1_47radix_sort_onesweep_sort_config_static_selectorELNS0_4arch9wavefront6targetE1EEEvSK_: ; @_ZN7rocprim17ROCPRIM_400000_NS6detail17trampoline_kernelINS0_14default_configENS1_35radix_sort_onesweep_config_selectorItNS0_10empty_typeEEEZZNS1_29radix_sort_onesweep_iterationIS3_Lb0EN6thrust23THRUST_200600_302600_NS6detail15normal_iteratorINS9_10device_ptrItEEEESE_PS5_SF_jNS0_19identity_decomposerENS1_16block_id_wrapperIjLb0EEEEE10hipError_tT1_PNSt15iterator_traitsISK_E10value_typeET2_T3_PNSL_ISQ_E10value_typeET4_T5_PSV_SW_PNS1_23onesweep_lookback_stateEbbT6_jjT7_P12ihipStream_tbENKUlT_T0_SK_SP_E_clISE_PtSF_SF_EEDaS13_S14_SK_SP_EUlS13_E_NS1_11comp_targetILNS1_3genE6ELNS1_11target_archE950ELNS1_3gpuE13ELNS1_3repE0EEENS1_47radix_sort_onesweep_sort_config_static_selectorELNS0_4arch9wavefront6targetE1EEEvSK_
; %bb.0:
	.section	.rodata,"a",@progbits
	.p2align	6, 0x0
	.amdhsa_kernel _ZN7rocprim17ROCPRIM_400000_NS6detail17trampoline_kernelINS0_14default_configENS1_35radix_sort_onesweep_config_selectorItNS0_10empty_typeEEEZZNS1_29radix_sort_onesweep_iterationIS3_Lb0EN6thrust23THRUST_200600_302600_NS6detail15normal_iteratorINS9_10device_ptrItEEEESE_PS5_SF_jNS0_19identity_decomposerENS1_16block_id_wrapperIjLb0EEEEE10hipError_tT1_PNSt15iterator_traitsISK_E10value_typeET2_T3_PNSL_ISQ_E10value_typeET4_T5_PSV_SW_PNS1_23onesweep_lookback_stateEbbT6_jjT7_P12ihipStream_tbENKUlT_T0_SK_SP_E_clISE_PtSF_SF_EEDaS13_S14_SK_SP_EUlS13_E_NS1_11comp_targetILNS1_3genE6ELNS1_11target_archE950ELNS1_3gpuE13ELNS1_3repE0EEENS1_47radix_sort_onesweep_sort_config_static_selectorELNS0_4arch9wavefront6targetE1EEEvSK_
		.amdhsa_group_segment_fixed_size 0
		.amdhsa_private_segment_fixed_size 0
		.amdhsa_kernarg_size 88
		.amdhsa_user_sgpr_count 6
		.amdhsa_user_sgpr_private_segment_buffer 1
		.amdhsa_user_sgpr_dispatch_ptr 0
		.amdhsa_user_sgpr_queue_ptr 0
		.amdhsa_user_sgpr_kernarg_segment_ptr 1
		.amdhsa_user_sgpr_dispatch_id 0
		.amdhsa_user_sgpr_flat_scratch_init 0
		.amdhsa_user_sgpr_kernarg_preload_length 0
		.amdhsa_user_sgpr_kernarg_preload_offset 0
		.amdhsa_user_sgpr_private_segment_size 0
		.amdhsa_uses_dynamic_stack 0
		.amdhsa_system_sgpr_private_segment_wavefront_offset 0
		.amdhsa_system_sgpr_workgroup_id_x 1
		.amdhsa_system_sgpr_workgroup_id_y 0
		.amdhsa_system_sgpr_workgroup_id_z 0
		.amdhsa_system_sgpr_workgroup_info 0
		.amdhsa_system_vgpr_workitem_id 0
		.amdhsa_next_free_vgpr 1
		.amdhsa_next_free_sgpr 0
		.amdhsa_accum_offset 4
		.amdhsa_reserve_vcc 0
		.amdhsa_reserve_flat_scratch 0
		.amdhsa_float_round_mode_32 0
		.amdhsa_float_round_mode_16_64 0
		.amdhsa_float_denorm_mode_32 3
		.amdhsa_float_denorm_mode_16_64 3
		.amdhsa_dx10_clamp 1
		.amdhsa_ieee_mode 1
		.amdhsa_fp16_overflow 0
		.amdhsa_tg_split 0
		.amdhsa_exception_fp_ieee_invalid_op 0
		.amdhsa_exception_fp_denorm_src 0
		.amdhsa_exception_fp_ieee_div_zero 0
		.amdhsa_exception_fp_ieee_overflow 0
		.amdhsa_exception_fp_ieee_underflow 0
		.amdhsa_exception_fp_ieee_inexact 0
		.amdhsa_exception_int_div_zero 0
	.end_amdhsa_kernel
	.section	.text._ZN7rocprim17ROCPRIM_400000_NS6detail17trampoline_kernelINS0_14default_configENS1_35radix_sort_onesweep_config_selectorItNS0_10empty_typeEEEZZNS1_29radix_sort_onesweep_iterationIS3_Lb0EN6thrust23THRUST_200600_302600_NS6detail15normal_iteratorINS9_10device_ptrItEEEESE_PS5_SF_jNS0_19identity_decomposerENS1_16block_id_wrapperIjLb0EEEEE10hipError_tT1_PNSt15iterator_traitsISK_E10value_typeET2_T3_PNSL_ISQ_E10value_typeET4_T5_PSV_SW_PNS1_23onesweep_lookback_stateEbbT6_jjT7_P12ihipStream_tbENKUlT_T0_SK_SP_E_clISE_PtSF_SF_EEDaS13_S14_SK_SP_EUlS13_E_NS1_11comp_targetILNS1_3genE6ELNS1_11target_archE950ELNS1_3gpuE13ELNS1_3repE0EEENS1_47radix_sort_onesweep_sort_config_static_selectorELNS0_4arch9wavefront6targetE1EEEvSK_,"axG",@progbits,_ZN7rocprim17ROCPRIM_400000_NS6detail17trampoline_kernelINS0_14default_configENS1_35radix_sort_onesweep_config_selectorItNS0_10empty_typeEEEZZNS1_29radix_sort_onesweep_iterationIS3_Lb0EN6thrust23THRUST_200600_302600_NS6detail15normal_iteratorINS9_10device_ptrItEEEESE_PS5_SF_jNS0_19identity_decomposerENS1_16block_id_wrapperIjLb0EEEEE10hipError_tT1_PNSt15iterator_traitsISK_E10value_typeET2_T3_PNSL_ISQ_E10value_typeET4_T5_PSV_SW_PNS1_23onesweep_lookback_stateEbbT6_jjT7_P12ihipStream_tbENKUlT_T0_SK_SP_E_clISE_PtSF_SF_EEDaS13_S14_SK_SP_EUlS13_E_NS1_11comp_targetILNS1_3genE6ELNS1_11target_archE950ELNS1_3gpuE13ELNS1_3repE0EEENS1_47radix_sort_onesweep_sort_config_static_selectorELNS0_4arch9wavefront6targetE1EEEvSK_,comdat
.Lfunc_end1375:
	.size	_ZN7rocprim17ROCPRIM_400000_NS6detail17trampoline_kernelINS0_14default_configENS1_35radix_sort_onesweep_config_selectorItNS0_10empty_typeEEEZZNS1_29radix_sort_onesweep_iterationIS3_Lb0EN6thrust23THRUST_200600_302600_NS6detail15normal_iteratorINS9_10device_ptrItEEEESE_PS5_SF_jNS0_19identity_decomposerENS1_16block_id_wrapperIjLb0EEEEE10hipError_tT1_PNSt15iterator_traitsISK_E10value_typeET2_T3_PNSL_ISQ_E10value_typeET4_T5_PSV_SW_PNS1_23onesweep_lookback_stateEbbT6_jjT7_P12ihipStream_tbENKUlT_T0_SK_SP_E_clISE_PtSF_SF_EEDaS13_S14_SK_SP_EUlS13_E_NS1_11comp_targetILNS1_3genE6ELNS1_11target_archE950ELNS1_3gpuE13ELNS1_3repE0EEENS1_47radix_sort_onesweep_sort_config_static_selectorELNS0_4arch9wavefront6targetE1EEEvSK_, .Lfunc_end1375-_ZN7rocprim17ROCPRIM_400000_NS6detail17trampoline_kernelINS0_14default_configENS1_35radix_sort_onesweep_config_selectorItNS0_10empty_typeEEEZZNS1_29radix_sort_onesweep_iterationIS3_Lb0EN6thrust23THRUST_200600_302600_NS6detail15normal_iteratorINS9_10device_ptrItEEEESE_PS5_SF_jNS0_19identity_decomposerENS1_16block_id_wrapperIjLb0EEEEE10hipError_tT1_PNSt15iterator_traitsISK_E10value_typeET2_T3_PNSL_ISQ_E10value_typeET4_T5_PSV_SW_PNS1_23onesweep_lookback_stateEbbT6_jjT7_P12ihipStream_tbENKUlT_T0_SK_SP_E_clISE_PtSF_SF_EEDaS13_S14_SK_SP_EUlS13_E_NS1_11comp_targetILNS1_3genE6ELNS1_11target_archE950ELNS1_3gpuE13ELNS1_3repE0EEENS1_47radix_sort_onesweep_sort_config_static_selectorELNS0_4arch9wavefront6targetE1EEEvSK_
                                        ; -- End function
	.section	.AMDGPU.csdata,"",@progbits
; Kernel info:
; codeLenInByte = 0
; NumSgprs: 4
; NumVgprs: 0
; NumAgprs: 0
; TotalNumVgprs: 0
; ScratchSize: 0
; MemoryBound: 0
; FloatMode: 240
; IeeeMode: 1
; LDSByteSize: 0 bytes/workgroup (compile time only)
; SGPRBlocks: 0
; VGPRBlocks: 0
; NumSGPRsForWavesPerEU: 4
; NumVGPRsForWavesPerEU: 1
; AccumOffset: 4
; Occupancy: 8
; WaveLimiterHint : 0
; COMPUTE_PGM_RSRC2:SCRATCH_EN: 0
; COMPUTE_PGM_RSRC2:USER_SGPR: 6
; COMPUTE_PGM_RSRC2:TRAP_HANDLER: 0
; COMPUTE_PGM_RSRC2:TGID_X_EN: 1
; COMPUTE_PGM_RSRC2:TGID_Y_EN: 0
; COMPUTE_PGM_RSRC2:TGID_Z_EN: 0
; COMPUTE_PGM_RSRC2:TIDIG_COMP_CNT: 0
; COMPUTE_PGM_RSRC3_GFX90A:ACCUM_OFFSET: 0
; COMPUTE_PGM_RSRC3_GFX90A:TG_SPLIT: 0
	.section	.text._ZN7rocprim17ROCPRIM_400000_NS6detail17trampoline_kernelINS0_14default_configENS1_35radix_sort_onesweep_config_selectorItNS0_10empty_typeEEEZZNS1_29radix_sort_onesweep_iterationIS3_Lb0EN6thrust23THRUST_200600_302600_NS6detail15normal_iteratorINS9_10device_ptrItEEEESE_PS5_SF_jNS0_19identity_decomposerENS1_16block_id_wrapperIjLb0EEEEE10hipError_tT1_PNSt15iterator_traitsISK_E10value_typeET2_T3_PNSL_ISQ_E10value_typeET4_T5_PSV_SW_PNS1_23onesweep_lookback_stateEbbT6_jjT7_P12ihipStream_tbENKUlT_T0_SK_SP_E_clISE_PtSF_SF_EEDaS13_S14_SK_SP_EUlS13_E_NS1_11comp_targetILNS1_3genE5ELNS1_11target_archE942ELNS1_3gpuE9ELNS1_3repE0EEENS1_47radix_sort_onesweep_sort_config_static_selectorELNS0_4arch9wavefront6targetE1EEEvSK_,"axG",@progbits,_ZN7rocprim17ROCPRIM_400000_NS6detail17trampoline_kernelINS0_14default_configENS1_35radix_sort_onesweep_config_selectorItNS0_10empty_typeEEEZZNS1_29radix_sort_onesweep_iterationIS3_Lb0EN6thrust23THRUST_200600_302600_NS6detail15normal_iteratorINS9_10device_ptrItEEEESE_PS5_SF_jNS0_19identity_decomposerENS1_16block_id_wrapperIjLb0EEEEE10hipError_tT1_PNSt15iterator_traitsISK_E10value_typeET2_T3_PNSL_ISQ_E10value_typeET4_T5_PSV_SW_PNS1_23onesweep_lookback_stateEbbT6_jjT7_P12ihipStream_tbENKUlT_T0_SK_SP_E_clISE_PtSF_SF_EEDaS13_S14_SK_SP_EUlS13_E_NS1_11comp_targetILNS1_3genE5ELNS1_11target_archE942ELNS1_3gpuE9ELNS1_3repE0EEENS1_47radix_sort_onesweep_sort_config_static_selectorELNS0_4arch9wavefront6targetE1EEEvSK_,comdat
	.protected	_ZN7rocprim17ROCPRIM_400000_NS6detail17trampoline_kernelINS0_14default_configENS1_35radix_sort_onesweep_config_selectorItNS0_10empty_typeEEEZZNS1_29radix_sort_onesweep_iterationIS3_Lb0EN6thrust23THRUST_200600_302600_NS6detail15normal_iteratorINS9_10device_ptrItEEEESE_PS5_SF_jNS0_19identity_decomposerENS1_16block_id_wrapperIjLb0EEEEE10hipError_tT1_PNSt15iterator_traitsISK_E10value_typeET2_T3_PNSL_ISQ_E10value_typeET4_T5_PSV_SW_PNS1_23onesweep_lookback_stateEbbT6_jjT7_P12ihipStream_tbENKUlT_T0_SK_SP_E_clISE_PtSF_SF_EEDaS13_S14_SK_SP_EUlS13_E_NS1_11comp_targetILNS1_3genE5ELNS1_11target_archE942ELNS1_3gpuE9ELNS1_3repE0EEENS1_47radix_sort_onesweep_sort_config_static_selectorELNS0_4arch9wavefront6targetE1EEEvSK_ ; -- Begin function _ZN7rocprim17ROCPRIM_400000_NS6detail17trampoline_kernelINS0_14default_configENS1_35radix_sort_onesweep_config_selectorItNS0_10empty_typeEEEZZNS1_29radix_sort_onesweep_iterationIS3_Lb0EN6thrust23THRUST_200600_302600_NS6detail15normal_iteratorINS9_10device_ptrItEEEESE_PS5_SF_jNS0_19identity_decomposerENS1_16block_id_wrapperIjLb0EEEEE10hipError_tT1_PNSt15iterator_traitsISK_E10value_typeET2_T3_PNSL_ISQ_E10value_typeET4_T5_PSV_SW_PNS1_23onesweep_lookback_stateEbbT6_jjT7_P12ihipStream_tbENKUlT_T0_SK_SP_E_clISE_PtSF_SF_EEDaS13_S14_SK_SP_EUlS13_E_NS1_11comp_targetILNS1_3genE5ELNS1_11target_archE942ELNS1_3gpuE9ELNS1_3repE0EEENS1_47radix_sort_onesweep_sort_config_static_selectorELNS0_4arch9wavefront6targetE1EEEvSK_
	.globl	_ZN7rocprim17ROCPRIM_400000_NS6detail17trampoline_kernelINS0_14default_configENS1_35radix_sort_onesweep_config_selectorItNS0_10empty_typeEEEZZNS1_29radix_sort_onesweep_iterationIS3_Lb0EN6thrust23THRUST_200600_302600_NS6detail15normal_iteratorINS9_10device_ptrItEEEESE_PS5_SF_jNS0_19identity_decomposerENS1_16block_id_wrapperIjLb0EEEEE10hipError_tT1_PNSt15iterator_traitsISK_E10value_typeET2_T3_PNSL_ISQ_E10value_typeET4_T5_PSV_SW_PNS1_23onesweep_lookback_stateEbbT6_jjT7_P12ihipStream_tbENKUlT_T0_SK_SP_E_clISE_PtSF_SF_EEDaS13_S14_SK_SP_EUlS13_E_NS1_11comp_targetILNS1_3genE5ELNS1_11target_archE942ELNS1_3gpuE9ELNS1_3repE0EEENS1_47radix_sort_onesweep_sort_config_static_selectorELNS0_4arch9wavefront6targetE1EEEvSK_
	.p2align	8
	.type	_ZN7rocprim17ROCPRIM_400000_NS6detail17trampoline_kernelINS0_14default_configENS1_35radix_sort_onesweep_config_selectorItNS0_10empty_typeEEEZZNS1_29radix_sort_onesweep_iterationIS3_Lb0EN6thrust23THRUST_200600_302600_NS6detail15normal_iteratorINS9_10device_ptrItEEEESE_PS5_SF_jNS0_19identity_decomposerENS1_16block_id_wrapperIjLb0EEEEE10hipError_tT1_PNSt15iterator_traitsISK_E10value_typeET2_T3_PNSL_ISQ_E10value_typeET4_T5_PSV_SW_PNS1_23onesweep_lookback_stateEbbT6_jjT7_P12ihipStream_tbENKUlT_T0_SK_SP_E_clISE_PtSF_SF_EEDaS13_S14_SK_SP_EUlS13_E_NS1_11comp_targetILNS1_3genE5ELNS1_11target_archE942ELNS1_3gpuE9ELNS1_3repE0EEENS1_47radix_sort_onesweep_sort_config_static_selectorELNS0_4arch9wavefront6targetE1EEEvSK_,@function
_ZN7rocprim17ROCPRIM_400000_NS6detail17trampoline_kernelINS0_14default_configENS1_35radix_sort_onesweep_config_selectorItNS0_10empty_typeEEEZZNS1_29radix_sort_onesweep_iterationIS3_Lb0EN6thrust23THRUST_200600_302600_NS6detail15normal_iteratorINS9_10device_ptrItEEEESE_PS5_SF_jNS0_19identity_decomposerENS1_16block_id_wrapperIjLb0EEEEE10hipError_tT1_PNSt15iterator_traitsISK_E10value_typeET2_T3_PNSL_ISQ_E10value_typeET4_T5_PSV_SW_PNS1_23onesweep_lookback_stateEbbT6_jjT7_P12ihipStream_tbENKUlT_T0_SK_SP_E_clISE_PtSF_SF_EEDaS13_S14_SK_SP_EUlS13_E_NS1_11comp_targetILNS1_3genE5ELNS1_11target_archE942ELNS1_3gpuE9ELNS1_3repE0EEENS1_47radix_sort_onesweep_sort_config_static_selectorELNS0_4arch9wavefront6targetE1EEEvSK_: ; @_ZN7rocprim17ROCPRIM_400000_NS6detail17trampoline_kernelINS0_14default_configENS1_35radix_sort_onesweep_config_selectorItNS0_10empty_typeEEEZZNS1_29radix_sort_onesweep_iterationIS3_Lb0EN6thrust23THRUST_200600_302600_NS6detail15normal_iteratorINS9_10device_ptrItEEEESE_PS5_SF_jNS0_19identity_decomposerENS1_16block_id_wrapperIjLb0EEEEE10hipError_tT1_PNSt15iterator_traitsISK_E10value_typeET2_T3_PNSL_ISQ_E10value_typeET4_T5_PSV_SW_PNS1_23onesweep_lookback_stateEbbT6_jjT7_P12ihipStream_tbENKUlT_T0_SK_SP_E_clISE_PtSF_SF_EEDaS13_S14_SK_SP_EUlS13_E_NS1_11comp_targetILNS1_3genE5ELNS1_11target_archE942ELNS1_3gpuE9ELNS1_3repE0EEENS1_47radix_sort_onesweep_sort_config_static_selectorELNS0_4arch9wavefront6targetE1EEEvSK_
; %bb.0:
	.section	.rodata,"a",@progbits
	.p2align	6, 0x0
	.amdhsa_kernel _ZN7rocprim17ROCPRIM_400000_NS6detail17trampoline_kernelINS0_14default_configENS1_35radix_sort_onesweep_config_selectorItNS0_10empty_typeEEEZZNS1_29radix_sort_onesweep_iterationIS3_Lb0EN6thrust23THRUST_200600_302600_NS6detail15normal_iteratorINS9_10device_ptrItEEEESE_PS5_SF_jNS0_19identity_decomposerENS1_16block_id_wrapperIjLb0EEEEE10hipError_tT1_PNSt15iterator_traitsISK_E10value_typeET2_T3_PNSL_ISQ_E10value_typeET4_T5_PSV_SW_PNS1_23onesweep_lookback_stateEbbT6_jjT7_P12ihipStream_tbENKUlT_T0_SK_SP_E_clISE_PtSF_SF_EEDaS13_S14_SK_SP_EUlS13_E_NS1_11comp_targetILNS1_3genE5ELNS1_11target_archE942ELNS1_3gpuE9ELNS1_3repE0EEENS1_47radix_sort_onesweep_sort_config_static_selectorELNS0_4arch9wavefront6targetE1EEEvSK_
		.amdhsa_group_segment_fixed_size 0
		.amdhsa_private_segment_fixed_size 0
		.amdhsa_kernarg_size 88
		.amdhsa_user_sgpr_count 6
		.amdhsa_user_sgpr_private_segment_buffer 1
		.amdhsa_user_sgpr_dispatch_ptr 0
		.amdhsa_user_sgpr_queue_ptr 0
		.amdhsa_user_sgpr_kernarg_segment_ptr 1
		.amdhsa_user_sgpr_dispatch_id 0
		.amdhsa_user_sgpr_flat_scratch_init 0
		.amdhsa_user_sgpr_kernarg_preload_length 0
		.amdhsa_user_sgpr_kernarg_preload_offset 0
		.amdhsa_user_sgpr_private_segment_size 0
		.amdhsa_uses_dynamic_stack 0
		.amdhsa_system_sgpr_private_segment_wavefront_offset 0
		.amdhsa_system_sgpr_workgroup_id_x 1
		.amdhsa_system_sgpr_workgroup_id_y 0
		.amdhsa_system_sgpr_workgroup_id_z 0
		.amdhsa_system_sgpr_workgroup_info 0
		.amdhsa_system_vgpr_workitem_id 0
		.amdhsa_next_free_vgpr 1
		.amdhsa_next_free_sgpr 0
		.amdhsa_accum_offset 4
		.amdhsa_reserve_vcc 0
		.amdhsa_reserve_flat_scratch 0
		.amdhsa_float_round_mode_32 0
		.amdhsa_float_round_mode_16_64 0
		.amdhsa_float_denorm_mode_32 3
		.amdhsa_float_denorm_mode_16_64 3
		.amdhsa_dx10_clamp 1
		.amdhsa_ieee_mode 1
		.amdhsa_fp16_overflow 0
		.amdhsa_tg_split 0
		.amdhsa_exception_fp_ieee_invalid_op 0
		.amdhsa_exception_fp_denorm_src 0
		.amdhsa_exception_fp_ieee_div_zero 0
		.amdhsa_exception_fp_ieee_overflow 0
		.amdhsa_exception_fp_ieee_underflow 0
		.amdhsa_exception_fp_ieee_inexact 0
		.amdhsa_exception_int_div_zero 0
	.end_amdhsa_kernel
	.section	.text._ZN7rocprim17ROCPRIM_400000_NS6detail17trampoline_kernelINS0_14default_configENS1_35radix_sort_onesweep_config_selectorItNS0_10empty_typeEEEZZNS1_29radix_sort_onesweep_iterationIS3_Lb0EN6thrust23THRUST_200600_302600_NS6detail15normal_iteratorINS9_10device_ptrItEEEESE_PS5_SF_jNS0_19identity_decomposerENS1_16block_id_wrapperIjLb0EEEEE10hipError_tT1_PNSt15iterator_traitsISK_E10value_typeET2_T3_PNSL_ISQ_E10value_typeET4_T5_PSV_SW_PNS1_23onesweep_lookback_stateEbbT6_jjT7_P12ihipStream_tbENKUlT_T0_SK_SP_E_clISE_PtSF_SF_EEDaS13_S14_SK_SP_EUlS13_E_NS1_11comp_targetILNS1_3genE5ELNS1_11target_archE942ELNS1_3gpuE9ELNS1_3repE0EEENS1_47radix_sort_onesweep_sort_config_static_selectorELNS0_4arch9wavefront6targetE1EEEvSK_,"axG",@progbits,_ZN7rocprim17ROCPRIM_400000_NS6detail17trampoline_kernelINS0_14default_configENS1_35radix_sort_onesweep_config_selectorItNS0_10empty_typeEEEZZNS1_29radix_sort_onesweep_iterationIS3_Lb0EN6thrust23THRUST_200600_302600_NS6detail15normal_iteratorINS9_10device_ptrItEEEESE_PS5_SF_jNS0_19identity_decomposerENS1_16block_id_wrapperIjLb0EEEEE10hipError_tT1_PNSt15iterator_traitsISK_E10value_typeET2_T3_PNSL_ISQ_E10value_typeET4_T5_PSV_SW_PNS1_23onesweep_lookback_stateEbbT6_jjT7_P12ihipStream_tbENKUlT_T0_SK_SP_E_clISE_PtSF_SF_EEDaS13_S14_SK_SP_EUlS13_E_NS1_11comp_targetILNS1_3genE5ELNS1_11target_archE942ELNS1_3gpuE9ELNS1_3repE0EEENS1_47radix_sort_onesweep_sort_config_static_selectorELNS0_4arch9wavefront6targetE1EEEvSK_,comdat
.Lfunc_end1376:
	.size	_ZN7rocprim17ROCPRIM_400000_NS6detail17trampoline_kernelINS0_14default_configENS1_35radix_sort_onesweep_config_selectorItNS0_10empty_typeEEEZZNS1_29radix_sort_onesweep_iterationIS3_Lb0EN6thrust23THRUST_200600_302600_NS6detail15normal_iteratorINS9_10device_ptrItEEEESE_PS5_SF_jNS0_19identity_decomposerENS1_16block_id_wrapperIjLb0EEEEE10hipError_tT1_PNSt15iterator_traitsISK_E10value_typeET2_T3_PNSL_ISQ_E10value_typeET4_T5_PSV_SW_PNS1_23onesweep_lookback_stateEbbT6_jjT7_P12ihipStream_tbENKUlT_T0_SK_SP_E_clISE_PtSF_SF_EEDaS13_S14_SK_SP_EUlS13_E_NS1_11comp_targetILNS1_3genE5ELNS1_11target_archE942ELNS1_3gpuE9ELNS1_3repE0EEENS1_47radix_sort_onesweep_sort_config_static_selectorELNS0_4arch9wavefront6targetE1EEEvSK_, .Lfunc_end1376-_ZN7rocprim17ROCPRIM_400000_NS6detail17trampoline_kernelINS0_14default_configENS1_35radix_sort_onesweep_config_selectorItNS0_10empty_typeEEEZZNS1_29radix_sort_onesweep_iterationIS3_Lb0EN6thrust23THRUST_200600_302600_NS6detail15normal_iteratorINS9_10device_ptrItEEEESE_PS5_SF_jNS0_19identity_decomposerENS1_16block_id_wrapperIjLb0EEEEE10hipError_tT1_PNSt15iterator_traitsISK_E10value_typeET2_T3_PNSL_ISQ_E10value_typeET4_T5_PSV_SW_PNS1_23onesweep_lookback_stateEbbT6_jjT7_P12ihipStream_tbENKUlT_T0_SK_SP_E_clISE_PtSF_SF_EEDaS13_S14_SK_SP_EUlS13_E_NS1_11comp_targetILNS1_3genE5ELNS1_11target_archE942ELNS1_3gpuE9ELNS1_3repE0EEENS1_47radix_sort_onesweep_sort_config_static_selectorELNS0_4arch9wavefront6targetE1EEEvSK_
                                        ; -- End function
	.section	.AMDGPU.csdata,"",@progbits
; Kernel info:
; codeLenInByte = 0
; NumSgprs: 4
; NumVgprs: 0
; NumAgprs: 0
; TotalNumVgprs: 0
; ScratchSize: 0
; MemoryBound: 0
; FloatMode: 240
; IeeeMode: 1
; LDSByteSize: 0 bytes/workgroup (compile time only)
; SGPRBlocks: 0
; VGPRBlocks: 0
; NumSGPRsForWavesPerEU: 4
; NumVGPRsForWavesPerEU: 1
; AccumOffset: 4
; Occupancy: 8
; WaveLimiterHint : 0
; COMPUTE_PGM_RSRC2:SCRATCH_EN: 0
; COMPUTE_PGM_RSRC2:USER_SGPR: 6
; COMPUTE_PGM_RSRC2:TRAP_HANDLER: 0
; COMPUTE_PGM_RSRC2:TGID_X_EN: 1
; COMPUTE_PGM_RSRC2:TGID_Y_EN: 0
; COMPUTE_PGM_RSRC2:TGID_Z_EN: 0
; COMPUTE_PGM_RSRC2:TIDIG_COMP_CNT: 0
; COMPUTE_PGM_RSRC3_GFX90A:ACCUM_OFFSET: 0
; COMPUTE_PGM_RSRC3_GFX90A:TG_SPLIT: 0
	.section	.text._ZN7rocprim17ROCPRIM_400000_NS6detail17trampoline_kernelINS0_14default_configENS1_35radix_sort_onesweep_config_selectorItNS0_10empty_typeEEEZZNS1_29radix_sort_onesweep_iterationIS3_Lb0EN6thrust23THRUST_200600_302600_NS6detail15normal_iteratorINS9_10device_ptrItEEEESE_PS5_SF_jNS0_19identity_decomposerENS1_16block_id_wrapperIjLb0EEEEE10hipError_tT1_PNSt15iterator_traitsISK_E10value_typeET2_T3_PNSL_ISQ_E10value_typeET4_T5_PSV_SW_PNS1_23onesweep_lookback_stateEbbT6_jjT7_P12ihipStream_tbENKUlT_T0_SK_SP_E_clISE_PtSF_SF_EEDaS13_S14_SK_SP_EUlS13_E_NS1_11comp_targetILNS1_3genE2ELNS1_11target_archE906ELNS1_3gpuE6ELNS1_3repE0EEENS1_47radix_sort_onesweep_sort_config_static_selectorELNS0_4arch9wavefront6targetE1EEEvSK_,"axG",@progbits,_ZN7rocprim17ROCPRIM_400000_NS6detail17trampoline_kernelINS0_14default_configENS1_35radix_sort_onesweep_config_selectorItNS0_10empty_typeEEEZZNS1_29radix_sort_onesweep_iterationIS3_Lb0EN6thrust23THRUST_200600_302600_NS6detail15normal_iteratorINS9_10device_ptrItEEEESE_PS5_SF_jNS0_19identity_decomposerENS1_16block_id_wrapperIjLb0EEEEE10hipError_tT1_PNSt15iterator_traitsISK_E10value_typeET2_T3_PNSL_ISQ_E10value_typeET4_T5_PSV_SW_PNS1_23onesweep_lookback_stateEbbT6_jjT7_P12ihipStream_tbENKUlT_T0_SK_SP_E_clISE_PtSF_SF_EEDaS13_S14_SK_SP_EUlS13_E_NS1_11comp_targetILNS1_3genE2ELNS1_11target_archE906ELNS1_3gpuE6ELNS1_3repE0EEENS1_47radix_sort_onesweep_sort_config_static_selectorELNS0_4arch9wavefront6targetE1EEEvSK_,comdat
	.protected	_ZN7rocprim17ROCPRIM_400000_NS6detail17trampoline_kernelINS0_14default_configENS1_35radix_sort_onesweep_config_selectorItNS0_10empty_typeEEEZZNS1_29radix_sort_onesweep_iterationIS3_Lb0EN6thrust23THRUST_200600_302600_NS6detail15normal_iteratorINS9_10device_ptrItEEEESE_PS5_SF_jNS0_19identity_decomposerENS1_16block_id_wrapperIjLb0EEEEE10hipError_tT1_PNSt15iterator_traitsISK_E10value_typeET2_T3_PNSL_ISQ_E10value_typeET4_T5_PSV_SW_PNS1_23onesweep_lookback_stateEbbT6_jjT7_P12ihipStream_tbENKUlT_T0_SK_SP_E_clISE_PtSF_SF_EEDaS13_S14_SK_SP_EUlS13_E_NS1_11comp_targetILNS1_3genE2ELNS1_11target_archE906ELNS1_3gpuE6ELNS1_3repE0EEENS1_47radix_sort_onesweep_sort_config_static_selectorELNS0_4arch9wavefront6targetE1EEEvSK_ ; -- Begin function _ZN7rocprim17ROCPRIM_400000_NS6detail17trampoline_kernelINS0_14default_configENS1_35radix_sort_onesweep_config_selectorItNS0_10empty_typeEEEZZNS1_29radix_sort_onesweep_iterationIS3_Lb0EN6thrust23THRUST_200600_302600_NS6detail15normal_iteratorINS9_10device_ptrItEEEESE_PS5_SF_jNS0_19identity_decomposerENS1_16block_id_wrapperIjLb0EEEEE10hipError_tT1_PNSt15iterator_traitsISK_E10value_typeET2_T3_PNSL_ISQ_E10value_typeET4_T5_PSV_SW_PNS1_23onesweep_lookback_stateEbbT6_jjT7_P12ihipStream_tbENKUlT_T0_SK_SP_E_clISE_PtSF_SF_EEDaS13_S14_SK_SP_EUlS13_E_NS1_11comp_targetILNS1_3genE2ELNS1_11target_archE906ELNS1_3gpuE6ELNS1_3repE0EEENS1_47radix_sort_onesweep_sort_config_static_selectorELNS0_4arch9wavefront6targetE1EEEvSK_
	.globl	_ZN7rocprim17ROCPRIM_400000_NS6detail17trampoline_kernelINS0_14default_configENS1_35radix_sort_onesweep_config_selectorItNS0_10empty_typeEEEZZNS1_29radix_sort_onesweep_iterationIS3_Lb0EN6thrust23THRUST_200600_302600_NS6detail15normal_iteratorINS9_10device_ptrItEEEESE_PS5_SF_jNS0_19identity_decomposerENS1_16block_id_wrapperIjLb0EEEEE10hipError_tT1_PNSt15iterator_traitsISK_E10value_typeET2_T3_PNSL_ISQ_E10value_typeET4_T5_PSV_SW_PNS1_23onesweep_lookback_stateEbbT6_jjT7_P12ihipStream_tbENKUlT_T0_SK_SP_E_clISE_PtSF_SF_EEDaS13_S14_SK_SP_EUlS13_E_NS1_11comp_targetILNS1_3genE2ELNS1_11target_archE906ELNS1_3gpuE6ELNS1_3repE0EEENS1_47radix_sort_onesweep_sort_config_static_selectorELNS0_4arch9wavefront6targetE1EEEvSK_
	.p2align	8
	.type	_ZN7rocprim17ROCPRIM_400000_NS6detail17trampoline_kernelINS0_14default_configENS1_35radix_sort_onesweep_config_selectorItNS0_10empty_typeEEEZZNS1_29radix_sort_onesweep_iterationIS3_Lb0EN6thrust23THRUST_200600_302600_NS6detail15normal_iteratorINS9_10device_ptrItEEEESE_PS5_SF_jNS0_19identity_decomposerENS1_16block_id_wrapperIjLb0EEEEE10hipError_tT1_PNSt15iterator_traitsISK_E10value_typeET2_T3_PNSL_ISQ_E10value_typeET4_T5_PSV_SW_PNS1_23onesweep_lookback_stateEbbT6_jjT7_P12ihipStream_tbENKUlT_T0_SK_SP_E_clISE_PtSF_SF_EEDaS13_S14_SK_SP_EUlS13_E_NS1_11comp_targetILNS1_3genE2ELNS1_11target_archE906ELNS1_3gpuE6ELNS1_3repE0EEENS1_47radix_sort_onesweep_sort_config_static_selectorELNS0_4arch9wavefront6targetE1EEEvSK_,@function
_ZN7rocprim17ROCPRIM_400000_NS6detail17trampoline_kernelINS0_14default_configENS1_35radix_sort_onesweep_config_selectorItNS0_10empty_typeEEEZZNS1_29radix_sort_onesweep_iterationIS3_Lb0EN6thrust23THRUST_200600_302600_NS6detail15normal_iteratorINS9_10device_ptrItEEEESE_PS5_SF_jNS0_19identity_decomposerENS1_16block_id_wrapperIjLb0EEEEE10hipError_tT1_PNSt15iterator_traitsISK_E10value_typeET2_T3_PNSL_ISQ_E10value_typeET4_T5_PSV_SW_PNS1_23onesweep_lookback_stateEbbT6_jjT7_P12ihipStream_tbENKUlT_T0_SK_SP_E_clISE_PtSF_SF_EEDaS13_S14_SK_SP_EUlS13_E_NS1_11comp_targetILNS1_3genE2ELNS1_11target_archE906ELNS1_3gpuE6ELNS1_3repE0EEENS1_47radix_sort_onesweep_sort_config_static_selectorELNS0_4arch9wavefront6targetE1EEEvSK_: ; @_ZN7rocprim17ROCPRIM_400000_NS6detail17trampoline_kernelINS0_14default_configENS1_35radix_sort_onesweep_config_selectorItNS0_10empty_typeEEEZZNS1_29radix_sort_onesweep_iterationIS3_Lb0EN6thrust23THRUST_200600_302600_NS6detail15normal_iteratorINS9_10device_ptrItEEEESE_PS5_SF_jNS0_19identity_decomposerENS1_16block_id_wrapperIjLb0EEEEE10hipError_tT1_PNSt15iterator_traitsISK_E10value_typeET2_T3_PNSL_ISQ_E10value_typeET4_T5_PSV_SW_PNS1_23onesweep_lookback_stateEbbT6_jjT7_P12ihipStream_tbENKUlT_T0_SK_SP_E_clISE_PtSF_SF_EEDaS13_S14_SK_SP_EUlS13_E_NS1_11comp_targetILNS1_3genE2ELNS1_11target_archE906ELNS1_3gpuE6ELNS1_3repE0EEENS1_47radix_sort_onesweep_sort_config_static_selectorELNS0_4arch9wavefront6targetE1EEEvSK_
; %bb.0:
	.section	.rodata,"a",@progbits
	.p2align	6, 0x0
	.amdhsa_kernel _ZN7rocprim17ROCPRIM_400000_NS6detail17trampoline_kernelINS0_14default_configENS1_35radix_sort_onesweep_config_selectorItNS0_10empty_typeEEEZZNS1_29radix_sort_onesweep_iterationIS3_Lb0EN6thrust23THRUST_200600_302600_NS6detail15normal_iteratorINS9_10device_ptrItEEEESE_PS5_SF_jNS0_19identity_decomposerENS1_16block_id_wrapperIjLb0EEEEE10hipError_tT1_PNSt15iterator_traitsISK_E10value_typeET2_T3_PNSL_ISQ_E10value_typeET4_T5_PSV_SW_PNS1_23onesweep_lookback_stateEbbT6_jjT7_P12ihipStream_tbENKUlT_T0_SK_SP_E_clISE_PtSF_SF_EEDaS13_S14_SK_SP_EUlS13_E_NS1_11comp_targetILNS1_3genE2ELNS1_11target_archE906ELNS1_3gpuE6ELNS1_3repE0EEENS1_47radix_sort_onesweep_sort_config_static_selectorELNS0_4arch9wavefront6targetE1EEEvSK_
		.amdhsa_group_segment_fixed_size 0
		.amdhsa_private_segment_fixed_size 0
		.amdhsa_kernarg_size 88
		.amdhsa_user_sgpr_count 6
		.amdhsa_user_sgpr_private_segment_buffer 1
		.amdhsa_user_sgpr_dispatch_ptr 0
		.amdhsa_user_sgpr_queue_ptr 0
		.amdhsa_user_sgpr_kernarg_segment_ptr 1
		.amdhsa_user_sgpr_dispatch_id 0
		.amdhsa_user_sgpr_flat_scratch_init 0
		.amdhsa_user_sgpr_kernarg_preload_length 0
		.amdhsa_user_sgpr_kernarg_preload_offset 0
		.amdhsa_user_sgpr_private_segment_size 0
		.amdhsa_uses_dynamic_stack 0
		.amdhsa_system_sgpr_private_segment_wavefront_offset 0
		.amdhsa_system_sgpr_workgroup_id_x 1
		.amdhsa_system_sgpr_workgroup_id_y 0
		.amdhsa_system_sgpr_workgroup_id_z 0
		.amdhsa_system_sgpr_workgroup_info 0
		.amdhsa_system_vgpr_workitem_id 0
		.amdhsa_next_free_vgpr 1
		.amdhsa_next_free_sgpr 0
		.amdhsa_accum_offset 4
		.amdhsa_reserve_vcc 0
		.amdhsa_reserve_flat_scratch 0
		.amdhsa_float_round_mode_32 0
		.amdhsa_float_round_mode_16_64 0
		.amdhsa_float_denorm_mode_32 3
		.amdhsa_float_denorm_mode_16_64 3
		.amdhsa_dx10_clamp 1
		.amdhsa_ieee_mode 1
		.amdhsa_fp16_overflow 0
		.amdhsa_tg_split 0
		.amdhsa_exception_fp_ieee_invalid_op 0
		.amdhsa_exception_fp_denorm_src 0
		.amdhsa_exception_fp_ieee_div_zero 0
		.amdhsa_exception_fp_ieee_overflow 0
		.amdhsa_exception_fp_ieee_underflow 0
		.amdhsa_exception_fp_ieee_inexact 0
		.amdhsa_exception_int_div_zero 0
	.end_amdhsa_kernel
	.section	.text._ZN7rocprim17ROCPRIM_400000_NS6detail17trampoline_kernelINS0_14default_configENS1_35radix_sort_onesweep_config_selectorItNS0_10empty_typeEEEZZNS1_29radix_sort_onesweep_iterationIS3_Lb0EN6thrust23THRUST_200600_302600_NS6detail15normal_iteratorINS9_10device_ptrItEEEESE_PS5_SF_jNS0_19identity_decomposerENS1_16block_id_wrapperIjLb0EEEEE10hipError_tT1_PNSt15iterator_traitsISK_E10value_typeET2_T3_PNSL_ISQ_E10value_typeET4_T5_PSV_SW_PNS1_23onesweep_lookback_stateEbbT6_jjT7_P12ihipStream_tbENKUlT_T0_SK_SP_E_clISE_PtSF_SF_EEDaS13_S14_SK_SP_EUlS13_E_NS1_11comp_targetILNS1_3genE2ELNS1_11target_archE906ELNS1_3gpuE6ELNS1_3repE0EEENS1_47radix_sort_onesweep_sort_config_static_selectorELNS0_4arch9wavefront6targetE1EEEvSK_,"axG",@progbits,_ZN7rocprim17ROCPRIM_400000_NS6detail17trampoline_kernelINS0_14default_configENS1_35radix_sort_onesweep_config_selectorItNS0_10empty_typeEEEZZNS1_29radix_sort_onesweep_iterationIS3_Lb0EN6thrust23THRUST_200600_302600_NS6detail15normal_iteratorINS9_10device_ptrItEEEESE_PS5_SF_jNS0_19identity_decomposerENS1_16block_id_wrapperIjLb0EEEEE10hipError_tT1_PNSt15iterator_traitsISK_E10value_typeET2_T3_PNSL_ISQ_E10value_typeET4_T5_PSV_SW_PNS1_23onesweep_lookback_stateEbbT6_jjT7_P12ihipStream_tbENKUlT_T0_SK_SP_E_clISE_PtSF_SF_EEDaS13_S14_SK_SP_EUlS13_E_NS1_11comp_targetILNS1_3genE2ELNS1_11target_archE906ELNS1_3gpuE6ELNS1_3repE0EEENS1_47radix_sort_onesweep_sort_config_static_selectorELNS0_4arch9wavefront6targetE1EEEvSK_,comdat
.Lfunc_end1377:
	.size	_ZN7rocprim17ROCPRIM_400000_NS6detail17trampoline_kernelINS0_14default_configENS1_35radix_sort_onesweep_config_selectorItNS0_10empty_typeEEEZZNS1_29radix_sort_onesweep_iterationIS3_Lb0EN6thrust23THRUST_200600_302600_NS6detail15normal_iteratorINS9_10device_ptrItEEEESE_PS5_SF_jNS0_19identity_decomposerENS1_16block_id_wrapperIjLb0EEEEE10hipError_tT1_PNSt15iterator_traitsISK_E10value_typeET2_T3_PNSL_ISQ_E10value_typeET4_T5_PSV_SW_PNS1_23onesweep_lookback_stateEbbT6_jjT7_P12ihipStream_tbENKUlT_T0_SK_SP_E_clISE_PtSF_SF_EEDaS13_S14_SK_SP_EUlS13_E_NS1_11comp_targetILNS1_3genE2ELNS1_11target_archE906ELNS1_3gpuE6ELNS1_3repE0EEENS1_47radix_sort_onesweep_sort_config_static_selectorELNS0_4arch9wavefront6targetE1EEEvSK_, .Lfunc_end1377-_ZN7rocprim17ROCPRIM_400000_NS6detail17trampoline_kernelINS0_14default_configENS1_35radix_sort_onesweep_config_selectorItNS0_10empty_typeEEEZZNS1_29radix_sort_onesweep_iterationIS3_Lb0EN6thrust23THRUST_200600_302600_NS6detail15normal_iteratorINS9_10device_ptrItEEEESE_PS5_SF_jNS0_19identity_decomposerENS1_16block_id_wrapperIjLb0EEEEE10hipError_tT1_PNSt15iterator_traitsISK_E10value_typeET2_T3_PNSL_ISQ_E10value_typeET4_T5_PSV_SW_PNS1_23onesweep_lookback_stateEbbT6_jjT7_P12ihipStream_tbENKUlT_T0_SK_SP_E_clISE_PtSF_SF_EEDaS13_S14_SK_SP_EUlS13_E_NS1_11comp_targetILNS1_3genE2ELNS1_11target_archE906ELNS1_3gpuE6ELNS1_3repE0EEENS1_47radix_sort_onesweep_sort_config_static_selectorELNS0_4arch9wavefront6targetE1EEEvSK_
                                        ; -- End function
	.section	.AMDGPU.csdata,"",@progbits
; Kernel info:
; codeLenInByte = 0
; NumSgprs: 4
; NumVgprs: 0
; NumAgprs: 0
; TotalNumVgprs: 0
; ScratchSize: 0
; MemoryBound: 0
; FloatMode: 240
; IeeeMode: 1
; LDSByteSize: 0 bytes/workgroup (compile time only)
; SGPRBlocks: 0
; VGPRBlocks: 0
; NumSGPRsForWavesPerEU: 4
; NumVGPRsForWavesPerEU: 1
; AccumOffset: 4
; Occupancy: 8
; WaveLimiterHint : 0
; COMPUTE_PGM_RSRC2:SCRATCH_EN: 0
; COMPUTE_PGM_RSRC2:USER_SGPR: 6
; COMPUTE_PGM_RSRC2:TRAP_HANDLER: 0
; COMPUTE_PGM_RSRC2:TGID_X_EN: 1
; COMPUTE_PGM_RSRC2:TGID_Y_EN: 0
; COMPUTE_PGM_RSRC2:TGID_Z_EN: 0
; COMPUTE_PGM_RSRC2:TIDIG_COMP_CNT: 0
; COMPUTE_PGM_RSRC3_GFX90A:ACCUM_OFFSET: 0
; COMPUTE_PGM_RSRC3_GFX90A:TG_SPLIT: 0
	.section	.text._ZN7rocprim17ROCPRIM_400000_NS6detail17trampoline_kernelINS0_14default_configENS1_35radix_sort_onesweep_config_selectorItNS0_10empty_typeEEEZZNS1_29radix_sort_onesweep_iterationIS3_Lb0EN6thrust23THRUST_200600_302600_NS6detail15normal_iteratorINS9_10device_ptrItEEEESE_PS5_SF_jNS0_19identity_decomposerENS1_16block_id_wrapperIjLb0EEEEE10hipError_tT1_PNSt15iterator_traitsISK_E10value_typeET2_T3_PNSL_ISQ_E10value_typeET4_T5_PSV_SW_PNS1_23onesweep_lookback_stateEbbT6_jjT7_P12ihipStream_tbENKUlT_T0_SK_SP_E_clISE_PtSF_SF_EEDaS13_S14_SK_SP_EUlS13_E_NS1_11comp_targetILNS1_3genE4ELNS1_11target_archE910ELNS1_3gpuE8ELNS1_3repE0EEENS1_47radix_sort_onesweep_sort_config_static_selectorELNS0_4arch9wavefront6targetE1EEEvSK_,"axG",@progbits,_ZN7rocprim17ROCPRIM_400000_NS6detail17trampoline_kernelINS0_14default_configENS1_35radix_sort_onesweep_config_selectorItNS0_10empty_typeEEEZZNS1_29radix_sort_onesweep_iterationIS3_Lb0EN6thrust23THRUST_200600_302600_NS6detail15normal_iteratorINS9_10device_ptrItEEEESE_PS5_SF_jNS0_19identity_decomposerENS1_16block_id_wrapperIjLb0EEEEE10hipError_tT1_PNSt15iterator_traitsISK_E10value_typeET2_T3_PNSL_ISQ_E10value_typeET4_T5_PSV_SW_PNS1_23onesweep_lookback_stateEbbT6_jjT7_P12ihipStream_tbENKUlT_T0_SK_SP_E_clISE_PtSF_SF_EEDaS13_S14_SK_SP_EUlS13_E_NS1_11comp_targetILNS1_3genE4ELNS1_11target_archE910ELNS1_3gpuE8ELNS1_3repE0EEENS1_47radix_sort_onesweep_sort_config_static_selectorELNS0_4arch9wavefront6targetE1EEEvSK_,comdat
	.protected	_ZN7rocprim17ROCPRIM_400000_NS6detail17trampoline_kernelINS0_14default_configENS1_35radix_sort_onesweep_config_selectorItNS0_10empty_typeEEEZZNS1_29radix_sort_onesweep_iterationIS3_Lb0EN6thrust23THRUST_200600_302600_NS6detail15normal_iteratorINS9_10device_ptrItEEEESE_PS5_SF_jNS0_19identity_decomposerENS1_16block_id_wrapperIjLb0EEEEE10hipError_tT1_PNSt15iterator_traitsISK_E10value_typeET2_T3_PNSL_ISQ_E10value_typeET4_T5_PSV_SW_PNS1_23onesweep_lookback_stateEbbT6_jjT7_P12ihipStream_tbENKUlT_T0_SK_SP_E_clISE_PtSF_SF_EEDaS13_S14_SK_SP_EUlS13_E_NS1_11comp_targetILNS1_3genE4ELNS1_11target_archE910ELNS1_3gpuE8ELNS1_3repE0EEENS1_47radix_sort_onesweep_sort_config_static_selectorELNS0_4arch9wavefront6targetE1EEEvSK_ ; -- Begin function _ZN7rocprim17ROCPRIM_400000_NS6detail17trampoline_kernelINS0_14default_configENS1_35radix_sort_onesweep_config_selectorItNS0_10empty_typeEEEZZNS1_29radix_sort_onesweep_iterationIS3_Lb0EN6thrust23THRUST_200600_302600_NS6detail15normal_iteratorINS9_10device_ptrItEEEESE_PS5_SF_jNS0_19identity_decomposerENS1_16block_id_wrapperIjLb0EEEEE10hipError_tT1_PNSt15iterator_traitsISK_E10value_typeET2_T3_PNSL_ISQ_E10value_typeET4_T5_PSV_SW_PNS1_23onesweep_lookback_stateEbbT6_jjT7_P12ihipStream_tbENKUlT_T0_SK_SP_E_clISE_PtSF_SF_EEDaS13_S14_SK_SP_EUlS13_E_NS1_11comp_targetILNS1_3genE4ELNS1_11target_archE910ELNS1_3gpuE8ELNS1_3repE0EEENS1_47radix_sort_onesweep_sort_config_static_selectorELNS0_4arch9wavefront6targetE1EEEvSK_
	.globl	_ZN7rocprim17ROCPRIM_400000_NS6detail17trampoline_kernelINS0_14default_configENS1_35radix_sort_onesweep_config_selectorItNS0_10empty_typeEEEZZNS1_29radix_sort_onesweep_iterationIS3_Lb0EN6thrust23THRUST_200600_302600_NS6detail15normal_iteratorINS9_10device_ptrItEEEESE_PS5_SF_jNS0_19identity_decomposerENS1_16block_id_wrapperIjLb0EEEEE10hipError_tT1_PNSt15iterator_traitsISK_E10value_typeET2_T3_PNSL_ISQ_E10value_typeET4_T5_PSV_SW_PNS1_23onesweep_lookback_stateEbbT6_jjT7_P12ihipStream_tbENKUlT_T0_SK_SP_E_clISE_PtSF_SF_EEDaS13_S14_SK_SP_EUlS13_E_NS1_11comp_targetILNS1_3genE4ELNS1_11target_archE910ELNS1_3gpuE8ELNS1_3repE0EEENS1_47radix_sort_onesweep_sort_config_static_selectorELNS0_4arch9wavefront6targetE1EEEvSK_
	.p2align	8
	.type	_ZN7rocprim17ROCPRIM_400000_NS6detail17trampoline_kernelINS0_14default_configENS1_35radix_sort_onesweep_config_selectorItNS0_10empty_typeEEEZZNS1_29radix_sort_onesweep_iterationIS3_Lb0EN6thrust23THRUST_200600_302600_NS6detail15normal_iteratorINS9_10device_ptrItEEEESE_PS5_SF_jNS0_19identity_decomposerENS1_16block_id_wrapperIjLb0EEEEE10hipError_tT1_PNSt15iterator_traitsISK_E10value_typeET2_T3_PNSL_ISQ_E10value_typeET4_T5_PSV_SW_PNS1_23onesweep_lookback_stateEbbT6_jjT7_P12ihipStream_tbENKUlT_T0_SK_SP_E_clISE_PtSF_SF_EEDaS13_S14_SK_SP_EUlS13_E_NS1_11comp_targetILNS1_3genE4ELNS1_11target_archE910ELNS1_3gpuE8ELNS1_3repE0EEENS1_47radix_sort_onesweep_sort_config_static_selectorELNS0_4arch9wavefront6targetE1EEEvSK_,@function
_ZN7rocprim17ROCPRIM_400000_NS6detail17trampoline_kernelINS0_14default_configENS1_35radix_sort_onesweep_config_selectorItNS0_10empty_typeEEEZZNS1_29radix_sort_onesweep_iterationIS3_Lb0EN6thrust23THRUST_200600_302600_NS6detail15normal_iteratorINS9_10device_ptrItEEEESE_PS5_SF_jNS0_19identity_decomposerENS1_16block_id_wrapperIjLb0EEEEE10hipError_tT1_PNSt15iterator_traitsISK_E10value_typeET2_T3_PNSL_ISQ_E10value_typeET4_T5_PSV_SW_PNS1_23onesweep_lookback_stateEbbT6_jjT7_P12ihipStream_tbENKUlT_T0_SK_SP_E_clISE_PtSF_SF_EEDaS13_S14_SK_SP_EUlS13_E_NS1_11comp_targetILNS1_3genE4ELNS1_11target_archE910ELNS1_3gpuE8ELNS1_3repE0EEENS1_47radix_sort_onesweep_sort_config_static_selectorELNS0_4arch9wavefront6targetE1EEEvSK_: ; @_ZN7rocprim17ROCPRIM_400000_NS6detail17trampoline_kernelINS0_14default_configENS1_35radix_sort_onesweep_config_selectorItNS0_10empty_typeEEEZZNS1_29radix_sort_onesweep_iterationIS3_Lb0EN6thrust23THRUST_200600_302600_NS6detail15normal_iteratorINS9_10device_ptrItEEEESE_PS5_SF_jNS0_19identity_decomposerENS1_16block_id_wrapperIjLb0EEEEE10hipError_tT1_PNSt15iterator_traitsISK_E10value_typeET2_T3_PNSL_ISQ_E10value_typeET4_T5_PSV_SW_PNS1_23onesweep_lookback_stateEbbT6_jjT7_P12ihipStream_tbENKUlT_T0_SK_SP_E_clISE_PtSF_SF_EEDaS13_S14_SK_SP_EUlS13_E_NS1_11comp_targetILNS1_3genE4ELNS1_11target_archE910ELNS1_3gpuE8ELNS1_3repE0EEENS1_47radix_sort_onesweep_sort_config_static_selectorELNS0_4arch9wavefront6targetE1EEEvSK_
; %bb.0:
	s_load_dwordx4 s[20:23], s[4:5], 0x44
	s_load_dwordx2 s[24:25], s[4:5], 0x38
	s_load_dwordx4 s[16:19], s[4:5], 0x0
	s_load_dwordx4 s[12:15], s[4:5], 0x28
	s_mul_i32 s26, s6, 0x3000
	s_waitcnt lgkmcnt(0)
	s_cmp_ge_u32 s6, s22
	v_mbcnt_lo_u32_b32 v1, -1, 0
	s_cbranch_scc0 .LBB1378_96
; %bb.1:
	s_load_dword s7, s[4:5], 0x20
	s_mul_i32 s2, s22, 0xffffd000
	s_mov_b32 s27, 0
	v_and_b32_e32 v2, 0x3ff, v0
	s_lshl_b64 s[0:1], s[26:27], 1
	s_waitcnt lgkmcnt(0)
	s_add_i32 s7, s7, s2
	v_mbcnt_hi_u32_b32 v13, -1, v1
	s_add_u32 s0, s16, s0
	v_and_b32_e32 v3, 63, v13
	v_and_b32_e32 v4, 0x3c0, v2
	s_addc_u32 s1, s17, s1
	v_mul_u32_u24_e32 v6, 12, v4
	v_lshlrev_b32_e32 v4, 1, v3
	v_mov_b32_e32 v5, s1
	v_add_co_u32_e32 v4, vcc, s0, v4
	v_addc_co_u32_e32 v5, vcc, 0, v5, vcc
	v_lshlrev_b32_e32 v7, 1, v6
	v_add_co_u32_e32 v4, vcc, v4, v7
	v_addc_co_u32_e32 v5, vcc, 0, v5, vcc
	v_or_b32_e32 v6, v3, v6
	v_cmp_gt_u32_e32 vcc, s7, v6
	v_mov_b32_e32 v3, -1
	v_mov_b32_e32 v8, -1
	s_and_saveexec_b64 s[0:1], vcc
	s_cbranch_execz .LBB1378_3
; %bb.2:
	global_load_ushort v8, v[4:5], off
.LBB1378_3:
	s_or_b64 exec, exec, s[0:1]
	v_or_b32_e32 v7, 64, v6
	v_cmp_gt_u32_e32 vcc, s7, v7
	s_and_saveexec_b64 s[0:1], vcc
	s_cbranch_execz .LBB1378_5
; %bb.4:
	global_load_ushort v3, v[4:5], off offset:128
.LBB1378_5:
	s_or_b64 exec, exec, s[0:1]
	v_or_b32_e32 v7, 0x80, v6
	v_cmp_gt_u32_e32 vcc, s7, v7
	v_mov_b32_e32 v9, -1
	v_mov_b32_e32 v10, -1
	s_and_saveexec_b64 s[0:1], vcc
	s_cbranch_execz .LBB1378_7
; %bb.6:
	global_load_ushort v10, v[4:5], off offset:256
.LBB1378_7:
	s_or_b64 exec, exec, s[0:1]
	v_or_b32_e32 v7, 0xc0, v6
	v_cmp_gt_u32_e32 vcc, s7, v7
	s_and_saveexec_b64 s[0:1], vcc
	s_cbranch_execz .LBB1378_9
; %bb.8:
	global_load_ushort v9, v[4:5], off offset:384
.LBB1378_9:
	s_or_b64 exec, exec, s[0:1]
	v_add_u32_e32 v7, 0x100, v6
	v_cmp_gt_u32_e32 vcc, s7, v7
	v_mov_b32_e32 v11, -1
	v_mov_b32_e32 v12, -1
	s_and_saveexec_b64 s[0:1], vcc
	s_cbranch_execz .LBB1378_11
; %bb.10:
	global_load_ushort v12, v[4:5], off offset:512
.LBB1378_11:
	s_or_b64 exec, exec, s[0:1]
	v_add_u32_e32 v7, 0x140, v6
	v_cmp_gt_u32_e32 vcc, s7, v7
	s_and_saveexec_b64 s[0:1], vcc
	s_cbranch_execz .LBB1378_13
; %bb.12:
	global_load_ushort v11, v[4:5], off offset:640
.LBB1378_13:
	s_or_b64 exec, exec, s[0:1]
	v_add_u32_e32 v7, 0x180, v6
	v_cmp_gt_u32_e32 vcc, s7, v7
	v_mov_b32_e32 v14, -1
	v_mov_b32_e32 v15, -1
	s_and_saveexec_b64 s[0:1], vcc
	s_cbranch_execz .LBB1378_15
; %bb.14:
	global_load_ushort v15, v[4:5], off offset:768
.LBB1378_15:
	s_or_b64 exec, exec, s[0:1]
	v_add_u32_e32 v7, 0x1c0, v6
	;; [unrolled: 18-line block ×4, first 2 shown]
	v_cmp_gt_u32_e32 vcc, s7, v6
	s_and_saveexec_b64 s[0:1], vcc
	s_cbranch_execz .LBB1378_25
; %bb.24:
	global_load_ushort v18, v[4:5], off offset:1408
.LBB1378_25:
	s_or_b64 exec, exec, s[0:1]
	s_load_dword s0, s[4:5], 0x64
	s_load_dword s27, s[4:5], 0x58
	s_add_u32 s1, s4, 0x58
	s_addc_u32 s2, s5, 0
	v_mov_b32_e32 v4, 0
	s_waitcnt lgkmcnt(0)
	s_lshr_b32 s3, s0, 16
	s_cmp_lt_u32 s6, s27
	s_cselect_b32 s0, 12, 18
	s_add_u32 s0, s1, s0
	s_addc_u32 s1, s2, 0
	global_load_ushort v6, v4, s[0:1]
	s_lshl_b32 s0, -1, s21
	s_waitcnt vmcnt(1)
	v_lshrrev_b32_sdwa v21, s20, v8 dst_sel:DWORD dst_unused:UNUSED_PAD src0_sel:DWORD src1_sel:WORD_0
	s_not_b32 s28, s0
	v_and_b32_e32 v21, s28, v21
	v_and_b32_e32 v23, 1, v21
	v_bfe_u32 v5, v0, 10, 10
	v_bfe_u32 v7, v0, 20, 10
	v_add_co_u32_e32 v24, vcc, -1, v23
	v_mad_u32_u24 v7, v7, s3, v5
	v_lshlrev_b32_e32 v5, 30, v21
	v_addc_co_u32_e64 v25, s[0:1], 0, -1, vcc
	v_cmp_ne_u32_e32 vcc, 0, v23
	v_cmp_gt_i64_e64 s[0:1], 0, v[4:5]
	v_not_b32_e32 v23, v5
	v_lshlrev_b32_e32 v5, 29, v21
	v_xor_b32_e32 v25, vcc_hi, v25
	v_xor_b32_e32 v24, vcc_lo, v24
	v_ashrrev_i32_e32 v23, 31, v23
	v_cmp_gt_i64_e32 vcc, 0, v[4:5]
	v_not_b32_e32 v26, v5
	v_lshlrev_b32_e32 v5, 28, v21
	v_and_b32_e32 v25, exec_hi, v25
	v_and_b32_e32 v24, exec_lo, v24
	v_xor_b32_e32 v27, s1, v23
	v_xor_b32_e32 v23, s0, v23
	v_ashrrev_i32_e32 v26, 31, v26
	v_cmp_gt_i64_e64 s[0:1], 0, v[4:5]
	v_not_b32_e32 v28, v5
	v_lshlrev_b32_e32 v5, 27, v21
	v_and_b32_e32 v25, v25, v27
	v_and_b32_e32 v23, v24, v23
	v_xor_b32_e32 v24, vcc_hi, v26
	v_xor_b32_e32 v26, vcc_lo, v26
	v_ashrrev_i32_e32 v27, 31, v28
	v_cmp_gt_i64_e32 vcc, 0, v[4:5]
	v_not_b32_e32 v28, v5
	v_lshlrev_b32_e32 v5, 26, v21
	v_and_b32_e32 v24, v25, v24
	v_and_b32_e32 v23, v23, v26
	v_xor_b32_e32 v25, s1, v27
	v_xor_b32_e32 v26, s0, v27
	v_ashrrev_i32_e32 v27, 31, v28
	v_cmp_gt_i64_e64 s[0:1], 0, v[4:5]
	v_not_b32_e32 v28, v5
	v_lshlrev_b32_e32 v5, 25, v21
	v_and_b32_e32 v24, v24, v25
	v_and_b32_e32 v23, v23, v26
	v_xor_b32_e32 v25, vcc_hi, v27
	v_xor_b32_e32 v26, vcc_lo, v27
	v_ashrrev_i32_e32 v27, 31, v28
	v_cmp_gt_i64_e32 vcc, 0, v[4:5]
	v_not_b32_e32 v28, v5
	v_lshlrev_b32_e32 v5, 24, v21
	v_mul_u32_u24_e32 v22, 17, v21
	v_and_b32_e32 v21, v24, v25
	v_and_b32_e32 v23, v23, v26
	v_xor_b32_e32 v24, s1, v27
	v_xor_b32_e32 v25, s0, v27
	v_ashrrev_i32_e32 v26, 31, v28
	v_cmp_gt_i64_e64 s[0:1], 0, v[4:5]
	v_not_b32_e32 v5, v5
	v_and_b32_e32 v21, v21, v24
	v_and_b32_e32 v23, v23, v25
	v_xor_b32_e32 v24, vcc_hi, v26
	v_xor_b32_e32 v25, vcc_lo, v26
	v_ashrrev_i32_e32 v5, 31, v5
	v_and_b32_e32 v21, v21, v24
	v_and_b32_e32 v24, v23, v25
	v_mul_u32_u24_e32 v20, 5, v2
	v_lshlrev_b32_e32 v20, 2, v20
	ds_write2_b32 v20, v4, v4 offset0:16 offset1:17
	ds_write2_b32 v20, v4, v4 offset0:18 offset1:19
	ds_write_b32 v20, v4 offset:80
	s_waitcnt lgkmcnt(0)
	s_barrier
	s_waitcnt lgkmcnt(0)
	; wave barrier
	s_waitcnt vmcnt(0)
	v_mad_u64_u32 v[6:7], s[2:3], v7, v6, v[2:3]
	v_lshrrev_b32_e32 v30, 6, v6
	v_xor_b32_e32 v6, s1, v5
	v_xor_b32_e32 v5, s0, v5
	v_and_b32_e32 v7, v21, v6
	v_and_b32_e32 v6, v24, v5
	v_mbcnt_lo_u32_b32 v5, v6, 0
	v_mbcnt_hi_u32_b32 v21, v7, v5
	v_cmp_eq_u32_e32 vcc, 0, v21
	v_cmp_ne_u64_e64 s[0:1], 0, v[6:7]
	v_add_lshl_u32 v23, v30, v22, 2
	s_and_b64 s[2:3], s[0:1], vcc
	s_and_saveexec_b64 s[0:1], s[2:3]
	s_cbranch_execz .LBB1378_27
; %bb.26:
	v_bcnt_u32_b32 v5, v6, 0
	v_bcnt_u32_b32 v5, v7, v5
	ds_write_b32 v23, v5 offset:64
.LBB1378_27:
	s_or_b64 exec, exec, s[0:1]
	v_lshrrev_b32_sdwa v5, s20, v3 dst_sel:DWORD dst_unused:UNUSED_PAD src0_sel:DWORD src1_sel:WORD_0
	v_and_b32_e32 v6, s28, v5
	v_mul_u32_u24_e32 v5, 17, v6
	v_add_lshl_u32 v24, v30, v5, 2
	v_and_b32_e32 v5, 1, v6
	v_add_co_u32_e32 v7, vcc, -1, v5
	v_addc_co_u32_e64 v25, s[0:1], 0, -1, vcc
	v_cmp_ne_u32_e32 vcc, 0, v5
	v_xor_b32_e32 v5, vcc_hi, v25
	v_and_b32_e32 v25, exec_hi, v5
	v_lshlrev_b32_e32 v5, 30, v6
	v_xor_b32_e32 v7, vcc_lo, v7
	v_cmp_gt_i64_e32 vcc, 0, v[4:5]
	v_not_b32_e32 v5, v5
	v_ashrrev_i32_e32 v5, 31, v5
	v_and_b32_e32 v7, exec_lo, v7
	v_xor_b32_e32 v26, vcc_hi, v5
	v_xor_b32_e32 v5, vcc_lo, v5
	v_and_b32_e32 v7, v7, v5
	v_lshlrev_b32_e32 v5, 29, v6
	v_cmp_gt_i64_e32 vcc, 0, v[4:5]
	v_not_b32_e32 v5, v5
	v_ashrrev_i32_e32 v5, 31, v5
	v_and_b32_e32 v25, v25, v26
	v_xor_b32_e32 v26, vcc_hi, v5
	v_xor_b32_e32 v5, vcc_lo, v5
	v_and_b32_e32 v7, v7, v5
	v_lshlrev_b32_e32 v5, 28, v6
	v_cmp_gt_i64_e32 vcc, 0, v[4:5]
	v_not_b32_e32 v5, v5
	v_ashrrev_i32_e32 v5, 31, v5
	v_and_b32_e32 v25, v25, v26
	;; [unrolled: 8-line block ×5, first 2 shown]
	v_xor_b32_e32 v26, vcc_hi, v5
	v_xor_b32_e32 v5, vcc_lo, v5
	v_and_b32_e32 v7, v7, v5
	v_lshlrev_b32_e32 v5, 24, v6
	v_cmp_gt_i64_e32 vcc, 0, v[4:5]
	v_not_b32_e32 v4, v5
	v_ashrrev_i32_e32 v4, 31, v4
	v_xor_b32_e32 v5, vcc_hi, v4
	v_xor_b32_e32 v4, vcc_lo, v4
	; wave barrier
	ds_read_b32 v22, v24 offset:64
	v_and_b32_e32 v25, v25, v26
	v_and_b32_e32 v4, v7, v4
	;; [unrolled: 1-line block ×3, first 2 shown]
	v_mbcnt_lo_u32_b32 v6, v4, 0
	v_mbcnt_hi_u32_b32 v25, v5, v6
	v_cmp_eq_u32_e32 vcc, 0, v25
	v_cmp_ne_u64_e64 s[0:1], 0, v[4:5]
	s_and_b64 s[2:3], s[0:1], vcc
	; wave barrier
	s_and_saveexec_b64 s[0:1], s[2:3]
	s_cbranch_execz .LBB1378_29
; %bb.28:
	v_bcnt_u32_b32 v4, v4, 0
	v_bcnt_u32_b32 v4, v5, v4
	s_waitcnt lgkmcnt(0)
	v_add_u32_e32 v4, v22, v4
	ds_write_b32 v24, v4 offset:64
.LBB1378_29:
	s_or_b64 exec, exec, s[0:1]
	v_lshrrev_b32_sdwa v4, s20, v10 dst_sel:DWORD dst_unused:UNUSED_PAD src0_sel:DWORD src1_sel:WORD_0
	v_and_b32_e32 v6, s28, v4
	v_and_b32_e32 v5, 1, v6
	v_add_co_u32_e32 v7, vcc, -1, v5
	v_addc_co_u32_e64 v28, s[0:1], 0, -1, vcc
	v_cmp_ne_u32_e32 vcc, 0, v5
	v_mul_u32_u24_e32 v4, 17, v6
	v_xor_b32_e32 v5, vcc_hi, v28
	v_add_lshl_u32 v27, v30, v4, 2
	v_mov_b32_e32 v4, 0
	v_and_b32_e32 v28, exec_hi, v5
	v_lshlrev_b32_e32 v5, 30, v6
	v_xor_b32_e32 v7, vcc_lo, v7
	v_cmp_gt_i64_e32 vcc, 0, v[4:5]
	v_not_b32_e32 v5, v5
	v_ashrrev_i32_e32 v5, 31, v5
	v_and_b32_e32 v7, exec_lo, v7
	v_xor_b32_e32 v29, vcc_hi, v5
	v_xor_b32_e32 v5, vcc_lo, v5
	v_and_b32_e32 v7, v7, v5
	v_lshlrev_b32_e32 v5, 29, v6
	v_cmp_gt_i64_e32 vcc, 0, v[4:5]
	v_not_b32_e32 v5, v5
	v_ashrrev_i32_e32 v5, 31, v5
	v_and_b32_e32 v28, v28, v29
	v_xor_b32_e32 v29, vcc_hi, v5
	v_xor_b32_e32 v5, vcc_lo, v5
	v_and_b32_e32 v7, v7, v5
	v_lshlrev_b32_e32 v5, 28, v6
	v_cmp_gt_i64_e32 vcc, 0, v[4:5]
	v_not_b32_e32 v5, v5
	v_ashrrev_i32_e32 v5, 31, v5
	v_and_b32_e32 v28, v28, v29
	;; [unrolled: 8-line block ×5, first 2 shown]
	v_xor_b32_e32 v29, vcc_hi, v5
	v_xor_b32_e32 v5, vcc_lo, v5
	v_and_b32_e32 v28, v28, v29
	v_and_b32_e32 v29, v7, v5
	v_lshlrev_b32_e32 v5, 24, v6
	v_cmp_gt_i64_e32 vcc, 0, v[4:5]
	v_not_b32_e32 v5, v5
	v_ashrrev_i32_e32 v5, 31, v5
	v_xor_b32_e32 v6, vcc_hi, v5
	v_xor_b32_e32 v5, vcc_lo, v5
	; wave barrier
	ds_read_b32 v26, v27 offset:64
	v_and_b32_e32 v7, v28, v6
	v_and_b32_e32 v6, v29, v5
	v_mbcnt_lo_u32_b32 v5, v6, 0
	v_mbcnt_hi_u32_b32 v28, v7, v5
	v_cmp_eq_u32_e32 vcc, 0, v28
	v_cmp_ne_u64_e64 s[0:1], 0, v[6:7]
	s_and_b64 s[2:3], s[0:1], vcc
	; wave barrier
	s_and_saveexec_b64 s[0:1], s[2:3]
	s_cbranch_execz .LBB1378_31
; %bb.30:
	v_bcnt_u32_b32 v5, v6, 0
	v_bcnt_u32_b32 v5, v7, v5
	s_waitcnt lgkmcnt(0)
	v_add_u32_e32 v5, v26, v5
	ds_write_b32 v27, v5 offset:64
.LBB1378_31:
	s_or_b64 exec, exec, s[0:1]
	v_lshrrev_b32_sdwa v5, s20, v9 dst_sel:DWORD dst_unused:UNUSED_PAD src0_sel:DWORD src1_sel:WORD_0
	v_and_b32_e32 v6, s28, v5
	v_mul_u32_u24_e32 v5, 17, v6
	v_add_lshl_u32 v31, v30, v5, 2
	v_and_b32_e32 v5, 1, v6
	v_add_co_u32_e32 v7, vcc, -1, v5
	v_addc_co_u32_e64 v32, s[0:1], 0, -1, vcc
	v_cmp_ne_u32_e32 vcc, 0, v5
	v_xor_b32_e32 v5, vcc_hi, v32
	v_and_b32_e32 v32, exec_hi, v5
	v_lshlrev_b32_e32 v5, 30, v6
	v_xor_b32_e32 v7, vcc_lo, v7
	v_cmp_gt_i64_e32 vcc, 0, v[4:5]
	v_not_b32_e32 v5, v5
	v_ashrrev_i32_e32 v5, 31, v5
	v_and_b32_e32 v7, exec_lo, v7
	v_xor_b32_e32 v33, vcc_hi, v5
	v_xor_b32_e32 v5, vcc_lo, v5
	v_and_b32_e32 v7, v7, v5
	v_lshlrev_b32_e32 v5, 29, v6
	v_cmp_gt_i64_e32 vcc, 0, v[4:5]
	v_not_b32_e32 v5, v5
	v_ashrrev_i32_e32 v5, 31, v5
	v_and_b32_e32 v32, v32, v33
	v_xor_b32_e32 v33, vcc_hi, v5
	v_xor_b32_e32 v5, vcc_lo, v5
	v_and_b32_e32 v7, v7, v5
	v_lshlrev_b32_e32 v5, 28, v6
	v_cmp_gt_i64_e32 vcc, 0, v[4:5]
	v_not_b32_e32 v5, v5
	v_ashrrev_i32_e32 v5, 31, v5
	v_and_b32_e32 v32, v32, v33
	;; [unrolled: 8-line block ×5, first 2 shown]
	v_xor_b32_e32 v33, vcc_hi, v5
	v_xor_b32_e32 v5, vcc_lo, v5
	v_and_b32_e32 v7, v7, v5
	v_lshlrev_b32_e32 v5, 24, v6
	v_cmp_gt_i64_e32 vcc, 0, v[4:5]
	v_not_b32_e32 v4, v5
	v_ashrrev_i32_e32 v4, 31, v4
	v_xor_b32_e32 v5, vcc_hi, v4
	v_xor_b32_e32 v4, vcc_lo, v4
	; wave barrier
	ds_read_b32 v29, v31 offset:64
	v_and_b32_e32 v32, v32, v33
	v_and_b32_e32 v4, v7, v4
	;; [unrolled: 1-line block ×3, first 2 shown]
	v_mbcnt_lo_u32_b32 v6, v4, 0
	v_mbcnt_hi_u32_b32 v32, v5, v6
	v_cmp_eq_u32_e32 vcc, 0, v32
	v_cmp_ne_u64_e64 s[0:1], 0, v[4:5]
	s_and_b64 s[2:3], s[0:1], vcc
	; wave barrier
	s_and_saveexec_b64 s[0:1], s[2:3]
	s_cbranch_execz .LBB1378_33
; %bb.32:
	v_bcnt_u32_b32 v4, v4, 0
	v_bcnt_u32_b32 v4, v5, v4
	s_waitcnt lgkmcnt(0)
	v_add_u32_e32 v4, v29, v4
	ds_write_b32 v31, v4 offset:64
.LBB1378_33:
	s_or_b64 exec, exec, s[0:1]
	v_lshrrev_b32_sdwa v4, s20, v12 dst_sel:DWORD dst_unused:UNUSED_PAD src0_sel:DWORD src1_sel:WORD_0
	v_and_b32_e32 v6, s28, v4
	v_and_b32_e32 v5, 1, v6
	v_add_co_u32_e32 v7, vcc, -1, v5
	v_addc_co_u32_e64 v35, s[0:1], 0, -1, vcc
	v_cmp_ne_u32_e32 vcc, 0, v5
	v_mul_u32_u24_e32 v4, 17, v6
	v_xor_b32_e32 v5, vcc_hi, v35
	v_add_lshl_u32 v34, v30, v4, 2
	v_mov_b32_e32 v4, 0
	v_and_b32_e32 v35, exec_hi, v5
	v_lshlrev_b32_e32 v5, 30, v6
	v_xor_b32_e32 v7, vcc_lo, v7
	v_cmp_gt_i64_e32 vcc, 0, v[4:5]
	v_not_b32_e32 v5, v5
	v_ashrrev_i32_e32 v5, 31, v5
	v_and_b32_e32 v7, exec_lo, v7
	v_xor_b32_e32 v36, vcc_hi, v5
	v_xor_b32_e32 v5, vcc_lo, v5
	v_and_b32_e32 v7, v7, v5
	v_lshlrev_b32_e32 v5, 29, v6
	v_cmp_gt_i64_e32 vcc, 0, v[4:5]
	v_not_b32_e32 v5, v5
	v_ashrrev_i32_e32 v5, 31, v5
	v_and_b32_e32 v35, v35, v36
	v_xor_b32_e32 v36, vcc_hi, v5
	v_xor_b32_e32 v5, vcc_lo, v5
	v_and_b32_e32 v7, v7, v5
	v_lshlrev_b32_e32 v5, 28, v6
	v_cmp_gt_i64_e32 vcc, 0, v[4:5]
	v_not_b32_e32 v5, v5
	v_ashrrev_i32_e32 v5, 31, v5
	v_and_b32_e32 v35, v35, v36
	;; [unrolled: 8-line block ×5, first 2 shown]
	v_xor_b32_e32 v36, vcc_hi, v5
	v_xor_b32_e32 v5, vcc_lo, v5
	v_and_b32_e32 v35, v35, v36
	v_and_b32_e32 v36, v7, v5
	v_lshlrev_b32_e32 v5, 24, v6
	v_cmp_gt_i64_e32 vcc, 0, v[4:5]
	v_not_b32_e32 v5, v5
	v_ashrrev_i32_e32 v5, 31, v5
	v_xor_b32_e32 v6, vcc_hi, v5
	v_xor_b32_e32 v5, vcc_lo, v5
	; wave barrier
	ds_read_b32 v33, v34 offset:64
	v_and_b32_e32 v7, v35, v6
	v_and_b32_e32 v6, v36, v5
	v_mbcnt_lo_u32_b32 v5, v6, 0
	v_mbcnt_hi_u32_b32 v35, v7, v5
	v_cmp_eq_u32_e32 vcc, 0, v35
	v_cmp_ne_u64_e64 s[0:1], 0, v[6:7]
	s_and_b64 s[2:3], s[0:1], vcc
	; wave barrier
	s_and_saveexec_b64 s[0:1], s[2:3]
	s_cbranch_execz .LBB1378_35
; %bb.34:
	v_bcnt_u32_b32 v5, v6, 0
	v_bcnt_u32_b32 v5, v7, v5
	s_waitcnt lgkmcnt(0)
	v_add_u32_e32 v5, v33, v5
	ds_write_b32 v34, v5 offset:64
.LBB1378_35:
	s_or_b64 exec, exec, s[0:1]
	v_lshrrev_b32_sdwa v5, s20, v11 dst_sel:DWORD dst_unused:UNUSED_PAD src0_sel:DWORD src1_sel:WORD_0
	v_and_b32_e32 v6, s28, v5
	v_mul_u32_u24_e32 v5, 17, v6
	v_add_lshl_u32 v37, v30, v5, 2
	v_and_b32_e32 v5, 1, v6
	v_add_co_u32_e32 v7, vcc, -1, v5
	v_addc_co_u32_e64 v38, s[0:1], 0, -1, vcc
	v_cmp_ne_u32_e32 vcc, 0, v5
	v_xor_b32_e32 v5, vcc_hi, v38
	v_and_b32_e32 v38, exec_hi, v5
	v_lshlrev_b32_e32 v5, 30, v6
	v_xor_b32_e32 v7, vcc_lo, v7
	v_cmp_gt_i64_e32 vcc, 0, v[4:5]
	v_not_b32_e32 v5, v5
	v_ashrrev_i32_e32 v5, 31, v5
	v_and_b32_e32 v7, exec_lo, v7
	v_xor_b32_e32 v39, vcc_hi, v5
	v_xor_b32_e32 v5, vcc_lo, v5
	v_and_b32_e32 v7, v7, v5
	v_lshlrev_b32_e32 v5, 29, v6
	v_cmp_gt_i64_e32 vcc, 0, v[4:5]
	v_not_b32_e32 v5, v5
	v_ashrrev_i32_e32 v5, 31, v5
	v_and_b32_e32 v38, v38, v39
	v_xor_b32_e32 v39, vcc_hi, v5
	v_xor_b32_e32 v5, vcc_lo, v5
	v_and_b32_e32 v7, v7, v5
	v_lshlrev_b32_e32 v5, 28, v6
	v_cmp_gt_i64_e32 vcc, 0, v[4:5]
	v_not_b32_e32 v5, v5
	v_ashrrev_i32_e32 v5, 31, v5
	v_and_b32_e32 v38, v38, v39
	;; [unrolled: 8-line block ×5, first 2 shown]
	v_xor_b32_e32 v39, vcc_hi, v5
	v_xor_b32_e32 v5, vcc_lo, v5
	v_and_b32_e32 v7, v7, v5
	v_lshlrev_b32_e32 v5, 24, v6
	v_cmp_gt_i64_e32 vcc, 0, v[4:5]
	v_not_b32_e32 v4, v5
	v_ashrrev_i32_e32 v4, 31, v4
	v_xor_b32_e32 v5, vcc_hi, v4
	v_xor_b32_e32 v4, vcc_lo, v4
	; wave barrier
	ds_read_b32 v36, v37 offset:64
	v_and_b32_e32 v38, v38, v39
	v_and_b32_e32 v4, v7, v4
	;; [unrolled: 1-line block ×3, first 2 shown]
	v_mbcnt_lo_u32_b32 v6, v4, 0
	v_mbcnt_hi_u32_b32 v38, v5, v6
	v_cmp_eq_u32_e32 vcc, 0, v38
	v_cmp_ne_u64_e64 s[0:1], 0, v[4:5]
	s_and_b64 s[2:3], s[0:1], vcc
	; wave barrier
	s_and_saveexec_b64 s[0:1], s[2:3]
	s_cbranch_execz .LBB1378_37
; %bb.36:
	v_bcnt_u32_b32 v4, v4, 0
	v_bcnt_u32_b32 v4, v5, v4
	s_waitcnt lgkmcnt(0)
	v_add_u32_e32 v4, v36, v4
	ds_write_b32 v37, v4 offset:64
.LBB1378_37:
	s_or_b64 exec, exec, s[0:1]
	v_lshrrev_b32_sdwa v4, s20, v15 dst_sel:DWORD dst_unused:UNUSED_PAD src0_sel:DWORD src1_sel:WORD_0
	v_and_b32_e32 v6, s28, v4
	v_and_b32_e32 v5, 1, v6
	v_add_co_u32_e32 v7, vcc, -1, v5
	v_addc_co_u32_e64 v41, s[0:1], 0, -1, vcc
	v_cmp_ne_u32_e32 vcc, 0, v5
	v_mul_u32_u24_e32 v4, 17, v6
	v_xor_b32_e32 v5, vcc_hi, v41
	v_add_lshl_u32 v40, v30, v4, 2
	v_mov_b32_e32 v4, 0
	v_and_b32_e32 v41, exec_hi, v5
	v_lshlrev_b32_e32 v5, 30, v6
	v_xor_b32_e32 v7, vcc_lo, v7
	v_cmp_gt_i64_e32 vcc, 0, v[4:5]
	v_not_b32_e32 v5, v5
	v_ashrrev_i32_e32 v5, 31, v5
	v_and_b32_e32 v7, exec_lo, v7
	v_xor_b32_e32 v42, vcc_hi, v5
	v_xor_b32_e32 v5, vcc_lo, v5
	v_and_b32_e32 v7, v7, v5
	v_lshlrev_b32_e32 v5, 29, v6
	v_cmp_gt_i64_e32 vcc, 0, v[4:5]
	v_not_b32_e32 v5, v5
	v_ashrrev_i32_e32 v5, 31, v5
	v_and_b32_e32 v41, v41, v42
	v_xor_b32_e32 v42, vcc_hi, v5
	v_xor_b32_e32 v5, vcc_lo, v5
	v_and_b32_e32 v7, v7, v5
	v_lshlrev_b32_e32 v5, 28, v6
	v_cmp_gt_i64_e32 vcc, 0, v[4:5]
	v_not_b32_e32 v5, v5
	v_ashrrev_i32_e32 v5, 31, v5
	v_and_b32_e32 v41, v41, v42
	;; [unrolled: 8-line block ×5, first 2 shown]
	v_xor_b32_e32 v42, vcc_hi, v5
	v_xor_b32_e32 v5, vcc_lo, v5
	v_and_b32_e32 v41, v41, v42
	v_and_b32_e32 v42, v7, v5
	v_lshlrev_b32_e32 v5, 24, v6
	v_cmp_gt_i64_e32 vcc, 0, v[4:5]
	v_not_b32_e32 v5, v5
	v_ashrrev_i32_e32 v5, 31, v5
	v_xor_b32_e32 v6, vcc_hi, v5
	v_xor_b32_e32 v5, vcc_lo, v5
	; wave barrier
	ds_read_b32 v39, v40 offset:64
	v_and_b32_e32 v7, v41, v6
	v_and_b32_e32 v6, v42, v5
	v_mbcnt_lo_u32_b32 v5, v6, 0
	v_mbcnt_hi_u32_b32 v41, v7, v5
	v_cmp_eq_u32_e32 vcc, 0, v41
	v_cmp_ne_u64_e64 s[0:1], 0, v[6:7]
	s_and_b64 s[2:3], s[0:1], vcc
	; wave barrier
	s_and_saveexec_b64 s[0:1], s[2:3]
	s_cbranch_execz .LBB1378_39
; %bb.38:
	v_bcnt_u32_b32 v5, v6, 0
	v_bcnt_u32_b32 v5, v7, v5
	s_waitcnt lgkmcnt(0)
	v_add_u32_e32 v5, v39, v5
	ds_write_b32 v40, v5 offset:64
.LBB1378_39:
	s_or_b64 exec, exec, s[0:1]
	v_lshrrev_b32_sdwa v5, s20, v14 dst_sel:DWORD dst_unused:UNUSED_PAD src0_sel:DWORD src1_sel:WORD_0
	v_and_b32_e32 v6, s28, v5
	v_mul_u32_u24_e32 v5, 17, v6
	v_add_lshl_u32 v43, v30, v5, 2
	v_and_b32_e32 v5, 1, v6
	v_add_co_u32_e32 v7, vcc, -1, v5
	v_addc_co_u32_e64 v44, s[0:1], 0, -1, vcc
	v_cmp_ne_u32_e32 vcc, 0, v5
	v_xor_b32_e32 v5, vcc_hi, v44
	v_and_b32_e32 v44, exec_hi, v5
	v_lshlrev_b32_e32 v5, 30, v6
	v_xor_b32_e32 v7, vcc_lo, v7
	v_cmp_gt_i64_e32 vcc, 0, v[4:5]
	v_not_b32_e32 v5, v5
	v_ashrrev_i32_e32 v5, 31, v5
	v_and_b32_e32 v7, exec_lo, v7
	v_xor_b32_e32 v45, vcc_hi, v5
	v_xor_b32_e32 v5, vcc_lo, v5
	v_and_b32_e32 v7, v7, v5
	v_lshlrev_b32_e32 v5, 29, v6
	v_cmp_gt_i64_e32 vcc, 0, v[4:5]
	v_not_b32_e32 v5, v5
	v_ashrrev_i32_e32 v5, 31, v5
	v_and_b32_e32 v44, v44, v45
	v_xor_b32_e32 v45, vcc_hi, v5
	v_xor_b32_e32 v5, vcc_lo, v5
	v_and_b32_e32 v7, v7, v5
	v_lshlrev_b32_e32 v5, 28, v6
	v_cmp_gt_i64_e32 vcc, 0, v[4:5]
	v_not_b32_e32 v5, v5
	v_ashrrev_i32_e32 v5, 31, v5
	v_and_b32_e32 v44, v44, v45
	;; [unrolled: 8-line block ×5, first 2 shown]
	v_xor_b32_e32 v45, vcc_hi, v5
	v_xor_b32_e32 v5, vcc_lo, v5
	v_and_b32_e32 v7, v7, v5
	v_lshlrev_b32_e32 v5, 24, v6
	v_cmp_gt_i64_e32 vcc, 0, v[4:5]
	v_not_b32_e32 v4, v5
	v_ashrrev_i32_e32 v4, 31, v4
	v_xor_b32_e32 v5, vcc_hi, v4
	v_xor_b32_e32 v4, vcc_lo, v4
	; wave barrier
	ds_read_b32 v42, v43 offset:64
	v_and_b32_e32 v44, v44, v45
	v_and_b32_e32 v4, v7, v4
	;; [unrolled: 1-line block ×3, first 2 shown]
	v_mbcnt_lo_u32_b32 v6, v4, 0
	v_mbcnt_hi_u32_b32 v44, v5, v6
	v_cmp_eq_u32_e32 vcc, 0, v44
	v_cmp_ne_u64_e64 s[0:1], 0, v[4:5]
	s_and_b64 s[2:3], s[0:1], vcc
	; wave barrier
	s_and_saveexec_b64 s[0:1], s[2:3]
	s_cbranch_execz .LBB1378_41
; %bb.40:
	v_bcnt_u32_b32 v4, v4, 0
	v_bcnt_u32_b32 v4, v5, v4
	s_waitcnt lgkmcnt(0)
	v_add_u32_e32 v4, v42, v4
	ds_write_b32 v43, v4 offset:64
.LBB1378_41:
	s_or_b64 exec, exec, s[0:1]
	v_lshrrev_b32_sdwa v4, s20, v17 dst_sel:DWORD dst_unused:UNUSED_PAD src0_sel:DWORD src1_sel:WORD_0
	v_and_b32_e32 v6, s28, v4
	v_and_b32_e32 v5, 1, v6
	v_add_co_u32_e32 v7, vcc, -1, v5
	v_addc_co_u32_e64 v47, s[0:1], 0, -1, vcc
	v_cmp_ne_u32_e32 vcc, 0, v5
	v_mul_u32_u24_e32 v4, 17, v6
	v_xor_b32_e32 v5, vcc_hi, v47
	v_add_lshl_u32 v46, v30, v4, 2
	v_mov_b32_e32 v4, 0
	v_and_b32_e32 v47, exec_hi, v5
	v_lshlrev_b32_e32 v5, 30, v6
	v_xor_b32_e32 v7, vcc_lo, v7
	v_cmp_gt_i64_e32 vcc, 0, v[4:5]
	v_not_b32_e32 v5, v5
	v_ashrrev_i32_e32 v5, 31, v5
	v_and_b32_e32 v7, exec_lo, v7
	v_xor_b32_e32 v48, vcc_hi, v5
	v_xor_b32_e32 v5, vcc_lo, v5
	v_and_b32_e32 v7, v7, v5
	v_lshlrev_b32_e32 v5, 29, v6
	v_cmp_gt_i64_e32 vcc, 0, v[4:5]
	v_not_b32_e32 v5, v5
	v_ashrrev_i32_e32 v5, 31, v5
	v_and_b32_e32 v47, v47, v48
	v_xor_b32_e32 v48, vcc_hi, v5
	v_xor_b32_e32 v5, vcc_lo, v5
	v_and_b32_e32 v7, v7, v5
	v_lshlrev_b32_e32 v5, 28, v6
	v_cmp_gt_i64_e32 vcc, 0, v[4:5]
	v_not_b32_e32 v5, v5
	v_ashrrev_i32_e32 v5, 31, v5
	v_and_b32_e32 v47, v47, v48
	;; [unrolled: 8-line block ×5, first 2 shown]
	v_xor_b32_e32 v48, vcc_hi, v5
	v_xor_b32_e32 v5, vcc_lo, v5
	v_and_b32_e32 v47, v47, v48
	v_and_b32_e32 v48, v7, v5
	v_lshlrev_b32_e32 v5, 24, v6
	v_cmp_gt_i64_e32 vcc, 0, v[4:5]
	v_not_b32_e32 v5, v5
	v_ashrrev_i32_e32 v5, 31, v5
	v_xor_b32_e32 v6, vcc_hi, v5
	v_xor_b32_e32 v5, vcc_lo, v5
	; wave barrier
	ds_read_b32 v45, v46 offset:64
	v_and_b32_e32 v7, v47, v6
	v_and_b32_e32 v6, v48, v5
	v_mbcnt_lo_u32_b32 v5, v6, 0
	v_mbcnt_hi_u32_b32 v47, v7, v5
	v_cmp_eq_u32_e32 vcc, 0, v47
	v_cmp_ne_u64_e64 s[0:1], 0, v[6:7]
	s_and_b64 s[2:3], s[0:1], vcc
	; wave barrier
	s_and_saveexec_b64 s[0:1], s[2:3]
	s_cbranch_execz .LBB1378_43
; %bb.42:
	v_bcnt_u32_b32 v5, v6, 0
	v_bcnt_u32_b32 v5, v7, v5
	s_waitcnt lgkmcnt(0)
	v_add_u32_e32 v5, v45, v5
	ds_write_b32 v46, v5 offset:64
.LBB1378_43:
	s_or_b64 exec, exec, s[0:1]
	v_lshrrev_b32_sdwa v5, s20, v16 dst_sel:DWORD dst_unused:UNUSED_PAD src0_sel:DWORD src1_sel:WORD_0
	v_and_b32_e32 v6, s28, v5
	v_mul_u32_u24_e32 v5, 17, v6
	v_add_lshl_u32 v49, v30, v5, 2
	v_and_b32_e32 v5, 1, v6
	v_add_co_u32_e32 v7, vcc, -1, v5
	v_addc_co_u32_e64 v50, s[0:1], 0, -1, vcc
	v_cmp_ne_u32_e32 vcc, 0, v5
	v_xor_b32_e32 v5, vcc_hi, v50
	v_and_b32_e32 v50, exec_hi, v5
	v_lshlrev_b32_e32 v5, 30, v6
	v_xor_b32_e32 v7, vcc_lo, v7
	v_cmp_gt_i64_e32 vcc, 0, v[4:5]
	v_not_b32_e32 v5, v5
	v_ashrrev_i32_e32 v5, 31, v5
	v_and_b32_e32 v7, exec_lo, v7
	v_xor_b32_e32 v51, vcc_hi, v5
	v_xor_b32_e32 v5, vcc_lo, v5
	v_and_b32_e32 v7, v7, v5
	v_lshlrev_b32_e32 v5, 29, v6
	v_cmp_gt_i64_e32 vcc, 0, v[4:5]
	v_not_b32_e32 v5, v5
	v_ashrrev_i32_e32 v5, 31, v5
	v_and_b32_e32 v50, v50, v51
	v_xor_b32_e32 v51, vcc_hi, v5
	v_xor_b32_e32 v5, vcc_lo, v5
	v_and_b32_e32 v7, v7, v5
	v_lshlrev_b32_e32 v5, 28, v6
	v_cmp_gt_i64_e32 vcc, 0, v[4:5]
	v_not_b32_e32 v5, v5
	v_ashrrev_i32_e32 v5, 31, v5
	v_and_b32_e32 v50, v50, v51
	;; [unrolled: 8-line block ×5, first 2 shown]
	v_xor_b32_e32 v51, vcc_hi, v5
	v_xor_b32_e32 v5, vcc_lo, v5
	v_and_b32_e32 v7, v7, v5
	v_lshlrev_b32_e32 v5, 24, v6
	v_cmp_gt_i64_e32 vcc, 0, v[4:5]
	v_not_b32_e32 v4, v5
	v_ashrrev_i32_e32 v4, 31, v4
	v_xor_b32_e32 v5, vcc_hi, v4
	v_xor_b32_e32 v4, vcc_lo, v4
	; wave barrier
	ds_read_b32 v48, v49 offset:64
	v_and_b32_e32 v50, v50, v51
	v_and_b32_e32 v4, v7, v4
	;; [unrolled: 1-line block ×3, first 2 shown]
	v_mbcnt_lo_u32_b32 v6, v4, 0
	v_mbcnt_hi_u32_b32 v50, v5, v6
	v_cmp_eq_u32_e32 vcc, 0, v50
	v_cmp_ne_u64_e64 s[0:1], 0, v[4:5]
	s_and_b64 s[2:3], s[0:1], vcc
	; wave barrier
	s_and_saveexec_b64 s[0:1], s[2:3]
	s_cbranch_execz .LBB1378_45
; %bb.44:
	v_bcnt_u32_b32 v4, v4, 0
	v_bcnt_u32_b32 v4, v5, v4
	s_waitcnt lgkmcnt(0)
	v_add_u32_e32 v4, v48, v4
	ds_write_b32 v49, v4 offset:64
.LBB1378_45:
	s_or_b64 exec, exec, s[0:1]
	v_lshrrev_b32_sdwa v4, s20, v19 dst_sel:DWORD dst_unused:UNUSED_PAD src0_sel:DWORD src1_sel:WORD_0
	v_and_b32_e32 v6, s28, v4
	v_and_b32_e32 v5, 1, v6
	v_add_co_u32_e32 v7, vcc, -1, v5
	v_addc_co_u32_e64 v53, s[0:1], 0, -1, vcc
	v_cmp_ne_u32_e32 vcc, 0, v5
	v_mul_u32_u24_e32 v4, 17, v6
	v_xor_b32_e32 v5, vcc_hi, v53
	v_add_lshl_u32 v52, v30, v4, 2
	v_mov_b32_e32 v4, 0
	v_and_b32_e32 v53, exec_hi, v5
	v_lshlrev_b32_e32 v5, 30, v6
	v_xor_b32_e32 v7, vcc_lo, v7
	v_cmp_gt_i64_e32 vcc, 0, v[4:5]
	v_not_b32_e32 v5, v5
	v_ashrrev_i32_e32 v5, 31, v5
	v_and_b32_e32 v7, exec_lo, v7
	v_xor_b32_e32 v54, vcc_hi, v5
	v_xor_b32_e32 v5, vcc_lo, v5
	v_and_b32_e32 v7, v7, v5
	v_lshlrev_b32_e32 v5, 29, v6
	v_cmp_gt_i64_e32 vcc, 0, v[4:5]
	v_not_b32_e32 v5, v5
	v_ashrrev_i32_e32 v5, 31, v5
	v_and_b32_e32 v53, v53, v54
	v_xor_b32_e32 v54, vcc_hi, v5
	v_xor_b32_e32 v5, vcc_lo, v5
	v_and_b32_e32 v7, v7, v5
	v_lshlrev_b32_e32 v5, 28, v6
	v_cmp_gt_i64_e32 vcc, 0, v[4:5]
	v_not_b32_e32 v5, v5
	v_ashrrev_i32_e32 v5, 31, v5
	v_and_b32_e32 v53, v53, v54
	;; [unrolled: 8-line block ×5, first 2 shown]
	v_xor_b32_e32 v54, vcc_hi, v5
	v_xor_b32_e32 v5, vcc_lo, v5
	v_and_b32_e32 v53, v53, v54
	v_and_b32_e32 v54, v7, v5
	v_lshlrev_b32_e32 v5, 24, v6
	v_cmp_gt_i64_e32 vcc, 0, v[4:5]
	v_not_b32_e32 v5, v5
	v_ashrrev_i32_e32 v5, 31, v5
	v_xor_b32_e32 v6, vcc_hi, v5
	v_xor_b32_e32 v5, vcc_lo, v5
	; wave barrier
	ds_read_b32 v51, v52 offset:64
	v_and_b32_e32 v7, v53, v6
	v_and_b32_e32 v6, v54, v5
	v_mbcnt_lo_u32_b32 v5, v6, 0
	v_mbcnt_hi_u32_b32 v53, v7, v5
	v_cmp_eq_u32_e32 vcc, 0, v53
	v_cmp_ne_u64_e64 s[0:1], 0, v[6:7]
	s_and_b64 s[2:3], s[0:1], vcc
	; wave barrier
	s_and_saveexec_b64 s[0:1], s[2:3]
	s_cbranch_execz .LBB1378_47
; %bb.46:
	v_bcnt_u32_b32 v5, v6, 0
	v_bcnt_u32_b32 v5, v7, v5
	s_waitcnt lgkmcnt(0)
	v_add_u32_e32 v5, v51, v5
	ds_write_b32 v52, v5 offset:64
.LBB1378_47:
	s_or_b64 exec, exec, s[0:1]
	v_lshrrev_b32_sdwa v5, s20, v18 dst_sel:DWORD dst_unused:UNUSED_PAD src0_sel:DWORD src1_sel:WORD_0
	v_and_b32_e32 v6, s28, v5
	v_mul_u32_u24_e32 v5, 17, v6
	v_add_lshl_u32 v55, v30, v5, 2
	v_and_b32_e32 v5, 1, v6
	v_add_co_u32_e32 v7, vcc, -1, v5
	v_addc_co_u32_e64 v54, s[0:1], 0, -1, vcc
	v_cmp_ne_u32_e32 vcc, 0, v5
	v_xor_b32_e32 v5, vcc_hi, v54
	v_and_b32_e32 v54, exec_hi, v5
	v_lshlrev_b32_e32 v5, 30, v6
	v_xor_b32_e32 v7, vcc_lo, v7
	v_cmp_gt_i64_e32 vcc, 0, v[4:5]
	v_not_b32_e32 v5, v5
	v_ashrrev_i32_e32 v5, 31, v5
	v_and_b32_e32 v7, exec_lo, v7
	v_xor_b32_e32 v57, vcc_hi, v5
	v_xor_b32_e32 v5, vcc_lo, v5
	v_and_b32_e32 v7, v7, v5
	v_lshlrev_b32_e32 v5, 29, v6
	v_cmp_gt_i64_e32 vcc, 0, v[4:5]
	v_not_b32_e32 v5, v5
	v_ashrrev_i32_e32 v5, 31, v5
	v_and_b32_e32 v54, v54, v57
	v_xor_b32_e32 v57, vcc_hi, v5
	v_xor_b32_e32 v5, vcc_lo, v5
	v_and_b32_e32 v7, v7, v5
	v_lshlrev_b32_e32 v5, 28, v6
	v_cmp_gt_i64_e32 vcc, 0, v[4:5]
	v_not_b32_e32 v5, v5
	v_ashrrev_i32_e32 v5, 31, v5
	v_and_b32_e32 v54, v54, v57
	;; [unrolled: 8-line block ×5, first 2 shown]
	v_xor_b32_e32 v57, vcc_hi, v5
	v_xor_b32_e32 v5, vcc_lo, v5
	v_and_b32_e32 v7, v7, v5
	v_lshlrev_b32_e32 v5, 24, v6
	v_cmp_gt_i64_e32 vcc, 0, v[4:5]
	v_not_b32_e32 v4, v5
	v_ashrrev_i32_e32 v4, 31, v4
	v_xor_b32_e32 v5, vcc_hi, v4
	v_xor_b32_e32 v4, vcc_lo, v4
	; wave barrier
	ds_read_b32 v30, v55 offset:64
	v_and_b32_e32 v54, v54, v57
	v_and_b32_e32 v4, v7, v4
	;; [unrolled: 1-line block ×3, first 2 shown]
	v_mbcnt_lo_u32_b32 v6, v4, 0
	v_mbcnt_hi_u32_b32 v57, v5, v6
	v_cmp_eq_u32_e32 vcc, 0, v57
	v_cmp_ne_u64_e64 s[0:1], 0, v[4:5]
	v_add_u32_e32 v56, 64, v20
	s_and_b64 s[2:3], s[0:1], vcc
	; wave barrier
	s_and_saveexec_b64 s[0:1], s[2:3]
	s_cbranch_execz .LBB1378_49
; %bb.48:
	v_bcnt_u32_b32 v4, v4, 0
	v_bcnt_u32_b32 v4, v5, v4
	s_waitcnt lgkmcnt(0)
	v_add_u32_e32 v4, v30, v4
	ds_write_b32 v55, v4 offset:64
.LBB1378_49:
	s_or_b64 exec, exec, s[0:1]
	; wave barrier
	s_waitcnt lgkmcnt(0)
	s_barrier
	ds_read2_b32 v[6:7], v20 offset0:16 offset1:17
	ds_read2_b32 v[4:5], v56 offset0:2 offset1:3
	ds_read_b32 v54, v56 offset:16
	v_cmp_lt_u32_e64 s[10:11], 31, v13
	s_waitcnt lgkmcnt(1)
	v_add3_u32 v58, v7, v6, v4
	s_waitcnt lgkmcnt(0)
	v_add3_u32 v54, v58, v5, v54
	v_and_b32_e32 v58, 15, v13
	v_cmp_eq_u32_e32 vcc, 0, v58
	v_mov_b32_dpp v59, v54 row_shr:1 row_mask:0xf bank_mask:0xf
	v_cndmask_b32_e64 v59, v59, 0, vcc
	v_add_u32_e32 v54, v59, v54
	v_cmp_lt_u32_e64 s[0:1], 1, v58
	v_cmp_lt_u32_e64 s[2:3], 3, v58
	v_mov_b32_dpp v59, v54 row_shr:2 row_mask:0xf bank_mask:0xf
	v_cndmask_b32_e64 v59, 0, v59, s[0:1]
	v_add_u32_e32 v54, v54, v59
	v_cmp_lt_u32_e64 s[8:9], 7, v58
	s_nop 0
	v_mov_b32_dpp v59, v54 row_shr:4 row_mask:0xf bank_mask:0xf
	v_cndmask_b32_e64 v59, 0, v59, s[2:3]
	v_add_u32_e32 v54, v54, v59
	s_nop 1
	v_mov_b32_dpp v59, v54 row_shr:8 row_mask:0xf bank_mask:0xf
	v_cndmask_b32_e64 v58, 0, v59, s[8:9]
	v_add_u32_e32 v54, v54, v58
	v_bfe_i32 v59, v13, 4, 1
	s_nop 0
	v_mov_b32_dpp v58, v54 row_bcast:15 row_mask:0xf bank_mask:0xf
	v_and_b32_e32 v58, v59, v58
	v_add_u32_e32 v54, v54, v58
	v_lshrrev_b32_e32 v59, 6, v2
	s_nop 0
	v_mov_b32_dpp v58, v54 row_bcast:31 row_mask:0xf bank_mask:0xf
	v_cndmask_b32_e64 v58, 0, v58, s[10:11]
	v_add_u32_e32 v58, v54, v58
	v_and_b32_e32 v54, 63, v2
	v_cmp_eq_u32_e64 s[10:11], 63, v54
	s_and_saveexec_b64 s[22:23], s[10:11]
	s_cbranch_execz .LBB1378_51
; %bb.50:
	v_lshlrev_b32_e32 v54, 2, v59
	ds_write_b32 v54, v58
.LBB1378_51:
	s_or_b64 exec, exec, s[22:23]
	v_cmp_gt_u32_e64 s[10:11], 16, v2
	v_lshlrev_b32_e32 v54, 2, v2
	s_waitcnt lgkmcnt(0)
	s_barrier
	s_and_saveexec_b64 s[22:23], s[10:11]
	s_cbranch_execz .LBB1378_53
; %bb.52:
	ds_read_b32 v60, v54
	s_waitcnt lgkmcnt(0)
	s_nop 0
	v_mov_b32_dpp v61, v60 row_shr:1 row_mask:0xf bank_mask:0xf
	v_cndmask_b32_e64 v61, v61, 0, vcc
	v_add_u32_e32 v60, v61, v60
	s_nop 1
	v_mov_b32_dpp v61, v60 row_shr:2 row_mask:0xf bank_mask:0xf
	v_cndmask_b32_e64 v61, 0, v61, s[0:1]
	v_add_u32_e32 v60, v60, v61
	s_nop 1
	v_mov_b32_dpp v61, v60 row_shr:4 row_mask:0xf bank_mask:0xf
	v_cndmask_b32_e64 v61, 0, v61, s[2:3]
	;; [unrolled: 4-line block ×3, first 2 shown]
	v_add_u32_e32 v60, v60, v61
	ds_write_b32 v54, v60
.LBB1378_53:
	s_or_b64 exec, exec, s[22:23]
	v_cmp_lt_u32_e32 vcc, 63, v2
	v_mov_b32_e32 v60, 0
	s_waitcnt lgkmcnt(0)
	s_barrier
	s_and_saveexec_b64 s[0:1], vcc
	s_cbranch_execz .LBB1378_55
; %bb.54:
	v_lshl_add_u32 v59, v59, 2, -4
	ds_read_b32 v60, v59
.LBB1378_55:
	s_or_b64 exec, exec, s[0:1]
	v_add_u32_e32 v59, -1, v13
	v_and_b32_e32 v61, 64, v13
	v_cmp_lt_i32_e32 vcc, v59, v61
	v_cndmask_b32_e32 v59, v59, v13, vcc
	s_waitcnt lgkmcnt(0)
	v_add_u32_e32 v58, v60, v58
	v_lshlrev_b32_e32 v59, 2, v59
	ds_bpermute_b32 v58, v59, v58
	v_cmp_eq_u32_e32 vcc, 0, v13
	s_movk_i32 s0, 0x100
	s_waitcnt lgkmcnt(0)
	v_cndmask_b32_e32 v13, v58, v60, vcc
	v_cmp_ne_u32_e32 vcc, 0, v2
	v_cndmask_b32_e32 v13, 0, v13, vcc
	v_add_u32_e32 v6, v13, v6
	v_add_u32_e32 v7, v6, v7
	v_add_u32_e32 v4, v7, v4
	v_add_u32_e32 v5, v4, v5
	ds_write2_b32 v20, v13, v6 offset0:16 offset1:17
	ds_write2_b32 v56, v7, v4 offset0:2 offset1:3
	ds_write_b32 v56, v5 offset:16
	s_waitcnt lgkmcnt(0)
	s_barrier
	ds_read_b32 v60, v23 offset:64
	ds_read_b32 v59, v24 offset:64
	;; [unrolled: 1-line block ×12, first 2 shown]
	v_cmp_gt_u32_e32 vcc, s0, v2
                                        ; implicit-def: $vgpr13
                                        ; implicit-def: $vgpr20
	s_and_saveexec_b64 s[2:3], vcc
	s_cbranch_execz .LBB1378_59
; %bb.56:
	v_mul_u32_u24_e32 v13, 17, v2
	v_lshlrev_b32_e32 v34, 2, v13
	ds_read_b32 v13, v34 offset:64
	s_movk_i32 s0, 0xff
	v_cmp_ne_u32_e64 s[0:1], s0, v2
	v_mov_b32_e32 v20, 0x3000
	s_and_saveexec_b64 s[8:9], s[0:1]
	s_cbranch_execz .LBB1378_58
; %bb.57:
	ds_read_b32 v20, v34 offset:132
.LBB1378_58:
	s_or_b64 exec, exec, s[8:9]
	s_waitcnt lgkmcnt(0)
	v_sub_u32_e32 v20, v20, v13
.LBB1378_59:
	s_or_b64 exec, exec, s[2:3]
	v_add_u32_e32 v22, v25, v22
	s_waitcnt lgkmcnt(11)
	v_add_lshl_u32 v21, v60, v21, 1
	v_add_u32_e32 v26, v28, v26
	s_waitcnt lgkmcnt(0)
	s_barrier
	ds_write_b16 v21, v8 offset:1024
	v_add_lshl_u32 v8, v22, v59, 1
	v_add_u32_e32 v29, v32, v29
	ds_write_b16 v8, v3 offset:1024
	v_add_lshl_u32 v3, v26, v58, 1
	v_add_u32_e32 v33, v35, v33
	ds_write_b16 v3, v10 offset:1024
	v_add_lshl_u32 v3, v29, v56, 1
	v_add_u32_e32 v36, v38, v36
	ds_write_b16 v3, v9 offset:1024
	v_add_lshl_u32 v3, v33, v31, 1
	v_add_u32_e32 v39, v41, v39
	ds_write_b16 v3, v12 offset:1024
	v_add_lshl_u32 v3, v36, v27, 1
	v_add_u32_e32 v42, v44, v42
	ds_write_b16 v3, v11 offset:1024
	v_add_lshl_u32 v3, v39, v24, 1
	v_add_u32_e32 v40, v47, v45
	ds_write_b16 v3, v15 offset:1024
	v_add_lshl_u32 v3, v42, v23, 1
	v_add_u32_e32 v37, v50, v48
	ds_write_b16 v3, v14 offset:1024
	v_add_lshl_u32 v3, v40, v7, 1
	v_add_u32_e32 v34, v53, v51
	ds_write_b16 v3, v17 offset:1024
	v_add_lshl_u32 v3, v37, v6, 1
	v_add_u32_e32 v30, v57, v30
	ds_write_b16 v3, v16 offset:1024
	v_add_lshl_u32 v3, v34, v5, 1
	ds_write_b16 v3, v19 offset:1024
	v_add_lshl_u32 v3, v30, v4, 1
	ds_write_b16 v3, v18 offset:1024
	s_and_saveexec_b64 s[2:3], vcc
	s_cbranch_execz .LBB1378_69
; %bb.60:
	v_lshl_or_b32 v4, s6, 8, v2
	v_mov_b32_e32 v5, 0
	v_lshlrev_b64 v[6:7], 2, v[4:5]
	v_mov_b32_e32 v3, s25
	v_add_co_u32_e64 v6, s[0:1], s24, v6
	v_addc_co_u32_e64 v7, s[0:1], v3, v7, s[0:1]
	v_or_b32_e32 v4, 2.0, v20
	s_mov_b64 s[8:9], 0
	s_brev_b32 s29, 1
	s_mov_b32 s30, s6
	v_mov_b32_e32 v10, 0
	global_store_dword v[6:7], v4, off
                                        ; implicit-def: $sgpr0_sgpr1
	s_branch .LBB1378_62
.LBB1378_61:                            ;   in Loop: Header=BB1378_62 Depth=1
	s_or_b64 exec, exec, s[10:11]
	v_and_b32_e32 v8, 0x3fffffff, v11
	v_add_u32_e32 v10, v8, v10
	v_cmp_eq_u32_e64 s[0:1], s29, v4
	s_and_b64 s[10:11], exec, s[0:1]
	s_or_b64 s[8:9], s[10:11], s[8:9]
	s_andn2_b64 exec, exec, s[8:9]
	s_cbranch_execz .LBB1378_68
.LBB1378_62:                            ; =>This Loop Header: Depth=1
                                        ;     Child Loop BB1378_65 Depth 2
	s_or_b64 s[0:1], s[0:1], exec
	s_cmp_eq_u32 s30, 0
	s_cbranch_scc1 .LBB1378_67
; %bb.63:                               ;   in Loop: Header=BB1378_62 Depth=1
	s_add_i32 s30, s30, -1
	v_lshl_or_b32 v4, s30, 8, v2
	v_lshlrev_b64 v[8:9], 2, v[4:5]
	v_add_co_u32_e64 v8, s[0:1], s24, v8
	v_addc_co_u32_e64 v9, s[0:1], v3, v9, s[0:1]
	global_load_dword v11, v[8:9], off glc
	s_waitcnt vmcnt(0)
	v_and_b32_e32 v4, -2.0, v11
	v_cmp_eq_u32_e64 s[0:1], 0, v4
	s_and_saveexec_b64 s[10:11], s[0:1]
	s_cbranch_execz .LBB1378_61
; %bb.64:                               ;   in Loop: Header=BB1378_62 Depth=1
	s_mov_b64 s[22:23], 0
.LBB1378_65:                            ;   Parent Loop BB1378_62 Depth=1
                                        ; =>  This Inner Loop Header: Depth=2
	global_load_dword v11, v[8:9], off glc
	s_waitcnt vmcnt(0)
	v_and_b32_e32 v4, -2.0, v11
	v_cmp_ne_u32_e64 s[0:1], 0, v4
	s_or_b64 s[22:23], s[0:1], s[22:23]
	s_andn2_b64 exec, exec, s[22:23]
	s_cbranch_execnz .LBB1378_65
; %bb.66:                               ;   in Loop: Header=BB1378_62 Depth=1
	s_or_b64 exec, exec, s[22:23]
	s_branch .LBB1378_61
.LBB1378_67:                            ;   in Loop: Header=BB1378_62 Depth=1
                                        ; implicit-def: $sgpr30
	s_and_b64 s[10:11], exec, s[0:1]
	s_or_b64 s[8:9], s[10:11], s[8:9]
	s_andn2_b64 exec, exec, s[8:9]
	s_cbranch_execnz .LBB1378_62
.LBB1378_68:
	s_or_b64 exec, exec, s[8:9]
	v_add_u32_e32 v3, v10, v20
	v_or_b32_e32 v3, 0x80000000, v3
	global_store_dword v[6:7], v3, off
	global_load_dword v3, v54, s[12:13]
	v_sub_u32_e32 v4, v10, v13
	s_waitcnt vmcnt(0)
	v_add_u32_e32 v3, v4, v3
	ds_write_b32 v54, v3
.LBB1378_69:
	s_or_b64 exec, exec, s[2:3]
	v_cmp_gt_u32_e64 s[0:1], s7, v2
	v_lshlrev_b32_e32 v3, 1, v2
	s_waitcnt lgkmcnt(0)
	s_barrier
	s_and_saveexec_b64 s[2:3], s[0:1]
	s_cbranch_execz .LBB1378_71
; %bb.70:
	ds_read_u16 v6, v3 offset:1024
	v_mov_b32_e32 v5, 0
	v_mov_b32_e32 v7, s19
	s_waitcnt lgkmcnt(0)
	v_lshrrev_b32_sdwa v4, s20, v6 dst_sel:DWORD dst_unused:UNUSED_PAD src0_sel:DWORD src1_sel:WORD_0
	v_and_b32_e32 v4, s28, v4
	v_lshlrev_b32_e32 v4, 2, v4
	ds_read_b32 v4, v4
	s_waitcnt lgkmcnt(0)
	v_add_u32_e32 v4, v4, v2
	v_lshlrev_b64 v[4:5], 1, v[4:5]
	v_add_co_u32_e64 v4, s[0:1], s18, v4
	v_addc_co_u32_e64 v5, s[0:1], v7, v5, s[0:1]
	global_store_short v[4:5], v6, off
.LBB1378_71:
	s_or_b64 exec, exec, s[2:3]
	v_or_b32_e32 v4, 0x400, v2
	v_cmp_gt_u32_e64 s[0:1], s7, v4
	s_and_saveexec_b64 s[2:3], s[0:1]
	s_cbranch_execz .LBB1378_73
; %bb.72:
	ds_read_u16 v6, v3 offset:3072
	v_mov_b32_e32 v8, s19
	s_waitcnt lgkmcnt(0)
	v_lshrrev_b32_sdwa v5, s20, v6 dst_sel:DWORD dst_unused:UNUSED_PAD src0_sel:DWORD src1_sel:WORD_0
	v_and_b32_e32 v5, s28, v5
	v_lshlrev_b32_e32 v5, 2, v5
	ds_read_b32 v7, v5
	v_mov_b32_e32 v5, 0
	s_waitcnt lgkmcnt(0)
	v_add_u32_e32 v4, v7, v4
	v_lshlrev_b64 v[4:5], 1, v[4:5]
	v_add_co_u32_e64 v4, s[0:1], s18, v4
	v_addc_co_u32_e64 v5, s[0:1], v8, v5, s[0:1]
	global_store_short v[4:5], v6, off
.LBB1378_73:
	s_or_b64 exec, exec, s[2:3]
	v_or_b32_e32 v4, 0x800, v2
	v_cmp_gt_u32_e64 s[0:1], s7, v4
	s_and_saveexec_b64 s[2:3], s[0:1]
	s_cbranch_execz .LBB1378_75
; %bb.74:
	ds_read_u16 v6, v3 offset:5120
	v_mov_b32_e32 v8, s19
	s_waitcnt lgkmcnt(0)
	v_lshrrev_b32_sdwa v5, s20, v6 dst_sel:DWORD dst_unused:UNUSED_PAD src0_sel:DWORD src1_sel:WORD_0
	v_and_b32_e32 v5, s28, v5
	v_lshlrev_b32_e32 v5, 2, v5
	ds_read_b32 v7, v5
	v_mov_b32_e32 v5, 0
	s_waitcnt lgkmcnt(0)
	v_add_u32_e32 v4, v7, v4
	v_lshlrev_b64 v[4:5], 1, v[4:5]
	v_add_co_u32_e64 v4, s[0:1], s18, v4
	v_addc_co_u32_e64 v5, s[0:1], v8, v5, s[0:1]
	global_store_short v[4:5], v6, off
.LBB1378_75:
	;; [unrolled: 21-line block ×11, first 2 shown]
	s_or_b64 exec, exec, s[2:3]
	s_add_i32 s27, s27, -1
	s_cmp_eq_u32 s27, s6
	s_cselect_b64 s[0:1], -1, 0
	s_and_b64 s[2:3], vcc, s[0:1]
	s_mov_b64 s[0:1], 0
	s_mov_b64 s[10:11], 0
                                        ; implicit-def: $vgpr4
	s_and_saveexec_b64 s[8:9], s[2:3]
	s_xor_b64 s[2:3], exec, s[8:9]
; %bb.94:
	s_mov_b64 s[10:11], exec
	v_add_u32_e32 v4, v13, v20
	v_mov_b32_e32 v3, 0
; %bb.95:
	s_or_b64 exec, exec, s[2:3]
	s_and_b64 vcc, exec, s[0:1]
	s_cbranch_vccnz .LBB1378_97
	s_branch .LBB1378_146
.LBB1378_96:
	s_mov_b64 s[10:11], 0
                                        ; implicit-def: $vgpr4
                                        ; implicit-def: $vgpr2_vgpr3
	s_cbranch_execz .LBB1378_146
.LBB1378_97:
	s_mov_b32 s27, 0
	v_mbcnt_hi_u32_b32 v17, -1, v1
	s_lshl_b64 s[0:1], s[26:27], 1
	v_and_b32_e32 v1, 63, v17
	s_add_u32 s0, s16, s0
	v_lshlrev_b32_e32 v1, 1, v1
	v_add_co_u32_e32 v1, vcc, s0, v1
	s_load_dword s7, s[4:5], 0x58
	s_load_dword s0, s[4:5], 0x64
	v_and_b32_e32 v2, 0x3ff, v0
	s_addc_u32 s1, s17, s1
	v_and_b32_e32 v3, 0x3c0, v2
	v_mul_u32_u24_e32 v3, 12, v3
	v_mov_b32_e32 v5, s1
	s_add_u32 s1, s4, 0x58
	v_addc_co_u32_e32 v5, vcc, 0, v5, vcc
	v_lshlrev_b32_e32 v3, 1, v3
	s_addc_u32 s2, s5, 0
	s_waitcnt lgkmcnt(0)
	s_lshr_b32 s3, s0, 16
	v_add_co_u32_e32 v20, vcc, v1, v3
	s_cmp_lt_u32 s6, s7
	v_addc_co_u32_e32 v21, vcc, 0, v5, vcc
	s_cselect_b32 s0, 12, 18
	global_load_ushort v3, v[20:21], off
	s_add_u32 s0, s1, s0
	v_mov_b32_e32 v4, 0
	s_addc_u32 s1, s2, 0
	global_load_ushort v1, v4, s[0:1]
	v_mul_u32_u24_e32 v6, 5, v2
	v_lshlrev_b32_e32 v18, 2, v6
	ds_write2_b32 v18, v4, v4 offset0:16 offset1:17
	ds_write2_b32 v18, v4, v4 offset0:18 offset1:19
	ds_write_b32 v18, v4 offset:80
	global_load_ushort v16, v[20:21], off offset:128
	global_load_ushort v15, v[20:21], off offset:256
	;; [unrolled: 1-line block ×11, first 2 shown]
	v_bfe_u32 v5, v0, 10, 10
	v_bfe_u32 v0, v0, 20, 10
	s_lshl_b32 s0, -1, s21
	v_mad_u32_u24 v0, v0, s3, v5
	s_not_b32 s21, s0
	s_waitcnt lgkmcnt(0)
	s_barrier
	s_waitcnt lgkmcnt(0)
	; wave barrier
	s_waitcnt vmcnt(12)
	v_lshrrev_b32_sdwa v5, s20, v3 dst_sel:DWORD dst_unused:UNUSED_PAD src0_sel:DWORD src1_sel:WORD_0
	v_and_b32_e32 v20, s21, v5
	v_and_b32_e32 v21, 1, v20
	v_lshlrev_b32_e32 v5, 30, v20
	s_waitcnt vmcnt(11)
	v_mad_u64_u32 v[0:1], s[0:1], v0, v1, v[2:3]
	v_add_co_u32_e32 v1, vcc, -1, v21
	v_addc_co_u32_e64 v22, s[0:1], 0, -1, vcc
	v_cmp_ne_u32_e32 vcc, 0, v21
	v_cmp_gt_i64_e64 s[0:1], 0, v[4:5]
	v_not_b32_e32 v21, v5
	v_lshlrev_b32_e32 v5, 29, v20
	v_lshrrev_b32_e32 v26, 6, v0
	v_xor_b32_e32 v0, vcc_hi, v22
	v_xor_b32_e32 v1, vcc_lo, v1
	v_ashrrev_i32_e32 v21, 31, v21
	v_cmp_gt_i64_e32 vcc, 0, v[4:5]
	v_not_b32_e32 v22, v5
	v_lshlrev_b32_e32 v5, 28, v20
	v_and_b32_e32 v0, exec_hi, v0
	v_and_b32_e32 v1, exec_lo, v1
	v_xor_b32_e32 v23, s1, v21
	v_xor_b32_e32 v21, s0, v21
	v_ashrrev_i32_e32 v22, 31, v22
	v_cmp_gt_i64_e64 s[0:1], 0, v[4:5]
	v_not_b32_e32 v5, v5
	v_and_b32_e32 v0, v0, v23
	v_and_b32_e32 v1, v1, v21
	v_xor_b32_e32 v21, vcc_hi, v22
	v_xor_b32_e32 v22, vcc_lo, v22
	v_ashrrev_i32_e32 v5, 31, v5
	v_and_b32_e32 v0, v0, v21
	v_and_b32_e32 v1, v1, v22
	v_xor_b32_e32 v21, s1, v5
	v_xor_b32_e32 v5, s0, v5
	v_and_b32_e32 v1, v1, v5
	v_lshlrev_b32_e32 v5, 27, v20
	v_cmp_gt_i64_e32 vcc, 0, v[4:5]
	v_not_b32_e32 v5, v5
	v_ashrrev_i32_e32 v5, 31, v5
	v_and_b32_e32 v0, v0, v21
	v_xor_b32_e32 v21, vcc_hi, v5
	v_xor_b32_e32 v5, vcc_lo, v5
	v_and_b32_e32 v1, v1, v5
	v_lshlrev_b32_e32 v5, 26, v20
	v_cmp_gt_i64_e32 vcc, 0, v[4:5]
	v_not_b32_e32 v5, v5
	v_ashrrev_i32_e32 v5, 31, v5
	v_and_b32_e32 v0, v0, v21
	v_xor_b32_e32 v21, vcc_hi, v5
	v_xor_b32_e32 v5, vcc_lo, v5
	;; [unrolled: 8-line block ×3, first 2 shown]
	v_and_b32_e32 v0, v0, v21
	v_and_b32_e32 v21, v1, v5
	v_lshlrev_b32_e32 v5, 24, v20
	v_not_b32_e32 v1, v5
	v_cmp_gt_i64_e32 vcc, 0, v[4:5]
	v_ashrrev_i32_e32 v1, 31, v1
	v_mul_u32_u24_e32 v19, 17, v20
	v_xor_b32_e32 v5, vcc_hi, v1
	v_xor_b32_e32 v20, vcc_lo, v1
	v_and_b32_e32 v1, v0, v5
	v_and_b32_e32 v0, v21, v20
	v_mbcnt_lo_u32_b32 v5, v0, 0
	v_mbcnt_hi_u32_b32 v20, v1, v5
	v_cmp_eq_u32_e32 vcc, 0, v20
	v_cmp_ne_u64_e64 s[0:1], 0, v[0:1]
	v_add_lshl_u32 v19, v26, v19, 2
	s_and_b64 s[2:3], s[0:1], vcc
	s_and_saveexec_b64 s[0:1], s[2:3]
	s_cbranch_execz .LBB1378_99
; %bb.98:
	v_bcnt_u32_b32 v0, v0, 0
	v_bcnt_u32_b32 v0, v1, v0
	ds_write_b32 v19, v0 offset:64
.LBB1378_99:
	s_or_b64 exec, exec, s[0:1]
	s_waitcnt vmcnt(10)
	v_lshrrev_b32_sdwa v0, s20, v16 dst_sel:DWORD dst_unused:UNUSED_PAD src0_sel:DWORD src1_sel:WORD_0
	v_and_b32_e32 v0, s21, v0
	v_mul_u32_u24_e32 v1, 17, v0
	v_add_lshl_u32 v22, v26, v1, 2
	v_and_b32_e32 v1, 1, v0
	v_add_co_u32_e32 v5, vcc, -1, v1
	v_addc_co_u32_e64 v23, s[0:1], 0, -1, vcc
	v_cmp_ne_u32_e32 vcc, 0, v1
	v_xor_b32_e32 v5, vcc_lo, v5
	v_xor_b32_e32 v1, vcc_hi, v23
	v_and_b32_e32 v23, exec_lo, v5
	v_lshlrev_b32_e32 v5, 30, v0
	v_cmp_gt_i64_e32 vcc, 0, v[4:5]
	v_not_b32_e32 v5, v5
	v_ashrrev_i32_e32 v5, 31, v5
	v_xor_b32_e32 v24, vcc_hi, v5
	v_xor_b32_e32 v5, vcc_lo, v5
	v_and_b32_e32 v23, v23, v5
	v_lshlrev_b32_e32 v5, 29, v0
	v_cmp_gt_i64_e32 vcc, 0, v[4:5]
	v_not_b32_e32 v5, v5
	v_and_b32_e32 v1, exec_hi, v1
	v_ashrrev_i32_e32 v5, 31, v5
	v_and_b32_e32 v1, v1, v24
	v_xor_b32_e32 v24, vcc_hi, v5
	v_xor_b32_e32 v5, vcc_lo, v5
	v_and_b32_e32 v23, v23, v5
	v_lshlrev_b32_e32 v5, 28, v0
	v_cmp_gt_i64_e32 vcc, 0, v[4:5]
	v_not_b32_e32 v5, v5
	v_ashrrev_i32_e32 v5, 31, v5
	v_and_b32_e32 v1, v1, v24
	v_xor_b32_e32 v24, vcc_hi, v5
	v_xor_b32_e32 v5, vcc_lo, v5
	v_and_b32_e32 v23, v23, v5
	v_lshlrev_b32_e32 v5, 27, v0
	v_cmp_gt_i64_e32 vcc, 0, v[4:5]
	v_not_b32_e32 v5, v5
	;; [unrolled: 8-line block ×4, first 2 shown]
	v_ashrrev_i32_e32 v5, 31, v5
	v_and_b32_e32 v1, v1, v24
	v_xor_b32_e32 v24, vcc_hi, v5
	v_xor_b32_e32 v5, vcc_lo, v5
	v_and_b32_e32 v23, v23, v5
	v_lshlrev_b32_e32 v5, 24, v0
	v_not_b32_e32 v0, v5
	v_cmp_gt_i64_e32 vcc, 0, v[4:5]
	v_ashrrev_i32_e32 v0, 31, v0
	v_xor_b32_e32 v4, vcc_hi, v0
	v_xor_b32_e32 v0, vcc_lo, v0
	; wave barrier
	ds_read_b32 v21, v22 offset:64
	v_and_b32_e32 v1, v1, v24
	v_and_b32_e32 v0, v23, v0
	;; [unrolled: 1-line block ×3, first 2 shown]
	v_mbcnt_lo_u32_b32 v4, v0, 0
	v_mbcnt_hi_u32_b32 v23, v1, v4
	v_cmp_eq_u32_e32 vcc, 0, v23
	v_cmp_ne_u64_e64 s[0:1], 0, v[0:1]
	s_and_b64 s[2:3], s[0:1], vcc
	; wave barrier
	s_and_saveexec_b64 s[0:1], s[2:3]
	s_cbranch_execz .LBB1378_101
; %bb.100:
	v_bcnt_u32_b32 v0, v0, 0
	v_bcnt_u32_b32 v0, v1, v0
	s_waitcnt lgkmcnt(0)
	v_add_u32_e32 v0, v21, v0
	ds_write_b32 v22, v0 offset:64
.LBB1378_101:
	s_or_b64 exec, exec, s[0:1]
	s_waitcnt vmcnt(9)
	v_lshrrev_b32_sdwa v0, s20, v15 dst_sel:DWORD dst_unused:UNUSED_PAD src0_sel:DWORD src1_sel:WORD_0
	v_and_b32_e32 v4, s21, v0
	v_and_b32_e32 v1, 1, v4
	v_add_co_u32_e32 v5, vcc, -1, v1
	v_addc_co_u32_e64 v27, s[0:1], 0, -1, vcc
	v_cmp_ne_u32_e32 vcc, 0, v1
	v_mul_u32_u24_e32 v0, 17, v4
	v_xor_b32_e32 v1, vcc_hi, v27
	v_add_lshl_u32 v25, v26, v0, 2
	v_mov_b32_e32 v0, 0
	v_and_b32_e32 v27, exec_hi, v1
	v_lshlrev_b32_e32 v1, 30, v4
	v_xor_b32_e32 v5, vcc_lo, v5
	v_cmp_gt_i64_e32 vcc, 0, v[0:1]
	v_not_b32_e32 v1, v1
	v_ashrrev_i32_e32 v1, 31, v1
	v_and_b32_e32 v5, exec_lo, v5
	v_xor_b32_e32 v28, vcc_hi, v1
	v_xor_b32_e32 v1, vcc_lo, v1
	v_and_b32_e32 v5, v5, v1
	v_lshlrev_b32_e32 v1, 29, v4
	v_cmp_gt_i64_e32 vcc, 0, v[0:1]
	v_not_b32_e32 v1, v1
	v_ashrrev_i32_e32 v1, 31, v1
	v_and_b32_e32 v27, v27, v28
	v_xor_b32_e32 v28, vcc_hi, v1
	v_xor_b32_e32 v1, vcc_lo, v1
	v_and_b32_e32 v5, v5, v1
	v_lshlrev_b32_e32 v1, 28, v4
	v_cmp_gt_i64_e32 vcc, 0, v[0:1]
	v_not_b32_e32 v1, v1
	v_ashrrev_i32_e32 v1, 31, v1
	v_and_b32_e32 v27, v27, v28
	;; [unrolled: 8-line block ×5, first 2 shown]
	v_xor_b32_e32 v28, vcc_hi, v1
	v_xor_b32_e32 v1, vcc_lo, v1
	v_and_b32_e32 v27, v27, v28
	v_and_b32_e32 v28, v5, v1
	v_lshlrev_b32_e32 v1, 24, v4
	v_cmp_gt_i64_e32 vcc, 0, v[0:1]
	v_not_b32_e32 v1, v1
	v_ashrrev_i32_e32 v1, 31, v1
	v_xor_b32_e32 v4, vcc_hi, v1
	v_xor_b32_e32 v1, vcc_lo, v1
	; wave barrier
	ds_read_b32 v24, v25 offset:64
	v_and_b32_e32 v5, v27, v4
	v_and_b32_e32 v4, v28, v1
	v_mbcnt_lo_u32_b32 v1, v4, 0
	v_mbcnt_hi_u32_b32 v27, v5, v1
	v_cmp_eq_u32_e32 vcc, 0, v27
	v_cmp_ne_u64_e64 s[0:1], 0, v[4:5]
	s_and_b64 s[2:3], s[0:1], vcc
	; wave barrier
	s_and_saveexec_b64 s[0:1], s[2:3]
	s_cbranch_execz .LBB1378_103
; %bb.102:
	v_bcnt_u32_b32 v1, v4, 0
	v_bcnt_u32_b32 v1, v5, v1
	s_waitcnt lgkmcnt(0)
	v_add_u32_e32 v1, v24, v1
	ds_write_b32 v25, v1 offset:64
.LBB1378_103:
	s_or_b64 exec, exec, s[0:1]
	s_waitcnt vmcnt(8)
	v_lshrrev_b32_sdwa v1, s20, v14 dst_sel:DWORD dst_unused:UNUSED_PAD src0_sel:DWORD src1_sel:WORD_0
	v_and_b32_e32 v4, s21, v1
	v_mul_u32_u24_e32 v1, 17, v4
	v_add_lshl_u32 v29, v26, v1, 2
	v_and_b32_e32 v1, 1, v4
	v_add_co_u32_e32 v5, vcc, -1, v1
	v_addc_co_u32_e64 v30, s[0:1], 0, -1, vcc
	v_cmp_ne_u32_e32 vcc, 0, v1
	v_xor_b32_e32 v1, vcc_hi, v30
	v_and_b32_e32 v30, exec_hi, v1
	v_lshlrev_b32_e32 v1, 30, v4
	v_xor_b32_e32 v5, vcc_lo, v5
	v_cmp_gt_i64_e32 vcc, 0, v[0:1]
	v_not_b32_e32 v1, v1
	v_ashrrev_i32_e32 v1, 31, v1
	v_and_b32_e32 v5, exec_lo, v5
	v_xor_b32_e32 v31, vcc_hi, v1
	v_xor_b32_e32 v1, vcc_lo, v1
	v_and_b32_e32 v5, v5, v1
	v_lshlrev_b32_e32 v1, 29, v4
	v_cmp_gt_i64_e32 vcc, 0, v[0:1]
	v_not_b32_e32 v1, v1
	v_ashrrev_i32_e32 v1, 31, v1
	v_and_b32_e32 v30, v30, v31
	v_xor_b32_e32 v31, vcc_hi, v1
	v_xor_b32_e32 v1, vcc_lo, v1
	v_and_b32_e32 v5, v5, v1
	v_lshlrev_b32_e32 v1, 28, v4
	v_cmp_gt_i64_e32 vcc, 0, v[0:1]
	v_not_b32_e32 v1, v1
	v_ashrrev_i32_e32 v1, 31, v1
	v_and_b32_e32 v30, v30, v31
	;; [unrolled: 8-line block ×5, first 2 shown]
	v_xor_b32_e32 v31, vcc_hi, v1
	v_xor_b32_e32 v1, vcc_lo, v1
	v_and_b32_e32 v5, v5, v1
	v_lshlrev_b32_e32 v1, 24, v4
	v_cmp_gt_i64_e32 vcc, 0, v[0:1]
	v_not_b32_e32 v0, v1
	v_ashrrev_i32_e32 v0, 31, v0
	v_xor_b32_e32 v1, vcc_hi, v0
	v_xor_b32_e32 v0, vcc_lo, v0
	; wave barrier
	ds_read_b32 v28, v29 offset:64
	v_and_b32_e32 v30, v30, v31
	v_and_b32_e32 v0, v5, v0
	;; [unrolled: 1-line block ×3, first 2 shown]
	v_mbcnt_lo_u32_b32 v4, v0, 0
	v_mbcnt_hi_u32_b32 v30, v1, v4
	v_cmp_eq_u32_e32 vcc, 0, v30
	v_cmp_ne_u64_e64 s[0:1], 0, v[0:1]
	s_and_b64 s[2:3], s[0:1], vcc
	; wave barrier
	s_and_saveexec_b64 s[0:1], s[2:3]
	s_cbranch_execz .LBB1378_105
; %bb.104:
	v_bcnt_u32_b32 v0, v0, 0
	v_bcnt_u32_b32 v0, v1, v0
	s_waitcnt lgkmcnt(0)
	v_add_u32_e32 v0, v28, v0
	ds_write_b32 v29, v0 offset:64
.LBB1378_105:
	s_or_b64 exec, exec, s[0:1]
	s_waitcnt vmcnt(7)
	v_lshrrev_b32_sdwa v0, s20, v13 dst_sel:DWORD dst_unused:UNUSED_PAD src0_sel:DWORD src1_sel:WORD_0
	v_and_b32_e32 v4, s21, v0
	v_and_b32_e32 v1, 1, v4
	v_add_co_u32_e32 v5, vcc, -1, v1
	v_addc_co_u32_e64 v33, s[0:1], 0, -1, vcc
	v_cmp_ne_u32_e32 vcc, 0, v1
	v_mul_u32_u24_e32 v0, 17, v4
	v_xor_b32_e32 v1, vcc_hi, v33
	v_add_lshl_u32 v32, v26, v0, 2
	v_mov_b32_e32 v0, 0
	v_and_b32_e32 v33, exec_hi, v1
	v_lshlrev_b32_e32 v1, 30, v4
	v_xor_b32_e32 v5, vcc_lo, v5
	v_cmp_gt_i64_e32 vcc, 0, v[0:1]
	v_not_b32_e32 v1, v1
	v_ashrrev_i32_e32 v1, 31, v1
	v_and_b32_e32 v5, exec_lo, v5
	v_xor_b32_e32 v34, vcc_hi, v1
	v_xor_b32_e32 v1, vcc_lo, v1
	v_and_b32_e32 v5, v5, v1
	v_lshlrev_b32_e32 v1, 29, v4
	v_cmp_gt_i64_e32 vcc, 0, v[0:1]
	v_not_b32_e32 v1, v1
	v_ashrrev_i32_e32 v1, 31, v1
	v_and_b32_e32 v33, v33, v34
	v_xor_b32_e32 v34, vcc_hi, v1
	v_xor_b32_e32 v1, vcc_lo, v1
	v_and_b32_e32 v5, v5, v1
	v_lshlrev_b32_e32 v1, 28, v4
	v_cmp_gt_i64_e32 vcc, 0, v[0:1]
	v_not_b32_e32 v1, v1
	v_ashrrev_i32_e32 v1, 31, v1
	v_and_b32_e32 v33, v33, v34
	;; [unrolled: 8-line block ×5, first 2 shown]
	v_xor_b32_e32 v34, vcc_hi, v1
	v_xor_b32_e32 v1, vcc_lo, v1
	v_and_b32_e32 v33, v33, v34
	v_and_b32_e32 v34, v5, v1
	v_lshlrev_b32_e32 v1, 24, v4
	v_cmp_gt_i64_e32 vcc, 0, v[0:1]
	v_not_b32_e32 v1, v1
	v_ashrrev_i32_e32 v1, 31, v1
	v_xor_b32_e32 v4, vcc_hi, v1
	v_xor_b32_e32 v1, vcc_lo, v1
	; wave barrier
	ds_read_b32 v31, v32 offset:64
	v_and_b32_e32 v5, v33, v4
	v_and_b32_e32 v4, v34, v1
	v_mbcnt_lo_u32_b32 v1, v4, 0
	v_mbcnt_hi_u32_b32 v33, v5, v1
	v_cmp_eq_u32_e32 vcc, 0, v33
	v_cmp_ne_u64_e64 s[0:1], 0, v[4:5]
	s_and_b64 s[2:3], s[0:1], vcc
	; wave barrier
	s_and_saveexec_b64 s[0:1], s[2:3]
	s_cbranch_execz .LBB1378_107
; %bb.106:
	v_bcnt_u32_b32 v1, v4, 0
	v_bcnt_u32_b32 v1, v5, v1
	s_waitcnt lgkmcnt(0)
	v_add_u32_e32 v1, v31, v1
	ds_write_b32 v32, v1 offset:64
.LBB1378_107:
	s_or_b64 exec, exec, s[0:1]
	s_waitcnt vmcnt(6)
	v_lshrrev_b32_sdwa v1, s20, v12 dst_sel:DWORD dst_unused:UNUSED_PAD src0_sel:DWORD src1_sel:WORD_0
	v_and_b32_e32 v4, s21, v1
	v_mul_u32_u24_e32 v1, 17, v4
	v_add_lshl_u32 v35, v26, v1, 2
	v_and_b32_e32 v1, 1, v4
	v_add_co_u32_e32 v5, vcc, -1, v1
	v_addc_co_u32_e64 v36, s[0:1], 0, -1, vcc
	v_cmp_ne_u32_e32 vcc, 0, v1
	v_xor_b32_e32 v1, vcc_hi, v36
	v_and_b32_e32 v36, exec_hi, v1
	v_lshlrev_b32_e32 v1, 30, v4
	v_xor_b32_e32 v5, vcc_lo, v5
	v_cmp_gt_i64_e32 vcc, 0, v[0:1]
	v_not_b32_e32 v1, v1
	v_ashrrev_i32_e32 v1, 31, v1
	v_and_b32_e32 v5, exec_lo, v5
	v_xor_b32_e32 v37, vcc_hi, v1
	v_xor_b32_e32 v1, vcc_lo, v1
	v_and_b32_e32 v5, v5, v1
	v_lshlrev_b32_e32 v1, 29, v4
	v_cmp_gt_i64_e32 vcc, 0, v[0:1]
	v_not_b32_e32 v1, v1
	v_ashrrev_i32_e32 v1, 31, v1
	v_and_b32_e32 v36, v36, v37
	v_xor_b32_e32 v37, vcc_hi, v1
	v_xor_b32_e32 v1, vcc_lo, v1
	v_and_b32_e32 v5, v5, v1
	v_lshlrev_b32_e32 v1, 28, v4
	v_cmp_gt_i64_e32 vcc, 0, v[0:1]
	v_not_b32_e32 v1, v1
	v_ashrrev_i32_e32 v1, 31, v1
	v_and_b32_e32 v36, v36, v37
	;; [unrolled: 8-line block ×5, first 2 shown]
	v_xor_b32_e32 v37, vcc_hi, v1
	v_xor_b32_e32 v1, vcc_lo, v1
	v_and_b32_e32 v5, v5, v1
	v_lshlrev_b32_e32 v1, 24, v4
	v_cmp_gt_i64_e32 vcc, 0, v[0:1]
	v_not_b32_e32 v0, v1
	v_ashrrev_i32_e32 v0, 31, v0
	v_xor_b32_e32 v1, vcc_hi, v0
	v_xor_b32_e32 v0, vcc_lo, v0
	; wave barrier
	ds_read_b32 v34, v35 offset:64
	v_and_b32_e32 v36, v36, v37
	v_and_b32_e32 v0, v5, v0
	;; [unrolled: 1-line block ×3, first 2 shown]
	v_mbcnt_lo_u32_b32 v4, v0, 0
	v_mbcnt_hi_u32_b32 v36, v1, v4
	v_cmp_eq_u32_e32 vcc, 0, v36
	v_cmp_ne_u64_e64 s[0:1], 0, v[0:1]
	s_and_b64 s[2:3], s[0:1], vcc
	; wave barrier
	s_and_saveexec_b64 s[0:1], s[2:3]
	s_cbranch_execz .LBB1378_109
; %bb.108:
	v_bcnt_u32_b32 v0, v0, 0
	v_bcnt_u32_b32 v0, v1, v0
	s_waitcnt lgkmcnt(0)
	v_add_u32_e32 v0, v34, v0
	ds_write_b32 v35, v0 offset:64
.LBB1378_109:
	s_or_b64 exec, exec, s[0:1]
	s_waitcnt vmcnt(5)
	v_lshrrev_b32_sdwa v0, s20, v11 dst_sel:DWORD dst_unused:UNUSED_PAD src0_sel:DWORD src1_sel:WORD_0
	v_and_b32_e32 v4, s21, v0
	v_and_b32_e32 v1, 1, v4
	v_add_co_u32_e32 v5, vcc, -1, v1
	v_addc_co_u32_e64 v39, s[0:1], 0, -1, vcc
	v_cmp_ne_u32_e32 vcc, 0, v1
	v_mul_u32_u24_e32 v0, 17, v4
	v_xor_b32_e32 v1, vcc_hi, v39
	v_add_lshl_u32 v38, v26, v0, 2
	v_mov_b32_e32 v0, 0
	v_and_b32_e32 v39, exec_hi, v1
	v_lshlrev_b32_e32 v1, 30, v4
	v_xor_b32_e32 v5, vcc_lo, v5
	v_cmp_gt_i64_e32 vcc, 0, v[0:1]
	v_not_b32_e32 v1, v1
	v_ashrrev_i32_e32 v1, 31, v1
	v_and_b32_e32 v5, exec_lo, v5
	v_xor_b32_e32 v40, vcc_hi, v1
	v_xor_b32_e32 v1, vcc_lo, v1
	v_and_b32_e32 v5, v5, v1
	v_lshlrev_b32_e32 v1, 29, v4
	v_cmp_gt_i64_e32 vcc, 0, v[0:1]
	v_not_b32_e32 v1, v1
	v_ashrrev_i32_e32 v1, 31, v1
	v_and_b32_e32 v39, v39, v40
	v_xor_b32_e32 v40, vcc_hi, v1
	v_xor_b32_e32 v1, vcc_lo, v1
	v_and_b32_e32 v5, v5, v1
	v_lshlrev_b32_e32 v1, 28, v4
	v_cmp_gt_i64_e32 vcc, 0, v[0:1]
	v_not_b32_e32 v1, v1
	v_ashrrev_i32_e32 v1, 31, v1
	v_and_b32_e32 v39, v39, v40
	;; [unrolled: 8-line block ×5, first 2 shown]
	v_xor_b32_e32 v40, vcc_hi, v1
	v_xor_b32_e32 v1, vcc_lo, v1
	v_and_b32_e32 v39, v39, v40
	v_and_b32_e32 v40, v5, v1
	v_lshlrev_b32_e32 v1, 24, v4
	v_cmp_gt_i64_e32 vcc, 0, v[0:1]
	v_not_b32_e32 v1, v1
	v_ashrrev_i32_e32 v1, 31, v1
	v_xor_b32_e32 v4, vcc_hi, v1
	v_xor_b32_e32 v1, vcc_lo, v1
	; wave barrier
	ds_read_b32 v37, v38 offset:64
	v_and_b32_e32 v5, v39, v4
	v_and_b32_e32 v4, v40, v1
	v_mbcnt_lo_u32_b32 v1, v4, 0
	v_mbcnt_hi_u32_b32 v39, v5, v1
	v_cmp_eq_u32_e32 vcc, 0, v39
	v_cmp_ne_u64_e64 s[0:1], 0, v[4:5]
	s_and_b64 s[2:3], s[0:1], vcc
	; wave barrier
	s_and_saveexec_b64 s[0:1], s[2:3]
	s_cbranch_execz .LBB1378_111
; %bb.110:
	v_bcnt_u32_b32 v1, v4, 0
	v_bcnt_u32_b32 v1, v5, v1
	s_waitcnt lgkmcnt(0)
	v_add_u32_e32 v1, v37, v1
	ds_write_b32 v38, v1 offset:64
.LBB1378_111:
	s_or_b64 exec, exec, s[0:1]
	s_waitcnt vmcnt(4)
	v_lshrrev_b32_sdwa v1, s20, v10 dst_sel:DWORD dst_unused:UNUSED_PAD src0_sel:DWORD src1_sel:WORD_0
	v_and_b32_e32 v4, s21, v1
	v_mul_u32_u24_e32 v1, 17, v4
	v_add_lshl_u32 v41, v26, v1, 2
	v_and_b32_e32 v1, 1, v4
	v_add_co_u32_e32 v5, vcc, -1, v1
	v_addc_co_u32_e64 v42, s[0:1], 0, -1, vcc
	v_cmp_ne_u32_e32 vcc, 0, v1
	v_xor_b32_e32 v1, vcc_hi, v42
	v_and_b32_e32 v42, exec_hi, v1
	v_lshlrev_b32_e32 v1, 30, v4
	v_xor_b32_e32 v5, vcc_lo, v5
	v_cmp_gt_i64_e32 vcc, 0, v[0:1]
	v_not_b32_e32 v1, v1
	v_ashrrev_i32_e32 v1, 31, v1
	v_and_b32_e32 v5, exec_lo, v5
	v_xor_b32_e32 v43, vcc_hi, v1
	v_xor_b32_e32 v1, vcc_lo, v1
	v_and_b32_e32 v5, v5, v1
	v_lshlrev_b32_e32 v1, 29, v4
	v_cmp_gt_i64_e32 vcc, 0, v[0:1]
	v_not_b32_e32 v1, v1
	v_ashrrev_i32_e32 v1, 31, v1
	v_and_b32_e32 v42, v42, v43
	v_xor_b32_e32 v43, vcc_hi, v1
	v_xor_b32_e32 v1, vcc_lo, v1
	v_and_b32_e32 v5, v5, v1
	v_lshlrev_b32_e32 v1, 28, v4
	v_cmp_gt_i64_e32 vcc, 0, v[0:1]
	v_not_b32_e32 v1, v1
	v_ashrrev_i32_e32 v1, 31, v1
	v_and_b32_e32 v42, v42, v43
	;; [unrolled: 8-line block ×5, first 2 shown]
	v_xor_b32_e32 v43, vcc_hi, v1
	v_xor_b32_e32 v1, vcc_lo, v1
	v_and_b32_e32 v5, v5, v1
	v_lshlrev_b32_e32 v1, 24, v4
	v_cmp_gt_i64_e32 vcc, 0, v[0:1]
	v_not_b32_e32 v0, v1
	v_ashrrev_i32_e32 v0, 31, v0
	v_xor_b32_e32 v1, vcc_hi, v0
	v_xor_b32_e32 v0, vcc_lo, v0
	; wave barrier
	ds_read_b32 v40, v41 offset:64
	v_and_b32_e32 v42, v42, v43
	v_and_b32_e32 v0, v5, v0
	;; [unrolled: 1-line block ×3, first 2 shown]
	v_mbcnt_lo_u32_b32 v4, v0, 0
	v_mbcnt_hi_u32_b32 v42, v1, v4
	v_cmp_eq_u32_e32 vcc, 0, v42
	v_cmp_ne_u64_e64 s[0:1], 0, v[0:1]
	s_and_b64 s[2:3], s[0:1], vcc
	; wave barrier
	s_and_saveexec_b64 s[0:1], s[2:3]
	s_cbranch_execz .LBB1378_113
; %bb.112:
	v_bcnt_u32_b32 v0, v0, 0
	v_bcnt_u32_b32 v0, v1, v0
	s_waitcnt lgkmcnt(0)
	v_add_u32_e32 v0, v40, v0
	ds_write_b32 v41, v0 offset:64
.LBB1378_113:
	s_or_b64 exec, exec, s[0:1]
	s_waitcnt vmcnt(3)
	v_lshrrev_b32_sdwa v0, s20, v9 dst_sel:DWORD dst_unused:UNUSED_PAD src0_sel:DWORD src1_sel:WORD_0
	v_and_b32_e32 v4, s21, v0
	v_and_b32_e32 v1, 1, v4
	v_add_co_u32_e32 v5, vcc, -1, v1
	v_addc_co_u32_e64 v45, s[0:1], 0, -1, vcc
	v_cmp_ne_u32_e32 vcc, 0, v1
	v_mul_u32_u24_e32 v0, 17, v4
	v_xor_b32_e32 v1, vcc_hi, v45
	v_add_lshl_u32 v44, v26, v0, 2
	v_mov_b32_e32 v0, 0
	v_and_b32_e32 v45, exec_hi, v1
	v_lshlrev_b32_e32 v1, 30, v4
	v_xor_b32_e32 v5, vcc_lo, v5
	v_cmp_gt_i64_e32 vcc, 0, v[0:1]
	v_not_b32_e32 v1, v1
	v_ashrrev_i32_e32 v1, 31, v1
	v_and_b32_e32 v5, exec_lo, v5
	v_xor_b32_e32 v46, vcc_hi, v1
	v_xor_b32_e32 v1, vcc_lo, v1
	v_and_b32_e32 v5, v5, v1
	v_lshlrev_b32_e32 v1, 29, v4
	v_cmp_gt_i64_e32 vcc, 0, v[0:1]
	v_not_b32_e32 v1, v1
	v_ashrrev_i32_e32 v1, 31, v1
	v_and_b32_e32 v45, v45, v46
	v_xor_b32_e32 v46, vcc_hi, v1
	v_xor_b32_e32 v1, vcc_lo, v1
	v_and_b32_e32 v5, v5, v1
	v_lshlrev_b32_e32 v1, 28, v4
	v_cmp_gt_i64_e32 vcc, 0, v[0:1]
	v_not_b32_e32 v1, v1
	v_ashrrev_i32_e32 v1, 31, v1
	v_and_b32_e32 v45, v45, v46
	;; [unrolled: 8-line block ×5, first 2 shown]
	v_xor_b32_e32 v46, vcc_hi, v1
	v_xor_b32_e32 v1, vcc_lo, v1
	v_and_b32_e32 v45, v45, v46
	v_and_b32_e32 v46, v5, v1
	v_lshlrev_b32_e32 v1, 24, v4
	v_cmp_gt_i64_e32 vcc, 0, v[0:1]
	v_not_b32_e32 v1, v1
	v_ashrrev_i32_e32 v1, 31, v1
	v_xor_b32_e32 v4, vcc_hi, v1
	v_xor_b32_e32 v1, vcc_lo, v1
	; wave barrier
	ds_read_b32 v43, v44 offset:64
	v_and_b32_e32 v5, v45, v4
	v_and_b32_e32 v4, v46, v1
	v_mbcnt_lo_u32_b32 v1, v4, 0
	v_mbcnt_hi_u32_b32 v45, v5, v1
	v_cmp_eq_u32_e32 vcc, 0, v45
	v_cmp_ne_u64_e64 s[0:1], 0, v[4:5]
	s_and_b64 s[2:3], s[0:1], vcc
	; wave barrier
	s_and_saveexec_b64 s[0:1], s[2:3]
	s_cbranch_execz .LBB1378_115
; %bb.114:
	v_bcnt_u32_b32 v1, v4, 0
	v_bcnt_u32_b32 v1, v5, v1
	s_waitcnt lgkmcnt(0)
	v_add_u32_e32 v1, v43, v1
	ds_write_b32 v44, v1 offset:64
.LBB1378_115:
	s_or_b64 exec, exec, s[0:1]
	s_waitcnt vmcnt(2)
	v_lshrrev_b32_sdwa v1, s20, v8 dst_sel:DWORD dst_unused:UNUSED_PAD src0_sel:DWORD src1_sel:WORD_0
	v_and_b32_e32 v4, s21, v1
	v_mul_u32_u24_e32 v1, 17, v4
	v_add_lshl_u32 v47, v26, v1, 2
	v_and_b32_e32 v1, 1, v4
	v_add_co_u32_e32 v5, vcc, -1, v1
	v_addc_co_u32_e64 v48, s[0:1], 0, -1, vcc
	v_cmp_ne_u32_e32 vcc, 0, v1
	v_xor_b32_e32 v1, vcc_hi, v48
	v_and_b32_e32 v48, exec_hi, v1
	v_lshlrev_b32_e32 v1, 30, v4
	v_xor_b32_e32 v5, vcc_lo, v5
	v_cmp_gt_i64_e32 vcc, 0, v[0:1]
	v_not_b32_e32 v1, v1
	v_ashrrev_i32_e32 v1, 31, v1
	v_and_b32_e32 v5, exec_lo, v5
	v_xor_b32_e32 v49, vcc_hi, v1
	v_xor_b32_e32 v1, vcc_lo, v1
	v_and_b32_e32 v5, v5, v1
	v_lshlrev_b32_e32 v1, 29, v4
	v_cmp_gt_i64_e32 vcc, 0, v[0:1]
	v_not_b32_e32 v1, v1
	v_ashrrev_i32_e32 v1, 31, v1
	v_and_b32_e32 v48, v48, v49
	v_xor_b32_e32 v49, vcc_hi, v1
	v_xor_b32_e32 v1, vcc_lo, v1
	v_and_b32_e32 v5, v5, v1
	v_lshlrev_b32_e32 v1, 28, v4
	v_cmp_gt_i64_e32 vcc, 0, v[0:1]
	v_not_b32_e32 v1, v1
	v_ashrrev_i32_e32 v1, 31, v1
	v_and_b32_e32 v48, v48, v49
	;; [unrolled: 8-line block ×5, first 2 shown]
	v_xor_b32_e32 v49, vcc_hi, v1
	v_xor_b32_e32 v1, vcc_lo, v1
	v_and_b32_e32 v5, v5, v1
	v_lshlrev_b32_e32 v1, 24, v4
	v_cmp_gt_i64_e32 vcc, 0, v[0:1]
	v_not_b32_e32 v0, v1
	v_ashrrev_i32_e32 v0, 31, v0
	v_xor_b32_e32 v1, vcc_hi, v0
	v_xor_b32_e32 v0, vcc_lo, v0
	; wave barrier
	ds_read_b32 v46, v47 offset:64
	v_and_b32_e32 v48, v48, v49
	v_and_b32_e32 v0, v5, v0
	;; [unrolled: 1-line block ×3, first 2 shown]
	v_mbcnt_lo_u32_b32 v4, v0, 0
	v_mbcnt_hi_u32_b32 v48, v1, v4
	v_cmp_eq_u32_e32 vcc, 0, v48
	v_cmp_ne_u64_e64 s[0:1], 0, v[0:1]
	s_and_b64 s[2:3], s[0:1], vcc
	; wave barrier
	s_and_saveexec_b64 s[0:1], s[2:3]
	s_cbranch_execz .LBB1378_117
; %bb.116:
	v_bcnt_u32_b32 v0, v0, 0
	v_bcnt_u32_b32 v0, v1, v0
	s_waitcnt lgkmcnt(0)
	v_add_u32_e32 v0, v46, v0
	ds_write_b32 v47, v0 offset:64
.LBB1378_117:
	s_or_b64 exec, exec, s[0:1]
	s_waitcnt vmcnt(1)
	v_lshrrev_b32_sdwa v0, s20, v7 dst_sel:DWORD dst_unused:UNUSED_PAD src0_sel:DWORD src1_sel:WORD_0
	v_and_b32_e32 v4, s21, v0
	v_and_b32_e32 v1, 1, v4
	v_add_co_u32_e32 v5, vcc, -1, v1
	v_addc_co_u32_e64 v51, s[0:1], 0, -1, vcc
	v_cmp_ne_u32_e32 vcc, 0, v1
	v_mul_u32_u24_e32 v0, 17, v4
	v_xor_b32_e32 v1, vcc_hi, v51
	v_add_lshl_u32 v50, v26, v0, 2
	v_mov_b32_e32 v0, 0
	v_and_b32_e32 v51, exec_hi, v1
	v_lshlrev_b32_e32 v1, 30, v4
	v_xor_b32_e32 v5, vcc_lo, v5
	v_cmp_gt_i64_e32 vcc, 0, v[0:1]
	v_not_b32_e32 v1, v1
	v_ashrrev_i32_e32 v1, 31, v1
	v_and_b32_e32 v5, exec_lo, v5
	v_xor_b32_e32 v52, vcc_hi, v1
	v_xor_b32_e32 v1, vcc_lo, v1
	v_and_b32_e32 v5, v5, v1
	v_lshlrev_b32_e32 v1, 29, v4
	v_cmp_gt_i64_e32 vcc, 0, v[0:1]
	v_not_b32_e32 v1, v1
	v_ashrrev_i32_e32 v1, 31, v1
	v_and_b32_e32 v51, v51, v52
	v_xor_b32_e32 v52, vcc_hi, v1
	v_xor_b32_e32 v1, vcc_lo, v1
	v_and_b32_e32 v5, v5, v1
	v_lshlrev_b32_e32 v1, 28, v4
	v_cmp_gt_i64_e32 vcc, 0, v[0:1]
	v_not_b32_e32 v1, v1
	v_ashrrev_i32_e32 v1, 31, v1
	v_and_b32_e32 v51, v51, v52
	;; [unrolled: 8-line block ×5, first 2 shown]
	v_xor_b32_e32 v52, vcc_hi, v1
	v_xor_b32_e32 v1, vcc_lo, v1
	v_and_b32_e32 v51, v51, v52
	v_and_b32_e32 v52, v5, v1
	v_lshlrev_b32_e32 v1, 24, v4
	v_cmp_gt_i64_e32 vcc, 0, v[0:1]
	v_not_b32_e32 v1, v1
	v_ashrrev_i32_e32 v1, 31, v1
	v_xor_b32_e32 v4, vcc_hi, v1
	v_xor_b32_e32 v1, vcc_lo, v1
	; wave barrier
	ds_read_b32 v49, v50 offset:64
	v_and_b32_e32 v5, v51, v4
	v_and_b32_e32 v4, v52, v1
	v_mbcnt_lo_u32_b32 v1, v4, 0
	v_mbcnt_hi_u32_b32 v51, v5, v1
	v_cmp_eq_u32_e32 vcc, 0, v51
	v_cmp_ne_u64_e64 s[0:1], 0, v[4:5]
	s_and_b64 s[2:3], s[0:1], vcc
	; wave barrier
	s_and_saveexec_b64 s[0:1], s[2:3]
	s_cbranch_execz .LBB1378_119
; %bb.118:
	v_bcnt_u32_b32 v1, v4, 0
	v_bcnt_u32_b32 v1, v5, v1
	s_waitcnt lgkmcnt(0)
	v_add_u32_e32 v1, v49, v1
	ds_write_b32 v50, v1 offset:64
.LBB1378_119:
	s_or_b64 exec, exec, s[0:1]
	s_waitcnt vmcnt(0)
	v_lshrrev_b32_sdwa v1, s20, v6 dst_sel:DWORD dst_unused:UNUSED_PAD src0_sel:DWORD src1_sel:WORD_0
	v_and_b32_e32 v4, s21, v1
	v_mul_u32_u24_e32 v1, 17, v4
	v_add_lshl_u32 v53, v26, v1, 2
	v_and_b32_e32 v1, 1, v4
	v_add_co_u32_e32 v5, vcc, -1, v1
	v_addc_co_u32_e64 v26, s[0:1], 0, -1, vcc
	v_cmp_ne_u32_e32 vcc, 0, v1
	v_xor_b32_e32 v1, vcc_hi, v26
	v_and_b32_e32 v26, exec_hi, v1
	v_lshlrev_b32_e32 v1, 30, v4
	v_xor_b32_e32 v5, vcc_lo, v5
	v_cmp_gt_i64_e32 vcc, 0, v[0:1]
	v_not_b32_e32 v1, v1
	v_ashrrev_i32_e32 v1, 31, v1
	v_and_b32_e32 v5, exec_lo, v5
	v_xor_b32_e32 v55, vcc_hi, v1
	v_xor_b32_e32 v1, vcc_lo, v1
	v_and_b32_e32 v5, v5, v1
	v_lshlrev_b32_e32 v1, 29, v4
	v_cmp_gt_i64_e32 vcc, 0, v[0:1]
	v_not_b32_e32 v1, v1
	v_ashrrev_i32_e32 v1, 31, v1
	v_and_b32_e32 v26, v26, v55
	v_xor_b32_e32 v55, vcc_hi, v1
	v_xor_b32_e32 v1, vcc_lo, v1
	v_and_b32_e32 v5, v5, v1
	v_lshlrev_b32_e32 v1, 28, v4
	v_cmp_gt_i64_e32 vcc, 0, v[0:1]
	v_not_b32_e32 v1, v1
	v_ashrrev_i32_e32 v1, 31, v1
	v_and_b32_e32 v26, v26, v55
	;; [unrolled: 8-line block ×5, first 2 shown]
	v_xor_b32_e32 v55, vcc_hi, v1
	v_xor_b32_e32 v1, vcc_lo, v1
	v_and_b32_e32 v5, v5, v1
	v_lshlrev_b32_e32 v1, 24, v4
	v_cmp_gt_i64_e32 vcc, 0, v[0:1]
	v_not_b32_e32 v0, v1
	v_ashrrev_i32_e32 v0, 31, v0
	v_xor_b32_e32 v1, vcc_hi, v0
	v_xor_b32_e32 v0, vcc_lo, v0
	; wave barrier
	ds_read_b32 v52, v53 offset:64
	v_and_b32_e32 v26, v26, v55
	v_and_b32_e32 v0, v5, v0
	;; [unrolled: 1-line block ×3, first 2 shown]
	v_mbcnt_lo_u32_b32 v4, v0, 0
	v_mbcnt_hi_u32_b32 v55, v1, v4
	v_cmp_eq_u32_e32 vcc, 0, v55
	v_cmp_ne_u64_e64 s[0:1], 0, v[0:1]
	v_add_u32_e32 v54, 64, v18
	s_and_b64 s[2:3], s[0:1], vcc
	; wave barrier
	s_and_saveexec_b64 s[0:1], s[2:3]
	s_cbranch_execz .LBB1378_121
; %bb.120:
	v_bcnt_u32_b32 v0, v0, 0
	v_bcnt_u32_b32 v0, v1, v0
	s_waitcnt lgkmcnt(0)
	v_add_u32_e32 v0, v52, v0
	ds_write_b32 v53, v0 offset:64
.LBB1378_121:
	s_or_b64 exec, exec, s[0:1]
	; wave barrier
	s_waitcnt lgkmcnt(0)
	s_barrier
	ds_read2_b32 v[4:5], v18 offset0:16 offset1:17
	ds_read2_b32 v[0:1], v54 offset0:2 offset1:3
	ds_read_b32 v26, v54 offset:16
	v_cmp_lt_u32_e64 s[8:9], 31, v17
	s_waitcnt lgkmcnt(1)
	v_add3_u32 v56, v5, v4, v0
	s_waitcnt lgkmcnt(0)
	v_add3_u32 v26, v56, v1, v26
	v_and_b32_e32 v56, 15, v17
	v_cmp_eq_u32_e32 vcc, 0, v56
	v_mov_b32_dpp v57, v26 row_shr:1 row_mask:0xf bank_mask:0xf
	v_cndmask_b32_e64 v57, v57, 0, vcc
	v_add_u32_e32 v26, v57, v26
	v_cmp_lt_u32_e64 s[0:1], 1, v56
	v_cmp_lt_u32_e64 s[2:3], 3, v56
	v_mov_b32_dpp v57, v26 row_shr:2 row_mask:0xf bank_mask:0xf
	v_cndmask_b32_e64 v57, 0, v57, s[0:1]
	v_add_u32_e32 v26, v26, v57
	v_cmp_lt_u32_e64 s[4:5], 7, v56
	s_nop 0
	v_mov_b32_dpp v57, v26 row_shr:4 row_mask:0xf bank_mask:0xf
	v_cndmask_b32_e64 v57, 0, v57, s[2:3]
	v_add_u32_e32 v26, v26, v57
	s_nop 1
	v_mov_b32_dpp v57, v26 row_shr:8 row_mask:0xf bank_mask:0xf
	v_cndmask_b32_e64 v56, 0, v57, s[4:5]
	v_add_u32_e32 v26, v26, v56
	v_bfe_i32 v57, v17, 4, 1
	s_nop 0
	v_mov_b32_dpp v56, v26 row_bcast:15 row_mask:0xf bank_mask:0xf
	v_and_b32_e32 v56, v57, v56
	v_add_u32_e32 v26, v26, v56
	v_lshrrev_b32_e32 v57, 6, v2
	s_nop 0
	v_mov_b32_dpp v56, v26 row_bcast:31 row_mask:0xf bank_mask:0xf
	v_cndmask_b32_e64 v56, 0, v56, s[8:9]
	v_add_u32_e32 v56, v26, v56
	v_and_b32_e32 v26, 63, v2
	v_cmp_eq_u32_e64 s[8:9], 63, v26
	s_and_saveexec_b64 s[16:17], s[8:9]
	s_cbranch_execz .LBB1378_123
; %bb.122:
	v_lshlrev_b32_e32 v26, 2, v57
	ds_write_b32 v26, v56
.LBB1378_123:
	s_or_b64 exec, exec, s[16:17]
	v_cmp_gt_u32_e64 s[8:9], 16, v2
	v_lshlrev_b32_e32 v26, 2, v2
	s_waitcnt lgkmcnt(0)
	s_barrier
	s_and_saveexec_b64 s[16:17], s[8:9]
	s_cbranch_execz .LBB1378_125
; %bb.124:
	ds_read_b32 v58, v26
	s_waitcnt lgkmcnt(0)
	s_nop 0
	v_mov_b32_dpp v59, v58 row_shr:1 row_mask:0xf bank_mask:0xf
	v_cndmask_b32_e64 v59, v59, 0, vcc
	v_add_u32_e32 v58, v59, v58
	s_nop 1
	v_mov_b32_dpp v59, v58 row_shr:2 row_mask:0xf bank_mask:0xf
	v_cndmask_b32_e64 v59, 0, v59, s[0:1]
	v_add_u32_e32 v58, v58, v59
	s_nop 1
	v_mov_b32_dpp v59, v58 row_shr:4 row_mask:0xf bank_mask:0xf
	v_cndmask_b32_e64 v59, 0, v59, s[2:3]
	;; [unrolled: 4-line block ×3, first 2 shown]
	v_add_u32_e32 v58, v58, v59
	ds_write_b32 v26, v58
.LBB1378_125:
	s_or_b64 exec, exec, s[16:17]
	v_cmp_lt_u32_e32 vcc, 63, v2
	v_mov_b32_e32 v58, 0
	s_waitcnt lgkmcnt(0)
	s_barrier
	s_and_saveexec_b64 s[0:1], vcc
	s_cbranch_execz .LBB1378_127
; %bb.126:
	v_lshl_add_u32 v57, v57, 2, -4
	ds_read_b32 v58, v57
.LBB1378_127:
	s_or_b64 exec, exec, s[0:1]
	v_add_u32_e32 v57, -1, v17
	v_and_b32_e32 v59, 64, v17
	v_cmp_lt_i32_e32 vcc, v57, v59
	v_cndmask_b32_e32 v57, v57, v17, vcc
	s_waitcnt lgkmcnt(0)
	v_add_u32_e32 v56, v58, v56
	v_lshlrev_b32_e32 v57, 2, v57
	ds_bpermute_b32 v56, v57, v56
	v_cmp_eq_u32_e32 vcc, 0, v17
	s_movk_i32 s2, 0xff
	s_movk_i32 s3, 0x100
	v_cmp_lt_u32_e64 s[0:1], s2, v2
	s_waitcnt lgkmcnt(0)
	v_cndmask_b32_e32 v17, v56, v58, vcc
	v_cmp_ne_u32_e32 vcc, 0, v2
	v_cndmask_b32_e32 v17, 0, v17, vcc
	v_add_u32_e32 v4, v17, v4
	v_add_u32_e32 v5, v4, v5
	;; [unrolled: 1-line block ×4, first 2 shown]
	ds_write2_b32 v18, v17, v4 offset0:16 offset1:17
	ds_write2_b32 v54, v5, v0 offset0:2 offset1:3
	ds_write_b32 v54, v1 offset:16
	s_waitcnt lgkmcnt(0)
	s_barrier
	ds_read_b32 v58, v19 offset:64
	ds_read_b32 v57, v22 offset:64
	;; [unrolled: 1-line block ×12, first 2 shown]
	v_cmp_gt_u32_e32 vcc, s3, v2
                                        ; implicit-def: $vgpr17
                                        ; implicit-def: $vgpr18
	s_and_saveexec_b64 s[4:5], vcc
	s_cbranch_execz .LBB1378_131
; %bb.128:
	v_mul_u32_u24_e32 v17, 17, v2
	v_lshlrev_b32_e32 v32, 2, v17
	ds_read_b32 v17, v32 offset:64
	v_cmp_ne_u32_e64 s[2:3], s2, v2
	v_mov_b32_e32 v18, 0x3000
	s_and_saveexec_b64 s[8:9], s[2:3]
	s_cbranch_execz .LBB1378_130
; %bb.129:
	ds_read_b32 v18, v32 offset:132
.LBB1378_130:
	s_or_b64 exec, exec, s[8:9]
	s_waitcnt lgkmcnt(0)
	v_sub_u32_e32 v18, v18, v17
.LBB1378_131:
	s_or_b64 exec, exec, s[4:5]
	v_add_u32_e32 v21, v23, v21
	s_waitcnt lgkmcnt(11)
	v_add_lshl_u32 v20, v58, v20, 1
	v_add_u32_e32 v24, v27, v24
	s_waitcnt lgkmcnt(0)
	s_barrier
	ds_write_b16 v20, v3 offset:1024
	v_add_lshl_u32 v3, v21, v57, 1
	v_add_u32_e32 v28, v30, v28
	ds_write_b16 v3, v16 offset:1024
	v_add_lshl_u32 v3, v24, v56, 1
	v_add_u32_e32 v31, v33, v31
	ds_write_b16 v3, v15 offset:1024
	v_add_lshl_u32 v3, v28, v54, 1
	v_add_u32_e32 v34, v36, v34
	ds_write_b16 v3, v14 offset:1024
	v_add_lshl_u32 v3, v31, v29, 1
	v_add_u32_e32 v37, v39, v37
	ds_write_b16 v3, v13 offset:1024
	v_add_lshl_u32 v3, v34, v25, 1
	v_add_u32_e32 v40, v42, v40
	ds_write_b16 v3, v12 offset:1024
	v_add_lshl_u32 v3, v37, v22, 1
	v_add_u32_e32 v41, v45, v43
	ds_write_b16 v3, v11 offset:1024
	v_add_lshl_u32 v3, v40, v19, 1
	v_add_u32_e32 v32, v55, v52
	v_add_u32_e32 v35, v51, v49
	v_add_u32_e32 v38, v48, v46
	ds_write_b16 v3, v10 offset:1024
	v_add_lshl_u32 v3, v41, v5, 1
	ds_write_b16 v3, v9 offset:1024
	v_add_lshl_u32 v3, v38, v4, 1
	v_add_lshl_u32 v1, v35, v1, 1
	;; [unrolled: 1-line block ×3, first 2 shown]
	ds_write_b16 v3, v8 offset:1024
	ds_write_b16 v1, v7 offset:1024
	;; [unrolled: 1-line block ×3, first 2 shown]
	s_and_saveexec_b64 s[2:3], s[0:1]
	s_xor_b64 s[0:1], exec, s[2:3]
; %bb.132:
	v_mov_b32_e32 v3, 0
                                        ; implicit-def: $vgpr26
; %bb.133:
	s_andn2_saveexec_b64 s[2:3], s[0:1]
	s_cbranch_execz .LBB1378_143
; %bb.134:
	v_lshl_or_b32 v0, s6, 8, v2
	v_mov_b32_e32 v1, 0
	v_lshlrev_b64 v[4:5], 2, v[0:1]
	v_mov_b32_e32 v3, s25
	v_add_co_u32_e64 v4, s[0:1], s24, v4
	v_addc_co_u32_e64 v5, s[0:1], v3, v5, s[0:1]
	v_or_b32_e32 v0, 2.0, v18
	s_mov_b64 s[4:5], 0
	s_brev_b32 s22, 1
	s_mov_b32 s23, s6
	v_mov_b32_e32 v8, 0
	global_store_dword v[4:5], v0, off
                                        ; implicit-def: $sgpr0_sgpr1
	s_branch .LBB1378_137
.LBB1378_135:                           ;   in Loop: Header=BB1378_137 Depth=1
	s_or_b64 exec, exec, s[16:17]
.LBB1378_136:                           ;   in Loop: Header=BB1378_137 Depth=1
	s_or_b64 exec, exec, s[8:9]
	v_and_b32_e32 v6, 0x3fffffff, v9
	v_add_u32_e32 v8, v6, v8
	v_cmp_eq_u32_e64 s[0:1], s22, v0
	s_and_b64 s[8:9], exec, s[0:1]
	s_or_b64 s[4:5], s[8:9], s[4:5]
	s_andn2_b64 exec, exec, s[4:5]
	s_cbranch_execz .LBB1378_142
.LBB1378_137:                           ; =>This Loop Header: Depth=1
                                        ;     Child Loop BB1378_140 Depth 2
	s_or_b64 s[0:1], s[0:1], exec
	s_cmp_eq_u32 s23, 0
	s_cbranch_scc1 .LBB1378_141
; %bb.138:                              ;   in Loop: Header=BB1378_137 Depth=1
	s_add_i32 s23, s23, -1
	v_lshl_or_b32 v0, s23, 8, v2
	v_lshlrev_b64 v[6:7], 2, v[0:1]
	v_add_co_u32_e64 v6, s[0:1], s24, v6
	v_addc_co_u32_e64 v7, s[0:1], v3, v7, s[0:1]
	global_load_dword v9, v[6:7], off glc
	s_waitcnt vmcnt(0)
	v_and_b32_e32 v0, -2.0, v9
	v_cmp_eq_u32_e64 s[0:1], 0, v0
	s_and_saveexec_b64 s[8:9], s[0:1]
	s_cbranch_execz .LBB1378_136
; %bb.139:                              ;   in Loop: Header=BB1378_137 Depth=1
	s_mov_b64 s[16:17], 0
.LBB1378_140:                           ;   Parent Loop BB1378_137 Depth=1
                                        ; =>  This Inner Loop Header: Depth=2
	global_load_dword v9, v[6:7], off glc
	s_waitcnt vmcnt(0)
	v_and_b32_e32 v0, -2.0, v9
	v_cmp_ne_u32_e64 s[0:1], 0, v0
	s_or_b64 s[16:17], s[0:1], s[16:17]
	s_andn2_b64 exec, exec, s[16:17]
	s_cbranch_execnz .LBB1378_140
	s_branch .LBB1378_135
.LBB1378_141:                           ;   in Loop: Header=BB1378_137 Depth=1
                                        ; implicit-def: $sgpr23
	s_and_b64 s[8:9], exec, s[0:1]
	s_or_b64 s[4:5], s[8:9], s[4:5]
	s_andn2_b64 exec, exec, s[4:5]
	s_cbranch_execnz .LBB1378_137
.LBB1378_142:
	s_or_b64 exec, exec, s[4:5]
	v_add_u32_e32 v0, v8, v18
	v_or_b32_e32 v0, 0x80000000, v0
	global_store_dword v[4:5], v0, off
	global_load_dword v0, v26, s[12:13]
	v_sub_u32_e32 v1, v8, v17
	v_mov_b32_e32 v3, 0
	s_waitcnt vmcnt(0)
	v_add_u32_e32 v0, v1, v0
	ds_write_b32 v26, v0
.LBB1378_143:
	s_or_b64 exec, exec, s[2:3]
	v_lshlrev_b32_e32 v0, 1, v2
	s_waitcnt lgkmcnt(0)
	s_barrier
	v_lshlrev_b32_e32 v1, 1, v2
	ds_read_u16 v6, v0 offset:1024
	ds_read_u16 v7, v1 offset:3072
	;; [unrolled: 1-line block ×7, first 2 shown]
	s_waitcnt lgkmcnt(6)
	v_lshrrev_b32_sdwa v0, s20, v6 dst_sel:DWORD dst_unused:UNUSED_PAD src0_sel:DWORD src1_sel:WORD_0
	s_waitcnt lgkmcnt(4)
	v_lshrrev_b32_sdwa v5, s20, v8 dst_sel:DWORD dst_unused:UNUSED_PAD src0_sel:DWORD src1_sel:WORD_0
	v_and_b32_e32 v0, s21, v0
	v_lshrrev_b32_sdwa v4, s20, v7 dst_sel:DWORD dst_unused:UNUSED_PAD src0_sel:DWORD src1_sel:WORD_0
	v_and_b32_e32 v5, s21, v5
	v_lshlrev_b32_e32 v0, 2, v0
	v_and_b32_e32 v4, s21, v4
	v_lshlrev_b32_e32 v5, 2, v5
	v_lshlrev_b32_e32 v4, 2, v4
	ds_read_b32 v13, v5
	ds_read_b32 v0, v0
	ds_read_u16 v14, v1 offset:5120
	ds_read_u16 v15, v1 offset:9216
	;; [unrolled: 1-line block ×4, first 2 shown]
	ds_read_b32 v20, v4
	ds_read_u16 v21, v1 offset:21504
	s_waitcnt lgkmcnt(6)
	v_add_u32_e32 v0, v0, v2
	v_mov_b32_e32 v1, 0
	v_lshlrev_b64 v[4:5], 1, v[0:1]
	v_mov_b32_e32 v0, s19
	v_add_co_u32_e64 v4, s[0:1], s18, v4
	v_addc_co_u32_e64 v5, s[0:1], v0, v5, s[0:1]
	s_movk_i32 s0, 0x400
	s_waitcnt lgkmcnt(1)
	v_add3_u32 v0, v20, v2, s0
	global_store_short v[4:5], v6, off
	v_lshlrev_b64 v[4:5], 1, v[0:1]
	v_mov_b32_e32 v0, s19
	v_add_co_u32_e64 v4, s[0:1], s18, v4
	v_addc_co_u32_e64 v5, s[0:1], v0, v5, s[0:1]
	global_store_short v[4:5], v7, off
	v_lshrrev_b32_sdwa v0, s20, v14 dst_sel:DWORD dst_unused:UNUSED_PAD src0_sel:DWORD src1_sel:WORD_0
	v_lshrrev_b32_sdwa v6, s20, v16 dst_sel:DWORD dst_unused:UNUSED_PAD src0_sel:DWORD src1_sel:WORD_0
	;; [unrolled: 1-line block ×5, first 2 shown]
	s_waitcnt lgkmcnt(0)
	v_lshrrev_b32_sdwa v23, s20, v21 dst_sel:DWORD dst_unused:UNUSED_PAD src0_sel:DWORD src1_sel:WORD_0
	v_and_b32_e32 v0, s21, v0
	v_lshrrev_b32_sdwa v4, s20, v15 dst_sel:DWORD dst_unused:UNUSED_PAD src0_sel:DWORD src1_sel:WORD_0
	v_lshrrev_b32_sdwa v5, s20, v9 dst_sel:DWORD dst_unused:UNUSED_PAD src0_sel:DWORD src1_sel:WORD_0
	v_and_b32_e32 v6, s21, v6
	v_and_b32_e32 v7, s21, v7
	;; [unrolled: 1-line block ×5, first 2 shown]
	v_lshlrev_b32_e32 v0, 2, v0
	v_and_b32_e32 v4, s21, v4
	v_and_b32_e32 v5, s21, v5
	v_lshlrev_b32_e32 v6, 2, v6
	v_lshlrev_b32_e32 v7, 2, v7
	;; [unrolled: 1-line block ×5, first 2 shown]
	s_movk_i32 s0, 0x800
	v_lshlrev_b32_e32 v4, 2, v4
	v_lshlrev_b32_e32 v5, 2, v5
	ds_read_b32 v0, v0
	ds_read_b32 v24, v4
	;; [unrolled: 1-line block ×8, first 2 shown]
	s_waitcnt lgkmcnt(7)
	v_add3_u32 v0, v0, v2, s0
	v_lshlrev_b64 v[4:5], 1, v[0:1]
	v_mov_b32_e32 v0, s19
	v_add_co_u32_e64 v4, s[0:1], s18, v4
	v_addc_co_u32_e64 v5, s[0:1], v0, v5, s[0:1]
	s_movk_i32 s0, 0xc00
	v_add3_u32 v0, v13, v2, s0
	global_store_short v[4:5], v14, off
	v_lshlrev_b64 v[4:5], 1, v[0:1]
	v_mov_b32_e32 v0, s19
	v_add_co_u32_e64 v4, s[0:1], s18, v4
	v_addc_co_u32_e64 v5, s[0:1], v0, v5, s[0:1]
	s_movk_i32 s0, 0x1000
	s_waitcnt lgkmcnt(6)
	v_add3_u32 v0, v24, v2, s0
	global_store_short v[4:5], v8, off
	v_lshlrev_b64 v[4:5], 1, v[0:1]
	v_mov_b32_e32 v0, s19
	v_add_co_u32_e64 v4, s[0:1], s18, v4
	v_addc_co_u32_e64 v5, s[0:1], v0, v5, s[0:1]
	s_movk_i32 s0, 0x1400
	s_waitcnt lgkmcnt(5)
	;; [unrolled: 8-line block ×6, first 2 shown]
	v_add3_u32 v0, v22, v2, s0
	global_store_short v[4:5], v19, off
	v_lshlrev_b64 v[4:5], 1, v[0:1]
	v_mov_b32_e32 v0, s19
	v_add_co_u32_e64 v4, s[0:1], s18, v4
	v_lshrrev_b32_sdwa v6, s20, v12 dst_sel:DWORD dst_unused:UNUSED_PAD src0_sel:DWORD src1_sel:WORD_0
	v_addc_co_u32_e64 v5, s[0:1], v0, v5, s[0:1]
	v_and_b32_e32 v6, s21, v6
	s_movk_i32 s0, 0x2800
	v_lshlrev_b32_e32 v6, 2, v6
	s_waitcnt lgkmcnt(0)
	v_add3_u32 v0, v23, v2, s0
	ds_read_b32 v6, v6
	global_store_short v[4:5], v11, off
	v_lshlrev_b64 v[4:5], 1, v[0:1]
	v_mov_b32_e32 v0, s19
	v_add_co_u32_e64 v4, s[0:1], s18, v4
	v_addc_co_u32_e64 v5, s[0:1], v0, v5, s[0:1]
	s_movk_i32 s0, 0x2c00
	s_waitcnt lgkmcnt(0)
	v_add3_u32 v0, v6, v2, s0
	v_lshlrev_b64 v[0:1], 1, v[0:1]
	global_store_short v[4:5], v21, off
	v_mov_b32_e32 v4, s19
	v_add_co_u32_e64 v0, s[0:1], s18, v0
	s_add_i32 s7, s7, -1
	v_addc_co_u32_e64 v1, s[0:1], v4, v1, s[0:1]
	s_cmp_eq_u32 s7, s6
	s_cselect_b64 s[0:1], -1, 0
	s_and_b64 s[2:3], vcc, s[0:1]
	global_store_short v[0:1], v12, off
                                        ; implicit-def: $vgpr4
	s_and_saveexec_b64 s[0:1], s[2:3]
; %bb.144:
	v_add_u32_e32 v4, v17, v18
	s_or_b64 s[10:11], s[10:11], exec
; %bb.145:
	s_or_b64 exec, exec, s[0:1]
.LBB1378_146:
	s_and_saveexec_b64 s[0:1], s[10:11]
	s_cbranch_execnz .LBB1378_148
; %bb.147:
	s_endpgm
.LBB1378_148:
	v_lshlrev_b32_e32 v5, 2, v2
	v_lshlrev_b64 v[0:1], 2, v[2:3]
	ds_read_b32 v3, v5
	v_mov_b32_e32 v2, s15
	v_add_co_u32_e32 v0, vcc, s14, v0
	v_addc_co_u32_e32 v1, vcc, v2, v1, vcc
	s_waitcnt lgkmcnt(0)
	v_add_u32_e32 v2, v3, v4
	global_store_dword v[0:1], v2, off
	s_endpgm
	.section	.rodata,"a",@progbits
	.p2align	6, 0x0
	.amdhsa_kernel _ZN7rocprim17ROCPRIM_400000_NS6detail17trampoline_kernelINS0_14default_configENS1_35radix_sort_onesweep_config_selectorItNS0_10empty_typeEEEZZNS1_29radix_sort_onesweep_iterationIS3_Lb0EN6thrust23THRUST_200600_302600_NS6detail15normal_iteratorINS9_10device_ptrItEEEESE_PS5_SF_jNS0_19identity_decomposerENS1_16block_id_wrapperIjLb0EEEEE10hipError_tT1_PNSt15iterator_traitsISK_E10value_typeET2_T3_PNSL_ISQ_E10value_typeET4_T5_PSV_SW_PNS1_23onesweep_lookback_stateEbbT6_jjT7_P12ihipStream_tbENKUlT_T0_SK_SP_E_clISE_PtSF_SF_EEDaS13_S14_SK_SP_EUlS13_E_NS1_11comp_targetILNS1_3genE4ELNS1_11target_archE910ELNS1_3gpuE8ELNS1_3repE0EEENS1_47radix_sort_onesweep_sort_config_static_selectorELNS0_4arch9wavefront6targetE1EEEvSK_
		.amdhsa_group_segment_fixed_size 25608
		.amdhsa_private_segment_fixed_size 0
		.amdhsa_kernarg_size 344
		.amdhsa_user_sgpr_count 6
		.amdhsa_user_sgpr_private_segment_buffer 1
		.amdhsa_user_sgpr_dispatch_ptr 0
		.amdhsa_user_sgpr_queue_ptr 0
		.amdhsa_user_sgpr_kernarg_segment_ptr 1
		.amdhsa_user_sgpr_dispatch_id 0
		.amdhsa_user_sgpr_flat_scratch_init 0
		.amdhsa_user_sgpr_kernarg_preload_length 0
		.amdhsa_user_sgpr_kernarg_preload_offset 0
		.amdhsa_user_sgpr_private_segment_size 0
		.amdhsa_uses_dynamic_stack 0
		.amdhsa_system_sgpr_private_segment_wavefront_offset 0
		.amdhsa_system_sgpr_workgroup_id_x 1
		.amdhsa_system_sgpr_workgroup_id_y 0
		.amdhsa_system_sgpr_workgroup_id_z 0
		.amdhsa_system_sgpr_workgroup_info 0
		.amdhsa_system_vgpr_workitem_id 2
		.amdhsa_next_free_vgpr 62
		.amdhsa_next_free_sgpr 31
		.amdhsa_accum_offset 64
		.amdhsa_reserve_vcc 1
		.amdhsa_reserve_flat_scratch 0
		.amdhsa_float_round_mode_32 0
		.amdhsa_float_round_mode_16_64 0
		.amdhsa_float_denorm_mode_32 3
		.amdhsa_float_denorm_mode_16_64 3
		.amdhsa_dx10_clamp 1
		.amdhsa_ieee_mode 1
		.amdhsa_fp16_overflow 0
		.amdhsa_tg_split 0
		.amdhsa_exception_fp_ieee_invalid_op 0
		.amdhsa_exception_fp_denorm_src 0
		.amdhsa_exception_fp_ieee_div_zero 0
		.amdhsa_exception_fp_ieee_overflow 0
		.amdhsa_exception_fp_ieee_underflow 0
		.amdhsa_exception_fp_ieee_inexact 0
		.amdhsa_exception_int_div_zero 0
	.end_amdhsa_kernel
	.section	.text._ZN7rocprim17ROCPRIM_400000_NS6detail17trampoline_kernelINS0_14default_configENS1_35radix_sort_onesweep_config_selectorItNS0_10empty_typeEEEZZNS1_29radix_sort_onesweep_iterationIS3_Lb0EN6thrust23THRUST_200600_302600_NS6detail15normal_iteratorINS9_10device_ptrItEEEESE_PS5_SF_jNS0_19identity_decomposerENS1_16block_id_wrapperIjLb0EEEEE10hipError_tT1_PNSt15iterator_traitsISK_E10value_typeET2_T3_PNSL_ISQ_E10value_typeET4_T5_PSV_SW_PNS1_23onesweep_lookback_stateEbbT6_jjT7_P12ihipStream_tbENKUlT_T0_SK_SP_E_clISE_PtSF_SF_EEDaS13_S14_SK_SP_EUlS13_E_NS1_11comp_targetILNS1_3genE4ELNS1_11target_archE910ELNS1_3gpuE8ELNS1_3repE0EEENS1_47radix_sort_onesweep_sort_config_static_selectorELNS0_4arch9wavefront6targetE1EEEvSK_,"axG",@progbits,_ZN7rocprim17ROCPRIM_400000_NS6detail17trampoline_kernelINS0_14default_configENS1_35radix_sort_onesweep_config_selectorItNS0_10empty_typeEEEZZNS1_29radix_sort_onesweep_iterationIS3_Lb0EN6thrust23THRUST_200600_302600_NS6detail15normal_iteratorINS9_10device_ptrItEEEESE_PS5_SF_jNS0_19identity_decomposerENS1_16block_id_wrapperIjLb0EEEEE10hipError_tT1_PNSt15iterator_traitsISK_E10value_typeET2_T3_PNSL_ISQ_E10value_typeET4_T5_PSV_SW_PNS1_23onesweep_lookback_stateEbbT6_jjT7_P12ihipStream_tbENKUlT_T0_SK_SP_E_clISE_PtSF_SF_EEDaS13_S14_SK_SP_EUlS13_E_NS1_11comp_targetILNS1_3genE4ELNS1_11target_archE910ELNS1_3gpuE8ELNS1_3repE0EEENS1_47radix_sort_onesweep_sort_config_static_selectorELNS0_4arch9wavefront6targetE1EEEvSK_,comdat
.Lfunc_end1378:
	.size	_ZN7rocprim17ROCPRIM_400000_NS6detail17trampoline_kernelINS0_14default_configENS1_35radix_sort_onesweep_config_selectorItNS0_10empty_typeEEEZZNS1_29radix_sort_onesweep_iterationIS3_Lb0EN6thrust23THRUST_200600_302600_NS6detail15normal_iteratorINS9_10device_ptrItEEEESE_PS5_SF_jNS0_19identity_decomposerENS1_16block_id_wrapperIjLb0EEEEE10hipError_tT1_PNSt15iterator_traitsISK_E10value_typeET2_T3_PNSL_ISQ_E10value_typeET4_T5_PSV_SW_PNS1_23onesweep_lookback_stateEbbT6_jjT7_P12ihipStream_tbENKUlT_T0_SK_SP_E_clISE_PtSF_SF_EEDaS13_S14_SK_SP_EUlS13_E_NS1_11comp_targetILNS1_3genE4ELNS1_11target_archE910ELNS1_3gpuE8ELNS1_3repE0EEENS1_47radix_sort_onesweep_sort_config_static_selectorELNS0_4arch9wavefront6targetE1EEEvSK_, .Lfunc_end1378-_ZN7rocprim17ROCPRIM_400000_NS6detail17trampoline_kernelINS0_14default_configENS1_35radix_sort_onesweep_config_selectorItNS0_10empty_typeEEEZZNS1_29radix_sort_onesweep_iterationIS3_Lb0EN6thrust23THRUST_200600_302600_NS6detail15normal_iteratorINS9_10device_ptrItEEEESE_PS5_SF_jNS0_19identity_decomposerENS1_16block_id_wrapperIjLb0EEEEE10hipError_tT1_PNSt15iterator_traitsISK_E10value_typeET2_T3_PNSL_ISQ_E10value_typeET4_T5_PSV_SW_PNS1_23onesweep_lookback_stateEbbT6_jjT7_P12ihipStream_tbENKUlT_T0_SK_SP_E_clISE_PtSF_SF_EEDaS13_S14_SK_SP_EUlS13_E_NS1_11comp_targetILNS1_3genE4ELNS1_11target_archE910ELNS1_3gpuE8ELNS1_3repE0EEENS1_47radix_sort_onesweep_sort_config_static_selectorELNS0_4arch9wavefront6targetE1EEEvSK_
                                        ; -- End function
	.section	.AMDGPU.csdata,"",@progbits
; Kernel info:
; codeLenInByte = 15196
; NumSgprs: 35
; NumVgprs: 62
; NumAgprs: 0
; TotalNumVgprs: 62
; ScratchSize: 0
; MemoryBound: 0
; FloatMode: 240
; IeeeMode: 1
; LDSByteSize: 25608 bytes/workgroup (compile time only)
; SGPRBlocks: 4
; VGPRBlocks: 7
; NumSGPRsForWavesPerEU: 35
; NumVGPRsForWavesPerEU: 62
; AccumOffset: 64
; Occupancy: 8
; WaveLimiterHint : 1
; COMPUTE_PGM_RSRC2:SCRATCH_EN: 0
; COMPUTE_PGM_RSRC2:USER_SGPR: 6
; COMPUTE_PGM_RSRC2:TRAP_HANDLER: 0
; COMPUTE_PGM_RSRC2:TGID_X_EN: 1
; COMPUTE_PGM_RSRC2:TGID_Y_EN: 0
; COMPUTE_PGM_RSRC2:TGID_Z_EN: 0
; COMPUTE_PGM_RSRC2:TIDIG_COMP_CNT: 2
; COMPUTE_PGM_RSRC3_GFX90A:ACCUM_OFFSET: 15
; COMPUTE_PGM_RSRC3_GFX90A:TG_SPLIT: 0
	.section	.text._ZN7rocprim17ROCPRIM_400000_NS6detail17trampoline_kernelINS0_14default_configENS1_35radix_sort_onesweep_config_selectorItNS0_10empty_typeEEEZZNS1_29radix_sort_onesweep_iterationIS3_Lb0EN6thrust23THRUST_200600_302600_NS6detail15normal_iteratorINS9_10device_ptrItEEEESE_PS5_SF_jNS0_19identity_decomposerENS1_16block_id_wrapperIjLb0EEEEE10hipError_tT1_PNSt15iterator_traitsISK_E10value_typeET2_T3_PNSL_ISQ_E10value_typeET4_T5_PSV_SW_PNS1_23onesweep_lookback_stateEbbT6_jjT7_P12ihipStream_tbENKUlT_T0_SK_SP_E_clISE_PtSF_SF_EEDaS13_S14_SK_SP_EUlS13_E_NS1_11comp_targetILNS1_3genE3ELNS1_11target_archE908ELNS1_3gpuE7ELNS1_3repE0EEENS1_47radix_sort_onesweep_sort_config_static_selectorELNS0_4arch9wavefront6targetE1EEEvSK_,"axG",@progbits,_ZN7rocprim17ROCPRIM_400000_NS6detail17trampoline_kernelINS0_14default_configENS1_35radix_sort_onesweep_config_selectorItNS0_10empty_typeEEEZZNS1_29radix_sort_onesweep_iterationIS3_Lb0EN6thrust23THRUST_200600_302600_NS6detail15normal_iteratorINS9_10device_ptrItEEEESE_PS5_SF_jNS0_19identity_decomposerENS1_16block_id_wrapperIjLb0EEEEE10hipError_tT1_PNSt15iterator_traitsISK_E10value_typeET2_T3_PNSL_ISQ_E10value_typeET4_T5_PSV_SW_PNS1_23onesweep_lookback_stateEbbT6_jjT7_P12ihipStream_tbENKUlT_T0_SK_SP_E_clISE_PtSF_SF_EEDaS13_S14_SK_SP_EUlS13_E_NS1_11comp_targetILNS1_3genE3ELNS1_11target_archE908ELNS1_3gpuE7ELNS1_3repE0EEENS1_47radix_sort_onesweep_sort_config_static_selectorELNS0_4arch9wavefront6targetE1EEEvSK_,comdat
	.protected	_ZN7rocprim17ROCPRIM_400000_NS6detail17trampoline_kernelINS0_14default_configENS1_35radix_sort_onesweep_config_selectorItNS0_10empty_typeEEEZZNS1_29radix_sort_onesweep_iterationIS3_Lb0EN6thrust23THRUST_200600_302600_NS6detail15normal_iteratorINS9_10device_ptrItEEEESE_PS5_SF_jNS0_19identity_decomposerENS1_16block_id_wrapperIjLb0EEEEE10hipError_tT1_PNSt15iterator_traitsISK_E10value_typeET2_T3_PNSL_ISQ_E10value_typeET4_T5_PSV_SW_PNS1_23onesweep_lookback_stateEbbT6_jjT7_P12ihipStream_tbENKUlT_T0_SK_SP_E_clISE_PtSF_SF_EEDaS13_S14_SK_SP_EUlS13_E_NS1_11comp_targetILNS1_3genE3ELNS1_11target_archE908ELNS1_3gpuE7ELNS1_3repE0EEENS1_47radix_sort_onesweep_sort_config_static_selectorELNS0_4arch9wavefront6targetE1EEEvSK_ ; -- Begin function _ZN7rocprim17ROCPRIM_400000_NS6detail17trampoline_kernelINS0_14default_configENS1_35radix_sort_onesweep_config_selectorItNS0_10empty_typeEEEZZNS1_29radix_sort_onesweep_iterationIS3_Lb0EN6thrust23THRUST_200600_302600_NS6detail15normal_iteratorINS9_10device_ptrItEEEESE_PS5_SF_jNS0_19identity_decomposerENS1_16block_id_wrapperIjLb0EEEEE10hipError_tT1_PNSt15iterator_traitsISK_E10value_typeET2_T3_PNSL_ISQ_E10value_typeET4_T5_PSV_SW_PNS1_23onesweep_lookback_stateEbbT6_jjT7_P12ihipStream_tbENKUlT_T0_SK_SP_E_clISE_PtSF_SF_EEDaS13_S14_SK_SP_EUlS13_E_NS1_11comp_targetILNS1_3genE3ELNS1_11target_archE908ELNS1_3gpuE7ELNS1_3repE0EEENS1_47radix_sort_onesweep_sort_config_static_selectorELNS0_4arch9wavefront6targetE1EEEvSK_
	.globl	_ZN7rocprim17ROCPRIM_400000_NS6detail17trampoline_kernelINS0_14default_configENS1_35radix_sort_onesweep_config_selectorItNS0_10empty_typeEEEZZNS1_29radix_sort_onesweep_iterationIS3_Lb0EN6thrust23THRUST_200600_302600_NS6detail15normal_iteratorINS9_10device_ptrItEEEESE_PS5_SF_jNS0_19identity_decomposerENS1_16block_id_wrapperIjLb0EEEEE10hipError_tT1_PNSt15iterator_traitsISK_E10value_typeET2_T3_PNSL_ISQ_E10value_typeET4_T5_PSV_SW_PNS1_23onesweep_lookback_stateEbbT6_jjT7_P12ihipStream_tbENKUlT_T0_SK_SP_E_clISE_PtSF_SF_EEDaS13_S14_SK_SP_EUlS13_E_NS1_11comp_targetILNS1_3genE3ELNS1_11target_archE908ELNS1_3gpuE7ELNS1_3repE0EEENS1_47radix_sort_onesweep_sort_config_static_selectorELNS0_4arch9wavefront6targetE1EEEvSK_
	.p2align	8
	.type	_ZN7rocprim17ROCPRIM_400000_NS6detail17trampoline_kernelINS0_14default_configENS1_35radix_sort_onesweep_config_selectorItNS0_10empty_typeEEEZZNS1_29radix_sort_onesweep_iterationIS3_Lb0EN6thrust23THRUST_200600_302600_NS6detail15normal_iteratorINS9_10device_ptrItEEEESE_PS5_SF_jNS0_19identity_decomposerENS1_16block_id_wrapperIjLb0EEEEE10hipError_tT1_PNSt15iterator_traitsISK_E10value_typeET2_T3_PNSL_ISQ_E10value_typeET4_T5_PSV_SW_PNS1_23onesweep_lookback_stateEbbT6_jjT7_P12ihipStream_tbENKUlT_T0_SK_SP_E_clISE_PtSF_SF_EEDaS13_S14_SK_SP_EUlS13_E_NS1_11comp_targetILNS1_3genE3ELNS1_11target_archE908ELNS1_3gpuE7ELNS1_3repE0EEENS1_47radix_sort_onesweep_sort_config_static_selectorELNS0_4arch9wavefront6targetE1EEEvSK_,@function
_ZN7rocprim17ROCPRIM_400000_NS6detail17trampoline_kernelINS0_14default_configENS1_35radix_sort_onesweep_config_selectorItNS0_10empty_typeEEEZZNS1_29radix_sort_onesweep_iterationIS3_Lb0EN6thrust23THRUST_200600_302600_NS6detail15normal_iteratorINS9_10device_ptrItEEEESE_PS5_SF_jNS0_19identity_decomposerENS1_16block_id_wrapperIjLb0EEEEE10hipError_tT1_PNSt15iterator_traitsISK_E10value_typeET2_T3_PNSL_ISQ_E10value_typeET4_T5_PSV_SW_PNS1_23onesweep_lookback_stateEbbT6_jjT7_P12ihipStream_tbENKUlT_T0_SK_SP_E_clISE_PtSF_SF_EEDaS13_S14_SK_SP_EUlS13_E_NS1_11comp_targetILNS1_3genE3ELNS1_11target_archE908ELNS1_3gpuE7ELNS1_3repE0EEENS1_47radix_sort_onesweep_sort_config_static_selectorELNS0_4arch9wavefront6targetE1EEEvSK_: ; @_ZN7rocprim17ROCPRIM_400000_NS6detail17trampoline_kernelINS0_14default_configENS1_35radix_sort_onesweep_config_selectorItNS0_10empty_typeEEEZZNS1_29radix_sort_onesweep_iterationIS3_Lb0EN6thrust23THRUST_200600_302600_NS6detail15normal_iteratorINS9_10device_ptrItEEEESE_PS5_SF_jNS0_19identity_decomposerENS1_16block_id_wrapperIjLb0EEEEE10hipError_tT1_PNSt15iterator_traitsISK_E10value_typeET2_T3_PNSL_ISQ_E10value_typeET4_T5_PSV_SW_PNS1_23onesweep_lookback_stateEbbT6_jjT7_P12ihipStream_tbENKUlT_T0_SK_SP_E_clISE_PtSF_SF_EEDaS13_S14_SK_SP_EUlS13_E_NS1_11comp_targetILNS1_3genE3ELNS1_11target_archE908ELNS1_3gpuE7ELNS1_3repE0EEENS1_47radix_sort_onesweep_sort_config_static_selectorELNS0_4arch9wavefront6targetE1EEEvSK_
; %bb.0:
	.section	.rodata,"a",@progbits
	.p2align	6, 0x0
	.amdhsa_kernel _ZN7rocprim17ROCPRIM_400000_NS6detail17trampoline_kernelINS0_14default_configENS1_35radix_sort_onesweep_config_selectorItNS0_10empty_typeEEEZZNS1_29radix_sort_onesweep_iterationIS3_Lb0EN6thrust23THRUST_200600_302600_NS6detail15normal_iteratorINS9_10device_ptrItEEEESE_PS5_SF_jNS0_19identity_decomposerENS1_16block_id_wrapperIjLb0EEEEE10hipError_tT1_PNSt15iterator_traitsISK_E10value_typeET2_T3_PNSL_ISQ_E10value_typeET4_T5_PSV_SW_PNS1_23onesweep_lookback_stateEbbT6_jjT7_P12ihipStream_tbENKUlT_T0_SK_SP_E_clISE_PtSF_SF_EEDaS13_S14_SK_SP_EUlS13_E_NS1_11comp_targetILNS1_3genE3ELNS1_11target_archE908ELNS1_3gpuE7ELNS1_3repE0EEENS1_47radix_sort_onesweep_sort_config_static_selectorELNS0_4arch9wavefront6targetE1EEEvSK_
		.amdhsa_group_segment_fixed_size 0
		.amdhsa_private_segment_fixed_size 0
		.amdhsa_kernarg_size 88
		.amdhsa_user_sgpr_count 6
		.amdhsa_user_sgpr_private_segment_buffer 1
		.amdhsa_user_sgpr_dispatch_ptr 0
		.amdhsa_user_sgpr_queue_ptr 0
		.amdhsa_user_sgpr_kernarg_segment_ptr 1
		.amdhsa_user_sgpr_dispatch_id 0
		.amdhsa_user_sgpr_flat_scratch_init 0
		.amdhsa_user_sgpr_kernarg_preload_length 0
		.amdhsa_user_sgpr_kernarg_preload_offset 0
		.amdhsa_user_sgpr_private_segment_size 0
		.amdhsa_uses_dynamic_stack 0
		.amdhsa_system_sgpr_private_segment_wavefront_offset 0
		.amdhsa_system_sgpr_workgroup_id_x 1
		.amdhsa_system_sgpr_workgroup_id_y 0
		.amdhsa_system_sgpr_workgroup_id_z 0
		.amdhsa_system_sgpr_workgroup_info 0
		.amdhsa_system_vgpr_workitem_id 0
		.amdhsa_next_free_vgpr 1
		.amdhsa_next_free_sgpr 0
		.amdhsa_accum_offset 4
		.amdhsa_reserve_vcc 0
		.amdhsa_reserve_flat_scratch 0
		.amdhsa_float_round_mode_32 0
		.amdhsa_float_round_mode_16_64 0
		.amdhsa_float_denorm_mode_32 3
		.amdhsa_float_denorm_mode_16_64 3
		.amdhsa_dx10_clamp 1
		.amdhsa_ieee_mode 1
		.amdhsa_fp16_overflow 0
		.amdhsa_tg_split 0
		.amdhsa_exception_fp_ieee_invalid_op 0
		.amdhsa_exception_fp_denorm_src 0
		.amdhsa_exception_fp_ieee_div_zero 0
		.amdhsa_exception_fp_ieee_overflow 0
		.amdhsa_exception_fp_ieee_underflow 0
		.amdhsa_exception_fp_ieee_inexact 0
		.amdhsa_exception_int_div_zero 0
	.end_amdhsa_kernel
	.section	.text._ZN7rocprim17ROCPRIM_400000_NS6detail17trampoline_kernelINS0_14default_configENS1_35radix_sort_onesweep_config_selectorItNS0_10empty_typeEEEZZNS1_29radix_sort_onesweep_iterationIS3_Lb0EN6thrust23THRUST_200600_302600_NS6detail15normal_iteratorINS9_10device_ptrItEEEESE_PS5_SF_jNS0_19identity_decomposerENS1_16block_id_wrapperIjLb0EEEEE10hipError_tT1_PNSt15iterator_traitsISK_E10value_typeET2_T3_PNSL_ISQ_E10value_typeET4_T5_PSV_SW_PNS1_23onesweep_lookback_stateEbbT6_jjT7_P12ihipStream_tbENKUlT_T0_SK_SP_E_clISE_PtSF_SF_EEDaS13_S14_SK_SP_EUlS13_E_NS1_11comp_targetILNS1_3genE3ELNS1_11target_archE908ELNS1_3gpuE7ELNS1_3repE0EEENS1_47radix_sort_onesweep_sort_config_static_selectorELNS0_4arch9wavefront6targetE1EEEvSK_,"axG",@progbits,_ZN7rocprim17ROCPRIM_400000_NS6detail17trampoline_kernelINS0_14default_configENS1_35radix_sort_onesweep_config_selectorItNS0_10empty_typeEEEZZNS1_29radix_sort_onesweep_iterationIS3_Lb0EN6thrust23THRUST_200600_302600_NS6detail15normal_iteratorINS9_10device_ptrItEEEESE_PS5_SF_jNS0_19identity_decomposerENS1_16block_id_wrapperIjLb0EEEEE10hipError_tT1_PNSt15iterator_traitsISK_E10value_typeET2_T3_PNSL_ISQ_E10value_typeET4_T5_PSV_SW_PNS1_23onesweep_lookback_stateEbbT6_jjT7_P12ihipStream_tbENKUlT_T0_SK_SP_E_clISE_PtSF_SF_EEDaS13_S14_SK_SP_EUlS13_E_NS1_11comp_targetILNS1_3genE3ELNS1_11target_archE908ELNS1_3gpuE7ELNS1_3repE0EEENS1_47radix_sort_onesweep_sort_config_static_selectorELNS0_4arch9wavefront6targetE1EEEvSK_,comdat
.Lfunc_end1379:
	.size	_ZN7rocprim17ROCPRIM_400000_NS6detail17trampoline_kernelINS0_14default_configENS1_35radix_sort_onesweep_config_selectorItNS0_10empty_typeEEEZZNS1_29radix_sort_onesweep_iterationIS3_Lb0EN6thrust23THRUST_200600_302600_NS6detail15normal_iteratorINS9_10device_ptrItEEEESE_PS5_SF_jNS0_19identity_decomposerENS1_16block_id_wrapperIjLb0EEEEE10hipError_tT1_PNSt15iterator_traitsISK_E10value_typeET2_T3_PNSL_ISQ_E10value_typeET4_T5_PSV_SW_PNS1_23onesweep_lookback_stateEbbT6_jjT7_P12ihipStream_tbENKUlT_T0_SK_SP_E_clISE_PtSF_SF_EEDaS13_S14_SK_SP_EUlS13_E_NS1_11comp_targetILNS1_3genE3ELNS1_11target_archE908ELNS1_3gpuE7ELNS1_3repE0EEENS1_47radix_sort_onesweep_sort_config_static_selectorELNS0_4arch9wavefront6targetE1EEEvSK_, .Lfunc_end1379-_ZN7rocprim17ROCPRIM_400000_NS6detail17trampoline_kernelINS0_14default_configENS1_35radix_sort_onesweep_config_selectorItNS0_10empty_typeEEEZZNS1_29radix_sort_onesweep_iterationIS3_Lb0EN6thrust23THRUST_200600_302600_NS6detail15normal_iteratorINS9_10device_ptrItEEEESE_PS5_SF_jNS0_19identity_decomposerENS1_16block_id_wrapperIjLb0EEEEE10hipError_tT1_PNSt15iterator_traitsISK_E10value_typeET2_T3_PNSL_ISQ_E10value_typeET4_T5_PSV_SW_PNS1_23onesweep_lookback_stateEbbT6_jjT7_P12ihipStream_tbENKUlT_T0_SK_SP_E_clISE_PtSF_SF_EEDaS13_S14_SK_SP_EUlS13_E_NS1_11comp_targetILNS1_3genE3ELNS1_11target_archE908ELNS1_3gpuE7ELNS1_3repE0EEENS1_47radix_sort_onesweep_sort_config_static_selectorELNS0_4arch9wavefront6targetE1EEEvSK_
                                        ; -- End function
	.section	.AMDGPU.csdata,"",@progbits
; Kernel info:
; codeLenInByte = 0
; NumSgprs: 4
; NumVgprs: 0
; NumAgprs: 0
; TotalNumVgprs: 0
; ScratchSize: 0
; MemoryBound: 0
; FloatMode: 240
; IeeeMode: 1
; LDSByteSize: 0 bytes/workgroup (compile time only)
; SGPRBlocks: 0
; VGPRBlocks: 0
; NumSGPRsForWavesPerEU: 4
; NumVGPRsForWavesPerEU: 1
; AccumOffset: 4
; Occupancy: 8
; WaveLimiterHint : 0
; COMPUTE_PGM_RSRC2:SCRATCH_EN: 0
; COMPUTE_PGM_RSRC2:USER_SGPR: 6
; COMPUTE_PGM_RSRC2:TRAP_HANDLER: 0
; COMPUTE_PGM_RSRC2:TGID_X_EN: 1
; COMPUTE_PGM_RSRC2:TGID_Y_EN: 0
; COMPUTE_PGM_RSRC2:TGID_Z_EN: 0
; COMPUTE_PGM_RSRC2:TIDIG_COMP_CNT: 0
; COMPUTE_PGM_RSRC3_GFX90A:ACCUM_OFFSET: 0
; COMPUTE_PGM_RSRC3_GFX90A:TG_SPLIT: 0
	.section	.text._ZN7rocprim17ROCPRIM_400000_NS6detail17trampoline_kernelINS0_14default_configENS1_35radix_sort_onesweep_config_selectorItNS0_10empty_typeEEEZZNS1_29radix_sort_onesweep_iterationIS3_Lb0EN6thrust23THRUST_200600_302600_NS6detail15normal_iteratorINS9_10device_ptrItEEEESE_PS5_SF_jNS0_19identity_decomposerENS1_16block_id_wrapperIjLb0EEEEE10hipError_tT1_PNSt15iterator_traitsISK_E10value_typeET2_T3_PNSL_ISQ_E10value_typeET4_T5_PSV_SW_PNS1_23onesweep_lookback_stateEbbT6_jjT7_P12ihipStream_tbENKUlT_T0_SK_SP_E_clISE_PtSF_SF_EEDaS13_S14_SK_SP_EUlS13_E_NS1_11comp_targetILNS1_3genE10ELNS1_11target_archE1201ELNS1_3gpuE5ELNS1_3repE0EEENS1_47radix_sort_onesweep_sort_config_static_selectorELNS0_4arch9wavefront6targetE1EEEvSK_,"axG",@progbits,_ZN7rocprim17ROCPRIM_400000_NS6detail17trampoline_kernelINS0_14default_configENS1_35radix_sort_onesweep_config_selectorItNS0_10empty_typeEEEZZNS1_29radix_sort_onesweep_iterationIS3_Lb0EN6thrust23THRUST_200600_302600_NS6detail15normal_iteratorINS9_10device_ptrItEEEESE_PS5_SF_jNS0_19identity_decomposerENS1_16block_id_wrapperIjLb0EEEEE10hipError_tT1_PNSt15iterator_traitsISK_E10value_typeET2_T3_PNSL_ISQ_E10value_typeET4_T5_PSV_SW_PNS1_23onesweep_lookback_stateEbbT6_jjT7_P12ihipStream_tbENKUlT_T0_SK_SP_E_clISE_PtSF_SF_EEDaS13_S14_SK_SP_EUlS13_E_NS1_11comp_targetILNS1_3genE10ELNS1_11target_archE1201ELNS1_3gpuE5ELNS1_3repE0EEENS1_47radix_sort_onesweep_sort_config_static_selectorELNS0_4arch9wavefront6targetE1EEEvSK_,comdat
	.protected	_ZN7rocprim17ROCPRIM_400000_NS6detail17trampoline_kernelINS0_14default_configENS1_35radix_sort_onesweep_config_selectorItNS0_10empty_typeEEEZZNS1_29radix_sort_onesweep_iterationIS3_Lb0EN6thrust23THRUST_200600_302600_NS6detail15normal_iteratorINS9_10device_ptrItEEEESE_PS5_SF_jNS0_19identity_decomposerENS1_16block_id_wrapperIjLb0EEEEE10hipError_tT1_PNSt15iterator_traitsISK_E10value_typeET2_T3_PNSL_ISQ_E10value_typeET4_T5_PSV_SW_PNS1_23onesweep_lookback_stateEbbT6_jjT7_P12ihipStream_tbENKUlT_T0_SK_SP_E_clISE_PtSF_SF_EEDaS13_S14_SK_SP_EUlS13_E_NS1_11comp_targetILNS1_3genE10ELNS1_11target_archE1201ELNS1_3gpuE5ELNS1_3repE0EEENS1_47radix_sort_onesweep_sort_config_static_selectorELNS0_4arch9wavefront6targetE1EEEvSK_ ; -- Begin function _ZN7rocprim17ROCPRIM_400000_NS6detail17trampoline_kernelINS0_14default_configENS1_35radix_sort_onesweep_config_selectorItNS0_10empty_typeEEEZZNS1_29radix_sort_onesweep_iterationIS3_Lb0EN6thrust23THRUST_200600_302600_NS6detail15normal_iteratorINS9_10device_ptrItEEEESE_PS5_SF_jNS0_19identity_decomposerENS1_16block_id_wrapperIjLb0EEEEE10hipError_tT1_PNSt15iterator_traitsISK_E10value_typeET2_T3_PNSL_ISQ_E10value_typeET4_T5_PSV_SW_PNS1_23onesweep_lookback_stateEbbT6_jjT7_P12ihipStream_tbENKUlT_T0_SK_SP_E_clISE_PtSF_SF_EEDaS13_S14_SK_SP_EUlS13_E_NS1_11comp_targetILNS1_3genE10ELNS1_11target_archE1201ELNS1_3gpuE5ELNS1_3repE0EEENS1_47radix_sort_onesweep_sort_config_static_selectorELNS0_4arch9wavefront6targetE1EEEvSK_
	.globl	_ZN7rocprim17ROCPRIM_400000_NS6detail17trampoline_kernelINS0_14default_configENS1_35radix_sort_onesweep_config_selectorItNS0_10empty_typeEEEZZNS1_29radix_sort_onesweep_iterationIS3_Lb0EN6thrust23THRUST_200600_302600_NS6detail15normal_iteratorINS9_10device_ptrItEEEESE_PS5_SF_jNS0_19identity_decomposerENS1_16block_id_wrapperIjLb0EEEEE10hipError_tT1_PNSt15iterator_traitsISK_E10value_typeET2_T3_PNSL_ISQ_E10value_typeET4_T5_PSV_SW_PNS1_23onesweep_lookback_stateEbbT6_jjT7_P12ihipStream_tbENKUlT_T0_SK_SP_E_clISE_PtSF_SF_EEDaS13_S14_SK_SP_EUlS13_E_NS1_11comp_targetILNS1_3genE10ELNS1_11target_archE1201ELNS1_3gpuE5ELNS1_3repE0EEENS1_47radix_sort_onesweep_sort_config_static_selectorELNS0_4arch9wavefront6targetE1EEEvSK_
	.p2align	8
	.type	_ZN7rocprim17ROCPRIM_400000_NS6detail17trampoline_kernelINS0_14default_configENS1_35radix_sort_onesweep_config_selectorItNS0_10empty_typeEEEZZNS1_29radix_sort_onesweep_iterationIS3_Lb0EN6thrust23THRUST_200600_302600_NS6detail15normal_iteratorINS9_10device_ptrItEEEESE_PS5_SF_jNS0_19identity_decomposerENS1_16block_id_wrapperIjLb0EEEEE10hipError_tT1_PNSt15iterator_traitsISK_E10value_typeET2_T3_PNSL_ISQ_E10value_typeET4_T5_PSV_SW_PNS1_23onesweep_lookback_stateEbbT6_jjT7_P12ihipStream_tbENKUlT_T0_SK_SP_E_clISE_PtSF_SF_EEDaS13_S14_SK_SP_EUlS13_E_NS1_11comp_targetILNS1_3genE10ELNS1_11target_archE1201ELNS1_3gpuE5ELNS1_3repE0EEENS1_47radix_sort_onesweep_sort_config_static_selectorELNS0_4arch9wavefront6targetE1EEEvSK_,@function
_ZN7rocprim17ROCPRIM_400000_NS6detail17trampoline_kernelINS0_14default_configENS1_35radix_sort_onesweep_config_selectorItNS0_10empty_typeEEEZZNS1_29radix_sort_onesweep_iterationIS3_Lb0EN6thrust23THRUST_200600_302600_NS6detail15normal_iteratorINS9_10device_ptrItEEEESE_PS5_SF_jNS0_19identity_decomposerENS1_16block_id_wrapperIjLb0EEEEE10hipError_tT1_PNSt15iterator_traitsISK_E10value_typeET2_T3_PNSL_ISQ_E10value_typeET4_T5_PSV_SW_PNS1_23onesweep_lookback_stateEbbT6_jjT7_P12ihipStream_tbENKUlT_T0_SK_SP_E_clISE_PtSF_SF_EEDaS13_S14_SK_SP_EUlS13_E_NS1_11comp_targetILNS1_3genE10ELNS1_11target_archE1201ELNS1_3gpuE5ELNS1_3repE0EEENS1_47radix_sort_onesweep_sort_config_static_selectorELNS0_4arch9wavefront6targetE1EEEvSK_: ; @_ZN7rocprim17ROCPRIM_400000_NS6detail17trampoline_kernelINS0_14default_configENS1_35radix_sort_onesweep_config_selectorItNS0_10empty_typeEEEZZNS1_29radix_sort_onesweep_iterationIS3_Lb0EN6thrust23THRUST_200600_302600_NS6detail15normal_iteratorINS9_10device_ptrItEEEESE_PS5_SF_jNS0_19identity_decomposerENS1_16block_id_wrapperIjLb0EEEEE10hipError_tT1_PNSt15iterator_traitsISK_E10value_typeET2_T3_PNSL_ISQ_E10value_typeET4_T5_PSV_SW_PNS1_23onesweep_lookback_stateEbbT6_jjT7_P12ihipStream_tbENKUlT_T0_SK_SP_E_clISE_PtSF_SF_EEDaS13_S14_SK_SP_EUlS13_E_NS1_11comp_targetILNS1_3genE10ELNS1_11target_archE1201ELNS1_3gpuE5ELNS1_3repE0EEENS1_47radix_sort_onesweep_sort_config_static_selectorELNS0_4arch9wavefront6targetE1EEEvSK_
; %bb.0:
	.section	.rodata,"a",@progbits
	.p2align	6, 0x0
	.amdhsa_kernel _ZN7rocprim17ROCPRIM_400000_NS6detail17trampoline_kernelINS0_14default_configENS1_35radix_sort_onesweep_config_selectorItNS0_10empty_typeEEEZZNS1_29radix_sort_onesweep_iterationIS3_Lb0EN6thrust23THRUST_200600_302600_NS6detail15normal_iteratorINS9_10device_ptrItEEEESE_PS5_SF_jNS0_19identity_decomposerENS1_16block_id_wrapperIjLb0EEEEE10hipError_tT1_PNSt15iterator_traitsISK_E10value_typeET2_T3_PNSL_ISQ_E10value_typeET4_T5_PSV_SW_PNS1_23onesweep_lookback_stateEbbT6_jjT7_P12ihipStream_tbENKUlT_T0_SK_SP_E_clISE_PtSF_SF_EEDaS13_S14_SK_SP_EUlS13_E_NS1_11comp_targetILNS1_3genE10ELNS1_11target_archE1201ELNS1_3gpuE5ELNS1_3repE0EEENS1_47radix_sort_onesweep_sort_config_static_selectorELNS0_4arch9wavefront6targetE1EEEvSK_
		.amdhsa_group_segment_fixed_size 0
		.amdhsa_private_segment_fixed_size 0
		.amdhsa_kernarg_size 88
		.amdhsa_user_sgpr_count 6
		.amdhsa_user_sgpr_private_segment_buffer 1
		.amdhsa_user_sgpr_dispatch_ptr 0
		.amdhsa_user_sgpr_queue_ptr 0
		.amdhsa_user_sgpr_kernarg_segment_ptr 1
		.amdhsa_user_sgpr_dispatch_id 0
		.amdhsa_user_sgpr_flat_scratch_init 0
		.amdhsa_user_sgpr_kernarg_preload_length 0
		.amdhsa_user_sgpr_kernarg_preload_offset 0
		.amdhsa_user_sgpr_private_segment_size 0
		.amdhsa_uses_dynamic_stack 0
		.amdhsa_system_sgpr_private_segment_wavefront_offset 0
		.amdhsa_system_sgpr_workgroup_id_x 1
		.amdhsa_system_sgpr_workgroup_id_y 0
		.amdhsa_system_sgpr_workgroup_id_z 0
		.amdhsa_system_sgpr_workgroup_info 0
		.amdhsa_system_vgpr_workitem_id 0
		.amdhsa_next_free_vgpr 1
		.amdhsa_next_free_sgpr 0
		.amdhsa_accum_offset 4
		.amdhsa_reserve_vcc 0
		.amdhsa_reserve_flat_scratch 0
		.amdhsa_float_round_mode_32 0
		.amdhsa_float_round_mode_16_64 0
		.amdhsa_float_denorm_mode_32 3
		.amdhsa_float_denorm_mode_16_64 3
		.amdhsa_dx10_clamp 1
		.amdhsa_ieee_mode 1
		.amdhsa_fp16_overflow 0
		.amdhsa_tg_split 0
		.amdhsa_exception_fp_ieee_invalid_op 0
		.amdhsa_exception_fp_denorm_src 0
		.amdhsa_exception_fp_ieee_div_zero 0
		.amdhsa_exception_fp_ieee_overflow 0
		.amdhsa_exception_fp_ieee_underflow 0
		.amdhsa_exception_fp_ieee_inexact 0
		.amdhsa_exception_int_div_zero 0
	.end_amdhsa_kernel
	.section	.text._ZN7rocprim17ROCPRIM_400000_NS6detail17trampoline_kernelINS0_14default_configENS1_35radix_sort_onesweep_config_selectorItNS0_10empty_typeEEEZZNS1_29radix_sort_onesweep_iterationIS3_Lb0EN6thrust23THRUST_200600_302600_NS6detail15normal_iteratorINS9_10device_ptrItEEEESE_PS5_SF_jNS0_19identity_decomposerENS1_16block_id_wrapperIjLb0EEEEE10hipError_tT1_PNSt15iterator_traitsISK_E10value_typeET2_T3_PNSL_ISQ_E10value_typeET4_T5_PSV_SW_PNS1_23onesweep_lookback_stateEbbT6_jjT7_P12ihipStream_tbENKUlT_T0_SK_SP_E_clISE_PtSF_SF_EEDaS13_S14_SK_SP_EUlS13_E_NS1_11comp_targetILNS1_3genE10ELNS1_11target_archE1201ELNS1_3gpuE5ELNS1_3repE0EEENS1_47radix_sort_onesweep_sort_config_static_selectorELNS0_4arch9wavefront6targetE1EEEvSK_,"axG",@progbits,_ZN7rocprim17ROCPRIM_400000_NS6detail17trampoline_kernelINS0_14default_configENS1_35radix_sort_onesweep_config_selectorItNS0_10empty_typeEEEZZNS1_29radix_sort_onesweep_iterationIS3_Lb0EN6thrust23THRUST_200600_302600_NS6detail15normal_iteratorINS9_10device_ptrItEEEESE_PS5_SF_jNS0_19identity_decomposerENS1_16block_id_wrapperIjLb0EEEEE10hipError_tT1_PNSt15iterator_traitsISK_E10value_typeET2_T3_PNSL_ISQ_E10value_typeET4_T5_PSV_SW_PNS1_23onesweep_lookback_stateEbbT6_jjT7_P12ihipStream_tbENKUlT_T0_SK_SP_E_clISE_PtSF_SF_EEDaS13_S14_SK_SP_EUlS13_E_NS1_11comp_targetILNS1_3genE10ELNS1_11target_archE1201ELNS1_3gpuE5ELNS1_3repE0EEENS1_47radix_sort_onesweep_sort_config_static_selectorELNS0_4arch9wavefront6targetE1EEEvSK_,comdat
.Lfunc_end1380:
	.size	_ZN7rocprim17ROCPRIM_400000_NS6detail17trampoline_kernelINS0_14default_configENS1_35radix_sort_onesweep_config_selectorItNS0_10empty_typeEEEZZNS1_29radix_sort_onesweep_iterationIS3_Lb0EN6thrust23THRUST_200600_302600_NS6detail15normal_iteratorINS9_10device_ptrItEEEESE_PS5_SF_jNS0_19identity_decomposerENS1_16block_id_wrapperIjLb0EEEEE10hipError_tT1_PNSt15iterator_traitsISK_E10value_typeET2_T3_PNSL_ISQ_E10value_typeET4_T5_PSV_SW_PNS1_23onesweep_lookback_stateEbbT6_jjT7_P12ihipStream_tbENKUlT_T0_SK_SP_E_clISE_PtSF_SF_EEDaS13_S14_SK_SP_EUlS13_E_NS1_11comp_targetILNS1_3genE10ELNS1_11target_archE1201ELNS1_3gpuE5ELNS1_3repE0EEENS1_47radix_sort_onesweep_sort_config_static_selectorELNS0_4arch9wavefront6targetE1EEEvSK_, .Lfunc_end1380-_ZN7rocprim17ROCPRIM_400000_NS6detail17trampoline_kernelINS0_14default_configENS1_35radix_sort_onesweep_config_selectorItNS0_10empty_typeEEEZZNS1_29radix_sort_onesweep_iterationIS3_Lb0EN6thrust23THRUST_200600_302600_NS6detail15normal_iteratorINS9_10device_ptrItEEEESE_PS5_SF_jNS0_19identity_decomposerENS1_16block_id_wrapperIjLb0EEEEE10hipError_tT1_PNSt15iterator_traitsISK_E10value_typeET2_T3_PNSL_ISQ_E10value_typeET4_T5_PSV_SW_PNS1_23onesweep_lookback_stateEbbT6_jjT7_P12ihipStream_tbENKUlT_T0_SK_SP_E_clISE_PtSF_SF_EEDaS13_S14_SK_SP_EUlS13_E_NS1_11comp_targetILNS1_3genE10ELNS1_11target_archE1201ELNS1_3gpuE5ELNS1_3repE0EEENS1_47radix_sort_onesweep_sort_config_static_selectorELNS0_4arch9wavefront6targetE1EEEvSK_
                                        ; -- End function
	.section	.AMDGPU.csdata,"",@progbits
; Kernel info:
; codeLenInByte = 0
; NumSgprs: 4
; NumVgprs: 0
; NumAgprs: 0
; TotalNumVgprs: 0
; ScratchSize: 0
; MemoryBound: 0
; FloatMode: 240
; IeeeMode: 1
; LDSByteSize: 0 bytes/workgroup (compile time only)
; SGPRBlocks: 0
; VGPRBlocks: 0
; NumSGPRsForWavesPerEU: 4
; NumVGPRsForWavesPerEU: 1
; AccumOffset: 4
; Occupancy: 8
; WaveLimiterHint : 0
; COMPUTE_PGM_RSRC2:SCRATCH_EN: 0
; COMPUTE_PGM_RSRC2:USER_SGPR: 6
; COMPUTE_PGM_RSRC2:TRAP_HANDLER: 0
; COMPUTE_PGM_RSRC2:TGID_X_EN: 1
; COMPUTE_PGM_RSRC2:TGID_Y_EN: 0
; COMPUTE_PGM_RSRC2:TGID_Z_EN: 0
; COMPUTE_PGM_RSRC2:TIDIG_COMP_CNT: 0
; COMPUTE_PGM_RSRC3_GFX90A:ACCUM_OFFSET: 0
; COMPUTE_PGM_RSRC3_GFX90A:TG_SPLIT: 0
	.section	.text._ZN7rocprim17ROCPRIM_400000_NS6detail17trampoline_kernelINS0_14default_configENS1_35radix_sort_onesweep_config_selectorItNS0_10empty_typeEEEZZNS1_29radix_sort_onesweep_iterationIS3_Lb0EN6thrust23THRUST_200600_302600_NS6detail15normal_iteratorINS9_10device_ptrItEEEESE_PS5_SF_jNS0_19identity_decomposerENS1_16block_id_wrapperIjLb0EEEEE10hipError_tT1_PNSt15iterator_traitsISK_E10value_typeET2_T3_PNSL_ISQ_E10value_typeET4_T5_PSV_SW_PNS1_23onesweep_lookback_stateEbbT6_jjT7_P12ihipStream_tbENKUlT_T0_SK_SP_E_clISE_PtSF_SF_EEDaS13_S14_SK_SP_EUlS13_E_NS1_11comp_targetILNS1_3genE9ELNS1_11target_archE1100ELNS1_3gpuE3ELNS1_3repE0EEENS1_47radix_sort_onesweep_sort_config_static_selectorELNS0_4arch9wavefront6targetE1EEEvSK_,"axG",@progbits,_ZN7rocprim17ROCPRIM_400000_NS6detail17trampoline_kernelINS0_14default_configENS1_35radix_sort_onesweep_config_selectorItNS0_10empty_typeEEEZZNS1_29radix_sort_onesweep_iterationIS3_Lb0EN6thrust23THRUST_200600_302600_NS6detail15normal_iteratorINS9_10device_ptrItEEEESE_PS5_SF_jNS0_19identity_decomposerENS1_16block_id_wrapperIjLb0EEEEE10hipError_tT1_PNSt15iterator_traitsISK_E10value_typeET2_T3_PNSL_ISQ_E10value_typeET4_T5_PSV_SW_PNS1_23onesweep_lookback_stateEbbT6_jjT7_P12ihipStream_tbENKUlT_T0_SK_SP_E_clISE_PtSF_SF_EEDaS13_S14_SK_SP_EUlS13_E_NS1_11comp_targetILNS1_3genE9ELNS1_11target_archE1100ELNS1_3gpuE3ELNS1_3repE0EEENS1_47radix_sort_onesweep_sort_config_static_selectorELNS0_4arch9wavefront6targetE1EEEvSK_,comdat
	.protected	_ZN7rocprim17ROCPRIM_400000_NS6detail17trampoline_kernelINS0_14default_configENS1_35radix_sort_onesweep_config_selectorItNS0_10empty_typeEEEZZNS1_29radix_sort_onesweep_iterationIS3_Lb0EN6thrust23THRUST_200600_302600_NS6detail15normal_iteratorINS9_10device_ptrItEEEESE_PS5_SF_jNS0_19identity_decomposerENS1_16block_id_wrapperIjLb0EEEEE10hipError_tT1_PNSt15iterator_traitsISK_E10value_typeET2_T3_PNSL_ISQ_E10value_typeET4_T5_PSV_SW_PNS1_23onesweep_lookback_stateEbbT6_jjT7_P12ihipStream_tbENKUlT_T0_SK_SP_E_clISE_PtSF_SF_EEDaS13_S14_SK_SP_EUlS13_E_NS1_11comp_targetILNS1_3genE9ELNS1_11target_archE1100ELNS1_3gpuE3ELNS1_3repE0EEENS1_47radix_sort_onesweep_sort_config_static_selectorELNS0_4arch9wavefront6targetE1EEEvSK_ ; -- Begin function _ZN7rocprim17ROCPRIM_400000_NS6detail17trampoline_kernelINS0_14default_configENS1_35radix_sort_onesweep_config_selectorItNS0_10empty_typeEEEZZNS1_29radix_sort_onesweep_iterationIS3_Lb0EN6thrust23THRUST_200600_302600_NS6detail15normal_iteratorINS9_10device_ptrItEEEESE_PS5_SF_jNS0_19identity_decomposerENS1_16block_id_wrapperIjLb0EEEEE10hipError_tT1_PNSt15iterator_traitsISK_E10value_typeET2_T3_PNSL_ISQ_E10value_typeET4_T5_PSV_SW_PNS1_23onesweep_lookback_stateEbbT6_jjT7_P12ihipStream_tbENKUlT_T0_SK_SP_E_clISE_PtSF_SF_EEDaS13_S14_SK_SP_EUlS13_E_NS1_11comp_targetILNS1_3genE9ELNS1_11target_archE1100ELNS1_3gpuE3ELNS1_3repE0EEENS1_47radix_sort_onesweep_sort_config_static_selectorELNS0_4arch9wavefront6targetE1EEEvSK_
	.globl	_ZN7rocprim17ROCPRIM_400000_NS6detail17trampoline_kernelINS0_14default_configENS1_35radix_sort_onesweep_config_selectorItNS0_10empty_typeEEEZZNS1_29radix_sort_onesweep_iterationIS3_Lb0EN6thrust23THRUST_200600_302600_NS6detail15normal_iteratorINS9_10device_ptrItEEEESE_PS5_SF_jNS0_19identity_decomposerENS1_16block_id_wrapperIjLb0EEEEE10hipError_tT1_PNSt15iterator_traitsISK_E10value_typeET2_T3_PNSL_ISQ_E10value_typeET4_T5_PSV_SW_PNS1_23onesweep_lookback_stateEbbT6_jjT7_P12ihipStream_tbENKUlT_T0_SK_SP_E_clISE_PtSF_SF_EEDaS13_S14_SK_SP_EUlS13_E_NS1_11comp_targetILNS1_3genE9ELNS1_11target_archE1100ELNS1_3gpuE3ELNS1_3repE0EEENS1_47radix_sort_onesweep_sort_config_static_selectorELNS0_4arch9wavefront6targetE1EEEvSK_
	.p2align	8
	.type	_ZN7rocprim17ROCPRIM_400000_NS6detail17trampoline_kernelINS0_14default_configENS1_35radix_sort_onesweep_config_selectorItNS0_10empty_typeEEEZZNS1_29radix_sort_onesweep_iterationIS3_Lb0EN6thrust23THRUST_200600_302600_NS6detail15normal_iteratorINS9_10device_ptrItEEEESE_PS5_SF_jNS0_19identity_decomposerENS1_16block_id_wrapperIjLb0EEEEE10hipError_tT1_PNSt15iterator_traitsISK_E10value_typeET2_T3_PNSL_ISQ_E10value_typeET4_T5_PSV_SW_PNS1_23onesweep_lookback_stateEbbT6_jjT7_P12ihipStream_tbENKUlT_T0_SK_SP_E_clISE_PtSF_SF_EEDaS13_S14_SK_SP_EUlS13_E_NS1_11comp_targetILNS1_3genE9ELNS1_11target_archE1100ELNS1_3gpuE3ELNS1_3repE0EEENS1_47radix_sort_onesweep_sort_config_static_selectorELNS0_4arch9wavefront6targetE1EEEvSK_,@function
_ZN7rocprim17ROCPRIM_400000_NS6detail17trampoline_kernelINS0_14default_configENS1_35radix_sort_onesweep_config_selectorItNS0_10empty_typeEEEZZNS1_29radix_sort_onesweep_iterationIS3_Lb0EN6thrust23THRUST_200600_302600_NS6detail15normal_iteratorINS9_10device_ptrItEEEESE_PS5_SF_jNS0_19identity_decomposerENS1_16block_id_wrapperIjLb0EEEEE10hipError_tT1_PNSt15iterator_traitsISK_E10value_typeET2_T3_PNSL_ISQ_E10value_typeET4_T5_PSV_SW_PNS1_23onesweep_lookback_stateEbbT6_jjT7_P12ihipStream_tbENKUlT_T0_SK_SP_E_clISE_PtSF_SF_EEDaS13_S14_SK_SP_EUlS13_E_NS1_11comp_targetILNS1_3genE9ELNS1_11target_archE1100ELNS1_3gpuE3ELNS1_3repE0EEENS1_47radix_sort_onesweep_sort_config_static_selectorELNS0_4arch9wavefront6targetE1EEEvSK_: ; @_ZN7rocprim17ROCPRIM_400000_NS6detail17trampoline_kernelINS0_14default_configENS1_35radix_sort_onesweep_config_selectorItNS0_10empty_typeEEEZZNS1_29radix_sort_onesweep_iterationIS3_Lb0EN6thrust23THRUST_200600_302600_NS6detail15normal_iteratorINS9_10device_ptrItEEEESE_PS5_SF_jNS0_19identity_decomposerENS1_16block_id_wrapperIjLb0EEEEE10hipError_tT1_PNSt15iterator_traitsISK_E10value_typeET2_T3_PNSL_ISQ_E10value_typeET4_T5_PSV_SW_PNS1_23onesweep_lookback_stateEbbT6_jjT7_P12ihipStream_tbENKUlT_T0_SK_SP_E_clISE_PtSF_SF_EEDaS13_S14_SK_SP_EUlS13_E_NS1_11comp_targetILNS1_3genE9ELNS1_11target_archE1100ELNS1_3gpuE3ELNS1_3repE0EEENS1_47radix_sort_onesweep_sort_config_static_selectorELNS0_4arch9wavefront6targetE1EEEvSK_
; %bb.0:
	.section	.rodata,"a",@progbits
	.p2align	6, 0x0
	.amdhsa_kernel _ZN7rocprim17ROCPRIM_400000_NS6detail17trampoline_kernelINS0_14default_configENS1_35radix_sort_onesweep_config_selectorItNS0_10empty_typeEEEZZNS1_29radix_sort_onesweep_iterationIS3_Lb0EN6thrust23THRUST_200600_302600_NS6detail15normal_iteratorINS9_10device_ptrItEEEESE_PS5_SF_jNS0_19identity_decomposerENS1_16block_id_wrapperIjLb0EEEEE10hipError_tT1_PNSt15iterator_traitsISK_E10value_typeET2_T3_PNSL_ISQ_E10value_typeET4_T5_PSV_SW_PNS1_23onesweep_lookback_stateEbbT6_jjT7_P12ihipStream_tbENKUlT_T0_SK_SP_E_clISE_PtSF_SF_EEDaS13_S14_SK_SP_EUlS13_E_NS1_11comp_targetILNS1_3genE9ELNS1_11target_archE1100ELNS1_3gpuE3ELNS1_3repE0EEENS1_47radix_sort_onesweep_sort_config_static_selectorELNS0_4arch9wavefront6targetE1EEEvSK_
		.amdhsa_group_segment_fixed_size 0
		.amdhsa_private_segment_fixed_size 0
		.amdhsa_kernarg_size 88
		.amdhsa_user_sgpr_count 6
		.amdhsa_user_sgpr_private_segment_buffer 1
		.amdhsa_user_sgpr_dispatch_ptr 0
		.amdhsa_user_sgpr_queue_ptr 0
		.amdhsa_user_sgpr_kernarg_segment_ptr 1
		.amdhsa_user_sgpr_dispatch_id 0
		.amdhsa_user_sgpr_flat_scratch_init 0
		.amdhsa_user_sgpr_kernarg_preload_length 0
		.amdhsa_user_sgpr_kernarg_preload_offset 0
		.amdhsa_user_sgpr_private_segment_size 0
		.amdhsa_uses_dynamic_stack 0
		.amdhsa_system_sgpr_private_segment_wavefront_offset 0
		.amdhsa_system_sgpr_workgroup_id_x 1
		.amdhsa_system_sgpr_workgroup_id_y 0
		.amdhsa_system_sgpr_workgroup_id_z 0
		.amdhsa_system_sgpr_workgroup_info 0
		.amdhsa_system_vgpr_workitem_id 0
		.amdhsa_next_free_vgpr 1
		.amdhsa_next_free_sgpr 0
		.amdhsa_accum_offset 4
		.amdhsa_reserve_vcc 0
		.amdhsa_reserve_flat_scratch 0
		.amdhsa_float_round_mode_32 0
		.amdhsa_float_round_mode_16_64 0
		.amdhsa_float_denorm_mode_32 3
		.amdhsa_float_denorm_mode_16_64 3
		.amdhsa_dx10_clamp 1
		.amdhsa_ieee_mode 1
		.amdhsa_fp16_overflow 0
		.amdhsa_tg_split 0
		.amdhsa_exception_fp_ieee_invalid_op 0
		.amdhsa_exception_fp_denorm_src 0
		.amdhsa_exception_fp_ieee_div_zero 0
		.amdhsa_exception_fp_ieee_overflow 0
		.amdhsa_exception_fp_ieee_underflow 0
		.amdhsa_exception_fp_ieee_inexact 0
		.amdhsa_exception_int_div_zero 0
	.end_amdhsa_kernel
	.section	.text._ZN7rocprim17ROCPRIM_400000_NS6detail17trampoline_kernelINS0_14default_configENS1_35radix_sort_onesweep_config_selectorItNS0_10empty_typeEEEZZNS1_29radix_sort_onesweep_iterationIS3_Lb0EN6thrust23THRUST_200600_302600_NS6detail15normal_iteratorINS9_10device_ptrItEEEESE_PS5_SF_jNS0_19identity_decomposerENS1_16block_id_wrapperIjLb0EEEEE10hipError_tT1_PNSt15iterator_traitsISK_E10value_typeET2_T3_PNSL_ISQ_E10value_typeET4_T5_PSV_SW_PNS1_23onesweep_lookback_stateEbbT6_jjT7_P12ihipStream_tbENKUlT_T0_SK_SP_E_clISE_PtSF_SF_EEDaS13_S14_SK_SP_EUlS13_E_NS1_11comp_targetILNS1_3genE9ELNS1_11target_archE1100ELNS1_3gpuE3ELNS1_3repE0EEENS1_47radix_sort_onesweep_sort_config_static_selectorELNS0_4arch9wavefront6targetE1EEEvSK_,"axG",@progbits,_ZN7rocprim17ROCPRIM_400000_NS6detail17trampoline_kernelINS0_14default_configENS1_35radix_sort_onesweep_config_selectorItNS0_10empty_typeEEEZZNS1_29radix_sort_onesweep_iterationIS3_Lb0EN6thrust23THRUST_200600_302600_NS6detail15normal_iteratorINS9_10device_ptrItEEEESE_PS5_SF_jNS0_19identity_decomposerENS1_16block_id_wrapperIjLb0EEEEE10hipError_tT1_PNSt15iterator_traitsISK_E10value_typeET2_T3_PNSL_ISQ_E10value_typeET4_T5_PSV_SW_PNS1_23onesweep_lookback_stateEbbT6_jjT7_P12ihipStream_tbENKUlT_T0_SK_SP_E_clISE_PtSF_SF_EEDaS13_S14_SK_SP_EUlS13_E_NS1_11comp_targetILNS1_3genE9ELNS1_11target_archE1100ELNS1_3gpuE3ELNS1_3repE0EEENS1_47radix_sort_onesweep_sort_config_static_selectorELNS0_4arch9wavefront6targetE1EEEvSK_,comdat
.Lfunc_end1381:
	.size	_ZN7rocprim17ROCPRIM_400000_NS6detail17trampoline_kernelINS0_14default_configENS1_35radix_sort_onesweep_config_selectorItNS0_10empty_typeEEEZZNS1_29radix_sort_onesweep_iterationIS3_Lb0EN6thrust23THRUST_200600_302600_NS6detail15normal_iteratorINS9_10device_ptrItEEEESE_PS5_SF_jNS0_19identity_decomposerENS1_16block_id_wrapperIjLb0EEEEE10hipError_tT1_PNSt15iterator_traitsISK_E10value_typeET2_T3_PNSL_ISQ_E10value_typeET4_T5_PSV_SW_PNS1_23onesweep_lookback_stateEbbT6_jjT7_P12ihipStream_tbENKUlT_T0_SK_SP_E_clISE_PtSF_SF_EEDaS13_S14_SK_SP_EUlS13_E_NS1_11comp_targetILNS1_3genE9ELNS1_11target_archE1100ELNS1_3gpuE3ELNS1_3repE0EEENS1_47radix_sort_onesweep_sort_config_static_selectorELNS0_4arch9wavefront6targetE1EEEvSK_, .Lfunc_end1381-_ZN7rocprim17ROCPRIM_400000_NS6detail17trampoline_kernelINS0_14default_configENS1_35radix_sort_onesweep_config_selectorItNS0_10empty_typeEEEZZNS1_29radix_sort_onesweep_iterationIS3_Lb0EN6thrust23THRUST_200600_302600_NS6detail15normal_iteratorINS9_10device_ptrItEEEESE_PS5_SF_jNS0_19identity_decomposerENS1_16block_id_wrapperIjLb0EEEEE10hipError_tT1_PNSt15iterator_traitsISK_E10value_typeET2_T3_PNSL_ISQ_E10value_typeET4_T5_PSV_SW_PNS1_23onesweep_lookback_stateEbbT6_jjT7_P12ihipStream_tbENKUlT_T0_SK_SP_E_clISE_PtSF_SF_EEDaS13_S14_SK_SP_EUlS13_E_NS1_11comp_targetILNS1_3genE9ELNS1_11target_archE1100ELNS1_3gpuE3ELNS1_3repE0EEENS1_47radix_sort_onesweep_sort_config_static_selectorELNS0_4arch9wavefront6targetE1EEEvSK_
                                        ; -- End function
	.section	.AMDGPU.csdata,"",@progbits
; Kernel info:
; codeLenInByte = 0
; NumSgprs: 4
; NumVgprs: 0
; NumAgprs: 0
; TotalNumVgprs: 0
; ScratchSize: 0
; MemoryBound: 0
; FloatMode: 240
; IeeeMode: 1
; LDSByteSize: 0 bytes/workgroup (compile time only)
; SGPRBlocks: 0
; VGPRBlocks: 0
; NumSGPRsForWavesPerEU: 4
; NumVGPRsForWavesPerEU: 1
; AccumOffset: 4
; Occupancy: 8
; WaveLimiterHint : 0
; COMPUTE_PGM_RSRC2:SCRATCH_EN: 0
; COMPUTE_PGM_RSRC2:USER_SGPR: 6
; COMPUTE_PGM_RSRC2:TRAP_HANDLER: 0
; COMPUTE_PGM_RSRC2:TGID_X_EN: 1
; COMPUTE_PGM_RSRC2:TGID_Y_EN: 0
; COMPUTE_PGM_RSRC2:TGID_Z_EN: 0
; COMPUTE_PGM_RSRC2:TIDIG_COMP_CNT: 0
; COMPUTE_PGM_RSRC3_GFX90A:ACCUM_OFFSET: 0
; COMPUTE_PGM_RSRC3_GFX90A:TG_SPLIT: 0
	.section	.text._ZN7rocprim17ROCPRIM_400000_NS6detail17trampoline_kernelINS0_14default_configENS1_35radix_sort_onesweep_config_selectorItNS0_10empty_typeEEEZZNS1_29radix_sort_onesweep_iterationIS3_Lb0EN6thrust23THRUST_200600_302600_NS6detail15normal_iteratorINS9_10device_ptrItEEEESE_PS5_SF_jNS0_19identity_decomposerENS1_16block_id_wrapperIjLb0EEEEE10hipError_tT1_PNSt15iterator_traitsISK_E10value_typeET2_T3_PNSL_ISQ_E10value_typeET4_T5_PSV_SW_PNS1_23onesweep_lookback_stateEbbT6_jjT7_P12ihipStream_tbENKUlT_T0_SK_SP_E_clISE_PtSF_SF_EEDaS13_S14_SK_SP_EUlS13_E_NS1_11comp_targetILNS1_3genE8ELNS1_11target_archE1030ELNS1_3gpuE2ELNS1_3repE0EEENS1_47radix_sort_onesweep_sort_config_static_selectorELNS0_4arch9wavefront6targetE1EEEvSK_,"axG",@progbits,_ZN7rocprim17ROCPRIM_400000_NS6detail17trampoline_kernelINS0_14default_configENS1_35radix_sort_onesweep_config_selectorItNS0_10empty_typeEEEZZNS1_29radix_sort_onesweep_iterationIS3_Lb0EN6thrust23THRUST_200600_302600_NS6detail15normal_iteratorINS9_10device_ptrItEEEESE_PS5_SF_jNS0_19identity_decomposerENS1_16block_id_wrapperIjLb0EEEEE10hipError_tT1_PNSt15iterator_traitsISK_E10value_typeET2_T3_PNSL_ISQ_E10value_typeET4_T5_PSV_SW_PNS1_23onesweep_lookback_stateEbbT6_jjT7_P12ihipStream_tbENKUlT_T0_SK_SP_E_clISE_PtSF_SF_EEDaS13_S14_SK_SP_EUlS13_E_NS1_11comp_targetILNS1_3genE8ELNS1_11target_archE1030ELNS1_3gpuE2ELNS1_3repE0EEENS1_47radix_sort_onesweep_sort_config_static_selectorELNS0_4arch9wavefront6targetE1EEEvSK_,comdat
	.protected	_ZN7rocprim17ROCPRIM_400000_NS6detail17trampoline_kernelINS0_14default_configENS1_35radix_sort_onesweep_config_selectorItNS0_10empty_typeEEEZZNS1_29radix_sort_onesweep_iterationIS3_Lb0EN6thrust23THRUST_200600_302600_NS6detail15normal_iteratorINS9_10device_ptrItEEEESE_PS5_SF_jNS0_19identity_decomposerENS1_16block_id_wrapperIjLb0EEEEE10hipError_tT1_PNSt15iterator_traitsISK_E10value_typeET2_T3_PNSL_ISQ_E10value_typeET4_T5_PSV_SW_PNS1_23onesweep_lookback_stateEbbT6_jjT7_P12ihipStream_tbENKUlT_T0_SK_SP_E_clISE_PtSF_SF_EEDaS13_S14_SK_SP_EUlS13_E_NS1_11comp_targetILNS1_3genE8ELNS1_11target_archE1030ELNS1_3gpuE2ELNS1_3repE0EEENS1_47radix_sort_onesweep_sort_config_static_selectorELNS0_4arch9wavefront6targetE1EEEvSK_ ; -- Begin function _ZN7rocprim17ROCPRIM_400000_NS6detail17trampoline_kernelINS0_14default_configENS1_35radix_sort_onesweep_config_selectorItNS0_10empty_typeEEEZZNS1_29radix_sort_onesweep_iterationIS3_Lb0EN6thrust23THRUST_200600_302600_NS6detail15normal_iteratorINS9_10device_ptrItEEEESE_PS5_SF_jNS0_19identity_decomposerENS1_16block_id_wrapperIjLb0EEEEE10hipError_tT1_PNSt15iterator_traitsISK_E10value_typeET2_T3_PNSL_ISQ_E10value_typeET4_T5_PSV_SW_PNS1_23onesweep_lookback_stateEbbT6_jjT7_P12ihipStream_tbENKUlT_T0_SK_SP_E_clISE_PtSF_SF_EEDaS13_S14_SK_SP_EUlS13_E_NS1_11comp_targetILNS1_3genE8ELNS1_11target_archE1030ELNS1_3gpuE2ELNS1_3repE0EEENS1_47radix_sort_onesweep_sort_config_static_selectorELNS0_4arch9wavefront6targetE1EEEvSK_
	.globl	_ZN7rocprim17ROCPRIM_400000_NS6detail17trampoline_kernelINS0_14default_configENS1_35radix_sort_onesweep_config_selectorItNS0_10empty_typeEEEZZNS1_29radix_sort_onesweep_iterationIS3_Lb0EN6thrust23THRUST_200600_302600_NS6detail15normal_iteratorINS9_10device_ptrItEEEESE_PS5_SF_jNS0_19identity_decomposerENS1_16block_id_wrapperIjLb0EEEEE10hipError_tT1_PNSt15iterator_traitsISK_E10value_typeET2_T3_PNSL_ISQ_E10value_typeET4_T5_PSV_SW_PNS1_23onesweep_lookback_stateEbbT6_jjT7_P12ihipStream_tbENKUlT_T0_SK_SP_E_clISE_PtSF_SF_EEDaS13_S14_SK_SP_EUlS13_E_NS1_11comp_targetILNS1_3genE8ELNS1_11target_archE1030ELNS1_3gpuE2ELNS1_3repE0EEENS1_47radix_sort_onesweep_sort_config_static_selectorELNS0_4arch9wavefront6targetE1EEEvSK_
	.p2align	8
	.type	_ZN7rocprim17ROCPRIM_400000_NS6detail17trampoline_kernelINS0_14default_configENS1_35radix_sort_onesweep_config_selectorItNS0_10empty_typeEEEZZNS1_29radix_sort_onesweep_iterationIS3_Lb0EN6thrust23THRUST_200600_302600_NS6detail15normal_iteratorINS9_10device_ptrItEEEESE_PS5_SF_jNS0_19identity_decomposerENS1_16block_id_wrapperIjLb0EEEEE10hipError_tT1_PNSt15iterator_traitsISK_E10value_typeET2_T3_PNSL_ISQ_E10value_typeET4_T5_PSV_SW_PNS1_23onesweep_lookback_stateEbbT6_jjT7_P12ihipStream_tbENKUlT_T0_SK_SP_E_clISE_PtSF_SF_EEDaS13_S14_SK_SP_EUlS13_E_NS1_11comp_targetILNS1_3genE8ELNS1_11target_archE1030ELNS1_3gpuE2ELNS1_3repE0EEENS1_47radix_sort_onesweep_sort_config_static_selectorELNS0_4arch9wavefront6targetE1EEEvSK_,@function
_ZN7rocprim17ROCPRIM_400000_NS6detail17trampoline_kernelINS0_14default_configENS1_35radix_sort_onesweep_config_selectorItNS0_10empty_typeEEEZZNS1_29radix_sort_onesweep_iterationIS3_Lb0EN6thrust23THRUST_200600_302600_NS6detail15normal_iteratorINS9_10device_ptrItEEEESE_PS5_SF_jNS0_19identity_decomposerENS1_16block_id_wrapperIjLb0EEEEE10hipError_tT1_PNSt15iterator_traitsISK_E10value_typeET2_T3_PNSL_ISQ_E10value_typeET4_T5_PSV_SW_PNS1_23onesweep_lookback_stateEbbT6_jjT7_P12ihipStream_tbENKUlT_T0_SK_SP_E_clISE_PtSF_SF_EEDaS13_S14_SK_SP_EUlS13_E_NS1_11comp_targetILNS1_3genE8ELNS1_11target_archE1030ELNS1_3gpuE2ELNS1_3repE0EEENS1_47radix_sort_onesweep_sort_config_static_selectorELNS0_4arch9wavefront6targetE1EEEvSK_: ; @_ZN7rocprim17ROCPRIM_400000_NS6detail17trampoline_kernelINS0_14default_configENS1_35radix_sort_onesweep_config_selectorItNS0_10empty_typeEEEZZNS1_29radix_sort_onesweep_iterationIS3_Lb0EN6thrust23THRUST_200600_302600_NS6detail15normal_iteratorINS9_10device_ptrItEEEESE_PS5_SF_jNS0_19identity_decomposerENS1_16block_id_wrapperIjLb0EEEEE10hipError_tT1_PNSt15iterator_traitsISK_E10value_typeET2_T3_PNSL_ISQ_E10value_typeET4_T5_PSV_SW_PNS1_23onesweep_lookback_stateEbbT6_jjT7_P12ihipStream_tbENKUlT_T0_SK_SP_E_clISE_PtSF_SF_EEDaS13_S14_SK_SP_EUlS13_E_NS1_11comp_targetILNS1_3genE8ELNS1_11target_archE1030ELNS1_3gpuE2ELNS1_3repE0EEENS1_47radix_sort_onesweep_sort_config_static_selectorELNS0_4arch9wavefront6targetE1EEEvSK_
; %bb.0:
	.section	.rodata,"a",@progbits
	.p2align	6, 0x0
	.amdhsa_kernel _ZN7rocprim17ROCPRIM_400000_NS6detail17trampoline_kernelINS0_14default_configENS1_35radix_sort_onesweep_config_selectorItNS0_10empty_typeEEEZZNS1_29radix_sort_onesweep_iterationIS3_Lb0EN6thrust23THRUST_200600_302600_NS6detail15normal_iteratorINS9_10device_ptrItEEEESE_PS5_SF_jNS0_19identity_decomposerENS1_16block_id_wrapperIjLb0EEEEE10hipError_tT1_PNSt15iterator_traitsISK_E10value_typeET2_T3_PNSL_ISQ_E10value_typeET4_T5_PSV_SW_PNS1_23onesweep_lookback_stateEbbT6_jjT7_P12ihipStream_tbENKUlT_T0_SK_SP_E_clISE_PtSF_SF_EEDaS13_S14_SK_SP_EUlS13_E_NS1_11comp_targetILNS1_3genE8ELNS1_11target_archE1030ELNS1_3gpuE2ELNS1_3repE0EEENS1_47radix_sort_onesweep_sort_config_static_selectorELNS0_4arch9wavefront6targetE1EEEvSK_
		.amdhsa_group_segment_fixed_size 0
		.amdhsa_private_segment_fixed_size 0
		.amdhsa_kernarg_size 88
		.amdhsa_user_sgpr_count 6
		.amdhsa_user_sgpr_private_segment_buffer 1
		.amdhsa_user_sgpr_dispatch_ptr 0
		.amdhsa_user_sgpr_queue_ptr 0
		.amdhsa_user_sgpr_kernarg_segment_ptr 1
		.amdhsa_user_sgpr_dispatch_id 0
		.amdhsa_user_sgpr_flat_scratch_init 0
		.amdhsa_user_sgpr_kernarg_preload_length 0
		.amdhsa_user_sgpr_kernarg_preload_offset 0
		.amdhsa_user_sgpr_private_segment_size 0
		.amdhsa_uses_dynamic_stack 0
		.amdhsa_system_sgpr_private_segment_wavefront_offset 0
		.amdhsa_system_sgpr_workgroup_id_x 1
		.amdhsa_system_sgpr_workgroup_id_y 0
		.amdhsa_system_sgpr_workgroup_id_z 0
		.amdhsa_system_sgpr_workgroup_info 0
		.amdhsa_system_vgpr_workitem_id 0
		.amdhsa_next_free_vgpr 1
		.amdhsa_next_free_sgpr 0
		.amdhsa_accum_offset 4
		.amdhsa_reserve_vcc 0
		.amdhsa_reserve_flat_scratch 0
		.amdhsa_float_round_mode_32 0
		.amdhsa_float_round_mode_16_64 0
		.amdhsa_float_denorm_mode_32 3
		.amdhsa_float_denorm_mode_16_64 3
		.amdhsa_dx10_clamp 1
		.amdhsa_ieee_mode 1
		.amdhsa_fp16_overflow 0
		.amdhsa_tg_split 0
		.amdhsa_exception_fp_ieee_invalid_op 0
		.amdhsa_exception_fp_denorm_src 0
		.amdhsa_exception_fp_ieee_div_zero 0
		.amdhsa_exception_fp_ieee_overflow 0
		.amdhsa_exception_fp_ieee_underflow 0
		.amdhsa_exception_fp_ieee_inexact 0
		.amdhsa_exception_int_div_zero 0
	.end_amdhsa_kernel
	.section	.text._ZN7rocprim17ROCPRIM_400000_NS6detail17trampoline_kernelINS0_14default_configENS1_35radix_sort_onesweep_config_selectorItNS0_10empty_typeEEEZZNS1_29radix_sort_onesweep_iterationIS3_Lb0EN6thrust23THRUST_200600_302600_NS6detail15normal_iteratorINS9_10device_ptrItEEEESE_PS5_SF_jNS0_19identity_decomposerENS1_16block_id_wrapperIjLb0EEEEE10hipError_tT1_PNSt15iterator_traitsISK_E10value_typeET2_T3_PNSL_ISQ_E10value_typeET4_T5_PSV_SW_PNS1_23onesweep_lookback_stateEbbT6_jjT7_P12ihipStream_tbENKUlT_T0_SK_SP_E_clISE_PtSF_SF_EEDaS13_S14_SK_SP_EUlS13_E_NS1_11comp_targetILNS1_3genE8ELNS1_11target_archE1030ELNS1_3gpuE2ELNS1_3repE0EEENS1_47radix_sort_onesweep_sort_config_static_selectorELNS0_4arch9wavefront6targetE1EEEvSK_,"axG",@progbits,_ZN7rocprim17ROCPRIM_400000_NS6detail17trampoline_kernelINS0_14default_configENS1_35radix_sort_onesweep_config_selectorItNS0_10empty_typeEEEZZNS1_29radix_sort_onesweep_iterationIS3_Lb0EN6thrust23THRUST_200600_302600_NS6detail15normal_iteratorINS9_10device_ptrItEEEESE_PS5_SF_jNS0_19identity_decomposerENS1_16block_id_wrapperIjLb0EEEEE10hipError_tT1_PNSt15iterator_traitsISK_E10value_typeET2_T3_PNSL_ISQ_E10value_typeET4_T5_PSV_SW_PNS1_23onesweep_lookback_stateEbbT6_jjT7_P12ihipStream_tbENKUlT_T0_SK_SP_E_clISE_PtSF_SF_EEDaS13_S14_SK_SP_EUlS13_E_NS1_11comp_targetILNS1_3genE8ELNS1_11target_archE1030ELNS1_3gpuE2ELNS1_3repE0EEENS1_47radix_sort_onesweep_sort_config_static_selectorELNS0_4arch9wavefront6targetE1EEEvSK_,comdat
.Lfunc_end1382:
	.size	_ZN7rocprim17ROCPRIM_400000_NS6detail17trampoline_kernelINS0_14default_configENS1_35radix_sort_onesweep_config_selectorItNS0_10empty_typeEEEZZNS1_29radix_sort_onesweep_iterationIS3_Lb0EN6thrust23THRUST_200600_302600_NS6detail15normal_iteratorINS9_10device_ptrItEEEESE_PS5_SF_jNS0_19identity_decomposerENS1_16block_id_wrapperIjLb0EEEEE10hipError_tT1_PNSt15iterator_traitsISK_E10value_typeET2_T3_PNSL_ISQ_E10value_typeET4_T5_PSV_SW_PNS1_23onesweep_lookback_stateEbbT6_jjT7_P12ihipStream_tbENKUlT_T0_SK_SP_E_clISE_PtSF_SF_EEDaS13_S14_SK_SP_EUlS13_E_NS1_11comp_targetILNS1_3genE8ELNS1_11target_archE1030ELNS1_3gpuE2ELNS1_3repE0EEENS1_47radix_sort_onesweep_sort_config_static_selectorELNS0_4arch9wavefront6targetE1EEEvSK_, .Lfunc_end1382-_ZN7rocprim17ROCPRIM_400000_NS6detail17trampoline_kernelINS0_14default_configENS1_35radix_sort_onesweep_config_selectorItNS0_10empty_typeEEEZZNS1_29radix_sort_onesweep_iterationIS3_Lb0EN6thrust23THRUST_200600_302600_NS6detail15normal_iteratorINS9_10device_ptrItEEEESE_PS5_SF_jNS0_19identity_decomposerENS1_16block_id_wrapperIjLb0EEEEE10hipError_tT1_PNSt15iterator_traitsISK_E10value_typeET2_T3_PNSL_ISQ_E10value_typeET4_T5_PSV_SW_PNS1_23onesweep_lookback_stateEbbT6_jjT7_P12ihipStream_tbENKUlT_T0_SK_SP_E_clISE_PtSF_SF_EEDaS13_S14_SK_SP_EUlS13_E_NS1_11comp_targetILNS1_3genE8ELNS1_11target_archE1030ELNS1_3gpuE2ELNS1_3repE0EEENS1_47radix_sort_onesweep_sort_config_static_selectorELNS0_4arch9wavefront6targetE1EEEvSK_
                                        ; -- End function
	.section	.AMDGPU.csdata,"",@progbits
; Kernel info:
; codeLenInByte = 0
; NumSgprs: 4
; NumVgprs: 0
; NumAgprs: 0
; TotalNumVgprs: 0
; ScratchSize: 0
; MemoryBound: 0
; FloatMode: 240
; IeeeMode: 1
; LDSByteSize: 0 bytes/workgroup (compile time only)
; SGPRBlocks: 0
; VGPRBlocks: 0
; NumSGPRsForWavesPerEU: 4
; NumVGPRsForWavesPerEU: 1
; AccumOffset: 4
; Occupancy: 8
; WaveLimiterHint : 0
; COMPUTE_PGM_RSRC2:SCRATCH_EN: 0
; COMPUTE_PGM_RSRC2:USER_SGPR: 6
; COMPUTE_PGM_RSRC2:TRAP_HANDLER: 0
; COMPUTE_PGM_RSRC2:TGID_X_EN: 1
; COMPUTE_PGM_RSRC2:TGID_Y_EN: 0
; COMPUTE_PGM_RSRC2:TGID_Z_EN: 0
; COMPUTE_PGM_RSRC2:TIDIG_COMP_CNT: 0
; COMPUTE_PGM_RSRC3_GFX90A:ACCUM_OFFSET: 0
; COMPUTE_PGM_RSRC3_GFX90A:TG_SPLIT: 0
	.section	.text._ZN7rocprim17ROCPRIM_400000_NS6detail17trampoline_kernelINS0_14default_configENS1_35radix_sort_onesweep_config_selectorItNS0_10empty_typeEEEZZNS1_29radix_sort_onesweep_iterationIS3_Lb0EN6thrust23THRUST_200600_302600_NS6detail15normal_iteratorINS9_10device_ptrItEEEESE_PS5_SF_jNS0_19identity_decomposerENS1_16block_id_wrapperIjLb0EEEEE10hipError_tT1_PNSt15iterator_traitsISK_E10value_typeET2_T3_PNSL_ISQ_E10value_typeET4_T5_PSV_SW_PNS1_23onesweep_lookback_stateEbbT6_jjT7_P12ihipStream_tbENKUlT_T0_SK_SP_E_clIPtSE_SF_SF_EEDaS13_S14_SK_SP_EUlS13_E_NS1_11comp_targetILNS1_3genE0ELNS1_11target_archE4294967295ELNS1_3gpuE0ELNS1_3repE0EEENS1_47radix_sort_onesweep_sort_config_static_selectorELNS0_4arch9wavefront6targetE1EEEvSK_,"axG",@progbits,_ZN7rocprim17ROCPRIM_400000_NS6detail17trampoline_kernelINS0_14default_configENS1_35radix_sort_onesweep_config_selectorItNS0_10empty_typeEEEZZNS1_29radix_sort_onesweep_iterationIS3_Lb0EN6thrust23THRUST_200600_302600_NS6detail15normal_iteratorINS9_10device_ptrItEEEESE_PS5_SF_jNS0_19identity_decomposerENS1_16block_id_wrapperIjLb0EEEEE10hipError_tT1_PNSt15iterator_traitsISK_E10value_typeET2_T3_PNSL_ISQ_E10value_typeET4_T5_PSV_SW_PNS1_23onesweep_lookback_stateEbbT6_jjT7_P12ihipStream_tbENKUlT_T0_SK_SP_E_clIPtSE_SF_SF_EEDaS13_S14_SK_SP_EUlS13_E_NS1_11comp_targetILNS1_3genE0ELNS1_11target_archE4294967295ELNS1_3gpuE0ELNS1_3repE0EEENS1_47radix_sort_onesweep_sort_config_static_selectorELNS0_4arch9wavefront6targetE1EEEvSK_,comdat
	.protected	_ZN7rocprim17ROCPRIM_400000_NS6detail17trampoline_kernelINS0_14default_configENS1_35radix_sort_onesweep_config_selectorItNS0_10empty_typeEEEZZNS1_29radix_sort_onesweep_iterationIS3_Lb0EN6thrust23THRUST_200600_302600_NS6detail15normal_iteratorINS9_10device_ptrItEEEESE_PS5_SF_jNS0_19identity_decomposerENS1_16block_id_wrapperIjLb0EEEEE10hipError_tT1_PNSt15iterator_traitsISK_E10value_typeET2_T3_PNSL_ISQ_E10value_typeET4_T5_PSV_SW_PNS1_23onesweep_lookback_stateEbbT6_jjT7_P12ihipStream_tbENKUlT_T0_SK_SP_E_clIPtSE_SF_SF_EEDaS13_S14_SK_SP_EUlS13_E_NS1_11comp_targetILNS1_3genE0ELNS1_11target_archE4294967295ELNS1_3gpuE0ELNS1_3repE0EEENS1_47radix_sort_onesweep_sort_config_static_selectorELNS0_4arch9wavefront6targetE1EEEvSK_ ; -- Begin function _ZN7rocprim17ROCPRIM_400000_NS6detail17trampoline_kernelINS0_14default_configENS1_35radix_sort_onesweep_config_selectorItNS0_10empty_typeEEEZZNS1_29radix_sort_onesweep_iterationIS3_Lb0EN6thrust23THRUST_200600_302600_NS6detail15normal_iteratorINS9_10device_ptrItEEEESE_PS5_SF_jNS0_19identity_decomposerENS1_16block_id_wrapperIjLb0EEEEE10hipError_tT1_PNSt15iterator_traitsISK_E10value_typeET2_T3_PNSL_ISQ_E10value_typeET4_T5_PSV_SW_PNS1_23onesweep_lookback_stateEbbT6_jjT7_P12ihipStream_tbENKUlT_T0_SK_SP_E_clIPtSE_SF_SF_EEDaS13_S14_SK_SP_EUlS13_E_NS1_11comp_targetILNS1_3genE0ELNS1_11target_archE4294967295ELNS1_3gpuE0ELNS1_3repE0EEENS1_47radix_sort_onesweep_sort_config_static_selectorELNS0_4arch9wavefront6targetE1EEEvSK_
	.globl	_ZN7rocprim17ROCPRIM_400000_NS6detail17trampoline_kernelINS0_14default_configENS1_35radix_sort_onesweep_config_selectorItNS0_10empty_typeEEEZZNS1_29radix_sort_onesweep_iterationIS3_Lb0EN6thrust23THRUST_200600_302600_NS6detail15normal_iteratorINS9_10device_ptrItEEEESE_PS5_SF_jNS0_19identity_decomposerENS1_16block_id_wrapperIjLb0EEEEE10hipError_tT1_PNSt15iterator_traitsISK_E10value_typeET2_T3_PNSL_ISQ_E10value_typeET4_T5_PSV_SW_PNS1_23onesweep_lookback_stateEbbT6_jjT7_P12ihipStream_tbENKUlT_T0_SK_SP_E_clIPtSE_SF_SF_EEDaS13_S14_SK_SP_EUlS13_E_NS1_11comp_targetILNS1_3genE0ELNS1_11target_archE4294967295ELNS1_3gpuE0ELNS1_3repE0EEENS1_47radix_sort_onesweep_sort_config_static_selectorELNS0_4arch9wavefront6targetE1EEEvSK_
	.p2align	8
	.type	_ZN7rocprim17ROCPRIM_400000_NS6detail17trampoline_kernelINS0_14default_configENS1_35radix_sort_onesweep_config_selectorItNS0_10empty_typeEEEZZNS1_29radix_sort_onesweep_iterationIS3_Lb0EN6thrust23THRUST_200600_302600_NS6detail15normal_iteratorINS9_10device_ptrItEEEESE_PS5_SF_jNS0_19identity_decomposerENS1_16block_id_wrapperIjLb0EEEEE10hipError_tT1_PNSt15iterator_traitsISK_E10value_typeET2_T3_PNSL_ISQ_E10value_typeET4_T5_PSV_SW_PNS1_23onesweep_lookback_stateEbbT6_jjT7_P12ihipStream_tbENKUlT_T0_SK_SP_E_clIPtSE_SF_SF_EEDaS13_S14_SK_SP_EUlS13_E_NS1_11comp_targetILNS1_3genE0ELNS1_11target_archE4294967295ELNS1_3gpuE0ELNS1_3repE0EEENS1_47radix_sort_onesweep_sort_config_static_selectorELNS0_4arch9wavefront6targetE1EEEvSK_,@function
_ZN7rocprim17ROCPRIM_400000_NS6detail17trampoline_kernelINS0_14default_configENS1_35radix_sort_onesweep_config_selectorItNS0_10empty_typeEEEZZNS1_29radix_sort_onesweep_iterationIS3_Lb0EN6thrust23THRUST_200600_302600_NS6detail15normal_iteratorINS9_10device_ptrItEEEESE_PS5_SF_jNS0_19identity_decomposerENS1_16block_id_wrapperIjLb0EEEEE10hipError_tT1_PNSt15iterator_traitsISK_E10value_typeET2_T3_PNSL_ISQ_E10value_typeET4_T5_PSV_SW_PNS1_23onesweep_lookback_stateEbbT6_jjT7_P12ihipStream_tbENKUlT_T0_SK_SP_E_clIPtSE_SF_SF_EEDaS13_S14_SK_SP_EUlS13_E_NS1_11comp_targetILNS1_3genE0ELNS1_11target_archE4294967295ELNS1_3gpuE0ELNS1_3repE0EEENS1_47radix_sort_onesweep_sort_config_static_selectorELNS0_4arch9wavefront6targetE1EEEvSK_: ; @_ZN7rocprim17ROCPRIM_400000_NS6detail17trampoline_kernelINS0_14default_configENS1_35radix_sort_onesweep_config_selectorItNS0_10empty_typeEEEZZNS1_29radix_sort_onesweep_iterationIS3_Lb0EN6thrust23THRUST_200600_302600_NS6detail15normal_iteratorINS9_10device_ptrItEEEESE_PS5_SF_jNS0_19identity_decomposerENS1_16block_id_wrapperIjLb0EEEEE10hipError_tT1_PNSt15iterator_traitsISK_E10value_typeET2_T3_PNSL_ISQ_E10value_typeET4_T5_PSV_SW_PNS1_23onesweep_lookback_stateEbbT6_jjT7_P12ihipStream_tbENKUlT_T0_SK_SP_E_clIPtSE_SF_SF_EEDaS13_S14_SK_SP_EUlS13_E_NS1_11comp_targetILNS1_3genE0ELNS1_11target_archE4294967295ELNS1_3gpuE0ELNS1_3repE0EEENS1_47radix_sort_onesweep_sort_config_static_selectorELNS0_4arch9wavefront6targetE1EEEvSK_
; %bb.0:
	.section	.rodata,"a",@progbits
	.p2align	6, 0x0
	.amdhsa_kernel _ZN7rocprim17ROCPRIM_400000_NS6detail17trampoline_kernelINS0_14default_configENS1_35radix_sort_onesweep_config_selectorItNS0_10empty_typeEEEZZNS1_29radix_sort_onesweep_iterationIS3_Lb0EN6thrust23THRUST_200600_302600_NS6detail15normal_iteratorINS9_10device_ptrItEEEESE_PS5_SF_jNS0_19identity_decomposerENS1_16block_id_wrapperIjLb0EEEEE10hipError_tT1_PNSt15iterator_traitsISK_E10value_typeET2_T3_PNSL_ISQ_E10value_typeET4_T5_PSV_SW_PNS1_23onesweep_lookback_stateEbbT6_jjT7_P12ihipStream_tbENKUlT_T0_SK_SP_E_clIPtSE_SF_SF_EEDaS13_S14_SK_SP_EUlS13_E_NS1_11comp_targetILNS1_3genE0ELNS1_11target_archE4294967295ELNS1_3gpuE0ELNS1_3repE0EEENS1_47radix_sort_onesweep_sort_config_static_selectorELNS0_4arch9wavefront6targetE1EEEvSK_
		.amdhsa_group_segment_fixed_size 0
		.amdhsa_private_segment_fixed_size 0
		.amdhsa_kernarg_size 88
		.amdhsa_user_sgpr_count 6
		.amdhsa_user_sgpr_private_segment_buffer 1
		.amdhsa_user_sgpr_dispatch_ptr 0
		.amdhsa_user_sgpr_queue_ptr 0
		.amdhsa_user_sgpr_kernarg_segment_ptr 1
		.amdhsa_user_sgpr_dispatch_id 0
		.amdhsa_user_sgpr_flat_scratch_init 0
		.amdhsa_user_sgpr_kernarg_preload_length 0
		.amdhsa_user_sgpr_kernarg_preload_offset 0
		.amdhsa_user_sgpr_private_segment_size 0
		.amdhsa_uses_dynamic_stack 0
		.amdhsa_system_sgpr_private_segment_wavefront_offset 0
		.amdhsa_system_sgpr_workgroup_id_x 1
		.amdhsa_system_sgpr_workgroup_id_y 0
		.amdhsa_system_sgpr_workgroup_id_z 0
		.amdhsa_system_sgpr_workgroup_info 0
		.amdhsa_system_vgpr_workitem_id 0
		.amdhsa_next_free_vgpr 1
		.amdhsa_next_free_sgpr 0
		.amdhsa_accum_offset 4
		.amdhsa_reserve_vcc 0
		.amdhsa_reserve_flat_scratch 0
		.amdhsa_float_round_mode_32 0
		.amdhsa_float_round_mode_16_64 0
		.amdhsa_float_denorm_mode_32 3
		.amdhsa_float_denorm_mode_16_64 3
		.amdhsa_dx10_clamp 1
		.amdhsa_ieee_mode 1
		.amdhsa_fp16_overflow 0
		.amdhsa_tg_split 0
		.amdhsa_exception_fp_ieee_invalid_op 0
		.amdhsa_exception_fp_denorm_src 0
		.amdhsa_exception_fp_ieee_div_zero 0
		.amdhsa_exception_fp_ieee_overflow 0
		.amdhsa_exception_fp_ieee_underflow 0
		.amdhsa_exception_fp_ieee_inexact 0
		.amdhsa_exception_int_div_zero 0
	.end_amdhsa_kernel
	.section	.text._ZN7rocprim17ROCPRIM_400000_NS6detail17trampoline_kernelINS0_14default_configENS1_35radix_sort_onesweep_config_selectorItNS0_10empty_typeEEEZZNS1_29radix_sort_onesweep_iterationIS3_Lb0EN6thrust23THRUST_200600_302600_NS6detail15normal_iteratorINS9_10device_ptrItEEEESE_PS5_SF_jNS0_19identity_decomposerENS1_16block_id_wrapperIjLb0EEEEE10hipError_tT1_PNSt15iterator_traitsISK_E10value_typeET2_T3_PNSL_ISQ_E10value_typeET4_T5_PSV_SW_PNS1_23onesweep_lookback_stateEbbT6_jjT7_P12ihipStream_tbENKUlT_T0_SK_SP_E_clIPtSE_SF_SF_EEDaS13_S14_SK_SP_EUlS13_E_NS1_11comp_targetILNS1_3genE0ELNS1_11target_archE4294967295ELNS1_3gpuE0ELNS1_3repE0EEENS1_47radix_sort_onesweep_sort_config_static_selectorELNS0_4arch9wavefront6targetE1EEEvSK_,"axG",@progbits,_ZN7rocprim17ROCPRIM_400000_NS6detail17trampoline_kernelINS0_14default_configENS1_35radix_sort_onesweep_config_selectorItNS0_10empty_typeEEEZZNS1_29radix_sort_onesweep_iterationIS3_Lb0EN6thrust23THRUST_200600_302600_NS6detail15normal_iteratorINS9_10device_ptrItEEEESE_PS5_SF_jNS0_19identity_decomposerENS1_16block_id_wrapperIjLb0EEEEE10hipError_tT1_PNSt15iterator_traitsISK_E10value_typeET2_T3_PNSL_ISQ_E10value_typeET4_T5_PSV_SW_PNS1_23onesweep_lookback_stateEbbT6_jjT7_P12ihipStream_tbENKUlT_T0_SK_SP_E_clIPtSE_SF_SF_EEDaS13_S14_SK_SP_EUlS13_E_NS1_11comp_targetILNS1_3genE0ELNS1_11target_archE4294967295ELNS1_3gpuE0ELNS1_3repE0EEENS1_47radix_sort_onesweep_sort_config_static_selectorELNS0_4arch9wavefront6targetE1EEEvSK_,comdat
.Lfunc_end1383:
	.size	_ZN7rocprim17ROCPRIM_400000_NS6detail17trampoline_kernelINS0_14default_configENS1_35radix_sort_onesweep_config_selectorItNS0_10empty_typeEEEZZNS1_29radix_sort_onesweep_iterationIS3_Lb0EN6thrust23THRUST_200600_302600_NS6detail15normal_iteratorINS9_10device_ptrItEEEESE_PS5_SF_jNS0_19identity_decomposerENS1_16block_id_wrapperIjLb0EEEEE10hipError_tT1_PNSt15iterator_traitsISK_E10value_typeET2_T3_PNSL_ISQ_E10value_typeET4_T5_PSV_SW_PNS1_23onesweep_lookback_stateEbbT6_jjT7_P12ihipStream_tbENKUlT_T0_SK_SP_E_clIPtSE_SF_SF_EEDaS13_S14_SK_SP_EUlS13_E_NS1_11comp_targetILNS1_3genE0ELNS1_11target_archE4294967295ELNS1_3gpuE0ELNS1_3repE0EEENS1_47radix_sort_onesweep_sort_config_static_selectorELNS0_4arch9wavefront6targetE1EEEvSK_, .Lfunc_end1383-_ZN7rocprim17ROCPRIM_400000_NS6detail17trampoline_kernelINS0_14default_configENS1_35radix_sort_onesweep_config_selectorItNS0_10empty_typeEEEZZNS1_29radix_sort_onesweep_iterationIS3_Lb0EN6thrust23THRUST_200600_302600_NS6detail15normal_iteratorINS9_10device_ptrItEEEESE_PS5_SF_jNS0_19identity_decomposerENS1_16block_id_wrapperIjLb0EEEEE10hipError_tT1_PNSt15iterator_traitsISK_E10value_typeET2_T3_PNSL_ISQ_E10value_typeET4_T5_PSV_SW_PNS1_23onesweep_lookback_stateEbbT6_jjT7_P12ihipStream_tbENKUlT_T0_SK_SP_E_clIPtSE_SF_SF_EEDaS13_S14_SK_SP_EUlS13_E_NS1_11comp_targetILNS1_3genE0ELNS1_11target_archE4294967295ELNS1_3gpuE0ELNS1_3repE0EEENS1_47radix_sort_onesweep_sort_config_static_selectorELNS0_4arch9wavefront6targetE1EEEvSK_
                                        ; -- End function
	.section	.AMDGPU.csdata,"",@progbits
; Kernel info:
; codeLenInByte = 0
; NumSgprs: 4
; NumVgprs: 0
; NumAgprs: 0
; TotalNumVgprs: 0
; ScratchSize: 0
; MemoryBound: 0
; FloatMode: 240
; IeeeMode: 1
; LDSByteSize: 0 bytes/workgroup (compile time only)
; SGPRBlocks: 0
; VGPRBlocks: 0
; NumSGPRsForWavesPerEU: 4
; NumVGPRsForWavesPerEU: 1
; AccumOffset: 4
; Occupancy: 8
; WaveLimiterHint : 0
; COMPUTE_PGM_RSRC2:SCRATCH_EN: 0
; COMPUTE_PGM_RSRC2:USER_SGPR: 6
; COMPUTE_PGM_RSRC2:TRAP_HANDLER: 0
; COMPUTE_PGM_RSRC2:TGID_X_EN: 1
; COMPUTE_PGM_RSRC2:TGID_Y_EN: 0
; COMPUTE_PGM_RSRC2:TGID_Z_EN: 0
; COMPUTE_PGM_RSRC2:TIDIG_COMP_CNT: 0
; COMPUTE_PGM_RSRC3_GFX90A:ACCUM_OFFSET: 0
; COMPUTE_PGM_RSRC3_GFX90A:TG_SPLIT: 0
	.section	.text._ZN7rocprim17ROCPRIM_400000_NS6detail17trampoline_kernelINS0_14default_configENS1_35radix_sort_onesweep_config_selectorItNS0_10empty_typeEEEZZNS1_29radix_sort_onesweep_iterationIS3_Lb0EN6thrust23THRUST_200600_302600_NS6detail15normal_iteratorINS9_10device_ptrItEEEESE_PS5_SF_jNS0_19identity_decomposerENS1_16block_id_wrapperIjLb0EEEEE10hipError_tT1_PNSt15iterator_traitsISK_E10value_typeET2_T3_PNSL_ISQ_E10value_typeET4_T5_PSV_SW_PNS1_23onesweep_lookback_stateEbbT6_jjT7_P12ihipStream_tbENKUlT_T0_SK_SP_E_clIPtSE_SF_SF_EEDaS13_S14_SK_SP_EUlS13_E_NS1_11comp_targetILNS1_3genE6ELNS1_11target_archE950ELNS1_3gpuE13ELNS1_3repE0EEENS1_47radix_sort_onesweep_sort_config_static_selectorELNS0_4arch9wavefront6targetE1EEEvSK_,"axG",@progbits,_ZN7rocprim17ROCPRIM_400000_NS6detail17trampoline_kernelINS0_14default_configENS1_35radix_sort_onesweep_config_selectorItNS0_10empty_typeEEEZZNS1_29radix_sort_onesweep_iterationIS3_Lb0EN6thrust23THRUST_200600_302600_NS6detail15normal_iteratorINS9_10device_ptrItEEEESE_PS5_SF_jNS0_19identity_decomposerENS1_16block_id_wrapperIjLb0EEEEE10hipError_tT1_PNSt15iterator_traitsISK_E10value_typeET2_T3_PNSL_ISQ_E10value_typeET4_T5_PSV_SW_PNS1_23onesweep_lookback_stateEbbT6_jjT7_P12ihipStream_tbENKUlT_T0_SK_SP_E_clIPtSE_SF_SF_EEDaS13_S14_SK_SP_EUlS13_E_NS1_11comp_targetILNS1_3genE6ELNS1_11target_archE950ELNS1_3gpuE13ELNS1_3repE0EEENS1_47radix_sort_onesweep_sort_config_static_selectorELNS0_4arch9wavefront6targetE1EEEvSK_,comdat
	.protected	_ZN7rocprim17ROCPRIM_400000_NS6detail17trampoline_kernelINS0_14default_configENS1_35radix_sort_onesweep_config_selectorItNS0_10empty_typeEEEZZNS1_29radix_sort_onesweep_iterationIS3_Lb0EN6thrust23THRUST_200600_302600_NS6detail15normal_iteratorINS9_10device_ptrItEEEESE_PS5_SF_jNS0_19identity_decomposerENS1_16block_id_wrapperIjLb0EEEEE10hipError_tT1_PNSt15iterator_traitsISK_E10value_typeET2_T3_PNSL_ISQ_E10value_typeET4_T5_PSV_SW_PNS1_23onesweep_lookback_stateEbbT6_jjT7_P12ihipStream_tbENKUlT_T0_SK_SP_E_clIPtSE_SF_SF_EEDaS13_S14_SK_SP_EUlS13_E_NS1_11comp_targetILNS1_3genE6ELNS1_11target_archE950ELNS1_3gpuE13ELNS1_3repE0EEENS1_47radix_sort_onesweep_sort_config_static_selectorELNS0_4arch9wavefront6targetE1EEEvSK_ ; -- Begin function _ZN7rocprim17ROCPRIM_400000_NS6detail17trampoline_kernelINS0_14default_configENS1_35radix_sort_onesweep_config_selectorItNS0_10empty_typeEEEZZNS1_29radix_sort_onesweep_iterationIS3_Lb0EN6thrust23THRUST_200600_302600_NS6detail15normal_iteratorINS9_10device_ptrItEEEESE_PS5_SF_jNS0_19identity_decomposerENS1_16block_id_wrapperIjLb0EEEEE10hipError_tT1_PNSt15iterator_traitsISK_E10value_typeET2_T3_PNSL_ISQ_E10value_typeET4_T5_PSV_SW_PNS1_23onesweep_lookback_stateEbbT6_jjT7_P12ihipStream_tbENKUlT_T0_SK_SP_E_clIPtSE_SF_SF_EEDaS13_S14_SK_SP_EUlS13_E_NS1_11comp_targetILNS1_3genE6ELNS1_11target_archE950ELNS1_3gpuE13ELNS1_3repE0EEENS1_47radix_sort_onesweep_sort_config_static_selectorELNS0_4arch9wavefront6targetE1EEEvSK_
	.globl	_ZN7rocprim17ROCPRIM_400000_NS6detail17trampoline_kernelINS0_14default_configENS1_35radix_sort_onesweep_config_selectorItNS0_10empty_typeEEEZZNS1_29radix_sort_onesweep_iterationIS3_Lb0EN6thrust23THRUST_200600_302600_NS6detail15normal_iteratorINS9_10device_ptrItEEEESE_PS5_SF_jNS0_19identity_decomposerENS1_16block_id_wrapperIjLb0EEEEE10hipError_tT1_PNSt15iterator_traitsISK_E10value_typeET2_T3_PNSL_ISQ_E10value_typeET4_T5_PSV_SW_PNS1_23onesweep_lookback_stateEbbT6_jjT7_P12ihipStream_tbENKUlT_T0_SK_SP_E_clIPtSE_SF_SF_EEDaS13_S14_SK_SP_EUlS13_E_NS1_11comp_targetILNS1_3genE6ELNS1_11target_archE950ELNS1_3gpuE13ELNS1_3repE0EEENS1_47radix_sort_onesweep_sort_config_static_selectorELNS0_4arch9wavefront6targetE1EEEvSK_
	.p2align	8
	.type	_ZN7rocprim17ROCPRIM_400000_NS6detail17trampoline_kernelINS0_14default_configENS1_35radix_sort_onesweep_config_selectorItNS0_10empty_typeEEEZZNS1_29radix_sort_onesweep_iterationIS3_Lb0EN6thrust23THRUST_200600_302600_NS6detail15normal_iteratorINS9_10device_ptrItEEEESE_PS5_SF_jNS0_19identity_decomposerENS1_16block_id_wrapperIjLb0EEEEE10hipError_tT1_PNSt15iterator_traitsISK_E10value_typeET2_T3_PNSL_ISQ_E10value_typeET4_T5_PSV_SW_PNS1_23onesweep_lookback_stateEbbT6_jjT7_P12ihipStream_tbENKUlT_T0_SK_SP_E_clIPtSE_SF_SF_EEDaS13_S14_SK_SP_EUlS13_E_NS1_11comp_targetILNS1_3genE6ELNS1_11target_archE950ELNS1_3gpuE13ELNS1_3repE0EEENS1_47radix_sort_onesweep_sort_config_static_selectorELNS0_4arch9wavefront6targetE1EEEvSK_,@function
_ZN7rocprim17ROCPRIM_400000_NS6detail17trampoline_kernelINS0_14default_configENS1_35radix_sort_onesweep_config_selectorItNS0_10empty_typeEEEZZNS1_29radix_sort_onesweep_iterationIS3_Lb0EN6thrust23THRUST_200600_302600_NS6detail15normal_iteratorINS9_10device_ptrItEEEESE_PS5_SF_jNS0_19identity_decomposerENS1_16block_id_wrapperIjLb0EEEEE10hipError_tT1_PNSt15iterator_traitsISK_E10value_typeET2_T3_PNSL_ISQ_E10value_typeET4_T5_PSV_SW_PNS1_23onesweep_lookback_stateEbbT6_jjT7_P12ihipStream_tbENKUlT_T0_SK_SP_E_clIPtSE_SF_SF_EEDaS13_S14_SK_SP_EUlS13_E_NS1_11comp_targetILNS1_3genE6ELNS1_11target_archE950ELNS1_3gpuE13ELNS1_3repE0EEENS1_47radix_sort_onesweep_sort_config_static_selectorELNS0_4arch9wavefront6targetE1EEEvSK_: ; @_ZN7rocprim17ROCPRIM_400000_NS6detail17trampoline_kernelINS0_14default_configENS1_35radix_sort_onesweep_config_selectorItNS0_10empty_typeEEEZZNS1_29radix_sort_onesweep_iterationIS3_Lb0EN6thrust23THRUST_200600_302600_NS6detail15normal_iteratorINS9_10device_ptrItEEEESE_PS5_SF_jNS0_19identity_decomposerENS1_16block_id_wrapperIjLb0EEEEE10hipError_tT1_PNSt15iterator_traitsISK_E10value_typeET2_T3_PNSL_ISQ_E10value_typeET4_T5_PSV_SW_PNS1_23onesweep_lookback_stateEbbT6_jjT7_P12ihipStream_tbENKUlT_T0_SK_SP_E_clIPtSE_SF_SF_EEDaS13_S14_SK_SP_EUlS13_E_NS1_11comp_targetILNS1_3genE6ELNS1_11target_archE950ELNS1_3gpuE13ELNS1_3repE0EEENS1_47radix_sort_onesweep_sort_config_static_selectorELNS0_4arch9wavefront6targetE1EEEvSK_
; %bb.0:
	.section	.rodata,"a",@progbits
	.p2align	6, 0x0
	.amdhsa_kernel _ZN7rocprim17ROCPRIM_400000_NS6detail17trampoline_kernelINS0_14default_configENS1_35radix_sort_onesweep_config_selectorItNS0_10empty_typeEEEZZNS1_29radix_sort_onesweep_iterationIS3_Lb0EN6thrust23THRUST_200600_302600_NS6detail15normal_iteratorINS9_10device_ptrItEEEESE_PS5_SF_jNS0_19identity_decomposerENS1_16block_id_wrapperIjLb0EEEEE10hipError_tT1_PNSt15iterator_traitsISK_E10value_typeET2_T3_PNSL_ISQ_E10value_typeET4_T5_PSV_SW_PNS1_23onesweep_lookback_stateEbbT6_jjT7_P12ihipStream_tbENKUlT_T0_SK_SP_E_clIPtSE_SF_SF_EEDaS13_S14_SK_SP_EUlS13_E_NS1_11comp_targetILNS1_3genE6ELNS1_11target_archE950ELNS1_3gpuE13ELNS1_3repE0EEENS1_47radix_sort_onesweep_sort_config_static_selectorELNS0_4arch9wavefront6targetE1EEEvSK_
		.amdhsa_group_segment_fixed_size 0
		.amdhsa_private_segment_fixed_size 0
		.amdhsa_kernarg_size 88
		.amdhsa_user_sgpr_count 6
		.amdhsa_user_sgpr_private_segment_buffer 1
		.amdhsa_user_sgpr_dispatch_ptr 0
		.amdhsa_user_sgpr_queue_ptr 0
		.amdhsa_user_sgpr_kernarg_segment_ptr 1
		.amdhsa_user_sgpr_dispatch_id 0
		.amdhsa_user_sgpr_flat_scratch_init 0
		.amdhsa_user_sgpr_kernarg_preload_length 0
		.amdhsa_user_sgpr_kernarg_preload_offset 0
		.amdhsa_user_sgpr_private_segment_size 0
		.amdhsa_uses_dynamic_stack 0
		.amdhsa_system_sgpr_private_segment_wavefront_offset 0
		.amdhsa_system_sgpr_workgroup_id_x 1
		.amdhsa_system_sgpr_workgroup_id_y 0
		.amdhsa_system_sgpr_workgroup_id_z 0
		.amdhsa_system_sgpr_workgroup_info 0
		.amdhsa_system_vgpr_workitem_id 0
		.amdhsa_next_free_vgpr 1
		.amdhsa_next_free_sgpr 0
		.amdhsa_accum_offset 4
		.amdhsa_reserve_vcc 0
		.amdhsa_reserve_flat_scratch 0
		.amdhsa_float_round_mode_32 0
		.amdhsa_float_round_mode_16_64 0
		.amdhsa_float_denorm_mode_32 3
		.amdhsa_float_denorm_mode_16_64 3
		.amdhsa_dx10_clamp 1
		.amdhsa_ieee_mode 1
		.amdhsa_fp16_overflow 0
		.amdhsa_tg_split 0
		.amdhsa_exception_fp_ieee_invalid_op 0
		.amdhsa_exception_fp_denorm_src 0
		.amdhsa_exception_fp_ieee_div_zero 0
		.amdhsa_exception_fp_ieee_overflow 0
		.amdhsa_exception_fp_ieee_underflow 0
		.amdhsa_exception_fp_ieee_inexact 0
		.amdhsa_exception_int_div_zero 0
	.end_amdhsa_kernel
	.section	.text._ZN7rocprim17ROCPRIM_400000_NS6detail17trampoline_kernelINS0_14default_configENS1_35radix_sort_onesweep_config_selectorItNS0_10empty_typeEEEZZNS1_29radix_sort_onesweep_iterationIS3_Lb0EN6thrust23THRUST_200600_302600_NS6detail15normal_iteratorINS9_10device_ptrItEEEESE_PS5_SF_jNS0_19identity_decomposerENS1_16block_id_wrapperIjLb0EEEEE10hipError_tT1_PNSt15iterator_traitsISK_E10value_typeET2_T3_PNSL_ISQ_E10value_typeET4_T5_PSV_SW_PNS1_23onesweep_lookback_stateEbbT6_jjT7_P12ihipStream_tbENKUlT_T0_SK_SP_E_clIPtSE_SF_SF_EEDaS13_S14_SK_SP_EUlS13_E_NS1_11comp_targetILNS1_3genE6ELNS1_11target_archE950ELNS1_3gpuE13ELNS1_3repE0EEENS1_47radix_sort_onesweep_sort_config_static_selectorELNS0_4arch9wavefront6targetE1EEEvSK_,"axG",@progbits,_ZN7rocprim17ROCPRIM_400000_NS6detail17trampoline_kernelINS0_14default_configENS1_35radix_sort_onesweep_config_selectorItNS0_10empty_typeEEEZZNS1_29radix_sort_onesweep_iterationIS3_Lb0EN6thrust23THRUST_200600_302600_NS6detail15normal_iteratorINS9_10device_ptrItEEEESE_PS5_SF_jNS0_19identity_decomposerENS1_16block_id_wrapperIjLb0EEEEE10hipError_tT1_PNSt15iterator_traitsISK_E10value_typeET2_T3_PNSL_ISQ_E10value_typeET4_T5_PSV_SW_PNS1_23onesweep_lookback_stateEbbT6_jjT7_P12ihipStream_tbENKUlT_T0_SK_SP_E_clIPtSE_SF_SF_EEDaS13_S14_SK_SP_EUlS13_E_NS1_11comp_targetILNS1_3genE6ELNS1_11target_archE950ELNS1_3gpuE13ELNS1_3repE0EEENS1_47radix_sort_onesweep_sort_config_static_selectorELNS0_4arch9wavefront6targetE1EEEvSK_,comdat
.Lfunc_end1384:
	.size	_ZN7rocprim17ROCPRIM_400000_NS6detail17trampoline_kernelINS0_14default_configENS1_35radix_sort_onesweep_config_selectorItNS0_10empty_typeEEEZZNS1_29radix_sort_onesweep_iterationIS3_Lb0EN6thrust23THRUST_200600_302600_NS6detail15normal_iteratorINS9_10device_ptrItEEEESE_PS5_SF_jNS0_19identity_decomposerENS1_16block_id_wrapperIjLb0EEEEE10hipError_tT1_PNSt15iterator_traitsISK_E10value_typeET2_T3_PNSL_ISQ_E10value_typeET4_T5_PSV_SW_PNS1_23onesweep_lookback_stateEbbT6_jjT7_P12ihipStream_tbENKUlT_T0_SK_SP_E_clIPtSE_SF_SF_EEDaS13_S14_SK_SP_EUlS13_E_NS1_11comp_targetILNS1_3genE6ELNS1_11target_archE950ELNS1_3gpuE13ELNS1_3repE0EEENS1_47radix_sort_onesweep_sort_config_static_selectorELNS0_4arch9wavefront6targetE1EEEvSK_, .Lfunc_end1384-_ZN7rocprim17ROCPRIM_400000_NS6detail17trampoline_kernelINS0_14default_configENS1_35radix_sort_onesweep_config_selectorItNS0_10empty_typeEEEZZNS1_29radix_sort_onesweep_iterationIS3_Lb0EN6thrust23THRUST_200600_302600_NS6detail15normal_iteratorINS9_10device_ptrItEEEESE_PS5_SF_jNS0_19identity_decomposerENS1_16block_id_wrapperIjLb0EEEEE10hipError_tT1_PNSt15iterator_traitsISK_E10value_typeET2_T3_PNSL_ISQ_E10value_typeET4_T5_PSV_SW_PNS1_23onesweep_lookback_stateEbbT6_jjT7_P12ihipStream_tbENKUlT_T0_SK_SP_E_clIPtSE_SF_SF_EEDaS13_S14_SK_SP_EUlS13_E_NS1_11comp_targetILNS1_3genE6ELNS1_11target_archE950ELNS1_3gpuE13ELNS1_3repE0EEENS1_47radix_sort_onesweep_sort_config_static_selectorELNS0_4arch9wavefront6targetE1EEEvSK_
                                        ; -- End function
	.section	.AMDGPU.csdata,"",@progbits
; Kernel info:
; codeLenInByte = 0
; NumSgprs: 4
; NumVgprs: 0
; NumAgprs: 0
; TotalNumVgprs: 0
; ScratchSize: 0
; MemoryBound: 0
; FloatMode: 240
; IeeeMode: 1
; LDSByteSize: 0 bytes/workgroup (compile time only)
; SGPRBlocks: 0
; VGPRBlocks: 0
; NumSGPRsForWavesPerEU: 4
; NumVGPRsForWavesPerEU: 1
; AccumOffset: 4
; Occupancy: 8
; WaveLimiterHint : 0
; COMPUTE_PGM_RSRC2:SCRATCH_EN: 0
; COMPUTE_PGM_RSRC2:USER_SGPR: 6
; COMPUTE_PGM_RSRC2:TRAP_HANDLER: 0
; COMPUTE_PGM_RSRC2:TGID_X_EN: 1
; COMPUTE_PGM_RSRC2:TGID_Y_EN: 0
; COMPUTE_PGM_RSRC2:TGID_Z_EN: 0
; COMPUTE_PGM_RSRC2:TIDIG_COMP_CNT: 0
; COMPUTE_PGM_RSRC3_GFX90A:ACCUM_OFFSET: 0
; COMPUTE_PGM_RSRC3_GFX90A:TG_SPLIT: 0
	.section	.text._ZN7rocprim17ROCPRIM_400000_NS6detail17trampoline_kernelINS0_14default_configENS1_35radix_sort_onesweep_config_selectorItNS0_10empty_typeEEEZZNS1_29radix_sort_onesweep_iterationIS3_Lb0EN6thrust23THRUST_200600_302600_NS6detail15normal_iteratorINS9_10device_ptrItEEEESE_PS5_SF_jNS0_19identity_decomposerENS1_16block_id_wrapperIjLb0EEEEE10hipError_tT1_PNSt15iterator_traitsISK_E10value_typeET2_T3_PNSL_ISQ_E10value_typeET4_T5_PSV_SW_PNS1_23onesweep_lookback_stateEbbT6_jjT7_P12ihipStream_tbENKUlT_T0_SK_SP_E_clIPtSE_SF_SF_EEDaS13_S14_SK_SP_EUlS13_E_NS1_11comp_targetILNS1_3genE5ELNS1_11target_archE942ELNS1_3gpuE9ELNS1_3repE0EEENS1_47radix_sort_onesweep_sort_config_static_selectorELNS0_4arch9wavefront6targetE1EEEvSK_,"axG",@progbits,_ZN7rocprim17ROCPRIM_400000_NS6detail17trampoline_kernelINS0_14default_configENS1_35radix_sort_onesweep_config_selectorItNS0_10empty_typeEEEZZNS1_29radix_sort_onesweep_iterationIS3_Lb0EN6thrust23THRUST_200600_302600_NS6detail15normal_iteratorINS9_10device_ptrItEEEESE_PS5_SF_jNS0_19identity_decomposerENS1_16block_id_wrapperIjLb0EEEEE10hipError_tT1_PNSt15iterator_traitsISK_E10value_typeET2_T3_PNSL_ISQ_E10value_typeET4_T5_PSV_SW_PNS1_23onesweep_lookback_stateEbbT6_jjT7_P12ihipStream_tbENKUlT_T0_SK_SP_E_clIPtSE_SF_SF_EEDaS13_S14_SK_SP_EUlS13_E_NS1_11comp_targetILNS1_3genE5ELNS1_11target_archE942ELNS1_3gpuE9ELNS1_3repE0EEENS1_47radix_sort_onesweep_sort_config_static_selectorELNS0_4arch9wavefront6targetE1EEEvSK_,comdat
	.protected	_ZN7rocprim17ROCPRIM_400000_NS6detail17trampoline_kernelINS0_14default_configENS1_35radix_sort_onesweep_config_selectorItNS0_10empty_typeEEEZZNS1_29radix_sort_onesweep_iterationIS3_Lb0EN6thrust23THRUST_200600_302600_NS6detail15normal_iteratorINS9_10device_ptrItEEEESE_PS5_SF_jNS0_19identity_decomposerENS1_16block_id_wrapperIjLb0EEEEE10hipError_tT1_PNSt15iterator_traitsISK_E10value_typeET2_T3_PNSL_ISQ_E10value_typeET4_T5_PSV_SW_PNS1_23onesweep_lookback_stateEbbT6_jjT7_P12ihipStream_tbENKUlT_T0_SK_SP_E_clIPtSE_SF_SF_EEDaS13_S14_SK_SP_EUlS13_E_NS1_11comp_targetILNS1_3genE5ELNS1_11target_archE942ELNS1_3gpuE9ELNS1_3repE0EEENS1_47radix_sort_onesweep_sort_config_static_selectorELNS0_4arch9wavefront6targetE1EEEvSK_ ; -- Begin function _ZN7rocprim17ROCPRIM_400000_NS6detail17trampoline_kernelINS0_14default_configENS1_35radix_sort_onesweep_config_selectorItNS0_10empty_typeEEEZZNS1_29radix_sort_onesweep_iterationIS3_Lb0EN6thrust23THRUST_200600_302600_NS6detail15normal_iteratorINS9_10device_ptrItEEEESE_PS5_SF_jNS0_19identity_decomposerENS1_16block_id_wrapperIjLb0EEEEE10hipError_tT1_PNSt15iterator_traitsISK_E10value_typeET2_T3_PNSL_ISQ_E10value_typeET4_T5_PSV_SW_PNS1_23onesweep_lookback_stateEbbT6_jjT7_P12ihipStream_tbENKUlT_T0_SK_SP_E_clIPtSE_SF_SF_EEDaS13_S14_SK_SP_EUlS13_E_NS1_11comp_targetILNS1_3genE5ELNS1_11target_archE942ELNS1_3gpuE9ELNS1_3repE0EEENS1_47radix_sort_onesweep_sort_config_static_selectorELNS0_4arch9wavefront6targetE1EEEvSK_
	.globl	_ZN7rocprim17ROCPRIM_400000_NS6detail17trampoline_kernelINS0_14default_configENS1_35radix_sort_onesweep_config_selectorItNS0_10empty_typeEEEZZNS1_29radix_sort_onesweep_iterationIS3_Lb0EN6thrust23THRUST_200600_302600_NS6detail15normal_iteratorINS9_10device_ptrItEEEESE_PS5_SF_jNS0_19identity_decomposerENS1_16block_id_wrapperIjLb0EEEEE10hipError_tT1_PNSt15iterator_traitsISK_E10value_typeET2_T3_PNSL_ISQ_E10value_typeET4_T5_PSV_SW_PNS1_23onesweep_lookback_stateEbbT6_jjT7_P12ihipStream_tbENKUlT_T0_SK_SP_E_clIPtSE_SF_SF_EEDaS13_S14_SK_SP_EUlS13_E_NS1_11comp_targetILNS1_3genE5ELNS1_11target_archE942ELNS1_3gpuE9ELNS1_3repE0EEENS1_47radix_sort_onesweep_sort_config_static_selectorELNS0_4arch9wavefront6targetE1EEEvSK_
	.p2align	8
	.type	_ZN7rocprim17ROCPRIM_400000_NS6detail17trampoline_kernelINS0_14default_configENS1_35radix_sort_onesweep_config_selectorItNS0_10empty_typeEEEZZNS1_29radix_sort_onesweep_iterationIS3_Lb0EN6thrust23THRUST_200600_302600_NS6detail15normal_iteratorINS9_10device_ptrItEEEESE_PS5_SF_jNS0_19identity_decomposerENS1_16block_id_wrapperIjLb0EEEEE10hipError_tT1_PNSt15iterator_traitsISK_E10value_typeET2_T3_PNSL_ISQ_E10value_typeET4_T5_PSV_SW_PNS1_23onesweep_lookback_stateEbbT6_jjT7_P12ihipStream_tbENKUlT_T0_SK_SP_E_clIPtSE_SF_SF_EEDaS13_S14_SK_SP_EUlS13_E_NS1_11comp_targetILNS1_3genE5ELNS1_11target_archE942ELNS1_3gpuE9ELNS1_3repE0EEENS1_47radix_sort_onesweep_sort_config_static_selectorELNS0_4arch9wavefront6targetE1EEEvSK_,@function
_ZN7rocprim17ROCPRIM_400000_NS6detail17trampoline_kernelINS0_14default_configENS1_35radix_sort_onesweep_config_selectorItNS0_10empty_typeEEEZZNS1_29radix_sort_onesweep_iterationIS3_Lb0EN6thrust23THRUST_200600_302600_NS6detail15normal_iteratorINS9_10device_ptrItEEEESE_PS5_SF_jNS0_19identity_decomposerENS1_16block_id_wrapperIjLb0EEEEE10hipError_tT1_PNSt15iterator_traitsISK_E10value_typeET2_T3_PNSL_ISQ_E10value_typeET4_T5_PSV_SW_PNS1_23onesweep_lookback_stateEbbT6_jjT7_P12ihipStream_tbENKUlT_T0_SK_SP_E_clIPtSE_SF_SF_EEDaS13_S14_SK_SP_EUlS13_E_NS1_11comp_targetILNS1_3genE5ELNS1_11target_archE942ELNS1_3gpuE9ELNS1_3repE0EEENS1_47radix_sort_onesweep_sort_config_static_selectorELNS0_4arch9wavefront6targetE1EEEvSK_: ; @_ZN7rocprim17ROCPRIM_400000_NS6detail17trampoline_kernelINS0_14default_configENS1_35radix_sort_onesweep_config_selectorItNS0_10empty_typeEEEZZNS1_29radix_sort_onesweep_iterationIS3_Lb0EN6thrust23THRUST_200600_302600_NS6detail15normal_iteratorINS9_10device_ptrItEEEESE_PS5_SF_jNS0_19identity_decomposerENS1_16block_id_wrapperIjLb0EEEEE10hipError_tT1_PNSt15iterator_traitsISK_E10value_typeET2_T3_PNSL_ISQ_E10value_typeET4_T5_PSV_SW_PNS1_23onesweep_lookback_stateEbbT6_jjT7_P12ihipStream_tbENKUlT_T0_SK_SP_E_clIPtSE_SF_SF_EEDaS13_S14_SK_SP_EUlS13_E_NS1_11comp_targetILNS1_3genE5ELNS1_11target_archE942ELNS1_3gpuE9ELNS1_3repE0EEENS1_47radix_sort_onesweep_sort_config_static_selectorELNS0_4arch9wavefront6targetE1EEEvSK_
; %bb.0:
	.section	.rodata,"a",@progbits
	.p2align	6, 0x0
	.amdhsa_kernel _ZN7rocprim17ROCPRIM_400000_NS6detail17trampoline_kernelINS0_14default_configENS1_35radix_sort_onesweep_config_selectorItNS0_10empty_typeEEEZZNS1_29radix_sort_onesweep_iterationIS3_Lb0EN6thrust23THRUST_200600_302600_NS6detail15normal_iteratorINS9_10device_ptrItEEEESE_PS5_SF_jNS0_19identity_decomposerENS1_16block_id_wrapperIjLb0EEEEE10hipError_tT1_PNSt15iterator_traitsISK_E10value_typeET2_T3_PNSL_ISQ_E10value_typeET4_T5_PSV_SW_PNS1_23onesweep_lookback_stateEbbT6_jjT7_P12ihipStream_tbENKUlT_T0_SK_SP_E_clIPtSE_SF_SF_EEDaS13_S14_SK_SP_EUlS13_E_NS1_11comp_targetILNS1_3genE5ELNS1_11target_archE942ELNS1_3gpuE9ELNS1_3repE0EEENS1_47radix_sort_onesweep_sort_config_static_selectorELNS0_4arch9wavefront6targetE1EEEvSK_
		.amdhsa_group_segment_fixed_size 0
		.amdhsa_private_segment_fixed_size 0
		.amdhsa_kernarg_size 88
		.amdhsa_user_sgpr_count 6
		.amdhsa_user_sgpr_private_segment_buffer 1
		.amdhsa_user_sgpr_dispatch_ptr 0
		.amdhsa_user_sgpr_queue_ptr 0
		.amdhsa_user_sgpr_kernarg_segment_ptr 1
		.amdhsa_user_sgpr_dispatch_id 0
		.amdhsa_user_sgpr_flat_scratch_init 0
		.amdhsa_user_sgpr_kernarg_preload_length 0
		.amdhsa_user_sgpr_kernarg_preload_offset 0
		.amdhsa_user_sgpr_private_segment_size 0
		.amdhsa_uses_dynamic_stack 0
		.amdhsa_system_sgpr_private_segment_wavefront_offset 0
		.amdhsa_system_sgpr_workgroup_id_x 1
		.amdhsa_system_sgpr_workgroup_id_y 0
		.amdhsa_system_sgpr_workgroup_id_z 0
		.amdhsa_system_sgpr_workgroup_info 0
		.amdhsa_system_vgpr_workitem_id 0
		.amdhsa_next_free_vgpr 1
		.amdhsa_next_free_sgpr 0
		.amdhsa_accum_offset 4
		.amdhsa_reserve_vcc 0
		.amdhsa_reserve_flat_scratch 0
		.amdhsa_float_round_mode_32 0
		.amdhsa_float_round_mode_16_64 0
		.amdhsa_float_denorm_mode_32 3
		.amdhsa_float_denorm_mode_16_64 3
		.amdhsa_dx10_clamp 1
		.amdhsa_ieee_mode 1
		.amdhsa_fp16_overflow 0
		.amdhsa_tg_split 0
		.amdhsa_exception_fp_ieee_invalid_op 0
		.amdhsa_exception_fp_denorm_src 0
		.amdhsa_exception_fp_ieee_div_zero 0
		.amdhsa_exception_fp_ieee_overflow 0
		.amdhsa_exception_fp_ieee_underflow 0
		.amdhsa_exception_fp_ieee_inexact 0
		.amdhsa_exception_int_div_zero 0
	.end_amdhsa_kernel
	.section	.text._ZN7rocprim17ROCPRIM_400000_NS6detail17trampoline_kernelINS0_14default_configENS1_35radix_sort_onesweep_config_selectorItNS0_10empty_typeEEEZZNS1_29radix_sort_onesweep_iterationIS3_Lb0EN6thrust23THRUST_200600_302600_NS6detail15normal_iteratorINS9_10device_ptrItEEEESE_PS5_SF_jNS0_19identity_decomposerENS1_16block_id_wrapperIjLb0EEEEE10hipError_tT1_PNSt15iterator_traitsISK_E10value_typeET2_T3_PNSL_ISQ_E10value_typeET4_T5_PSV_SW_PNS1_23onesweep_lookback_stateEbbT6_jjT7_P12ihipStream_tbENKUlT_T0_SK_SP_E_clIPtSE_SF_SF_EEDaS13_S14_SK_SP_EUlS13_E_NS1_11comp_targetILNS1_3genE5ELNS1_11target_archE942ELNS1_3gpuE9ELNS1_3repE0EEENS1_47radix_sort_onesweep_sort_config_static_selectorELNS0_4arch9wavefront6targetE1EEEvSK_,"axG",@progbits,_ZN7rocprim17ROCPRIM_400000_NS6detail17trampoline_kernelINS0_14default_configENS1_35radix_sort_onesweep_config_selectorItNS0_10empty_typeEEEZZNS1_29radix_sort_onesweep_iterationIS3_Lb0EN6thrust23THRUST_200600_302600_NS6detail15normal_iteratorINS9_10device_ptrItEEEESE_PS5_SF_jNS0_19identity_decomposerENS1_16block_id_wrapperIjLb0EEEEE10hipError_tT1_PNSt15iterator_traitsISK_E10value_typeET2_T3_PNSL_ISQ_E10value_typeET4_T5_PSV_SW_PNS1_23onesweep_lookback_stateEbbT6_jjT7_P12ihipStream_tbENKUlT_T0_SK_SP_E_clIPtSE_SF_SF_EEDaS13_S14_SK_SP_EUlS13_E_NS1_11comp_targetILNS1_3genE5ELNS1_11target_archE942ELNS1_3gpuE9ELNS1_3repE0EEENS1_47radix_sort_onesweep_sort_config_static_selectorELNS0_4arch9wavefront6targetE1EEEvSK_,comdat
.Lfunc_end1385:
	.size	_ZN7rocprim17ROCPRIM_400000_NS6detail17trampoline_kernelINS0_14default_configENS1_35radix_sort_onesweep_config_selectorItNS0_10empty_typeEEEZZNS1_29radix_sort_onesweep_iterationIS3_Lb0EN6thrust23THRUST_200600_302600_NS6detail15normal_iteratorINS9_10device_ptrItEEEESE_PS5_SF_jNS0_19identity_decomposerENS1_16block_id_wrapperIjLb0EEEEE10hipError_tT1_PNSt15iterator_traitsISK_E10value_typeET2_T3_PNSL_ISQ_E10value_typeET4_T5_PSV_SW_PNS1_23onesweep_lookback_stateEbbT6_jjT7_P12ihipStream_tbENKUlT_T0_SK_SP_E_clIPtSE_SF_SF_EEDaS13_S14_SK_SP_EUlS13_E_NS1_11comp_targetILNS1_3genE5ELNS1_11target_archE942ELNS1_3gpuE9ELNS1_3repE0EEENS1_47radix_sort_onesweep_sort_config_static_selectorELNS0_4arch9wavefront6targetE1EEEvSK_, .Lfunc_end1385-_ZN7rocprim17ROCPRIM_400000_NS6detail17trampoline_kernelINS0_14default_configENS1_35radix_sort_onesweep_config_selectorItNS0_10empty_typeEEEZZNS1_29radix_sort_onesweep_iterationIS3_Lb0EN6thrust23THRUST_200600_302600_NS6detail15normal_iteratorINS9_10device_ptrItEEEESE_PS5_SF_jNS0_19identity_decomposerENS1_16block_id_wrapperIjLb0EEEEE10hipError_tT1_PNSt15iterator_traitsISK_E10value_typeET2_T3_PNSL_ISQ_E10value_typeET4_T5_PSV_SW_PNS1_23onesweep_lookback_stateEbbT6_jjT7_P12ihipStream_tbENKUlT_T0_SK_SP_E_clIPtSE_SF_SF_EEDaS13_S14_SK_SP_EUlS13_E_NS1_11comp_targetILNS1_3genE5ELNS1_11target_archE942ELNS1_3gpuE9ELNS1_3repE0EEENS1_47radix_sort_onesweep_sort_config_static_selectorELNS0_4arch9wavefront6targetE1EEEvSK_
                                        ; -- End function
	.section	.AMDGPU.csdata,"",@progbits
; Kernel info:
; codeLenInByte = 0
; NumSgprs: 4
; NumVgprs: 0
; NumAgprs: 0
; TotalNumVgprs: 0
; ScratchSize: 0
; MemoryBound: 0
; FloatMode: 240
; IeeeMode: 1
; LDSByteSize: 0 bytes/workgroup (compile time only)
; SGPRBlocks: 0
; VGPRBlocks: 0
; NumSGPRsForWavesPerEU: 4
; NumVGPRsForWavesPerEU: 1
; AccumOffset: 4
; Occupancy: 8
; WaveLimiterHint : 0
; COMPUTE_PGM_RSRC2:SCRATCH_EN: 0
; COMPUTE_PGM_RSRC2:USER_SGPR: 6
; COMPUTE_PGM_RSRC2:TRAP_HANDLER: 0
; COMPUTE_PGM_RSRC2:TGID_X_EN: 1
; COMPUTE_PGM_RSRC2:TGID_Y_EN: 0
; COMPUTE_PGM_RSRC2:TGID_Z_EN: 0
; COMPUTE_PGM_RSRC2:TIDIG_COMP_CNT: 0
; COMPUTE_PGM_RSRC3_GFX90A:ACCUM_OFFSET: 0
; COMPUTE_PGM_RSRC3_GFX90A:TG_SPLIT: 0
	.section	.text._ZN7rocprim17ROCPRIM_400000_NS6detail17trampoline_kernelINS0_14default_configENS1_35radix_sort_onesweep_config_selectorItNS0_10empty_typeEEEZZNS1_29radix_sort_onesweep_iterationIS3_Lb0EN6thrust23THRUST_200600_302600_NS6detail15normal_iteratorINS9_10device_ptrItEEEESE_PS5_SF_jNS0_19identity_decomposerENS1_16block_id_wrapperIjLb0EEEEE10hipError_tT1_PNSt15iterator_traitsISK_E10value_typeET2_T3_PNSL_ISQ_E10value_typeET4_T5_PSV_SW_PNS1_23onesweep_lookback_stateEbbT6_jjT7_P12ihipStream_tbENKUlT_T0_SK_SP_E_clIPtSE_SF_SF_EEDaS13_S14_SK_SP_EUlS13_E_NS1_11comp_targetILNS1_3genE2ELNS1_11target_archE906ELNS1_3gpuE6ELNS1_3repE0EEENS1_47radix_sort_onesweep_sort_config_static_selectorELNS0_4arch9wavefront6targetE1EEEvSK_,"axG",@progbits,_ZN7rocprim17ROCPRIM_400000_NS6detail17trampoline_kernelINS0_14default_configENS1_35radix_sort_onesweep_config_selectorItNS0_10empty_typeEEEZZNS1_29radix_sort_onesweep_iterationIS3_Lb0EN6thrust23THRUST_200600_302600_NS6detail15normal_iteratorINS9_10device_ptrItEEEESE_PS5_SF_jNS0_19identity_decomposerENS1_16block_id_wrapperIjLb0EEEEE10hipError_tT1_PNSt15iterator_traitsISK_E10value_typeET2_T3_PNSL_ISQ_E10value_typeET4_T5_PSV_SW_PNS1_23onesweep_lookback_stateEbbT6_jjT7_P12ihipStream_tbENKUlT_T0_SK_SP_E_clIPtSE_SF_SF_EEDaS13_S14_SK_SP_EUlS13_E_NS1_11comp_targetILNS1_3genE2ELNS1_11target_archE906ELNS1_3gpuE6ELNS1_3repE0EEENS1_47radix_sort_onesweep_sort_config_static_selectorELNS0_4arch9wavefront6targetE1EEEvSK_,comdat
	.protected	_ZN7rocprim17ROCPRIM_400000_NS6detail17trampoline_kernelINS0_14default_configENS1_35radix_sort_onesweep_config_selectorItNS0_10empty_typeEEEZZNS1_29radix_sort_onesweep_iterationIS3_Lb0EN6thrust23THRUST_200600_302600_NS6detail15normal_iteratorINS9_10device_ptrItEEEESE_PS5_SF_jNS0_19identity_decomposerENS1_16block_id_wrapperIjLb0EEEEE10hipError_tT1_PNSt15iterator_traitsISK_E10value_typeET2_T3_PNSL_ISQ_E10value_typeET4_T5_PSV_SW_PNS1_23onesweep_lookback_stateEbbT6_jjT7_P12ihipStream_tbENKUlT_T0_SK_SP_E_clIPtSE_SF_SF_EEDaS13_S14_SK_SP_EUlS13_E_NS1_11comp_targetILNS1_3genE2ELNS1_11target_archE906ELNS1_3gpuE6ELNS1_3repE0EEENS1_47radix_sort_onesweep_sort_config_static_selectorELNS0_4arch9wavefront6targetE1EEEvSK_ ; -- Begin function _ZN7rocprim17ROCPRIM_400000_NS6detail17trampoline_kernelINS0_14default_configENS1_35radix_sort_onesweep_config_selectorItNS0_10empty_typeEEEZZNS1_29radix_sort_onesweep_iterationIS3_Lb0EN6thrust23THRUST_200600_302600_NS6detail15normal_iteratorINS9_10device_ptrItEEEESE_PS5_SF_jNS0_19identity_decomposerENS1_16block_id_wrapperIjLb0EEEEE10hipError_tT1_PNSt15iterator_traitsISK_E10value_typeET2_T3_PNSL_ISQ_E10value_typeET4_T5_PSV_SW_PNS1_23onesweep_lookback_stateEbbT6_jjT7_P12ihipStream_tbENKUlT_T0_SK_SP_E_clIPtSE_SF_SF_EEDaS13_S14_SK_SP_EUlS13_E_NS1_11comp_targetILNS1_3genE2ELNS1_11target_archE906ELNS1_3gpuE6ELNS1_3repE0EEENS1_47radix_sort_onesweep_sort_config_static_selectorELNS0_4arch9wavefront6targetE1EEEvSK_
	.globl	_ZN7rocprim17ROCPRIM_400000_NS6detail17trampoline_kernelINS0_14default_configENS1_35radix_sort_onesweep_config_selectorItNS0_10empty_typeEEEZZNS1_29radix_sort_onesweep_iterationIS3_Lb0EN6thrust23THRUST_200600_302600_NS6detail15normal_iteratorINS9_10device_ptrItEEEESE_PS5_SF_jNS0_19identity_decomposerENS1_16block_id_wrapperIjLb0EEEEE10hipError_tT1_PNSt15iterator_traitsISK_E10value_typeET2_T3_PNSL_ISQ_E10value_typeET4_T5_PSV_SW_PNS1_23onesweep_lookback_stateEbbT6_jjT7_P12ihipStream_tbENKUlT_T0_SK_SP_E_clIPtSE_SF_SF_EEDaS13_S14_SK_SP_EUlS13_E_NS1_11comp_targetILNS1_3genE2ELNS1_11target_archE906ELNS1_3gpuE6ELNS1_3repE0EEENS1_47radix_sort_onesweep_sort_config_static_selectorELNS0_4arch9wavefront6targetE1EEEvSK_
	.p2align	8
	.type	_ZN7rocprim17ROCPRIM_400000_NS6detail17trampoline_kernelINS0_14default_configENS1_35radix_sort_onesweep_config_selectorItNS0_10empty_typeEEEZZNS1_29radix_sort_onesweep_iterationIS3_Lb0EN6thrust23THRUST_200600_302600_NS6detail15normal_iteratorINS9_10device_ptrItEEEESE_PS5_SF_jNS0_19identity_decomposerENS1_16block_id_wrapperIjLb0EEEEE10hipError_tT1_PNSt15iterator_traitsISK_E10value_typeET2_T3_PNSL_ISQ_E10value_typeET4_T5_PSV_SW_PNS1_23onesweep_lookback_stateEbbT6_jjT7_P12ihipStream_tbENKUlT_T0_SK_SP_E_clIPtSE_SF_SF_EEDaS13_S14_SK_SP_EUlS13_E_NS1_11comp_targetILNS1_3genE2ELNS1_11target_archE906ELNS1_3gpuE6ELNS1_3repE0EEENS1_47radix_sort_onesweep_sort_config_static_selectorELNS0_4arch9wavefront6targetE1EEEvSK_,@function
_ZN7rocprim17ROCPRIM_400000_NS6detail17trampoline_kernelINS0_14default_configENS1_35radix_sort_onesweep_config_selectorItNS0_10empty_typeEEEZZNS1_29radix_sort_onesweep_iterationIS3_Lb0EN6thrust23THRUST_200600_302600_NS6detail15normal_iteratorINS9_10device_ptrItEEEESE_PS5_SF_jNS0_19identity_decomposerENS1_16block_id_wrapperIjLb0EEEEE10hipError_tT1_PNSt15iterator_traitsISK_E10value_typeET2_T3_PNSL_ISQ_E10value_typeET4_T5_PSV_SW_PNS1_23onesweep_lookback_stateEbbT6_jjT7_P12ihipStream_tbENKUlT_T0_SK_SP_E_clIPtSE_SF_SF_EEDaS13_S14_SK_SP_EUlS13_E_NS1_11comp_targetILNS1_3genE2ELNS1_11target_archE906ELNS1_3gpuE6ELNS1_3repE0EEENS1_47radix_sort_onesweep_sort_config_static_selectorELNS0_4arch9wavefront6targetE1EEEvSK_: ; @_ZN7rocprim17ROCPRIM_400000_NS6detail17trampoline_kernelINS0_14default_configENS1_35radix_sort_onesweep_config_selectorItNS0_10empty_typeEEEZZNS1_29radix_sort_onesweep_iterationIS3_Lb0EN6thrust23THRUST_200600_302600_NS6detail15normal_iteratorINS9_10device_ptrItEEEESE_PS5_SF_jNS0_19identity_decomposerENS1_16block_id_wrapperIjLb0EEEEE10hipError_tT1_PNSt15iterator_traitsISK_E10value_typeET2_T3_PNSL_ISQ_E10value_typeET4_T5_PSV_SW_PNS1_23onesweep_lookback_stateEbbT6_jjT7_P12ihipStream_tbENKUlT_T0_SK_SP_E_clIPtSE_SF_SF_EEDaS13_S14_SK_SP_EUlS13_E_NS1_11comp_targetILNS1_3genE2ELNS1_11target_archE906ELNS1_3gpuE6ELNS1_3repE0EEENS1_47radix_sort_onesweep_sort_config_static_selectorELNS0_4arch9wavefront6targetE1EEEvSK_
; %bb.0:
	.section	.rodata,"a",@progbits
	.p2align	6, 0x0
	.amdhsa_kernel _ZN7rocprim17ROCPRIM_400000_NS6detail17trampoline_kernelINS0_14default_configENS1_35radix_sort_onesweep_config_selectorItNS0_10empty_typeEEEZZNS1_29radix_sort_onesweep_iterationIS3_Lb0EN6thrust23THRUST_200600_302600_NS6detail15normal_iteratorINS9_10device_ptrItEEEESE_PS5_SF_jNS0_19identity_decomposerENS1_16block_id_wrapperIjLb0EEEEE10hipError_tT1_PNSt15iterator_traitsISK_E10value_typeET2_T3_PNSL_ISQ_E10value_typeET4_T5_PSV_SW_PNS1_23onesweep_lookback_stateEbbT6_jjT7_P12ihipStream_tbENKUlT_T0_SK_SP_E_clIPtSE_SF_SF_EEDaS13_S14_SK_SP_EUlS13_E_NS1_11comp_targetILNS1_3genE2ELNS1_11target_archE906ELNS1_3gpuE6ELNS1_3repE0EEENS1_47radix_sort_onesweep_sort_config_static_selectorELNS0_4arch9wavefront6targetE1EEEvSK_
		.amdhsa_group_segment_fixed_size 0
		.amdhsa_private_segment_fixed_size 0
		.amdhsa_kernarg_size 88
		.amdhsa_user_sgpr_count 6
		.amdhsa_user_sgpr_private_segment_buffer 1
		.amdhsa_user_sgpr_dispatch_ptr 0
		.amdhsa_user_sgpr_queue_ptr 0
		.amdhsa_user_sgpr_kernarg_segment_ptr 1
		.amdhsa_user_sgpr_dispatch_id 0
		.amdhsa_user_sgpr_flat_scratch_init 0
		.amdhsa_user_sgpr_kernarg_preload_length 0
		.amdhsa_user_sgpr_kernarg_preload_offset 0
		.amdhsa_user_sgpr_private_segment_size 0
		.amdhsa_uses_dynamic_stack 0
		.amdhsa_system_sgpr_private_segment_wavefront_offset 0
		.amdhsa_system_sgpr_workgroup_id_x 1
		.amdhsa_system_sgpr_workgroup_id_y 0
		.amdhsa_system_sgpr_workgroup_id_z 0
		.amdhsa_system_sgpr_workgroup_info 0
		.amdhsa_system_vgpr_workitem_id 0
		.amdhsa_next_free_vgpr 1
		.amdhsa_next_free_sgpr 0
		.amdhsa_accum_offset 4
		.amdhsa_reserve_vcc 0
		.amdhsa_reserve_flat_scratch 0
		.amdhsa_float_round_mode_32 0
		.amdhsa_float_round_mode_16_64 0
		.amdhsa_float_denorm_mode_32 3
		.amdhsa_float_denorm_mode_16_64 3
		.amdhsa_dx10_clamp 1
		.amdhsa_ieee_mode 1
		.amdhsa_fp16_overflow 0
		.amdhsa_tg_split 0
		.amdhsa_exception_fp_ieee_invalid_op 0
		.amdhsa_exception_fp_denorm_src 0
		.amdhsa_exception_fp_ieee_div_zero 0
		.amdhsa_exception_fp_ieee_overflow 0
		.amdhsa_exception_fp_ieee_underflow 0
		.amdhsa_exception_fp_ieee_inexact 0
		.amdhsa_exception_int_div_zero 0
	.end_amdhsa_kernel
	.section	.text._ZN7rocprim17ROCPRIM_400000_NS6detail17trampoline_kernelINS0_14default_configENS1_35radix_sort_onesweep_config_selectorItNS0_10empty_typeEEEZZNS1_29radix_sort_onesweep_iterationIS3_Lb0EN6thrust23THRUST_200600_302600_NS6detail15normal_iteratorINS9_10device_ptrItEEEESE_PS5_SF_jNS0_19identity_decomposerENS1_16block_id_wrapperIjLb0EEEEE10hipError_tT1_PNSt15iterator_traitsISK_E10value_typeET2_T3_PNSL_ISQ_E10value_typeET4_T5_PSV_SW_PNS1_23onesweep_lookback_stateEbbT6_jjT7_P12ihipStream_tbENKUlT_T0_SK_SP_E_clIPtSE_SF_SF_EEDaS13_S14_SK_SP_EUlS13_E_NS1_11comp_targetILNS1_3genE2ELNS1_11target_archE906ELNS1_3gpuE6ELNS1_3repE0EEENS1_47radix_sort_onesweep_sort_config_static_selectorELNS0_4arch9wavefront6targetE1EEEvSK_,"axG",@progbits,_ZN7rocprim17ROCPRIM_400000_NS6detail17trampoline_kernelINS0_14default_configENS1_35radix_sort_onesweep_config_selectorItNS0_10empty_typeEEEZZNS1_29radix_sort_onesweep_iterationIS3_Lb0EN6thrust23THRUST_200600_302600_NS6detail15normal_iteratorINS9_10device_ptrItEEEESE_PS5_SF_jNS0_19identity_decomposerENS1_16block_id_wrapperIjLb0EEEEE10hipError_tT1_PNSt15iterator_traitsISK_E10value_typeET2_T3_PNSL_ISQ_E10value_typeET4_T5_PSV_SW_PNS1_23onesweep_lookback_stateEbbT6_jjT7_P12ihipStream_tbENKUlT_T0_SK_SP_E_clIPtSE_SF_SF_EEDaS13_S14_SK_SP_EUlS13_E_NS1_11comp_targetILNS1_3genE2ELNS1_11target_archE906ELNS1_3gpuE6ELNS1_3repE0EEENS1_47radix_sort_onesweep_sort_config_static_selectorELNS0_4arch9wavefront6targetE1EEEvSK_,comdat
.Lfunc_end1386:
	.size	_ZN7rocprim17ROCPRIM_400000_NS6detail17trampoline_kernelINS0_14default_configENS1_35radix_sort_onesweep_config_selectorItNS0_10empty_typeEEEZZNS1_29radix_sort_onesweep_iterationIS3_Lb0EN6thrust23THRUST_200600_302600_NS6detail15normal_iteratorINS9_10device_ptrItEEEESE_PS5_SF_jNS0_19identity_decomposerENS1_16block_id_wrapperIjLb0EEEEE10hipError_tT1_PNSt15iterator_traitsISK_E10value_typeET2_T3_PNSL_ISQ_E10value_typeET4_T5_PSV_SW_PNS1_23onesweep_lookback_stateEbbT6_jjT7_P12ihipStream_tbENKUlT_T0_SK_SP_E_clIPtSE_SF_SF_EEDaS13_S14_SK_SP_EUlS13_E_NS1_11comp_targetILNS1_3genE2ELNS1_11target_archE906ELNS1_3gpuE6ELNS1_3repE0EEENS1_47radix_sort_onesweep_sort_config_static_selectorELNS0_4arch9wavefront6targetE1EEEvSK_, .Lfunc_end1386-_ZN7rocprim17ROCPRIM_400000_NS6detail17trampoline_kernelINS0_14default_configENS1_35radix_sort_onesweep_config_selectorItNS0_10empty_typeEEEZZNS1_29radix_sort_onesweep_iterationIS3_Lb0EN6thrust23THRUST_200600_302600_NS6detail15normal_iteratorINS9_10device_ptrItEEEESE_PS5_SF_jNS0_19identity_decomposerENS1_16block_id_wrapperIjLb0EEEEE10hipError_tT1_PNSt15iterator_traitsISK_E10value_typeET2_T3_PNSL_ISQ_E10value_typeET4_T5_PSV_SW_PNS1_23onesweep_lookback_stateEbbT6_jjT7_P12ihipStream_tbENKUlT_T0_SK_SP_E_clIPtSE_SF_SF_EEDaS13_S14_SK_SP_EUlS13_E_NS1_11comp_targetILNS1_3genE2ELNS1_11target_archE906ELNS1_3gpuE6ELNS1_3repE0EEENS1_47radix_sort_onesweep_sort_config_static_selectorELNS0_4arch9wavefront6targetE1EEEvSK_
                                        ; -- End function
	.section	.AMDGPU.csdata,"",@progbits
; Kernel info:
; codeLenInByte = 0
; NumSgprs: 4
; NumVgprs: 0
; NumAgprs: 0
; TotalNumVgprs: 0
; ScratchSize: 0
; MemoryBound: 0
; FloatMode: 240
; IeeeMode: 1
; LDSByteSize: 0 bytes/workgroup (compile time only)
; SGPRBlocks: 0
; VGPRBlocks: 0
; NumSGPRsForWavesPerEU: 4
; NumVGPRsForWavesPerEU: 1
; AccumOffset: 4
; Occupancy: 8
; WaveLimiterHint : 0
; COMPUTE_PGM_RSRC2:SCRATCH_EN: 0
; COMPUTE_PGM_RSRC2:USER_SGPR: 6
; COMPUTE_PGM_RSRC2:TRAP_HANDLER: 0
; COMPUTE_PGM_RSRC2:TGID_X_EN: 1
; COMPUTE_PGM_RSRC2:TGID_Y_EN: 0
; COMPUTE_PGM_RSRC2:TGID_Z_EN: 0
; COMPUTE_PGM_RSRC2:TIDIG_COMP_CNT: 0
; COMPUTE_PGM_RSRC3_GFX90A:ACCUM_OFFSET: 0
; COMPUTE_PGM_RSRC3_GFX90A:TG_SPLIT: 0
	.section	.text._ZN7rocprim17ROCPRIM_400000_NS6detail17trampoline_kernelINS0_14default_configENS1_35radix_sort_onesweep_config_selectorItNS0_10empty_typeEEEZZNS1_29radix_sort_onesweep_iterationIS3_Lb0EN6thrust23THRUST_200600_302600_NS6detail15normal_iteratorINS9_10device_ptrItEEEESE_PS5_SF_jNS0_19identity_decomposerENS1_16block_id_wrapperIjLb0EEEEE10hipError_tT1_PNSt15iterator_traitsISK_E10value_typeET2_T3_PNSL_ISQ_E10value_typeET4_T5_PSV_SW_PNS1_23onesweep_lookback_stateEbbT6_jjT7_P12ihipStream_tbENKUlT_T0_SK_SP_E_clIPtSE_SF_SF_EEDaS13_S14_SK_SP_EUlS13_E_NS1_11comp_targetILNS1_3genE4ELNS1_11target_archE910ELNS1_3gpuE8ELNS1_3repE0EEENS1_47radix_sort_onesweep_sort_config_static_selectorELNS0_4arch9wavefront6targetE1EEEvSK_,"axG",@progbits,_ZN7rocprim17ROCPRIM_400000_NS6detail17trampoline_kernelINS0_14default_configENS1_35radix_sort_onesweep_config_selectorItNS0_10empty_typeEEEZZNS1_29radix_sort_onesweep_iterationIS3_Lb0EN6thrust23THRUST_200600_302600_NS6detail15normal_iteratorINS9_10device_ptrItEEEESE_PS5_SF_jNS0_19identity_decomposerENS1_16block_id_wrapperIjLb0EEEEE10hipError_tT1_PNSt15iterator_traitsISK_E10value_typeET2_T3_PNSL_ISQ_E10value_typeET4_T5_PSV_SW_PNS1_23onesweep_lookback_stateEbbT6_jjT7_P12ihipStream_tbENKUlT_T0_SK_SP_E_clIPtSE_SF_SF_EEDaS13_S14_SK_SP_EUlS13_E_NS1_11comp_targetILNS1_3genE4ELNS1_11target_archE910ELNS1_3gpuE8ELNS1_3repE0EEENS1_47radix_sort_onesweep_sort_config_static_selectorELNS0_4arch9wavefront6targetE1EEEvSK_,comdat
	.protected	_ZN7rocprim17ROCPRIM_400000_NS6detail17trampoline_kernelINS0_14default_configENS1_35radix_sort_onesweep_config_selectorItNS0_10empty_typeEEEZZNS1_29radix_sort_onesweep_iterationIS3_Lb0EN6thrust23THRUST_200600_302600_NS6detail15normal_iteratorINS9_10device_ptrItEEEESE_PS5_SF_jNS0_19identity_decomposerENS1_16block_id_wrapperIjLb0EEEEE10hipError_tT1_PNSt15iterator_traitsISK_E10value_typeET2_T3_PNSL_ISQ_E10value_typeET4_T5_PSV_SW_PNS1_23onesweep_lookback_stateEbbT6_jjT7_P12ihipStream_tbENKUlT_T0_SK_SP_E_clIPtSE_SF_SF_EEDaS13_S14_SK_SP_EUlS13_E_NS1_11comp_targetILNS1_3genE4ELNS1_11target_archE910ELNS1_3gpuE8ELNS1_3repE0EEENS1_47radix_sort_onesweep_sort_config_static_selectorELNS0_4arch9wavefront6targetE1EEEvSK_ ; -- Begin function _ZN7rocprim17ROCPRIM_400000_NS6detail17trampoline_kernelINS0_14default_configENS1_35radix_sort_onesweep_config_selectorItNS0_10empty_typeEEEZZNS1_29radix_sort_onesweep_iterationIS3_Lb0EN6thrust23THRUST_200600_302600_NS6detail15normal_iteratorINS9_10device_ptrItEEEESE_PS5_SF_jNS0_19identity_decomposerENS1_16block_id_wrapperIjLb0EEEEE10hipError_tT1_PNSt15iterator_traitsISK_E10value_typeET2_T3_PNSL_ISQ_E10value_typeET4_T5_PSV_SW_PNS1_23onesweep_lookback_stateEbbT6_jjT7_P12ihipStream_tbENKUlT_T0_SK_SP_E_clIPtSE_SF_SF_EEDaS13_S14_SK_SP_EUlS13_E_NS1_11comp_targetILNS1_3genE4ELNS1_11target_archE910ELNS1_3gpuE8ELNS1_3repE0EEENS1_47radix_sort_onesweep_sort_config_static_selectorELNS0_4arch9wavefront6targetE1EEEvSK_
	.globl	_ZN7rocprim17ROCPRIM_400000_NS6detail17trampoline_kernelINS0_14default_configENS1_35radix_sort_onesweep_config_selectorItNS0_10empty_typeEEEZZNS1_29radix_sort_onesweep_iterationIS3_Lb0EN6thrust23THRUST_200600_302600_NS6detail15normal_iteratorINS9_10device_ptrItEEEESE_PS5_SF_jNS0_19identity_decomposerENS1_16block_id_wrapperIjLb0EEEEE10hipError_tT1_PNSt15iterator_traitsISK_E10value_typeET2_T3_PNSL_ISQ_E10value_typeET4_T5_PSV_SW_PNS1_23onesweep_lookback_stateEbbT6_jjT7_P12ihipStream_tbENKUlT_T0_SK_SP_E_clIPtSE_SF_SF_EEDaS13_S14_SK_SP_EUlS13_E_NS1_11comp_targetILNS1_3genE4ELNS1_11target_archE910ELNS1_3gpuE8ELNS1_3repE0EEENS1_47radix_sort_onesweep_sort_config_static_selectorELNS0_4arch9wavefront6targetE1EEEvSK_
	.p2align	8
	.type	_ZN7rocprim17ROCPRIM_400000_NS6detail17trampoline_kernelINS0_14default_configENS1_35radix_sort_onesweep_config_selectorItNS0_10empty_typeEEEZZNS1_29radix_sort_onesweep_iterationIS3_Lb0EN6thrust23THRUST_200600_302600_NS6detail15normal_iteratorINS9_10device_ptrItEEEESE_PS5_SF_jNS0_19identity_decomposerENS1_16block_id_wrapperIjLb0EEEEE10hipError_tT1_PNSt15iterator_traitsISK_E10value_typeET2_T3_PNSL_ISQ_E10value_typeET4_T5_PSV_SW_PNS1_23onesweep_lookback_stateEbbT6_jjT7_P12ihipStream_tbENKUlT_T0_SK_SP_E_clIPtSE_SF_SF_EEDaS13_S14_SK_SP_EUlS13_E_NS1_11comp_targetILNS1_3genE4ELNS1_11target_archE910ELNS1_3gpuE8ELNS1_3repE0EEENS1_47radix_sort_onesweep_sort_config_static_selectorELNS0_4arch9wavefront6targetE1EEEvSK_,@function
_ZN7rocprim17ROCPRIM_400000_NS6detail17trampoline_kernelINS0_14default_configENS1_35radix_sort_onesweep_config_selectorItNS0_10empty_typeEEEZZNS1_29radix_sort_onesweep_iterationIS3_Lb0EN6thrust23THRUST_200600_302600_NS6detail15normal_iteratorINS9_10device_ptrItEEEESE_PS5_SF_jNS0_19identity_decomposerENS1_16block_id_wrapperIjLb0EEEEE10hipError_tT1_PNSt15iterator_traitsISK_E10value_typeET2_T3_PNSL_ISQ_E10value_typeET4_T5_PSV_SW_PNS1_23onesweep_lookback_stateEbbT6_jjT7_P12ihipStream_tbENKUlT_T0_SK_SP_E_clIPtSE_SF_SF_EEDaS13_S14_SK_SP_EUlS13_E_NS1_11comp_targetILNS1_3genE4ELNS1_11target_archE910ELNS1_3gpuE8ELNS1_3repE0EEENS1_47radix_sort_onesweep_sort_config_static_selectorELNS0_4arch9wavefront6targetE1EEEvSK_: ; @_ZN7rocprim17ROCPRIM_400000_NS6detail17trampoline_kernelINS0_14default_configENS1_35radix_sort_onesweep_config_selectorItNS0_10empty_typeEEEZZNS1_29radix_sort_onesweep_iterationIS3_Lb0EN6thrust23THRUST_200600_302600_NS6detail15normal_iteratorINS9_10device_ptrItEEEESE_PS5_SF_jNS0_19identity_decomposerENS1_16block_id_wrapperIjLb0EEEEE10hipError_tT1_PNSt15iterator_traitsISK_E10value_typeET2_T3_PNSL_ISQ_E10value_typeET4_T5_PSV_SW_PNS1_23onesweep_lookback_stateEbbT6_jjT7_P12ihipStream_tbENKUlT_T0_SK_SP_E_clIPtSE_SF_SF_EEDaS13_S14_SK_SP_EUlS13_E_NS1_11comp_targetILNS1_3genE4ELNS1_11target_archE910ELNS1_3gpuE8ELNS1_3repE0EEENS1_47radix_sort_onesweep_sort_config_static_selectorELNS0_4arch9wavefront6targetE1EEEvSK_
; %bb.0:
	s_load_dwordx4 s[20:23], s[4:5], 0x44
	s_load_dwordx2 s[24:25], s[4:5], 0x38
	s_load_dwordx4 s[16:19], s[4:5], 0x0
	s_load_dwordx4 s[12:15], s[4:5], 0x28
	s_mul_i32 s26, s6, 0x3000
	s_waitcnt lgkmcnt(0)
	s_cmp_ge_u32 s6, s22
	v_mbcnt_lo_u32_b32 v1, -1, 0
	s_cbranch_scc0 .LBB1387_96
; %bb.1:
	s_load_dword s7, s[4:5], 0x20
	s_mul_i32 s2, s22, 0xffffd000
	s_mov_b32 s27, 0
	v_and_b32_e32 v2, 0x3ff, v0
	s_lshl_b64 s[0:1], s[26:27], 1
	s_waitcnt lgkmcnt(0)
	s_add_i32 s7, s7, s2
	v_mbcnt_hi_u32_b32 v13, -1, v1
	s_add_u32 s0, s16, s0
	v_and_b32_e32 v3, 63, v13
	v_and_b32_e32 v4, 0x3c0, v2
	s_addc_u32 s1, s17, s1
	v_mul_u32_u24_e32 v6, 12, v4
	v_lshlrev_b32_e32 v4, 1, v3
	v_mov_b32_e32 v5, s1
	v_add_co_u32_e32 v4, vcc, s0, v4
	v_addc_co_u32_e32 v5, vcc, 0, v5, vcc
	v_lshlrev_b32_e32 v7, 1, v6
	v_add_co_u32_e32 v4, vcc, v4, v7
	v_addc_co_u32_e32 v5, vcc, 0, v5, vcc
	v_or_b32_e32 v6, v3, v6
	v_cmp_gt_u32_e32 vcc, s7, v6
	v_mov_b32_e32 v3, -1
	v_mov_b32_e32 v8, -1
	s_and_saveexec_b64 s[0:1], vcc
	s_cbranch_execz .LBB1387_3
; %bb.2:
	global_load_ushort v8, v[4:5], off
.LBB1387_3:
	s_or_b64 exec, exec, s[0:1]
	v_or_b32_e32 v7, 64, v6
	v_cmp_gt_u32_e32 vcc, s7, v7
	s_and_saveexec_b64 s[0:1], vcc
	s_cbranch_execz .LBB1387_5
; %bb.4:
	global_load_ushort v3, v[4:5], off offset:128
.LBB1387_5:
	s_or_b64 exec, exec, s[0:1]
	v_or_b32_e32 v7, 0x80, v6
	v_cmp_gt_u32_e32 vcc, s7, v7
	v_mov_b32_e32 v9, -1
	v_mov_b32_e32 v10, -1
	s_and_saveexec_b64 s[0:1], vcc
	s_cbranch_execz .LBB1387_7
; %bb.6:
	global_load_ushort v10, v[4:5], off offset:256
.LBB1387_7:
	s_or_b64 exec, exec, s[0:1]
	v_or_b32_e32 v7, 0xc0, v6
	v_cmp_gt_u32_e32 vcc, s7, v7
	s_and_saveexec_b64 s[0:1], vcc
	s_cbranch_execz .LBB1387_9
; %bb.8:
	global_load_ushort v9, v[4:5], off offset:384
.LBB1387_9:
	s_or_b64 exec, exec, s[0:1]
	v_add_u32_e32 v7, 0x100, v6
	v_cmp_gt_u32_e32 vcc, s7, v7
	v_mov_b32_e32 v11, -1
	v_mov_b32_e32 v12, -1
	s_and_saveexec_b64 s[0:1], vcc
	s_cbranch_execz .LBB1387_11
; %bb.10:
	global_load_ushort v12, v[4:5], off offset:512
.LBB1387_11:
	s_or_b64 exec, exec, s[0:1]
	v_add_u32_e32 v7, 0x140, v6
	v_cmp_gt_u32_e32 vcc, s7, v7
	s_and_saveexec_b64 s[0:1], vcc
	s_cbranch_execz .LBB1387_13
; %bb.12:
	global_load_ushort v11, v[4:5], off offset:640
.LBB1387_13:
	s_or_b64 exec, exec, s[0:1]
	v_add_u32_e32 v7, 0x180, v6
	v_cmp_gt_u32_e32 vcc, s7, v7
	v_mov_b32_e32 v14, -1
	v_mov_b32_e32 v15, -1
	s_and_saveexec_b64 s[0:1], vcc
	s_cbranch_execz .LBB1387_15
; %bb.14:
	global_load_ushort v15, v[4:5], off offset:768
.LBB1387_15:
	s_or_b64 exec, exec, s[0:1]
	v_add_u32_e32 v7, 0x1c0, v6
	;; [unrolled: 18-line block ×4, first 2 shown]
	v_cmp_gt_u32_e32 vcc, s7, v6
	s_and_saveexec_b64 s[0:1], vcc
	s_cbranch_execz .LBB1387_25
; %bb.24:
	global_load_ushort v18, v[4:5], off offset:1408
.LBB1387_25:
	s_or_b64 exec, exec, s[0:1]
	s_load_dword s0, s[4:5], 0x64
	s_load_dword s27, s[4:5], 0x58
	s_add_u32 s1, s4, 0x58
	s_addc_u32 s2, s5, 0
	v_mov_b32_e32 v4, 0
	s_waitcnt lgkmcnt(0)
	s_lshr_b32 s3, s0, 16
	s_cmp_lt_u32 s6, s27
	s_cselect_b32 s0, 12, 18
	s_add_u32 s0, s1, s0
	s_addc_u32 s1, s2, 0
	global_load_ushort v6, v4, s[0:1]
	s_lshl_b32 s0, -1, s21
	s_waitcnt vmcnt(1)
	v_lshrrev_b32_sdwa v21, s20, v8 dst_sel:DWORD dst_unused:UNUSED_PAD src0_sel:DWORD src1_sel:WORD_0
	s_not_b32 s28, s0
	v_and_b32_e32 v21, s28, v21
	v_and_b32_e32 v23, 1, v21
	v_bfe_u32 v5, v0, 10, 10
	v_bfe_u32 v7, v0, 20, 10
	v_add_co_u32_e32 v24, vcc, -1, v23
	v_mad_u32_u24 v7, v7, s3, v5
	v_lshlrev_b32_e32 v5, 30, v21
	v_addc_co_u32_e64 v25, s[0:1], 0, -1, vcc
	v_cmp_ne_u32_e32 vcc, 0, v23
	v_cmp_gt_i64_e64 s[0:1], 0, v[4:5]
	v_not_b32_e32 v23, v5
	v_lshlrev_b32_e32 v5, 29, v21
	v_xor_b32_e32 v25, vcc_hi, v25
	v_xor_b32_e32 v24, vcc_lo, v24
	v_ashrrev_i32_e32 v23, 31, v23
	v_cmp_gt_i64_e32 vcc, 0, v[4:5]
	v_not_b32_e32 v26, v5
	v_lshlrev_b32_e32 v5, 28, v21
	v_and_b32_e32 v25, exec_hi, v25
	v_and_b32_e32 v24, exec_lo, v24
	v_xor_b32_e32 v27, s1, v23
	v_xor_b32_e32 v23, s0, v23
	v_ashrrev_i32_e32 v26, 31, v26
	v_cmp_gt_i64_e64 s[0:1], 0, v[4:5]
	v_not_b32_e32 v28, v5
	v_lshlrev_b32_e32 v5, 27, v21
	v_and_b32_e32 v25, v25, v27
	v_and_b32_e32 v23, v24, v23
	v_xor_b32_e32 v24, vcc_hi, v26
	v_xor_b32_e32 v26, vcc_lo, v26
	v_ashrrev_i32_e32 v27, 31, v28
	v_cmp_gt_i64_e32 vcc, 0, v[4:5]
	v_not_b32_e32 v28, v5
	v_lshlrev_b32_e32 v5, 26, v21
	v_and_b32_e32 v24, v25, v24
	v_and_b32_e32 v23, v23, v26
	v_xor_b32_e32 v25, s1, v27
	v_xor_b32_e32 v26, s0, v27
	v_ashrrev_i32_e32 v27, 31, v28
	v_cmp_gt_i64_e64 s[0:1], 0, v[4:5]
	v_not_b32_e32 v28, v5
	v_lshlrev_b32_e32 v5, 25, v21
	v_and_b32_e32 v24, v24, v25
	v_and_b32_e32 v23, v23, v26
	v_xor_b32_e32 v25, vcc_hi, v27
	v_xor_b32_e32 v26, vcc_lo, v27
	v_ashrrev_i32_e32 v27, 31, v28
	v_cmp_gt_i64_e32 vcc, 0, v[4:5]
	v_not_b32_e32 v28, v5
	v_lshlrev_b32_e32 v5, 24, v21
	v_mul_u32_u24_e32 v22, 17, v21
	v_and_b32_e32 v21, v24, v25
	v_and_b32_e32 v23, v23, v26
	v_xor_b32_e32 v24, s1, v27
	v_xor_b32_e32 v25, s0, v27
	v_ashrrev_i32_e32 v26, 31, v28
	v_cmp_gt_i64_e64 s[0:1], 0, v[4:5]
	v_not_b32_e32 v5, v5
	v_and_b32_e32 v21, v21, v24
	v_and_b32_e32 v23, v23, v25
	v_xor_b32_e32 v24, vcc_hi, v26
	v_xor_b32_e32 v25, vcc_lo, v26
	v_ashrrev_i32_e32 v5, 31, v5
	v_and_b32_e32 v21, v21, v24
	v_and_b32_e32 v24, v23, v25
	v_mul_u32_u24_e32 v20, 5, v2
	v_lshlrev_b32_e32 v20, 2, v20
	ds_write2_b32 v20, v4, v4 offset0:16 offset1:17
	ds_write2_b32 v20, v4, v4 offset0:18 offset1:19
	ds_write_b32 v20, v4 offset:80
	s_waitcnt lgkmcnt(0)
	s_barrier
	s_waitcnt lgkmcnt(0)
	; wave barrier
	s_waitcnt vmcnt(0)
	v_mad_u64_u32 v[6:7], s[2:3], v7, v6, v[2:3]
	v_lshrrev_b32_e32 v30, 6, v6
	v_xor_b32_e32 v6, s1, v5
	v_xor_b32_e32 v5, s0, v5
	v_and_b32_e32 v7, v21, v6
	v_and_b32_e32 v6, v24, v5
	v_mbcnt_lo_u32_b32 v5, v6, 0
	v_mbcnt_hi_u32_b32 v21, v7, v5
	v_cmp_eq_u32_e32 vcc, 0, v21
	v_cmp_ne_u64_e64 s[0:1], 0, v[6:7]
	v_add_lshl_u32 v23, v30, v22, 2
	s_and_b64 s[2:3], s[0:1], vcc
	s_and_saveexec_b64 s[0:1], s[2:3]
	s_cbranch_execz .LBB1387_27
; %bb.26:
	v_bcnt_u32_b32 v5, v6, 0
	v_bcnt_u32_b32 v5, v7, v5
	ds_write_b32 v23, v5 offset:64
.LBB1387_27:
	s_or_b64 exec, exec, s[0:1]
	v_lshrrev_b32_sdwa v5, s20, v3 dst_sel:DWORD dst_unused:UNUSED_PAD src0_sel:DWORD src1_sel:WORD_0
	v_and_b32_e32 v6, s28, v5
	v_mul_u32_u24_e32 v5, 17, v6
	v_add_lshl_u32 v24, v30, v5, 2
	v_and_b32_e32 v5, 1, v6
	v_add_co_u32_e32 v7, vcc, -1, v5
	v_addc_co_u32_e64 v25, s[0:1], 0, -1, vcc
	v_cmp_ne_u32_e32 vcc, 0, v5
	v_xor_b32_e32 v5, vcc_hi, v25
	v_and_b32_e32 v25, exec_hi, v5
	v_lshlrev_b32_e32 v5, 30, v6
	v_xor_b32_e32 v7, vcc_lo, v7
	v_cmp_gt_i64_e32 vcc, 0, v[4:5]
	v_not_b32_e32 v5, v5
	v_ashrrev_i32_e32 v5, 31, v5
	v_and_b32_e32 v7, exec_lo, v7
	v_xor_b32_e32 v26, vcc_hi, v5
	v_xor_b32_e32 v5, vcc_lo, v5
	v_and_b32_e32 v7, v7, v5
	v_lshlrev_b32_e32 v5, 29, v6
	v_cmp_gt_i64_e32 vcc, 0, v[4:5]
	v_not_b32_e32 v5, v5
	v_ashrrev_i32_e32 v5, 31, v5
	v_and_b32_e32 v25, v25, v26
	v_xor_b32_e32 v26, vcc_hi, v5
	v_xor_b32_e32 v5, vcc_lo, v5
	v_and_b32_e32 v7, v7, v5
	v_lshlrev_b32_e32 v5, 28, v6
	v_cmp_gt_i64_e32 vcc, 0, v[4:5]
	v_not_b32_e32 v5, v5
	v_ashrrev_i32_e32 v5, 31, v5
	v_and_b32_e32 v25, v25, v26
	;; [unrolled: 8-line block ×5, first 2 shown]
	v_xor_b32_e32 v26, vcc_hi, v5
	v_xor_b32_e32 v5, vcc_lo, v5
	v_and_b32_e32 v7, v7, v5
	v_lshlrev_b32_e32 v5, 24, v6
	v_cmp_gt_i64_e32 vcc, 0, v[4:5]
	v_not_b32_e32 v4, v5
	v_ashrrev_i32_e32 v4, 31, v4
	v_xor_b32_e32 v5, vcc_hi, v4
	v_xor_b32_e32 v4, vcc_lo, v4
	; wave barrier
	ds_read_b32 v22, v24 offset:64
	v_and_b32_e32 v25, v25, v26
	v_and_b32_e32 v4, v7, v4
	;; [unrolled: 1-line block ×3, first 2 shown]
	v_mbcnt_lo_u32_b32 v6, v4, 0
	v_mbcnt_hi_u32_b32 v25, v5, v6
	v_cmp_eq_u32_e32 vcc, 0, v25
	v_cmp_ne_u64_e64 s[0:1], 0, v[4:5]
	s_and_b64 s[2:3], s[0:1], vcc
	; wave barrier
	s_and_saveexec_b64 s[0:1], s[2:3]
	s_cbranch_execz .LBB1387_29
; %bb.28:
	v_bcnt_u32_b32 v4, v4, 0
	v_bcnt_u32_b32 v4, v5, v4
	s_waitcnt lgkmcnt(0)
	v_add_u32_e32 v4, v22, v4
	ds_write_b32 v24, v4 offset:64
.LBB1387_29:
	s_or_b64 exec, exec, s[0:1]
	v_lshrrev_b32_sdwa v4, s20, v10 dst_sel:DWORD dst_unused:UNUSED_PAD src0_sel:DWORD src1_sel:WORD_0
	v_and_b32_e32 v6, s28, v4
	v_and_b32_e32 v5, 1, v6
	v_add_co_u32_e32 v7, vcc, -1, v5
	v_addc_co_u32_e64 v28, s[0:1], 0, -1, vcc
	v_cmp_ne_u32_e32 vcc, 0, v5
	v_mul_u32_u24_e32 v4, 17, v6
	v_xor_b32_e32 v5, vcc_hi, v28
	v_add_lshl_u32 v27, v30, v4, 2
	v_mov_b32_e32 v4, 0
	v_and_b32_e32 v28, exec_hi, v5
	v_lshlrev_b32_e32 v5, 30, v6
	v_xor_b32_e32 v7, vcc_lo, v7
	v_cmp_gt_i64_e32 vcc, 0, v[4:5]
	v_not_b32_e32 v5, v5
	v_ashrrev_i32_e32 v5, 31, v5
	v_and_b32_e32 v7, exec_lo, v7
	v_xor_b32_e32 v29, vcc_hi, v5
	v_xor_b32_e32 v5, vcc_lo, v5
	v_and_b32_e32 v7, v7, v5
	v_lshlrev_b32_e32 v5, 29, v6
	v_cmp_gt_i64_e32 vcc, 0, v[4:5]
	v_not_b32_e32 v5, v5
	v_ashrrev_i32_e32 v5, 31, v5
	v_and_b32_e32 v28, v28, v29
	v_xor_b32_e32 v29, vcc_hi, v5
	v_xor_b32_e32 v5, vcc_lo, v5
	v_and_b32_e32 v7, v7, v5
	v_lshlrev_b32_e32 v5, 28, v6
	v_cmp_gt_i64_e32 vcc, 0, v[4:5]
	v_not_b32_e32 v5, v5
	v_ashrrev_i32_e32 v5, 31, v5
	v_and_b32_e32 v28, v28, v29
	;; [unrolled: 8-line block ×5, first 2 shown]
	v_xor_b32_e32 v29, vcc_hi, v5
	v_xor_b32_e32 v5, vcc_lo, v5
	v_and_b32_e32 v28, v28, v29
	v_and_b32_e32 v29, v7, v5
	v_lshlrev_b32_e32 v5, 24, v6
	v_cmp_gt_i64_e32 vcc, 0, v[4:5]
	v_not_b32_e32 v5, v5
	v_ashrrev_i32_e32 v5, 31, v5
	v_xor_b32_e32 v6, vcc_hi, v5
	v_xor_b32_e32 v5, vcc_lo, v5
	; wave barrier
	ds_read_b32 v26, v27 offset:64
	v_and_b32_e32 v7, v28, v6
	v_and_b32_e32 v6, v29, v5
	v_mbcnt_lo_u32_b32 v5, v6, 0
	v_mbcnt_hi_u32_b32 v28, v7, v5
	v_cmp_eq_u32_e32 vcc, 0, v28
	v_cmp_ne_u64_e64 s[0:1], 0, v[6:7]
	s_and_b64 s[2:3], s[0:1], vcc
	; wave barrier
	s_and_saveexec_b64 s[0:1], s[2:3]
	s_cbranch_execz .LBB1387_31
; %bb.30:
	v_bcnt_u32_b32 v5, v6, 0
	v_bcnt_u32_b32 v5, v7, v5
	s_waitcnt lgkmcnt(0)
	v_add_u32_e32 v5, v26, v5
	ds_write_b32 v27, v5 offset:64
.LBB1387_31:
	s_or_b64 exec, exec, s[0:1]
	v_lshrrev_b32_sdwa v5, s20, v9 dst_sel:DWORD dst_unused:UNUSED_PAD src0_sel:DWORD src1_sel:WORD_0
	v_and_b32_e32 v6, s28, v5
	v_mul_u32_u24_e32 v5, 17, v6
	v_add_lshl_u32 v31, v30, v5, 2
	v_and_b32_e32 v5, 1, v6
	v_add_co_u32_e32 v7, vcc, -1, v5
	v_addc_co_u32_e64 v32, s[0:1], 0, -1, vcc
	v_cmp_ne_u32_e32 vcc, 0, v5
	v_xor_b32_e32 v5, vcc_hi, v32
	v_and_b32_e32 v32, exec_hi, v5
	v_lshlrev_b32_e32 v5, 30, v6
	v_xor_b32_e32 v7, vcc_lo, v7
	v_cmp_gt_i64_e32 vcc, 0, v[4:5]
	v_not_b32_e32 v5, v5
	v_ashrrev_i32_e32 v5, 31, v5
	v_and_b32_e32 v7, exec_lo, v7
	v_xor_b32_e32 v33, vcc_hi, v5
	v_xor_b32_e32 v5, vcc_lo, v5
	v_and_b32_e32 v7, v7, v5
	v_lshlrev_b32_e32 v5, 29, v6
	v_cmp_gt_i64_e32 vcc, 0, v[4:5]
	v_not_b32_e32 v5, v5
	v_ashrrev_i32_e32 v5, 31, v5
	v_and_b32_e32 v32, v32, v33
	v_xor_b32_e32 v33, vcc_hi, v5
	v_xor_b32_e32 v5, vcc_lo, v5
	v_and_b32_e32 v7, v7, v5
	v_lshlrev_b32_e32 v5, 28, v6
	v_cmp_gt_i64_e32 vcc, 0, v[4:5]
	v_not_b32_e32 v5, v5
	v_ashrrev_i32_e32 v5, 31, v5
	v_and_b32_e32 v32, v32, v33
	;; [unrolled: 8-line block ×5, first 2 shown]
	v_xor_b32_e32 v33, vcc_hi, v5
	v_xor_b32_e32 v5, vcc_lo, v5
	v_and_b32_e32 v7, v7, v5
	v_lshlrev_b32_e32 v5, 24, v6
	v_cmp_gt_i64_e32 vcc, 0, v[4:5]
	v_not_b32_e32 v4, v5
	v_ashrrev_i32_e32 v4, 31, v4
	v_xor_b32_e32 v5, vcc_hi, v4
	v_xor_b32_e32 v4, vcc_lo, v4
	; wave barrier
	ds_read_b32 v29, v31 offset:64
	v_and_b32_e32 v32, v32, v33
	v_and_b32_e32 v4, v7, v4
	;; [unrolled: 1-line block ×3, first 2 shown]
	v_mbcnt_lo_u32_b32 v6, v4, 0
	v_mbcnt_hi_u32_b32 v32, v5, v6
	v_cmp_eq_u32_e32 vcc, 0, v32
	v_cmp_ne_u64_e64 s[0:1], 0, v[4:5]
	s_and_b64 s[2:3], s[0:1], vcc
	; wave barrier
	s_and_saveexec_b64 s[0:1], s[2:3]
	s_cbranch_execz .LBB1387_33
; %bb.32:
	v_bcnt_u32_b32 v4, v4, 0
	v_bcnt_u32_b32 v4, v5, v4
	s_waitcnt lgkmcnt(0)
	v_add_u32_e32 v4, v29, v4
	ds_write_b32 v31, v4 offset:64
.LBB1387_33:
	s_or_b64 exec, exec, s[0:1]
	v_lshrrev_b32_sdwa v4, s20, v12 dst_sel:DWORD dst_unused:UNUSED_PAD src0_sel:DWORD src1_sel:WORD_0
	v_and_b32_e32 v6, s28, v4
	v_and_b32_e32 v5, 1, v6
	v_add_co_u32_e32 v7, vcc, -1, v5
	v_addc_co_u32_e64 v35, s[0:1], 0, -1, vcc
	v_cmp_ne_u32_e32 vcc, 0, v5
	v_mul_u32_u24_e32 v4, 17, v6
	v_xor_b32_e32 v5, vcc_hi, v35
	v_add_lshl_u32 v34, v30, v4, 2
	v_mov_b32_e32 v4, 0
	v_and_b32_e32 v35, exec_hi, v5
	v_lshlrev_b32_e32 v5, 30, v6
	v_xor_b32_e32 v7, vcc_lo, v7
	v_cmp_gt_i64_e32 vcc, 0, v[4:5]
	v_not_b32_e32 v5, v5
	v_ashrrev_i32_e32 v5, 31, v5
	v_and_b32_e32 v7, exec_lo, v7
	v_xor_b32_e32 v36, vcc_hi, v5
	v_xor_b32_e32 v5, vcc_lo, v5
	v_and_b32_e32 v7, v7, v5
	v_lshlrev_b32_e32 v5, 29, v6
	v_cmp_gt_i64_e32 vcc, 0, v[4:5]
	v_not_b32_e32 v5, v5
	v_ashrrev_i32_e32 v5, 31, v5
	v_and_b32_e32 v35, v35, v36
	v_xor_b32_e32 v36, vcc_hi, v5
	v_xor_b32_e32 v5, vcc_lo, v5
	v_and_b32_e32 v7, v7, v5
	v_lshlrev_b32_e32 v5, 28, v6
	v_cmp_gt_i64_e32 vcc, 0, v[4:5]
	v_not_b32_e32 v5, v5
	v_ashrrev_i32_e32 v5, 31, v5
	v_and_b32_e32 v35, v35, v36
	;; [unrolled: 8-line block ×5, first 2 shown]
	v_xor_b32_e32 v36, vcc_hi, v5
	v_xor_b32_e32 v5, vcc_lo, v5
	v_and_b32_e32 v35, v35, v36
	v_and_b32_e32 v36, v7, v5
	v_lshlrev_b32_e32 v5, 24, v6
	v_cmp_gt_i64_e32 vcc, 0, v[4:5]
	v_not_b32_e32 v5, v5
	v_ashrrev_i32_e32 v5, 31, v5
	v_xor_b32_e32 v6, vcc_hi, v5
	v_xor_b32_e32 v5, vcc_lo, v5
	; wave barrier
	ds_read_b32 v33, v34 offset:64
	v_and_b32_e32 v7, v35, v6
	v_and_b32_e32 v6, v36, v5
	v_mbcnt_lo_u32_b32 v5, v6, 0
	v_mbcnt_hi_u32_b32 v35, v7, v5
	v_cmp_eq_u32_e32 vcc, 0, v35
	v_cmp_ne_u64_e64 s[0:1], 0, v[6:7]
	s_and_b64 s[2:3], s[0:1], vcc
	; wave barrier
	s_and_saveexec_b64 s[0:1], s[2:3]
	s_cbranch_execz .LBB1387_35
; %bb.34:
	v_bcnt_u32_b32 v5, v6, 0
	v_bcnt_u32_b32 v5, v7, v5
	s_waitcnt lgkmcnt(0)
	v_add_u32_e32 v5, v33, v5
	ds_write_b32 v34, v5 offset:64
.LBB1387_35:
	s_or_b64 exec, exec, s[0:1]
	v_lshrrev_b32_sdwa v5, s20, v11 dst_sel:DWORD dst_unused:UNUSED_PAD src0_sel:DWORD src1_sel:WORD_0
	v_and_b32_e32 v6, s28, v5
	v_mul_u32_u24_e32 v5, 17, v6
	v_add_lshl_u32 v37, v30, v5, 2
	v_and_b32_e32 v5, 1, v6
	v_add_co_u32_e32 v7, vcc, -1, v5
	v_addc_co_u32_e64 v38, s[0:1], 0, -1, vcc
	v_cmp_ne_u32_e32 vcc, 0, v5
	v_xor_b32_e32 v5, vcc_hi, v38
	v_and_b32_e32 v38, exec_hi, v5
	v_lshlrev_b32_e32 v5, 30, v6
	v_xor_b32_e32 v7, vcc_lo, v7
	v_cmp_gt_i64_e32 vcc, 0, v[4:5]
	v_not_b32_e32 v5, v5
	v_ashrrev_i32_e32 v5, 31, v5
	v_and_b32_e32 v7, exec_lo, v7
	v_xor_b32_e32 v39, vcc_hi, v5
	v_xor_b32_e32 v5, vcc_lo, v5
	v_and_b32_e32 v7, v7, v5
	v_lshlrev_b32_e32 v5, 29, v6
	v_cmp_gt_i64_e32 vcc, 0, v[4:5]
	v_not_b32_e32 v5, v5
	v_ashrrev_i32_e32 v5, 31, v5
	v_and_b32_e32 v38, v38, v39
	v_xor_b32_e32 v39, vcc_hi, v5
	v_xor_b32_e32 v5, vcc_lo, v5
	v_and_b32_e32 v7, v7, v5
	v_lshlrev_b32_e32 v5, 28, v6
	v_cmp_gt_i64_e32 vcc, 0, v[4:5]
	v_not_b32_e32 v5, v5
	v_ashrrev_i32_e32 v5, 31, v5
	v_and_b32_e32 v38, v38, v39
	;; [unrolled: 8-line block ×5, first 2 shown]
	v_xor_b32_e32 v39, vcc_hi, v5
	v_xor_b32_e32 v5, vcc_lo, v5
	v_and_b32_e32 v7, v7, v5
	v_lshlrev_b32_e32 v5, 24, v6
	v_cmp_gt_i64_e32 vcc, 0, v[4:5]
	v_not_b32_e32 v4, v5
	v_ashrrev_i32_e32 v4, 31, v4
	v_xor_b32_e32 v5, vcc_hi, v4
	v_xor_b32_e32 v4, vcc_lo, v4
	; wave barrier
	ds_read_b32 v36, v37 offset:64
	v_and_b32_e32 v38, v38, v39
	v_and_b32_e32 v4, v7, v4
	;; [unrolled: 1-line block ×3, first 2 shown]
	v_mbcnt_lo_u32_b32 v6, v4, 0
	v_mbcnt_hi_u32_b32 v38, v5, v6
	v_cmp_eq_u32_e32 vcc, 0, v38
	v_cmp_ne_u64_e64 s[0:1], 0, v[4:5]
	s_and_b64 s[2:3], s[0:1], vcc
	; wave barrier
	s_and_saveexec_b64 s[0:1], s[2:3]
	s_cbranch_execz .LBB1387_37
; %bb.36:
	v_bcnt_u32_b32 v4, v4, 0
	v_bcnt_u32_b32 v4, v5, v4
	s_waitcnt lgkmcnt(0)
	v_add_u32_e32 v4, v36, v4
	ds_write_b32 v37, v4 offset:64
.LBB1387_37:
	s_or_b64 exec, exec, s[0:1]
	v_lshrrev_b32_sdwa v4, s20, v15 dst_sel:DWORD dst_unused:UNUSED_PAD src0_sel:DWORD src1_sel:WORD_0
	v_and_b32_e32 v6, s28, v4
	v_and_b32_e32 v5, 1, v6
	v_add_co_u32_e32 v7, vcc, -1, v5
	v_addc_co_u32_e64 v41, s[0:1], 0, -1, vcc
	v_cmp_ne_u32_e32 vcc, 0, v5
	v_mul_u32_u24_e32 v4, 17, v6
	v_xor_b32_e32 v5, vcc_hi, v41
	v_add_lshl_u32 v40, v30, v4, 2
	v_mov_b32_e32 v4, 0
	v_and_b32_e32 v41, exec_hi, v5
	v_lshlrev_b32_e32 v5, 30, v6
	v_xor_b32_e32 v7, vcc_lo, v7
	v_cmp_gt_i64_e32 vcc, 0, v[4:5]
	v_not_b32_e32 v5, v5
	v_ashrrev_i32_e32 v5, 31, v5
	v_and_b32_e32 v7, exec_lo, v7
	v_xor_b32_e32 v42, vcc_hi, v5
	v_xor_b32_e32 v5, vcc_lo, v5
	v_and_b32_e32 v7, v7, v5
	v_lshlrev_b32_e32 v5, 29, v6
	v_cmp_gt_i64_e32 vcc, 0, v[4:5]
	v_not_b32_e32 v5, v5
	v_ashrrev_i32_e32 v5, 31, v5
	v_and_b32_e32 v41, v41, v42
	v_xor_b32_e32 v42, vcc_hi, v5
	v_xor_b32_e32 v5, vcc_lo, v5
	v_and_b32_e32 v7, v7, v5
	v_lshlrev_b32_e32 v5, 28, v6
	v_cmp_gt_i64_e32 vcc, 0, v[4:5]
	v_not_b32_e32 v5, v5
	v_ashrrev_i32_e32 v5, 31, v5
	v_and_b32_e32 v41, v41, v42
	;; [unrolled: 8-line block ×5, first 2 shown]
	v_xor_b32_e32 v42, vcc_hi, v5
	v_xor_b32_e32 v5, vcc_lo, v5
	v_and_b32_e32 v41, v41, v42
	v_and_b32_e32 v42, v7, v5
	v_lshlrev_b32_e32 v5, 24, v6
	v_cmp_gt_i64_e32 vcc, 0, v[4:5]
	v_not_b32_e32 v5, v5
	v_ashrrev_i32_e32 v5, 31, v5
	v_xor_b32_e32 v6, vcc_hi, v5
	v_xor_b32_e32 v5, vcc_lo, v5
	; wave barrier
	ds_read_b32 v39, v40 offset:64
	v_and_b32_e32 v7, v41, v6
	v_and_b32_e32 v6, v42, v5
	v_mbcnt_lo_u32_b32 v5, v6, 0
	v_mbcnt_hi_u32_b32 v41, v7, v5
	v_cmp_eq_u32_e32 vcc, 0, v41
	v_cmp_ne_u64_e64 s[0:1], 0, v[6:7]
	s_and_b64 s[2:3], s[0:1], vcc
	; wave barrier
	s_and_saveexec_b64 s[0:1], s[2:3]
	s_cbranch_execz .LBB1387_39
; %bb.38:
	v_bcnt_u32_b32 v5, v6, 0
	v_bcnt_u32_b32 v5, v7, v5
	s_waitcnt lgkmcnt(0)
	v_add_u32_e32 v5, v39, v5
	ds_write_b32 v40, v5 offset:64
.LBB1387_39:
	s_or_b64 exec, exec, s[0:1]
	v_lshrrev_b32_sdwa v5, s20, v14 dst_sel:DWORD dst_unused:UNUSED_PAD src0_sel:DWORD src1_sel:WORD_0
	v_and_b32_e32 v6, s28, v5
	v_mul_u32_u24_e32 v5, 17, v6
	v_add_lshl_u32 v43, v30, v5, 2
	v_and_b32_e32 v5, 1, v6
	v_add_co_u32_e32 v7, vcc, -1, v5
	v_addc_co_u32_e64 v44, s[0:1], 0, -1, vcc
	v_cmp_ne_u32_e32 vcc, 0, v5
	v_xor_b32_e32 v5, vcc_hi, v44
	v_and_b32_e32 v44, exec_hi, v5
	v_lshlrev_b32_e32 v5, 30, v6
	v_xor_b32_e32 v7, vcc_lo, v7
	v_cmp_gt_i64_e32 vcc, 0, v[4:5]
	v_not_b32_e32 v5, v5
	v_ashrrev_i32_e32 v5, 31, v5
	v_and_b32_e32 v7, exec_lo, v7
	v_xor_b32_e32 v45, vcc_hi, v5
	v_xor_b32_e32 v5, vcc_lo, v5
	v_and_b32_e32 v7, v7, v5
	v_lshlrev_b32_e32 v5, 29, v6
	v_cmp_gt_i64_e32 vcc, 0, v[4:5]
	v_not_b32_e32 v5, v5
	v_ashrrev_i32_e32 v5, 31, v5
	v_and_b32_e32 v44, v44, v45
	v_xor_b32_e32 v45, vcc_hi, v5
	v_xor_b32_e32 v5, vcc_lo, v5
	v_and_b32_e32 v7, v7, v5
	v_lshlrev_b32_e32 v5, 28, v6
	v_cmp_gt_i64_e32 vcc, 0, v[4:5]
	v_not_b32_e32 v5, v5
	v_ashrrev_i32_e32 v5, 31, v5
	v_and_b32_e32 v44, v44, v45
	;; [unrolled: 8-line block ×5, first 2 shown]
	v_xor_b32_e32 v45, vcc_hi, v5
	v_xor_b32_e32 v5, vcc_lo, v5
	v_and_b32_e32 v7, v7, v5
	v_lshlrev_b32_e32 v5, 24, v6
	v_cmp_gt_i64_e32 vcc, 0, v[4:5]
	v_not_b32_e32 v4, v5
	v_ashrrev_i32_e32 v4, 31, v4
	v_xor_b32_e32 v5, vcc_hi, v4
	v_xor_b32_e32 v4, vcc_lo, v4
	; wave barrier
	ds_read_b32 v42, v43 offset:64
	v_and_b32_e32 v44, v44, v45
	v_and_b32_e32 v4, v7, v4
	;; [unrolled: 1-line block ×3, first 2 shown]
	v_mbcnt_lo_u32_b32 v6, v4, 0
	v_mbcnt_hi_u32_b32 v44, v5, v6
	v_cmp_eq_u32_e32 vcc, 0, v44
	v_cmp_ne_u64_e64 s[0:1], 0, v[4:5]
	s_and_b64 s[2:3], s[0:1], vcc
	; wave barrier
	s_and_saveexec_b64 s[0:1], s[2:3]
	s_cbranch_execz .LBB1387_41
; %bb.40:
	v_bcnt_u32_b32 v4, v4, 0
	v_bcnt_u32_b32 v4, v5, v4
	s_waitcnt lgkmcnt(0)
	v_add_u32_e32 v4, v42, v4
	ds_write_b32 v43, v4 offset:64
.LBB1387_41:
	s_or_b64 exec, exec, s[0:1]
	v_lshrrev_b32_sdwa v4, s20, v17 dst_sel:DWORD dst_unused:UNUSED_PAD src0_sel:DWORD src1_sel:WORD_0
	v_and_b32_e32 v6, s28, v4
	v_and_b32_e32 v5, 1, v6
	v_add_co_u32_e32 v7, vcc, -1, v5
	v_addc_co_u32_e64 v47, s[0:1], 0, -1, vcc
	v_cmp_ne_u32_e32 vcc, 0, v5
	v_mul_u32_u24_e32 v4, 17, v6
	v_xor_b32_e32 v5, vcc_hi, v47
	v_add_lshl_u32 v46, v30, v4, 2
	v_mov_b32_e32 v4, 0
	v_and_b32_e32 v47, exec_hi, v5
	v_lshlrev_b32_e32 v5, 30, v6
	v_xor_b32_e32 v7, vcc_lo, v7
	v_cmp_gt_i64_e32 vcc, 0, v[4:5]
	v_not_b32_e32 v5, v5
	v_ashrrev_i32_e32 v5, 31, v5
	v_and_b32_e32 v7, exec_lo, v7
	v_xor_b32_e32 v48, vcc_hi, v5
	v_xor_b32_e32 v5, vcc_lo, v5
	v_and_b32_e32 v7, v7, v5
	v_lshlrev_b32_e32 v5, 29, v6
	v_cmp_gt_i64_e32 vcc, 0, v[4:5]
	v_not_b32_e32 v5, v5
	v_ashrrev_i32_e32 v5, 31, v5
	v_and_b32_e32 v47, v47, v48
	v_xor_b32_e32 v48, vcc_hi, v5
	v_xor_b32_e32 v5, vcc_lo, v5
	v_and_b32_e32 v7, v7, v5
	v_lshlrev_b32_e32 v5, 28, v6
	v_cmp_gt_i64_e32 vcc, 0, v[4:5]
	v_not_b32_e32 v5, v5
	v_ashrrev_i32_e32 v5, 31, v5
	v_and_b32_e32 v47, v47, v48
	;; [unrolled: 8-line block ×5, first 2 shown]
	v_xor_b32_e32 v48, vcc_hi, v5
	v_xor_b32_e32 v5, vcc_lo, v5
	v_and_b32_e32 v47, v47, v48
	v_and_b32_e32 v48, v7, v5
	v_lshlrev_b32_e32 v5, 24, v6
	v_cmp_gt_i64_e32 vcc, 0, v[4:5]
	v_not_b32_e32 v5, v5
	v_ashrrev_i32_e32 v5, 31, v5
	v_xor_b32_e32 v6, vcc_hi, v5
	v_xor_b32_e32 v5, vcc_lo, v5
	; wave barrier
	ds_read_b32 v45, v46 offset:64
	v_and_b32_e32 v7, v47, v6
	v_and_b32_e32 v6, v48, v5
	v_mbcnt_lo_u32_b32 v5, v6, 0
	v_mbcnt_hi_u32_b32 v47, v7, v5
	v_cmp_eq_u32_e32 vcc, 0, v47
	v_cmp_ne_u64_e64 s[0:1], 0, v[6:7]
	s_and_b64 s[2:3], s[0:1], vcc
	; wave barrier
	s_and_saveexec_b64 s[0:1], s[2:3]
	s_cbranch_execz .LBB1387_43
; %bb.42:
	v_bcnt_u32_b32 v5, v6, 0
	v_bcnt_u32_b32 v5, v7, v5
	s_waitcnt lgkmcnt(0)
	v_add_u32_e32 v5, v45, v5
	ds_write_b32 v46, v5 offset:64
.LBB1387_43:
	s_or_b64 exec, exec, s[0:1]
	v_lshrrev_b32_sdwa v5, s20, v16 dst_sel:DWORD dst_unused:UNUSED_PAD src0_sel:DWORD src1_sel:WORD_0
	v_and_b32_e32 v6, s28, v5
	v_mul_u32_u24_e32 v5, 17, v6
	v_add_lshl_u32 v49, v30, v5, 2
	v_and_b32_e32 v5, 1, v6
	v_add_co_u32_e32 v7, vcc, -1, v5
	v_addc_co_u32_e64 v50, s[0:1], 0, -1, vcc
	v_cmp_ne_u32_e32 vcc, 0, v5
	v_xor_b32_e32 v5, vcc_hi, v50
	v_and_b32_e32 v50, exec_hi, v5
	v_lshlrev_b32_e32 v5, 30, v6
	v_xor_b32_e32 v7, vcc_lo, v7
	v_cmp_gt_i64_e32 vcc, 0, v[4:5]
	v_not_b32_e32 v5, v5
	v_ashrrev_i32_e32 v5, 31, v5
	v_and_b32_e32 v7, exec_lo, v7
	v_xor_b32_e32 v51, vcc_hi, v5
	v_xor_b32_e32 v5, vcc_lo, v5
	v_and_b32_e32 v7, v7, v5
	v_lshlrev_b32_e32 v5, 29, v6
	v_cmp_gt_i64_e32 vcc, 0, v[4:5]
	v_not_b32_e32 v5, v5
	v_ashrrev_i32_e32 v5, 31, v5
	v_and_b32_e32 v50, v50, v51
	v_xor_b32_e32 v51, vcc_hi, v5
	v_xor_b32_e32 v5, vcc_lo, v5
	v_and_b32_e32 v7, v7, v5
	v_lshlrev_b32_e32 v5, 28, v6
	v_cmp_gt_i64_e32 vcc, 0, v[4:5]
	v_not_b32_e32 v5, v5
	v_ashrrev_i32_e32 v5, 31, v5
	v_and_b32_e32 v50, v50, v51
	;; [unrolled: 8-line block ×5, first 2 shown]
	v_xor_b32_e32 v51, vcc_hi, v5
	v_xor_b32_e32 v5, vcc_lo, v5
	v_and_b32_e32 v7, v7, v5
	v_lshlrev_b32_e32 v5, 24, v6
	v_cmp_gt_i64_e32 vcc, 0, v[4:5]
	v_not_b32_e32 v4, v5
	v_ashrrev_i32_e32 v4, 31, v4
	v_xor_b32_e32 v5, vcc_hi, v4
	v_xor_b32_e32 v4, vcc_lo, v4
	; wave barrier
	ds_read_b32 v48, v49 offset:64
	v_and_b32_e32 v50, v50, v51
	v_and_b32_e32 v4, v7, v4
	v_and_b32_e32 v5, v50, v5
	v_mbcnt_lo_u32_b32 v6, v4, 0
	v_mbcnt_hi_u32_b32 v50, v5, v6
	v_cmp_eq_u32_e32 vcc, 0, v50
	v_cmp_ne_u64_e64 s[0:1], 0, v[4:5]
	s_and_b64 s[2:3], s[0:1], vcc
	; wave barrier
	s_and_saveexec_b64 s[0:1], s[2:3]
	s_cbranch_execz .LBB1387_45
; %bb.44:
	v_bcnt_u32_b32 v4, v4, 0
	v_bcnt_u32_b32 v4, v5, v4
	s_waitcnt lgkmcnt(0)
	v_add_u32_e32 v4, v48, v4
	ds_write_b32 v49, v4 offset:64
.LBB1387_45:
	s_or_b64 exec, exec, s[0:1]
	v_lshrrev_b32_sdwa v4, s20, v19 dst_sel:DWORD dst_unused:UNUSED_PAD src0_sel:DWORD src1_sel:WORD_0
	v_and_b32_e32 v6, s28, v4
	v_and_b32_e32 v5, 1, v6
	v_add_co_u32_e32 v7, vcc, -1, v5
	v_addc_co_u32_e64 v53, s[0:1], 0, -1, vcc
	v_cmp_ne_u32_e32 vcc, 0, v5
	v_mul_u32_u24_e32 v4, 17, v6
	v_xor_b32_e32 v5, vcc_hi, v53
	v_add_lshl_u32 v52, v30, v4, 2
	v_mov_b32_e32 v4, 0
	v_and_b32_e32 v53, exec_hi, v5
	v_lshlrev_b32_e32 v5, 30, v6
	v_xor_b32_e32 v7, vcc_lo, v7
	v_cmp_gt_i64_e32 vcc, 0, v[4:5]
	v_not_b32_e32 v5, v5
	v_ashrrev_i32_e32 v5, 31, v5
	v_and_b32_e32 v7, exec_lo, v7
	v_xor_b32_e32 v54, vcc_hi, v5
	v_xor_b32_e32 v5, vcc_lo, v5
	v_and_b32_e32 v7, v7, v5
	v_lshlrev_b32_e32 v5, 29, v6
	v_cmp_gt_i64_e32 vcc, 0, v[4:5]
	v_not_b32_e32 v5, v5
	v_ashrrev_i32_e32 v5, 31, v5
	v_and_b32_e32 v53, v53, v54
	v_xor_b32_e32 v54, vcc_hi, v5
	v_xor_b32_e32 v5, vcc_lo, v5
	v_and_b32_e32 v7, v7, v5
	v_lshlrev_b32_e32 v5, 28, v6
	v_cmp_gt_i64_e32 vcc, 0, v[4:5]
	v_not_b32_e32 v5, v5
	v_ashrrev_i32_e32 v5, 31, v5
	v_and_b32_e32 v53, v53, v54
	v_xor_b32_e32 v54, vcc_hi, v5
	v_xor_b32_e32 v5, vcc_lo, v5
	v_and_b32_e32 v7, v7, v5
	v_lshlrev_b32_e32 v5, 27, v6
	v_cmp_gt_i64_e32 vcc, 0, v[4:5]
	v_not_b32_e32 v5, v5
	v_ashrrev_i32_e32 v5, 31, v5
	v_and_b32_e32 v53, v53, v54
	v_xor_b32_e32 v54, vcc_hi, v5
	v_xor_b32_e32 v5, vcc_lo, v5
	v_and_b32_e32 v7, v7, v5
	v_lshlrev_b32_e32 v5, 26, v6
	v_cmp_gt_i64_e32 vcc, 0, v[4:5]
	v_not_b32_e32 v5, v5
	v_ashrrev_i32_e32 v5, 31, v5
	v_and_b32_e32 v53, v53, v54
	v_xor_b32_e32 v54, vcc_hi, v5
	v_xor_b32_e32 v5, vcc_lo, v5
	v_and_b32_e32 v7, v7, v5
	v_lshlrev_b32_e32 v5, 25, v6
	v_cmp_gt_i64_e32 vcc, 0, v[4:5]
	v_not_b32_e32 v5, v5
	v_ashrrev_i32_e32 v5, 31, v5
	v_and_b32_e32 v53, v53, v54
	v_xor_b32_e32 v54, vcc_hi, v5
	v_xor_b32_e32 v5, vcc_lo, v5
	v_and_b32_e32 v53, v53, v54
	v_and_b32_e32 v54, v7, v5
	v_lshlrev_b32_e32 v5, 24, v6
	v_cmp_gt_i64_e32 vcc, 0, v[4:5]
	v_not_b32_e32 v5, v5
	v_ashrrev_i32_e32 v5, 31, v5
	v_xor_b32_e32 v6, vcc_hi, v5
	v_xor_b32_e32 v5, vcc_lo, v5
	; wave barrier
	ds_read_b32 v51, v52 offset:64
	v_and_b32_e32 v7, v53, v6
	v_and_b32_e32 v6, v54, v5
	v_mbcnt_lo_u32_b32 v5, v6, 0
	v_mbcnt_hi_u32_b32 v53, v7, v5
	v_cmp_eq_u32_e32 vcc, 0, v53
	v_cmp_ne_u64_e64 s[0:1], 0, v[6:7]
	s_and_b64 s[2:3], s[0:1], vcc
	; wave barrier
	s_and_saveexec_b64 s[0:1], s[2:3]
	s_cbranch_execz .LBB1387_47
; %bb.46:
	v_bcnt_u32_b32 v5, v6, 0
	v_bcnt_u32_b32 v5, v7, v5
	s_waitcnt lgkmcnt(0)
	v_add_u32_e32 v5, v51, v5
	ds_write_b32 v52, v5 offset:64
.LBB1387_47:
	s_or_b64 exec, exec, s[0:1]
	v_lshrrev_b32_sdwa v5, s20, v18 dst_sel:DWORD dst_unused:UNUSED_PAD src0_sel:DWORD src1_sel:WORD_0
	v_and_b32_e32 v6, s28, v5
	v_mul_u32_u24_e32 v5, 17, v6
	v_add_lshl_u32 v55, v30, v5, 2
	v_and_b32_e32 v5, 1, v6
	v_add_co_u32_e32 v7, vcc, -1, v5
	v_addc_co_u32_e64 v54, s[0:1], 0, -1, vcc
	v_cmp_ne_u32_e32 vcc, 0, v5
	v_xor_b32_e32 v5, vcc_hi, v54
	v_and_b32_e32 v54, exec_hi, v5
	v_lshlrev_b32_e32 v5, 30, v6
	v_xor_b32_e32 v7, vcc_lo, v7
	v_cmp_gt_i64_e32 vcc, 0, v[4:5]
	v_not_b32_e32 v5, v5
	v_ashrrev_i32_e32 v5, 31, v5
	v_and_b32_e32 v7, exec_lo, v7
	v_xor_b32_e32 v57, vcc_hi, v5
	v_xor_b32_e32 v5, vcc_lo, v5
	v_and_b32_e32 v7, v7, v5
	v_lshlrev_b32_e32 v5, 29, v6
	v_cmp_gt_i64_e32 vcc, 0, v[4:5]
	v_not_b32_e32 v5, v5
	v_ashrrev_i32_e32 v5, 31, v5
	v_and_b32_e32 v54, v54, v57
	v_xor_b32_e32 v57, vcc_hi, v5
	v_xor_b32_e32 v5, vcc_lo, v5
	v_and_b32_e32 v7, v7, v5
	v_lshlrev_b32_e32 v5, 28, v6
	v_cmp_gt_i64_e32 vcc, 0, v[4:5]
	v_not_b32_e32 v5, v5
	v_ashrrev_i32_e32 v5, 31, v5
	v_and_b32_e32 v54, v54, v57
	;; [unrolled: 8-line block ×5, first 2 shown]
	v_xor_b32_e32 v57, vcc_hi, v5
	v_xor_b32_e32 v5, vcc_lo, v5
	v_and_b32_e32 v7, v7, v5
	v_lshlrev_b32_e32 v5, 24, v6
	v_cmp_gt_i64_e32 vcc, 0, v[4:5]
	v_not_b32_e32 v4, v5
	v_ashrrev_i32_e32 v4, 31, v4
	v_xor_b32_e32 v5, vcc_hi, v4
	v_xor_b32_e32 v4, vcc_lo, v4
	; wave barrier
	ds_read_b32 v30, v55 offset:64
	v_and_b32_e32 v54, v54, v57
	v_and_b32_e32 v4, v7, v4
	;; [unrolled: 1-line block ×3, first 2 shown]
	v_mbcnt_lo_u32_b32 v6, v4, 0
	v_mbcnt_hi_u32_b32 v57, v5, v6
	v_cmp_eq_u32_e32 vcc, 0, v57
	v_cmp_ne_u64_e64 s[0:1], 0, v[4:5]
	v_add_u32_e32 v56, 64, v20
	s_and_b64 s[2:3], s[0:1], vcc
	; wave barrier
	s_and_saveexec_b64 s[0:1], s[2:3]
	s_cbranch_execz .LBB1387_49
; %bb.48:
	v_bcnt_u32_b32 v4, v4, 0
	v_bcnt_u32_b32 v4, v5, v4
	s_waitcnt lgkmcnt(0)
	v_add_u32_e32 v4, v30, v4
	ds_write_b32 v55, v4 offset:64
.LBB1387_49:
	s_or_b64 exec, exec, s[0:1]
	; wave barrier
	s_waitcnt lgkmcnt(0)
	s_barrier
	ds_read2_b32 v[6:7], v20 offset0:16 offset1:17
	ds_read2_b32 v[4:5], v56 offset0:2 offset1:3
	ds_read_b32 v54, v56 offset:16
	v_cmp_lt_u32_e64 s[10:11], 31, v13
	s_waitcnt lgkmcnt(1)
	v_add3_u32 v58, v7, v6, v4
	s_waitcnt lgkmcnt(0)
	v_add3_u32 v54, v58, v5, v54
	v_and_b32_e32 v58, 15, v13
	v_cmp_eq_u32_e32 vcc, 0, v58
	v_mov_b32_dpp v59, v54 row_shr:1 row_mask:0xf bank_mask:0xf
	v_cndmask_b32_e64 v59, v59, 0, vcc
	v_add_u32_e32 v54, v59, v54
	v_cmp_lt_u32_e64 s[0:1], 1, v58
	v_cmp_lt_u32_e64 s[2:3], 3, v58
	v_mov_b32_dpp v59, v54 row_shr:2 row_mask:0xf bank_mask:0xf
	v_cndmask_b32_e64 v59, 0, v59, s[0:1]
	v_add_u32_e32 v54, v54, v59
	v_cmp_lt_u32_e64 s[8:9], 7, v58
	s_nop 0
	v_mov_b32_dpp v59, v54 row_shr:4 row_mask:0xf bank_mask:0xf
	v_cndmask_b32_e64 v59, 0, v59, s[2:3]
	v_add_u32_e32 v54, v54, v59
	s_nop 1
	v_mov_b32_dpp v59, v54 row_shr:8 row_mask:0xf bank_mask:0xf
	v_cndmask_b32_e64 v58, 0, v59, s[8:9]
	v_add_u32_e32 v54, v54, v58
	v_bfe_i32 v59, v13, 4, 1
	s_nop 0
	v_mov_b32_dpp v58, v54 row_bcast:15 row_mask:0xf bank_mask:0xf
	v_and_b32_e32 v58, v59, v58
	v_add_u32_e32 v54, v54, v58
	v_lshrrev_b32_e32 v59, 6, v2
	s_nop 0
	v_mov_b32_dpp v58, v54 row_bcast:31 row_mask:0xf bank_mask:0xf
	v_cndmask_b32_e64 v58, 0, v58, s[10:11]
	v_add_u32_e32 v58, v54, v58
	v_and_b32_e32 v54, 63, v2
	v_cmp_eq_u32_e64 s[10:11], 63, v54
	s_and_saveexec_b64 s[22:23], s[10:11]
	s_cbranch_execz .LBB1387_51
; %bb.50:
	v_lshlrev_b32_e32 v54, 2, v59
	ds_write_b32 v54, v58
.LBB1387_51:
	s_or_b64 exec, exec, s[22:23]
	v_cmp_gt_u32_e64 s[10:11], 16, v2
	v_lshlrev_b32_e32 v54, 2, v2
	s_waitcnt lgkmcnt(0)
	s_barrier
	s_and_saveexec_b64 s[22:23], s[10:11]
	s_cbranch_execz .LBB1387_53
; %bb.52:
	ds_read_b32 v60, v54
	s_waitcnt lgkmcnt(0)
	s_nop 0
	v_mov_b32_dpp v61, v60 row_shr:1 row_mask:0xf bank_mask:0xf
	v_cndmask_b32_e64 v61, v61, 0, vcc
	v_add_u32_e32 v60, v61, v60
	s_nop 1
	v_mov_b32_dpp v61, v60 row_shr:2 row_mask:0xf bank_mask:0xf
	v_cndmask_b32_e64 v61, 0, v61, s[0:1]
	v_add_u32_e32 v60, v60, v61
	s_nop 1
	v_mov_b32_dpp v61, v60 row_shr:4 row_mask:0xf bank_mask:0xf
	v_cndmask_b32_e64 v61, 0, v61, s[2:3]
	;; [unrolled: 4-line block ×3, first 2 shown]
	v_add_u32_e32 v60, v60, v61
	ds_write_b32 v54, v60
.LBB1387_53:
	s_or_b64 exec, exec, s[22:23]
	v_cmp_lt_u32_e32 vcc, 63, v2
	v_mov_b32_e32 v60, 0
	s_waitcnt lgkmcnt(0)
	s_barrier
	s_and_saveexec_b64 s[0:1], vcc
	s_cbranch_execz .LBB1387_55
; %bb.54:
	v_lshl_add_u32 v59, v59, 2, -4
	ds_read_b32 v60, v59
.LBB1387_55:
	s_or_b64 exec, exec, s[0:1]
	v_add_u32_e32 v59, -1, v13
	v_and_b32_e32 v61, 64, v13
	v_cmp_lt_i32_e32 vcc, v59, v61
	v_cndmask_b32_e32 v59, v59, v13, vcc
	s_waitcnt lgkmcnt(0)
	v_add_u32_e32 v58, v60, v58
	v_lshlrev_b32_e32 v59, 2, v59
	ds_bpermute_b32 v58, v59, v58
	v_cmp_eq_u32_e32 vcc, 0, v13
	s_movk_i32 s0, 0x100
	s_waitcnt lgkmcnt(0)
	v_cndmask_b32_e32 v13, v58, v60, vcc
	v_cmp_ne_u32_e32 vcc, 0, v2
	v_cndmask_b32_e32 v13, 0, v13, vcc
	v_add_u32_e32 v6, v13, v6
	v_add_u32_e32 v7, v6, v7
	;; [unrolled: 1-line block ×4, first 2 shown]
	ds_write2_b32 v20, v13, v6 offset0:16 offset1:17
	ds_write2_b32 v56, v7, v4 offset0:2 offset1:3
	ds_write_b32 v56, v5 offset:16
	s_waitcnt lgkmcnt(0)
	s_barrier
	ds_read_b32 v60, v23 offset:64
	ds_read_b32 v59, v24 offset:64
	;; [unrolled: 1-line block ×12, first 2 shown]
	v_cmp_gt_u32_e32 vcc, s0, v2
                                        ; implicit-def: $vgpr13
                                        ; implicit-def: $vgpr20
	s_and_saveexec_b64 s[2:3], vcc
	s_cbranch_execz .LBB1387_59
; %bb.56:
	v_mul_u32_u24_e32 v13, 17, v2
	v_lshlrev_b32_e32 v34, 2, v13
	ds_read_b32 v13, v34 offset:64
	s_movk_i32 s0, 0xff
	v_cmp_ne_u32_e64 s[0:1], s0, v2
	v_mov_b32_e32 v20, 0x3000
	s_and_saveexec_b64 s[8:9], s[0:1]
	s_cbranch_execz .LBB1387_58
; %bb.57:
	ds_read_b32 v20, v34 offset:132
.LBB1387_58:
	s_or_b64 exec, exec, s[8:9]
	s_waitcnt lgkmcnt(0)
	v_sub_u32_e32 v20, v20, v13
.LBB1387_59:
	s_or_b64 exec, exec, s[2:3]
	v_add_u32_e32 v22, v25, v22
	s_waitcnt lgkmcnt(11)
	v_add_lshl_u32 v21, v60, v21, 1
	v_add_u32_e32 v26, v28, v26
	s_waitcnt lgkmcnt(0)
	s_barrier
	ds_write_b16 v21, v8 offset:1024
	v_add_lshl_u32 v8, v22, v59, 1
	v_add_u32_e32 v29, v32, v29
	ds_write_b16 v8, v3 offset:1024
	v_add_lshl_u32 v3, v26, v58, 1
	v_add_u32_e32 v33, v35, v33
	;; [unrolled: 3-line block ×9, first 2 shown]
	ds_write_b16 v3, v16 offset:1024
	v_add_lshl_u32 v3, v34, v5, 1
	ds_write_b16 v3, v19 offset:1024
	v_add_lshl_u32 v3, v30, v4, 1
	ds_write_b16 v3, v18 offset:1024
	s_and_saveexec_b64 s[2:3], vcc
	s_cbranch_execz .LBB1387_69
; %bb.60:
	v_lshl_or_b32 v4, s6, 8, v2
	v_mov_b32_e32 v5, 0
	v_lshlrev_b64 v[6:7], 2, v[4:5]
	v_mov_b32_e32 v3, s25
	v_add_co_u32_e64 v6, s[0:1], s24, v6
	v_addc_co_u32_e64 v7, s[0:1], v3, v7, s[0:1]
	v_or_b32_e32 v4, 2.0, v20
	s_mov_b64 s[8:9], 0
	s_brev_b32 s29, 1
	s_mov_b32 s30, s6
	v_mov_b32_e32 v10, 0
	global_store_dword v[6:7], v4, off
                                        ; implicit-def: $sgpr0_sgpr1
	s_branch .LBB1387_62
.LBB1387_61:                            ;   in Loop: Header=BB1387_62 Depth=1
	s_or_b64 exec, exec, s[10:11]
	v_and_b32_e32 v8, 0x3fffffff, v11
	v_add_u32_e32 v10, v8, v10
	v_cmp_eq_u32_e64 s[0:1], s29, v4
	s_and_b64 s[10:11], exec, s[0:1]
	s_or_b64 s[8:9], s[10:11], s[8:9]
	s_andn2_b64 exec, exec, s[8:9]
	s_cbranch_execz .LBB1387_68
.LBB1387_62:                            ; =>This Loop Header: Depth=1
                                        ;     Child Loop BB1387_65 Depth 2
	s_or_b64 s[0:1], s[0:1], exec
	s_cmp_eq_u32 s30, 0
	s_cbranch_scc1 .LBB1387_67
; %bb.63:                               ;   in Loop: Header=BB1387_62 Depth=1
	s_add_i32 s30, s30, -1
	v_lshl_or_b32 v4, s30, 8, v2
	v_lshlrev_b64 v[8:9], 2, v[4:5]
	v_add_co_u32_e64 v8, s[0:1], s24, v8
	v_addc_co_u32_e64 v9, s[0:1], v3, v9, s[0:1]
	global_load_dword v11, v[8:9], off glc
	s_waitcnt vmcnt(0)
	v_and_b32_e32 v4, -2.0, v11
	v_cmp_eq_u32_e64 s[0:1], 0, v4
	s_and_saveexec_b64 s[10:11], s[0:1]
	s_cbranch_execz .LBB1387_61
; %bb.64:                               ;   in Loop: Header=BB1387_62 Depth=1
	s_mov_b64 s[22:23], 0
.LBB1387_65:                            ;   Parent Loop BB1387_62 Depth=1
                                        ; =>  This Inner Loop Header: Depth=2
	global_load_dword v11, v[8:9], off glc
	s_waitcnt vmcnt(0)
	v_and_b32_e32 v4, -2.0, v11
	v_cmp_ne_u32_e64 s[0:1], 0, v4
	s_or_b64 s[22:23], s[0:1], s[22:23]
	s_andn2_b64 exec, exec, s[22:23]
	s_cbranch_execnz .LBB1387_65
; %bb.66:                               ;   in Loop: Header=BB1387_62 Depth=1
	s_or_b64 exec, exec, s[22:23]
	s_branch .LBB1387_61
.LBB1387_67:                            ;   in Loop: Header=BB1387_62 Depth=1
                                        ; implicit-def: $sgpr30
	s_and_b64 s[10:11], exec, s[0:1]
	s_or_b64 s[8:9], s[10:11], s[8:9]
	s_andn2_b64 exec, exec, s[8:9]
	s_cbranch_execnz .LBB1387_62
.LBB1387_68:
	s_or_b64 exec, exec, s[8:9]
	v_add_u32_e32 v3, v10, v20
	v_or_b32_e32 v3, 0x80000000, v3
	global_store_dword v[6:7], v3, off
	global_load_dword v3, v54, s[12:13]
	v_sub_u32_e32 v4, v10, v13
	s_waitcnt vmcnt(0)
	v_add_u32_e32 v3, v4, v3
	ds_write_b32 v54, v3
.LBB1387_69:
	s_or_b64 exec, exec, s[2:3]
	v_cmp_gt_u32_e64 s[0:1], s7, v2
	v_lshlrev_b32_e32 v3, 1, v2
	s_waitcnt lgkmcnt(0)
	s_barrier
	s_and_saveexec_b64 s[2:3], s[0:1]
	s_cbranch_execz .LBB1387_71
; %bb.70:
	ds_read_u16 v6, v3 offset:1024
	v_mov_b32_e32 v5, 0
	v_mov_b32_e32 v7, s19
	s_waitcnt lgkmcnt(0)
	v_lshrrev_b32_sdwa v4, s20, v6 dst_sel:DWORD dst_unused:UNUSED_PAD src0_sel:DWORD src1_sel:WORD_0
	v_and_b32_e32 v4, s28, v4
	v_lshlrev_b32_e32 v4, 2, v4
	ds_read_b32 v4, v4
	s_waitcnt lgkmcnt(0)
	v_add_u32_e32 v4, v4, v2
	v_lshlrev_b64 v[4:5], 1, v[4:5]
	v_add_co_u32_e64 v4, s[0:1], s18, v4
	v_addc_co_u32_e64 v5, s[0:1], v7, v5, s[0:1]
	global_store_short v[4:5], v6, off
.LBB1387_71:
	s_or_b64 exec, exec, s[2:3]
	v_or_b32_e32 v4, 0x400, v2
	v_cmp_gt_u32_e64 s[0:1], s7, v4
	s_and_saveexec_b64 s[2:3], s[0:1]
	s_cbranch_execz .LBB1387_73
; %bb.72:
	ds_read_u16 v6, v3 offset:3072
	v_mov_b32_e32 v8, s19
	s_waitcnt lgkmcnt(0)
	v_lshrrev_b32_sdwa v5, s20, v6 dst_sel:DWORD dst_unused:UNUSED_PAD src0_sel:DWORD src1_sel:WORD_0
	v_and_b32_e32 v5, s28, v5
	v_lshlrev_b32_e32 v5, 2, v5
	ds_read_b32 v7, v5
	v_mov_b32_e32 v5, 0
	s_waitcnt lgkmcnt(0)
	v_add_u32_e32 v4, v7, v4
	v_lshlrev_b64 v[4:5], 1, v[4:5]
	v_add_co_u32_e64 v4, s[0:1], s18, v4
	v_addc_co_u32_e64 v5, s[0:1], v8, v5, s[0:1]
	global_store_short v[4:5], v6, off
.LBB1387_73:
	s_or_b64 exec, exec, s[2:3]
	v_or_b32_e32 v4, 0x800, v2
	v_cmp_gt_u32_e64 s[0:1], s7, v4
	s_and_saveexec_b64 s[2:3], s[0:1]
	s_cbranch_execz .LBB1387_75
; %bb.74:
	ds_read_u16 v6, v3 offset:5120
	v_mov_b32_e32 v8, s19
	s_waitcnt lgkmcnt(0)
	v_lshrrev_b32_sdwa v5, s20, v6 dst_sel:DWORD dst_unused:UNUSED_PAD src0_sel:DWORD src1_sel:WORD_0
	v_and_b32_e32 v5, s28, v5
	v_lshlrev_b32_e32 v5, 2, v5
	ds_read_b32 v7, v5
	v_mov_b32_e32 v5, 0
	s_waitcnt lgkmcnt(0)
	v_add_u32_e32 v4, v7, v4
	v_lshlrev_b64 v[4:5], 1, v[4:5]
	v_add_co_u32_e64 v4, s[0:1], s18, v4
	v_addc_co_u32_e64 v5, s[0:1], v8, v5, s[0:1]
	global_store_short v[4:5], v6, off
.LBB1387_75:
	;; [unrolled: 21-line block ×11, first 2 shown]
	s_or_b64 exec, exec, s[2:3]
	s_add_i32 s27, s27, -1
	s_cmp_eq_u32 s27, s6
	s_cselect_b64 s[0:1], -1, 0
	s_and_b64 s[2:3], vcc, s[0:1]
	s_mov_b64 s[0:1], 0
	s_mov_b64 s[10:11], 0
                                        ; implicit-def: $vgpr4
	s_and_saveexec_b64 s[8:9], s[2:3]
	s_xor_b64 s[2:3], exec, s[8:9]
; %bb.94:
	s_mov_b64 s[10:11], exec
	v_add_u32_e32 v4, v13, v20
	v_mov_b32_e32 v3, 0
; %bb.95:
	s_or_b64 exec, exec, s[2:3]
	s_and_b64 vcc, exec, s[0:1]
	s_cbranch_vccnz .LBB1387_97
	s_branch .LBB1387_146
.LBB1387_96:
	s_mov_b64 s[10:11], 0
                                        ; implicit-def: $vgpr4
                                        ; implicit-def: $vgpr2_vgpr3
	s_cbranch_execz .LBB1387_146
.LBB1387_97:
	s_mov_b32 s27, 0
	v_mbcnt_hi_u32_b32 v17, -1, v1
	s_lshl_b64 s[0:1], s[26:27], 1
	v_and_b32_e32 v1, 63, v17
	s_add_u32 s0, s16, s0
	v_lshlrev_b32_e32 v1, 1, v1
	v_add_co_u32_e32 v1, vcc, s0, v1
	s_load_dword s7, s[4:5], 0x58
	s_load_dword s0, s[4:5], 0x64
	v_and_b32_e32 v2, 0x3ff, v0
	s_addc_u32 s1, s17, s1
	v_and_b32_e32 v3, 0x3c0, v2
	v_mul_u32_u24_e32 v3, 12, v3
	v_mov_b32_e32 v5, s1
	s_add_u32 s1, s4, 0x58
	v_addc_co_u32_e32 v5, vcc, 0, v5, vcc
	v_lshlrev_b32_e32 v3, 1, v3
	s_addc_u32 s2, s5, 0
	s_waitcnt lgkmcnt(0)
	s_lshr_b32 s3, s0, 16
	v_add_co_u32_e32 v20, vcc, v1, v3
	s_cmp_lt_u32 s6, s7
	v_addc_co_u32_e32 v21, vcc, 0, v5, vcc
	s_cselect_b32 s0, 12, 18
	global_load_ushort v3, v[20:21], off
	s_add_u32 s0, s1, s0
	v_mov_b32_e32 v4, 0
	s_addc_u32 s1, s2, 0
	global_load_ushort v1, v4, s[0:1]
	v_mul_u32_u24_e32 v6, 5, v2
	v_lshlrev_b32_e32 v18, 2, v6
	ds_write2_b32 v18, v4, v4 offset0:16 offset1:17
	ds_write2_b32 v18, v4, v4 offset0:18 offset1:19
	ds_write_b32 v18, v4 offset:80
	global_load_ushort v16, v[20:21], off offset:128
	global_load_ushort v15, v[20:21], off offset:256
	;; [unrolled: 1-line block ×11, first 2 shown]
	v_bfe_u32 v5, v0, 10, 10
	v_bfe_u32 v0, v0, 20, 10
	s_lshl_b32 s0, -1, s21
	v_mad_u32_u24 v0, v0, s3, v5
	s_not_b32 s21, s0
	s_waitcnt lgkmcnt(0)
	s_barrier
	s_waitcnt lgkmcnt(0)
	; wave barrier
	s_waitcnt vmcnt(12)
	v_lshrrev_b32_sdwa v5, s20, v3 dst_sel:DWORD dst_unused:UNUSED_PAD src0_sel:DWORD src1_sel:WORD_0
	v_and_b32_e32 v20, s21, v5
	v_and_b32_e32 v21, 1, v20
	v_lshlrev_b32_e32 v5, 30, v20
	s_waitcnt vmcnt(11)
	v_mad_u64_u32 v[0:1], s[0:1], v0, v1, v[2:3]
	v_add_co_u32_e32 v1, vcc, -1, v21
	v_addc_co_u32_e64 v22, s[0:1], 0, -1, vcc
	v_cmp_ne_u32_e32 vcc, 0, v21
	v_cmp_gt_i64_e64 s[0:1], 0, v[4:5]
	v_not_b32_e32 v21, v5
	v_lshlrev_b32_e32 v5, 29, v20
	v_lshrrev_b32_e32 v26, 6, v0
	v_xor_b32_e32 v0, vcc_hi, v22
	v_xor_b32_e32 v1, vcc_lo, v1
	v_ashrrev_i32_e32 v21, 31, v21
	v_cmp_gt_i64_e32 vcc, 0, v[4:5]
	v_not_b32_e32 v22, v5
	v_lshlrev_b32_e32 v5, 28, v20
	v_and_b32_e32 v0, exec_hi, v0
	v_and_b32_e32 v1, exec_lo, v1
	v_xor_b32_e32 v23, s1, v21
	v_xor_b32_e32 v21, s0, v21
	v_ashrrev_i32_e32 v22, 31, v22
	v_cmp_gt_i64_e64 s[0:1], 0, v[4:5]
	v_not_b32_e32 v5, v5
	v_and_b32_e32 v0, v0, v23
	v_and_b32_e32 v1, v1, v21
	v_xor_b32_e32 v21, vcc_hi, v22
	v_xor_b32_e32 v22, vcc_lo, v22
	v_ashrrev_i32_e32 v5, 31, v5
	v_and_b32_e32 v0, v0, v21
	v_and_b32_e32 v1, v1, v22
	v_xor_b32_e32 v21, s1, v5
	v_xor_b32_e32 v5, s0, v5
	v_and_b32_e32 v1, v1, v5
	v_lshlrev_b32_e32 v5, 27, v20
	v_cmp_gt_i64_e32 vcc, 0, v[4:5]
	v_not_b32_e32 v5, v5
	v_ashrrev_i32_e32 v5, 31, v5
	v_and_b32_e32 v0, v0, v21
	v_xor_b32_e32 v21, vcc_hi, v5
	v_xor_b32_e32 v5, vcc_lo, v5
	v_and_b32_e32 v1, v1, v5
	v_lshlrev_b32_e32 v5, 26, v20
	v_cmp_gt_i64_e32 vcc, 0, v[4:5]
	v_not_b32_e32 v5, v5
	v_ashrrev_i32_e32 v5, 31, v5
	v_and_b32_e32 v0, v0, v21
	v_xor_b32_e32 v21, vcc_hi, v5
	v_xor_b32_e32 v5, vcc_lo, v5
	v_and_b32_e32 v1, v1, v5
	v_lshlrev_b32_e32 v5, 25, v20
	v_cmp_gt_i64_e32 vcc, 0, v[4:5]
	v_not_b32_e32 v5, v5
	v_ashrrev_i32_e32 v5, 31, v5
	v_and_b32_e32 v0, v0, v21
	v_xor_b32_e32 v21, vcc_hi, v5
	v_xor_b32_e32 v5, vcc_lo, v5
	v_and_b32_e32 v0, v0, v21
	v_and_b32_e32 v21, v1, v5
	v_lshlrev_b32_e32 v5, 24, v20
	v_not_b32_e32 v1, v5
	v_cmp_gt_i64_e32 vcc, 0, v[4:5]
	v_ashrrev_i32_e32 v1, 31, v1
	v_mul_u32_u24_e32 v19, 17, v20
	v_xor_b32_e32 v5, vcc_hi, v1
	v_xor_b32_e32 v20, vcc_lo, v1
	v_and_b32_e32 v1, v0, v5
	v_and_b32_e32 v0, v21, v20
	v_mbcnt_lo_u32_b32 v5, v0, 0
	v_mbcnt_hi_u32_b32 v20, v1, v5
	v_cmp_eq_u32_e32 vcc, 0, v20
	v_cmp_ne_u64_e64 s[0:1], 0, v[0:1]
	v_add_lshl_u32 v19, v26, v19, 2
	s_and_b64 s[2:3], s[0:1], vcc
	s_and_saveexec_b64 s[0:1], s[2:3]
	s_cbranch_execz .LBB1387_99
; %bb.98:
	v_bcnt_u32_b32 v0, v0, 0
	v_bcnt_u32_b32 v0, v1, v0
	ds_write_b32 v19, v0 offset:64
.LBB1387_99:
	s_or_b64 exec, exec, s[0:1]
	s_waitcnt vmcnt(10)
	v_lshrrev_b32_sdwa v0, s20, v16 dst_sel:DWORD dst_unused:UNUSED_PAD src0_sel:DWORD src1_sel:WORD_0
	v_and_b32_e32 v0, s21, v0
	v_mul_u32_u24_e32 v1, 17, v0
	v_add_lshl_u32 v22, v26, v1, 2
	v_and_b32_e32 v1, 1, v0
	v_add_co_u32_e32 v5, vcc, -1, v1
	v_addc_co_u32_e64 v23, s[0:1], 0, -1, vcc
	v_cmp_ne_u32_e32 vcc, 0, v1
	v_xor_b32_e32 v5, vcc_lo, v5
	v_xor_b32_e32 v1, vcc_hi, v23
	v_and_b32_e32 v23, exec_lo, v5
	v_lshlrev_b32_e32 v5, 30, v0
	v_cmp_gt_i64_e32 vcc, 0, v[4:5]
	v_not_b32_e32 v5, v5
	v_ashrrev_i32_e32 v5, 31, v5
	v_xor_b32_e32 v24, vcc_hi, v5
	v_xor_b32_e32 v5, vcc_lo, v5
	v_and_b32_e32 v23, v23, v5
	v_lshlrev_b32_e32 v5, 29, v0
	v_cmp_gt_i64_e32 vcc, 0, v[4:5]
	v_not_b32_e32 v5, v5
	v_and_b32_e32 v1, exec_hi, v1
	v_ashrrev_i32_e32 v5, 31, v5
	v_and_b32_e32 v1, v1, v24
	v_xor_b32_e32 v24, vcc_hi, v5
	v_xor_b32_e32 v5, vcc_lo, v5
	v_and_b32_e32 v23, v23, v5
	v_lshlrev_b32_e32 v5, 28, v0
	v_cmp_gt_i64_e32 vcc, 0, v[4:5]
	v_not_b32_e32 v5, v5
	v_ashrrev_i32_e32 v5, 31, v5
	v_and_b32_e32 v1, v1, v24
	v_xor_b32_e32 v24, vcc_hi, v5
	v_xor_b32_e32 v5, vcc_lo, v5
	v_and_b32_e32 v23, v23, v5
	v_lshlrev_b32_e32 v5, 27, v0
	v_cmp_gt_i64_e32 vcc, 0, v[4:5]
	v_not_b32_e32 v5, v5
	v_ashrrev_i32_e32 v5, 31, v5
	v_and_b32_e32 v1, v1, v24
	v_xor_b32_e32 v24, vcc_hi, v5
	v_xor_b32_e32 v5, vcc_lo, v5
	v_and_b32_e32 v23, v23, v5
	v_lshlrev_b32_e32 v5, 26, v0
	v_cmp_gt_i64_e32 vcc, 0, v[4:5]
	v_not_b32_e32 v5, v5
	v_ashrrev_i32_e32 v5, 31, v5
	v_and_b32_e32 v1, v1, v24
	v_xor_b32_e32 v24, vcc_hi, v5
	v_xor_b32_e32 v5, vcc_lo, v5
	v_and_b32_e32 v23, v23, v5
	v_lshlrev_b32_e32 v5, 25, v0
	v_cmp_gt_i64_e32 vcc, 0, v[4:5]
	v_not_b32_e32 v5, v5
	v_ashrrev_i32_e32 v5, 31, v5
	v_and_b32_e32 v1, v1, v24
	v_xor_b32_e32 v24, vcc_hi, v5
	v_xor_b32_e32 v5, vcc_lo, v5
	v_and_b32_e32 v23, v23, v5
	v_lshlrev_b32_e32 v5, 24, v0
	v_not_b32_e32 v0, v5
	v_cmp_gt_i64_e32 vcc, 0, v[4:5]
	v_ashrrev_i32_e32 v0, 31, v0
	v_xor_b32_e32 v4, vcc_hi, v0
	v_xor_b32_e32 v0, vcc_lo, v0
	; wave barrier
	ds_read_b32 v21, v22 offset:64
	v_and_b32_e32 v1, v1, v24
	v_and_b32_e32 v0, v23, v0
	;; [unrolled: 1-line block ×3, first 2 shown]
	v_mbcnt_lo_u32_b32 v4, v0, 0
	v_mbcnt_hi_u32_b32 v23, v1, v4
	v_cmp_eq_u32_e32 vcc, 0, v23
	v_cmp_ne_u64_e64 s[0:1], 0, v[0:1]
	s_and_b64 s[2:3], s[0:1], vcc
	; wave barrier
	s_and_saveexec_b64 s[0:1], s[2:3]
	s_cbranch_execz .LBB1387_101
; %bb.100:
	v_bcnt_u32_b32 v0, v0, 0
	v_bcnt_u32_b32 v0, v1, v0
	s_waitcnt lgkmcnt(0)
	v_add_u32_e32 v0, v21, v0
	ds_write_b32 v22, v0 offset:64
.LBB1387_101:
	s_or_b64 exec, exec, s[0:1]
	s_waitcnt vmcnt(9)
	v_lshrrev_b32_sdwa v0, s20, v15 dst_sel:DWORD dst_unused:UNUSED_PAD src0_sel:DWORD src1_sel:WORD_0
	v_and_b32_e32 v4, s21, v0
	v_and_b32_e32 v1, 1, v4
	v_add_co_u32_e32 v5, vcc, -1, v1
	v_addc_co_u32_e64 v27, s[0:1], 0, -1, vcc
	v_cmp_ne_u32_e32 vcc, 0, v1
	v_mul_u32_u24_e32 v0, 17, v4
	v_xor_b32_e32 v1, vcc_hi, v27
	v_add_lshl_u32 v25, v26, v0, 2
	v_mov_b32_e32 v0, 0
	v_and_b32_e32 v27, exec_hi, v1
	v_lshlrev_b32_e32 v1, 30, v4
	v_xor_b32_e32 v5, vcc_lo, v5
	v_cmp_gt_i64_e32 vcc, 0, v[0:1]
	v_not_b32_e32 v1, v1
	v_ashrrev_i32_e32 v1, 31, v1
	v_and_b32_e32 v5, exec_lo, v5
	v_xor_b32_e32 v28, vcc_hi, v1
	v_xor_b32_e32 v1, vcc_lo, v1
	v_and_b32_e32 v5, v5, v1
	v_lshlrev_b32_e32 v1, 29, v4
	v_cmp_gt_i64_e32 vcc, 0, v[0:1]
	v_not_b32_e32 v1, v1
	v_ashrrev_i32_e32 v1, 31, v1
	v_and_b32_e32 v27, v27, v28
	v_xor_b32_e32 v28, vcc_hi, v1
	v_xor_b32_e32 v1, vcc_lo, v1
	v_and_b32_e32 v5, v5, v1
	v_lshlrev_b32_e32 v1, 28, v4
	v_cmp_gt_i64_e32 vcc, 0, v[0:1]
	v_not_b32_e32 v1, v1
	v_ashrrev_i32_e32 v1, 31, v1
	v_and_b32_e32 v27, v27, v28
	;; [unrolled: 8-line block ×5, first 2 shown]
	v_xor_b32_e32 v28, vcc_hi, v1
	v_xor_b32_e32 v1, vcc_lo, v1
	v_and_b32_e32 v27, v27, v28
	v_and_b32_e32 v28, v5, v1
	v_lshlrev_b32_e32 v1, 24, v4
	v_cmp_gt_i64_e32 vcc, 0, v[0:1]
	v_not_b32_e32 v1, v1
	v_ashrrev_i32_e32 v1, 31, v1
	v_xor_b32_e32 v4, vcc_hi, v1
	v_xor_b32_e32 v1, vcc_lo, v1
	; wave barrier
	ds_read_b32 v24, v25 offset:64
	v_and_b32_e32 v5, v27, v4
	v_and_b32_e32 v4, v28, v1
	v_mbcnt_lo_u32_b32 v1, v4, 0
	v_mbcnt_hi_u32_b32 v27, v5, v1
	v_cmp_eq_u32_e32 vcc, 0, v27
	v_cmp_ne_u64_e64 s[0:1], 0, v[4:5]
	s_and_b64 s[2:3], s[0:1], vcc
	; wave barrier
	s_and_saveexec_b64 s[0:1], s[2:3]
	s_cbranch_execz .LBB1387_103
; %bb.102:
	v_bcnt_u32_b32 v1, v4, 0
	v_bcnt_u32_b32 v1, v5, v1
	s_waitcnt lgkmcnt(0)
	v_add_u32_e32 v1, v24, v1
	ds_write_b32 v25, v1 offset:64
.LBB1387_103:
	s_or_b64 exec, exec, s[0:1]
	s_waitcnt vmcnt(8)
	v_lshrrev_b32_sdwa v1, s20, v14 dst_sel:DWORD dst_unused:UNUSED_PAD src0_sel:DWORD src1_sel:WORD_0
	v_and_b32_e32 v4, s21, v1
	v_mul_u32_u24_e32 v1, 17, v4
	v_add_lshl_u32 v29, v26, v1, 2
	v_and_b32_e32 v1, 1, v4
	v_add_co_u32_e32 v5, vcc, -1, v1
	v_addc_co_u32_e64 v30, s[0:1], 0, -1, vcc
	v_cmp_ne_u32_e32 vcc, 0, v1
	v_xor_b32_e32 v1, vcc_hi, v30
	v_and_b32_e32 v30, exec_hi, v1
	v_lshlrev_b32_e32 v1, 30, v4
	v_xor_b32_e32 v5, vcc_lo, v5
	v_cmp_gt_i64_e32 vcc, 0, v[0:1]
	v_not_b32_e32 v1, v1
	v_ashrrev_i32_e32 v1, 31, v1
	v_and_b32_e32 v5, exec_lo, v5
	v_xor_b32_e32 v31, vcc_hi, v1
	v_xor_b32_e32 v1, vcc_lo, v1
	v_and_b32_e32 v5, v5, v1
	v_lshlrev_b32_e32 v1, 29, v4
	v_cmp_gt_i64_e32 vcc, 0, v[0:1]
	v_not_b32_e32 v1, v1
	v_ashrrev_i32_e32 v1, 31, v1
	v_and_b32_e32 v30, v30, v31
	v_xor_b32_e32 v31, vcc_hi, v1
	v_xor_b32_e32 v1, vcc_lo, v1
	v_and_b32_e32 v5, v5, v1
	v_lshlrev_b32_e32 v1, 28, v4
	v_cmp_gt_i64_e32 vcc, 0, v[0:1]
	v_not_b32_e32 v1, v1
	v_ashrrev_i32_e32 v1, 31, v1
	v_and_b32_e32 v30, v30, v31
	;; [unrolled: 8-line block ×5, first 2 shown]
	v_xor_b32_e32 v31, vcc_hi, v1
	v_xor_b32_e32 v1, vcc_lo, v1
	v_and_b32_e32 v5, v5, v1
	v_lshlrev_b32_e32 v1, 24, v4
	v_cmp_gt_i64_e32 vcc, 0, v[0:1]
	v_not_b32_e32 v0, v1
	v_ashrrev_i32_e32 v0, 31, v0
	v_xor_b32_e32 v1, vcc_hi, v0
	v_xor_b32_e32 v0, vcc_lo, v0
	; wave barrier
	ds_read_b32 v28, v29 offset:64
	v_and_b32_e32 v30, v30, v31
	v_and_b32_e32 v0, v5, v0
	;; [unrolled: 1-line block ×3, first 2 shown]
	v_mbcnt_lo_u32_b32 v4, v0, 0
	v_mbcnt_hi_u32_b32 v30, v1, v4
	v_cmp_eq_u32_e32 vcc, 0, v30
	v_cmp_ne_u64_e64 s[0:1], 0, v[0:1]
	s_and_b64 s[2:3], s[0:1], vcc
	; wave barrier
	s_and_saveexec_b64 s[0:1], s[2:3]
	s_cbranch_execz .LBB1387_105
; %bb.104:
	v_bcnt_u32_b32 v0, v0, 0
	v_bcnt_u32_b32 v0, v1, v0
	s_waitcnt lgkmcnt(0)
	v_add_u32_e32 v0, v28, v0
	ds_write_b32 v29, v0 offset:64
.LBB1387_105:
	s_or_b64 exec, exec, s[0:1]
	s_waitcnt vmcnt(7)
	v_lshrrev_b32_sdwa v0, s20, v13 dst_sel:DWORD dst_unused:UNUSED_PAD src0_sel:DWORD src1_sel:WORD_0
	v_and_b32_e32 v4, s21, v0
	v_and_b32_e32 v1, 1, v4
	v_add_co_u32_e32 v5, vcc, -1, v1
	v_addc_co_u32_e64 v33, s[0:1], 0, -1, vcc
	v_cmp_ne_u32_e32 vcc, 0, v1
	v_mul_u32_u24_e32 v0, 17, v4
	v_xor_b32_e32 v1, vcc_hi, v33
	v_add_lshl_u32 v32, v26, v0, 2
	v_mov_b32_e32 v0, 0
	v_and_b32_e32 v33, exec_hi, v1
	v_lshlrev_b32_e32 v1, 30, v4
	v_xor_b32_e32 v5, vcc_lo, v5
	v_cmp_gt_i64_e32 vcc, 0, v[0:1]
	v_not_b32_e32 v1, v1
	v_ashrrev_i32_e32 v1, 31, v1
	v_and_b32_e32 v5, exec_lo, v5
	v_xor_b32_e32 v34, vcc_hi, v1
	v_xor_b32_e32 v1, vcc_lo, v1
	v_and_b32_e32 v5, v5, v1
	v_lshlrev_b32_e32 v1, 29, v4
	v_cmp_gt_i64_e32 vcc, 0, v[0:1]
	v_not_b32_e32 v1, v1
	v_ashrrev_i32_e32 v1, 31, v1
	v_and_b32_e32 v33, v33, v34
	v_xor_b32_e32 v34, vcc_hi, v1
	v_xor_b32_e32 v1, vcc_lo, v1
	v_and_b32_e32 v5, v5, v1
	v_lshlrev_b32_e32 v1, 28, v4
	v_cmp_gt_i64_e32 vcc, 0, v[0:1]
	v_not_b32_e32 v1, v1
	v_ashrrev_i32_e32 v1, 31, v1
	v_and_b32_e32 v33, v33, v34
	;; [unrolled: 8-line block ×5, first 2 shown]
	v_xor_b32_e32 v34, vcc_hi, v1
	v_xor_b32_e32 v1, vcc_lo, v1
	v_and_b32_e32 v33, v33, v34
	v_and_b32_e32 v34, v5, v1
	v_lshlrev_b32_e32 v1, 24, v4
	v_cmp_gt_i64_e32 vcc, 0, v[0:1]
	v_not_b32_e32 v1, v1
	v_ashrrev_i32_e32 v1, 31, v1
	v_xor_b32_e32 v4, vcc_hi, v1
	v_xor_b32_e32 v1, vcc_lo, v1
	; wave barrier
	ds_read_b32 v31, v32 offset:64
	v_and_b32_e32 v5, v33, v4
	v_and_b32_e32 v4, v34, v1
	v_mbcnt_lo_u32_b32 v1, v4, 0
	v_mbcnt_hi_u32_b32 v33, v5, v1
	v_cmp_eq_u32_e32 vcc, 0, v33
	v_cmp_ne_u64_e64 s[0:1], 0, v[4:5]
	s_and_b64 s[2:3], s[0:1], vcc
	; wave barrier
	s_and_saveexec_b64 s[0:1], s[2:3]
	s_cbranch_execz .LBB1387_107
; %bb.106:
	v_bcnt_u32_b32 v1, v4, 0
	v_bcnt_u32_b32 v1, v5, v1
	s_waitcnt lgkmcnt(0)
	v_add_u32_e32 v1, v31, v1
	ds_write_b32 v32, v1 offset:64
.LBB1387_107:
	s_or_b64 exec, exec, s[0:1]
	s_waitcnt vmcnt(6)
	v_lshrrev_b32_sdwa v1, s20, v12 dst_sel:DWORD dst_unused:UNUSED_PAD src0_sel:DWORD src1_sel:WORD_0
	v_and_b32_e32 v4, s21, v1
	v_mul_u32_u24_e32 v1, 17, v4
	v_add_lshl_u32 v35, v26, v1, 2
	v_and_b32_e32 v1, 1, v4
	v_add_co_u32_e32 v5, vcc, -1, v1
	v_addc_co_u32_e64 v36, s[0:1], 0, -1, vcc
	v_cmp_ne_u32_e32 vcc, 0, v1
	v_xor_b32_e32 v1, vcc_hi, v36
	v_and_b32_e32 v36, exec_hi, v1
	v_lshlrev_b32_e32 v1, 30, v4
	v_xor_b32_e32 v5, vcc_lo, v5
	v_cmp_gt_i64_e32 vcc, 0, v[0:1]
	v_not_b32_e32 v1, v1
	v_ashrrev_i32_e32 v1, 31, v1
	v_and_b32_e32 v5, exec_lo, v5
	v_xor_b32_e32 v37, vcc_hi, v1
	v_xor_b32_e32 v1, vcc_lo, v1
	v_and_b32_e32 v5, v5, v1
	v_lshlrev_b32_e32 v1, 29, v4
	v_cmp_gt_i64_e32 vcc, 0, v[0:1]
	v_not_b32_e32 v1, v1
	v_ashrrev_i32_e32 v1, 31, v1
	v_and_b32_e32 v36, v36, v37
	v_xor_b32_e32 v37, vcc_hi, v1
	v_xor_b32_e32 v1, vcc_lo, v1
	v_and_b32_e32 v5, v5, v1
	v_lshlrev_b32_e32 v1, 28, v4
	v_cmp_gt_i64_e32 vcc, 0, v[0:1]
	v_not_b32_e32 v1, v1
	v_ashrrev_i32_e32 v1, 31, v1
	v_and_b32_e32 v36, v36, v37
	;; [unrolled: 8-line block ×5, first 2 shown]
	v_xor_b32_e32 v37, vcc_hi, v1
	v_xor_b32_e32 v1, vcc_lo, v1
	v_and_b32_e32 v5, v5, v1
	v_lshlrev_b32_e32 v1, 24, v4
	v_cmp_gt_i64_e32 vcc, 0, v[0:1]
	v_not_b32_e32 v0, v1
	v_ashrrev_i32_e32 v0, 31, v0
	v_xor_b32_e32 v1, vcc_hi, v0
	v_xor_b32_e32 v0, vcc_lo, v0
	; wave barrier
	ds_read_b32 v34, v35 offset:64
	v_and_b32_e32 v36, v36, v37
	v_and_b32_e32 v0, v5, v0
	;; [unrolled: 1-line block ×3, first 2 shown]
	v_mbcnt_lo_u32_b32 v4, v0, 0
	v_mbcnt_hi_u32_b32 v36, v1, v4
	v_cmp_eq_u32_e32 vcc, 0, v36
	v_cmp_ne_u64_e64 s[0:1], 0, v[0:1]
	s_and_b64 s[2:3], s[0:1], vcc
	; wave barrier
	s_and_saveexec_b64 s[0:1], s[2:3]
	s_cbranch_execz .LBB1387_109
; %bb.108:
	v_bcnt_u32_b32 v0, v0, 0
	v_bcnt_u32_b32 v0, v1, v0
	s_waitcnt lgkmcnt(0)
	v_add_u32_e32 v0, v34, v0
	ds_write_b32 v35, v0 offset:64
.LBB1387_109:
	s_or_b64 exec, exec, s[0:1]
	s_waitcnt vmcnt(5)
	v_lshrrev_b32_sdwa v0, s20, v11 dst_sel:DWORD dst_unused:UNUSED_PAD src0_sel:DWORD src1_sel:WORD_0
	v_and_b32_e32 v4, s21, v0
	v_and_b32_e32 v1, 1, v4
	v_add_co_u32_e32 v5, vcc, -1, v1
	v_addc_co_u32_e64 v39, s[0:1], 0, -1, vcc
	v_cmp_ne_u32_e32 vcc, 0, v1
	v_mul_u32_u24_e32 v0, 17, v4
	v_xor_b32_e32 v1, vcc_hi, v39
	v_add_lshl_u32 v38, v26, v0, 2
	v_mov_b32_e32 v0, 0
	v_and_b32_e32 v39, exec_hi, v1
	v_lshlrev_b32_e32 v1, 30, v4
	v_xor_b32_e32 v5, vcc_lo, v5
	v_cmp_gt_i64_e32 vcc, 0, v[0:1]
	v_not_b32_e32 v1, v1
	v_ashrrev_i32_e32 v1, 31, v1
	v_and_b32_e32 v5, exec_lo, v5
	v_xor_b32_e32 v40, vcc_hi, v1
	v_xor_b32_e32 v1, vcc_lo, v1
	v_and_b32_e32 v5, v5, v1
	v_lshlrev_b32_e32 v1, 29, v4
	v_cmp_gt_i64_e32 vcc, 0, v[0:1]
	v_not_b32_e32 v1, v1
	v_ashrrev_i32_e32 v1, 31, v1
	v_and_b32_e32 v39, v39, v40
	v_xor_b32_e32 v40, vcc_hi, v1
	v_xor_b32_e32 v1, vcc_lo, v1
	v_and_b32_e32 v5, v5, v1
	v_lshlrev_b32_e32 v1, 28, v4
	v_cmp_gt_i64_e32 vcc, 0, v[0:1]
	v_not_b32_e32 v1, v1
	v_ashrrev_i32_e32 v1, 31, v1
	v_and_b32_e32 v39, v39, v40
	;; [unrolled: 8-line block ×5, first 2 shown]
	v_xor_b32_e32 v40, vcc_hi, v1
	v_xor_b32_e32 v1, vcc_lo, v1
	v_and_b32_e32 v39, v39, v40
	v_and_b32_e32 v40, v5, v1
	v_lshlrev_b32_e32 v1, 24, v4
	v_cmp_gt_i64_e32 vcc, 0, v[0:1]
	v_not_b32_e32 v1, v1
	v_ashrrev_i32_e32 v1, 31, v1
	v_xor_b32_e32 v4, vcc_hi, v1
	v_xor_b32_e32 v1, vcc_lo, v1
	; wave barrier
	ds_read_b32 v37, v38 offset:64
	v_and_b32_e32 v5, v39, v4
	v_and_b32_e32 v4, v40, v1
	v_mbcnt_lo_u32_b32 v1, v4, 0
	v_mbcnt_hi_u32_b32 v39, v5, v1
	v_cmp_eq_u32_e32 vcc, 0, v39
	v_cmp_ne_u64_e64 s[0:1], 0, v[4:5]
	s_and_b64 s[2:3], s[0:1], vcc
	; wave barrier
	s_and_saveexec_b64 s[0:1], s[2:3]
	s_cbranch_execz .LBB1387_111
; %bb.110:
	v_bcnt_u32_b32 v1, v4, 0
	v_bcnt_u32_b32 v1, v5, v1
	s_waitcnt lgkmcnt(0)
	v_add_u32_e32 v1, v37, v1
	ds_write_b32 v38, v1 offset:64
.LBB1387_111:
	s_or_b64 exec, exec, s[0:1]
	s_waitcnt vmcnt(4)
	v_lshrrev_b32_sdwa v1, s20, v10 dst_sel:DWORD dst_unused:UNUSED_PAD src0_sel:DWORD src1_sel:WORD_0
	v_and_b32_e32 v4, s21, v1
	v_mul_u32_u24_e32 v1, 17, v4
	v_add_lshl_u32 v41, v26, v1, 2
	v_and_b32_e32 v1, 1, v4
	v_add_co_u32_e32 v5, vcc, -1, v1
	v_addc_co_u32_e64 v42, s[0:1], 0, -1, vcc
	v_cmp_ne_u32_e32 vcc, 0, v1
	v_xor_b32_e32 v1, vcc_hi, v42
	v_and_b32_e32 v42, exec_hi, v1
	v_lshlrev_b32_e32 v1, 30, v4
	v_xor_b32_e32 v5, vcc_lo, v5
	v_cmp_gt_i64_e32 vcc, 0, v[0:1]
	v_not_b32_e32 v1, v1
	v_ashrrev_i32_e32 v1, 31, v1
	v_and_b32_e32 v5, exec_lo, v5
	v_xor_b32_e32 v43, vcc_hi, v1
	v_xor_b32_e32 v1, vcc_lo, v1
	v_and_b32_e32 v5, v5, v1
	v_lshlrev_b32_e32 v1, 29, v4
	v_cmp_gt_i64_e32 vcc, 0, v[0:1]
	v_not_b32_e32 v1, v1
	v_ashrrev_i32_e32 v1, 31, v1
	v_and_b32_e32 v42, v42, v43
	v_xor_b32_e32 v43, vcc_hi, v1
	v_xor_b32_e32 v1, vcc_lo, v1
	v_and_b32_e32 v5, v5, v1
	v_lshlrev_b32_e32 v1, 28, v4
	v_cmp_gt_i64_e32 vcc, 0, v[0:1]
	v_not_b32_e32 v1, v1
	v_ashrrev_i32_e32 v1, 31, v1
	v_and_b32_e32 v42, v42, v43
	;; [unrolled: 8-line block ×5, first 2 shown]
	v_xor_b32_e32 v43, vcc_hi, v1
	v_xor_b32_e32 v1, vcc_lo, v1
	v_and_b32_e32 v5, v5, v1
	v_lshlrev_b32_e32 v1, 24, v4
	v_cmp_gt_i64_e32 vcc, 0, v[0:1]
	v_not_b32_e32 v0, v1
	v_ashrrev_i32_e32 v0, 31, v0
	v_xor_b32_e32 v1, vcc_hi, v0
	v_xor_b32_e32 v0, vcc_lo, v0
	; wave barrier
	ds_read_b32 v40, v41 offset:64
	v_and_b32_e32 v42, v42, v43
	v_and_b32_e32 v0, v5, v0
	;; [unrolled: 1-line block ×3, first 2 shown]
	v_mbcnt_lo_u32_b32 v4, v0, 0
	v_mbcnt_hi_u32_b32 v42, v1, v4
	v_cmp_eq_u32_e32 vcc, 0, v42
	v_cmp_ne_u64_e64 s[0:1], 0, v[0:1]
	s_and_b64 s[2:3], s[0:1], vcc
	; wave barrier
	s_and_saveexec_b64 s[0:1], s[2:3]
	s_cbranch_execz .LBB1387_113
; %bb.112:
	v_bcnt_u32_b32 v0, v0, 0
	v_bcnt_u32_b32 v0, v1, v0
	s_waitcnt lgkmcnt(0)
	v_add_u32_e32 v0, v40, v0
	ds_write_b32 v41, v0 offset:64
.LBB1387_113:
	s_or_b64 exec, exec, s[0:1]
	s_waitcnt vmcnt(3)
	v_lshrrev_b32_sdwa v0, s20, v9 dst_sel:DWORD dst_unused:UNUSED_PAD src0_sel:DWORD src1_sel:WORD_0
	v_and_b32_e32 v4, s21, v0
	v_and_b32_e32 v1, 1, v4
	v_add_co_u32_e32 v5, vcc, -1, v1
	v_addc_co_u32_e64 v45, s[0:1], 0, -1, vcc
	v_cmp_ne_u32_e32 vcc, 0, v1
	v_mul_u32_u24_e32 v0, 17, v4
	v_xor_b32_e32 v1, vcc_hi, v45
	v_add_lshl_u32 v44, v26, v0, 2
	v_mov_b32_e32 v0, 0
	v_and_b32_e32 v45, exec_hi, v1
	v_lshlrev_b32_e32 v1, 30, v4
	v_xor_b32_e32 v5, vcc_lo, v5
	v_cmp_gt_i64_e32 vcc, 0, v[0:1]
	v_not_b32_e32 v1, v1
	v_ashrrev_i32_e32 v1, 31, v1
	v_and_b32_e32 v5, exec_lo, v5
	v_xor_b32_e32 v46, vcc_hi, v1
	v_xor_b32_e32 v1, vcc_lo, v1
	v_and_b32_e32 v5, v5, v1
	v_lshlrev_b32_e32 v1, 29, v4
	v_cmp_gt_i64_e32 vcc, 0, v[0:1]
	v_not_b32_e32 v1, v1
	v_ashrrev_i32_e32 v1, 31, v1
	v_and_b32_e32 v45, v45, v46
	v_xor_b32_e32 v46, vcc_hi, v1
	v_xor_b32_e32 v1, vcc_lo, v1
	v_and_b32_e32 v5, v5, v1
	v_lshlrev_b32_e32 v1, 28, v4
	v_cmp_gt_i64_e32 vcc, 0, v[0:1]
	v_not_b32_e32 v1, v1
	v_ashrrev_i32_e32 v1, 31, v1
	v_and_b32_e32 v45, v45, v46
	;; [unrolled: 8-line block ×5, first 2 shown]
	v_xor_b32_e32 v46, vcc_hi, v1
	v_xor_b32_e32 v1, vcc_lo, v1
	v_and_b32_e32 v45, v45, v46
	v_and_b32_e32 v46, v5, v1
	v_lshlrev_b32_e32 v1, 24, v4
	v_cmp_gt_i64_e32 vcc, 0, v[0:1]
	v_not_b32_e32 v1, v1
	v_ashrrev_i32_e32 v1, 31, v1
	v_xor_b32_e32 v4, vcc_hi, v1
	v_xor_b32_e32 v1, vcc_lo, v1
	; wave barrier
	ds_read_b32 v43, v44 offset:64
	v_and_b32_e32 v5, v45, v4
	v_and_b32_e32 v4, v46, v1
	v_mbcnt_lo_u32_b32 v1, v4, 0
	v_mbcnt_hi_u32_b32 v45, v5, v1
	v_cmp_eq_u32_e32 vcc, 0, v45
	v_cmp_ne_u64_e64 s[0:1], 0, v[4:5]
	s_and_b64 s[2:3], s[0:1], vcc
	; wave barrier
	s_and_saveexec_b64 s[0:1], s[2:3]
	s_cbranch_execz .LBB1387_115
; %bb.114:
	v_bcnt_u32_b32 v1, v4, 0
	v_bcnt_u32_b32 v1, v5, v1
	s_waitcnt lgkmcnt(0)
	v_add_u32_e32 v1, v43, v1
	ds_write_b32 v44, v1 offset:64
.LBB1387_115:
	s_or_b64 exec, exec, s[0:1]
	s_waitcnt vmcnt(2)
	v_lshrrev_b32_sdwa v1, s20, v8 dst_sel:DWORD dst_unused:UNUSED_PAD src0_sel:DWORD src1_sel:WORD_0
	v_and_b32_e32 v4, s21, v1
	v_mul_u32_u24_e32 v1, 17, v4
	v_add_lshl_u32 v47, v26, v1, 2
	v_and_b32_e32 v1, 1, v4
	v_add_co_u32_e32 v5, vcc, -1, v1
	v_addc_co_u32_e64 v48, s[0:1], 0, -1, vcc
	v_cmp_ne_u32_e32 vcc, 0, v1
	v_xor_b32_e32 v1, vcc_hi, v48
	v_and_b32_e32 v48, exec_hi, v1
	v_lshlrev_b32_e32 v1, 30, v4
	v_xor_b32_e32 v5, vcc_lo, v5
	v_cmp_gt_i64_e32 vcc, 0, v[0:1]
	v_not_b32_e32 v1, v1
	v_ashrrev_i32_e32 v1, 31, v1
	v_and_b32_e32 v5, exec_lo, v5
	v_xor_b32_e32 v49, vcc_hi, v1
	v_xor_b32_e32 v1, vcc_lo, v1
	v_and_b32_e32 v5, v5, v1
	v_lshlrev_b32_e32 v1, 29, v4
	v_cmp_gt_i64_e32 vcc, 0, v[0:1]
	v_not_b32_e32 v1, v1
	v_ashrrev_i32_e32 v1, 31, v1
	v_and_b32_e32 v48, v48, v49
	v_xor_b32_e32 v49, vcc_hi, v1
	v_xor_b32_e32 v1, vcc_lo, v1
	v_and_b32_e32 v5, v5, v1
	v_lshlrev_b32_e32 v1, 28, v4
	v_cmp_gt_i64_e32 vcc, 0, v[0:1]
	v_not_b32_e32 v1, v1
	v_ashrrev_i32_e32 v1, 31, v1
	v_and_b32_e32 v48, v48, v49
	;; [unrolled: 8-line block ×5, first 2 shown]
	v_xor_b32_e32 v49, vcc_hi, v1
	v_xor_b32_e32 v1, vcc_lo, v1
	v_and_b32_e32 v5, v5, v1
	v_lshlrev_b32_e32 v1, 24, v4
	v_cmp_gt_i64_e32 vcc, 0, v[0:1]
	v_not_b32_e32 v0, v1
	v_ashrrev_i32_e32 v0, 31, v0
	v_xor_b32_e32 v1, vcc_hi, v0
	v_xor_b32_e32 v0, vcc_lo, v0
	; wave barrier
	ds_read_b32 v46, v47 offset:64
	v_and_b32_e32 v48, v48, v49
	v_and_b32_e32 v0, v5, v0
	;; [unrolled: 1-line block ×3, first 2 shown]
	v_mbcnt_lo_u32_b32 v4, v0, 0
	v_mbcnt_hi_u32_b32 v48, v1, v4
	v_cmp_eq_u32_e32 vcc, 0, v48
	v_cmp_ne_u64_e64 s[0:1], 0, v[0:1]
	s_and_b64 s[2:3], s[0:1], vcc
	; wave barrier
	s_and_saveexec_b64 s[0:1], s[2:3]
	s_cbranch_execz .LBB1387_117
; %bb.116:
	v_bcnt_u32_b32 v0, v0, 0
	v_bcnt_u32_b32 v0, v1, v0
	s_waitcnt lgkmcnt(0)
	v_add_u32_e32 v0, v46, v0
	ds_write_b32 v47, v0 offset:64
.LBB1387_117:
	s_or_b64 exec, exec, s[0:1]
	s_waitcnt vmcnt(1)
	v_lshrrev_b32_sdwa v0, s20, v7 dst_sel:DWORD dst_unused:UNUSED_PAD src0_sel:DWORD src1_sel:WORD_0
	v_and_b32_e32 v4, s21, v0
	v_and_b32_e32 v1, 1, v4
	v_add_co_u32_e32 v5, vcc, -1, v1
	v_addc_co_u32_e64 v51, s[0:1], 0, -1, vcc
	v_cmp_ne_u32_e32 vcc, 0, v1
	v_mul_u32_u24_e32 v0, 17, v4
	v_xor_b32_e32 v1, vcc_hi, v51
	v_add_lshl_u32 v50, v26, v0, 2
	v_mov_b32_e32 v0, 0
	v_and_b32_e32 v51, exec_hi, v1
	v_lshlrev_b32_e32 v1, 30, v4
	v_xor_b32_e32 v5, vcc_lo, v5
	v_cmp_gt_i64_e32 vcc, 0, v[0:1]
	v_not_b32_e32 v1, v1
	v_ashrrev_i32_e32 v1, 31, v1
	v_and_b32_e32 v5, exec_lo, v5
	v_xor_b32_e32 v52, vcc_hi, v1
	v_xor_b32_e32 v1, vcc_lo, v1
	v_and_b32_e32 v5, v5, v1
	v_lshlrev_b32_e32 v1, 29, v4
	v_cmp_gt_i64_e32 vcc, 0, v[0:1]
	v_not_b32_e32 v1, v1
	v_ashrrev_i32_e32 v1, 31, v1
	v_and_b32_e32 v51, v51, v52
	v_xor_b32_e32 v52, vcc_hi, v1
	v_xor_b32_e32 v1, vcc_lo, v1
	v_and_b32_e32 v5, v5, v1
	v_lshlrev_b32_e32 v1, 28, v4
	v_cmp_gt_i64_e32 vcc, 0, v[0:1]
	v_not_b32_e32 v1, v1
	v_ashrrev_i32_e32 v1, 31, v1
	v_and_b32_e32 v51, v51, v52
	v_xor_b32_e32 v52, vcc_hi, v1
	v_xor_b32_e32 v1, vcc_lo, v1
	v_and_b32_e32 v5, v5, v1
	v_lshlrev_b32_e32 v1, 27, v4
	v_cmp_gt_i64_e32 vcc, 0, v[0:1]
	v_not_b32_e32 v1, v1
	v_ashrrev_i32_e32 v1, 31, v1
	v_and_b32_e32 v51, v51, v52
	v_xor_b32_e32 v52, vcc_hi, v1
	v_xor_b32_e32 v1, vcc_lo, v1
	v_and_b32_e32 v5, v5, v1
	v_lshlrev_b32_e32 v1, 26, v4
	v_cmp_gt_i64_e32 vcc, 0, v[0:1]
	v_not_b32_e32 v1, v1
	v_ashrrev_i32_e32 v1, 31, v1
	v_and_b32_e32 v51, v51, v52
	v_xor_b32_e32 v52, vcc_hi, v1
	v_xor_b32_e32 v1, vcc_lo, v1
	v_and_b32_e32 v5, v5, v1
	v_lshlrev_b32_e32 v1, 25, v4
	v_cmp_gt_i64_e32 vcc, 0, v[0:1]
	v_not_b32_e32 v1, v1
	v_ashrrev_i32_e32 v1, 31, v1
	v_and_b32_e32 v51, v51, v52
	v_xor_b32_e32 v52, vcc_hi, v1
	v_xor_b32_e32 v1, vcc_lo, v1
	v_and_b32_e32 v51, v51, v52
	v_and_b32_e32 v52, v5, v1
	v_lshlrev_b32_e32 v1, 24, v4
	v_cmp_gt_i64_e32 vcc, 0, v[0:1]
	v_not_b32_e32 v1, v1
	v_ashrrev_i32_e32 v1, 31, v1
	v_xor_b32_e32 v4, vcc_hi, v1
	v_xor_b32_e32 v1, vcc_lo, v1
	; wave barrier
	ds_read_b32 v49, v50 offset:64
	v_and_b32_e32 v5, v51, v4
	v_and_b32_e32 v4, v52, v1
	v_mbcnt_lo_u32_b32 v1, v4, 0
	v_mbcnt_hi_u32_b32 v51, v5, v1
	v_cmp_eq_u32_e32 vcc, 0, v51
	v_cmp_ne_u64_e64 s[0:1], 0, v[4:5]
	s_and_b64 s[2:3], s[0:1], vcc
	; wave barrier
	s_and_saveexec_b64 s[0:1], s[2:3]
	s_cbranch_execz .LBB1387_119
; %bb.118:
	v_bcnt_u32_b32 v1, v4, 0
	v_bcnt_u32_b32 v1, v5, v1
	s_waitcnt lgkmcnt(0)
	v_add_u32_e32 v1, v49, v1
	ds_write_b32 v50, v1 offset:64
.LBB1387_119:
	s_or_b64 exec, exec, s[0:1]
	s_waitcnt vmcnt(0)
	v_lshrrev_b32_sdwa v1, s20, v6 dst_sel:DWORD dst_unused:UNUSED_PAD src0_sel:DWORD src1_sel:WORD_0
	v_and_b32_e32 v4, s21, v1
	v_mul_u32_u24_e32 v1, 17, v4
	v_add_lshl_u32 v53, v26, v1, 2
	v_and_b32_e32 v1, 1, v4
	v_add_co_u32_e32 v5, vcc, -1, v1
	v_addc_co_u32_e64 v26, s[0:1], 0, -1, vcc
	v_cmp_ne_u32_e32 vcc, 0, v1
	v_xor_b32_e32 v1, vcc_hi, v26
	v_and_b32_e32 v26, exec_hi, v1
	v_lshlrev_b32_e32 v1, 30, v4
	v_xor_b32_e32 v5, vcc_lo, v5
	v_cmp_gt_i64_e32 vcc, 0, v[0:1]
	v_not_b32_e32 v1, v1
	v_ashrrev_i32_e32 v1, 31, v1
	v_and_b32_e32 v5, exec_lo, v5
	v_xor_b32_e32 v55, vcc_hi, v1
	v_xor_b32_e32 v1, vcc_lo, v1
	v_and_b32_e32 v5, v5, v1
	v_lshlrev_b32_e32 v1, 29, v4
	v_cmp_gt_i64_e32 vcc, 0, v[0:1]
	v_not_b32_e32 v1, v1
	v_ashrrev_i32_e32 v1, 31, v1
	v_and_b32_e32 v26, v26, v55
	v_xor_b32_e32 v55, vcc_hi, v1
	v_xor_b32_e32 v1, vcc_lo, v1
	v_and_b32_e32 v5, v5, v1
	v_lshlrev_b32_e32 v1, 28, v4
	v_cmp_gt_i64_e32 vcc, 0, v[0:1]
	v_not_b32_e32 v1, v1
	v_ashrrev_i32_e32 v1, 31, v1
	v_and_b32_e32 v26, v26, v55
	;; [unrolled: 8-line block ×5, first 2 shown]
	v_xor_b32_e32 v55, vcc_hi, v1
	v_xor_b32_e32 v1, vcc_lo, v1
	v_and_b32_e32 v5, v5, v1
	v_lshlrev_b32_e32 v1, 24, v4
	v_cmp_gt_i64_e32 vcc, 0, v[0:1]
	v_not_b32_e32 v0, v1
	v_ashrrev_i32_e32 v0, 31, v0
	v_xor_b32_e32 v1, vcc_hi, v0
	v_xor_b32_e32 v0, vcc_lo, v0
	; wave barrier
	ds_read_b32 v52, v53 offset:64
	v_and_b32_e32 v26, v26, v55
	v_and_b32_e32 v0, v5, v0
	;; [unrolled: 1-line block ×3, first 2 shown]
	v_mbcnt_lo_u32_b32 v4, v0, 0
	v_mbcnt_hi_u32_b32 v55, v1, v4
	v_cmp_eq_u32_e32 vcc, 0, v55
	v_cmp_ne_u64_e64 s[0:1], 0, v[0:1]
	v_add_u32_e32 v54, 64, v18
	s_and_b64 s[2:3], s[0:1], vcc
	; wave barrier
	s_and_saveexec_b64 s[0:1], s[2:3]
	s_cbranch_execz .LBB1387_121
; %bb.120:
	v_bcnt_u32_b32 v0, v0, 0
	v_bcnt_u32_b32 v0, v1, v0
	s_waitcnt lgkmcnt(0)
	v_add_u32_e32 v0, v52, v0
	ds_write_b32 v53, v0 offset:64
.LBB1387_121:
	s_or_b64 exec, exec, s[0:1]
	; wave barrier
	s_waitcnt lgkmcnt(0)
	s_barrier
	ds_read2_b32 v[4:5], v18 offset0:16 offset1:17
	ds_read2_b32 v[0:1], v54 offset0:2 offset1:3
	ds_read_b32 v26, v54 offset:16
	v_cmp_lt_u32_e64 s[8:9], 31, v17
	s_waitcnt lgkmcnt(1)
	v_add3_u32 v56, v5, v4, v0
	s_waitcnt lgkmcnt(0)
	v_add3_u32 v26, v56, v1, v26
	v_and_b32_e32 v56, 15, v17
	v_cmp_eq_u32_e32 vcc, 0, v56
	v_mov_b32_dpp v57, v26 row_shr:1 row_mask:0xf bank_mask:0xf
	v_cndmask_b32_e64 v57, v57, 0, vcc
	v_add_u32_e32 v26, v57, v26
	v_cmp_lt_u32_e64 s[0:1], 1, v56
	v_cmp_lt_u32_e64 s[2:3], 3, v56
	v_mov_b32_dpp v57, v26 row_shr:2 row_mask:0xf bank_mask:0xf
	v_cndmask_b32_e64 v57, 0, v57, s[0:1]
	v_add_u32_e32 v26, v26, v57
	v_cmp_lt_u32_e64 s[4:5], 7, v56
	s_nop 0
	v_mov_b32_dpp v57, v26 row_shr:4 row_mask:0xf bank_mask:0xf
	v_cndmask_b32_e64 v57, 0, v57, s[2:3]
	v_add_u32_e32 v26, v26, v57
	s_nop 1
	v_mov_b32_dpp v57, v26 row_shr:8 row_mask:0xf bank_mask:0xf
	v_cndmask_b32_e64 v56, 0, v57, s[4:5]
	v_add_u32_e32 v26, v26, v56
	v_bfe_i32 v57, v17, 4, 1
	s_nop 0
	v_mov_b32_dpp v56, v26 row_bcast:15 row_mask:0xf bank_mask:0xf
	v_and_b32_e32 v56, v57, v56
	v_add_u32_e32 v26, v26, v56
	v_lshrrev_b32_e32 v57, 6, v2
	s_nop 0
	v_mov_b32_dpp v56, v26 row_bcast:31 row_mask:0xf bank_mask:0xf
	v_cndmask_b32_e64 v56, 0, v56, s[8:9]
	v_add_u32_e32 v56, v26, v56
	v_and_b32_e32 v26, 63, v2
	v_cmp_eq_u32_e64 s[8:9], 63, v26
	s_and_saveexec_b64 s[16:17], s[8:9]
	s_cbranch_execz .LBB1387_123
; %bb.122:
	v_lshlrev_b32_e32 v26, 2, v57
	ds_write_b32 v26, v56
.LBB1387_123:
	s_or_b64 exec, exec, s[16:17]
	v_cmp_gt_u32_e64 s[8:9], 16, v2
	v_lshlrev_b32_e32 v26, 2, v2
	s_waitcnt lgkmcnt(0)
	s_barrier
	s_and_saveexec_b64 s[16:17], s[8:9]
	s_cbranch_execz .LBB1387_125
; %bb.124:
	ds_read_b32 v58, v26
	s_waitcnt lgkmcnt(0)
	s_nop 0
	v_mov_b32_dpp v59, v58 row_shr:1 row_mask:0xf bank_mask:0xf
	v_cndmask_b32_e64 v59, v59, 0, vcc
	v_add_u32_e32 v58, v59, v58
	s_nop 1
	v_mov_b32_dpp v59, v58 row_shr:2 row_mask:0xf bank_mask:0xf
	v_cndmask_b32_e64 v59, 0, v59, s[0:1]
	v_add_u32_e32 v58, v58, v59
	s_nop 1
	v_mov_b32_dpp v59, v58 row_shr:4 row_mask:0xf bank_mask:0xf
	v_cndmask_b32_e64 v59, 0, v59, s[2:3]
	;; [unrolled: 4-line block ×3, first 2 shown]
	v_add_u32_e32 v58, v58, v59
	ds_write_b32 v26, v58
.LBB1387_125:
	s_or_b64 exec, exec, s[16:17]
	v_cmp_lt_u32_e32 vcc, 63, v2
	v_mov_b32_e32 v58, 0
	s_waitcnt lgkmcnt(0)
	s_barrier
	s_and_saveexec_b64 s[0:1], vcc
	s_cbranch_execz .LBB1387_127
; %bb.126:
	v_lshl_add_u32 v57, v57, 2, -4
	ds_read_b32 v58, v57
.LBB1387_127:
	s_or_b64 exec, exec, s[0:1]
	v_add_u32_e32 v57, -1, v17
	v_and_b32_e32 v59, 64, v17
	v_cmp_lt_i32_e32 vcc, v57, v59
	v_cndmask_b32_e32 v57, v57, v17, vcc
	s_waitcnt lgkmcnt(0)
	v_add_u32_e32 v56, v58, v56
	v_lshlrev_b32_e32 v57, 2, v57
	ds_bpermute_b32 v56, v57, v56
	v_cmp_eq_u32_e32 vcc, 0, v17
	s_movk_i32 s2, 0xff
	s_movk_i32 s3, 0x100
	v_cmp_lt_u32_e64 s[0:1], s2, v2
	s_waitcnt lgkmcnt(0)
	v_cndmask_b32_e32 v17, v56, v58, vcc
	v_cmp_ne_u32_e32 vcc, 0, v2
	v_cndmask_b32_e32 v17, 0, v17, vcc
	v_add_u32_e32 v4, v17, v4
	v_add_u32_e32 v5, v4, v5
	;; [unrolled: 1-line block ×4, first 2 shown]
	ds_write2_b32 v18, v17, v4 offset0:16 offset1:17
	ds_write2_b32 v54, v5, v0 offset0:2 offset1:3
	ds_write_b32 v54, v1 offset:16
	s_waitcnt lgkmcnt(0)
	s_barrier
	ds_read_b32 v58, v19 offset:64
	ds_read_b32 v57, v22 offset:64
	;; [unrolled: 1-line block ×12, first 2 shown]
	v_cmp_gt_u32_e32 vcc, s3, v2
                                        ; implicit-def: $vgpr17
                                        ; implicit-def: $vgpr18
	s_and_saveexec_b64 s[4:5], vcc
	s_cbranch_execz .LBB1387_131
; %bb.128:
	v_mul_u32_u24_e32 v17, 17, v2
	v_lshlrev_b32_e32 v32, 2, v17
	ds_read_b32 v17, v32 offset:64
	v_cmp_ne_u32_e64 s[2:3], s2, v2
	v_mov_b32_e32 v18, 0x3000
	s_and_saveexec_b64 s[8:9], s[2:3]
	s_cbranch_execz .LBB1387_130
; %bb.129:
	ds_read_b32 v18, v32 offset:132
.LBB1387_130:
	s_or_b64 exec, exec, s[8:9]
	s_waitcnt lgkmcnt(0)
	v_sub_u32_e32 v18, v18, v17
.LBB1387_131:
	s_or_b64 exec, exec, s[4:5]
	v_add_u32_e32 v21, v23, v21
	s_waitcnt lgkmcnt(11)
	v_add_lshl_u32 v20, v58, v20, 1
	v_add_u32_e32 v24, v27, v24
	s_waitcnt lgkmcnt(0)
	s_barrier
	ds_write_b16 v20, v3 offset:1024
	v_add_lshl_u32 v3, v21, v57, 1
	v_add_u32_e32 v28, v30, v28
	ds_write_b16 v3, v16 offset:1024
	v_add_lshl_u32 v3, v24, v56, 1
	v_add_u32_e32 v31, v33, v31
	;; [unrolled: 3-line block ×7, first 2 shown]
	v_add_u32_e32 v35, v51, v49
	v_add_u32_e32 v38, v48, v46
	ds_write_b16 v3, v10 offset:1024
	v_add_lshl_u32 v3, v41, v5, 1
	ds_write_b16 v3, v9 offset:1024
	v_add_lshl_u32 v3, v38, v4, 1
	v_add_lshl_u32 v1, v35, v1, 1
	;; [unrolled: 1-line block ×3, first 2 shown]
	ds_write_b16 v3, v8 offset:1024
	ds_write_b16 v1, v7 offset:1024
	;; [unrolled: 1-line block ×3, first 2 shown]
	s_and_saveexec_b64 s[2:3], s[0:1]
	s_xor_b64 s[0:1], exec, s[2:3]
; %bb.132:
	v_mov_b32_e32 v3, 0
                                        ; implicit-def: $vgpr26
; %bb.133:
	s_andn2_saveexec_b64 s[2:3], s[0:1]
	s_cbranch_execz .LBB1387_143
; %bb.134:
	v_lshl_or_b32 v0, s6, 8, v2
	v_mov_b32_e32 v1, 0
	v_lshlrev_b64 v[4:5], 2, v[0:1]
	v_mov_b32_e32 v3, s25
	v_add_co_u32_e64 v4, s[0:1], s24, v4
	v_addc_co_u32_e64 v5, s[0:1], v3, v5, s[0:1]
	v_or_b32_e32 v0, 2.0, v18
	s_mov_b64 s[4:5], 0
	s_brev_b32 s22, 1
	s_mov_b32 s23, s6
	v_mov_b32_e32 v8, 0
	global_store_dword v[4:5], v0, off
                                        ; implicit-def: $sgpr0_sgpr1
	s_branch .LBB1387_137
.LBB1387_135:                           ;   in Loop: Header=BB1387_137 Depth=1
	s_or_b64 exec, exec, s[16:17]
.LBB1387_136:                           ;   in Loop: Header=BB1387_137 Depth=1
	s_or_b64 exec, exec, s[8:9]
	v_and_b32_e32 v6, 0x3fffffff, v9
	v_add_u32_e32 v8, v6, v8
	v_cmp_eq_u32_e64 s[0:1], s22, v0
	s_and_b64 s[8:9], exec, s[0:1]
	s_or_b64 s[4:5], s[8:9], s[4:5]
	s_andn2_b64 exec, exec, s[4:5]
	s_cbranch_execz .LBB1387_142
.LBB1387_137:                           ; =>This Loop Header: Depth=1
                                        ;     Child Loop BB1387_140 Depth 2
	s_or_b64 s[0:1], s[0:1], exec
	s_cmp_eq_u32 s23, 0
	s_cbranch_scc1 .LBB1387_141
; %bb.138:                              ;   in Loop: Header=BB1387_137 Depth=1
	s_add_i32 s23, s23, -1
	v_lshl_or_b32 v0, s23, 8, v2
	v_lshlrev_b64 v[6:7], 2, v[0:1]
	v_add_co_u32_e64 v6, s[0:1], s24, v6
	v_addc_co_u32_e64 v7, s[0:1], v3, v7, s[0:1]
	global_load_dword v9, v[6:7], off glc
	s_waitcnt vmcnt(0)
	v_and_b32_e32 v0, -2.0, v9
	v_cmp_eq_u32_e64 s[0:1], 0, v0
	s_and_saveexec_b64 s[8:9], s[0:1]
	s_cbranch_execz .LBB1387_136
; %bb.139:                              ;   in Loop: Header=BB1387_137 Depth=1
	s_mov_b64 s[16:17], 0
.LBB1387_140:                           ;   Parent Loop BB1387_137 Depth=1
                                        ; =>  This Inner Loop Header: Depth=2
	global_load_dword v9, v[6:7], off glc
	s_waitcnt vmcnt(0)
	v_and_b32_e32 v0, -2.0, v9
	v_cmp_ne_u32_e64 s[0:1], 0, v0
	s_or_b64 s[16:17], s[0:1], s[16:17]
	s_andn2_b64 exec, exec, s[16:17]
	s_cbranch_execnz .LBB1387_140
	s_branch .LBB1387_135
.LBB1387_141:                           ;   in Loop: Header=BB1387_137 Depth=1
                                        ; implicit-def: $sgpr23
	s_and_b64 s[8:9], exec, s[0:1]
	s_or_b64 s[4:5], s[8:9], s[4:5]
	s_andn2_b64 exec, exec, s[4:5]
	s_cbranch_execnz .LBB1387_137
.LBB1387_142:
	s_or_b64 exec, exec, s[4:5]
	v_add_u32_e32 v0, v8, v18
	v_or_b32_e32 v0, 0x80000000, v0
	global_store_dword v[4:5], v0, off
	global_load_dword v0, v26, s[12:13]
	v_sub_u32_e32 v1, v8, v17
	v_mov_b32_e32 v3, 0
	s_waitcnt vmcnt(0)
	v_add_u32_e32 v0, v1, v0
	ds_write_b32 v26, v0
.LBB1387_143:
	s_or_b64 exec, exec, s[2:3]
	v_lshlrev_b32_e32 v0, 1, v2
	s_waitcnt lgkmcnt(0)
	s_barrier
	v_lshlrev_b32_e32 v1, 1, v2
	ds_read_u16 v6, v0 offset:1024
	ds_read_u16 v7, v1 offset:3072
	;; [unrolled: 1-line block ×7, first 2 shown]
	s_waitcnt lgkmcnt(6)
	v_lshrrev_b32_sdwa v0, s20, v6 dst_sel:DWORD dst_unused:UNUSED_PAD src0_sel:DWORD src1_sel:WORD_0
	s_waitcnt lgkmcnt(4)
	v_lshrrev_b32_sdwa v5, s20, v8 dst_sel:DWORD dst_unused:UNUSED_PAD src0_sel:DWORD src1_sel:WORD_0
	v_and_b32_e32 v0, s21, v0
	v_lshrrev_b32_sdwa v4, s20, v7 dst_sel:DWORD dst_unused:UNUSED_PAD src0_sel:DWORD src1_sel:WORD_0
	v_and_b32_e32 v5, s21, v5
	v_lshlrev_b32_e32 v0, 2, v0
	v_and_b32_e32 v4, s21, v4
	v_lshlrev_b32_e32 v5, 2, v5
	v_lshlrev_b32_e32 v4, 2, v4
	ds_read_b32 v13, v5
	ds_read_b32 v0, v0
	ds_read_u16 v14, v1 offset:5120
	ds_read_u16 v15, v1 offset:9216
	;; [unrolled: 1-line block ×4, first 2 shown]
	ds_read_b32 v20, v4
	ds_read_u16 v21, v1 offset:21504
	s_waitcnt lgkmcnt(6)
	v_add_u32_e32 v0, v0, v2
	v_mov_b32_e32 v1, 0
	v_lshlrev_b64 v[4:5], 1, v[0:1]
	v_mov_b32_e32 v0, s19
	v_add_co_u32_e64 v4, s[0:1], s18, v4
	v_addc_co_u32_e64 v5, s[0:1], v0, v5, s[0:1]
	s_movk_i32 s0, 0x400
	s_waitcnt lgkmcnt(1)
	v_add3_u32 v0, v20, v2, s0
	global_store_short v[4:5], v6, off
	v_lshlrev_b64 v[4:5], 1, v[0:1]
	v_mov_b32_e32 v0, s19
	v_add_co_u32_e64 v4, s[0:1], s18, v4
	v_addc_co_u32_e64 v5, s[0:1], v0, v5, s[0:1]
	global_store_short v[4:5], v7, off
	v_lshrrev_b32_sdwa v0, s20, v14 dst_sel:DWORD dst_unused:UNUSED_PAD src0_sel:DWORD src1_sel:WORD_0
	v_lshrrev_b32_sdwa v6, s20, v16 dst_sel:DWORD dst_unused:UNUSED_PAD src0_sel:DWORD src1_sel:WORD_0
	;; [unrolled: 1-line block ×5, first 2 shown]
	s_waitcnt lgkmcnt(0)
	v_lshrrev_b32_sdwa v23, s20, v21 dst_sel:DWORD dst_unused:UNUSED_PAD src0_sel:DWORD src1_sel:WORD_0
	v_and_b32_e32 v0, s21, v0
	v_lshrrev_b32_sdwa v4, s20, v15 dst_sel:DWORD dst_unused:UNUSED_PAD src0_sel:DWORD src1_sel:WORD_0
	v_lshrrev_b32_sdwa v5, s20, v9 dst_sel:DWORD dst_unused:UNUSED_PAD src0_sel:DWORD src1_sel:WORD_0
	v_and_b32_e32 v6, s21, v6
	v_and_b32_e32 v7, s21, v7
	;; [unrolled: 1-line block ×5, first 2 shown]
	v_lshlrev_b32_e32 v0, 2, v0
	v_and_b32_e32 v4, s21, v4
	v_and_b32_e32 v5, s21, v5
	v_lshlrev_b32_e32 v6, 2, v6
	v_lshlrev_b32_e32 v7, 2, v7
	;; [unrolled: 1-line block ×5, first 2 shown]
	s_movk_i32 s0, 0x800
	v_lshlrev_b32_e32 v4, 2, v4
	v_lshlrev_b32_e32 v5, 2, v5
	ds_read_b32 v0, v0
	ds_read_b32 v24, v4
	;; [unrolled: 1-line block ×8, first 2 shown]
	s_waitcnt lgkmcnt(7)
	v_add3_u32 v0, v0, v2, s0
	v_lshlrev_b64 v[4:5], 1, v[0:1]
	v_mov_b32_e32 v0, s19
	v_add_co_u32_e64 v4, s[0:1], s18, v4
	v_addc_co_u32_e64 v5, s[0:1], v0, v5, s[0:1]
	s_movk_i32 s0, 0xc00
	v_add3_u32 v0, v13, v2, s0
	global_store_short v[4:5], v14, off
	v_lshlrev_b64 v[4:5], 1, v[0:1]
	v_mov_b32_e32 v0, s19
	v_add_co_u32_e64 v4, s[0:1], s18, v4
	v_addc_co_u32_e64 v5, s[0:1], v0, v5, s[0:1]
	s_movk_i32 s0, 0x1000
	s_waitcnt lgkmcnt(6)
	v_add3_u32 v0, v24, v2, s0
	global_store_short v[4:5], v8, off
	v_lshlrev_b64 v[4:5], 1, v[0:1]
	v_mov_b32_e32 v0, s19
	v_add_co_u32_e64 v4, s[0:1], s18, v4
	v_addc_co_u32_e64 v5, s[0:1], v0, v5, s[0:1]
	s_movk_i32 s0, 0x1400
	s_waitcnt lgkmcnt(5)
	;; [unrolled: 8-line block ×6, first 2 shown]
	v_add3_u32 v0, v22, v2, s0
	global_store_short v[4:5], v19, off
	v_lshlrev_b64 v[4:5], 1, v[0:1]
	v_mov_b32_e32 v0, s19
	v_add_co_u32_e64 v4, s[0:1], s18, v4
	v_lshrrev_b32_sdwa v6, s20, v12 dst_sel:DWORD dst_unused:UNUSED_PAD src0_sel:DWORD src1_sel:WORD_0
	v_addc_co_u32_e64 v5, s[0:1], v0, v5, s[0:1]
	v_and_b32_e32 v6, s21, v6
	s_movk_i32 s0, 0x2800
	v_lshlrev_b32_e32 v6, 2, v6
	s_waitcnt lgkmcnt(0)
	v_add3_u32 v0, v23, v2, s0
	ds_read_b32 v6, v6
	global_store_short v[4:5], v11, off
	v_lshlrev_b64 v[4:5], 1, v[0:1]
	v_mov_b32_e32 v0, s19
	v_add_co_u32_e64 v4, s[0:1], s18, v4
	v_addc_co_u32_e64 v5, s[0:1], v0, v5, s[0:1]
	s_movk_i32 s0, 0x2c00
	s_waitcnt lgkmcnt(0)
	v_add3_u32 v0, v6, v2, s0
	v_lshlrev_b64 v[0:1], 1, v[0:1]
	global_store_short v[4:5], v21, off
	v_mov_b32_e32 v4, s19
	v_add_co_u32_e64 v0, s[0:1], s18, v0
	s_add_i32 s7, s7, -1
	v_addc_co_u32_e64 v1, s[0:1], v4, v1, s[0:1]
	s_cmp_eq_u32 s7, s6
	s_cselect_b64 s[0:1], -1, 0
	s_and_b64 s[2:3], vcc, s[0:1]
	global_store_short v[0:1], v12, off
                                        ; implicit-def: $vgpr4
	s_and_saveexec_b64 s[0:1], s[2:3]
; %bb.144:
	v_add_u32_e32 v4, v17, v18
	s_or_b64 s[10:11], s[10:11], exec
; %bb.145:
	s_or_b64 exec, exec, s[0:1]
.LBB1387_146:
	s_and_saveexec_b64 s[0:1], s[10:11]
	s_cbranch_execnz .LBB1387_148
; %bb.147:
	s_endpgm
.LBB1387_148:
	v_lshlrev_b32_e32 v5, 2, v2
	v_lshlrev_b64 v[0:1], 2, v[2:3]
	ds_read_b32 v3, v5
	v_mov_b32_e32 v2, s15
	v_add_co_u32_e32 v0, vcc, s14, v0
	v_addc_co_u32_e32 v1, vcc, v2, v1, vcc
	s_waitcnt lgkmcnt(0)
	v_add_u32_e32 v2, v3, v4
	global_store_dword v[0:1], v2, off
	s_endpgm
	.section	.rodata,"a",@progbits
	.p2align	6, 0x0
	.amdhsa_kernel _ZN7rocprim17ROCPRIM_400000_NS6detail17trampoline_kernelINS0_14default_configENS1_35radix_sort_onesweep_config_selectorItNS0_10empty_typeEEEZZNS1_29radix_sort_onesweep_iterationIS3_Lb0EN6thrust23THRUST_200600_302600_NS6detail15normal_iteratorINS9_10device_ptrItEEEESE_PS5_SF_jNS0_19identity_decomposerENS1_16block_id_wrapperIjLb0EEEEE10hipError_tT1_PNSt15iterator_traitsISK_E10value_typeET2_T3_PNSL_ISQ_E10value_typeET4_T5_PSV_SW_PNS1_23onesweep_lookback_stateEbbT6_jjT7_P12ihipStream_tbENKUlT_T0_SK_SP_E_clIPtSE_SF_SF_EEDaS13_S14_SK_SP_EUlS13_E_NS1_11comp_targetILNS1_3genE4ELNS1_11target_archE910ELNS1_3gpuE8ELNS1_3repE0EEENS1_47radix_sort_onesweep_sort_config_static_selectorELNS0_4arch9wavefront6targetE1EEEvSK_
		.amdhsa_group_segment_fixed_size 25608
		.amdhsa_private_segment_fixed_size 0
		.amdhsa_kernarg_size 344
		.amdhsa_user_sgpr_count 6
		.amdhsa_user_sgpr_private_segment_buffer 1
		.amdhsa_user_sgpr_dispatch_ptr 0
		.amdhsa_user_sgpr_queue_ptr 0
		.amdhsa_user_sgpr_kernarg_segment_ptr 1
		.amdhsa_user_sgpr_dispatch_id 0
		.amdhsa_user_sgpr_flat_scratch_init 0
		.amdhsa_user_sgpr_kernarg_preload_length 0
		.amdhsa_user_sgpr_kernarg_preload_offset 0
		.amdhsa_user_sgpr_private_segment_size 0
		.amdhsa_uses_dynamic_stack 0
		.amdhsa_system_sgpr_private_segment_wavefront_offset 0
		.amdhsa_system_sgpr_workgroup_id_x 1
		.amdhsa_system_sgpr_workgroup_id_y 0
		.amdhsa_system_sgpr_workgroup_id_z 0
		.amdhsa_system_sgpr_workgroup_info 0
		.amdhsa_system_vgpr_workitem_id 2
		.amdhsa_next_free_vgpr 62
		.amdhsa_next_free_sgpr 31
		.amdhsa_accum_offset 64
		.amdhsa_reserve_vcc 1
		.amdhsa_reserve_flat_scratch 0
		.amdhsa_float_round_mode_32 0
		.amdhsa_float_round_mode_16_64 0
		.amdhsa_float_denorm_mode_32 3
		.amdhsa_float_denorm_mode_16_64 3
		.amdhsa_dx10_clamp 1
		.amdhsa_ieee_mode 1
		.amdhsa_fp16_overflow 0
		.amdhsa_tg_split 0
		.amdhsa_exception_fp_ieee_invalid_op 0
		.amdhsa_exception_fp_denorm_src 0
		.amdhsa_exception_fp_ieee_div_zero 0
		.amdhsa_exception_fp_ieee_overflow 0
		.amdhsa_exception_fp_ieee_underflow 0
		.amdhsa_exception_fp_ieee_inexact 0
		.amdhsa_exception_int_div_zero 0
	.end_amdhsa_kernel
	.section	.text._ZN7rocprim17ROCPRIM_400000_NS6detail17trampoline_kernelINS0_14default_configENS1_35radix_sort_onesweep_config_selectorItNS0_10empty_typeEEEZZNS1_29radix_sort_onesweep_iterationIS3_Lb0EN6thrust23THRUST_200600_302600_NS6detail15normal_iteratorINS9_10device_ptrItEEEESE_PS5_SF_jNS0_19identity_decomposerENS1_16block_id_wrapperIjLb0EEEEE10hipError_tT1_PNSt15iterator_traitsISK_E10value_typeET2_T3_PNSL_ISQ_E10value_typeET4_T5_PSV_SW_PNS1_23onesweep_lookback_stateEbbT6_jjT7_P12ihipStream_tbENKUlT_T0_SK_SP_E_clIPtSE_SF_SF_EEDaS13_S14_SK_SP_EUlS13_E_NS1_11comp_targetILNS1_3genE4ELNS1_11target_archE910ELNS1_3gpuE8ELNS1_3repE0EEENS1_47radix_sort_onesweep_sort_config_static_selectorELNS0_4arch9wavefront6targetE1EEEvSK_,"axG",@progbits,_ZN7rocprim17ROCPRIM_400000_NS6detail17trampoline_kernelINS0_14default_configENS1_35radix_sort_onesweep_config_selectorItNS0_10empty_typeEEEZZNS1_29radix_sort_onesweep_iterationIS3_Lb0EN6thrust23THRUST_200600_302600_NS6detail15normal_iteratorINS9_10device_ptrItEEEESE_PS5_SF_jNS0_19identity_decomposerENS1_16block_id_wrapperIjLb0EEEEE10hipError_tT1_PNSt15iterator_traitsISK_E10value_typeET2_T3_PNSL_ISQ_E10value_typeET4_T5_PSV_SW_PNS1_23onesweep_lookback_stateEbbT6_jjT7_P12ihipStream_tbENKUlT_T0_SK_SP_E_clIPtSE_SF_SF_EEDaS13_S14_SK_SP_EUlS13_E_NS1_11comp_targetILNS1_3genE4ELNS1_11target_archE910ELNS1_3gpuE8ELNS1_3repE0EEENS1_47radix_sort_onesweep_sort_config_static_selectorELNS0_4arch9wavefront6targetE1EEEvSK_,comdat
.Lfunc_end1387:
	.size	_ZN7rocprim17ROCPRIM_400000_NS6detail17trampoline_kernelINS0_14default_configENS1_35radix_sort_onesweep_config_selectorItNS0_10empty_typeEEEZZNS1_29radix_sort_onesweep_iterationIS3_Lb0EN6thrust23THRUST_200600_302600_NS6detail15normal_iteratorINS9_10device_ptrItEEEESE_PS5_SF_jNS0_19identity_decomposerENS1_16block_id_wrapperIjLb0EEEEE10hipError_tT1_PNSt15iterator_traitsISK_E10value_typeET2_T3_PNSL_ISQ_E10value_typeET4_T5_PSV_SW_PNS1_23onesweep_lookback_stateEbbT6_jjT7_P12ihipStream_tbENKUlT_T0_SK_SP_E_clIPtSE_SF_SF_EEDaS13_S14_SK_SP_EUlS13_E_NS1_11comp_targetILNS1_3genE4ELNS1_11target_archE910ELNS1_3gpuE8ELNS1_3repE0EEENS1_47radix_sort_onesweep_sort_config_static_selectorELNS0_4arch9wavefront6targetE1EEEvSK_, .Lfunc_end1387-_ZN7rocprim17ROCPRIM_400000_NS6detail17trampoline_kernelINS0_14default_configENS1_35radix_sort_onesweep_config_selectorItNS0_10empty_typeEEEZZNS1_29radix_sort_onesweep_iterationIS3_Lb0EN6thrust23THRUST_200600_302600_NS6detail15normal_iteratorINS9_10device_ptrItEEEESE_PS5_SF_jNS0_19identity_decomposerENS1_16block_id_wrapperIjLb0EEEEE10hipError_tT1_PNSt15iterator_traitsISK_E10value_typeET2_T3_PNSL_ISQ_E10value_typeET4_T5_PSV_SW_PNS1_23onesweep_lookback_stateEbbT6_jjT7_P12ihipStream_tbENKUlT_T0_SK_SP_E_clIPtSE_SF_SF_EEDaS13_S14_SK_SP_EUlS13_E_NS1_11comp_targetILNS1_3genE4ELNS1_11target_archE910ELNS1_3gpuE8ELNS1_3repE0EEENS1_47radix_sort_onesweep_sort_config_static_selectorELNS0_4arch9wavefront6targetE1EEEvSK_
                                        ; -- End function
	.section	.AMDGPU.csdata,"",@progbits
; Kernel info:
; codeLenInByte = 15196
; NumSgprs: 35
; NumVgprs: 62
; NumAgprs: 0
; TotalNumVgprs: 62
; ScratchSize: 0
; MemoryBound: 0
; FloatMode: 240
; IeeeMode: 1
; LDSByteSize: 25608 bytes/workgroup (compile time only)
; SGPRBlocks: 4
; VGPRBlocks: 7
; NumSGPRsForWavesPerEU: 35
; NumVGPRsForWavesPerEU: 62
; AccumOffset: 64
; Occupancy: 8
; WaveLimiterHint : 1
; COMPUTE_PGM_RSRC2:SCRATCH_EN: 0
; COMPUTE_PGM_RSRC2:USER_SGPR: 6
; COMPUTE_PGM_RSRC2:TRAP_HANDLER: 0
; COMPUTE_PGM_RSRC2:TGID_X_EN: 1
; COMPUTE_PGM_RSRC2:TGID_Y_EN: 0
; COMPUTE_PGM_RSRC2:TGID_Z_EN: 0
; COMPUTE_PGM_RSRC2:TIDIG_COMP_CNT: 2
; COMPUTE_PGM_RSRC3_GFX90A:ACCUM_OFFSET: 15
; COMPUTE_PGM_RSRC3_GFX90A:TG_SPLIT: 0
	.section	.text._ZN7rocprim17ROCPRIM_400000_NS6detail17trampoline_kernelINS0_14default_configENS1_35radix_sort_onesweep_config_selectorItNS0_10empty_typeEEEZZNS1_29radix_sort_onesweep_iterationIS3_Lb0EN6thrust23THRUST_200600_302600_NS6detail15normal_iteratorINS9_10device_ptrItEEEESE_PS5_SF_jNS0_19identity_decomposerENS1_16block_id_wrapperIjLb0EEEEE10hipError_tT1_PNSt15iterator_traitsISK_E10value_typeET2_T3_PNSL_ISQ_E10value_typeET4_T5_PSV_SW_PNS1_23onesweep_lookback_stateEbbT6_jjT7_P12ihipStream_tbENKUlT_T0_SK_SP_E_clIPtSE_SF_SF_EEDaS13_S14_SK_SP_EUlS13_E_NS1_11comp_targetILNS1_3genE3ELNS1_11target_archE908ELNS1_3gpuE7ELNS1_3repE0EEENS1_47radix_sort_onesweep_sort_config_static_selectorELNS0_4arch9wavefront6targetE1EEEvSK_,"axG",@progbits,_ZN7rocprim17ROCPRIM_400000_NS6detail17trampoline_kernelINS0_14default_configENS1_35radix_sort_onesweep_config_selectorItNS0_10empty_typeEEEZZNS1_29radix_sort_onesweep_iterationIS3_Lb0EN6thrust23THRUST_200600_302600_NS6detail15normal_iteratorINS9_10device_ptrItEEEESE_PS5_SF_jNS0_19identity_decomposerENS1_16block_id_wrapperIjLb0EEEEE10hipError_tT1_PNSt15iterator_traitsISK_E10value_typeET2_T3_PNSL_ISQ_E10value_typeET4_T5_PSV_SW_PNS1_23onesweep_lookback_stateEbbT6_jjT7_P12ihipStream_tbENKUlT_T0_SK_SP_E_clIPtSE_SF_SF_EEDaS13_S14_SK_SP_EUlS13_E_NS1_11comp_targetILNS1_3genE3ELNS1_11target_archE908ELNS1_3gpuE7ELNS1_3repE0EEENS1_47radix_sort_onesweep_sort_config_static_selectorELNS0_4arch9wavefront6targetE1EEEvSK_,comdat
	.protected	_ZN7rocprim17ROCPRIM_400000_NS6detail17trampoline_kernelINS0_14default_configENS1_35radix_sort_onesweep_config_selectorItNS0_10empty_typeEEEZZNS1_29radix_sort_onesweep_iterationIS3_Lb0EN6thrust23THRUST_200600_302600_NS6detail15normal_iteratorINS9_10device_ptrItEEEESE_PS5_SF_jNS0_19identity_decomposerENS1_16block_id_wrapperIjLb0EEEEE10hipError_tT1_PNSt15iterator_traitsISK_E10value_typeET2_T3_PNSL_ISQ_E10value_typeET4_T5_PSV_SW_PNS1_23onesweep_lookback_stateEbbT6_jjT7_P12ihipStream_tbENKUlT_T0_SK_SP_E_clIPtSE_SF_SF_EEDaS13_S14_SK_SP_EUlS13_E_NS1_11comp_targetILNS1_3genE3ELNS1_11target_archE908ELNS1_3gpuE7ELNS1_3repE0EEENS1_47radix_sort_onesweep_sort_config_static_selectorELNS0_4arch9wavefront6targetE1EEEvSK_ ; -- Begin function _ZN7rocprim17ROCPRIM_400000_NS6detail17trampoline_kernelINS0_14default_configENS1_35radix_sort_onesweep_config_selectorItNS0_10empty_typeEEEZZNS1_29radix_sort_onesweep_iterationIS3_Lb0EN6thrust23THRUST_200600_302600_NS6detail15normal_iteratorINS9_10device_ptrItEEEESE_PS5_SF_jNS0_19identity_decomposerENS1_16block_id_wrapperIjLb0EEEEE10hipError_tT1_PNSt15iterator_traitsISK_E10value_typeET2_T3_PNSL_ISQ_E10value_typeET4_T5_PSV_SW_PNS1_23onesweep_lookback_stateEbbT6_jjT7_P12ihipStream_tbENKUlT_T0_SK_SP_E_clIPtSE_SF_SF_EEDaS13_S14_SK_SP_EUlS13_E_NS1_11comp_targetILNS1_3genE3ELNS1_11target_archE908ELNS1_3gpuE7ELNS1_3repE0EEENS1_47radix_sort_onesweep_sort_config_static_selectorELNS0_4arch9wavefront6targetE1EEEvSK_
	.globl	_ZN7rocprim17ROCPRIM_400000_NS6detail17trampoline_kernelINS0_14default_configENS1_35radix_sort_onesweep_config_selectorItNS0_10empty_typeEEEZZNS1_29radix_sort_onesweep_iterationIS3_Lb0EN6thrust23THRUST_200600_302600_NS6detail15normal_iteratorINS9_10device_ptrItEEEESE_PS5_SF_jNS0_19identity_decomposerENS1_16block_id_wrapperIjLb0EEEEE10hipError_tT1_PNSt15iterator_traitsISK_E10value_typeET2_T3_PNSL_ISQ_E10value_typeET4_T5_PSV_SW_PNS1_23onesweep_lookback_stateEbbT6_jjT7_P12ihipStream_tbENKUlT_T0_SK_SP_E_clIPtSE_SF_SF_EEDaS13_S14_SK_SP_EUlS13_E_NS1_11comp_targetILNS1_3genE3ELNS1_11target_archE908ELNS1_3gpuE7ELNS1_3repE0EEENS1_47radix_sort_onesweep_sort_config_static_selectorELNS0_4arch9wavefront6targetE1EEEvSK_
	.p2align	8
	.type	_ZN7rocprim17ROCPRIM_400000_NS6detail17trampoline_kernelINS0_14default_configENS1_35radix_sort_onesweep_config_selectorItNS0_10empty_typeEEEZZNS1_29radix_sort_onesweep_iterationIS3_Lb0EN6thrust23THRUST_200600_302600_NS6detail15normal_iteratorINS9_10device_ptrItEEEESE_PS5_SF_jNS0_19identity_decomposerENS1_16block_id_wrapperIjLb0EEEEE10hipError_tT1_PNSt15iterator_traitsISK_E10value_typeET2_T3_PNSL_ISQ_E10value_typeET4_T5_PSV_SW_PNS1_23onesweep_lookback_stateEbbT6_jjT7_P12ihipStream_tbENKUlT_T0_SK_SP_E_clIPtSE_SF_SF_EEDaS13_S14_SK_SP_EUlS13_E_NS1_11comp_targetILNS1_3genE3ELNS1_11target_archE908ELNS1_3gpuE7ELNS1_3repE0EEENS1_47radix_sort_onesweep_sort_config_static_selectorELNS0_4arch9wavefront6targetE1EEEvSK_,@function
_ZN7rocprim17ROCPRIM_400000_NS6detail17trampoline_kernelINS0_14default_configENS1_35radix_sort_onesweep_config_selectorItNS0_10empty_typeEEEZZNS1_29radix_sort_onesweep_iterationIS3_Lb0EN6thrust23THRUST_200600_302600_NS6detail15normal_iteratorINS9_10device_ptrItEEEESE_PS5_SF_jNS0_19identity_decomposerENS1_16block_id_wrapperIjLb0EEEEE10hipError_tT1_PNSt15iterator_traitsISK_E10value_typeET2_T3_PNSL_ISQ_E10value_typeET4_T5_PSV_SW_PNS1_23onesweep_lookback_stateEbbT6_jjT7_P12ihipStream_tbENKUlT_T0_SK_SP_E_clIPtSE_SF_SF_EEDaS13_S14_SK_SP_EUlS13_E_NS1_11comp_targetILNS1_3genE3ELNS1_11target_archE908ELNS1_3gpuE7ELNS1_3repE0EEENS1_47radix_sort_onesweep_sort_config_static_selectorELNS0_4arch9wavefront6targetE1EEEvSK_: ; @_ZN7rocprim17ROCPRIM_400000_NS6detail17trampoline_kernelINS0_14default_configENS1_35radix_sort_onesweep_config_selectorItNS0_10empty_typeEEEZZNS1_29radix_sort_onesweep_iterationIS3_Lb0EN6thrust23THRUST_200600_302600_NS6detail15normal_iteratorINS9_10device_ptrItEEEESE_PS5_SF_jNS0_19identity_decomposerENS1_16block_id_wrapperIjLb0EEEEE10hipError_tT1_PNSt15iterator_traitsISK_E10value_typeET2_T3_PNSL_ISQ_E10value_typeET4_T5_PSV_SW_PNS1_23onesweep_lookback_stateEbbT6_jjT7_P12ihipStream_tbENKUlT_T0_SK_SP_E_clIPtSE_SF_SF_EEDaS13_S14_SK_SP_EUlS13_E_NS1_11comp_targetILNS1_3genE3ELNS1_11target_archE908ELNS1_3gpuE7ELNS1_3repE0EEENS1_47radix_sort_onesweep_sort_config_static_selectorELNS0_4arch9wavefront6targetE1EEEvSK_
; %bb.0:
	.section	.rodata,"a",@progbits
	.p2align	6, 0x0
	.amdhsa_kernel _ZN7rocprim17ROCPRIM_400000_NS6detail17trampoline_kernelINS0_14default_configENS1_35radix_sort_onesweep_config_selectorItNS0_10empty_typeEEEZZNS1_29radix_sort_onesweep_iterationIS3_Lb0EN6thrust23THRUST_200600_302600_NS6detail15normal_iteratorINS9_10device_ptrItEEEESE_PS5_SF_jNS0_19identity_decomposerENS1_16block_id_wrapperIjLb0EEEEE10hipError_tT1_PNSt15iterator_traitsISK_E10value_typeET2_T3_PNSL_ISQ_E10value_typeET4_T5_PSV_SW_PNS1_23onesweep_lookback_stateEbbT6_jjT7_P12ihipStream_tbENKUlT_T0_SK_SP_E_clIPtSE_SF_SF_EEDaS13_S14_SK_SP_EUlS13_E_NS1_11comp_targetILNS1_3genE3ELNS1_11target_archE908ELNS1_3gpuE7ELNS1_3repE0EEENS1_47radix_sort_onesweep_sort_config_static_selectorELNS0_4arch9wavefront6targetE1EEEvSK_
		.amdhsa_group_segment_fixed_size 0
		.amdhsa_private_segment_fixed_size 0
		.amdhsa_kernarg_size 88
		.amdhsa_user_sgpr_count 6
		.amdhsa_user_sgpr_private_segment_buffer 1
		.amdhsa_user_sgpr_dispatch_ptr 0
		.amdhsa_user_sgpr_queue_ptr 0
		.amdhsa_user_sgpr_kernarg_segment_ptr 1
		.amdhsa_user_sgpr_dispatch_id 0
		.amdhsa_user_sgpr_flat_scratch_init 0
		.amdhsa_user_sgpr_kernarg_preload_length 0
		.amdhsa_user_sgpr_kernarg_preload_offset 0
		.amdhsa_user_sgpr_private_segment_size 0
		.amdhsa_uses_dynamic_stack 0
		.amdhsa_system_sgpr_private_segment_wavefront_offset 0
		.amdhsa_system_sgpr_workgroup_id_x 1
		.amdhsa_system_sgpr_workgroup_id_y 0
		.amdhsa_system_sgpr_workgroup_id_z 0
		.amdhsa_system_sgpr_workgroup_info 0
		.amdhsa_system_vgpr_workitem_id 0
		.amdhsa_next_free_vgpr 1
		.amdhsa_next_free_sgpr 0
		.amdhsa_accum_offset 4
		.amdhsa_reserve_vcc 0
		.amdhsa_reserve_flat_scratch 0
		.amdhsa_float_round_mode_32 0
		.amdhsa_float_round_mode_16_64 0
		.amdhsa_float_denorm_mode_32 3
		.amdhsa_float_denorm_mode_16_64 3
		.amdhsa_dx10_clamp 1
		.amdhsa_ieee_mode 1
		.amdhsa_fp16_overflow 0
		.amdhsa_tg_split 0
		.amdhsa_exception_fp_ieee_invalid_op 0
		.amdhsa_exception_fp_denorm_src 0
		.amdhsa_exception_fp_ieee_div_zero 0
		.amdhsa_exception_fp_ieee_overflow 0
		.amdhsa_exception_fp_ieee_underflow 0
		.amdhsa_exception_fp_ieee_inexact 0
		.amdhsa_exception_int_div_zero 0
	.end_amdhsa_kernel
	.section	.text._ZN7rocprim17ROCPRIM_400000_NS6detail17trampoline_kernelINS0_14default_configENS1_35radix_sort_onesweep_config_selectorItNS0_10empty_typeEEEZZNS1_29radix_sort_onesweep_iterationIS3_Lb0EN6thrust23THRUST_200600_302600_NS6detail15normal_iteratorINS9_10device_ptrItEEEESE_PS5_SF_jNS0_19identity_decomposerENS1_16block_id_wrapperIjLb0EEEEE10hipError_tT1_PNSt15iterator_traitsISK_E10value_typeET2_T3_PNSL_ISQ_E10value_typeET4_T5_PSV_SW_PNS1_23onesweep_lookback_stateEbbT6_jjT7_P12ihipStream_tbENKUlT_T0_SK_SP_E_clIPtSE_SF_SF_EEDaS13_S14_SK_SP_EUlS13_E_NS1_11comp_targetILNS1_3genE3ELNS1_11target_archE908ELNS1_3gpuE7ELNS1_3repE0EEENS1_47radix_sort_onesweep_sort_config_static_selectorELNS0_4arch9wavefront6targetE1EEEvSK_,"axG",@progbits,_ZN7rocprim17ROCPRIM_400000_NS6detail17trampoline_kernelINS0_14default_configENS1_35radix_sort_onesweep_config_selectorItNS0_10empty_typeEEEZZNS1_29radix_sort_onesweep_iterationIS3_Lb0EN6thrust23THRUST_200600_302600_NS6detail15normal_iteratorINS9_10device_ptrItEEEESE_PS5_SF_jNS0_19identity_decomposerENS1_16block_id_wrapperIjLb0EEEEE10hipError_tT1_PNSt15iterator_traitsISK_E10value_typeET2_T3_PNSL_ISQ_E10value_typeET4_T5_PSV_SW_PNS1_23onesweep_lookback_stateEbbT6_jjT7_P12ihipStream_tbENKUlT_T0_SK_SP_E_clIPtSE_SF_SF_EEDaS13_S14_SK_SP_EUlS13_E_NS1_11comp_targetILNS1_3genE3ELNS1_11target_archE908ELNS1_3gpuE7ELNS1_3repE0EEENS1_47radix_sort_onesweep_sort_config_static_selectorELNS0_4arch9wavefront6targetE1EEEvSK_,comdat
.Lfunc_end1388:
	.size	_ZN7rocprim17ROCPRIM_400000_NS6detail17trampoline_kernelINS0_14default_configENS1_35radix_sort_onesweep_config_selectorItNS0_10empty_typeEEEZZNS1_29radix_sort_onesweep_iterationIS3_Lb0EN6thrust23THRUST_200600_302600_NS6detail15normal_iteratorINS9_10device_ptrItEEEESE_PS5_SF_jNS0_19identity_decomposerENS1_16block_id_wrapperIjLb0EEEEE10hipError_tT1_PNSt15iterator_traitsISK_E10value_typeET2_T3_PNSL_ISQ_E10value_typeET4_T5_PSV_SW_PNS1_23onesweep_lookback_stateEbbT6_jjT7_P12ihipStream_tbENKUlT_T0_SK_SP_E_clIPtSE_SF_SF_EEDaS13_S14_SK_SP_EUlS13_E_NS1_11comp_targetILNS1_3genE3ELNS1_11target_archE908ELNS1_3gpuE7ELNS1_3repE0EEENS1_47radix_sort_onesweep_sort_config_static_selectorELNS0_4arch9wavefront6targetE1EEEvSK_, .Lfunc_end1388-_ZN7rocprim17ROCPRIM_400000_NS6detail17trampoline_kernelINS0_14default_configENS1_35radix_sort_onesweep_config_selectorItNS0_10empty_typeEEEZZNS1_29radix_sort_onesweep_iterationIS3_Lb0EN6thrust23THRUST_200600_302600_NS6detail15normal_iteratorINS9_10device_ptrItEEEESE_PS5_SF_jNS0_19identity_decomposerENS1_16block_id_wrapperIjLb0EEEEE10hipError_tT1_PNSt15iterator_traitsISK_E10value_typeET2_T3_PNSL_ISQ_E10value_typeET4_T5_PSV_SW_PNS1_23onesweep_lookback_stateEbbT6_jjT7_P12ihipStream_tbENKUlT_T0_SK_SP_E_clIPtSE_SF_SF_EEDaS13_S14_SK_SP_EUlS13_E_NS1_11comp_targetILNS1_3genE3ELNS1_11target_archE908ELNS1_3gpuE7ELNS1_3repE0EEENS1_47radix_sort_onesweep_sort_config_static_selectorELNS0_4arch9wavefront6targetE1EEEvSK_
                                        ; -- End function
	.section	.AMDGPU.csdata,"",@progbits
; Kernel info:
; codeLenInByte = 0
; NumSgprs: 4
; NumVgprs: 0
; NumAgprs: 0
; TotalNumVgprs: 0
; ScratchSize: 0
; MemoryBound: 0
; FloatMode: 240
; IeeeMode: 1
; LDSByteSize: 0 bytes/workgroup (compile time only)
; SGPRBlocks: 0
; VGPRBlocks: 0
; NumSGPRsForWavesPerEU: 4
; NumVGPRsForWavesPerEU: 1
; AccumOffset: 4
; Occupancy: 8
; WaveLimiterHint : 0
; COMPUTE_PGM_RSRC2:SCRATCH_EN: 0
; COMPUTE_PGM_RSRC2:USER_SGPR: 6
; COMPUTE_PGM_RSRC2:TRAP_HANDLER: 0
; COMPUTE_PGM_RSRC2:TGID_X_EN: 1
; COMPUTE_PGM_RSRC2:TGID_Y_EN: 0
; COMPUTE_PGM_RSRC2:TGID_Z_EN: 0
; COMPUTE_PGM_RSRC2:TIDIG_COMP_CNT: 0
; COMPUTE_PGM_RSRC3_GFX90A:ACCUM_OFFSET: 0
; COMPUTE_PGM_RSRC3_GFX90A:TG_SPLIT: 0
	.section	.text._ZN7rocprim17ROCPRIM_400000_NS6detail17trampoline_kernelINS0_14default_configENS1_35radix_sort_onesweep_config_selectorItNS0_10empty_typeEEEZZNS1_29radix_sort_onesweep_iterationIS3_Lb0EN6thrust23THRUST_200600_302600_NS6detail15normal_iteratorINS9_10device_ptrItEEEESE_PS5_SF_jNS0_19identity_decomposerENS1_16block_id_wrapperIjLb0EEEEE10hipError_tT1_PNSt15iterator_traitsISK_E10value_typeET2_T3_PNSL_ISQ_E10value_typeET4_T5_PSV_SW_PNS1_23onesweep_lookback_stateEbbT6_jjT7_P12ihipStream_tbENKUlT_T0_SK_SP_E_clIPtSE_SF_SF_EEDaS13_S14_SK_SP_EUlS13_E_NS1_11comp_targetILNS1_3genE10ELNS1_11target_archE1201ELNS1_3gpuE5ELNS1_3repE0EEENS1_47radix_sort_onesweep_sort_config_static_selectorELNS0_4arch9wavefront6targetE1EEEvSK_,"axG",@progbits,_ZN7rocprim17ROCPRIM_400000_NS6detail17trampoline_kernelINS0_14default_configENS1_35radix_sort_onesweep_config_selectorItNS0_10empty_typeEEEZZNS1_29radix_sort_onesweep_iterationIS3_Lb0EN6thrust23THRUST_200600_302600_NS6detail15normal_iteratorINS9_10device_ptrItEEEESE_PS5_SF_jNS0_19identity_decomposerENS1_16block_id_wrapperIjLb0EEEEE10hipError_tT1_PNSt15iterator_traitsISK_E10value_typeET2_T3_PNSL_ISQ_E10value_typeET4_T5_PSV_SW_PNS1_23onesweep_lookback_stateEbbT6_jjT7_P12ihipStream_tbENKUlT_T0_SK_SP_E_clIPtSE_SF_SF_EEDaS13_S14_SK_SP_EUlS13_E_NS1_11comp_targetILNS1_3genE10ELNS1_11target_archE1201ELNS1_3gpuE5ELNS1_3repE0EEENS1_47radix_sort_onesweep_sort_config_static_selectorELNS0_4arch9wavefront6targetE1EEEvSK_,comdat
	.protected	_ZN7rocprim17ROCPRIM_400000_NS6detail17trampoline_kernelINS0_14default_configENS1_35radix_sort_onesweep_config_selectorItNS0_10empty_typeEEEZZNS1_29radix_sort_onesweep_iterationIS3_Lb0EN6thrust23THRUST_200600_302600_NS6detail15normal_iteratorINS9_10device_ptrItEEEESE_PS5_SF_jNS0_19identity_decomposerENS1_16block_id_wrapperIjLb0EEEEE10hipError_tT1_PNSt15iterator_traitsISK_E10value_typeET2_T3_PNSL_ISQ_E10value_typeET4_T5_PSV_SW_PNS1_23onesweep_lookback_stateEbbT6_jjT7_P12ihipStream_tbENKUlT_T0_SK_SP_E_clIPtSE_SF_SF_EEDaS13_S14_SK_SP_EUlS13_E_NS1_11comp_targetILNS1_3genE10ELNS1_11target_archE1201ELNS1_3gpuE5ELNS1_3repE0EEENS1_47radix_sort_onesweep_sort_config_static_selectorELNS0_4arch9wavefront6targetE1EEEvSK_ ; -- Begin function _ZN7rocprim17ROCPRIM_400000_NS6detail17trampoline_kernelINS0_14default_configENS1_35radix_sort_onesweep_config_selectorItNS0_10empty_typeEEEZZNS1_29radix_sort_onesweep_iterationIS3_Lb0EN6thrust23THRUST_200600_302600_NS6detail15normal_iteratorINS9_10device_ptrItEEEESE_PS5_SF_jNS0_19identity_decomposerENS1_16block_id_wrapperIjLb0EEEEE10hipError_tT1_PNSt15iterator_traitsISK_E10value_typeET2_T3_PNSL_ISQ_E10value_typeET4_T5_PSV_SW_PNS1_23onesweep_lookback_stateEbbT6_jjT7_P12ihipStream_tbENKUlT_T0_SK_SP_E_clIPtSE_SF_SF_EEDaS13_S14_SK_SP_EUlS13_E_NS1_11comp_targetILNS1_3genE10ELNS1_11target_archE1201ELNS1_3gpuE5ELNS1_3repE0EEENS1_47radix_sort_onesweep_sort_config_static_selectorELNS0_4arch9wavefront6targetE1EEEvSK_
	.globl	_ZN7rocprim17ROCPRIM_400000_NS6detail17trampoline_kernelINS0_14default_configENS1_35radix_sort_onesweep_config_selectorItNS0_10empty_typeEEEZZNS1_29radix_sort_onesweep_iterationIS3_Lb0EN6thrust23THRUST_200600_302600_NS6detail15normal_iteratorINS9_10device_ptrItEEEESE_PS5_SF_jNS0_19identity_decomposerENS1_16block_id_wrapperIjLb0EEEEE10hipError_tT1_PNSt15iterator_traitsISK_E10value_typeET2_T3_PNSL_ISQ_E10value_typeET4_T5_PSV_SW_PNS1_23onesweep_lookback_stateEbbT6_jjT7_P12ihipStream_tbENKUlT_T0_SK_SP_E_clIPtSE_SF_SF_EEDaS13_S14_SK_SP_EUlS13_E_NS1_11comp_targetILNS1_3genE10ELNS1_11target_archE1201ELNS1_3gpuE5ELNS1_3repE0EEENS1_47radix_sort_onesweep_sort_config_static_selectorELNS0_4arch9wavefront6targetE1EEEvSK_
	.p2align	8
	.type	_ZN7rocprim17ROCPRIM_400000_NS6detail17trampoline_kernelINS0_14default_configENS1_35radix_sort_onesweep_config_selectorItNS0_10empty_typeEEEZZNS1_29radix_sort_onesweep_iterationIS3_Lb0EN6thrust23THRUST_200600_302600_NS6detail15normal_iteratorINS9_10device_ptrItEEEESE_PS5_SF_jNS0_19identity_decomposerENS1_16block_id_wrapperIjLb0EEEEE10hipError_tT1_PNSt15iterator_traitsISK_E10value_typeET2_T3_PNSL_ISQ_E10value_typeET4_T5_PSV_SW_PNS1_23onesweep_lookback_stateEbbT6_jjT7_P12ihipStream_tbENKUlT_T0_SK_SP_E_clIPtSE_SF_SF_EEDaS13_S14_SK_SP_EUlS13_E_NS1_11comp_targetILNS1_3genE10ELNS1_11target_archE1201ELNS1_3gpuE5ELNS1_3repE0EEENS1_47radix_sort_onesweep_sort_config_static_selectorELNS0_4arch9wavefront6targetE1EEEvSK_,@function
_ZN7rocprim17ROCPRIM_400000_NS6detail17trampoline_kernelINS0_14default_configENS1_35radix_sort_onesweep_config_selectorItNS0_10empty_typeEEEZZNS1_29radix_sort_onesweep_iterationIS3_Lb0EN6thrust23THRUST_200600_302600_NS6detail15normal_iteratorINS9_10device_ptrItEEEESE_PS5_SF_jNS0_19identity_decomposerENS1_16block_id_wrapperIjLb0EEEEE10hipError_tT1_PNSt15iterator_traitsISK_E10value_typeET2_T3_PNSL_ISQ_E10value_typeET4_T5_PSV_SW_PNS1_23onesweep_lookback_stateEbbT6_jjT7_P12ihipStream_tbENKUlT_T0_SK_SP_E_clIPtSE_SF_SF_EEDaS13_S14_SK_SP_EUlS13_E_NS1_11comp_targetILNS1_3genE10ELNS1_11target_archE1201ELNS1_3gpuE5ELNS1_3repE0EEENS1_47radix_sort_onesweep_sort_config_static_selectorELNS0_4arch9wavefront6targetE1EEEvSK_: ; @_ZN7rocprim17ROCPRIM_400000_NS6detail17trampoline_kernelINS0_14default_configENS1_35radix_sort_onesweep_config_selectorItNS0_10empty_typeEEEZZNS1_29radix_sort_onesweep_iterationIS3_Lb0EN6thrust23THRUST_200600_302600_NS6detail15normal_iteratorINS9_10device_ptrItEEEESE_PS5_SF_jNS0_19identity_decomposerENS1_16block_id_wrapperIjLb0EEEEE10hipError_tT1_PNSt15iterator_traitsISK_E10value_typeET2_T3_PNSL_ISQ_E10value_typeET4_T5_PSV_SW_PNS1_23onesweep_lookback_stateEbbT6_jjT7_P12ihipStream_tbENKUlT_T0_SK_SP_E_clIPtSE_SF_SF_EEDaS13_S14_SK_SP_EUlS13_E_NS1_11comp_targetILNS1_3genE10ELNS1_11target_archE1201ELNS1_3gpuE5ELNS1_3repE0EEENS1_47radix_sort_onesweep_sort_config_static_selectorELNS0_4arch9wavefront6targetE1EEEvSK_
; %bb.0:
	.section	.rodata,"a",@progbits
	.p2align	6, 0x0
	.amdhsa_kernel _ZN7rocprim17ROCPRIM_400000_NS6detail17trampoline_kernelINS0_14default_configENS1_35radix_sort_onesweep_config_selectorItNS0_10empty_typeEEEZZNS1_29radix_sort_onesweep_iterationIS3_Lb0EN6thrust23THRUST_200600_302600_NS6detail15normal_iteratorINS9_10device_ptrItEEEESE_PS5_SF_jNS0_19identity_decomposerENS1_16block_id_wrapperIjLb0EEEEE10hipError_tT1_PNSt15iterator_traitsISK_E10value_typeET2_T3_PNSL_ISQ_E10value_typeET4_T5_PSV_SW_PNS1_23onesweep_lookback_stateEbbT6_jjT7_P12ihipStream_tbENKUlT_T0_SK_SP_E_clIPtSE_SF_SF_EEDaS13_S14_SK_SP_EUlS13_E_NS1_11comp_targetILNS1_3genE10ELNS1_11target_archE1201ELNS1_3gpuE5ELNS1_3repE0EEENS1_47radix_sort_onesweep_sort_config_static_selectorELNS0_4arch9wavefront6targetE1EEEvSK_
		.amdhsa_group_segment_fixed_size 0
		.amdhsa_private_segment_fixed_size 0
		.amdhsa_kernarg_size 88
		.amdhsa_user_sgpr_count 6
		.amdhsa_user_sgpr_private_segment_buffer 1
		.amdhsa_user_sgpr_dispatch_ptr 0
		.amdhsa_user_sgpr_queue_ptr 0
		.amdhsa_user_sgpr_kernarg_segment_ptr 1
		.amdhsa_user_sgpr_dispatch_id 0
		.amdhsa_user_sgpr_flat_scratch_init 0
		.amdhsa_user_sgpr_kernarg_preload_length 0
		.amdhsa_user_sgpr_kernarg_preload_offset 0
		.amdhsa_user_sgpr_private_segment_size 0
		.amdhsa_uses_dynamic_stack 0
		.amdhsa_system_sgpr_private_segment_wavefront_offset 0
		.amdhsa_system_sgpr_workgroup_id_x 1
		.amdhsa_system_sgpr_workgroup_id_y 0
		.amdhsa_system_sgpr_workgroup_id_z 0
		.amdhsa_system_sgpr_workgroup_info 0
		.amdhsa_system_vgpr_workitem_id 0
		.amdhsa_next_free_vgpr 1
		.amdhsa_next_free_sgpr 0
		.amdhsa_accum_offset 4
		.amdhsa_reserve_vcc 0
		.amdhsa_reserve_flat_scratch 0
		.amdhsa_float_round_mode_32 0
		.amdhsa_float_round_mode_16_64 0
		.amdhsa_float_denorm_mode_32 3
		.amdhsa_float_denorm_mode_16_64 3
		.amdhsa_dx10_clamp 1
		.amdhsa_ieee_mode 1
		.amdhsa_fp16_overflow 0
		.amdhsa_tg_split 0
		.amdhsa_exception_fp_ieee_invalid_op 0
		.amdhsa_exception_fp_denorm_src 0
		.amdhsa_exception_fp_ieee_div_zero 0
		.amdhsa_exception_fp_ieee_overflow 0
		.amdhsa_exception_fp_ieee_underflow 0
		.amdhsa_exception_fp_ieee_inexact 0
		.amdhsa_exception_int_div_zero 0
	.end_amdhsa_kernel
	.section	.text._ZN7rocprim17ROCPRIM_400000_NS6detail17trampoline_kernelINS0_14default_configENS1_35radix_sort_onesweep_config_selectorItNS0_10empty_typeEEEZZNS1_29radix_sort_onesweep_iterationIS3_Lb0EN6thrust23THRUST_200600_302600_NS6detail15normal_iteratorINS9_10device_ptrItEEEESE_PS5_SF_jNS0_19identity_decomposerENS1_16block_id_wrapperIjLb0EEEEE10hipError_tT1_PNSt15iterator_traitsISK_E10value_typeET2_T3_PNSL_ISQ_E10value_typeET4_T5_PSV_SW_PNS1_23onesweep_lookback_stateEbbT6_jjT7_P12ihipStream_tbENKUlT_T0_SK_SP_E_clIPtSE_SF_SF_EEDaS13_S14_SK_SP_EUlS13_E_NS1_11comp_targetILNS1_3genE10ELNS1_11target_archE1201ELNS1_3gpuE5ELNS1_3repE0EEENS1_47radix_sort_onesweep_sort_config_static_selectorELNS0_4arch9wavefront6targetE1EEEvSK_,"axG",@progbits,_ZN7rocprim17ROCPRIM_400000_NS6detail17trampoline_kernelINS0_14default_configENS1_35radix_sort_onesweep_config_selectorItNS0_10empty_typeEEEZZNS1_29radix_sort_onesweep_iterationIS3_Lb0EN6thrust23THRUST_200600_302600_NS6detail15normal_iteratorINS9_10device_ptrItEEEESE_PS5_SF_jNS0_19identity_decomposerENS1_16block_id_wrapperIjLb0EEEEE10hipError_tT1_PNSt15iterator_traitsISK_E10value_typeET2_T3_PNSL_ISQ_E10value_typeET4_T5_PSV_SW_PNS1_23onesweep_lookback_stateEbbT6_jjT7_P12ihipStream_tbENKUlT_T0_SK_SP_E_clIPtSE_SF_SF_EEDaS13_S14_SK_SP_EUlS13_E_NS1_11comp_targetILNS1_3genE10ELNS1_11target_archE1201ELNS1_3gpuE5ELNS1_3repE0EEENS1_47radix_sort_onesweep_sort_config_static_selectorELNS0_4arch9wavefront6targetE1EEEvSK_,comdat
.Lfunc_end1389:
	.size	_ZN7rocprim17ROCPRIM_400000_NS6detail17trampoline_kernelINS0_14default_configENS1_35radix_sort_onesweep_config_selectorItNS0_10empty_typeEEEZZNS1_29radix_sort_onesweep_iterationIS3_Lb0EN6thrust23THRUST_200600_302600_NS6detail15normal_iteratorINS9_10device_ptrItEEEESE_PS5_SF_jNS0_19identity_decomposerENS1_16block_id_wrapperIjLb0EEEEE10hipError_tT1_PNSt15iterator_traitsISK_E10value_typeET2_T3_PNSL_ISQ_E10value_typeET4_T5_PSV_SW_PNS1_23onesweep_lookback_stateEbbT6_jjT7_P12ihipStream_tbENKUlT_T0_SK_SP_E_clIPtSE_SF_SF_EEDaS13_S14_SK_SP_EUlS13_E_NS1_11comp_targetILNS1_3genE10ELNS1_11target_archE1201ELNS1_3gpuE5ELNS1_3repE0EEENS1_47radix_sort_onesweep_sort_config_static_selectorELNS0_4arch9wavefront6targetE1EEEvSK_, .Lfunc_end1389-_ZN7rocprim17ROCPRIM_400000_NS6detail17trampoline_kernelINS0_14default_configENS1_35radix_sort_onesweep_config_selectorItNS0_10empty_typeEEEZZNS1_29radix_sort_onesweep_iterationIS3_Lb0EN6thrust23THRUST_200600_302600_NS6detail15normal_iteratorINS9_10device_ptrItEEEESE_PS5_SF_jNS0_19identity_decomposerENS1_16block_id_wrapperIjLb0EEEEE10hipError_tT1_PNSt15iterator_traitsISK_E10value_typeET2_T3_PNSL_ISQ_E10value_typeET4_T5_PSV_SW_PNS1_23onesweep_lookback_stateEbbT6_jjT7_P12ihipStream_tbENKUlT_T0_SK_SP_E_clIPtSE_SF_SF_EEDaS13_S14_SK_SP_EUlS13_E_NS1_11comp_targetILNS1_3genE10ELNS1_11target_archE1201ELNS1_3gpuE5ELNS1_3repE0EEENS1_47radix_sort_onesweep_sort_config_static_selectorELNS0_4arch9wavefront6targetE1EEEvSK_
                                        ; -- End function
	.section	.AMDGPU.csdata,"",@progbits
; Kernel info:
; codeLenInByte = 0
; NumSgprs: 4
; NumVgprs: 0
; NumAgprs: 0
; TotalNumVgprs: 0
; ScratchSize: 0
; MemoryBound: 0
; FloatMode: 240
; IeeeMode: 1
; LDSByteSize: 0 bytes/workgroup (compile time only)
; SGPRBlocks: 0
; VGPRBlocks: 0
; NumSGPRsForWavesPerEU: 4
; NumVGPRsForWavesPerEU: 1
; AccumOffset: 4
; Occupancy: 8
; WaveLimiterHint : 0
; COMPUTE_PGM_RSRC2:SCRATCH_EN: 0
; COMPUTE_PGM_RSRC2:USER_SGPR: 6
; COMPUTE_PGM_RSRC2:TRAP_HANDLER: 0
; COMPUTE_PGM_RSRC2:TGID_X_EN: 1
; COMPUTE_PGM_RSRC2:TGID_Y_EN: 0
; COMPUTE_PGM_RSRC2:TGID_Z_EN: 0
; COMPUTE_PGM_RSRC2:TIDIG_COMP_CNT: 0
; COMPUTE_PGM_RSRC3_GFX90A:ACCUM_OFFSET: 0
; COMPUTE_PGM_RSRC3_GFX90A:TG_SPLIT: 0
	.section	.text._ZN7rocprim17ROCPRIM_400000_NS6detail17trampoline_kernelINS0_14default_configENS1_35radix_sort_onesweep_config_selectorItNS0_10empty_typeEEEZZNS1_29radix_sort_onesweep_iterationIS3_Lb0EN6thrust23THRUST_200600_302600_NS6detail15normal_iteratorINS9_10device_ptrItEEEESE_PS5_SF_jNS0_19identity_decomposerENS1_16block_id_wrapperIjLb0EEEEE10hipError_tT1_PNSt15iterator_traitsISK_E10value_typeET2_T3_PNSL_ISQ_E10value_typeET4_T5_PSV_SW_PNS1_23onesweep_lookback_stateEbbT6_jjT7_P12ihipStream_tbENKUlT_T0_SK_SP_E_clIPtSE_SF_SF_EEDaS13_S14_SK_SP_EUlS13_E_NS1_11comp_targetILNS1_3genE9ELNS1_11target_archE1100ELNS1_3gpuE3ELNS1_3repE0EEENS1_47radix_sort_onesweep_sort_config_static_selectorELNS0_4arch9wavefront6targetE1EEEvSK_,"axG",@progbits,_ZN7rocprim17ROCPRIM_400000_NS6detail17trampoline_kernelINS0_14default_configENS1_35radix_sort_onesweep_config_selectorItNS0_10empty_typeEEEZZNS1_29radix_sort_onesweep_iterationIS3_Lb0EN6thrust23THRUST_200600_302600_NS6detail15normal_iteratorINS9_10device_ptrItEEEESE_PS5_SF_jNS0_19identity_decomposerENS1_16block_id_wrapperIjLb0EEEEE10hipError_tT1_PNSt15iterator_traitsISK_E10value_typeET2_T3_PNSL_ISQ_E10value_typeET4_T5_PSV_SW_PNS1_23onesweep_lookback_stateEbbT6_jjT7_P12ihipStream_tbENKUlT_T0_SK_SP_E_clIPtSE_SF_SF_EEDaS13_S14_SK_SP_EUlS13_E_NS1_11comp_targetILNS1_3genE9ELNS1_11target_archE1100ELNS1_3gpuE3ELNS1_3repE0EEENS1_47radix_sort_onesweep_sort_config_static_selectorELNS0_4arch9wavefront6targetE1EEEvSK_,comdat
	.protected	_ZN7rocprim17ROCPRIM_400000_NS6detail17trampoline_kernelINS0_14default_configENS1_35radix_sort_onesweep_config_selectorItNS0_10empty_typeEEEZZNS1_29radix_sort_onesweep_iterationIS3_Lb0EN6thrust23THRUST_200600_302600_NS6detail15normal_iteratorINS9_10device_ptrItEEEESE_PS5_SF_jNS0_19identity_decomposerENS1_16block_id_wrapperIjLb0EEEEE10hipError_tT1_PNSt15iterator_traitsISK_E10value_typeET2_T3_PNSL_ISQ_E10value_typeET4_T5_PSV_SW_PNS1_23onesweep_lookback_stateEbbT6_jjT7_P12ihipStream_tbENKUlT_T0_SK_SP_E_clIPtSE_SF_SF_EEDaS13_S14_SK_SP_EUlS13_E_NS1_11comp_targetILNS1_3genE9ELNS1_11target_archE1100ELNS1_3gpuE3ELNS1_3repE0EEENS1_47radix_sort_onesweep_sort_config_static_selectorELNS0_4arch9wavefront6targetE1EEEvSK_ ; -- Begin function _ZN7rocprim17ROCPRIM_400000_NS6detail17trampoline_kernelINS0_14default_configENS1_35radix_sort_onesweep_config_selectorItNS0_10empty_typeEEEZZNS1_29radix_sort_onesweep_iterationIS3_Lb0EN6thrust23THRUST_200600_302600_NS6detail15normal_iteratorINS9_10device_ptrItEEEESE_PS5_SF_jNS0_19identity_decomposerENS1_16block_id_wrapperIjLb0EEEEE10hipError_tT1_PNSt15iterator_traitsISK_E10value_typeET2_T3_PNSL_ISQ_E10value_typeET4_T5_PSV_SW_PNS1_23onesweep_lookback_stateEbbT6_jjT7_P12ihipStream_tbENKUlT_T0_SK_SP_E_clIPtSE_SF_SF_EEDaS13_S14_SK_SP_EUlS13_E_NS1_11comp_targetILNS1_3genE9ELNS1_11target_archE1100ELNS1_3gpuE3ELNS1_3repE0EEENS1_47radix_sort_onesweep_sort_config_static_selectorELNS0_4arch9wavefront6targetE1EEEvSK_
	.globl	_ZN7rocprim17ROCPRIM_400000_NS6detail17trampoline_kernelINS0_14default_configENS1_35radix_sort_onesweep_config_selectorItNS0_10empty_typeEEEZZNS1_29radix_sort_onesweep_iterationIS3_Lb0EN6thrust23THRUST_200600_302600_NS6detail15normal_iteratorINS9_10device_ptrItEEEESE_PS5_SF_jNS0_19identity_decomposerENS1_16block_id_wrapperIjLb0EEEEE10hipError_tT1_PNSt15iterator_traitsISK_E10value_typeET2_T3_PNSL_ISQ_E10value_typeET4_T5_PSV_SW_PNS1_23onesweep_lookback_stateEbbT6_jjT7_P12ihipStream_tbENKUlT_T0_SK_SP_E_clIPtSE_SF_SF_EEDaS13_S14_SK_SP_EUlS13_E_NS1_11comp_targetILNS1_3genE9ELNS1_11target_archE1100ELNS1_3gpuE3ELNS1_3repE0EEENS1_47radix_sort_onesweep_sort_config_static_selectorELNS0_4arch9wavefront6targetE1EEEvSK_
	.p2align	8
	.type	_ZN7rocprim17ROCPRIM_400000_NS6detail17trampoline_kernelINS0_14default_configENS1_35radix_sort_onesweep_config_selectorItNS0_10empty_typeEEEZZNS1_29radix_sort_onesweep_iterationIS3_Lb0EN6thrust23THRUST_200600_302600_NS6detail15normal_iteratorINS9_10device_ptrItEEEESE_PS5_SF_jNS0_19identity_decomposerENS1_16block_id_wrapperIjLb0EEEEE10hipError_tT1_PNSt15iterator_traitsISK_E10value_typeET2_T3_PNSL_ISQ_E10value_typeET4_T5_PSV_SW_PNS1_23onesweep_lookback_stateEbbT6_jjT7_P12ihipStream_tbENKUlT_T0_SK_SP_E_clIPtSE_SF_SF_EEDaS13_S14_SK_SP_EUlS13_E_NS1_11comp_targetILNS1_3genE9ELNS1_11target_archE1100ELNS1_3gpuE3ELNS1_3repE0EEENS1_47radix_sort_onesweep_sort_config_static_selectorELNS0_4arch9wavefront6targetE1EEEvSK_,@function
_ZN7rocprim17ROCPRIM_400000_NS6detail17trampoline_kernelINS0_14default_configENS1_35radix_sort_onesweep_config_selectorItNS0_10empty_typeEEEZZNS1_29radix_sort_onesweep_iterationIS3_Lb0EN6thrust23THRUST_200600_302600_NS6detail15normal_iteratorINS9_10device_ptrItEEEESE_PS5_SF_jNS0_19identity_decomposerENS1_16block_id_wrapperIjLb0EEEEE10hipError_tT1_PNSt15iterator_traitsISK_E10value_typeET2_T3_PNSL_ISQ_E10value_typeET4_T5_PSV_SW_PNS1_23onesweep_lookback_stateEbbT6_jjT7_P12ihipStream_tbENKUlT_T0_SK_SP_E_clIPtSE_SF_SF_EEDaS13_S14_SK_SP_EUlS13_E_NS1_11comp_targetILNS1_3genE9ELNS1_11target_archE1100ELNS1_3gpuE3ELNS1_3repE0EEENS1_47radix_sort_onesweep_sort_config_static_selectorELNS0_4arch9wavefront6targetE1EEEvSK_: ; @_ZN7rocprim17ROCPRIM_400000_NS6detail17trampoline_kernelINS0_14default_configENS1_35radix_sort_onesweep_config_selectorItNS0_10empty_typeEEEZZNS1_29radix_sort_onesweep_iterationIS3_Lb0EN6thrust23THRUST_200600_302600_NS6detail15normal_iteratorINS9_10device_ptrItEEEESE_PS5_SF_jNS0_19identity_decomposerENS1_16block_id_wrapperIjLb0EEEEE10hipError_tT1_PNSt15iterator_traitsISK_E10value_typeET2_T3_PNSL_ISQ_E10value_typeET4_T5_PSV_SW_PNS1_23onesweep_lookback_stateEbbT6_jjT7_P12ihipStream_tbENKUlT_T0_SK_SP_E_clIPtSE_SF_SF_EEDaS13_S14_SK_SP_EUlS13_E_NS1_11comp_targetILNS1_3genE9ELNS1_11target_archE1100ELNS1_3gpuE3ELNS1_3repE0EEENS1_47radix_sort_onesweep_sort_config_static_selectorELNS0_4arch9wavefront6targetE1EEEvSK_
; %bb.0:
	.section	.rodata,"a",@progbits
	.p2align	6, 0x0
	.amdhsa_kernel _ZN7rocprim17ROCPRIM_400000_NS6detail17trampoline_kernelINS0_14default_configENS1_35radix_sort_onesweep_config_selectorItNS0_10empty_typeEEEZZNS1_29radix_sort_onesweep_iterationIS3_Lb0EN6thrust23THRUST_200600_302600_NS6detail15normal_iteratorINS9_10device_ptrItEEEESE_PS5_SF_jNS0_19identity_decomposerENS1_16block_id_wrapperIjLb0EEEEE10hipError_tT1_PNSt15iterator_traitsISK_E10value_typeET2_T3_PNSL_ISQ_E10value_typeET4_T5_PSV_SW_PNS1_23onesweep_lookback_stateEbbT6_jjT7_P12ihipStream_tbENKUlT_T0_SK_SP_E_clIPtSE_SF_SF_EEDaS13_S14_SK_SP_EUlS13_E_NS1_11comp_targetILNS1_3genE9ELNS1_11target_archE1100ELNS1_3gpuE3ELNS1_3repE0EEENS1_47radix_sort_onesweep_sort_config_static_selectorELNS0_4arch9wavefront6targetE1EEEvSK_
		.amdhsa_group_segment_fixed_size 0
		.amdhsa_private_segment_fixed_size 0
		.amdhsa_kernarg_size 88
		.amdhsa_user_sgpr_count 6
		.amdhsa_user_sgpr_private_segment_buffer 1
		.amdhsa_user_sgpr_dispatch_ptr 0
		.amdhsa_user_sgpr_queue_ptr 0
		.amdhsa_user_sgpr_kernarg_segment_ptr 1
		.amdhsa_user_sgpr_dispatch_id 0
		.amdhsa_user_sgpr_flat_scratch_init 0
		.amdhsa_user_sgpr_kernarg_preload_length 0
		.amdhsa_user_sgpr_kernarg_preload_offset 0
		.amdhsa_user_sgpr_private_segment_size 0
		.amdhsa_uses_dynamic_stack 0
		.amdhsa_system_sgpr_private_segment_wavefront_offset 0
		.amdhsa_system_sgpr_workgroup_id_x 1
		.amdhsa_system_sgpr_workgroup_id_y 0
		.amdhsa_system_sgpr_workgroup_id_z 0
		.amdhsa_system_sgpr_workgroup_info 0
		.amdhsa_system_vgpr_workitem_id 0
		.amdhsa_next_free_vgpr 1
		.amdhsa_next_free_sgpr 0
		.amdhsa_accum_offset 4
		.amdhsa_reserve_vcc 0
		.amdhsa_reserve_flat_scratch 0
		.amdhsa_float_round_mode_32 0
		.amdhsa_float_round_mode_16_64 0
		.amdhsa_float_denorm_mode_32 3
		.amdhsa_float_denorm_mode_16_64 3
		.amdhsa_dx10_clamp 1
		.amdhsa_ieee_mode 1
		.amdhsa_fp16_overflow 0
		.amdhsa_tg_split 0
		.amdhsa_exception_fp_ieee_invalid_op 0
		.amdhsa_exception_fp_denorm_src 0
		.amdhsa_exception_fp_ieee_div_zero 0
		.amdhsa_exception_fp_ieee_overflow 0
		.amdhsa_exception_fp_ieee_underflow 0
		.amdhsa_exception_fp_ieee_inexact 0
		.amdhsa_exception_int_div_zero 0
	.end_amdhsa_kernel
	.section	.text._ZN7rocprim17ROCPRIM_400000_NS6detail17trampoline_kernelINS0_14default_configENS1_35radix_sort_onesweep_config_selectorItNS0_10empty_typeEEEZZNS1_29radix_sort_onesweep_iterationIS3_Lb0EN6thrust23THRUST_200600_302600_NS6detail15normal_iteratorINS9_10device_ptrItEEEESE_PS5_SF_jNS0_19identity_decomposerENS1_16block_id_wrapperIjLb0EEEEE10hipError_tT1_PNSt15iterator_traitsISK_E10value_typeET2_T3_PNSL_ISQ_E10value_typeET4_T5_PSV_SW_PNS1_23onesweep_lookback_stateEbbT6_jjT7_P12ihipStream_tbENKUlT_T0_SK_SP_E_clIPtSE_SF_SF_EEDaS13_S14_SK_SP_EUlS13_E_NS1_11comp_targetILNS1_3genE9ELNS1_11target_archE1100ELNS1_3gpuE3ELNS1_3repE0EEENS1_47radix_sort_onesweep_sort_config_static_selectorELNS0_4arch9wavefront6targetE1EEEvSK_,"axG",@progbits,_ZN7rocprim17ROCPRIM_400000_NS6detail17trampoline_kernelINS0_14default_configENS1_35radix_sort_onesweep_config_selectorItNS0_10empty_typeEEEZZNS1_29radix_sort_onesweep_iterationIS3_Lb0EN6thrust23THRUST_200600_302600_NS6detail15normal_iteratorINS9_10device_ptrItEEEESE_PS5_SF_jNS0_19identity_decomposerENS1_16block_id_wrapperIjLb0EEEEE10hipError_tT1_PNSt15iterator_traitsISK_E10value_typeET2_T3_PNSL_ISQ_E10value_typeET4_T5_PSV_SW_PNS1_23onesweep_lookback_stateEbbT6_jjT7_P12ihipStream_tbENKUlT_T0_SK_SP_E_clIPtSE_SF_SF_EEDaS13_S14_SK_SP_EUlS13_E_NS1_11comp_targetILNS1_3genE9ELNS1_11target_archE1100ELNS1_3gpuE3ELNS1_3repE0EEENS1_47radix_sort_onesweep_sort_config_static_selectorELNS0_4arch9wavefront6targetE1EEEvSK_,comdat
.Lfunc_end1390:
	.size	_ZN7rocprim17ROCPRIM_400000_NS6detail17trampoline_kernelINS0_14default_configENS1_35radix_sort_onesweep_config_selectorItNS0_10empty_typeEEEZZNS1_29radix_sort_onesweep_iterationIS3_Lb0EN6thrust23THRUST_200600_302600_NS6detail15normal_iteratorINS9_10device_ptrItEEEESE_PS5_SF_jNS0_19identity_decomposerENS1_16block_id_wrapperIjLb0EEEEE10hipError_tT1_PNSt15iterator_traitsISK_E10value_typeET2_T3_PNSL_ISQ_E10value_typeET4_T5_PSV_SW_PNS1_23onesweep_lookback_stateEbbT6_jjT7_P12ihipStream_tbENKUlT_T0_SK_SP_E_clIPtSE_SF_SF_EEDaS13_S14_SK_SP_EUlS13_E_NS1_11comp_targetILNS1_3genE9ELNS1_11target_archE1100ELNS1_3gpuE3ELNS1_3repE0EEENS1_47radix_sort_onesweep_sort_config_static_selectorELNS0_4arch9wavefront6targetE1EEEvSK_, .Lfunc_end1390-_ZN7rocprim17ROCPRIM_400000_NS6detail17trampoline_kernelINS0_14default_configENS1_35radix_sort_onesweep_config_selectorItNS0_10empty_typeEEEZZNS1_29radix_sort_onesweep_iterationIS3_Lb0EN6thrust23THRUST_200600_302600_NS6detail15normal_iteratorINS9_10device_ptrItEEEESE_PS5_SF_jNS0_19identity_decomposerENS1_16block_id_wrapperIjLb0EEEEE10hipError_tT1_PNSt15iterator_traitsISK_E10value_typeET2_T3_PNSL_ISQ_E10value_typeET4_T5_PSV_SW_PNS1_23onesweep_lookback_stateEbbT6_jjT7_P12ihipStream_tbENKUlT_T0_SK_SP_E_clIPtSE_SF_SF_EEDaS13_S14_SK_SP_EUlS13_E_NS1_11comp_targetILNS1_3genE9ELNS1_11target_archE1100ELNS1_3gpuE3ELNS1_3repE0EEENS1_47radix_sort_onesweep_sort_config_static_selectorELNS0_4arch9wavefront6targetE1EEEvSK_
                                        ; -- End function
	.section	.AMDGPU.csdata,"",@progbits
; Kernel info:
; codeLenInByte = 0
; NumSgprs: 4
; NumVgprs: 0
; NumAgprs: 0
; TotalNumVgprs: 0
; ScratchSize: 0
; MemoryBound: 0
; FloatMode: 240
; IeeeMode: 1
; LDSByteSize: 0 bytes/workgroup (compile time only)
; SGPRBlocks: 0
; VGPRBlocks: 0
; NumSGPRsForWavesPerEU: 4
; NumVGPRsForWavesPerEU: 1
; AccumOffset: 4
; Occupancy: 8
; WaveLimiterHint : 0
; COMPUTE_PGM_RSRC2:SCRATCH_EN: 0
; COMPUTE_PGM_RSRC2:USER_SGPR: 6
; COMPUTE_PGM_RSRC2:TRAP_HANDLER: 0
; COMPUTE_PGM_RSRC2:TGID_X_EN: 1
; COMPUTE_PGM_RSRC2:TGID_Y_EN: 0
; COMPUTE_PGM_RSRC2:TGID_Z_EN: 0
; COMPUTE_PGM_RSRC2:TIDIG_COMP_CNT: 0
; COMPUTE_PGM_RSRC3_GFX90A:ACCUM_OFFSET: 0
; COMPUTE_PGM_RSRC3_GFX90A:TG_SPLIT: 0
	.section	.text._ZN7rocprim17ROCPRIM_400000_NS6detail17trampoline_kernelINS0_14default_configENS1_35radix_sort_onesweep_config_selectorItNS0_10empty_typeEEEZZNS1_29radix_sort_onesweep_iterationIS3_Lb0EN6thrust23THRUST_200600_302600_NS6detail15normal_iteratorINS9_10device_ptrItEEEESE_PS5_SF_jNS0_19identity_decomposerENS1_16block_id_wrapperIjLb0EEEEE10hipError_tT1_PNSt15iterator_traitsISK_E10value_typeET2_T3_PNSL_ISQ_E10value_typeET4_T5_PSV_SW_PNS1_23onesweep_lookback_stateEbbT6_jjT7_P12ihipStream_tbENKUlT_T0_SK_SP_E_clIPtSE_SF_SF_EEDaS13_S14_SK_SP_EUlS13_E_NS1_11comp_targetILNS1_3genE8ELNS1_11target_archE1030ELNS1_3gpuE2ELNS1_3repE0EEENS1_47radix_sort_onesweep_sort_config_static_selectorELNS0_4arch9wavefront6targetE1EEEvSK_,"axG",@progbits,_ZN7rocprim17ROCPRIM_400000_NS6detail17trampoline_kernelINS0_14default_configENS1_35radix_sort_onesweep_config_selectorItNS0_10empty_typeEEEZZNS1_29radix_sort_onesweep_iterationIS3_Lb0EN6thrust23THRUST_200600_302600_NS6detail15normal_iteratorINS9_10device_ptrItEEEESE_PS5_SF_jNS0_19identity_decomposerENS1_16block_id_wrapperIjLb0EEEEE10hipError_tT1_PNSt15iterator_traitsISK_E10value_typeET2_T3_PNSL_ISQ_E10value_typeET4_T5_PSV_SW_PNS1_23onesweep_lookback_stateEbbT6_jjT7_P12ihipStream_tbENKUlT_T0_SK_SP_E_clIPtSE_SF_SF_EEDaS13_S14_SK_SP_EUlS13_E_NS1_11comp_targetILNS1_3genE8ELNS1_11target_archE1030ELNS1_3gpuE2ELNS1_3repE0EEENS1_47radix_sort_onesweep_sort_config_static_selectorELNS0_4arch9wavefront6targetE1EEEvSK_,comdat
	.protected	_ZN7rocprim17ROCPRIM_400000_NS6detail17trampoline_kernelINS0_14default_configENS1_35radix_sort_onesweep_config_selectorItNS0_10empty_typeEEEZZNS1_29radix_sort_onesweep_iterationIS3_Lb0EN6thrust23THRUST_200600_302600_NS6detail15normal_iteratorINS9_10device_ptrItEEEESE_PS5_SF_jNS0_19identity_decomposerENS1_16block_id_wrapperIjLb0EEEEE10hipError_tT1_PNSt15iterator_traitsISK_E10value_typeET2_T3_PNSL_ISQ_E10value_typeET4_T5_PSV_SW_PNS1_23onesweep_lookback_stateEbbT6_jjT7_P12ihipStream_tbENKUlT_T0_SK_SP_E_clIPtSE_SF_SF_EEDaS13_S14_SK_SP_EUlS13_E_NS1_11comp_targetILNS1_3genE8ELNS1_11target_archE1030ELNS1_3gpuE2ELNS1_3repE0EEENS1_47radix_sort_onesweep_sort_config_static_selectorELNS0_4arch9wavefront6targetE1EEEvSK_ ; -- Begin function _ZN7rocprim17ROCPRIM_400000_NS6detail17trampoline_kernelINS0_14default_configENS1_35radix_sort_onesweep_config_selectorItNS0_10empty_typeEEEZZNS1_29radix_sort_onesweep_iterationIS3_Lb0EN6thrust23THRUST_200600_302600_NS6detail15normal_iteratorINS9_10device_ptrItEEEESE_PS5_SF_jNS0_19identity_decomposerENS1_16block_id_wrapperIjLb0EEEEE10hipError_tT1_PNSt15iterator_traitsISK_E10value_typeET2_T3_PNSL_ISQ_E10value_typeET4_T5_PSV_SW_PNS1_23onesweep_lookback_stateEbbT6_jjT7_P12ihipStream_tbENKUlT_T0_SK_SP_E_clIPtSE_SF_SF_EEDaS13_S14_SK_SP_EUlS13_E_NS1_11comp_targetILNS1_3genE8ELNS1_11target_archE1030ELNS1_3gpuE2ELNS1_3repE0EEENS1_47radix_sort_onesweep_sort_config_static_selectorELNS0_4arch9wavefront6targetE1EEEvSK_
	.globl	_ZN7rocprim17ROCPRIM_400000_NS6detail17trampoline_kernelINS0_14default_configENS1_35radix_sort_onesweep_config_selectorItNS0_10empty_typeEEEZZNS1_29radix_sort_onesweep_iterationIS3_Lb0EN6thrust23THRUST_200600_302600_NS6detail15normal_iteratorINS9_10device_ptrItEEEESE_PS5_SF_jNS0_19identity_decomposerENS1_16block_id_wrapperIjLb0EEEEE10hipError_tT1_PNSt15iterator_traitsISK_E10value_typeET2_T3_PNSL_ISQ_E10value_typeET4_T5_PSV_SW_PNS1_23onesweep_lookback_stateEbbT6_jjT7_P12ihipStream_tbENKUlT_T0_SK_SP_E_clIPtSE_SF_SF_EEDaS13_S14_SK_SP_EUlS13_E_NS1_11comp_targetILNS1_3genE8ELNS1_11target_archE1030ELNS1_3gpuE2ELNS1_3repE0EEENS1_47radix_sort_onesweep_sort_config_static_selectorELNS0_4arch9wavefront6targetE1EEEvSK_
	.p2align	8
	.type	_ZN7rocprim17ROCPRIM_400000_NS6detail17trampoline_kernelINS0_14default_configENS1_35radix_sort_onesweep_config_selectorItNS0_10empty_typeEEEZZNS1_29radix_sort_onesweep_iterationIS3_Lb0EN6thrust23THRUST_200600_302600_NS6detail15normal_iteratorINS9_10device_ptrItEEEESE_PS5_SF_jNS0_19identity_decomposerENS1_16block_id_wrapperIjLb0EEEEE10hipError_tT1_PNSt15iterator_traitsISK_E10value_typeET2_T3_PNSL_ISQ_E10value_typeET4_T5_PSV_SW_PNS1_23onesweep_lookback_stateEbbT6_jjT7_P12ihipStream_tbENKUlT_T0_SK_SP_E_clIPtSE_SF_SF_EEDaS13_S14_SK_SP_EUlS13_E_NS1_11comp_targetILNS1_3genE8ELNS1_11target_archE1030ELNS1_3gpuE2ELNS1_3repE0EEENS1_47radix_sort_onesweep_sort_config_static_selectorELNS0_4arch9wavefront6targetE1EEEvSK_,@function
_ZN7rocprim17ROCPRIM_400000_NS6detail17trampoline_kernelINS0_14default_configENS1_35radix_sort_onesweep_config_selectorItNS0_10empty_typeEEEZZNS1_29radix_sort_onesweep_iterationIS3_Lb0EN6thrust23THRUST_200600_302600_NS6detail15normal_iteratorINS9_10device_ptrItEEEESE_PS5_SF_jNS0_19identity_decomposerENS1_16block_id_wrapperIjLb0EEEEE10hipError_tT1_PNSt15iterator_traitsISK_E10value_typeET2_T3_PNSL_ISQ_E10value_typeET4_T5_PSV_SW_PNS1_23onesweep_lookback_stateEbbT6_jjT7_P12ihipStream_tbENKUlT_T0_SK_SP_E_clIPtSE_SF_SF_EEDaS13_S14_SK_SP_EUlS13_E_NS1_11comp_targetILNS1_3genE8ELNS1_11target_archE1030ELNS1_3gpuE2ELNS1_3repE0EEENS1_47radix_sort_onesweep_sort_config_static_selectorELNS0_4arch9wavefront6targetE1EEEvSK_: ; @_ZN7rocprim17ROCPRIM_400000_NS6detail17trampoline_kernelINS0_14default_configENS1_35radix_sort_onesweep_config_selectorItNS0_10empty_typeEEEZZNS1_29radix_sort_onesweep_iterationIS3_Lb0EN6thrust23THRUST_200600_302600_NS6detail15normal_iteratorINS9_10device_ptrItEEEESE_PS5_SF_jNS0_19identity_decomposerENS1_16block_id_wrapperIjLb0EEEEE10hipError_tT1_PNSt15iterator_traitsISK_E10value_typeET2_T3_PNSL_ISQ_E10value_typeET4_T5_PSV_SW_PNS1_23onesweep_lookback_stateEbbT6_jjT7_P12ihipStream_tbENKUlT_T0_SK_SP_E_clIPtSE_SF_SF_EEDaS13_S14_SK_SP_EUlS13_E_NS1_11comp_targetILNS1_3genE8ELNS1_11target_archE1030ELNS1_3gpuE2ELNS1_3repE0EEENS1_47radix_sort_onesweep_sort_config_static_selectorELNS0_4arch9wavefront6targetE1EEEvSK_
; %bb.0:
	.section	.rodata,"a",@progbits
	.p2align	6, 0x0
	.amdhsa_kernel _ZN7rocprim17ROCPRIM_400000_NS6detail17trampoline_kernelINS0_14default_configENS1_35radix_sort_onesweep_config_selectorItNS0_10empty_typeEEEZZNS1_29radix_sort_onesweep_iterationIS3_Lb0EN6thrust23THRUST_200600_302600_NS6detail15normal_iteratorINS9_10device_ptrItEEEESE_PS5_SF_jNS0_19identity_decomposerENS1_16block_id_wrapperIjLb0EEEEE10hipError_tT1_PNSt15iterator_traitsISK_E10value_typeET2_T3_PNSL_ISQ_E10value_typeET4_T5_PSV_SW_PNS1_23onesweep_lookback_stateEbbT6_jjT7_P12ihipStream_tbENKUlT_T0_SK_SP_E_clIPtSE_SF_SF_EEDaS13_S14_SK_SP_EUlS13_E_NS1_11comp_targetILNS1_3genE8ELNS1_11target_archE1030ELNS1_3gpuE2ELNS1_3repE0EEENS1_47radix_sort_onesweep_sort_config_static_selectorELNS0_4arch9wavefront6targetE1EEEvSK_
		.amdhsa_group_segment_fixed_size 0
		.amdhsa_private_segment_fixed_size 0
		.amdhsa_kernarg_size 88
		.amdhsa_user_sgpr_count 6
		.amdhsa_user_sgpr_private_segment_buffer 1
		.amdhsa_user_sgpr_dispatch_ptr 0
		.amdhsa_user_sgpr_queue_ptr 0
		.amdhsa_user_sgpr_kernarg_segment_ptr 1
		.amdhsa_user_sgpr_dispatch_id 0
		.amdhsa_user_sgpr_flat_scratch_init 0
		.amdhsa_user_sgpr_kernarg_preload_length 0
		.amdhsa_user_sgpr_kernarg_preload_offset 0
		.amdhsa_user_sgpr_private_segment_size 0
		.amdhsa_uses_dynamic_stack 0
		.amdhsa_system_sgpr_private_segment_wavefront_offset 0
		.amdhsa_system_sgpr_workgroup_id_x 1
		.amdhsa_system_sgpr_workgroup_id_y 0
		.amdhsa_system_sgpr_workgroup_id_z 0
		.amdhsa_system_sgpr_workgroup_info 0
		.amdhsa_system_vgpr_workitem_id 0
		.amdhsa_next_free_vgpr 1
		.amdhsa_next_free_sgpr 0
		.amdhsa_accum_offset 4
		.amdhsa_reserve_vcc 0
		.amdhsa_reserve_flat_scratch 0
		.amdhsa_float_round_mode_32 0
		.amdhsa_float_round_mode_16_64 0
		.amdhsa_float_denorm_mode_32 3
		.amdhsa_float_denorm_mode_16_64 3
		.amdhsa_dx10_clamp 1
		.amdhsa_ieee_mode 1
		.amdhsa_fp16_overflow 0
		.amdhsa_tg_split 0
		.amdhsa_exception_fp_ieee_invalid_op 0
		.amdhsa_exception_fp_denorm_src 0
		.amdhsa_exception_fp_ieee_div_zero 0
		.amdhsa_exception_fp_ieee_overflow 0
		.amdhsa_exception_fp_ieee_underflow 0
		.amdhsa_exception_fp_ieee_inexact 0
		.amdhsa_exception_int_div_zero 0
	.end_amdhsa_kernel
	.section	.text._ZN7rocprim17ROCPRIM_400000_NS6detail17trampoline_kernelINS0_14default_configENS1_35radix_sort_onesweep_config_selectorItNS0_10empty_typeEEEZZNS1_29radix_sort_onesweep_iterationIS3_Lb0EN6thrust23THRUST_200600_302600_NS6detail15normal_iteratorINS9_10device_ptrItEEEESE_PS5_SF_jNS0_19identity_decomposerENS1_16block_id_wrapperIjLb0EEEEE10hipError_tT1_PNSt15iterator_traitsISK_E10value_typeET2_T3_PNSL_ISQ_E10value_typeET4_T5_PSV_SW_PNS1_23onesweep_lookback_stateEbbT6_jjT7_P12ihipStream_tbENKUlT_T0_SK_SP_E_clIPtSE_SF_SF_EEDaS13_S14_SK_SP_EUlS13_E_NS1_11comp_targetILNS1_3genE8ELNS1_11target_archE1030ELNS1_3gpuE2ELNS1_3repE0EEENS1_47radix_sort_onesweep_sort_config_static_selectorELNS0_4arch9wavefront6targetE1EEEvSK_,"axG",@progbits,_ZN7rocprim17ROCPRIM_400000_NS6detail17trampoline_kernelINS0_14default_configENS1_35radix_sort_onesweep_config_selectorItNS0_10empty_typeEEEZZNS1_29radix_sort_onesweep_iterationIS3_Lb0EN6thrust23THRUST_200600_302600_NS6detail15normal_iteratorINS9_10device_ptrItEEEESE_PS5_SF_jNS0_19identity_decomposerENS1_16block_id_wrapperIjLb0EEEEE10hipError_tT1_PNSt15iterator_traitsISK_E10value_typeET2_T3_PNSL_ISQ_E10value_typeET4_T5_PSV_SW_PNS1_23onesweep_lookback_stateEbbT6_jjT7_P12ihipStream_tbENKUlT_T0_SK_SP_E_clIPtSE_SF_SF_EEDaS13_S14_SK_SP_EUlS13_E_NS1_11comp_targetILNS1_3genE8ELNS1_11target_archE1030ELNS1_3gpuE2ELNS1_3repE0EEENS1_47radix_sort_onesweep_sort_config_static_selectorELNS0_4arch9wavefront6targetE1EEEvSK_,comdat
.Lfunc_end1391:
	.size	_ZN7rocprim17ROCPRIM_400000_NS6detail17trampoline_kernelINS0_14default_configENS1_35radix_sort_onesweep_config_selectorItNS0_10empty_typeEEEZZNS1_29radix_sort_onesweep_iterationIS3_Lb0EN6thrust23THRUST_200600_302600_NS6detail15normal_iteratorINS9_10device_ptrItEEEESE_PS5_SF_jNS0_19identity_decomposerENS1_16block_id_wrapperIjLb0EEEEE10hipError_tT1_PNSt15iterator_traitsISK_E10value_typeET2_T3_PNSL_ISQ_E10value_typeET4_T5_PSV_SW_PNS1_23onesweep_lookback_stateEbbT6_jjT7_P12ihipStream_tbENKUlT_T0_SK_SP_E_clIPtSE_SF_SF_EEDaS13_S14_SK_SP_EUlS13_E_NS1_11comp_targetILNS1_3genE8ELNS1_11target_archE1030ELNS1_3gpuE2ELNS1_3repE0EEENS1_47radix_sort_onesweep_sort_config_static_selectorELNS0_4arch9wavefront6targetE1EEEvSK_, .Lfunc_end1391-_ZN7rocprim17ROCPRIM_400000_NS6detail17trampoline_kernelINS0_14default_configENS1_35radix_sort_onesweep_config_selectorItNS0_10empty_typeEEEZZNS1_29radix_sort_onesweep_iterationIS3_Lb0EN6thrust23THRUST_200600_302600_NS6detail15normal_iteratorINS9_10device_ptrItEEEESE_PS5_SF_jNS0_19identity_decomposerENS1_16block_id_wrapperIjLb0EEEEE10hipError_tT1_PNSt15iterator_traitsISK_E10value_typeET2_T3_PNSL_ISQ_E10value_typeET4_T5_PSV_SW_PNS1_23onesweep_lookback_stateEbbT6_jjT7_P12ihipStream_tbENKUlT_T0_SK_SP_E_clIPtSE_SF_SF_EEDaS13_S14_SK_SP_EUlS13_E_NS1_11comp_targetILNS1_3genE8ELNS1_11target_archE1030ELNS1_3gpuE2ELNS1_3repE0EEENS1_47radix_sort_onesweep_sort_config_static_selectorELNS0_4arch9wavefront6targetE1EEEvSK_
                                        ; -- End function
	.section	.AMDGPU.csdata,"",@progbits
; Kernel info:
; codeLenInByte = 0
; NumSgprs: 4
; NumVgprs: 0
; NumAgprs: 0
; TotalNumVgprs: 0
; ScratchSize: 0
; MemoryBound: 0
; FloatMode: 240
; IeeeMode: 1
; LDSByteSize: 0 bytes/workgroup (compile time only)
; SGPRBlocks: 0
; VGPRBlocks: 0
; NumSGPRsForWavesPerEU: 4
; NumVGPRsForWavesPerEU: 1
; AccumOffset: 4
; Occupancy: 8
; WaveLimiterHint : 0
; COMPUTE_PGM_RSRC2:SCRATCH_EN: 0
; COMPUTE_PGM_RSRC2:USER_SGPR: 6
; COMPUTE_PGM_RSRC2:TRAP_HANDLER: 0
; COMPUTE_PGM_RSRC2:TGID_X_EN: 1
; COMPUTE_PGM_RSRC2:TGID_Y_EN: 0
; COMPUTE_PGM_RSRC2:TGID_Z_EN: 0
; COMPUTE_PGM_RSRC2:TIDIG_COMP_CNT: 0
; COMPUTE_PGM_RSRC3_GFX90A:ACCUM_OFFSET: 0
; COMPUTE_PGM_RSRC3_GFX90A:TG_SPLIT: 0
	.section	.text._ZN7rocprim17ROCPRIM_400000_NS6detail17trampoline_kernelINS0_13kernel_configILj256ELj4ELj4294967295EEENS1_37radix_sort_block_sort_config_selectorIxNS0_10empty_typeEEEZNS1_21radix_sort_block_sortIS4_Lb0EN6thrust23THRUST_200600_302600_NS6detail15normal_iteratorINSA_10device_ptrIxEEEESF_PS6_SG_NS0_19identity_decomposerEEE10hipError_tT1_T2_T3_T4_jRjT5_jjP12ihipStream_tbEUlT_E_NS1_11comp_targetILNS1_3genE0ELNS1_11target_archE4294967295ELNS1_3gpuE0ELNS1_3repE0EEENS1_44radix_sort_block_sort_config_static_selectorELNS0_4arch9wavefront6targetE1EEEvSJ_,"axG",@progbits,_ZN7rocprim17ROCPRIM_400000_NS6detail17trampoline_kernelINS0_13kernel_configILj256ELj4ELj4294967295EEENS1_37radix_sort_block_sort_config_selectorIxNS0_10empty_typeEEEZNS1_21radix_sort_block_sortIS4_Lb0EN6thrust23THRUST_200600_302600_NS6detail15normal_iteratorINSA_10device_ptrIxEEEESF_PS6_SG_NS0_19identity_decomposerEEE10hipError_tT1_T2_T3_T4_jRjT5_jjP12ihipStream_tbEUlT_E_NS1_11comp_targetILNS1_3genE0ELNS1_11target_archE4294967295ELNS1_3gpuE0ELNS1_3repE0EEENS1_44radix_sort_block_sort_config_static_selectorELNS0_4arch9wavefront6targetE1EEEvSJ_,comdat
	.protected	_ZN7rocprim17ROCPRIM_400000_NS6detail17trampoline_kernelINS0_13kernel_configILj256ELj4ELj4294967295EEENS1_37radix_sort_block_sort_config_selectorIxNS0_10empty_typeEEEZNS1_21radix_sort_block_sortIS4_Lb0EN6thrust23THRUST_200600_302600_NS6detail15normal_iteratorINSA_10device_ptrIxEEEESF_PS6_SG_NS0_19identity_decomposerEEE10hipError_tT1_T2_T3_T4_jRjT5_jjP12ihipStream_tbEUlT_E_NS1_11comp_targetILNS1_3genE0ELNS1_11target_archE4294967295ELNS1_3gpuE0ELNS1_3repE0EEENS1_44radix_sort_block_sort_config_static_selectorELNS0_4arch9wavefront6targetE1EEEvSJ_ ; -- Begin function _ZN7rocprim17ROCPRIM_400000_NS6detail17trampoline_kernelINS0_13kernel_configILj256ELj4ELj4294967295EEENS1_37radix_sort_block_sort_config_selectorIxNS0_10empty_typeEEEZNS1_21radix_sort_block_sortIS4_Lb0EN6thrust23THRUST_200600_302600_NS6detail15normal_iteratorINSA_10device_ptrIxEEEESF_PS6_SG_NS0_19identity_decomposerEEE10hipError_tT1_T2_T3_T4_jRjT5_jjP12ihipStream_tbEUlT_E_NS1_11comp_targetILNS1_3genE0ELNS1_11target_archE4294967295ELNS1_3gpuE0ELNS1_3repE0EEENS1_44radix_sort_block_sort_config_static_selectorELNS0_4arch9wavefront6targetE1EEEvSJ_
	.globl	_ZN7rocprim17ROCPRIM_400000_NS6detail17trampoline_kernelINS0_13kernel_configILj256ELj4ELj4294967295EEENS1_37radix_sort_block_sort_config_selectorIxNS0_10empty_typeEEEZNS1_21radix_sort_block_sortIS4_Lb0EN6thrust23THRUST_200600_302600_NS6detail15normal_iteratorINSA_10device_ptrIxEEEESF_PS6_SG_NS0_19identity_decomposerEEE10hipError_tT1_T2_T3_T4_jRjT5_jjP12ihipStream_tbEUlT_E_NS1_11comp_targetILNS1_3genE0ELNS1_11target_archE4294967295ELNS1_3gpuE0ELNS1_3repE0EEENS1_44radix_sort_block_sort_config_static_selectorELNS0_4arch9wavefront6targetE1EEEvSJ_
	.p2align	8
	.type	_ZN7rocprim17ROCPRIM_400000_NS6detail17trampoline_kernelINS0_13kernel_configILj256ELj4ELj4294967295EEENS1_37radix_sort_block_sort_config_selectorIxNS0_10empty_typeEEEZNS1_21radix_sort_block_sortIS4_Lb0EN6thrust23THRUST_200600_302600_NS6detail15normal_iteratorINSA_10device_ptrIxEEEESF_PS6_SG_NS0_19identity_decomposerEEE10hipError_tT1_T2_T3_T4_jRjT5_jjP12ihipStream_tbEUlT_E_NS1_11comp_targetILNS1_3genE0ELNS1_11target_archE4294967295ELNS1_3gpuE0ELNS1_3repE0EEENS1_44radix_sort_block_sort_config_static_selectorELNS0_4arch9wavefront6targetE1EEEvSJ_,@function
_ZN7rocprim17ROCPRIM_400000_NS6detail17trampoline_kernelINS0_13kernel_configILj256ELj4ELj4294967295EEENS1_37radix_sort_block_sort_config_selectorIxNS0_10empty_typeEEEZNS1_21radix_sort_block_sortIS4_Lb0EN6thrust23THRUST_200600_302600_NS6detail15normal_iteratorINSA_10device_ptrIxEEEESF_PS6_SG_NS0_19identity_decomposerEEE10hipError_tT1_T2_T3_T4_jRjT5_jjP12ihipStream_tbEUlT_E_NS1_11comp_targetILNS1_3genE0ELNS1_11target_archE4294967295ELNS1_3gpuE0ELNS1_3repE0EEENS1_44radix_sort_block_sort_config_static_selectorELNS0_4arch9wavefront6targetE1EEEvSJ_: ; @_ZN7rocprim17ROCPRIM_400000_NS6detail17trampoline_kernelINS0_13kernel_configILj256ELj4ELj4294967295EEENS1_37radix_sort_block_sort_config_selectorIxNS0_10empty_typeEEEZNS1_21radix_sort_block_sortIS4_Lb0EN6thrust23THRUST_200600_302600_NS6detail15normal_iteratorINSA_10device_ptrIxEEEESF_PS6_SG_NS0_19identity_decomposerEEE10hipError_tT1_T2_T3_T4_jRjT5_jjP12ihipStream_tbEUlT_E_NS1_11comp_targetILNS1_3genE0ELNS1_11target_archE4294967295ELNS1_3gpuE0ELNS1_3repE0EEENS1_44radix_sort_block_sort_config_static_selectorELNS0_4arch9wavefront6targetE1EEEvSJ_
; %bb.0:
	.section	.rodata,"a",@progbits
	.p2align	6, 0x0
	.amdhsa_kernel _ZN7rocprim17ROCPRIM_400000_NS6detail17trampoline_kernelINS0_13kernel_configILj256ELj4ELj4294967295EEENS1_37radix_sort_block_sort_config_selectorIxNS0_10empty_typeEEEZNS1_21radix_sort_block_sortIS4_Lb0EN6thrust23THRUST_200600_302600_NS6detail15normal_iteratorINSA_10device_ptrIxEEEESF_PS6_SG_NS0_19identity_decomposerEEE10hipError_tT1_T2_T3_T4_jRjT5_jjP12ihipStream_tbEUlT_E_NS1_11comp_targetILNS1_3genE0ELNS1_11target_archE4294967295ELNS1_3gpuE0ELNS1_3repE0EEENS1_44radix_sort_block_sort_config_static_selectorELNS0_4arch9wavefront6targetE1EEEvSJ_
		.amdhsa_group_segment_fixed_size 0
		.amdhsa_private_segment_fixed_size 0
		.amdhsa_kernarg_size 48
		.amdhsa_user_sgpr_count 6
		.amdhsa_user_sgpr_private_segment_buffer 1
		.amdhsa_user_sgpr_dispatch_ptr 0
		.amdhsa_user_sgpr_queue_ptr 0
		.amdhsa_user_sgpr_kernarg_segment_ptr 1
		.amdhsa_user_sgpr_dispatch_id 0
		.amdhsa_user_sgpr_flat_scratch_init 0
		.amdhsa_user_sgpr_kernarg_preload_length 0
		.amdhsa_user_sgpr_kernarg_preload_offset 0
		.amdhsa_user_sgpr_private_segment_size 0
		.amdhsa_uses_dynamic_stack 0
		.amdhsa_system_sgpr_private_segment_wavefront_offset 0
		.amdhsa_system_sgpr_workgroup_id_x 1
		.amdhsa_system_sgpr_workgroup_id_y 0
		.amdhsa_system_sgpr_workgroup_id_z 0
		.amdhsa_system_sgpr_workgroup_info 0
		.amdhsa_system_vgpr_workitem_id 0
		.amdhsa_next_free_vgpr 1
		.amdhsa_next_free_sgpr 0
		.amdhsa_accum_offset 4
		.amdhsa_reserve_vcc 0
		.amdhsa_reserve_flat_scratch 0
		.amdhsa_float_round_mode_32 0
		.amdhsa_float_round_mode_16_64 0
		.amdhsa_float_denorm_mode_32 3
		.amdhsa_float_denorm_mode_16_64 3
		.amdhsa_dx10_clamp 1
		.amdhsa_ieee_mode 1
		.amdhsa_fp16_overflow 0
		.amdhsa_tg_split 0
		.amdhsa_exception_fp_ieee_invalid_op 0
		.amdhsa_exception_fp_denorm_src 0
		.amdhsa_exception_fp_ieee_div_zero 0
		.amdhsa_exception_fp_ieee_overflow 0
		.amdhsa_exception_fp_ieee_underflow 0
		.amdhsa_exception_fp_ieee_inexact 0
		.amdhsa_exception_int_div_zero 0
	.end_amdhsa_kernel
	.section	.text._ZN7rocprim17ROCPRIM_400000_NS6detail17trampoline_kernelINS0_13kernel_configILj256ELj4ELj4294967295EEENS1_37radix_sort_block_sort_config_selectorIxNS0_10empty_typeEEEZNS1_21radix_sort_block_sortIS4_Lb0EN6thrust23THRUST_200600_302600_NS6detail15normal_iteratorINSA_10device_ptrIxEEEESF_PS6_SG_NS0_19identity_decomposerEEE10hipError_tT1_T2_T3_T4_jRjT5_jjP12ihipStream_tbEUlT_E_NS1_11comp_targetILNS1_3genE0ELNS1_11target_archE4294967295ELNS1_3gpuE0ELNS1_3repE0EEENS1_44radix_sort_block_sort_config_static_selectorELNS0_4arch9wavefront6targetE1EEEvSJ_,"axG",@progbits,_ZN7rocprim17ROCPRIM_400000_NS6detail17trampoline_kernelINS0_13kernel_configILj256ELj4ELj4294967295EEENS1_37radix_sort_block_sort_config_selectorIxNS0_10empty_typeEEEZNS1_21radix_sort_block_sortIS4_Lb0EN6thrust23THRUST_200600_302600_NS6detail15normal_iteratorINSA_10device_ptrIxEEEESF_PS6_SG_NS0_19identity_decomposerEEE10hipError_tT1_T2_T3_T4_jRjT5_jjP12ihipStream_tbEUlT_E_NS1_11comp_targetILNS1_3genE0ELNS1_11target_archE4294967295ELNS1_3gpuE0ELNS1_3repE0EEENS1_44radix_sort_block_sort_config_static_selectorELNS0_4arch9wavefront6targetE1EEEvSJ_,comdat
.Lfunc_end1392:
	.size	_ZN7rocprim17ROCPRIM_400000_NS6detail17trampoline_kernelINS0_13kernel_configILj256ELj4ELj4294967295EEENS1_37radix_sort_block_sort_config_selectorIxNS0_10empty_typeEEEZNS1_21radix_sort_block_sortIS4_Lb0EN6thrust23THRUST_200600_302600_NS6detail15normal_iteratorINSA_10device_ptrIxEEEESF_PS6_SG_NS0_19identity_decomposerEEE10hipError_tT1_T2_T3_T4_jRjT5_jjP12ihipStream_tbEUlT_E_NS1_11comp_targetILNS1_3genE0ELNS1_11target_archE4294967295ELNS1_3gpuE0ELNS1_3repE0EEENS1_44radix_sort_block_sort_config_static_selectorELNS0_4arch9wavefront6targetE1EEEvSJ_, .Lfunc_end1392-_ZN7rocprim17ROCPRIM_400000_NS6detail17trampoline_kernelINS0_13kernel_configILj256ELj4ELj4294967295EEENS1_37radix_sort_block_sort_config_selectorIxNS0_10empty_typeEEEZNS1_21radix_sort_block_sortIS4_Lb0EN6thrust23THRUST_200600_302600_NS6detail15normal_iteratorINSA_10device_ptrIxEEEESF_PS6_SG_NS0_19identity_decomposerEEE10hipError_tT1_T2_T3_T4_jRjT5_jjP12ihipStream_tbEUlT_E_NS1_11comp_targetILNS1_3genE0ELNS1_11target_archE4294967295ELNS1_3gpuE0ELNS1_3repE0EEENS1_44radix_sort_block_sort_config_static_selectorELNS0_4arch9wavefront6targetE1EEEvSJ_
                                        ; -- End function
	.section	.AMDGPU.csdata,"",@progbits
; Kernel info:
; codeLenInByte = 0
; NumSgprs: 4
; NumVgprs: 0
; NumAgprs: 0
; TotalNumVgprs: 0
; ScratchSize: 0
; MemoryBound: 0
; FloatMode: 240
; IeeeMode: 1
; LDSByteSize: 0 bytes/workgroup (compile time only)
; SGPRBlocks: 0
; VGPRBlocks: 0
; NumSGPRsForWavesPerEU: 4
; NumVGPRsForWavesPerEU: 1
; AccumOffset: 4
; Occupancy: 8
; WaveLimiterHint : 0
; COMPUTE_PGM_RSRC2:SCRATCH_EN: 0
; COMPUTE_PGM_RSRC2:USER_SGPR: 6
; COMPUTE_PGM_RSRC2:TRAP_HANDLER: 0
; COMPUTE_PGM_RSRC2:TGID_X_EN: 1
; COMPUTE_PGM_RSRC2:TGID_Y_EN: 0
; COMPUTE_PGM_RSRC2:TGID_Z_EN: 0
; COMPUTE_PGM_RSRC2:TIDIG_COMP_CNT: 0
; COMPUTE_PGM_RSRC3_GFX90A:ACCUM_OFFSET: 0
; COMPUTE_PGM_RSRC3_GFX90A:TG_SPLIT: 0
	.section	.text._ZN7rocprim17ROCPRIM_400000_NS6detail17trampoline_kernelINS0_13kernel_configILj256ELj4ELj4294967295EEENS1_37radix_sort_block_sort_config_selectorIxNS0_10empty_typeEEEZNS1_21radix_sort_block_sortIS4_Lb0EN6thrust23THRUST_200600_302600_NS6detail15normal_iteratorINSA_10device_ptrIxEEEESF_PS6_SG_NS0_19identity_decomposerEEE10hipError_tT1_T2_T3_T4_jRjT5_jjP12ihipStream_tbEUlT_E_NS1_11comp_targetILNS1_3genE5ELNS1_11target_archE942ELNS1_3gpuE9ELNS1_3repE0EEENS1_44radix_sort_block_sort_config_static_selectorELNS0_4arch9wavefront6targetE1EEEvSJ_,"axG",@progbits,_ZN7rocprim17ROCPRIM_400000_NS6detail17trampoline_kernelINS0_13kernel_configILj256ELj4ELj4294967295EEENS1_37radix_sort_block_sort_config_selectorIxNS0_10empty_typeEEEZNS1_21radix_sort_block_sortIS4_Lb0EN6thrust23THRUST_200600_302600_NS6detail15normal_iteratorINSA_10device_ptrIxEEEESF_PS6_SG_NS0_19identity_decomposerEEE10hipError_tT1_T2_T3_T4_jRjT5_jjP12ihipStream_tbEUlT_E_NS1_11comp_targetILNS1_3genE5ELNS1_11target_archE942ELNS1_3gpuE9ELNS1_3repE0EEENS1_44radix_sort_block_sort_config_static_selectorELNS0_4arch9wavefront6targetE1EEEvSJ_,comdat
	.protected	_ZN7rocprim17ROCPRIM_400000_NS6detail17trampoline_kernelINS0_13kernel_configILj256ELj4ELj4294967295EEENS1_37radix_sort_block_sort_config_selectorIxNS0_10empty_typeEEEZNS1_21radix_sort_block_sortIS4_Lb0EN6thrust23THRUST_200600_302600_NS6detail15normal_iteratorINSA_10device_ptrIxEEEESF_PS6_SG_NS0_19identity_decomposerEEE10hipError_tT1_T2_T3_T4_jRjT5_jjP12ihipStream_tbEUlT_E_NS1_11comp_targetILNS1_3genE5ELNS1_11target_archE942ELNS1_3gpuE9ELNS1_3repE0EEENS1_44radix_sort_block_sort_config_static_selectorELNS0_4arch9wavefront6targetE1EEEvSJ_ ; -- Begin function _ZN7rocprim17ROCPRIM_400000_NS6detail17trampoline_kernelINS0_13kernel_configILj256ELj4ELj4294967295EEENS1_37radix_sort_block_sort_config_selectorIxNS0_10empty_typeEEEZNS1_21radix_sort_block_sortIS4_Lb0EN6thrust23THRUST_200600_302600_NS6detail15normal_iteratorINSA_10device_ptrIxEEEESF_PS6_SG_NS0_19identity_decomposerEEE10hipError_tT1_T2_T3_T4_jRjT5_jjP12ihipStream_tbEUlT_E_NS1_11comp_targetILNS1_3genE5ELNS1_11target_archE942ELNS1_3gpuE9ELNS1_3repE0EEENS1_44radix_sort_block_sort_config_static_selectorELNS0_4arch9wavefront6targetE1EEEvSJ_
	.globl	_ZN7rocprim17ROCPRIM_400000_NS6detail17trampoline_kernelINS0_13kernel_configILj256ELj4ELj4294967295EEENS1_37radix_sort_block_sort_config_selectorIxNS0_10empty_typeEEEZNS1_21radix_sort_block_sortIS4_Lb0EN6thrust23THRUST_200600_302600_NS6detail15normal_iteratorINSA_10device_ptrIxEEEESF_PS6_SG_NS0_19identity_decomposerEEE10hipError_tT1_T2_T3_T4_jRjT5_jjP12ihipStream_tbEUlT_E_NS1_11comp_targetILNS1_3genE5ELNS1_11target_archE942ELNS1_3gpuE9ELNS1_3repE0EEENS1_44radix_sort_block_sort_config_static_selectorELNS0_4arch9wavefront6targetE1EEEvSJ_
	.p2align	8
	.type	_ZN7rocprim17ROCPRIM_400000_NS6detail17trampoline_kernelINS0_13kernel_configILj256ELj4ELj4294967295EEENS1_37radix_sort_block_sort_config_selectorIxNS0_10empty_typeEEEZNS1_21radix_sort_block_sortIS4_Lb0EN6thrust23THRUST_200600_302600_NS6detail15normal_iteratorINSA_10device_ptrIxEEEESF_PS6_SG_NS0_19identity_decomposerEEE10hipError_tT1_T2_T3_T4_jRjT5_jjP12ihipStream_tbEUlT_E_NS1_11comp_targetILNS1_3genE5ELNS1_11target_archE942ELNS1_3gpuE9ELNS1_3repE0EEENS1_44radix_sort_block_sort_config_static_selectorELNS0_4arch9wavefront6targetE1EEEvSJ_,@function
_ZN7rocprim17ROCPRIM_400000_NS6detail17trampoline_kernelINS0_13kernel_configILj256ELj4ELj4294967295EEENS1_37radix_sort_block_sort_config_selectorIxNS0_10empty_typeEEEZNS1_21radix_sort_block_sortIS4_Lb0EN6thrust23THRUST_200600_302600_NS6detail15normal_iteratorINSA_10device_ptrIxEEEESF_PS6_SG_NS0_19identity_decomposerEEE10hipError_tT1_T2_T3_T4_jRjT5_jjP12ihipStream_tbEUlT_E_NS1_11comp_targetILNS1_3genE5ELNS1_11target_archE942ELNS1_3gpuE9ELNS1_3repE0EEENS1_44radix_sort_block_sort_config_static_selectorELNS0_4arch9wavefront6targetE1EEEvSJ_: ; @_ZN7rocprim17ROCPRIM_400000_NS6detail17trampoline_kernelINS0_13kernel_configILj256ELj4ELj4294967295EEENS1_37radix_sort_block_sort_config_selectorIxNS0_10empty_typeEEEZNS1_21radix_sort_block_sortIS4_Lb0EN6thrust23THRUST_200600_302600_NS6detail15normal_iteratorINSA_10device_ptrIxEEEESF_PS6_SG_NS0_19identity_decomposerEEE10hipError_tT1_T2_T3_T4_jRjT5_jjP12ihipStream_tbEUlT_E_NS1_11comp_targetILNS1_3genE5ELNS1_11target_archE942ELNS1_3gpuE9ELNS1_3repE0EEENS1_44radix_sort_block_sort_config_static_selectorELNS0_4arch9wavefront6targetE1EEEvSJ_
; %bb.0:
	.section	.rodata,"a",@progbits
	.p2align	6, 0x0
	.amdhsa_kernel _ZN7rocprim17ROCPRIM_400000_NS6detail17trampoline_kernelINS0_13kernel_configILj256ELj4ELj4294967295EEENS1_37radix_sort_block_sort_config_selectorIxNS0_10empty_typeEEEZNS1_21radix_sort_block_sortIS4_Lb0EN6thrust23THRUST_200600_302600_NS6detail15normal_iteratorINSA_10device_ptrIxEEEESF_PS6_SG_NS0_19identity_decomposerEEE10hipError_tT1_T2_T3_T4_jRjT5_jjP12ihipStream_tbEUlT_E_NS1_11comp_targetILNS1_3genE5ELNS1_11target_archE942ELNS1_3gpuE9ELNS1_3repE0EEENS1_44radix_sort_block_sort_config_static_selectorELNS0_4arch9wavefront6targetE1EEEvSJ_
		.amdhsa_group_segment_fixed_size 0
		.amdhsa_private_segment_fixed_size 0
		.amdhsa_kernarg_size 48
		.amdhsa_user_sgpr_count 6
		.amdhsa_user_sgpr_private_segment_buffer 1
		.amdhsa_user_sgpr_dispatch_ptr 0
		.amdhsa_user_sgpr_queue_ptr 0
		.amdhsa_user_sgpr_kernarg_segment_ptr 1
		.amdhsa_user_sgpr_dispatch_id 0
		.amdhsa_user_sgpr_flat_scratch_init 0
		.amdhsa_user_sgpr_kernarg_preload_length 0
		.amdhsa_user_sgpr_kernarg_preload_offset 0
		.amdhsa_user_sgpr_private_segment_size 0
		.amdhsa_uses_dynamic_stack 0
		.amdhsa_system_sgpr_private_segment_wavefront_offset 0
		.amdhsa_system_sgpr_workgroup_id_x 1
		.amdhsa_system_sgpr_workgroup_id_y 0
		.amdhsa_system_sgpr_workgroup_id_z 0
		.amdhsa_system_sgpr_workgroup_info 0
		.amdhsa_system_vgpr_workitem_id 0
		.amdhsa_next_free_vgpr 1
		.amdhsa_next_free_sgpr 0
		.amdhsa_accum_offset 4
		.amdhsa_reserve_vcc 0
		.amdhsa_reserve_flat_scratch 0
		.amdhsa_float_round_mode_32 0
		.amdhsa_float_round_mode_16_64 0
		.amdhsa_float_denorm_mode_32 3
		.amdhsa_float_denorm_mode_16_64 3
		.amdhsa_dx10_clamp 1
		.amdhsa_ieee_mode 1
		.amdhsa_fp16_overflow 0
		.amdhsa_tg_split 0
		.amdhsa_exception_fp_ieee_invalid_op 0
		.amdhsa_exception_fp_denorm_src 0
		.amdhsa_exception_fp_ieee_div_zero 0
		.amdhsa_exception_fp_ieee_overflow 0
		.amdhsa_exception_fp_ieee_underflow 0
		.amdhsa_exception_fp_ieee_inexact 0
		.amdhsa_exception_int_div_zero 0
	.end_amdhsa_kernel
	.section	.text._ZN7rocprim17ROCPRIM_400000_NS6detail17trampoline_kernelINS0_13kernel_configILj256ELj4ELj4294967295EEENS1_37radix_sort_block_sort_config_selectorIxNS0_10empty_typeEEEZNS1_21radix_sort_block_sortIS4_Lb0EN6thrust23THRUST_200600_302600_NS6detail15normal_iteratorINSA_10device_ptrIxEEEESF_PS6_SG_NS0_19identity_decomposerEEE10hipError_tT1_T2_T3_T4_jRjT5_jjP12ihipStream_tbEUlT_E_NS1_11comp_targetILNS1_3genE5ELNS1_11target_archE942ELNS1_3gpuE9ELNS1_3repE0EEENS1_44radix_sort_block_sort_config_static_selectorELNS0_4arch9wavefront6targetE1EEEvSJ_,"axG",@progbits,_ZN7rocprim17ROCPRIM_400000_NS6detail17trampoline_kernelINS0_13kernel_configILj256ELj4ELj4294967295EEENS1_37radix_sort_block_sort_config_selectorIxNS0_10empty_typeEEEZNS1_21radix_sort_block_sortIS4_Lb0EN6thrust23THRUST_200600_302600_NS6detail15normal_iteratorINSA_10device_ptrIxEEEESF_PS6_SG_NS0_19identity_decomposerEEE10hipError_tT1_T2_T3_T4_jRjT5_jjP12ihipStream_tbEUlT_E_NS1_11comp_targetILNS1_3genE5ELNS1_11target_archE942ELNS1_3gpuE9ELNS1_3repE0EEENS1_44radix_sort_block_sort_config_static_selectorELNS0_4arch9wavefront6targetE1EEEvSJ_,comdat
.Lfunc_end1393:
	.size	_ZN7rocprim17ROCPRIM_400000_NS6detail17trampoline_kernelINS0_13kernel_configILj256ELj4ELj4294967295EEENS1_37radix_sort_block_sort_config_selectorIxNS0_10empty_typeEEEZNS1_21radix_sort_block_sortIS4_Lb0EN6thrust23THRUST_200600_302600_NS6detail15normal_iteratorINSA_10device_ptrIxEEEESF_PS6_SG_NS0_19identity_decomposerEEE10hipError_tT1_T2_T3_T4_jRjT5_jjP12ihipStream_tbEUlT_E_NS1_11comp_targetILNS1_3genE5ELNS1_11target_archE942ELNS1_3gpuE9ELNS1_3repE0EEENS1_44radix_sort_block_sort_config_static_selectorELNS0_4arch9wavefront6targetE1EEEvSJ_, .Lfunc_end1393-_ZN7rocprim17ROCPRIM_400000_NS6detail17trampoline_kernelINS0_13kernel_configILj256ELj4ELj4294967295EEENS1_37radix_sort_block_sort_config_selectorIxNS0_10empty_typeEEEZNS1_21radix_sort_block_sortIS4_Lb0EN6thrust23THRUST_200600_302600_NS6detail15normal_iteratorINSA_10device_ptrIxEEEESF_PS6_SG_NS0_19identity_decomposerEEE10hipError_tT1_T2_T3_T4_jRjT5_jjP12ihipStream_tbEUlT_E_NS1_11comp_targetILNS1_3genE5ELNS1_11target_archE942ELNS1_3gpuE9ELNS1_3repE0EEENS1_44radix_sort_block_sort_config_static_selectorELNS0_4arch9wavefront6targetE1EEEvSJ_
                                        ; -- End function
	.section	.AMDGPU.csdata,"",@progbits
; Kernel info:
; codeLenInByte = 0
; NumSgprs: 4
; NumVgprs: 0
; NumAgprs: 0
; TotalNumVgprs: 0
; ScratchSize: 0
; MemoryBound: 0
; FloatMode: 240
; IeeeMode: 1
; LDSByteSize: 0 bytes/workgroup (compile time only)
; SGPRBlocks: 0
; VGPRBlocks: 0
; NumSGPRsForWavesPerEU: 4
; NumVGPRsForWavesPerEU: 1
; AccumOffset: 4
; Occupancy: 8
; WaveLimiterHint : 0
; COMPUTE_PGM_RSRC2:SCRATCH_EN: 0
; COMPUTE_PGM_RSRC2:USER_SGPR: 6
; COMPUTE_PGM_RSRC2:TRAP_HANDLER: 0
; COMPUTE_PGM_RSRC2:TGID_X_EN: 1
; COMPUTE_PGM_RSRC2:TGID_Y_EN: 0
; COMPUTE_PGM_RSRC2:TGID_Z_EN: 0
; COMPUTE_PGM_RSRC2:TIDIG_COMP_CNT: 0
; COMPUTE_PGM_RSRC3_GFX90A:ACCUM_OFFSET: 0
; COMPUTE_PGM_RSRC3_GFX90A:TG_SPLIT: 0
	.section	.text._ZN7rocprim17ROCPRIM_400000_NS6detail17trampoline_kernelINS0_13kernel_configILj256ELj4ELj4294967295EEENS1_37radix_sort_block_sort_config_selectorIxNS0_10empty_typeEEEZNS1_21radix_sort_block_sortIS4_Lb0EN6thrust23THRUST_200600_302600_NS6detail15normal_iteratorINSA_10device_ptrIxEEEESF_PS6_SG_NS0_19identity_decomposerEEE10hipError_tT1_T2_T3_T4_jRjT5_jjP12ihipStream_tbEUlT_E_NS1_11comp_targetILNS1_3genE4ELNS1_11target_archE910ELNS1_3gpuE8ELNS1_3repE0EEENS1_44radix_sort_block_sort_config_static_selectorELNS0_4arch9wavefront6targetE1EEEvSJ_,"axG",@progbits,_ZN7rocprim17ROCPRIM_400000_NS6detail17trampoline_kernelINS0_13kernel_configILj256ELj4ELj4294967295EEENS1_37radix_sort_block_sort_config_selectorIxNS0_10empty_typeEEEZNS1_21radix_sort_block_sortIS4_Lb0EN6thrust23THRUST_200600_302600_NS6detail15normal_iteratorINSA_10device_ptrIxEEEESF_PS6_SG_NS0_19identity_decomposerEEE10hipError_tT1_T2_T3_T4_jRjT5_jjP12ihipStream_tbEUlT_E_NS1_11comp_targetILNS1_3genE4ELNS1_11target_archE910ELNS1_3gpuE8ELNS1_3repE0EEENS1_44radix_sort_block_sort_config_static_selectorELNS0_4arch9wavefront6targetE1EEEvSJ_,comdat
	.protected	_ZN7rocprim17ROCPRIM_400000_NS6detail17trampoline_kernelINS0_13kernel_configILj256ELj4ELj4294967295EEENS1_37radix_sort_block_sort_config_selectorIxNS0_10empty_typeEEEZNS1_21radix_sort_block_sortIS4_Lb0EN6thrust23THRUST_200600_302600_NS6detail15normal_iteratorINSA_10device_ptrIxEEEESF_PS6_SG_NS0_19identity_decomposerEEE10hipError_tT1_T2_T3_T4_jRjT5_jjP12ihipStream_tbEUlT_E_NS1_11comp_targetILNS1_3genE4ELNS1_11target_archE910ELNS1_3gpuE8ELNS1_3repE0EEENS1_44radix_sort_block_sort_config_static_selectorELNS0_4arch9wavefront6targetE1EEEvSJ_ ; -- Begin function _ZN7rocprim17ROCPRIM_400000_NS6detail17trampoline_kernelINS0_13kernel_configILj256ELj4ELj4294967295EEENS1_37radix_sort_block_sort_config_selectorIxNS0_10empty_typeEEEZNS1_21radix_sort_block_sortIS4_Lb0EN6thrust23THRUST_200600_302600_NS6detail15normal_iteratorINSA_10device_ptrIxEEEESF_PS6_SG_NS0_19identity_decomposerEEE10hipError_tT1_T2_T3_T4_jRjT5_jjP12ihipStream_tbEUlT_E_NS1_11comp_targetILNS1_3genE4ELNS1_11target_archE910ELNS1_3gpuE8ELNS1_3repE0EEENS1_44radix_sort_block_sort_config_static_selectorELNS0_4arch9wavefront6targetE1EEEvSJ_
	.globl	_ZN7rocprim17ROCPRIM_400000_NS6detail17trampoline_kernelINS0_13kernel_configILj256ELj4ELj4294967295EEENS1_37radix_sort_block_sort_config_selectorIxNS0_10empty_typeEEEZNS1_21radix_sort_block_sortIS4_Lb0EN6thrust23THRUST_200600_302600_NS6detail15normal_iteratorINSA_10device_ptrIxEEEESF_PS6_SG_NS0_19identity_decomposerEEE10hipError_tT1_T2_T3_T4_jRjT5_jjP12ihipStream_tbEUlT_E_NS1_11comp_targetILNS1_3genE4ELNS1_11target_archE910ELNS1_3gpuE8ELNS1_3repE0EEENS1_44radix_sort_block_sort_config_static_selectorELNS0_4arch9wavefront6targetE1EEEvSJ_
	.p2align	8
	.type	_ZN7rocprim17ROCPRIM_400000_NS6detail17trampoline_kernelINS0_13kernel_configILj256ELj4ELj4294967295EEENS1_37radix_sort_block_sort_config_selectorIxNS0_10empty_typeEEEZNS1_21radix_sort_block_sortIS4_Lb0EN6thrust23THRUST_200600_302600_NS6detail15normal_iteratorINSA_10device_ptrIxEEEESF_PS6_SG_NS0_19identity_decomposerEEE10hipError_tT1_T2_T3_T4_jRjT5_jjP12ihipStream_tbEUlT_E_NS1_11comp_targetILNS1_3genE4ELNS1_11target_archE910ELNS1_3gpuE8ELNS1_3repE0EEENS1_44radix_sort_block_sort_config_static_selectorELNS0_4arch9wavefront6targetE1EEEvSJ_,@function
_ZN7rocprim17ROCPRIM_400000_NS6detail17trampoline_kernelINS0_13kernel_configILj256ELj4ELj4294967295EEENS1_37radix_sort_block_sort_config_selectorIxNS0_10empty_typeEEEZNS1_21radix_sort_block_sortIS4_Lb0EN6thrust23THRUST_200600_302600_NS6detail15normal_iteratorINSA_10device_ptrIxEEEESF_PS6_SG_NS0_19identity_decomposerEEE10hipError_tT1_T2_T3_T4_jRjT5_jjP12ihipStream_tbEUlT_E_NS1_11comp_targetILNS1_3genE4ELNS1_11target_archE910ELNS1_3gpuE8ELNS1_3repE0EEENS1_44radix_sort_block_sort_config_static_selectorELNS0_4arch9wavefront6targetE1EEEvSJ_: ; @_ZN7rocprim17ROCPRIM_400000_NS6detail17trampoline_kernelINS0_13kernel_configILj256ELj4ELj4294967295EEENS1_37radix_sort_block_sort_config_selectorIxNS0_10empty_typeEEEZNS1_21radix_sort_block_sortIS4_Lb0EN6thrust23THRUST_200600_302600_NS6detail15normal_iteratorINSA_10device_ptrIxEEEESF_PS6_SG_NS0_19identity_decomposerEEE10hipError_tT1_T2_T3_T4_jRjT5_jjP12ihipStream_tbEUlT_E_NS1_11comp_targetILNS1_3genE4ELNS1_11target_archE910ELNS1_3gpuE8ELNS1_3repE0EEENS1_44radix_sort_block_sort_config_static_selectorELNS0_4arch9wavefront6targetE1EEEvSJ_
; %bb.0:
	s_load_dword s7, s[4:5], 0x20
	s_load_dwordx4 s[28:31], s[4:5], 0x0
	s_lshl_b32 s0, s6, 10
	s_mov_b32 s1, 0
	v_mbcnt_lo_u32_b32 v1, -1, 0
	s_waitcnt lgkmcnt(0)
	s_lshr_b32 s2, s7, 10
	s_cmp_lg_u32 s6, s2
	s_cselect_b64 s[34:35], -1, 0
	s_lshl_b64 s[36:37], s[0:1], 3
	v_mbcnt_hi_u32_b32 v1, -1, v1
	v_and_b32_e32 v10, 0x3ff, v0
	s_add_u32 s1, s28, s36
	v_and_b32_e32 v14, 63, v1
	s_addc_u32 s3, s29, s37
	v_lshlrev_b32_e32 v11, 2, v10
	v_lshlrev_b32_e32 v2, 3, v14
	v_and_b32_e32 v16, 0x300, v11
	v_mov_b32_e32 v3, s3
	v_add_co_u32_e32 v2, vcc, s1, v2
	v_addc_co_u32_e32 v3, vcc, 0, v3, vcc
	v_lshlrev_b32_e32 v4, 3, v16
	v_add_co_u32_e32 v12, vcc, v2, v4
	s_cmp_eq_u32 s6, s2
	v_addc_co_u32_e32 v13, vcc, 0, v3, vcc
	v_or_b32_e32 v15, v14, v16
	s_cbranch_scc1 .LBB1394_2
; %bb.1:
	global_load_dwordx2 v[2:3], v[12:13], off
	global_load_dwordx2 v[4:5], v[12:13], off offset:512
	global_load_dwordx2 v[6:7], v[12:13], off offset:1024
	;; [unrolled: 1-line block ×3, first 2 shown]
	v_or_b32_e32 v18, v14, v16
	v_or_b32_e32 v14, 64, v18
	;; [unrolled: 1-line block ×4, first 2 shown]
	s_load_dwordx2 s[28:29], s[4:5], 0x28
	s_sub_i32 s33, s7, s0
	s_cbranch_execz .LBB1394_3
	s_branch .LBB1394_12
.LBB1394_2:
                                        ; implicit-def: $vgpr2_vgpr3_vgpr4_vgpr5_vgpr6_vgpr7_vgpr8_vgpr9
                                        ; implicit-def: $vgpr18
                                        ; implicit-def: $vgpr14
                                        ; implicit-def: $vgpr16
                                        ; implicit-def: $vgpr17
	s_load_dwordx2 s[28:29], s[4:5], 0x28
	s_sub_i32 s33, s7, s0
.LBB1394_3:
	s_brev_b32 s9, -2
	s_mov_b32 s8, -1
	s_mov_b32 s10, s8
	s_mov_b32 s11, s9
	;; [unrolled: 1-line block ×6, first 2 shown]
	s_waitcnt vmcnt(0)
	v_pk_mov_b32 v[2:3], s[8:9], s[8:9] op_sel:[0,1]
	v_cmp_gt_u32_e32 vcc, s33, v15
	v_pk_mov_b32 v[4:5], s[10:11], s[10:11] op_sel:[0,1]
	v_pk_mov_b32 v[6:7], s[12:13], s[12:13] op_sel:[0,1]
	;; [unrolled: 1-line block ×3, first 2 shown]
	s_and_saveexec_b64 s[0:1], vcc
	s_cbranch_execz .LBB1394_5
; %bb.4:
	global_load_dwordx2 v[2:3], v[12:13], off
	v_mov_b32_e32 v4, -1
	v_bfrev_b32_e32 v5, -2
	v_mov_b32_e32 v6, v4
	v_mov_b32_e32 v7, v5
	;; [unrolled: 1-line block ×4, first 2 shown]
.LBB1394_5:
	s_or_b64 exec, exec, s[0:1]
	v_or_b32_e32 v14, 64, v15
	v_cmp_gt_u32_e32 vcc, s33, v14
	s_and_saveexec_b64 s[0:1], vcc
	s_cbranch_execz .LBB1394_7
; %bb.6:
	global_load_dwordx2 v[4:5], v[12:13], off offset:512
.LBB1394_7:
	s_or_b64 exec, exec, s[0:1]
	v_or_b32_e32 v16, 0x80, v15
	v_cmp_gt_u32_e32 vcc, s33, v16
	s_and_saveexec_b64 s[0:1], vcc
	s_cbranch_execz .LBB1394_9
; %bb.8:
	global_load_dwordx2 v[6:7], v[12:13], off offset:1024
.LBB1394_9:
	;; [unrolled: 8-line block ×3, first 2 shown]
	s_or_b64 exec, exec, s[0:1]
	v_mov_b32_e32 v18, v15
.LBB1394_12:
	s_load_dword s2, s[4:5], 0x3c
	s_waitcnt lgkmcnt(0)
	s_add_i32 s38, s29, s28
	s_getpc_b64 s[0:1]
	s_add_u32 s0, s0, _ZN7rocprim17ROCPRIM_400000_NS16block_radix_sortIxLj256ELj4ENS0_10empty_typeELj1ELj1ELj0ELNS0_26block_radix_rank_algorithmE1ELNS0_18block_padding_hintE2ELNS0_4arch9wavefront6targetE1EE19radix_bits_per_passE@rel32@lo+4
	s_addc_u32 s1, s1, _ZN7rocprim17ROCPRIM_400000_NS16block_radix_sortIxLj256ELj4ENS0_10empty_typeELj1ELj1ELj0ELNS0_26block_radix_rank_algorithmE1ELNS0_18block_padding_hintE2ELNS0_4arch9wavefront6targetE1EE19radix_bits_per_passE@rel32@hi+12
	s_load_dword s39, s[0:1], 0x0
	v_bfe_u32 v12, v0, 10, 10
	s_lshr_b32 s0, s2, 16
	v_bfe_u32 v0, v0, 20, 10
	s_and_b32 s1, s2, 0xffff
	v_mad_u32_u24 v0, v0, s0, v12
	v_mad_u64_u32 v[12:13], s[0:1], v0, s1, v[10:11]
	v_and_b32_e32 v0, 15, v1
	v_cmp_eq_u32_e64 s[0:1], 0, v0
	v_cmp_lt_u32_e64 s[2:3], 1, v0
	v_cmp_lt_u32_e64 s[4:5], 3, v0
	;; [unrolled: 1-line block ×3, first 2 shown]
	v_and_b32_e32 v0, 16, v1
	v_cmp_eq_u32_e64 s[8:9], 0, v0
	v_and_b32_e32 v0, 0x3c0, v10
	v_min_u32_e32 v0, 0xc0, v0
	v_or_b32_e32 v0, 63, v0
	v_lshrrev_b32_e32 v26, 6, v12
	v_cmp_eq_u32_e64 s[12:13], v0, v10
	v_add_u32_e32 v0, -1, v1
	v_and_b32_e32 v12, 64, v1
	v_cmp_lt_i32_e32 vcc, v0, v12
	v_cndmask_b32_e32 v0, v0, v1, vcc
	s_mov_b32 s26, 0
	v_lshlrev_b32_e32 v27, 2, v0
	v_lshrrev_b32_e32 v0, 4, v10
	v_lshlrev_b32_e32 v11, 2, v11
	v_cmp_lt_u32_e64 s[10:11], 31, v1
	v_cmp_eq_u32_e64 s[18:19], 0, v1
	v_and_b32_e32 v28, 60, v0
	v_mul_i32_i24_e32 v0, -12, v10
	v_and_b32_e32 v1, 3, v1
	s_mov_b32 s27, s26
	s_mov_b32 s40, s26
	;; [unrolled: 1-line block ×3, first 2 shown]
	s_waitcnt vmcnt(0)
	v_xor_b32_e32 v3, 0x80000000, v3
	v_xor_b32_e32 v5, 0x80000000, v5
	;; [unrolled: 1-line block ×4, first 2 shown]
	v_cmp_gt_u32_e64 s[14:15], 4, v10
	v_cmp_lt_u32_e64 s[16:17], 63, v10
	v_cmp_eq_u32_e64 s[20:21], 0, v10
	v_cmp_eq_u32_e64 s[22:23], 0, v1
	v_cmp_lt_u32_e64 s[24:25], 1, v1
	v_add_u32_e32 v29, -4, v28
	v_lshlrev_b32_e32 v30, 3, v18
	v_lshlrev_b32_e32 v31, 3, v14
	;; [unrolled: 1-line block ×4, first 2 shown]
	v_pk_mov_b32 v[12:13], s[26:27], s[26:27] op_sel:[0,1]
	v_pk_mov_b32 v[14:15], s[40:41], s[40:41] op_sel:[0,1]
	v_add_u32_e32 v34, v11, v0
	v_mov_b32_e32 v16, 0
	s_branch .LBB1394_14
.LBB1394_13:                            ;   in Loop: Header=BB1394_14 Depth=1
	s_barrier
	ds_write_b64 v0, v[24:25]
	ds_write_b64 v1, v[22:23]
	;; [unrolled: 1-line block ×4, first 2 shown]
	s_waitcnt lgkmcnt(0)
	s_barrier
	ds_read_b64 v[2:3], v30
	ds_read_b64 v[4:5], v31
	;; [unrolled: 1-line block ×4, first 2 shown]
	s_add_i32 s29, s29, -8
	s_waitcnt lgkmcnt(0)
	s_barrier
	s_cbranch_execz .LBB1394_30
.LBB1394_14:                            ; =>This Inner Loop Header: Depth=1
	s_waitcnt lgkmcnt(0)
	s_min_u32 s26, s39, s29
	v_pk_mov_b32 v[24:25], v[2:3], v[2:3] op_sel:[0,1]
	s_lshl_b32 s26, -1, s26
	s_not_b32 s40, s26
	v_lshrrev_b64 v[0:1], s28, v[24:25]
	v_and_b32_e32 v0, s40, v0
	v_lshl_add_u32 v1, v0, 2, v26
	v_pk_mov_b32 v[22:23], v[4:5], v[4:5] op_sel:[0,1]
	v_lshl_add_u32 v4, v1, 2, 16
	v_and_b32_e32 v1, 1, v0
	v_add_co_u32_e32 v2, vcc, -1, v1
	v_addc_co_u32_e64 v3, s[26:27], 0, -1, vcc
	v_cmp_ne_u32_e32 vcc, 0, v1
	v_lshlrev_b32_e32 v17, 30, v0
	v_xor_b32_e32 v1, vcc_hi, v3
	v_not_b32_e32 v3, v17
	v_xor_b32_e32 v2, vcc_lo, v2
	v_cmp_gt_i64_e32 vcc, 0, v[16:17]
	v_ashrrev_i32_e32 v3, 31, v3
	v_and_b32_e32 v2, exec_lo, v2
	v_xor_b32_e32 v5, vcc_hi, v3
	v_xor_b32_e32 v3, vcc_lo, v3
	v_lshlrev_b32_e32 v17, 29, v0
	v_and_b32_e32 v2, v2, v3
	v_not_b32_e32 v3, v17
	v_and_b32_e32 v1, exec_hi, v1
	v_cmp_gt_i64_e32 vcc, 0, v[16:17]
	v_ashrrev_i32_e32 v3, 31, v3
	v_and_b32_e32 v1, v1, v5
	v_xor_b32_e32 v5, vcc_hi, v3
	v_xor_b32_e32 v3, vcc_lo, v3
	v_lshlrev_b32_e32 v17, 28, v0
	v_and_b32_e32 v2, v2, v3
	v_not_b32_e32 v3, v17
	v_cmp_gt_i64_e32 vcc, 0, v[16:17]
	v_ashrrev_i32_e32 v3, 31, v3
	v_and_b32_e32 v1, v1, v5
	v_xor_b32_e32 v5, vcc_hi, v3
	v_xor_b32_e32 v3, vcc_lo, v3
	v_lshlrev_b32_e32 v17, 27, v0
	v_and_b32_e32 v2, v2, v3
	v_not_b32_e32 v3, v17
	;; [unrolled: 8-line block ×3, first 2 shown]
	v_cmp_gt_i64_e32 vcc, 0, v[16:17]
	v_ashrrev_i32_e32 v3, 31, v3
	v_and_b32_e32 v1, v1, v5
	v_xor_b32_e32 v5, vcc_hi, v3
	v_xor_b32_e32 v3, vcc_lo, v3
	v_lshlrev_b32_e32 v17, 25, v0
	v_and_b32_e32 v2, v2, v3
	v_cmp_gt_i64_e32 vcc, 0, v[16:17]
	v_not_b32_e32 v3, v17
	v_lshlrev_b32_e32 v17, 24, v0
	v_ashrrev_i32_e32 v3, 31, v3
	v_not_b32_e32 v0, v17
	v_and_b32_e32 v1, v1, v5
	v_xor_b32_e32 v5, vcc_hi, v3
	v_xor_b32_e32 v3, vcc_lo, v3
	v_cmp_gt_i64_e32 vcc, 0, v[16:17]
	v_ashrrev_i32_e32 v0, 31, v0
	v_and_b32_e32 v2, v2, v3
	v_xor_b32_e32 v3, vcc_hi, v0
	v_xor_b32_e32 v0, vcc_lo, v0
	v_and_b32_e32 v1, v1, v5
	v_and_b32_e32 v0, v2, v0
	;; [unrolled: 1-line block ×3, first 2 shown]
	v_mbcnt_lo_u32_b32 v2, v0, 0
	v_mbcnt_hi_u32_b32 v5, v1, v2
	v_cmp_eq_u32_e32 vcc, 0, v5
	v_cmp_ne_u64_e64 s[26:27], 0, v[0:1]
	v_pk_mov_b32 v[18:19], v[8:9], v[8:9] op_sel:[0,1]
	v_pk_mov_b32 v[20:21], v[6:7], v[6:7] op_sel:[0,1]
	s_and_b64 s[42:43], s[26:27], vcc
	ds_write2_b64 v11, v[12:13], v[14:15] offset0:2 offset1:3
	s_waitcnt lgkmcnt(0)
	s_barrier
	s_waitcnt lgkmcnt(0)
	; wave barrier
	s_and_saveexec_b64 s[26:27], s[42:43]
	s_cbranch_execz .LBB1394_16
; %bb.15:                               ;   in Loop: Header=BB1394_14 Depth=1
	v_bcnt_u32_b32 v0, v0, 0
	v_bcnt_u32_b32 v0, v1, v0
	ds_write_b32 v4, v0
.LBB1394_16:                            ;   in Loop: Header=BB1394_14 Depth=1
	s_or_b64 exec, exec, s[26:27]
	v_lshrrev_b64 v[0:1], s28, v[22:23]
	v_and_b32_e32 v0, s40, v0
	v_lshlrev_b32_e32 v1, 2, v0
	v_add_lshl_u32 v1, v1, v26, 2
	; wave barrier
	v_add_u32_e32 v7, 16, v1
	ds_read_b32 v6, v1 offset:16
	v_and_b32_e32 v1, 1, v0
	v_add_co_u32_e32 v2, vcc, -1, v1
	v_addc_co_u32_e64 v3, s[26:27], 0, -1, vcc
	v_cmp_ne_u32_e32 vcc, 0, v1
	v_lshlrev_b32_e32 v17, 30, v0
	v_xor_b32_e32 v1, vcc_hi, v3
	v_not_b32_e32 v3, v17
	v_xor_b32_e32 v2, vcc_lo, v2
	v_cmp_gt_i64_e32 vcc, 0, v[16:17]
	v_ashrrev_i32_e32 v3, 31, v3
	v_and_b32_e32 v2, exec_lo, v2
	v_xor_b32_e32 v8, vcc_hi, v3
	v_xor_b32_e32 v3, vcc_lo, v3
	v_lshlrev_b32_e32 v17, 29, v0
	v_and_b32_e32 v2, v2, v3
	v_not_b32_e32 v3, v17
	v_and_b32_e32 v1, exec_hi, v1
	v_cmp_gt_i64_e32 vcc, 0, v[16:17]
	v_ashrrev_i32_e32 v3, 31, v3
	v_and_b32_e32 v1, v1, v8
	v_xor_b32_e32 v8, vcc_hi, v3
	v_xor_b32_e32 v3, vcc_lo, v3
	v_lshlrev_b32_e32 v17, 28, v0
	v_and_b32_e32 v2, v2, v3
	v_not_b32_e32 v3, v17
	v_cmp_gt_i64_e32 vcc, 0, v[16:17]
	v_ashrrev_i32_e32 v3, 31, v3
	v_and_b32_e32 v1, v1, v8
	v_xor_b32_e32 v8, vcc_hi, v3
	v_xor_b32_e32 v3, vcc_lo, v3
	v_lshlrev_b32_e32 v17, 27, v0
	v_and_b32_e32 v2, v2, v3
	v_not_b32_e32 v3, v17
	;; [unrolled: 8-line block ×3, first 2 shown]
	v_cmp_gt_i64_e32 vcc, 0, v[16:17]
	v_ashrrev_i32_e32 v3, 31, v3
	v_and_b32_e32 v1, v1, v8
	v_xor_b32_e32 v8, vcc_hi, v3
	v_xor_b32_e32 v3, vcc_lo, v3
	v_lshlrev_b32_e32 v17, 25, v0
	v_and_b32_e32 v2, v2, v3
	v_cmp_gt_i64_e32 vcc, 0, v[16:17]
	v_not_b32_e32 v3, v17
	v_lshlrev_b32_e32 v17, 24, v0
	v_ashrrev_i32_e32 v3, 31, v3
	v_not_b32_e32 v0, v17
	v_and_b32_e32 v1, v1, v8
	v_xor_b32_e32 v8, vcc_hi, v3
	v_xor_b32_e32 v3, vcc_lo, v3
	v_cmp_gt_i64_e32 vcc, 0, v[16:17]
	v_ashrrev_i32_e32 v0, 31, v0
	v_and_b32_e32 v2, v2, v3
	v_xor_b32_e32 v3, vcc_hi, v0
	v_xor_b32_e32 v0, vcc_lo, v0
	v_and_b32_e32 v1, v1, v8
	v_and_b32_e32 v0, v2, v0
	;; [unrolled: 1-line block ×3, first 2 shown]
	v_mbcnt_lo_u32_b32 v2, v0, 0
	v_mbcnt_hi_u32_b32 v8, v1, v2
	v_cmp_eq_u32_e32 vcc, 0, v8
	v_cmp_ne_u64_e64 s[26:27], 0, v[0:1]
	s_and_b64 s[42:43], s[26:27], vcc
	; wave barrier
	s_and_saveexec_b64 s[26:27], s[42:43]
	s_cbranch_execz .LBB1394_18
; %bb.17:                               ;   in Loop: Header=BB1394_14 Depth=1
	v_bcnt_u32_b32 v0, v0, 0
	v_bcnt_u32_b32 v0, v1, v0
	s_waitcnt lgkmcnt(0)
	v_add_u32_e32 v0, v6, v0
	ds_write_b32 v7, v0
.LBB1394_18:                            ;   in Loop: Header=BB1394_14 Depth=1
	s_or_b64 exec, exec, s[26:27]
	v_lshrrev_b64 v[0:1], s28, v[20:21]
	v_and_b32_e32 v0, s40, v0
	v_lshlrev_b32_e32 v1, 2, v0
	v_add_lshl_u32 v1, v1, v26, 2
	; wave barrier
	v_add_u32_e32 v35, 16, v1
	ds_read_b32 v9, v1 offset:16
	v_and_b32_e32 v1, 1, v0
	v_add_co_u32_e32 v2, vcc, -1, v1
	v_addc_co_u32_e64 v3, s[26:27], 0, -1, vcc
	v_cmp_ne_u32_e32 vcc, 0, v1
	v_lshlrev_b32_e32 v17, 30, v0
	v_xor_b32_e32 v1, vcc_hi, v3
	v_not_b32_e32 v3, v17
	v_xor_b32_e32 v2, vcc_lo, v2
	v_cmp_gt_i64_e32 vcc, 0, v[16:17]
	v_ashrrev_i32_e32 v3, 31, v3
	v_and_b32_e32 v1, exec_hi, v1
	v_xor_b32_e32 v17, vcc_hi, v3
	v_and_b32_e32 v2, exec_lo, v2
	v_xor_b32_e32 v3, vcc_lo, v3
	v_and_b32_e32 v1, v1, v17
	v_lshlrev_b32_e32 v17, 29, v0
	v_and_b32_e32 v2, v2, v3
	v_not_b32_e32 v3, v17
	v_cmp_gt_i64_e32 vcc, 0, v[16:17]
	v_ashrrev_i32_e32 v3, 31, v3
	v_xor_b32_e32 v17, vcc_hi, v3
	v_xor_b32_e32 v3, vcc_lo, v3
	v_and_b32_e32 v1, v1, v17
	v_lshlrev_b32_e32 v17, 28, v0
	v_and_b32_e32 v2, v2, v3
	v_not_b32_e32 v3, v17
	v_cmp_gt_i64_e32 vcc, 0, v[16:17]
	v_ashrrev_i32_e32 v3, 31, v3
	v_xor_b32_e32 v17, vcc_hi, v3
	;; [unrolled: 8-line block ×5, first 2 shown]
	v_and_b32_e32 v1, v1, v17
	v_lshlrev_b32_e32 v17, 24, v0
	v_not_b32_e32 v0, v17
	v_xor_b32_e32 v3, vcc_lo, v3
	v_cmp_gt_i64_e32 vcc, 0, v[16:17]
	v_ashrrev_i32_e32 v0, 31, v0
	v_and_b32_e32 v2, v2, v3
	v_xor_b32_e32 v3, vcc_hi, v0
	v_xor_b32_e32 v0, vcc_lo, v0
	v_and_b32_e32 v0, v2, v0
	v_and_b32_e32 v1, v1, v3
	v_mbcnt_lo_u32_b32 v2, v0, 0
	v_mbcnt_hi_u32_b32 v36, v1, v2
	v_cmp_eq_u32_e32 vcc, 0, v36
	v_cmp_ne_u64_e64 s[26:27], 0, v[0:1]
	s_and_b64 s[42:43], s[26:27], vcc
	; wave barrier
	s_and_saveexec_b64 s[26:27], s[42:43]
	s_cbranch_execz .LBB1394_20
; %bb.19:                               ;   in Loop: Header=BB1394_14 Depth=1
	v_bcnt_u32_b32 v0, v0, 0
	v_bcnt_u32_b32 v0, v1, v0
	s_waitcnt lgkmcnt(0)
	v_add_u32_e32 v0, v9, v0
	ds_write_b32 v35, v0
.LBB1394_20:                            ;   in Loop: Header=BB1394_14 Depth=1
	s_or_b64 exec, exec, s[26:27]
	v_lshrrev_b64 v[0:1], s28, v[18:19]
	v_and_b32_e32 v0, s40, v0
	v_lshlrev_b32_e32 v1, 2, v0
	v_add_lshl_u32 v1, v1, v26, 2
	; wave barrier
	v_add_u32_e32 v38, 16, v1
	ds_read_b32 v37, v1 offset:16
	v_and_b32_e32 v1, 1, v0
	v_add_co_u32_e32 v2, vcc, -1, v1
	v_addc_co_u32_e64 v3, s[26:27], 0, -1, vcc
	v_cmp_ne_u32_e32 vcc, 0, v1
	v_lshlrev_b32_e32 v17, 30, v0
	v_xor_b32_e32 v1, vcc_hi, v3
	v_not_b32_e32 v3, v17
	v_xor_b32_e32 v2, vcc_lo, v2
	v_cmp_gt_i64_e32 vcc, 0, v[16:17]
	v_ashrrev_i32_e32 v3, 31, v3
	v_and_b32_e32 v1, exec_hi, v1
	v_xor_b32_e32 v17, vcc_hi, v3
	v_and_b32_e32 v2, exec_lo, v2
	v_xor_b32_e32 v3, vcc_lo, v3
	v_and_b32_e32 v1, v1, v17
	v_lshlrev_b32_e32 v17, 29, v0
	v_and_b32_e32 v2, v2, v3
	v_not_b32_e32 v3, v17
	v_cmp_gt_i64_e32 vcc, 0, v[16:17]
	v_ashrrev_i32_e32 v3, 31, v3
	v_xor_b32_e32 v17, vcc_hi, v3
	v_xor_b32_e32 v3, vcc_lo, v3
	v_and_b32_e32 v1, v1, v17
	v_lshlrev_b32_e32 v17, 28, v0
	v_and_b32_e32 v2, v2, v3
	v_not_b32_e32 v3, v17
	v_cmp_gt_i64_e32 vcc, 0, v[16:17]
	v_ashrrev_i32_e32 v3, 31, v3
	v_xor_b32_e32 v17, vcc_hi, v3
	;; [unrolled: 8-line block ×5, first 2 shown]
	v_and_b32_e32 v1, v1, v17
	v_lshlrev_b32_e32 v17, 24, v0
	v_not_b32_e32 v0, v17
	v_xor_b32_e32 v3, vcc_lo, v3
	v_cmp_gt_i64_e32 vcc, 0, v[16:17]
	v_ashrrev_i32_e32 v0, 31, v0
	v_and_b32_e32 v2, v2, v3
	v_xor_b32_e32 v3, vcc_hi, v0
	v_xor_b32_e32 v0, vcc_lo, v0
	v_and_b32_e32 v0, v2, v0
	v_and_b32_e32 v1, v1, v3
	v_mbcnt_lo_u32_b32 v2, v0, 0
	v_mbcnt_hi_u32_b32 v17, v1, v2
	v_cmp_eq_u32_e32 vcc, 0, v17
	v_cmp_ne_u64_e64 s[26:27], 0, v[0:1]
	s_and_b64 s[40:41], s[26:27], vcc
	; wave barrier
	s_and_saveexec_b64 s[26:27], s[40:41]
	s_cbranch_execz .LBB1394_22
; %bb.21:                               ;   in Loop: Header=BB1394_14 Depth=1
	v_bcnt_u32_b32 v0, v0, 0
	v_bcnt_u32_b32 v0, v1, v0
	s_waitcnt lgkmcnt(0)
	v_add_u32_e32 v0, v37, v0
	ds_write_b32 v38, v0
.LBB1394_22:                            ;   in Loop: Header=BB1394_14 Depth=1
	s_or_b64 exec, exec, s[26:27]
	; wave barrier
	s_waitcnt lgkmcnt(0)
	s_barrier
	ds_read2_b64 v[0:3], v11 offset0:2 offset1:3
	s_waitcnt lgkmcnt(0)
	v_add_u32_e32 v39, v1, v0
	v_add3_u32 v3, v39, v2, v3
	s_nop 1
	v_mov_b32_dpp v39, v3 row_shr:1 row_mask:0xf bank_mask:0xf
	v_cndmask_b32_e64 v39, v39, 0, s[0:1]
	v_add_u32_e32 v3, v39, v3
	s_nop 1
	v_mov_b32_dpp v39, v3 row_shr:2 row_mask:0xf bank_mask:0xf
	v_cndmask_b32_e64 v39, 0, v39, s[2:3]
	v_add_u32_e32 v3, v3, v39
	s_nop 1
	v_mov_b32_dpp v39, v3 row_shr:4 row_mask:0xf bank_mask:0xf
	v_cndmask_b32_e64 v39, 0, v39, s[4:5]
	v_add_u32_e32 v3, v3, v39
	s_nop 1
	v_mov_b32_dpp v39, v3 row_shr:8 row_mask:0xf bank_mask:0xf
	v_cndmask_b32_e64 v39, 0, v39, s[6:7]
	v_add_u32_e32 v3, v3, v39
	s_nop 1
	v_mov_b32_dpp v39, v3 row_bcast:15 row_mask:0xf bank_mask:0xf
	v_cndmask_b32_e64 v39, v39, 0, s[8:9]
	v_add_u32_e32 v3, v3, v39
	s_nop 1
	v_mov_b32_dpp v39, v3 row_bcast:31 row_mask:0xf bank_mask:0xf
	v_cndmask_b32_e64 v39, 0, v39, s[10:11]
	v_add_u32_e32 v3, v3, v39
	s_and_saveexec_b64 s[26:27], s[12:13]
	s_cbranch_execz .LBB1394_24
; %bb.23:                               ;   in Loop: Header=BB1394_14 Depth=1
	ds_write_b32 v28, v3
.LBB1394_24:                            ;   in Loop: Header=BB1394_14 Depth=1
	s_or_b64 exec, exec, s[26:27]
	s_waitcnt lgkmcnt(0)
	s_barrier
	s_and_saveexec_b64 s[26:27], s[14:15]
	s_cbranch_execz .LBB1394_26
; %bb.25:                               ;   in Loop: Header=BB1394_14 Depth=1
	ds_read_b32 v39, v34
	s_waitcnt lgkmcnt(0)
	s_nop 0
	v_mov_b32_dpp v40, v39 row_shr:1 row_mask:0xf bank_mask:0xf
	v_cndmask_b32_e64 v40, v40, 0, s[22:23]
	v_add_u32_e32 v39, v40, v39
	s_nop 1
	v_mov_b32_dpp v40, v39 row_shr:2 row_mask:0xf bank_mask:0xf
	v_cndmask_b32_e64 v40, 0, v40, s[24:25]
	v_add_u32_e32 v39, v39, v40
	ds_write_b32 v34, v39
.LBB1394_26:                            ;   in Loop: Header=BB1394_14 Depth=1
	s_or_b64 exec, exec, s[26:27]
	v_mov_b32_e32 v39, 0
	s_waitcnt lgkmcnt(0)
	s_barrier
	s_and_saveexec_b64 s[26:27], s[16:17]
	s_cbranch_execz .LBB1394_28
; %bb.27:                               ;   in Loop: Header=BB1394_14 Depth=1
	ds_read_b32 v39, v29
.LBB1394_28:                            ;   in Loop: Header=BB1394_14 Depth=1
	s_or_b64 exec, exec, s[26:27]
	s_waitcnt lgkmcnt(0)
	v_add_u32_e32 v3, v39, v3
	ds_bpermute_b32 v3, v27, v3
	s_add_i32 s28, s28, 8
	s_cmp_ge_u32 s28, s38
	s_waitcnt lgkmcnt(0)
	v_cndmask_b32_e64 v3, v3, v39, s[18:19]
	v_cndmask_b32_e64 v40, v3, 0, s[20:21]
	v_add_u32_e32 v41, v40, v0
	v_add_u32_e32 v0, v41, v1
	v_add_u32_e32 v1, v0, v2
	ds_write2_b64 v11, v[40:41], v[0:1] offset0:2 offset1:3
	s_waitcnt lgkmcnt(0)
	s_barrier
	ds_read_b32 v0, v4
	ds_read_b32 v1, v7
	;; [unrolled: 1-line block ×4, first 2 shown]
	v_lshlrev_b32_e32 v4, 3, v5
	s_waitcnt lgkmcnt(3)
	v_lshl_add_u32 v0, v0, 3, v4
	v_lshlrev_b32_e32 v4, 3, v8
	v_lshlrev_b32_e32 v5, 3, v6
	s_waitcnt lgkmcnt(2)
	v_lshlrev_b32_e32 v1, 3, v1
	v_add3_u32 v1, v4, v5, v1
	v_lshlrev_b32_e32 v4, 3, v36
	v_lshlrev_b32_e32 v5, 3, v9
	s_waitcnt lgkmcnt(1)
	v_lshlrev_b32_e32 v2, 3, v2
	v_add3_u32 v35, v4, v5, v2
	;; [unrolled: 5-line block ×3, first 2 shown]
	s_cbranch_scc0 .LBB1394_13
; %bb.29:
                                        ; implicit-def: $vgpr8_vgpr9
                                        ; implicit-def: $sgpr28
.LBB1394_30:
	v_lshlrev_b32_e32 v8, 3, v10
	s_barrier
	ds_write_b64 v0, v[24:25]
	ds_write_b64 v1, v[22:23]
	;; [unrolled: 1-line block ×4, first 2 shown]
	s_waitcnt lgkmcnt(0)
	s_barrier
	ds_read2st64_b64 v[4:7], v8 offset1:4
	ds_read2st64_b64 v[0:3], v8 offset0:8 offset1:12
	s_add_u32 s0, s30, s36
	s_addc_u32 s1, s31, s37
	v_mov_b32_e32 v9, s1
	v_add_co_u32_e64 v8, s[0:1], s0, v8
	s_waitcnt lgkmcnt(1)
	v_xor_b32_e32 v5, 0x80000000, v5
	v_xor_b32_e32 v7, 0x80000000, v7
	s_waitcnt lgkmcnt(0)
	v_xor_b32_e32 v1, 0x80000000, v1
	s_andn2_b64 vcc, exec, s[34:35]
	v_addc_co_u32_e64 v9, s[0:1], 0, v9, s[0:1]
	s_cbranch_vccnz .LBB1394_32
; %bb.31:
	v_add_co_u32_e32 v12, vcc, 0x1000, v8
	v_addc_co_u32_e32 v13, vcc, 0, v9, vcc
	s_mov_b64 s[0:1], -1
	global_store_dwordx2 v[8:9], v[4:5], off
	global_store_dwordx2 v[8:9], v[6:7], off offset:2048
	global_store_dwordx2 v[12:13], v[0:1], off
	s_cbranch_execz .LBB1394_33
	s_branch .LBB1394_40
.LBB1394_32:
	s_mov_b64 s[0:1], 0
.LBB1394_33:
	v_cmp_gt_u32_e32 vcc, s33, v10
	s_and_saveexec_b64 s[0:1], vcc
	s_cbranch_execz .LBB1394_35
; %bb.34:
	global_store_dwordx2 v[8:9], v[4:5], off
.LBB1394_35:
	s_or_b64 exec, exec, s[0:1]
	v_add_u32_e32 v4, 0x100, v10
	v_cmp_gt_u32_e32 vcc, s33, v4
	s_and_saveexec_b64 s[0:1], vcc
	s_cbranch_execz .LBB1394_37
; %bb.36:
	global_store_dwordx2 v[8:9], v[6:7], off offset:2048
.LBB1394_37:
	s_or_b64 exec, exec, s[0:1]
	v_add_u32_e32 v4, 0x200, v10
	v_cmp_gt_u32_e32 vcc, s33, v4
	s_and_saveexec_b64 s[0:1], vcc
	s_cbranch_execz .LBB1394_39
; %bb.38:
	v_add_co_u32_e32 v4, vcc, 0x1000, v8
	v_addc_co_u32_e32 v5, vcc, 0, v9, vcc
	global_store_dwordx2 v[4:5], v[0:1], off
.LBB1394_39:
	s_or_b64 exec, exec, s[0:1]
	v_add_u32_e32 v0, 0x300, v10
	v_cmp_gt_u32_e64 s[0:1], s33, v0
.LBB1394_40:
	s_and_saveexec_b64 s[2:3], s[0:1]
	s_cbranch_execnz .LBB1394_42
; %bb.41:
	s_endpgm
.LBB1394_42:
	v_add_co_u32_e32 v0, vcc, 0x1000, v8
	v_xor_b32_e32 v3, 0x80000000, v3
	v_addc_co_u32_e32 v1, vcc, 0, v9, vcc
	global_store_dwordx2 v[0:1], v[2:3], off offset:2048
	s_endpgm
	.section	.rodata,"a",@progbits
	.p2align	6, 0x0
	.amdhsa_kernel _ZN7rocprim17ROCPRIM_400000_NS6detail17trampoline_kernelINS0_13kernel_configILj256ELj4ELj4294967295EEENS1_37radix_sort_block_sort_config_selectorIxNS0_10empty_typeEEEZNS1_21radix_sort_block_sortIS4_Lb0EN6thrust23THRUST_200600_302600_NS6detail15normal_iteratorINSA_10device_ptrIxEEEESF_PS6_SG_NS0_19identity_decomposerEEE10hipError_tT1_T2_T3_T4_jRjT5_jjP12ihipStream_tbEUlT_E_NS1_11comp_targetILNS1_3genE4ELNS1_11target_archE910ELNS1_3gpuE8ELNS1_3repE0EEENS1_44radix_sort_block_sort_config_static_selectorELNS0_4arch9wavefront6targetE1EEEvSJ_
		.amdhsa_group_segment_fixed_size 8192
		.amdhsa_private_segment_fixed_size 0
		.amdhsa_kernarg_size 304
		.amdhsa_user_sgpr_count 6
		.amdhsa_user_sgpr_private_segment_buffer 1
		.amdhsa_user_sgpr_dispatch_ptr 0
		.amdhsa_user_sgpr_queue_ptr 0
		.amdhsa_user_sgpr_kernarg_segment_ptr 1
		.amdhsa_user_sgpr_dispatch_id 0
		.amdhsa_user_sgpr_flat_scratch_init 0
		.amdhsa_user_sgpr_kernarg_preload_length 0
		.amdhsa_user_sgpr_kernarg_preload_offset 0
		.amdhsa_user_sgpr_private_segment_size 0
		.amdhsa_uses_dynamic_stack 0
		.amdhsa_system_sgpr_private_segment_wavefront_offset 0
		.amdhsa_system_sgpr_workgroup_id_x 1
		.amdhsa_system_sgpr_workgroup_id_y 0
		.amdhsa_system_sgpr_workgroup_id_z 0
		.amdhsa_system_sgpr_workgroup_info 0
		.amdhsa_system_vgpr_workitem_id 2
		.amdhsa_next_free_vgpr 42
		.amdhsa_next_free_sgpr 44
		.amdhsa_accum_offset 44
		.amdhsa_reserve_vcc 1
		.amdhsa_reserve_flat_scratch 0
		.amdhsa_float_round_mode_32 0
		.amdhsa_float_round_mode_16_64 0
		.amdhsa_float_denorm_mode_32 3
		.amdhsa_float_denorm_mode_16_64 3
		.amdhsa_dx10_clamp 1
		.amdhsa_ieee_mode 1
		.amdhsa_fp16_overflow 0
		.amdhsa_tg_split 0
		.amdhsa_exception_fp_ieee_invalid_op 0
		.amdhsa_exception_fp_denorm_src 0
		.amdhsa_exception_fp_ieee_div_zero 0
		.amdhsa_exception_fp_ieee_overflow 0
		.amdhsa_exception_fp_ieee_underflow 0
		.amdhsa_exception_fp_ieee_inexact 0
		.amdhsa_exception_int_div_zero 0
	.end_amdhsa_kernel
	.section	.text._ZN7rocprim17ROCPRIM_400000_NS6detail17trampoline_kernelINS0_13kernel_configILj256ELj4ELj4294967295EEENS1_37radix_sort_block_sort_config_selectorIxNS0_10empty_typeEEEZNS1_21radix_sort_block_sortIS4_Lb0EN6thrust23THRUST_200600_302600_NS6detail15normal_iteratorINSA_10device_ptrIxEEEESF_PS6_SG_NS0_19identity_decomposerEEE10hipError_tT1_T2_T3_T4_jRjT5_jjP12ihipStream_tbEUlT_E_NS1_11comp_targetILNS1_3genE4ELNS1_11target_archE910ELNS1_3gpuE8ELNS1_3repE0EEENS1_44radix_sort_block_sort_config_static_selectorELNS0_4arch9wavefront6targetE1EEEvSJ_,"axG",@progbits,_ZN7rocprim17ROCPRIM_400000_NS6detail17trampoline_kernelINS0_13kernel_configILj256ELj4ELj4294967295EEENS1_37radix_sort_block_sort_config_selectorIxNS0_10empty_typeEEEZNS1_21radix_sort_block_sortIS4_Lb0EN6thrust23THRUST_200600_302600_NS6detail15normal_iteratorINSA_10device_ptrIxEEEESF_PS6_SG_NS0_19identity_decomposerEEE10hipError_tT1_T2_T3_T4_jRjT5_jjP12ihipStream_tbEUlT_E_NS1_11comp_targetILNS1_3genE4ELNS1_11target_archE910ELNS1_3gpuE8ELNS1_3repE0EEENS1_44radix_sort_block_sort_config_static_selectorELNS0_4arch9wavefront6targetE1EEEvSJ_,comdat
.Lfunc_end1394:
	.size	_ZN7rocprim17ROCPRIM_400000_NS6detail17trampoline_kernelINS0_13kernel_configILj256ELj4ELj4294967295EEENS1_37radix_sort_block_sort_config_selectorIxNS0_10empty_typeEEEZNS1_21radix_sort_block_sortIS4_Lb0EN6thrust23THRUST_200600_302600_NS6detail15normal_iteratorINSA_10device_ptrIxEEEESF_PS6_SG_NS0_19identity_decomposerEEE10hipError_tT1_T2_T3_T4_jRjT5_jjP12ihipStream_tbEUlT_E_NS1_11comp_targetILNS1_3genE4ELNS1_11target_archE910ELNS1_3gpuE8ELNS1_3repE0EEENS1_44radix_sort_block_sort_config_static_selectorELNS0_4arch9wavefront6targetE1EEEvSJ_, .Lfunc_end1394-_ZN7rocprim17ROCPRIM_400000_NS6detail17trampoline_kernelINS0_13kernel_configILj256ELj4ELj4294967295EEENS1_37radix_sort_block_sort_config_selectorIxNS0_10empty_typeEEEZNS1_21radix_sort_block_sortIS4_Lb0EN6thrust23THRUST_200600_302600_NS6detail15normal_iteratorINSA_10device_ptrIxEEEESF_PS6_SG_NS0_19identity_decomposerEEE10hipError_tT1_T2_T3_T4_jRjT5_jjP12ihipStream_tbEUlT_E_NS1_11comp_targetILNS1_3genE4ELNS1_11target_archE910ELNS1_3gpuE8ELNS1_3repE0EEENS1_44radix_sort_block_sort_config_static_selectorELNS0_4arch9wavefront6targetE1EEEvSJ_
                                        ; -- End function
	.section	.AMDGPU.csdata,"",@progbits
; Kernel info:
; codeLenInByte = 3284
; NumSgprs: 48
; NumVgprs: 42
; NumAgprs: 0
; TotalNumVgprs: 42
; ScratchSize: 0
; MemoryBound: 1
; FloatMode: 240
; IeeeMode: 1
; LDSByteSize: 8192 bytes/workgroup (compile time only)
; SGPRBlocks: 5
; VGPRBlocks: 5
; NumSGPRsForWavesPerEU: 48
; NumVGPRsForWavesPerEU: 42
; AccumOffset: 44
; Occupancy: 8
; WaveLimiterHint : 1
; COMPUTE_PGM_RSRC2:SCRATCH_EN: 0
; COMPUTE_PGM_RSRC2:USER_SGPR: 6
; COMPUTE_PGM_RSRC2:TRAP_HANDLER: 0
; COMPUTE_PGM_RSRC2:TGID_X_EN: 1
; COMPUTE_PGM_RSRC2:TGID_Y_EN: 0
; COMPUTE_PGM_RSRC2:TGID_Z_EN: 0
; COMPUTE_PGM_RSRC2:TIDIG_COMP_CNT: 2
; COMPUTE_PGM_RSRC3_GFX90A:ACCUM_OFFSET: 10
; COMPUTE_PGM_RSRC3_GFX90A:TG_SPLIT: 0
	.section	.text._ZN7rocprim17ROCPRIM_400000_NS6detail17trampoline_kernelINS0_13kernel_configILj256ELj4ELj4294967295EEENS1_37radix_sort_block_sort_config_selectorIxNS0_10empty_typeEEEZNS1_21radix_sort_block_sortIS4_Lb0EN6thrust23THRUST_200600_302600_NS6detail15normal_iteratorINSA_10device_ptrIxEEEESF_PS6_SG_NS0_19identity_decomposerEEE10hipError_tT1_T2_T3_T4_jRjT5_jjP12ihipStream_tbEUlT_E_NS1_11comp_targetILNS1_3genE3ELNS1_11target_archE908ELNS1_3gpuE7ELNS1_3repE0EEENS1_44radix_sort_block_sort_config_static_selectorELNS0_4arch9wavefront6targetE1EEEvSJ_,"axG",@progbits,_ZN7rocprim17ROCPRIM_400000_NS6detail17trampoline_kernelINS0_13kernel_configILj256ELj4ELj4294967295EEENS1_37radix_sort_block_sort_config_selectorIxNS0_10empty_typeEEEZNS1_21radix_sort_block_sortIS4_Lb0EN6thrust23THRUST_200600_302600_NS6detail15normal_iteratorINSA_10device_ptrIxEEEESF_PS6_SG_NS0_19identity_decomposerEEE10hipError_tT1_T2_T3_T4_jRjT5_jjP12ihipStream_tbEUlT_E_NS1_11comp_targetILNS1_3genE3ELNS1_11target_archE908ELNS1_3gpuE7ELNS1_3repE0EEENS1_44radix_sort_block_sort_config_static_selectorELNS0_4arch9wavefront6targetE1EEEvSJ_,comdat
	.protected	_ZN7rocprim17ROCPRIM_400000_NS6detail17trampoline_kernelINS0_13kernel_configILj256ELj4ELj4294967295EEENS1_37radix_sort_block_sort_config_selectorIxNS0_10empty_typeEEEZNS1_21radix_sort_block_sortIS4_Lb0EN6thrust23THRUST_200600_302600_NS6detail15normal_iteratorINSA_10device_ptrIxEEEESF_PS6_SG_NS0_19identity_decomposerEEE10hipError_tT1_T2_T3_T4_jRjT5_jjP12ihipStream_tbEUlT_E_NS1_11comp_targetILNS1_3genE3ELNS1_11target_archE908ELNS1_3gpuE7ELNS1_3repE0EEENS1_44radix_sort_block_sort_config_static_selectorELNS0_4arch9wavefront6targetE1EEEvSJ_ ; -- Begin function _ZN7rocprim17ROCPRIM_400000_NS6detail17trampoline_kernelINS0_13kernel_configILj256ELj4ELj4294967295EEENS1_37radix_sort_block_sort_config_selectorIxNS0_10empty_typeEEEZNS1_21radix_sort_block_sortIS4_Lb0EN6thrust23THRUST_200600_302600_NS6detail15normal_iteratorINSA_10device_ptrIxEEEESF_PS6_SG_NS0_19identity_decomposerEEE10hipError_tT1_T2_T3_T4_jRjT5_jjP12ihipStream_tbEUlT_E_NS1_11comp_targetILNS1_3genE3ELNS1_11target_archE908ELNS1_3gpuE7ELNS1_3repE0EEENS1_44radix_sort_block_sort_config_static_selectorELNS0_4arch9wavefront6targetE1EEEvSJ_
	.globl	_ZN7rocprim17ROCPRIM_400000_NS6detail17trampoline_kernelINS0_13kernel_configILj256ELj4ELj4294967295EEENS1_37radix_sort_block_sort_config_selectorIxNS0_10empty_typeEEEZNS1_21radix_sort_block_sortIS4_Lb0EN6thrust23THRUST_200600_302600_NS6detail15normal_iteratorINSA_10device_ptrIxEEEESF_PS6_SG_NS0_19identity_decomposerEEE10hipError_tT1_T2_T3_T4_jRjT5_jjP12ihipStream_tbEUlT_E_NS1_11comp_targetILNS1_3genE3ELNS1_11target_archE908ELNS1_3gpuE7ELNS1_3repE0EEENS1_44radix_sort_block_sort_config_static_selectorELNS0_4arch9wavefront6targetE1EEEvSJ_
	.p2align	8
	.type	_ZN7rocprim17ROCPRIM_400000_NS6detail17trampoline_kernelINS0_13kernel_configILj256ELj4ELj4294967295EEENS1_37radix_sort_block_sort_config_selectorIxNS0_10empty_typeEEEZNS1_21radix_sort_block_sortIS4_Lb0EN6thrust23THRUST_200600_302600_NS6detail15normal_iteratorINSA_10device_ptrIxEEEESF_PS6_SG_NS0_19identity_decomposerEEE10hipError_tT1_T2_T3_T4_jRjT5_jjP12ihipStream_tbEUlT_E_NS1_11comp_targetILNS1_3genE3ELNS1_11target_archE908ELNS1_3gpuE7ELNS1_3repE0EEENS1_44radix_sort_block_sort_config_static_selectorELNS0_4arch9wavefront6targetE1EEEvSJ_,@function
_ZN7rocprim17ROCPRIM_400000_NS6detail17trampoline_kernelINS0_13kernel_configILj256ELj4ELj4294967295EEENS1_37radix_sort_block_sort_config_selectorIxNS0_10empty_typeEEEZNS1_21radix_sort_block_sortIS4_Lb0EN6thrust23THRUST_200600_302600_NS6detail15normal_iteratorINSA_10device_ptrIxEEEESF_PS6_SG_NS0_19identity_decomposerEEE10hipError_tT1_T2_T3_T4_jRjT5_jjP12ihipStream_tbEUlT_E_NS1_11comp_targetILNS1_3genE3ELNS1_11target_archE908ELNS1_3gpuE7ELNS1_3repE0EEENS1_44radix_sort_block_sort_config_static_selectorELNS0_4arch9wavefront6targetE1EEEvSJ_: ; @_ZN7rocprim17ROCPRIM_400000_NS6detail17trampoline_kernelINS0_13kernel_configILj256ELj4ELj4294967295EEENS1_37radix_sort_block_sort_config_selectorIxNS0_10empty_typeEEEZNS1_21radix_sort_block_sortIS4_Lb0EN6thrust23THRUST_200600_302600_NS6detail15normal_iteratorINSA_10device_ptrIxEEEESF_PS6_SG_NS0_19identity_decomposerEEE10hipError_tT1_T2_T3_T4_jRjT5_jjP12ihipStream_tbEUlT_E_NS1_11comp_targetILNS1_3genE3ELNS1_11target_archE908ELNS1_3gpuE7ELNS1_3repE0EEENS1_44radix_sort_block_sort_config_static_selectorELNS0_4arch9wavefront6targetE1EEEvSJ_
; %bb.0:
	.section	.rodata,"a",@progbits
	.p2align	6, 0x0
	.amdhsa_kernel _ZN7rocprim17ROCPRIM_400000_NS6detail17trampoline_kernelINS0_13kernel_configILj256ELj4ELj4294967295EEENS1_37radix_sort_block_sort_config_selectorIxNS0_10empty_typeEEEZNS1_21radix_sort_block_sortIS4_Lb0EN6thrust23THRUST_200600_302600_NS6detail15normal_iteratorINSA_10device_ptrIxEEEESF_PS6_SG_NS0_19identity_decomposerEEE10hipError_tT1_T2_T3_T4_jRjT5_jjP12ihipStream_tbEUlT_E_NS1_11comp_targetILNS1_3genE3ELNS1_11target_archE908ELNS1_3gpuE7ELNS1_3repE0EEENS1_44radix_sort_block_sort_config_static_selectorELNS0_4arch9wavefront6targetE1EEEvSJ_
		.amdhsa_group_segment_fixed_size 0
		.amdhsa_private_segment_fixed_size 0
		.amdhsa_kernarg_size 48
		.amdhsa_user_sgpr_count 6
		.amdhsa_user_sgpr_private_segment_buffer 1
		.amdhsa_user_sgpr_dispatch_ptr 0
		.amdhsa_user_sgpr_queue_ptr 0
		.amdhsa_user_sgpr_kernarg_segment_ptr 1
		.amdhsa_user_sgpr_dispatch_id 0
		.amdhsa_user_sgpr_flat_scratch_init 0
		.amdhsa_user_sgpr_kernarg_preload_length 0
		.amdhsa_user_sgpr_kernarg_preload_offset 0
		.amdhsa_user_sgpr_private_segment_size 0
		.amdhsa_uses_dynamic_stack 0
		.amdhsa_system_sgpr_private_segment_wavefront_offset 0
		.amdhsa_system_sgpr_workgroup_id_x 1
		.amdhsa_system_sgpr_workgroup_id_y 0
		.amdhsa_system_sgpr_workgroup_id_z 0
		.amdhsa_system_sgpr_workgroup_info 0
		.amdhsa_system_vgpr_workitem_id 0
		.amdhsa_next_free_vgpr 1
		.amdhsa_next_free_sgpr 0
		.amdhsa_accum_offset 4
		.amdhsa_reserve_vcc 0
		.amdhsa_reserve_flat_scratch 0
		.amdhsa_float_round_mode_32 0
		.amdhsa_float_round_mode_16_64 0
		.amdhsa_float_denorm_mode_32 3
		.amdhsa_float_denorm_mode_16_64 3
		.amdhsa_dx10_clamp 1
		.amdhsa_ieee_mode 1
		.amdhsa_fp16_overflow 0
		.amdhsa_tg_split 0
		.amdhsa_exception_fp_ieee_invalid_op 0
		.amdhsa_exception_fp_denorm_src 0
		.amdhsa_exception_fp_ieee_div_zero 0
		.amdhsa_exception_fp_ieee_overflow 0
		.amdhsa_exception_fp_ieee_underflow 0
		.amdhsa_exception_fp_ieee_inexact 0
		.amdhsa_exception_int_div_zero 0
	.end_amdhsa_kernel
	.section	.text._ZN7rocprim17ROCPRIM_400000_NS6detail17trampoline_kernelINS0_13kernel_configILj256ELj4ELj4294967295EEENS1_37radix_sort_block_sort_config_selectorIxNS0_10empty_typeEEEZNS1_21radix_sort_block_sortIS4_Lb0EN6thrust23THRUST_200600_302600_NS6detail15normal_iteratorINSA_10device_ptrIxEEEESF_PS6_SG_NS0_19identity_decomposerEEE10hipError_tT1_T2_T3_T4_jRjT5_jjP12ihipStream_tbEUlT_E_NS1_11comp_targetILNS1_3genE3ELNS1_11target_archE908ELNS1_3gpuE7ELNS1_3repE0EEENS1_44radix_sort_block_sort_config_static_selectorELNS0_4arch9wavefront6targetE1EEEvSJ_,"axG",@progbits,_ZN7rocprim17ROCPRIM_400000_NS6detail17trampoline_kernelINS0_13kernel_configILj256ELj4ELj4294967295EEENS1_37radix_sort_block_sort_config_selectorIxNS0_10empty_typeEEEZNS1_21radix_sort_block_sortIS4_Lb0EN6thrust23THRUST_200600_302600_NS6detail15normal_iteratorINSA_10device_ptrIxEEEESF_PS6_SG_NS0_19identity_decomposerEEE10hipError_tT1_T2_T3_T4_jRjT5_jjP12ihipStream_tbEUlT_E_NS1_11comp_targetILNS1_3genE3ELNS1_11target_archE908ELNS1_3gpuE7ELNS1_3repE0EEENS1_44radix_sort_block_sort_config_static_selectorELNS0_4arch9wavefront6targetE1EEEvSJ_,comdat
.Lfunc_end1395:
	.size	_ZN7rocprim17ROCPRIM_400000_NS6detail17trampoline_kernelINS0_13kernel_configILj256ELj4ELj4294967295EEENS1_37radix_sort_block_sort_config_selectorIxNS0_10empty_typeEEEZNS1_21radix_sort_block_sortIS4_Lb0EN6thrust23THRUST_200600_302600_NS6detail15normal_iteratorINSA_10device_ptrIxEEEESF_PS6_SG_NS0_19identity_decomposerEEE10hipError_tT1_T2_T3_T4_jRjT5_jjP12ihipStream_tbEUlT_E_NS1_11comp_targetILNS1_3genE3ELNS1_11target_archE908ELNS1_3gpuE7ELNS1_3repE0EEENS1_44radix_sort_block_sort_config_static_selectorELNS0_4arch9wavefront6targetE1EEEvSJ_, .Lfunc_end1395-_ZN7rocprim17ROCPRIM_400000_NS6detail17trampoline_kernelINS0_13kernel_configILj256ELj4ELj4294967295EEENS1_37radix_sort_block_sort_config_selectorIxNS0_10empty_typeEEEZNS1_21radix_sort_block_sortIS4_Lb0EN6thrust23THRUST_200600_302600_NS6detail15normal_iteratorINSA_10device_ptrIxEEEESF_PS6_SG_NS0_19identity_decomposerEEE10hipError_tT1_T2_T3_T4_jRjT5_jjP12ihipStream_tbEUlT_E_NS1_11comp_targetILNS1_3genE3ELNS1_11target_archE908ELNS1_3gpuE7ELNS1_3repE0EEENS1_44radix_sort_block_sort_config_static_selectorELNS0_4arch9wavefront6targetE1EEEvSJ_
                                        ; -- End function
	.section	.AMDGPU.csdata,"",@progbits
; Kernel info:
; codeLenInByte = 0
; NumSgprs: 4
; NumVgprs: 0
; NumAgprs: 0
; TotalNumVgprs: 0
; ScratchSize: 0
; MemoryBound: 0
; FloatMode: 240
; IeeeMode: 1
; LDSByteSize: 0 bytes/workgroup (compile time only)
; SGPRBlocks: 0
; VGPRBlocks: 0
; NumSGPRsForWavesPerEU: 4
; NumVGPRsForWavesPerEU: 1
; AccumOffset: 4
; Occupancy: 8
; WaveLimiterHint : 0
; COMPUTE_PGM_RSRC2:SCRATCH_EN: 0
; COMPUTE_PGM_RSRC2:USER_SGPR: 6
; COMPUTE_PGM_RSRC2:TRAP_HANDLER: 0
; COMPUTE_PGM_RSRC2:TGID_X_EN: 1
; COMPUTE_PGM_RSRC2:TGID_Y_EN: 0
; COMPUTE_PGM_RSRC2:TGID_Z_EN: 0
; COMPUTE_PGM_RSRC2:TIDIG_COMP_CNT: 0
; COMPUTE_PGM_RSRC3_GFX90A:ACCUM_OFFSET: 0
; COMPUTE_PGM_RSRC3_GFX90A:TG_SPLIT: 0
	.section	.text._ZN7rocprim17ROCPRIM_400000_NS6detail17trampoline_kernelINS0_13kernel_configILj256ELj4ELj4294967295EEENS1_37radix_sort_block_sort_config_selectorIxNS0_10empty_typeEEEZNS1_21radix_sort_block_sortIS4_Lb0EN6thrust23THRUST_200600_302600_NS6detail15normal_iteratorINSA_10device_ptrIxEEEESF_PS6_SG_NS0_19identity_decomposerEEE10hipError_tT1_T2_T3_T4_jRjT5_jjP12ihipStream_tbEUlT_E_NS1_11comp_targetILNS1_3genE2ELNS1_11target_archE906ELNS1_3gpuE6ELNS1_3repE0EEENS1_44radix_sort_block_sort_config_static_selectorELNS0_4arch9wavefront6targetE1EEEvSJ_,"axG",@progbits,_ZN7rocprim17ROCPRIM_400000_NS6detail17trampoline_kernelINS0_13kernel_configILj256ELj4ELj4294967295EEENS1_37radix_sort_block_sort_config_selectorIxNS0_10empty_typeEEEZNS1_21radix_sort_block_sortIS4_Lb0EN6thrust23THRUST_200600_302600_NS6detail15normal_iteratorINSA_10device_ptrIxEEEESF_PS6_SG_NS0_19identity_decomposerEEE10hipError_tT1_T2_T3_T4_jRjT5_jjP12ihipStream_tbEUlT_E_NS1_11comp_targetILNS1_3genE2ELNS1_11target_archE906ELNS1_3gpuE6ELNS1_3repE0EEENS1_44radix_sort_block_sort_config_static_selectorELNS0_4arch9wavefront6targetE1EEEvSJ_,comdat
	.protected	_ZN7rocprim17ROCPRIM_400000_NS6detail17trampoline_kernelINS0_13kernel_configILj256ELj4ELj4294967295EEENS1_37radix_sort_block_sort_config_selectorIxNS0_10empty_typeEEEZNS1_21radix_sort_block_sortIS4_Lb0EN6thrust23THRUST_200600_302600_NS6detail15normal_iteratorINSA_10device_ptrIxEEEESF_PS6_SG_NS0_19identity_decomposerEEE10hipError_tT1_T2_T3_T4_jRjT5_jjP12ihipStream_tbEUlT_E_NS1_11comp_targetILNS1_3genE2ELNS1_11target_archE906ELNS1_3gpuE6ELNS1_3repE0EEENS1_44radix_sort_block_sort_config_static_selectorELNS0_4arch9wavefront6targetE1EEEvSJ_ ; -- Begin function _ZN7rocprim17ROCPRIM_400000_NS6detail17trampoline_kernelINS0_13kernel_configILj256ELj4ELj4294967295EEENS1_37radix_sort_block_sort_config_selectorIxNS0_10empty_typeEEEZNS1_21radix_sort_block_sortIS4_Lb0EN6thrust23THRUST_200600_302600_NS6detail15normal_iteratorINSA_10device_ptrIxEEEESF_PS6_SG_NS0_19identity_decomposerEEE10hipError_tT1_T2_T3_T4_jRjT5_jjP12ihipStream_tbEUlT_E_NS1_11comp_targetILNS1_3genE2ELNS1_11target_archE906ELNS1_3gpuE6ELNS1_3repE0EEENS1_44radix_sort_block_sort_config_static_selectorELNS0_4arch9wavefront6targetE1EEEvSJ_
	.globl	_ZN7rocprim17ROCPRIM_400000_NS6detail17trampoline_kernelINS0_13kernel_configILj256ELj4ELj4294967295EEENS1_37radix_sort_block_sort_config_selectorIxNS0_10empty_typeEEEZNS1_21radix_sort_block_sortIS4_Lb0EN6thrust23THRUST_200600_302600_NS6detail15normal_iteratorINSA_10device_ptrIxEEEESF_PS6_SG_NS0_19identity_decomposerEEE10hipError_tT1_T2_T3_T4_jRjT5_jjP12ihipStream_tbEUlT_E_NS1_11comp_targetILNS1_3genE2ELNS1_11target_archE906ELNS1_3gpuE6ELNS1_3repE0EEENS1_44radix_sort_block_sort_config_static_selectorELNS0_4arch9wavefront6targetE1EEEvSJ_
	.p2align	8
	.type	_ZN7rocprim17ROCPRIM_400000_NS6detail17trampoline_kernelINS0_13kernel_configILj256ELj4ELj4294967295EEENS1_37radix_sort_block_sort_config_selectorIxNS0_10empty_typeEEEZNS1_21radix_sort_block_sortIS4_Lb0EN6thrust23THRUST_200600_302600_NS6detail15normal_iteratorINSA_10device_ptrIxEEEESF_PS6_SG_NS0_19identity_decomposerEEE10hipError_tT1_T2_T3_T4_jRjT5_jjP12ihipStream_tbEUlT_E_NS1_11comp_targetILNS1_3genE2ELNS1_11target_archE906ELNS1_3gpuE6ELNS1_3repE0EEENS1_44radix_sort_block_sort_config_static_selectorELNS0_4arch9wavefront6targetE1EEEvSJ_,@function
_ZN7rocprim17ROCPRIM_400000_NS6detail17trampoline_kernelINS0_13kernel_configILj256ELj4ELj4294967295EEENS1_37radix_sort_block_sort_config_selectorIxNS0_10empty_typeEEEZNS1_21radix_sort_block_sortIS4_Lb0EN6thrust23THRUST_200600_302600_NS6detail15normal_iteratorINSA_10device_ptrIxEEEESF_PS6_SG_NS0_19identity_decomposerEEE10hipError_tT1_T2_T3_T4_jRjT5_jjP12ihipStream_tbEUlT_E_NS1_11comp_targetILNS1_3genE2ELNS1_11target_archE906ELNS1_3gpuE6ELNS1_3repE0EEENS1_44radix_sort_block_sort_config_static_selectorELNS0_4arch9wavefront6targetE1EEEvSJ_: ; @_ZN7rocprim17ROCPRIM_400000_NS6detail17trampoline_kernelINS0_13kernel_configILj256ELj4ELj4294967295EEENS1_37radix_sort_block_sort_config_selectorIxNS0_10empty_typeEEEZNS1_21radix_sort_block_sortIS4_Lb0EN6thrust23THRUST_200600_302600_NS6detail15normal_iteratorINSA_10device_ptrIxEEEESF_PS6_SG_NS0_19identity_decomposerEEE10hipError_tT1_T2_T3_T4_jRjT5_jjP12ihipStream_tbEUlT_E_NS1_11comp_targetILNS1_3genE2ELNS1_11target_archE906ELNS1_3gpuE6ELNS1_3repE0EEENS1_44radix_sort_block_sort_config_static_selectorELNS0_4arch9wavefront6targetE1EEEvSJ_
; %bb.0:
	.section	.rodata,"a",@progbits
	.p2align	6, 0x0
	.amdhsa_kernel _ZN7rocprim17ROCPRIM_400000_NS6detail17trampoline_kernelINS0_13kernel_configILj256ELj4ELj4294967295EEENS1_37radix_sort_block_sort_config_selectorIxNS0_10empty_typeEEEZNS1_21radix_sort_block_sortIS4_Lb0EN6thrust23THRUST_200600_302600_NS6detail15normal_iteratorINSA_10device_ptrIxEEEESF_PS6_SG_NS0_19identity_decomposerEEE10hipError_tT1_T2_T3_T4_jRjT5_jjP12ihipStream_tbEUlT_E_NS1_11comp_targetILNS1_3genE2ELNS1_11target_archE906ELNS1_3gpuE6ELNS1_3repE0EEENS1_44radix_sort_block_sort_config_static_selectorELNS0_4arch9wavefront6targetE1EEEvSJ_
		.amdhsa_group_segment_fixed_size 0
		.amdhsa_private_segment_fixed_size 0
		.amdhsa_kernarg_size 48
		.amdhsa_user_sgpr_count 6
		.amdhsa_user_sgpr_private_segment_buffer 1
		.amdhsa_user_sgpr_dispatch_ptr 0
		.amdhsa_user_sgpr_queue_ptr 0
		.amdhsa_user_sgpr_kernarg_segment_ptr 1
		.amdhsa_user_sgpr_dispatch_id 0
		.amdhsa_user_sgpr_flat_scratch_init 0
		.amdhsa_user_sgpr_kernarg_preload_length 0
		.amdhsa_user_sgpr_kernarg_preload_offset 0
		.amdhsa_user_sgpr_private_segment_size 0
		.amdhsa_uses_dynamic_stack 0
		.amdhsa_system_sgpr_private_segment_wavefront_offset 0
		.amdhsa_system_sgpr_workgroup_id_x 1
		.amdhsa_system_sgpr_workgroup_id_y 0
		.amdhsa_system_sgpr_workgroup_id_z 0
		.amdhsa_system_sgpr_workgroup_info 0
		.amdhsa_system_vgpr_workitem_id 0
		.amdhsa_next_free_vgpr 1
		.amdhsa_next_free_sgpr 0
		.amdhsa_accum_offset 4
		.amdhsa_reserve_vcc 0
		.amdhsa_reserve_flat_scratch 0
		.amdhsa_float_round_mode_32 0
		.amdhsa_float_round_mode_16_64 0
		.amdhsa_float_denorm_mode_32 3
		.amdhsa_float_denorm_mode_16_64 3
		.amdhsa_dx10_clamp 1
		.amdhsa_ieee_mode 1
		.amdhsa_fp16_overflow 0
		.amdhsa_tg_split 0
		.amdhsa_exception_fp_ieee_invalid_op 0
		.amdhsa_exception_fp_denorm_src 0
		.amdhsa_exception_fp_ieee_div_zero 0
		.amdhsa_exception_fp_ieee_overflow 0
		.amdhsa_exception_fp_ieee_underflow 0
		.amdhsa_exception_fp_ieee_inexact 0
		.amdhsa_exception_int_div_zero 0
	.end_amdhsa_kernel
	.section	.text._ZN7rocprim17ROCPRIM_400000_NS6detail17trampoline_kernelINS0_13kernel_configILj256ELj4ELj4294967295EEENS1_37radix_sort_block_sort_config_selectorIxNS0_10empty_typeEEEZNS1_21radix_sort_block_sortIS4_Lb0EN6thrust23THRUST_200600_302600_NS6detail15normal_iteratorINSA_10device_ptrIxEEEESF_PS6_SG_NS0_19identity_decomposerEEE10hipError_tT1_T2_T3_T4_jRjT5_jjP12ihipStream_tbEUlT_E_NS1_11comp_targetILNS1_3genE2ELNS1_11target_archE906ELNS1_3gpuE6ELNS1_3repE0EEENS1_44radix_sort_block_sort_config_static_selectorELNS0_4arch9wavefront6targetE1EEEvSJ_,"axG",@progbits,_ZN7rocprim17ROCPRIM_400000_NS6detail17trampoline_kernelINS0_13kernel_configILj256ELj4ELj4294967295EEENS1_37radix_sort_block_sort_config_selectorIxNS0_10empty_typeEEEZNS1_21radix_sort_block_sortIS4_Lb0EN6thrust23THRUST_200600_302600_NS6detail15normal_iteratorINSA_10device_ptrIxEEEESF_PS6_SG_NS0_19identity_decomposerEEE10hipError_tT1_T2_T3_T4_jRjT5_jjP12ihipStream_tbEUlT_E_NS1_11comp_targetILNS1_3genE2ELNS1_11target_archE906ELNS1_3gpuE6ELNS1_3repE0EEENS1_44radix_sort_block_sort_config_static_selectorELNS0_4arch9wavefront6targetE1EEEvSJ_,comdat
.Lfunc_end1396:
	.size	_ZN7rocprim17ROCPRIM_400000_NS6detail17trampoline_kernelINS0_13kernel_configILj256ELj4ELj4294967295EEENS1_37radix_sort_block_sort_config_selectorIxNS0_10empty_typeEEEZNS1_21radix_sort_block_sortIS4_Lb0EN6thrust23THRUST_200600_302600_NS6detail15normal_iteratorINSA_10device_ptrIxEEEESF_PS6_SG_NS0_19identity_decomposerEEE10hipError_tT1_T2_T3_T4_jRjT5_jjP12ihipStream_tbEUlT_E_NS1_11comp_targetILNS1_3genE2ELNS1_11target_archE906ELNS1_3gpuE6ELNS1_3repE0EEENS1_44radix_sort_block_sort_config_static_selectorELNS0_4arch9wavefront6targetE1EEEvSJ_, .Lfunc_end1396-_ZN7rocprim17ROCPRIM_400000_NS6detail17trampoline_kernelINS0_13kernel_configILj256ELj4ELj4294967295EEENS1_37radix_sort_block_sort_config_selectorIxNS0_10empty_typeEEEZNS1_21radix_sort_block_sortIS4_Lb0EN6thrust23THRUST_200600_302600_NS6detail15normal_iteratorINSA_10device_ptrIxEEEESF_PS6_SG_NS0_19identity_decomposerEEE10hipError_tT1_T2_T3_T4_jRjT5_jjP12ihipStream_tbEUlT_E_NS1_11comp_targetILNS1_3genE2ELNS1_11target_archE906ELNS1_3gpuE6ELNS1_3repE0EEENS1_44radix_sort_block_sort_config_static_selectorELNS0_4arch9wavefront6targetE1EEEvSJ_
                                        ; -- End function
	.section	.AMDGPU.csdata,"",@progbits
; Kernel info:
; codeLenInByte = 0
; NumSgprs: 4
; NumVgprs: 0
; NumAgprs: 0
; TotalNumVgprs: 0
; ScratchSize: 0
; MemoryBound: 0
; FloatMode: 240
; IeeeMode: 1
; LDSByteSize: 0 bytes/workgroup (compile time only)
; SGPRBlocks: 0
; VGPRBlocks: 0
; NumSGPRsForWavesPerEU: 4
; NumVGPRsForWavesPerEU: 1
; AccumOffset: 4
; Occupancy: 8
; WaveLimiterHint : 0
; COMPUTE_PGM_RSRC2:SCRATCH_EN: 0
; COMPUTE_PGM_RSRC2:USER_SGPR: 6
; COMPUTE_PGM_RSRC2:TRAP_HANDLER: 0
; COMPUTE_PGM_RSRC2:TGID_X_EN: 1
; COMPUTE_PGM_RSRC2:TGID_Y_EN: 0
; COMPUTE_PGM_RSRC2:TGID_Z_EN: 0
; COMPUTE_PGM_RSRC2:TIDIG_COMP_CNT: 0
; COMPUTE_PGM_RSRC3_GFX90A:ACCUM_OFFSET: 0
; COMPUTE_PGM_RSRC3_GFX90A:TG_SPLIT: 0
	.section	.text._ZN7rocprim17ROCPRIM_400000_NS6detail17trampoline_kernelINS0_13kernel_configILj256ELj4ELj4294967295EEENS1_37radix_sort_block_sort_config_selectorIxNS0_10empty_typeEEEZNS1_21radix_sort_block_sortIS4_Lb0EN6thrust23THRUST_200600_302600_NS6detail15normal_iteratorINSA_10device_ptrIxEEEESF_PS6_SG_NS0_19identity_decomposerEEE10hipError_tT1_T2_T3_T4_jRjT5_jjP12ihipStream_tbEUlT_E_NS1_11comp_targetILNS1_3genE10ELNS1_11target_archE1201ELNS1_3gpuE5ELNS1_3repE0EEENS1_44radix_sort_block_sort_config_static_selectorELNS0_4arch9wavefront6targetE1EEEvSJ_,"axG",@progbits,_ZN7rocprim17ROCPRIM_400000_NS6detail17trampoline_kernelINS0_13kernel_configILj256ELj4ELj4294967295EEENS1_37radix_sort_block_sort_config_selectorIxNS0_10empty_typeEEEZNS1_21radix_sort_block_sortIS4_Lb0EN6thrust23THRUST_200600_302600_NS6detail15normal_iteratorINSA_10device_ptrIxEEEESF_PS6_SG_NS0_19identity_decomposerEEE10hipError_tT1_T2_T3_T4_jRjT5_jjP12ihipStream_tbEUlT_E_NS1_11comp_targetILNS1_3genE10ELNS1_11target_archE1201ELNS1_3gpuE5ELNS1_3repE0EEENS1_44radix_sort_block_sort_config_static_selectorELNS0_4arch9wavefront6targetE1EEEvSJ_,comdat
	.protected	_ZN7rocprim17ROCPRIM_400000_NS6detail17trampoline_kernelINS0_13kernel_configILj256ELj4ELj4294967295EEENS1_37radix_sort_block_sort_config_selectorIxNS0_10empty_typeEEEZNS1_21radix_sort_block_sortIS4_Lb0EN6thrust23THRUST_200600_302600_NS6detail15normal_iteratorINSA_10device_ptrIxEEEESF_PS6_SG_NS0_19identity_decomposerEEE10hipError_tT1_T2_T3_T4_jRjT5_jjP12ihipStream_tbEUlT_E_NS1_11comp_targetILNS1_3genE10ELNS1_11target_archE1201ELNS1_3gpuE5ELNS1_3repE0EEENS1_44radix_sort_block_sort_config_static_selectorELNS0_4arch9wavefront6targetE1EEEvSJ_ ; -- Begin function _ZN7rocprim17ROCPRIM_400000_NS6detail17trampoline_kernelINS0_13kernel_configILj256ELj4ELj4294967295EEENS1_37radix_sort_block_sort_config_selectorIxNS0_10empty_typeEEEZNS1_21radix_sort_block_sortIS4_Lb0EN6thrust23THRUST_200600_302600_NS6detail15normal_iteratorINSA_10device_ptrIxEEEESF_PS6_SG_NS0_19identity_decomposerEEE10hipError_tT1_T2_T3_T4_jRjT5_jjP12ihipStream_tbEUlT_E_NS1_11comp_targetILNS1_3genE10ELNS1_11target_archE1201ELNS1_3gpuE5ELNS1_3repE0EEENS1_44radix_sort_block_sort_config_static_selectorELNS0_4arch9wavefront6targetE1EEEvSJ_
	.globl	_ZN7rocprim17ROCPRIM_400000_NS6detail17trampoline_kernelINS0_13kernel_configILj256ELj4ELj4294967295EEENS1_37radix_sort_block_sort_config_selectorIxNS0_10empty_typeEEEZNS1_21radix_sort_block_sortIS4_Lb0EN6thrust23THRUST_200600_302600_NS6detail15normal_iteratorINSA_10device_ptrIxEEEESF_PS6_SG_NS0_19identity_decomposerEEE10hipError_tT1_T2_T3_T4_jRjT5_jjP12ihipStream_tbEUlT_E_NS1_11comp_targetILNS1_3genE10ELNS1_11target_archE1201ELNS1_3gpuE5ELNS1_3repE0EEENS1_44radix_sort_block_sort_config_static_selectorELNS0_4arch9wavefront6targetE1EEEvSJ_
	.p2align	8
	.type	_ZN7rocprim17ROCPRIM_400000_NS6detail17trampoline_kernelINS0_13kernel_configILj256ELj4ELj4294967295EEENS1_37radix_sort_block_sort_config_selectorIxNS0_10empty_typeEEEZNS1_21radix_sort_block_sortIS4_Lb0EN6thrust23THRUST_200600_302600_NS6detail15normal_iteratorINSA_10device_ptrIxEEEESF_PS6_SG_NS0_19identity_decomposerEEE10hipError_tT1_T2_T3_T4_jRjT5_jjP12ihipStream_tbEUlT_E_NS1_11comp_targetILNS1_3genE10ELNS1_11target_archE1201ELNS1_3gpuE5ELNS1_3repE0EEENS1_44radix_sort_block_sort_config_static_selectorELNS0_4arch9wavefront6targetE1EEEvSJ_,@function
_ZN7rocprim17ROCPRIM_400000_NS6detail17trampoline_kernelINS0_13kernel_configILj256ELj4ELj4294967295EEENS1_37radix_sort_block_sort_config_selectorIxNS0_10empty_typeEEEZNS1_21radix_sort_block_sortIS4_Lb0EN6thrust23THRUST_200600_302600_NS6detail15normal_iteratorINSA_10device_ptrIxEEEESF_PS6_SG_NS0_19identity_decomposerEEE10hipError_tT1_T2_T3_T4_jRjT5_jjP12ihipStream_tbEUlT_E_NS1_11comp_targetILNS1_3genE10ELNS1_11target_archE1201ELNS1_3gpuE5ELNS1_3repE0EEENS1_44radix_sort_block_sort_config_static_selectorELNS0_4arch9wavefront6targetE1EEEvSJ_: ; @_ZN7rocprim17ROCPRIM_400000_NS6detail17trampoline_kernelINS0_13kernel_configILj256ELj4ELj4294967295EEENS1_37radix_sort_block_sort_config_selectorIxNS0_10empty_typeEEEZNS1_21radix_sort_block_sortIS4_Lb0EN6thrust23THRUST_200600_302600_NS6detail15normal_iteratorINSA_10device_ptrIxEEEESF_PS6_SG_NS0_19identity_decomposerEEE10hipError_tT1_T2_T3_T4_jRjT5_jjP12ihipStream_tbEUlT_E_NS1_11comp_targetILNS1_3genE10ELNS1_11target_archE1201ELNS1_3gpuE5ELNS1_3repE0EEENS1_44radix_sort_block_sort_config_static_selectorELNS0_4arch9wavefront6targetE1EEEvSJ_
; %bb.0:
	.section	.rodata,"a",@progbits
	.p2align	6, 0x0
	.amdhsa_kernel _ZN7rocprim17ROCPRIM_400000_NS6detail17trampoline_kernelINS0_13kernel_configILj256ELj4ELj4294967295EEENS1_37radix_sort_block_sort_config_selectorIxNS0_10empty_typeEEEZNS1_21radix_sort_block_sortIS4_Lb0EN6thrust23THRUST_200600_302600_NS6detail15normal_iteratorINSA_10device_ptrIxEEEESF_PS6_SG_NS0_19identity_decomposerEEE10hipError_tT1_T2_T3_T4_jRjT5_jjP12ihipStream_tbEUlT_E_NS1_11comp_targetILNS1_3genE10ELNS1_11target_archE1201ELNS1_3gpuE5ELNS1_3repE0EEENS1_44radix_sort_block_sort_config_static_selectorELNS0_4arch9wavefront6targetE1EEEvSJ_
		.amdhsa_group_segment_fixed_size 0
		.amdhsa_private_segment_fixed_size 0
		.amdhsa_kernarg_size 48
		.amdhsa_user_sgpr_count 6
		.amdhsa_user_sgpr_private_segment_buffer 1
		.amdhsa_user_sgpr_dispatch_ptr 0
		.amdhsa_user_sgpr_queue_ptr 0
		.amdhsa_user_sgpr_kernarg_segment_ptr 1
		.amdhsa_user_sgpr_dispatch_id 0
		.amdhsa_user_sgpr_flat_scratch_init 0
		.amdhsa_user_sgpr_kernarg_preload_length 0
		.amdhsa_user_sgpr_kernarg_preload_offset 0
		.amdhsa_user_sgpr_private_segment_size 0
		.amdhsa_uses_dynamic_stack 0
		.amdhsa_system_sgpr_private_segment_wavefront_offset 0
		.amdhsa_system_sgpr_workgroup_id_x 1
		.amdhsa_system_sgpr_workgroup_id_y 0
		.amdhsa_system_sgpr_workgroup_id_z 0
		.amdhsa_system_sgpr_workgroup_info 0
		.amdhsa_system_vgpr_workitem_id 0
		.amdhsa_next_free_vgpr 1
		.amdhsa_next_free_sgpr 0
		.amdhsa_accum_offset 4
		.amdhsa_reserve_vcc 0
		.amdhsa_reserve_flat_scratch 0
		.amdhsa_float_round_mode_32 0
		.amdhsa_float_round_mode_16_64 0
		.amdhsa_float_denorm_mode_32 3
		.amdhsa_float_denorm_mode_16_64 3
		.amdhsa_dx10_clamp 1
		.amdhsa_ieee_mode 1
		.amdhsa_fp16_overflow 0
		.amdhsa_tg_split 0
		.amdhsa_exception_fp_ieee_invalid_op 0
		.amdhsa_exception_fp_denorm_src 0
		.amdhsa_exception_fp_ieee_div_zero 0
		.amdhsa_exception_fp_ieee_overflow 0
		.amdhsa_exception_fp_ieee_underflow 0
		.amdhsa_exception_fp_ieee_inexact 0
		.amdhsa_exception_int_div_zero 0
	.end_amdhsa_kernel
	.section	.text._ZN7rocprim17ROCPRIM_400000_NS6detail17trampoline_kernelINS0_13kernel_configILj256ELj4ELj4294967295EEENS1_37radix_sort_block_sort_config_selectorIxNS0_10empty_typeEEEZNS1_21radix_sort_block_sortIS4_Lb0EN6thrust23THRUST_200600_302600_NS6detail15normal_iteratorINSA_10device_ptrIxEEEESF_PS6_SG_NS0_19identity_decomposerEEE10hipError_tT1_T2_T3_T4_jRjT5_jjP12ihipStream_tbEUlT_E_NS1_11comp_targetILNS1_3genE10ELNS1_11target_archE1201ELNS1_3gpuE5ELNS1_3repE0EEENS1_44radix_sort_block_sort_config_static_selectorELNS0_4arch9wavefront6targetE1EEEvSJ_,"axG",@progbits,_ZN7rocprim17ROCPRIM_400000_NS6detail17trampoline_kernelINS0_13kernel_configILj256ELj4ELj4294967295EEENS1_37radix_sort_block_sort_config_selectorIxNS0_10empty_typeEEEZNS1_21radix_sort_block_sortIS4_Lb0EN6thrust23THRUST_200600_302600_NS6detail15normal_iteratorINSA_10device_ptrIxEEEESF_PS6_SG_NS0_19identity_decomposerEEE10hipError_tT1_T2_T3_T4_jRjT5_jjP12ihipStream_tbEUlT_E_NS1_11comp_targetILNS1_3genE10ELNS1_11target_archE1201ELNS1_3gpuE5ELNS1_3repE0EEENS1_44radix_sort_block_sort_config_static_selectorELNS0_4arch9wavefront6targetE1EEEvSJ_,comdat
.Lfunc_end1397:
	.size	_ZN7rocprim17ROCPRIM_400000_NS6detail17trampoline_kernelINS0_13kernel_configILj256ELj4ELj4294967295EEENS1_37radix_sort_block_sort_config_selectorIxNS0_10empty_typeEEEZNS1_21radix_sort_block_sortIS4_Lb0EN6thrust23THRUST_200600_302600_NS6detail15normal_iteratorINSA_10device_ptrIxEEEESF_PS6_SG_NS0_19identity_decomposerEEE10hipError_tT1_T2_T3_T4_jRjT5_jjP12ihipStream_tbEUlT_E_NS1_11comp_targetILNS1_3genE10ELNS1_11target_archE1201ELNS1_3gpuE5ELNS1_3repE0EEENS1_44radix_sort_block_sort_config_static_selectorELNS0_4arch9wavefront6targetE1EEEvSJ_, .Lfunc_end1397-_ZN7rocprim17ROCPRIM_400000_NS6detail17trampoline_kernelINS0_13kernel_configILj256ELj4ELj4294967295EEENS1_37radix_sort_block_sort_config_selectorIxNS0_10empty_typeEEEZNS1_21radix_sort_block_sortIS4_Lb0EN6thrust23THRUST_200600_302600_NS6detail15normal_iteratorINSA_10device_ptrIxEEEESF_PS6_SG_NS0_19identity_decomposerEEE10hipError_tT1_T2_T3_T4_jRjT5_jjP12ihipStream_tbEUlT_E_NS1_11comp_targetILNS1_3genE10ELNS1_11target_archE1201ELNS1_3gpuE5ELNS1_3repE0EEENS1_44radix_sort_block_sort_config_static_selectorELNS0_4arch9wavefront6targetE1EEEvSJ_
                                        ; -- End function
	.section	.AMDGPU.csdata,"",@progbits
; Kernel info:
; codeLenInByte = 0
; NumSgprs: 4
; NumVgprs: 0
; NumAgprs: 0
; TotalNumVgprs: 0
; ScratchSize: 0
; MemoryBound: 0
; FloatMode: 240
; IeeeMode: 1
; LDSByteSize: 0 bytes/workgroup (compile time only)
; SGPRBlocks: 0
; VGPRBlocks: 0
; NumSGPRsForWavesPerEU: 4
; NumVGPRsForWavesPerEU: 1
; AccumOffset: 4
; Occupancy: 8
; WaveLimiterHint : 0
; COMPUTE_PGM_RSRC2:SCRATCH_EN: 0
; COMPUTE_PGM_RSRC2:USER_SGPR: 6
; COMPUTE_PGM_RSRC2:TRAP_HANDLER: 0
; COMPUTE_PGM_RSRC2:TGID_X_EN: 1
; COMPUTE_PGM_RSRC2:TGID_Y_EN: 0
; COMPUTE_PGM_RSRC2:TGID_Z_EN: 0
; COMPUTE_PGM_RSRC2:TIDIG_COMP_CNT: 0
; COMPUTE_PGM_RSRC3_GFX90A:ACCUM_OFFSET: 0
; COMPUTE_PGM_RSRC3_GFX90A:TG_SPLIT: 0
	.section	.text._ZN7rocprim17ROCPRIM_400000_NS6detail17trampoline_kernelINS0_13kernel_configILj256ELj4ELj4294967295EEENS1_37radix_sort_block_sort_config_selectorIxNS0_10empty_typeEEEZNS1_21radix_sort_block_sortIS4_Lb0EN6thrust23THRUST_200600_302600_NS6detail15normal_iteratorINSA_10device_ptrIxEEEESF_PS6_SG_NS0_19identity_decomposerEEE10hipError_tT1_T2_T3_T4_jRjT5_jjP12ihipStream_tbEUlT_E_NS1_11comp_targetILNS1_3genE10ELNS1_11target_archE1200ELNS1_3gpuE4ELNS1_3repE0EEENS1_44radix_sort_block_sort_config_static_selectorELNS0_4arch9wavefront6targetE1EEEvSJ_,"axG",@progbits,_ZN7rocprim17ROCPRIM_400000_NS6detail17trampoline_kernelINS0_13kernel_configILj256ELj4ELj4294967295EEENS1_37radix_sort_block_sort_config_selectorIxNS0_10empty_typeEEEZNS1_21radix_sort_block_sortIS4_Lb0EN6thrust23THRUST_200600_302600_NS6detail15normal_iteratorINSA_10device_ptrIxEEEESF_PS6_SG_NS0_19identity_decomposerEEE10hipError_tT1_T2_T3_T4_jRjT5_jjP12ihipStream_tbEUlT_E_NS1_11comp_targetILNS1_3genE10ELNS1_11target_archE1200ELNS1_3gpuE4ELNS1_3repE0EEENS1_44radix_sort_block_sort_config_static_selectorELNS0_4arch9wavefront6targetE1EEEvSJ_,comdat
	.protected	_ZN7rocprim17ROCPRIM_400000_NS6detail17trampoline_kernelINS0_13kernel_configILj256ELj4ELj4294967295EEENS1_37radix_sort_block_sort_config_selectorIxNS0_10empty_typeEEEZNS1_21radix_sort_block_sortIS4_Lb0EN6thrust23THRUST_200600_302600_NS6detail15normal_iteratorINSA_10device_ptrIxEEEESF_PS6_SG_NS0_19identity_decomposerEEE10hipError_tT1_T2_T3_T4_jRjT5_jjP12ihipStream_tbEUlT_E_NS1_11comp_targetILNS1_3genE10ELNS1_11target_archE1200ELNS1_3gpuE4ELNS1_3repE0EEENS1_44radix_sort_block_sort_config_static_selectorELNS0_4arch9wavefront6targetE1EEEvSJ_ ; -- Begin function _ZN7rocprim17ROCPRIM_400000_NS6detail17trampoline_kernelINS0_13kernel_configILj256ELj4ELj4294967295EEENS1_37radix_sort_block_sort_config_selectorIxNS0_10empty_typeEEEZNS1_21radix_sort_block_sortIS4_Lb0EN6thrust23THRUST_200600_302600_NS6detail15normal_iteratorINSA_10device_ptrIxEEEESF_PS6_SG_NS0_19identity_decomposerEEE10hipError_tT1_T2_T3_T4_jRjT5_jjP12ihipStream_tbEUlT_E_NS1_11comp_targetILNS1_3genE10ELNS1_11target_archE1200ELNS1_3gpuE4ELNS1_3repE0EEENS1_44radix_sort_block_sort_config_static_selectorELNS0_4arch9wavefront6targetE1EEEvSJ_
	.globl	_ZN7rocprim17ROCPRIM_400000_NS6detail17trampoline_kernelINS0_13kernel_configILj256ELj4ELj4294967295EEENS1_37radix_sort_block_sort_config_selectorIxNS0_10empty_typeEEEZNS1_21radix_sort_block_sortIS4_Lb0EN6thrust23THRUST_200600_302600_NS6detail15normal_iteratorINSA_10device_ptrIxEEEESF_PS6_SG_NS0_19identity_decomposerEEE10hipError_tT1_T2_T3_T4_jRjT5_jjP12ihipStream_tbEUlT_E_NS1_11comp_targetILNS1_3genE10ELNS1_11target_archE1200ELNS1_3gpuE4ELNS1_3repE0EEENS1_44radix_sort_block_sort_config_static_selectorELNS0_4arch9wavefront6targetE1EEEvSJ_
	.p2align	8
	.type	_ZN7rocprim17ROCPRIM_400000_NS6detail17trampoline_kernelINS0_13kernel_configILj256ELj4ELj4294967295EEENS1_37radix_sort_block_sort_config_selectorIxNS0_10empty_typeEEEZNS1_21radix_sort_block_sortIS4_Lb0EN6thrust23THRUST_200600_302600_NS6detail15normal_iteratorINSA_10device_ptrIxEEEESF_PS6_SG_NS0_19identity_decomposerEEE10hipError_tT1_T2_T3_T4_jRjT5_jjP12ihipStream_tbEUlT_E_NS1_11comp_targetILNS1_3genE10ELNS1_11target_archE1200ELNS1_3gpuE4ELNS1_3repE0EEENS1_44radix_sort_block_sort_config_static_selectorELNS0_4arch9wavefront6targetE1EEEvSJ_,@function
_ZN7rocprim17ROCPRIM_400000_NS6detail17trampoline_kernelINS0_13kernel_configILj256ELj4ELj4294967295EEENS1_37radix_sort_block_sort_config_selectorIxNS0_10empty_typeEEEZNS1_21radix_sort_block_sortIS4_Lb0EN6thrust23THRUST_200600_302600_NS6detail15normal_iteratorINSA_10device_ptrIxEEEESF_PS6_SG_NS0_19identity_decomposerEEE10hipError_tT1_T2_T3_T4_jRjT5_jjP12ihipStream_tbEUlT_E_NS1_11comp_targetILNS1_3genE10ELNS1_11target_archE1200ELNS1_3gpuE4ELNS1_3repE0EEENS1_44radix_sort_block_sort_config_static_selectorELNS0_4arch9wavefront6targetE1EEEvSJ_: ; @_ZN7rocprim17ROCPRIM_400000_NS6detail17trampoline_kernelINS0_13kernel_configILj256ELj4ELj4294967295EEENS1_37radix_sort_block_sort_config_selectorIxNS0_10empty_typeEEEZNS1_21radix_sort_block_sortIS4_Lb0EN6thrust23THRUST_200600_302600_NS6detail15normal_iteratorINSA_10device_ptrIxEEEESF_PS6_SG_NS0_19identity_decomposerEEE10hipError_tT1_T2_T3_T4_jRjT5_jjP12ihipStream_tbEUlT_E_NS1_11comp_targetILNS1_3genE10ELNS1_11target_archE1200ELNS1_3gpuE4ELNS1_3repE0EEENS1_44radix_sort_block_sort_config_static_selectorELNS0_4arch9wavefront6targetE1EEEvSJ_
; %bb.0:
	.section	.rodata,"a",@progbits
	.p2align	6, 0x0
	.amdhsa_kernel _ZN7rocprim17ROCPRIM_400000_NS6detail17trampoline_kernelINS0_13kernel_configILj256ELj4ELj4294967295EEENS1_37radix_sort_block_sort_config_selectorIxNS0_10empty_typeEEEZNS1_21radix_sort_block_sortIS4_Lb0EN6thrust23THRUST_200600_302600_NS6detail15normal_iteratorINSA_10device_ptrIxEEEESF_PS6_SG_NS0_19identity_decomposerEEE10hipError_tT1_T2_T3_T4_jRjT5_jjP12ihipStream_tbEUlT_E_NS1_11comp_targetILNS1_3genE10ELNS1_11target_archE1200ELNS1_3gpuE4ELNS1_3repE0EEENS1_44radix_sort_block_sort_config_static_selectorELNS0_4arch9wavefront6targetE1EEEvSJ_
		.amdhsa_group_segment_fixed_size 0
		.amdhsa_private_segment_fixed_size 0
		.amdhsa_kernarg_size 48
		.amdhsa_user_sgpr_count 6
		.amdhsa_user_sgpr_private_segment_buffer 1
		.amdhsa_user_sgpr_dispatch_ptr 0
		.amdhsa_user_sgpr_queue_ptr 0
		.amdhsa_user_sgpr_kernarg_segment_ptr 1
		.amdhsa_user_sgpr_dispatch_id 0
		.amdhsa_user_sgpr_flat_scratch_init 0
		.amdhsa_user_sgpr_kernarg_preload_length 0
		.amdhsa_user_sgpr_kernarg_preload_offset 0
		.amdhsa_user_sgpr_private_segment_size 0
		.amdhsa_uses_dynamic_stack 0
		.amdhsa_system_sgpr_private_segment_wavefront_offset 0
		.amdhsa_system_sgpr_workgroup_id_x 1
		.amdhsa_system_sgpr_workgroup_id_y 0
		.amdhsa_system_sgpr_workgroup_id_z 0
		.amdhsa_system_sgpr_workgroup_info 0
		.amdhsa_system_vgpr_workitem_id 0
		.amdhsa_next_free_vgpr 1
		.amdhsa_next_free_sgpr 0
		.amdhsa_accum_offset 4
		.amdhsa_reserve_vcc 0
		.amdhsa_reserve_flat_scratch 0
		.amdhsa_float_round_mode_32 0
		.amdhsa_float_round_mode_16_64 0
		.amdhsa_float_denorm_mode_32 3
		.amdhsa_float_denorm_mode_16_64 3
		.amdhsa_dx10_clamp 1
		.amdhsa_ieee_mode 1
		.amdhsa_fp16_overflow 0
		.amdhsa_tg_split 0
		.amdhsa_exception_fp_ieee_invalid_op 0
		.amdhsa_exception_fp_denorm_src 0
		.amdhsa_exception_fp_ieee_div_zero 0
		.amdhsa_exception_fp_ieee_overflow 0
		.amdhsa_exception_fp_ieee_underflow 0
		.amdhsa_exception_fp_ieee_inexact 0
		.amdhsa_exception_int_div_zero 0
	.end_amdhsa_kernel
	.section	.text._ZN7rocprim17ROCPRIM_400000_NS6detail17trampoline_kernelINS0_13kernel_configILj256ELj4ELj4294967295EEENS1_37radix_sort_block_sort_config_selectorIxNS0_10empty_typeEEEZNS1_21radix_sort_block_sortIS4_Lb0EN6thrust23THRUST_200600_302600_NS6detail15normal_iteratorINSA_10device_ptrIxEEEESF_PS6_SG_NS0_19identity_decomposerEEE10hipError_tT1_T2_T3_T4_jRjT5_jjP12ihipStream_tbEUlT_E_NS1_11comp_targetILNS1_3genE10ELNS1_11target_archE1200ELNS1_3gpuE4ELNS1_3repE0EEENS1_44radix_sort_block_sort_config_static_selectorELNS0_4arch9wavefront6targetE1EEEvSJ_,"axG",@progbits,_ZN7rocprim17ROCPRIM_400000_NS6detail17trampoline_kernelINS0_13kernel_configILj256ELj4ELj4294967295EEENS1_37radix_sort_block_sort_config_selectorIxNS0_10empty_typeEEEZNS1_21radix_sort_block_sortIS4_Lb0EN6thrust23THRUST_200600_302600_NS6detail15normal_iteratorINSA_10device_ptrIxEEEESF_PS6_SG_NS0_19identity_decomposerEEE10hipError_tT1_T2_T3_T4_jRjT5_jjP12ihipStream_tbEUlT_E_NS1_11comp_targetILNS1_3genE10ELNS1_11target_archE1200ELNS1_3gpuE4ELNS1_3repE0EEENS1_44radix_sort_block_sort_config_static_selectorELNS0_4arch9wavefront6targetE1EEEvSJ_,comdat
.Lfunc_end1398:
	.size	_ZN7rocprim17ROCPRIM_400000_NS6detail17trampoline_kernelINS0_13kernel_configILj256ELj4ELj4294967295EEENS1_37radix_sort_block_sort_config_selectorIxNS0_10empty_typeEEEZNS1_21radix_sort_block_sortIS4_Lb0EN6thrust23THRUST_200600_302600_NS6detail15normal_iteratorINSA_10device_ptrIxEEEESF_PS6_SG_NS0_19identity_decomposerEEE10hipError_tT1_T2_T3_T4_jRjT5_jjP12ihipStream_tbEUlT_E_NS1_11comp_targetILNS1_3genE10ELNS1_11target_archE1200ELNS1_3gpuE4ELNS1_3repE0EEENS1_44radix_sort_block_sort_config_static_selectorELNS0_4arch9wavefront6targetE1EEEvSJ_, .Lfunc_end1398-_ZN7rocprim17ROCPRIM_400000_NS6detail17trampoline_kernelINS0_13kernel_configILj256ELj4ELj4294967295EEENS1_37radix_sort_block_sort_config_selectorIxNS0_10empty_typeEEEZNS1_21radix_sort_block_sortIS4_Lb0EN6thrust23THRUST_200600_302600_NS6detail15normal_iteratorINSA_10device_ptrIxEEEESF_PS6_SG_NS0_19identity_decomposerEEE10hipError_tT1_T2_T3_T4_jRjT5_jjP12ihipStream_tbEUlT_E_NS1_11comp_targetILNS1_3genE10ELNS1_11target_archE1200ELNS1_3gpuE4ELNS1_3repE0EEENS1_44radix_sort_block_sort_config_static_selectorELNS0_4arch9wavefront6targetE1EEEvSJ_
                                        ; -- End function
	.section	.AMDGPU.csdata,"",@progbits
; Kernel info:
; codeLenInByte = 0
; NumSgprs: 4
; NumVgprs: 0
; NumAgprs: 0
; TotalNumVgprs: 0
; ScratchSize: 0
; MemoryBound: 0
; FloatMode: 240
; IeeeMode: 1
; LDSByteSize: 0 bytes/workgroup (compile time only)
; SGPRBlocks: 0
; VGPRBlocks: 0
; NumSGPRsForWavesPerEU: 4
; NumVGPRsForWavesPerEU: 1
; AccumOffset: 4
; Occupancy: 8
; WaveLimiterHint : 0
; COMPUTE_PGM_RSRC2:SCRATCH_EN: 0
; COMPUTE_PGM_RSRC2:USER_SGPR: 6
; COMPUTE_PGM_RSRC2:TRAP_HANDLER: 0
; COMPUTE_PGM_RSRC2:TGID_X_EN: 1
; COMPUTE_PGM_RSRC2:TGID_Y_EN: 0
; COMPUTE_PGM_RSRC2:TGID_Z_EN: 0
; COMPUTE_PGM_RSRC2:TIDIG_COMP_CNT: 0
; COMPUTE_PGM_RSRC3_GFX90A:ACCUM_OFFSET: 0
; COMPUTE_PGM_RSRC3_GFX90A:TG_SPLIT: 0
	.section	.text._ZN7rocprim17ROCPRIM_400000_NS6detail17trampoline_kernelINS0_13kernel_configILj256ELj4ELj4294967295EEENS1_37radix_sort_block_sort_config_selectorIxNS0_10empty_typeEEEZNS1_21radix_sort_block_sortIS4_Lb0EN6thrust23THRUST_200600_302600_NS6detail15normal_iteratorINSA_10device_ptrIxEEEESF_PS6_SG_NS0_19identity_decomposerEEE10hipError_tT1_T2_T3_T4_jRjT5_jjP12ihipStream_tbEUlT_E_NS1_11comp_targetILNS1_3genE9ELNS1_11target_archE1100ELNS1_3gpuE3ELNS1_3repE0EEENS1_44radix_sort_block_sort_config_static_selectorELNS0_4arch9wavefront6targetE1EEEvSJ_,"axG",@progbits,_ZN7rocprim17ROCPRIM_400000_NS6detail17trampoline_kernelINS0_13kernel_configILj256ELj4ELj4294967295EEENS1_37radix_sort_block_sort_config_selectorIxNS0_10empty_typeEEEZNS1_21radix_sort_block_sortIS4_Lb0EN6thrust23THRUST_200600_302600_NS6detail15normal_iteratorINSA_10device_ptrIxEEEESF_PS6_SG_NS0_19identity_decomposerEEE10hipError_tT1_T2_T3_T4_jRjT5_jjP12ihipStream_tbEUlT_E_NS1_11comp_targetILNS1_3genE9ELNS1_11target_archE1100ELNS1_3gpuE3ELNS1_3repE0EEENS1_44radix_sort_block_sort_config_static_selectorELNS0_4arch9wavefront6targetE1EEEvSJ_,comdat
	.protected	_ZN7rocprim17ROCPRIM_400000_NS6detail17trampoline_kernelINS0_13kernel_configILj256ELj4ELj4294967295EEENS1_37radix_sort_block_sort_config_selectorIxNS0_10empty_typeEEEZNS1_21radix_sort_block_sortIS4_Lb0EN6thrust23THRUST_200600_302600_NS6detail15normal_iteratorINSA_10device_ptrIxEEEESF_PS6_SG_NS0_19identity_decomposerEEE10hipError_tT1_T2_T3_T4_jRjT5_jjP12ihipStream_tbEUlT_E_NS1_11comp_targetILNS1_3genE9ELNS1_11target_archE1100ELNS1_3gpuE3ELNS1_3repE0EEENS1_44radix_sort_block_sort_config_static_selectorELNS0_4arch9wavefront6targetE1EEEvSJ_ ; -- Begin function _ZN7rocprim17ROCPRIM_400000_NS6detail17trampoline_kernelINS0_13kernel_configILj256ELj4ELj4294967295EEENS1_37radix_sort_block_sort_config_selectorIxNS0_10empty_typeEEEZNS1_21radix_sort_block_sortIS4_Lb0EN6thrust23THRUST_200600_302600_NS6detail15normal_iteratorINSA_10device_ptrIxEEEESF_PS6_SG_NS0_19identity_decomposerEEE10hipError_tT1_T2_T3_T4_jRjT5_jjP12ihipStream_tbEUlT_E_NS1_11comp_targetILNS1_3genE9ELNS1_11target_archE1100ELNS1_3gpuE3ELNS1_3repE0EEENS1_44radix_sort_block_sort_config_static_selectorELNS0_4arch9wavefront6targetE1EEEvSJ_
	.globl	_ZN7rocprim17ROCPRIM_400000_NS6detail17trampoline_kernelINS0_13kernel_configILj256ELj4ELj4294967295EEENS1_37radix_sort_block_sort_config_selectorIxNS0_10empty_typeEEEZNS1_21radix_sort_block_sortIS4_Lb0EN6thrust23THRUST_200600_302600_NS6detail15normal_iteratorINSA_10device_ptrIxEEEESF_PS6_SG_NS0_19identity_decomposerEEE10hipError_tT1_T2_T3_T4_jRjT5_jjP12ihipStream_tbEUlT_E_NS1_11comp_targetILNS1_3genE9ELNS1_11target_archE1100ELNS1_3gpuE3ELNS1_3repE0EEENS1_44radix_sort_block_sort_config_static_selectorELNS0_4arch9wavefront6targetE1EEEvSJ_
	.p2align	8
	.type	_ZN7rocprim17ROCPRIM_400000_NS6detail17trampoline_kernelINS0_13kernel_configILj256ELj4ELj4294967295EEENS1_37radix_sort_block_sort_config_selectorIxNS0_10empty_typeEEEZNS1_21radix_sort_block_sortIS4_Lb0EN6thrust23THRUST_200600_302600_NS6detail15normal_iteratorINSA_10device_ptrIxEEEESF_PS6_SG_NS0_19identity_decomposerEEE10hipError_tT1_T2_T3_T4_jRjT5_jjP12ihipStream_tbEUlT_E_NS1_11comp_targetILNS1_3genE9ELNS1_11target_archE1100ELNS1_3gpuE3ELNS1_3repE0EEENS1_44radix_sort_block_sort_config_static_selectorELNS0_4arch9wavefront6targetE1EEEvSJ_,@function
_ZN7rocprim17ROCPRIM_400000_NS6detail17trampoline_kernelINS0_13kernel_configILj256ELj4ELj4294967295EEENS1_37radix_sort_block_sort_config_selectorIxNS0_10empty_typeEEEZNS1_21radix_sort_block_sortIS4_Lb0EN6thrust23THRUST_200600_302600_NS6detail15normal_iteratorINSA_10device_ptrIxEEEESF_PS6_SG_NS0_19identity_decomposerEEE10hipError_tT1_T2_T3_T4_jRjT5_jjP12ihipStream_tbEUlT_E_NS1_11comp_targetILNS1_3genE9ELNS1_11target_archE1100ELNS1_3gpuE3ELNS1_3repE0EEENS1_44radix_sort_block_sort_config_static_selectorELNS0_4arch9wavefront6targetE1EEEvSJ_: ; @_ZN7rocprim17ROCPRIM_400000_NS6detail17trampoline_kernelINS0_13kernel_configILj256ELj4ELj4294967295EEENS1_37radix_sort_block_sort_config_selectorIxNS0_10empty_typeEEEZNS1_21radix_sort_block_sortIS4_Lb0EN6thrust23THRUST_200600_302600_NS6detail15normal_iteratorINSA_10device_ptrIxEEEESF_PS6_SG_NS0_19identity_decomposerEEE10hipError_tT1_T2_T3_T4_jRjT5_jjP12ihipStream_tbEUlT_E_NS1_11comp_targetILNS1_3genE9ELNS1_11target_archE1100ELNS1_3gpuE3ELNS1_3repE0EEENS1_44radix_sort_block_sort_config_static_selectorELNS0_4arch9wavefront6targetE1EEEvSJ_
; %bb.0:
	.section	.rodata,"a",@progbits
	.p2align	6, 0x0
	.amdhsa_kernel _ZN7rocprim17ROCPRIM_400000_NS6detail17trampoline_kernelINS0_13kernel_configILj256ELj4ELj4294967295EEENS1_37radix_sort_block_sort_config_selectorIxNS0_10empty_typeEEEZNS1_21radix_sort_block_sortIS4_Lb0EN6thrust23THRUST_200600_302600_NS6detail15normal_iteratorINSA_10device_ptrIxEEEESF_PS6_SG_NS0_19identity_decomposerEEE10hipError_tT1_T2_T3_T4_jRjT5_jjP12ihipStream_tbEUlT_E_NS1_11comp_targetILNS1_3genE9ELNS1_11target_archE1100ELNS1_3gpuE3ELNS1_3repE0EEENS1_44radix_sort_block_sort_config_static_selectorELNS0_4arch9wavefront6targetE1EEEvSJ_
		.amdhsa_group_segment_fixed_size 0
		.amdhsa_private_segment_fixed_size 0
		.amdhsa_kernarg_size 48
		.amdhsa_user_sgpr_count 6
		.amdhsa_user_sgpr_private_segment_buffer 1
		.amdhsa_user_sgpr_dispatch_ptr 0
		.amdhsa_user_sgpr_queue_ptr 0
		.amdhsa_user_sgpr_kernarg_segment_ptr 1
		.amdhsa_user_sgpr_dispatch_id 0
		.amdhsa_user_sgpr_flat_scratch_init 0
		.amdhsa_user_sgpr_kernarg_preload_length 0
		.amdhsa_user_sgpr_kernarg_preload_offset 0
		.amdhsa_user_sgpr_private_segment_size 0
		.amdhsa_uses_dynamic_stack 0
		.amdhsa_system_sgpr_private_segment_wavefront_offset 0
		.amdhsa_system_sgpr_workgroup_id_x 1
		.amdhsa_system_sgpr_workgroup_id_y 0
		.amdhsa_system_sgpr_workgroup_id_z 0
		.amdhsa_system_sgpr_workgroup_info 0
		.amdhsa_system_vgpr_workitem_id 0
		.amdhsa_next_free_vgpr 1
		.amdhsa_next_free_sgpr 0
		.amdhsa_accum_offset 4
		.amdhsa_reserve_vcc 0
		.amdhsa_reserve_flat_scratch 0
		.amdhsa_float_round_mode_32 0
		.amdhsa_float_round_mode_16_64 0
		.amdhsa_float_denorm_mode_32 3
		.amdhsa_float_denorm_mode_16_64 3
		.amdhsa_dx10_clamp 1
		.amdhsa_ieee_mode 1
		.amdhsa_fp16_overflow 0
		.amdhsa_tg_split 0
		.amdhsa_exception_fp_ieee_invalid_op 0
		.amdhsa_exception_fp_denorm_src 0
		.amdhsa_exception_fp_ieee_div_zero 0
		.amdhsa_exception_fp_ieee_overflow 0
		.amdhsa_exception_fp_ieee_underflow 0
		.amdhsa_exception_fp_ieee_inexact 0
		.amdhsa_exception_int_div_zero 0
	.end_amdhsa_kernel
	.section	.text._ZN7rocprim17ROCPRIM_400000_NS6detail17trampoline_kernelINS0_13kernel_configILj256ELj4ELj4294967295EEENS1_37radix_sort_block_sort_config_selectorIxNS0_10empty_typeEEEZNS1_21radix_sort_block_sortIS4_Lb0EN6thrust23THRUST_200600_302600_NS6detail15normal_iteratorINSA_10device_ptrIxEEEESF_PS6_SG_NS0_19identity_decomposerEEE10hipError_tT1_T2_T3_T4_jRjT5_jjP12ihipStream_tbEUlT_E_NS1_11comp_targetILNS1_3genE9ELNS1_11target_archE1100ELNS1_3gpuE3ELNS1_3repE0EEENS1_44radix_sort_block_sort_config_static_selectorELNS0_4arch9wavefront6targetE1EEEvSJ_,"axG",@progbits,_ZN7rocprim17ROCPRIM_400000_NS6detail17trampoline_kernelINS0_13kernel_configILj256ELj4ELj4294967295EEENS1_37radix_sort_block_sort_config_selectorIxNS0_10empty_typeEEEZNS1_21radix_sort_block_sortIS4_Lb0EN6thrust23THRUST_200600_302600_NS6detail15normal_iteratorINSA_10device_ptrIxEEEESF_PS6_SG_NS0_19identity_decomposerEEE10hipError_tT1_T2_T3_T4_jRjT5_jjP12ihipStream_tbEUlT_E_NS1_11comp_targetILNS1_3genE9ELNS1_11target_archE1100ELNS1_3gpuE3ELNS1_3repE0EEENS1_44radix_sort_block_sort_config_static_selectorELNS0_4arch9wavefront6targetE1EEEvSJ_,comdat
.Lfunc_end1399:
	.size	_ZN7rocprim17ROCPRIM_400000_NS6detail17trampoline_kernelINS0_13kernel_configILj256ELj4ELj4294967295EEENS1_37radix_sort_block_sort_config_selectorIxNS0_10empty_typeEEEZNS1_21radix_sort_block_sortIS4_Lb0EN6thrust23THRUST_200600_302600_NS6detail15normal_iteratorINSA_10device_ptrIxEEEESF_PS6_SG_NS0_19identity_decomposerEEE10hipError_tT1_T2_T3_T4_jRjT5_jjP12ihipStream_tbEUlT_E_NS1_11comp_targetILNS1_3genE9ELNS1_11target_archE1100ELNS1_3gpuE3ELNS1_3repE0EEENS1_44radix_sort_block_sort_config_static_selectorELNS0_4arch9wavefront6targetE1EEEvSJ_, .Lfunc_end1399-_ZN7rocprim17ROCPRIM_400000_NS6detail17trampoline_kernelINS0_13kernel_configILj256ELj4ELj4294967295EEENS1_37radix_sort_block_sort_config_selectorIxNS0_10empty_typeEEEZNS1_21radix_sort_block_sortIS4_Lb0EN6thrust23THRUST_200600_302600_NS6detail15normal_iteratorINSA_10device_ptrIxEEEESF_PS6_SG_NS0_19identity_decomposerEEE10hipError_tT1_T2_T3_T4_jRjT5_jjP12ihipStream_tbEUlT_E_NS1_11comp_targetILNS1_3genE9ELNS1_11target_archE1100ELNS1_3gpuE3ELNS1_3repE0EEENS1_44radix_sort_block_sort_config_static_selectorELNS0_4arch9wavefront6targetE1EEEvSJ_
                                        ; -- End function
	.section	.AMDGPU.csdata,"",@progbits
; Kernel info:
; codeLenInByte = 0
; NumSgprs: 4
; NumVgprs: 0
; NumAgprs: 0
; TotalNumVgprs: 0
; ScratchSize: 0
; MemoryBound: 0
; FloatMode: 240
; IeeeMode: 1
; LDSByteSize: 0 bytes/workgroup (compile time only)
; SGPRBlocks: 0
; VGPRBlocks: 0
; NumSGPRsForWavesPerEU: 4
; NumVGPRsForWavesPerEU: 1
; AccumOffset: 4
; Occupancy: 8
; WaveLimiterHint : 0
; COMPUTE_PGM_RSRC2:SCRATCH_EN: 0
; COMPUTE_PGM_RSRC2:USER_SGPR: 6
; COMPUTE_PGM_RSRC2:TRAP_HANDLER: 0
; COMPUTE_PGM_RSRC2:TGID_X_EN: 1
; COMPUTE_PGM_RSRC2:TGID_Y_EN: 0
; COMPUTE_PGM_RSRC2:TGID_Z_EN: 0
; COMPUTE_PGM_RSRC2:TIDIG_COMP_CNT: 0
; COMPUTE_PGM_RSRC3_GFX90A:ACCUM_OFFSET: 0
; COMPUTE_PGM_RSRC3_GFX90A:TG_SPLIT: 0
	.section	.text._ZN7rocprim17ROCPRIM_400000_NS6detail17trampoline_kernelINS0_13kernel_configILj256ELj4ELj4294967295EEENS1_37radix_sort_block_sort_config_selectorIxNS0_10empty_typeEEEZNS1_21radix_sort_block_sortIS4_Lb0EN6thrust23THRUST_200600_302600_NS6detail15normal_iteratorINSA_10device_ptrIxEEEESF_PS6_SG_NS0_19identity_decomposerEEE10hipError_tT1_T2_T3_T4_jRjT5_jjP12ihipStream_tbEUlT_E_NS1_11comp_targetILNS1_3genE8ELNS1_11target_archE1030ELNS1_3gpuE2ELNS1_3repE0EEENS1_44radix_sort_block_sort_config_static_selectorELNS0_4arch9wavefront6targetE1EEEvSJ_,"axG",@progbits,_ZN7rocprim17ROCPRIM_400000_NS6detail17trampoline_kernelINS0_13kernel_configILj256ELj4ELj4294967295EEENS1_37radix_sort_block_sort_config_selectorIxNS0_10empty_typeEEEZNS1_21radix_sort_block_sortIS4_Lb0EN6thrust23THRUST_200600_302600_NS6detail15normal_iteratorINSA_10device_ptrIxEEEESF_PS6_SG_NS0_19identity_decomposerEEE10hipError_tT1_T2_T3_T4_jRjT5_jjP12ihipStream_tbEUlT_E_NS1_11comp_targetILNS1_3genE8ELNS1_11target_archE1030ELNS1_3gpuE2ELNS1_3repE0EEENS1_44radix_sort_block_sort_config_static_selectorELNS0_4arch9wavefront6targetE1EEEvSJ_,comdat
	.protected	_ZN7rocprim17ROCPRIM_400000_NS6detail17trampoline_kernelINS0_13kernel_configILj256ELj4ELj4294967295EEENS1_37radix_sort_block_sort_config_selectorIxNS0_10empty_typeEEEZNS1_21radix_sort_block_sortIS4_Lb0EN6thrust23THRUST_200600_302600_NS6detail15normal_iteratorINSA_10device_ptrIxEEEESF_PS6_SG_NS0_19identity_decomposerEEE10hipError_tT1_T2_T3_T4_jRjT5_jjP12ihipStream_tbEUlT_E_NS1_11comp_targetILNS1_3genE8ELNS1_11target_archE1030ELNS1_3gpuE2ELNS1_3repE0EEENS1_44radix_sort_block_sort_config_static_selectorELNS0_4arch9wavefront6targetE1EEEvSJ_ ; -- Begin function _ZN7rocprim17ROCPRIM_400000_NS6detail17trampoline_kernelINS0_13kernel_configILj256ELj4ELj4294967295EEENS1_37radix_sort_block_sort_config_selectorIxNS0_10empty_typeEEEZNS1_21radix_sort_block_sortIS4_Lb0EN6thrust23THRUST_200600_302600_NS6detail15normal_iteratorINSA_10device_ptrIxEEEESF_PS6_SG_NS0_19identity_decomposerEEE10hipError_tT1_T2_T3_T4_jRjT5_jjP12ihipStream_tbEUlT_E_NS1_11comp_targetILNS1_3genE8ELNS1_11target_archE1030ELNS1_3gpuE2ELNS1_3repE0EEENS1_44radix_sort_block_sort_config_static_selectorELNS0_4arch9wavefront6targetE1EEEvSJ_
	.globl	_ZN7rocprim17ROCPRIM_400000_NS6detail17trampoline_kernelINS0_13kernel_configILj256ELj4ELj4294967295EEENS1_37radix_sort_block_sort_config_selectorIxNS0_10empty_typeEEEZNS1_21radix_sort_block_sortIS4_Lb0EN6thrust23THRUST_200600_302600_NS6detail15normal_iteratorINSA_10device_ptrIxEEEESF_PS6_SG_NS0_19identity_decomposerEEE10hipError_tT1_T2_T3_T4_jRjT5_jjP12ihipStream_tbEUlT_E_NS1_11comp_targetILNS1_3genE8ELNS1_11target_archE1030ELNS1_3gpuE2ELNS1_3repE0EEENS1_44radix_sort_block_sort_config_static_selectorELNS0_4arch9wavefront6targetE1EEEvSJ_
	.p2align	8
	.type	_ZN7rocprim17ROCPRIM_400000_NS6detail17trampoline_kernelINS0_13kernel_configILj256ELj4ELj4294967295EEENS1_37radix_sort_block_sort_config_selectorIxNS0_10empty_typeEEEZNS1_21radix_sort_block_sortIS4_Lb0EN6thrust23THRUST_200600_302600_NS6detail15normal_iteratorINSA_10device_ptrIxEEEESF_PS6_SG_NS0_19identity_decomposerEEE10hipError_tT1_T2_T3_T4_jRjT5_jjP12ihipStream_tbEUlT_E_NS1_11comp_targetILNS1_3genE8ELNS1_11target_archE1030ELNS1_3gpuE2ELNS1_3repE0EEENS1_44radix_sort_block_sort_config_static_selectorELNS0_4arch9wavefront6targetE1EEEvSJ_,@function
_ZN7rocprim17ROCPRIM_400000_NS6detail17trampoline_kernelINS0_13kernel_configILj256ELj4ELj4294967295EEENS1_37radix_sort_block_sort_config_selectorIxNS0_10empty_typeEEEZNS1_21radix_sort_block_sortIS4_Lb0EN6thrust23THRUST_200600_302600_NS6detail15normal_iteratorINSA_10device_ptrIxEEEESF_PS6_SG_NS0_19identity_decomposerEEE10hipError_tT1_T2_T3_T4_jRjT5_jjP12ihipStream_tbEUlT_E_NS1_11comp_targetILNS1_3genE8ELNS1_11target_archE1030ELNS1_3gpuE2ELNS1_3repE0EEENS1_44radix_sort_block_sort_config_static_selectorELNS0_4arch9wavefront6targetE1EEEvSJ_: ; @_ZN7rocprim17ROCPRIM_400000_NS6detail17trampoline_kernelINS0_13kernel_configILj256ELj4ELj4294967295EEENS1_37radix_sort_block_sort_config_selectorIxNS0_10empty_typeEEEZNS1_21radix_sort_block_sortIS4_Lb0EN6thrust23THRUST_200600_302600_NS6detail15normal_iteratorINSA_10device_ptrIxEEEESF_PS6_SG_NS0_19identity_decomposerEEE10hipError_tT1_T2_T3_T4_jRjT5_jjP12ihipStream_tbEUlT_E_NS1_11comp_targetILNS1_3genE8ELNS1_11target_archE1030ELNS1_3gpuE2ELNS1_3repE0EEENS1_44radix_sort_block_sort_config_static_selectorELNS0_4arch9wavefront6targetE1EEEvSJ_
; %bb.0:
	.section	.rodata,"a",@progbits
	.p2align	6, 0x0
	.amdhsa_kernel _ZN7rocprim17ROCPRIM_400000_NS6detail17trampoline_kernelINS0_13kernel_configILj256ELj4ELj4294967295EEENS1_37radix_sort_block_sort_config_selectorIxNS0_10empty_typeEEEZNS1_21radix_sort_block_sortIS4_Lb0EN6thrust23THRUST_200600_302600_NS6detail15normal_iteratorINSA_10device_ptrIxEEEESF_PS6_SG_NS0_19identity_decomposerEEE10hipError_tT1_T2_T3_T4_jRjT5_jjP12ihipStream_tbEUlT_E_NS1_11comp_targetILNS1_3genE8ELNS1_11target_archE1030ELNS1_3gpuE2ELNS1_3repE0EEENS1_44radix_sort_block_sort_config_static_selectorELNS0_4arch9wavefront6targetE1EEEvSJ_
		.amdhsa_group_segment_fixed_size 0
		.amdhsa_private_segment_fixed_size 0
		.amdhsa_kernarg_size 48
		.amdhsa_user_sgpr_count 6
		.amdhsa_user_sgpr_private_segment_buffer 1
		.amdhsa_user_sgpr_dispatch_ptr 0
		.amdhsa_user_sgpr_queue_ptr 0
		.amdhsa_user_sgpr_kernarg_segment_ptr 1
		.amdhsa_user_sgpr_dispatch_id 0
		.amdhsa_user_sgpr_flat_scratch_init 0
		.amdhsa_user_sgpr_kernarg_preload_length 0
		.amdhsa_user_sgpr_kernarg_preload_offset 0
		.amdhsa_user_sgpr_private_segment_size 0
		.amdhsa_uses_dynamic_stack 0
		.amdhsa_system_sgpr_private_segment_wavefront_offset 0
		.amdhsa_system_sgpr_workgroup_id_x 1
		.amdhsa_system_sgpr_workgroup_id_y 0
		.amdhsa_system_sgpr_workgroup_id_z 0
		.amdhsa_system_sgpr_workgroup_info 0
		.amdhsa_system_vgpr_workitem_id 0
		.amdhsa_next_free_vgpr 1
		.amdhsa_next_free_sgpr 0
		.amdhsa_accum_offset 4
		.amdhsa_reserve_vcc 0
		.amdhsa_reserve_flat_scratch 0
		.amdhsa_float_round_mode_32 0
		.amdhsa_float_round_mode_16_64 0
		.amdhsa_float_denorm_mode_32 3
		.amdhsa_float_denorm_mode_16_64 3
		.amdhsa_dx10_clamp 1
		.amdhsa_ieee_mode 1
		.amdhsa_fp16_overflow 0
		.amdhsa_tg_split 0
		.amdhsa_exception_fp_ieee_invalid_op 0
		.amdhsa_exception_fp_denorm_src 0
		.amdhsa_exception_fp_ieee_div_zero 0
		.amdhsa_exception_fp_ieee_overflow 0
		.amdhsa_exception_fp_ieee_underflow 0
		.amdhsa_exception_fp_ieee_inexact 0
		.amdhsa_exception_int_div_zero 0
	.end_amdhsa_kernel
	.section	.text._ZN7rocprim17ROCPRIM_400000_NS6detail17trampoline_kernelINS0_13kernel_configILj256ELj4ELj4294967295EEENS1_37radix_sort_block_sort_config_selectorIxNS0_10empty_typeEEEZNS1_21radix_sort_block_sortIS4_Lb0EN6thrust23THRUST_200600_302600_NS6detail15normal_iteratorINSA_10device_ptrIxEEEESF_PS6_SG_NS0_19identity_decomposerEEE10hipError_tT1_T2_T3_T4_jRjT5_jjP12ihipStream_tbEUlT_E_NS1_11comp_targetILNS1_3genE8ELNS1_11target_archE1030ELNS1_3gpuE2ELNS1_3repE0EEENS1_44radix_sort_block_sort_config_static_selectorELNS0_4arch9wavefront6targetE1EEEvSJ_,"axG",@progbits,_ZN7rocprim17ROCPRIM_400000_NS6detail17trampoline_kernelINS0_13kernel_configILj256ELj4ELj4294967295EEENS1_37radix_sort_block_sort_config_selectorIxNS0_10empty_typeEEEZNS1_21radix_sort_block_sortIS4_Lb0EN6thrust23THRUST_200600_302600_NS6detail15normal_iteratorINSA_10device_ptrIxEEEESF_PS6_SG_NS0_19identity_decomposerEEE10hipError_tT1_T2_T3_T4_jRjT5_jjP12ihipStream_tbEUlT_E_NS1_11comp_targetILNS1_3genE8ELNS1_11target_archE1030ELNS1_3gpuE2ELNS1_3repE0EEENS1_44radix_sort_block_sort_config_static_selectorELNS0_4arch9wavefront6targetE1EEEvSJ_,comdat
.Lfunc_end1400:
	.size	_ZN7rocprim17ROCPRIM_400000_NS6detail17trampoline_kernelINS0_13kernel_configILj256ELj4ELj4294967295EEENS1_37radix_sort_block_sort_config_selectorIxNS0_10empty_typeEEEZNS1_21radix_sort_block_sortIS4_Lb0EN6thrust23THRUST_200600_302600_NS6detail15normal_iteratorINSA_10device_ptrIxEEEESF_PS6_SG_NS0_19identity_decomposerEEE10hipError_tT1_T2_T3_T4_jRjT5_jjP12ihipStream_tbEUlT_E_NS1_11comp_targetILNS1_3genE8ELNS1_11target_archE1030ELNS1_3gpuE2ELNS1_3repE0EEENS1_44radix_sort_block_sort_config_static_selectorELNS0_4arch9wavefront6targetE1EEEvSJ_, .Lfunc_end1400-_ZN7rocprim17ROCPRIM_400000_NS6detail17trampoline_kernelINS0_13kernel_configILj256ELj4ELj4294967295EEENS1_37radix_sort_block_sort_config_selectorIxNS0_10empty_typeEEEZNS1_21radix_sort_block_sortIS4_Lb0EN6thrust23THRUST_200600_302600_NS6detail15normal_iteratorINSA_10device_ptrIxEEEESF_PS6_SG_NS0_19identity_decomposerEEE10hipError_tT1_T2_T3_T4_jRjT5_jjP12ihipStream_tbEUlT_E_NS1_11comp_targetILNS1_3genE8ELNS1_11target_archE1030ELNS1_3gpuE2ELNS1_3repE0EEENS1_44radix_sort_block_sort_config_static_selectorELNS0_4arch9wavefront6targetE1EEEvSJ_
                                        ; -- End function
	.section	.AMDGPU.csdata,"",@progbits
; Kernel info:
; codeLenInByte = 0
; NumSgprs: 4
; NumVgprs: 0
; NumAgprs: 0
; TotalNumVgprs: 0
; ScratchSize: 0
; MemoryBound: 0
; FloatMode: 240
; IeeeMode: 1
; LDSByteSize: 0 bytes/workgroup (compile time only)
; SGPRBlocks: 0
; VGPRBlocks: 0
; NumSGPRsForWavesPerEU: 4
; NumVGPRsForWavesPerEU: 1
; AccumOffset: 4
; Occupancy: 8
; WaveLimiterHint : 0
; COMPUTE_PGM_RSRC2:SCRATCH_EN: 0
; COMPUTE_PGM_RSRC2:USER_SGPR: 6
; COMPUTE_PGM_RSRC2:TRAP_HANDLER: 0
; COMPUTE_PGM_RSRC2:TGID_X_EN: 1
; COMPUTE_PGM_RSRC2:TGID_Y_EN: 0
; COMPUTE_PGM_RSRC2:TGID_Z_EN: 0
; COMPUTE_PGM_RSRC2:TIDIG_COMP_CNT: 0
; COMPUTE_PGM_RSRC3_GFX90A:ACCUM_OFFSET: 0
; COMPUTE_PGM_RSRC3_GFX90A:TG_SPLIT: 0
	.section	.text._ZN7rocprim17ROCPRIM_400000_NS6detail44device_merge_sort_compile_time_verifier_archINS1_11comp_targetILNS1_3genE0ELNS1_11target_archE4294967295ELNS1_3gpuE0ELNS1_3repE0EEES8_NS1_28merge_sort_block_sort_configILj256ELj4ELNS0_20block_sort_algorithmE0EEENS0_14default_configENS1_37merge_sort_block_sort_config_selectorIxNS0_10empty_typeEEENS1_38merge_sort_block_merge_config_selectorIxSE_EEEEvv,"axG",@progbits,_ZN7rocprim17ROCPRIM_400000_NS6detail44device_merge_sort_compile_time_verifier_archINS1_11comp_targetILNS1_3genE0ELNS1_11target_archE4294967295ELNS1_3gpuE0ELNS1_3repE0EEES8_NS1_28merge_sort_block_sort_configILj256ELj4ELNS0_20block_sort_algorithmE0EEENS0_14default_configENS1_37merge_sort_block_sort_config_selectorIxNS0_10empty_typeEEENS1_38merge_sort_block_merge_config_selectorIxSE_EEEEvv,comdat
	.protected	_ZN7rocprim17ROCPRIM_400000_NS6detail44device_merge_sort_compile_time_verifier_archINS1_11comp_targetILNS1_3genE0ELNS1_11target_archE4294967295ELNS1_3gpuE0ELNS1_3repE0EEES8_NS1_28merge_sort_block_sort_configILj256ELj4ELNS0_20block_sort_algorithmE0EEENS0_14default_configENS1_37merge_sort_block_sort_config_selectorIxNS0_10empty_typeEEENS1_38merge_sort_block_merge_config_selectorIxSE_EEEEvv ; -- Begin function _ZN7rocprim17ROCPRIM_400000_NS6detail44device_merge_sort_compile_time_verifier_archINS1_11comp_targetILNS1_3genE0ELNS1_11target_archE4294967295ELNS1_3gpuE0ELNS1_3repE0EEES8_NS1_28merge_sort_block_sort_configILj256ELj4ELNS0_20block_sort_algorithmE0EEENS0_14default_configENS1_37merge_sort_block_sort_config_selectorIxNS0_10empty_typeEEENS1_38merge_sort_block_merge_config_selectorIxSE_EEEEvv
	.globl	_ZN7rocprim17ROCPRIM_400000_NS6detail44device_merge_sort_compile_time_verifier_archINS1_11comp_targetILNS1_3genE0ELNS1_11target_archE4294967295ELNS1_3gpuE0ELNS1_3repE0EEES8_NS1_28merge_sort_block_sort_configILj256ELj4ELNS0_20block_sort_algorithmE0EEENS0_14default_configENS1_37merge_sort_block_sort_config_selectorIxNS0_10empty_typeEEENS1_38merge_sort_block_merge_config_selectorIxSE_EEEEvv
	.p2align	8
	.type	_ZN7rocprim17ROCPRIM_400000_NS6detail44device_merge_sort_compile_time_verifier_archINS1_11comp_targetILNS1_3genE0ELNS1_11target_archE4294967295ELNS1_3gpuE0ELNS1_3repE0EEES8_NS1_28merge_sort_block_sort_configILj256ELj4ELNS0_20block_sort_algorithmE0EEENS0_14default_configENS1_37merge_sort_block_sort_config_selectorIxNS0_10empty_typeEEENS1_38merge_sort_block_merge_config_selectorIxSE_EEEEvv,@function
_ZN7rocprim17ROCPRIM_400000_NS6detail44device_merge_sort_compile_time_verifier_archINS1_11comp_targetILNS1_3genE0ELNS1_11target_archE4294967295ELNS1_3gpuE0ELNS1_3repE0EEES8_NS1_28merge_sort_block_sort_configILj256ELj4ELNS0_20block_sort_algorithmE0EEENS0_14default_configENS1_37merge_sort_block_sort_config_selectorIxNS0_10empty_typeEEENS1_38merge_sort_block_merge_config_selectorIxSE_EEEEvv: ; @_ZN7rocprim17ROCPRIM_400000_NS6detail44device_merge_sort_compile_time_verifier_archINS1_11comp_targetILNS1_3genE0ELNS1_11target_archE4294967295ELNS1_3gpuE0ELNS1_3repE0EEES8_NS1_28merge_sort_block_sort_configILj256ELj4ELNS0_20block_sort_algorithmE0EEENS0_14default_configENS1_37merge_sort_block_sort_config_selectorIxNS0_10empty_typeEEENS1_38merge_sort_block_merge_config_selectorIxSE_EEEEvv
; %bb.0:
	s_endpgm
	.section	.rodata,"a",@progbits
	.p2align	6, 0x0
	.amdhsa_kernel _ZN7rocprim17ROCPRIM_400000_NS6detail44device_merge_sort_compile_time_verifier_archINS1_11comp_targetILNS1_3genE0ELNS1_11target_archE4294967295ELNS1_3gpuE0ELNS1_3repE0EEES8_NS1_28merge_sort_block_sort_configILj256ELj4ELNS0_20block_sort_algorithmE0EEENS0_14default_configENS1_37merge_sort_block_sort_config_selectorIxNS0_10empty_typeEEENS1_38merge_sort_block_merge_config_selectorIxSE_EEEEvv
		.amdhsa_group_segment_fixed_size 0
		.amdhsa_private_segment_fixed_size 0
		.amdhsa_kernarg_size 0
		.amdhsa_user_sgpr_count 4
		.amdhsa_user_sgpr_private_segment_buffer 1
		.amdhsa_user_sgpr_dispatch_ptr 0
		.amdhsa_user_sgpr_queue_ptr 0
		.amdhsa_user_sgpr_kernarg_segment_ptr 0
		.amdhsa_user_sgpr_dispatch_id 0
		.amdhsa_user_sgpr_flat_scratch_init 0
		.amdhsa_user_sgpr_kernarg_preload_length 0
		.amdhsa_user_sgpr_kernarg_preload_offset 0
		.amdhsa_user_sgpr_private_segment_size 0
		.amdhsa_uses_dynamic_stack 0
		.amdhsa_system_sgpr_private_segment_wavefront_offset 0
		.amdhsa_system_sgpr_workgroup_id_x 1
		.amdhsa_system_sgpr_workgroup_id_y 0
		.amdhsa_system_sgpr_workgroup_id_z 0
		.amdhsa_system_sgpr_workgroup_info 0
		.amdhsa_system_vgpr_workitem_id 0
		.amdhsa_next_free_vgpr 1
		.amdhsa_next_free_sgpr 0
		.amdhsa_accum_offset 4
		.amdhsa_reserve_vcc 0
		.amdhsa_reserve_flat_scratch 0
		.amdhsa_float_round_mode_32 0
		.amdhsa_float_round_mode_16_64 0
		.amdhsa_float_denorm_mode_32 3
		.amdhsa_float_denorm_mode_16_64 3
		.amdhsa_dx10_clamp 1
		.amdhsa_ieee_mode 1
		.amdhsa_fp16_overflow 0
		.amdhsa_tg_split 0
		.amdhsa_exception_fp_ieee_invalid_op 0
		.amdhsa_exception_fp_denorm_src 0
		.amdhsa_exception_fp_ieee_div_zero 0
		.amdhsa_exception_fp_ieee_overflow 0
		.amdhsa_exception_fp_ieee_underflow 0
		.amdhsa_exception_fp_ieee_inexact 0
		.amdhsa_exception_int_div_zero 0
	.end_amdhsa_kernel
	.section	.text._ZN7rocprim17ROCPRIM_400000_NS6detail44device_merge_sort_compile_time_verifier_archINS1_11comp_targetILNS1_3genE0ELNS1_11target_archE4294967295ELNS1_3gpuE0ELNS1_3repE0EEES8_NS1_28merge_sort_block_sort_configILj256ELj4ELNS0_20block_sort_algorithmE0EEENS0_14default_configENS1_37merge_sort_block_sort_config_selectorIxNS0_10empty_typeEEENS1_38merge_sort_block_merge_config_selectorIxSE_EEEEvv,"axG",@progbits,_ZN7rocprim17ROCPRIM_400000_NS6detail44device_merge_sort_compile_time_verifier_archINS1_11comp_targetILNS1_3genE0ELNS1_11target_archE4294967295ELNS1_3gpuE0ELNS1_3repE0EEES8_NS1_28merge_sort_block_sort_configILj256ELj4ELNS0_20block_sort_algorithmE0EEENS0_14default_configENS1_37merge_sort_block_sort_config_selectorIxNS0_10empty_typeEEENS1_38merge_sort_block_merge_config_selectorIxSE_EEEEvv,comdat
.Lfunc_end1401:
	.size	_ZN7rocprim17ROCPRIM_400000_NS6detail44device_merge_sort_compile_time_verifier_archINS1_11comp_targetILNS1_3genE0ELNS1_11target_archE4294967295ELNS1_3gpuE0ELNS1_3repE0EEES8_NS1_28merge_sort_block_sort_configILj256ELj4ELNS0_20block_sort_algorithmE0EEENS0_14default_configENS1_37merge_sort_block_sort_config_selectorIxNS0_10empty_typeEEENS1_38merge_sort_block_merge_config_selectorIxSE_EEEEvv, .Lfunc_end1401-_ZN7rocprim17ROCPRIM_400000_NS6detail44device_merge_sort_compile_time_verifier_archINS1_11comp_targetILNS1_3genE0ELNS1_11target_archE4294967295ELNS1_3gpuE0ELNS1_3repE0EEES8_NS1_28merge_sort_block_sort_configILj256ELj4ELNS0_20block_sort_algorithmE0EEENS0_14default_configENS1_37merge_sort_block_sort_config_selectorIxNS0_10empty_typeEEENS1_38merge_sort_block_merge_config_selectorIxSE_EEEEvv
                                        ; -- End function
	.section	.AMDGPU.csdata,"",@progbits
; Kernel info:
; codeLenInByte = 4
; NumSgprs: 4
; NumVgprs: 0
; NumAgprs: 0
; TotalNumVgprs: 0
; ScratchSize: 0
; MemoryBound: 0
; FloatMode: 240
; IeeeMode: 1
; LDSByteSize: 0 bytes/workgroup (compile time only)
; SGPRBlocks: 0
; VGPRBlocks: 0
; NumSGPRsForWavesPerEU: 4
; NumVGPRsForWavesPerEU: 1
; AccumOffset: 4
; Occupancy: 8
; WaveLimiterHint : 0
; COMPUTE_PGM_RSRC2:SCRATCH_EN: 0
; COMPUTE_PGM_RSRC2:USER_SGPR: 4
; COMPUTE_PGM_RSRC2:TRAP_HANDLER: 0
; COMPUTE_PGM_RSRC2:TGID_X_EN: 1
; COMPUTE_PGM_RSRC2:TGID_Y_EN: 0
; COMPUTE_PGM_RSRC2:TGID_Z_EN: 0
; COMPUTE_PGM_RSRC2:TIDIG_COMP_CNT: 0
; COMPUTE_PGM_RSRC3_GFX90A:ACCUM_OFFSET: 0
; COMPUTE_PGM_RSRC3_GFX90A:TG_SPLIT: 0
	.section	.text._ZN7rocprim17ROCPRIM_400000_NS6detail44device_merge_sort_compile_time_verifier_archINS1_11comp_targetILNS1_3genE5ELNS1_11target_archE942ELNS1_3gpuE9ELNS1_3repE0EEES8_NS1_28merge_sort_block_sort_configILj256ELj4ELNS0_20block_sort_algorithmE0EEENS0_14default_configENS1_37merge_sort_block_sort_config_selectorIxNS0_10empty_typeEEENS1_38merge_sort_block_merge_config_selectorIxSE_EEEEvv,"axG",@progbits,_ZN7rocprim17ROCPRIM_400000_NS6detail44device_merge_sort_compile_time_verifier_archINS1_11comp_targetILNS1_3genE5ELNS1_11target_archE942ELNS1_3gpuE9ELNS1_3repE0EEES8_NS1_28merge_sort_block_sort_configILj256ELj4ELNS0_20block_sort_algorithmE0EEENS0_14default_configENS1_37merge_sort_block_sort_config_selectorIxNS0_10empty_typeEEENS1_38merge_sort_block_merge_config_selectorIxSE_EEEEvv,comdat
	.protected	_ZN7rocprim17ROCPRIM_400000_NS6detail44device_merge_sort_compile_time_verifier_archINS1_11comp_targetILNS1_3genE5ELNS1_11target_archE942ELNS1_3gpuE9ELNS1_3repE0EEES8_NS1_28merge_sort_block_sort_configILj256ELj4ELNS0_20block_sort_algorithmE0EEENS0_14default_configENS1_37merge_sort_block_sort_config_selectorIxNS0_10empty_typeEEENS1_38merge_sort_block_merge_config_selectorIxSE_EEEEvv ; -- Begin function _ZN7rocprim17ROCPRIM_400000_NS6detail44device_merge_sort_compile_time_verifier_archINS1_11comp_targetILNS1_3genE5ELNS1_11target_archE942ELNS1_3gpuE9ELNS1_3repE0EEES8_NS1_28merge_sort_block_sort_configILj256ELj4ELNS0_20block_sort_algorithmE0EEENS0_14default_configENS1_37merge_sort_block_sort_config_selectorIxNS0_10empty_typeEEENS1_38merge_sort_block_merge_config_selectorIxSE_EEEEvv
	.globl	_ZN7rocprim17ROCPRIM_400000_NS6detail44device_merge_sort_compile_time_verifier_archINS1_11comp_targetILNS1_3genE5ELNS1_11target_archE942ELNS1_3gpuE9ELNS1_3repE0EEES8_NS1_28merge_sort_block_sort_configILj256ELj4ELNS0_20block_sort_algorithmE0EEENS0_14default_configENS1_37merge_sort_block_sort_config_selectorIxNS0_10empty_typeEEENS1_38merge_sort_block_merge_config_selectorIxSE_EEEEvv
	.p2align	8
	.type	_ZN7rocprim17ROCPRIM_400000_NS6detail44device_merge_sort_compile_time_verifier_archINS1_11comp_targetILNS1_3genE5ELNS1_11target_archE942ELNS1_3gpuE9ELNS1_3repE0EEES8_NS1_28merge_sort_block_sort_configILj256ELj4ELNS0_20block_sort_algorithmE0EEENS0_14default_configENS1_37merge_sort_block_sort_config_selectorIxNS0_10empty_typeEEENS1_38merge_sort_block_merge_config_selectorIxSE_EEEEvv,@function
_ZN7rocprim17ROCPRIM_400000_NS6detail44device_merge_sort_compile_time_verifier_archINS1_11comp_targetILNS1_3genE5ELNS1_11target_archE942ELNS1_3gpuE9ELNS1_3repE0EEES8_NS1_28merge_sort_block_sort_configILj256ELj4ELNS0_20block_sort_algorithmE0EEENS0_14default_configENS1_37merge_sort_block_sort_config_selectorIxNS0_10empty_typeEEENS1_38merge_sort_block_merge_config_selectorIxSE_EEEEvv: ; @_ZN7rocprim17ROCPRIM_400000_NS6detail44device_merge_sort_compile_time_verifier_archINS1_11comp_targetILNS1_3genE5ELNS1_11target_archE942ELNS1_3gpuE9ELNS1_3repE0EEES8_NS1_28merge_sort_block_sort_configILj256ELj4ELNS0_20block_sort_algorithmE0EEENS0_14default_configENS1_37merge_sort_block_sort_config_selectorIxNS0_10empty_typeEEENS1_38merge_sort_block_merge_config_selectorIxSE_EEEEvv
; %bb.0:
	s_endpgm
	.section	.rodata,"a",@progbits
	.p2align	6, 0x0
	.amdhsa_kernel _ZN7rocprim17ROCPRIM_400000_NS6detail44device_merge_sort_compile_time_verifier_archINS1_11comp_targetILNS1_3genE5ELNS1_11target_archE942ELNS1_3gpuE9ELNS1_3repE0EEES8_NS1_28merge_sort_block_sort_configILj256ELj4ELNS0_20block_sort_algorithmE0EEENS0_14default_configENS1_37merge_sort_block_sort_config_selectorIxNS0_10empty_typeEEENS1_38merge_sort_block_merge_config_selectorIxSE_EEEEvv
		.amdhsa_group_segment_fixed_size 0
		.amdhsa_private_segment_fixed_size 0
		.amdhsa_kernarg_size 0
		.amdhsa_user_sgpr_count 4
		.amdhsa_user_sgpr_private_segment_buffer 1
		.amdhsa_user_sgpr_dispatch_ptr 0
		.amdhsa_user_sgpr_queue_ptr 0
		.amdhsa_user_sgpr_kernarg_segment_ptr 0
		.amdhsa_user_sgpr_dispatch_id 0
		.amdhsa_user_sgpr_flat_scratch_init 0
		.amdhsa_user_sgpr_kernarg_preload_length 0
		.amdhsa_user_sgpr_kernarg_preload_offset 0
		.amdhsa_user_sgpr_private_segment_size 0
		.amdhsa_uses_dynamic_stack 0
		.amdhsa_system_sgpr_private_segment_wavefront_offset 0
		.amdhsa_system_sgpr_workgroup_id_x 1
		.amdhsa_system_sgpr_workgroup_id_y 0
		.amdhsa_system_sgpr_workgroup_id_z 0
		.amdhsa_system_sgpr_workgroup_info 0
		.amdhsa_system_vgpr_workitem_id 0
		.amdhsa_next_free_vgpr 1
		.amdhsa_next_free_sgpr 0
		.amdhsa_accum_offset 4
		.amdhsa_reserve_vcc 0
		.amdhsa_reserve_flat_scratch 0
		.amdhsa_float_round_mode_32 0
		.amdhsa_float_round_mode_16_64 0
		.amdhsa_float_denorm_mode_32 3
		.amdhsa_float_denorm_mode_16_64 3
		.amdhsa_dx10_clamp 1
		.amdhsa_ieee_mode 1
		.amdhsa_fp16_overflow 0
		.amdhsa_tg_split 0
		.amdhsa_exception_fp_ieee_invalid_op 0
		.amdhsa_exception_fp_denorm_src 0
		.amdhsa_exception_fp_ieee_div_zero 0
		.amdhsa_exception_fp_ieee_overflow 0
		.amdhsa_exception_fp_ieee_underflow 0
		.amdhsa_exception_fp_ieee_inexact 0
		.amdhsa_exception_int_div_zero 0
	.end_amdhsa_kernel
	.section	.text._ZN7rocprim17ROCPRIM_400000_NS6detail44device_merge_sort_compile_time_verifier_archINS1_11comp_targetILNS1_3genE5ELNS1_11target_archE942ELNS1_3gpuE9ELNS1_3repE0EEES8_NS1_28merge_sort_block_sort_configILj256ELj4ELNS0_20block_sort_algorithmE0EEENS0_14default_configENS1_37merge_sort_block_sort_config_selectorIxNS0_10empty_typeEEENS1_38merge_sort_block_merge_config_selectorIxSE_EEEEvv,"axG",@progbits,_ZN7rocprim17ROCPRIM_400000_NS6detail44device_merge_sort_compile_time_verifier_archINS1_11comp_targetILNS1_3genE5ELNS1_11target_archE942ELNS1_3gpuE9ELNS1_3repE0EEES8_NS1_28merge_sort_block_sort_configILj256ELj4ELNS0_20block_sort_algorithmE0EEENS0_14default_configENS1_37merge_sort_block_sort_config_selectorIxNS0_10empty_typeEEENS1_38merge_sort_block_merge_config_selectorIxSE_EEEEvv,comdat
.Lfunc_end1402:
	.size	_ZN7rocprim17ROCPRIM_400000_NS6detail44device_merge_sort_compile_time_verifier_archINS1_11comp_targetILNS1_3genE5ELNS1_11target_archE942ELNS1_3gpuE9ELNS1_3repE0EEES8_NS1_28merge_sort_block_sort_configILj256ELj4ELNS0_20block_sort_algorithmE0EEENS0_14default_configENS1_37merge_sort_block_sort_config_selectorIxNS0_10empty_typeEEENS1_38merge_sort_block_merge_config_selectorIxSE_EEEEvv, .Lfunc_end1402-_ZN7rocprim17ROCPRIM_400000_NS6detail44device_merge_sort_compile_time_verifier_archINS1_11comp_targetILNS1_3genE5ELNS1_11target_archE942ELNS1_3gpuE9ELNS1_3repE0EEES8_NS1_28merge_sort_block_sort_configILj256ELj4ELNS0_20block_sort_algorithmE0EEENS0_14default_configENS1_37merge_sort_block_sort_config_selectorIxNS0_10empty_typeEEENS1_38merge_sort_block_merge_config_selectorIxSE_EEEEvv
                                        ; -- End function
	.section	.AMDGPU.csdata,"",@progbits
; Kernel info:
; codeLenInByte = 4
; NumSgprs: 4
; NumVgprs: 0
; NumAgprs: 0
; TotalNumVgprs: 0
; ScratchSize: 0
; MemoryBound: 0
; FloatMode: 240
; IeeeMode: 1
; LDSByteSize: 0 bytes/workgroup (compile time only)
; SGPRBlocks: 0
; VGPRBlocks: 0
; NumSGPRsForWavesPerEU: 4
; NumVGPRsForWavesPerEU: 1
; AccumOffset: 4
; Occupancy: 8
; WaveLimiterHint : 0
; COMPUTE_PGM_RSRC2:SCRATCH_EN: 0
; COMPUTE_PGM_RSRC2:USER_SGPR: 4
; COMPUTE_PGM_RSRC2:TRAP_HANDLER: 0
; COMPUTE_PGM_RSRC2:TGID_X_EN: 1
; COMPUTE_PGM_RSRC2:TGID_Y_EN: 0
; COMPUTE_PGM_RSRC2:TGID_Z_EN: 0
; COMPUTE_PGM_RSRC2:TIDIG_COMP_CNT: 0
; COMPUTE_PGM_RSRC3_GFX90A:ACCUM_OFFSET: 0
; COMPUTE_PGM_RSRC3_GFX90A:TG_SPLIT: 0
	.section	.text._ZN7rocprim17ROCPRIM_400000_NS6detail44device_merge_sort_compile_time_verifier_archINS1_11comp_targetILNS1_3genE4ELNS1_11target_archE910ELNS1_3gpuE8ELNS1_3repE0EEES8_NS1_28merge_sort_block_sort_configILj256ELj4ELNS0_20block_sort_algorithmE0EEENS0_14default_configENS1_37merge_sort_block_sort_config_selectorIxNS0_10empty_typeEEENS1_38merge_sort_block_merge_config_selectorIxSE_EEEEvv,"axG",@progbits,_ZN7rocprim17ROCPRIM_400000_NS6detail44device_merge_sort_compile_time_verifier_archINS1_11comp_targetILNS1_3genE4ELNS1_11target_archE910ELNS1_3gpuE8ELNS1_3repE0EEES8_NS1_28merge_sort_block_sort_configILj256ELj4ELNS0_20block_sort_algorithmE0EEENS0_14default_configENS1_37merge_sort_block_sort_config_selectorIxNS0_10empty_typeEEENS1_38merge_sort_block_merge_config_selectorIxSE_EEEEvv,comdat
	.protected	_ZN7rocprim17ROCPRIM_400000_NS6detail44device_merge_sort_compile_time_verifier_archINS1_11comp_targetILNS1_3genE4ELNS1_11target_archE910ELNS1_3gpuE8ELNS1_3repE0EEES8_NS1_28merge_sort_block_sort_configILj256ELj4ELNS0_20block_sort_algorithmE0EEENS0_14default_configENS1_37merge_sort_block_sort_config_selectorIxNS0_10empty_typeEEENS1_38merge_sort_block_merge_config_selectorIxSE_EEEEvv ; -- Begin function _ZN7rocprim17ROCPRIM_400000_NS6detail44device_merge_sort_compile_time_verifier_archINS1_11comp_targetILNS1_3genE4ELNS1_11target_archE910ELNS1_3gpuE8ELNS1_3repE0EEES8_NS1_28merge_sort_block_sort_configILj256ELj4ELNS0_20block_sort_algorithmE0EEENS0_14default_configENS1_37merge_sort_block_sort_config_selectorIxNS0_10empty_typeEEENS1_38merge_sort_block_merge_config_selectorIxSE_EEEEvv
	.globl	_ZN7rocprim17ROCPRIM_400000_NS6detail44device_merge_sort_compile_time_verifier_archINS1_11comp_targetILNS1_3genE4ELNS1_11target_archE910ELNS1_3gpuE8ELNS1_3repE0EEES8_NS1_28merge_sort_block_sort_configILj256ELj4ELNS0_20block_sort_algorithmE0EEENS0_14default_configENS1_37merge_sort_block_sort_config_selectorIxNS0_10empty_typeEEENS1_38merge_sort_block_merge_config_selectorIxSE_EEEEvv
	.p2align	8
	.type	_ZN7rocprim17ROCPRIM_400000_NS6detail44device_merge_sort_compile_time_verifier_archINS1_11comp_targetILNS1_3genE4ELNS1_11target_archE910ELNS1_3gpuE8ELNS1_3repE0EEES8_NS1_28merge_sort_block_sort_configILj256ELj4ELNS0_20block_sort_algorithmE0EEENS0_14default_configENS1_37merge_sort_block_sort_config_selectorIxNS0_10empty_typeEEENS1_38merge_sort_block_merge_config_selectorIxSE_EEEEvv,@function
_ZN7rocprim17ROCPRIM_400000_NS6detail44device_merge_sort_compile_time_verifier_archINS1_11comp_targetILNS1_3genE4ELNS1_11target_archE910ELNS1_3gpuE8ELNS1_3repE0EEES8_NS1_28merge_sort_block_sort_configILj256ELj4ELNS0_20block_sort_algorithmE0EEENS0_14default_configENS1_37merge_sort_block_sort_config_selectorIxNS0_10empty_typeEEENS1_38merge_sort_block_merge_config_selectorIxSE_EEEEvv: ; @_ZN7rocprim17ROCPRIM_400000_NS6detail44device_merge_sort_compile_time_verifier_archINS1_11comp_targetILNS1_3genE4ELNS1_11target_archE910ELNS1_3gpuE8ELNS1_3repE0EEES8_NS1_28merge_sort_block_sort_configILj256ELj4ELNS0_20block_sort_algorithmE0EEENS0_14default_configENS1_37merge_sort_block_sort_config_selectorIxNS0_10empty_typeEEENS1_38merge_sort_block_merge_config_selectorIxSE_EEEEvv
; %bb.0:
	s_endpgm
	.section	.rodata,"a",@progbits
	.p2align	6, 0x0
	.amdhsa_kernel _ZN7rocprim17ROCPRIM_400000_NS6detail44device_merge_sort_compile_time_verifier_archINS1_11comp_targetILNS1_3genE4ELNS1_11target_archE910ELNS1_3gpuE8ELNS1_3repE0EEES8_NS1_28merge_sort_block_sort_configILj256ELj4ELNS0_20block_sort_algorithmE0EEENS0_14default_configENS1_37merge_sort_block_sort_config_selectorIxNS0_10empty_typeEEENS1_38merge_sort_block_merge_config_selectorIxSE_EEEEvv
		.amdhsa_group_segment_fixed_size 0
		.amdhsa_private_segment_fixed_size 0
		.amdhsa_kernarg_size 0
		.amdhsa_user_sgpr_count 4
		.amdhsa_user_sgpr_private_segment_buffer 1
		.amdhsa_user_sgpr_dispatch_ptr 0
		.amdhsa_user_sgpr_queue_ptr 0
		.amdhsa_user_sgpr_kernarg_segment_ptr 0
		.amdhsa_user_sgpr_dispatch_id 0
		.amdhsa_user_sgpr_flat_scratch_init 0
		.amdhsa_user_sgpr_kernarg_preload_length 0
		.amdhsa_user_sgpr_kernarg_preload_offset 0
		.amdhsa_user_sgpr_private_segment_size 0
		.amdhsa_uses_dynamic_stack 0
		.amdhsa_system_sgpr_private_segment_wavefront_offset 0
		.amdhsa_system_sgpr_workgroup_id_x 1
		.amdhsa_system_sgpr_workgroup_id_y 0
		.amdhsa_system_sgpr_workgroup_id_z 0
		.amdhsa_system_sgpr_workgroup_info 0
		.amdhsa_system_vgpr_workitem_id 0
		.amdhsa_next_free_vgpr 1
		.amdhsa_next_free_sgpr 0
		.amdhsa_accum_offset 4
		.amdhsa_reserve_vcc 0
		.amdhsa_reserve_flat_scratch 0
		.amdhsa_float_round_mode_32 0
		.amdhsa_float_round_mode_16_64 0
		.amdhsa_float_denorm_mode_32 3
		.amdhsa_float_denorm_mode_16_64 3
		.amdhsa_dx10_clamp 1
		.amdhsa_ieee_mode 1
		.amdhsa_fp16_overflow 0
		.amdhsa_tg_split 0
		.amdhsa_exception_fp_ieee_invalid_op 0
		.amdhsa_exception_fp_denorm_src 0
		.amdhsa_exception_fp_ieee_div_zero 0
		.amdhsa_exception_fp_ieee_overflow 0
		.amdhsa_exception_fp_ieee_underflow 0
		.amdhsa_exception_fp_ieee_inexact 0
		.amdhsa_exception_int_div_zero 0
	.end_amdhsa_kernel
	.section	.text._ZN7rocprim17ROCPRIM_400000_NS6detail44device_merge_sort_compile_time_verifier_archINS1_11comp_targetILNS1_3genE4ELNS1_11target_archE910ELNS1_3gpuE8ELNS1_3repE0EEES8_NS1_28merge_sort_block_sort_configILj256ELj4ELNS0_20block_sort_algorithmE0EEENS0_14default_configENS1_37merge_sort_block_sort_config_selectorIxNS0_10empty_typeEEENS1_38merge_sort_block_merge_config_selectorIxSE_EEEEvv,"axG",@progbits,_ZN7rocprim17ROCPRIM_400000_NS6detail44device_merge_sort_compile_time_verifier_archINS1_11comp_targetILNS1_3genE4ELNS1_11target_archE910ELNS1_3gpuE8ELNS1_3repE0EEES8_NS1_28merge_sort_block_sort_configILj256ELj4ELNS0_20block_sort_algorithmE0EEENS0_14default_configENS1_37merge_sort_block_sort_config_selectorIxNS0_10empty_typeEEENS1_38merge_sort_block_merge_config_selectorIxSE_EEEEvv,comdat
.Lfunc_end1403:
	.size	_ZN7rocprim17ROCPRIM_400000_NS6detail44device_merge_sort_compile_time_verifier_archINS1_11comp_targetILNS1_3genE4ELNS1_11target_archE910ELNS1_3gpuE8ELNS1_3repE0EEES8_NS1_28merge_sort_block_sort_configILj256ELj4ELNS0_20block_sort_algorithmE0EEENS0_14default_configENS1_37merge_sort_block_sort_config_selectorIxNS0_10empty_typeEEENS1_38merge_sort_block_merge_config_selectorIxSE_EEEEvv, .Lfunc_end1403-_ZN7rocprim17ROCPRIM_400000_NS6detail44device_merge_sort_compile_time_verifier_archINS1_11comp_targetILNS1_3genE4ELNS1_11target_archE910ELNS1_3gpuE8ELNS1_3repE0EEES8_NS1_28merge_sort_block_sort_configILj256ELj4ELNS0_20block_sort_algorithmE0EEENS0_14default_configENS1_37merge_sort_block_sort_config_selectorIxNS0_10empty_typeEEENS1_38merge_sort_block_merge_config_selectorIxSE_EEEEvv
                                        ; -- End function
	.section	.AMDGPU.csdata,"",@progbits
; Kernel info:
; codeLenInByte = 4
; NumSgprs: 4
; NumVgprs: 0
; NumAgprs: 0
; TotalNumVgprs: 0
; ScratchSize: 0
; MemoryBound: 0
; FloatMode: 240
; IeeeMode: 1
; LDSByteSize: 0 bytes/workgroup (compile time only)
; SGPRBlocks: 0
; VGPRBlocks: 0
; NumSGPRsForWavesPerEU: 4
; NumVGPRsForWavesPerEU: 1
; AccumOffset: 4
; Occupancy: 8
; WaveLimiterHint : 0
; COMPUTE_PGM_RSRC2:SCRATCH_EN: 0
; COMPUTE_PGM_RSRC2:USER_SGPR: 4
; COMPUTE_PGM_RSRC2:TRAP_HANDLER: 0
; COMPUTE_PGM_RSRC2:TGID_X_EN: 1
; COMPUTE_PGM_RSRC2:TGID_Y_EN: 0
; COMPUTE_PGM_RSRC2:TGID_Z_EN: 0
; COMPUTE_PGM_RSRC2:TIDIG_COMP_CNT: 0
; COMPUTE_PGM_RSRC3_GFX90A:ACCUM_OFFSET: 0
; COMPUTE_PGM_RSRC3_GFX90A:TG_SPLIT: 0
	.section	.text._ZN7rocprim17ROCPRIM_400000_NS6detail44device_merge_sort_compile_time_verifier_archINS1_11comp_targetILNS1_3genE3ELNS1_11target_archE908ELNS1_3gpuE7ELNS1_3repE0EEES8_NS1_28merge_sort_block_sort_configILj256ELj4ELNS0_20block_sort_algorithmE0EEENS0_14default_configENS1_37merge_sort_block_sort_config_selectorIxNS0_10empty_typeEEENS1_38merge_sort_block_merge_config_selectorIxSE_EEEEvv,"axG",@progbits,_ZN7rocprim17ROCPRIM_400000_NS6detail44device_merge_sort_compile_time_verifier_archINS1_11comp_targetILNS1_3genE3ELNS1_11target_archE908ELNS1_3gpuE7ELNS1_3repE0EEES8_NS1_28merge_sort_block_sort_configILj256ELj4ELNS0_20block_sort_algorithmE0EEENS0_14default_configENS1_37merge_sort_block_sort_config_selectorIxNS0_10empty_typeEEENS1_38merge_sort_block_merge_config_selectorIxSE_EEEEvv,comdat
	.protected	_ZN7rocprim17ROCPRIM_400000_NS6detail44device_merge_sort_compile_time_verifier_archINS1_11comp_targetILNS1_3genE3ELNS1_11target_archE908ELNS1_3gpuE7ELNS1_3repE0EEES8_NS1_28merge_sort_block_sort_configILj256ELj4ELNS0_20block_sort_algorithmE0EEENS0_14default_configENS1_37merge_sort_block_sort_config_selectorIxNS0_10empty_typeEEENS1_38merge_sort_block_merge_config_selectorIxSE_EEEEvv ; -- Begin function _ZN7rocprim17ROCPRIM_400000_NS6detail44device_merge_sort_compile_time_verifier_archINS1_11comp_targetILNS1_3genE3ELNS1_11target_archE908ELNS1_3gpuE7ELNS1_3repE0EEES8_NS1_28merge_sort_block_sort_configILj256ELj4ELNS0_20block_sort_algorithmE0EEENS0_14default_configENS1_37merge_sort_block_sort_config_selectorIxNS0_10empty_typeEEENS1_38merge_sort_block_merge_config_selectorIxSE_EEEEvv
	.globl	_ZN7rocprim17ROCPRIM_400000_NS6detail44device_merge_sort_compile_time_verifier_archINS1_11comp_targetILNS1_3genE3ELNS1_11target_archE908ELNS1_3gpuE7ELNS1_3repE0EEES8_NS1_28merge_sort_block_sort_configILj256ELj4ELNS0_20block_sort_algorithmE0EEENS0_14default_configENS1_37merge_sort_block_sort_config_selectorIxNS0_10empty_typeEEENS1_38merge_sort_block_merge_config_selectorIxSE_EEEEvv
	.p2align	8
	.type	_ZN7rocprim17ROCPRIM_400000_NS6detail44device_merge_sort_compile_time_verifier_archINS1_11comp_targetILNS1_3genE3ELNS1_11target_archE908ELNS1_3gpuE7ELNS1_3repE0EEES8_NS1_28merge_sort_block_sort_configILj256ELj4ELNS0_20block_sort_algorithmE0EEENS0_14default_configENS1_37merge_sort_block_sort_config_selectorIxNS0_10empty_typeEEENS1_38merge_sort_block_merge_config_selectorIxSE_EEEEvv,@function
_ZN7rocprim17ROCPRIM_400000_NS6detail44device_merge_sort_compile_time_verifier_archINS1_11comp_targetILNS1_3genE3ELNS1_11target_archE908ELNS1_3gpuE7ELNS1_3repE0EEES8_NS1_28merge_sort_block_sort_configILj256ELj4ELNS0_20block_sort_algorithmE0EEENS0_14default_configENS1_37merge_sort_block_sort_config_selectorIxNS0_10empty_typeEEENS1_38merge_sort_block_merge_config_selectorIxSE_EEEEvv: ; @_ZN7rocprim17ROCPRIM_400000_NS6detail44device_merge_sort_compile_time_verifier_archINS1_11comp_targetILNS1_3genE3ELNS1_11target_archE908ELNS1_3gpuE7ELNS1_3repE0EEES8_NS1_28merge_sort_block_sort_configILj256ELj4ELNS0_20block_sort_algorithmE0EEENS0_14default_configENS1_37merge_sort_block_sort_config_selectorIxNS0_10empty_typeEEENS1_38merge_sort_block_merge_config_selectorIxSE_EEEEvv
; %bb.0:
	s_endpgm
	.section	.rodata,"a",@progbits
	.p2align	6, 0x0
	.amdhsa_kernel _ZN7rocprim17ROCPRIM_400000_NS6detail44device_merge_sort_compile_time_verifier_archINS1_11comp_targetILNS1_3genE3ELNS1_11target_archE908ELNS1_3gpuE7ELNS1_3repE0EEES8_NS1_28merge_sort_block_sort_configILj256ELj4ELNS0_20block_sort_algorithmE0EEENS0_14default_configENS1_37merge_sort_block_sort_config_selectorIxNS0_10empty_typeEEENS1_38merge_sort_block_merge_config_selectorIxSE_EEEEvv
		.amdhsa_group_segment_fixed_size 0
		.amdhsa_private_segment_fixed_size 0
		.amdhsa_kernarg_size 0
		.amdhsa_user_sgpr_count 4
		.amdhsa_user_sgpr_private_segment_buffer 1
		.amdhsa_user_sgpr_dispatch_ptr 0
		.amdhsa_user_sgpr_queue_ptr 0
		.amdhsa_user_sgpr_kernarg_segment_ptr 0
		.amdhsa_user_sgpr_dispatch_id 0
		.amdhsa_user_sgpr_flat_scratch_init 0
		.amdhsa_user_sgpr_kernarg_preload_length 0
		.amdhsa_user_sgpr_kernarg_preload_offset 0
		.amdhsa_user_sgpr_private_segment_size 0
		.amdhsa_uses_dynamic_stack 0
		.amdhsa_system_sgpr_private_segment_wavefront_offset 0
		.amdhsa_system_sgpr_workgroup_id_x 1
		.amdhsa_system_sgpr_workgroup_id_y 0
		.amdhsa_system_sgpr_workgroup_id_z 0
		.amdhsa_system_sgpr_workgroup_info 0
		.amdhsa_system_vgpr_workitem_id 0
		.amdhsa_next_free_vgpr 1
		.amdhsa_next_free_sgpr 0
		.amdhsa_accum_offset 4
		.amdhsa_reserve_vcc 0
		.amdhsa_reserve_flat_scratch 0
		.amdhsa_float_round_mode_32 0
		.amdhsa_float_round_mode_16_64 0
		.amdhsa_float_denorm_mode_32 3
		.amdhsa_float_denorm_mode_16_64 3
		.amdhsa_dx10_clamp 1
		.amdhsa_ieee_mode 1
		.amdhsa_fp16_overflow 0
		.amdhsa_tg_split 0
		.amdhsa_exception_fp_ieee_invalid_op 0
		.amdhsa_exception_fp_denorm_src 0
		.amdhsa_exception_fp_ieee_div_zero 0
		.amdhsa_exception_fp_ieee_overflow 0
		.amdhsa_exception_fp_ieee_underflow 0
		.amdhsa_exception_fp_ieee_inexact 0
		.amdhsa_exception_int_div_zero 0
	.end_amdhsa_kernel
	.section	.text._ZN7rocprim17ROCPRIM_400000_NS6detail44device_merge_sort_compile_time_verifier_archINS1_11comp_targetILNS1_3genE3ELNS1_11target_archE908ELNS1_3gpuE7ELNS1_3repE0EEES8_NS1_28merge_sort_block_sort_configILj256ELj4ELNS0_20block_sort_algorithmE0EEENS0_14default_configENS1_37merge_sort_block_sort_config_selectorIxNS0_10empty_typeEEENS1_38merge_sort_block_merge_config_selectorIxSE_EEEEvv,"axG",@progbits,_ZN7rocprim17ROCPRIM_400000_NS6detail44device_merge_sort_compile_time_verifier_archINS1_11comp_targetILNS1_3genE3ELNS1_11target_archE908ELNS1_3gpuE7ELNS1_3repE0EEES8_NS1_28merge_sort_block_sort_configILj256ELj4ELNS0_20block_sort_algorithmE0EEENS0_14default_configENS1_37merge_sort_block_sort_config_selectorIxNS0_10empty_typeEEENS1_38merge_sort_block_merge_config_selectorIxSE_EEEEvv,comdat
.Lfunc_end1404:
	.size	_ZN7rocprim17ROCPRIM_400000_NS6detail44device_merge_sort_compile_time_verifier_archINS1_11comp_targetILNS1_3genE3ELNS1_11target_archE908ELNS1_3gpuE7ELNS1_3repE0EEES8_NS1_28merge_sort_block_sort_configILj256ELj4ELNS0_20block_sort_algorithmE0EEENS0_14default_configENS1_37merge_sort_block_sort_config_selectorIxNS0_10empty_typeEEENS1_38merge_sort_block_merge_config_selectorIxSE_EEEEvv, .Lfunc_end1404-_ZN7rocprim17ROCPRIM_400000_NS6detail44device_merge_sort_compile_time_verifier_archINS1_11comp_targetILNS1_3genE3ELNS1_11target_archE908ELNS1_3gpuE7ELNS1_3repE0EEES8_NS1_28merge_sort_block_sort_configILj256ELj4ELNS0_20block_sort_algorithmE0EEENS0_14default_configENS1_37merge_sort_block_sort_config_selectorIxNS0_10empty_typeEEENS1_38merge_sort_block_merge_config_selectorIxSE_EEEEvv
                                        ; -- End function
	.section	.AMDGPU.csdata,"",@progbits
; Kernel info:
; codeLenInByte = 4
; NumSgprs: 4
; NumVgprs: 0
; NumAgprs: 0
; TotalNumVgprs: 0
; ScratchSize: 0
; MemoryBound: 0
; FloatMode: 240
; IeeeMode: 1
; LDSByteSize: 0 bytes/workgroup (compile time only)
; SGPRBlocks: 0
; VGPRBlocks: 0
; NumSGPRsForWavesPerEU: 4
; NumVGPRsForWavesPerEU: 1
; AccumOffset: 4
; Occupancy: 8
; WaveLimiterHint : 0
; COMPUTE_PGM_RSRC2:SCRATCH_EN: 0
; COMPUTE_PGM_RSRC2:USER_SGPR: 4
; COMPUTE_PGM_RSRC2:TRAP_HANDLER: 0
; COMPUTE_PGM_RSRC2:TGID_X_EN: 1
; COMPUTE_PGM_RSRC2:TGID_Y_EN: 0
; COMPUTE_PGM_RSRC2:TGID_Z_EN: 0
; COMPUTE_PGM_RSRC2:TIDIG_COMP_CNT: 0
; COMPUTE_PGM_RSRC3_GFX90A:ACCUM_OFFSET: 0
; COMPUTE_PGM_RSRC3_GFX90A:TG_SPLIT: 0
	.section	.text._ZN7rocprim17ROCPRIM_400000_NS6detail44device_merge_sort_compile_time_verifier_archINS1_11comp_targetILNS1_3genE2ELNS1_11target_archE906ELNS1_3gpuE6ELNS1_3repE0EEES8_NS1_28merge_sort_block_sort_configILj256ELj4ELNS0_20block_sort_algorithmE0EEENS0_14default_configENS1_37merge_sort_block_sort_config_selectorIxNS0_10empty_typeEEENS1_38merge_sort_block_merge_config_selectorIxSE_EEEEvv,"axG",@progbits,_ZN7rocprim17ROCPRIM_400000_NS6detail44device_merge_sort_compile_time_verifier_archINS1_11comp_targetILNS1_3genE2ELNS1_11target_archE906ELNS1_3gpuE6ELNS1_3repE0EEES8_NS1_28merge_sort_block_sort_configILj256ELj4ELNS0_20block_sort_algorithmE0EEENS0_14default_configENS1_37merge_sort_block_sort_config_selectorIxNS0_10empty_typeEEENS1_38merge_sort_block_merge_config_selectorIxSE_EEEEvv,comdat
	.protected	_ZN7rocprim17ROCPRIM_400000_NS6detail44device_merge_sort_compile_time_verifier_archINS1_11comp_targetILNS1_3genE2ELNS1_11target_archE906ELNS1_3gpuE6ELNS1_3repE0EEES8_NS1_28merge_sort_block_sort_configILj256ELj4ELNS0_20block_sort_algorithmE0EEENS0_14default_configENS1_37merge_sort_block_sort_config_selectorIxNS0_10empty_typeEEENS1_38merge_sort_block_merge_config_selectorIxSE_EEEEvv ; -- Begin function _ZN7rocprim17ROCPRIM_400000_NS6detail44device_merge_sort_compile_time_verifier_archINS1_11comp_targetILNS1_3genE2ELNS1_11target_archE906ELNS1_3gpuE6ELNS1_3repE0EEES8_NS1_28merge_sort_block_sort_configILj256ELj4ELNS0_20block_sort_algorithmE0EEENS0_14default_configENS1_37merge_sort_block_sort_config_selectorIxNS0_10empty_typeEEENS1_38merge_sort_block_merge_config_selectorIxSE_EEEEvv
	.globl	_ZN7rocprim17ROCPRIM_400000_NS6detail44device_merge_sort_compile_time_verifier_archINS1_11comp_targetILNS1_3genE2ELNS1_11target_archE906ELNS1_3gpuE6ELNS1_3repE0EEES8_NS1_28merge_sort_block_sort_configILj256ELj4ELNS0_20block_sort_algorithmE0EEENS0_14default_configENS1_37merge_sort_block_sort_config_selectorIxNS0_10empty_typeEEENS1_38merge_sort_block_merge_config_selectorIxSE_EEEEvv
	.p2align	8
	.type	_ZN7rocprim17ROCPRIM_400000_NS6detail44device_merge_sort_compile_time_verifier_archINS1_11comp_targetILNS1_3genE2ELNS1_11target_archE906ELNS1_3gpuE6ELNS1_3repE0EEES8_NS1_28merge_sort_block_sort_configILj256ELj4ELNS0_20block_sort_algorithmE0EEENS0_14default_configENS1_37merge_sort_block_sort_config_selectorIxNS0_10empty_typeEEENS1_38merge_sort_block_merge_config_selectorIxSE_EEEEvv,@function
_ZN7rocprim17ROCPRIM_400000_NS6detail44device_merge_sort_compile_time_verifier_archINS1_11comp_targetILNS1_3genE2ELNS1_11target_archE906ELNS1_3gpuE6ELNS1_3repE0EEES8_NS1_28merge_sort_block_sort_configILj256ELj4ELNS0_20block_sort_algorithmE0EEENS0_14default_configENS1_37merge_sort_block_sort_config_selectorIxNS0_10empty_typeEEENS1_38merge_sort_block_merge_config_selectorIxSE_EEEEvv: ; @_ZN7rocprim17ROCPRIM_400000_NS6detail44device_merge_sort_compile_time_verifier_archINS1_11comp_targetILNS1_3genE2ELNS1_11target_archE906ELNS1_3gpuE6ELNS1_3repE0EEES8_NS1_28merge_sort_block_sort_configILj256ELj4ELNS0_20block_sort_algorithmE0EEENS0_14default_configENS1_37merge_sort_block_sort_config_selectorIxNS0_10empty_typeEEENS1_38merge_sort_block_merge_config_selectorIxSE_EEEEvv
; %bb.0:
	s_endpgm
	.section	.rodata,"a",@progbits
	.p2align	6, 0x0
	.amdhsa_kernel _ZN7rocprim17ROCPRIM_400000_NS6detail44device_merge_sort_compile_time_verifier_archINS1_11comp_targetILNS1_3genE2ELNS1_11target_archE906ELNS1_3gpuE6ELNS1_3repE0EEES8_NS1_28merge_sort_block_sort_configILj256ELj4ELNS0_20block_sort_algorithmE0EEENS0_14default_configENS1_37merge_sort_block_sort_config_selectorIxNS0_10empty_typeEEENS1_38merge_sort_block_merge_config_selectorIxSE_EEEEvv
		.amdhsa_group_segment_fixed_size 0
		.amdhsa_private_segment_fixed_size 0
		.amdhsa_kernarg_size 0
		.amdhsa_user_sgpr_count 4
		.amdhsa_user_sgpr_private_segment_buffer 1
		.amdhsa_user_sgpr_dispatch_ptr 0
		.amdhsa_user_sgpr_queue_ptr 0
		.amdhsa_user_sgpr_kernarg_segment_ptr 0
		.amdhsa_user_sgpr_dispatch_id 0
		.amdhsa_user_sgpr_flat_scratch_init 0
		.amdhsa_user_sgpr_kernarg_preload_length 0
		.amdhsa_user_sgpr_kernarg_preload_offset 0
		.amdhsa_user_sgpr_private_segment_size 0
		.amdhsa_uses_dynamic_stack 0
		.amdhsa_system_sgpr_private_segment_wavefront_offset 0
		.amdhsa_system_sgpr_workgroup_id_x 1
		.amdhsa_system_sgpr_workgroup_id_y 0
		.amdhsa_system_sgpr_workgroup_id_z 0
		.amdhsa_system_sgpr_workgroup_info 0
		.amdhsa_system_vgpr_workitem_id 0
		.amdhsa_next_free_vgpr 1
		.amdhsa_next_free_sgpr 0
		.amdhsa_accum_offset 4
		.amdhsa_reserve_vcc 0
		.amdhsa_reserve_flat_scratch 0
		.amdhsa_float_round_mode_32 0
		.amdhsa_float_round_mode_16_64 0
		.amdhsa_float_denorm_mode_32 3
		.amdhsa_float_denorm_mode_16_64 3
		.amdhsa_dx10_clamp 1
		.amdhsa_ieee_mode 1
		.amdhsa_fp16_overflow 0
		.amdhsa_tg_split 0
		.amdhsa_exception_fp_ieee_invalid_op 0
		.amdhsa_exception_fp_denorm_src 0
		.amdhsa_exception_fp_ieee_div_zero 0
		.amdhsa_exception_fp_ieee_overflow 0
		.amdhsa_exception_fp_ieee_underflow 0
		.amdhsa_exception_fp_ieee_inexact 0
		.amdhsa_exception_int_div_zero 0
	.end_amdhsa_kernel
	.section	.text._ZN7rocprim17ROCPRIM_400000_NS6detail44device_merge_sort_compile_time_verifier_archINS1_11comp_targetILNS1_3genE2ELNS1_11target_archE906ELNS1_3gpuE6ELNS1_3repE0EEES8_NS1_28merge_sort_block_sort_configILj256ELj4ELNS0_20block_sort_algorithmE0EEENS0_14default_configENS1_37merge_sort_block_sort_config_selectorIxNS0_10empty_typeEEENS1_38merge_sort_block_merge_config_selectorIxSE_EEEEvv,"axG",@progbits,_ZN7rocprim17ROCPRIM_400000_NS6detail44device_merge_sort_compile_time_verifier_archINS1_11comp_targetILNS1_3genE2ELNS1_11target_archE906ELNS1_3gpuE6ELNS1_3repE0EEES8_NS1_28merge_sort_block_sort_configILj256ELj4ELNS0_20block_sort_algorithmE0EEENS0_14default_configENS1_37merge_sort_block_sort_config_selectorIxNS0_10empty_typeEEENS1_38merge_sort_block_merge_config_selectorIxSE_EEEEvv,comdat
.Lfunc_end1405:
	.size	_ZN7rocprim17ROCPRIM_400000_NS6detail44device_merge_sort_compile_time_verifier_archINS1_11comp_targetILNS1_3genE2ELNS1_11target_archE906ELNS1_3gpuE6ELNS1_3repE0EEES8_NS1_28merge_sort_block_sort_configILj256ELj4ELNS0_20block_sort_algorithmE0EEENS0_14default_configENS1_37merge_sort_block_sort_config_selectorIxNS0_10empty_typeEEENS1_38merge_sort_block_merge_config_selectorIxSE_EEEEvv, .Lfunc_end1405-_ZN7rocprim17ROCPRIM_400000_NS6detail44device_merge_sort_compile_time_verifier_archINS1_11comp_targetILNS1_3genE2ELNS1_11target_archE906ELNS1_3gpuE6ELNS1_3repE0EEES8_NS1_28merge_sort_block_sort_configILj256ELj4ELNS0_20block_sort_algorithmE0EEENS0_14default_configENS1_37merge_sort_block_sort_config_selectorIxNS0_10empty_typeEEENS1_38merge_sort_block_merge_config_selectorIxSE_EEEEvv
                                        ; -- End function
	.section	.AMDGPU.csdata,"",@progbits
; Kernel info:
; codeLenInByte = 4
; NumSgprs: 4
; NumVgprs: 0
; NumAgprs: 0
; TotalNumVgprs: 0
; ScratchSize: 0
; MemoryBound: 0
; FloatMode: 240
; IeeeMode: 1
; LDSByteSize: 0 bytes/workgroup (compile time only)
; SGPRBlocks: 0
; VGPRBlocks: 0
; NumSGPRsForWavesPerEU: 4
; NumVGPRsForWavesPerEU: 1
; AccumOffset: 4
; Occupancy: 8
; WaveLimiterHint : 0
; COMPUTE_PGM_RSRC2:SCRATCH_EN: 0
; COMPUTE_PGM_RSRC2:USER_SGPR: 4
; COMPUTE_PGM_RSRC2:TRAP_HANDLER: 0
; COMPUTE_PGM_RSRC2:TGID_X_EN: 1
; COMPUTE_PGM_RSRC2:TGID_Y_EN: 0
; COMPUTE_PGM_RSRC2:TGID_Z_EN: 0
; COMPUTE_PGM_RSRC2:TIDIG_COMP_CNT: 0
; COMPUTE_PGM_RSRC3_GFX90A:ACCUM_OFFSET: 0
; COMPUTE_PGM_RSRC3_GFX90A:TG_SPLIT: 0
	.section	.text._ZN7rocprim17ROCPRIM_400000_NS6detail44device_merge_sort_compile_time_verifier_archINS1_11comp_targetILNS1_3genE10ELNS1_11target_archE1201ELNS1_3gpuE5ELNS1_3repE0EEES8_NS1_28merge_sort_block_sort_configILj256ELj4ELNS0_20block_sort_algorithmE0EEENS0_14default_configENS1_37merge_sort_block_sort_config_selectorIxNS0_10empty_typeEEENS1_38merge_sort_block_merge_config_selectorIxSE_EEEEvv,"axG",@progbits,_ZN7rocprim17ROCPRIM_400000_NS6detail44device_merge_sort_compile_time_verifier_archINS1_11comp_targetILNS1_3genE10ELNS1_11target_archE1201ELNS1_3gpuE5ELNS1_3repE0EEES8_NS1_28merge_sort_block_sort_configILj256ELj4ELNS0_20block_sort_algorithmE0EEENS0_14default_configENS1_37merge_sort_block_sort_config_selectorIxNS0_10empty_typeEEENS1_38merge_sort_block_merge_config_selectorIxSE_EEEEvv,comdat
	.protected	_ZN7rocprim17ROCPRIM_400000_NS6detail44device_merge_sort_compile_time_verifier_archINS1_11comp_targetILNS1_3genE10ELNS1_11target_archE1201ELNS1_3gpuE5ELNS1_3repE0EEES8_NS1_28merge_sort_block_sort_configILj256ELj4ELNS0_20block_sort_algorithmE0EEENS0_14default_configENS1_37merge_sort_block_sort_config_selectorIxNS0_10empty_typeEEENS1_38merge_sort_block_merge_config_selectorIxSE_EEEEvv ; -- Begin function _ZN7rocprim17ROCPRIM_400000_NS6detail44device_merge_sort_compile_time_verifier_archINS1_11comp_targetILNS1_3genE10ELNS1_11target_archE1201ELNS1_3gpuE5ELNS1_3repE0EEES8_NS1_28merge_sort_block_sort_configILj256ELj4ELNS0_20block_sort_algorithmE0EEENS0_14default_configENS1_37merge_sort_block_sort_config_selectorIxNS0_10empty_typeEEENS1_38merge_sort_block_merge_config_selectorIxSE_EEEEvv
	.globl	_ZN7rocprim17ROCPRIM_400000_NS6detail44device_merge_sort_compile_time_verifier_archINS1_11comp_targetILNS1_3genE10ELNS1_11target_archE1201ELNS1_3gpuE5ELNS1_3repE0EEES8_NS1_28merge_sort_block_sort_configILj256ELj4ELNS0_20block_sort_algorithmE0EEENS0_14default_configENS1_37merge_sort_block_sort_config_selectorIxNS0_10empty_typeEEENS1_38merge_sort_block_merge_config_selectorIxSE_EEEEvv
	.p2align	8
	.type	_ZN7rocprim17ROCPRIM_400000_NS6detail44device_merge_sort_compile_time_verifier_archINS1_11comp_targetILNS1_3genE10ELNS1_11target_archE1201ELNS1_3gpuE5ELNS1_3repE0EEES8_NS1_28merge_sort_block_sort_configILj256ELj4ELNS0_20block_sort_algorithmE0EEENS0_14default_configENS1_37merge_sort_block_sort_config_selectorIxNS0_10empty_typeEEENS1_38merge_sort_block_merge_config_selectorIxSE_EEEEvv,@function
_ZN7rocprim17ROCPRIM_400000_NS6detail44device_merge_sort_compile_time_verifier_archINS1_11comp_targetILNS1_3genE10ELNS1_11target_archE1201ELNS1_3gpuE5ELNS1_3repE0EEES8_NS1_28merge_sort_block_sort_configILj256ELj4ELNS0_20block_sort_algorithmE0EEENS0_14default_configENS1_37merge_sort_block_sort_config_selectorIxNS0_10empty_typeEEENS1_38merge_sort_block_merge_config_selectorIxSE_EEEEvv: ; @_ZN7rocprim17ROCPRIM_400000_NS6detail44device_merge_sort_compile_time_verifier_archINS1_11comp_targetILNS1_3genE10ELNS1_11target_archE1201ELNS1_3gpuE5ELNS1_3repE0EEES8_NS1_28merge_sort_block_sort_configILj256ELj4ELNS0_20block_sort_algorithmE0EEENS0_14default_configENS1_37merge_sort_block_sort_config_selectorIxNS0_10empty_typeEEENS1_38merge_sort_block_merge_config_selectorIxSE_EEEEvv
; %bb.0:
	s_endpgm
	.section	.rodata,"a",@progbits
	.p2align	6, 0x0
	.amdhsa_kernel _ZN7rocprim17ROCPRIM_400000_NS6detail44device_merge_sort_compile_time_verifier_archINS1_11comp_targetILNS1_3genE10ELNS1_11target_archE1201ELNS1_3gpuE5ELNS1_3repE0EEES8_NS1_28merge_sort_block_sort_configILj256ELj4ELNS0_20block_sort_algorithmE0EEENS0_14default_configENS1_37merge_sort_block_sort_config_selectorIxNS0_10empty_typeEEENS1_38merge_sort_block_merge_config_selectorIxSE_EEEEvv
		.amdhsa_group_segment_fixed_size 0
		.amdhsa_private_segment_fixed_size 0
		.amdhsa_kernarg_size 0
		.amdhsa_user_sgpr_count 4
		.amdhsa_user_sgpr_private_segment_buffer 1
		.amdhsa_user_sgpr_dispatch_ptr 0
		.amdhsa_user_sgpr_queue_ptr 0
		.amdhsa_user_sgpr_kernarg_segment_ptr 0
		.amdhsa_user_sgpr_dispatch_id 0
		.amdhsa_user_sgpr_flat_scratch_init 0
		.amdhsa_user_sgpr_kernarg_preload_length 0
		.amdhsa_user_sgpr_kernarg_preload_offset 0
		.amdhsa_user_sgpr_private_segment_size 0
		.amdhsa_uses_dynamic_stack 0
		.amdhsa_system_sgpr_private_segment_wavefront_offset 0
		.amdhsa_system_sgpr_workgroup_id_x 1
		.amdhsa_system_sgpr_workgroup_id_y 0
		.amdhsa_system_sgpr_workgroup_id_z 0
		.amdhsa_system_sgpr_workgroup_info 0
		.amdhsa_system_vgpr_workitem_id 0
		.amdhsa_next_free_vgpr 1
		.amdhsa_next_free_sgpr 0
		.amdhsa_accum_offset 4
		.amdhsa_reserve_vcc 0
		.amdhsa_reserve_flat_scratch 0
		.amdhsa_float_round_mode_32 0
		.amdhsa_float_round_mode_16_64 0
		.amdhsa_float_denorm_mode_32 3
		.amdhsa_float_denorm_mode_16_64 3
		.amdhsa_dx10_clamp 1
		.amdhsa_ieee_mode 1
		.amdhsa_fp16_overflow 0
		.amdhsa_tg_split 0
		.amdhsa_exception_fp_ieee_invalid_op 0
		.amdhsa_exception_fp_denorm_src 0
		.amdhsa_exception_fp_ieee_div_zero 0
		.amdhsa_exception_fp_ieee_overflow 0
		.amdhsa_exception_fp_ieee_underflow 0
		.amdhsa_exception_fp_ieee_inexact 0
		.amdhsa_exception_int_div_zero 0
	.end_amdhsa_kernel
	.section	.text._ZN7rocprim17ROCPRIM_400000_NS6detail44device_merge_sort_compile_time_verifier_archINS1_11comp_targetILNS1_3genE10ELNS1_11target_archE1201ELNS1_3gpuE5ELNS1_3repE0EEES8_NS1_28merge_sort_block_sort_configILj256ELj4ELNS0_20block_sort_algorithmE0EEENS0_14default_configENS1_37merge_sort_block_sort_config_selectorIxNS0_10empty_typeEEENS1_38merge_sort_block_merge_config_selectorIxSE_EEEEvv,"axG",@progbits,_ZN7rocprim17ROCPRIM_400000_NS6detail44device_merge_sort_compile_time_verifier_archINS1_11comp_targetILNS1_3genE10ELNS1_11target_archE1201ELNS1_3gpuE5ELNS1_3repE0EEES8_NS1_28merge_sort_block_sort_configILj256ELj4ELNS0_20block_sort_algorithmE0EEENS0_14default_configENS1_37merge_sort_block_sort_config_selectorIxNS0_10empty_typeEEENS1_38merge_sort_block_merge_config_selectorIxSE_EEEEvv,comdat
.Lfunc_end1406:
	.size	_ZN7rocprim17ROCPRIM_400000_NS6detail44device_merge_sort_compile_time_verifier_archINS1_11comp_targetILNS1_3genE10ELNS1_11target_archE1201ELNS1_3gpuE5ELNS1_3repE0EEES8_NS1_28merge_sort_block_sort_configILj256ELj4ELNS0_20block_sort_algorithmE0EEENS0_14default_configENS1_37merge_sort_block_sort_config_selectorIxNS0_10empty_typeEEENS1_38merge_sort_block_merge_config_selectorIxSE_EEEEvv, .Lfunc_end1406-_ZN7rocprim17ROCPRIM_400000_NS6detail44device_merge_sort_compile_time_verifier_archINS1_11comp_targetILNS1_3genE10ELNS1_11target_archE1201ELNS1_3gpuE5ELNS1_3repE0EEES8_NS1_28merge_sort_block_sort_configILj256ELj4ELNS0_20block_sort_algorithmE0EEENS0_14default_configENS1_37merge_sort_block_sort_config_selectorIxNS0_10empty_typeEEENS1_38merge_sort_block_merge_config_selectorIxSE_EEEEvv
                                        ; -- End function
	.section	.AMDGPU.csdata,"",@progbits
; Kernel info:
; codeLenInByte = 4
; NumSgprs: 4
; NumVgprs: 0
; NumAgprs: 0
; TotalNumVgprs: 0
; ScratchSize: 0
; MemoryBound: 0
; FloatMode: 240
; IeeeMode: 1
; LDSByteSize: 0 bytes/workgroup (compile time only)
; SGPRBlocks: 0
; VGPRBlocks: 0
; NumSGPRsForWavesPerEU: 4
; NumVGPRsForWavesPerEU: 1
; AccumOffset: 4
; Occupancy: 8
; WaveLimiterHint : 0
; COMPUTE_PGM_RSRC2:SCRATCH_EN: 0
; COMPUTE_PGM_RSRC2:USER_SGPR: 4
; COMPUTE_PGM_RSRC2:TRAP_HANDLER: 0
; COMPUTE_PGM_RSRC2:TGID_X_EN: 1
; COMPUTE_PGM_RSRC2:TGID_Y_EN: 0
; COMPUTE_PGM_RSRC2:TGID_Z_EN: 0
; COMPUTE_PGM_RSRC2:TIDIG_COMP_CNT: 0
; COMPUTE_PGM_RSRC3_GFX90A:ACCUM_OFFSET: 0
; COMPUTE_PGM_RSRC3_GFX90A:TG_SPLIT: 0
	.section	.text._ZN7rocprim17ROCPRIM_400000_NS6detail44device_merge_sort_compile_time_verifier_archINS1_11comp_targetILNS1_3genE10ELNS1_11target_archE1200ELNS1_3gpuE4ELNS1_3repE0EEENS3_ILS4_10ELS5_1201ELS6_5ELS7_0EEENS1_28merge_sort_block_sort_configILj256ELj4ELNS0_20block_sort_algorithmE0EEENS0_14default_configENS1_37merge_sort_block_sort_config_selectorIxNS0_10empty_typeEEENS1_38merge_sort_block_merge_config_selectorIxSF_EEEEvv,"axG",@progbits,_ZN7rocprim17ROCPRIM_400000_NS6detail44device_merge_sort_compile_time_verifier_archINS1_11comp_targetILNS1_3genE10ELNS1_11target_archE1200ELNS1_3gpuE4ELNS1_3repE0EEENS3_ILS4_10ELS5_1201ELS6_5ELS7_0EEENS1_28merge_sort_block_sort_configILj256ELj4ELNS0_20block_sort_algorithmE0EEENS0_14default_configENS1_37merge_sort_block_sort_config_selectorIxNS0_10empty_typeEEENS1_38merge_sort_block_merge_config_selectorIxSF_EEEEvv,comdat
	.protected	_ZN7rocprim17ROCPRIM_400000_NS6detail44device_merge_sort_compile_time_verifier_archINS1_11comp_targetILNS1_3genE10ELNS1_11target_archE1200ELNS1_3gpuE4ELNS1_3repE0EEENS3_ILS4_10ELS5_1201ELS6_5ELS7_0EEENS1_28merge_sort_block_sort_configILj256ELj4ELNS0_20block_sort_algorithmE0EEENS0_14default_configENS1_37merge_sort_block_sort_config_selectorIxNS0_10empty_typeEEENS1_38merge_sort_block_merge_config_selectorIxSF_EEEEvv ; -- Begin function _ZN7rocprim17ROCPRIM_400000_NS6detail44device_merge_sort_compile_time_verifier_archINS1_11comp_targetILNS1_3genE10ELNS1_11target_archE1200ELNS1_3gpuE4ELNS1_3repE0EEENS3_ILS4_10ELS5_1201ELS6_5ELS7_0EEENS1_28merge_sort_block_sort_configILj256ELj4ELNS0_20block_sort_algorithmE0EEENS0_14default_configENS1_37merge_sort_block_sort_config_selectorIxNS0_10empty_typeEEENS1_38merge_sort_block_merge_config_selectorIxSF_EEEEvv
	.globl	_ZN7rocprim17ROCPRIM_400000_NS6detail44device_merge_sort_compile_time_verifier_archINS1_11comp_targetILNS1_3genE10ELNS1_11target_archE1200ELNS1_3gpuE4ELNS1_3repE0EEENS3_ILS4_10ELS5_1201ELS6_5ELS7_0EEENS1_28merge_sort_block_sort_configILj256ELj4ELNS0_20block_sort_algorithmE0EEENS0_14default_configENS1_37merge_sort_block_sort_config_selectorIxNS0_10empty_typeEEENS1_38merge_sort_block_merge_config_selectorIxSF_EEEEvv
	.p2align	8
	.type	_ZN7rocprim17ROCPRIM_400000_NS6detail44device_merge_sort_compile_time_verifier_archINS1_11comp_targetILNS1_3genE10ELNS1_11target_archE1200ELNS1_3gpuE4ELNS1_3repE0EEENS3_ILS4_10ELS5_1201ELS6_5ELS7_0EEENS1_28merge_sort_block_sort_configILj256ELj4ELNS0_20block_sort_algorithmE0EEENS0_14default_configENS1_37merge_sort_block_sort_config_selectorIxNS0_10empty_typeEEENS1_38merge_sort_block_merge_config_selectorIxSF_EEEEvv,@function
_ZN7rocprim17ROCPRIM_400000_NS6detail44device_merge_sort_compile_time_verifier_archINS1_11comp_targetILNS1_3genE10ELNS1_11target_archE1200ELNS1_3gpuE4ELNS1_3repE0EEENS3_ILS4_10ELS5_1201ELS6_5ELS7_0EEENS1_28merge_sort_block_sort_configILj256ELj4ELNS0_20block_sort_algorithmE0EEENS0_14default_configENS1_37merge_sort_block_sort_config_selectorIxNS0_10empty_typeEEENS1_38merge_sort_block_merge_config_selectorIxSF_EEEEvv: ; @_ZN7rocprim17ROCPRIM_400000_NS6detail44device_merge_sort_compile_time_verifier_archINS1_11comp_targetILNS1_3genE10ELNS1_11target_archE1200ELNS1_3gpuE4ELNS1_3repE0EEENS3_ILS4_10ELS5_1201ELS6_5ELS7_0EEENS1_28merge_sort_block_sort_configILj256ELj4ELNS0_20block_sort_algorithmE0EEENS0_14default_configENS1_37merge_sort_block_sort_config_selectorIxNS0_10empty_typeEEENS1_38merge_sort_block_merge_config_selectorIxSF_EEEEvv
; %bb.0:
	s_endpgm
	.section	.rodata,"a",@progbits
	.p2align	6, 0x0
	.amdhsa_kernel _ZN7rocprim17ROCPRIM_400000_NS6detail44device_merge_sort_compile_time_verifier_archINS1_11comp_targetILNS1_3genE10ELNS1_11target_archE1200ELNS1_3gpuE4ELNS1_3repE0EEENS3_ILS4_10ELS5_1201ELS6_5ELS7_0EEENS1_28merge_sort_block_sort_configILj256ELj4ELNS0_20block_sort_algorithmE0EEENS0_14default_configENS1_37merge_sort_block_sort_config_selectorIxNS0_10empty_typeEEENS1_38merge_sort_block_merge_config_selectorIxSF_EEEEvv
		.amdhsa_group_segment_fixed_size 0
		.amdhsa_private_segment_fixed_size 0
		.amdhsa_kernarg_size 0
		.amdhsa_user_sgpr_count 4
		.amdhsa_user_sgpr_private_segment_buffer 1
		.amdhsa_user_sgpr_dispatch_ptr 0
		.amdhsa_user_sgpr_queue_ptr 0
		.amdhsa_user_sgpr_kernarg_segment_ptr 0
		.amdhsa_user_sgpr_dispatch_id 0
		.amdhsa_user_sgpr_flat_scratch_init 0
		.amdhsa_user_sgpr_kernarg_preload_length 0
		.amdhsa_user_sgpr_kernarg_preload_offset 0
		.amdhsa_user_sgpr_private_segment_size 0
		.amdhsa_uses_dynamic_stack 0
		.amdhsa_system_sgpr_private_segment_wavefront_offset 0
		.amdhsa_system_sgpr_workgroup_id_x 1
		.amdhsa_system_sgpr_workgroup_id_y 0
		.amdhsa_system_sgpr_workgroup_id_z 0
		.amdhsa_system_sgpr_workgroup_info 0
		.amdhsa_system_vgpr_workitem_id 0
		.amdhsa_next_free_vgpr 1
		.amdhsa_next_free_sgpr 0
		.amdhsa_accum_offset 4
		.amdhsa_reserve_vcc 0
		.amdhsa_reserve_flat_scratch 0
		.amdhsa_float_round_mode_32 0
		.amdhsa_float_round_mode_16_64 0
		.amdhsa_float_denorm_mode_32 3
		.amdhsa_float_denorm_mode_16_64 3
		.amdhsa_dx10_clamp 1
		.amdhsa_ieee_mode 1
		.amdhsa_fp16_overflow 0
		.amdhsa_tg_split 0
		.amdhsa_exception_fp_ieee_invalid_op 0
		.amdhsa_exception_fp_denorm_src 0
		.amdhsa_exception_fp_ieee_div_zero 0
		.amdhsa_exception_fp_ieee_overflow 0
		.amdhsa_exception_fp_ieee_underflow 0
		.amdhsa_exception_fp_ieee_inexact 0
		.amdhsa_exception_int_div_zero 0
	.end_amdhsa_kernel
	.section	.text._ZN7rocprim17ROCPRIM_400000_NS6detail44device_merge_sort_compile_time_verifier_archINS1_11comp_targetILNS1_3genE10ELNS1_11target_archE1200ELNS1_3gpuE4ELNS1_3repE0EEENS3_ILS4_10ELS5_1201ELS6_5ELS7_0EEENS1_28merge_sort_block_sort_configILj256ELj4ELNS0_20block_sort_algorithmE0EEENS0_14default_configENS1_37merge_sort_block_sort_config_selectorIxNS0_10empty_typeEEENS1_38merge_sort_block_merge_config_selectorIxSF_EEEEvv,"axG",@progbits,_ZN7rocprim17ROCPRIM_400000_NS6detail44device_merge_sort_compile_time_verifier_archINS1_11comp_targetILNS1_3genE10ELNS1_11target_archE1200ELNS1_3gpuE4ELNS1_3repE0EEENS3_ILS4_10ELS5_1201ELS6_5ELS7_0EEENS1_28merge_sort_block_sort_configILj256ELj4ELNS0_20block_sort_algorithmE0EEENS0_14default_configENS1_37merge_sort_block_sort_config_selectorIxNS0_10empty_typeEEENS1_38merge_sort_block_merge_config_selectorIxSF_EEEEvv,comdat
.Lfunc_end1407:
	.size	_ZN7rocprim17ROCPRIM_400000_NS6detail44device_merge_sort_compile_time_verifier_archINS1_11comp_targetILNS1_3genE10ELNS1_11target_archE1200ELNS1_3gpuE4ELNS1_3repE0EEENS3_ILS4_10ELS5_1201ELS6_5ELS7_0EEENS1_28merge_sort_block_sort_configILj256ELj4ELNS0_20block_sort_algorithmE0EEENS0_14default_configENS1_37merge_sort_block_sort_config_selectorIxNS0_10empty_typeEEENS1_38merge_sort_block_merge_config_selectorIxSF_EEEEvv, .Lfunc_end1407-_ZN7rocprim17ROCPRIM_400000_NS6detail44device_merge_sort_compile_time_verifier_archINS1_11comp_targetILNS1_3genE10ELNS1_11target_archE1200ELNS1_3gpuE4ELNS1_3repE0EEENS3_ILS4_10ELS5_1201ELS6_5ELS7_0EEENS1_28merge_sort_block_sort_configILj256ELj4ELNS0_20block_sort_algorithmE0EEENS0_14default_configENS1_37merge_sort_block_sort_config_selectorIxNS0_10empty_typeEEENS1_38merge_sort_block_merge_config_selectorIxSF_EEEEvv
                                        ; -- End function
	.section	.AMDGPU.csdata,"",@progbits
; Kernel info:
; codeLenInByte = 4
; NumSgprs: 4
; NumVgprs: 0
; NumAgprs: 0
; TotalNumVgprs: 0
; ScratchSize: 0
; MemoryBound: 0
; FloatMode: 240
; IeeeMode: 1
; LDSByteSize: 0 bytes/workgroup (compile time only)
; SGPRBlocks: 0
; VGPRBlocks: 0
; NumSGPRsForWavesPerEU: 4
; NumVGPRsForWavesPerEU: 1
; AccumOffset: 4
; Occupancy: 8
; WaveLimiterHint : 0
; COMPUTE_PGM_RSRC2:SCRATCH_EN: 0
; COMPUTE_PGM_RSRC2:USER_SGPR: 4
; COMPUTE_PGM_RSRC2:TRAP_HANDLER: 0
; COMPUTE_PGM_RSRC2:TGID_X_EN: 1
; COMPUTE_PGM_RSRC2:TGID_Y_EN: 0
; COMPUTE_PGM_RSRC2:TGID_Z_EN: 0
; COMPUTE_PGM_RSRC2:TIDIG_COMP_CNT: 0
; COMPUTE_PGM_RSRC3_GFX90A:ACCUM_OFFSET: 0
; COMPUTE_PGM_RSRC3_GFX90A:TG_SPLIT: 0
	.section	.text._ZN7rocprim17ROCPRIM_400000_NS6detail44device_merge_sort_compile_time_verifier_archINS1_11comp_targetILNS1_3genE9ELNS1_11target_archE1100ELNS1_3gpuE3ELNS1_3repE0EEES8_NS1_28merge_sort_block_sort_configILj256ELj4ELNS0_20block_sort_algorithmE0EEENS0_14default_configENS1_37merge_sort_block_sort_config_selectorIxNS0_10empty_typeEEENS1_38merge_sort_block_merge_config_selectorIxSE_EEEEvv,"axG",@progbits,_ZN7rocprim17ROCPRIM_400000_NS6detail44device_merge_sort_compile_time_verifier_archINS1_11comp_targetILNS1_3genE9ELNS1_11target_archE1100ELNS1_3gpuE3ELNS1_3repE0EEES8_NS1_28merge_sort_block_sort_configILj256ELj4ELNS0_20block_sort_algorithmE0EEENS0_14default_configENS1_37merge_sort_block_sort_config_selectorIxNS0_10empty_typeEEENS1_38merge_sort_block_merge_config_selectorIxSE_EEEEvv,comdat
	.protected	_ZN7rocprim17ROCPRIM_400000_NS6detail44device_merge_sort_compile_time_verifier_archINS1_11comp_targetILNS1_3genE9ELNS1_11target_archE1100ELNS1_3gpuE3ELNS1_3repE0EEES8_NS1_28merge_sort_block_sort_configILj256ELj4ELNS0_20block_sort_algorithmE0EEENS0_14default_configENS1_37merge_sort_block_sort_config_selectorIxNS0_10empty_typeEEENS1_38merge_sort_block_merge_config_selectorIxSE_EEEEvv ; -- Begin function _ZN7rocprim17ROCPRIM_400000_NS6detail44device_merge_sort_compile_time_verifier_archINS1_11comp_targetILNS1_3genE9ELNS1_11target_archE1100ELNS1_3gpuE3ELNS1_3repE0EEES8_NS1_28merge_sort_block_sort_configILj256ELj4ELNS0_20block_sort_algorithmE0EEENS0_14default_configENS1_37merge_sort_block_sort_config_selectorIxNS0_10empty_typeEEENS1_38merge_sort_block_merge_config_selectorIxSE_EEEEvv
	.globl	_ZN7rocprim17ROCPRIM_400000_NS6detail44device_merge_sort_compile_time_verifier_archINS1_11comp_targetILNS1_3genE9ELNS1_11target_archE1100ELNS1_3gpuE3ELNS1_3repE0EEES8_NS1_28merge_sort_block_sort_configILj256ELj4ELNS0_20block_sort_algorithmE0EEENS0_14default_configENS1_37merge_sort_block_sort_config_selectorIxNS0_10empty_typeEEENS1_38merge_sort_block_merge_config_selectorIxSE_EEEEvv
	.p2align	8
	.type	_ZN7rocprim17ROCPRIM_400000_NS6detail44device_merge_sort_compile_time_verifier_archINS1_11comp_targetILNS1_3genE9ELNS1_11target_archE1100ELNS1_3gpuE3ELNS1_3repE0EEES8_NS1_28merge_sort_block_sort_configILj256ELj4ELNS0_20block_sort_algorithmE0EEENS0_14default_configENS1_37merge_sort_block_sort_config_selectorIxNS0_10empty_typeEEENS1_38merge_sort_block_merge_config_selectorIxSE_EEEEvv,@function
_ZN7rocprim17ROCPRIM_400000_NS6detail44device_merge_sort_compile_time_verifier_archINS1_11comp_targetILNS1_3genE9ELNS1_11target_archE1100ELNS1_3gpuE3ELNS1_3repE0EEES8_NS1_28merge_sort_block_sort_configILj256ELj4ELNS0_20block_sort_algorithmE0EEENS0_14default_configENS1_37merge_sort_block_sort_config_selectorIxNS0_10empty_typeEEENS1_38merge_sort_block_merge_config_selectorIxSE_EEEEvv: ; @_ZN7rocprim17ROCPRIM_400000_NS6detail44device_merge_sort_compile_time_verifier_archINS1_11comp_targetILNS1_3genE9ELNS1_11target_archE1100ELNS1_3gpuE3ELNS1_3repE0EEES8_NS1_28merge_sort_block_sort_configILj256ELj4ELNS0_20block_sort_algorithmE0EEENS0_14default_configENS1_37merge_sort_block_sort_config_selectorIxNS0_10empty_typeEEENS1_38merge_sort_block_merge_config_selectorIxSE_EEEEvv
; %bb.0:
	s_endpgm
	.section	.rodata,"a",@progbits
	.p2align	6, 0x0
	.amdhsa_kernel _ZN7rocprim17ROCPRIM_400000_NS6detail44device_merge_sort_compile_time_verifier_archINS1_11comp_targetILNS1_3genE9ELNS1_11target_archE1100ELNS1_3gpuE3ELNS1_3repE0EEES8_NS1_28merge_sort_block_sort_configILj256ELj4ELNS0_20block_sort_algorithmE0EEENS0_14default_configENS1_37merge_sort_block_sort_config_selectorIxNS0_10empty_typeEEENS1_38merge_sort_block_merge_config_selectorIxSE_EEEEvv
		.amdhsa_group_segment_fixed_size 0
		.amdhsa_private_segment_fixed_size 0
		.amdhsa_kernarg_size 0
		.amdhsa_user_sgpr_count 4
		.amdhsa_user_sgpr_private_segment_buffer 1
		.amdhsa_user_sgpr_dispatch_ptr 0
		.amdhsa_user_sgpr_queue_ptr 0
		.amdhsa_user_sgpr_kernarg_segment_ptr 0
		.amdhsa_user_sgpr_dispatch_id 0
		.amdhsa_user_sgpr_flat_scratch_init 0
		.amdhsa_user_sgpr_kernarg_preload_length 0
		.amdhsa_user_sgpr_kernarg_preload_offset 0
		.amdhsa_user_sgpr_private_segment_size 0
		.amdhsa_uses_dynamic_stack 0
		.amdhsa_system_sgpr_private_segment_wavefront_offset 0
		.amdhsa_system_sgpr_workgroup_id_x 1
		.amdhsa_system_sgpr_workgroup_id_y 0
		.amdhsa_system_sgpr_workgroup_id_z 0
		.amdhsa_system_sgpr_workgroup_info 0
		.amdhsa_system_vgpr_workitem_id 0
		.amdhsa_next_free_vgpr 1
		.amdhsa_next_free_sgpr 0
		.amdhsa_accum_offset 4
		.amdhsa_reserve_vcc 0
		.amdhsa_reserve_flat_scratch 0
		.amdhsa_float_round_mode_32 0
		.amdhsa_float_round_mode_16_64 0
		.amdhsa_float_denorm_mode_32 3
		.amdhsa_float_denorm_mode_16_64 3
		.amdhsa_dx10_clamp 1
		.amdhsa_ieee_mode 1
		.amdhsa_fp16_overflow 0
		.amdhsa_tg_split 0
		.amdhsa_exception_fp_ieee_invalid_op 0
		.amdhsa_exception_fp_denorm_src 0
		.amdhsa_exception_fp_ieee_div_zero 0
		.amdhsa_exception_fp_ieee_overflow 0
		.amdhsa_exception_fp_ieee_underflow 0
		.amdhsa_exception_fp_ieee_inexact 0
		.amdhsa_exception_int_div_zero 0
	.end_amdhsa_kernel
	.section	.text._ZN7rocprim17ROCPRIM_400000_NS6detail44device_merge_sort_compile_time_verifier_archINS1_11comp_targetILNS1_3genE9ELNS1_11target_archE1100ELNS1_3gpuE3ELNS1_3repE0EEES8_NS1_28merge_sort_block_sort_configILj256ELj4ELNS0_20block_sort_algorithmE0EEENS0_14default_configENS1_37merge_sort_block_sort_config_selectorIxNS0_10empty_typeEEENS1_38merge_sort_block_merge_config_selectorIxSE_EEEEvv,"axG",@progbits,_ZN7rocprim17ROCPRIM_400000_NS6detail44device_merge_sort_compile_time_verifier_archINS1_11comp_targetILNS1_3genE9ELNS1_11target_archE1100ELNS1_3gpuE3ELNS1_3repE0EEES8_NS1_28merge_sort_block_sort_configILj256ELj4ELNS0_20block_sort_algorithmE0EEENS0_14default_configENS1_37merge_sort_block_sort_config_selectorIxNS0_10empty_typeEEENS1_38merge_sort_block_merge_config_selectorIxSE_EEEEvv,comdat
.Lfunc_end1408:
	.size	_ZN7rocprim17ROCPRIM_400000_NS6detail44device_merge_sort_compile_time_verifier_archINS1_11comp_targetILNS1_3genE9ELNS1_11target_archE1100ELNS1_3gpuE3ELNS1_3repE0EEES8_NS1_28merge_sort_block_sort_configILj256ELj4ELNS0_20block_sort_algorithmE0EEENS0_14default_configENS1_37merge_sort_block_sort_config_selectorIxNS0_10empty_typeEEENS1_38merge_sort_block_merge_config_selectorIxSE_EEEEvv, .Lfunc_end1408-_ZN7rocprim17ROCPRIM_400000_NS6detail44device_merge_sort_compile_time_verifier_archINS1_11comp_targetILNS1_3genE9ELNS1_11target_archE1100ELNS1_3gpuE3ELNS1_3repE0EEES8_NS1_28merge_sort_block_sort_configILj256ELj4ELNS0_20block_sort_algorithmE0EEENS0_14default_configENS1_37merge_sort_block_sort_config_selectorIxNS0_10empty_typeEEENS1_38merge_sort_block_merge_config_selectorIxSE_EEEEvv
                                        ; -- End function
	.section	.AMDGPU.csdata,"",@progbits
; Kernel info:
; codeLenInByte = 4
; NumSgprs: 4
; NumVgprs: 0
; NumAgprs: 0
; TotalNumVgprs: 0
; ScratchSize: 0
; MemoryBound: 0
; FloatMode: 240
; IeeeMode: 1
; LDSByteSize: 0 bytes/workgroup (compile time only)
; SGPRBlocks: 0
; VGPRBlocks: 0
; NumSGPRsForWavesPerEU: 4
; NumVGPRsForWavesPerEU: 1
; AccumOffset: 4
; Occupancy: 8
; WaveLimiterHint : 0
; COMPUTE_PGM_RSRC2:SCRATCH_EN: 0
; COMPUTE_PGM_RSRC2:USER_SGPR: 4
; COMPUTE_PGM_RSRC2:TRAP_HANDLER: 0
; COMPUTE_PGM_RSRC2:TGID_X_EN: 1
; COMPUTE_PGM_RSRC2:TGID_Y_EN: 0
; COMPUTE_PGM_RSRC2:TGID_Z_EN: 0
; COMPUTE_PGM_RSRC2:TIDIG_COMP_CNT: 0
; COMPUTE_PGM_RSRC3_GFX90A:ACCUM_OFFSET: 0
; COMPUTE_PGM_RSRC3_GFX90A:TG_SPLIT: 0
	.section	.text._ZN7rocprim17ROCPRIM_400000_NS6detail44device_merge_sort_compile_time_verifier_archINS1_11comp_targetILNS1_3genE8ELNS1_11target_archE1030ELNS1_3gpuE2ELNS1_3repE0EEES8_NS1_28merge_sort_block_sort_configILj256ELj4ELNS0_20block_sort_algorithmE0EEENS0_14default_configENS1_37merge_sort_block_sort_config_selectorIxNS0_10empty_typeEEENS1_38merge_sort_block_merge_config_selectorIxSE_EEEEvv,"axG",@progbits,_ZN7rocprim17ROCPRIM_400000_NS6detail44device_merge_sort_compile_time_verifier_archINS1_11comp_targetILNS1_3genE8ELNS1_11target_archE1030ELNS1_3gpuE2ELNS1_3repE0EEES8_NS1_28merge_sort_block_sort_configILj256ELj4ELNS0_20block_sort_algorithmE0EEENS0_14default_configENS1_37merge_sort_block_sort_config_selectorIxNS0_10empty_typeEEENS1_38merge_sort_block_merge_config_selectorIxSE_EEEEvv,comdat
	.protected	_ZN7rocprim17ROCPRIM_400000_NS6detail44device_merge_sort_compile_time_verifier_archINS1_11comp_targetILNS1_3genE8ELNS1_11target_archE1030ELNS1_3gpuE2ELNS1_3repE0EEES8_NS1_28merge_sort_block_sort_configILj256ELj4ELNS0_20block_sort_algorithmE0EEENS0_14default_configENS1_37merge_sort_block_sort_config_selectorIxNS0_10empty_typeEEENS1_38merge_sort_block_merge_config_selectorIxSE_EEEEvv ; -- Begin function _ZN7rocprim17ROCPRIM_400000_NS6detail44device_merge_sort_compile_time_verifier_archINS1_11comp_targetILNS1_3genE8ELNS1_11target_archE1030ELNS1_3gpuE2ELNS1_3repE0EEES8_NS1_28merge_sort_block_sort_configILj256ELj4ELNS0_20block_sort_algorithmE0EEENS0_14default_configENS1_37merge_sort_block_sort_config_selectorIxNS0_10empty_typeEEENS1_38merge_sort_block_merge_config_selectorIxSE_EEEEvv
	.globl	_ZN7rocprim17ROCPRIM_400000_NS6detail44device_merge_sort_compile_time_verifier_archINS1_11comp_targetILNS1_3genE8ELNS1_11target_archE1030ELNS1_3gpuE2ELNS1_3repE0EEES8_NS1_28merge_sort_block_sort_configILj256ELj4ELNS0_20block_sort_algorithmE0EEENS0_14default_configENS1_37merge_sort_block_sort_config_selectorIxNS0_10empty_typeEEENS1_38merge_sort_block_merge_config_selectorIxSE_EEEEvv
	.p2align	8
	.type	_ZN7rocprim17ROCPRIM_400000_NS6detail44device_merge_sort_compile_time_verifier_archINS1_11comp_targetILNS1_3genE8ELNS1_11target_archE1030ELNS1_3gpuE2ELNS1_3repE0EEES8_NS1_28merge_sort_block_sort_configILj256ELj4ELNS0_20block_sort_algorithmE0EEENS0_14default_configENS1_37merge_sort_block_sort_config_selectorIxNS0_10empty_typeEEENS1_38merge_sort_block_merge_config_selectorIxSE_EEEEvv,@function
_ZN7rocprim17ROCPRIM_400000_NS6detail44device_merge_sort_compile_time_verifier_archINS1_11comp_targetILNS1_3genE8ELNS1_11target_archE1030ELNS1_3gpuE2ELNS1_3repE0EEES8_NS1_28merge_sort_block_sort_configILj256ELj4ELNS0_20block_sort_algorithmE0EEENS0_14default_configENS1_37merge_sort_block_sort_config_selectorIxNS0_10empty_typeEEENS1_38merge_sort_block_merge_config_selectorIxSE_EEEEvv: ; @_ZN7rocprim17ROCPRIM_400000_NS6detail44device_merge_sort_compile_time_verifier_archINS1_11comp_targetILNS1_3genE8ELNS1_11target_archE1030ELNS1_3gpuE2ELNS1_3repE0EEES8_NS1_28merge_sort_block_sort_configILj256ELj4ELNS0_20block_sort_algorithmE0EEENS0_14default_configENS1_37merge_sort_block_sort_config_selectorIxNS0_10empty_typeEEENS1_38merge_sort_block_merge_config_selectorIxSE_EEEEvv
; %bb.0:
	s_endpgm
	.section	.rodata,"a",@progbits
	.p2align	6, 0x0
	.amdhsa_kernel _ZN7rocprim17ROCPRIM_400000_NS6detail44device_merge_sort_compile_time_verifier_archINS1_11comp_targetILNS1_3genE8ELNS1_11target_archE1030ELNS1_3gpuE2ELNS1_3repE0EEES8_NS1_28merge_sort_block_sort_configILj256ELj4ELNS0_20block_sort_algorithmE0EEENS0_14default_configENS1_37merge_sort_block_sort_config_selectorIxNS0_10empty_typeEEENS1_38merge_sort_block_merge_config_selectorIxSE_EEEEvv
		.amdhsa_group_segment_fixed_size 0
		.amdhsa_private_segment_fixed_size 0
		.amdhsa_kernarg_size 0
		.amdhsa_user_sgpr_count 4
		.amdhsa_user_sgpr_private_segment_buffer 1
		.amdhsa_user_sgpr_dispatch_ptr 0
		.amdhsa_user_sgpr_queue_ptr 0
		.amdhsa_user_sgpr_kernarg_segment_ptr 0
		.amdhsa_user_sgpr_dispatch_id 0
		.amdhsa_user_sgpr_flat_scratch_init 0
		.amdhsa_user_sgpr_kernarg_preload_length 0
		.amdhsa_user_sgpr_kernarg_preload_offset 0
		.amdhsa_user_sgpr_private_segment_size 0
		.amdhsa_uses_dynamic_stack 0
		.amdhsa_system_sgpr_private_segment_wavefront_offset 0
		.amdhsa_system_sgpr_workgroup_id_x 1
		.amdhsa_system_sgpr_workgroup_id_y 0
		.amdhsa_system_sgpr_workgroup_id_z 0
		.amdhsa_system_sgpr_workgroup_info 0
		.amdhsa_system_vgpr_workitem_id 0
		.amdhsa_next_free_vgpr 1
		.amdhsa_next_free_sgpr 0
		.amdhsa_accum_offset 4
		.amdhsa_reserve_vcc 0
		.amdhsa_reserve_flat_scratch 0
		.amdhsa_float_round_mode_32 0
		.amdhsa_float_round_mode_16_64 0
		.amdhsa_float_denorm_mode_32 3
		.amdhsa_float_denorm_mode_16_64 3
		.amdhsa_dx10_clamp 1
		.amdhsa_ieee_mode 1
		.amdhsa_fp16_overflow 0
		.amdhsa_tg_split 0
		.amdhsa_exception_fp_ieee_invalid_op 0
		.amdhsa_exception_fp_denorm_src 0
		.amdhsa_exception_fp_ieee_div_zero 0
		.amdhsa_exception_fp_ieee_overflow 0
		.amdhsa_exception_fp_ieee_underflow 0
		.amdhsa_exception_fp_ieee_inexact 0
		.amdhsa_exception_int_div_zero 0
	.end_amdhsa_kernel
	.section	.text._ZN7rocprim17ROCPRIM_400000_NS6detail44device_merge_sort_compile_time_verifier_archINS1_11comp_targetILNS1_3genE8ELNS1_11target_archE1030ELNS1_3gpuE2ELNS1_3repE0EEES8_NS1_28merge_sort_block_sort_configILj256ELj4ELNS0_20block_sort_algorithmE0EEENS0_14default_configENS1_37merge_sort_block_sort_config_selectorIxNS0_10empty_typeEEENS1_38merge_sort_block_merge_config_selectorIxSE_EEEEvv,"axG",@progbits,_ZN7rocprim17ROCPRIM_400000_NS6detail44device_merge_sort_compile_time_verifier_archINS1_11comp_targetILNS1_3genE8ELNS1_11target_archE1030ELNS1_3gpuE2ELNS1_3repE0EEES8_NS1_28merge_sort_block_sort_configILj256ELj4ELNS0_20block_sort_algorithmE0EEENS0_14default_configENS1_37merge_sort_block_sort_config_selectorIxNS0_10empty_typeEEENS1_38merge_sort_block_merge_config_selectorIxSE_EEEEvv,comdat
.Lfunc_end1409:
	.size	_ZN7rocprim17ROCPRIM_400000_NS6detail44device_merge_sort_compile_time_verifier_archINS1_11comp_targetILNS1_3genE8ELNS1_11target_archE1030ELNS1_3gpuE2ELNS1_3repE0EEES8_NS1_28merge_sort_block_sort_configILj256ELj4ELNS0_20block_sort_algorithmE0EEENS0_14default_configENS1_37merge_sort_block_sort_config_selectorIxNS0_10empty_typeEEENS1_38merge_sort_block_merge_config_selectorIxSE_EEEEvv, .Lfunc_end1409-_ZN7rocprim17ROCPRIM_400000_NS6detail44device_merge_sort_compile_time_verifier_archINS1_11comp_targetILNS1_3genE8ELNS1_11target_archE1030ELNS1_3gpuE2ELNS1_3repE0EEES8_NS1_28merge_sort_block_sort_configILj256ELj4ELNS0_20block_sort_algorithmE0EEENS0_14default_configENS1_37merge_sort_block_sort_config_selectorIxNS0_10empty_typeEEENS1_38merge_sort_block_merge_config_selectorIxSE_EEEEvv
                                        ; -- End function
	.section	.AMDGPU.csdata,"",@progbits
; Kernel info:
; codeLenInByte = 4
; NumSgprs: 4
; NumVgprs: 0
; NumAgprs: 0
; TotalNumVgprs: 0
; ScratchSize: 0
; MemoryBound: 0
; FloatMode: 240
; IeeeMode: 1
; LDSByteSize: 0 bytes/workgroup (compile time only)
; SGPRBlocks: 0
; VGPRBlocks: 0
; NumSGPRsForWavesPerEU: 4
; NumVGPRsForWavesPerEU: 1
; AccumOffset: 4
; Occupancy: 8
; WaveLimiterHint : 0
; COMPUTE_PGM_RSRC2:SCRATCH_EN: 0
; COMPUTE_PGM_RSRC2:USER_SGPR: 4
; COMPUTE_PGM_RSRC2:TRAP_HANDLER: 0
; COMPUTE_PGM_RSRC2:TGID_X_EN: 1
; COMPUTE_PGM_RSRC2:TGID_Y_EN: 0
; COMPUTE_PGM_RSRC2:TGID_Z_EN: 0
; COMPUTE_PGM_RSRC2:TIDIG_COMP_CNT: 0
; COMPUTE_PGM_RSRC3_GFX90A:ACCUM_OFFSET: 0
; COMPUTE_PGM_RSRC3_GFX90A:TG_SPLIT: 0
	.section	.text._ZN7rocprim17ROCPRIM_400000_NS6detail17trampoline_kernelINS0_14default_configENS1_38merge_sort_block_merge_config_selectorIxNS0_10empty_typeEEEZZNS1_27merge_sort_block_merge_implIS3_N6thrust23THRUST_200600_302600_NS6detail15normal_iteratorINS9_10device_ptrIxEEEEPS5_jNS1_19radix_merge_compareILb0ELb0ExNS0_19identity_decomposerEEEEE10hipError_tT0_T1_T2_jT3_P12ihipStream_tbPNSt15iterator_traitsISK_E10value_typeEPNSQ_ISL_E10value_typeEPSM_NS1_7vsmem_tEENKUlT_SK_SL_SM_E_clIPxSE_SF_SF_EESJ_SZ_SK_SL_SM_EUlSZ_E_NS1_11comp_targetILNS1_3genE0ELNS1_11target_archE4294967295ELNS1_3gpuE0ELNS1_3repE0EEENS1_48merge_mergepath_partition_config_static_selectorELNS0_4arch9wavefront6targetE1EEEvSL_,"axG",@progbits,_ZN7rocprim17ROCPRIM_400000_NS6detail17trampoline_kernelINS0_14default_configENS1_38merge_sort_block_merge_config_selectorIxNS0_10empty_typeEEEZZNS1_27merge_sort_block_merge_implIS3_N6thrust23THRUST_200600_302600_NS6detail15normal_iteratorINS9_10device_ptrIxEEEEPS5_jNS1_19radix_merge_compareILb0ELb0ExNS0_19identity_decomposerEEEEE10hipError_tT0_T1_T2_jT3_P12ihipStream_tbPNSt15iterator_traitsISK_E10value_typeEPNSQ_ISL_E10value_typeEPSM_NS1_7vsmem_tEENKUlT_SK_SL_SM_E_clIPxSE_SF_SF_EESJ_SZ_SK_SL_SM_EUlSZ_E_NS1_11comp_targetILNS1_3genE0ELNS1_11target_archE4294967295ELNS1_3gpuE0ELNS1_3repE0EEENS1_48merge_mergepath_partition_config_static_selectorELNS0_4arch9wavefront6targetE1EEEvSL_,comdat
	.protected	_ZN7rocprim17ROCPRIM_400000_NS6detail17trampoline_kernelINS0_14default_configENS1_38merge_sort_block_merge_config_selectorIxNS0_10empty_typeEEEZZNS1_27merge_sort_block_merge_implIS3_N6thrust23THRUST_200600_302600_NS6detail15normal_iteratorINS9_10device_ptrIxEEEEPS5_jNS1_19radix_merge_compareILb0ELb0ExNS0_19identity_decomposerEEEEE10hipError_tT0_T1_T2_jT3_P12ihipStream_tbPNSt15iterator_traitsISK_E10value_typeEPNSQ_ISL_E10value_typeEPSM_NS1_7vsmem_tEENKUlT_SK_SL_SM_E_clIPxSE_SF_SF_EESJ_SZ_SK_SL_SM_EUlSZ_E_NS1_11comp_targetILNS1_3genE0ELNS1_11target_archE4294967295ELNS1_3gpuE0ELNS1_3repE0EEENS1_48merge_mergepath_partition_config_static_selectorELNS0_4arch9wavefront6targetE1EEEvSL_ ; -- Begin function _ZN7rocprim17ROCPRIM_400000_NS6detail17trampoline_kernelINS0_14default_configENS1_38merge_sort_block_merge_config_selectorIxNS0_10empty_typeEEEZZNS1_27merge_sort_block_merge_implIS3_N6thrust23THRUST_200600_302600_NS6detail15normal_iteratorINS9_10device_ptrIxEEEEPS5_jNS1_19radix_merge_compareILb0ELb0ExNS0_19identity_decomposerEEEEE10hipError_tT0_T1_T2_jT3_P12ihipStream_tbPNSt15iterator_traitsISK_E10value_typeEPNSQ_ISL_E10value_typeEPSM_NS1_7vsmem_tEENKUlT_SK_SL_SM_E_clIPxSE_SF_SF_EESJ_SZ_SK_SL_SM_EUlSZ_E_NS1_11comp_targetILNS1_3genE0ELNS1_11target_archE4294967295ELNS1_3gpuE0ELNS1_3repE0EEENS1_48merge_mergepath_partition_config_static_selectorELNS0_4arch9wavefront6targetE1EEEvSL_
	.globl	_ZN7rocprim17ROCPRIM_400000_NS6detail17trampoline_kernelINS0_14default_configENS1_38merge_sort_block_merge_config_selectorIxNS0_10empty_typeEEEZZNS1_27merge_sort_block_merge_implIS3_N6thrust23THRUST_200600_302600_NS6detail15normal_iteratorINS9_10device_ptrIxEEEEPS5_jNS1_19radix_merge_compareILb0ELb0ExNS0_19identity_decomposerEEEEE10hipError_tT0_T1_T2_jT3_P12ihipStream_tbPNSt15iterator_traitsISK_E10value_typeEPNSQ_ISL_E10value_typeEPSM_NS1_7vsmem_tEENKUlT_SK_SL_SM_E_clIPxSE_SF_SF_EESJ_SZ_SK_SL_SM_EUlSZ_E_NS1_11comp_targetILNS1_3genE0ELNS1_11target_archE4294967295ELNS1_3gpuE0ELNS1_3repE0EEENS1_48merge_mergepath_partition_config_static_selectorELNS0_4arch9wavefront6targetE1EEEvSL_
	.p2align	8
	.type	_ZN7rocprim17ROCPRIM_400000_NS6detail17trampoline_kernelINS0_14default_configENS1_38merge_sort_block_merge_config_selectorIxNS0_10empty_typeEEEZZNS1_27merge_sort_block_merge_implIS3_N6thrust23THRUST_200600_302600_NS6detail15normal_iteratorINS9_10device_ptrIxEEEEPS5_jNS1_19radix_merge_compareILb0ELb0ExNS0_19identity_decomposerEEEEE10hipError_tT0_T1_T2_jT3_P12ihipStream_tbPNSt15iterator_traitsISK_E10value_typeEPNSQ_ISL_E10value_typeEPSM_NS1_7vsmem_tEENKUlT_SK_SL_SM_E_clIPxSE_SF_SF_EESJ_SZ_SK_SL_SM_EUlSZ_E_NS1_11comp_targetILNS1_3genE0ELNS1_11target_archE4294967295ELNS1_3gpuE0ELNS1_3repE0EEENS1_48merge_mergepath_partition_config_static_selectorELNS0_4arch9wavefront6targetE1EEEvSL_,@function
_ZN7rocprim17ROCPRIM_400000_NS6detail17trampoline_kernelINS0_14default_configENS1_38merge_sort_block_merge_config_selectorIxNS0_10empty_typeEEEZZNS1_27merge_sort_block_merge_implIS3_N6thrust23THRUST_200600_302600_NS6detail15normal_iteratorINS9_10device_ptrIxEEEEPS5_jNS1_19radix_merge_compareILb0ELb0ExNS0_19identity_decomposerEEEEE10hipError_tT0_T1_T2_jT3_P12ihipStream_tbPNSt15iterator_traitsISK_E10value_typeEPNSQ_ISL_E10value_typeEPSM_NS1_7vsmem_tEENKUlT_SK_SL_SM_E_clIPxSE_SF_SF_EESJ_SZ_SK_SL_SM_EUlSZ_E_NS1_11comp_targetILNS1_3genE0ELNS1_11target_archE4294967295ELNS1_3gpuE0ELNS1_3repE0EEENS1_48merge_mergepath_partition_config_static_selectorELNS0_4arch9wavefront6targetE1EEEvSL_: ; @_ZN7rocprim17ROCPRIM_400000_NS6detail17trampoline_kernelINS0_14default_configENS1_38merge_sort_block_merge_config_selectorIxNS0_10empty_typeEEEZZNS1_27merge_sort_block_merge_implIS3_N6thrust23THRUST_200600_302600_NS6detail15normal_iteratorINS9_10device_ptrIxEEEEPS5_jNS1_19radix_merge_compareILb0ELb0ExNS0_19identity_decomposerEEEEE10hipError_tT0_T1_T2_jT3_P12ihipStream_tbPNSt15iterator_traitsISK_E10value_typeEPNSQ_ISL_E10value_typeEPSM_NS1_7vsmem_tEENKUlT_SK_SL_SM_E_clIPxSE_SF_SF_EESJ_SZ_SK_SL_SM_EUlSZ_E_NS1_11comp_targetILNS1_3genE0ELNS1_11target_archE4294967295ELNS1_3gpuE0ELNS1_3repE0EEENS1_48merge_mergepath_partition_config_static_selectorELNS0_4arch9wavefront6targetE1EEEvSL_
; %bb.0:
	.section	.rodata,"a",@progbits
	.p2align	6, 0x0
	.amdhsa_kernel _ZN7rocprim17ROCPRIM_400000_NS6detail17trampoline_kernelINS0_14default_configENS1_38merge_sort_block_merge_config_selectorIxNS0_10empty_typeEEEZZNS1_27merge_sort_block_merge_implIS3_N6thrust23THRUST_200600_302600_NS6detail15normal_iteratorINS9_10device_ptrIxEEEEPS5_jNS1_19radix_merge_compareILb0ELb0ExNS0_19identity_decomposerEEEEE10hipError_tT0_T1_T2_jT3_P12ihipStream_tbPNSt15iterator_traitsISK_E10value_typeEPNSQ_ISL_E10value_typeEPSM_NS1_7vsmem_tEENKUlT_SK_SL_SM_E_clIPxSE_SF_SF_EESJ_SZ_SK_SL_SM_EUlSZ_E_NS1_11comp_targetILNS1_3genE0ELNS1_11target_archE4294967295ELNS1_3gpuE0ELNS1_3repE0EEENS1_48merge_mergepath_partition_config_static_selectorELNS0_4arch9wavefront6targetE1EEEvSL_
		.amdhsa_group_segment_fixed_size 0
		.amdhsa_private_segment_fixed_size 0
		.amdhsa_kernarg_size 40
		.amdhsa_user_sgpr_count 6
		.amdhsa_user_sgpr_private_segment_buffer 1
		.amdhsa_user_sgpr_dispatch_ptr 0
		.amdhsa_user_sgpr_queue_ptr 0
		.amdhsa_user_sgpr_kernarg_segment_ptr 1
		.amdhsa_user_sgpr_dispatch_id 0
		.amdhsa_user_sgpr_flat_scratch_init 0
		.amdhsa_user_sgpr_kernarg_preload_length 0
		.amdhsa_user_sgpr_kernarg_preload_offset 0
		.amdhsa_user_sgpr_private_segment_size 0
		.amdhsa_uses_dynamic_stack 0
		.amdhsa_system_sgpr_private_segment_wavefront_offset 0
		.amdhsa_system_sgpr_workgroup_id_x 1
		.amdhsa_system_sgpr_workgroup_id_y 0
		.amdhsa_system_sgpr_workgroup_id_z 0
		.amdhsa_system_sgpr_workgroup_info 0
		.amdhsa_system_vgpr_workitem_id 0
		.amdhsa_next_free_vgpr 1
		.amdhsa_next_free_sgpr 0
		.amdhsa_accum_offset 4
		.amdhsa_reserve_vcc 0
		.amdhsa_reserve_flat_scratch 0
		.amdhsa_float_round_mode_32 0
		.amdhsa_float_round_mode_16_64 0
		.amdhsa_float_denorm_mode_32 3
		.amdhsa_float_denorm_mode_16_64 3
		.amdhsa_dx10_clamp 1
		.amdhsa_ieee_mode 1
		.amdhsa_fp16_overflow 0
		.amdhsa_tg_split 0
		.amdhsa_exception_fp_ieee_invalid_op 0
		.amdhsa_exception_fp_denorm_src 0
		.amdhsa_exception_fp_ieee_div_zero 0
		.amdhsa_exception_fp_ieee_overflow 0
		.amdhsa_exception_fp_ieee_underflow 0
		.amdhsa_exception_fp_ieee_inexact 0
		.amdhsa_exception_int_div_zero 0
	.end_amdhsa_kernel
	.section	.text._ZN7rocprim17ROCPRIM_400000_NS6detail17trampoline_kernelINS0_14default_configENS1_38merge_sort_block_merge_config_selectorIxNS0_10empty_typeEEEZZNS1_27merge_sort_block_merge_implIS3_N6thrust23THRUST_200600_302600_NS6detail15normal_iteratorINS9_10device_ptrIxEEEEPS5_jNS1_19radix_merge_compareILb0ELb0ExNS0_19identity_decomposerEEEEE10hipError_tT0_T1_T2_jT3_P12ihipStream_tbPNSt15iterator_traitsISK_E10value_typeEPNSQ_ISL_E10value_typeEPSM_NS1_7vsmem_tEENKUlT_SK_SL_SM_E_clIPxSE_SF_SF_EESJ_SZ_SK_SL_SM_EUlSZ_E_NS1_11comp_targetILNS1_3genE0ELNS1_11target_archE4294967295ELNS1_3gpuE0ELNS1_3repE0EEENS1_48merge_mergepath_partition_config_static_selectorELNS0_4arch9wavefront6targetE1EEEvSL_,"axG",@progbits,_ZN7rocprim17ROCPRIM_400000_NS6detail17trampoline_kernelINS0_14default_configENS1_38merge_sort_block_merge_config_selectorIxNS0_10empty_typeEEEZZNS1_27merge_sort_block_merge_implIS3_N6thrust23THRUST_200600_302600_NS6detail15normal_iteratorINS9_10device_ptrIxEEEEPS5_jNS1_19radix_merge_compareILb0ELb0ExNS0_19identity_decomposerEEEEE10hipError_tT0_T1_T2_jT3_P12ihipStream_tbPNSt15iterator_traitsISK_E10value_typeEPNSQ_ISL_E10value_typeEPSM_NS1_7vsmem_tEENKUlT_SK_SL_SM_E_clIPxSE_SF_SF_EESJ_SZ_SK_SL_SM_EUlSZ_E_NS1_11comp_targetILNS1_3genE0ELNS1_11target_archE4294967295ELNS1_3gpuE0ELNS1_3repE0EEENS1_48merge_mergepath_partition_config_static_selectorELNS0_4arch9wavefront6targetE1EEEvSL_,comdat
.Lfunc_end1410:
	.size	_ZN7rocprim17ROCPRIM_400000_NS6detail17trampoline_kernelINS0_14default_configENS1_38merge_sort_block_merge_config_selectorIxNS0_10empty_typeEEEZZNS1_27merge_sort_block_merge_implIS3_N6thrust23THRUST_200600_302600_NS6detail15normal_iteratorINS9_10device_ptrIxEEEEPS5_jNS1_19radix_merge_compareILb0ELb0ExNS0_19identity_decomposerEEEEE10hipError_tT0_T1_T2_jT3_P12ihipStream_tbPNSt15iterator_traitsISK_E10value_typeEPNSQ_ISL_E10value_typeEPSM_NS1_7vsmem_tEENKUlT_SK_SL_SM_E_clIPxSE_SF_SF_EESJ_SZ_SK_SL_SM_EUlSZ_E_NS1_11comp_targetILNS1_3genE0ELNS1_11target_archE4294967295ELNS1_3gpuE0ELNS1_3repE0EEENS1_48merge_mergepath_partition_config_static_selectorELNS0_4arch9wavefront6targetE1EEEvSL_, .Lfunc_end1410-_ZN7rocprim17ROCPRIM_400000_NS6detail17trampoline_kernelINS0_14default_configENS1_38merge_sort_block_merge_config_selectorIxNS0_10empty_typeEEEZZNS1_27merge_sort_block_merge_implIS3_N6thrust23THRUST_200600_302600_NS6detail15normal_iteratorINS9_10device_ptrIxEEEEPS5_jNS1_19radix_merge_compareILb0ELb0ExNS0_19identity_decomposerEEEEE10hipError_tT0_T1_T2_jT3_P12ihipStream_tbPNSt15iterator_traitsISK_E10value_typeEPNSQ_ISL_E10value_typeEPSM_NS1_7vsmem_tEENKUlT_SK_SL_SM_E_clIPxSE_SF_SF_EESJ_SZ_SK_SL_SM_EUlSZ_E_NS1_11comp_targetILNS1_3genE0ELNS1_11target_archE4294967295ELNS1_3gpuE0ELNS1_3repE0EEENS1_48merge_mergepath_partition_config_static_selectorELNS0_4arch9wavefront6targetE1EEEvSL_
                                        ; -- End function
	.section	.AMDGPU.csdata,"",@progbits
; Kernel info:
; codeLenInByte = 0
; NumSgprs: 4
; NumVgprs: 0
; NumAgprs: 0
; TotalNumVgprs: 0
; ScratchSize: 0
; MemoryBound: 0
; FloatMode: 240
; IeeeMode: 1
; LDSByteSize: 0 bytes/workgroup (compile time only)
; SGPRBlocks: 0
; VGPRBlocks: 0
; NumSGPRsForWavesPerEU: 4
; NumVGPRsForWavesPerEU: 1
; AccumOffset: 4
; Occupancy: 8
; WaveLimiterHint : 0
; COMPUTE_PGM_RSRC2:SCRATCH_EN: 0
; COMPUTE_PGM_RSRC2:USER_SGPR: 6
; COMPUTE_PGM_RSRC2:TRAP_HANDLER: 0
; COMPUTE_PGM_RSRC2:TGID_X_EN: 1
; COMPUTE_PGM_RSRC2:TGID_Y_EN: 0
; COMPUTE_PGM_RSRC2:TGID_Z_EN: 0
; COMPUTE_PGM_RSRC2:TIDIG_COMP_CNT: 0
; COMPUTE_PGM_RSRC3_GFX90A:ACCUM_OFFSET: 0
; COMPUTE_PGM_RSRC3_GFX90A:TG_SPLIT: 0
	.section	.text._ZN7rocprim17ROCPRIM_400000_NS6detail17trampoline_kernelINS0_14default_configENS1_38merge_sort_block_merge_config_selectorIxNS0_10empty_typeEEEZZNS1_27merge_sort_block_merge_implIS3_N6thrust23THRUST_200600_302600_NS6detail15normal_iteratorINS9_10device_ptrIxEEEEPS5_jNS1_19radix_merge_compareILb0ELb0ExNS0_19identity_decomposerEEEEE10hipError_tT0_T1_T2_jT3_P12ihipStream_tbPNSt15iterator_traitsISK_E10value_typeEPNSQ_ISL_E10value_typeEPSM_NS1_7vsmem_tEENKUlT_SK_SL_SM_E_clIPxSE_SF_SF_EESJ_SZ_SK_SL_SM_EUlSZ_E_NS1_11comp_targetILNS1_3genE10ELNS1_11target_archE1201ELNS1_3gpuE5ELNS1_3repE0EEENS1_48merge_mergepath_partition_config_static_selectorELNS0_4arch9wavefront6targetE1EEEvSL_,"axG",@progbits,_ZN7rocprim17ROCPRIM_400000_NS6detail17trampoline_kernelINS0_14default_configENS1_38merge_sort_block_merge_config_selectorIxNS0_10empty_typeEEEZZNS1_27merge_sort_block_merge_implIS3_N6thrust23THRUST_200600_302600_NS6detail15normal_iteratorINS9_10device_ptrIxEEEEPS5_jNS1_19radix_merge_compareILb0ELb0ExNS0_19identity_decomposerEEEEE10hipError_tT0_T1_T2_jT3_P12ihipStream_tbPNSt15iterator_traitsISK_E10value_typeEPNSQ_ISL_E10value_typeEPSM_NS1_7vsmem_tEENKUlT_SK_SL_SM_E_clIPxSE_SF_SF_EESJ_SZ_SK_SL_SM_EUlSZ_E_NS1_11comp_targetILNS1_3genE10ELNS1_11target_archE1201ELNS1_3gpuE5ELNS1_3repE0EEENS1_48merge_mergepath_partition_config_static_selectorELNS0_4arch9wavefront6targetE1EEEvSL_,comdat
	.protected	_ZN7rocprim17ROCPRIM_400000_NS6detail17trampoline_kernelINS0_14default_configENS1_38merge_sort_block_merge_config_selectorIxNS0_10empty_typeEEEZZNS1_27merge_sort_block_merge_implIS3_N6thrust23THRUST_200600_302600_NS6detail15normal_iteratorINS9_10device_ptrIxEEEEPS5_jNS1_19radix_merge_compareILb0ELb0ExNS0_19identity_decomposerEEEEE10hipError_tT0_T1_T2_jT3_P12ihipStream_tbPNSt15iterator_traitsISK_E10value_typeEPNSQ_ISL_E10value_typeEPSM_NS1_7vsmem_tEENKUlT_SK_SL_SM_E_clIPxSE_SF_SF_EESJ_SZ_SK_SL_SM_EUlSZ_E_NS1_11comp_targetILNS1_3genE10ELNS1_11target_archE1201ELNS1_3gpuE5ELNS1_3repE0EEENS1_48merge_mergepath_partition_config_static_selectorELNS0_4arch9wavefront6targetE1EEEvSL_ ; -- Begin function _ZN7rocprim17ROCPRIM_400000_NS6detail17trampoline_kernelINS0_14default_configENS1_38merge_sort_block_merge_config_selectorIxNS0_10empty_typeEEEZZNS1_27merge_sort_block_merge_implIS3_N6thrust23THRUST_200600_302600_NS6detail15normal_iteratorINS9_10device_ptrIxEEEEPS5_jNS1_19radix_merge_compareILb0ELb0ExNS0_19identity_decomposerEEEEE10hipError_tT0_T1_T2_jT3_P12ihipStream_tbPNSt15iterator_traitsISK_E10value_typeEPNSQ_ISL_E10value_typeEPSM_NS1_7vsmem_tEENKUlT_SK_SL_SM_E_clIPxSE_SF_SF_EESJ_SZ_SK_SL_SM_EUlSZ_E_NS1_11comp_targetILNS1_3genE10ELNS1_11target_archE1201ELNS1_3gpuE5ELNS1_3repE0EEENS1_48merge_mergepath_partition_config_static_selectorELNS0_4arch9wavefront6targetE1EEEvSL_
	.globl	_ZN7rocprim17ROCPRIM_400000_NS6detail17trampoline_kernelINS0_14default_configENS1_38merge_sort_block_merge_config_selectorIxNS0_10empty_typeEEEZZNS1_27merge_sort_block_merge_implIS3_N6thrust23THRUST_200600_302600_NS6detail15normal_iteratorINS9_10device_ptrIxEEEEPS5_jNS1_19radix_merge_compareILb0ELb0ExNS0_19identity_decomposerEEEEE10hipError_tT0_T1_T2_jT3_P12ihipStream_tbPNSt15iterator_traitsISK_E10value_typeEPNSQ_ISL_E10value_typeEPSM_NS1_7vsmem_tEENKUlT_SK_SL_SM_E_clIPxSE_SF_SF_EESJ_SZ_SK_SL_SM_EUlSZ_E_NS1_11comp_targetILNS1_3genE10ELNS1_11target_archE1201ELNS1_3gpuE5ELNS1_3repE0EEENS1_48merge_mergepath_partition_config_static_selectorELNS0_4arch9wavefront6targetE1EEEvSL_
	.p2align	8
	.type	_ZN7rocprim17ROCPRIM_400000_NS6detail17trampoline_kernelINS0_14default_configENS1_38merge_sort_block_merge_config_selectorIxNS0_10empty_typeEEEZZNS1_27merge_sort_block_merge_implIS3_N6thrust23THRUST_200600_302600_NS6detail15normal_iteratorINS9_10device_ptrIxEEEEPS5_jNS1_19radix_merge_compareILb0ELb0ExNS0_19identity_decomposerEEEEE10hipError_tT0_T1_T2_jT3_P12ihipStream_tbPNSt15iterator_traitsISK_E10value_typeEPNSQ_ISL_E10value_typeEPSM_NS1_7vsmem_tEENKUlT_SK_SL_SM_E_clIPxSE_SF_SF_EESJ_SZ_SK_SL_SM_EUlSZ_E_NS1_11comp_targetILNS1_3genE10ELNS1_11target_archE1201ELNS1_3gpuE5ELNS1_3repE0EEENS1_48merge_mergepath_partition_config_static_selectorELNS0_4arch9wavefront6targetE1EEEvSL_,@function
_ZN7rocprim17ROCPRIM_400000_NS6detail17trampoline_kernelINS0_14default_configENS1_38merge_sort_block_merge_config_selectorIxNS0_10empty_typeEEEZZNS1_27merge_sort_block_merge_implIS3_N6thrust23THRUST_200600_302600_NS6detail15normal_iteratorINS9_10device_ptrIxEEEEPS5_jNS1_19radix_merge_compareILb0ELb0ExNS0_19identity_decomposerEEEEE10hipError_tT0_T1_T2_jT3_P12ihipStream_tbPNSt15iterator_traitsISK_E10value_typeEPNSQ_ISL_E10value_typeEPSM_NS1_7vsmem_tEENKUlT_SK_SL_SM_E_clIPxSE_SF_SF_EESJ_SZ_SK_SL_SM_EUlSZ_E_NS1_11comp_targetILNS1_3genE10ELNS1_11target_archE1201ELNS1_3gpuE5ELNS1_3repE0EEENS1_48merge_mergepath_partition_config_static_selectorELNS0_4arch9wavefront6targetE1EEEvSL_: ; @_ZN7rocprim17ROCPRIM_400000_NS6detail17trampoline_kernelINS0_14default_configENS1_38merge_sort_block_merge_config_selectorIxNS0_10empty_typeEEEZZNS1_27merge_sort_block_merge_implIS3_N6thrust23THRUST_200600_302600_NS6detail15normal_iteratorINS9_10device_ptrIxEEEEPS5_jNS1_19radix_merge_compareILb0ELb0ExNS0_19identity_decomposerEEEEE10hipError_tT0_T1_T2_jT3_P12ihipStream_tbPNSt15iterator_traitsISK_E10value_typeEPNSQ_ISL_E10value_typeEPSM_NS1_7vsmem_tEENKUlT_SK_SL_SM_E_clIPxSE_SF_SF_EESJ_SZ_SK_SL_SM_EUlSZ_E_NS1_11comp_targetILNS1_3genE10ELNS1_11target_archE1201ELNS1_3gpuE5ELNS1_3repE0EEENS1_48merge_mergepath_partition_config_static_selectorELNS0_4arch9wavefront6targetE1EEEvSL_
; %bb.0:
	.section	.rodata,"a",@progbits
	.p2align	6, 0x0
	.amdhsa_kernel _ZN7rocprim17ROCPRIM_400000_NS6detail17trampoline_kernelINS0_14default_configENS1_38merge_sort_block_merge_config_selectorIxNS0_10empty_typeEEEZZNS1_27merge_sort_block_merge_implIS3_N6thrust23THRUST_200600_302600_NS6detail15normal_iteratorINS9_10device_ptrIxEEEEPS5_jNS1_19radix_merge_compareILb0ELb0ExNS0_19identity_decomposerEEEEE10hipError_tT0_T1_T2_jT3_P12ihipStream_tbPNSt15iterator_traitsISK_E10value_typeEPNSQ_ISL_E10value_typeEPSM_NS1_7vsmem_tEENKUlT_SK_SL_SM_E_clIPxSE_SF_SF_EESJ_SZ_SK_SL_SM_EUlSZ_E_NS1_11comp_targetILNS1_3genE10ELNS1_11target_archE1201ELNS1_3gpuE5ELNS1_3repE0EEENS1_48merge_mergepath_partition_config_static_selectorELNS0_4arch9wavefront6targetE1EEEvSL_
		.amdhsa_group_segment_fixed_size 0
		.amdhsa_private_segment_fixed_size 0
		.amdhsa_kernarg_size 40
		.amdhsa_user_sgpr_count 6
		.amdhsa_user_sgpr_private_segment_buffer 1
		.amdhsa_user_sgpr_dispatch_ptr 0
		.amdhsa_user_sgpr_queue_ptr 0
		.amdhsa_user_sgpr_kernarg_segment_ptr 1
		.amdhsa_user_sgpr_dispatch_id 0
		.amdhsa_user_sgpr_flat_scratch_init 0
		.amdhsa_user_sgpr_kernarg_preload_length 0
		.amdhsa_user_sgpr_kernarg_preload_offset 0
		.amdhsa_user_sgpr_private_segment_size 0
		.amdhsa_uses_dynamic_stack 0
		.amdhsa_system_sgpr_private_segment_wavefront_offset 0
		.amdhsa_system_sgpr_workgroup_id_x 1
		.amdhsa_system_sgpr_workgroup_id_y 0
		.amdhsa_system_sgpr_workgroup_id_z 0
		.amdhsa_system_sgpr_workgroup_info 0
		.amdhsa_system_vgpr_workitem_id 0
		.amdhsa_next_free_vgpr 1
		.amdhsa_next_free_sgpr 0
		.amdhsa_accum_offset 4
		.amdhsa_reserve_vcc 0
		.amdhsa_reserve_flat_scratch 0
		.amdhsa_float_round_mode_32 0
		.amdhsa_float_round_mode_16_64 0
		.amdhsa_float_denorm_mode_32 3
		.amdhsa_float_denorm_mode_16_64 3
		.amdhsa_dx10_clamp 1
		.amdhsa_ieee_mode 1
		.amdhsa_fp16_overflow 0
		.amdhsa_tg_split 0
		.amdhsa_exception_fp_ieee_invalid_op 0
		.amdhsa_exception_fp_denorm_src 0
		.amdhsa_exception_fp_ieee_div_zero 0
		.amdhsa_exception_fp_ieee_overflow 0
		.amdhsa_exception_fp_ieee_underflow 0
		.amdhsa_exception_fp_ieee_inexact 0
		.amdhsa_exception_int_div_zero 0
	.end_amdhsa_kernel
	.section	.text._ZN7rocprim17ROCPRIM_400000_NS6detail17trampoline_kernelINS0_14default_configENS1_38merge_sort_block_merge_config_selectorIxNS0_10empty_typeEEEZZNS1_27merge_sort_block_merge_implIS3_N6thrust23THRUST_200600_302600_NS6detail15normal_iteratorINS9_10device_ptrIxEEEEPS5_jNS1_19radix_merge_compareILb0ELb0ExNS0_19identity_decomposerEEEEE10hipError_tT0_T1_T2_jT3_P12ihipStream_tbPNSt15iterator_traitsISK_E10value_typeEPNSQ_ISL_E10value_typeEPSM_NS1_7vsmem_tEENKUlT_SK_SL_SM_E_clIPxSE_SF_SF_EESJ_SZ_SK_SL_SM_EUlSZ_E_NS1_11comp_targetILNS1_3genE10ELNS1_11target_archE1201ELNS1_3gpuE5ELNS1_3repE0EEENS1_48merge_mergepath_partition_config_static_selectorELNS0_4arch9wavefront6targetE1EEEvSL_,"axG",@progbits,_ZN7rocprim17ROCPRIM_400000_NS6detail17trampoline_kernelINS0_14default_configENS1_38merge_sort_block_merge_config_selectorIxNS0_10empty_typeEEEZZNS1_27merge_sort_block_merge_implIS3_N6thrust23THRUST_200600_302600_NS6detail15normal_iteratorINS9_10device_ptrIxEEEEPS5_jNS1_19radix_merge_compareILb0ELb0ExNS0_19identity_decomposerEEEEE10hipError_tT0_T1_T2_jT3_P12ihipStream_tbPNSt15iterator_traitsISK_E10value_typeEPNSQ_ISL_E10value_typeEPSM_NS1_7vsmem_tEENKUlT_SK_SL_SM_E_clIPxSE_SF_SF_EESJ_SZ_SK_SL_SM_EUlSZ_E_NS1_11comp_targetILNS1_3genE10ELNS1_11target_archE1201ELNS1_3gpuE5ELNS1_3repE0EEENS1_48merge_mergepath_partition_config_static_selectorELNS0_4arch9wavefront6targetE1EEEvSL_,comdat
.Lfunc_end1411:
	.size	_ZN7rocprim17ROCPRIM_400000_NS6detail17trampoline_kernelINS0_14default_configENS1_38merge_sort_block_merge_config_selectorIxNS0_10empty_typeEEEZZNS1_27merge_sort_block_merge_implIS3_N6thrust23THRUST_200600_302600_NS6detail15normal_iteratorINS9_10device_ptrIxEEEEPS5_jNS1_19radix_merge_compareILb0ELb0ExNS0_19identity_decomposerEEEEE10hipError_tT0_T1_T2_jT3_P12ihipStream_tbPNSt15iterator_traitsISK_E10value_typeEPNSQ_ISL_E10value_typeEPSM_NS1_7vsmem_tEENKUlT_SK_SL_SM_E_clIPxSE_SF_SF_EESJ_SZ_SK_SL_SM_EUlSZ_E_NS1_11comp_targetILNS1_3genE10ELNS1_11target_archE1201ELNS1_3gpuE5ELNS1_3repE0EEENS1_48merge_mergepath_partition_config_static_selectorELNS0_4arch9wavefront6targetE1EEEvSL_, .Lfunc_end1411-_ZN7rocprim17ROCPRIM_400000_NS6detail17trampoline_kernelINS0_14default_configENS1_38merge_sort_block_merge_config_selectorIxNS0_10empty_typeEEEZZNS1_27merge_sort_block_merge_implIS3_N6thrust23THRUST_200600_302600_NS6detail15normal_iteratorINS9_10device_ptrIxEEEEPS5_jNS1_19radix_merge_compareILb0ELb0ExNS0_19identity_decomposerEEEEE10hipError_tT0_T1_T2_jT3_P12ihipStream_tbPNSt15iterator_traitsISK_E10value_typeEPNSQ_ISL_E10value_typeEPSM_NS1_7vsmem_tEENKUlT_SK_SL_SM_E_clIPxSE_SF_SF_EESJ_SZ_SK_SL_SM_EUlSZ_E_NS1_11comp_targetILNS1_3genE10ELNS1_11target_archE1201ELNS1_3gpuE5ELNS1_3repE0EEENS1_48merge_mergepath_partition_config_static_selectorELNS0_4arch9wavefront6targetE1EEEvSL_
                                        ; -- End function
	.section	.AMDGPU.csdata,"",@progbits
; Kernel info:
; codeLenInByte = 0
; NumSgprs: 4
; NumVgprs: 0
; NumAgprs: 0
; TotalNumVgprs: 0
; ScratchSize: 0
; MemoryBound: 0
; FloatMode: 240
; IeeeMode: 1
; LDSByteSize: 0 bytes/workgroup (compile time only)
; SGPRBlocks: 0
; VGPRBlocks: 0
; NumSGPRsForWavesPerEU: 4
; NumVGPRsForWavesPerEU: 1
; AccumOffset: 4
; Occupancy: 8
; WaveLimiterHint : 0
; COMPUTE_PGM_RSRC2:SCRATCH_EN: 0
; COMPUTE_PGM_RSRC2:USER_SGPR: 6
; COMPUTE_PGM_RSRC2:TRAP_HANDLER: 0
; COMPUTE_PGM_RSRC2:TGID_X_EN: 1
; COMPUTE_PGM_RSRC2:TGID_Y_EN: 0
; COMPUTE_PGM_RSRC2:TGID_Z_EN: 0
; COMPUTE_PGM_RSRC2:TIDIG_COMP_CNT: 0
; COMPUTE_PGM_RSRC3_GFX90A:ACCUM_OFFSET: 0
; COMPUTE_PGM_RSRC3_GFX90A:TG_SPLIT: 0
	.section	.text._ZN7rocprim17ROCPRIM_400000_NS6detail17trampoline_kernelINS0_14default_configENS1_38merge_sort_block_merge_config_selectorIxNS0_10empty_typeEEEZZNS1_27merge_sort_block_merge_implIS3_N6thrust23THRUST_200600_302600_NS6detail15normal_iteratorINS9_10device_ptrIxEEEEPS5_jNS1_19radix_merge_compareILb0ELb0ExNS0_19identity_decomposerEEEEE10hipError_tT0_T1_T2_jT3_P12ihipStream_tbPNSt15iterator_traitsISK_E10value_typeEPNSQ_ISL_E10value_typeEPSM_NS1_7vsmem_tEENKUlT_SK_SL_SM_E_clIPxSE_SF_SF_EESJ_SZ_SK_SL_SM_EUlSZ_E_NS1_11comp_targetILNS1_3genE5ELNS1_11target_archE942ELNS1_3gpuE9ELNS1_3repE0EEENS1_48merge_mergepath_partition_config_static_selectorELNS0_4arch9wavefront6targetE1EEEvSL_,"axG",@progbits,_ZN7rocprim17ROCPRIM_400000_NS6detail17trampoline_kernelINS0_14default_configENS1_38merge_sort_block_merge_config_selectorIxNS0_10empty_typeEEEZZNS1_27merge_sort_block_merge_implIS3_N6thrust23THRUST_200600_302600_NS6detail15normal_iteratorINS9_10device_ptrIxEEEEPS5_jNS1_19radix_merge_compareILb0ELb0ExNS0_19identity_decomposerEEEEE10hipError_tT0_T1_T2_jT3_P12ihipStream_tbPNSt15iterator_traitsISK_E10value_typeEPNSQ_ISL_E10value_typeEPSM_NS1_7vsmem_tEENKUlT_SK_SL_SM_E_clIPxSE_SF_SF_EESJ_SZ_SK_SL_SM_EUlSZ_E_NS1_11comp_targetILNS1_3genE5ELNS1_11target_archE942ELNS1_3gpuE9ELNS1_3repE0EEENS1_48merge_mergepath_partition_config_static_selectorELNS0_4arch9wavefront6targetE1EEEvSL_,comdat
	.protected	_ZN7rocprim17ROCPRIM_400000_NS6detail17trampoline_kernelINS0_14default_configENS1_38merge_sort_block_merge_config_selectorIxNS0_10empty_typeEEEZZNS1_27merge_sort_block_merge_implIS3_N6thrust23THRUST_200600_302600_NS6detail15normal_iteratorINS9_10device_ptrIxEEEEPS5_jNS1_19radix_merge_compareILb0ELb0ExNS0_19identity_decomposerEEEEE10hipError_tT0_T1_T2_jT3_P12ihipStream_tbPNSt15iterator_traitsISK_E10value_typeEPNSQ_ISL_E10value_typeEPSM_NS1_7vsmem_tEENKUlT_SK_SL_SM_E_clIPxSE_SF_SF_EESJ_SZ_SK_SL_SM_EUlSZ_E_NS1_11comp_targetILNS1_3genE5ELNS1_11target_archE942ELNS1_3gpuE9ELNS1_3repE0EEENS1_48merge_mergepath_partition_config_static_selectorELNS0_4arch9wavefront6targetE1EEEvSL_ ; -- Begin function _ZN7rocprim17ROCPRIM_400000_NS6detail17trampoline_kernelINS0_14default_configENS1_38merge_sort_block_merge_config_selectorIxNS0_10empty_typeEEEZZNS1_27merge_sort_block_merge_implIS3_N6thrust23THRUST_200600_302600_NS6detail15normal_iteratorINS9_10device_ptrIxEEEEPS5_jNS1_19radix_merge_compareILb0ELb0ExNS0_19identity_decomposerEEEEE10hipError_tT0_T1_T2_jT3_P12ihipStream_tbPNSt15iterator_traitsISK_E10value_typeEPNSQ_ISL_E10value_typeEPSM_NS1_7vsmem_tEENKUlT_SK_SL_SM_E_clIPxSE_SF_SF_EESJ_SZ_SK_SL_SM_EUlSZ_E_NS1_11comp_targetILNS1_3genE5ELNS1_11target_archE942ELNS1_3gpuE9ELNS1_3repE0EEENS1_48merge_mergepath_partition_config_static_selectorELNS0_4arch9wavefront6targetE1EEEvSL_
	.globl	_ZN7rocprim17ROCPRIM_400000_NS6detail17trampoline_kernelINS0_14default_configENS1_38merge_sort_block_merge_config_selectorIxNS0_10empty_typeEEEZZNS1_27merge_sort_block_merge_implIS3_N6thrust23THRUST_200600_302600_NS6detail15normal_iteratorINS9_10device_ptrIxEEEEPS5_jNS1_19radix_merge_compareILb0ELb0ExNS0_19identity_decomposerEEEEE10hipError_tT0_T1_T2_jT3_P12ihipStream_tbPNSt15iterator_traitsISK_E10value_typeEPNSQ_ISL_E10value_typeEPSM_NS1_7vsmem_tEENKUlT_SK_SL_SM_E_clIPxSE_SF_SF_EESJ_SZ_SK_SL_SM_EUlSZ_E_NS1_11comp_targetILNS1_3genE5ELNS1_11target_archE942ELNS1_3gpuE9ELNS1_3repE0EEENS1_48merge_mergepath_partition_config_static_selectorELNS0_4arch9wavefront6targetE1EEEvSL_
	.p2align	8
	.type	_ZN7rocprim17ROCPRIM_400000_NS6detail17trampoline_kernelINS0_14default_configENS1_38merge_sort_block_merge_config_selectorIxNS0_10empty_typeEEEZZNS1_27merge_sort_block_merge_implIS3_N6thrust23THRUST_200600_302600_NS6detail15normal_iteratorINS9_10device_ptrIxEEEEPS5_jNS1_19radix_merge_compareILb0ELb0ExNS0_19identity_decomposerEEEEE10hipError_tT0_T1_T2_jT3_P12ihipStream_tbPNSt15iterator_traitsISK_E10value_typeEPNSQ_ISL_E10value_typeEPSM_NS1_7vsmem_tEENKUlT_SK_SL_SM_E_clIPxSE_SF_SF_EESJ_SZ_SK_SL_SM_EUlSZ_E_NS1_11comp_targetILNS1_3genE5ELNS1_11target_archE942ELNS1_3gpuE9ELNS1_3repE0EEENS1_48merge_mergepath_partition_config_static_selectorELNS0_4arch9wavefront6targetE1EEEvSL_,@function
_ZN7rocprim17ROCPRIM_400000_NS6detail17trampoline_kernelINS0_14default_configENS1_38merge_sort_block_merge_config_selectorIxNS0_10empty_typeEEEZZNS1_27merge_sort_block_merge_implIS3_N6thrust23THRUST_200600_302600_NS6detail15normal_iteratorINS9_10device_ptrIxEEEEPS5_jNS1_19radix_merge_compareILb0ELb0ExNS0_19identity_decomposerEEEEE10hipError_tT0_T1_T2_jT3_P12ihipStream_tbPNSt15iterator_traitsISK_E10value_typeEPNSQ_ISL_E10value_typeEPSM_NS1_7vsmem_tEENKUlT_SK_SL_SM_E_clIPxSE_SF_SF_EESJ_SZ_SK_SL_SM_EUlSZ_E_NS1_11comp_targetILNS1_3genE5ELNS1_11target_archE942ELNS1_3gpuE9ELNS1_3repE0EEENS1_48merge_mergepath_partition_config_static_selectorELNS0_4arch9wavefront6targetE1EEEvSL_: ; @_ZN7rocprim17ROCPRIM_400000_NS6detail17trampoline_kernelINS0_14default_configENS1_38merge_sort_block_merge_config_selectorIxNS0_10empty_typeEEEZZNS1_27merge_sort_block_merge_implIS3_N6thrust23THRUST_200600_302600_NS6detail15normal_iteratorINS9_10device_ptrIxEEEEPS5_jNS1_19radix_merge_compareILb0ELb0ExNS0_19identity_decomposerEEEEE10hipError_tT0_T1_T2_jT3_P12ihipStream_tbPNSt15iterator_traitsISK_E10value_typeEPNSQ_ISL_E10value_typeEPSM_NS1_7vsmem_tEENKUlT_SK_SL_SM_E_clIPxSE_SF_SF_EESJ_SZ_SK_SL_SM_EUlSZ_E_NS1_11comp_targetILNS1_3genE5ELNS1_11target_archE942ELNS1_3gpuE9ELNS1_3repE0EEENS1_48merge_mergepath_partition_config_static_selectorELNS0_4arch9wavefront6targetE1EEEvSL_
; %bb.0:
	.section	.rodata,"a",@progbits
	.p2align	6, 0x0
	.amdhsa_kernel _ZN7rocprim17ROCPRIM_400000_NS6detail17trampoline_kernelINS0_14default_configENS1_38merge_sort_block_merge_config_selectorIxNS0_10empty_typeEEEZZNS1_27merge_sort_block_merge_implIS3_N6thrust23THRUST_200600_302600_NS6detail15normal_iteratorINS9_10device_ptrIxEEEEPS5_jNS1_19radix_merge_compareILb0ELb0ExNS0_19identity_decomposerEEEEE10hipError_tT0_T1_T2_jT3_P12ihipStream_tbPNSt15iterator_traitsISK_E10value_typeEPNSQ_ISL_E10value_typeEPSM_NS1_7vsmem_tEENKUlT_SK_SL_SM_E_clIPxSE_SF_SF_EESJ_SZ_SK_SL_SM_EUlSZ_E_NS1_11comp_targetILNS1_3genE5ELNS1_11target_archE942ELNS1_3gpuE9ELNS1_3repE0EEENS1_48merge_mergepath_partition_config_static_selectorELNS0_4arch9wavefront6targetE1EEEvSL_
		.amdhsa_group_segment_fixed_size 0
		.amdhsa_private_segment_fixed_size 0
		.amdhsa_kernarg_size 40
		.amdhsa_user_sgpr_count 6
		.amdhsa_user_sgpr_private_segment_buffer 1
		.amdhsa_user_sgpr_dispatch_ptr 0
		.amdhsa_user_sgpr_queue_ptr 0
		.amdhsa_user_sgpr_kernarg_segment_ptr 1
		.amdhsa_user_sgpr_dispatch_id 0
		.amdhsa_user_sgpr_flat_scratch_init 0
		.amdhsa_user_sgpr_kernarg_preload_length 0
		.amdhsa_user_sgpr_kernarg_preload_offset 0
		.amdhsa_user_sgpr_private_segment_size 0
		.amdhsa_uses_dynamic_stack 0
		.amdhsa_system_sgpr_private_segment_wavefront_offset 0
		.amdhsa_system_sgpr_workgroup_id_x 1
		.amdhsa_system_sgpr_workgroup_id_y 0
		.amdhsa_system_sgpr_workgroup_id_z 0
		.amdhsa_system_sgpr_workgroup_info 0
		.amdhsa_system_vgpr_workitem_id 0
		.amdhsa_next_free_vgpr 1
		.amdhsa_next_free_sgpr 0
		.amdhsa_accum_offset 4
		.amdhsa_reserve_vcc 0
		.amdhsa_reserve_flat_scratch 0
		.amdhsa_float_round_mode_32 0
		.amdhsa_float_round_mode_16_64 0
		.amdhsa_float_denorm_mode_32 3
		.amdhsa_float_denorm_mode_16_64 3
		.amdhsa_dx10_clamp 1
		.amdhsa_ieee_mode 1
		.amdhsa_fp16_overflow 0
		.amdhsa_tg_split 0
		.amdhsa_exception_fp_ieee_invalid_op 0
		.amdhsa_exception_fp_denorm_src 0
		.amdhsa_exception_fp_ieee_div_zero 0
		.amdhsa_exception_fp_ieee_overflow 0
		.amdhsa_exception_fp_ieee_underflow 0
		.amdhsa_exception_fp_ieee_inexact 0
		.amdhsa_exception_int_div_zero 0
	.end_amdhsa_kernel
	.section	.text._ZN7rocprim17ROCPRIM_400000_NS6detail17trampoline_kernelINS0_14default_configENS1_38merge_sort_block_merge_config_selectorIxNS0_10empty_typeEEEZZNS1_27merge_sort_block_merge_implIS3_N6thrust23THRUST_200600_302600_NS6detail15normal_iteratorINS9_10device_ptrIxEEEEPS5_jNS1_19radix_merge_compareILb0ELb0ExNS0_19identity_decomposerEEEEE10hipError_tT0_T1_T2_jT3_P12ihipStream_tbPNSt15iterator_traitsISK_E10value_typeEPNSQ_ISL_E10value_typeEPSM_NS1_7vsmem_tEENKUlT_SK_SL_SM_E_clIPxSE_SF_SF_EESJ_SZ_SK_SL_SM_EUlSZ_E_NS1_11comp_targetILNS1_3genE5ELNS1_11target_archE942ELNS1_3gpuE9ELNS1_3repE0EEENS1_48merge_mergepath_partition_config_static_selectorELNS0_4arch9wavefront6targetE1EEEvSL_,"axG",@progbits,_ZN7rocprim17ROCPRIM_400000_NS6detail17trampoline_kernelINS0_14default_configENS1_38merge_sort_block_merge_config_selectorIxNS0_10empty_typeEEEZZNS1_27merge_sort_block_merge_implIS3_N6thrust23THRUST_200600_302600_NS6detail15normal_iteratorINS9_10device_ptrIxEEEEPS5_jNS1_19radix_merge_compareILb0ELb0ExNS0_19identity_decomposerEEEEE10hipError_tT0_T1_T2_jT3_P12ihipStream_tbPNSt15iterator_traitsISK_E10value_typeEPNSQ_ISL_E10value_typeEPSM_NS1_7vsmem_tEENKUlT_SK_SL_SM_E_clIPxSE_SF_SF_EESJ_SZ_SK_SL_SM_EUlSZ_E_NS1_11comp_targetILNS1_3genE5ELNS1_11target_archE942ELNS1_3gpuE9ELNS1_3repE0EEENS1_48merge_mergepath_partition_config_static_selectorELNS0_4arch9wavefront6targetE1EEEvSL_,comdat
.Lfunc_end1412:
	.size	_ZN7rocprim17ROCPRIM_400000_NS6detail17trampoline_kernelINS0_14default_configENS1_38merge_sort_block_merge_config_selectorIxNS0_10empty_typeEEEZZNS1_27merge_sort_block_merge_implIS3_N6thrust23THRUST_200600_302600_NS6detail15normal_iteratorINS9_10device_ptrIxEEEEPS5_jNS1_19radix_merge_compareILb0ELb0ExNS0_19identity_decomposerEEEEE10hipError_tT0_T1_T2_jT3_P12ihipStream_tbPNSt15iterator_traitsISK_E10value_typeEPNSQ_ISL_E10value_typeEPSM_NS1_7vsmem_tEENKUlT_SK_SL_SM_E_clIPxSE_SF_SF_EESJ_SZ_SK_SL_SM_EUlSZ_E_NS1_11comp_targetILNS1_3genE5ELNS1_11target_archE942ELNS1_3gpuE9ELNS1_3repE0EEENS1_48merge_mergepath_partition_config_static_selectorELNS0_4arch9wavefront6targetE1EEEvSL_, .Lfunc_end1412-_ZN7rocprim17ROCPRIM_400000_NS6detail17trampoline_kernelINS0_14default_configENS1_38merge_sort_block_merge_config_selectorIxNS0_10empty_typeEEEZZNS1_27merge_sort_block_merge_implIS3_N6thrust23THRUST_200600_302600_NS6detail15normal_iteratorINS9_10device_ptrIxEEEEPS5_jNS1_19radix_merge_compareILb0ELb0ExNS0_19identity_decomposerEEEEE10hipError_tT0_T1_T2_jT3_P12ihipStream_tbPNSt15iterator_traitsISK_E10value_typeEPNSQ_ISL_E10value_typeEPSM_NS1_7vsmem_tEENKUlT_SK_SL_SM_E_clIPxSE_SF_SF_EESJ_SZ_SK_SL_SM_EUlSZ_E_NS1_11comp_targetILNS1_3genE5ELNS1_11target_archE942ELNS1_3gpuE9ELNS1_3repE0EEENS1_48merge_mergepath_partition_config_static_selectorELNS0_4arch9wavefront6targetE1EEEvSL_
                                        ; -- End function
	.section	.AMDGPU.csdata,"",@progbits
; Kernel info:
; codeLenInByte = 0
; NumSgprs: 4
; NumVgprs: 0
; NumAgprs: 0
; TotalNumVgprs: 0
; ScratchSize: 0
; MemoryBound: 0
; FloatMode: 240
; IeeeMode: 1
; LDSByteSize: 0 bytes/workgroup (compile time only)
; SGPRBlocks: 0
; VGPRBlocks: 0
; NumSGPRsForWavesPerEU: 4
; NumVGPRsForWavesPerEU: 1
; AccumOffset: 4
; Occupancy: 8
; WaveLimiterHint : 0
; COMPUTE_PGM_RSRC2:SCRATCH_EN: 0
; COMPUTE_PGM_RSRC2:USER_SGPR: 6
; COMPUTE_PGM_RSRC2:TRAP_HANDLER: 0
; COMPUTE_PGM_RSRC2:TGID_X_EN: 1
; COMPUTE_PGM_RSRC2:TGID_Y_EN: 0
; COMPUTE_PGM_RSRC2:TGID_Z_EN: 0
; COMPUTE_PGM_RSRC2:TIDIG_COMP_CNT: 0
; COMPUTE_PGM_RSRC3_GFX90A:ACCUM_OFFSET: 0
; COMPUTE_PGM_RSRC3_GFX90A:TG_SPLIT: 0
	.section	.text._ZN7rocprim17ROCPRIM_400000_NS6detail17trampoline_kernelINS0_14default_configENS1_38merge_sort_block_merge_config_selectorIxNS0_10empty_typeEEEZZNS1_27merge_sort_block_merge_implIS3_N6thrust23THRUST_200600_302600_NS6detail15normal_iteratorINS9_10device_ptrIxEEEEPS5_jNS1_19radix_merge_compareILb0ELb0ExNS0_19identity_decomposerEEEEE10hipError_tT0_T1_T2_jT3_P12ihipStream_tbPNSt15iterator_traitsISK_E10value_typeEPNSQ_ISL_E10value_typeEPSM_NS1_7vsmem_tEENKUlT_SK_SL_SM_E_clIPxSE_SF_SF_EESJ_SZ_SK_SL_SM_EUlSZ_E_NS1_11comp_targetILNS1_3genE4ELNS1_11target_archE910ELNS1_3gpuE8ELNS1_3repE0EEENS1_48merge_mergepath_partition_config_static_selectorELNS0_4arch9wavefront6targetE1EEEvSL_,"axG",@progbits,_ZN7rocprim17ROCPRIM_400000_NS6detail17trampoline_kernelINS0_14default_configENS1_38merge_sort_block_merge_config_selectorIxNS0_10empty_typeEEEZZNS1_27merge_sort_block_merge_implIS3_N6thrust23THRUST_200600_302600_NS6detail15normal_iteratorINS9_10device_ptrIxEEEEPS5_jNS1_19radix_merge_compareILb0ELb0ExNS0_19identity_decomposerEEEEE10hipError_tT0_T1_T2_jT3_P12ihipStream_tbPNSt15iterator_traitsISK_E10value_typeEPNSQ_ISL_E10value_typeEPSM_NS1_7vsmem_tEENKUlT_SK_SL_SM_E_clIPxSE_SF_SF_EESJ_SZ_SK_SL_SM_EUlSZ_E_NS1_11comp_targetILNS1_3genE4ELNS1_11target_archE910ELNS1_3gpuE8ELNS1_3repE0EEENS1_48merge_mergepath_partition_config_static_selectorELNS0_4arch9wavefront6targetE1EEEvSL_,comdat
	.protected	_ZN7rocprim17ROCPRIM_400000_NS6detail17trampoline_kernelINS0_14default_configENS1_38merge_sort_block_merge_config_selectorIxNS0_10empty_typeEEEZZNS1_27merge_sort_block_merge_implIS3_N6thrust23THRUST_200600_302600_NS6detail15normal_iteratorINS9_10device_ptrIxEEEEPS5_jNS1_19radix_merge_compareILb0ELb0ExNS0_19identity_decomposerEEEEE10hipError_tT0_T1_T2_jT3_P12ihipStream_tbPNSt15iterator_traitsISK_E10value_typeEPNSQ_ISL_E10value_typeEPSM_NS1_7vsmem_tEENKUlT_SK_SL_SM_E_clIPxSE_SF_SF_EESJ_SZ_SK_SL_SM_EUlSZ_E_NS1_11comp_targetILNS1_3genE4ELNS1_11target_archE910ELNS1_3gpuE8ELNS1_3repE0EEENS1_48merge_mergepath_partition_config_static_selectorELNS0_4arch9wavefront6targetE1EEEvSL_ ; -- Begin function _ZN7rocprim17ROCPRIM_400000_NS6detail17trampoline_kernelINS0_14default_configENS1_38merge_sort_block_merge_config_selectorIxNS0_10empty_typeEEEZZNS1_27merge_sort_block_merge_implIS3_N6thrust23THRUST_200600_302600_NS6detail15normal_iteratorINS9_10device_ptrIxEEEEPS5_jNS1_19radix_merge_compareILb0ELb0ExNS0_19identity_decomposerEEEEE10hipError_tT0_T1_T2_jT3_P12ihipStream_tbPNSt15iterator_traitsISK_E10value_typeEPNSQ_ISL_E10value_typeEPSM_NS1_7vsmem_tEENKUlT_SK_SL_SM_E_clIPxSE_SF_SF_EESJ_SZ_SK_SL_SM_EUlSZ_E_NS1_11comp_targetILNS1_3genE4ELNS1_11target_archE910ELNS1_3gpuE8ELNS1_3repE0EEENS1_48merge_mergepath_partition_config_static_selectorELNS0_4arch9wavefront6targetE1EEEvSL_
	.globl	_ZN7rocprim17ROCPRIM_400000_NS6detail17trampoline_kernelINS0_14default_configENS1_38merge_sort_block_merge_config_selectorIxNS0_10empty_typeEEEZZNS1_27merge_sort_block_merge_implIS3_N6thrust23THRUST_200600_302600_NS6detail15normal_iteratorINS9_10device_ptrIxEEEEPS5_jNS1_19radix_merge_compareILb0ELb0ExNS0_19identity_decomposerEEEEE10hipError_tT0_T1_T2_jT3_P12ihipStream_tbPNSt15iterator_traitsISK_E10value_typeEPNSQ_ISL_E10value_typeEPSM_NS1_7vsmem_tEENKUlT_SK_SL_SM_E_clIPxSE_SF_SF_EESJ_SZ_SK_SL_SM_EUlSZ_E_NS1_11comp_targetILNS1_3genE4ELNS1_11target_archE910ELNS1_3gpuE8ELNS1_3repE0EEENS1_48merge_mergepath_partition_config_static_selectorELNS0_4arch9wavefront6targetE1EEEvSL_
	.p2align	8
	.type	_ZN7rocprim17ROCPRIM_400000_NS6detail17trampoline_kernelINS0_14default_configENS1_38merge_sort_block_merge_config_selectorIxNS0_10empty_typeEEEZZNS1_27merge_sort_block_merge_implIS3_N6thrust23THRUST_200600_302600_NS6detail15normal_iteratorINS9_10device_ptrIxEEEEPS5_jNS1_19radix_merge_compareILb0ELb0ExNS0_19identity_decomposerEEEEE10hipError_tT0_T1_T2_jT3_P12ihipStream_tbPNSt15iterator_traitsISK_E10value_typeEPNSQ_ISL_E10value_typeEPSM_NS1_7vsmem_tEENKUlT_SK_SL_SM_E_clIPxSE_SF_SF_EESJ_SZ_SK_SL_SM_EUlSZ_E_NS1_11comp_targetILNS1_3genE4ELNS1_11target_archE910ELNS1_3gpuE8ELNS1_3repE0EEENS1_48merge_mergepath_partition_config_static_selectorELNS0_4arch9wavefront6targetE1EEEvSL_,@function
_ZN7rocprim17ROCPRIM_400000_NS6detail17trampoline_kernelINS0_14default_configENS1_38merge_sort_block_merge_config_selectorIxNS0_10empty_typeEEEZZNS1_27merge_sort_block_merge_implIS3_N6thrust23THRUST_200600_302600_NS6detail15normal_iteratorINS9_10device_ptrIxEEEEPS5_jNS1_19radix_merge_compareILb0ELb0ExNS0_19identity_decomposerEEEEE10hipError_tT0_T1_T2_jT3_P12ihipStream_tbPNSt15iterator_traitsISK_E10value_typeEPNSQ_ISL_E10value_typeEPSM_NS1_7vsmem_tEENKUlT_SK_SL_SM_E_clIPxSE_SF_SF_EESJ_SZ_SK_SL_SM_EUlSZ_E_NS1_11comp_targetILNS1_3genE4ELNS1_11target_archE910ELNS1_3gpuE8ELNS1_3repE0EEENS1_48merge_mergepath_partition_config_static_selectorELNS0_4arch9wavefront6targetE1EEEvSL_: ; @_ZN7rocprim17ROCPRIM_400000_NS6detail17trampoline_kernelINS0_14default_configENS1_38merge_sort_block_merge_config_selectorIxNS0_10empty_typeEEEZZNS1_27merge_sort_block_merge_implIS3_N6thrust23THRUST_200600_302600_NS6detail15normal_iteratorINS9_10device_ptrIxEEEEPS5_jNS1_19radix_merge_compareILb0ELb0ExNS0_19identity_decomposerEEEEE10hipError_tT0_T1_T2_jT3_P12ihipStream_tbPNSt15iterator_traitsISK_E10value_typeEPNSQ_ISL_E10value_typeEPSM_NS1_7vsmem_tEENKUlT_SK_SL_SM_E_clIPxSE_SF_SF_EESJ_SZ_SK_SL_SM_EUlSZ_E_NS1_11comp_targetILNS1_3genE4ELNS1_11target_archE910ELNS1_3gpuE8ELNS1_3repE0EEENS1_48merge_mergepath_partition_config_static_selectorELNS0_4arch9wavefront6targetE1EEEvSL_
; %bb.0:
	s_load_dword s0, s[4:5], 0x0
	v_lshl_or_b32 v0, s6, 7, v0
	s_waitcnt lgkmcnt(0)
	v_cmp_gt_u32_e32 vcc, s0, v0
	s_and_saveexec_b64 s[0:1], vcc
	s_cbranch_execz .LBB1413_6
; %bb.1:
	s_load_dwordx2 s[2:3], s[4:5], 0x4
	s_load_dwordx2 s[0:1], s[4:5], 0x20
	s_waitcnt lgkmcnt(0)
	s_lshr_b32 s6, s2, 9
	s_and_b32 s6, s6, 0x7ffffe
	s_add_i32 s7, s6, -1
	s_sub_i32 s6, 0, s6
	v_and_b32_e32 v1, s6, v0
	v_lshlrev_b32_e32 v1, 10, v1
	v_min_u32_e32 v2, s3, v1
	v_add_u32_e32 v1, s2, v1
	v_min_u32_e32 v4, s3, v1
	v_add_u32_e32 v1, s2, v4
	v_and_b32_e32 v3, s7, v0
	v_min_u32_e32 v1, s3, v1
	v_sub_u32_e32 v5, v1, v2
	v_lshlrev_b32_e32 v3, 10, v3
	v_min_u32_e32 v6, v5, v3
	v_sub_u32_e32 v3, v4, v2
	v_sub_u32_e32 v1, v1, v4
	v_sub_u32_e64 v1, v6, v1 clamp
	v_min_u32_e32 v7, v6, v3
	v_cmp_lt_u32_e32 vcc, v1, v7
	s_and_saveexec_b64 s[2:3], vcc
	s_cbranch_execz .LBB1413_5
; %bb.2:
	s_load_dwordx2 s[4:5], s[4:5], 0x10
	v_mov_b32_e32 v5, 0
	v_mov_b32_e32 v3, v5
	v_lshlrev_b64 v[8:9], 3, v[2:3]
	v_lshlrev_b64 v[10:11], 3, v[4:5]
	s_waitcnt lgkmcnt(0)
	v_mov_b32_e32 v12, s5
	v_add_co_u32_e32 v3, vcc, s4, v8
	v_addc_co_u32_e32 v8, vcc, v12, v9, vcc
	v_add_co_u32_e32 v9, vcc, s4, v10
	v_addc_co_u32_e32 v10, vcc, v12, v11, vcc
	s_mov_b64 s[4:5], 0
.LBB1413_3:                             ; =>This Inner Loop Header: Depth=1
	v_add_u32_e32 v4, v7, v1
	v_lshrrev_b32_e32 v4, 1, v4
	v_lshlrev_b64 v[14:15], 3, v[4:5]
	v_mov_b32_e32 v13, v5
	v_xad_u32 v12, v4, -1, v6
	v_add_co_u32_e32 v14, vcc, v3, v14
	v_addc_co_u32_e32 v15, vcc, v8, v15, vcc
	v_lshlrev_b64 v[12:13], 3, v[12:13]
	v_add_co_u32_e32 v12, vcc, v9, v12
	v_addc_co_u32_e32 v13, vcc, v10, v13, vcc
	global_load_dwordx2 v[16:17], v[14:15], off
	global_load_dwordx2 v[18:19], v[12:13], off
	v_add_u32_e32 v11, 1, v4
	s_waitcnt vmcnt(0)
	v_cmp_gt_i64_e32 vcc, v[16:17], v[18:19]
	v_cndmask_b32_e32 v7, v7, v4, vcc
	v_cndmask_b32_e32 v1, v11, v1, vcc
	v_cmp_ge_u32_e32 vcc, v1, v7
	s_or_b64 s[4:5], vcc, s[4:5]
	s_andn2_b64 exec, exec, s[4:5]
	s_cbranch_execnz .LBB1413_3
; %bb.4:
	s_or_b64 exec, exec, s[4:5]
.LBB1413_5:
	s_or_b64 exec, exec, s[2:3]
	v_add_u32_e32 v2, v1, v2
	v_mov_b32_e32 v1, 0
	v_lshlrev_b64 v[0:1], 2, v[0:1]
	v_mov_b32_e32 v3, s1
	v_add_co_u32_e32 v0, vcc, s0, v0
	v_addc_co_u32_e32 v1, vcc, v3, v1, vcc
	global_store_dword v[0:1], v2, off
.LBB1413_6:
	s_endpgm
	.section	.rodata,"a",@progbits
	.p2align	6, 0x0
	.amdhsa_kernel _ZN7rocprim17ROCPRIM_400000_NS6detail17trampoline_kernelINS0_14default_configENS1_38merge_sort_block_merge_config_selectorIxNS0_10empty_typeEEEZZNS1_27merge_sort_block_merge_implIS3_N6thrust23THRUST_200600_302600_NS6detail15normal_iteratorINS9_10device_ptrIxEEEEPS5_jNS1_19radix_merge_compareILb0ELb0ExNS0_19identity_decomposerEEEEE10hipError_tT0_T1_T2_jT3_P12ihipStream_tbPNSt15iterator_traitsISK_E10value_typeEPNSQ_ISL_E10value_typeEPSM_NS1_7vsmem_tEENKUlT_SK_SL_SM_E_clIPxSE_SF_SF_EESJ_SZ_SK_SL_SM_EUlSZ_E_NS1_11comp_targetILNS1_3genE4ELNS1_11target_archE910ELNS1_3gpuE8ELNS1_3repE0EEENS1_48merge_mergepath_partition_config_static_selectorELNS0_4arch9wavefront6targetE1EEEvSL_
		.amdhsa_group_segment_fixed_size 0
		.amdhsa_private_segment_fixed_size 0
		.amdhsa_kernarg_size 40
		.amdhsa_user_sgpr_count 6
		.amdhsa_user_sgpr_private_segment_buffer 1
		.amdhsa_user_sgpr_dispatch_ptr 0
		.amdhsa_user_sgpr_queue_ptr 0
		.amdhsa_user_sgpr_kernarg_segment_ptr 1
		.amdhsa_user_sgpr_dispatch_id 0
		.amdhsa_user_sgpr_flat_scratch_init 0
		.amdhsa_user_sgpr_kernarg_preload_length 0
		.amdhsa_user_sgpr_kernarg_preload_offset 0
		.amdhsa_user_sgpr_private_segment_size 0
		.amdhsa_uses_dynamic_stack 0
		.amdhsa_system_sgpr_private_segment_wavefront_offset 0
		.amdhsa_system_sgpr_workgroup_id_x 1
		.amdhsa_system_sgpr_workgroup_id_y 0
		.amdhsa_system_sgpr_workgroup_id_z 0
		.amdhsa_system_sgpr_workgroup_info 0
		.amdhsa_system_vgpr_workitem_id 0
		.amdhsa_next_free_vgpr 20
		.amdhsa_next_free_sgpr 8
		.amdhsa_accum_offset 20
		.amdhsa_reserve_vcc 1
		.amdhsa_reserve_flat_scratch 0
		.amdhsa_float_round_mode_32 0
		.amdhsa_float_round_mode_16_64 0
		.amdhsa_float_denorm_mode_32 3
		.amdhsa_float_denorm_mode_16_64 3
		.amdhsa_dx10_clamp 1
		.amdhsa_ieee_mode 1
		.amdhsa_fp16_overflow 0
		.amdhsa_tg_split 0
		.amdhsa_exception_fp_ieee_invalid_op 0
		.amdhsa_exception_fp_denorm_src 0
		.amdhsa_exception_fp_ieee_div_zero 0
		.amdhsa_exception_fp_ieee_overflow 0
		.amdhsa_exception_fp_ieee_underflow 0
		.amdhsa_exception_fp_ieee_inexact 0
		.amdhsa_exception_int_div_zero 0
	.end_amdhsa_kernel
	.section	.text._ZN7rocprim17ROCPRIM_400000_NS6detail17trampoline_kernelINS0_14default_configENS1_38merge_sort_block_merge_config_selectorIxNS0_10empty_typeEEEZZNS1_27merge_sort_block_merge_implIS3_N6thrust23THRUST_200600_302600_NS6detail15normal_iteratorINS9_10device_ptrIxEEEEPS5_jNS1_19radix_merge_compareILb0ELb0ExNS0_19identity_decomposerEEEEE10hipError_tT0_T1_T2_jT3_P12ihipStream_tbPNSt15iterator_traitsISK_E10value_typeEPNSQ_ISL_E10value_typeEPSM_NS1_7vsmem_tEENKUlT_SK_SL_SM_E_clIPxSE_SF_SF_EESJ_SZ_SK_SL_SM_EUlSZ_E_NS1_11comp_targetILNS1_3genE4ELNS1_11target_archE910ELNS1_3gpuE8ELNS1_3repE0EEENS1_48merge_mergepath_partition_config_static_selectorELNS0_4arch9wavefront6targetE1EEEvSL_,"axG",@progbits,_ZN7rocprim17ROCPRIM_400000_NS6detail17trampoline_kernelINS0_14default_configENS1_38merge_sort_block_merge_config_selectorIxNS0_10empty_typeEEEZZNS1_27merge_sort_block_merge_implIS3_N6thrust23THRUST_200600_302600_NS6detail15normal_iteratorINS9_10device_ptrIxEEEEPS5_jNS1_19radix_merge_compareILb0ELb0ExNS0_19identity_decomposerEEEEE10hipError_tT0_T1_T2_jT3_P12ihipStream_tbPNSt15iterator_traitsISK_E10value_typeEPNSQ_ISL_E10value_typeEPSM_NS1_7vsmem_tEENKUlT_SK_SL_SM_E_clIPxSE_SF_SF_EESJ_SZ_SK_SL_SM_EUlSZ_E_NS1_11comp_targetILNS1_3genE4ELNS1_11target_archE910ELNS1_3gpuE8ELNS1_3repE0EEENS1_48merge_mergepath_partition_config_static_selectorELNS0_4arch9wavefront6targetE1EEEvSL_,comdat
.Lfunc_end1413:
	.size	_ZN7rocprim17ROCPRIM_400000_NS6detail17trampoline_kernelINS0_14default_configENS1_38merge_sort_block_merge_config_selectorIxNS0_10empty_typeEEEZZNS1_27merge_sort_block_merge_implIS3_N6thrust23THRUST_200600_302600_NS6detail15normal_iteratorINS9_10device_ptrIxEEEEPS5_jNS1_19radix_merge_compareILb0ELb0ExNS0_19identity_decomposerEEEEE10hipError_tT0_T1_T2_jT3_P12ihipStream_tbPNSt15iterator_traitsISK_E10value_typeEPNSQ_ISL_E10value_typeEPSM_NS1_7vsmem_tEENKUlT_SK_SL_SM_E_clIPxSE_SF_SF_EESJ_SZ_SK_SL_SM_EUlSZ_E_NS1_11comp_targetILNS1_3genE4ELNS1_11target_archE910ELNS1_3gpuE8ELNS1_3repE0EEENS1_48merge_mergepath_partition_config_static_selectorELNS0_4arch9wavefront6targetE1EEEvSL_, .Lfunc_end1413-_ZN7rocprim17ROCPRIM_400000_NS6detail17trampoline_kernelINS0_14default_configENS1_38merge_sort_block_merge_config_selectorIxNS0_10empty_typeEEEZZNS1_27merge_sort_block_merge_implIS3_N6thrust23THRUST_200600_302600_NS6detail15normal_iteratorINS9_10device_ptrIxEEEEPS5_jNS1_19radix_merge_compareILb0ELb0ExNS0_19identity_decomposerEEEEE10hipError_tT0_T1_T2_jT3_P12ihipStream_tbPNSt15iterator_traitsISK_E10value_typeEPNSQ_ISL_E10value_typeEPSM_NS1_7vsmem_tEENKUlT_SK_SL_SM_E_clIPxSE_SF_SF_EESJ_SZ_SK_SL_SM_EUlSZ_E_NS1_11comp_targetILNS1_3genE4ELNS1_11target_archE910ELNS1_3gpuE8ELNS1_3repE0EEENS1_48merge_mergepath_partition_config_static_selectorELNS0_4arch9wavefront6targetE1EEEvSL_
                                        ; -- End function
	.section	.AMDGPU.csdata,"",@progbits
; Kernel info:
; codeLenInByte = 360
; NumSgprs: 12
; NumVgprs: 20
; NumAgprs: 0
; TotalNumVgprs: 20
; ScratchSize: 0
; MemoryBound: 0
; FloatMode: 240
; IeeeMode: 1
; LDSByteSize: 0 bytes/workgroup (compile time only)
; SGPRBlocks: 1
; VGPRBlocks: 2
; NumSGPRsForWavesPerEU: 12
; NumVGPRsForWavesPerEU: 20
; AccumOffset: 20
; Occupancy: 8
; WaveLimiterHint : 0
; COMPUTE_PGM_RSRC2:SCRATCH_EN: 0
; COMPUTE_PGM_RSRC2:USER_SGPR: 6
; COMPUTE_PGM_RSRC2:TRAP_HANDLER: 0
; COMPUTE_PGM_RSRC2:TGID_X_EN: 1
; COMPUTE_PGM_RSRC2:TGID_Y_EN: 0
; COMPUTE_PGM_RSRC2:TGID_Z_EN: 0
; COMPUTE_PGM_RSRC2:TIDIG_COMP_CNT: 0
; COMPUTE_PGM_RSRC3_GFX90A:ACCUM_OFFSET: 4
; COMPUTE_PGM_RSRC3_GFX90A:TG_SPLIT: 0
	.section	.text._ZN7rocprim17ROCPRIM_400000_NS6detail17trampoline_kernelINS0_14default_configENS1_38merge_sort_block_merge_config_selectorIxNS0_10empty_typeEEEZZNS1_27merge_sort_block_merge_implIS3_N6thrust23THRUST_200600_302600_NS6detail15normal_iteratorINS9_10device_ptrIxEEEEPS5_jNS1_19radix_merge_compareILb0ELb0ExNS0_19identity_decomposerEEEEE10hipError_tT0_T1_T2_jT3_P12ihipStream_tbPNSt15iterator_traitsISK_E10value_typeEPNSQ_ISL_E10value_typeEPSM_NS1_7vsmem_tEENKUlT_SK_SL_SM_E_clIPxSE_SF_SF_EESJ_SZ_SK_SL_SM_EUlSZ_E_NS1_11comp_targetILNS1_3genE3ELNS1_11target_archE908ELNS1_3gpuE7ELNS1_3repE0EEENS1_48merge_mergepath_partition_config_static_selectorELNS0_4arch9wavefront6targetE1EEEvSL_,"axG",@progbits,_ZN7rocprim17ROCPRIM_400000_NS6detail17trampoline_kernelINS0_14default_configENS1_38merge_sort_block_merge_config_selectorIxNS0_10empty_typeEEEZZNS1_27merge_sort_block_merge_implIS3_N6thrust23THRUST_200600_302600_NS6detail15normal_iteratorINS9_10device_ptrIxEEEEPS5_jNS1_19radix_merge_compareILb0ELb0ExNS0_19identity_decomposerEEEEE10hipError_tT0_T1_T2_jT3_P12ihipStream_tbPNSt15iterator_traitsISK_E10value_typeEPNSQ_ISL_E10value_typeEPSM_NS1_7vsmem_tEENKUlT_SK_SL_SM_E_clIPxSE_SF_SF_EESJ_SZ_SK_SL_SM_EUlSZ_E_NS1_11comp_targetILNS1_3genE3ELNS1_11target_archE908ELNS1_3gpuE7ELNS1_3repE0EEENS1_48merge_mergepath_partition_config_static_selectorELNS0_4arch9wavefront6targetE1EEEvSL_,comdat
	.protected	_ZN7rocprim17ROCPRIM_400000_NS6detail17trampoline_kernelINS0_14default_configENS1_38merge_sort_block_merge_config_selectorIxNS0_10empty_typeEEEZZNS1_27merge_sort_block_merge_implIS3_N6thrust23THRUST_200600_302600_NS6detail15normal_iteratorINS9_10device_ptrIxEEEEPS5_jNS1_19radix_merge_compareILb0ELb0ExNS0_19identity_decomposerEEEEE10hipError_tT0_T1_T2_jT3_P12ihipStream_tbPNSt15iterator_traitsISK_E10value_typeEPNSQ_ISL_E10value_typeEPSM_NS1_7vsmem_tEENKUlT_SK_SL_SM_E_clIPxSE_SF_SF_EESJ_SZ_SK_SL_SM_EUlSZ_E_NS1_11comp_targetILNS1_3genE3ELNS1_11target_archE908ELNS1_3gpuE7ELNS1_3repE0EEENS1_48merge_mergepath_partition_config_static_selectorELNS0_4arch9wavefront6targetE1EEEvSL_ ; -- Begin function _ZN7rocprim17ROCPRIM_400000_NS6detail17trampoline_kernelINS0_14default_configENS1_38merge_sort_block_merge_config_selectorIxNS0_10empty_typeEEEZZNS1_27merge_sort_block_merge_implIS3_N6thrust23THRUST_200600_302600_NS6detail15normal_iteratorINS9_10device_ptrIxEEEEPS5_jNS1_19radix_merge_compareILb0ELb0ExNS0_19identity_decomposerEEEEE10hipError_tT0_T1_T2_jT3_P12ihipStream_tbPNSt15iterator_traitsISK_E10value_typeEPNSQ_ISL_E10value_typeEPSM_NS1_7vsmem_tEENKUlT_SK_SL_SM_E_clIPxSE_SF_SF_EESJ_SZ_SK_SL_SM_EUlSZ_E_NS1_11comp_targetILNS1_3genE3ELNS1_11target_archE908ELNS1_3gpuE7ELNS1_3repE0EEENS1_48merge_mergepath_partition_config_static_selectorELNS0_4arch9wavefront6targetE1EEEvSL_
	.globl	_ZN7rocprim17ROCPRIM_400000_NS6detail17trampoline_kernelINS0_14default_configENS1_38merge_sort_block_merge_config_selectorIxNS0_10empty_typeEEEZZNS1_27merge_sort_block_merge_implIS3_N6thrust23THRUST_200600_302600_NS6detail15normal_iteratorINS9_10device_ptrIxEEEEPS5_jNS1_19radix_merge_compareILb0ELb0ExNS0_19identity_decomposerEEEEE10hipError_tT0_T1_T2_jT3_P12ihipStream_tbPNSt15iterator_traitsISK_E10value_typeEPNSQ_ISL_E10value_typeEPSM_NS1_7vsmem_tEENKUlT_SK_SL_SM_E_clIPxSE_SF_SF_EESJ_SZ_SK_SL_SM_EUlSZ_E_NS1_11comp_targetILNS1_3genE3ELNS1_11target_archE908ELNS1_3gpuE7ELNS1_3repE0EEENS1_48merge_mergepath_partition_config_static_selectorELNS0_4arch9wavefront6targetE1EEEvSL_
	.p2align	8
	.type	_ZN7rocprim17ROCPRIM_400000_NS6detail17trampoline_kernelINS0_14default_configENS1_38merge_sort_block_merge_config_selectorIxNS0_10empty_typeEEEZZNS1_27merge_sort_block_merge_implIS3_N6thrust23THRUST_200600_302600_NS6detail15normal_iteratorINS9_10device_ptrIxEEEEPS5_jNS1_19radix_merge_compareILb0ELb0ExNS0_19identity_decomposerEEEEE10hipError_tT0_T1_T2_jT3_P12ihipStream_tbPNSt15iterator_traitsISK_E10value_typeEPNSQ_ISL_E10value_typeEPSM_NS1_7vsmem_tEENKUlT_SK_SL_SM_E_clIPxSE_SF_SF_EESJ_SZ_SK_SL_SM_EUlSZ_E_NS1_11comp_targetILNS1_3genE3ELNS1_11target_archE908ELNS1_3gpuE7ELNS1_3repE0EEENS1_48merge_mergepath_partition_config_static_selectorELNS0_4arch9wavefront6targetE1EEEvSL_,@function
_ZN7rocprim17ROCPRIM_400000_NS6detail17trampoline_kernelINS0_14default_configENS1_38merge_sort_block_merge_config_selectorIxNS0_10empty_typeEEEZZNS1_27merge_sort_block_merge_implIS3_N6thrust23THRUST_200600_302600_NS6detail15normal_iteratorINS9_10device_ptrIxEEEEPS5_jNS1_19radix_merge_compareILb0ELb0ExNS0_19identity_decomposerEEEEE10hipError_tT0_T1_T2_jT3_P12ihipStream_tbPNSt15iterator_traitsISK_E10value_typeEPNSQ_ISL_E10value_typeEPSM_NS1_7vsmem_tEENKUlT_SK_SL_SM_E_clIPxSE_SF_SF_EESJ_SZ_SK_SL_SM_EUlSZ_E_NS1_11comp_targetILNS1_3genE3ELNS1_11target_archE908ELNS1_3gpuE7ELNS1_3repE0EEENS1_48merge_mergepath_partition_config_static_selectorELNS0_4arch9wavefront6targetE1EEEvSL_: ; @_ZN7rocprim17ROCPRIM_400000_NS6detail17trampoline_kernelINS0_14default_configENS1_38merge_sort_block_merge_config_selectorIxNS0_10empty_typeEEEZZNS1_27merge_sort_block_merge_implIS3_N6thrust23THRUST_200600_302600_NS6detail15normal_iteratorINS9_10device_ptrIxEEEEPS5_jNS1_19radix_merge_compareILb0ELb0ExNS0_19identity_decomposerEEEEE10hipError_tT0_T1_T2_jT3_P12ihipStream_tbPNSt15iterator_traitsISK_E10value_typeEPNSQ_ISL_E10value_typeEPSM_NS1_7vsmem_tEENKUlT_SK_SL_SM_E_clIPxSE_SF_SF_EESJ_SZ_SK_SL_SM_EUlSZ_E_NS1_11comp_targetILNS1_3genE3ELNS1_11target_archE908ELNS1_3gpuE7ELNS1_3repE0EEENS1_48merge_mergepath_partition_config_static_selectorELNS0_4arch9wavefront6targetE1EEEvSL_
; %bb.0:
	.section	.rodata,"a",@progbits
	.p2align	6, 0x0
	.amdhsa_kernel _ZN7rocprim17ROCPRIM_400000_NS6detail17trampoline_kernelINS0_14default_configENS1_38merge_sort_block_merge_config_selectorIxNS0_10empty_typeEEEZZNS1_27merge_sort_block_merge_implIS3_N6thrust23THRUST_200600_302600_NS6detail15normal_iteratorINS9_10device_ptrIxEEEEPS5_jNS1_19radix_merge_compareILb0ELb0ExNS0_19identity_decomposerEEEEE10hipError_tT0_T1_T2_jT3_P12ihipStream_tbPNSt15iterator_traitsISK_E10value_typeEPNSQ_ISL_E10value_typeEPSM_NS1_7vsmem_tEENKUlT_SK_SL_SM_E_clIPxSE_SF_SF_EESJ_SZ_SK_SL_SM_EUlSZ_E_NS1_11comp_targetILNS1_3genE3ELNS1_11target_archE908ELNS1_3gpuE7ELNS1_3repE0EEENS1_48merge_mergepath_partition_config_static_selectorELNS0_4arch9wavefront6targetE1EEEvSL_
		.amdhsa_group_segment_fixed_size 0
		.amdhsa_private_segment_fixed_size 0
		.amdhsa_kernarg_size 40
		.amdhsa_user_sgpr_count 6
		.amdhsa_user_sgpr_private_segment_buffer 1
		.amdhsa_user_sgpr_dispatch_ptr 0
		.amdhsa_user_sgpr_queue_ptr 0
		.amdhsa_user_sgpr_kernarg_segment_ptr 1
		.amdhsa_user_sgpr_dispatch_id 0
		.amdhsa_user_sgpr_flat_scratch_init 0
		.amdhsa_user_sgpr_kernarg_preload_length 0
		.amdhsa_user_sgpr_kernarg_preload_offset 0
		.amdhsa_user_sgpr_private_segment_size 0
		.amdhsa_uses_dynamic_stack 0
		.amdhsa_system_sgpr_private_segment_wavefront_offset 0
		.amdhsa_system_sgpr_workgroup_id_x 1
		.amdhsa_system_sgpr_workgroup_id_y 0
		.amdhsa_system_sgpr_workgroup_id_z 0
		.amdhsa_system_sgpr_workgroup_info 0
		.amdhsa_system_vgpr_workitem_id 0
		.amdhsa_next_free_vgpr 1
		.amdhsa_next_free_sgpr 0
		.amdhsa_accum_offset 4
		.amdhsa_reserve_vcc 0
		.amdhsa_reserve_flat_scratch 0
		.amdhsa_float_round_mode_32 0
		.amdhsa_float_round_mode_16_64 0
		.amdhsa_float_denorm_mode_32 3
		.amdhsa_float_denorm_mode_16_64 3
		.amdhsa_dx10_clamp 1
		.amdhsa_ieee_mode 1
		.amdhsa_fp16_overflow 0
		.amdhsa_tg_split 0
		.amdhsa_exception_fp_ieee_invalid_op 0
		.amdhsa_exception_fp_denorm_src 0
		.amdhsa_exception_fp_ieee_div_zero 0
		.amdhsa_exception_fp_ieee_overflow 0
		.amdhsa_exception_fp_ieee_underflow 0
		.amdhsa_exception_fp_ieee_inexact 0
		.amdhsa_exception_int_div_zero 0
	.end_amdhsa_kernel
	.section	.text._ZN7rocprim17ROCPRIM_400000_NS6detail17trampoline_kernelINS0_14default_configENS1_38merge_sort_block_merge_config_selectorIxNS0_10empty_typeEEEZZNS1_27merge_sort_block_merge_implIS3_N6thrust23THRUST_200600_302600_NS6detail15normal_iteratorINS9_10device_ptrIxEEEEPS5_jNS1_19radix_merge_compareILb0ELb0ExNS0_19identity_decomposerEEEEE10hipError_tT0_T1_T2_jT3_P12ihipStream_tbPNSt15iterator_traitsISK_E10value_typeEPNSQ_ISL_E10value_typeEPSM_NS1_7vsmem_tEENKUlT_SK_SL_SM_E_clIPxSE_SF_SF_EESJ_SZ_SK_SL_SM_EUlSZ_E_NS1_11comp_targetILNS1_3genE3ELNS1_11target_archE908ELNS1_3gpuE7ELNS1_3repE0EEENS1_48merge_mergepath_partition_config_static_selectorELNS0_4arch9wavefront6targetE1EEEvSL_,"axG",@progbits,_ZN7rocprim17ROCPRIM_400000_NS6detail17trampoline_kernelINS0_14default_configENS1_38merge_sort_block_merge_config_selectorIxNS0_10empty_typeEEEZZNS1_27merge_sort_block_merge_implIS3_N6thrust23THRUST_200600_302600_NS6detail15normal_iteratorINS9_10device_ptrIxEEEEPS5_jNS1_19radix_merge_compareILb0ELb0ExNS0_19identity_decomposerEEEEE10hipError_tT0_T1_T2_jT3_P12ihipStream_tbPNSt15iterator_traitsISK_E10value_typeEPNSQ_ISL_E10value_typeEPSM_NS1_7vsmem_tEENKUlT_SK_SL_SM_E_clIPxSE_SF_SF_EESJ_SZ_SK_SL_SM_EUlSZ_E_NS1_11comp_targetILNS1_3genE3ELNS1_11target_archE908ELNS1_3gpuE7ELNS1_3repE0EEENS1_48merge_mergepath_partition_config_static_selectorELNS0_4arch9wavefront6targetE1EEEvSL_,comdat
.Lfunc_end1414:
	.size	_ZN7rocprim17ROCPRIM_400000_NS6detail17trampoline_kernelINS0_14default_configENS1_38merge_sort_block_merge_config_selectorIxNS0_10empty_typeEEEZZNS1_27merge_sort_block_merge_implIS3_N6thrust23THRUST_200600_302600_NS6detail15normal_iteratorINS9_10device_ptrIxEEEEPS5_jNS1_19radix_merge_compareILb0ELb0ExNS0_19identity_decomposerEEEEE10hipError_tT0_T1_T2_jT3_P12ihipStream_tbPNSt15iterator_traitsISK_E10value_typeEPNSQ_ISL_E10value_typeEPSM_NS1_7vsmem_tEENKUlT_SK_SL_SM_E_clIPxSE_SF_SF_EESJ_SZ_SK_SL_SM_EUlSZ_E_NS1_11comp_targetILNS1_3genE3ELNS1_11target_archE908ELNS1_3gpuE7ELNS1_3repE0EEENS1_48merge_mergepath_partition_config_static_selectorELNS0_4arch9wavefront6targetE1EEEvSL_, .Lfunc_end1414-_ZN7rocprim17ROCPRIM_400000_NS6detail17trampoline_kernelINS0_14default_configENS1_38merge_sort_block_merge_config_selectorIxNS0_10empty_typeEEEZZNS1_27merge_sort_block_merge_implIS3_N6thrust23THRUST_200600_302600_NS6detail15normal_iteratorINS9_10device_ptrIxEEEEPS5_jNS1_19radix_merge_compareILb0ELb0ExNS0_19identity_decomposerEEEEE10hipError_tT0_T1_T2_jT3_P12ihipStream_tbPNSt15iterator_traitsISK_E10value_typeEPNSQ_ISL_E10value_typeEPSM_NS1_7vsmem_tEENKUlT_SK_SL_SM_E_clIPxSE_SF_SF_EESJ_SZ_SK_SL_SM_EUlSZ_E_NS1_11comp_targetILNS1_3genE3ELNS1_11target_archE908ELNS1_3gpuE7ELNS1_3repE0EEENS1_48merge_mergepath_partition_config_static_selectorELNS0_4arch9wavefront6targetE1EEEvSL_
                                        ; -- End function
	.section	.AMDGPU.csdata,"",@progbits
; Kernel info:
; codeLenInByte = 0
; NumSgprs: 4
; NumVgprs: 0
; NumAgprs: 0
; TotalNumVgprs: 0
; ScratchSize: 0
; MemoryBound: 0
; FloatMode: 240
; IeeeMode: 1
; LDSByteSize: 0 bytes/workgroup (compile time only)
; SGPRBlocks: 0
; VGPRBlocks: 0
; NumSGPRsForWavesPerEU: 4
; NumVGPRsForWavesPerEU: 1
; AccumOffset: 4
; Occupancy: 8
; WaveLimiterHint : 0
; COMPUTE_PGM_RSRC2:SCRATCH_EN: 0
; COMPUTE_PGM_RSRC2:USER_SGPR: 6
; COMPUTE_PGM_RSRC2:TRAP_HANDLER: 0
; COMPUTE_PGM_RSRC2:TGID_X_EN: 1
; COMPUTE_PGM_RSRC2:TGID_Y_EN: 0
; COMPUTE_PGM_RSRC2:TGID_Z_EN: 0
; COMPUTE_PGM_RSRC2:TIDIG_COMP_CNT: 0
; COMPUTE_PGM_RSRC3_GFX90A:ACCUM_OFFSET: 0
; COMPUTE_PGM_RSRC3_GFX90A:TG_SPLIT: 0
	.section	.text._ZN7rocprim17ROCPRIM_400000_NS6detail17trampoline_kernelINS0_14default_configENS1_38merge_sort_block_merge_config_selectorIxNS0_10empty_typeEEEZZNS1_27merge_sort_block_merge_implIS3_N6thrust23THRUST_200600_302600_NS6detail15normal_iteratorINS9_10device_ptrIxEEEEPS5_jNS1_19radix_merge_compareILb0ELb0ExNS0_19identity_decomposerEEEEE10hipError_tT0_T1_T2_jT3_P12ihipStream_tbPNSt15iterator_traitsISK_E10value_typeEPNSQ_ISL_E10value_typeEPSM_NS1_7vsmem_tEENKUlT_SK_SL_SM_E_clIPxSE_SF_SF_EESJ_SZ_SK_SL_SM_EUlSZ_E_NS1_11comp_targetILNS1_3genE2ELNS1_11target_archE906ELNS1_3gpuE6ELNS1_3repE0EEENS1_48merge_mergepath_partition_config_static_selectorELNS0_4arch9wavefront6targetE1EEEvSL_,"axG",@progbits,_ZN7rocprim17ROCPRIM_400000_NS6detail17trampoline_kernelINS0_14default_configENS1_38merge_sort_block_merge_config_selectorIxNS0_10empty_typeEEEZZNS1_27merge_sort_block_merge_implIS3_N6thrust23THRUST_200600_302600_NS6detail15normal_iteratorINS9_10device_ptrIxEEEEPS5_jNS1_19radix_merge_compareILb0ELb0ExNS0_19identity_decomposerEEEEE10hipError_tT0_T1_T2_jT3_P12ihipStream_tbPNSt15iterator_traitsISK_E10value_typeEPNSQ_ISL_E10value_typeEPSM_NS1_7vsmem_tEENKUlT_SK_SL_SM_E_clIPxSE_SF_SF_EESJ_SZ_SK_SL_SM_EUlSZ_E_NS1_11comp_targetILNS1_3genE2ELNS1_11target_archE906ELNS1_3gpuE6ELNS1_3repE0EEENS1_48merge_mergepath_partition_config_static_selectorELNS0_4arch9wavefront6targetE1EEEvSL_,comdat
	.protected	_ZN7rocprim17ROCPRIM_400000_NS6detail17trampoline_kernelINS0_14default_configENS1_38merge_sort_block_merge_config_selectorIxNS0_10empty_typeEEEZZNS1_27merge_sort_block_merge_implIS3_N6thrust23THRUST_200600_302600_NS6detail15normal_iteratorINS9_10device_ptrIxEEEEPS5_jNS1_19radix_merge_compareILb0ELb0ExNS0_19identity_decomposerEEEEE10hipError_tT0_T1_T2_jT3_P12ihipStream_tbPNSt15iterator_traitsISK_E10value_typeEPNSQ_ISL_E10value_typeEPSM_NS1_7vsmem_tEENKUlT_SK_SL_SM_E_clIPxSE_SF_SF_EESJ_SZ_SK_SL_SM_EUlSZ_E_NS1_11comp_targetILNS1_3genE2ELNS1_11target_archE906ELNS1_3gpuE6ELNS1_3repE0EEENS1_48merge_mergepath_partition_config_static_selectorELNS0_4arch9wavefront6targetE1EEEvSL_ ; -- Begin function _ZN7rocprim17ROCPRIM_400000_NS6detail17trampoline_kernelINS0_14default_configENS1_38merge_sort_block_merge_config_selectorIxNS0_10empty_typeEEEZZNS1_27merge_sort_block_merge_implIS3_N6thrust23THRUST_200600_302600_NS6detail15normal_iteratorINS9_10device_ptrIxEEEEPS5_jNS1_19radix_merge_compareILb0ELb0ExNS0_19identity_decomposerEEEEE10hipError_tT0_T1_T2_jT3_P12ihipStream_tbPNSt15iterator_traitsISK_E10value_typeEPNSQ_ISL_E10value_typeEPSM_NS1_7vsmem_tEENKUlT_SK_SL_SM_E_clIPxSE_SF_SF_EESJ_SZ_SK_SL_SM_EUlSZ_E_NS1_11comp_targetILNS1_3genE2ELNS1_11target_archE906ELNS1_3gpuE6ELNS1_3repE0EEENS1_48merge_mergepath_partition_config_static_selectorELNS0_4arch9wavefront6targetE1EEEvSL_
	.globl	_ZN7rocprim17ROCPRIM_400000_NS6detail17trampoline_kernelINS0_14default_configENS1_38merge_sort_block_merge_config_selectorIxNS0_10empty_typeEEEZZNS1_27merge_sort_block_merge_implIS3_N6thrust23THRUST_200600_302600_NS6detail15normal_iteratorINS9_10device_ptrIxEEEEPS5_jNS1_19radix_merge_compareILb0ELb0ExNS0_19identity_decomposerEEEEE10hipError_tT0_T1_T2_jT3_P12ihipStream_tbPNSt15iterator_traitsISK_E10value_typeEPNSQ_ISL_E10value_typeEPSM_NS1_7vsmem_tEENKUlT_SK_SL_SM_E_clIPxSE_SF_SF_EESJ_SZ_SK_SL_SM_EUlSZ_E_NS1_11comp_targetILNS1_3genE2ELNS1_11target_archE906ELNS1_3gpuE6ELNS1_3repE0EEENS1_48merge_mergepath_partition_config_static_selectorELNS0_4arch9wavefront6targetE1EEEvSL_
	.p2align	8
	.type	_ZN7rocprim17ROCPRIM_400000_NS6detail17trampoline_kernelINS0_14default_configENS1_38merge_sort_block_merge_config_selectorIxNS0_10empty_typeEEEZZNS1_27merge_sort_block_merge_implIS3_N6thrust23THRUST_200600_302600_NS6detail15normal_iteratorINS9_10device_ptrIxEEEEPS5_jNS1_19radix_merge_compareILb0ELb0ExNS0_19identity_decomposerEEEEE10hipError_tT0_T1_T2_jT3_P12ihipStream_tbPNSt15iterator_traitsISK_E10value_typeEPNSQ_ISL_E10value_typeEPSM_NS1_7vsmem_tEENKUlT_SK_SL_SM_E_clIPxSE_SF_SF_EESJ_SZ_SK_SL_SM_EUlSZ_E_NS1_11comp_targetILNS1_3genE2ELNS1_11target_archE906ELNS1_3gpuE6ELNS1_3repE0EEENS1_48merge_mergepath_partition_config_static_selectorELNS0_4arch9wavefront6targetE1EEEvSL_,@function
_ZN7rocprim17ROCPRIM_400000_NS6detail17trampoline_kernelINS0_14default_configENS1_38merge_sort_block_merge_config_selectorIxNS0_10empty_typeEEEZZNS1_27merge_sort_block_merge_implIS3_N6thrust23THRUST_200600_302600_NS6detail15normal_iteratorINS9_10device_ptrIxEEEEPS5_jNS1_19radix_merge_compareILb0ELb0ExNS0_19identity_decomposerEEEEE10hipError_tT0_T1_T2_jT3_P12ihipStream_tbPNSt15iterator_traitsISK_E10value_typeEPNSQ_ISL_E10value_typeEPSM_NS1_7vsmem_tEENKUlT_SK_SL_SM_E_clIPxSE_SF_SF_EESJ_SZ_SK_SL_SM_EUlSZ_E_NS1_11comp_targetILNS1_3genE2ELNS1_11target_archE906ELNS1_3gpuE6ELNS1_3repE0EEENS1_48merge_mergepath_partition_config_static_selectorELNS0_4arch9wavefront6targetE1EEEvSL_: ; @_ZN7rocprim17ROCPRIM_400000_NS6detail17trampoline_kernelINS0_14default_configENS1_38merge_sort_block_merge_config_selectorIxNS0_10empty_typeEEEZZNS1_27merge_sort_block_merge_implIS3_N6thrust23THRUST_200600_302600_NS6detail15normal_iteratorINS9_10device_ptrIxEEEEPS5_jNS1_19radix_merge_compareILb0ELb0ExNS0_19identity_decomposerEEEEE10hipError_tT0_T1_T2_jT3_P12ihipStream_tbPNSt15iterator_traitsISK_E10value_typeEPNSQ_ISL_E10value_typeEPSM_NS1_7vsmem_tEENKUlT_SK_SL_SM_E_clIPxSE_SF_SF_EESJ_SZ_SK_SL_SM_EUlSZ_E_NS1_11comp_targetILNS1_3genE2ELNS1_11target_archE906ELNS1_3gpuE6ELNS1_3repE0EEENS1_48merge_mergepath_partition_config_static_selectorELNS0_4arch9wavefront6targetE1EEEvSL_
; %bb.0:
	.section	.rodata,"a",@progbits
	.p2align	6, 0x0
	.amdhsa_kernel _ZN7rocprim17ROCPRIM_400000_NS6detail17trampoline_kernelINS0_14default_configENS1_38merge_sort_block_merge_config_selectorIxNS0_10empty_typeEEEZZNS1_27merge_sort_block_merge_implIS3_N6thrust23THRUST_200600_302600_NS6detail15normal_iteratorINS9_10device_ptrIxEEEEPS5_jNS1_19radix_merge_compareILb0ELb0ExNS0_19identity_decomposerEEEEE10hipError_tT0_T1_T2_jT3_P12ihipStream_tbPNSt15iterator_traitsISK_E10value_typeEPNSQ_ISL_E10value_typeEPSM_NS1_7vsmem_tEENKUlT_SK_SL_SM_E_clIPxSE_SF_SF_EESJ_SZ_SK_SL_SM_EUlSZ_E_NS1_11comp_targetILNS1_3genE2ELNS1_11target_archE906ELNS1_3gpuE6ELNS1_3repE0EEENS1_48merge_mergepath_partition_config_static_selectorELNS0_4arch9wavefront6targetE1EEEvSL_
		.amdhsa_group_segment_fixed_size 0
		.amdhsa_private_segment_fixed_size 0
		.amdhsa_kernarg_size 40
		.amdhsa_user_sgpr_count 6
		.amdhsa_user_sgpr_private_segment_buffer 1
		.amdhsa_user_sgpr_dispatch_ptr 0
		.amdhsa_user_sgpr_queue_ptr 0
		.amdhsa_user_sgpr_kernarg_segment_ptr 1
		.amdhsa_user_sgpr_dispatch_id 0
		.amdhsa_user_sgpr_flat_scratch_init 0
		.amdhsa_user_sgpr_kernarg_preload_length 0
		.amdhsa_user_sgpr_kernarg_preload_offset 0
		.amdhsa_user_sgpr_private_segment_size 0
		.amdhsa_uses_dynamic_stack 0
		.amdhsa_system_sgpr_private_segment_wavefront_offset 0
		.amdhsa_system_sgpr_workgroup_id_x 1
		.amdhsa_system_sgpr_workgroup_id_y 0
		.amdhsa_system_sgpr_workgroup_id_z 0
		.amdhsa_system_sgpr_workgroup_info 0
		.amdhsa_system_vgpr_workitem_id 0
		.amdhsa_next_free_vgpr 1
		.amdhsa_next_free_sgpr 0
		.amdhsa_accum_offset 4
		.amdhsa_reserve_vcc 0
		.amdhsa_reserve_flat_scratch 0
		.amdhsa_float_round_mode_32 0
		.amdhsa_float_round_mode_16_64 0
		.amdhsa_float_denorm_mode_32 3
		.amdhsa_float_denorm_mode_16_64 3
		.amdhsa_dx10_clamp 1
		.amdhsa_ieee_mode 1
		.amdhsa_fp16_overflow 0
		.amdhsa_tg_split 0
		.amdhsa_exception_fp_ieee_invalid_op 0
		.amdhsa_exception_fp_denorm_src 0
		.amdhsa_exception_fp_ieee_div_zero 0
		.amdhsa_exception_fp_ieee_overflow 0
		.amdhsa_exception_fp_ieee_underflow 0
		.amdhsa_exception_fp_ieee_inexact 0
		.amdhsa_exception_int_div_zero 0
	.end_amdhsa_kernel
	.section	.text._ZN7rocprim17ROCPRIM_400000_NS6detail17trampoline_kernelINS0_14default_configENS1_38merge_sort_block_merge_config_selectorIxNS0_10empty_typeEEEZZNS1_27merge_sort_block_merge_implIS3_N6thrust23THRUST_200600_302600_NS6detail15normal_iteratorINS9_10device_ptrIxEEEEPS5_jNS1_19radix_merge_compareILb0ELb0ExNS0_19identity_decomposerEEEEE10hipError_tT0_T1_T2_jT3_P12ihipStream_tbPNSt15iterator_traitsISK_E10value_typeEPNSQ_ISL_E10value_typeEPSM_NS1_7vsmem_tEENKUlT_SK_SL_SM_E_clIPxSE_SF_SF_EESJ_SZ_SK_SL_SM_EUlSZ_E_NS1_11comp_targetILNS1_3genE2ELNS1_11target_archE906ELNS1_3gpuE6ELNS1_3repE0EEENS1_48merge_mergepath_partition_config_static_selectorELNS0_4arch9wavefront6targetE1EEEvSL_,"axG",@progbits,_ZN7rocprim17ROCPRIM_400000_NS6detail17trampoline_kernelINS0_14default_configENS1_38merge_sort_block_merge_config_selectorIxNS0_10empty_typeEEEZZNS1_27merge_sort_block_merge_implIS3_N6thrust23THRUST_200600_302600_NS6detail15normal_iteratorINS9_10device_ptrIxEEEEPS5_jNS1_19radix_merge_compareILb0ELb0ExNS0_19identity_decomposerEEEEE10hipError_tT0_T1_T2_jT3_P12ihipStream_tbPNSt15iterator_traitsISK_E10value_typeEPNSQ_ISL_E10value_typeEPSM_NS1_7vsmem_tEENKUlT_SK_SL_SM_E_clIPxSE_SF_SF_EESJ_SZ_SK_SL_SM_EUlSZ_E_NS1_11comp_targetILNS1_3genE2ELNS1_11target_archE906ELNS1_3gpuE6ELNS1_3repE0EEENS1_48merge_mergepath_partition_config_static_selectorELNS0_4arch9wavefront6targetE1EEEvSL_,comdat
.Lfunc_end1415:
	.size	_ZN7rocprim17ROCPRIM_400000_NS6detail17trampoline_kernelINS0_14default_configENS1_38merge_sort_block_merge_config_selectorIxNS0_10empty_typeEEEZZNS1_27merge_sort_block_merge_implIS3_N6thrust23THRUST_200600_302600_NS6detail15normal_iteratorINS9_10device_ptrIxEEEEPS5_jNS1_19radix_merge_compareILb0ELb0ExNS0_19identity_decomposerEEEEE10hipError_tT0_T1_T2_jT3_P12ihipStream_tbPNSt15iterator_traitsISK_E10value_typeEPNSQ_ISL_E10value_typeEPSM_NS1_7vsmem_tEENKUlT_SK_SL_SM_E_clIPxSE_SF_SF_EESJ_SZ_SK_SL_SM_EUlSZ_E_NS1_11comp_targetILNS1_3genE2ELNS1_11target_archE906ELNS1_3gpuE6ELNS1_3repE0EEENS1_48merge_mergepath_partition_config_static_selectorELNS0_4arch9wavefront6targetE1EEEvSL_, .Lfunc_end1415-_ZN7rocprim17ROCPRIM_400000_NS6detail17trampoline_kernelINS0_14default_configENS1_38merge_sort_block_merge_config_selectorIxNS0_10empty_typeEEEZZNS1_27merge_sort_block_merge_implIS3_N6thrust23THRUST_200600_302600_NS6detail15normal_iteratorINS9_10device_ptrIxEEEEPS5_jNS1_19radix_merge_compareILb0ELb0ExNS0_19identity_decomposerEEEEE10hipError_tT0_T1_T2_jT3_P12ihipStream_tbPNSt15iterator_traitsISK_E10value_typeEPNSQ_ISL_E10value_typeEPSM_NS1_7vsmem_tEENKUlT_SK_SL_SM_E_clIPxSE_SF_SF_EESJ_SZ_SK_SL_SM_EUlSZ_E_NS1_11comp_targetILNS1_3genE2ELNS1_11target_archE906ELNS1_3gpuE6ELNS1_3repE0EEENS1_48merge_mergepath_partition_config_static_selectorELNS0_4arch9wavefront6targetE1EEEvSL_
                                        ; -- End function
	.section	.AMDGPU.csdata,"",@progbits
; Kernel info:
; codeLenInByte = 0
; NumSgprs: 4
; NumVgprs: 0
; NumAgprs: 0
; TotalNumVgprs: 0
; ScratchSize: 0
; MemoryBound: 0
; FloatMode: 240
; IeeeMode: 1
; LDSByteSize: 0 bytes/workgroup (compile time only)
; SGPRBlocks: 0
; VGPRBlocks: 0
; NumSGPRsForWavesPerEU: 4
; NumVGPRsForWavesPerEU: 1
; AccumOffset: 4
; Occupancy: 8
; WaveLimiterHint : 0
; COMPUTE_PGM_RSRC2:SCRATCH_EN: 0
; COMPUTE_PGM_RSRC2:USER_SGPR: 6
; COMPUTE_PGM_RSRC2:TRAP_HANDLER: 0
; COMPUTE_PGM_RSRC2:TGID_X_EN: 1
; COMPUTE_PGM_RSRC2:TGID_Y_EN: 0
; COMPUTE_PGM_RSRC2:TGID_Z_EN: 0
; COMPUTE_PGM_RSRC2:TIDIG_COMP_CNT: 0
; COMPUTE_PGM_RSRC3_GFX90A:ACCUM_OFFSET: 0
; COMPUTE_PGM_RSRC3_GFX90A:TG_SPLIT: 0
	.section	.text._ZN7rocprim17ROCPRIM_400000_NS6detail17trampoline_kernelINS0_14default_configENS1_38merge_sort_block_merge_config_selectorIxNS0_10empty_typeEEEZZNS1_27merge_sort_block_merge_implIS3_N6thrust23THRUST_200600_302600_NS6detail15normal_iteratorINS9_10device_ptrIxEEEEPS5_jNS1_19radix_merge_compareILb0ELb0ExNS0_19identity_decomposerEEEEE10hipError_tT0_T1_T2_jT3_P12ihipStream_tbPNSt15iterator_traitsISK_E10value_typeEPNSQ_ISL_E10value_typeEPSM_NS1_7vsmem_tEENKUlT_SK_SL_SM_E_clIPxSE_SF_SF_EESJ_SZ_SK_SL_SM_EUlSZ_E_NS1_11comp_targetILNS1_3genE9ELNS1_11target_archE1100ELNS1_3gpuE3ELNS1_3repE0EEENS1_48merge_mergepath_partition_config_static_selectorELNS0_4arch9wavefront6targetE1EEEvSL_,"axG",@progbits,_ZN7rocprim17ROCPRIM_400000_NS6detail17trampoline_kernelINS0_14default_configENS1_38merge_sort_block_merge_config_selectorIxNS0_10empty_typeEEEZZNS1_27merge_sort_block_merge_implIS3_N6thrust23THRUST_200600_302600_NS6detail15normal_iteratorINS9_10device_ptrIxEEEEPS5_jNS1_19radix_merge_compareILb0ELb0ExNS0_19identity_decomposerEEEEE10hipError_tT0_T1_T2_jT3_P12ihipStream_tbPNSt15iterator_traitsISK_E10value_typeEPNSQ_ISL_E10value_typeEPSM_NS1_7vsmem_tEENKUlT_SK_SL_SM_E_clIPxSE_SF_SF_EESJ_SZ_SK_SL_SM_EUlSZ_E_NS1_11comp_targetILNS1_3genE9ELNS1_11target_archE1100ELNS1_3gpuE3ELNS1_3repE0EEENS1_48merge_mergepath_partition_config_static_selectorELNS0_4arch9wavefront6targetE1EEEvSL_,comdat
	.protected	_ZN7rocprim17ROCPRIM_400000_NS6detail17trampoline_kernelINS0_14default_configENS1_38merge_sort_block_merge_config_selectorIxNS0_10empty_typeEEEZZNS1_27merge_sort_block_merge_implIS3_N6thrust23THRUST_200600_302600_NS6detail15normal_iteratorINS9_10device_ptrIxEEEEPS5_jNS1_19radix_merge_compareILb0ELb0ExNS0_19identity_decomposerEEEEE10hipError_tT0_T1_T2_jT3_P12ihipStream_tbPNSt15iterator_traitsISK_E10value_typeEPNSQ_ISL_E10value_typeEPSM_NS1_7vsmem_tEENKUlT_SK_SL_SM_E_clIPxSE_SF_SF_EESJ_SZ_SK_SL_SM_EUlSZ_E_NS1_11comp_targetILNS1_3genE9ELNS1_11target_archE1100ELNS1_3gpuE3ELNS1_3repE0EEENS1_48merge_mergepath_partition_config_static_selectorELNS0_4arch9wavefront6targetE1EEEvSL_ ; -- Begin function _ZN7rocprim17ROCPRIM_400000_NS6detail17trampoline_kernelINS0_14default_configENS1_38merge_sort_block_merge_config_selectorIxNS0_10empty_typeEEEZZNS1_27merge_sort_block_merge_implIS3_N6thrust23THRUST_200600_302600_NS6detail15normal_iteratorINS9_10device_ptrIxEEEEPS5_jNS1_19radix_merge_compareILb0ELb0ExNS0_19identity_decomposerEEEEE10hipError_tT0_T1_T2_jT3_P12ihipStream_tbPNSt15iterator_traitsISK_E10value_typeEPNSQ_ISL_E10value_typeEPSM_NS1_7vsmem_tEENKUlT_SK_SL_SM_E_clIPxSE_SF_SF_EESJ_SZ_SK_SL_SM_EUlSZ_E_NS1_11comp_targetILNS1_3genE9ELNS1_11target_archE1100ELNS1_3gpuE3ELNS1_3repE0EEENS1_48merge_mergepath_partition_config_static_selectorELNS0_4arch9wavefront6targetE1EEEvSL_
	.globl	_ZN7rocprim17ROCPRIM_400000_NS6detail17trampoline_kernelINS0_14default_configENS1_38merge_sort_block_merge_config_selectorIxNS0_10empty_typeEEEZZNS1_27merge_sort_block_merge_implIS3_N6thrust23THRUST_200600_302600_NS6detail15normal_iteratorINS9_10device_ptrIxEEEEPS5_jNS1_19radix_merge_compareILb0ELb0ExNS0_19identity_decomposerEEEEE10hipError_tT0_T1_T2_jT3_P12ihipStream_tbPNSt15iterator_traitsISK_E10value_typeEPNSQ_ISL_E10value_typeEPSM_NS1_7vsmem_tEENKUlT_SK_SL_SM_E_clIPxSE_SF_SF_EESJ_SZ_SK_SL_SM_EUlSZ_E_NS1_11comp_targetILNS1_3genE9ELNS1_11target_archE1100ELNS1_3gpuE3ELNS1_3repE0EEENS1_48merge_mergepath_partition_config_static_selectorELNS0_4arch9wavefront6targetE1EEEvSL_
	.p2align	8
	.type	_ZN7rocprim17ROCPRIM_400000_NS6detail17trampoline_kernelINS0_14default_configENS1_38merge_sort_block_merge_config_selectorIxNS0_10empty_typeEEEZZNS1_27merge_sort_block_merge_implIS3_N6thrust23THRUST_200600_302600_NS6detail15normal_iteratorINS9_10device_ptrIxEEEEPS5_jNS1_19radix_merge_compareILb0ELb0ExNS0_19identity_decomposerEEEEE10hipError_tT0_T1_T2_jT3_P12ihipStream_tbPNSt15iterator_traitsISK_E10value_typeEPNSQ_ISL_E10value_typeEPSM_NS1_7vsmem_tEENKUlT_SK_SL_SM_E_clIPxSE_SF_SF_EESJ_SZ_SK_SL_SM_EUlSZ_E_NS1_11comp_targetILNS1_3genE9ELNS1_11target_archE1100ELNS1_3gpuE3ELNS1_3repE0EEENS1_48merge_mergepath_partition_config_static_selectorELNS0_4arch9wavefront6targetE1EEEvSL_,@function
_ZN7rocprim17ROCPRIM_400000_NS6detail17trampoline_kernelINS0_14default_configENS1_38merge_sort_block_merge_config_selectorIxNS0_10empty_typeEEEZZNS1_27merge_sort_block_merge_implIS3_N6thrust23THRUST_200600_302600_NS6detail15normal_iteratorINS9_10device_ptrIxEEEEPS5_jNS1_19radix_merge_compareILb0ELb0ExNS0_19identity_decomposerEEEEE10hipError_tT0_T1_T2_jT3_P12ihipStream_tbPNSt15iterator_traitsISK_E10value_typeEPNSQ_ISL_E10value_typeEPSM_NS1_7vsmem_tEENKUlT_SK_SL_SM_E_clIPxSE_SF_SF_EESJ_SZ_SK_SL_SM_EUlSZ_E_NS1_11comp_targetILNS1_3genE9ELNS1_11target_archE1100ELNS1_3gpuE3ELNS1_3repE0EEENS1_48merge_mergepath_partition_config_static_selectorELNS0_4arch9wavefront6targetE1EEEvSL_: ; @_ZN7rocprim17ROCPRIM_400000_NS6detail17trampoline_kernelINS0_14default_configENS1_38merge_sort_block_merge_config_selectorIxNS0_10empty_typeEEEZZNS1_27merge_sort_block_merge_implIS3_N6thrust23THRUST_200600_302600_NS6detail15normal_iteratorINS9_10device_ptrIxEEEEPS5_jNS1_19radix_merge_compareILb0ELb0ExNS0_19identity_decomposerEEEEE10hipError_tT0_T1_T2_jT3_P12ihipStream_tbPNSt15iterator_traitsISK_E10value_typeEPNSQ_ISL_E10value_typeEPSM_NS1_7vsmem_tEENKUlT_SK_SL_SM_E_clIPxSE_SF_SF_EESJ_SZ_SK_SL_SM_EUlSZ_E_NS1_11comp_targetILNS1_3genE9ELNS1_11target_archE1100ELNS1_3gpuE3ELNS1_3repE0EEENS1_48merge_mergepath_partition_config_static_selectorELNS0_4arch9wavefront6targetE1EEEvSL_
; %bb.0:
	.section	.rodata,"a",@progbits
	.p2align	6, 0x0
	.amdhsa_kernel _ZN7rocprim17ROCPRIM_400000_NS6detail17trampoline_kernelINS0_14default_configENS1_38merge_sort_block_merge_config_selectorIxNS0_10empty_typeEEEZZNS1_27merge_sort_block_merge_implIS3_N6thrust23THRUST_200600_302600_NS6detail15normal_iteratorINS9_10device_ptrIxEEEEPS5_jNS1_19radix_merge_compareILb0ELb0ExNS0_19identity_decomposerEEEEE10hipError_tT0_T1_T2_jT3_P12ihipStream_tbPNSt15iterator_traitsISK_E10value_typeEPNSQ_ISL_E10value_typeEPSM_NS1_7vsmem_tEENKUlT_SK_SL_SM_E_clIPxSE_SF_SF_EESJ_SZ_SK_SL_SM_EUlSZ_E_NS1_11comp_targetILNS1_3genE9ELNS1_11target_archE1100ELNS1_3gpuE3ELNS1_3repE0EEENS1_48merge_mergepath_partition_config_static_selectorELNS0_4arch9wavefront6targetE1EEEvSL_
		.amdhsa_group_segment_fixed_size 0
		.amdhsa_private_segment_fixed_size 0
		.amdhsa_kernarg_size 40
		.amdhsa_user_sgpr_count 6
		.amdhsa_user_sgpr_private_segment_buffer 1
		.amdhsa_user_sgpr_dispatch_ptr 0
		.amdhsa_user_sgpr_queue_ptr 0
		.amdhsa_user_sgpr_kernarg_segment_ptr 1
		.amdhsa_user_sgpr_dispatch_id 0
		.amdhsa_user_sgpr_flat_scratch_init 0
		.amdhsa_user_sgpr_kernarg_preload_length 0
		.amdhsa_user_sgpr_kernarg_preload_offset 0
		.amdhsa_user_sgpr_private_segment_size 0
		.amdhsa_uses_dynamic_stack 0
		.amdhsa_system_sgpr_private_segment_wavefront_offset 0
		.amdhsa_system_sgpr_workgroup_id_x 1
		.amdhsa_system_sgpr_workgroup_id_y 0
		.amdhsa_system_sgpr_workgroup_id_z 0
		.amdhsa_system_sgpr_workgroup_info 0
		.amdhsa_system_vgpr_workitem_id 0
		.amdhsa_next_free_vgpr 1
		.amdhsa_next_free_sgpr 0
		.amdhsa_accum_offset 4
		.amdhsa_reserve_vcc 0
		.amdhsa_reserve_flat_scratch 0
		.amdhsa_float_round_mode_32 0
		.amdhsa_float_round_mode_16_64 0
		.amdhsa_float_denorm_mode_32 3
		.amdhsa_float_denorm_mode_16_64 3
		.amdhsa_dx10_clamp 1
		.amdhsa_ieee_mode 1
		.amdhsa_fp16_overflow 0
		.amdhsa_tg_split 0
		.amdhsa_exception_fp_ieee_invalid_op 0
		.amdhsa_exception_fp_denorm_src 0
		.amdhsa_exception_fp_ieee_div_zero 0
		.amdhsa_exception_fp_ieee_overflow 0
		.amdhsa_exception_fp_ieee_underflow 0
		.amdhsa_exception_fp_ieee_inexact 0
		.amdhsa_exception_int_div_zero 0
	.end_amdhsa_kernel
	.section	.text._ZN7rocprim17ROCPRIM_400000_NS6detail17trampoline_kernelINS0_14default_configENS1_38merge_sort_block_merge_config_selectorIxNS0_10empty_typeEEEZZNS1_27merge_sort_block_merge_implIS3_N6thrust23THRUST_200600_302600_NS6detail15normal_iteratorINS9_10device_ptrIxEEEEPS5_jNS1_19radix_merge_compareILb0ELb0ExNS0_19identity_decomposerEEEEE10hipError_tT0_T1_T2_jT3_P12ihipStream_tbPNSt15iterator_traitsISK_E10value_typeEPNSQ_ISL_E10value_typeEPSM_NS1_7vsmem_tEENKUlT_SK_SL_SM_E_clIPxSE_SF_SF_EESJ_SZ_SK_SL_SM_EUlSZ_E_NS1_11comp_targetILNS1_3genE9ELNS1_11target_archE1100ELNS1_3gpuE3ELNS1_3repE0EEENS1_48merge_mergepath_partition_config_static_selectorELNS0_4arch9wavefront6targetE1EEEvSL_,"axG",@progbits,_ZN7rocprim17ROCPRIM_400000_NS6detail17trampoline_kernelINS0_14default_configENS1_38merge_sort_block_merge_config_selectorIxNS0_10empty_typeEEEZZNS1_27merge_sort_block_merge_implIS3_N6thrust23THRUST_200600_302600_NS6detail15normal_iteratorINS9_10device_ptrIxEEEEPS5_jNS1_19radix_merge_compareILb0ELb0ExNS0_19identity_decomposerEEEEE10hipError_tT0_T1_T2_jT3_P12ihipStream_tbPNSt15iterator_traitsISK_E10value_typeEPNSQ_ISL_E10value_typeEPSM_NS1_7vsmem_tEENKUlT_SK_SL_SM_E_clIPxSE_SF_SF_EESJ_SZ_SK_SL_SM_EUlSZ_E_NS1_11comp_targetILNS1_3genE9ELNS1_11target_archE1100ELNS1_3gpuE3ELNS1_3repE0EEENS1_48merge_mergepath_partition_config_static_selectorELNS0_4arch9wavefront6targetE1EEEvSL_,comdat
.Lfunc_end1416:
	.size	_ZN7rocprim17ROCPRIM_400000_NS6detail17trampoline_kernelINS0_14default_configENS1_38merge_sort_block_merge_config_selectorIxNS0_10empty_typeEEEZZNS1_27merge_sort_block_merge_implIS3_N6thrust23THRUST_200600_302600_NS6detail15normal_iteratorINS9_10device_ptrIxEEEEPS5_jNS1_19radix_merge_compareILb0ELb0ExNS0_19identity_decomposerEEEEE10hipError_tT0_T1_T2_jT3_P12ihipStream_tbPNSt15iterator_traitsISK_E10value_typeEPNSQ_ISL_E10value_typeEPSM_NS1_7vsmem_tEENKUlT_SK_SL_SM_E_clIPxSE_SF_SF_EESJ_SZ_SK_SL_SM_EUlSZ_E_NS1_11comp_targetILNS1_3genE9ELNS1_11target_archE1100ELNS1_3gpuE3ELNS1_3repE0EEENS1_48merge_mergepath_partition_config_static_selectorELNS0_4arch9wavefront6targetE1EEEvSL_, .Lfunc_end1416-_ZN7rocprim17ROCPRIM_400000_NS6detail17trampoline_kernelINS0_14default_configENS1_38merge_sort_block_merge_config_selectorIxNS0_10empty_typeEEEZZNS1_27merge_sort_block_merge_implIS3_N6thrust23THRUST_200600_302600_NS6detail15normal_iteratorINS9_10device_ptrIxEEEEPS5_jNS1_19radix_merge_compareILb0ELb0ExNS0_19identity_decomposerEEEEE10hipError_tT0_T1_T2_jT3_P12ihipStream_tbPNSt15iterator_traitsISK_E10value_typeEPNSQ_ISL_E10value_typeEPSM_NS1_7vsmem_tEENKUlT_SK_SL_SM_E_clIPxSE_SF_SF_EESJ_SZ_SK_SL_SM_EUlSZ_E_NS1_11comp_targetILNS1_3genE9ELNS1_11target_archE1100ELNS1_3gpuE3ELNS1_3repE0EEENS1_48merge_mergepath_partition_config_static_selectorELNS0_4arch9wavefront6targetE1EEEvSL_
                                        ; -- End function
	.section	.AMDGPU.csdata,"",@progbits
; Kernel info:
; codeLenInByte = 0
; NumSgprs: 4
; NumVgprs: 0
; NumAgprs: 0
; TotalNumVgprs: 0
; ScratchSize: 0
; MemoryBound: 0
; FloatMode: 240
; IeeeMode: 1
; LDSByteSize: 0 bytes/workgroup (compile time only)
; SGPRBlocks: 0
; VGPRBlocks: 0
; NumSGPRsForWavesPerEU: 4
; NumVGPRsForWavesPerEU: 1
; AccumOffset: 4
; Occupancy: 8
; WaveLimiterHint : 0
; COMPUTE_PGM_RSRC2:SCRATCH_EN: 0
; COMPUTE_PGM_RSRC2:USER_SGPR: 6
; COMPUTE_PGM_RSRC2:TRAP_HANDLER: 0
; COMPUTE_PGM_RSRC2:TGID_X_EN: 1
; COMPUTE_PGM_RSRC2:TGID_Y_EN: 0
; COMPUTE_PGM_RSRC2:TGID_Z_EN: 0
; COMPUTE_PGM_RSRC2:TIDIG_COMP_CNT: 0
; COMPUTE_PGM_RSRC3_GFX90A:ACCUM_OFFSET: 0
; COMPUTE_PGM_RSRC3_GFX90A:TG_SPLIT: 0
	.section	.text._ZN7rocprim17ROCPRIM_400000_NS6detail17trampoline_kernelINS0_14default_configENS1_38merge_sort_block_merge_config_selectorIxNS0_10empty_typeEEEZZNS1_27merge_sort_block_merge_implIS3_N6thrust23THRUST_200600_302600_NS6detail15normal_iteratorINS9_10device_ptrIxEEEEPS5_jNS1_19radix_merge_compareILb0ELb0ExNS0_19identity_decomposerEEEEE10hipError_tT0_T1_T2_jT3_P12ihipStream_tbPNSt15iterator_traitsISK_E10value_typeEPNSQ_ISL_E10value_typeEPSM_NS1_7vsmem_tEENKUlT_SK_SL_SM_E_clIPxSE_SF_SF_EESJ_SZ_SK_SL_SM_EUlSZ_E_NS1_11comp_targetILNS1_3genE8ELNS1_11target_archE1030ELNS1_3gpuE2ELNS1_3repE0EEENS1_48merge_mergepath_partition_config_static_selectorELNS0_4arch9wavefront6targetE1EEEvSL_,"axG",@progbits,_ZN7rocprim17ROCPRIM_400000_NS6detail17trampoline_kernelINS0_14default_configENS1_38merge_sort_block_merge_config_selectorIxNS0_10empty_typeEEEZZNS1_27merge_sort_block_merge_implIS3_N6thrust23THRUST_200600_302600_NS6detail15normal_iteratorINS9_10device_ptrIxEEEEPS5_jNS1_19radix_merge_compareILb0ELb0ExNS0_19identity_decomposerEEEEE10hipError_tT0_T1_T2_jT3_P12ihipStream_tbPNSt15iterator_traitsISK_E10value_typeEPNSQ_ISL_E10value_typeEPSM_NS1_7vsmem_tEENKUlT_SK_SL_SM_E_clIPxSE_SF_SF_EESJ_SZ_SK_SL_SM_EUlSZ_E_NS1_11comp_targetILNS1_3genE8ELNS1_11target_archE1030ELNS1_3gpuE2ELNS1_3repE0EEENS1_48merge_mergepath_partition_config_static_selectorELNS0_4arch9wavefront6targetE1EEEvSL_,comdat
	.protected	_ZN7rocprim17ROCPRIM_400000_NS6detail17trampoline_kernelINS0_14default_configENS1_38merge_sort_block_merge_config_selectorIxNS0_10empty_typeEEEZZNS1_27merge_sort_block_merge_implIS3_N6thrust23THRUST_200600_302600_NS6detail15normal_iteratorINS9_10device_ptrIxEEEEPS5_jNS1_19radix_merge_compareILb0ELb0ExNS0_19identity_decomposerEEEEE10hipError_tT0_T1_T2_jT3_P12ihipStream_tbPNSt15iterator_traitsISK_E10value_typeEPNSQ_ISL_E10value_typeEPSM_NS1_7vsmem_tEENKUlT_SK_SL_SM_E_clIPxSE_SF_SF_EESJ_SZ_SK_SL_SM_EUlSZ_E_NS1_11comp_targetILNS1_3genE8ELNS1_11target_archE1030ELNS1_3gpuE2ELNS1_3repE0EEENS1_48merge_mergepath_partition_config_static_selectorELNS0_4arch9wavefront6targetE1EEEvSL_ ; -- Begin function _ZN7rocprim17ROCPRIM_400000_NS6detail17trampoline_kernelINS0_14default_configENS1_38merge_sort_block_merge_config_selectorIxNS0_10empty_typeEEEZZNS1_27merge_sort_block_merge_implIS3_N6thrust23THRUST_200600_302600_NS6detail15normal_iteratorINS9_10device_ptrIxEEEEPS5_jNS1_19radix_merge_compareILb0ELb0ExNS0_19identity_decomposerEEEEE10hipError_tT0_T1_T2_jT3_P12ihipStream_tbPNSt15iterator_traitsISK_E10value_typeEPNSQ_ISL_E10value_typeEPSM_NS1_7vsmem_tEENKUlT_SK_SL_SM_E_clIPxSE_SF_SF_EESJ_SZ_SK_SL_SM_EUlSZ_E_NS1_11comp_targetILNS1_3genE8ELNS1_11target_archE1030ELNS1_3gpuE2ELNS1_3repE0EEENS1_48merge_mergepath_partition_config_static_selectorELNS0_4arch9wavefront6targetE1EEEvSL_
	.globl	_ZN7rocprim17ROCPRIM_400000_NS6detail17trampoline_kernelINS0_14default_configENS1_38merge_sort_block_merge_config_selectorIxNS0_10empty_typeEEEZZNS1_27merge_sort_block_merge_implIS3_N6thrust23THRUST_200600_302600_NS6detail15normal_iteratorINS9_10device_ptrIxEEEEPS5_jNS1_19radix_merge_compareILb0ELb0ExNS0_19identity_decomposerEEEEE10hipError_tT0_T1_T2_jT3_P12ihipStream_tbPNSt15iterator_traitsISK_E10value_typeEPNSQ_ISL_E10value_typeEPSM_NS1_7vsmem_tEENKUlT_SK_SL_SM_E_clIPxSE_SF_SF_EESJ_SZ_SK_SL_SM_EUlSZ_E_NS1_11comp_targetILNS1_3genE8ELNS1_11target_archE1030ELNS1_3gpuE2ELNS1_3repE0EEENS1_48merge_mergepath_partition_config_static_selectorELNS0_4arch9wavefront6targetE1EEEvSL_
	.p2align	8
	.type	_ZN7rocprim17ROCPRIM_400000_NS6detail17trampoline_kernelINS0_14default_configENS1_38merge_sort_block_merge_config_selectorIxNS0_10empty_typeEEEZZNS1_27merge_sort_block_merge_implIS3_N6thrust23THRUST_200600_302600_NS6detail15normal_iteratorINS9_10device_ptrIxEEEEPS5_jNS1_19radix_merge_compareILb0ELb0ExNS0_19identity_decomposerEEEEE10hipError_tT0_T1_T2_jT3_P12ihipStream_tbPNSt15iterator_traitsISK_E10value_typeEPNSQ_ISL_E10value_typeEPSM_NS1_7vsmem_tEENKUlT_SK_SL_SM_E_clIPxSE_SF_SF_EESJ_SZ_SK_SL_SM_EUlSZ_E_NS1_11comp_targetILNS1_3genE8ELNS1_11target_archE1030ELNS1_3gpuE2ELNS1_3repE0EEENS1_48merge_mergepath_partition_config_static_selectorELNS0_4arch9wavefront6targetE1EEEvSL_,@function
_ZN7rocprim17ROCPRIM_400000_NS6detail17trampoline_kernelINS0_14default_configENS1_38merge_sort_block_merge_config_selectorIxNS0_10empty_typeEEEZZNS1_27merge_sort_block_merge_implIS3_N6thrust23THRUST_200600_302600_NS6detail15normal_iteratorINS9_10device_ptrIxEEEEPS5_jNS1_19radix_merge_compareILb0ELb0ExNS0_19identity_decomposerEEEEE10hipError_tT0_T1_T2_jT3_P12ihipStream_tbPNSt15iterator_traitsISK_E10value_typeEPNSQ_ISL_E10value_typeEPSM_NS1_7vsmem_tEENKUlT_SK_SL_SM_E_clIPxSE_SF_SF_EESJ_SZ_SK_SL_SM_EUlSZ_E_NS1_11comp_targetILNS1_3genE8ELNS1_11target_archE1030ELNS1_3gpuE2ELNS1_3repE0EEENS1_48merge_mergepath_partition_config_static_selectorELNS0_4arch9wavefront6targetE1EEEvSL_: ; @_ZN7rocprim17ROCPRIM_400000_NS6detail17trampoline_kernelINS0_14default_configENS1_38merge_sort_block_merge_config_selectorIxNS0_10empty_typeEEEZZNS1_27merge_sort_block_merge_implIS3_N6thrust23THRUST_200600_302600_NS6detail15normal_iteratorINS9_10device_ptrIxEEEEPS5_jNS1_19radix_merge_compareILb0ELb0ExNS0_19identity_decomposerEEEEE10hipError_tT0_T1_T2_jT3_P12ihipStream_tbPNSt15iterator_traitsISK_E10value_typeEPNSQ_ISL_E10value_typeEPSM_NS1_7vsmem_tEENKUlT_SK_SL_SM_E_clIPxSE_SF_SF_EESJ_SZ_SK_SL_SM_EUlSZ_E_NS1_11comp_targetILNS1_3genE8ELNS1_11target_archE1030ELNS1_3gpuE2ELNS1_3repE0EEENS1_48merge_mergepath_partition_config_static_selectorELNS0_4arch9wavefront6targetE1EEEvSL_
; %bb.0:
	.section	.rodata,"a",@progbits
	.p2align	6, 0x0
	.amdhsa_kernel _ZN7rocprim17ROCPRIM_400000_NS6detail17trampoline_kernelINS0_14default_configENS1_38merge_sort_block_merge_config_selectorIxNS0_10empty_typeEEEZZNS1_27merge_sort_block_merge_implIS3_N6thrust23THRUST_200600_302600_NS6detail15normal_iteratorINS9_10device_ptrIxEEEEPS5_jNS1_19radix_merge_compareILb0ELb0ExNS0_19identity_decomposerEEEEE10hipError_tT0_T1_T2_jT3_P12ihipStream_tbPNSt15iterator_traitsISK_E10value_typeEPNSQ_ISL_E10value_typeEPSM_NS1_7vsmem_tEENKUlT_SK_SL_SM_E_clIPxSE_SF_SF_EESJ_SZ_SK_SL_SM_EUlSZ_E_NS1_11comp_targetILNS1_3genE8ELNS1_11target_archE1030ELNS1_3gpuE2ELNS1_3repE0EEENS1_48merge_mergepath_partition_config_static_selectorELNS0_4arch9wavefront6targetE1EEEvSL_
		.amdhsa_group_segment_fixed_size 0
		.amdhsa_private_segment_fixed_size 0
		.amdhsa_kernarg_size 40
		.amdhsa_user_sgpr_count 6
		.amdhsa_user_sgpr_private_segment_buffer 1
		.amdhsa_user_sgpr_dispatch_ptr 0
		.amdhsa_user_sgpr_queue_ptr 0
		.amdhsa_user_sgpr_kernarg_segment_ptr 1
		.amdhsa_user_sgpr_dispatch_id 0
		.amdhsa_user_sgpr_flat_scratch_init 0
		.amdhsa_user_sgpr_kernarg_preload_length 0
		.amdhsa_user_sgpr_kernarg_preload_offset 0
		.amdhsa_user_sgpr_private_segment_size 0
		.amdhsa_uses_dynamic_stack 0
		.amdhsa_system_sgpr_private_segment_wavefront_offset 0
		.amdhsa_system_sgpr_workgroup_id_x 1
		.amdhsa_system_sgpr_workgroup_id_y 0
		.amdhsa_system_sgpr_workgroup_id_z 0
		.amdhsa_system_sgpr_workgroup_info 0
		.amdhsa_system_vgpr_workitem_id 0
		.amdhsa_next_free_vgpr 1
		.amdhsa_next_free_sgpr 0
		.amdhsa_accum_offset 4
		.amdhsa_reserve_vcc 0
		.amdhsa_reserve_flat_scratch 0
		.amdhsa_float_round_mode_32 0
		.amdhsa_float_round_mode_16_64 0
		.amdhsa_float_denorm_mode_32 3
		.amdhsa_float_denorm_mode_16_64 3
		.amdhsa_dx10_clamp 1
		.amdhsa_ieee_mode 1
		.amdhsa_fp16_overflow 0
		.amdhsa_tg_split 0
		.amdhsa_exception_fp_ieee_invalid_op 0
		.amdhsa_exception_fp_denorm_src 0
		.amdhsa_exception_fp_ieee_div_zero 0
		.amdhsa_exception_fp_ieee_overflow 0
		.amdhsa_exception_fp_ieee_underflow 0
		.amdhsa_exception_fp_ieee_inexact 0
		.amdhsa_exception_int_div_zero 0
	.end_amdhsa_kernel
	.section	.text._ZN7rocprim17ROCPRIM_400000_NS6detail17trampoline_kernelINS0_14default_configENS1_38merge_sort_block_merge_config_selectorIxNS0_10empty_typeEEEZZNS1_27merge_sort_block_merge_implIS3_N6thrust23THRUST_200600_302600_NS6detail15normal_iteratorINS9_10device_ptrIxEEEEPS5_jNS1_19radix_merge_compareILb0ELb0ExNS0_19identity_decomposerEEEEE10hipError_tT0_T1_T2_jT3_P12ihipStream_tbPNSt15iterator_traitsISK_E10value_typeEPNSQ_ISL_E10value_typeEPSM_NS1_7vsmem_tEENKUlT_SK_SL_SM_E_clIPxSE_SF_SF_EESJ_SZ_SK_SL_SM_EUlSZ_E_NS1_11comp_targetILNS1_3genE8ELNS1_11target_archE1030ELNS1_3gpuE2ELNS1_3repE0EEENS1_48merge_mergepath_partition_config_static_selectorELNS0_4arch9wavefront6targetE1EEEvSL_,"axG",@progbits,_ZN7rocprim17ROCPRIM_400000_NS6detail17trampoline_kernelINS0_14default_configENS1_38merge_sort_block_merge_config_selectorIxNS0_10empty_typeEEEZZNS1_27merge_sort_block_merge_implIS3_N6thrust23THRUST_200600_302600_NS6detail15normal_iteratorINS9_10device_ptrIxEEEEPS5_jNS1_19radix_merge_compareILb0ELb0ExNS0_19identity_decomposerEEEEE10hipError_tT0_T1_T2_jT3_P12ihipStream_tbPNSt15iterator_traitsISK_E10value_typeEPNSQ_ISL_E10value_typeEPSM_NS1_7vsmem_tEENKUlT_SK_SL_SM_E_clIPxSE_SF_SF_EESJ_SZ_SK_SL_SM_EUlSZ_E_NS1_11comp_targetILNS1_3genE8ELNS1_11target_archE1030ELNS1_3gpuE2ELNS1_3repE0EEENS1_48merge_mergepath_partition_config_static_selectorELNS0_4arch9wavefront6targetE1EEEvSL_,comdat
.Lfunc_end1417:
	.size	_ZN7rocprim17ROCPRIM_400000_NS6detail17trampoline_kernelINS0_14default_configENS1_38merge_sort_block_merge_config_selectorIxNS0_10empty_typeEEEZZNS1_27merge_sort_block_merge_implIS3_N6thrust23THRUST_200600_302600_NS6detail15normal_iteratorINS9_10device_ptrIxEEEEPS5_jNS1_19radix_merge_compareILb0ELb0ExNS0_19identity_decomposerEEEEE10hipError_tT0_T1_T2_jT3_P12ihipStream_tbPNSt15iterator_traitsISK_E10value_typeEPNSQ_ISL_E10value_typeEPSM_NS1_7vsmem_tEENKUlT_SK_SL_SM_E_clIPxSE_SF_SF_EESJ_SZ_SK_SL_SM_EUlSZ_E_NS1_11comp_targetILNS1_3genE8ELNS1_11target_archE1030ELNS1_3gpuE2ELNS1_3repE0EEENS1_48merge_mergepath_partition_config_static_selectorELNS0_4arch9wavefront6targetE1EEEvSL_, .Lfunc_end1417-_ZN7rocprim17ROCPRIM_400000_NS6detail17trampoline_kernelINS0_14default_configENS1_38merge_sort_block_merge_config_selectorIxNS0_10empty_typeEEEZZNS1_27merge_sort_block_merge_implIS3_N6thrust23THRUST_200600_302600_NS6detail15normal_iteratorINS9_10device_ptrIxEEEEPS5_jNS1_19radix_merge_compareILb0ELb0ExNS0_19identity_decomposerEEEEE10hipError_tT0_T1_T2_jT3_P12ihipStream_tbPNSt15iterator_traitsISK_E10value_typeEPNSQ_ISL_E10value_typeEPSM_NS1_7vsmem_tEENKUlT_SK_SL_SM_E_clIPxSE_SF_SF_EESJ_SZ_SK_SL_SM_EUlSZ_E_NS1_11comp_targetILNS1_3genE8ELNS1_11target_archE1030ELNS1_3gpuE2ELNS1_3repE0EEENS1_48merge_mergepath_partition_config_static_selectorELNS0_4arch9wavefront6targetE1EEEvSL_
                                        ; -- End function
	.section	.AMDGPU.csdata,"",@progbits
; Kernel info:
; codeLenInByte = 0
; NumSgprs: 4
; NumVgprs: 0
; NumAgprs: 0
; TotalNumVgprs: 0
; ScratchSize: 0
; MemoryBound: 0
; FloatMode: 240
; IeeeMode: 1
; LDSByteSize: 0 bytes/workgroup (compile time only)
; SGPRBlocks: 0
; VGPRBlocks: 0
; NumSGPRsForWavesPerEU: 4
; NumVGPRsForWavesPerEU: 1
; AccumOffset: 4
; Occupancy: 8
; WaveLimiterHint : 0
; COMPUTE_PGM_RSRC2:SCRATCH_EN: 0
; COMPUTE_PGM_RSRC2:USER_SGPR: 6
; COMPUTE_PGM_RSRC2:TRAP_HANDLER: 0
; COMPUTE_PGM_RSRC2:TGID_X_EN: 1
; COMPUTE_PGM_RSRC2:TGID_Y_EN: 0
; COMPUTE_PGM_RSRC2:TGID_Z_EN: 0
; COMPUTE_PGM_RSRC2:TIDIG_COMP_CNT: 0
; COMPUTE_PGM_RSRC3_GFX90A:ACCUM_OFFSET: 0
; COMPUTE_PGM_RSRC3_GFX90A:TG_SPLIT: 0
	.section	.text._ZN7rocprim17ROCPRIM_400000_NS6detail17trampoline_kernelINS0_14default_configENS1_38merge_sort_block_merge_config_selectorIxNS0_10empty_typeEEEZZNS1_27merge_sort_block_merge_implIS3_N6thrust23THRUST_200600_302600_NS6detail15normal_iteratorINS9_10device_ptrIxEEEEPS5_jNS1_19radix_merge_compareILb0ELb0ExNS0_19identity_decomposerEEEEE10hipError_tT0_T1_T2_jT3_P12ihipStream_tbPNSt15iterator_traitsISK_E10value_typeEPNSQ_ISL_E10value_typeEPSM_NS1_7vsmem_tEENKUlT_SK_SL_SM_E_clIPxSE_SF_SF_EESJ_SZ_SK_SL_SM_EUlSZ_E0_NS1_11comp_targetILNS1_3genE0ELNS1_11target_archE4294967295ELNS1_3gpuE0ELNS1_3repE0EEENS1_38merge_mergepath_config_static_selectorELNS0_4arch9wavefront6targetE1EEEvSL_,"axG",@progbits,_ZN7rocprim17ROCPRIM_400000_NS6detail17trampoline_kernelINS0_14default_configENS1_38merge_sort_block_merge_config_selectorIxNS0_10empty_typeEEEZZNS1_27merge_sort_block_merge_implIS3_N6thrust23THRUST_200600_302600_NS6detail15normal_iteratorINS9_10device_ptrIxEEEEPS5_jNS1_19radix_merge_compareILb0ELb0ExNS0_19identity_decomposerEEEEE10hipError_tT0_T1_T2_jT3_P12ihipStream_tbPNSt15iterator_traitsISK_E10value_typeEPNSQ_ISL_E10value_typeEPSM_NS1_7vsmem_tEENKUlT_SK_SL_SM_E_clIPxSE_SF_SF_EESJ_SZ_SK_SL_SM_EUlSZ_E0_NS1_11comp_targetILNS1_3genE0ELNS1_11target_archE4294967295ELNS1_3gpuE0ELNS1_3repE0EEENS1_38merge_mergepath_config_static_selectorELNS0_4arch9wavefront6targetE1EEEvSL_,comdat
	.protected	_ZN7rocprim17ROCPRIM_400000_NS6detail17trampoline_kernelINS0_14default_configENS1_38merge_sort_block_merge_config_selectorIxNS0_10empty_typeEEEZZNS1_27merge_sort_block_merge_implIS3_N6thrust23THRUST_200600_302600_NS6detail15normal_iteratorINS9_10device_ptrIxEEEEPS5_jNS1_19radix_merge_compareILb0ELb0ExNS0_19identity_decomposerEEEEE10hipError_tT0_T1_T2_jT3_P12ihipStream_tbPNSt15iterator_traitsISK_E10value_typeEPNSQ_ISL_E10value_typeEPSM_NS1_7vsmem_tEENKUlT_SK_SL_SM_E_clIPxSE_SF_SF_EESJ_SZ_SK_SL_SM_EUlSZ_E0_NS1_11comp_targetILNS1_3genE0ELNS1_11target_archE4294967295ELNS1_3gpuE0ELNS1_3repE0EEENS1_38merge_mergepath_config_static_selectorELNS0_4arch9wavefront6targetE1EEEvSL_ ; -- Begin function _ZN7rocprim17ROCPRIM_400000_NS6detail17trampoline_kernelINS0_14default_configENS1_38merge_sort_block_merge_config_selectorIxNS0_10empty_typeEEEZZNS1_27merge_sort_block_merge_implIS3_N6thrust23THRUST_200600_302600_NS6detail15normal_iteratorINS9_10device_ptrIxEEEEPS5_jNS1_19radix_merge_compareILb0ELb0ExNS0_19identity_decomposerEEEEE10hipError_tT0_T1_T2_jT3_P12ihipStream_tbPNSt15iterator_traitsISK_E10value_typeEPNSQ_ISL_E10value_typeEPSM_NS1_7vsmem_tEENKUlT_SK_SL_SM_E_clIPxSE_SF_SF_EESJ_SZ_SK_SL_SM_EUlSZ_E0_NS1_11comp_targetILNS1_3genE0ELNS1_11target_archE4294967295ELNS1_3gpuE0ELNS1_3repE0EEENS1_38merge_mergepath_config_static_selectorELNS0_4arch9wavefront6targetE1EEEvSL_
	.globl	_ZN7rocprim17ROCPRIM_400000_NS6detail17trampoline_kernelINS0_14default_configENS1_38merge_sort_block_merge_config_selectorIxNS0_10empty_typeEEEZZNS1_27merge_sort_block_merge_implIS3_N6thrust23THRUST_200600_302600_NS6detail15normal_iteratorINS9_10device_ptrIxEEEEPS5_jNS1_19radix_merge_compareILb0ELb0ExNS0_19identity_decomposerEEEEE10hipError_tT0_T1_T2_jT3_P12ihipStream_tbPNSt15iterator_traitsISK_E10value_typeEPNSQ_ISL_E10value_typeEPSM_NS1_7vsmem_tEENKUlT_SK_SL_SM_E_clIPxSE_SF_SF_EESJ_SZ_SK_SL_SM_EUlSZ_E0_NS1_11comp_targetILNS1_3genE0ELNS1_11target_archE4294967295ELNS1_3gpuE0ELNS1_3repE0EEENS1_38merge_mergepath_config_static_selectorELNS0_4arch9wavefront6targetE1EEEvSL_
	.p2align	8
	.type	_ZN7rocprim17ROCPRIM_400000_NS6detail17trampoline_kernelINS0_14default_configENS1_38merge_sort_block_merge_config_selectorIxNS0_10empty_typeEEEZZNS1_27merge_sort_block_merge_implIS3_N6thrust23THRUST_200600_302600_NS6detail15normal_iteratorINS9_10device_ptrIxEEEEPS5_jNS1_19radix_merge_compareILb0ELb0ExNS0_19identity_decomposerEEEEE10hipError_tT0_T1_T2_jT3_P12ihipStream_tbPNSt15iterator_traitsISK_E10value_typeEPNSQ_ISL_E10value_typeEPSM_NS1_7vsmem_tEENKUlT_SK_SL_SM_E_clIPxSE_SF_SF_EESJ_SZ_SK_SL_SM_EUlSZ_E0_NS1_11comp_targetILNS1_3genE0ELNS1_11target_archE4294967295ELNS1_3gpuE0ELNS1_3repE0EEENS1_38merge_mergepath_config_static_selectorELNS0_4arch9wavefront6targetE1EEEvSL_,@function
_ZN7rocprim17ROCPRIM_400000_NS6detail17trampoline_kernelINS0_14default_configENS1_38merge_sort_block_merge_config_selectorIxNS0_10empty_typeEEEZZNS1_27merge_sort_block_merge_implIS3_N6thrust23THRUST_200600_302600_NS6detail15normal_iteratorINS9_10device_ptrIxEEEEPS5_jNS1_19radix_merge_compareILb0ELb0ExNS0_19identity_decomposerEEEEE10hipError_tT0_T1_T2_jT3_P12ihipStream_tbPNSt15iterator_traitsISK_E10value_typeEPNSQ_ISL_E10value_typeEPSM_NS1_7vsmem_tEENKUlT_SK_SL_SM_E_clIPxSE_SF_SF_EESJ_SZ_SK_SL_SM_EUlSZ_E0_NS1_11comp_targetILNS1_3genE0ELNS1_11target_archE4294967295ELNS1_3gpuE0ELNS1_3repE0EEENS1_38merge_mergepath_config_static_selectorELNS0_4arch9wavefront6targetE1EEEvSL_: ; @_ZN7rocprim17ROCPRIM_400000_NS6detail17trampoline_kernelINS0_14default_configENS1_38merge_sort_block_merge_config_selectorIxNS0_10empty_typeEEEZZNS1_27merge_sort_block_merge_implIS3_N6thrust23THRUST_200600_302600_NS6detail15normal_iteratorINS9_10device_ptrIxEEEEPS5_jNS1_19radix_merge_compareILb0ELb0ExNS0_19identity_decomposerEEEEE10hipError_tT0_T1_T2_jT3_P12ihipStream_tbPNSt15iterator_traitsISK_E10value_typeEPNSQ_ISL_E10value_typeEPSM_NS1_7vsmem_tEENKUlT_SK_SL_SM_E_clIPxSE_SF_SF_EESJ_SZ_SK_SL_SM_EUlSZ_E0_NS1_11comp_targetILNS1_3genE0ELNS1_11target_archE4294967295ELNS1_3gpuE0ELNS1_3repE0EEENS1_38merge_mergepath_config_static_selectorELNS0_4arch9wavefront6targetE1EEEvSL_
; %bb.0:
	.section	.rodata,"a",@progbits
	.p2align	6, 0x0
	.amdhsa_kernel _ZN7rocprim17ROCPRIM_400000_NS6detail17trampoline_kernelINS0_14default_configENS1_38merge_sort_block_merge_config_selectorIxNS0_10empty_typeEEEZZNS1_27merge_sort_block_merge_implIS3_N6thrust23THRUST_200600_302600_NS6detail15normal_iteratorINS9_10device_ptrIxEEEEPS5_jNS1_19radix_merge_compareILb0ELb0ExNS0_19identity_decomposerEEEEE10hipError_tT0_T1_T2_jT3_P12ihipStream_tbPNSt15iterator_traitsISK_E10value_typeEPNSQ_ISL_E10value_typeEPSM_NS1_7vsmem_tEENKUlT_SK_SL_SM_E_clIPxSE_SF_SF_EESJ_SZ_SK_SL_SM_EUlSZ_E0_NS1_11comp_targetILNS1_3genE0ELNS1_11target_archE4294967295ELNS1_3gpuE0ELNS1_3repE0EEENS1_38merge_mergepath_config_static_selectorELNS0_4arch9wavefront6targetE1EEEvSL_
		.amdhsa_group_segment_fixed_size 0
		.amdhsa_private_segment_fixed_size 0
		.amdhsa_kernarg_size 64
		.amdhsa_user_sgpr_count 6
		.amdhsa_user_sgpr_private_segment_buffer 1
		.amdhsa_user_sgpr_dispatch_ptr 0
		.amdhsa_user_sgpr_queue_ptr 0
		.amdhsa_user_sgpr_kernarg_segment_ptr 1
		.amdhsa_user_sgpr_dispatch_id 0
		.amdhsa_user_sgpr_flat_scratch_init 0
		.amdhsa_user_sgpr_kernarg_preload_length 0
		.amdhsa_user_sgpr_kernarg_preload_offset 0
		.amdhsa_user_sgpr_private_segment_size 0
		.amdhsa_uses_dynamic_stack 0
		.amdhsa_system_sgpr_private_segment_wavefront_offset 0
		.amdhsa_system_sgpr_workgroup_id_x 1
		.amdhsa_system_sgpr_workgroup_id_y 0
		.amdhsa_system_sgpr_workgroup_id_z 0
		.amdhsa_system_sgpr_workgroup_info 0
		.amdhsa_system_vgpr_workitem_id 0
		.amdhsa_next_free_vgpr 1
		.amdhsa_next_free_sgpr 0
		.amdhsa_accum_offset 4
		.amdhsa_reserve_vcc 0
		.amdhsa_reserve_flat_scratch 0
		.amdhsa_float_round_mode_32 0
		.amdhsa_float_round_mode_16_64 0
		.amdhsa_float_denorm_mode_32 3
		.amdhsa_float_denorm_mode_16_64 3
		.amdhsa_dx10_clamp 1
		.amdhsa_ieee_mode 1
		.amdhsa_fp16_overflow 0
		.amdhsa_tg_split 0
		.amdhsa_exception_fp_ieee_invalid_op 0
		.amdhsa_exception_fp_denorm_src 0
		.amdhsa_exception_fp_ieee_div_zero 0
		.amdhsa_exception_fp_ieee_overflow 0
		.amdhsa_exception_fp_ieee_underflow 0
		.amdhsa_exception_fp_ieee_inexact 0
		.amdhsa_exception_int_div_zero 0
	.end_amdhsa_kernel
	.section	.text._ZN7rocprim17ROCPRIM_400000_NS6detail17trampoline_kernelINS0_14default_configENS1_38merge_sort_block_merge_config_selectorIxNS0_10empty_typeEEEZZNS1_27merge_sort_block_merge_implIS3_N6thrust23THRUST_200600_302600_NS6detail15normal_iteratorINS9_10device_ptrIxEEEEPS5_jNS1_19radix_merge_compareILb0ELb0ExNS0_19identity_decomposerEEEEE10hipError_tT0_T1_T2_jT3_P12ihipStream_tbPNSt15iterator_traitsISK_E10value_typeEPNSQ_ISL_E10value_typeEPSM_NS1_7vsmem_tEENKUlT_SK_SL_SM_E_clIPxSE_SF_SF_EESJ_SZ_SK_SL_SM_EUlSZ_E0_NS1_11comp_targetILNS1_3genE0ELNS1_11target_archE4294967295ELNS1_3gpuE0ELNS1_3repE0EEENS1_38merge_mergepath_config_static_selectorELNS0_4arch9wavefront6targetE1EEEvSL_,"axG",@progbits,_ZN7rocprim17ROCPRIM_400000_NS6detail17trampoline_kernelINS0_14default_configENS1_38merge_sort_block_merge_config_selectorIxNS0_10empty_typeEEEZZNS1_27merge_sort_block_merge_implIS3_N6thrust23THRUST_200600_302600_NS6detail15normal_iteratorINS9_10device_ptrIxEEEEPS5_jNS1_19radix_merge_compareILb0ELb0ExNS0_19identity_decomposerEEEEE10hipError_tT0_T1_T2_jT3_P12ihipStream_tbPNSt15iterator_traitsISK_E10value_typeEPNSQ_ISL_E10value_typeEPSM_NS1_7vsmem_tEENKUlT_SK_SL_SM_E_clIPxSE_SF_SF_EESJ_SZ_SK_SL_SM_EUlSZ_E0_NS1_11comp_targetILNS1_3genE0ELNS1_11target_archE4294967295ELNS1_3gpuE0ELNS1_3repE0EEENS1_38merge_mergepath_config_static_selectorELNS0_4arch9wavefront6targetE1EEEvSL_,comdat
.Lfunc_end1418:
	.size	_ZN7rocprim17ROCPRIM_400000_NS6detail17trampoline_kernelINS0_14default_configENS1_38merge_sort_block_merge_config_selectorIxNS0_10empty_typeEEEZZNS1_27merge_sort_block_merge_implIS3_N6thrust23THRUST_200600_302600_NS6detail15normal_iteratorINS9_10device_ptrIxEEEEPS5_jNS1_19radix_merge_compareILb0ELb0ExNS0_19identity_decomposerEEEEE10hipError_tT0_T1_T2_jT3_P12ihipStream_tbPNSt15iterator_traitsISK_E10value_typeEPNSQ_ISL_E10value_typeEPSM_NS1_7vsmem_tEENKUlT_SK_SL_SM_E_clIPxSE_SF_SF_EESJ_SZ_SK_SL_SM_EUlSZ_E0_NS1_11comp_targetILNS1_3genE0ELNS1_11target_archE4294967295ELNS1_3gpuE0ELNS1_3repE0EEENS1_38merge_mergepath_config_static_selectorELNS0_4arch9wavefront6targetE1EEEvSL_, .Lfunc_end1418-_ZN7rocprim17ROCPRIM_400000_NS6detail17trampoline_kernelINS0_14default_configENS1_38merge_sort_block_merge_config_selectorIxNS0_10empty_typeEEEZZNS1_27merge_sort_block_merge_implIS3_N6thrust23THRUST_200600_302600_NS6detail15normal_iteratorINS9_10device_ptrIxEEEEPS5_jNS1_19radix_merge_compareILb0ELb0ExNS0_19identity_decomposerEEEEE10hipError_tT0_T1_T2_jT3_P12ihipStream_tbPNSt15iterator_traitsISK_E10value_typeEPNSQ_ISL_E10value_typeEPSM_NS1_7vsmem_tEENKUlT_SK_SL_SM_E_clIPxSE_SF_SF_EESJ_SZ_SK_SL_SM_EUlSZ_E0_NS1_11comp_targetILNS1_3genE0ELNS1_11target_archE4294967295ELNS1_3gpuE0ELNS1_3repE0EEENS1_38merge_mergepath_config_static_selectorELNS0_4arch9wavefront6targetE1EEEvSL_
                                        ; -- End function
	.section	.AMDGPU.csdata,"",@progbits
; Kernel info:
; codeLenInByte = 0
; NumSgprs: 4
; NumVgprs: 0
; NumAgprs: 0
; TotalNumVgprs: 0
; ScratchSize: 0
; MemoryBound: 0
; FloatMode: 240
; IeeeMode: 1
; LDSByteSize: 0 bytes/workgroup (compile time only)
; SGPRBlocks: 0
; VGPRBlocks: 0
; NumSGPRsForWavesPerEU: 4
; NumVGPRsForWavesPerEU: 1
; AccumOffset: 4
; Occupancy: 8
; WaveLimiterHint : 0
; COMPUTE_PGM_RSRC2:SCRATCH_EN: 0
; COMPUTE_PGM_RSRC2:USER_SGPR: 6
; COMPUTE_PGM_RSRC2:TRAP_HANDLER: 0
; COMPUTE_PGM_RSRC2:TGID_X_EN: 1
; COMPUTE_PGM_RSRC2:TGID_Y_EN: 0
; COMPUTE_PGM_RSRC2:TGID_Z_EN: 0
; COMPUTE_PGM_RSRC2:TIDIG_COMP_CNT: 0
; COMPUTE_PGM_RSRC3_GFX90A:ACCUM_OFFSET: 0
; COMPUTE_PGM_RSRC3_GFX90A:TG_SPLIT: 0
	.section	.text._ZN7rocprim17ROCPRIM_400000_NS6detail17trampoline_kernelINS0_14default_configENS1_38merge_sort_block_merge_config_selectorIxNS0_10empty_typeEEEZZNS1_27merge_sort_block_merge_implIS3_N6thrust23THRUST_200600_302600_NS6detail15normal_iteratorINS9_10device_ptrIxEEEEPS5_jNS1_19radix_merge_compareILb0ELb0ExNS0_19identity_decomposerEEEEE10hipError_tT0_T1_T2_jT3_P12ihipStream_tbPNSt15iterator_traitsISK_E10value_typeEPNSQ_ISL_E10value_typeEPSM_NS1_7vsmem_tEENKUlT_SK_SL_SM_E_clIPxSE_SF_SF_EESJ_SZ_SK_SL_SM_EUlSZ_E0_NS1_11comp_targetILNS1_3genE10ELNS1_11target_archE1201ELNS1_3gpuE5ELNS1_3repE0EEENS1_38merge_mergepath_config_static_selectorELNS0_4arch9wavefront6targetE1EEEvSL_,"axG",@progbits,_ZN7rocprim17ROCPRIM_400000_NS6detail17trampoline_kernelINS0_14default_configENS1_38merge_sort_block_merge_config_selectorIxNS0_10empty_typeEEEZZNS1_27merge_sort_block_merge_implIS3_N6thrust23THRUST_200600_302600_NS6detail15normal_iteratorINS9_10device_ptrIxEEEEPS5_jNS1_19radix_merge_compareILb0ELb0ExNS0_19identity_decomposerEEEEE10hipError_tT0_T1_T2_jT3_P12ihipStream_tbPNSt15iterator_traitsISK_E10value_typeEPNSQ_ISL_E10value_typeEPSM_NS1_7vsmem_tEENKUlT_SK_SL_SM_E_clIPxSE_SF_SF_EESJ_SZ_SK_SL_SM_EUlSZ_E0_NS1_11comp_targetILNS1_3genE10ELNS1_11target_archE1201ELNS1_3gpuE5ELNS1_3repE0EEENS1_38merge_mergepath_config_static_selectorELNS0_4arch9wavefront6targetE1EEEvSL_,comdat
	.protected	_ZN7rocprim17ROCPRIM_400000_NS6detail17trampoline_kernelINS0_14default_configENS1_38merge_sort_block_merge_config_selectorIxNS0_10empty_typeEEEZZNS1_27merge_sort_block_merge_implIS3_N6thrust23THRUST_200600_302600_NS6detail15normal_iteratorINS9_10device_ptrIxEEEEPS5_jNS1_19radix_merge_compareILb0ELb0ExNS0_19identity_decomposerEEEEE10hipError_tT0_T1_T2_jT3_P12ihipStream_tbPNSt15iterator_traitsISK_E10value_typeEPNSQ_ISL_E10value_typeEPSM_NS1_7vsmem_tEENKUlT_SK_SL_SM_E_clIPxSE_SF_SF_EESJ_SZ_SK_SL_SM_EUlSZ_E0_NS1_11comp_targetILNS1_3genE10ELNS1_11target_archE1201ELNS1_3gpuE5ELNS1_3repE0EEENS1_38merge_mergepath_config_static_selectorELNS0_4arch9wavefront6targetE1EEEvSL_ ; -- Begin function _ZN7rocprim17ROCPRIM_400000_NS6detail17trampoline_kernelINS0_14default_configENS1_38merge_sort_block_merge_config_selectorIxNS0_10empty_typeEEEZZNS1_27merge_sort_block_merge_implIS3_N6thrust23THRUST_200600_302600_NS6detail15normal_iteratorINS9_10device_ptrIxEEEEPS5_jNS1_19radix_merge_compareILb0ELb0ExNS0_19identity_decomposerEEEEE10hipError_tT0_T1_T2_jT3_P12ihipStream_tbPNSt15iterator_traitsISK_E10value_typeEPNSQ_ISL_E10value_typeEPSM_NS1_7vsmem_tEENKUlT_SK_SL_SM_E_clIPxSE_SF_SF_EESJ_SZ_SK_SL_SM_EUlSZ_E0_NS1_11comp_targetILNS1_3genE10ELNS1_11target_archE1201ELNS1_3gpuE5ELNS1_3repE0EEENS1_38merge_mergepath_config_static_selectorELNS0_4arch9wavefront6targetE1EEEvSL_
	.globl	_ZN7rocprim17ROCPRIM_400000_NS6detail17trampoline_kernelINS0_14default_configENS1_38merge_sort_block_merge_config_selectorIxNS0_10empty_typeEEEZZNS1_27merge_sort_block_merge_implIS3_N6thrust23THRUST_200600_302600_NS6detail15normal_iteratorINS9_10device_ptrIxEEEEPS5_jNS1_19radix_merge_compareILb0ELb0ExNS0_19identity_decomposerEEEEE10hipError_tT0_T1_T2_jT3_P12ihipStream_tbPNSt15iterator_traitsISK_E10value_typeEPNSQ_ISL_E10value_typeEPSM_NS1_7vsmem_tEENKUlT_SK_SL_SM_E_clIPxSE_SF_SF_EESJ_SZ_SK_SL_SM_EUlSZ_E0_NS1_11comp_targetILNS1_3genE10ELNS1_11target_archE1201ELNS1_3gpuE5ELNS1_3repE0EEENS1_38merge_mergepath_config_static_selectorELNS0_4arch9wavefront6targetE1EEEvSL_
	.p2align	8
	.type	_ZN7rocprim17ROCPRIM_400000_NS6detail17trampoline_kernelINS0_14default_configENS1_38merge_sort_block_merge_config_selectorIxNS0_10empty_typeEEEZZNS1_27merge_sort_block_merge_implIS3_N6thrust23THRUST_200600_302600_NS6detail15normal_iteratorINS9_10device_ptrIxEEEEPS5_jNS1_19radix_merge_compareILb0ELb0ExNS0_19identity_decomposerEEEEE10hipError_tT0_T1_T2_jT3_P12ihipStream_tbPNSt15iterator_traitsISK_E10value_typeEPNSQ_ISL_E10value_typeEPSM_NS1_7vsmem_tEENKUlT_SK_SL_SM_E_clIPxSE_SF_SF_EESJ_SZ_SK_SL_SM_EUlSZ_E0_NS1_11comp_targetILNS1_3genE10ELNS1_11target_archE1201ELNS1_3gpuE5ELNS1_3repE0EEENS1_38merge_mergepath_config_static_selectorELNS0_4arch9wavefront6targetE1EEEvSL_,@function
_ZN7rocprim17ROCPRIM_400000_NS6detail17trampoline_kernelINS0_14default_configENS1_38merge_sort_block_merge_config_selectorIxNS0_10empty_typeEEEZZNS1_27merge_sort_block_merge_implIS3_N6thrust23THRUST_200600_302600_NS6detail15normal_iteratorINS9_10device_ptrIxEEEEPS5_jNS1_19radix_merge_compareILb0ELb0ExNS0_19identity_decomposerEEEEE10hipError_tT0_T1_T2_jT3_P12ihipStream_tbPNSt15iterator_traitsISK_E10value_typeEPNSQ_ISL_E10value_typeEPSM_NS1_7vsmem_tEENKUlT_SK_SL_SM_E_clIPxSE_SF_SF_EESJ_SZ_SK_SL_SM_EUlSZ_E0_NS1_11comp_targetILNS1_3genE10ELNS1_11target_archE1201ELNS1_3gpuE5ELNS1_3repE0EEENS1_38merge_mergepath_config_static_selectorELNS0_4arch9wavefront6targetE1EEEvSL_: ; @_ZN7rocprim17ROCPRIM_400000_NS6detail17trampoline_kernelINS0_14default_configENS1_38merge_sort_block_merge_config_selectorIxNS0_10empty_typeEEEZZNS1_27merge_sort_block_merge_implIS3_N6thrust23THRUST_200600_302600_NS6detail15normal_iteratorINS9_10device_ptrIxEEEEPS5_jNS1_19radix_merge_compareILb0ELb0ExNS0_19identity_decomposerEEEEE10hipError_tT0_T1_T2_jT3_P12ihipStream_tbPNSt15iterator_traitsISK_E10value_typeEPNSQ_ISL_E10value_typeEPSM_NS1_7vsmem_tEENKUlT_SK_SL_SM_E_clIPxSE_SF_SF_EESJ_SZ_SK_SL_SM_EUlSZ_E0_NS1_11comp_targetILNS1_3genE10ELNS1_11target_archE1201ELNS1_3gpuE5ELNS1_3repE0EEENS1_38merge_mergepath_config_static_selectorELNS0_4arch9wavefront6targetE1EEEvSL_
; %bb.0:
	.section	.rodata,"a",@progbits
	.p2align	6, 0x0
	.amdhsa_kernel _ZN7rocprim17ROCPRIM_400000_NS6detail17trampoline_kernelINS0_14default_configENS1_38merge_sort_block_merge_config_selectorIxNS0_10empty_typeEEEZZNS1_27merge_sort_block_merge_implIS3_N6thrust23THRUST_200600_302600_NS6detail15normal_iteratorINS9_10device_ptrIxEEEEPS5_jNS1_19radix_merge_compareILb0ELb0ExNS0_19identity_decomposerEEEEE10hipError_tT0_T1_T2_jT3_P12ihipStream_tbPNSt15iterator_traitsISK_E10value_typeEPNSQ_ISL_E10value_typeEPSM_NS1_7vsmem_tEENKUlT_SK_SL_SM_E_clIPxSE_SF_SF_EESJ_SZ_SK_SL_SM_EUlSZ_E0_NS1_11comp_targetILNS1_3genE10ELNS1_11target_archE1201ELNS1_3gpuE5ELNS1_3repE0EEENS1_38merge_mergepath_config_static_selectorELNS0_4arch9wavefront6targetE1EEEvSL_
		.amdhsa_group_segment_fixed_size 0
		.amdhsa_private_segment_fixed_size 0
		.amdhsa_kernarg_size 64
		.amdhsa_user_sgpr_count 6
		.amdhsa_user_sgpr_private_segment_buffer 1
		.amdhsa_user_sgpr_dispatch_ptr 0
		.amdhsa_user_sgpr_queue_ptr 0
		.amdhsa_user_sgpr_kernarg_segment_ptr 1
		.amdhsa_user_sgpr_dispatch_id 0
		.amdhsa_user_sgpr_flat_scratch_init 0
		.amdhsa_user_sgpr_kernarg_preload_length 0
		.amdhsa_user_sgpr_kernarg_preload_offset 0
		.amdhsa_user_sgpr_private_segment_size 0
		.amdhsa_uses_dynamic_stack 0
		.amdhsa_system_sgpr_private_segment_wavefront_offset 0
		.amdhsa_system_sgpr_workgroup_id_x 1
		.amdhsa_system_sgpr_workgroup_id_y 0
		.amdhsa_system_sgpr_workgroup_id_z 0
		.amdhsa_system_sgpr_workgroup_info 0
		.amdhsa_system_vgpr_workitem_id 0
		.amdhsa_next_free_vgpr 1
		.amdhsa_next_free_sgpr 0
		.amdhsa_accum_offset 4
		.amdhsa_reserve_vcc 0
		.amdhsa_reserve_flat_scratch 0
		.amdhsa_float_round_mode_32 0
		.amdhsa_float_round_mode_16_64 0
		.amdhsa_float_denorm_mode_32 3
		.amdhsa_float_denorm_mode_16_64 3
		.amdhsa_dx10_clamp 1
		.amdhsa_ieee_mode 1
		.amdhsa_fp16_overflow 0
		.amdhsa_tg_split 0
		.amdhsa_exception_fp_ieee_invalid_op 0
		.amdhsa_exception_fp_denorm_src 0
		.amdhsa_exception_fp_ieee_div_zero 0
		.amdhsa_exception_fp_ieee_overflow 0
		.amdhsa_exception_fp_ieee_underflow 0
		.amdhsa_exception_fp_ieee_inexact 0
		.amdhsa_exception_int_div_zero 0
	.end_amdhsa_kernel
	.section	.text._ZN7rocprim17ROCPRIM_400000_NS6detail17trampoline_kernelINS0_14default_configENS1_38merge_sort_block_merge_config_selectorIxNS0_10empty_typeEEEZZNS1_27merge_sort_block_merge_implIS3_N6thrust23THRUST_200600_302600_NS6detail15normal_iteratorINS9_10device_ptrIxEEEEPS5_jNS1_19radix_merge_compareILb0ELb0ExNS0_19identity_decomposerEEEEE10hipError_tT0_T1_T2_jT3_P12ihipStream_tbPNSt15iterator_traitsISK_E10value_typeEPNSQ_ISL_E10value_typeEPSM_NS1_7vsmem_tEENKUlT_SK_SL_SM_E_clIPxSE_SF_SF_EESJ_SZ_SK_SL_SM_EUlSZ_E0_NS1_11comp_targetILNS1_3genE10ELNS1_11target_archE1201ELNS1_3gpuE5ELNS1_3repE0EEENS1_38merge_mergepath_config_static_selectorELNS0_4arch9wavefront6targetE1EEEvSL_,"axG",@progbits,_ZN7rocprim17ROCPRIM_400000_NS6detail17trampoline_kernelINS0_14default_configENS1_38merge_sort_block_merge_config_selectorIxNS0_10empty_typeEEEZZNS1_27merge_sort_block_merge_implIS3_N6thrust23THRUST_200600_302600_NS6detail15normal_iteratorINS9_10device_ptrIxEEEEPS5_jNS1_19radix_merge_compareILb0ELb0ExNS0_19identity_decomposerEEEEE10hipError_tT0_T1_T2_jT3_P12ihipStream_tbPNSt15iterator_traitsISK_E10value_typeEPNSQ_ISL_E10value_typeEPSM_NS1_7vsmem_tEENKUlT_SK_SL_SM_E_clIPxSE_SF_SF_EESJ_SZ_SK_SL_SM_EUlSZ_E0_NS1_11comp_targetILNS1_3genE10ELNS1_11target_archE1201ELNS1_3gpuE5ELNS1_3repE0EEENS1_38merge_mergepath_config_static_selectorELNS0_4arch9wavefront6targetE1EEEvSL_,comdat
.Lfunc_end1419:
	.size	_ZN7rocprim17ROCPRIM_400000_NS6detail17trampoline_kernelINS0_14default_configENS1_38merge_sort_block_merge_config_selectorIxNS0_10empty_typeEEEZZNS1_27merge_sort_block_merge_implIS3_N6thrust23THRUST_200600_302600_NS6detail15normal_iteratorINS9_10device_ptrIxEEEEPS5_jNS1_19radix_merge_compareILb0ELb0ExNS0_19identity_decomposerEEEEE10hipError_tT0_T1_T2_jT3_P12ihipStream_tbPNSt15iterator_traitsISK_E10value_typeEPNSQ_ISL_E10value_typeEPSM_NS1_7vsmem_tEENKUlT_SK_SL_SM_E_clIPxSE_SF_SF_EESJ_SZ_SK_SL_SM_EUlSZ_E0_NS1_11comp_targetILNS1_3genE10ELNS1_11target_archE1201ELNS1_3gpuE5ELNS1_3repE0EEENS1_38merge_mergepath_config_static_selectorELNS0_4arch9wavefront6targetE1EEEvSL_, .Lfunc_end1419-_ZN7rocprim17ROCPRIM_400000_NS6detail17trampoline_kernelINS0_14default_configENS1_38merge_sort_block_merge_config_selectorIxNS0_10empty_typeEEEZZNS1_27merge_sort_block_merge_implIS3_N6thrust23THRUST_200600_302600_NS6detail15normal_iteratorINS9_10device_ptrIxEEEEPS5_jNS1_19radix_merge_compareILb0ELb0ExNS0_19identity_decomposerEEEEE10hipError_tT0_T1_T2_jT3_P12ihipStream_tbPNSt15iterator_traitsISK_E10value_typeEPNSQ_ISL_E10value_typeEPSM_NS1_7vsmem_tEENKUlT_SK_SL_SM_E_clIPxSE_SF_SF_EESJ_SZ_SK_SL_SM_EUlSZ_E0_NS1_11comp_targetILNS1_3genE10ELNS1_11target_archE1201ELNS1_3gpuE5ELNS1_3repE0EEENS1_38merge_mergepath_config_static_selectorELNS0_4arch9wavefront6targetE1EEEvSL_
                                        ; -- End function
	.section	.AMDGPU.csdata,"",@progbits
; Kernel info:
; codeLenInByte = 0
; NumSgprs: 4
; NumVgprs: 0
; NumAgprs: 0
; TotalNumVgprs: 0
; ScratchSize: 0
; MemoryBound: 0
; FloatMode: 240
; IeeeMode: 1
; LDSByteSize: 0 bytes/workgroup (compile time only)
; SGPRBlocks: 0
; VGPRBlocks: 0
; NumSGPRsForWavesPerEU: 4
; NumVGPRsForWavesPerEU: 1
; AccumOffset: 4
; Occupancy: 8
; WaveLimiterHint : 0
; COMPUTE_PGM_RSRC2:SCRATCH_EN: 0
; COMPUTE_PGM_RSRC2:USER_SGPR: 6
; COMPUTE_PGM_RSRC2:TRAP_HANDLER: 0
; COMPUTE_PGM_RSRC2:TGID_X_EN: 1
; COMPUTE_PGM_RSRC2:TGID_Y_EN: 0
; COMPUTE_PGM_RSRC2:TGID_Z_EN: 0
; COMPUTE_PGM_RSRC2:TIDIG_COMP_CNT: 0
; COMPUTE_PGM_RSRC3_GFX90A:ACCUM_OFFSET: 0
; COMPUTE_PGM_RSRC3_GFX90A:TG_SPLIT: 0
	.section	.text._ZN7rocprim17ROCPRIM_400000_NS6detail17trampoline_kernelINS0_14default_configENS1_38merge_sort_block_merge_config_selectorIxNS0_10empty_typeEEEZZNS1_27merge_sort_block_merge_implIS3_N6thrust23THRUST_200600_302600_NS6detail15normal_iteratorINS9_10device_ptrIxEEEEPS5_jNS1_19radix_merge_compareILb0ELb0ExNS0_19identity_decomposerEEEEE10hipError_tT0_T1_T2_jT3_P12ihipStream_tbPNSt15iterator_traitsISK_E10value_typeEPNSQ_ISL_E10value_typeEPSM_NS1_7vsmem_tEENKUlT_SK_SL_SM_E_clIPxSE_SF_SF_EESJ_SZ_SK_SL_SM_EUlSZ_E0_NS1_11comp_targetILNS1_3genE5ELNS1_11target_archE942ELNS1_3gpuE9ELNS1_3repE0EEENS1_38merge_mergepath_config_static_selectorELNS0_4arch9wavefront6targetE1EEEvSL_,"axG",@progbits,_ZN7rocprim17ROCPRIM_400000_NS6detail17trampoline_kernelINS0_14default_configENS1_38merge_sort_block_merge_config_selectorIxNS0_10empty_typeEEEZZNS1_27merge_sort_block_merge_implIS3_N6thrust23THRUST_200600_302600_NS6detail15normal_iteratorINS9_10device_ptrIxEEEEPS5_jNS1_19radix_merge_compareILb0ELb0ExNS0_19identity_decomposerEEEEE10hipError_tT0_T1_T2_jT3_P12ihipStream_tbPNSt15iterator_traitsISK_E10value_typeEPNSQ_ISL_E10value_typeEPSM_NS1_7vsmem_tEENKUlT_SK_SL_SM_E_clIPxSE_SF_SF_EESJ_SZ_SK_SL_SM_EUlSZ_E0_NS1_11comp_targetILNS1_3genE5ELNS1_11target_archE942ELNS1_3gpuE9ELNS1_3repE0EEENS1_38merge_mergepath_config_static_selectorELNS0_4arch9wavefront6targetE1EEEvSL_,comdat
	.protected	_ZN7rocprim17ROCPRIM_400000_NS6detail17trampoline_kernelINS0_14default_configENS1_38merge_sort_block_merge_config_selectorIxNS0_10empty_typeEEEZZNS1_27merge_sort_block_merge_implIS3_N6thrust23THRUST_200600_302600_NS6detail15normal_iteratorINS9_10device_ptrIxEEEEPS5_jNS1_19radix_merge_compareILb0ELb0ExNS0_19identity_decomposerEEEEE10hipError_tT0_T1_T2_jT3_P12ihipStream_tbPNSt15iterator_traitsISK_E10value_typeEPNSQ_ISL_E10value_typeEPSM_NS1_7vsmem_tEENKUlT_SK_SL_SM_E_clIPxSE_SF_SF_EESJ_SZ_SK_SL_SM_EUlSZ_E0_NS1_11comp_targetILNS1_3genE5ELNS1_11target_archE942ELNS1_3gpuE9ELNS1_3repE0EEENS1_38merge_mergepath_config_static_selectorELNS0_4arch9wavefront6targetE1EEEvSL_ ; -- Begin function _ZN7rocprim17ROCPRIM_400000_NS6detail17trampoline_kernelINS0_14default_configENS1_38merge_sort_block_merge_config_selectorIxNS0_10empty_typeEEEZZNS1_27merge_sort_block_merge_implIS3_N6thrust23THRUST_200600_302600_NS6detail15normal_iteratorINS9_10device_ptrIxEEEEPS5_jNS1_19radix_merge_compareILb0ELb0ExNS0_19identity_decomposerEEEEE10hipError_tT0_T1_T2_jT3_P12ihipStream_tbPNSt15iterator_traitsISK_E10value_typeEPNSQ_ISL_E10value_typeEPSM_NS1_7vsmem_tEENKUlT_SK_SL_SM_E_clIPxSE_SF_SF_EESJ_SZ_SK_SL_SM_EUlSZ_E0_NS1_11comp_targetILNS1_3genE5ELNS1_11target_archE942ELNS1_3gpuE9ELNS1_3repE0EEENS1_38merge_mergepath_config_static_selectorELNS0_4arch9wavefront6targetE1EEEvSL_
	.globl	_ZN7rocprim17ROCPRIM_400000_NS6detail17trampoline_kernelINS0_14default_configENS1_38merge_sort_block_merge_config_selectorIxNS0_10empty_typeEEEZZNS1_27merge_sort_block_merge_implIS3_N6thrust23THRUST_200600_302600_NS6detail15normal_iteratorINS9_10device_ptrIxEEEEPS5_jNS1_19radix_merge_compareILb0ELb0ExNS0_19identity_decomposerEEEEE10hipError_tT0_T1_T2_jT3_P12ihipStream_tbPNSt15iterator_traitsISK_E10value_typeEPNSQ_ISL_E10value_typeEPSM_NS1_7vsmem_tEENKUlT_SK_SL_SM_E_clIPxSE_SF_SF_EESJ_SZ_SK_SL_SM_EUlSZ_E0_NS1_11comp_targetILNS1_3genE5ELNS1_11target_archE942ELNS1_3gpuE9ELNS1_3repE0EEENS1_38merge_mergepath_config_static_selectorELNS0_4arch9wavefront6targetE1EEEvSL_
	.p2align	8
	.type	_ZN7rocprim17ROCPRIM_400000_NS6detail17trampoline_kernelINS0_14default_configENS1_38merge_sort_block_merge_config_selectorIxNS0_10empty_typeEEEZZNS1_27merge_sort_block_merge_implIS3_N6thrust23THRUST_200600_302600_NS6detail15normal_iteratorINS9_10device_ptrIxEEEEPS5_jNS1_19radix_merge_compareILb0ELb0ExNS0_19identity_decomposerEEEEE10hipError_tT0_T1_T2_jT3_P12ihipStream_tbPNSt15iterator_traitsISK_E10value_typeEPNSQ_ISL_E10value_typeEPSM_NS1_7vsmem_tEENKUlT_SK_SL_SM_E_clIPxSE_SF_SF_EESJ_SZ_SK_SL_SM_EUlSZ_E0_NS1_11comp_targetILNS1_3genE5ELNS1_11target_archE942ELNS1_3gpuE9ELNS1_3repE0EEENS1_38merge_mergepath_config_static_selectorELNS0_4arch9wavefront6targetE1EEEvSL_,@function
_ZN7rocprim17ROCPRIM_400000_NS6detail17trampoline_kernelINS0_14default_configENS1_38merge_sort_block_merge_config_selectorIxNS0_10empty_typeEEEZZNS1_27merge_sort_block_merge_implIS3_N6thrust23THRUST_200600_302600_NS6detail15normal_iteratorINS9_10device_ptrIxEEEEPS5_jNS1_19radix_merge_compareILb0ELb0ExNS0_19identity_decomposerEEEEE10hipError_tT0_T1_T2_jT3_P12ihipStream_tbPNSt15iterator_traitsISK_E10value_typeEPNSQ_ISL_E10value_typeEPSM_NS1_7vsmem_tEENKUlT_SK_SL_SM_E_clIPxSE_SF_SF_EESJ_SZ_SK_SL_SM_EUlSZ_E0_NS1_11comp_targetILNS1_3genE5ELNS1_11target_archE942ELNS1_3gpuE9ELNS1_3repE0EEENS1_38merge_mergepath_config_static_selectorELNS0_4arch9wavefront6targetE1EEEvSL_: ; @_ZN7rocprim17ROCPRIM_400000_NS6detail17trampoline_kernelINS0_14default_configENS1_38merge_sort_block_merge_config_selectorIxNS0_10empty_typeEEEZZNS1_27merge_sort_block_merge_implIS3_N6thrust23THRUST_200600_302600_NS6detail15normal_iteratorINS9_10device_ptrIxEEEEPS5_jNS1_19radix_merge_compareILb0ELb0ExNS0_19identity_decomposerEEEEE10hipError_tT0_T1_T2_jT3_P12ihipStream_tbPNSt15iterator_traitsISK_E10value_typeEPNSQ_ISL_E10value_typeEPSM_NS1_7vsmem_tEENKUlT_SK_SL_SM_E_clIPxSE_SF_SF_EESJ_SZ_SK_SL_SM_EUlSZ_E0_NS1_11comp_targetILNS1_3genE5ELNS1_11target_archE942ELNS1_3gpuE9ELNS1_3repE0EEENS1_38merge_mergepath_config_static_selectorELNS0_4arch9wavefront6targetE1EEEvSL_
; %bb.0:
	.section	.rodata,"a",@progbits
	.p2align	6, 0x0
	.amdhsa_kernel _ZN7rocprim17ROCPRIM_400000_NS6detail17trampoline_kernelINS0_14default_configENS1_38merge_sort_block_merge_config_selectorIxNS0_10empty_typeEEEZZNS1_27merge_sort_block_merge_implIS3_N6thrust23THRUST_200600_302600_NS6detail15normal_iteratorINS9_10device_ptrIxEEEEPS5_jNS1_19radix_merge_compareILb0ELb0ExNS0_19identity_decomposerEEEEE10hipError_tT0_T1_T2_jT3_P12ihipStream_tbPNSt15iterator_traitsISK_E10value_typeEPNSQ_ISL_E10value_typeEPSM_NS1_7vsmem_tEENKUlT_SK_SL_SM_E_clIPxSE_SF_SF_EESJ_SZ_SK_SL_SM_EUlSZ_E0_NS1_11comp_targetILNS1_3genE5ELNS1_11target_archE942ELNS1_3gpuE9ELNS1_3repE0EEENS1_38merge_mergepath_config_static_selectorELNS0_4arch9wavefront6targetE1EEEvSL_
		.amdhsa_group_segment_fixed_size 0
		.amdhsa_private_segment_fixed_size 0
		.amdhsa_kernarg_size 64
		.amdhsa_user_sgpr_count 6
		.amdhsa_user_sgpr_private_segment_buffer 1
		.amdhsa_user_sgpr_dispatch_ptr 0
		.amdhsa_user_sgpr_queue_ptr 0
		.amdhsa_user_sgpr_kernarg_segment_ptr 1
		.amdhsa_user_sgpr_dispatch_id 0
		.amdhsa_user_sgpr_flat_scratch_init 0
		.amdhsa_user_sgpr_kernarg_preload_length 0
		.amdhsa_user_sgpr_kernarg_preload_offset 0
		.amdhsa_user_sgpr_private_segment_size 0
		.amdhsa_uses_dynamic_stack 0
		.amdhsa_system_sgpr_private_segment_wavefront_offset 0
		.amdhsa_system_sgpr_workgroup_id_x 1
		.amdhsa_system_sgpr_workgroup_id_y 0
		.amdhsa_system_sgpr_workgroup_id_z 0
		.amdhsa_system_sgpr_workgroup_info 0
		.amdhsa_system_vgpr_workitem_id 0
		.amdhsa_next_free_vgpr 1
		.amdhsa_next_free_sgpr 0
		.amdhsa_accum_offset 4
		.amdhsa_reserve_vcc 0
		.amdhsa_reserve_flat_scratch 0
		.amdhsa_float_round_mode_32 0
		.amdhsa_float_round_mode_16_64 0
		.amdhsa_float_denorm_mode_32 3
		.amdhsa_float_denorm_mode_16_64 3
		.amdhsa_dx10_clamp 1
		.amdhsa_ieee_mode 1
		.amdhsa_fp16_overflow 0
		.amdhsa_tg_split 0
		.amdhsa_exception_fp_ieee_invalid_op 0
		.amdhsa_exception_fp_denorm_src 0
		.amdhsa_exception_fp_ieee_div_zero 0
		.amdhsa_exception_fp_ieee_overflow 0
		.amdhsa_exception_fp_ieee_underflow 0
		.amdhsa_exception_fp_ieee_inexact 0
		.amdhsa_exception_int_div_zero 0
	.end_amdhsa_kernel
	.section	.text._ZN7rocprim17ROCPRIM_400000_NS6detail17trampoline_kernelINS0_14default_configENS1_38merge_sort_block_merge_config_selectorIxNS0_10empty_typeEEEZZNS1_27merge_sort_block_merge_implIS3_N6thrust23THRUST_200600_302600_NS6detail15normal_iteratorINS9_10device_ptrIxEEEEPS5_jNS1_19radix_merge_compareILb0ELb0ExNS0_19identity_decomposerEEEEE10hipError_tT0_T1_T2_jT3_P12ihipStream_tbPNSt15iterator_traitsISK_E10value_typeEPNSQ_ISL_E10value_typeEPSM_NS1_7vsmem_tEENKUlT_SK_SL_SM_E_clIPxSE_SF_SF_EESJ_SZ_SK_SL_SM_EUlSZ_E0_NS1_11comp_targetILNS1_3genE5ELNS1_11target_archE942ELNS1_3gpuE9ELNS1_3repE0EEENS1_38merge_mergepath_config_static_selectorELNS0_4arch9wavefront6targetE1EEEvSL_,"axG",@progbits,_ZN7rocprim17ROCPRIM_400000_NS6detail17trampoline_kernelINS0_14default_configENS1_38merge_sort_block_merge_config_selectorIxNS0_10empty_typeEEEZZNS1_27merge_sort_block_merge_implIS3_N6thrust23THRUST_200600_302600_NS6detail15normal_iteratorINS9_10device_ptrIxEEEEPS5_jNS1_19radix_merge_compareILb0ELb0ExNS0_19identity_decomposerEEEEE10hipError_tT0_T1_T2_jT3_P12ihipStream_tbPNSt15iterator_traitsISK_E10value_typeEPNSQ_ISL_E10value_typeEPSM_NS1_7vsmem_tEENKUlT_SK_SL_SM_E_clIPxSE_SF_SF_EESJ_SZ_SK_SL_SM_EUlSZ_E0_NS1_11comp_targetILNS1_3genE5ELNS1_11target_archE942ELNS1_3gpuE9ELNS1_3repE0EEENS1_38merge_mergepath_config_static_selectorELNS0_4arch9wavefront6targetE1EEEvSL_,comdat
.Lfunc_end1420:
	.size	_ZN7rocprim17ROCPRIM_400000_NS6detail17trampoline_kernelINS0_14default_configENS1_38merge_sort_block_merge_config_selectorIxNS0_10empty_typeEEEZZNS1_27merge_sort_block_merge_implIS3_N6thrust23THRUST_200600_302600_NS6detail15normal_iteratorINS9_10device_ptrIxEEEEPS5_jNS1_19radix_merge_compareILb0ELb0ExNS0_19identity_decomposerEEEEE10hipError_tT0_T1_T2_jT3_P12ihipStream_tbPNSt15iterator_traitsISK_E10value_typeEPNSQ_ISL_E10value_typeEPSM_NS1_7vsmem_tEENKUlT_SK_SL_SM_E_clIPxSE_SF_SF_EESJ_SZ_SK_SL_SM_EUlSZ_E0_NS1_11comp_targetILNS1_3genE5ELNS1_11target_archE942ELNS1_3gpuE9ELNS1_3repE0EEENS1_38merge_mergepath_config_static_selectorELNS0_4arch9wavefront6targetE1EEEvSL_, .Lfunc_end1420-_ZN7rocprim17ROCPRIM_400000_NS6detail17trampoline_kernelINS0_14default_configENS1_38merge_sort_block_merge_config_selectorIxNS0_10empty_typeEEEZZNS1_27merge_sort_block_merge_implIS3_N6thrust23THRUST_200600_302600_NS6detail15normal_iteratorINS9_10device_ptrIxEEEEPS5_jNS1_19radix_merge_compareILb0ELb0ExNS0_19identity_decomposerEEEEE10hipError_tT0_T1_T2_jT3_P12ihipStream_tbPNSt15iterator_traitsISK_E10value_typeEPNSQ_ISL_E10value_typeEPSM_NS1_7vsmem_tEENKUlT_SK_SL_SM_E_clIPxSE_SF_SF_EESJ_SZ_SK_SL_SM_EUlSZ_E0_NS1_11comp_targetILNS1_3genE5ELNS1_11target_archE942ELNS1_3gpuE9ELNS1_3repE0EEENS1_38merge_mergepath_config_static_selectorELNS0_4arch9wavefront6targetE1EEEvSL_
                                        ; -- End function
	.section	.AMDGPU.csdata,"",@progbits
; Kernel info:
; codeLenInByte = 0
; NumSgprs: 4
; NumVgprs: 0
; NumAgprs: 0
; TotalNumVgprs: 0
; ScratchSize: 0
; MemoryBound: 0
; FloatMode: 240
; IeeeMode: 1
; LDSByteSize: 0 bytes/workgroup (compile time only)
; SGPRBlocks: 0
; VGPRBlocks: 0
; NumSGPRsForWavesPerEU: 4
; NumVGPRsForWavesPerEU: 1
; AccumOffset: 4
; Occupancy: 8
; WaveLimiterHint : 0
; COMPUTE_PGM_RSRC2:SCRATCH_EN: 0
; COMPUTE_PGM_RSRC2:USER_SGPR: 6
; COMPUTE_PGM_RSRC2:TRAP_HANDLER: 0
; COMPUTE_PGM_RSRC2:TGID_X_EN: 1
; COMPUTE_PGM_RSRC2:TGID_Y_EN: 0
; COMPUTE_PGM_RSRC2:TGID_Z_EN: 0
; COMPUTE_PGM_RSRC2:TIDIG_COMP_CNT: 0
; COMPUTE_PGM_RSRC3_GFX90A:ACCUM_OFFSET: 0
; COMPUTE_PGM_RSRC3_GFX90A:TG_SPLIT: 0
	.section	.text._ZN7rocprim17ROCPRIM_400000_NS6detail17trampoline_kernelINS0_14default_configENS1_38merge_sort_block_merge_config_selectorIxNS0_10empty_typeEEEZZNS1_27merge_sort_block_merge_implIS3_N6thrust23THRUST_200600_302600_NS6detail15normal_iteratorINS9_10device_ptrIxEEEEPS5_jNS1_19radix_merge_compareILb0ELb0ExNS0_19identity_decomposerEEEEE10hipError_tT0_T1_T2_jT3_P12ihipStream_tbPNSt15iterator_traitsISK_E10value_typeEPNSQ_ISL_E10value_typeEPSM_NS1_7vsmem_tEENKUlT_SK_SL_SM_E_clIPxSE_SF_SF_EESJ_SZ_SK_SL_SM_EUlSZ_E0_NS1_11comp_targetILNS1_3genE4ELNS1_11target_archE910ELNS1_3gpuE8ELNS1_3repE0EEENS1_38merge_mergepath_config_static_selectorELNS0_4arch9wavefront6targetE1EEEvSL_,"axG",@progbits,_ZN7rocprim17ROCPRIM_400000_NS6detail17trampoline_kernelINS0_14default_configENS1_38merge_sort_block_merge_config_selectorIxNS0_10empty_typeEEEZZNS1_27merge_sort_block_merge_implIS3_N6thrust23THRUST_200600_302600_NS6detail15normal_iteratorINS9_10device_ptrIxEEEEPS5_jNS1_19radix_merge_compareILb0ELb0ExNS0_19identity_decomposerEEEEE10hipError_tT0_T1_T2_jT3_P12ihipStream_tbPNSt15iterator_traitsISK_E10value_typeEPNSQ_ISL_E10value_typeEPSM_NS1_7vsmem_tEENKUlT_SK_SL_SM_E_clIPxSE_SF_SF_EESJ_SZ_SK_SL_SM_EUlSZ_E0_NS1_11comp_targetILNS1_3genE4ELNS1_11target_archE910ELNS1_3gpuE8ELNS1_3repE0EEENS1_38merge_mergepath_config_static_selectorELNS0_4arch9wavefront6targetE1EEEvSL_,comdat
	.protected	_ZN7rocprim17ROCPRIM_400000_NS6detail17trampoline_kernelINS0_14default_configENS1_38merge_sort_block_merge_config_selectorIxNS0_10empty_typeEEEZZNS1_27merge_sort_block_merge_implIS3_N6thrust23THRUST_200600_302600_NS6detail15normal_iteratorINS9_10device_ptrIxEEEEPS5_jNS1_19radix_merge_compareILb0ELb0ExNS0_19identity_decomposerEEEEE10hipError_tT0_T1_T2_jT3_P12ihipStream_tbPNSt15iterator_traitsISK_E10value_typeEPNSQ_ISL_E10value_typeEPSM_NS1_7vsmem_tEENKUlT_SK_SL_SM_E_clIPxSE_SF_SF_EESJ_SZ_SK_SL_SM_EUlSZ_E0_NS1_11comp_targetILNS1_3genE4ELNS1_11target_archE910ELNS1_3gpuE8ELNS1_3repE0EEENS1_38merge_mergepath_config_static_selectorELNS0_4arch9wavefront6targetE1EEEvSL_ ; -- Begin function _ZN7rocprim17ROCPRIM_400000_NS6detail17trampoline_kernelINS0_14default_configENS1_38merge_sort_block_merge_config_selectorIxNS0_10empty_typeEEEZZNS1_27merge_sort_block_merge_implIS3_N6thrust23THRUST_200600_302600_NS6detail15normal_iteratorINS9_10device_ptrIxEEEEPS5_jNS1_19radix_merge_compareILb0ELb0ExNS0_19identity_decomposerEEEEE10hipError_tT0_T1_T2_jT3_P12ihipStream_tbPNSt15iterator_traitsISK_E10value_typeEPNSQ_ISL_E10value_typeEPSM_NS1_7vsmem_tEENKUlT_SK_SL_SM_E_clIPxSE_SF_SF_EESJ_SZ_SK_SL_SM_EUlSZ_E0_NS1_11comp_targetILNS1_3genE4ELNS1_11target_archE910ELNS1_3gpuE8ELNS1_3repE0EEENS1_38merge_mergepath_config_static_selectorELNS0_4arch9wavefront6targetE1EEEvSL_
	.globl	_ZN7rocprim17ROCPRIM_400000_NS6detail17trampoline_kernelINS0_14default_configENS1_38merge_sort_block_merge_config_selectorIxNS0_10empty_typeEEEZZNS1_27merge_sort_block_merge_implIS3_N6thrust23THRUST_200600_302600_NS6detail15normal_iteratorINS9_10device_ptrIxEEEEPS5_jNS1_19radix_merge_compareILb0ELb0ExNS0_19identity_decomposerEEEEE10hipError_tT0_T1_T2_jT3_P12ihipStream_tbPNSt15iterator_traitsISK_E10value_typeEPNSQ_ISL_E10value_typeEPSM_NS1_7vsmem_tEENKUlT_SK_SL_SM_E_clIPxSE_SF_SF_EESJ_SZ_SK_SL_SM_EUlSZ_E0_NS1_11comp_targetILNS1_3genE4ELNS1_11target_archE910ELNS1_3gpuE8ELNS1_3repE0EEENS1_38merge_mergepath_config_static_selectorELNS0_4arch9wavefront6targetE1EEEvSL_
	.p2align	8
	.type	_ZN7rocprim17ROCPRIM_400000_NS6detail17trampoline_kernelINS0_14default_configENS1_38merge_sort_block_merge_config_selectorIxNS0_10empty_typeEEEZZNS1_27merge_sort_block_merge_implIS3_N6thrust23THRUST_200600_302600_NS6detail15normal_iteratorINS9_10device_ptrIxEEEEPS5_jNS1_19radix_merge_compareILb0ELb0ExNS0_19identity_decomposerEEEEE10hipError_tT0_T1_T2_jT3_P12ihipStream_tbPNSt15iterator_traitsISK_E10value_typeEPNSQ_ISL_E10value_typeEPSM_NS1_7vsmem_tEENKUlT_SK_SL_SM_E_clIPxSE_SF_SF_EESJ_SZ_SK_SL_SM_EUlSZ_E0_NS1_11comp_targetILNS1_3genE4ELNS1_11target_archE910ELNS1_3gpuE8ELNS1_3repE0EEENS1_38merge_mergepath_config_static_selectorELNS0_4arch9wavefront6targetE1EEEvSL_,@function
_ZN7rocprim17ROCPRIM_400000_NS6detail17trampoline_kernelINS0_14default_configENS1_38merge_sort_block_merge_config_selectorIxNS0_10empty_typeEEEZZNS1_27merge_sort_block_merge_implIS3_N6thrust23THRUST_200600_302600_NS6detail15normal_iteratorINS9_10device_ptrIxEEEEPS5_jNS1_19radix_merge_compareILb0ELb0ExNS0_19identity_decomposerEEEEE10hipError_tT0_T1_T2_jT3_P12ihipStream_tbPNSt15iterator_traitsISK_E10value_typeEPNSQ_ISL_E10value_typeEPSM_NS1_7vsmem_tEENKUlT_SK_SL_SM_E_clIPxSE_SF_SF_EESJ_SZ_SK_SL_SM_EUlSZ_E0_NS1_11comp_targetILNS1_3genE4ELNS1_11target_archE910ELNS1_3gpuE8ELNS1_3repE0EEENS1_38merge_mergepath_config_static_selectorELNS0_4arch9wavefront6targetE1EEEvSL_: ; @_ZN7rocprim17ROCPRIM_400000_NS6detail17trampoline_kernelINS0_14default_configENS1_38merge_sort_block_merge_config_selectorIxNS0_10empty_typeEEEZZNS1_27merge_sort_block_merge_implIS3_N6thrust23THRUST_200600_302600_NS6detail15normal_iteratorINS9_10device_ptrIxEEEEPS5_jNS1_19radix_merge_compareILb0ELb0ExNS0_19identity_decomposerEEEEE10hipError_tT0_T1_T2_jT3_P12ihipStream_tbPNSt15iterator_traitsISK_E10value_typeEPNSQ_ISL_E10value_typeEPSM_NS1_7vsmem_tEENKUlT_SK_SL_SM_E_clIPxSE_SF_SF_EESJ_SZ_SK_SL_SM_EUlSZ_E0_NS1_11comp_targetILNS1_3genE4ELNS1_11target_archE910ELNS1_3gpuE8ELNS1_3repE0EEENS1_38merge_mergepath_config_static_selectorELNS0_4arch9wavefront6targetE1EEEvSL_
; %bb.0:
	s_load_dwordx2 s[14:15], s[4:5], 0x40
	s_load_dword s3, s[4:5], 0x30
	s_add_u32 s0, s4, 64
	s_addc_u32 s1, s5, 0
	s_waitcnt lgkmcnt(0)
	s_mul_i32 s2, s15, s8
	s_add_i32 s2, s2, s7
	s_mul_i32 s2, s2, s14
	s_add_i32 s2, s2, s6
	s_cmp_ge_u32 s2, s3
	s_cbranch_scc1 .LBB1421_31
; %bb.1:
	s_load_dwordx2 s[8:9], s[4:5], 0x28
	s_load_dwordx2 s[10:11], s[4:5], 0x38
	;; [unrolled: 1-line block ×3, first 2 shown]
	s_mov_b32 s3, 0
	v_mov_b32_e32 v9, 0
	s_waitcnt lgkmcnt(0)
	s_lshr_b32 s7, s8, 10
	s_cmp_lg_u32 s2, s7
	s_cselect_b64 s[12:13], -1, 0
	s_lshl_b64 s[18:19], s[2:3], 2
	s_add_u32 s10, s10, s18
	s_addc_u32 s11, s11, s19
	s_load_dwordx2 s[18:19], s[10:11], 0x0
	s_lshr_b32 s10, s9, 9
	s_and_b32 s10, s10, 0x7ffffe
	s_sub_i32 s11, 0, s10
	s_and_b32 s15, s2, s11
	s_lshl_b32 s21, s15, 10
	s_lshl_b32 s10, s2, 10
	;; [unrolled: 1-line block ×3, first 2 shown]
	s_sub_i32 s20, s10, s21
	s_add_i32 s15, s15, s9
	s_add_i32 s22, s15, s20
	s_waitcnt lgkmcnt(0)
	s_sub_i32 s20, s22, s18
	s_sub_i32 s22, s22, s19
	;; [unrolled: 1-line block ×3, first 2 shown]
	s_min_u32 s20, s8, s20
	s_addk_i32 s22, 0x400
	s_or_b32 s11, s2, s11
	s_min_u32 s21, s8, s15
	s_add_i32 s15, s15, s9
	s_cmp_eq_u32 s11, -1
	s_cselect_b32 s9, s15, s22
	s_cselect_b32 s11, s21, s19
	s_min_u32 s15, s9, s8
	s_mov_b32 s19, s3
	s_sub_i32 s9, s11, s18
	s_sub_i32 s15, s15, s20
	s_lshl_b64 s[18:19], s[18:19], 3
	s_add_u32 s18, s16, s18
	s_mov_b32 s21, s3
	s_addc_u32 s19, s17, s19
	s_lshl_b64 s[20:21], s[20:21], 3
	s_add_u32 s16, s16, s20
	s_addc_u32 s17, s17, s21
	s_cmp_lt_u32 s6, s14
	s_cselect_b32 s3, 12, 18
	global_load_dword v1, v9, s[0:1] offset:14
	s_add_u32 s0, s0, s3
	s_addc_u32 s1, s1, 0
	global_load_ushort v2, v9, s[0:1]
	s_cmp_eq_u32 s2, s7
	s_waitcnt vmcnt(1)
	v_lshrrev_b32_e32 v3, 16, v1
	v_and_b32_e32 v1, 0xffff, v1
	v_mul_lo_u32 v1, v1, v3
	s_waitcnt vmcnt(0)
	v_mul_lo_u32 v14, v1, v2
	v_add_u32_e32 v12, v14, v0
	v_lshlrev_b32_e32 v1, 3, v0
	v_add_u32_e32 v10, v12, v14
	s_cbranch_scc1 .LBB1421_3
; %bb.2:
	v_mov_b32_e32 v2, s19
	v_add_co_u32_e32 v4, vcc, s18, v1
	v_subrev_u32_e32 v8, s9, v0
	v_addc_co_u32_e32 v5, vcc, 0, v2, vcc
	v_lshlrev_b64 v[2:3], 3, v[8:9]
	v_mov_b32_e32 v6, s17
	v_add_co_u32_e32 v2, vcc, s16, v2
	v_addc_co_u32_e32 v3, vcc, v6, v3, vcc
	v_cmp_gt_u32_e32 vcc, s9, v0
	v_mov_b32_e32 v13, v9
	v_cndmask_b32_e32 v3, v3, v5, vcc
	v_cndmask_b32_e32 v2, v2, v4, vcc
	v_lshlrev_b64 v[4:5], 3, v[12:13]
	v_mov_b32_e32 v6, s19
	v_add_co_u32_e32 v7, vcc, s18, v4
	v_subrev_u32_e32 v8, s9, v12
	v_addc_co_u32_e32 v6, vcc, v6, v5, vcc
	v_lshlrev_b64 v[4:5], 3, v[8:9]
	v_mov_b32_e32 v8, s17
	v_add_co_u32_e32 v4, vcc, s16, v4
	v_addc_co_u32_e32 v5, vcc, v8, v5, vcc
	v_cmp_gt_u32_e32 vcc, s9, v12
	v_mov_b32_e32 v11, v9
	v_cndmask_b32_e32 v5, v5, v6, vcc
	v_cndmask_b32_e32 v4, v4, v7, vcc
	v_lshlrev_b64 v[6:7], 3, v[10:11]
	v_mov_b32_e32 v8, s19
	v_add_co_u32_e32 v11, vcc, s18, v6
	v_addc_co_u32_e32 v13, vcc, v8, v7, vcc
	v_subrev_u32_e32 v8, s9, v10
	v_lshlrev_b64 v[6:7], 3, v[8:9]
	v_mov_b32_e32 v8, s17
	v_add_co_u32_e32 v6, vcc, s16, v6
	v_addc_co_u32_e32 v7, vcc, v8, v7, vcc
	v_add_u32_e32 v8, v10, v14
	v_cmp_gt_u32_e32 vcc, s9, v10
	v_lshlrev_b64 v[16:17], 3, v[8:9]
	v_cndmask_b32_e32 v7, v7, v13, vcc
	v_cndmask_b32_e32 v6, v6, v11, vcc
	v_mov_b32_e32 v11, s19
	v_add_co_u32_e32 v13, vcc, s18, v16
	v_addc_co_u32_e32 v11, vcc, v11, v17, vcc
	v_cmp_gt_u32_e32 vcc, s9, v8
	v_subrev_u32_e32 v8, s9, v8
	v_lshlrev_b64 v[8:9], 3, v[8:9]
	v_mov_b32_e32 v15, s17
	v_add_co_u32_e64 v8, s[0:1], s16, v8
	v_addc_co_u32_e64 v9, s[0:1], v15, v9, s[0:1]
	v_cndmask_b32_e32 v9, v9, v11, vcc
	v_cndmask_b32_e32 v8, v8, v13, vcc
	global_load_dwordx2 v[2:3], v[2:3], off
	s_add_i32 s11, s15, s9
	global_load_dwordx2 v[4:5], v[4:5], off
	s_nop 0
	global_load_dwordx2 v[6:7], v[6:7], off
	s_nop 0
	global_load_dwordx2 v[8:9], v[8:9], off
	s_load_dwordx2 s[6:7], s[4:5], 0x10
	s_cbranch_execz .LBB1421_4
	s_branch .LBB1421_11
.LBB1421_3:
                                        ; implicit-def: $vgpr2_vgpr3_vgpr4_vgpr5_vgpr6_vgpr7_vgpr8_vgpr9
                                        ; implicit-def: $sgpr11
	s_load_dwordx2 s[6:7], s[4:5], 0x10
.LBB1421_4:
	s_add_i32 s11, s15, s9
	v_cmp_gt_u32_e32 vcc, s11, v0
                                        ; implicit-def: $vgpr2_vgpr3_vgpr4_vgpr5_vgpr6_vgpr7_vgpr8_vgpr9
	s_and_saveexec_b64 s[0:1], vcc
	s_cbranch_execnz .LBB1421_32
; %bb.5:
	s_or_b64 exec, exec, s[0:1]
	v_cmp_gt_u32_e32 vcc, s11, v12
	s_and_saveexec_b64 s[2:3], vcc
	s_cbranch_execnz .LBB1421_33
.LBB1421_6:
	s_or_b64 exec, exec, s[2:3]
	v_cmp_gt_u32_e32 vcc, s11, v10
	s_and_saveexec_b64 s[0:1], vcc
	s_cbranch_execz .LBB1421_8
.LBB1421_7:
	v_mov_b32_e32 v11, 0
	s_waitcnt vmcnt(1)
	v_lshlrev_b64 v[6:7], 3, v[10:11]
	v_mov_b32_e32 v12, s19
	v_add_co_u32_e32 v13, vcc, s18, v6
	v_addc_co_u32_e32 v12, vcc, v12, v7, vcc
	v_subrev_u32_e32 v6, s9, v10
	v_mov_b32_e32 v7, v11
	v_lshlrev_b64 v[6:7], 3, v[6:7]
	v_mov_b32_e32 v11, s17
	v_add_co_u32_e32 v6, vcc, s16, v6
	v_addc_co_u32_e32 v7, vcc, v11, v7, vcc
	v_cmp_gt_u32_e32 vcc, s9, v10
	v_cndmask_b32_e32 v7, v7, v12, vcc
	v_cndmask_b32_e32 v6, v6, v13, vcc
	global_load_dwordx2 v[6:7], v[6:7], off
.LBB1421_8:
	s_or_b64 exec, exec, s[0:1]
	v_add_u32_e32 v10, v10, v14
	v_cmp_gt_u32_e32 vcc, s11, v10
	s_and_saveexec_b64 s[2:3], vcc
	s_cbranch_execz .LBB1421_10
; %bb.9:
	v_mov_b32_e32 v11, 0
	s_waitcnt vmcnt(0)
	v_lshlrev_b64 v[8:9], 3, v[10:11]
	v_mov_b32_e32 v12, s19
	v_add_co_u32_e32 v13, vcc, s18, v8
	v_addc_co_u32_e32 v12, vcc, v12, v9, vcc
	v_cmp_gt_u32_e32 vcc, s9, v10
	v_subrev_u32_e32 v10, s9, v10
	v_lshlrev_b64 v[8:9], 3, v[10:11]
	v_mov_b32_e32 v10, s17
	v_add_co_u32_e64 v8, s[0:1], s16, v8
	v_addc_co_u32_e64 v9, s[0:1], v10, v9, s[0:1]
	v_cndmask_b32_e32 v9, v9, v12, vcc
	v_cndmask_b32_e32 v8, v8, v13, vcc
	global_load_dwordx2 v[8:9], v[8:9], off
.LBB1421_10:
	s_or_b64 exec, exec, s[2:3]
.LBB1421_11:
	v_lshlrev_b32_e32 v10, 2, v0
	v_min_u32_e32 v12, s11, v10
	v_sub_u32_e64 v11, v12, s15 clamp
	v_min_u32_e32 v13, s9, v12
	v_cmp_lt_u32_e32 vcc, v11, v13
	s_waitcnt vmcnt(0)
	ds_write2st64_b64 v1, v[2:3], v[4:5] offset1:4
	ds_write2st64_b64 v1, v[6:7], v[8:9] offset0:8 offset1:12
	s_waitcnt lgkmcnt(0)
	s_barrier
	s_and_saveexec_b64 s[0:1], vcc
	s_cbranch_execz .LBB1421_15
; %bb.12:
	v_lshlrev_b32_e32 v14, 3, v12
	v_lshl_add_u32 v14, s9, 3, v14
	s_mov_b64 s[2:3], 0
.LBB1421_13:                            ; =>This Inner Loop Header: Depth=1
	v_add_u32_e32 v15, v13, v11
	v_lshrrev_b32_e32 v15, 1, v15
	v_not_b32_e32 v16, v15
	v_lshlrev_b32_e32 v17, 3, v15
	v_lshl_add_u32 v18, v16, 3, v14
	ds_read_b64 v[16:17], v17
	ds_read_b64 v[18:19], v18
	v_add_u32_e32 v20, 1, v15
	s_waitcnt lgkmcnt(0)
	v_cmp_gt_i64_e32 vcc, v[16:17], v[18:19]
	v_cndmask_b32_e32 v13, v13, v15, vcc
	v_cndmask_b32_e32 v11, v20, v11, vcc
	v_cmp_ge_u32_e32 vcc, v11, v13
	s_or_b64 s[2:3], vcc, s[2:3]
	s_andn2_b64 exec, exec, s[2:3]
	s_cbranch_execnz .LBB1421_13
; %bb.14:
	s_or_b64 exec, exec, s[2:3]
.LBB1421_15:
	s_or_b64 exec, exec, s[0:1]
	v_sub_u32_e32 v12, v12, v11
	v_add_u32_e32 v12, s9, v12
	v_cmp_ge_u32_e32 vcc, s9, v11
	v_cmp_ge_u32_e64 s[0:1], s11, v12
	s_or_b64 s[0:1], vcc, s[0:1]
	s_and_saveexec_b64 s[14:15], s[0:1]
	s_cbranch_execz .LBB1421_21
; %bb.16:
	v_cmp_gt_u32_e32 vcc, s9, v11
                                        ; implicit-def: $vgpr2_vgpr3
	s_and_saveexec_b64 s[0:1], vcc
	s_cbranch_execz .LBB1421_18
; %bb.17:
	v_lshlrev_b32_e32 v2, 3, v11
	ds_read_b64 v[2:3], v2
.LBB1421_18:
	s_or_b64 exec, exec, s[0:1]
	v_cmp_le_u32_e64 s[0:1], s11, v12
	v_cmp_gt_u32_e64 s[2:3], s11, v12
                                        ; implicit-def: $vgpr4_vgpr5
	s_and_saveexec_b64 s[4:5], s[2:3]
	s_cbranch_execz .LBB1421_20
; %bb.19:
	v_lshlrev_b32_e32 v4, 3, v12
	ds_read_b64 v[4:5], v4
.LBB1421_20:
	s_or_b64 exec, exec, s[4:5]
	s_waitcnt lgkmcnt(0)
	v_cmp_le_i64_e64 s[2:3], v[2:3], v[4:5]
	s_and_b64 s[2:3], vcc, s[2:3]
	s_or_b64 vcc, s[0:1], s[2:3]
	v_mov_b32_e32 v16, s11
	v_mov_b32_e32 v17, s9
	v_cndmask_b32_e32 v6, v12, v11, vcc
	v_cndmask_b32_e32 v7, v16, v17, vcc
	v_add_u32_e32 v13, 1, v6
	v_add_u32_e32 v6, -1, v7
	v_min_u32_e32 v6, v13, v6
	v_lshlrev_b32_e32 v6, 3, v6
	ds_read_b64 v[6:7], v6
	v_cndmask_b32_e32 v11, v11, v13, vcc
	v_cndmask_b32_e32 v18, v13, v12, vcc
	v_cmp_gt_u32_e64 s[2:3], s9, v11
	v_cmp_le_u32_e64 s[0:1], s11, v18
	s_waitcnt lgkmcnt(0)
	v_cndmask_b32_e32 v9, v7, v5, vcc
	v_cndmask_b32_e32 v8, v6, v4, vcc
	;; [unrolled: 1-line block ×4, first 2 shown]
	v_cmp_le_i64_e64 s[4:5], v[6:7], v[8:9]
	s_and_b64 s[2:3], s[2:3], s[4:5]
	s_or_b64 s[0:1], s[0:1], s[2:3]
	v_cndmask_b32_e64 v12, v18, v11, s[0:1]
	v_cndmask_b32_e64 v13, v16, v17, s[0:1]
	v_add_u32_e32 v19, 1, v12
	v_add_u32_e32 v12, -1, v13
	v_min_u32_e32 v12, v19, v12
	v_lshlrev_b32_e32 v12, 3, v12
	ds_read_b64 v[12:13], v12
	v_cndmask_b32_e64 v11, v11, v19, s[0:1]
	v_cndmask_b32_e64 v18, v19, v18, s[0:1]
	v_cmp_gt_u32_e64 s[2:3], s9, v11
	v_cndmask_b32_e32 v3, v5, v3, vcc
	s_waitcnt lgkmcnt(0)
	v_cndmask_b32_e64 v15, v13, v9, s[0:1]
	v_cndmask_b32_e64 v14, v12, v8, s[0:1]
	;; [unrolled: 1-line block ×4, first 2 shown]
	v_cmp_le_i64_e64 s[4:5], v[12:13], v[14:15]
	v_cndmask_b32_e32 v2, v4, v2, vcc
	v_cmp_le_u32_e32 vcc, s11, v18
	s_and_b64 s[2:3], s[2:3], s[4:5]
	s_or_b64 vcc, vcc, s[2:3]
	v_cndmask_b32_e32 v4, v18, v11, vcc
	v_cndmask_b32_e32 v5, v16, v17, vcc
	v_add_u32_e32 v19, 1, v4
	v_add_u32_e32 v4, -1, v5
	v_min_u32_e32 v4, v19, v4
	v_lshlrev_b32_e32 v4, 3, v4
	ds_read_b64 v[16:17], v4
	v_cndmask_b32_e64 v5, v9, v7, s[0:1]
	v_cndmask_b32_e64 v4, v8, v6, s[0:1]
	v_cndmask_b32_e32 v7, v15, v13, vcc
	v_cndmask_b32_e32 v6, v14, v12, vcc
	s_waitcnt lgkmcnt(0)
	v_cndmask_b32_e32 v9, v17, v15, vcc
	v_cndmask_b32_e32 v8, v16, v14, vcc
	;; [unrolled: 1-line block ×6, first 2 shown]
	v_cmp_gt_u32_e64 s[0:1], s9, v11
	v_cmp_le_i64_e64 s[2:3], v[12:13], v[8:9]
	v_cmp_le_u32_e32 vcc, s11, v14
	s_and_b64 s[0:1], s[0:1], s[2:3]
	s_or_b64 vcc, vcc, s[0:1]
	v_cndmask_b32_e32 v9, v9, v13, vcc
	v_cndmask_b32_e32 v8, v8, v12, vcc
.LBB1421_21:
	s_or_b64 exec, exec, s[14:15]
	v_and_b32_e32 v11, 0xf8, v0
	v_lshl_add_u32 v10, v10, 3, v11
	s_barrier
	s_barrier
	ds_write2_b64 v10, v[2:3], v[4:5] offset1:1
	ds_write2_b64 v10, v[6:7], v[8:9] offset0:2 offset1:3
	v_lshrrev_b32_e32 v2, 2, v0
	v_and_b32_e32 v2, 56, v2
	v_or_b32_e32 v12, 0x100, v0
	v_add_u32_e32 v13, v1, v2
	v_lshrrev_b32_e32 v2, 2, v12
	v_and_b32_e32 v2, 0x78, v2
	v_or_b32_e32 v11, 0x200, v0
	s_mov_b32 s11, 0
	v_add_u32_e32 v6, v1, v2
	v_lshrrev_b32_e32 v2, 2, v11
	s_lshl_b64 s[0:1], s[10:11], 3
	v_and_b32_e32 v2, 0xb8, v2
	v_or_b32_e32 v10, 0x300, v0
	s_add_u32 s0, s6, s0
	v_add_u32_e32 v7, v1, v2
	v_lshrrev_b32_e32 v2, 2, v10
	s_addc_u32 s1, s7, s1
	v_and_b32_e32 v2, 0xf8, v2
	v_add_u32_e32 v14, v1, v2
	v_mov_b32_e32 v3, s1
	v_add_co_u32_e32 v2, vcc, s0, v1
	v_addc_co_u32_e32 v3, vcc, 0, v3, vcc
	s_and_b64 vcc, exec, s[12:13]
	s_waitcnt lgkmcnt(0)
	s_cbranch_vccz .LBB1421_23
; %bb.22:
	s_barrier
	ds_read_b64 v[8:9], v13
	ds_read_b64 v[16:17], v6 offset:2048
	ds_read_b64 v[18:19], v7 offset:4096
	;; [unrolled: 1-line block ×3, first 2 shown]
	s_waitcnt lgkmcnt(3)
	global_store_dwordx2 v[2:3], v[8:9], off
	s_waitcnt lgkmcnt(2)
	global_store_dwordx2 v[2:3], v[16:17], off offset:2048
	v_add_co_u32_e32 v8, vcc, 0x1000, v2
	v_addc_co_u32_e32 v9, vcc, 0, v3, vcc
	s_waitcnt lgkmcnt(1)
	global_store_dwordx2 v[8:9], v[18:19], off
	s_mov_b64 s[0:1], -1
	s_cbranch_execz .LBB1421_24
	s_branch .LBB1421_29
.LBB1421_23:
	s_mov_b64 s[0:1], 0
                                        ; implicit-def: $vgpr4_vgpr5
.LBB1421_24:
	s_barrier
	s_waitcnt lgkmcnt(0)
	ds_read_b64 v[8:9], v6 offset:2048
	ds_read_b64 v[6:7], v7 offset:4096
	;; [unrolled: 1-line block ×3, first 2 shown]
	s_sub_i32 s2, s8, s10
	v_cmp_gt_u32_e32 vcc, s2, v0
	s_and_saveexec_b64 s[0:1], vcc
	s_cbranch_execnz .LBB1421_34
; %bb.25:
	s_or_b64 exec, exec, s[0:1]
	v_cmp_gt_u32_e32 vcc, s2, v12
	s_and_saveexec_b64 s[0:1], vcc
	s_cbranch_execnz .LBB1421_35
.LBB1421_26:
	s_or_b64 exec, exec, s[0:1]
	v_cmp_gt_u32_e32 vcc, s2, v11
	s_and_saveexec_b64 s[0:1], vcc
	s_cbranch_execz .LBB1421_28
.LBB1421_27:
	v_add_co_u32_e32 v0, vcc, 0x1000, v2
	v_addc_co_u32_e32 v1, vcc, 0, v3, vcc
	s_waitcnt lgkmcnt(1)
	global_store_dwordx2 v[0:1], v[6:7], off
.LBB1421_28:
	s_or_b64 exec, exec, s[0:1]
	v_cmp_gt_u32_e64 s[0:1], s2, v10
.LBB1421_29:
	s_and_saveexec_b64 s[2:3], s[0:1]
	s_cbranch_execz .LBB1421_31
; %bb.30:
	v_add_co_u32_e32 v0, vcc, 0x1000, v2
	v_addc_co_u32_e32 v1, vcc, 0, v3, vcc
	s_waitcnt lgkmcnt(0)
	global_store_dwordx2 v[0:1], v[4:5], off offset:2048
.LBB1421_31:
	s_endpgm
.LBB1421_32:
	s_waitcnt vmcnt(3)
	v_mov_b32_e32 v2, s19
	s_waitcnt vmcnt(2)
	v_add_co_u32_e32 v4, vcc, s18, v1
	v_mov_b32_e32 v3, 0
	v_addc_co_u32_e32 v5, vcc, 0, v2, vcc
	v_subrev_u32_e32 v2, s9, v0
	v_lshlrev_b64 v[2:3], 3, v[2:3]
	s_waitcnt vmcnt(1)
	v_mov_b32_e32 v6, s17
	v_add_co_u32_e32 v2, vcc, s16, v2
	v_addc_co_u32_e32 v3, vcc, v6, v3, vcc
	v_cmp_gt_u32_e32 vcc, s9, v0
	v_cndmask_b32_e32 v3, v3, v5, vcc
	v_cndmask_b32_e32 v2, v2, v4, vcc
	global_load_dwordx2 v[2:3], v[2:3], off
	s_or_b64 exec, exec, s[0:1]
	v_cmp_gt_u32_e32 vcc, s11, v12
	s_and_saveexec_b64 s[2:3], vcc
	s_cbranch_execz .LBB1421_6
.LBB1421_33:
	v_mov_b32_e32 v13, 0
	s_waitcnt vmcnt(2)
	v_lshlrev_b64 v[4:5], 3, v[12:13]
	v_mov_b32_e32 v11, s19
	v_add_co_u32_e32 v15, vcc, s18, v4
	v_addc_co_u32_e32 v11, vcc, v11, v5, vcc
	v_cmp_gt_u32_e32 vcc, s9, v12
	v_subrev_u32_e32 v12, s9, v12
	v_lshlrev_b64 v[4:5], 3, v[12:13]
	v_mov_b32_e32 v12, s17
	v_add_co_u32_e64 v4, s[0:1], s16, v4
	v_addc_co_u32_e64 v5, s[0:1], v12, v5, s[0:1]
	v_cndmask_b32_e32 v5, v5, v11, vcc
	v_cndmask_b32_e32 v4, v4, v15, vcc
	global_load_dwordx2 v[4:5], v[4:5], off
	s_or_b64 exec, exec, s[2:3]
	v_cmp_gt_u32_e32 vcc, s11, v10
	s_and_saveexec_b64 s[0:1], vcc
	s_cbranch_execnz .LBB1421_7
	s_branch .LBB1421_8
.LBB1421_34:
	ds_read_b64 v[0:1], v13
	s_waitcnt lgkmcnt(0)
	global_store_dwordx2 v[2:3], v[0:1], off
	s_or_b64 exec, exec, s[0:1]
	v_cmp_gt_u32_e32 vcc, s2, v12
	s_and_saveexec_b64 s[0:1], vcc
	s_cbranch_execz .LBB1421_26
.LBB1421_35:
	s_waitcnt lgkmcnt(2)
	global_store_dwordx2 v[2:3], v[8:9], off offset:2048
	s_or_b64 exec, exec, s[0:1]
	v_cmp_gt_u32_e32 vcc, s2, v11
	s_and_saveexec_b64 s[0:1], vcc
	s_cbranch_execnz .LBB1421_27
	s_branch .LBB1421_28
	.section	.rodata,"a",@progbits
	.p2align	6, 0x0
	.amdhsa_kernel _ZN7rocprim17ROCPRIM_400000_NS6detail17trampoline_kernelINS0_14default_configENS1_38merge_sort_block_merge_config_selectorIxNS0_10empty_typeEEEZZNS1_27merge_sort_block_merge_implIS3_N6thrust23THRUST_200600_302600_NS6detail15normal_iteratorINS9_10device_ptrIxEEEEPS5_jNS1_19radix_merge_compareILb0ELb0ExNS0_19identity_decomposerEEEEE10hipError_tT0_T1_T2_jT3_P12ihipStream_tbPNSt15iterator_traitsISK_E10value_typeEPNSQ_ISL_E10value_typeEPSM_NS1_7vsmem_tEENKUlT_SK_SL_SM_E_clIPxSE_SF_SF_EESJ_SZ_SK_SL_SM_EUlSZ_E0_NS1_11comp_targetILNS1_3genE4ELNS1_11target_archE910ELNS1_3gpuE8ELNS1_3repE0EEENS1_38merge_mergepath_config_static_selectorELNS0_4arch9wavefront6targetE1EEEvSL_
		.amdhsa_group_segment_fixed_size 8448
		.amdhsa_private_segment_fixed_size 0
		.amdhsa_kernarg_size 320
		.amdhsa_user_sgpr_count 6
		.amdhsa_user_sgpr_private_segment_buffer 1
		.amdhsa_user_sgpr_dispatch_ptr 0
		.amdhsa_user_sgpr_queue_ptr 0
		.amdhsa_user_sgpr_kernarg_segment_ptr 1
		.amdhsa_user_sgpr_dispatch_id 0
		.amdhsa_user_sgpr_flat_scratch_init 0
		.amdhsa_user_sgpr_kernarg_preload_length 0
		.amdhsa_user_sgpr_kernarg_preload_offset 0
		.amdhsa_user_sgpr_private_segment_size 0
		.amdhsa_uses_dynamic_stack 0
		.amdhsa_system_sgpr_private_segment_wavefront_offset 0
		.amdhsa_system_sgpr_workgroup_id_x 1
		.amdhsa_system_sgpr_workgroup_id_y 1
		.amdhsa_system_sgpr_workgroup_id_z 1
		.amdhsa_system_sgpr_workgroup_info 0
		.amdhsa_system_vgpr_workitem_id 0
		.amdhsa_next_free_vgpr 21
		.amdhsa_next_free_sgpr 23
		.amdhsa_accum_offset 24
		.amdhsa_reserve_vcc 1
		.amdhsa_reserve_flat_scratch 0
		.amdhsa_float_round_mode_32 0
		.amdhsa_float_round_mode_16_64 0
		.amdhsa_float_denorm_mode_32 3
		.amdhsa_float_denorm_mode_16_64 3
		.amdhsa_dx10_clamp 1
		.amdhsa_ieee_mode 1
		.amdhsa_fp16_overflow 0
		.amdhsa_tg_split 0
		.amdhsa_exception_fp_ieee_invalid_op 0
		.amdhsa_exception_fp_denorm_src 0
		.amdhsa_exception_fp_ieee_div_zero 0
		.amdhsa_exception_fp_ieee_overflow 0
		.amdhsa_exception_fp_ieee_underflow 0
		.amdhsa_exception_fp_ieee_inexact 0
		.amdhsa_exception_int_div_zero 0
	.end_amdhsa_kernel
	.section	.text._ZN7rocprim17ROCPRIM_400000_NS6detail17trampoline_kernelINS0_14default_configENS1_38merge_sort_block_merge_config_selectorIxNS0_10empty_typeEEEZZNS1_27merge_sort_block_merge_implIS3_N6thrust23THRUST_200600_302600_NS6detail15normal_iteratorINS9_10device_ptrIxEEEEPS5_jNS1_19radix_merge_compareILb0ELb0ExNS0_19identity_decomposerEEEEE10hipError_tT0_T1_T2_jT3_P12ihipStream_tbPNSt15iterator_traitsISK_E10value_typeEPNSQ_ISL_E10value_typeEPSM_NS1_7vsmem_tEENKUlT_SK_SL_SM_E_clIPxSE_SF_SF_EESJ_SZ_SK_SL_SM_EUlSZ_E0_NS1_11comp_targetILNS1_3genE4ELNS1_11target_archE910ELNS1_3gpuE8ELNS1_3repE0EEENS1_38merge_mergepath_config_static_selectorELNS0_4arch9wavefront6targetE1EEEvSL_,"axG",@progbits,_ZN7rocprim17ROCPRIM_400000_NS6detail17trampoline_kernelINS0_14default_configENS1_38merge_sort_block_merge_config_selectorIxNS0_10empty_typeEEEZZNS1_27merge_sort_block_merge_implIS3_N6thrust23THRUST_200600_302600_NS6detail15normal_iteratorINS9_10device_ptrIxEEEEPS5_jNS1_19radix_merge_compareILb0ELb0ExNS0_19identity_decomposerEEEEE10hipError_tT0_T1_T2_jT3_P12ihipStream_tbPNSt15iterator_traitsISK_E10value_typeEPNSQ_ISL_E10value_typeEPSM_NS1_7vsmem_tEENKUlT_SK_SL_SM_E_clIPxSE_SF_SF_EESJ_SZ_SK_SL_SM_EUlSZ_E0_NS1_11comp_targetILNS1_3genE4ELNS1_11target_archE910ELNS1_3gpuE8ELNS1_3repE0EEENS1_38merge_mergepath_config_static_selectorELNS0_4arch9wavefront6targetE1EEEvSL_,comdat
.Lfunc_end1421:
	.size	_ZN7rocprim17ROCPRIM_400000_NS6detail17trampoline_kernelINS0_14default_configENS1_38merge_sort_block_merge_config_selectorIxNS0_10empty_typeEEEZZNS1_27merge_sort_block_merge_implIS3_N6thrust23THRUST_200600_302600_NS6detail15normal_iteratorINS9_10device_ptrIxEEEEPS5_jNS1_19radix_merge_compareILb0ELb0ExNS0_19identity_decomposerEEEEE10hipError_tT0_T1_T2_jT3_P12ihipStream_tbPNSt15iterator_traitsISK_E10value_typeEPNSQ_ISL_E10value_typeEPSM_NS1_7vsmem_tEENKUlT_SK_SL_SM_E_clIPxSE_SF_SF_EESJ_SZ_SK_SL_SM_EUlSZ_E0_NS1_11comp_targetILNS1_3genE4ELNS1_11target_archE910ELNS1_3gpuE8ELNS1_3repE0EEENS1_38merge_mergepath_config_static_selectorELNS0_4arch9wavefront6targetE1EEEvSL_, .Lfunc_end1421-_ZN7rocprim17ROCPRIM_400000_NS6detail17trampoline_kernelINS0_14default_configENS1_38merge_sort_block_merge_config_selectorIxNS0_10empty_typeEEEZZNS1_27merge_sort_block_merge_implIS3_N6thrust23THRUST_200600_302600_NS6detail15normal_iteratorINS9_10device_ptrIxEEEEPS5_jNS1_19radix_merge_compareILb0ELb0ExNS0_19identity_decomposerEEEEE10hipError_tT0_T1_T2_jT3_P12ihipStream_tbPNSt15iterator_traitsISK_E10value_typeEPNSQ_ISL_E10value_typeEPSM_NS1_7vsmem_tEENKUlT_SK_SL_SM_E_clIPxSE_SF_SF_EESJ_SZ_SK_SL_SM_EUlSZ_E0_NS1_11comp_targetILNS1_3genE4ELNS1_11target_archE910ELNS1_3gpuE8ELNS1_3repE0EEENS1_38merge_mergepath_config_static_selectorELNS0_4arch9wavefront6targetE1EEEvSL_
                                        ; -- End function
	.section	.AMDGPU.csdata,"",@progbits
; Kernel info:
; codeLenInByte = 2180
; NumSgprs: 27
; NumVgprs: 21
; NumAgprs: 0
; TotalNumVgprs: 21
; ScratchSize: 0
; MemoryBound: 0
; FloatMode: 240
; IeeeMode: 1
; LDSByteSize: 8448 bytes/workgroup (compile time only)
; SGPRBlocks: 3
; VGPRBlocks: 2
; NumSGPRsForWavesPerEU: 27
; NumVGPRsForWavesPerEU: 21
; AccumOffset: 24
; Occupancy: 7
; WaveLimiterHint : 1
; COMPUTE_PGM_RSRC2:SCRATCH_EN: 0
; COMPUTE_PGM_RSRC2:USER_SGPR: 6
; COMPUTE_PGM_RSRC2:TRAP_HANDLER: 0
; COMPUTE_PGM_RSRC2:TGID_X_EN: 1
; COMPUTE_PGM_RSRC2:TGID_Y_EN: 1
; COMPUTE_PGM_RSRC2:TGID_Z_EN: 1
; COMPUTE_PGM_RSRC2:TIDIG_COMP_CNT: 0
; COMPUTE_PGM_RSRC3_GFX90A:ACCUM_OFFSET: 5
; COMPUTE_PGM_RSRC3_GFX90A:TG_SPLIT: 0
	.section	.text._ZN7rocprim17ROCPRIM_400000_NS6detail17trampoline_kernelINS0_14default_configENS1_38merge_sort_block_merge_config_selectorIxNS0_10empty_typeEEEZZNS1_27merge_sort_block_merge_implIS3_N6thrust23THRUST_200600_302600_NS6detail15normal_iteratorINS9_10device_ptrIxEEEEPS5_jNS1_19radix_merge_compareILb0ELb0ExNS0_19identity_decomposerEEEEE10hipError_tT0_T1_T2_jT3_P12ihipStream_tbPNSt15iterator_traitsISK_E10value_typeEPNSQ_ISL_E10value_typeEPSM_NS1_7vsmem_tEENKUlT_SK_SL_SM_E_clIPxSE_SF_SF_EESJ_SZ_SK_SL_SM_EUlSZ_E0_NS1_11comp_targetILNS1_3genE3ELNS1_11target_archE908ELNS1_3gpuE7ELNS1_3repE0EEENS1_38merge_mergepath_config_static_selectorELNS0_4arch9wavefront6targetE1EEEvSL_,"axG",@progbits,_ZN7rocprim17ROCPRIM_400000_NS6detail17trampoline_kernelINS0_14default_configENS1_38merge_sort_block_merge_config_selectorIxNS0_10empty_typeEEEZZNS1_27merge_sort_block_merge_implIS3_N6thrust23THRUST_200600_302600_NS6detail15normal_iteratorINS9_10device_ptrIxEEEEPS5_jNS1_19radix_merge_compareILb0ELb0ExNS0_19identity_decomposerEEEEE10hipError_tT0_T1_T2_jT3_P12ihipStream_tbPNSt15iterator_traitsISK_E10value_typeEPNSQ_ISL_E10value_typeEPSM_NS1_7vsmem_tEENKUlT_SK_SL_SM_E_clIPxSE_SF_SF_EESJ_SZ_SK_SL_SM_EUlSZ_E0_NS1_11comp_targetILNS1_3genE3ELNS1_11target_archE908ELNS1_3gpuE7ELNS1_3repE0EEENS1_38merge_mergepath_config_static_selectorELNS0_4arch9wavefront6targetE1EEEvSL_,comdat
	.protected	_ZN7rocprim17ROCPRIM_400000_NS6detail17trampoline_kernelINS0_14default_configENS1_38merge_sort_block_merge_config_selectorIxNS0_10empty_typeEEEZZNS1_27merge_sort_block_merge_implIS3_N6thrust23THRUST_200600_302600_NS6detail15normal_iteratorINS9_10device_ptrIxEEEEPS5_jNS1_19radix_merge_compareILb0ELb0ExNS0_19identity_decomposerEEEEE10hipError_tT0_T1_T2_jT3_P12ihipStream_tbPNSt15iterator_traitsISK_E10value_typeEPNSQ_ISL_E10value_typeEPSM_NS1_7vsmem_tEENKUlT_SK_SL_SM_E_clIPxSE_SF_SF_EESJ_SZ_SK_SL_SM_EUlSZ_E0_NS1_11comp_targetILNS1_3genE3ELNS1_11target_archE908ELNS1_3gpuE7ELNS1_3repE0EEENS1_38merge_mergepath_config_static_selectorELNS0_4arch9wavefront6targetE1EEEvSL_ ; -- Begin function _ZN7rocprim17ROCPRIM_400000_NS6detail17trampoline_kernelINS0_14default_configENS1_38merge_sort_block_merge_config_selectorIxNS0_10empty_typeEEEZZNS1_27merge_sort_block_merge_implIS3_N6thrust23THRUST_200600_302600_NS6detail15normal_iteratorINS9_10device_ptrIxEEEEPS5_jNS1_19radix_merge_compareILb0ELb0ExNS0_19identity_decomposerEEEEE10hipError_tT0_T1_T2_jT3_P12ihipStream_tbPNSt15iterator_traitsISK_E10value_typeEPNSQ_ISL_E10value_typeEPSM_NS1_7vsmem_tEENKUlT_SK_SL_SM_E_clIPxSE_SF_SF_EESJ_SZ_SK_SL_SM_EUlSZ_E0_NS1_11comp_targetILNS1_3genE3ELNS1_11target_archE908ELNS1_3gpuE7ELNS1_3repE0EEENS1_38merge_mergepath_config_static_selectorELNS0_4arch9wavefront6targetE1EEEvSL_
	.globl	_ZN7rocprim17ROCPRIM_400000_NS6detail17trampoline_kernelINS0_14default_configENS1_38merge_sort_block_merge_config_selectorIxNS0_10empty_typeEEEZZNS1_27merge_sort_block_merge_implIS3_N6thrust23THRUST_200600_302600_NS6detail15normal_iteratorINS9_10device_ptrIxEEEEPS5_jNS1_19radix_merge_compareILb0ELb0ExNS0_19identity_decomposerEEEEE10hipError_tT0_T1_T2_jT3_P12ihipStream_tbPNSt15iterator_traitsISK_E10value_typeEPNSQ_ISL_E10value_typeEPSM_NS1_7vsmem_tEENKUlT_SK_SL_SM_E_clIPxSE_SF_SF_EESJ_SZ_SK_SL_SM_EUlSZ_E0_NS1_11comp_targetILNS1_3genE3ELNS1_11target_archE908ELNS1_3gpuE7ELNS1_3repE0EEENS1_38merge_mergepath_config_static_selectorELNS0_4arch9wavefront6targetE1EEEvSL_
	.p2align	8
	.type	_ZN7rocprim17ROCPRIM_400000_NS6detail17trampoline_kernelINS0_14default_configENS1_38merge_sort_block_merge_config_selectorIxNS0_10empty_typeEEEZZNS1_27merge_sort_block_merge_implIS3_N6thrust23THRUST_200600_302600_NS6detail15normal_iteratorINS9_10device_ptrIxEEEEPS5_jNS1_19radix_merge_compareILb0ELb0ExNS0_19identity_decomposerEEEEE10hipError_tT0_T1_T2_jT3_P12ihipStream_tbPNSt15iterator_traitsISK_E10value_typeEPNSQ_ISL_E10value_typeEPSM_NS1_7vsmem_tEENKUlT_SK_SL_SM_E_clIPxSE_SF_SF_EESJ_SZ_SK_SL_SM_EUlSZ_E0_NS1_11comp_targetILNS1_3genE3ELNS1_11target_archE908ELNS1_3gpuE7ELNS1_3repE0EEENS1_38merge_mergepath_config_static_selectorELNS0_4arch9wavefront6targetE1EEEvSL_,@function
_ZN7rocprim17ROCPRIM_400000_NS6detail17trampoline_kernelINS0_14default_configENS1_38merge_sort_block_merge_config_selectorIxNS0_10empty_typeEEEZZNS1_27merge_sort_block_merge_implIS3_N6thrust23THRUST_200600_302600_NS6detail15normal_iteratorINS9_10device_ptrIxEEEEPS5_jNS1_19radix_merge_compareILb0ELb0ExNS0_19identity_decomposerEEEEE10hipError_tT0_T1_T2_jT3_P12ihipStream_tbPNSt15iterator_traitsISK_E10value_typeEPNSQ_ISL_E10value_typeEPSM_NS1_7vsmem_tEENKUlT_SK_SL_SM_E_clIPxSE_SF_SF_EESJ_SZ_SK_SL_SM_EUlSZ_E0_NS1_11comp_targetILNS1_3genE3ELNS1_11target_archE908ELNS1_3gpuE7ELNS1_3repE0EEENS1_38merge_mergepath_config_static_selectorELNS0_4arch9wavefront6targetE1EEEvSL_: ; @_ZN7rocprim17ROCPRIM_400000_NS6detail17trampoline_kernelINS0_14default_configENS1_38merge_sort_block_merge_config_selectorIxNS0_10empty_typeEEEZZNS1_27merge_sort_block_merge_implIS3_N6thrust23THRUST_200600_302600_NS6detail15normal_iteratorINS9_10device_ptrIxEEEEPS5_jNS1_19radix_merge_compareILb0ELb0ExNS0_19identity_decomposerEEEEE10hipError_tT0_T1_T2_jT3_P12ihipStream_tbPNSt15iterator_traitsISK_E10value_typeEPNSQ_ISL_E10value_typeEPSM_NS1_7vsmem_tEENKUlT_SK_SL_SM_E_clIPxSE_SF_SF_EESJ_SZ_SK_SL_SM_EUlSZ_E0_NS1_11comp_targetILNS1_3genE3ELNS1_11target_archE908ELNS1_3gpuE7ELNS1_3repE0EEENS1_38merge_mergepath_config_static_selectorELNS0_4arch9wavefront6targetE1EEEvSL_
; %bb.0:
	.section	.rodata,"a",@progbits
	.p2align	6, 0x0
	.amdhsa_kernel _ZN7rocprim17ROCPRIM_400000_NS6detail17trampoline_kernelINS0_14default_configENS1_38merge_sort_block_merge_config_selectorIxNS0_10empty_typeEEEZZNS1_27merge_sort_block_merge_implIS3_N6thrust23THRUST_200600_302600_NS6detail15normal_iteratorINS9_10device_ptrIxEEEEPS5_jNS1_19radix_merge_compareILb0ELb0ExNS0_19identity_decomposerEEEEE10hipError_tT0_T1_T2_jT3_P12ihipStream_tbPNSt15iterator_traitsISK_E10value_typeEPNSQ_ISL_E10value_typeEPSM_NS1_7vsmem_tEENKUlT_SK_SL_SM_E_clIPxSE_SF_SF_EESJ_SZ_SK_SL_SM_EUlSZ_E0_NS1_11comp_targetILNS1_3genE3ELNS1_11target_archE908ELNS1_3gpuE7ELNS1_3repE0EEENS1_38merge_mergepath_config_static_selectorELNS0_4arch9wavefront6targetE1EEEvSL_
		.amdhsa_group_segment_fixed_size 0
		.amdhsa_private_segment_fixed_size 0
		.amdhsa_kernarg_size 64
		.amdhsa_user_sgpr_count 6
		.amdhsa_user_sgpr_private_segment_buffer 1
		.amdhsa_user_sgpr_dispatch_ptr 0
		.amdhsa_user_sgpr_queue_ptr 0
		.amdhsa_user_sgpr_kernarg_segment_ptr 1
		.amdhsa_user_sgpr_dispatch_id 0
		.amdhsa_user_sgpr_flat_scratch_init 0
		.amdhsa_user_sgpr_kernarg_preload_length 0
		.amdhsa_user_sgpr_kernarg_preload_offset 0
		.amdhsa_user_sgpr_private_segment_size 0
		.amdhsa_uses_dynamic_stack 0
		.amdhsa_system_sgpr_private_segment_wavefront_offset 0
		.amdhsa_system_sgpr_workgroup_id_x 1
		.amdhsa_system_sgpr_workgroup_id_y 0
		.amdhsa_system_sgpr_workgroup_id_z 0
		.amdhsa_system_sgpr_workgroup_info 0
		.amdhsa_system_vgpr_workitem_id 0
		.amdhsa_next_free_vgpr 1
		.amdhsa_next_free_sgpr 0
		.amdhsa_accum_offset 4
		.amdhsa_reserve_vcc 0
		.amdhsa_reserve_flat_scratch 0
		.amdhsa_float_round_mode_32 0
		.amdhsa_float_round_mode_16_64 0
		.amdhsa_float_denorm_mode_32 3
		.amdhsa_float_denorm_mode_16_64 3
		.amdhsa_dx10_clamp 1
		.amdhsa_ieee_mode 1
		.amdhsa_fp16_overflow 0
		.amdhsa_tg_split 0
		.amdhsa_exception_fp_ieee_invalid_op 0
		.amdhsa_exception_fp_denorm_src 0
		.amdhsa_exception_fp_ieee_div_zero 0
		.amdhsa_exception_fp_ieee_overflow 0
		.amdhsa_exception_fp_ieee_underflow 0
		.amdhsa_exception_fp_ieee_inexact 0
		.amdhsa_exception_int_div_zero 0
	.end_amdhsa_kernel
	.section	.text._ZN7rocprim17ROCPRIM_400000_NS6detail17trampoline_kernelINS0_14default_configENS1_38merge_sort_block_merge_config_selectorIxNS0_10empty_typeEEEZZNS1_27merge_sort_block_merge_implIS3_N6thrust23THRUST_200600_302600_NS6detail15normal_iteratorINS9_10device_ptrIxEEEEPS5_jNS1_19radix_merge_compareILb0ELb0ExNS0_19identity_decomposerEEEEE10hipError_tT0_T1_T2_jT3_P12ihipStream_tbPNSt15iterator_traitsISK_E10value_typeEPNSQ_ISL_E10value_typeEPSM_NS1_7vsmem_tEENKUlT_SK_SL_SM_E_clIPxSE_SF_SF_EESJ_SZ_SK_SL_SM_EUlSZ_E0_NS1_11comp_targetILNS1_3genE3ELNS1_11target_archE908ELNS1_3gpuE7ELNS1_3repE0EEENS1_38merge_mergepath_config_static_selectorELNS0_4arch9wavefront6targetE1EEEvSL_,"axG",@progbits,_ZN7rocprim17ROCPRIM_400000_NS6detail17trampoline_kernelINS0_14default_configENS1_38merge_sort_block_merge_config_selectorIxNS0_10empty_typeEEEZZNS1_27merge_sort_block_merge_implIS3_N6thrust23THRUST_200600_302600_NS6detail15normal_iteratorINS9_10device_ptrIxEEEEPS5_jNS1_19radix_merge_compareILb0ELb0ExNS0_19identity_decomposerEEEEE10hipError_tT0_T1_T2_jT3_P12ihipStream_tbPNSt15iterator_traitsISK_E10value_typeEPNSQ_ISL_E10value_typeEPSM_NS1_7vsmem_tEENKUlT_SK_SL_SM_E_clIPxSE_SF_SF_EESJ_SZ_SK_SL_SM_EUlSZ_E0_NS1_11comp_targetILNS1_3genE3ELNS1_11target_archE908ELNS1_3gpuE7ELNS1_3repE0EEENS1_38merge_mergepath_config_static_selectorELNS0_4arch9wavefront6targetE1EEEvSL_,comdat
.Lfunc_end1422:
	.size	_ZN7rocprim17ROCPRIM_400000_NS6detail17trampoline_kernelINS0_14default_configENS1_38merge_sort_block_merge_config_selectorIxNS0_10empty_typeEEEZZNS1_27merge_sort_block_merge_implIS3_N6thrust23THRUST_200600_302600_NS6detail15normal_iteratorINS9_10device_ptrIxEEEEPS5_jNS1_19radix_merge_compareILb0ELb0ExNS0_19identity_decomposerEEEEE10hipError_tT0_T1_T2_jT3_P12ihipStream_tbPNSt15iterator_traitsISK_E10value_typeEPNSQ_ISL_E10value_typeEPSM_NS1_7vsmem_tEENKUlT_SK_SL_SM_E_clIPxSE_SF_SF_EESJ_SZ_SK_SL_SM_EUlSZ_E0_NS1_11comp_targetILNS1_3genE3ELNS1_11target_archE908ELNS1_3gpuE7ELNS1_3repE0EEENS1_38merge_mergepath_config_static_selectorELNS0_4arch9wavefront6targetE1EEEvSL_, .Lfunc_end1422-_ZN7rocprim17ROCPRIM_400000_NS6detail17trampoline_kernelINS0_14default_configENS1_38merge_sort_block_merge_config_selectorIxNS0_10empty_typeEEEZZNS1_27merge_sort_block_merge_implIS3_N6thrust23THRUST_200600_302600_NS6detail15normal_iteratorINS9_10device_ptrIxEEEEPS5_jNS1_19radix_merge_compareILb0ELb0ExNS0_19identity_decomposerEEEEE10hipError_tT0_T1_T2_jT3_P12ihipStream_tbPNSt15iterator_traitsISK_E10value_typeEPNSQ_ISL_E10value_typeEPSM_NS1_7vsmem_tEENKUlT_SK_SL_SM_E_clIPxSE_SF_SF_EESJ_SZ_SK_SL_SM_EUlSZ_E0_NS1_11comp_targetILNS1_3genE3ELNS1_11target_archE908ELNS1_3gpuE7ELNS1_3repE0EEENS1_38merge_mergepath_config_static_selectorELNS0_4arch9wavefront6targetE1EEEvSL_
                                        ; -- End function
	.section	.AMDGPU.csdata,"",@progbits
; Kernel info:
; codeLenInByte = 0
; NumSgprs: 4
; NumVgprs: 0
; NumAgprs: 0
; TotalNumVgprs: 0
; ScratchSize: 0
; MemoryBound: 0
; FloatMode: 240
; IeeeMode: 1
; LDSByteSize: 0 bytes/workgroup (compile time only)
; SGPRBlocks: 0
; VGPRBlocks: 0
; NumSGPRsForWavesPerEU: 4
; NumVGPRsForWavesPerEU: 1
; AccumOffset: 4
; Occupancy: 8
; WaveLimiterHint : 0
; COMPUTE_PGM_RSRC2:SCRATCH_EN: 0
; COMPUTE_PGM_RSRC2:USER_SGPR: 6
; COMPUTE_PGM_RSRC2:TRAP_HANDLER: 0
; COMPUTE_PGM_RSRC2:TGID_X_EN: 1
; COMPUTE_PGM_RSRC2:TGID_Y_EN: 0
; COMPUTE_PGM_RSRC2:TGID_Z_EN: 0
; COMPUTE_PGM_RSRC2:TIDIG_COMP_CNT: 0
; COMPUTE_PGM_RSRC3_GFX90A:ACCUM_OFFSET: 0
; COMPUTE_PGM_RSRC3_GFX90A:TG_SPLIT: 0
	.section	.text._ZN7rocprim17ROCPRIM_400000_NS6detail17trampoline_kernelINS0_14default_configENS1_38merge_sort_block_merge_config_selectorIxNS0_10empty_typeEEEZZNS1_27merge_sort_block_merge_implIS3_N6thrust23THRUST_200600_302600_NS6detail15normal_iteratorINS9_10device_ptrIxEEEEPS5_jNS1_19radix_merge_compareILb0ELb0ExNS0_19identity_decomposerEEEEE10hipError_tT0_T1_T2_jT3_P12ihipStream_tbPNSt15iterator_traitsISK_E10value_typeEPNSQ_ISL_E10value_typeEPSM_NS1_7vsmem_tEENKUlT_SK_SL_SM_E_clIPxSE_SF_SF_EESJ_SZ_SK_SL_SM_EUlSZ_E0_NS1_11comp_targetILNS1_3genE2ELNS1_11target_archE906ELNS1_3gpuE6ELNS1_3repE0EEENS1_38merge_mergepath_config_static_selectorELNS0_4arch9wavefront6targetE1EEEvSL_,"axG",@progbits,_ZN7rocprim17ROCPRIM_400000_NS6detail17trampoline_kernelINS0_14default_configENS1_38merge_sort_block_merge_config_selectorIxNS0_10empty_typeEEEZZNS1_27merge_sort_block_merge_implIS3_N6thrust23THRUST_200600_302600_NS6detail15normal_iteratorINS9_10device_ptrIxEEEEPS5_jNS1_19radix_merge_compareILb0ELb0ExNS0_19identity_decomposerEEEEE10hipError_tT0_T1_T2_jT3_P12ihipStream_tbPNSt15iterator_traitsISK_E10value_typeEPNSQ_ISL_E10value_typeEPSM_NS1_7vsmem_tEENKUlT_SK_SL_SM_E_clIPxSE_SF_SF_EESJ_SZ_SK_SL_SM_EUlSZ_E0_NS1_11comp_targetILNS1_3genE2ELNS1_11target_archE906ELNS1_3gpuE6ELNS1_3repE0EEENS1_38merge_mergepath_config_static_selectorELNS0_4arch9wavefront6targetE1EEEvSL_,comdat
	.protected	_ZN7rocprim17ROCPRIM_400000_NS6detail17trampoline_kernelINS0_14default_configENS1_38merge_sort_block_merge_config_selectorIxNS0_10empty_typeEEEZZNS1_27merge_sort_block_merge_implIS3_N6thrust23THRUST_200600_302600_NS6detail15normal_iteratorINS9_10device_ptrIxEEEEPS5_jNS1_19radix_merge_compareILb0ELb0ExNS0_19identity_decomposerEEEEE10hipError_tT0_T1_T2_jT3_P12ihipStream_tbPNSt15iterator_traitsISK_E10value_typeEPNSQ_ISL_E10value_typeEPSM_NS1_7vsmem_tEENKUlT_SK_SL_SM_E_clIPxSE_SF_SF_EESJ_SZ_SK_SL_SM_EUlSZ_E0_NS1_11comp_targetILNS1_3genE2ELNS1_11target_archE906ELNS1_3gpuE6ELNS1_3repE0EEENS1_38merge_mergepath_config_static_selectorELNS0_4arch9wavefront6targetE1EEEvSL_ ; -- Begin function _ZN7rocprim17ROCPRIM_400000_NS6detail17trampoline_kernelINS0_14default_configENS1_38merge_sort_block_merge_config_selectorIxNS0_10empty_typeEEEZZNS1_27merge_sort_block_merge_implIS3_N6thrust23THRUST_200600_302600_NS6detail15normal_iteratorINS9_10device_ptrIxEEEEPS5_jNS1_19radix_merge_compareILb0ELb0ExNS0_19identity_decomposerEEEEE10hipError_tT0_T1_T2_jT3_P12ihipStream_tbPNSt15iterator_traitsISK_E10value_typeEPNSQ_ISL_E10value_typeEPSM_NS1_7vsmem_tEENKUlT_SK_SL_SM_E_clIPxSE_SF_SF_EESJ_SZ_SK_SL_SM_EUlSZ_E0_NS1_11comp_targetILNS1_3genE2ELNS1_11target_archE906ELNS1_3gpuE6ELNS1_3repE0EEENS1_38merge_mergepath_config_static_selectorELNS0_4arch9wavefront6targetE1EEEvSL_
	.globl	_ZN7rocprim17ROCPRIM_400000_NS6detail17trampoline_kernelINS0_14default_configENS1_38merge_sort_block_merge_config_selectorIxNS0_10empty_typeEEEZZNS1_27merge_sort_block_merge_implIS3_N6thrust23THRUST_200600_302600_NS6detail15normal_iteratorINS9_10device_ptrIxEEEEPS5_jNS1_19radix_merge_compareILb0ELb0ExNS0_19identity_decomposerEEEEE10hipError_tT0_T1_T2_jT3_P12ihipStream_tbPNSt15iterator_traitsISK_E10value_typeEPNSQ_ISL_E10value_typeEPSM_NS1_7vsmem_tEENKUlT_SK_SL_SM_E_clIPxSE_SF_SF_EESJ_SZ_SK_SL_SM_EUlSZ_E0_NS1_11comp_targetILNS1_3genE2ELNS1_11target_archE906ELNS1_3gpuE6ELNS1_3repE0EEENS1_38merge_mergepath_config_static_selectorELNS0_4arch9wavefront6targetE1EEEvSL_
	.p2align	8
	.type	_ZN7rocprim17ROCPRIM_400000_NS6detail17trampoline_kernelINS0_14default_configENS1_38merge_sort_block_merge_config_selectorIxNS0_10empty_typeEEEZZNS1_27merge_sort_block_merge_implIS3_N6thrust23THRUST_200600_302600_NS6detail15normal_iteratorINS9_10device_ptrIxEEEEPS5_jNS1_19radix_merge_compareILb0ELb0ExNS0_19identity_decomposerEEEEE10hipError_tT0_T1_T2_jT3_P12ihipStream_tbPNSt15iterator_traitsISK_E10value_typeEPNSQ_ISL_E10value_typeEPSM_NS1_7vsmem_tEENKUlT_SK_SL_SM_E_clIPxSE_SF_SF_EESJ_SZ_SK_SL_SM_EUlSZ_E0_NS1_11comp_targetILNS1_3genE2ELNS1_11target_archE906ELNS1_3gpuE6ELNS1_3repE0EEENS1_38merge_mergepath_config_static_selectorELNS0_4arch9wavefront6targetE1EEEvSL_,@function
_ZN7rocprim17ROCPRIM_400000_NS6detail17trampoline_kernelINS0_14default_configENS1_38merge_sort_block_merge_config_selectorIxNS0_10empty_typeEEEZZNS1_27merge_sort_block_merge_implIS3_N6thrust23THRUST_200600_302600_NS6detail15normal_iteratorINS9_10device_ptrIxEEEEPS5_jNS1_19radix_merge_compareILb0ELb0ExNS0_19identity_decomposerEEEEE10hipError_tT0_T1_T2_jT3_P12ihipStream_tbPNSt15iterator_traitsISK_E10value_typeEPNSQ_ISL_E10value_typeEPSM_NS1_7vsmem_tEENKUlT_SK_SL_SM_E_clIPxSE_SF_SF_EESJ_SZ_SK_SL_SM_EUlSZ_E0_NS1_11comp_targetILNS1_3genE2ELNS1_11target_archE906ELNS1_3gpuE6ELNS1_3repE0EEENS1_38merge_mergepath_config_static_selectorELNS0_4arch9wavefront6targetE1EEEvSL_: ; @_ZN7rocprim17ROCPRIM_400000_NS6detail17trampoline_kernelINS0_14default_configENS1_38merge_sort_block_merge_config_selectorIxNS0_10empty_typeEEEZZNS1_27merge_sort_block_merge_implIS3_N6thrust23THRUST_200600_302600_NS6detail15normal_iteratorINS9_10device_ptrIxEEEEPS5_jNS1_19radix_merge_compareILb0ELb0ExNS0_19identity_decomposerEEEEE10hipError_tT0_T1_T2_jT3_P12ihipStream_tbPNSt15iterator_traitsISK_E10value_typeEPNSQ_ISL_E10value_typeEPSM_NS1_7vsmem_tEENKUlT_SK_SL_SM_E_clIPxSE_SF_SF_EESJ_SZ_SK_SL_SM_EUlSZ_E0_NS1_11comp_targetILNS1_3genE2ELNS1_11target_archE906ELNS1_3gpuE6ELNS1_3repE0EEENS1_38merge_mergepath_config_static_selectorELNS0_4arch9wavefront6targetE1EEEvSL_
; %bb.0:
	.section	.rodata,"a",@progbits
	.p2align	6, 0x0
	.amdhsa_kernel _ZN7rocprim17ROCPRIM_400000_NS6detail17trampoline_kernelINS0_14default_configENS1_38merge_sort_block_merge_config_selectorIxNS0_10empty_typeEEEZZNS1_27merge_sort_block_merge_implIS3_N6thrust23THRUST_200600_302600_NS6detail15normal_iteratorINS9_10device_ptrIxEEEEPS5_jNS1_19radix_merge_compareILb0ELb0ExNS0_19identity_decomposerEEEEE10hipError_tT0_T1_T2_jT3_P12ihipStream_tbPNSt15iterator_traitsISK_E10value_typeEPNSQ_ISL_E10value_typeEPSM_NS1_7vsmem_tEENKUlT_SK_SL_SM_E_clIPxSE_SF_SF_EESJ_SZ_SK_SL_SM_EUlSZ_E0_NS1_11comp_targetILNS1_3genE2ELNS1_11target_archE906ELNS1_3gpuE6ELNS1_3repE0EEENS1_38merge_mergepath_config_static_selectorELNS0_4arch9wavefront6targetE1EEEvSL_
		.amdhsa_group_segment_fixed_size 0
		.amdhsa_private_segment_fixed_size 0
		.amdhsa_kernarg_size 64
		.amdhsa_user_sgpr_count 6
		.amdhsa_user_sgpr_private_segment_buffer 1
		.amdhsa_user_sgpr_dispatch_ptr 0
		.amdhsa_user_sgpr_queue_ptr 0
		.amdhsa_user_sgpr_kernarg_segment_ptr 1
		.amdhsa_user_sgpr_dispatch_id 0
		.amdhsa_user_sgpr_flat_scratch_init 0
		.amdhsa_user_sgpr_kernarg_preload_length 0
		.amdhsa_user_sgpr_kernarg_preload_offset 0
		.amdhsa_user_sgpr_private_segment_size 0
		.amdhsa_uses_dynamic_stack 0
		.amdhsa_system_sgpr_private_segment_wavefront_offset 0
		.amdhsa_system_sgpr_workgroup_id_x 1
		.amdhsa_system_sgpr_workgroup_id_y 0
		.amdhsa_system_sgpr_workgroup_id_z 0
		.amdhsa_system_sgpr_workgroup_info 0
		.amdhsa_system_vgpr_workitem_id 0
		.amdhsa_next_free_vgpr 1
		.amdhsa_next_free_sgpr 0
		.amdhsa_accum_offset 4
		.amdhsa_reserve_vcc 0
		.amdhsa_reserve_flat_scratch 0
		.amdhsa_float_round_mode_32 0
		.amdhsa_float_round_mode_16_64 0
		.amdhsa_float_denorm_mode_32 3
		.amdhsa_float_denorm_mode_16_64 3
		.amdhsa_dx10_clamp 1
		.amdhsa_ieee_mode 1
		.amdhsa_fp16_overflow 0
		.amdhsa_tg_split 0
		.amdhsa_exception_fp_ieee_invalid_op 0
		.amdhsa_exception_fp_denorm_src 0
		.amdhsa_exception_fp_ieee_div_zero 0
		.amdhsa_exception_fp_ieee_overflow 0
		.amdhsa_exception_fp_ieee_underflow 0
		.amdhsa_exception_fp_ieee_inexact 0
		.amdhsa_exception_int_div_zero 0
	.end_amdhsa_kernel
	.section	.text._ZN7rocprim17ROCPRIM_400000_NS6detail17trampoline_kernelINS0_14default_configENS1_38merge_sort_block_merge_config_selectorIxNS0_10empty_typeEEEZZNS1_27merge_sort_block_merge_implIS3_N6thrust23THRUST_200600_302600_NS6detail15normal_iteratorINS9_10device_ptrIxEEEEPS5_jNS1_19radix_merge_compareILb0ELb0ExNS0_19identity_decomposerEEEEE10hipError_tT0_T1_T2_jT3_P12ihipStream_tbPNSt15iterator_traitsISK_E10value_typeEPNSQ_ISL_E10value_typeEPSM_NS1_7vsmem_tEENKUlT_SK_SL_SM_E_clIPxSE_SF_SF_EESJ_SZ_SK_SL_SM_EUlSZ_E0_NS1_11comp_targetILNS1_3genE2ELNS1_11target_archE906ELNS1_3gpuE6ELNS1_3repE0EEENS1_38merge_mergepath_config_static_selectorELNS0_4arch9wavefront6targetE1EEEvSL_,"axG",@progbits,_ZN7rocprim17ROCPRIM_400000_NS6detail17trampoline_kernelINS0_14default_configENS1_38merge_sort_block_merge_config_selectorIxNS0_10empty_typeEEEZZNS1_27merge_sort_block_merge_implIS3_N6thrust23THRUST_200600_302600_NS6detail15normal_iteratorINS9_10device_ptrIxEEEEPS5_jNS1_19radix_merge_compareILb0ELb0ExNS0_19identity_decomposerEEEEE10hipError_tT0_T1_T2_jT3_P12ihipStream_tbPNSt15iterator_traitsISK_E10value_typeEPNSQ_ISL_E10value_typeEPSM_NS1_7vsmem_tEENKUlT_SK_SL_SM_E_clIPxSE_SF_SF_EESJ_SZ_SK_SL_SM_EUlSZ_E0_NS1_11comp_targetILNS1_3genE2ELNS1_11target_archE906ELNS1_3gpuE6ELNS1_3repE0EEENS1_38merge_mergepath_config_static_selectorELNS0_4arch9wavefront6targetE1EEEvSL_,comdat
.Lfunc_end1423:
	.size	_ZN7rocprim17ROCPRIM_400000_NS6detail17trampoline_kernelINS0_14default_configENS1_38merge_sort_block_merge_config_selectorIxNS0_10empty_typeEEEZZNS1_27merge_sort_block_merge_implIS3_N6thrust23THRUST_200600_302600_NS6detail15normal_iteratorINS9_10device_ptrIxEEEEPS5_jNS1_19radix_merge_compareILb0ELb0ExNS0_19identity_decomposerEEEEE10hipError_tT0_T1_T2_jT3_P12ihipStream_tbPNSt15iterator_traitsISK_E10value_typeEPNSQ_ISL_E10value_typeEPSM_NS1_7vsmem_tEENKUlT_SK_SL_SM_E_clIPxSE_SF_SF_EESJ_SZ_SK_SL_SM_EUlSZ_E0_NS1_11comp_targetILNS1_3genE2ELNS1_11target_archE906ELNS1_3gpuE6ELNS1_3repE0EEENS1_38merge_mergepath_config_static_selectorELNS0_4arch9wavefront6targetE1EEEvSL_, .Lfunc_end1423-_ZN7rocprim17ROCPRIM_400000_NS6detail17trampoline_kernelINS0_14default_configENS1_38merge_sort_block_merge_config_selectorIxNS0_10empty_typeEEEZZNS1_27merge_sort_block_merge_implIS3_N6thrust23THRUST_200600_302600_NS6detail15normal_iteratorINS9_10device_ptrIxEEEEPS5_jNS1_19radix_merge_compareILb0ELb0ExNS0_19identity_decomposerEEEEE10hipError_tT0_T1_T2_jT3_P12ihipStream_tbPNSt15iterator_traitsISK_E10value_typeEPNSQ_ISL_E10value_typeEPSM_NS1_7vsmem_tEENKUlT_SK_SL_SM_E_clIPxSE_SF_SF_EESJ_SZ_SK_SL_SM_EUlSZ_E0_NS1_11comp_targetILNS1_3genE2ELNS1_11target_archE906ELNS1_3gpuE6ELNS1_3repE0EEENS1_38merge_mergepath_config_static_selectorELNS0_4arch9wavefront6targetE1EEEvSL_
                                        ; -- End function
	.section	.AMDGPU.csdata,"",@progbits
; Kernel info:
; codeLenInByte = 0
; NumSgprs: 4
; NumVgprs: 0
; NumAgprs: 0
; TotalNumVgprs: 0
; ScratchSize: 0
; MemoryBound: 0
; FloatMode: 240
; IeeeMode: 1
; LDSByteSize: 0 bytes/workgroup (compile time only)
; SGPRBlocks: 0
; VGPRBlocks: 0
; NumSGPRsForWavesPerEU: 4
; NumVGPRsForWavesPerEU: 1
; AccumOffset: 4
; Occupancy: 8
; WaveLimiterHint : 0
; COMPUTE_PGM_RSRC2:SCRATCH_EN: 0
; COMPUTE_PGM_RSRC2:USER_SGPR: 6
; COMPUTE_PGM_RSRC2:TRAP_HANDLER: 0
; COMPUTE_PGM_RSRC2:TGID_X_EN: 1
; COMPUTE_PGM_RSRC2:TGID_Y_EN: 0
; COMPUTE_PGM_RSRC2:TGID_Z_EN: 0
; COMPUTE_PGM_RSRC2:TIDIG_COMP_CNT: 0
; COMPUTE_PGM_RSRC3_GFX90A:ACCUM_OFFSET: 0
; COMPUTE_PGM_RSRC3_GFX90A:TG_SPLIT: 0
	.section	.text._ZN7rocprim17ROCPRIM_400000_NS6detail17trampoline_kernelINS0_14default_configENS1_38merge_sort_block_merge_config_selectorIxNS0_10empty_typeEEEZZNS1_27merge_sort_block_merge_implIS3_N6thrust23THRUST_200600_302600_NS6detail15normal_iteratorINS9_10device_ptrIxEEEEPS5_jNS1_19radix_merge_compareILb0ELb0ExNS0_19identity_decomposerEEEEE10hipError_tT0_T1_T2_jT3_P12ihipStream_tbPNSt15iterator_traitsISK_E10value_typeEPNSQ_ISL_E10value_typeEPSM_NS1_7vsmem_tEENKUlT_SK_SL_SM_E_clIPxSE_SF_SF_EESJ_SZ_SK_SL_SM_EUlSZ_E0_NS1_11comp_targetILNS1_3genE9ELNS1_11target_archE1100ELNS1_3gpuE3ELNS1_3repE0EEENS1_38merge_mergepath_config_static_selectorELNS0_4arch9wavefront6targetE1EEEvSL_,"axG",@progbits,_ZN7rocprim17ROCPRIM_400000_NS6detail17trampoline_kernelINS0_14default_configENS1_38merge_sort_block_merge_config_selectorIxNS0_10empty_typeEEEZZNS1_27merge_sort_block_merge_implIS3_N6thrust23THRUST_200600_302600_NS6detail15normal_iteratorINS9_10device_ptrIxEEEEPS5_jNS1_19radix_merge_compareILb0ELb0ExNS0_19identity_decomposerEEEEE10hipError_tT0_T1_T2_jT3_P12ihipStream_tbPNSt15iterator_traitsISK_E10value_typeEPNSQ_ISL_E10value_typeEPSM_NS1_7vsmem_tEENKUlT_SK_SL_SM_E_clIPxSE_SF_SF_EESJ_SZ_SK_SL_SM_EUlSZ_E0_NS1_11comp_targetILNS1_3genE9ELNS1_11target_archE1100ELNS1_3gpuE3ELNS1_3repE0EEENS1_38merge_mergepath_config_static_selectorELNS0_4arch9wavefront6targetE1EEEvSL_,comdat
	.protected	_ZN7rocprim17ROCPRIM_400000_NS6detail17trampoline_kernelINS0_14default_configENS1_38merge_sort_block_merge_config_selectorIxNS0_10empty_typeEEEZZNS1_27merge_sort_block_merge_implIS3_N6thrust23THRUST_200600_302600_NS6detail15normal_iteratorINS9_10device_ptrIxEEEEPS5_jNS1_19radix_merge_compareILb0ELb0ExNS0_19identity_decomposerEEEEE10hipError_tT0_T1_T2_jT3_P12ihipStream_tbPNSt15iterator_traitsISK_E10value_typeEPNSQ_ISL_E10value_typeEPSM_NS1_7vsmem_tEENKUlT_SK_SL_SM_E_clIPxSE_SF_SF_EESJ_SZ_SK_SL_SM_EUlSZ_E0_NS1_11comp_targetILNS1_3genE9ELNS1_11target_archE1100ELNS1_3gpuE3ELNS1_3repE0EEENS1_38merge_mergepath_config_static_selectorELNS0_4arch9wavefront6targetE1EEEvSL_ ; -- Begin function _ZN7rocprim17ROCPRIM_400000_NS6detail17trampoline_kernelINS0_14default_configENS1_38merge_sort_block_merge_config_selectorIxNS0_10empty_typeEEEZZNS1_27merge_sort_block_merge_implIS3_N6thrust23THRUST_200600_302600_NS6detail15normal_iteratorINS9_10device_ptrIxEEEEPS5_jNS1_19radix_merge_compareILb0ELb0ExNS0_19identity_decomposerEEEEE10hipError_tT0_T1_T2_jT3_P12ihipStream_tbPNSt15iterator_traitsISK_E10value_typeEPNSQ_ISL_E10value_typeEPSM_NS1_7vsmem_tEENKUlT_SK_SL_SM_E_clIPxSE_SF_SF_EESJ_SZ_SK_SL_SM_EUlSZ_E0_NS1_11comp_targetILNS1_3genE9ELNS1_11target_archE1100ELNS1_3gpuE3ELNS1_3repE0EEENS1_38merge_mergepath_config_static_selectorELNS0_4arch9wavefront6targetE1EEEvSL_
	.globl	_ZN7rocprim17ROCPRIM_400000_NS6detail17trampoline_kernelINS0_14default_configENS1_38merge_sort_block_merge_config_selectorIxNS0_10empty_typeEEEZZNS1_27merge_sort_block_merge_implIS3_N6thrust23THRUST_200600_302600_NS6detail15normal_iteratorINS9_10device_ptrIxEEEEPS5_jNS1_19radix_merge_compareILb0ELb0ExNS0_19identity_decomposerEEEEE10hipError_tT0_T1_T2_jT3_P12ihipStream_tbPNSt15iterator_traitsISK_E10value_typeEPNSQ_ISL_E10value_typeEPSM_NS1_7vsmem_tEENKUlT_SK_SL_SM_E_clIPxSE_SF_SF_EESJ_SZ_SK_SL_SM_EUlSZ_E0_NS1_11comp_targetILNS1_3genE9ELNS1_11target_archE1100ELNS1_3gpuE3ELNS1_3repE0EEENS1_38merge_mergepath_config_static_selectorELNS0_4arch9wavefront6targetE1EEEvSL_
	.p2align	8
	.type	_ZN7rocprim17ROCPRIM_400000_NS6detail17trampoline_kernelINS0_14default_configENS1_38merge_sort_block_merge_config_selectorIxNS0_10empty_typeEEEZZNS1_27merge_sort_block_merge_implIS3_N6thrust23THRUST_200600_302600_NS6detail15normal_iteratorINS9_10device_ptrIxEEEEPS5_jNS1_19radix_merge_compareILb0ELb0ExNS0_19identity_decomposerEEEEE10hipError_tT0_T1_T2_jT3_P12ihipStream_tbPNSt15iterator_traitsISK_E10value_typeEPNSQ_ISL_E10value_typeEPSM_NS1_7vsmem_tEENKUlT_SK_SL_SM_E_clIPxSE_SF_SF_EESJ_SZ_SK_SL_SM_EUlSZ_E0_NS1_11comp_targetILNS1_3genE9ELNS1_11target_archE1100ELNS1_3gpuE3ELNS1_3repE0EEENS1_38merge_mergepath_config_static_selectorELNS0_4arch9wavefront6targetE1EEEvSL_,@function
_ZN7rocprim17ROCPRIM_400000_NS6detail17trampoline_kernelINS0_14default_configENS1_38merge_sort_block_merge_config_selectorIxNS0_10empty_typeEEEZZNS1_27merge_sort_block_merge_implIS3_N6thrust23THRUST_200600_302600_NS6detail15normal_iteratorINS9_10device_ptrIxEEEEPS5_jNS1_19radix_merge_compareILb0ELb0ExNS0_19identity_decomposerEEEEE10hipError_tT0_T1_T2_jT3_P12ihipStream_tbPNSt15iterator_traitsISK_E10value_typeEPNSQ_ISL_E10value_typeEPSM_NS1_7vsmem_tEENKUlT_SK_SL_SM_E_clIPxSE_SF_SF_EESJ_SZ_SK_SL_SM_EUlSZ_E0_NS1_11comp_targetILNS1_3genE9ELNS1_11target_archE1100ELNS1_3gpuE3ELNS1_3repE0EEENS1_38merge_mergepath_config_static_selectorELNS0_4arch9wavefront6targetE1EEEvSL_: ; @_ZN7rocprim17ROCPRIM_400000_NS6detail17trampoline_kernelINS0_14default_configENS1_38merge_sort_block_merge_config_selectorIxNS0_10empty_typeEEEZZNS1_27merge_sort_block_merge_implIS3_N6thrust23THRUST_200600_302600_NS6detail15normal_iteratorINS9_10device_ptrIxEEEEPS5_jNS1_19radix_merge_compareILb0ELb0ExNS0_19identity_decomposerEEEEE10hipError_tT0_T1_T2_jT3_P12ihipStream_tbPNSt15iterator_traitsISK_E10value_typeEPNSQ_ISL_E10value_typeEPSM_NS1_7vsmem_tEENKUlT_SK_SL_SM_E_clIPxSE_SF_SF_EESJ_SZ_SK_SL_SM_EUlSZ_E0_NS1_11comp_targetILNS1_3genE9ELNS1_11target_archE1100ELNS1_3gpuE3ELNS1_3repE0EEENS1_38merge_mergepath_config_static_selectorELNS0_4arch9wavefront6targetE1EEEvSL_
; %bb.0:
	.section	.rodata,"a",@progbits
	.p2align	6, 0x0
	.amdhsa_kernel _ZN7rocprim17ROCPRIM_400000_NS6detail17trampoline_kernelINS0_14default_configENS1_38merge_sort_block_merge_config_selectorIxNS0_10empty_typeEEEZZNS1_27merge_sort_block_merge_implIS3_N6thrust23THRUST_200600_302600_NS6detail15normal_iteratorINS9_10device_ptrIxEEEEPS5_jNS1_19radix_merge_compareILb0ELb0ExNS0_19identity_decomposerEEEEE10hipError_tT0_T1_T2_jT3_P12ihipStream_tbPNSt15iterator_traitsISK_E10value_typeEPNSQ_ISL_E10value_typeEPSM_NS1_7vsmem_tEENKUlT_SK_SL_SM_E_clIPxSE_SF_SF_EESJ_SZ_SK_SL_SM_EUlSZ_E0_NS1_11comp_targetILNS1_3genE9ELNS1_11target_archE1100ELNS1_3gpuE3ELNS1_3repE0EEENS1_38merge_mergepath_config_static_selectorELNS0_4arch9wavefront6targetE1EEEvSL_
		.amdhsa_group_segment_fixed_size 0
		.amdhsa_private_segment_fixed_size 0
		.amdhsa_kernarg_size 64
		.amdhsa_user_sgpr_count 6
		.amdhsa_user_sgpr_private_segment_buffer 1
		.amdhsa_user_sgpr_dispatch_ptr 0
		.amdhsa_user_sgpr_queue_ptr 0
		.amdhsa_user_sgpr_kernarg_segment_ptr 1
		.amdhsa_user_sgpr_dispatch_id 0
		.amdhsa_user_sgpr_flat_scratch_init 0
		.amdhsa_user_sgpr_kernarg_preload_length 0
		.amdhsa_user_sgpr_kernarg_preload_offset 0
		.amdhsa_user_sgpr_private_segment_size 0
		.amdhsa_uses_dynamic_stack 0
		.amdhsa_system_sgpr_private_segment_wavefront_offset 0
		.amdhsa_system_sgpr_workgroup_id_x 1
		.amdhsa_system_sgpr_workgroup_id_y 0
		.amdhsa_system_sgpr_workgroup_id_z 0
		.amdhsa_system_sgpr_workgroup_info 0
		.amdhsa_system_vgpr_workitem_id 0
		.amdhsa_next_free_vgpr 1
		.amdhsa_next_free_sgpr 0
		.amdhsa_accum_offset 4
		.amdhsa_reserve_vcc 0
		.amdhsa_reserve_flat_scratch 0
		.amdhsa_float_round_mode_32 0
		.amdhsa_float_round_mode_16_64 0
		.amdhsa_float_denorm_mode_32 3
		.amdhsa_float_denorm_mode_16_64 3
		.amdhsa_dx10_clamp 1
		.amdhsa_ieee_mode 1
		.amdhsa_fp16_overflow 0
		.amdhsa_tg_split 0
		.amdhsa_exception_fp_ieee_invalid_op 0
		.amdhsa_exception_fp_denorm_src 0
		.amdhsa_exception_fp_ieee_div_zero 0
		.amdhsa_exception_fp_ieee_overflow 0
		.amdhsa_exception_fp_ieee_underflow 0
		.amdhsa_exception_fp_ieee_inexact 0
		.amdhsa_exception_int_div_zero 0
	.end_amdhsa_kernel
	.section	.text._ZN7rocprim17ROCPRIM_400000_NS6detail17trampoline_kernelINS0_14default_configENS1_38merge_sort_block_merge_config_selectorIxNS0_10empty_typeEEEZZNS1_27merge_sort_block_merge_implIS3_N6thrust23THRUST_200600_302600_NS6detail15normal_iteratorINS9_10device_ptrIxEEEEPS5_jNS1_19radix_merge_compareILb0ELb0ExNS0_19identity_decomposerEEEEE10hipError_tT0_T1_T2_jT3_P12ihipStream_tbPNSt15iterator_traitsISK_E10value_typeEPNSQ_ISL_E10value_typeEPSM_NS1_7vsmem_tEENKUlT_SK_SL_SM_E_clIPxSE_SF_SF_EESJ_SZ_SK_SL_SM_EUlSZ_E0_NS1_11comp_targetILNS1_3genE9ELNS1_11target_archE1100ELNS1_3gpuE3ELNS1_3repE0EEENS1_38merge_mergepath_config_static_selectorELNS0_4arch9wavefront6targetE1EEEvSL_,"axG",@progbits,_ZN7rocprim17ROCPRIM_400000_NS6detail17trampoline_kernelINS0_14default_configENS1_38merge_sort_block_merge_config_selectorIxNS0_10empty_typeEEEZZNS1_27merge_sort_block_merge_implIS3_N6thrust23THRUST_200600_302600_NS6detail15normal_iteratorINS9_10device_ptrIxEEEEPS5_jNS1_19radix_merge_compareILb0ELb0ExNS0_19identity_decomposerEEEEE10hipError_tT0_T1_T2_jT3_P12ihipStream_tbPNSt15iterator_traitsISK_E10value_typeEPNSQ_ISL_E10value_typeEPSM_NS1_7vsmem_tEENKUlT_SK_SL_SM_E_clIPxSE_SF_SF_EESJ_SZ_SK_SL_SM_EUlSZ_E0_NS1_11comp_targetILNS1_3genE9ELNS1_11target_archE1100ELNS1_3gpuE3ELNS1_3repE0EEENS1_38merge_mergepath_config_static_selectorELNS0_4arch9wavefront6targetE1EEEvSL_,comdat
.Lfunc_end1424:
	.size	_ZN7rocprim17ROCPRIM_400000_NS6detail17trampoline_kernelINS0_14default_configENS1_38merge_sort_block_merge_config_selectorIxNS0_10empty_typeEEEZZNS1_27merge_sort_block_merge_implIS3_N6thrust23THRUST_200600_302600_NS6detail15normal_iteratorINS9_10device_ptrIxEEEEPS5_jNS1_19radix_merge_compareILb0ELb0ExNS0_19identity_decomposerEEEEE10hipError_tT0_T1_T2_jT3_P12ihipStream_tbPNSt15iterator_traitsISK_E10value_typeEPNSQ_ISL_E10value_typeEPSM_NS1_7vsmem_tEENKUlT_SK_SL_SM_E_clIPxSE_SF_SF_EESJ_SZ_SK_SL_SM_EUlSZ_E0_NS1_11comp_targetILNS1_3genE9ELNS1_11target_archE1100ELNS1_3gpuE3ELNS1_3repE0EEENS1_38merge_mergepath_config_static_selectorELNS0_4arch9wavefront6targetE1EEEvSL_, .Lfunc_end1424-_ZN7rocprim17ROCPRIM_400000_NS6detail17trampoline_kernelINS0_14default_configENS1_38merge_sort_block_merge_config_selectorIxNS0_10empty_typeEEEZZNS1_27merge_sort_block_merge_implIS3_N6thrust23THRUST_200600_302600_NS6detail15normal_iteratorINS9_10device_ptrIxEEEEPS5_jNS1_19radix_merge_compareILb0ELb0ExNS0_19identity_decomposerEEEEE10hipError_tT0_T1_T2_jT3_P12ihipStream_tbPNSt15iterator_traitsISK_E10value_typeEPNSQ_ISL_E10value_typeEPSM_NS1_7vsmem_tEENKUlT_SK_SL_SM_E_clIPxSE_SF_SF_EESJ_SZ_SK_SL_SM_EUlSZ_E0_NS1_11comp_targetILNS1_3genE9ELNS1_11target_archE1100ELNS1_3gpuE3ELNS1_3repE0EEENS1_38merge_mergepath_config_static_selectorELNS0_4arch9wavefront6targetE1EEEvSL_
                                        ; -- End function
	.section	.AMDGPU.csdata,"",@progbits
; Kernel info:
; codeLenInByte = 0
; NumSgprs: 4
; NumVgprs: 0
; NumAgprs: 0
; TotalNumVgprs: 0
; ScratchSize: 0
; MemoryBound: 0
; FloatMode: 240
; IeeeMode: 1
; LDSByteSize: 0 bytes/workgroup (compile time only)
; SGPRBlocks: 0
; VGPRBlocks: 0
; NumSGPRsForWavesPerEU: 4
; NumVGPRsForWavesPerEU: 1
; AccumOffset: 4
; Occupancy: 8
; WaveLimiterHint : 0
; COMPUTE_PGM_RSRC2:SCRATCH_EN: 0
; COMPUTE_PGM_RSRC2:USER_SGPR: 6
; COMPUTE_PGM_RSRC2:TRAP_HANDLER: 0
; COMPUTE_PGM_RSRC2:TGID_X_EN: 1
; COMPUTE_PGM_RSRC2:TGID_Y_EN: 0
; COMPUTE_PGM_RSRC2:TGID_Z_EN: 0
; COMPUTE_PGM_RSRC2:TIDIG_COMP_CNT: 0
; COMPUTE_PGM_RSRC3_GFX90A:ACCUM_OFFSET: 0
; COMPUTE_PGM_RSRC3_GFX90A:TG_SPLIT: 0
	.section	.text._ZN7rocprim17ROCPRIM_400000_NS6detail17trampoline_kernelINS0_14default_configENS1_38merge_sort_block_merge_config_selectorIxNS0_10empty_typeEEEZZNS1_27merge_sort_block_merge_implIS3_N6thrust23THRUST_200600_302600_NS6detail15normal_iteratorINS9_10device_ptrIxEEEEPS5_jNS1_19radix_merge_compareILb0ELb0ExNS0_19identity_decomposerEEEEE10hipError_tT0_T1_T2_jT3_P12ihipStream_tbPNSt15iterator_traitsISK_E10value_typeEPNSQ_ISL_E10value_typeEPSM_NS1_7vsmem_tEENKUlT_SK_SL_SM_E_clIPxSE_SF_SF_EESJ_SZ_SK_SL_SM_EUlSZ_E0_NS1_11comp_targetILNS1_3genE8ELNS1_11target_archE1030ELNS1_3gpuE2ELNS1_3repE0EEENS1_38merge_mergepath_config_static_selectorELNS0_4arch9wavefront6targetE1EEEvSL_,"axG",@progbits,_ZN7rocprim17ROCPRIM_400000_NS6detail17trampoline_kernelINS0_14default_configENS1_38merge_sort_block_merge_config_selectorIxNS0_10empty_typeEEEZZNS1_27merge_sort_block_merge_implIS3_N6thrust23THRUST_200600_302600_NS6detail15normal_iteratorINS9_10device_ptrIxEEEEPS5_jNS1_19radix_merge_compareILb0ELb0ExNS0_19identity_decomposerEEEEE10hipError_tT0_T1_T2_jT3_P12ihipStream_tbPNSt15iterator_traitsISK_E10value_typeEPNSQ_ISL_E10value_typeEPSM_NS1_7vsmem_tEENKUlT_SK_SL_SM_E_clIPxSE_SF_SF_EESJ_SZ_SK_SL_SM_EUlSZ_E0_NS1_11comp_targetILNS1_3genE8ELNS1_11target_archE1030ELNS1_3gpuE2ELNS1_3repE0EEENS1_38merge_mergepath_config_static_selectorELNS0_4arch9wavefront6targetE1EEEvSL_,comdat
	.protected	_ZN7rocprim17ROCPRIM_400000_NS6detail17trampoline_kernelINS0_14default_configENS1_38merge_sort_block_merge_config_selectorIxNS0_10empty_typeEEEZZNS1_27merge_sort_block_merge_implIS3_N6thrust23THRUST_200600_302600_NS6detail15normal_iteratorINS9_10device_ptrIxEEEEPS5_jNS1_19radix_merge_compareILb0ELb0ExNS0_19identity_decomposerEEEEE10hipError_tT0_T1_T2_jT3_P12ihipStream_tbPNSt15iterator_traitsISK_E10value_typeEPNSQ_ISL_E10value_typeEPSM_NS1_7vsmem_tEENKUlT_SK_SL_SM_E_clIPxSE_SF_SF_EESJ_SZ_SK_SL_SM_EUlSZ_E0_NS1_11comp_targetILNS1_3genE8ELNS1_11target_archE1030ELNS1_3gpuE2ELNS1_3repE0EEENS1_38merge_mergepath_config_static_selectorELNS0_4arch9wavefront6targetE1EEEvSL_ ; -- Begin function _ZN7rocprim17ROCPRIM_400000_NS6detail17trampoline_kernelINS0_14default_configENS1_38merge_sort_block_merge_config_selectorIxNS0_10empty_typeEEEZZNS1_27merge_sort_block_merge_implIS3_N6thrust23THRUST_200600_302600_NS6detail15normal_iteratorINS9_10device_ptrIxEEEEPS5_jNS1_19radix_merge_compareILb0ELb0ExNS0_19identity_decomposerEEEEE10hipError_tT0_T1_T2_jT3_P12ihipStream_tbPNSt15iterator_traitsISK_E10value_typeEPNSQ_ISL_E10value_typeEPSM_NS1_7vsmem_tEENKUlT_SK_SL_SM_E_clIPxSE_SF_SF_EESJ_SZ_SK_SL_SM_EUlSZ_E0_NS1_11comp_targetILNS1_3genE8ELNS1_11target_archE1030ELNS1_3gpuE2ELNS1_3repE0EEENS1_38merge_mergepath_config_static_selectorELNS0_4arch9wavefront6targetE1EEEvSL_
	.globl	_ZN7rocprim17ROCPRIM_400000_NS6detail17trampoline_kernelINS0_14default_configENS1_38merge_sort_block_merge_config_selectorIxNS0_10empty_typeEEEZZNS1_27merge_sort_block_merge_implIS3_N6thrust23THRUST_200600_302600_NS6detail15normal_iteratorINS9_10device_ptrIxEEEEPS5_jNS1_19radix_merge_compareILb0ELb0ExNS0_19identity_decomposerEEEEE10hipError_tT0_T1_T2_jT3_P12ihipStream_tbPNSt15iterator_traitsISK_E10value_typeEPNSQ_ISL_E10value_typeEPSM_NS1_7vsmem_tEENKUlT_SK_SL_SM_E_clIPxSE_SF_SF_EESJ_SZ_SK_SL_SM_EUlSZ_E0_NS1_11comp_targetILNS1_3genE8ELNS1_11target_archE1030ELNS1_3gpuE2ELNS1_3repE0EEENS1_38merge_mergepath_config_static_selectorELNS0_4arch9wavefront6targetE1EEEvSL_
	.p2align	8
	.type	_ZN7rocprim17ROCPRIM_400000_NS6detail17trampoline_kernelINS0_14default_configENS1_38merge_sort_block_merge_config_selectorIxNS0_10empty_typeEEEZZNS1_27merge_sort_block_merge_implIS3_N6thrust23THRUST_200600_302600_NS6detail15normal_iteratorINS9_10device_ptrIxEEEEPS5_jNS1_19radix_merge_compareILb0ELb0ExNS0_19identity_decomposerEEEEE10hipError_tT0_T1_T2_jT3_P12ihipStream_tbPNSt15iterator_traitsISK_E10value_typeEPNSQ_ISL_E10value_typeEPSM_NS1_7vsmem_tEENKUlT_SK_SL_SM_E_clIPxSE_SF_SF_EESJ_SZ_SK_SL_SM_EUlSZ_E0_NS1_11comp_targetILNS1_3genE8ELNS1_11target_archE1030ELNS1_3gpuE2ELNS1_3repE0EEENS1_38merge_mergepath_config_static_selectorELNS0_4arch9wavefront6targetE1EEEvSL_,@function
_ZN7rocprim17ROCPRIM_400000_NS6detail17trampoline_kernelINS0_14default_configENS1_38merge_sort_block_merge_config_selectorIxNS0_10empty_typeEEEZZNS1_27merge_sort_block_merge_implIS3_N6thrust23THRUST_200600_302600_NS6detail15normal_iteratorINS9_10device_ptrIxEEEEPS5_jNS1_19radix_merge_compareILb0ELb0ExNS0_19identity_decomposerEEEEE10hipError_tT0_T1_T2_jT3_P12ihipStream_tbPNSt15iterator_traitsISK_E10value_typeEPNSQ_ISL_E10value_typeEPSM_NS1_7vsmem_tEENKUlT_SK_SL_SM_E_clIPxSE_SF_SF_EESJ_SZ_SK_SL_SM_EUlSZ_E0_NS1_11comp_targetILNS1_3genE8ELNS1_11target_archE1030ELNS1_3gpuE2ELNS1_3repE0EEENS1_38merge_mergepath_config_static_selectorELNS0_4arch9wavefront6targetE1EEEvSL_: ; @_ZN7rocprim17ROCPRIM_400000_NS6detail17trampoline_kernelINS0_14default_configENS1_38merge_sort_block_merge_config_selectorIxNS0_10empty_typeEEEZZNS1_27merge_sort_block_merge_implIS3_N6thrust23THRUST_200600_302600_NS6detail15normal_iteratorINS9_10device_ptrIxEEEEPS5_jNS1_19radix_merge_compareILb0ELb0ExNS0_19identity_decomposerEEEEE10hipError_tT0_T1_T2_jT3_P12ihipStream_tbPNSt15iterator_traitsISK_E10value_typeEPNSQ_ISL_E10value_typeEPSM_NS1_7vsmem_tEENKUlT_SK_SL_SM_E_clIPxSE_SF_SF_EESJ_SZ_SK_SL_SM_EUlSZ_E0_NS1_11comp_targetILNS1_3genE8ELNS1_11target_archE1030ELNS1_3gpuE2ELNS1_3repE0EEENS1_38merge_mergepath_config_static_selectorELNS0_4arch9wavefront6targetE1EEEvSL_
; %bb.0:
	.section	.rodata,"a",@progbits
	.p2align	6, 0x0
	.amdhsa_kernel _ZN7rocprim17ROCPRIM_400000_NS6detail17trampoline_kernelINS0_14default_configENS1_38merge_sort_block_merge_config_selectorIxNS0_10empty_typeEEEZZNS1_27merge_sort_block_merge_implIS3_N6thrust23THRUST_200600_302600_NS6detail15normal_iteratorINS9_10device_ptrIxEEEEPS5_jNS1_19radix_merge_compareILb0ELb0ExNS0_19identity_decomposerEEEEE10hipError_tT0_T1_T2_jT3_P12ihipStream_tbPNSt15iterator_traitsISK_E10value_typeEPNSQ_ISL_E10value_typeEPSM_NS1_7vsmem_tEENKUlT_SK_SL_SM_E_clIPxSE_SF_SF_EESJ_SZ_SK_SL_SM_EUlSZ_E0_NS1_11comp_targetILNS1_3genE8ELNS1_11target_archE1030ELNS1_3gpuE2ELNS1_3repE0EEENS1_38merge_mergepath_config_static_selectorELNS0_4arch9wavefront6targetE1EEEvSL_
		.amdhsa_group_segment_fixed_size 0
		.amdhsa_private_segment_fixed_size 0
		.amdhsa_kernarg_size 64
		.amdhsa_user_sgpr_count 6
		.amdhsa_user_sgpr_private_segment_buffer 1
		.amdhsa_user_sgpr_dispatch_ptr 0
		.amdhsa_user_sgpr_queue_ptr 0
		.amdhsa_user_sgpr_kernarg_segment_ptr 1
		.amdhsa_user_sgpr_dispatch_id 0
		.amdhsa_user_sgpr_flat_scratch_init 0
		.amdhsa_user_sgpr_kernarg_preload_length 0
		.amdhsa_user_sgpr_kernarg_preload_offset 0
		.amdhsa_user_sgpr_private_segment_size 0
		.amdhsa_uses_dynamic_stack 0
		.amdhsa_system_sgpr_private_segment_wavefront_offset 0
		.amdhsa_system_sgpr_workgroup_id_x 1
		.amdhsa_system_sgpr_workgroup_id_y 0
		.amdhsa_system_sgpr_workgroup_id_z 0
		.amdhsa_system_sgpr_workgroup_info 0
		.amdhsa_system_vgpr_workitem_id 0
		.amdhsa_next_free_vgpr 1
		.amdhsa_next_free_sgpr 0
		.amdhsa_accum_offset 4
		.amdhsa_reserve_vcc 0
		.amdhsa_reserve_flat_scratch 0
		.amdhsa_float_round_mode_32 0
		.amdhsa_float_round_mode_16_64 0
		.amdhsa_float_denorm_mode_32 3
		.amdhsa_float_denorm_mode_16_64 3
		.amdhsa_dx10_clamp 1
		.amdhsa_ieee_mode 1
		.amdhsa_fp16_overflow 0
		.amdhsa_tg_split 0
		.amdhsa_exception_fp_ieee_invalid_op 0
		.amdhsa_exception_fp_denorm_src 0
		.amdhsa_exception_fp_ieee_div_zero 0
		.amdhsa_exception_fp_ieee_overflow 0
		.amdhsa_exception_fp_ieee_underflow 0
		.amdhsa_exception_fp_ieee_inexact 0
		.amdhsa_exception_int_div_zero 0
	.end_amdhsa_kernel
	.section	.text._ZN7rocprim17ROCPRIM_400000_NS6detail17trampoline_kernelINS0_14default_configENS1_38merge_sort_block_merge_config_selectorIxNS0_10empty_typeEEEZZNS1_27merge_sort_block_merge_implIS3_N6thrust23THRUST_200600_302600_NS6detail15normal_iteratorINS9_10device_ptrIxEEEEPS5_jNS1_19radix_merge_compareILb0ELb0ExNS0_19identity_decomposerEEEEE10hipError_tT0_T1_T2_jT3_P12ihipStream_tbPNSt15iterator_traitsISK_E10value_typeEPNSQ_ISL_E10value_typeEPSM_NS1_7vsmem_tEENKUlT_SK_SL_SM_E_clIPxSE_SF_SF_EESJ_SZ_SK_SL_SM_EUlSZ_E0_NS1_11comp_targetILNS1_3genE8ELNS1_11target_archE1030ELNS1_3gpuE2ELNS1_3repE0EEENS1_38merge_mergepath_config_static_selectorELNS0_4arch9wavefront6targetE1EEEvSL_,"axG",@progbits,_ZN7rocprim17ROCPRIM_400000_NS6detail17trampoline_kernelINS0_14default_configENS1_38merge_sort_block_merge_config_selectorIxNS0_10empty_typeEEEZZNS1_27merge_sort_block_merge_implIS3_N6thrust23THRUST_200600_302600_NS6detail15normal_iteratorINS9_10device_ptrIxEEEEPS5_jNS1_19radix_merge_compareILb0ELb0ExNS0_19identity_decomposerEEEEE10hipError_tT0_T1_T2_jT3_P12ihipStream_tbPNSt15iterator_traitsISK_E10value_typeEPNSQ_ISL_E10value_typeEPSM_NS1_7vsmem_tEENKUlT_SK_SL_SM_E_clIPxSE_SF_SF_EESJ_SZ_SK_SL_SM_EUlSZ_E0_NS1_11comp_targetILNS1_3genE8ELNS1_11target_archE1030ELNS1_3gpuE2ELNS1_3repE0EEENS1_38merge_mergepath_config_static_selectorELNS0_4arch9wavefront6targetE1EEEvSL_,comdat
.Lfunc_end1425:
	.size	_ZN7rocprim17ROCPRIM_400000_NS6detail17trampoline_kernelINS0_14default_configENS1_38merge_sort_block_merge_config_selectorIxNS0_10empty_typeEEEZZNS1_27merge_sort_block_merge_implIS3_N6thrust23THRUST_200600_302600_NS6detail15normal_iteratorINS9_10device_ptrIxEEEEPS5_jNS1_19radix_merge_compareILb0ELb0ExNS0_19identity_decomposerEEEEE10hipError_tT0_T1_T2_jT3_P12ihipStream_tbPNSt15iterator_traitsISK_E10value_typeEPNSQ_ISL_E10value_typeEPSM_NS1_7vsmem_tEENKUlT_SK_SL_SM_E_clIPxSE_SF_SF_EESJ_SZ_SK_SL_SM_EUlSZ_E0_NS1_11comp_targetILNS1_3genE8ELNS1_11target_archE1030ELNS1_3gpuE2ELNS1_3repE0EEENS1_38merge_mergepath_config_static_selectorELNS0_4arch9wavefront6targetE1EEEvSL_, .Lfunc_end1425-_ZN7rocprim17ROCPRIM_400000_NS6detail17trampoline_kernelINS0_14default_configENS1_38merge_sort_block_merge_config_selectorIxNS0_10empty_typeEEEZZNS1_27merge_sort_block_merge_implIS3_N6thrust23THRUST_200600_302600_NS6detail15normal_iteratorINS9_10device_ptrIxEEEEPS5_jNS1_19radix_merge_compareILb0ELb0ExNS0_19identity_decomposerEEEEE10hipError_tT0_T1_T2_jT3_P12ihipStream_tbPNSt15iterator_traitsISK_E10value_typeEPNSQ_ISL_E10value_typeEPSM_NS1_7vsmem_tEENKUlT_SK_SL_SM_E_clIPxSE_SF_SF_EESJ_SZ_SK_SL_SM_EUlSZ_E0_NS1_11comp_targetILNS1_3genE8ELNS1_11target_archE1030ELNS1_3gpuE2ELNS1_3repE0EEENS1_38merge_mergepath_config_static_selectorELNS0_4arch9wavefront6targetE1EEEvSL_
                                        ; -- End function
	.section	.AMDGPU.csdata,"",@progbits
; Kernel info:
; codeLenInByte = 0
; NumSgprs: 4
; NumVgprs: 0
; NumAgprs: 0
; TotalNumVgprs: 0
; ScratchSize: 0
; MemoryBound: 0
; FloatMode: 240
; IeeeMode: 1
; LDSByteSize: 0 bytes/workgroup (compile time only)
; SGPRBlocks: 0
; VGPRBlocks: 0
; NumSGPRsForWavesPerEU: 4
; NumVGPRsForWavesPerEU: 1
; AccumOffset: 4
; Occupancy: 8
; WaveLimiterHint : 0
; COMPUTE_PGM_RSRC2:SCRATCH_EN: 0
; COMPUTE_PGM_RSRC2:USER_SGPR: 6
; COMPUTE_PGM_RSRC2:TRAP_HANDLER: 0
; COMPUTE_PGM_RSRC2:TGID_X_EN: 1
; COMPUTE_PGM_RSRC2:TGID_Y_EN: 0
; COMPUTE_PGM_RSRC2:TGID_Z_EN: 0
; COMPUTE_PGM_RSRC2:TIDIG_COMP_CNT: 0
; COMPUTE_PGM_RSRC3_GFX90A:ACCUM_OFFSET: 0
; COMPUTE_PGM_RSRC3_GFX90A:TG_SPLIT: 0
	.section	.text._ZN7rocprim17ROCPRIM_400000_NS6detail17trampoline_kernelINS0_14default_configENS1_38merge_sort_block_merge_config_selectorIxNS0_10empty_typeEEEZZNS1_27merge_sort_block_merge_implIS3_N6thrust23THRUST_200600_302600_NS6detail15normal_iteratorINS9_10device_ptrIxEEEEPS5_jNS1_19radix_merge_compareILb0ELb0ExNS0_19identity_decomposerEEEEE10hipError_tT0_T1_T2_jT3_P12ihipStream_tbPNSt15iterator_traitsISK_E10value_typeEPNSQ_ISL_E10value_typeEPSM_NS1_7vsmem_tEENKUlT_SK_SL_SM_E_clIPxSE_SF_SF_EESJ_SZ_SK_SL_SM_EUlSZ_E1_NS1_11comp_targetILNS1_3genE0ELNS1_11target_archE4294967295ELNS1_3gpuE0ELNS1_3repE0EEENS1_36merge_oddeven_config_static_selectorELNS0_4arch9wavefront6targetE1EEEvSL_,"axG",@progbits,_ZN7rocprim17ROCPRIM_400000_NS6detail17trampoline_kernelINS0_14default_configENS1_38merge_sort_block_merge_config_selectorIxNS0_10empty_typeEEEZZNS1_27merge_sort_block_merge_implIS3_N6thrust23THRUST_200600_302600_NS6detail15normal_iteratorINS9_10device_ptrIxEEEEPS5_jNS1_19radix_merge_compareILb0ELb0ExNS0_19identity_decomposerEEEEE10hipError_tT0_T1_T2_jT3_P12ihipStream_tbPNSt15iterator_traitsISK_E10value_typeEPNSQ_ISL_E10value_typeEPSM_NS1_7vsmem_tEENKUlT_SK_SL_SM_E_clIPxSE_SF_SF_EESJ_SZ_SK_SL_SM_EUlSZ_E1_NS1_11comp_targetILNS1_3genE0ELNS1_11target_archE4294967295ELNS1_3gpuE0ELNS1_3repE0EEENS1_36merge_oddeven_config_static_selectorELNS0_4arch9wavefront6targetE1EEEvSL_,comdat
	.protected	_ZN7rocprim17ROCPRIM_400000_NS6detail17trampoline_kernelINS0_14default_configENS1_38merge_sort_block_merge_config_selectorIxNS0_10empty_typeEEEZZNS1_27merge_sort_block_merge_implIS3_N6thrust23THRUST_200600_302600_NS6detail15normal_iteratorINS9_10device_ptrIxEEEEPS5_jNS1_19radix_merge_compareILb0ELb0ExNS0_19identity_decomposerEEEEE10hipError_tT0_T1_T2_jT3_P12ihipStream_tbPNSt15iterator_traitsISK_E10value_typeEPNSQ_ISL_E10value_typeEPSM_NS1_7vsmem_tEENKUlT_SK_SL_SM_E_clIPxSE_SF_SF_EESJ_SZ_SK_SL_SM_EUlSZ_E1_NS1_11comp_targetILNS1_3genE0ELNS1_11target_archE4294967295ELNS1_3gpuE0ELNS1_3repE0EEENS1_36merge_oddeven_config_static_selectorELNS0_4arch9wavefront6targetE1EEEvSL_ ; -- Begin function _ZN7rocprim17ROCPRIM_400000_NS6detail17trampoline_kernelINS0_14default_configENS1_38merge_sort_block_merge_config_selectorIxNS0_10empty_typeEEEZZNS1_27merge_sort_block_merge_implIS3_N6thrust23THRUST_200600_302600_NS6detail15normal_iteratorINS9_10device_ptrIxEEEEPS5_jNS1_19radix_merge_compareILb0ELb0ExNS0_19identity_decomposerEEEEE10hipError_tT0_T1_T2_jT3_P12ihipStream_tbPNSt15iterator_traitsISK_E10value_typeEPNSQ_ISL_E10value_typeEPSM_NS1_7vsmem_tEENKUlT_SK_SL_SM_E_clIPxSE_SF_SF_EESJ_SZ_SK_SL_SM_EUlSZ_E1_NS1_11comp_targetILNS1_3genE0ELNS1_11target_archE4294967295ELNS1_3gpuE0ELNS1_3repE0EEENS1_36merge_oddeven_config_static_selectorELNS0_4arch9wavefront6targetE1EEEvSL_
	.globl	_ZN7rocprim17ROCPRIM_400000_NS6detail17trampoline_kernelINS0_14default_configENS1_38merge_sort_block_merge_config_selectorIxNS0_10empty_typeEEEZZNS1_27merge_sort_block_merge_implIS3_N6thrust23THRUST_200600_302600_NS6detail15normal_iteratorINS9_10device_ptrIxEEEEPS5_jNS1_19radix_merge_compareILb0ELb0ExNS0_19identity_decomposerEEEEE10hipError_tT0_T1_T2_jT3_P12ihipStream_tbPNSt15iterator_traitsISK_E10value_typeEPNSQ_ISL_E10value_typeEPSM_NS1_7vsmem_tEENKUlT_SK_SL_SM_E_clIPxSE_SF_SF_EESJ_SZ_SK_SL_SM_EUlSZ_E1_NS1_11comp_targetILNS1_3genE0ELNS1_11target_archE4294967295ELNS1_3gpuE0ELNS1_3repE0EEENS1_36merge_oddeven_config_static_selectorELNS0_4arch9wavefront6targetE1EEEvSL_
	.p2align	8
	.type	_ZN7rocprim17ROCPRIM_400000_NS6detail17trampoline_kernelINS0_14default_configENS1_38merge_sort_block_merge_config_selectorIxNS0_10empty_typeEEEZZNS1_27merge_sort_block_merge_implIS3_N6thrust23THRUST_200600_302600_NS6detail15normal_iteratorINS9_10device_ptrIxEEEEPS5_jNS1_19radix_merge_compareILb0ELb0ExNS0_19identity_decomposerEEEEE10hipError_tT0_T1_T2_jT3_P12ihipStream_tbPNSt15iterator_traitsISK_E10value_typeEPNSQ_ISL_E10value_typeEPSM_NS1_7vsmem_tEENKUlT_SK_SL_SM_E_clIPxSE_SF_SF_EESJ_SZ_SK_SL_SM_EUlSZ_E1_NS1_11comp_targetILNS1_3genE0ELNS1_11target_archE4294967295ELNS1_3gpuE0ELNS1_3repE0EEENS1_36merge_oddeven_config_static_selectorELNS0_4arch9wavefront6targetE1EEEvSL_,@function
_ZN7rocprim17ROCPRIM_400000_NS6detail17trampoline_kernelINS0_14default_configENS1_38merge_sort_block_merge_config_selectorIxNS0_10empty_typeEEEZZNS1_27merge_sort_block_merge_implIS3_N6thrust23THRUST_200600_302600_NS6detail15normal_iteratorINS9_10device_ptrIxEEEEPS5_jNS1_19radix_merge_compareILb0ELb0ExNS0_19identity_decomposerEEEEE10hipError_tT0_T1_T2_jT3_P12ihipStream_tbPNSt15iterator_traitsISK_E10value_typeEPNSQ_ISL_E10value_typeEPSM_NS1_7vsmem_tEENKUlT_SK_SL_SM_E_clIPxSE_SF_SF_EESJ_SZ_SK_SL_SM_EUlSZ_E1_NS1_11comp_targetILNS1_3genE0ELNS1_11target_archE4294967295ELNS1_3gpuE0ELNS1_3repE0EEENS1_36merge_oddeven_config_static_selectorELNS0_4arch9wavefront6targetE1EEEvSL_: ; @_ZN7rocprim17ROCPRIM_400000_NS6detail17trampoline_kernelINS0_14default_configENS1_38merge_sort_block_merge_config_selectorIxNS0_10empty_typeEEEZZNS1_27merge_sort_block_merge_implIS3_N6thrust23THRUST_200600_302600_NS6detail15normal_iteratorINS9_10device_ptrIxEEEEPS5_jNS1_19radix_merge_compareILb0ELb0ExNS0_19identity_decomposerEEEEE10hipError_tT0_T1_T2_jT3_P12ihipStream_tbPNSt15iterator_traitsISK_E10value_typeEPNSQ_ISL_E10value_typeEPSM_NS1_7vsmem_tEENKUlT_SK_SL_SM_E_clIPxSE_SF_SF_EESJ_SZ_SK_SL_SM_EUlSZ_E1_NS1_11comp_targetILNS1_3genE0ELNS1_11target_archE4294967295ELNS1_3gpuE0ELNS1_3repE0EEENS1_36merge_oddeven_config_static_selectorELNS0_4arch9wavefront6targetE1EEEvSL_
; %bb.0:
	.section	.rodata,"a",@progbits
	.p2align	6, 0x0
	.amdhsa_kernel _ZN7rocprim17ROCPRIM_400000_NS6detail17trampoline_kernelINS0_14default_configENS1_38merge_sort_block_merge_config_selectorIxNS0_10empty_typeEEEZZNS1_27merge_sort_block_merge_implIS3_N6thrust23THRUST_200600_302600_NS6detail15normal_iteratorINS9_10device_ptrIxEEEEPS5_jNS1_19radix_merge_compareILb0ELb0ExNS0_19identity_decomposerEEEEE10hipError_tT0_T1_T2_jT3_P12ihipStream_tbPNSt15iterator_traitsISK_E10value_typeEPNSQ_ISL_E10value_typeEPSM_NS1_7vsmem_tEENKUlT_SK_SL_SM_E_clIPxSE_SF_SF_EESJ_SZ_SK_SL_SM_EUlSZ_E1_NS1_11comp_targetILNS1_3genE0ELNS1_11target_archE4294967295ELNS1_3gpuE0ELNS1_3repE0EEENS1_36merge_oddeven_config_static_selectorELNS0_4arch9wavefront6targetE1EEEvSL_
		.amdhsa_group_segment_fixed_size 0
		.amdhsa_private_segment_fixed_size 0
		.amdhsa_kernarg_size 48
		.amdhsa_user_sgpr_count 6
		.amdhsa_user_sgpr_private_segment_buffer 1
		.amdhsa_user_sgpr_dispatch_ptr 0
		.amdhsa_user_sgpr_queue_ptr 0
		.amdhsa_user_sgpr_kernarg_segment_ptr 1
		.amdhsa_user_sgpr_dispatch_id 0
		.amdhsa_user_sgpr_flat_scratch_init 0
		.amdhsa_user_sgpr_kernarg_preload_length 0
		.amdhsa_user_sgpr_kernarg_preload_offset 0
		.amdhsa_user_sgpr_private_segment_size 0
		.amdhsa_uses_dynamic_stack 0
		.amdhsa_system_sgpr_private_segment_wavefront_offset 0
		.amdhsa_system_sgpr_workgroup_id_x 1
		.amdhsa_system_sgpr_workgroup_id_y 0
		.amdhsa_system_sgpr_workgroup_id_z 0
		.amdhsa_system_sgpr_workgroup_info 0
		.amdhsa_system_vgpr_workitem_id 0
		.amdhsa_next_free_vgpr 1
		.amdhsa_next_free_sgpr 0
		.amdhsa_accum_offset 4
		.amdhsa_reserve_vcc 0
		.amdhsa_reserve_flat_scratch 0
		.amdhsa_float_round_mode_32 0
		.amdhsa_float_round_mode_16_64 0
		.amdhsa_float_denorm_mode_32 3
		.amdhsa_float_denorm_mode_16_64 3
		.amdhsa_dx10_clamp 1
		.amdhsa_ieee_mode 1
		.amdhsa_fp16_overflow 0
		.amdhsa_tg_split 0
		.amdhsa_exception_fp_ieee_invalid_op 0
		.amdhsa_exception_fp_denorm_src 0
		.amdhsa_exception_fp_ieee_div_zero 0
		.amdhsa_exception_fp_ieee_overflow 0
		.amdhsa_exception_fp_ieee_underflow 0
		.amdhsa_exception_fp_ieee_inexact 0
		.amdhsa_exception_int_div_zero 0
	.end_amdhsa_kernel
	.section	.text._ZN7rocprim17ROCPRIM_400000_NS6detail17trampoline_kernelINS0_14default_configENS1_38merge_sort_block_merge_config_selectorIxNS0_10empty_typeEEEZZNS1_27merge_sort_block_merge_implIS3_N6thrust23THRUST_200600_302600_NS6detail15normal_iteratorINS9_10device_ptrIxEEEEPS5_jNS1_19radix_merge_compareILb0ELb0ExNS0_19identity_decomposerEEEEE10hipError_tT0_T1_T2_jT3_P12ihipStream_tbPNSt15iterator_traitsISK_E10value_typeEPNSQ_ISL_E10value_typeEPSM_NS1_7vsmem_tEENKUlT_SK_SL_SM_E_clIPxSE_SF_SF_EESJ_SZ_SK_SL_SM_EUlSZ_E1_NS1_11comp_targetILNS1_3genE0ELNS1_11target_archE4294967295ELNS1_3gpuE0ELNS1_3repE0EEENS1_36merge_oddeven_config_static_selectorELNS0_4arch9wavefront6targetE1EEEvSL_,"axG",@progbits,_ZN7rocprim17ROCPRIM_400000_NS6detail17trampoline_kernelINS0_14default_configENS1_38merge_sort_block_merge_config_selectorIxNS0_10empty_typeEEEZZNS1_27merge_sort_block_merge_implIS3_N6thrust23THRUST_200600_302600_NS6detail15normal_iteratorINS9_10device_ptrIxEEEEPS5_jNS1_19radix_merge_compareILb0ELb0ExNS0_19identity_decomposerEEEEE10hipError_tT0_T1_T2_jT3_P12ihipStream_tbPNSt15iterator_traitsISK_E10value_typeEPNSQ_ISL_E10value_typeEPSM_NS1_7vsmem_tEENKUlT_SK_SL_SM_E_clIPxSE_SF_SF_EESJ_SZ_SK_SL_SM_EUlSZ_E1_NS1_11comp_targetILNS1_3genE0ELNS1_11target_archE4294967295ELNS1_3gpuE0ELNS1_3repE0EEENS1_36merge_oddeven_config_static_selectorELNS0_4arch9wavefront6targetE1EEEvSL_,comdat
.Lfunc_end1426:
	.size	_ZN7rocprim17ROCPRIM_400000_NS6detail17trampoline_kernelINS0_14default_configENS1_38merge_sort_block_merge_config_selectorIxNS0_10empty_typeEEEZZNS1_27merge_sort_block_merge_implIS3_N6thrust23THRUST_200600_302600_NS6detail15normal_iteratorINS9_10device_ptrIxEEEEPS5_jNS1_19radix_merge_compareILb0ELb0ExNS0_19identity_decomposerEEEEE10hipError_tT0_T1_T2_jT3_P12ihipStream_tbPNSt15iterator_traitsISK_E10value_typeEPNSQ_ISL_E10value_typeEPSM_NS1_7vsmem_tEENKUlT_SK_SL_SM_E_clIPxSE_SF_SF_EESJ_SZ_SK_SL_SM_EUlSZ_E1_NS1_11comp_targetILNS1_3genE0ELNS1_11target_archE4294967295ELNS1_3gpuE0ELNS1_3repE0EEENS1_36merge_oddeven_config_static_selectorELNS0_4arch9wavefront6targetE1EEEvSL_, .Lfunc_end1426-_ZN7rocprim17ROCPRIM_400000_NS6detail17trampoline_kernelINS0_14default_configENS1_38merge_sort_block_merge_config_selectorIxNS0_10empty_typeEEEZZNS1_27merge_sort_block_merge_implIS3_N6thrust23THRUST_200600_302600_NS6detail15normal_iteratorINS9_10device_ptrIxEEEEPS5_jNS1_19radix_merge_compareILb0ELb0ExNS0_19identity_decomposerEEEEE10hipError_tT0_T1_T2_jT3_P12ihipStream_tbPNSt15iterator_traitsISK_E10value_typeEPNSQ_ISL_E10value_typeEPSM_NS1_7vsmem_tEENKUlT_SK_SL_SM_E_clIPxSE_SF_SF_EESJ_SZ_SK_SL_SM_EUlSZ_E1_NS1_11comp_targetILNS1_3genE0ELNS1_11target_archE4294967295ELNS1_3gpuE0ELNS1_3repE0EEENS1_36merge_oddeven_config_static_selectorELNS0_4arch9wavefront6targetE1EEEvSL_
                                        ; -- End function
	.section	.AMDGPU.csdata,"",@progbits
; Kernel info:
; codeLenInByte = 0
; NumSgprs: 4
; NumVgprs: 0
; NumAgprs: 0
; TotalNumVgprs: 0
; ScratchSize: 0
; MemoryBound: 0
; FloatMode: 240
; IeeeMode: 1
; LDSByteSize: 0 bytes/workgroup (compile time only)
; SGPRBlocks: 0
; VGPRBlocks: 0
; NumSGPRsForWavesPerEU: 4
; NumVGPRsForWavesPerEU: 1
; AccumOffset: 4
; Occupancy: 8
; WaveLimiterHint : 0
; COMPUTE_PGM_RSRC2:SCRATCH_EN: 0
; COMPUTE_PGM_RSRC2:USER_SGPR: 6
; COMPUTE_PGM_RSRC2:TRAP_HANDLER: 0
; COMPUTE_PGM_RSRC2:TGID_X_EN: 1
; COMPUTE_PGM_RSRC2:TGID_Y_EN: 0
; COMPUTE_PGM_RSRC2:TGID_Z_EN: 0
; COMPUTE_PGM_RSRC2:TIDIG_COMP_CNT: 0
; COMPUTE_PGM_RSRC3_GFX90A:ACCUM_OFFSET: 0
; COMPUTE_PGM_RSRC3_GFX90A:TG_SPLIT: 0
	.section	.text._ZN7rocprim17ROCPRIM_400000_NS6detail17trampoline_kernelINS0_14default_configENS1_38merge_sort_block_merge_config_selectorIxNS0_10empty_typeEEEZZNS1_27merge_sort_block_merge_implIS3_N6thrust23THRUST_200600_302600_NS6detail15normal_iteratorINS9_10device_ptrIxEEEEPS5_jNS1_19radix_merge_compareILb0ELb0ExNS0_19identity_decomposerEEEEE10hipError_tT0_T1_T2_jT3_P12ihipStream_tbPNSt15iterator_traitsISK_E10value_typeEPNSQ_ISL_E10value_typeEPSM_NS1_7vsmem_tEENKUlT_SK_SL_SM_E_clIPxSE_SF_SF_EESJ_SZ_SK_SL_SM_EUlSZ_E1_NS1_11comp_targetILNS1_3genE10ELNS1_11target_archE1201ELNS1_3gpuE5ELNS1_3repE0EEENS1_36merge_oddeven_config_static_selectorELNS0_4arch9wavefront6targetE1EEEvSL_,"axG",@progbits,_ZN7rocprim17ROCPRIM_400000_NS6detail17trampoline_kernelINS0_14default_configENS1_38merge_sort_block_merge_config_selectorIxNS0_10empty_typeEEEZZNS1_27merge_sort_block_merge_implIS3_N6thrust23THRUST_200600_302600_NS6detail15normal_iteratorINS9_10device_ptrIxEEEEPS5_jNS1_19radix_merge_compareILb0ELb0ExNS0_19identity_decomposerEEEEE10hipError_tT0_T1_T2_jT3_P12ihipStream_tbPNSt15iterator_traitsISK_E10value_typeEPNSQ_ISL_E10value_typeEPSM_NS1_7vsmem_tEENKUlT_SK_SL_SM_E_clIPxSE_SF_SF_EESJ_SZ_SK_SL_SM_EUlSZ_E1_NS1_11comp_targetILNS1_3genE10ELNS1_11target_archE1201ELNS1_3gpuE5ELNS1_3repE0EEENS1_36merge_oddeven_config_static_selectorELNS0_4arch9wavefront6targetE1EEEvSL_,comdat
	.protected	_ZN7rocprim17ROCPRIM_400000_NS6detail17trampoline_kernelINS0_14default_configENS1_38merge_sort_block_merge_config_selectorIxNS0_10empty_typeEEEZZNS1_27merge_sort_block_merge_implIS3_N6thrust23THRUST_200600_302600_NS6detail15normal_iteratorINS9_10device_ptrIxEEEEPS5_jNS1_19radix_merge_compareILb0ELb0ExNS0_19identity_decomposerEEEEE10hipError_tT0_T1_T2_jT3_P12ihipStream_tbPNSt15iterator_traitsISK_E10value_typeEPNSQ_ISL_E10value_typeEPSM_NS1_7vsmem_tEENKUlT_SK_SL_SM_E_clIPxSE_SF_SF_EESJ_SZ_SK_SL_SM_EUlSZ_E1_NS1_11comp_targetILNS1_3genE10ELNS1_11target_archE1201ELNS1_3gpuE5ELNS1_3repE0EEENS1_36merge_oddeven_config_static_selectorELNS0_4arch9wavefront6targetE1EEEvSL_ ; -- Begin function _ZN7rocprim17ROCPRIM_400000_NS6detail17trampoline_kernelINS0_14default_configENS1_38merge_sort_block_merge_config_selectorIxNS0_10empty_typeEEEZZNS1_27merge_sort_block_merge_implIS3_N6thrust23THRUST_200600_302600_NS6detail15normal_iteratorINS9_10device_ptrIxEEEEPS5_jNS1_19radix_merge_compareILb0ELb0ExNS0_19identity_decomposerEEEEE10hipError_tT0_T1_T2_jT3_P12ihipStream_tbPNSt15iterator_traitsISK_E10value_typeEPNSQ_ISL_E10value_typeEPSM_NS1_7vsmem_tEENKUlT_SK_SL_SM_E_clIPxSE_SF_SF_EESJ_SZ_SK_SL_SM_EUlSZ_E1_NS1_11comp_targetILNS1_3genE10ELNS1_11target_archE1201ELNS1_3gpuE5ELNS1_3repE0EEENS1_36merge_oddeven_config_static_selectorELNS0_4arch9wavefront6targetE1EEEvSL_
	.globl	_ZN7rocprim17ROCPRIM_400000_NS6detail17trampoline_kernelINS0_14default_configENS1_38merge_sort_block_merge_config_selectorIxNS0_10empty_typeEEEZZNS1_27merge_sort_block_merge_implIS3_N6thrust23THRUST_200600_302600_NS6detail15normal_iteratorINS9_10device_ptrIxEEEEPS5_jNS1_19radix_merge_compareILb0ELb0ExNS0_19identity_decomposerEEEEE10hipError_tT0_T1_T2_jT3_P12ihipStream_tbPNSt15iterator_traitsISK_E10value_typeEPNSQ_ISL_E10value_typeEPSM_NS1_7vsmem_tEENKUlT_SK_SL_SM_E_clIPxSE_SF_SF_EESJ_SZ_SK_SL_SM_EUlSZ_E1_NS1_11comp_targetILNS1_3genE10ELNS1_11target_archE1201ELNS1_3gpuE5ELNS1_3repE0EEENS1_36merge_oddeven_config_static_selectorELNS0_4arch9wavefront6targetE1EEEvSL_
	.p2align	8
	.type	_ZN7rocprim17ROCPRIM_400000_NS6detail17trampoline_kernelINS0_14default_configENS1_38merge_sort_block_merge_config_selectorIxNS0_10empty_typeEEEZZNS1_27merge_sort_block_merge_implIS3_N6thrust23THRUST_200600_302600_NS6detail15normal_iteratorINS9_10device_ptrIxEEEEPS5_jNS1_19radix_merge_compareILb0ELb0ExNS0_19identity_decomposerEEEEE10hipError_tT0_T1_T2_jT3_P12ihipStream_tbPNSt15iterator_traitsISK_E10value_typeEPNSQ_ISL_E10value_typeEPSM_NS1_7vsmem_tEENKUlT_SK_SL_SM_E_clIPxSE_SF_SF_EESJ_SZ_SK_SL_SM_EUlSZ_E1_NS1_11comp_targetILNS1_3genE10ELNS1_11target_archE1201ELNS1_3gpuE5ELNS1_3repE0EEENS1_36merge_oddeven_config_static_selectorELNS0_4arch9wavefront6targetE1EEEvSL_,@function
_ZN7rocprim17ROCPRIM_400000_NS6detail17trampoline_kernelINS0_14default_configENS1_38merge_sort_block_merge_config_selectorIxNS0_10empty_typeEEEZZNS1_27merge_sort_block_merge_implIS3_N6thrust23THRUST_200600_302600_NS6detail15normal_iteratorINS9_10device_ptrIxEEEEPS5_jNS1_19radix_merge_compareILb0ELb0ExNS0_19identity_decomposerEEEEE10hipError_tT0_T1_T2_jT3_P12ihipStream_tbPNSt15iterator_traitsISK_E10value_typeEPNSQ_ISL_E10value_typeEPSM_NS1_7vsmem_tEENKUlT_SK_SL_SM_E_clIPxSE_SF_SF_EESJ_SZ_SK_SL_SM_EUlSZ_E1_NS1_11comp_targetILNS1_3genE10ELNS1_11target_archE1201ELNS1_3gpuE5ELNS1_3repE0EEENS1_36merge_oddeven_config_static_selectorELNS0_4arch9wavefront6targetE1EEEvSL_: ; @_ZN7rocprim17ROCPRIM_400000_NS6detail17trampoline_kernelINS0_14default_configENS1_38merge_sort_block_merge_config_selectorIxNS0_10empty_typeEEEZZNS1_27merge_sort_block_merge_implIS3_N6thrust23THRUST_200600_302600_NS6detail15normal_iteratorINS9_10device_ptrIxEEEEPS5_jNS1_19radix_merge_compareILb0ELb0ExNS0_19identity_decomposerEEEEE10hipError_tT0_T1_T2_jT3_P12ihipStream_tbPNSt15iterator_traitsISK_E10value_typeEPNSQ_ISL_E10value_typeEPSM_NS1_7vsmem_tEENKUlT_SK_SL_SM_E_clIPxSE_SF_SF_EESJ_SZ_SK_SL_SM_EUlSZ_E1_NS1_11comp_targetILNS1_3genE10ELNS1_11target_archE1201ELNS1_3gpuE5ELNS1_3repE0EEENS1_36merge_oddeven_config_static_selectorELNS0_4arch9wavefront6targetE1EEEvSL_
; %bb.0:
	.section	.rodata,"a",@progbits
	.p2align	6, 0x0
	.amdhsa_kernel _ZN7rocprim17ROCPRIM_400000_NS6detail17trampoline_kernelINS0_14default_configENS1_38merge_sort_block_merge_config_selectorIxNS0_10empty_typeEEEZZNS1_27merge_sort_block_merge_implIS3_N6thrust23THRUST_200600_302600_NS6detail15normal_iteratorINS9_10device_ptrIxEEEEPS5_jNS1_19radix_merge_compareILb0ELb0ExNS0_19identity_decomposerEEEEE10hipError_tT0_T1_T2_jT3_P12ihipStream_tbPNSt15iterator_traitsISK_E10value_typeEPNSQ_ISL_E10value_typeEPSM_NS1_7vsmem_tEENKUlT_SK_SL_SM_E_clIPxSE_SF_SF_EESJ_SZ_SK_SL_SM_EUlSZ_E1_NS1_11comp_targetILNS1_3genE10ELNS1_11target_archE1201ELNS1_3gpuE5ELNS1_3repE0EEENS1_36merge_oddeven_config_static_selectorELNS0_4arch9wavefront6targetE1EEEvSL_
		.amdhsa_group_segment_fixed_size 0
		.amdhsa_private_segment_fixed_size 0
		.amdhsa_kernarg_size 48
		.amdhsa_user_sgpr_count 6
		.amdhsa_user_sgpr_private_segment_buffer 1
		.amdhsa_user_sgpr_dispatch_ptr 0
		.amdhsa_user_sgpr_queue_ptr 0
		.amdhsa_user_sgpr_kernarg_segment_ptr 1
		.amdhsa_user_sgpr_dispatch_id 0
		.amdhsa_user_sgpr_flat_scratch_init 0
		.amdhsa_user_sgpr_kernarg_preload_length 0
		.amdhsa_user_sgpr_kernarg_preload_offset 0
		.amdhsa_user_sgpr_private_segment_size 0
		.amdhsa_uses_dynamic_stack 0
		.amdhsa_system_sgpr_private_segment_wavefront_offset 0
		.amdhsa_system_sgpr_workgroup_id_x 1
		.amdhsa_system_sgpr_workgroup_id_y 0
		.amdhsa_system_sgpr_workgroup_id_z 0
		.amdhsa_system_sgpr_workgroup_info 0
		.amdhsa_system_vgpr_workitem_id 0
		.amdhsa_next_free_vgpr 1
		.amdhsa_next_free_sgpr 0
		.amdhsa_accum_offset 4
		.amdhsa_reserve_vcc 0
		.amdhsa_reserve_flat_scratch 0
		.amdhsa_float_round_mode_32 0
		.amdhsa_float_round_mode_16_64 0
		.amdhsa_float_denorm_mode_32 3
		.amdhsa_float_denorm_mode_16_64 3
		.amdhsa_dx10_clamp 1
		.amdhsa_ieee_mode 1
		.amdhsa_fp16_overflow 0
		.amdhsa_tg_split 0
		.amdhsa_exception_fp_ieee_invalid_op 0
		.amdhsa_exception_fp_denorm_src 0
		.amdhsa_exception_fp_ieee_div_zero 0
		.amdhsa_exception_fp_ieee_overflow 0
		.amdhsa_exception_fp_ieee_underflow 0
		.amdhsa_exception_fp_ieee_inexact 0
		.amdhsa_exception_int_div_zero 0
	.end_amdhsa_kernel
	.section	.text._ZN7rocprim17ROCPRIM_400000_NS6detail17trampoline_kernelINS0_14default_configENS1_38merge_sort_block_merge_config_selectorIxNS0_10empty_typeEEEZZNS1_27merge_sort_block_merge_implIS3_N6thrust23THRUST_200600_302600_NS6detail15normal_iteratorINS9_10device_ptrIxEEEEPS5_jNS1_19radix_merge_compareILb0ELb0ExNS0_19identity_decomposerEEEEE10hipError_tT0_T1_T2_jT3_P12ihipStream_tbPNSt15iterator_traitsISK_E10value_typeEPNSQ_ISL_E10value_typeEPSM_NS1_7vsmem_tEENKUlT_SK_SL_SM_E_clIPxSE_SF_SF_EESJ_SZ_SK_SL_SM_EUlSZ_E1_NS1_11comp_targetILNS1_3genE10ELNS1_11target_archE1201ELNS1_3gpuE5ELNS1_3repE0EEENS1_36merge_oddeven_config_static_selectorELNS0_4arch9wavefront6targetE1EEEvSL_,"axG",@progbits,_ZN7rocprim17ROCPRIM_400000_NS6detail17trampoline_kernelINS0_14default_configENS1_38merge_sort_block_merge_config_selectorIxNS0_10empty_typeEEEZZNS1_27merge_sort_block_merge_implIS3_N6thrust23THRUST_200600_302600_NS6detail15normal_iteratorINS9_10device_ptrIxEEEEPS5_jNS1_19radix_merge_compareILb0ELb0ExNS0_19identity_decomposerEEEEE10hipError_tT0_T1_T2_jT3_P12ihipStream_tbPNSt15iterator_traitsISK_E10value_typeEPNSQ_ISL_E10value_typeEPSM_NS1_7vsmem_tEENKUlT_SK_SL_SM_E_clIPxSE_SF_SF_EESJ_SZ_SK_SL_SM_EUlSZ_E1_NS1_11comp_targetILNS1_3genE10ELNS1_11target_archE1201ELNS1_3gpuE5ELNS1_3repE0EEENS1_36merge_oddeven_config_static_selectorELNS0_4arch9wavefront6targetE1EEEvSL_,comdat
.Lfunc_end1427:
	.size	_ZN7rocprim17ROCPRIM_400000_NS6detail17trampoline_kernelINS0_14default_configENS1_38merge_sort_block_merge_config_selectorIxNS0_10empty_typeEEEZZNS1_27merge_sort_block_merge_implIS3_N6thrust23THRUST_200600_302600_NS6detail15normal_iteratorINS9_10device_ptrIxEEEEPS5_jNS1_19radix_merge_compareILb0ELb0ExNS0_19identity_decomposerEEEEE10hipError_tT0_T1_T2_jT3_P12ihipStream_tbPNSt15iterator_traitsISK_E10value_typeEPNSQ_ISL_E10value_typeEPSM_NS1_7vsmem_tEENKUlT_SK_SL_SM_E_clIPxSE_SF_SF_EESJ_SZ_SK_SL_SM_EUlSZ_E1_NS1_11comp_targetILNS1_3genE10ELNS1_11target_archE1201ELNS1_3gpuE5ELNS1_3repE0EEENS1_36merge_oddeven_config_static_selectorELNS0_4arch9wavefront6targetE1EEEvSL_, .Lfunc_end1427-_ZN7rocprim17ROCPRIM_400000_NS6detail17trampoline_kernelINS0_14default_configENS1_38merge_sort_block_merge_config_selectorIxNS0_10empty_typeEEEZZNS1_27merge_sort_block_merge_implIS3_N6thrust23THRUST_200600_302600_NS6detail15normal_iteratorINS9_10device_ptrIxEEEEPS5_jNS1_19radix_merge_compareILb0ELb0ExNS0_19identity_decomposerEEEEE10hipError_tT0_T1_T2_jT3_P12ihipStream_tbPNSt15iterator_traitsISK_E10value_typeEPNSQ_ISL_E10value_typeEPSM_NS1_7vsmem_tEENKUlT_SK_SL_SM_E_clIPxSE_SF_SF_EESJ_SZ_SK_SL_SM_EUlSZ_E1_NS1_11comp_targetILNS1_3genE10ELNS1_11target_archE1201ELNS1_3gpuE5ELNS1_3repE0EEENS1_36merge_oddeven_config_static_selectorELNS0_4arch9wavefront6targetE1EEEvSL_
                                        ; -- End function
	.section	.AMDGPU.csdata,"",@progbits
; Kernel info:
; codeLenInByte = 0
; NumSgprs: 4
; NumVgprs: 0
; NumAgprs: 0
; TotalNumVgprs: 0
; ScratchSize: 0
; MemoryBound: 0
; FloatMode: 240
; IeeeMode: 1
; LDSByteSize: 0 bytes/workgroup (compile time only)
; SGPRBlocks: 0
; VGPRBlocks: 0
; NumSGPRsForWavesPerEU: 4
; NumVGPRsForWavesPerEU: 1
; AccumOffset: 4
; Occupancy: 8
; WaveLimiterHint : 0
; COMPUTE_PGM_RSRC2:SCRATCH_EN: 0
; COMPUTE_PGM_RSRC2:USER_SGPR: 6
; COMPUTE_PGM_RSRC2:TRAP_HANDLER: 0
; COMPUTE_PGM_RSRC2:TGID_X_EN: 1
; COMPUTE_PGM_RSRC2:TGID_Y_EN: 0
; COMPUTE_PGM_RSRC2:TGID_Z_EN: 0
; COMPUTE_PGM_RSRC2:TIDIG_COMP_CNT: 0
; COMPUTE_PGM_RSRC3_GFX90A:ACCUM_OFFSET: 0
; COMPUTE_PGM_RSRC3_GFX90A:TG_SPLIT: 0
	.section	.text._ZN7rocprim17ROCPRIM_400000_NS6detail17trampoline_kernelINS0_14default_configENS1_38merge_sort_block_merge_config_selectorIxNS0_10empty_typeEEEZZNS1_27merge_sort_block_merge_implIS3_N6thrust23THRUST_200600_302600_NS6detail15normal_iteratorINS9_10device_ptrIxEEEEPS5_jNS1_19radix_merge_compareILb0ELb0ExNS0_19identity_decomposerEEEEE10hipError_tT0_T1_T2_jT3_P12ihipStream_tbPNSt15iterator_traitsISK_E10value_typeEPNSQ_ISL_E10value_typeEPSM_NS1_7vsmem_tEENKUlT_SK_SL_SM_E_clIPxSE_SF_SF_EESJ_SZ_SK_SL_SM_EUlSZ_E1_NS1_11comp_targetILNS1_3genE5ELNS1_11target_archE942ELNS1_3gpuE9ELNS1_3repE0EEENS1_36merge_oddeven_config_static_selectorELNS0_4arch9wavefront6targetE1EEEvSL_,"axG",@progbits,_ZN7rocprim17ROCPRIM_400000_NS6detail17trampoline_kernelINS0_14default_configENS1_38merge_sort_block_merge_config_selectorIxNS0_10empty_typeEEEZZNS1_27merge_sort_block_merge_implIS3_N6thrust23THRUST_200600_302600_NS6detail15normal_iteratorINS9_10device_ptrIxEEEEPS5_jNS1_19radix_merge_compareILb0ELb0ExNS0_19identity_decomposerEEEEE10hipError_tT0_T1_T2_jT3_P12ihipStream_tbPNSt15iterator_traitsISK_E10value_typeEPNSQ_ISL_E10value_typeEPSM_NS1_7vsmem_tEENKUlT_SK_SL_SM_E_clIPxSE_SF_SF_EESJ_SZ_SK_SL_SM_EUlSZ_E1_NS1_11comp_targetILNS1_3genE5ELNS1_11target_archE942ELNS1_3gpuE9ELNS1_3repE0EEENS1_36merge_oddeven_config_static_selectorELNS0_4arch9wavefront6targetE1EEEvSL_,comdat
	.protected	_ZN7rocprim17ROCPRIM_400000_NS6detail17trampoline_kernelINS0_14default_configENS1_38merge_sort_block_merge_config_selectorIxNS0_10empty_typeEEEZZNS1_27merge_sort_block_merge_implIS3_N6thrust23THRUST_200600_302600_NS6detail15normal_iteratorINS9_10device_ptrIxEEEEPS5_jNS1_19radix_merge_compareILb0ELb0ExNS0_19identity_decomposerEEEEE10hipError_tT0_T1_T2_jT3_P12ihipStream_tbPNSt15iterator_traitsISK_E10value_typeEPNSQ_ISL_E10value_typeEPSM_NS1_7vsmem_tEENKUlT_SK_SL_SM_E_clIPxSE_SF_SF_EESJ_SZ_SK_SL_SM_EUlSZ_E1_NS1_11comp_targetILNS1_3genE5ELNS1_11target_archE942ELNS1_3gpuE9ELNS1_3repE0EEENS1_36merge_oddeven_config_static_selectorELNS0_4arch9wavefront6targetE1EEEvSL_ ; -- Begin function _ZN7rocprim17ROCPRIM_400000_NS6detail17trampoline_kernelINS0_14default_configENS1_38merge_sort_block_merge_config_selectorIxNS0_10empty_typeEEEZZNS1_27merge_sort_block_merge_implIS3_N6thrust23THRUST_200600_302600_NS6detail15normal_iteratorINS9_10device_ptrIxEEEEPS5_jNS1_19radix_merge_compareILb0ELb0ExNS0_19identity_decomposerEEEEE10hipError_tT0_T1_T2_jT3_P12ihipStream_tbPNSt15iterator_traitsISK_E10value_typeEPNSQ_ISL_E10value_typeEPSM_NS1_7vsmem_tEENKUlT_SK_SL_SM_E_clIPxSE_SF_SF_EESJ_SZ_SK_SL_SM_EUlSZ_E1_NS1_11comp_targetILNS1_3genE5ELNS1_11target_archE942ELNS1_3gpuE9ELNS1_3repE0EEENS1_36merge_oddeven_config_static_selectorELNS0_4arch9wavefront6targetE1EEEvSL_
	.globl	_ZN7rocprim17ROCPRIM_400000_NS6detail17trampoline_kernelINS0_14default_configENS1_38merge_sort_block_merge_config_selectorIxNS0_10empty_typeEEEZZNS1_27merge_sort_block_merge_implIS3_N6thrust23THRUST_200600_302600_NS6detail15normal_iteratorINS9_10device_ptrIxEEEEPS5_jNS1_19radix_merge_compareILb0ELb0ExNS0_19identity_decomposerEEEEE10hipError_tT0_T1_T2_jT3_P12ihipStream_tbPNSt15iterator_traitsISK_E10value_typeEPNSQ_ISL_E10value_typeEPSM_NS1_7vsmem_tEENKUlT_SK_SL_SM_E_clIPxSE_SF_SF_EESJ_SZ_SK_SL_SM_EUlSZ_E1_NS1_11comp_targetILNS1_3genE5ELNS1_11target_archE942ELNS1_3gpuE9ELNS1_3repE0EEENS1_36merge_oddeven_config_static_selectorELNS0_4arch9wavefront6targetE1EEEvSL_
	.p2align	8
	.type	_ZN7rocprim17ROCPRIM_400000_NS6detail17trampoline_kernelINS0_14default_configENS1_38merge_sort_block_merge_config_selectorIxNS0_10empty_typeEEEZZNS1_27merge_sort_block_merge_implIS3_N6thrust23THRUST_200600_302600_NS6detail15normal_iteratorINS9_10device_ptrIxEEEEPS5_jNS1_19radix_merge_compareILb0ELb0ExNS0_19identity_decomposerEEEEE10hipError_tT0_T1_T2_jT3_P12ihipStream_tbPNSt15iterator_traitsISK_E10value_typeEPNSQ_ISL_E10value_typeEPSM_NS1_7vsmem_tEENKUlT_SK_SL_SM_E_clIPxSE_SF_SF_EESJ_SZ_SK_SL_SM_EUlSZ_E1_NS1_11comp_targetILNS1_3genE5ELNS1_11target_archE942ELNS1_3gpuE9ELNS1_3repE0EEENS1_36merge_oddeven_config_static_selectorELNS0_4arch9wavefront6targetE1EEEvSL_,@function
_ZN7rocprim17ROCPRIM_400000_NS6detail17trampoline_kernelINS0_14default_configENS1_38merge_sort_block_merge_config_selectorIxNS0_10empty_typeEEEZZNS1_27merge_sort_block_merge_implIS3_N6thrust23THRUST_200600_302600_NS6detail15normal_iteratorINS9_10device_ptrIxEEEEPS5_jNS1_19radix_merge_compareILb0ELb0ExNS0_19identity_decomposerEEEEE10hipError_tT0_T1_T2_jT3_P12ihipStream_tbPNSt15iterator_traitsISK_E10value_typeEPNSQ_ISL_E10value_typeEPSM_NS1_7vsmem_tEENKUlT_SK_SL_SM_E_clIPxSE_SF_SF_EESJ_SZ_SK_SL_SM_EUlSZ_E1_NS1_11comp_targetILNS1_3genE5ELNS1_11target_archE942ELNS1_3gpuE9ELNS1_3repE0EEENS1_36merge_oddeven_config_static_selectorELNS0_4arch9wavefront6targetE1EEEvSL_: ; @_ZN7rocprim17ROCPRIM_400000_NS6detail17trampoline_kernelINS0_14default_configENS1_38merge_sort_block_merge_config_selectorIxNS0_10empty_typeEEEZZNS1_27merge_sort_block_merge_implIS3_N6thrust23THRUST_200600_302600_NS6detail15normal_iteratorINS9_10device_ptrIxEEEEPS5_jNS1_19radix_merge_compareILb0ELb0ExNS0_19identity_decomposerEEEEE10hipError_tT0_T1_T2_jT3_P12ihipStream_tbPNSt15iterator_traitsISK_E10value_typeEPNSQ_ISL_E10value_typeEPSM_NS1_7vsmem_tEENKUlT_SK_SL_SM_E_clIPxSE_SF_SF_EESJ_SZ_SK_SL_SM_EUlSZ_E1_NS1_11comp_targetILNS1_3genE5ELNS1_11target_archE942ELNS1_3gpuE9ELNS1_3repE0EEENS1_36merge_oddeven_config_static_selectorELNS0_4arch9wavefront6targetE1EEEvSL_
; %bb.0:
	.section	.rodata,"a",@progbits
	.p2align	6, 0x0
	.amdhsa_kernel _ZN7rocprim17ROCPRIM_400000_NS6detail17trampoline_kernelINS0_14default_configENS1_38merge_sort_block_merge_config_selectorIxNS0_10empty_typeEEEZZNS1_27merge_sort_block_merge_implIS3_N6thrust23THRUST_200600_302600_NS6detail15normal_iteratorINS9_10device_ptrIxEEEEPS5_jNS1_19radix_merge_compareILb0ELb0ExNS0_19identity_decomposerEEEEE10hipError_tT0_T1_T2_jT3_P12ihipStream_tbPNSt15iterator_traitsISK_E10value_typeEPNSQ_ISL_E10value_typeEPSM_NS1_7vsmem_tEENKUlT_SK_SL_SM_E_clIPxSE_SF_SF_EESJ_SZ_SK_SL_SM_EUlSZ_E1_NS1_11comp_targetILNS1_3genE5ELNS1_11target_archE942ELNS1_3gpuE9ELNS1_3repE0EEENS1_36merge_oddeven_config_static_selectorELNS0_4arch9wavefront6targetE1EEEvSL_
		.amdhsa_group_segment_fixed_size 0
		.amdhsa_private_segment_fixed_size 0
		.amdhsa_kernarg_size 48
		.amdhsa_user_sgpr_count 6
		.amdhsa_user_sgpr_private_segment_buffer 1
		.amdhsa_user_sgpr_dispatch_ptr 0
		.amdhsa_user_sgpr_queue_ptr 0
		.amdhsa_user_sgpr_kernarg_segment_ptr 1
		.amdhsa_user_sgpr_dispatch_id 0
		.amdhsa_user_sgpr_flat_scratch_init 0
		.amdhsa_user_sgpr_kernarg_preload_length 0
		.amdhsa_user_sgpr_kernarg_preload_offset 0
		.amdhsa_user_sgpr_private_segment_size 0
		.amdhsa_uses_dynamic_stack 0
		.amdhsa_system_sgpr_private_segment_wavefront_offset 0
		.amdhsa_system_sgpr_workgroup_id_x 1
		.amdhsa_system_sgpr_workgroup_id_y 0
		.amdhsa_system_sgpr_workgroup_id_z 0
		.amdhsa_system_sgpr_workgroup_info 0
		.amdhsa_system_vgpr_workitem_id 0
		.amdhsa_next_free_vgpr 1
		.amdhsa_next_free_sgpr 0
		.amdhsa_accum_offset 4
		.amdhsa_reserve_vcc 0
		.amdhsa_reserve_flat_scratch 0
		.amdhsa_float_round_mode_32 0
		.amdhsa_float_round_mode_16_64 0
		.amdhsa_float_denorm_mode_32 3
		.amdhsa_float_denorm_mode_16_64 3
		.amdhsa_dx10_clamp 1
		.amdhsa_ieee_mode 1
		.amdhsa_fp16_overflow 0
		.amdhsa_tg_split 0
		.amdhsa_exception_fp_ieee_invalid_op 0
		.amdhsa_exception_fp_denorm_src 0
		.amdhsa_exception_fp_ieee_div_zero 0
		.amdhsa_exception_fp_ieee_overflow 0
		.amdhsa_exception_fp_ieee_underflow 0
		.amdhsa_exception_fp_ieee_inexact 0
		.amdhsa_exception_int_div_zero 0
	.end_amdhsa_kernel
	.section	.text._ZN7rocprim17ROCPRIM_400000_NS6detail17trampoline_kernelINS0_14default_configENS1_38merge_sort_block_merge_config_selectorIxNS0_10empty_typeEEEZZNS1_27merge_sort_block_merge_implIS3_N6thrust23THRUST_200600_302600_NS6detail15normal_iteratorINS9_10device_ptrIxEEEEPS5_jNS1_19radix_merge_compareILb0ELb0ExNS0_19identity_decomposerEEEEE10hipError_tT0_T1_T2_jT3_P12ihipStream_tbPNSt15iterator_traitsISK_E10value_typeEPNSQ_ISL_E10value_typeEPSM_NS1_7vsmem_tEENKUlT_SK_SL_SM_E_clIPxSE_SF_SF_EESJ_SZ_SK_SL_SM_EUlSZ_E1_NS1_11comp_targetILNS1_3genE5ELNS1_11target_archE942ELNS1_3gpuE9ELNS1_3repE0EEENS1_36merge_oddeven_config_static_selectorELNS0_4arch9wavefront6targetE1EEEvSL_,"axG",@progbits,_ZN7rocprim17ROCPRIM_400000_NS6detail17trampoline_kernelINS0_14default_configENS1_38merge_sort_block_merge_config_selectorIxNS0_10empty_typeEEEZZNS1_27merge_sort_block_merge_implIS3_N6thrust23THRUST_200600_302600_NS6detail15normal_iteratorINS9_10device_ptrIxEEEEPS5_jNS1_19radix_merge_compareILb0ELb0ExNS0_19identity_decomposerEEEEE10hipError_tT0_T1_T2_jT3_P12ihipStream_tbPNSt15iterator_traitsISK_E10value_typeEPNSQ_ISL_E10value_typeEPSM_NS1_7vsmem_tEENKUlT_SK_SL_SM_E_clIPxSE_SF_SF_EESJ_SZ_SK_SL_SM_EUlSZ_E1_NS1_11comp_targetILNS1_3genE5ELNS1_11target_archE942ELNS1_3gpuE9ELNS1_3repE0EEENS1_36merge_oddeven_config_static_selectorELNS0_4arch9wavefront6targetE1EEEvSL_,comdat
.Lfunc_end1428:
	.size	_ZN7rocprim17ROCPRIM_400000_NS6detail17trampoline_kernelINS0_14default_configENS1_38merge_sort_block_merge_config_selectorIxNS0_10empty_typeEEEZZNS1_27merge_sort_block_merge_implIS3_N6thrust23THRUST_200600_302600_NS6detail15normal_iteratorINS9_10device_ptrIxEEEEPS5_jNS1_19radix_merge_compareILb0ELb0ExNS0_19identity_decomposerEEEEE10hipError_tT0_T1_T2_jT3_P12ihipStream_tbPNSt15iterator_traitsISK_E10value_typeEPNSQ_ISL_E10value_typeEPSM_NS1_7vsmem_tEENKUlT_SK_SL_SM_E_clIPxSE_SF_SF_EESJ_SZ_SK_SL_SM_EUlSZ_E1_NS1_11comp_targetILNS1_3genE5ELNS1_11target_archE942ELNS1_3gpuE9ELNS1_3repE0EEENS1_36merge_oddeven_config_static_selectorELNS0_4arch9wavefront6targetE1EEEvSL_, .Lfunc_end1428-_ZN7rocprim17ROCPRIM_400000_NS6detail17trampoline_kernelINS0_14default_configENS1_38merge_sort_block_merge_config_selectorIxNS0_10empty_typeEEEZZNS1_27merge_sort_block_merge_implIS3_N6thrust23THRUST_200600_302600_NS6detail15normal_iteratorINS9_10device_ptrIxEEEEPS5_jNS1_19radix_merge_compareILb0ELb0ExNS0_19identity_decomposerEEEEE10hipError_tT0_T1_T2_jT3_P12ihipStream_tbPNSt15iterator_traitsISK_E10value_typeEPNSQ_ISL_E10value_typeEPSM_NS1_7vsmem_tEENKUlT_SK_SL_SM_E_clIPxSE_SF_SF_EESJ_SZ_SK_SL_SM_EUlSZ_E1_NS1_11comp_targetILNS1_3genE5ELNS1_11target_archE942ELNS1_3gpuE9ELNS1_3repE0EEENS1_36merge_oddeven_config_static_selectorELNS0_4arch9wavefront6targetE1EEEvSL_
                                        ; -- End function
	.section	.AMDGPU.csdata,"",@progbits
; Kernel info:
; codeLenInByte = 0
; NumSgprs: 4
; NumVgprs: 0
; NumAgprs: 0
; TotalNumVgprs: 0
; ScratchSize: 0
; MemoryBound: 0
; FloatMode: 240
; IeeeMode: 1
; LDSByteSize: 0 bytes/workgroup (compile time only)
; SGPRBlocks: 0
; VGPRBlocks: 0
; NumSGPRsForWavesPerEU: 4
; NumVGPRsForWavesPerEU: 1
; AccumOffset: 4
; Occupancy: 8
; WaveLimiterHint : 0
; COMPUTE_PGM_RSRC2:SCRATCH_EN: 0
; COMPUTE_PGM_RSRC2:USER_SGPR: 6
; COMPUTE_PGM_RSRC2:TRAP_HANDLER: 0
; COMPUTE_PGM_RSRC2:TGID_X_EN: 1
; COMPUTE_PGM_RSRC2:TGID_Y_EN: 0
; COMPUTE_PGM_RSRC2:TGID_Z_EN: 0
; COMPUTE_PGM_RSRC2:TIDIG_COMP_CNT: 0
; COMPUTE_PGM_RSRC3_GFX90A:ACCUM_OFFSET: 0
; COMPUTE_PGM_RSRC3_GFX90A:TG_SPLIT: 0
	.section	.text._ZN7rocprim17ROCPRIM_400000_NS6detail17trampoline_kernelINS0_14default_configENS1_38merge_sort_block_merge_config_selectorIxNS0_10empty_typeEEEZZNS1_27merge_sort_block_merge_implIS3_N6thrust23THRUST_200600_302600_NS6detail15normal_iteratorINS9_10device_ptrIxEEEEPS5_jNS1_19radix_merge_compareILb0ELb0ExNS0_19identity_decomposerEEEEE10hipError_tT0_T1_T2_jT3_P12ihipStream_tbPNSt15iterator_traitsISK_E10value_typeEPNSQ_ISL_E10value_typeEPSM_NS1_7vsmem_tEENKUlT_SK_SL_SM_E_clIPxSE_SF_SF_EESJ_SZ_SK_SL_SM_EUlSZ_E1_NS1_11comp_targetILNS1_3genE4ELNS1_11target_archE910ELNS1_3gpuE8ELNS1_3repE0EEENS1_36merge_oddeven_config_static_selectorELNS0_4arch9wavefront6targetE1EEEvSL_,"axG",@progbits,_ZN7rocprim17ROCPRIM_400000_NS6detail17trampoline_kernelINS0_14default_configENS1_38merge_sort_block_merge_config_selectorIxNS0_10empty_typeEEEZZNS1_27merge_sort_block_merge_implIS3_N6thrust23THRUST_200600_302600_NS6detail15normal_iteratorINS9_10device_ptrIxEEEEPS5_jNS1_19radix_merge_compareILb0ELb0ExNS0_19identity_decomposerEEEEE10hipError_tT0_T1_T2_jT3_P12ihipStream_tbPNSt15iterator_traitsISK_E10value_typeEPNSQ_ISL_E10value_typeEPSM_NS1_7vsmem_tEENKUlT_SK_SL_SM_E_clIPxSE_SF_SF_EESJ_SZ_SK_SL_SM_EUlSZ_E1_NS1_11comp_targetILNS1_3genE4ELNS1_11target_archE910ELNS1_3gpuE8ELNS1_3repE0EEENS1_36merge_oddeven_config_static_selectorELNS0_4arch9wavefront6targetE1EEEvSL_,comdat
	.protected	_ZN7rocprim17ROCPRIM_400000_NS6detail17trampoline_kernelINS0_14default_configENS1_38merge_sort_block_merge_config_selectorIxNS0_10empty_typeEEEZZNS1_27merge_sort_block_merge_implIS3_N6thrust23THRUST_200600_302600_NS6detail15normal_iteratorINS9_10device_ptrIxEEEEPS5_jNS1_19radix_merge_compareILb0ELb0ExNS0_19identity_decomposerEEEEE10hipError_tT0_T1_T2_jT3_P12ihipStream_tbPNSt15iterator_traitsISK_E10value_typeEPNSQ_ISL_E10value_typeEPSM_NS1_7vsmem_tEENKUlT_SK_SL_SM_E_clIPxSE_SF_SF_EESJ_SZ_SK_SL_SM_EUlSZ_E1_NS1_11comp_targetILNS1_3genE4ELNS1_11target_archE910ELNS1_3gpuE8ELNS1_3repE0EEENS1_36merge_oddeven_config_static_selectorELNS0_4arch9wavefront6targetE1EEEvSL_ ; -- Begin function _ZN7rocprim17ROCPRIM_400000_NS6detail17trampoline_kernelINS0_14default_configENS1_38merge_sort_block_merge_config_selectorIxNS0_10empty_typeEEEZZNS1_27merge_sort_block_merge_implIS3_N6thrust23THRUST_200600_302600_NS6detail15normal_iteratorINS9_10device_ptrIxEEEEPS5_jNS1_19radix_merge_compareILb0ELb0ExNS0_19identity_decomposerEEEEE10hipError_tT0_T1_T2_jT3_P12ihipStream_tbPNSt15iterator_traitsISK_E10value_typeEPNSQ_ISL_E10value_typeEPSM_NS1_7vsmem_tEENKUlT_SK_SL_SM_E_clIPxSE_SF_SF_EESJ_SZ_SK_SL_SM_EUlSZ_E1_NS1_11comp_targetILNS1_3genE4ELNS1_11target_archE910ELNS1_3gpuE8ELNS1_3repE0EEENS1_36merge_oddeven_config_static_selectorELNS0_4arch9wavefront6targetE1EEEvSL_
	.globl	_ZN7rocprim17ROCPRIM_400000_NS6detail17trampoline_kernelINS0_14default_configENS1_38merge_sort_block_merge_config_selectorIxNS0_10empty_typeEEEZZNS1_27merge_sort_block_merge_implIS3_N6thrust23THRUST_200600_302600_NS6detail15normal_iteratorINS9_10device_ptrIxEEEEPS5_jNS1_19radix_merge_compareILb0ELb0ExNS0_19identity_decomposerEEEEE10hipError_tT0_T1_T2_jT3_P12ihipStream_tbPNSt15iterator_traitsISK_E10value_typeEPNSQ_ISL_E10value_typeEPSM_NS1_7vsmem_tEENKUlT_SK_SL_SM_E_clIPxSE_SF_SF_EESJ_SZ_SK_SL_SM_EUlSZ_E1_NS1_11comp_targetILNS1_3genE4ELNS1_11target_archE910ELNS1_3gpuE8ELNS1_3repE0EEENS1_36merge_oddeven_config_static_selectorELNS0_4arch9wavefront6targetE1EEEvSL_
	.p2align	8
	.type	_ZN7rocprim17ROCPRIM_400000_NS6detail17trampoline_kernelINS0_14default_configENS1_38merge_sort_block_merge_config_selectorIxNS0_10empty_typeEEEZZNS1_27merge_sort_block_merge_implIS3_N6thrust23THRUST_200600_302600_NS6detail15normal_iteratorINS9_10device_ptrIxEEEEPS5_jNS1_19radix_merge_compareILb0ELb0ExNS0_19identity_decomposerEEEEE10hipError_tT0_T1_T2_jT3_P12ihipStream_tbPNSt15iterator_traitsISK_E10value_typeEPNSQ_ISL_E10value_typeEPSM_NS1_7vsmem_tEENKUlT_SK_SL_SM_E_clIPxSE_SF_SF_EESJ_SZ_SK_SL_SM_EUlSZ_E1_NS1_11comp_targetILNS1_3genE4ELNS1_11target_archE910ELNS1_3gpuE8ELNS1_3repE0EEENS1_36merge_oddeven_config_static_selectorELNS0_4arch9wavefront6targetE1EEEvSL_,@function
_ZN7rocprim17ROCPRIM_400000_NS6detail17trampoline_kernelINS0_14default_configENS1_38merge_sort_block_merge_config_selectorIxNS0_10empty_typeEEEZZNS1_27merge_sort_block_merge_implIS3_N6thrust23THRUST_200600_302600_NS6detail15normal_iteratorINS9_10device_ptrIxEEEEPS5_jNS1_19radix_merge_compareILb0ELb0ExNS0_19identity_decomposerEEEEE10hipError_tT0_T1_T2_jT3_P12ihipStream_tbPNSt15iterator_traitsISK_E10value_typeEPNSQ_ISL_E10value_typeEPSM_NS1_7vsmem_tEENKUlT_SK_SL_SM_E_clIPxSE_SF_SF_EESJ_SZ_SK_SL_SM_EUlSZ_E1_NS1_11comp_targetILNS1_3genE4ELNS1_11target_archE910ELNS1_3gpuE8ELNS1_3repE0EEENS1_36merge_oddeven_config_static_selectorELNS0_4arch9wavefront6targetE1EEEvSL_: ; @_ZN7rocprim17ROCPRIM_400000_NS6detail17trampoline_kernelINS0_14default_configENS1_38merge_sort_block_merge_config_selectorIxNS0_10empty_typeEEEZZNS1_27merge_sort_block_merge_implIS3_N6thrust23THRUST_200600_302600_NS6detail15normal_iteratorINS9_10device_ptrIxEEEEPS5_jNS1_19radix_merge_compareILb0ELb0ExNS0_19identity_decomposerEEEEE10hipError_tT0_T1_T2_jT3_P12ihipStream_tbPNSt15iterator_traitsISK_E10value_typeEPNSQ_ISL_E10value_typeEPSM_NS1_7vsmem_tEENKUlT_SK_SL_SM_E_clIPxSE_SF_SF_EESJ_SZ_SK_SL_SM_EUlSZ_E1_NS1_11comp_targetILNS1_3genE4ELNS1_11target_archE910ELNS1_3gpuE8ELNS1_3repE0EEENS1_36merge_oddeven_config_static_selectorELNS0_4arch9wavefront6targetE1EEEvSL_
; %bb.0:
	s_load_dword s18, s[4:5], 0x20
	s_waitcnt lgkmcnt(0)
	s_lshr_b32 s0, s18, 8
	s_cmp_lg_u32 s6, s0
	s_cselect_b64 s[14:15], -1, 0
	s_cmp_eq_u32 s6, s0
	s_cselect_b64 s[12:13], -1, 0
	s_lshl_b32 s16, s6, 8
	s_sub_i32 s0, s18, s16
	v_cmp_gt_u32_e64 s[2:3], s0, v0
	s_or_b64 s[0:1], s[14:15], s[2:3]
	s_and_saveexec_b64 s[8:9], s[0:1]
	s_cbranch_execz .LBB1429_20
; %bb.1:
	s_load_dwordx4 s[8:11], s[4:5], 0x0
	s_load_dword s19, s[4:5], 0x24
	s_mov_b32 s17, 0
	s_lshl_b64 s[0:1], s[16:17], 3
	v_lshlrev_b32_e32 v1, 3, v0
	s_waitcnt lgkmcnt(0)
	s_add_u32 s0, s8, s0
	s_addc_u32 s1, s9, s1
	global_load_dwordx2 v[2:3], v1, s[0:1]
	s_lshr_b32 s0, s19, 8
	s_sub_i32 s1, 0, s0
	s_and_b32 s1, s6, s1
	s_and_b32 s0, s1, s0
	s_lshl_b32 s20, s1, 8
	s_sub_i32 s6, 0, s19
	s_cmp_eq_u32 s0, 0
	s_cselect_b64 s[0:1], -1, 0
	s_and_b64 s[4:5], s[0:1], exec
	s_cselect_b32 s17, s19, s6
	s_add_i32 s17, s17, s20
	s_cmp_lt_u32 s17, s18
	v_add_u32_e32 v0, s16, v0
	s_cbranch_scc1 .LBB1429_3
; %bb.2:
	v_cmp_gt_u32_e32 vcc, s18, v0
	s_or_b64 s[4:5], vcc, s[14:15]
	s_and_b64 s[4:5], s[4:5], exec
	s_cbranch_execz .LBB1429_4
	s_branch .LBB1429_18
.LBB1429_3:
	s_mov_b64 s[4:5], 0
.LBB1429_4:
	s_min_u32 s14, s17, s18
	s_add_i32 s6, s14, s19
	s_min_u32 s15, s6, s18
	s_min_u32 s6, s20, s14
	s_add_i32 s20, s20, s14
	v_subrev_u32_e32 v0, s20, v0
	v_add_u32_e32 v4, s6, v0
	s_and_b64 vcc, exec, s[12:13]
	s_cbranch_vccz .LBB1429_12
; %bb.5:
                                        ; implicit-def: $vgpr0
	s_and_saveexec_b64 s[6:7], s[2:3]
	s_cbranch_execz .LBB1429_11
; %bb.6:
	s_cmp_ge_u32 s17, s15
	v_mov_b32_e32 v5, s14
	s_cbranch_scc1 .LBB1429_10
; %bb.7:
	s_mov_b64 s[2:3], 0
	v_mov_b32_e32 v6, s15
	v_mov_b32_e32 v5, s14
	;; [unrolled: 1-line block ×4, first 2 shown]
.LBB1429_8:                             ; =>This Inner Loop Header: Depth=1
	v_add_u32_e32 v0, v5, v6
	v_lshrrev_b32_e32 v0, 1, v0
	v_lshlrev_b64 v[8:9], 3, v[0:1]
	v_add_co_u32_e32 v8, vcc, s8, v8
	v_addc_co_u32_e32 v9, vcc, v7, v9, vcc
	global_load_dwordx2 v[8:9], v[8:9], off
	v_add_u32_e32 v10, 1, v0
	s_waitcnt vmcnt(0)
	v_cmp_gt_i64_e32 vcc, v[2:3], v[8:9]
	v_cndmask_b32_e64 v11, 0, 1, vcc
	v_cmp_le_i64_e32 vcc, v[8:9], v[2:3]
	v_cndmask_b32_e64 v8, 0, 1, vcc
	v_cndmask_b32_e64 v8, v8, v11, s[0:1]
	v_and_b32_e32 v8, 1, v8
	v_cmp_eq_u32_e32 vcc, 1, v8
	v_cndmask_b32_e32 v6, v0, v6, vcc
	v_cndmask_b32_e32 v5, v5, v10, vcc
	v_cmp_ge_u32_e32 vcc, v5, v6
	s_or_b64 s[2:3], vcc, s[2:3]
	s_andn2_b64 exec, exec, s[2:3]
	s_cbranch_execnz .LBB1429_8
; %bb.9:
	s_or_b64 exec, exec, s[2:3]
.LBB1429_10:
	v_add_u32_e32 v0, v5, v4
	s_or_b64 s[4:5], s[4:5], exec
.LBB1429_11:
	s_or_b64 exec, exec, s[6:7]
	s_branch .LBB1429_18
.LBB1429_12:
                                        ; implicit-def: $vgpr0
	s_cbranch_execz .LBB1429_18
; %bb.13:
	s_cmp_ge_u32 s17, s15
	v_mov_b32_e32 v5, s14
	s_cbranch_scc1 .LBB1429_17
; %bb.14:
	s_mov_b64 s[2:3], 0
	v_mov_b32_e32 v6, s15
	v_mov_b32_e32 v5, s14
	;; [unrolled: 1-line block ×4, first 2 shown]
.LBB1429_15:                            ; =>This Inner Loop Header: Depth=1
	v_add_u32_e32 v0, v5, v6
	v_lshrrev_b32_e32 v0, 1, v0
	v_lshlrev_b64 v[8:9], 3, v[0:1]
	v_add_co_u32_e32 v8, vcc, s8, v8
	v_addc_co_u32_e32 v9, vcc, v7, v9, vcc
	global_load_dwordx2 v[8:9], v[8:9], off
	v_add_u32_e32 v10, 1, v0
	s_waitcnt vmcnt(0)
	v_cmp_gt_i64_e32 vcc, v[2:3], v[8:9]
	v_cndmask_b32_e64 v11, 0, 1, vcc
	v_cmp_le_i64_e32 vcc, v[8:9], v[2:3]
	v_cndmask_b32_e64 v8, 0, 1, vcc
	v_cndmask_b32_e64 v8, v8, v11, s[0:1]
	v_and_b32_e32 v8, 1, v8
	v_cmp_eq_u32_e32 vcc, 1, v8
	v_cndmask_b32_e32 v6, v0, v6, vcc
	v_cndmask_b32_e32 v5, v5, v10, vcc
	v_cmp_ge_u32_e32 vcc, v5, v6
	s_or_b64 s[2:3], vcc, s[2:3]
	s_andn2_b64 exec, exec, s[2:3]
	s_cbranch_execnz .LBB1429_15
; %bb.16:
	s_or_b64 exec, exec, s[2:3]
.LBB1429_17:
	v_add_u32_e32 v0, v5, v4
	s_mov_b64 s[4:5], -1
.LBB1429_18:
	s_and_b64 exec, exec, s[4:5]
	s_cbranch_execz .LBB1429_20
; %bb.19:
	v_mov_b32_e32 v1, 0
	v_lshlrev_b64 v[0:1], 3, v[0:1]
	v_mov_b32_e32 v4, s11
	v_add_co_u32_e32 v0, vcc, s10, v0
	v_addc_co_u32_e32 v1, vcc, v4, v1, vcc
	s_waitcnt vmcnt(0)
	global_store_dwordx2 v[0:1], v[2:3], off
.LBB1429_20:
	s_endpgm
	.section	.rodata,"a",@progbits
	.p2align	6, 0x0
	.amdhsa_kernel _ZN7rocprim17ROCPRIM_400000_NS6detail17trampoline_kernelINS0_14default_configENS1_38merge_sort_block_merge_config_selectorIxNS0_10empty_typeEEEZZNS1_27merge_sort_block_merge_implIS3_N6thrust23THRUST_200600_302600_NS6detail15normal_iteratorINS9_10device_ptrIxEEEEPS5_jNS1_19radix_merge_compareILb0ELb0ExNS0_19identity_decomposerEEEEE10hipError_tT0_T1_T2_jT3_P12ihipStream_tbPNSt15iterator_traitsISK_E10value_typeEPNSQ_ISL_E10value_typeEPSM_NS1_7vsmem_tEENKUlT_SK_SL_SM_E_clIPxSE_SF_SF_EESJ_SZ_SK_SL_SM_EUlSZ_E1_NS1_11comp_targetILNS1_3genE4ELNS1_11target_archE910ELNS1_3gpuE8ELNS1_3repE0EEENS1_36merge_oddeven_config_static_selectorELNS0_4arch9wavefront6targetE1EEEvSL_
		.amdhsa_group_segment_fixed_size 0
		.amdhsa_private_segment_fixed_size 0
		.amdhsa_kernarg_size 48
		.amdhsa_user_sgpr_count 6
		.amdhsa_user_sgpr_private_segment_buffer 1
		.amdhsa_user_sgpr_dispatch_ptr 0
		.amdhsa_user_sgpr_queue_ptr 0
		.amdhsa_user_sgpr_kernarg_segment_ptr 1
		.amdhsa_user_sgpr_dispatch_id 0
		.amdhsa_user_sgpr_flat_scratch_init 0
		.amdhsa_user_sgpr_kernarg_preload_length 0
		.amdhsa_user_sgpr_kernarg_preload_offset 0
		.amdhsa_user_sgpr_private_segment_size 0
		.amdhsa_uses_dynamic_stack 0
		.amdhsa_system_sgpr_private_segment_wavefront_offset 0
		.amdhsa_system_sgpr_workgroup_id_x 1
		.amdhsa_system_sgpr_workgroup_id_y 0
		.amdhsa_system_sgpr_workgroup_id_z 0
		.amdhsa_system_sgpr_workgroup_info 0
		.amdhsa_system_vgpr_workitem_id 0
		.amdhsa_next_free_vgpr 12
		.amdhsa_next_free_sgpr 21
		.amdhsa_accum_offset 12
		.amdhsa_reserve_vcc 1
		.amdhsa_reserve_flat_scratch 0
		.amdhsa_float_round_mode_32 0
		.amdhsa_float_round_mode_16_64 0
		.amdhsa_float_denorm_mode_32 3
		.amdhsa_float_denorm_mode_16_64 3
		.amdhsa_dx10_clamp 1
		.amdhsa_ieee_mode 1
		.amdhsa_fp16_overflow 0
		.amdhsa_tg_split 0
		.amdhsa_exception_fp_ieee_invalid_op 0
		.amdhsa_exception_fp_denorm_src 0
		.amdhsa_exception_fp_ieee_div_zero 0
		.amdhsa_exception_fp_ieee_overflow 0
		.amdhsa_exception_fp_ieee_underflow 0
		.amdhsa_exception_fp_ieee_inexact 0
		.amdhsa_exception_int_div_zero 0
	.end_amdhsa_kernel
	.section	.text._ZN7rocprim17ROCPRIM_400000_NS6detail17trampoline_kernelINS0_14default_configENS1_38merge_sort_block_merge_config_selectorIxNS0_10empty_typeEEEZZNS1_27merge_sort_block_merge_implIS3_N6thrust23THRUST_200600_302600_NS6detail15normal_iteratorINS9_10device_ptrIxEEEEPS5_jNS1_19radix_merge_compareILb0ELb0ExNS0_19identity_decomposerEEEEE10hipError_tT0_T1_T2_jT3_P12ihipStream_tbPNSt15iterator_traitsISK_E10value_typeEPNSQ_ISL_E10value_typeEPSM_NS1_7vsmem_tEENKUlT_SK_SL_SM_E_clIPxSE_SF_SF_EESJ_SZ_SK_SL_SM_EUlSZ_E1_NS1_11comp_targetILNS1_3genE4ELNS1_11target_archE910ELNS1_3gpuE8ELNS1_3repE0EEENS1_36merge_oddeven_config_static_selectorELNS0_4arch9wavefront6targetE1EEEvSL_,"axG",@progbits,_ZN7rocprim17ROCPRIM_400000_NS6detail17trampoline_kernelINS0_14default_configENS1_38merge_sort_block_merge_config_selectorIxNS0_10empty_typeEEEZZNS1_27merge_sort_block_merge_implIS3_N6thrust23THRUST_200600_302600_NS6detail15normal_iteratorINS9_10device_ptrIxEEEEPS5_jNS1_19radix_merge_compareILb0ELb0ExNS0_19identity_decomposerEEEEE10hipError_tT0_T1_T2_jT3_P12ihipStream_tbPNSt15iterator_traitsISK_E10value_typeEPNSQ_ISL_E10value_typeEPSM_NS1_7vsmem_tEENKUlT_SK_SL_SM_E_clIPxSE_SF_SF_EESJ_SZ_SK_SL_SM_EUlSZ_E1_NS1_11comp_targetILNS1_3genE4ELNS1_11target_archE910ELNS1_3gpuE8ELNS1_3repE0EEENS1_36merge_oddeven_config_static_selectorELNS0_4arch9wavefront6targetE1EEEvSL_,comdat
.Lfunc_end1429:
	.size	_ZN7rocprim17ROCPRIM_400000_NS6detail17trampoline_kernelINS0_14default_configENS1_38merge_sort_block_merge_config_selectorIxNS0_10empty_typeEEEZZNS1_27merge_sort_block_merge_implIS3_N6thrust23THRUST_200600_302600_NS6detail15normal_iteratorINS9_10device_ptrIxEEEEPS5_jNS1_19radix_merge_compareILb0ELb0ExNS0_19identity_decomposerEEEEE10hipError_tT0_T1_T2_jT3_P12ihipStream_tbPNSt15iterator_traitsISK_E10value_typeEPNSQ_ISL_E10value_typeEPSM_NS1_7vsmem_tEENKUlT_SK_SL_SM_E_clIPxSE_SF_SF_EESJ_SZ_SK_SL_SM_EUlSZ_E1_NS1_11comp_targetILNS1_3genE4ELNS1_11target_archE910ELNS1_3gpuE8ELNS1_3repE0EEENS1_36merge_oddeven_config_static_selectorELNS0_4arch9wavefront6targetE1EEEvSL_, .Lfunc_end1429-_ZN7rocprim17ROCPRIM_400000_NS6detail17trampoline_kernelINS0_14default_configENS1_38merge_sort_block_merge_config_selectorIxNS0_10empty_typeEEEZZNS1_27merge_sort_block_merge_implIS3_N6thrust23THRUST_200600_302600_NS6detail15normal_iteratorINS9_10device_ptrIxEEEEPS5_jNS1_19radix_merge_compareILb0ELb0ExNS0_19identity_decomposerEEEEE10hipError_tT0_T1_T2_jT3_P12ihipStream_tbPNSt15iterator_traitsISK_E10value_typeEPNSQ_ISL_E10value_typeEPSM_NS1_7vsmem_tEENKUlT_SK_SL_SM_E_clIPxSE_SF_SF_EESJ_SZ_SK_SL_SM_EUlSZ_E1_NS1_11comp_targetILNS1_3genE4ELNS1_11target_archE910ELNS1_3gpuE8ELNS1_3repE0EEENS1_36merge_oddeven_config_static_selectorELNS0_4arch9wavefront6targetE1EEEvSL_
                                        ; -- End function
	.section	.AMDGPU.csdata,"",@progbits
; Kernel info:
; codeLenInByte = 588
; NumSgprs: 25
; NumVgprs: 12
; NumAgprs: 0
; TotalNumVgprs: 12
; ScratchSize: 0
; MemoryBound: 0
; FloatMode: 240
; IeeeMode: 1
; LDSByteSize: 0 bytes/workgroup (compile time only)
; SGPRBlocks: 3
; VGPRBlocks: 1
; NumSGPRsForWavesPerEU: 25
; NumVGPRsForWavesPerEU: 12
; AccumOffset: 12
; Occupancy: 8
; WaveLimiterHint : 0
; COMPUTE_PGM_RSRC2:SCRATCH_EN: 0
; COMPUTE_PGM_RSRC2:USER_SGPR: 6
; COMPUTE_PGM_RSRC2:TRAP_HANDLER: 0
; COMPUTE_PGM_RSRC2:TGID_X_EN: 1
; COMPUTE_PGM_RSRC2:TGID_Y_EN: 0
; COMPUTE_PGM_RSRC2:TGID_Z_EN: 0
; COMPUTE_PGM_RSRC2:TIDIG_COMP_CNT: 0
; COMPUTE_PGM_RSRC3_GFX90A:ACCUM_OFFSET: 2
; COMPUTE_PGM_RSRC3_GFX90A:TG_SPLIT: 0
	.section	.text._ZN7rocprim17ROCPRIM_400000_NS6detail17trampoline_kernelINS0_14default_configENS1_38merge_sort_block_merge_config_selectorIxNS0_10empty_typeEEEZZNS1_27merge_sort_block_merge_implIS3_N6thrust23THRUST_200600_302600_NS6detail15normal_iteratorINS9_10device_ptrIxEEEEPS5_jNS1_19radix_merge_compareILb0ELb0ExNS0_19identity_decomposerEEEEE10hipError_tT0_T1_T2_jT3_P12ihipStream_tbPNSt15iterator_traitsISK_E10value_typeEPNSQ_ISL_E10value_typeEPSM_NS1_7vsmem_tEENKUlT_SK_SL_SM_E_clIPxSE_SF_SF_EESJ_SZ_SK_SL_SM_EUlSZ_E1_NS1_11comp_targetILNS1_3genE3ELNS1_11target_archE908ELNS1_3gpuE7ELNS1_3repE0EEENS1_36merge_oddeven_config_static_selectorELNS0_4arch9wavefront6targetE1EEEvSL_,"axG",@progbits,_ZN7rocprim17ROCPRIM_400000_NS6detail17trampoline_kernelINS0_14default_configENS1_38merge_sort_block_merge_config_selectorIxNS0_10empty_typeEEEZZNS1_27merge_sort_block_merge_implIS3_N6thrust23THRUST_200600_302600_NS6detail15normal_iteratorINS9_10device_ptrIxEEEEPS5_jNS1_19radix_merge_compareILb0ELb0ExNS0_19identity_decomposerEEEEE10hipError_tT0_T1_T2_jT3_P12ihipStream_tbPNSt15iterator_traitsISK_E10value_typeEPNSQ_ISL_E10value_typeEPSM_NS1_7vsmem_tEENKUlT_SK_SL_SM_E_clIPxSE_SF_SF_EESJ_SZ_SK_SL_SM_EUlSZ_E1_NS1_11comp_targetILNS1_3genE3ELNS1_11target_archE908ELNS1_3gpuE7ELNS1_3repE0EEENS1_36merge_oddeven_config_static_selectorELNS0_4arch9wavefront6targetE1EEEvSL_,comdat
	.protected	_ZN7rocprim17ROCPRIM_400000_NS6detail17trampoline_kernelINS0_14default_configENS1_38merge_sort_block_merge_config_selectorIxNS0_10empty_typeEEEZZNS1_27merge_sort_block_merge_implIS3_N6thrust23THRUST_200600_302600_NS6detail15normal_iteratorINS9_10device_ptrIxEEEEPS5_jNS1_19radix_merge_compareILb0ELb0ExNS0_19identity_decomposerEEEEE10hipError_tT0_T1_T2_jT3_P12ihipStream_tbPNSt15iterator_traitsISK_E10value_typeEPNSQ_ISL_E10value_typeEPSM_NS1_7vsmem_tEENKUlT_SK_SL_SM_E_clIPxSE_SF_SF_EESJ_SZ_SK_SL_SM_EUlSZ_E1_NS1_11comp_targetILNS1_3genE3ELNS1_11target_archE908ELNS1_3gpuE7ELNS1_3repE0EEENS1_36merge_oddeven_config_static_selectorELNS0_4arch9wavefront6targetE1EEEvSL_ ; -- Begin function _ZN7rocprim17ROCPRIM_400000_NS6detail17trampoline_kernelINS0_14default_configENS1_38merge_sort_block_merge_config_selectorIxNS0_10empty_typeEEEZZNS1_27merge_sort_block_merge_implIS3_N6thrust23THRUST_200600_302600_NS6detail15normal_iteratorINS9_10device_ptrIxEEEEPS5_jNS1_19radix_merge_compareILb0ELb0ExNS0_19identity_decomposerEEEEE10hipError_tT0_T1_T2_jT3_P12ihipStream_tbPNSt15iterator_traitsISK_E10value_typeEPNSQ_ISL_E10value_typeEPSM_NS1_7vsmem_tEENKUlT_SK_SL_SM_E_clIPxSE_SF_SF_EESJ_SZ_SK_SL_SM_EUlSZ_E1_NS1_11comp_targetILNS1_3genE3ELNS1_11target_archE908ELNS1_3gpuE7ELNS1_3repE0EEENS1_36merge_oddeven_config_static_selectorELNS0_4arch9wavefront6targetE1EEEvSL_
	.globl	_ZN7rocprim17ROCPRIM_400000_NS6detail17trampoline_kernelINS0_14default_configENS1_38merge_sort_block_merge_config_selectorIxNS0_10empty_typeEEEZZNS1_27merge_sort_block_merge_implIS3_N6thrust23THRUST_200600_302600_NS6detail15normal_iteratorINS9_10device_ptrIxEEEEPS5_jNS1_19radix_merge_compareILb0ELb0ExNS0_19identity_decomposerEEEEE10hipError_tT0_T1_T2_jT3_P12ihipStream_tbPNSt15iterator_traitsISK_E10value_typeEPNSQ_ISL_E10value_typeEPSM_NS1_7vsmem_tEENKUlT_SK_SL_SM_E_clIPxSE_SF_SF_EESJ_SZ_SK_SL_SM_EUlSZ_E1_NS1_11comp_targetILNS1_3genE3ELNS1_11target_archE908ELNS1_3gpuE7ELNS1_3repE0EEENS1_36merge_oddeven_config_static_selectorELNS0_4arch9wavefront6targetE1EEEvSL_
	.p2align	8
	.type	_ZN7rocprim17ROCPRIM_400000_NS6detail17trampoline_kernelINS0_14default_configENS1_38merge_sort_block_merge_config_selectorIxNS0_10empty_typeEEEZZNS1_27merge_sort_block_merge_implIS3_N6thrust23THRUST_200600_302600_NS6detail15normal_iteratorINS9_10device_ptrIxEEEEPS5_jNS1_19radix_merge_compareILb0ELb0ExNS0_19identity_decomposerEEEEE10hipError_tT0_T1_T2_jT3_P12ihipStream_tbPNSt15iterator_traitsISK_E10value_typeEPNSQ_ISL_E10value_typeEPSM_NS1_7vsmem_tEENKUlT_SK_SL_SM_E_clIPxSE_SF_SF_EESJ_SZ_SK_SL_SM_EUlSZ_E1_NS1_11comp_targetILNS1_3genE3ELNS1_11target_archE908ELNS1_3gpuE7ELNS1_3repE0EEENS1_36merge_oddeven_config_static_selectorELNS0_4arch9wavefront6targetE1EEEvSL_,@function
_ZN7rocprim17ROCPRIM_400000_NS6detail17trampoline_kernelINS0_14default_configENS1_38merge_sort_block_merge_config_selectorIxNS0_10empty_typeEEEZZNS1_27merge_sort_block_merge_implIS3_N6thrust23THRUST_200600_302600_NS6detail15normal_iteratorINS9_10device_ptrIxEEEEPS5_jNS1_19radix_merge_compareILb0ELb0ExNS0_19identity_decomposerEEEEE10hipError_tT0_T1_T2_jT3_P12ihipStream_tbPNSt15iterator_traitsISK_E10value_typeEPNSQ_ISL_E10value_typeEPSM_NS1_7vsmem_tEENKUlT_SK_SL_SM_E_clIPxSE_SF_SF_EESJ_SZ_SK_SL_SM_EUlSZ_E1_NS1_11comp_targetILNS1_3genE3ELNS1_11target_archE908ELNS1_3gpuE7ELNS1_3repE0EEENS1_36merge_oddeven_config_static_selectorELNS0_4arch9wavefront6targetE1EEEvSL_: ; @_ZN7rocprim17ROCPRIM_400000_NS6detail17trampoline_kernelINS0_14default_configENS1_38merge_sort_block_merge_config_selectorIxNS0_10empty_typeEEEZZNS1_27merge_sort_block_merge_implIS3_N6thrust23THRUST_200600_302600_NS6detail15normal_iteratorINS9_10device_ptrIxEEEEPS5_jNS1_19radix_merge_compareILb0ELb0ExNS0_19identity_decomposerEEEEE10hipError_tT0_T1_T2_jT3_P12ihipStream_tbPNSt15iterator_traitsISK_E10value_typeEPNSQ_ISL_E10value_typeEPSM_NS1_7vsmem_tEENKUlT_SK_SL_SM_E_clIPxSE_SF_SF_EESJ_SZ_SK_SL_SM_EUlSZ_E1_NS1_11comp_targetILNS1_3genE3ELNS1_11target_archE908ELNS1_3gpuE7ELNS1_3repE0EEENS1_36merge_oddeven_config_static_selectorELNS0_4arch9wavefront6targetE1EEEvSL_
; %bb.0:
	.section	.rodata,"a",@progbits
	.p2align	6, 0x0
	.amdhsa_kernel _ZN7rocprim17ROCPRIM_400000_NS6detail17trampoline_kernelINS0_14default_configENS1_38merge_sort_block_merge_config_selectorIxNS0_10empty_typeEEEZZNS1_27merge_sort_block_merge_implIS3_N6thrust23THRUST_200600_302600_NS6detail15normal_iteratorINS9_10device_ptrIxEEEEPS5_jNS1_19radix_merge_compareILb0ELb0ExNS0_19identity_decomposerEEEEE10hipError_tT0_T1_T2_jT3_P12ihipStream_tbPNSt15iterator_traitsISK_E10value_typeEPNSQ_ISL_E10value_typeEPSM_NS1_7vsmem_tEENKUlT_SK_SL_SM_E_clIPxSE_SF_SF_EESJ_SZ_SK_SL_SM_EUlSZ_E1_NS1_11comp_targetILNS1_3genE3ELNS1_11target_archE908ELNS1_3gpuE7ELNS1_3repE0EEENS1_36merge_oddeven_config_static_selectorELNS0_4arch9wavefront6targetE1EEEvSL_
		.amdhsa_group_segment_fixed_size 0
		.amdhsa_private_segment_fixed_size 0
		.amdhsa_kernarg_size 48
		.amdhsa_user_sgpr_count 6
		.amdhsa_user_sgpr_private_segment_buffer 1
		.amdhsa_user_sgpr_dispatch_ptr 0
		.amdhsa_user_sgpr_queue_ptr 0
		.amdhsa_user_sgpr_kernarg_segment_ptr 1
		.amdhsa_user_sgpr_dispatch_id 0
		.amdhsa_user_sgpr_flat_scratch_init 0
		.amdhsa_user_sgpr_kernarg_preload_length 0
		.amdhsa_user_sgpr_kernarg_preload_offset 0
		.amdhsa_user_sgpr_private_segment_size 0
		.amdhsa_uses_dynamic_stack 0
		.amdhsa_system_sgpr_private_segment_wavefront_offset 0
		.amdhsa_system_sgpr_workgroup_id_x 1
		.amdhsa_system_sgpr_workgroup_id_y 0
		.amdhsa_system_sgpr_workgroup_id_z 0
		.amdhsa_system_sgpr_workgroup_info 0
		.amdhsa_system_vgpr_workitem_id 0
		.amdhsa_next_free_vgpr 1
		.amdhsa_next_free_sgpr 0
		.amdhsa_accum_offset 4
		.amdhsa_reserve_vcc 0
		.amdhsa_reserve_flat_scratch 0
		.amdhsa_float_round_mode_32 0
		.amdhsa_float_round_mode_16_64 0
		.amdhsa_float_denorm_mode_32 3
		.amdhsa_float_denorm_mode_16_64 3
		.amdhsa_dx10_clamp 1
		.amdhsa_ieee_mode 1
		.amdhsa_fp16_overflow 0
		.amdhsa_tg_split 0
		.amdhsa_exception_fp_ieee_invalid_op 0
		.amdhsa_exception_fp_denorm_src 0
		.amdhsa_exception_fp_ieee_div_zero 0
		.amdhsa_exception_fp_ieee_overflow 0
		.amdhsa_exception_fp_ieee_underflow 0
		.amdhsa_exception_fp_ieee_inexact 0
		.amdhsa_exception_int_div_zero 0
	.end_amdhsa_kernel
	.section	.text._ZN7rocprim17ROCPRIM_400000_NS6detail17trampoline_kernelINS0_14default_configENS1_38merge_sort_block_merge_config_selectorIxNS0_10empty_typeEEEZZNS1_27merge_sort_block_merge_implIS3_N6thrust23THRUST_200600_302600_NS6detail15normal_iteratorINS9_10device_ptrIxEEEEPS5_jNS1_19radix_merge_compareILb0ELb0ExNS0_19identity_decomposerEEEEE10hipError_tT0_T1_T2_jT3_P12ihipStream_tbPNSt15iterator_traitsISK_E10value_typeEPNSQ_ISL_E10value_typeEPSM_NS1_7vsmem_tEENKUlT_SK_SL_SM_E_clIPxSE_SF_SF_EESJ_SZ_SK_SL_SM_EUlSZ_E1_NS1_11comp_targetILNS1_3genE3ELNS1_11target_archE908ELNS1_3gpuE7ELNS1_3repE0EEENS1_36merge_oddeven_config_static_selectorELNS0_4arch9wavefront6targetE1EEEvSL_,"axG",@progbits,_ZN7rocprim17ROCPRIM_400000_NS6detail17trampoline_kernelINS0_14default_configENS1_38merge_sort_block_merge_config_selectorIxNS0_10empty_typeEEEZZNS1_27merge_sort_block_merge_implIS3_N6thrust23THRUST_200600_302600_NS6detail15normal_iteratorINS9_10device_ptrIxEEEEPS5_jNS1_19radix_merge_compareILb0ELb0ExNS0_19identity_decomposerEEEEE10hipError_tT0_T1_T2_jT3_P12ihipStream_tbPNSt15iterator_traitsISK_E10value_typeEPNSQ_ISL_E10value_typeEPSM_NS1_7vsmem_tEENKUlT_SK_SL_SM_E_clIPxSE_SF_SF_EESJ_SZ_SK_SL_SM_EUlSZ_E1_NS1_11comp_targetILNS1_3genE3ELNS1_11target_archE908ELNS1_3gpuE7ELNS1_3repE0EEENS1_36merge_oddeven_config_static_selectorELNS0_4arch9wavefront6targetE1EEEvSL_,comdat
.Lfunc_end1430:
	.size	_ZN7rocprim17ROCPRIM_400000_NS6detail17trampoline_kernelINS0_14default_configENS1_38merge_sort_block_merge_config_selectorIxNS0_10empty_typeEEEZZNS1_27merge_sort_block_merge_implIS3_N6thrust23THRUST_200600_302600_NS6detail15normal_iteratorINS9_10device_ptrIxEEEEPS5_jNS1_19radix_merge_compareILb0ELb0ExNS0_19identity_decomposerEEEEE10hipError_tT0_T1_T2_jT3_P12ihipStream_tbPNSt15iterator_traitsISK_E10value_typeEPNSQ_ISL_E10value_typeEPSM_NS1_7vsmem_tEENKUlT_SK_SL_SM_E_clIPxSE_SF_SF_EESJ_SZ_SK_SL_SM_EUlSZ_E1_NS1_11comp_targetILNS1_3genE3ELNS1_11target_archE908ELNS1_3gpuE7ELNS1_3repE0EEENS1_36merge_oddeven_config_static_selectorELNS0_4arch9wavefront6targetE1EEEvSL_, .Lfunc_end1430-_ZN7rocprim17ROCPRIM_400000_NS6detail17trampoline_kernelINS0_14default_configENS1_38merge_sort_block_merge_config_selectorIxNS0_10empty_typeEEEZZNS1_27merge_sort_block_merge_implIS3_N6thrust23THRUST_200600_302600_NS6detail15normal_iteratorINS9_10device_ptrIxEEEEPS5_jNS1_19radix_merge_compareILb0ELb0ExNS0_19identity_decomposerEEEEE10hipError_tT0_T1_T2_jT3_P12ihipStream_tbPNSt15iterator_traitsISK_E10value_typeEPNSQ_ISL_E10value_typeEPSM_NS1_7vsmem_tEENKUlT_SK_SL_SM_E_clIPxSE_SF_SF_EESJ_SZ_SK_SL_SM_EUlSZ_E1_NS1_11comp_targetILNS1_3genE3ELNS1_11target_archE908ELNS1_3gpuE7ELNS1_3repE0EEENS1_36merge_oddeven_config_static_selectorELNS0_4arch9wavefront6targetE1EEEvSL_
                                        ; -- End function
	.section	.AMDGPU.csdata,"",@progbits
; Kernel info:
; codeLenInByte = 0
; NumSgprs: 4
; NumVgprs: 0
; NumAgprs: 0
; TotalNumVgprs: 0
; ScratchSize: 0
; MemoryBound: 0
; FloatMode: 240
; IeeeMode: 1
; LDSByteSize: 0 bytes/workgroup (compile time only)
; SGPRBlocks: 0
; VGPRBlocks: 0
; NumSGPRsForWavesPerEU: 4
; NumVGPRsForWavesPerEU: 1
; AccumOffset: 4
; Occupancy: 8
; WaveLimiterHint : 0
; COMPUTE_PGM_RSRC2:SCRATCH_EN: 0
; COMPUTE_PGM_RSRC2:USER_SGPR: 6
; COMPUTE_PGM_RSRC2:TRAP_HANDLER: 0
; COMPUTE_PGM_RSRC2:TGID_X_EN: 1
; COMPUTE_PGM_RSRC2:TGID_Y_EN: 0
; COMPUTE_PGM_RSRC2:TGID_Z_EN: 0
; COMPUTE_PGM_RSRC2:TIDIG_COMP_CNT: 0
; COMPUTE_PGM_RSRC3_GFX90A:ACCUM_OFFSET: 0
; COMPUTE_PGM_RSRC3_GFX90A:TG_SPLIT: 0
	.section	.text._ZN7rocprim17ROCPRIM_400000_NS6detail17trampoline_kernelINS0_14default_configENS1_38merge_sort_block_merge_config_selectorIxNS0_10empty_typeEEEZZNS1_27merge_sort_block_merge_implIS3_N6thrust23THRUST_200600_302600_NS6detail15normal_iteratorINS9_10device_ptrIxEEEEPS5_jNS1_19radix_merge_compareILb0ELb0ExNS0_19identity_decomposerEEEEE10hipError_tT0_T1_T2_jT3_P12ihipStream_tbPNSt15iterator_traitsISK_E10value_typeEPNSQ_ISL_E10value_typeEPSM_NS1_7vsmem_tEENKUlT_SK_SL_SM_E_clIPxSE_SF_SF_EESJ_SZ_SK_SL_SM_EUlSZ_E1_NS1_11comp_targetILNS1_3genE2ELNS1_11target_archE906ELNS1_3gpuE6ELNS1_3repE0EEENS1_36merge_oddeven_config_static_selectorELNS0_4arch9wavefront6targetE1EEEvSL_,"axG",@progbits,_ZN7rocprim17ROCPRIM_400000_NS6detail17trampoline_kernelINS0_14default_configENS1_38merge_sort_block_merge_config_selectorIxNS0_10empty_typeEEEZZNS1_27merge_sort_block_merge_implIS3_N6thrust23THRUST_200600_302600_NS6detail15normal_iteratorINS9_10device_ptrIxEEEEPS5_jNS1_19radix_merge_compareILb0ELb0ExNS0_19identity_decomposerEEEEE10hipError_tT0_T1_T2_jT3_P12ihipStream_tbPNSt15iterator_traitsISK_E10value_typeEPNSQ_ISL_E10value_typeEPSM_NS1_7vsmem_tEENKUlT_SK_SL_SM_E_clIPxSE_SF_SF_EESJ_SZ_SK_SL_SM_EUlSZ_E1_NS1_11comp_targetILNS1_3genE2ELNS1_11target_archE906ELNS1_3gpuE6ELNS1_3repE0EEENS1_36merge_oddeven_config_static_selectorELNS0_4arch9wavefront6targetE1EEEvSL_,comdat
	.protected	_ZN7rocprim17ROCPRIM_400000_NS6detail17trampoline_kernelINS0_14default_configENS1_38merge_sort_block_merge_config_selectorIxNS0_10empty_typeEEEZZNS1_27merge_sort_block_merge_implIS3_N6thrust23THRUST_200600_302600_NS6detail15normal_iteratorINS9_10device_ptrIxEEEEPS5_jNS1_19radix_merge_compareILb0ELb0ExNS0_19identity_decomposerEEEEE10hipError_tT0_T1_T2_jT3_P12ihipStream_tbPNSt15iterator_traitsISK_E10value_typeEPNSQ_ISL_E10value_typeEPSM_NS1_7vsmem_tEENKUlT_SK_SL_SM_E_clIPxSE_SF_SF_EESJ_SZ_SK_SL_SM_EUlSZ_E1_NS1_11comp_targetILNS1_3genE2ELNS1_11target_archE906ELNS1_3gpuE6ELNS1_3repE0EEENS1_36merge_oddeven_config_static_selectorELNS0_4arch9wavefront6targetE1EEEvSL_ ; -- Begin function _ZN7rocprim17ROCPRIM_400000_NS6detail17trampoline_kernelINS0_14default_configENS1_38merge_sort_block_merge_config_selectorIxNS0_10empty_typeEEEZZNS1_27merge_sort_block_merge_implIS3_N6thrust23THRUST_200600_302600_NS6detail15normal_iteratorINS9_10device_ptrIxEEEEPS5_jNS1_19radix_merge_compareILb0ELb0ExNS0_19identity_decomposerEEEEE10hipError_tT0_T1_T2_jT3_P12ihipStream_tbPNSt15iterator_traitsISK_E10value_typeEPNSQ_ISL_E10value_typeEPSM_NS1_7vsmem_tEENKUlT_SK_SL_SM_E_clIPxSE_SF_SF_EESJ_SZ_SK_SL_SM_EUlSZ_E1_NS1_11comp_targetILNS1_3genE2ELNS1_11target_archE906ELNS1_3gpuE6ELNS1_3repE0EEENS1_36merge_oddeven_config_static_selectorELNS0_4arch9wavefront6targetE1EEEvSL_
	.globl	_ZN7rocprim17ROCPRIM_400000_NS6detail17trampoline_kernelINS0_14default_configENS1_38merge_sort_block_merge_config_selectorIxNS0_10empty_typeEEEZZNS1_27merge_sort_block_merge_implIS3_N6thrust23THRUST_200600_302600_NS6detail15normal_iteratorINS9_10device_ptrIxEEEEPS5_jNS1_19radix_merge_compareILb0ELb0ExNS0_19identity_decomposerEEEEE10hipError_tT0_T1_T2_jT3_P12ihipStream_tbPNSt15iterator_traitsISK_E10value_typeEPNSQ_ISL_E10value_typeEPSM_NS1_7vsmem_tEENKUlT_SK_SL_SM_E_clIPxSE_SF_SF_EESJ_SZ_SK_SL_SM_EUlSZ_E1_NS1_11comp_targetILNS1_3genE2ELNS1_11target_archE906ELNS1_3gpuE6ELNS1_3repE0EEENS1_36merge_oddeven_config_static_selectorELNS0_4arch9wavefront6targetE1EEEvSL_
	.p2align	8
	.type	_ZN7rocprim17ROCPRIM_400000_NS6detail17trampoline_kernelINS0_14default_configENS1_38merge_sort_block_merge_config_selectorIxNS0_10empty_typeEEEZZNS1_27merge_sort_block_merge_implIS3_N6thrust23THRUST_200600_302600_NS6detail15normal_iteratorINS9_10device_ptrIxEEEEPS5_jNS1_19radix_merge_compareILb0ELb0ExNS0_19identity_decomposerEEEEE10hipError_tT0_T1_T2_jT3_P12ihipStream_tbPNSt15iterator_traitsISK_E10value_typeEPNSQ_ISL_E10value_typeEPSM_NS1_7vsmem_tEENKUlT_SK_SL_SM_E_clIPxSE_SF_SF_EESJ_SZ_SK_SL_SM_EUlSZ_E1_NS1_11comp_targetILNS1_3genE2ELNS1_11target_archE906ELNS1_3gpuE6ELNS1_3repE0EEENS1_36merge_oddeven_config_static_selectorELNS0_4arch9wavefront6targetE1EEEvSL_,@function
_ZN7rocprim17ROCPRIM_400000_NS6detail17trampoline_kernelINS0_14default_configENS1_38merge_sort_block_merge_config_selectorIxNS0_10empty_typeEEEZZNS1_27merge_sort_block_merge_implIS3_N6thrust23THRUST_200600_302600_NS6detail15normal_iteratorINS9_10device_ptrIxEEEEPS5_jNS1_19radix_merge_compareILb0ELb0ExNS0_19identity_decomposerEEEEE10hipError_tT0_T1_T2_jT3_P12ihipStream_tbPNSt15iterator_traitsISK_E10value_typeEPNSQ_ISL_E10value_typeEPSM_NS1_7vsmem_tEENKUlT_SK_SL_SM_E_clIPxSE_SF_SF_EESJ_SZ_SK_SL_SM_EUlSZ_E1_NS1_11comp_targetILNS1_3genE2ELNS1_11target_archE906ELNS1_3gpuE6ELNS1_3repE0EEENS1_36merge_oddeven_config_static_selectorELNS0_4arch9wavefront6targetE1EEEvSL_: ; @_ZN7rocprim17ROCPRIM_400000_NS6detail17trampoline_kernelINS0_14default_configENS1_38merge_sort_block_merge_config_selectorIxNS0_10empty_typeEEEZZNS1_27merge_sort_block_merge_implIS3_N6thrust23THRUST_200600_302600_NS6detail15normal_iteratorINS9_10device_ptrIxEEEEPS5_jNS1_19radix_merge_compareILb0ELb0ExNS0_19identity_decomposerEEEEE10hipError_tT0_T1_T2_jT3_P12ihipStream_tbPNSt15iterator_traitsISK_E10value_typeEPNSQ_ISL_E10value_typeEPSM_NS1_7vsmem_tEENKUlT_SK_SL_SM_E_clIPxSE_SF_SF_EESJ_SZ_SK_SL_SM_EUlSZ_E1_NS1_11comp_targetILNS1_3genE2ELNS1_11target_archE906ELNS1_3gpuE6ELNS1_3repE0EEENS1_36merge_oddeven_config_static_selectorELNS0_4arch9wavefront6targetE1EEEvSL_
; %bb.0:
	.section	.rodata,"a",@progbits
	.p2align	6, 0x0
	.amdhsa_kernel _ZN7rocprim17ROCPRIM_400000_NS6detail17trampoline_kernelINS0_14default_configENS1_38merge_sort_block_merge_config_selectorIxNS0_10empty_typeEEEZZNS1_27merge_sort_block_merge_implIS3_N6thrust23THRUST_200600_302600_NS6detail15normal_iteratorINS9_10device_ptrIxEEEEPS5_jNS1_19radix_merge_compareILb0ELb0ExNS0_19identity_decomposerEEEEE10hipError_tT0_T1_T2_jT3_P12ihipStream_tbPNSt15iterator_traitsISK_E10value_typeEPNSQ_ISL_E10value_typeEPSM_NS1_7vsmem_tEENKUlT_SK_SL_SM_E_clIPxSE_SF_SF_EESJ_SZ_SK_SL_SM_EUlSZ_E1_NS1_11comp_targetILNS1_3genE2ELNS1_11target_archE906ELNS1_3gpuE6ELNS1_3repE0EEENS1_36merge_oddeven_config_static_selectorELNS0_4arch9wavefront6targetE1EEEvSL_
		.amdhsa_group_segment_fixed_size 0
		.amdhsa_private_segment_fixed_size 0
		.amdhsa_kernarg_size 48
		.amdhsa_user_sgpr_count 6
		.amdhsa_user_sgpr_private_segment_buffer 1
		.amdhsa_user_sgpr_dispatch_ptr 0
		.amdhsa_user_sgpr_queue_ptr 0
		.amdhsa_user_sgpr_kernarg_segment_ptr 1
		.amdhsa_user_sgpr_dispatch_id 0
		.amdhsa_user_sgpr_flat_scratch_init 0
		.amdhsa_user_sgpr_kernarg_preload_length 0
		.amdhsa_user_sgpr_kernarg_preload_offset 0
		.amdhsa_user_sgpr_private_segment_size 0
		.amdhsa_uses_dynamic_stack 0
		.amdhsa_system_sgpr_private_segment_wavefront_offset 0
		.amdhsa_system_sgpr_workgroup_id_x 1
		.amdhsa_system_sgpr_workgroup_id_y 0
		.amdhsa_system_sgpr_workgroup_id_z 0
		.amdhsa_system_sgpr_workgroup_info 0
		.amdhsa_system_vgpr_workitem_id 0
		.amdhsa_next_free_vgpr 1
		.amdhsa_next_free_sgpr 0
		.amdhsa_accum_offset 4
		.amdhsa_reserve_vcc 0
		.amdhsa_reserve_flat_scratch 0
		.amdhsa_float_round_mode_32 0
		.amdhsa_float_round_mode_16_64 0
		.amdhsa_float_denorm_mode_32 3
		.amdhsa_float_denorm_mode_16_64 3
		.amdhsa_dx10_clamp 1
		.amdhsa_ieee_mode 1
		.amdhsa_fp16_overflow 0
		.amdhsa_tg_split 0
		.amdhsa_exception_fp_ieee_invalid_op 0
		.amdhsa_exception_fp_denorm_src 0
		.amdhsa_exception_fp_ieee_div_zero 0
		.amdhsa_exception_fp_ieee_overflow 0
		.amdhsa_exception_fp_ieee_underflow 0
		.amdhsa_exception_fp_ieee_inexact 0
		.amdhsa_exception_int_div_zero 0
	.end_amdhsa_kernel
	.section	.text._ZN7rocprim17ROCPRIM_400000_NS6detail17trampoline_kernelINS0_14default_configENS1_38merge_sort_block_merge_config_selectorIxNS0_10empty_typeEEEZZNS1_27merge_sort_block_merge_implIS3_N6thrust23THRUST_200600_302600_NS6detail15normal_iteratorINS9_10device_ptrIxEEEEPS5_jNS1_19radix_merge_compareILb0ELb0ExNS0_19identity_decomposerEEEEE10hipError_tT0_T1_T2_jT3_P12ihipStream_tbPNSt15iterator_traitsISK_E10value_typeEPNSQ_ISL_E10value_typeEPSM_NS1_7vsmem_tEENKUlT_SK_SL_SM_E_clIPxSE_SF_SF_EESJ_SZ_SK_SL_SM_EUlSZ_E1_NS1_11comp_targetILNS1_3genE2ELNS1_11target_archE906ELNS1_3gpuE6ELNS1_3repE0EEENS1_36merge_oddeven_config_static_selectorELNS0_4arch9wavefront6targetE1EEEvSL_,"axG",@progbits,_ZN7rocprim17ROCPRIM_400000_NS6detail17trampoline_kernelINS0_14default_configENS1_38merge_sort_block_merge_config_selectorIxNS0_10empty_typeEEEZZNS1_27merge_sort_block_merge_implIS3_N6thrust23THRUST_200600_302600_NS6detail15normal_iteratorINS9_10device_ptrIxEEEEPS5_jNS1_19radix_merge_compareILb0ELb0ExNS0_19identity_decomposerEEEEE10hipError_tT0_T1_T2_jT3_P12ihipStream_tbPNSt15iterator_traitsISK_E10value_typeEPNSQ_ISL_E10value_typeEPSM_NS1_7vsmem_tEENKUlT_SK_SL_SM_E_clIPxSE_SF_SF_EESJ_SZ_SK_SL_SM_EUlSZ_E1_NS1_11comp_targetILNS1_3genE2ELNS1_11target_archE906ELNS1_3gpuE6ELNS1_3repE0EEENS1_36merge_oddeven_config_static_selectorELNS0_4arch9wavefront6targetE1EEEvSL_,comdat
.Lfunc_end1431:
	.size	_ZN7rocprim17ROCPRIM_400000_NS6detail17trampoline_kernelINS0_14default_configENS1_38merge_sort_block_merge_config_selectorIxNS0_10empty_typeEEEZZNS1_27merge_sort_block_merge_implIS3_N6thrust23THRUST_200600_302600_NS6detail15normal_iteratorINS9_10device_ptrIxEEEEPS5_jNS1_19radix_merge_compareILb0ELb0ExNS0_19identity_decomposerEEEEE10hipError_tT0_T1_T2_jT3_P12ihipStream_tbPNSt15iterator_traitsISK_E10value_typeEPNSQ_ISL_E10value_typeEPSM_NS1_7vsmem_tEENKUlT_SK_SL_SM_E_clIPxSE_SF_SF_EESJ_SZ_SK_SL_SM_EUlSZ_E1_NS1_11comp_targetILNS1_3genE2ELNS1_11target_archE906ELNS1_3gpuE6ELNS1_3repE0EEENS1_36merge_oddeven_config_static_selectorELNS0_4arch9wavefront6targetE1EEEvSL_, .Lfunc_end1431-_ZN7rocprim17ROCPRIM_400000_NS6detail17trampoline_kernelINS0_14default_configENS1_38merge_sort_block_merge_config_selectorIxNS0_10empty_typeEEEZZNS1_27merge_sort_block_merge_implIS3_N6thrust23THRUST_200600_302600_NS6detail15normal_iteratorINS9_10device_ptrIxEEEEPS5_jNS1_19radix_merge_compareILb0ELb0ExNS0_19identity_decomposerEEEEE10hipError_tT0_T1_T2_jT3_P12ihipStream_tbPNSt15iterator_traitsISK_E10value_typeEPNSQ_ISL_E10value_typeEPSM_NS1_7vsmem_tEENKUlT_SK_SL_SM_E_clIPxSE_SF_SF_EESJ_SZ_SK_SL_SM_EUlSZ_E1_NS1_11comp_targetILNS1_3genE2ELNS1_11target_archE906ELNS1_3gpuE6ELNS1_3repE0EEENS1_36merge_oddeven_config_static_selectorELNS0_4arch9wavefront6targetE1EEEvSL_
                                        ; -- End function
	.section	.AMDGPU.csdata,"",@progbits
; Kernel info:
; codeLenInByte = 0
; NumSgprs: 4
; NumVgprs: 0
; NumAgprs: 0
; TotalNumVgprs: 0
; ScratchSize: 0
; MemoryBound: 0
; FloatMode: 240
; IeeeMode: 1
; LDSByteSize: 0 bytes/workgroup (compile time only)
; SGPRBlocks: 0
; VGPRBlocks: 0
; NumSGPRsForWavesPerEU: 4
; NumVGPRsForWavesPerEU: 1
; AccumOffset: 4
; Occupancy: 8
; WaveLimiterHint : 0
; COMPUTE_PGM_RSRC2:SCRATCH_EN: 0
; COMPUTE_PGM_RSRC2:USER_SGPR: 6
; COMPUTE_PGM_RSRC2:TRAP_HANDLER: 0
; COMPUTE_PGM_RSRC2:TGID_X_EN: 1
; COMPUTE_PGM_RSRC2:TGID_Y_EN: 0
; COMPUTE_PGM_RSRC2:TGID_Z_EN: 0
; COMPUTE_PGM_RSRC2:TIDIG_COMP_CNT: 0
; COMPUTE_PGM_RSRC3_GFX90A:ACCUM_OFFSET: 0
; COMPUTE_PGM_RSRC3_GFX90A:TG_SPLIT: 0
	.section	.text._ZN7rocprim17ROCPRIM_400000_NS6detail17trampoline_kernelINS0_14default_configENS1_38merge_sort_block_merge_config_selectorIxNS0_10empty_typeEEEZZNS1_27merge_sort_block_merge_implIS3_N6thrust23THRUST_200600_302600_NS6detail15normal_iteratorINS9_10device_ptrIxEEEEPS5_jNS1_19radix_merge_compareILb0ELb0ExNS0_19identity_decomposerEEEEE10hipError_tT0_T1_T2_jT3_P12ihipStream_tbPNSt15iterator_traitsISK_E10value_typeEPNSQ_ISL_E10value_typeEPSM_NS1_7vsmem_tEENKUlT_SK_SL_SM_E_clIPxSE_SF_SF_EESJ_SZ_SK_SL_SM_EUlSZ_E1_NS1_11comp_targetILNS1_3genE9ELNS1_11target_archE1100ELNS1_3gpuE3ELNS1_3repE0EEENS1_36merge_oddeven_config_static_selectorELNS0_4arch9wavefront6targetE1EEEvSL_,"axG",@progbits,_ZN7rocprim17ROCPRIM_400000_NS6detail17trampoline_kernelINS0_14default_configENS1_38merge_sort_block_merge_config_selectorIxNS0_10empty_typeEEEZZNS1_27merge_sort_block_merge_implIS3_N6thrust23THRUST_200600_302600_NS6detail15normal_iteratorINS9_10device_ptrIxEEEEPS5_jNS1_19radix_merge_compareILb0ELb0ExNS0_19identity_decomposerEEEEE10hipError_tT0_T1_T2_jT3_P12ihipStream_tbPNSt15iterator_traitsISK_E10value_typeEPNSQ_ISL_E10value_typeEPSM_NS1_7vsmem_tEENKUlT_SK_SL_SM_E_clIPxSE_SF_SF_EESJ_SZ_SK_SL_SM_EUlSZ_E1_NS1_11comp_targetILNS1_3genE9ELNS1_11target_archE1100ELNS1_3gpuE3ELNS1_3repE0EEENS1_36merge_oddeven_config_static_selectorELNS0_4arch9wavefront6targetE1EEEvSL_,comdat
	.protected	_ZN7rocprim17ROCPRIM_400000_NS6detail17trampoline_kernelINS0_14default_configENS1_38merge_sort_block_merge_config_selectorIxNS0_10empty_typeEEEZZNS1_27merge_sort_block_merge_implIS3_N6thrust23THRUST_200600_302600_NS6detail15normal_iteratorINS9_10device_ptrIxEEEEPS5_jNS1_19radix_merge_compareILb0ELb0ExNS0_19identity_decomposerEEEEE10hipError_tT0_T1_T2_jT3_P12ihipStream_tbPNSt15iterator_traitsISK_E10value_typeEPNSQ_ISL_E10value_typeEPSM_NS1_7vsmem_tEENKUlT_SK_SL_SM_E_clIPxSE_SF_SF_EESJ_SZ_SK_SL_SM_EUlSZ_E1_NS1_11comp_targetILNS1_3genE9ELNS1_11target_archE1100ELNS1_3gpuE3ELNS1_3repE0EEENS1_36merge_oddeven_config_static_selectorELNS0_4arch9wavefront6targetE1EEEvSL_ ; -- Begin function _ZN7rocprim17ROCPRIM_400000_NS6detail17trampoline_kernelINS0_14default_configENS1_38merge_sort_block_merge_config_selectorIxNS0_10empty_typeEEEZZNS1_27merge_sort_block_merge_implIS3_N6thrust23THRUST_200600_302600_NS6detail15normal_iteratorINS9_10device_ptrIxEEEEPS5_jNS1_19radix_merge_compareILb0ELb0ExNS0_19identity_decomposerEEEEE10hipError_tT0_T1_T2_jT3_P12ihipStream_tbPNSt15iterator_traitsISK_E10value_typeEPNSQ_ISL_E10value_typeEPSM_NS1_7vsmem_tEENKUlT_SK_SL_SM_E_clIPxSE_SF_SF_EESJ_SZ_SK_SL_SM_EUlSZ_E1_NS1_11comp_targetILNS1_3genE9ELNS1_11target_archE1100ELNS1_3gpuE3ELNS1_3repE0EEENS1_36merge_oddeven_config_static_selectorELNS0_4arch9wavefront6targetE1EEEvSL_
	.globl	_ZN7rocprim17ROCPRIM_400000_NS6detail17trampoline_kernelINS0_14default_configENS1_38merge_sort_block_merge_config_selectorIxNS0_10empty_typeEEEZZNS1_27merge_sort_block_merge_implIS3_N6thrust23THRUST_200600_302600_NS6detail15normal_iteratorINS9_10device_ptrIxEEEEPS5_jNS1_19radix_merge_compareILb0ELb0ExNS0_19identity_decomposerEEEEE10hipError_tT0_T1_T2_jT3_P12ihipStream_tbPNSt15iterator_traitsISK_E10value_typeEPNSQ_ISL_E10value_typeEPSM_NS1_7vsmem_tEENKUlT_SK_SL_SM_E_clIPxSE_SF_SF_EESJ_SZ_SK_SL_SM_EUlSZ_E1_NS1_11comp_targetILNS1_3genE9ELNS1_11target_archE1100ELNS1_3gpuE3ELNS1_3repE0EEENS1_36merge_oddeven_config_static_selectorELNS0_4arch9wavefront6targetE1EEEvSL_
	.p2align	8
	.type	_ZN7rocprim17ROCPRIM_400000_NS6detail17trampoline_kernelINS0_14default_configENS1_38merge_sort_block_merge_config_selectorIxNS0_10empty_typeEEEZZNS1_27merge_sort_block_merge_implIS3_N6thrust23THRUST_200600_302600_NS6detail15normal_iteratorINS9_10device_ptrIxEEEEPS5_jNS1_19radix_merge_compareILb0ELb0ExNS0_19identity_decomposerEEEEE10hipError_tT0_T1_T2_jT3_P12ihipStream_tbPNSt15iterator_traitsISK_E10value_typeEPNSQ_ISL_E10value_typeEPSM_NS1_7vsmem_tEENKUlT_SK_SL_SM_E_clIPxSE_SF_SF_EESJ_SZ_SK_SL_SM_EUlSZ_E1_NS1_11comp_targetILNS1_3genE9ELNS1_11target_archE1100ELNS1_3gpuE3ELNS1_3repE0EEENS1_36merge_oddeven_config_static_selectorELNS0_4arch9wavefront6targetE1EEEvSL_,@function
_ZN7rocprim17ROCPRIM_400000_NS6detail17trampoline_kernelINS0_14default_configENS1_38merge_sort_block_merge_config_selectorIxNS0_10empty_typeEEEZZNS1_27merge_sort_block_merge_implIS3_N6thrust23THRUST_200600_302600_NS6detail15normal_iteratorINS9_10device_ptrIxEEEEPS5_jNS1_19radix_merge_compareILb0ELb0ExNS0_19identity_decomposerEEEEE10hipError_tT0_T1_T2_jT3_P12ihipStream_tbPNSt15iterator_traitsISK_E10value_typeEPNSQ_ISL_E10value_typeEPSM_NS1_7vsmem_tEENKUlT_SK_SL_SM_E_clIPxSE_SF_SF_EESJ_SZ_SK_SL_SM_EUlSZ_E1_NS1_11comp_targetILNS1_3genE9ELNS1_11target_archE1100ELNS1_3gpuE3ELNS1_3repE0EEENS1_36merge_oddeven_config_static_selectorELNS0_4arch9wavefront6targetE1EEEvSL_: ; @_ZN7rocprim17ROCPRIM_400000_NS6detail17trampoline_kernelINS0_14default_configENS1_38merge_sort_block_merge_config_selectorIxNS0_10empty_typeEEEZZNS1_27merge_sort_block_merge_implIS3_N6thrust23THRUST_200600_302600_NS6detail15normal_iteratorINS9_10device_ptrIxEEEEPS5_jNS1_19radix_merge_compareILb0ELb0ExNS0_19identity_decomposerEEEEE10hipError_tT0_T1_T2_jT3_P12ihipStream_tbPNSt15iterator_traitsISK_E10value_typeEPNSQ_ISL_E10value_typeEPSM_NS1_7vsmem_tEENKUlT_SK_SL_SM_E_clIPxSE_SF_SF_EESJ_SZ_SK_SL_SM_EUlSZ_E1_NS1_11comp_targetILNS1_3genE9ELNS1_11target_archE1100ELNS1_3gpuE3ELNS1_3repE0EEENS1_36merge_oddeven_config_static_selectorELNS0_4arch9wavefront6targetE1EEEvSL_
; %bb.0:
	.section	.rodata,"a",@progbits
	.p2align	6, 0x0
	.amdhsa_kernel _ZN7rocprim17ROCPRIM_400000_NS6detail17trampoline_kernelINS0_14default_configENS1_38merge_sort_block_merge_config_selectorIxNS0_10empty_typeEEEZZNS1_27merge_sort_block_merge_implIS3_N6thrust23THRUST_200600_302600_NS6detail15normal_iteratorINS9_10device_ptrIxEEEEPS5_jNS1_19radix_merge_compareILb0ELb0ExNS0_19identity_decomposerEEEEE10hipError_tT0_T1_T2_jT3_P12ihipStream_tbPNSt15iterator_traitsISK_E10value_typeEPNSQ_ISL_E10value_typeEPSM_NS1_7vsmem_tEENKUlT_SK_SL_SM_E_clIPxSE_SF_SF_EESJ_SZ_SK_SL_SM_EUlSZ_E1_NS1_11comp_targetILNS1_3genE9ELNS1_11target_archE1100ELNS1_3gpuE3ELNS1_3repE0EEENS1_36merge_oddeven_config_static_selectorELNS0_4arch9wavefront6targetE1EEEvSL_
		.amdhsa_group_segment_fixed_size 0
		.amdhsa_private_segment_fixed_size 0
		.amdhsa_kernarg_size 48
		.amdhsa_user_sgpr_count 6
		.amdhsa_user_sgpr_private_segment_buffer 1
		.amdhsa_user_sgpr_dispatch_ptr 0
		.amdhsa_user_sgpr_queue_ptr 0
		.amdhsa_user_sgpr_kernarg_segment_ptr 1
		.amdhsa_user_sgpr_dispatch_id 0
		.amdhsa_user_sgpr_flat_scratch_init 0
		.amdhsa_user_sgpr_kernarg_preload_length 0
		.amdhsa_user_sgpr_kernarg_preload_offset 0
		.amdhsa_user_sgpr_private_segment_size 0
		.amdhsa_uses_dynamic_stack 0
		.amdhsa_system_sgpr_private_segment_wavefront_offset 0
		.amdhsa_system_sgpr_workgroup_id_x 1
		.amdhsa_system_sgpr_workgroup_id_y 0
		.amdhsa_system_sgpr_workgroup_id_z 0
		.amdhsa_system_sgpr_workgroup_info 0
		.amdhsa_system_vgpr_workitem_id 0
		.amdhsa_next_free_vgpr 1
		.amdhsa_next_free_sgpr 0
		.amdhsa_accum_offset 4
		.amdhsa_reserve_vcc 0
		.amdhsa_reserve_flat_scratch 0
		.amdhsa_float_round_mode_32 0
		.amdhsa_float_round_mode_16_64 0
		.amdhsa_float_denorm_mode_32 3
		.amdhsa_float_denorm_mode_16_64 3
		.amdhsa_dx10_clamp 1
		.amdhsa_ieee_mode 1
		.amdhsa_fp16_overflow 0
		.amdhsa_tg_split 0
		.amdhsa_exception_fp_ieee_invalid_op 0
		.amdhsa_exception_fp_denorm_src 0
		.amdhsa_exception_fp_ieee_div_zero 0
		.amdhsa_exception_fp_ieee_overflow 0
		.amdhsa_exception_fp_ieee_underflow 0
		.amdhsa_exception_fp_ieee_inexact 0
		.amdhsa_exception_int_div_zero 0
	.end_amdhsa_kernel
	.section	.text._ZN7rocprim17ROCPRIM_400000_NS6detail17trampoline_kernelINS0_14default_configENS1_38merge_sort_block_merge_config_selectorIxNS0_10empty_typeEEEZZNS1_27merge_sort_block_merge_implIS3_N6thrust23THRUST_200600_302600_NS6detail15normal_iteratorINS9_10device_ptrIxEEEEPS5_jNS1_19radix_merge_compareILb0ELb0ExNS0_19identity_decomposerEEEEE10hipError_tT0_T1_T2_jT3_P12ihipStream_tbPNSt15iterator_traitsISK_E10value_typeEPNSQ_ISL_E10value_typeEPSM_NS1_7vsmem_tEENKUlT_SK_SL_SM_E_clIPxSE_SF_SF_EESJ_SZ_SK_SL_SM_EUlSZ_E1_NS1_11comp_targetILNS1_3genE9ELNS1_11target_archE1100ELNS1_3gpuE3ELNS1_3repE0EEENS1_36merge_oddeven_config_static_selectorELNS0_4arch9wavefront6targetE1EEEvSL_,"axG",@progbits,_ZN7rocprim17ROCPRIM_400000_NS6detail17trampoline_kernelINS0_14default_configENS1_38merge_sort_block_merge_config_selectorIxNS0_10empty_typeEEEZZNS1_27merge_sort_block_merge_implIS3_N6thrust23THRUST_200600_302600_NS6detail15normal_iteratorINS9_10device_ptrIxEEEEPS5_jNS1_19radix_merge_compareILb0ELb0ExNS0_19identity_decomposerEEEEE10hipError_tT0_T1_T2_jT3_P12ihipStream_tbPNSt15iterator_traitsISK_E10value_typeEPNSQ_ISL_E10value_typeEPSM_NS1_7vsmem_tEENKUlT_SK_SL_SM_E_clIPxSE_SF_SF_EESJ_SZ_SK_SL_SM_EUlSZ_E1_NS1_11comp_targetILNS1_3genE9ELNS1_11target_archE1100ELNS1_3gpuE3ELNS1_3repE0EEENS1_36merge_oddeven_config_static_selectorELNS0_4arch9wavefront6targetE1EEEvSL_,comdat
.Lfunc_end1432:
	.size	_ZN7rocprim17ROCPRIM_400000_NS6detail17trampoline_kernelINS0_14default_configENS1_38merge_sort_block_merge_config_selectorIxNS0_10empty_typeEEEZZNS1_27merge_sort_block_merge_implIS3_N6thrust23THRUST_200600_302600_NS6detail15normal_iteratorINS9_10device_ptrIxEEEEPS5_jNS1_19radix_merge_compareILb0ELb0ExNS0_19identity_decomposerEEEEE10hipError_tT0_T1_T2_jT3_P12ihipStream_tbPNSt15iterator_traitsISK_E10value_typeEPNSQ_ISL_E10value_typeEPSM_NS1_7vsmem_tEENKUlT_SK_SL_SM_E_clIPxSE_SF_SF_EESJ_SZ_SK_SL_SM_EUlSZ_E1_NS1_11comp_targetILNS1_3genE9ELNS1_11target_archE1100ELNS1_3gpuE3ELNS1_3repE0EEENS1_36merge_oddeven_config_static_selectorELNS0_4arch9wavefront6targetE1EEEvSL_, .Lfunc_end1432-_ZN7rocprim17ROCPRIM_400000_NS6detail17trampoline_kernelINS0_14default_configENS1_38merge_sort_block_merge_config_selectorIxNS0_10empty_typeEEEZZNS1_27merge_sort_block_merge_implIS3_N6thrust23THRUST_200600_302600_NS6detail15normal_iteratorINS9_10device_ptrIxEEEEPS5_jNS1_19radix_merge_compareILb0ELb0ExNS0_19identity_decomposerEEEEE10hipError_tT0_T1_T2_jT3_P12ihipStream_tbPNSt15iterator_traitsISK_E10value_typeEPNSQ_ISL_E10value_typeEPSM_NS1_7vsmem_tEENKUlT_SK_SL_SM_E_clIPxSE_SF_SF_EESJ_SZ_SK_SL_SM_EUlSZ_E1_NS1_11comp_targetILNS1_3genE9ELNS1_11target_archE1100ELNS1_3gpuE3ELNS1_3repE0EEENS1_36merge_oddeven_config_static_selectorELNS0_4arch9wavefront6targetE1EEEvSL_
                                        ; -- End function
	.section	.AMDGPU.csdata,"",@progbits
; Kernel info:
; codeLenInByte = 0
; NumSgprs: 4
; NumVgprs: 0
; NumAgprs: 0
; TotalNumVgprs: 0
; ScratchSize: 0
; MemoryBound: 0
; FloatMode: 240
; IeeeMode: 1
; LDSByteSize: 0 bytes/workgroup (compile time only)
; SGPRBlocks: 0
; VGPRBlocks: 0
; NumSGPRsForWavesPerEU: 4
; NumVGPRsForWavesPerEU: 1
; AccumOffset: 4
; Occupancy: 8
; WaveLimiterHint : 0
; COMPUTE_PGM_RSRC2:SCRATCH_EN: 0
; COMPUTE_PGM_RSRC2:USER_SGPR: 6
; COMPUTE_PGM_RSRC2:TRAP_HANDLER: 0
; COMPUTE_PGM_RSRC2:TGID_X_EN: 1
; COMPUTE_PGM_RSRC2:TGID_Y_EN: 0
; COMPUTE_PGM_RSRC2:TGID_Z_EN: 0
; COMPUTE_PGM_RSRC2:TIDIG_COMP_CNT: 0
; COMPUTE_PGM_RSRC3_GFX90A:ACCUM_OFFSET: 0
; COMPUTE_PGM_RSRC3_GFX90A:TG_SPLIT: 0
	.section	.text._ZN7rocprim17ROCPRIM_400000_NS6detail17trampoline_kernelINS0_14default_configENS1_38merge_sort_block_merge_config_selectorIxNS0_10empty_typeEEEZZNS1_27merge_sort_block_merge_implIS3_N6thrust23THRUST_200600_302600_NS6detail15normal_iteratorINS9_10device_ptrIxEEEEPS5_jNS1_19radix_merge_compareILb0ELb0ExNS0_19identity_decomposerEEEEE10hipError_tT0_T1_T2_jT3_P12ihipStream_tbPNSt15iterator_traitsISK_E10value_typeEPNSQ_ISL_E10value_typeEPSM_NS1_7vsmem_tEENKUlT_SK_SL_SM_E_clIPxSE_SF_SF_EESJ_SZ_SK_SL_SM_EUlSZ_E1_NS1_11comp_targetILNS1_3genE8ELNS1_11target_archE1030ELNS1_3gpuE2ELNS1_3repE0EEENS1_36merge_oddeven_config_static_selectorELNS0_4arch9wavefront6targetE1EEEvSL_,"axG",@progbits,_ZN7rocprim17ROCPRIM_400000_NS6detail17trampoline_kernelINS0_14default_configENS1_38merge_sort_block_merge_config_selectorIxNS0_10empty_typeEEEZZNS1_27merge_sort_block_merge_implIS3_N6thrust23THRUST_200600_302600_NS6detail15normal_iteratorINS9_10device_ptrIxEEEEPS5_jNS1_19radix_merge_compareILb0ELb0ExNS0_19identity_decomposerEEEEE10hipError_tT0_T1_T2_jT3_P12ihipStream_tbPNSt15iterator_traitsISK_E10value_typeEPNSQ_ISL_E10value_typeEPSM_NS1_7vsmem_tEENKUlT_SK_SL_SM_E_clIPxSE_SF_SF_EESJ_SZ_SK_SL_SM_EUlSZ_E1_NS1_11comp_targetILNS1_3genE8ELNS1_11target_archE1030ELNS1_3gpuE2ELNS1_3repE0EEENS1_36merge_oddeven_config_static_selectorELNS0_4arch9wavefront6targetE1EEEvSL_,comdat
	.protected	_ZN7rocprim17ROCPRIM_400000_NS6detail17trampoline_kernelINS0_14default_configENS1_38merge_sort_block_merge_config_selectorIxNS0_10empty_typeEEEZZNS1_27merge_sort_block_merge_implIS3_N6thrust23THRUST_200600_302600_NS6detail15normal_iteratorINS9_10device_ptrIxEEEEPS5_jNS1_19radix_merge_compareILb0ELb0ExNS0_19identity_decomposerEEEEE10hipError_tT0_T1_T2_jT3_P12ihipStream_tbPNSt15iterator_traitsISK_E10value_typeEPNSQ_ISL_E10value_typeEPSM_NS1_7vsmem_tEENKUlT_SK_SL_SM_E_clIPxSE_SF_SF_EESJ_SZ_SK_SL_SM_EUlSZ_E1_NS1_11comp_targetILNS1_3genE8ELNS1_11target_archE1030ELNS1_3gpuE2ELNS1_3repE0EEENS1_36merge_oddeven_config_static_selectorELNS0_4arch9wavefront6targetE1EEEvSL_ ; -- Begin function _ZN7rocprim17ROCPRIM_400000_NS6detail17trampoline_kernelINS0_14default_configENS1_38merge_sort_block_merge_config_selectorIxNS0_10empty_typeEEEZZNS1_27merge_sort_block_merge_implIS3_N6thrust23THRUST_200600_302600_NS6detail15normal_iteratorINS9_10device_ptrIxEEEEPS5_jNS1_19radix_merge_compareILb0ELb0ExNS0_19identity_decomposerEEEEE10hipError_tT0_T1_T2_jT3_P12ihipStream_tbPNSt15iterator_traitsISK_E10value_typeEPNSQ_ISL_E10value_typeEPSM_NS1_7vsmem_tEENKUlT_SK_SL_SM_E_clIPxSE_SF_SF_EESJ_SZ_SK_SL_SM_EUlSZ_E1_NS1_11comp_targetILNS1_3genE8ELNS1_11target_archE1030ELNS1_3gpuE2ELNS1_3repE0EEENS1_36merge_oddeven_config_static_selectorELNS0_4arch9wavefront6targetE1EEEvSL_
	.globl	_ZN7rocprim17ROCPRIM_400000_NS6detail17trampoline_kernelINS0_14default_configENS1_38merge_sort_block_merge_config_selectorIxNS0_10empty_typeEEEZZNS1_27merge_sort_block_merge_implIS3_N6thrust23THRUST_200600_302600_NS6detail15normal_iteratorINS9_10device_ptrIxEEEEPS5_jNS1_19radix_merge_compareILb0ELb0ExNS0_19identity_decomposerEEEEE10hipError_tT0_T1_T2_jT3_P12ihipStream_tbPNSt15iterator_traitsISK_E10value_typeEPNSQ_ISL_E10value_typeEPSM_NS1_7vsmem_tEENKUlT_SK_SL_SM_E_clIPxSE_SF_SF_EESJ_SZ_SK_SL_SM_EUlSZ_E1_NS1_11comp_targetILNS1_3genE8ELNS1_11target_archE1030ELNS1_3gpuE2ELNS1_3repE0EEENS1_36merge_oddeven_config_static_selectorELNS0_4arch9wavefront6targetE1EEEvSL_
	.p2align	8
	.type	_ZN7rocprim17ROCPRIM_400000_NS6detail17trampoline_kernelINS0_14default_configENS1_38merge_sort_block_merge_config_selectorIxNS0_10empty_typeEEEZZNS1_27merge_sort_block_merge_implIS3_N6thrust23THRUST_200600_302600_NS6detail15normal_iteratorINS9_10device_ptrIxEEEEPS5_jNS1_19radix_merge_compareILb0ELb0ExNS0_19identity_decomposerEEEEE10hipError_tT0_T1_T2_jT3_P12ihipStream_tbPNSt15iterator_traitsISK_E10value_typeEPNSQ_ISL_E10value_typeEPSM_NS1_7vsmem_tEENKUlT_SK_SL_SM_E_clIPxSE_SF_SF_EESJ_SZ_SK_SL_SM_EUlSZ_E1_NS1_11comp_targetILNS1_3genE8ELNS1_11target_archE1030ELNS1_3gpuE2ELNS1_3repE0EEENS1_36merge_oddeven_config_static_selectorELNS0_4arch9wavefront6targetE1EEEvSL_,@function
_ZN7rocprim17ROCPRIM_400000_NS6detail17trampoline_kernelINS0_14default_configENS1_38merge_sort_block_merge_config_selectorIxNS0_10empty_typeEEEZZNS1_27merge_sort_block_merge_implIS3_N6thrust23THRUST_200600_302600_NS6detail15normal_iteratorINS9_10device_ptrIxEEEEPS5_jNS1_19radix_merge_compareILb0ELb0ExNS0_19identity_decomposerEEEEE10hipError_tT0_T1_T2_jT3_P12ihipStream_tbPNSt15iterator_traitsISK_E10value_typeEPNSQ_ISL_E10value_typeEPSM_NS1_7vsmem_tEENKUlT_SK_SL_SM_E_clIPxSE_SF_SF_EESJ_SZ_SK_SL_SM_EUlSZ_E1_NS1_11comp_targetILNS1_3genE8ELNS1_11target_archE1030ELNS1_3gpuE2ELNS1_3repE0EEENS1_36merge_oddeven_config_static_selectorELNS0_4arch9wavefront6targetE1EEEvSL_: ; @_ZN7rocprim17ROCPRIM_400000_NS6detail17trampoline_kernelINS0_14default_configENS1_38merge_sort_block_merge_config_selectorIxNS0_10empty_typeEEEZZNS1_27merge_sort_block_merge_implIS3_N6thrust23THRUST_200600_302600_NS6detail15normal_iteratorINS9_10device_ptrIxEEEEPS5_jNS1_19radix_merge_compareILb0ELb0ExNS0_19identity_decomposerEEEEE10hipError_tT0_T1_T2_jT3_P12ihipStream_tbPNSt15iterator_traitsISK_E10value_typeEPNSQ_ISL_E10value_typeEPSM_NS1_7vsmem_tEENKUlT_SK_SL_SM_E_clIPxSE_SF_SF_EESJ_SZ_SK_SL_SM_EUlSZ_E1_NS1_11comp_targetILNS1_3genE8ELNS1_11target_archE1030ELNS1_3gpuE2ELNS1_3repE0EEENS1_36merge_oddeven_config_static_selectorELNS0_4arch9wavefront6targetE1EEEvSL_
; %bb.0:
	.section	.rodata,"a",@progbits
	.p2align	6, 0x0
	.amdhsa_kernel _ZN7rocprim17ROCPRIM_400000_NS6detail17trampoline_kernelINS0_14default_configENS1_38merge_sort_block_merge_config_selectorIxNS0_10empty_typeEEEZZNS1_27merge_sort_block_merge_implIS3_N6thrust23THRUST_200600_302600_NS6detail15normal_iteratorINS9_10device_ptrIxEEEEPS5_jNS1_19radix_merge_compareILb0ELb0ExNS0_19identity_decomposerEEEEE10hipError_tT0_T1_T2_jT3_P12ihipStream_tbPNSt15iterator_traitsISK_E10value_typeEPNSQ_ISL_E10value_typeEPSM_NS1_7vsmem_tEENKUlT_SK_SL_SM_E_clIPxSE_SF_SF_EESJ_SZ_SK_SL_SM_EUlSZ_E1_NS1_11comp_targetILNS1_3genE8ELNS1_11target_archE1030ELNS1_3gpuE2ELNS1_3repE0EEENS1_36merge_oddeven_config_static_selectorELNS0_4arch9wavefront6targetE1EEEvSL_
		.amdhsa_group_segment_fixed_size 0
		.amdhsa_private_segment_fixed_size 0
		.amdhsa_kernarg_size 48
		.amdhsa_user_sgpr_count 6
		.amdhsa_user_sgpr_private_segment_buffer 1
		.amdhsa_user_sgpr_dispatch_ptr 0
		.amdhsa_user_sgpr_queue_ptr 0
		.amdhsa_user_sgpr_kernarg_segment_ptr 1
		.amdhsa_user_sgpr_dispatch_id 0
		.amdhsa_user_sgpr_flat_scratch_init 0
		.amdhsa_user_sgpr_kernarg_preload_length 0
		.amdhsa_user_sgpr_kernarg_preload_offset 0
		.amdhsa_user_sgpr_private_segment_size 0
		.amdhsa_uses_dynamic_stack 0
		.amdhsa_system_sgpr_private_segment_wavefront_offset 0
		.amdhsa_system_sgpr_workgroup_id_x 1
		.amdhsa_system_sgpr_workgroup_id_y 0
		.amdhsa_system_sgpr_workgroup_id_z 0
		.amdhsa_system_sgpr_workgroup_info 0
		.amdhsa_system_vgpr_workitem_id 0
		.amdhsa_next_free_vgpr 1
		.amdhsa_next_free_sgpr 0
		.amdhsa_accum_offset 4
		.amdhsa_reserve_vcc 0
		.amdhsa_reserve_flat_scratch 0
		.amdhsa_float_round_mode_32 0
		.amdhsa_float_round_mode_16_64 0
		.amdhsa_float_denorm_mode_32 3
		.amdhsa_float_denorm_mode_16_64 3
		.amdhsa_dx10_clamp 1
		.amdhsa_ieee_mode 1
		.amdhsa_fp16_overflow 0
		.amdhsa_tg_split 0
		.amdhsa_exception_fp_ieee_invalid_op 0
		.amdhsa_exception_fp_denorm_src 0
		.amdhsa_exception_fp_ieee_div_zero 0
		.amdhsa_exception_fp_ieee_overflow 0
		.amdhsa_exception_fp_ieee_underflow 0
		.amdhsa_exception_fp_ieee_inexact 0
		.amdhsa_exception_int_div_zero 0
	.end_amdhsa_kernel
	.section	.text._ZN7rocprim17ROCPRIM_400000_NS6detail17trampoline_kernelINS0_14default_configENS1_38merge_sort_block_merge_config_selectorIxNS0_10empty_typeEEEZZNS1_27merge_sort_block_merge_implIS3_N6thrust23THRUST_200600_302600_NS6detail15normal_iteratorINS9_10device_ptrIxEEEEPS5_jNS1_19radix_merge_compareILb0ELb0ExNS0_19identity_decomposerEEEEE10hipError_tT0_T1_T2_jT3_P12ihipStream_tbPNSt15iterator_traitsISK_E10value_typeEPNSQ_ISL_E10value_typeEPSM_NS1_7vsmem_tEENKUlT_SK_SL_SM_E_clIPxSE_SF_SF_EESJ_SZ_SK_SL_SM_EUlSZ_E1_NS1_11comp_targetILNS1_3genE8ELNS1_11target_archE1030ELNS1_3gpuE2ELNS1_3repE0EEENS1_36merge_oddeven_config_static_selectorELNS0_4arch9wavefront6targetE1EEEvSL_,"axG",@progbits,_ZN7rocprim17ROCPRIM_400000_NS6detail17trampoline_kernelINS0_14default_configENS1_38merge_sort_block_merge_config_selectorIxNS0_10empty_typeEEEZZNS1_27merge_sort_block_merge_implIS3_N6thrust23THRUST_200600_302600_NS6detail15normal_iteratorINS9_10device_ptrIxEEEEPS5_jNS1_19radix_merge_compareILb0ELb0ExNS0_19identity_decomposerEEEEE10hipError_tT0_T1_T2_jT3_P12ihipStream_tbPNSt15iterator_traitsISK_E10value_typeEPNSQ_ISL_E10value_typeEPSM_NS1_7vsmem_tEENKUlT_SK_SL_SM_E_clIPxSE_SF_SF_EESJ_SZ_SK_SL_SM_EUlSZ_E1_NS1_11comp_targetILNS1_3genE8ELNS1_11target_archE1030ELNS1_3gpuE2ELNS1_3repE0EEENS1_36merge_oddeven_config_static_selectorELNS0_4arch9wavefront6targetE1EEEvSL_,comdat
.Lfunc_end1433:
	.size	_ZN7rocprim17ROCPRIM_400000_NS6detail17trampoline_kernelINS0_14default_configENS1_38merge_sort_block_merge_config_selectorIxNS0_10empty_typeEEEZZNS1_27merge_sort_block_merge_implIS3_N6thrust23THRUST_200600_302600_NS6detail15normal_iteratorINS9_10device_ptrIxEEEEPS5_jNS1_19radix_merge_compareILb0ELb0ExNS0_19identity_decomposerEEEEE10hipError_tT0_T1_T2_jT3_P12ihipStream_tbPNSt15iterator_traitsISK_E10value_typeEPNSQ_ISL_E10value_typeEPSM_NS1_7vsmem_tEENKUlT_SK_SL_SM_E_clIPxSE_SF_SF_EESJ_SZ_SK_SL_SM_EUlSZ_E1_NS1_11comp_targetILNS1_3genE8ELNS1_11target_archE1030ELNS1_3gpuE2ELNS1_3repE0EEENS1_36merge_oddeven_config_static_selectorELNS0_4arch9wavefront6targetE1EEEvSL_, .Lfunc_end1433-_ZN7rocprim17ROCPRIM_400000_NS6detail17trampoline_kernelINS0_14default_configENS1_38merge_sort_block_merge_config_selectorIxNS0_10empty_typeEEEZZNS1_27merge_sort_block_merge_implIS3_N6thrust23THRUST_200600_302600_NS6detail15normal_iteratorINS9_10device_ptrIxEEEEPS5_jNS1_19radix_merge_compareILb0ELb0ExNS0_19identity_decomposerEEEEE10hipError_tT0_T1_T2_jT3_P12ihipStream_tbPNSt15iterator_traitsISK_E10value_typeEPNSQ_ISL_E10value_typeEPSM_NS1_7vsmem_tEENKUlT_SK_SL_SM_E_clIPxSE_SF_SF_EESJ_SZ_SK_SL_SM_EUlSZ_E1_NS1_11comp_targetILNS1_3genE8ELNS1_11target_archE1030ELNS1_3gpuE2ELNS1_3repE0EEENS1_36merge_oddeven_config_static_selectorELNS0_4arch9wavefront6targetE1EEEvSL_
                                        ; -- End function
	.section	.AMDGPU.csdata,"",@progbits
; Kernel info:
; codeLenInByte = 0
; NumSgprs: 4
; NumVgprs: 0
; NumAgprs: 0
; TotalNumVgprs: 0
; ScratchSize: 0
; MemoryBound: 0
; FloatMode: 240
; IeeeMode: 1
; LDSByteSize: 0 bytes/workgroup (compile time only)
; SGPRBlocks: 0
; VGPRBlocks: 0
; NumSGPRsForWavesPerEU: 4
; NumVGPRsForWavesPerEU: 1
; AccumOffset: 4
; Occupancy: 8
; WaveLimiterHint : 0
; COMPUTE_PGM_RSRC2:SCRATCH_EN: 0
; COMPUTE_PGM_RSRC2:USER_SGPR: 6
; COMPUTE_PGM_RSRC2:TRAP_HANDLER: 0
; COMPUTE_PGM_RSRC2:TGID_X_EN: 1
; COMPUTE_PGM_RSRC2:TGID_Y_EN: 0
; COMPUTE_PGM_RSRC2:TGID_Z_EN: 0
; COMPUTE_PGM_RSRC2:TIDIG_COMP_CNT: 0
; COMPUTE_PGM_RSRC3_GFX90A:ACCUM_OFFSET: 0
; COMPUTE_PGM_RSRC3_GFX90A:TG_SPLIT: 0
	.section	.text._ZN7rocprim17ROCPRIM_400000_NS6detail17trampoline_kernelINS0_14default_configENS1_38merge_sort_block_merge_config_selectorIxNS0_10empty_typeEEEZZNS1_27merge_sort_block_merge_implIS3_N6thrust23THRUST_200600_302600_NS6detail15normal_iteratorINS9_10device_ptrIxEEEEPS5_jNS1_19radix_merge_compareILb0ELb0ExNS0_19identity_decomposerEEEEE10hipError_tT0_T1_T2_jT3_P12ihipStream_tbPNSt15iterator_traitsISK_E10value_typeEPNSQ_ISL_E10value_typeEPSM_NS1_7vsmem_tEENKUlT_SK_SL_SM_E_clISE_PxSF_SF_EESJ_SZ_SK_SL_SM_EUlSZ_E_NS1_11comp_targetILNS1_3genE0ELNS1_11target_archE4294967295ELNS1_3gpuE0ELNS1_3repE0EEENS1_48merge_mergepath_partition_config_static_selectorELNS0_4arch9wavefront6targetE1EEEvSL_,"axG",@progbits,_ZN7rocprim17ROCPRIM_400000_NS6detail17trampoline_kernelINS0_14default_configENS1_38merge_sort_block_merge_config_selectorIxNS0_10empty_typeEEEZZNS1_27merge_sort_block_merge_implIS3_N6thrust23THRUST_200600_302600_NS6detail15normal_iteratorINS9_10device_ptrIxEEEEPS5_jNS1_19radix_merge_compareILb0ELb0ExNS0_19identity_decomposerEEEEE10hipError_tT0_T1_T2_jT3_P12ihipStream_tbPNSt15iterator_traitsISK_E10value_typeEPNSQ_ISL_E10value_typeEPSM_NS1_7vsmem_tEENKUlT_SK_SL_SM_E_clISE_PxSF_SF_EESJ_SZ_SK_SL_SM_EUlSZ_E_NS1_11comp_targetILNS1_3genE0ELNS1_11target_archE4294967295ELNS1_3gpuE0ELNS1_3repE0EEENS1_48merge_mergepath_partition_config_static_selectorELNS0_4arch9wavefront6targetE1EEEvSL_,comdat
	.protected	_ZN7rocprim17ROCPRIM_400000_NS6detail17trampoline_kernelINS0_14default_configENS1_38merge_sort_block_merge_config_selectorIxNS0_10empty_typeEEEZZNS1_27merge_sort_block_merge_implIS3_N6thrust23THRUST_200600_302600_NS6detail15normal_iteratorINS9_10device_ptrIxEEEEPS5_jNS1_19radix_merge_compareILb0ELb0ExNS0_19identity_decomposerEEEEE10hipError_tT0_T1_T2_jT3_P12ihipStream_tbPNSt15iterator_traitsISK_E10value_typeEPNSQ_ISL_E10value_typeEPSM_NS1_7vsmem_tEENKUlT_SK_SL_SM_E_clISE_PxSF_SF_EESJ_SZ_SK_SL_SM_EUlSZ_E_NS1_11comp_targetILNS1_3genE0ELNS1_11target_archE4294967295ELNS1_3gpuE0ELNS1_3repE0EEENS1_48merge_mergepath_partition_config_static_selectorELNS0_4arch9wavefront6targetE1EEEvSL_ ; -- Begin function _ZN7rocprim17ROCPRIM_400000_NS6detail17trampoline_kernelINS0_14default_configENS1_38merge_sort_block_merge_config_selectorIxNS0_10empty_typeEEEZZNS1_27merge_sort_block_merge_implIS3_N6thrust23THRUST_200600_302600_NS6detail15normal_iteratorINS9_10device_ptrIxEEEEPS5_jNS1_19radix_merge_compareILb0ELb0ExNS0_19identity_decomposerEEEEE10hipError_tT0_T1_T2_jT3_P12ihipStream_tbPNSt15iterator_traitsISK_E10value_typeEPNSQ_ISL_E10value_typeEPSM_NS1_7vsmem_tEENKUlT_SK_SL_SM_E_clISE_PxSF_SF_EESJ_SZ_SK_SL_SM_EUlSZ_E_NS1_11comp_targetILNS1_3genE0ELNS1_11target_archE4294967295ELNS1_3gpuE0ELNS1_3repE0EEENS1_48merge_mergepath_partition_config_static_selectorELNS0_4arch9wavefront6targetE1EEEvSL_
	.globl	_ZN7rocprim17ROCPRIM_400000_NS6detail17trampoline_kernelINS0_14default_configENS1_38merge_sort_block_merge_config_selectorIxNS0_10empty_typeEEEZZNS1_27merge_sort_block_merge_implIS3_N6thrust23THRUST_200600_302600_NS6detail15normal_iteratorINS9_10device_ptrIxEEEEPS5_jNS1_19radix_merge_compareILb0ELb0ExNS0_19identity_decomposerEEEEE10hipError_tT0_T1_T2_jT3_P12ihipStream_tbPNSt15iterator_traitsISK_E10value_typeEPNSQ_ISL_E10value_typeEPSM_NS1_7vsmem_tEENKUlT_SK_SL_SM_E_clISE_PxSF_SF_EESJ_SZ_SK_SL_SM_EUlSZ_E_NS1_11comp_targetILNS1_3genE0ELNS1_11target_archE4294967295ELNS1_3gpuE0ELNS1_3repE0EEENS1_48merge_mergepath_partition_config_static_selectorELNS0_4arch9wavefront6targetE1EEEvSL_
	.p2align	8
	.type	_ZN7rocprim17ROCPRIM_400000_NS6detail17trampoline_kernelINS0_14default_configENS1_38merge_sort_block_merge_config_selectorIxNS0_10empty_typeEEEZZNS1_27merge_sort_block_merge_implIS3_N6thrust23THRUST_200600_302600_NS6detail15normal_iteratorINS9_10device_ptrIxEEEEPS5_jNS1_19radix_merge_compareILb0ELb0ExNS0_19identity_decomposerEEEEE10hipError_tT0_T1_T2_jT3_P12ihipStream_tbPNSt15iterator_traitsISK_E10value_typeEPNSQ_ISL_E10value_typeEPSM_NS1_7vsmem_tEENKUlT_SK_SL_SM_E_clISE_PxSF_SF_EESJ_SZ_SK_SL_SM_EUlSZ_E_NS1_11comp_targetILNS1_3genE0ELNS1_11target_archE4294967295ELNS1_3gpuE0ELNS1_3repE0EEENS1_48merge_mergepath_partition_config_static_selectorELNS0_4arch9wavefront6targetE1EEEvSL_,@function
_ZN7rocprim17ROCPRIM_400000_NS6detail17trampoline_kernelINS0_14default_configENS1_38merge_sort_block_merge_config_selectorIxNS0_10empty_typeEEEZZNS1_27merge_sort_block_merge_implIS3_N6thrust23THRUST_200600_302600_NS6detail15normal_iteratorINS9_10device_ptrIxEEEEPS5_jNS1_19radix_merge_compareILb0ELb0ExNS0_19identity_decomposerEEEEE10hipError_tT0_T1_T2_jT3_P12ihipStream_tbPNSt15iterator_traitsISK_E10value_typeEPNSQ_ISL_E10value_typeEPSM_NS1_7vsmem_tEENKUlT_SK_SL_SM_E_clISE_PxSF_SF_EESJ_SZ_SK_SL_SM_EUlSZ_E_NS1_11comp_targetILNS1_3genE0ELNS1_11target_archE4294967295ELNS1_3gpuE0ELNS1_3repE0EEENS1_48merge_mergepath_partition_config_static_selectorELNS0_4arch9wavefront6targetE1EEEvSL_: ; @_ZN7rocprim17ROCPRIM_400000_NS6detail17trampoline_kernelINS0_14default_configENS1_38merge_sort_block_merge_config_selectorIxNS0_10empty_typeEEEZZNS1_27merge_sort_block_merge_implIS3_N6thrust23THRUST_200600_302600_NS6detail15normal_iteratorINS9_10device_ptrIxEEEEPS5_jNS1_19radix_merge_compareILb0ELb0ExNS0_19identity_decomposerEEEEE10hipError_tT0_T1_T2_jT3_P12ihipStream_tbPNSt15iterator_traitsISK_E10value_typeEPNSQ_ISL_E10value_typeEPSM_NS1_7vsmem_tEENKUlT_SK_SL_SM_E_clISE_PxSF_SF_EESJ_SZ_SK_SL_SM_EUlSZ_E_NS1_11comp_targetILNS1_3genE0ELNS1_11target_archE4294967295ELNS1_3gpuE0ELNS1_3repE0EEENS1_48merge_mergepath_partition_config_static_selectorELNS0_4arch9wavefront6targetE1EEEvSL_
; %bb.0:
	.section	.rodata,"a",@progbits
	.p2align	6, 0x0
	.amdhsa_kernel _ZN7rocprim17ROCPRIM_400000_NS6detail17trampoline_kernelINS0_14default_configENS1_38merge_sort_block_merge_config_selectorIxNS0_10empty_typeEEEZZNS1_27merge_sort_block_merge_implIS3_N6thrust23THRUST_200600_302600_NS6detail15normal_iteratorINS9_10device_ptrIxEEEEPS5_jNS1_19radix_merge_compareILb0ELb0ExNS0_19identity_decomposerEEEEE10hipError_tT0_T1_T2_jT3_P12ihipStream_tbPNSt15iterator_traitsISK_E10value_typeEPNSQ_ISL_E10value_typeEPSM_NS1_7vsmem_tEENKUlT_SK_SL_SM_E_clISE_PxSF_SF_EESJ_SZ_SK_SL_SM_EUlSZ_E_NS1_11comp_targetILNS1_3genE0ELNS1_11target_archE4294967295ELNS1_3gpuE0ELNS1_3repE0EEENS1_48merge_mergepath_partition_config_static_selectorELNS0_4arch9wavefront6targetE1EEEvSL_
		.amdhsa_group_segment_fixed_size 0
		.amdhsa_private_segment_fixed_size 0
		.amdhsa_kernarg_size 40
		.amdhsa_user_sgpr_count 6
		.amdhsa_user_sgpr_private_segment_buffer 1
		.amdhsa_user_sgpr_dispatch_ptr 0
		.amdhsa_user_sgpr_queue_ptr 0
		.amdhsa_user_sgpr_kernarg_segment_ptr 1
		.amdhsa_user_sgpr_dispatch_id 0
		.amdhsa_user_sgpr_flat_scratch_init 0
		.amdhsa_user_sgpr_kernarg_preload_length 0
		.amdhsa_user_sgpr_kernarg_preload_offset 0
		.amdhsa_user_sgpr_private_segment_size 0
		.amdhsa_uses_dynamic_stack 0
		.amdhsa_system_sgpr_private_segment_wavefront_offset 0
		.amdhsa_system_sgpr_workgroup_id_x 1
		.amdhsa_system_sgpr_workgroup_id_y 0
		.amdhsa_system_sgpr_workgroup_id_z 0
		.amdhsa_system_sgpr_workgroup_info 0
		.amdhsa_system_vgpr_workitem_id 0
		.amdhsa_next_free_vgpr 1
		.amdhsa_next_free_sgpr 0
		.amdhsa_accum_offset 4
		.amdhsa_reserve_vcc 0
		.amdhsa_reserve_flat_scratch 0
		.amdhsa_float_round_mode_32 0
		.amdhsa_float_round_mode_16_64 0
		.amdhsa_float_denorm_mode_32 3
		.amdhsa_float_denorm_mode_16_64 3
		.amdhsa_dx10_clamp 1
		.amdhsa_ieee_mode 1
		.amdhsa_fp16_overflow 0
		.amdhsa_tg_split 0
		.amdhsa_exception_fp_ieee_invalid_op 0
		.amdhsa_exception_fp_denorm_src 0
		.amdhsa_exception_fp_ieee_div_zero 0
		.amdhsa_exception_fp_ieee_overflow 0
		.amdhsa_exception_fp_ieee_underflow 0
		.amdhsa_exception_fp_ieee_inexact 0
		.amdhsa_exception_int_div_zero 0
	.end_amdhsa_kernel
	.section	.text._ZN7rocprim17ROCPRIM_400000_NS6detail17trampoline_kernelINS0_14default_configENS1_38merge_sort_block_merge_config_selectorIxNS0_10empty_typeEEEZZNS1_27merge_sort_block_merge_implIS3_N6thrust23THRUST_200600_302600_NS6detail15normal_iteratorINS9_10device_ptrIxEEEEPS5_jNS1_19radix_merge_compareILb0ELb0ExNS0_19identity_decomposerEEEEE10hipError_tT0_T1_T2_jT3_P12ihipStream_tbPNSt15iterator_traitsISK_E10value_typeEPNSQ_ISL_E10value_typeEPSM_NS1_7vsmem_tEENKUlT_SK_SL_SM_E_clISE_PxSF_SF_EESJ_SZ_SK_SL_SM_EUlSZ_E_NS1_11comp_targetILNS1_3genE0ELNS1_11target_archE4294967295ELNS1_3gpuE0ELNS1_3repE0EEENS1_48merge_mergepath_partition_config_static_selectorELNS0_4arch9wavefront6targetE1EEEvSL_,"axG",@progbits,_ZN7rocprim17ROCPRIM_400000_NS6detail17trampoline_kernelINS0_14default_configENS1_38merge_sort_block_merge_config_selectorIxNS0_10empty_typeEEEZZNS1_27merge_sort_block_merge_implIS3_N6thrust23THRUST_200600_302600_NS6detail15normal_iteratorINS9_10device_ptrIxEEEEPS5_jNS1_19radix_merge_compareILb0ELb0ExNS0_19identity_decomposerEEEEE10hipError_tT0_T1_T2_jT3_P12ihipStream_tbPNSt15iterator_traitsISK_E10value_typeEPNSQ_ISL_E10value_typeEPSM_NS1_7vsmem_tEENKUlT_SK_SL_SM_E_clISE_PxSF_SF_EESJ_SZ_SK_SL_SM_EUlSZ_E_NS1_11comp_targetILNS1_3genE0ELNS1_11target_archE4294967295ELNS1_3gpuE0ELNS1_3repE0EEENS1_48merge_mergepath_partition_config_static_selectorELNS0_4arch9wavefront6targetE1EEEvSL_,comdat
.Lfunc_end1434:
	.size	_ZN7rocprim17ROCPRIM_400000_NS6detail17trampoline_kernelINS0_14default_configENS1_38merge_sort_block_merge_config_selectorIxNS0_10empty_typeEEEZZNS1_27merge_sort_block_merge_implIS3_N6thrust23THRUST_200600_302600_NS6detail15normal_iteratorINS9_10device_ptrIxEEEEPS5_jNS1_19radix_merge_compareILb0ELb0ExNS0_19identity_decomposerEEEEE10hipError_tT0_T1_T2_jT3_P12ihipStream_tbPNSt15iterator_traitsISK_E10value_typeEPNSQ_ISL_E10value_typeEPSM_NS1_7vsmem_tEENKUlT_SK_SL_SM_E_clISE_PxSF_SF_EESJ_SZ_SK_SL_SM_EUlSZ_E_NS1_11comp_targetILNS1_3genE0ELNS1_11target_archE4294967295ELNS1_3gpuE0ELNS1_3repE0EEENS1_48merge_mergepath_partition_config_static_selectorELNS0_4arch9wavefront6targetE1EEEvSL_, .Lfunc_end1434-_ZN7rocprim17ROCPRIM_400000_NS6detail17trampoline_kernelINS0_14default_configENS1_38merge_sort_block_merge_config_selectorIxNS0_10empty_typeEEEZZNS1_27merge_sort_block_merge_implIS3_N6thrust23THRUST_200600_302600_NS6detail15normal_iteratorINS9_10device_ptrIxEEEEPS5_jNS1_19radix_merge_compareILb0ELb0ExNS0_19identity_decomposerEEEEE10hipError_tT0_T1_T2_jT3_P12ihipStream_tbPNSt15iterator_traitsISK_E10value_typeEPNSQ_ISL_E10value_typeEPSM_NS1_7vsmem_tEENKUlT_SK_SL_SM_E_clISE_PxSF_SF_EESJ_SZ_SK_SL_SM_EUlSZ_E_NS1_11comp_targetILNS1_3genE0ELNS1_11target_archE4294967295ELNS1_3gpuE0ELNS1_3repE0EEENS1_48merge_mergepath_partition_config_static_selectorELNS0_4arch9wavefront6targetE1EEEvSL_
                                        ; -- End function
	.section	.AMDGPU.csdata,"",@progbits
; Kernel info:
; codeLenInByte = 0
; NumSgprs: 4
; NumVgprs: 0
; NumAgprs: 0
; TotalNumVgprs: 0
; ScratchSize: 0
; MemoryBound: 0
; FloatMode: 240
; IeeeMode: 1
; LDSByteSize: 0 bytes/workgroup (compile time only)
; SGPRBlocks: 0
; VGPRBlocks: 0
; NumSGPRsForWavesPerEU: 4
; NumVGPRsForWavesPerEU: 1
; AccumOffset: 4
; Occupancy: 8
; WaveLimiterHint : 0
; COMPUTE_PGM_RSRC2:SCRATCH_EN: 0
; COMPUTE_PGM_RSRC2:USER_SGPR: 6
; COMPUTE_PGM_RSRC2:TRAP_HANDLER: 0
; COMPUTE_PGM_RSRC2:TGID_X_EN: 1
; COMPUTE_PGM_RSRC2:TGID_Y_EN: 0
; COMPUTE_PGM_RSRC2:TGID_Z_EN: 0
; COMPUTE_PGM_RSRC2:TIDIG_COMP_CNT: 0
; COMPUTE_PGM_RSRC3_GFX90A:ACCUM_OFFSET: 0
; COMPUTE_PGM_RSRC3_GFX90A:TG_SPLIT: 0
	.section	.text._ZN7rocprim17ROCPRIM_400000_NS6detail17trampoline_kernelINS0_14default_configENS1_38merge_sort_block_merge_config_selectorIxNS0_10empty_typeEEEZZNS1_27merge_sort_block_merge_implIS3_N6thrust23THRUST_200600_302600_NS6detail15normal_iteratorINS9_10device_ptrIxEEEEPS5_jNS1_19radix_merge_compareILb0ELb0ExNS0_19identity_decomposerEEEEE10hipError_tT0_T1_T2_jT3_P12ihipStream_tbPNSt15iterator_traitsISK_E10value_typeEPNSQ_ISL_E10value_typeEPSM_NS1_7vsmem_tEENKUlT_SK_SL_SM_E_clISE_PxSF_SF_EESJ_SZ_SK_SL_SM_EUlSZ_E_NS1_11comp_targetILNS1_3genE10ELNS1_11target_archE1201ELNS1_3gpuE5ELNS1_3repE0EEENS1_48merge_mergepath_partition_config_static_selectorELNS0_4arch9wavefront6targetE1EEEvSL_,"axG",@progbits,_ZN7rocprim17ROCPRIM_400000_NS6detail17trampoline_kernelINS0_14default_configENS1_38merge_sort_block_merge_config_selectorIxNS0_10empty_typeEEEZZNS1_27merge_sort_block_merge_implIS3_N6thrust23THRUST_200600_302600_NS6detail15normal_iteratorINS9_10device_ptrIxEEEEPS5_jNS1_19radix_merge_compareILb0ELb0ExNS0_19identity_decomposerEEEEE10hipError_tT0_T1_T2_jT3_P12ihipStream_tbPNSt15iterator_traitsISK_E10value_typeEPNSQ_ISL_E10value_typeEPSM_NS1_7vsmem_tEENKUlT_SK_SL_SM_E_clISE_PxSF_SF_EESJ_SZ_SK_SL_SM_EUlSZ_E_NS1_11comp_targetILNS1_3genE10ELNS1_11target_archE1201ELNS1_3gpuE5ELNS1_3repE0EEENS1_48merge_mergepath_partition_config_static_selectorELNS0_4arch9wavefront6targetE1EEEvSL_,comdat
	.protected	_ZN7rocprim17ROCPRIM_400000_NS6detail17trampoline_kernelINS0_14default_configENS1_38merge_sort_block_merge_config_selectorIxNS0_10empty_typeEEEZZNS1_27merge_sort_block_merge_implIS3_N6thrust23THRUST_200600_302600_NS6detail15normal_iteratorINS9_10device_ptrIxEEEEPS5_jNS1_19radix_merge_compareILb0ELb0ExNS0_19identity_decomposerEEEEE10hipError_tT0_T1_T2_jT3_P12ihipStream_tbPNSt15iterator_traitsISK_E10value_typeEPNSQ_ISL_E10value_typeEPSM_NS1_7vsmem_tEENKUlT_SK_SL_SM_E_clISE_PxSF_SF_EESJ_SZ_SK_SL_SM_EUlSZ_E_NS1_11comp_targetILNS1_3genE10ELNS1_11target_archE1201ELNS1_3gpuE5ELNS1_3repE0EEENS1_48merge_mergepath_partition_config_static_selectorELNS0_4arch9wavefront6targetE1EEEvSL_ ; -- Begin function _ZN7rocprim17ROCPRIM_400000_NS6detail17trampoline_kernelINS0_14default_configENS1_38merge_sort_block_merge_config_selectorIxNS0_10empty_typeEEEZZNS1_27merge_sort_block_merge_implIS3_N6thrust23THRUST_200600_302600_NS6detail15normal_iteratorINS9_10device_ptrIxEEEEPS5_jNS1_19radix_merge_compareILb0ELb0ExNS0_19identity_decomposerEEEEE10hipError_tT0_T1_T2_jT3_P12ihipStream_tbPNSt15iterator_traitsISK_E10value_typeEPNSQ_ISL_E10value_typeEPSM_NS1_7vsmem_tEENKUlT_SK_SL_SM_E_clISE_PxSF_SF_EESJ_SZ_SK_SL_SM_EUlSZ_E_NS1_11comp_targetILNS1_3genE10ELNS1_11target_archE1201ELNS1_3gpuE5ELNS1_3repE0EEENS1_48merge_mergepath_partition_config_static_selectorELNS0_4arch9wavefront6targetE1EEEvSL_
	.globl	_ZN7rocprim17ROCPRIM_400000_NS6detail17trampoline_kernelINS0_14default_configENS1_38merge_sort_block_merge_config_selectorIxNS0_10empty_typeEEEZZNS1_27merge_sort_block_merge_implIS3_N6thrust23THRUST_200600_302600_NS6detail15normal_iteratorINS9_10device_ptrIxEEEEPS5_jNS1_19radix_merge_compareILb0ELb0ExNS0_19identity_decomposerEEEEE10hipError_tT0_T1_T2_jT3_P12ihipStream_tbPNSt15iterator_traitsISK_E10value_typeEPNSQ_ISL_E10value_typeEPSM_NS1_7vsmem_tEENKUlT_SK_SL_SM_E_clISE_PxSF_SF_EESJ_SZ_SK_SL_SM_EUlSZ_E_NS1_11comp_targetILNS1_3genE10ELNS1_11target_archE1201ELNS1_3gpuE5ELNS1_3repE0EEENS1_48merge_mergepath_partition_config_static_selectorELNS0_4arch9wavefront6targetE1EEEvSL_
	.p2align	8
	.type	_ZN7rocprim17ROCPRIM_400000_NS6detail17trampoline_kernelINS0_14default_configENS1_38merge_sort_block_merge_config_selectorIxNS0_10empty_typeEEEZZNS1_27merge_sort_block_merge_implIS3_N6thrust23THRUST_200600_302600_NS6detail15normal_iteratorINS9_10device_ptrIxEEEEPS5_jNS1_19radix_merge_compareILb0ELb0ExNS0_19identity_decomposerEEEEE10hipError_tT0_T1_T2_jT3_P12ihipStream_tbPNSt15iterator_traitsISK_E10value_typeEPNSQ_ISL_E10value_typeEPSM_NS1_7vsmem_tEENKUlT_SK_SL_SM_E_clISE_PxSF_SF_EESJ_SZ_SK_SL_SM_EUlSZ_E_NS1_11comp_targetILNS1_3genE10ELNS1_11target_archE1201ELNS1_3gpuE5ELNS1_3repE0EEENS1_48merge_mergepath_partition_config_static_selectorELNS0_4arch9wavefront6targetE1EEEvSL_,@function
_ZN7rocprim17ROCPRIM_400000_NS6detail17trampoline_kernelINS0_14default_configENS1_38merge_sort_block_merge_config_selectorIxNS0_10empty_typeEEEZZNS1_27merge_sort_block_merge_implIS3_N6thrust23THRUST_200600_302600_NS6detail15normal_iteratorINS9_10device_ptrIxEEEEPS5_jNS1_19radix_merge_compareILb0ELb0ExNS0_19identity_decomposerEEEEE10hipError_tT0_T1_T2_jT3_P12ihipStream_tbPNSt15iterator_traitsISK_E10value_typeEPNSQ_ISL_E10value_typeEPSM_NS1_7vsmem_tEENKUlT_SK_SL_SM_E_clISE_PxSF_SF_EESJ_SZ_SK_SL_SM_EUlSZ_E_NS1_11comp_targetILNS1_3genE10ELNS1_11target_archE1201ELNS1_3gpuE5ELNS1_3repE0EEENS1_48merge_mergepath_partition_config_static_selectorELNS0_4arch9wavefront6targetE1EEEvSL_: ; @_ZN7rocprim17ROCPRIM_400000_NS6detail17trampoline_kernelINS0_14default_configENS1_38merge_sort_block_merge_config_selectorIxNS0_10empty_typeEEEZZNS1_27merge_sort_block_merge_implIS3_N6thrust23THRUST_200600_302600_NS6detail15normal_iteratorINS9_10device_ptrIxEEEEPS5_jNS1_19radix_merge_compareILb0ELb0ExNS0_19identity_decomposerEEEEE10hipError_tT0_T1_T2_jT3_P12ihipStream_tbPNSt15iterator_traitsISK_E10value_typeEPNSQ_ISL_E10value_typeEPSM_NS1_7vsmem_tEENKUlT_SK_SL_SM_E_clISE_PxSF_SF_EESJ_SZ_SK_SL_SM_EUlSZ_E_NS1_11comp_targetILNS1_3genE10ELNS1_11target_archE1201ELNS1_3gpuE5ELNS1_3repE0EEENS1_48merge_mergepath_partition_config_static_selectorELNS0_4arch9wavefront6targetE1EEEvSL_
; %bb.0:
	.section	.rodata,"a",@progbits
	.p2align	6, 0x0
	.amdhsa_kernel _ZN7rocprim17ROCPRIM_400000_NS6detail17trampoline_kernelINS0_14default_configENS1_38merge_sort_block_merge_config_selectorIxNS0_10empty_typeEEEZZNS1_27merge_sort_block_merge_implIS3_N6thrust23THRUST_200600_302600_NS6detail15normal_iteratorINS9_10device_ptrIxEEEEPS5_jNS1_19radix_merge_compareILb0ELb0ExNS0_19identity_decomposerEEEEE10hipError_tT0_T1_T2_jT3_P12ihipStream_tbPNSt15iterator_traitsISK_E10value_typeEPNSQ_ISL_E10value_typeEPSM_NS1_7vsmem_tEENKUlT_SK_SL_SM_E_clISE_PxSF_SF_EESJ_SZ_SK_SL_SM_EUlSZ_E_NS1_11comp_targetILNS1_3genE10ELNS1_11target_archE1201ELNS1_3gpuE5ELNS1_3repE0EEENS1_48merge_mergepath_partition_config_static_selectorELNS0_4arch9wavefront6targetE1EEEvSL_
		.amdhsa_group_segment_fixed_size 0
		.amdhsa_private_segment_fixed_size 0
		.amdhsa_kernarg_size 40
		.amdhsa_user_sgpr_count 6
		.amdhsa_user_sgpr_private_segment_buffer 1
		.amdhsa_user_sgpr_dispatch_ptr 0
		.amdhsa_user_sgpr_queue_ptr 0
		.amdhsa_user_sgpr_kernarg_segment_ptr 1
		.amdhsa_user_sgpr_dispatch_id 0
		.amdhsa_user_sgpr_flat_scratch_init 0
		.amdhsa_user_sgpr_kernarg_preload_length 0
		.amdhsa_user_sgpr_kernarg_preload_offset 0
		.amdhsa_user_sgpr_private_segment_size 0
		.amdhsa_uses_dynamic_stack 0
		.amdhsa_system_sgpr_private_segment_wavefront_offset 0
		.amdhsa_system_sgpr_workgroup_id_x 1
		.amdhsa_system_sgpr_workgroup_id_y 0
		.amdhsa_system_sgpr_workgroup_id_z 0
		.amdhsa_system_sgpr_workgroup_info 0
		.amdhsa_system_vgpr_workitem_id 0
		.amdhsa_next_free_vgpr 1
		.amdhsa_next_free_sgpr 0
		.amdhsa_accum_offset 4
		.amdhsa_reserve_vcc 0
		.amdhsa_reserve_flat_scratch 0
		.amdhsa_float_round_mode_32 0
		.amdhsa_float_round_mode_16_64 0
		.amdhsa_float_denorm_mode_32 3
		.amdhsa_float_denorm_mode_16_64 3
		.amdhsa_dx10_clamp 1
		.amdhsa_ieee_mode 1
		.amdhsa_fp16_overflow 0
		.amdhsa_tg_split 0
		.amdhsa_exception_fp_ieee_invalid_op 0
		.amdhsa_exception_fp_denorm_src 0
		.amdhsa_exception_fp_ieee_div_zero 0
		.amdhsa_exception_fp_ieee_overflow 0
		.amdhsa_exception_fp_ieee_underflow 0
		.amdhsa_exception_fp_ieee_inexact 0
		.amdhsa_exception_int_div_zero 0
	.end_amdhsa_kernel
	.section	.text._ZN7rocprim17ROCPRIM_400000_NS6detail17trampoline_kernelINS0_14default_configENS1_38merge_sort_block_merge_config_selectorIxNS0_10empty_typeEEEZZNS1_27merge_sort_block_merge_implIS3_N6thrust23THRUST_200600_302600_NS6detail15normal_iteratorINS9_10device_ptrIxEEEEPS5_jNS1_19radix_merge_compareILb0ELb0ExNS0_19identity_decomposerEEEEE10hipError_tT0_T1_T2_jT3_P12ihipStream_tbPNSt15iterator_traitsISK_E10value_typeEPNSQ_ISL_E10value_typeEPSM_NS1_7vsmem_tEENKUlT_SK_SL_SM_E_clISE_PxSF_SF_EESJ_SZ_SK_SL_SM_EUlSZ_E_NS1_11comp_targetILNS1_3genE10ELNS1_11target_archE1201ELNS1_3gpuE5ELNS1_3repE0EEENS1_48merge_mergepath_partition_config_static_selectorELNS0_4arch9wavefront6targetE1EEEvSL_,"axG",@progbits,_ZN7rocprim17ROCPRIM_400000_NS6detail17trampoline_kernelINS0_14default_configENS1_38merge_sort_block_merge_config_selectorIxNS0_10empty_typeEEEZZNS1_27merge_sort_block_merge_implIS3_N6thrust23THRUST_200600_302600_NS6detail15normal_iteratorINS9_10device_ptrIxEEEEPS5_jNS1_19radix_merge_compareILb0ELb0ExNS0_19identity_decomposerEEEEE10hipError_tT0_T1_T2_jT3_P12ihipStream_tbPNSt15iterator_traitsISK_E10value_typeEPNSQ_ISL_E10value_typeEPSM_NS1_7vsmem_tEENKUlT_SK_SL_SM_E_clISE_PxSF_SF_EESJ_SZ_SK_SL_SM_EUlSZ_E_NS1_11comp_targetILNS1_3genE10ELNS1_11target_archE1201ELNS1_3gpuE5ELNS1_3repE0EEENS1_48merge_mergepath_partition_config_static_selectorELNS0_4arch9wavefront6targetE1EEEvSL_,comdat
.Lfunc_end1435:
	.size	_ZN7rocprim17ROCPRIM_400000_NS6detail17trampoline_kernelINS0_14default_configENS1_38merge_sort_block_merge_config_selectorIxNS0_10empty_typeEEEZZNS1_27merge_sort_block_merge_implIS3_N6thrust23THRUST_200600_302600_NS6detail15normal_iteratorINS9_10device_ptrIxEEEEPS5_jNS1_19radix_merge_compareILb0ELb0ExNS0_19identity_decomposerEEEEE10hipError_tT0_T1_T2_jT3_P12ihipStream_tbPNSt15iterator_traitsISK_E10value_typeEPNSQ_ISL_E10value_typeEPSM_NS1_7vsmem_tEENKUlT_SK_SL_SM_E_clISE_PxSF_SF_EESJ_SZ_SK_SL_SM_EUlSZ_E_NS1_11comp_targetILNS1_3genE10ELNS1_11target_archE1201ELNS1_3gpuE5ELNS1_3repE0EEENS1_48merge_mergepath_partition_config_static_selectorELNS0_4arch9wavefront6targetE1EEEvSL_, .Lfunc_end1435-_ZN7rocprim17ROCPRIM_400000_NS6detail17trampoline_kernelINS0_14default_configENS1_38merge_sort_block_merge_config_selectorIxNS0_10empty_typeEEEZZNS1_27merge_sort_block_merge_implIS3_N6thrust23THRUST_200600_302600_NS6detail15normal_iteratorINS9_10device_ptrIxEEEEPS5_jNS1_19radix_merge_compareILb0ELb0ExNS0_19identity_decomposerEEEEE10hipError_tT0_T1_T2_jT3_P12ihipStream_tbPNSt15iterator_traitsISK_E10value_typeEPNSQ_ISL_E10value_typeEPSM_NS1_7vsmem_tEENKUlT_SK_SL_SM_E_clISE_PxSF_SF_EESJ_SZ_SK_SL_SM_EUlSZ_E_NS1_11comp_targetILNS1_3genE10ELNS1_11target_archE1201ELNS1_3gpuE5ELNS1_3repE0EEENS1_48merge_mergepath_partition_config_static_selectorELNS0_4arch9wavefront6targetE1EEEvSL_
                                        ; -- End function
	.section	.AMDGPU.csdata,"",@progbits
; Kernel info:
; codeLenInByte = 0
; NumSgprs: 4
; NumVgprs: 0
; NumAgprs: 0
; TotalNumVgprs: 0
; ScratchSize: 0
; MemoryBound: 0
; FloatMode: 240
; IeeeMode: 1
; LDSByteSize: 0 bytes/workgroup (compile time only)
; SGPRBlocks: 0
; VGPRBlocks: 0
; NumSGPRsForWavesPerEU: 4
; NumVGPRsForWavesPerEU: 1
; AccumOffset: 4
; Occupancy: 8
; WaveLimiterHint : 0
; COMPUTE_PGM_RSRC2:SCRATCH_EN: 0
; COMPUTE_PGM_RSRC2:USER_SGPR: 6
; COMPUTE_PGM_RSRC2:TRAP_HANDLER: 0
; COMPUTE_PGM_RSRC2:TGID_X_EN: 1
; COMPUTE_PGM_RSRC2:TGID_Y_EN: 0
; COMPUTE_PGM_RSRC2:TGID_Z_EN: 0
; COMPUTE_PGM_RSRC2:TIDIG_COMP_CNT: 0
; COMPUTE_PGM_RSRC3_GFX90A:ACCUM_OFFSET: 0
; COMPUTE_PGM_RSRC3_GFX90A:TG_SPLIT: 0
	.section	.text._ZN7rocprim17ROCPRIM_400000_NS6detail17trampoline_kernelINS0_14default_configENS1_38merge_sort_block_merge_config_selectorIxNS0_10empty_typeEEEZZNS1_27merge_sort_block_merge_implIS3_N6thrust23THRUST_200600_302600_NS6detail15normal_iteratorINS9_10device_ptrIxEEEEPS5_jNS1_19radix_merge_compareILb0ELb0ExNS0_19identity_decomposerEEEEE10hipError_tT0_T1_T2_jT3_P12ihipStream_tbPNSt15iterator_traitsISK_E10value_typeEPNSQ_ISL_E10value_typeEPSM_NS1_7vsmem_tEENKUlT_SK_SL_SM_E_clISE_PxSF_SF_EESJ_SZ_SK_SL_SM_EUlSZ_E_NS1_11comp_targetILNS1_3genE5ELNS1_11target_archE942ELNS1_3gpuE9ELNS1_3repE0EEENS1_48merge_mergepath_partition_config_static_selectorELNS0_4arch9wavefront6targetE1EEEvSL_,"axG",@progbits,_ZN7rocprim17ROCPRIM_400000_NS6detail17trampoline_kernelINS0_14default_configENS1_38merge_sort_block_merge_config_selectorIxNS0_10empty_typeEEEZZNS1_27merge_sort_block_merge_implIS3_N6thrust23THRUST_200600_302600_NS6detail15normal_iteratorINS9_10device_ptrIxEEEEPS5_jNS1_19radix_merge_compareILb0ELb0ExNS0_19identity_decomposerEEEEE10hipError_tT0_T1_T2_jT3_P12ihipStream_tbPNSt15iterator_traitsISK_E10value_typeEPNSQ_ISL_E10value_typeEPSM_NS1_7vsmem_tEENKUlT_SK_SL_SM_E_clISE_PxSF_SF_EESJ_SZ_SK_SL_SM_EUlSZ_E_NS1_11comp_targetILNS1_3genE5ELNS1_11target_archE942ELNS1_3gpuE9ELNS1_3repE0EEENS1_48merge_mergepath_partition_config_static_selectorELNS0_4arch9wavefront6targetE1EEEvSL_,comdat
	.protected	_ZN7rocprim17ROCPRIM_400000_NS6detail17trampoline_kernelINS0_14default_configENS1_38merge_sort_block_merge_config_selectorIxNS0_10empty_typeEEEZZNS1_27merge_sort_block_merge_implIS3_N6thrust23THRUST_200600_302600_NS6detail15normal_iteratorINS9_10device_ptrIxEEEEPS5_jNS1_19radix_merge_compareILb0ELb0ExNS0_19identity_decomposerEEEEE10hipError_tT0_T1_T2_jT3_P12ihipStream_tbPNSt15iterator_traitsISK_E10value_typeEPNSQ_ISL_E10value_typeEPSM_NS1_7vsmem_tEENKUlT_SK_SL_SM_E_clISE_PxSF_SF_EESJ_SZ_SK_SL_SM_EUlSZ_E_NS1_11comp_targetILNS1_3genE5ELNS1_11target_archE942ELNS1_3gpuE9ELNS1_3repE0EEENS1_48merge_mergepath_partition_config_static_selectorELNS0_4arch9wavefront6targetE1EEEvSL_ ; -- Begin function _ZN7rocprim17ROCPRIM_400000_NS6detail17trampoline_kernelINS0_14default_configENS1_38merge_sort_block_merge_config_selectorIxNS0_10empty_typeEEEZZNS1_27merge_sort_block_merge_implIS3_N6thrust23THRUST_200600_302600_NS6detail15normal_iteratorINS9_10device_ptrIxEEEEPS5_jNS1_19radix_merge_compareILb0ELb0ExNS0_19identity_decomposerEEEEE10hipError_tT0_T1_T2_jT3_P12ihipStream_tbPNSt15iterator_traitsISK_E10value_typeEPNSQ_ISL_E10value_typeEPSM_NS1_7vsmem_tEENKUlT_SK_SL_SM_E_clISE_PxSF_SF_EESJ_SZ_SK_SL_SM_EUlSZ_E_NS1_11comp_targetILNS1_3genE5ELNS1_11target_archE942ELNS1_3gpuE9ELNS1_3repE0EEENS1_48merge_mergepath_partition_config_static_selectorELNS0_4arch9wavefront6targetE1EEEvSL_
	.globl	_ZN7rocprim17ROCPRIM_400000_NS6detail17trampoline_kernelINS0_14default_configENS1_38merge_sort_block_merge_config_selectorIxNS0_10empty_typeEEEZZNS1_27merge_sort_block_merge_implIS3_N6thrust23THRUST_200600_302600_NS6detail15normal_iteratorINS9_10device_ptrIxEEEEPS5_jNS1_19radix_merge_compareILb0ELb0ExNS0_19identity_decomposerEEEEE10hipError_tT0_T1_T2_jT3_P12ihipStream_tbPNSt15iterator_traitsISK_E10value_typeEPNSQ_ISL_E10value_typeEPSM_NS1_7vsmem_tEENKUlT_SK_SL_SM_E_clISE_PxSF_SF_EESJ_SZ_SK_SL_SM_EUlSZ_E_NS1_11comp_targetILNS1_3genE5ELNS1_11target_archE942ELNS1_3gpuE9ELNS1_3repE0EEENS1_48merge_mergepath_partition_config_static_selectorELNS0_4arch9wavefront6targetE1EEEvSL_
	.p2align	8
	.type	_ZN7rocprim17ROCPRIM_400000_NS6detail17trampoline_kernelINS0_14default_configENS1_38merge_sort_block_merge_config_selectorIxNS0_10empty_typeEEEZZNS1_27merge_sort_block_merge_implIS3_N6thrust23THRUST_200600_302600_NS6detail15normal_iteratorINS9_10device_ptrIxEEEEPS5_jNS1_19radix_merge_compareILb0ELb0ExNS0_19identity_decomposerEEEEE10hipError_tT0_T1_T2_jT3_P12ihipStream_tbPNSt15iterator_traitsISK_E10value_typeEPNSQ_ISL_E10value_typeEPSM_NS1_7vsmem_tEENKUlT_SK_SL_SM_E_clISE_PxSF_SF_EESJ_SZ_SK_SL_SM_EUlSZ_E_NS1_11comp_targetILNS1_3genE5ELNS1_11target_archE942ELNS1_3gpuE9ELNS1_3repE0EEENS1_48merge_mergepath_partition_config_static_selectorELNS0_4arch9wavefront6targetE1EEEvSL_,@function
_ZN7rocprim17ROCPRIM_400000_NS6detail17trampoline_kernelINS0_14default_configENS1_38merge_sort_block_merge_config_selectorIxNS0_10empty_typeEEEZZNS1_27merge_sort_block_merge_implIS3_N6thrust23THRUST_200600_302600_NS6detail15normal_iteratorINS9_10device_ptrIxEEEEPS5_jNS1_19radix_merge_compareILb0ELb0ExNS0_19identity_decomposerEEEEE10hipError_tT0_T1_T2_jT3_P12ihipStream_tbPNSt15iterator_traitsISK_E10value_typeEPNSQ_ISL_E10value_typeEPSM_NS1_7vsmem_tEENKUlT_SK_SL_SM_E_clISE_PxSF_SF_EESJ_SZ_SK_SL_SM_EUlSZ_E_NS1_11comp_targetILNS1_3genE5ELNS1_11target_archE942ELNS1_3gpuE9ELNS1_3repE0EEENS1_48merge_mergepath_partition_config_static_selectorELNS0_4arch9wavefront6targetE1EEEvSL_: ; @_ZN7rocprim17ROCPRIM_400000_NS6detail17trampoline_kernelINS0_14default_configENS1_38merge_sort_block_merge_config_selectorIxNS0_10empty_typeEEEZZNS1_27merge_sort_block_merge_implIS3_N6thrust23THRUST_200600_302600_NS6detail15normal_iteratorINS9_10device_ptrIxEEEEPS5_jNS1_19radix_merge_compareILb0ELb0ExNS0_19identity_decomposerEEEEE10hipError_tT0_T1_T2_jT3_P12ihipStream_tbPNSt15iterator_traitsISK_E10value_typeEPNSQ_ISL_E10value_typeEPSM_NS1_7vsmem_tEENKUlT_SK_SL_SM_E_clISE_PxSF_SF_EESJ_SZ_SK_SL_SM_EUlSZ_E_NS1_11comp_targetILNS1_3genE5ELNS1_11target_archE942ELNS1_3gpuE9ELNS1_3repE0EEENS1_48merge_mergepath_partition_config_static_selectorELNS0_4arch9wavefront6targetE1EEEvSL_
; %bb.0:
	.section	.rodata,"a",@progbits
	.p2align	6, 0x0
	.amdhsa_kernel _ZN7rocprim17ROCPRIM_400000_NS6detail17trampoline_kernelINS0_14default_configENS1_38merge_sort_block_merge_config_selectorIxNS0_10empty_typeEEEZZNS1_27merge_sort_block_merge_implIS3_N6thrust23THRUST_200600_302600_NS6detail15normal_iteratorINS9_10device_ptrIxEEEEPS5_jNS1_19radix_merge_compareILb0ELb0ExNS0_19identity_decomposerEEEEE10hipError_tT0_T1_T2_jT3_P12ihipStream_tbPNSt15iterator_traitsISK_E10value_typeEPNSQ_ISL_E10value_typeEPSM_NS1_7vsmem_tEENKUlT_SK_SL_SM_E_clISE_PxSF_SF_EESJ_SZ_SK_SL_SM_EUlSZ_E_NS1_11comp_targetILNS1_3genE5ELNS1_11target_archE942ELNS1_3gpuE9ELNS1_3repE0EEENS1_48merge_mergepath_partition_config_static_selectorELNS0_4arch9wavefront6targetE1EEEvSL_
		.amdhsa_group_segment_fixed_size 0
		.amdhsa_private_segment_fixed_size 0
		.amdhsa_kernarg_size 40
		.amdhsa_user_sgpr_count 6
		.amdhsa_user_sgpr_private_segment_buffer 1
		.amdhsa_user_sgpr_dispatch_ptr 0
		.amdhsa_user_sgpr_queue_ptr 0
		.amdhsa_user_sgpr_kernarg_segment_ptr 1
		.amdhsa_user_sgpr_dispatch_id 0
		.amdhsa_user_sgpr_flat_scratch_init 0
		.amdhsa_user_sgpr_kernarg_preload_length 0
		.amdhsa_user_sgpr_kernarg_preload_offset 0
		.amdhsa_user_sgpr_private_segment_size 0
		.amdhsa_uses_dynamic_stack 0
		.amdhsa_system_sgpr_private_segment_wavefront_offset 0
		.amdhsa_system_sgpr_workgroup_id_x 1
		.amdhsa_system_sgpr_workgroup_id_y 0
		.amdhsa_system_sgpr_workgroup_id_z 0
		.amdhsa_system_sgpr_workgroup_info 0
		.amdhsa_system_vgpr_workitem_id 0
		.amdhsa_next_free_vgpr 1
		.amdhsa_next_free_sgpr 0
		.amdhsa_accum_offset 4
		.amdhsa_reserve_vcc 0
		.amdhsa_reserve_flat_scratch 0
		.amdhsa_float_round_mode_32 0
		.amdhsa_float_round_mode_16_64 0
		.amdhsa_float_denorm_mode_32 3
		.amdhsa_float_denorm_mode_16_64 3
		.amdhsa_dx10_clamp 1
		.amdhsa_ieee_mode 1
		.amdhsa_fp16_overflow 0
		.amdhsa_tg_split 0
		.amdhsa_exception_fp_ieee_invalid_op 0
		.amdhsa_exception_fp_denorm_src 0
		.amdhsa_exception_fp_ieee_div_zero 0
		.amdhsa_exception_fp_ieee_overflow 0
		.amdhsa_exception_fp_ieee_underflow 0
		.amdhsa_exception_fp_ieee_inexact 0
		.amdhsa_exception_int_div_zero 0
	.end_amdhsa_kernel
	.section	.text._ZN7rocprim17ROCPRIM_400000_NS6detail17trampoline_kernelINS0_14default_configENS1_38merge_sort_block_merge_config_selectorIxNS0_10empty_typeEEEZZNS1_27merge_sort_block_merge_implIS3_N6thrust23THRUST_200600_302600_NS6detail15normal_iteratorINS9_10device_ptrIxEEEEPS5_jNS1_19radix_merge_compareILb0ELb0ExNS0_19identity_decomposerEEEEE10hipError_tT0_T1_T2_jT3_P12ihipStream_tbPNSt15iterator_traitsISK_E10value_typeEPNSQ_ISL_E10value_typeEPSM_NS1_7vsmem_tEENKUlT_SK_SL_SM_E_clISE_PxSF_SF_EESJ_SZ_SK_SL_SM_EUlSZ_E_NS1_11comp_targetILNS1_3genE5ELNS1_11target_archE942ELNS1_3gpuE9ELNS1_3repE0EEENS1_48merge_mergepath_partition_config_static_selectorELNS0_4arch9wavefront6targetE1EEEvSL_,"axG",@progbits,_ZN7rocprim17ROCPRIM_400000_NS6detail17trampoline_kernelINS0_14default_configENS1_38merge_sort_block_merge_config_selectorIxNS0_10empty_typeEEEZZNS1_27merge_sort_block_merge_implIS3_N6thrust23THRUST_200600_302600_NS6detail15normal_iteratorINS9_10device_ptrIxEEEEPS5_jNS1_19radix_merge_compareILb0ELb0ExNS0_19identity_decomposerEEEEE10hipError_tT0_T1_T2_jT3_P12ihipStream_tbPNSt15iterator_traitsISK_E10value_typeEPNSQ_ISL_E10value_typeEPSM_NS1_7vsmem_tEENKUlT_SK_SL_SM_E_clISE_PxSF_SF_EESJ_SZ_SK_SL_SM_EUlSZ_E_NS1_11comp_targetILNS1_3genE5ELNS1_11target_archE942ELNS1_3gpuE9ELNS1_3repE0EEENS1_48merge_mergepath_partition_config_static_selectorELNS0_4arch9wavefront6targetE1EEEvSL_,comdat
.Lfunc_end1436:
	.size	_ZN7rocprim17ROCPRIM_400000_NS6detail17trampoline_kernelINS0_14default_configENS1_38merge_sort_block_merge_config_selectorIxNS0_10empty_typeEEEZZNS1_27merge_sort_block_merge_implIS3_N6thrust23THRUST_200600_302600_NS6detail15normal_iteratorINS9_10device_ptrIxEEEEPS5_jNS1_19radix_merge_compareILb0ELb0ExNS0_19identity_decomposerEEEEE10hipError_tT0_T1_T2_jT3_P12ihipStream_tbPNSt15iterator_traitsISK_E10value_typeEPNSQ_ISL_E10value_typeEPSM_NS1_7vsmem_tEENKUlT_SK_SL_SM_E_clISE_PxSF_SF_EESJ_SZ_SK_SL_SM_EUlSZ_E_NS1_11comp_targetILNS1_3genE5ELNS1_11target_archE942ELNS1_3gpuE9ELNS1_3repE0EEENS1_48merge_mergepath_partition_config_static_selectorELNS0_4arch9wavefront6targetE1EEEvSL_, .Lfunc_end1436-_ZN7rocprim17ROCPRIM_400000_NS6detail17trampoline_kernelINS0_14default_configENS1_38merge_sort_block_merge_config_selectorIxNS0_10empty_typeEEEZZNS1_27merge_sort_block_merge_implIS3_N6thrust23THRUST_200600_302600_NS6detail15normal_iteratorINS9_10device_ptrIxEEEEPS5_jNS1_19radix_merge_compareILb0ELb0ExNS0_19identity_decomposerEEEEE10hipError_tT0_T1_T2_jT3_P12ihipStream_tbPNSt15iterator_traitsISK_E10value_typeEPNSQ_ISL_E10value_typeEPSM_NS1_7vsmem_tEENKUlT_SK_SL_SM_E_clISE_PxSF_SF_EESJ_SZ_SK_SL_SM_EUlSZ_E_NS1_11comp_targetILNS1_3genE5ELNS1_11target_archE942ELNS1_3gpuE9ELNS1_3repE0EEENS1_48merge_mergepath_partition_config_static_selectorELNS0_4arch9wavefront6targetE1EEEvSL_
                                        ; -- End function
	.section	.AMDGPU.csdata,"",@progbits
; Kernel info:
; codeLenInByte = 0
; NumSgprs: 4
; NumVgprs: 0
; NumAgprs: 0
; TotalNumVgprs: 0
; ScratchSize: 0
; MemoryBound: 0
; FloatMode: 240
; IeeeMode: 1
; LDSByteSize: 0 bytes/workgroup (compile time only)
; SGPRBlocks: 0
; VGPRBlocks: 0
; NumSGPRsForWavesPerEU: 4
; NumVGPRsForWavesPerEU: 1
; AccumOffset: 4
; Occupancy: 8
; WaveLimiterHint : 0
; COMPUTE_PGM_RSRC2:SCRATCH_EN: 0
; COMPUTE_PGM_RSRC2:USER_SGPR: 6
; COMPUTE_PGM_RSRC2:TRAP_HANDLER: 0
; COMPUTE_PGM_RSRC2:TGID_X_EN: 1
; COMPUTE_PGM_RSRC2:TGID_Y_EN: 0
; COMPUTE_PGM_RSRC2:TGID_Z_EN: 0
; COMPUTE_PGM_RSRC2:TIDIG_COMP_CNT: 0
; COMPUTE_PGM_RSRC3_GFX90A:ACCUM_OFFSET: 0
; COMPUTE_PGM_RSRC3_GFX90A:TG_SPLIT: 0
	.section	.text._ZN7rocprim17ROCPRIM_400000_NS6detail17trampoline_kernelINS0_14default_configENS1_38merge_sort_block_merge_config_selectorIxNS0_10empty_typeEEEZZNS1_27merge_sort_block_merge_implIS3_N6thrust23THRUST_200600_302600_NS6detail15normal_iteratorINS9_10device_ptrIxEEEEPS5_jNS1_19radix_merge_compareILb0ELb0ExNS0_19identity_decomposerEEEEE10hipError_tT0_T1_T2_jT3_P12ihipStream_tbPNSt15iterator_traitsISK_E10value_typeEPNSQ_ISL_E10value_typeEPSM_NS1_7vsmem_tEENKUlT_SK_SL_SM_E_clISE_PxSF_SF_EESJ_SZ_SK_SL_SM_EUlSZ_E_NS1_11comp_targetILNS1_3genE4ELNS1_11target_archE910ELNS1_3gpuE8ELNS1_3repE0EEENS1_48merge_mergepath_partition_config_static_selectorELNS0_4arch9wavefront6targetE1EEEvSL_,"axG",@progbits,_ZN7rocprim17ROCPRIM_400000_NS6detail17trampoline_kernelINS0_14default_configENS1_38merge_sort_block_merge_config_selectorIxNS0_10empty_typeEEEZZNS1_27merge_sort_block_merge_implIS3_N6thrust23THRUST_200600_302600_NS6detail15normal_iteratorINS9_10device_ptrIxEEEEPS5_jNS1_19radix_merge_compareILb0ELb0ExNS0_19identity_decomposerEEEEE10hipError_tT0_T1_T2_jT3_P12ihipStream_tbPNSt15iterator_traitsISK_E10value_typeEPNSQ_ISL_E10value_typeEPSM_NS1_7vsmem_tEENKUlT_SK_SL_SM_E_clISE_PxSF_SF_EESJ_SZ_SK_SL_SM_EUlSZ_E_NS1_11comp_targetILNS1_3genE4ELNS1_11target_archE910ELNS1_3gpuE8ELNS1_3repE0EEENS1_48merge_mergepath_partition_config_static_selectorELNS0_4arch9wavefront6targetE1EEEvSL_,comdat
	.protected	_ZN7rocprim17ROCPRIM_400000_NS6detail17trampoline_kernelINS0_14default_configENS1_38merge_sort_block_merge_config_selectorIxNS0_10empty_typeEEEZZNS1_27merge_sort_block_merge_implIS3_N6thrust23THRUST_200600_302600_NS6detail15normal_iteratorINS9_10device_ptrIxEEEEPS5_jNS1_19radix_merge_compareILb0ELb0ExNS0_19identity_decomposerEEEEE10hipError_tT0_T1_T2_jT3_P12ihipStream_tbPNSt15iterator_traitsISK_E10value_typeEPNSQ_ISL_E10value_typeEPSM_NS1_7vsmem_tEENKUlT_SK_SL_SM_E_clISE_PxSF_SF_EESJ_SZ_SK_SL_SM_EUlSZ_E_NS1_11comp_targetILNS1_3genE4ELNS1_11target_archE910ELNS1_3gpuE8ELNS1_3repE0EEENS1_48merge_mergepath_partition_config_static_selectorELNS0_4arch9wavefront6targetE1EEEvSL_ ; -- Begin function _ZN7rocprim17ROCPRIM_400000_NS6detail17trampoline_kernelINS0_14default_configENS1_38merge_sort_block_merge_config_selectorIxNS0_10empty_typeEEEZZNS1_27merge_sort_block_merge_implIS3_N6thrust23THRUST_200600_302600_NS6detail15normal_iteratorINS9_10device_ptrIxEEEEPS5_jNS1_19radix_merge_compareILb0ELb0ExNS0_19identity_decomposerEEEEE10hipError_tT0_T1_T2_jT3_P12ihipStream_tbPNSt15iterator_traitsISK_E10value_typeEPNSQ_ISL_E10value_typeEPSM_NS1_7vsmem_tEENKUlT_SK_SL_SM_E_clISE_PxSF_SF_EESJ_SZ_SK_SL_SM_EUlSZ_E_NS1_11comp_targetILNS1_3genE4ELNS1_11target_archE910ELNS1_3gpuE8ELNS1_3repE0EEENS1_48merge_mergepath_partition_config_static_selectorELNS0_4arch9wavefront6targetE1EEEvSL_
	.globl	_ZN7rocprim17ROCPRIM_400000_NS6detail17trampoline_kernelINS0_14default_configENS1_38merge_sort_block_merge_config_selectorIxNS0_10empty_typeEEEZZNS1_27merge_sort_block_merge_implIS3_N6thrust23THRUST_200600_302600_NS6detail15normal_iteratorINS9_10device_ptrIxEEEEPS5_jNS1_19radix_merge_compareILb0ELb0ExNS0_19identity_decomposerEEEEE10hipError_tT0_T1_T2_jT3_P12ihipStream_tbPNSt15iterator_traitsISK_E10value_typeEPNSQ_ISL_E10value_typeEPSM_NS1_7vsmem_tEENKUlT_SK_SL_SM_E_clISE_PxSF_SF_EESJ_SZ_SK_SL_SM_EUlSZ_E_NS1_11comp_targetILNS1_3genE4ELNS1_11target_archE910ELNS1_3gpuE8ELNS1_3repE0EEENS1_48merge_mergepath_partition_config_static_selectorELNS0_4arch9wavefront6targetE1EEEvSL_
	.p2align	8
	.type	_ZN7rocprim17ROCPRIM_400000_NS6detail17trampoline_kernelINS0_14default_configENS1_38merge_sort_block_merge_config_selectorIxNS0_10empty_typeEEEZZNS1_27merge_sort_block_merge_implIS3_N6thrust23THRUST_200600_302600_NS6detail15normal_iteratorINS9_10device_ptrIxEEEEPS5_jNS1_19radix_merge_compareILb0ELb0ExNS0_19identity_decomposerEEEEE10hipError_tT0_T1_T2_jT3_P12ihipStream_tbPNSt15iterator_traitsISK_E10value_typeEPNSQ_ISL_E10value_typeEPSM_NS1_7vsmem_tEENKUlT_SK_SL_SM_E_clISE_PxSF_SF_EESJ_SZ_SK_SL_SM_EUlSZ_E_NS1_11comp_targetILNS1_3genE4ELNS1_11target_archE910ELNS1_3gpuE8ELNS1_3repE0EEENS1_48merge_mergepath_partition_config_static_selectorELNS0_4arch9wavefront6targetE1EEEvSL_,@function
_ZN7rocprim17ROCPRIM_400000_NS6detail17trampoline_kernelINS0_14default_configENS1_38merge_sort_block_merge_config_selectorIxNS0_10empty_typeEEEZZNS1_27merge_sort_block_merge_implIS3_N6thrust23THRUST_200600_302600_NS6detail15normal_iteratorINS9_10device_ptrIxEEEEPS5_jNS1_19radix_merge_compareILb0ELb0ExNS0_19identity_decomposerEEEEE10hipError_tT0_T1_T2_jT3_P12ihipStream_tbPNSt15iterator_traitsISK_E10value_typeEPNSQ_ISL_E10value_typeEPSM_NS1_7vsmem_tEENKUlT_SK_SL_SM_E_clISE_PxSF_SF_EESJ_SZ_SK_SL_SM_EUlSZ_E_NS1_11comp_targetILNS1_3genE4ELNS1_11target_archE910ELNS1_3gpuE8ELNS1_3repE0EEENS1_48merge_mergepath_partition_config_static_selectorELNS0_4arch9wavefront6targetE1EEEvSL_: ; @_ZN7rocprim17ROCPRIM_400000_NS6detail17trampoline_kernelINS0_14default_configENS1_38merge_sort_block_merge_config_selectorIxNS0_10empty_typeEEEZZNS1_27merge_sort_block_merge_implIS3_N6thrust23THRUST_200600_302600_NS6detail15normal_iteratorINS9_10device_ptrIxEEEEPS5_jNS1_19radix_merge_compareILb0ELb0ExNS0_19identity_decomposerEEEEE10hipError_tT0_T1_T2_jT3_P12ihipStream_tbPNSt15iterator_traitsISK_E10value_typeEPNSQ_ISL_E10value_typeEPSM_NS1_7vsmem_tEENKUlT_SK_SL_SM_E_clISE_PxSF_SF_EESJ_SZ_SK_SL_SM_EUlSZ_E_NS1_11comp_targetILNS1_3genE4ELNS1_11target_archE910ELNS1_3gpuE8ELNS1_3repE0EEENS1_48merge_mergepath_partition_config_static_selectorELNS0_4arch9wavefront6targetE1EEEvSL_
; %bb.0:
	s_load_dword s0, s[4:5], 0x0
	v_lshl_or_b32 v0, s6, 7, v0
	s_waitcnt lgkmcnt(0)
	v_cmp_gt_u32_e32 vcc, s0, v0
	s_and_saveexec_b64 s[0:1], vcc
	s_cbranch_execz .LBB1437_6
; %bb.1:
	s_load_dwordx2 s[2:3], s[4:5], 0x4
	s_load_dwordx2 s[0:1], s[4:5], 0x20
	s_waitcnt lgkmcnt(0)
	s_lshr_b32 s6, s2, 9
	s_and_b32 s6, s6, 0x7ffffe
	s_add_i32 s7, s6, -1
	s_sub_i32 s6, 0, s6
	v_and_b32_e32 v1, s6, v0
	v_lshlrev_b32_e32 v1, 10, v1
	v_min_u32_e32 v2, s3, v1
	v_add_u32_e32 v1, s2, v1
	v_min_u32_e32 v4, s3, v1
	v_add_u32_e32 v1, s2, v4
	v_and_b32_e32 v3, s7, v0
	v_min_u32_e32 v1, s3, v1
	v_sub_u32_e32 v5, v1, v2
	v_lshlrev_b32_e32 v3, 10, v3
	v_min_u32_e32 v6, v5, v3
	v_sub_u32_e32 v3, v4, v2
	v_sub_u32_e32 v1, v1, v4
	v_sub_u32_e64 v1, v6, v1 clamp
	v_min_u32_e32 v7, v6, v3
	v_cmp_lt_u32_e32 vcc, v1, v7
	s_and_saveexec_b64 s[2:3], vcc
	s_cbranch_execz .LBB1437_5
; %bb.2:
	s_load_dwordx2 s[4:5], s[4:5], 0x10
	v_mov_b32_e32 v5, 0
	v_mov_b32_e32 v3, v5
	v_lshlrev_b64 v[8:9], 3, v[2:3]
	v_lshlrev_b64 v[10:11], 3, v[4:5]
	s_waitcnt lgkmcnt(0)
	v_mov_b32_e32 v12, s5
	v_add_co_u32_e32 v3, vcc, s4, v8
	v_addc_co_u32_e32 v8, vcc, v12, v9, vcc
	v_add_co_u32_e32 v9, vcc, s4, v10
	v_addc_co_u32_e32 v10, vcc, v12, v11, vcc
	s_mov_b64 s[4:5], 0
.LBB1437_3:                             ; =>This Inner Loop Header: Depth=1
	v_add_u32_e32 v4, v7, v1
	v_lshrrev_b32_e32 v4, 1, v4
	v_lshlrev_b64 v[14:15], 3, v[4:5]
	v_mov_b32_e32 v13, v5
	v_xad_u32 v12, v4, -1, v6
	v_add_co_u32_e32 v14, vcc, v3, v14
	v_addc_co_u32_e32 v15, vcc, v8, v15, vcc
	v_lshlrev_b64 v[12:13], 3, v[12:13]
	v_add_co_u32_e32 v12, vcc, v9, v12
	v_addc_co_u32_e32 v13, vcc, v10, v13, vcc
	flat_load_dwordx2 v[16:17], v[14:15]
	flat_load_dwordx2 v[18:19], v[12:13]
	v_add_u32_e32 v11, 1, v4
	s_waitcnt vmcnt(0) lgkmcnt(0)
	v_cmp_gt_i64_e32 vcc, v[16:17], v[18:19]
	v_cndmask_b32_e32 v7, v7, v4, vcc
	v_cndmask_b32_e32 v1, v11, v1, vcc
	v_cmp_ge_u32_e32 vcc, v1, v7
	s_or_b64 s[4:5], vcc, s[4:5]
	s_andn2_b64 exec, exec, s[4:5]
	s_cbranch_execnz .LBB1437_3
; %bb.4:
	s_or_b64 exec, exec, s[4:5]
.LBB1437_5:
	s_or_b64 exec, exec, s[2:3]
	v_add_u32_e32 v2, v1, v2
	v_mov_b32_e32 v1, 0
	v_lshlrev_b64 v[0:1], 2, v[0:1]
	v_mov_b32_e32 v3, s1
	v_add_co_u32_e32 v0, vcc, s0, v0
	v_addc_co_u32_e32 v1, vcc, v3, v1, vcc
	global_store_dword v[0:1], v2, off
.LBB1437_6:
	s_endpgm
	.section	.rodata,"a",@progbits
	.p2align	6, 0x0
	.amdhsa_kernel _ZN7rocprim17ROCPRIM_400000_NS6detail17trampoline_kernelINS0_14default_configENS1_38merge_sort_block_merge_config_selectorIxNS0_10empty_typeEEEZZNS1_27merge_sort_block_merge_implIS3_N6thrust23THRUST_200600_302600_NS6detail15normal_iteratorINS9_10device_ptrIxEEEEPS5_jNS1_19radix_merge_compareILb0ELb0ExNS0_19identity_decomposerEEEEE10hipError_tT0_T1_T2_jT3_P12ihipStream_tbPNSt15iterator_traitsISK_E10value_typeEPNSQ_ISL_E10value_typeEPSM_NS1_7vsmem_tEENKUlT_SK_SL_SM_E_clISE_PxSF_SF_EESJ_SZ_SK_SL_SM_EUlSZ_E_NS1_11comp_targetILNS1_3genE4ELNS1_11target_archE910ELNS1_3gpuE8ELNS1_3repE0EEENS1_48merge_mergepath_partition_config_static_selectorELNS0_4arch9wavefront6targetE1EEEvSL_
		.amdhsa_group_segment_fixed_size 0
		.amdhsa_private_segment_fixed_size 0
		.amdhsa_kernarg_size 40
		.amdhsa_user_sgpr_count 6
		.amdhsa_user_sgpr_private_segment_buffer 1
		.amdhsa_user_sgpr_dispatch_ptr 0
		.amdhsa_user_sgpr_queue_ptr 0
		.amdhsa_user_sgpr_kernarg_segment_ptr 1
		.amdhsa_user_sgpr_dispatch_id 0
		.amdhsa_user_sgpr_flat_scratch_init 0
		.amdhsa_user_sgpr_kernarg_preload_length 0
		.amdhsa_user_sgpr_kernarg_preload_offset 0
		.amdhsa_user_sgpr_private_segment_size 0
		.amdhsa_uses_dynamic_stack 0
		.amdhsa_system_sgpr_private_segment_wavefront_offset 0
		.amdhsa_system_sgpr_workgroup_id_x 1
		.amdhsa_system_sgpr_workgroup_id_y 0
		.amdhsa_system_sgpr_workgroup_id_z 0
		.amdhsa_system_sgpr_workgroup_info 0
		.amdhsa_system_vgpr_workitem_id 0
		.amdhsa_next_free_vgpr 20
		.amdhsa_next_free_sgpr 8
		.amdhsa_accum_offset 20
		.amdhsa_reserve_vcc 1
		.amdhsa_reserve_flat_scratch 0
		.amdhsa_float_round_mode_32 0
		.amdhsa_float_round_mode_16_64 0
		.amdhsa_float_denorm_mode_32 3
		.amdhsa_float_denorm_mode_16_64 3
		.amdhsa_dx10_clamp 1
		.amdhsa_ieee_mode 1
		.amdhsa_fp16_overflow 0
		.amdhsa_tg_split 0
		.amdhsa_exception_fp_ieee_invalid_op 0
		.amdhsa_exception_fp_denorm_src 0
		.amdhsa_exception_fp_ieee_div_zero 0
		.amdhsa_exception_fp_ieee_overflow 0
		.amdhsa_exception_fp_ieee_underflow 0
		.amdhsa_exception_fp_ieee_inexact 0
		.amdhsa_exception_int_div_zero 0
	.end_amdhsa_kernel
	.section	.text._ZN7rocprim17ROCPRIM_400000_NS6detail17trampoline_kernelINS0_14default_configENS1_38merge_sort_block_merge_config_selectorIxNS0_10empty_typeEEEZZNS1_27merge_sort_block_merge_implIS3_N6thrust23THRUST_200600_302600_NS6detail15normal_iteratorINS9_10device_ptrIxEEEEPS5_jNS1_19radix_merge_compareILb0ELb0ExNS0_19identity_decomposerEEEEE10hipError_tT0_T1_T2_jT3_P12ihipStream_tbPNSt15iterator_traitsISK_E10value_typeEPNSQ_ISL_E10value_typeEPSM_NS1_7vsmem_tEENKUlT_SK_SL_SM_E_clISE_PxSF_SF_EESJ_SZ_SK_SL_SM_EUlSZ_E_NS1_11comp_targetILNS1_3genE4ELNS1_11target_archE910ELNS1_3gpuE8ELNS1_3repE0EEENS1_48merge_mergepath_partition_config_static_selectorELNS0_4arch9wavefront6targetE1EEEvSL_,"axG",@progbits,_ZN7rocprim17ROCPRIM_400000_NS6detail17trampoline_kernelINS0_14default_configENS1_38merge_sort_block_merge_config_selectorIxNS0_10empty_typeEEEZZNS1_27merge_sort_block_merge_implIS3_N6thrust23THRUST_200600_302600_NS6detail15normal_iteratorINS9_10device_ptrIxEEEEPS5_jNS1_19radix_merge_compareILb0ELb0ExNS0_19identity_decomposerEEEEE10hipError_tT0_T1_T2_jT3_P12ihipStream_tbPNSt15iterator_traitsISK_E10value_typeEPNSQ_ISL_E10value_typeEPSM_NS1_7vsmem_tEENKUlT_SK_SL_SM_E_clISE_PxSF_SF_EESJ_SZ_SK_SL_SM_EUlSZ_E_NS1_11comp_targetILNS1_3genE4ELNS1_11target_archE910ELNS1_3gpuE8ELNS1_3repE0EEENS1_48merge_mergepath_partition_config_static_selectorELNS0_4arch9wavefront6targetE1EEEvSL_,comdat
.Lfunc_end1437:
	.size	_ZN7rocprim17ROCPRIM_400000_NS6detail17trampoline_kernelINS0_14default_configENS1_38merge_sort_block_merge_config_selectorIxNS0_10empty_typeEEEZZNS1_27merge_sort_block_merge_implIS3_N6thrust23THRUST_200600_302600_NS6detail15normal_iteratorINS9_10device_ptrIxEEEEPS5_jNS1_19radix_merge_compareILb0ELb0ExNS0_19identity_decomposerEEEEE10hipError_tT0_T1_T2_jT3_P12ihipStream_tbPNSt15iterator_traitsISK_E10value_typeEPNSQ_ISL_E10value_typeEPSM_NS1_7vsmem_tEENKUlT_SK_SL_SM_E_clISE_PxSF_SF_EESJ_SZ_SK_SL_SM_EUlSZ_E_NS1_11comp_targetILNS1_3genE4ELNS1_11target_archE910ELNS1_3gpuE8ELNS1_3repE0EEENS1_48merge_mergepath_partition_config_static_selectorELNS0_4arch9wavefront6targetE1EEEvSL_, .Lfunc_end1437-_ZN7rocprim17ROCPRIM_400000_NS6detail17trampoline_kernelINS0_14default_configENS1_38merge_sort_block_merge_config_selectorIxNS0_10empty_typeEEEZZNS1_27merge_sort_block_merge_implIS3_N6thrust23THRUST_200600_302600_NS6detail15normal_iteratorINS9_10device_ptrIxEEEEPS5_jNS1_19radix_merge_compareILb0ELb0ExNS0_19identity_decomposerEEEEE10hipError_tT0_T1_T2_jT3_P12ihipStream_tbPNSt15iterator_traitsISK_E10value_typeEPNSQ_ISL_E10value_typeEPSM_NS1_7vsmem_tEENKUlT_SK_SL_SM_E_clISE_PxSF_SF_EESJ_SZ_SK_SL_SM_EUlSZ_E_NS1_11comp_targetILNS1_3genE4ELNS1_11target_archE910ELNS1_3gpuE8ELNS1_3repE0EEENS1_48merge_mergepath_partition_config_static_selectorELNS0_4arch9wavefront6targetE1EEEvSL_
                                        ; -- End function
	.section	.AMDGPU.csdata,"",@progbits
; Kernel info:
; codeLenInByte = 360
; NumSgprs: 12
; NumVgprs: 20
; NumAgprs: 0
; TotalNumVgprs: 20
; ScratchSize: 0
; MemoryBound: 0
; FloatMode: 240
; IeeeMode: 1
; LDSByteSize: 0 bytes/workgroup (compile time only)
; SGPRBlocks: 1
; VGPRBlocks: 2
; NumSGPRsForWavesPerEU: 12
; NumVGPRsForWavesPerEU: 20
; AccumOffset: 20
; Occupancy: 8
; WaveLimiterHint : 0
; COMPUTE_PGM_RSRC2:SCRATCH_EN: 0
; COMPUTE_PGM_RSRC2:USER_SGPR: 6
; COMPUTE_PGM_RSRC2:TRAP_HANDLER: 0
; COMPUTE_PGM_RSRC2:TGID_X_EN: 1
; COMPUTE_PGM_RSRC2:TGID_Y_EN: 0
; COMPUTE_PGM_RSRC2:TGID_Z_EN: 0
; COMPUTE_PGM_RSRC2:TIDIG_COMP_CNT: 0
; COMPUTE_PGM_RSRC3_GFX90A:ACCUM_OFFSET: 4
; COMPUTE_PGM_RSRC3_GFX90A:TG_SPLIT: 0
	.section	.text._ZN7rocprim17ROCPRIM_400000_NS6detail17trampoline_kernelINS0_14default_configENS1_38merge_sort_block_merge_config_selectorIxNS0_10empty_typeEEEZZNS1_27merge_sort_block_merge_implIS3_N6thrust23THRUST_200600_302600_NS6detail15normal_iteratorINS9_10device_ptrIxEEEEPS5_jNS1_19radix_merge_compareILb0ELb0ExNS0_19identity_decomposerEEEEE10hipError_tT0_T1_T2_jT3_P12ihipStream_tbPNSt15iterator_traitsISK_E10value_typeEPNSQ_ISL_E10value_typeEPSM_NS1_7vsmem_tEENKUlT_SK_SL_SM_E_clISE_PxSF_SF_EESJ_SZ_SK_SL_SM_EUlSZ_E_NS1_11comp_targetILNS1_3genE3ELNS1_11target_archE908ELNS1_3gpuE7ELNS1_3repE0EEENS1_48merge_mergepath_partition_config_static_selectorELNS0_4arch9wavefront6targetE1EEEvSL_,"axG",@progbits,_ZN7rocprim17ROCPRIM_400000_NS6detail17trampoline_kernelINS0_14default_configENS1_38merge_sort_block_merge_config_selectorIxNS0_10empty_typeEEEZZNS1_27merge_sort_block_merge_implIS3_N6thrust23THRUST_200600_302600_NS6detail15normal_iteratorINS9_10device_ptrIxEEEEPS5_jNS1_19radix_merge_compareILb0ELb0ExNS0_19identity_decomposerEEEEE10hipError_tT0_T1_T2_jT3_P12ihipStream_tbPNSt15iterator_traitsISK_E10value_typeEPNSQ_ISL_E10value_typeEPSM_NS1_7vsmem_tEENKUlT_SK_SL_SM_E_clISE_PxSF_SF_EESJ_SZ_SK_SL_SM_EUlSZ_E_NS1_11comp_targetILNS1_3genE3ELNS1_11target_archE908ELNS1_3gpuE7ELNS1_3repE0EEENS1_48merge_mergepath_partition_config_static_selectorELNS0_4arch9wavefront6targetE1EEEvSL_,comdat
	.protected	_ZN7rocprim17ROCPRIM_400000_NS6detail17trampoline_kernelINS0_14default_configENS1_38merge_sort_block_merge_config_selectorIxNS0_10empty_typeEEEZZNS1_27merge_sort_block_merge_implIS3_N6thrust23THRUST_200600_302600_NS6detail15normal_iteratorINS9_10device_ptrIxEEEEPS5_jNS1_19radix_merge_compareILb0ELb0ExNS0_19identity_decomposerEEEEE10hipError_tT0_T1_T2_jT3_P12ihipStream_tbPNSt15iterator_traitsISK_E10value_typeEPNSQ_ISL_E10value_typeEPSM_NS1_7vsmem_tEENKUlT_SK_SL_SM_E_clISE_PxSF_SF_EESJ_SZ_SK_SL_SM_EUlSZ_E_NS1_11comp_targetILNS1_3genE3ELNS1_11target_archE908ELNS1_3gpuE7ELNS1_3repE0EEENS1_48merge_mergepath_partition_config_static_selectorELNS0_4arch9wavefront6targetE1EEEvSL_ ; -- Begin function _ZN7rocprim17ROCPRIM_400000_NS6detail17trampoline_kernelINS0_14default_configENS1_38merge_sort_block_merge_config_selectorIxNS0_10empty_typeEEEZZNS1_27merge_sort_block_merge_implIS3_N6thrust23THRUST_200600_302600_NS6detail15normal_iteratorINS9_10device_ptrIxEEEEPS5_jNS1_19radix_merge_compareILb0ELb0ExNS0_19identity_decomposerEEEEE10hipError_tT0_T1_T2_jT3_P12ihipStream_tbPNSt15iterator_traitsISK_E10value_typeEPNSQ_ISL_E10value_typeEPSM_NS1_7vsmem_tEENKUlT_SK_SL_SM_E_clISE_PxSF_SF_EESJ_SZ_SK_SL_SM_EUlSZ_E_NS1_11comp_targetILNS1_3genE3ELNS1_11target_archE908ELNS1_3gpuE7ELNS1_3repE0EEENS1_48merge_mergepath_partition_config_static_selectorELNS0_4arch9wavefront6targetE1EEEvSL_
	.globl	_ZN7rocprim17ROCPRIM_400000_NS6detail17trampoline_kernelINS0_14default_configENS1_38merge_sort_block_merge_config_selectorIxNS0_10empty_typeEEEZZNS1_27merge_sort_block_merge_implIS3_N6thrust23THRUST_200600_302600_NS6detail15normal_iteratorINS9_10device_ptrIxEEEEPS5_jNS1_19radix_merge_compareILb0ELb0ExNS0_19identity_decomposerEEEEE10hipError_tT0_T1_T2_jT3_P12ihipStream_tbPNSt15iterator_traitsISK_E10value_typeEPNSQ_ISL_E10value_typeEPSM_NS1_7vsmem_tEENKUlT_SK_SL_SM_E_clISE_PxSF_SF_EESJ_SZ_SK_SL_SM_EUlSZ_E_NS1_11comp_targetILNS1_3genE3ELNS1_11target_archE908ELNS1_3gpuE7ELNS1_3repE0EEENS1_48merge_mergepath_partition_config_static_selectorELNS0_4arch9wavefront6targetE1EEEvSL_
	.p2align	8
	.type	_ZN7rocprim17ROCPRIM_400000_NS6detail17trampoline_kernelINS0_14default_configENS1_38merge_sort_block_merge_config_selectorIxNS0_10empty_typeEEEZZNS1_27merge_sort_block_merge_implIS3_N6thrust23THRUST_200600_302600_NS6detail15normal_iteratorINS9_10device_ptrIxEEEEPS5_jNS1_19radix_merge_compareILb0ELb0ExNS0_19identity_decomposerEEEEE10hipError_tT0_T1_T2_jT3_P12ihipStream_tbPNSt15iterator_traitsISK_E10value_typeEPNSQ_ISL_E10value_typeEPSM_NS1_7vsmem_tEENKUlT_SK_SL_SM_E_clISE_PxSF_SF_EESJ_SZ_SK_SL_SM_EUlSZ_E_NS1_11comp_targetILNS1_3genE3ELNS1_11target_archE908ELNS1_3gpuE7ELNS1_3repE0EEENS1_48merge_mergepath_partition_config_static_selectorELNS0_4arch9wavefront6targetE1EEEvSL_,@function
_ZN7rocprim17ROCPRIM_400000_NS6detail17trampoline_kernelINS0_14default_configENS1_38merge_sort_block_merge_config_selectorIxNS0_10empty_typeEEEZZNS1_27merge_sort_block_merge_implIS3_N6thrust23THRUST_200600_302600_NS6detail15normal_iteratorINS9_10device_ptrIxEEEEPS5_jNS1_19radix_merge_compareILb0ELb0ExNS0_19identity_decomposerEEEEE10hipError_tT0_T1_T2_jT3_P12ihipStream_tbPNSt15iterator_traitsISK_E10value_typeEPNSQ_ISL_E10value_typeEPSM_NS1_7vsmem_tEENKUlT_SK_SL_SM_E_clISE_PxSF_SF_EESJ_SZ_SK_SL_SM_EUlSZ_E_NS1_11comp_targetILNS1_3genE3ELNS1_11target_archE908ELNS1_3gpuE7ELNS1_3repE0EEENS1_48merge_mergepath_partition_config_static_selectorELNS0_4arch9wavefront6targetE1EEEvSL_: ; @_ZN7rocprim17ROCPRIM_400000_NS6detail17trampoline_kernelINS0_14default_configENS1_38merge_sort_block_merge_config_selectorIxNS0_10empty_typeEEEZZNS1_27merge_sort_block_merge_implIS3_N6thrust23THRUST_200600_302600_NS6detail15normal_iteratorINS9_10device_ptrIxEEEEPS5_jNS1_19radix_merge_compareILb0ELb0ExNS0_19identity_decomposerEEEEE10hipError_tT0_T1_T2_jT3_P12ihipStream_tbPNSt15iterator_traitsISK_E10value_typeEPNSQ_ISL_E10value_typeEPSM_NS1_7vsmem_tEENKUlT_SK_SL_SM_E_clISE_PxSF_SF_EESJ_SZ_SK_SL_SM_EUlSZ_E_NS1_11comp_targetILNS1_3genE3ELNS1_11target_archE908ELNS1_3gpuE7ELNS1_3repE0EEENS1_48merge_mergepath_partition_config_static_selectorELNS0_4arch9wavefront6targetE1EEEvSL_
; %bb.0:
	.section	.rodata,"a",@progbits
	.p2align	6, 0x0
	.amdhsa_kernel _ZN7rocprim17ROCPRIM_400000_NS6detail17trampoline_kernelINS0_14default_configENS1_38merge_sort_block_merge_config_selectorIxNS0_10empty_typeEEEZZNS1_27merge_sort_block_merge_implIS3_N6thrust23THRUST_200600_302600_NS6detail15normal_iteratorINS9_10device_ptrIxEEEEPS5_jNS1_19radix_merge_compareILb0ELb0ExNS0_19identity_decomposerEEEEE10hipError_tT0_T1_T2_jT3_P12ihipStream_tbPNSt15iterator_traitsISK_E10value_typeEPNSQ_ISL_E10value_typeEPSM_NS1_7vsmem_tEENKUlT_SK_SL_SM_E_clISE_PxSF_SF_EESJ_SZ_SK_SL_SM_EUlSZ_E_NS1_11comp_targetILNS1_3genE3ELNS1_11target_archE908ELNS1_3gpuE7ELNS1_3repE0EEENS1_48merge_mergepath_partition_config_static_selectorELNS0_4arch9wavefront6targetE1EEEvSL_
		.amdhsa_group_segment_fixed_size 0
		.amdhsa_private_segment_fixed_size 0
		.amdhsa_kernarg_size 40
		.amdhsa_user_sgpr_count 6
		.amdhsa_user_sgpr_private_segment_buffer 1
		.amdhsa_user_sgpr_dispatch_ptr 0
		.amdhsa_user_sgpr_queue_ptr 0
		.amdhsa_user_sgpr_kernarg_segment_ptr 1
		.amdhsa_user_sgpr_dispatch_id 0
		.amdhsa_user_sgpr_flat_scratch_init 0
		.amdhsa_user_sgpr_kernarg_preload_length 0
		.amdhsa_user_sgpr_kernarg_preload_offset 0
		.amdhsa_user_sgpr_private_segment_size 0
		.amdhsa_uses_dynamic_stack 0
		.amdhsa_system_sgpr_private_segment_wavefront_offset 0
		.amdhsa_system_sgpr_workgroup_id_x 1
		.amdhsa_system_sgpr_workgroup_id_y 0
		.amdhsa_system_sgpr_workgroup_id_z 0
		.amdhsa_system_sgpr_workgroup_info 0
		.amdhsa_system_vgpr_workitem_id 0
		.amdhsa_next_free_vgpr 1
		.amdhsa_next_free_sgpr 0
		.amdhsa_accum_offset 4
		.amdhsa_reserve_vcc 0
		.amdhsa_reserve_flat_scratch 0
		.amdhsa_float_round_mode_32 0
		.amdhsa_float_round_mode_16_64 0
		.amdhsa_float_denorm_mode_32 3
		.amdhsa_float_denorm_mode_16_64 3
		.amdhsa_dx10_clamp 1
		.amdhsa_ieee_mode 1
		.amdhsa_fp16_overflow 0
		.amdhsa_tg_split 0
		.amdhsa_exception_fp_ieee_invalid_op 0
		.amdhsa_exception_fp_denorm_src 0
		.amdhsa_exception_fp_ieee_div_zero 0
		.amdhsa_exception_fp_ieee_overflow 0
		.amdhsa_exception_fp_ieee_underflow 0
		.amdhsa_exception_fp_ieee_inexact 0
		.amdhsa_exception_int_div_zero 0
	.end_amdhsa_kernel
	.section	.text._ZN7rocprim17ROCPRIM_400000_NS6detail17trampoline_kernelINS0_14default_configENS1_38merge_sort_block_merge_config_selectorIxNS0_10empty_typeEEEZZNS1_27merge_sort_block_merge_implIS3_N6thrust23THRUST_200600_302600_NS6detail15normal_iteratorINS9_10device_ptrIxEEEEPS5_jNS1_19radix_merge_compareILb0ELb0ExNS0_19identity_decomposerEEEEE10hipError_tT0_T1_T2_jT3_P12ihipStream_tbPNSt15iterator_traitsISK_E10value_typeEPNSQ_ISL_E10value_typeEPSM_NS1_7vsmem_tEENKUlT_SK_SL_SM_E_clISE_PxSF_SF_EESJ_SZ_SK_SL_SM_EUlSZ_E_NS1_11comp_targetILNS1_3genE3ELNS1_11target_archE908ELNS1_3gpuE7ELNS1_3repE0EEENS1_48merge_mergepath_partition_config_static_selectorELNS0_4arch9wavefront6targetE1EEEvSL_,"axG",@progbits,_ZN7rocprim17ROCPRIM_400000_NS6detail17trampoline_kernelINS0_14default_configENS1_38merge_sort_block_merge_config_selectorIxNS0_10empty_typeEEEZZNS1_27merge_sort_block_merge_implIS3_N6thrust23THRUST_200600_302600_NS6detail15normal_iteratorINS9_10device_ptrIxEEEEPS5_jNS1_19radix_merge_compareILb0ELb0ExNS0_19identity_decomposerEEEEE10hipError_tT0_T1_T2_jT3_P12ihipStream_tbPNSt15iterator_traitsISK_E10value_typeEPNSQ_ISL_E10value_typeEPSM_NS1_7vsmem_tEENKUlT_SK_SL_SM_E_clISE_PxSF_SF_EESJ_SZ_SK_SL_SM_EUlSZ_E_NS1_11comp_targetILNS1_3genE3ELNS1_11target_archE908ELNS1_3gpuE7ELNS1_3repE0EEENS1_48merge_mergepath_partition_config_static_selectorELNS0_4arch9wavefront6targetE1EEEvSL_,comdat
.Lfunc_end1438:
	.size	_ZN7rocprim17ROCPRIM_400000_NS6detail17trampoline_kernelINS0_14default_configENS1_38merge_sort_block_merge_config_selectorIxNS0_10empty_typeEEEZZNS1_27merge_sort_block_merge_implIS3_N6thrust23THRUST_200600_302600_NS6detail15normal_iteratorINS9_10device_ptrIxEEEEPS5_jNS1_19radix_merge_compareILb0ELb0ExNS0_19identity_decomposerEEEEE10hipError_tT0_T1_T2_jT3_P12ihipStream_tbPNSt15iterator_traitsISK_E10value_typeEPNSQ_ISL_E10value_typeEPSM_NS1_7vsmem_tEENKUlT_SK_SL_SM_E_clISE_PxSF_SF_EESJ_SZ_SK_SL_SM_EUlSZ_E_NS1_11comp_targetILNS1_3genE3ELNS1_11target_archE908ELNS1_3gpuE7ELNS1_3repE0EEENS1_48merge_mergepath_partition_config_static_selectorELNS0_4arch9wavefront6targetE1EEEvSL_, .Lfunc_end1438-_ZN7rocprim17ROCPRIM_400000_NS6detail17trampoline_kernelINS0_14default_configENS1_38merge_sort_block_merge_config_selectorIxNS0_10empty_typeEEEZZNS1_27merge_sort_block_merge_implIS3_N6thrust23THRUST_200600_302600_NS6detail15normal_iteratorINS9_10device_ptrIxEEEEPS5_jNS1_19radix_merge_compareILb0ELb0ExNS0_19identity_decomposerEEEEE10hipError_tT0_T1_T2_jT3_P12ihipStream_tbPNSt15iterator_traitsISK_E10value_typeEPNSQ_ISL_E10value_typeEPSM_NS1_7vsmem_tEENKUlT_SK_SL_SM_E_clISE_PxSF_SF_EESJ_SZ_SK_SL_SM_EUlSZ_E_NS1_11comp_targetILNS1_3genE3ELNS1_11target_archE908ELNS1_3gpuE7ELNS1_3repE0EEENS1_48merge_mergepath_partition_config_static_selectorELNS0_4arch9wavefront6targetE1EEEvSL_
                                        ; -- End function
	.section	.AMDGPU.csdata,"",@progbits
; Kernel info:
; codeLenInByte = 0
; NumSgprs: 4
; NumVgprs: 0
; NumAgprs: 0
; TotalNumVgprs: 0
; ScratchSize: 0
; MemoryBound: 0
; FloatMode: 240
; IeeeMode: 1
; LDSByteSize: 0 bytes/workgroup (compile time only)
; SGPRBlocks: 0
; VGPRBlocks: 0
; NumSGPRsForWavesPerEU: 4
; NumVGPRsForWavesPerEU: 1
; AccumOffset: 4
; Occupancy: 8
; WaveLimiterHint : 0
; COMPUTE_PGM_RSRC2:SCRATCH_EN: 0
; COMPUTE_PGM_RSRC2:USER_SGPR: 6
; COMPUTE_PGM_RSRC2:TRAP_HANDLER: 0
; COMPUTE_PGM_RSRC2:TGID_X_EN: 1
; COMPUTE_PGM_RSRC2:TGID_Y_EN: 0
; COMPUTE_PGM_RSRC2:TGID_Z_EN: 0
; COMPUTE_PGM_RSRC2:TIDIG_COMP_CNT: 0
; COMPUTE_PGM_RSRC3_GFX90A:ACCUM_OFFSET: 0
; COMPUTE_PGM_RSRC3_GFX90A:TG_SPLIT: 0
	.section	.text._ZN7rocprim17ROCPRIM_400000_NS6detail17trampoline_kernelINS0_14default_configENS1_38merge_sort_block_merge_config_selectorIxNS0_10empty_typeEEEZZNS1_27merge_sort_block_merge_implIS3_N6thrust23THRUST_200600_302600_NS6detail15normal_iteratorINS9_10device_ptrIxEEEEPS5_jNS1_19radix_merge_compareILb0ELb0ExNS0_19identity_decomposerEEEEE10hipError_tT0_T1_T2_jT3_P12ihipStream_tbPNSt15iterator_traitsISK_E10value_typeEPNSQ_ISL_E10value_typeEPSM_NS1_7vsmem_tEENKUlT_SK_SL_SM_E_clISE_PxSF_SF_EESJ_SZ_SK_SL_SM_EUlSZ_E_NS1_11comp_targetILNS1_3genE2ELNS1_11target_archE906ELNS1_3gpuE6ELNS1_3repE0EEENS1_48merge_mergepath_partition_config_static_selectorELNS0_4arch9wavefront6targetE1EEEvSL_,"axG",@progbits,_ZN7rocprim17ROCPRIM_400000_NS6detail17trampoline_kernelINS0_14default_configENS1_38merge_sort_block_merge_config_selectorIxNS0_10empty_typeEEEZZNS1_27merge_sort_block_merge_implIS3_N6thrust23THRUST_200600_302600_NS6detail15normal_iteratorINS9_10device_ptrIxEEEEPS5_jNS1_19radix_merge_compareILb0ELb0ExNS0_19identity_decomposerEEEEE10hipError_tT0_T1_T2_jT3_P12ihipStream_tbPNSt15iterator_traitsISK_E10value_typeEPNSQ_ISL_E10value_typeEPSM_NS1_7vsmem_tEENKUlT_SK_SL_SM_E_clISE_PxSF_SF_EESJ_SZ_SK_SL_SM_EUlSZ_E_NS1_11comp_targetILNS1_3genE2ELNS1_11target_archE906ELNS1_3gpuE6ELNS1_3repE0EEENS1_48merge_mergepath_partition_config_static_selectorELNS0_4arch9wavefront6targetE1EEEvSL_,comdat
	.protected	_ZN7rocprim17ROCPRIM_400000_NS6detail17trampoline_kernelINS0_14default_configENS1_38merge_sort_block_merge_config_selectorIxNS0_10empty_typeEEEZZNS1_27merge_sort_block_merge_implIS3_N6thrust23THRUST_200600_302600_NS6detail15normal_iteratorINS9_10device_ptrIxEEEEPS5_jNS1_19radix_merge_compareILb0ELb0ExNS0_19identity_decomposerEEEEE10hipError_tT0_T1_T2_jT3_P12ihipStream_tbPNSt15iterator_traitsISK_E10value_typeEPNSQ_ISL_E10value_typeEPSM_NS1_7vsmem_tEENKUlT_SK_SL_SM_E_clISE_PxSF_SF_EESJ_SZ_SK_SL_SM_EUlSZ_E_NS1_11comp_targetILNS1_3genE2ELNS1_11target_archE906ELNS1_3gpuE6ELNS1_3repE0EEENS1_48merge_mergepath_partition_config_static_selectorELNS0_4arch9wavefront6targetE1EEEvSL_ ; -- Begin function _ZN7rocprim17ROCPRIM_400000_NS6detail17trampoline_kernelINS0_14default_configENS1_38merge_sort_block_merge_config_selectorIxNS0_10empty_typeEEEZZNS1_27merge_sort_block_merge_implIS3_N6thrust23THRUST_200600_302600_NS6detail15normal_iteratorINS9_10device_ptrIxEEEEPS5_jNS1_19radix_merge_compareILb0ELb0ExNS0_19identity_decomposerEEEEE10hipError_tT0_T1_T2_jT3_P12ihipStream_tbPNSt15iterator_traitsISK_E10value_typeEPNSQ_ISL_E10value_typeEPSM_NS1_7vsmem_tEENKUlT_SK_SL_SM_E_clISE_PxSF_SF_EESJ_SZ_SK_SL_SM_EUlSZ_E_NS1_11comp_targetILNS1_3genE2ELNS1_11target_archE906ELNS1_3gpuE6ELNS1_3repE0EEENS1_48merge_mergepath_partition_config_static_selectorELNS0_4arch9wavefront6targetE1EEEvSL_
	.globl	_ZN7rocprim17ROCPRIM_400000_NS6detail17trampoline_kernelINS0_14default_configENS1_38merge_sort_block_merge_config_selectorIxNS0_10empty_typeEEEZZNS1_27merge_sort_block_merge_implIS3_N6thrust23THRUST_200600_302600_NS6detail15normal_iteratorINS9_10device_ptrIxEEEEPS5_jNS1_19radix_merge_compareILb0ELb0ExNS0_19identity_decomposerEEEEE10hipError_tT0_T1_T2_jT3_P12ihipStream_tbPNSt15iterator_traitsISK_E10value_typeEPNSQ_ISL_E10value_typeEPSM_NS1_7vsmem_tEENKUlT_SK_SL_SM_E_clISE_PxSF_SF_EESJ_SZ_SK_SL_SM_EUlSZ_E_NS1_11comp_targetILNS1_3genE2ELNS1_11target_archE906ELNS1_3gpuE6ELNS1_3repE0EEENS1_48merge_mergepath_partition_config_static_selectorELNS0_4arch9wavefront6targetE1EEEvSL_
	.p2align	8
	.type	_ZN7rocprim17ROCPRIM_400000_NS6detail17trampoline_kernelINS0_14default_configENS1_38merge_sort_block_merge_config_selectorIxNS0_10empty_typeEEEZZNS1_27merge_sort_block_merge_implIS3_N6thrust23THRUST_200600_302600_NS6detail15normal_iteratorINS9_10device_ptrIxEEEEPS5_jNS1_19radix_merge_compareILb0ELb0ExNS0_19identity_decomposerEEEEE10hipError_tT0_T1_T2_jT3_P12ihipStream_tbPNSt15iterator_traitsISK_E10value_typeEPNSQ_ISL_E10value_typeEPSM_NS1_7vsmem_tEENKUlT_SK_SL_SM_E_clISE_PxSF_SF_EESJ_SZ_SK_SL_SM_EUlSZ_E_NS1_11comp_targetILNS1_3genE2ELNS1_11target_archE906ELNS1_3gpuE6ELNS1_3repE0EEENS1_48merge_mergepath_partition_config_static_selectorELNS0_4arch9wavefront6targetE1EEEvSL_,@function
_ZN7rocprim17ROCPRIM_400000_NS6detail17trampoline_kernelINS0_14default_configENS1_38merge_sort_block_merge_config_selectorIxNS0_10empty_typeEEEZZNS1_27merge_sort_block_merge_implIS3_N6thrust23THRUST_200600_302600_NS6detail15normal_iteratorINS9_10device_ptrIxEEEEPS5_jNS1_19radix_merge_compareILb0ELb0ExNS0_19identity_decomposerEEEEE10hipError_tT0_T1_T2_jT3_P12ihipStream_tbPNSt15iterator_traitsISK_E10value_typeEPNSQ_ISL_E10value_typeEPSM_NS1_7vsmem_tEENKUlT_SK_SL_SM_E_clISE_PxSF_SF_EESJ_SZ_SK_SL_SM_EUlSZ_E_NS1_11comp_targetILNS1_3genE2ELNS1_11target_archE906ELNS1_3gpuE6ELNS1_3repE0EEENS1_48merge_mergepath_partition_config_static_selectorELNS0_4arch9wavefront6targetE1EEEvSL_: ; @_ZN7rocprim17ROCPRIM_400000_NS6detail17trampoline_kernelINS0_14default_configENS1_38merge_sort_block_merge_config_selectorIxNS0_10empty_typeEEEZZNS1_27merge_sort_block_merge_implIS3_N6thrust23THRUST_200600_302600_NS6detail15normal_iteratorINS9_10device_ptrIxEEEEPS5_jNS1_19radix_merge_compareILb0ELb0ExNS0_19identity_decomposerEEEEE10hipError_tT0_T1_T2_jT3_P12ihipStream_tbPNSt15iterator_traitsISK_E10value_typeEPNSQ_ISL_E10value_typeEPSM_NS1_7vsmem_tEENKUlT_SK_SL_SM_E_clISE_PxSF_SF_EESJ_SZ_SK_SL_SM_EUlSZ_E_NS1_11comp_targetILNS1_3genE2ELNS1_11target_archE906ELNS1_3gpuE6ELNS1_3repE0EEENS1_48merge_mergepath_partition_config_static_selectorELNS0_4arch9wavefront6targetE1EEEvSL_
; %bb.0:
	.section	.rodata,"a",@progbits
	.p2align	6, 0x0
	.amdhsa_kernel _ZN7rocprim17ROCPRIM_400000_NS6detail17trampoline_kernelINS0_14default_configENS1_38merge_sort_block_merge_config_selectorIxNS0_10empty_typeEEEZZNS1_27merge_sort_block_merge_implIS3_N6thrust23THRUST_200600_302600_NS6detail15normal_iteratorINS9_10device_ptrIxEEEEPS5_jNS1_19radix_merge_compareILb0ELb0ExNS0_19identity_decomposerEEEEE10hipError_tT0_T1_T2_jT3_P12ihipStream_tbPNSt15iterator_traitsISK_E10value_typeEPNSQ_ISL_E10value_typeEPSM_NS1_7vsmem_tEENKUlT_SK_SL_SM_E_clISE_PxSF_SF_EESJ_SZ_SK_SL_SM_EUlSZ_E_NS1_11comp_targetILNS1_3genE2ELNS1_11target_archE906ELNS1_3gpuE6ELNS1_3repE0EEENS1_48merge_mergepath_partition_config_static_selectorELNS0_4arch9wavefront6targetE1EEEvSL_
		.amdhsa_group_segment_fixed_size 0
		.amdhsa_private_segment_fixed_size 0
		.amdhsa_kernarg_size 40
		.amdhsa_user_sgpr_count 6
		.amdhsa_user_sgpr_private_segment_buffer 1
		.amdhsa_user_sgpr_dispatch_ptr 0
		.amdhsa_user_sgpr_queue_ptr 0
		.amdhsa_user_sgpr_kernarg_segment_ptr 1
		.amdhsa_user_sgpr_dispatch_id 0
		.amdhsa_user_sgpr_flat_scratch_init 0
		.amdhsa_user_sgpr_kernarg_preload_length 0
		.amdhsa_user_sgpr_kernarg_preload_offset 0
		.amdhsa_user_sgpr_private_segment_size 0
		.amdhsa_uses_dynamic_stack 0
		.amdhsa_system_sgpr_private_segment_wavefront_offset 0
		.amdhsa_system_sgpr_workgroup_id_x 1
		.amdhsa_system_sgpr_workgroup_id_y 0
		.amdhsa_system_sgpr_workgroup_id_z 0
		.amdhsa_system_sgpr_workgroup_info 0
		.amdhsa_system_vgpr_workitem_id 0
		.amdhsa_next_free_vgpr 1
		.amdhsa_next_free_sgpr 0
		.amdhsa_accum_offset 4
		.amdhsa_reserve_vcc 0
		.amdhsa_reserve_flat_scratch 0
		.amdhsa_float_round_mode_32 0
		.amdhsa_float_round_mode_16_64 0
		.amdhsa_float_denorm_mode_32 3
		.amdhsa_float_denorm_mode_16_64 3
		.amdhsa_dx10_clamp 1
		.amdhsa_ieee_mode 1
		.amdhsa_fp16_overflow 0
		.amdhsa_tg_split 0
		.amdhsa_exception_fp_ieee_invalid_op 0
		.amdhsa_exception_fp_denorm_src 0
		.amdhsa_exception_fp_ieee_div_zero 0
		.amdhsa_exception_fp_ieee_overflow 0
		.amdhsa_exception_fp_ieee_underflow 0
		.amdhsa_exception_fp_ieee_inexact 0
		.amdhsa_exception_int_div_zero 0
	.end_amdhsa_kernel
	.section	.text._ZN7rocprim17ROCPRIM_400000_NS6detail17trampoline_kernelINS0_14default_configENS1_38merge_sort_block_merge_config_selectorIxNS0_10empty_typeEEEZZNS1_27merge_sort_block_merge_implIS3_N6thrust23THRUST_200600_302600_NS6detail15normal_iteratorINS9_10device_ptrIxEEEEPS5_jNS1_19radix_merge_compareILb0ELb0ExNS0_19identity_decomposerEEEEE10hipError_tT0_T1_T2_jT3_P12ihipStream_tbPNSt15iterator_traitsISK_E10value_typeEPNSQ_ISL_E10value_typeEPSM_NS1_7vsmem_tEENKUlT_SK_SL_SM_E_clISE_PxSF_SF_EESJ_SZ_SK_SL_SM_EUlSZ_E_NS1_11comp_targetILNS1_3genE2ELNS1_11target_archE906ELNS1_3gpuE6ELNS1_3repE0EEENS1_48merge_mergepath_partition_config_static_selectorELNS0_4arch9wavefront6targetE1EEEvSL_,"axG",@progbits,_ZN7rocprim17ROCPRIM_400000_NS6detail17trampoline_kernelINS0_14default_configENS1_38merge_sort_block_merge_config_selectorIxNS0_10empty_typeEEEZZNS1_27merge_sort_block_merge_implIS3_N6thrust23THRUST_200600_302600_NS6detail15normal_iteratorINS9_10device_ptrIxEEEEPS5_jNS1_19radix_merge_compareILb0ELb0ExNS0_19identity_decomposerEEEEE10hipError_tT0_T1_T2_jT3_P12ihipStream_tbPNSt15iterator_traitsISK_E10value_typeEPNSQ_ISL_E10value_typeEPSM_NS1_7vsmem_tEENKUlT_SK_SL_SM_E_clISE_PxSF_SF_EESJ_SZ_SK_SL_SM_EUlSZ_E_NS1_11comp_targetILNS1_3genE2ELNS1_11target_archE906ELNS1_3gpuE6ELNS1_3repE0EEENS1_48merge_mergepath_partition_config_static_selectorELNS0_4arch9wavefront6targetE1EEEvSL_,comdat
.Lfunc_end1439:
	.size	_ZN7rocprim17ROCPRIM_400000_NS6detail17trampoline_kernelINS0_14default_configENS1_38merge_sort_block_merge_config_selectorIxNS0_10empty_typeEEEZZNS1_27merge_sort_block_merge_implIS3_N6thrust23THRUST_200600_302600_NS6detail15normal_iteratorINS9_10device_ptrIxEEEEPS5_jNS1_19radix_merge_compareILb0ELb0ExNS0_19identity_decomposerEEEEE10hipError_tT0_T1_T2_jT3_P12ihipStream_tbPNSt15iterator_traitsISK_E10value_typeEPNSQ_ISL_E10value_typeEPSM_NS1_7vsmem_tEENKUlT_SK_SL_SM_E_clISE_PxSF_SF_EESJ_SZ_SK_SL_SM_EUlSZ_E_NS1_11comp_targetILNS1_3genE2ELNS1_11target_archE906ELNS1_3gpuE6ELNS1_3repE0EEENS1_48merge_mergepath_partition_config_static_selectorELNS0_4arch9wavefront6targetE1EEEvSL_, .Lfunc_end1439-_ZN7rocprim17ROCPRIM_400000_NS6detail17trampoline_kernelINS0_14default_configENS1_38merge_sort_block_merge_config_selectorIxNS0_10empty_typeEEEZZNS1_27merge_sort_block_merge_implIS3_N6thrust23THRUST_200600_302600_NS6detail15normal_iteratorINS9_10device_ptrIxEEEEPS5_jNS1_19radix_merge_compareILb0ELb0ExNS0_19identity_decomposerEEEEE10hipError_tT0_T1_T2_jT3_P12ihipStream_tbPNSt15iterator_traitsISK_E10value_typeEPNSQ_ISL_E10value_typeEPSM_NS1_7vsmem_tEENKUlT_SK_SL_SM_E_clISE_PxSF_SF_EESJ_SZ_SK_SL_SM_EUlSZ_E_NS1_11comp_targetILNS1_3genE2ELNS1_11target_archE906ELNS1_3gpuE6ELNS1_3repE0EEENS1_48merge_mergepath_partition_config_static_selectorELNS0_4arch9wavefront6targetE1EEEvSL_
                                        ; -- End function
	.section	.AMDGPU.csdata,"",@progbits
; Kernel info:
; codeLenInByte = 0
; NumSgprs: 4
; NumVgprs: 0
; NumAgprs: 0
; TotalNumVgprs: 0
; ScratchSize: 0
; MemoryBound: 0
; FloatMode: 240
; IeeeMode: 1
; LDSByteSize: 0 bytes/workgroup (compile time only)
; SGPRBlocks: 0
; VGPRBlocks: 0
; NumSGPRsForWavesPerEU: 4
; NumVGPRsForWavesPerEU: 1
; AccumOffset: 4
; Occupancy: 8
; WaveLimiterHint : 0
; COMPUTE_PGM_RSRC2:SCRATCH_EN: 0
; COMPUTE_PGM_RSRC2:USER_SGPR: 6
; COMPUTE_PGM_RSRC2:TRAP_HANDLER: 0
; COMPUTE_PGM_RSRC2:TGID_X_EN: 1
; COMPUTE_PGM_RSRC2:TGID_Y_EN: 0
; COMPUTE_PGM_RSRC2:TGID_Z_EN: 0
; COMPUTE_PGM_RSRC2:TIDIG_COMP_CNT: 0
; COMPUTE_PGM_RSRC3_GFX90A:ACCUM_OFFSET: 0
; COMPUTE_PGM_RSRC3_GFX90A:TG_SPLIT: 0
	.section	.text._ZN7rocprim17ROCPRIM_400000_NS6detail17trampoline_kernelINS0_14default_configENS1_38merge_sort_block_merge_config_selectorIxNS0_10empty_typeEEEZZNS1_27merge_sort_block_merge_implIS3_N6thrust23THRUST_200600_302600_NS6detail15normal_iteratorINS9_10device_ptrIxEEEEPS5_jNS1_19radix_merge_compareILb0ELb0ExNS0_19identity_decomposerEEEEE10hipError_tT0_T1_T2_jT3_P12ihipStream_tbPNSt15iterator_traitsISK_E10value_typeEPNSQ_ISL_E10value_typeEPSM_NS1_7vsmem_tEENKUlT_SK_SL_SM_E_clISE_PxSF_SF_EESJ_SZ_SK_SL_SM_EUlSZ_E_NS1_11comp_targetILNS1_3genE9ELNS1_11target_archE1100ELNS1_3gpuE3ELNS1_3repE0EEENS1_48merge_mergepath_partition_config_static_selectorELNS0_4arch9wavefront6targetE1EEEvSL_,"axG",@progbits,_ZN7rocprim17ROCPRIM_400000_NS6detail17trampoline_kernelINS0_14default_configENS1_38merge_sort_block_merge_config_selectorIxNS0_10empty_typeEEEZZNS1_27merge_sort_block_merge_implIS3_N6thrust23THRUST_200600_302600_NS6detail15normal_iteratorINS9_10device_ptrIxEEEEPS5_jNS1_19radix_merge_compareILb0ELb0ExNS0_19identity_decomposerEEEEE10hipError_tT0_T1_T2_jT3_P12ihipStream_tbPNSt15iterator_traitsISK_E10value_typeEPNSQ_ISL_E10value_typeEPSM_NS1_7vsmem_tEENKUlT_SK_SL_SM_E_clISE_PxSF_SF_EESJ_SZ_SK_SL_SM_EUlSZ_E_NS1_11comp_targetILNS1_3genE9ELNS1_11target_archE1100ELNS1_3gpuE3ELNS1_3repE0EEENS1_48merge_mergepath_partition_config_static_selectorELNS0_4arch9wavefront6targetE1EEEvSL_,comdat
	.protected	_ZN7rocprim17ROCPRIM_400000_NS6detail17trampoline_kernelINS0_14default_configENS1_38merge_sort_block_merge_config_selectorIxNS0_10empty_typeEEEZZNS1_27merge_sort_block_merge_implIS3_N6thrust23THRUST_200600_302600_NS6detail15normal_iteratorINS9_10device_ptrIxEEEEPS5_jNS1_19radix_merge_compareILb0ELb0ExNS0_19identity_decomposerEEEEE10hipError_tT0_T1_T2_jT3_P12ihipStream_tbPNSt15iterator_traitsISK_E10value_typeEPNSQ_ISL_E10value_typeEPSM_NS1_7vsmem_tEENKUlT_SK_SL_SM_E_clISE_PxSF_SF_EESJ_SZ_SK_SL_SM_EUlSZ_E_NS1_11comp_targetILNS1_3genE9ELNS1_11target_archE1100ELNS1_3gpuE3ELNS1_3repE0EEENS1_48merge_mergepath_partition_config_static_selectorELNS0_4arch9wavefront6targetE1EEEvSL_ ; -- Begin function _ZN7rocprim17ROCPRIM_400000_NS6detail17trampoline_kernelINS0_14default_configENS1_38merge_sort_block_merge_config_selectorIxNS0_10empty_typeEEEZZNS1_27merge_sort_block_merge_implIS3_N6thrust23THRUST_200600_302600_NS6detail15normal_iteratorINS9_10device_ptrIxEEEEPS5_jNS1_19radix_merge_compareILb0ELb0ExNS0_19identity_decomposerEEEEE10hipError_tT0_T1_T2_jT3_P12ihipStream_tbPNSt15iterator_traitsISK_E10value_typeEPNSQ_ISL_E10value_typeEPSM_NS1_7vsmem_tEENKUlT_SK_SL_SM_E_clISE_PxSF_SF_EESJ_SZ_SK_SL_SM_EUlSZ_E_NS1_11comp_targetILNS1_3genE9ELNS1_11target_archE1100ELNS1_3gpuE3ELNS1_3repE0EEENS1_48merge_mergepath_partition_config_static_selectorELNS0_4arch9wavefront6targetE1EEEvSL_
	.globl	_ZN7rocprim17ROCPRIM_400000_NS6detail17trampoline_kernelINS0_14default_configENS1_38merge_sort_block_merge_config_selectorIxNS0_10empty_typeEEEZZNS1_27merge_sort_block_merge_implIS3_N6thrust23THRUST_200600_302600_NS6detail15normal_iteratorINS9_10device_ptrIxEEEEPS5_jNS1_19radix_merge_compareILb0ELb0ExNS0_19identity_decomposerEEEEE10hipError_tT0_T1_T2_jT3_P12ihipStream_tbPNSt15iterator_traitsISK_E10value_typeEPNSQ_ISL_E10value_typeEPSM_NS1_7vsmem_tEENKUlT_SK_SL_SM_E_clISE_PxSF_SF_EESJ_SZ_SK_SL_SM_EUlSZ_E_NS1_11comp_targetILNS1_3genE9ELNS1_11target_archE1100ELNS1_3gpuE3ELNS1_3repE0EEENS1_48merge_mergepath_partition_config_static_selectorELNS0_4arch9wavefront6targetE1EEEvSL_
	.p2align	8
	.type	_ZN7rocprim17ROCPRIM_400000_NS6detail17trampoline_kernelINS0_14default_configENS1_38merge_sort_block_merge_config_selectorIxNS0_10empty_typeEEEZZNS1_27merge_sort_block_merge_implIS3_N6thrust23THRUST_200600_302600_NS6detail15normal_iteratorINS9_10device_ptrIxEEEEPS5_jNS1_19radix_merge_compareILb0ELb0ExNS0_19identity_decomposerEEEEE10hipError_tT0_T1_T2_jT3_P12ihipStream_tbPNSt15iterator_traitsISK_E10value_typeEPNSQ_ISL_E10value_typeEPSM_NS1_7vsmem_tEENKUlT_SK_SL_SM_E_clISE_PxSF_SF_EESJ_SZ_SK_SL_SM_EUlSZ_E_NS1_11comp_targetILNS1_3genE9ELNS1_11target_archE1100ELNS1_3gpuE3ELNS1_3repE0EEENS1_48merge_mergepath_partition_config_static_selectorELNS0_4arch9wavefront6targetE1EEEvSL_,@function
_ZN7rocprim17ROCPRIM_400000_NS6detail17trampoline_kernelINS0_14default_configENS1_38merge_sort_block_merge_config_selectorIxNS0_10empty_typeEEEZZNS1_27merge_sort_block_merge_implIS3_N6thrust23THRUST_200600_302600_NS6detail15normal_iteratorINS9_10device_ptrIxEEEEPS5_jNS1_19radix_merge_compareILb0ELb0ExNS0_19identity_decomposerEEEEE10hipError_tT0_T1_T2_jT3_P12ihipStream_tbPNSt15iterator_traitsISK_E10value_typeEPNSQ_ISL_E10value_typeEPSM_NS1_7vsmem_tEENKUlT_SK_SL_SM_E_clISE_PxSF_SF_EESJ_SZ_SK_SL_SM_EUlSZ_E_NS1_11comp_targetILNS1_3genE9ELNS1_11target_archE1100ELNS1_3gpuE3ELNS1_3repE0EEENS1_48merge_mergepath_partition_config_static_selectorELNS0_4arch9wavefront6targetE1EEEvSL_: ; @_ZN7rocprim17ROCPRIM_400000_NS6detail17trampoline_kernelINS0_14default_configENS1_38merge_sort_block_merge_config_selectorIxNS0_10empty_typeEEEZZNS1_27merge_sort_block_merge_implIS3_N6thrust23THRUST_200600_302600_NS6detail15normal_iteratorINS9_10device_ptrIxEEEEPS5_jNS1_19radix_merge_compareILb0ELb0ExNS0_19identity_decomposerEEEEE10hipError_tT0_T1_T2_jT3_P12ihipStream_tbPNSt15iterator_traitsISK_E10value_typeEPNSQ_ISL_E10value_typeEPSM_NS1_7vsmem_tEENKUlT_SK_SL_SM_E_clISE_PxSF_SF_EESJ_SZ_SK_SL_SM_EUlSZ_E_NS1_11comp_targetILNS1_3genE9ELNS1_11target_archE1100ELNS1_3gpuE3ELNS1_3repE0EEENS1_48merge_mergepath_partition_config_static_selectorELNS0_4arch9wavefront6targetE1EEEvSL_
; %bb.0:
	.section	.rodata,"a",@progbits
	.p2align	6, 0x0
	.amdhsa_kernel _ZN7rocprim17ROCPRIM_400000_NS6detail17trampoline_kernelINS0_14default_configENS1_38merge_sort_block_merge_config_selectorIxNS0_10empty_typeEEEZZNS1_27merge_sort_block_merge_implIS3_N6thrust23THRUST_200600_302600_NS6detail15normal_iteratorINS9_10device_ptrIxEEEEPS5_jNS1_19radix_merge_compareILb0ELb0ExNS0_19identity_decomposerEEEEE10hipError_tT0_T1_T2_jT3_P12ihipStream_tbPNSt15iterator_traitsISK_E10value_typeEPNSQ_ISL_E10value_typeEPSM_NS1_7vsmem_tEENKUlT_SK_SL_SM_E_clISE_PxSF_SF_EESJ_SZ_SK_SL_SM_EUlSZ_E_NS1_11comp_targetILNS1_3genE9ELNS1_11target_archE1100ELNS1_3gpuE3ELNS1_3repE0EEENS1_48merge_mergepath_partition_config_static_selectorELNS0_4arch9wavefront6targetE1EEEvSL_
		.amdhsa_group_segment_fixed_size 0
		.amdhsa_private_segment_fixed_size 0
		.amdhsa_kernarg_size 40
		.amdhsa_user_sgpr_count 6
		.amdhsa_user_sgpr_private_segment_buffer 1
		.amdhsa_user_sgpr_dispatch_ptr 0
		.amdhsa_user_sgpr_queue_ptr 0
		.amdhsa_user_sgpr_kernarg_segment_ptr 1
		.amdhsa_user_sgpr_dispatch_id 0
		.amdhsa_user_sgpr_flat_scratch_init 0
		.amdhsa_user_sgpr_kernarg_preload_length 0
		.amdhsa_user_sgpr_kernarg_preload_offset 0
		.amdhsa_user_sgpr_private_segment_size 0
		.amdhsa_uses_dynamic_stack 0
		.amdhsa_system_sgpr_private_segment_wavefront_offset 0
		.amdhsa_system_sgpr_workgroup_id_x 1
		.amdhsa_system_sgpr_workgroup_id_y 0
		.amdhsa_system_sgpr_workgroup_id_z 0
		.amdhsa_system_sgpr_workgroup_info 0
		.amdhsa_system_vgpr_workitem_id 0
		.amdhsa_next_free_vgpr 1
		.amdhsa_next_free_sgpr 0
		.amdhsa_accum_offset 4
		.amdhsa_reserve_vcc 0
		.amdhsa_reserve_flat_scratch 0
		.amdhsa_float_round_mode_32 0
		.amdhsa_float_round_mode_16_64 0
		.amdhsa_float_denorm_mode_32 3
		.amdhsa_float_denorm_mode_16_64 3
		.amdhsa_dx10_clamp 1
		.amdhsa_ieee_mode 1
		.amdhsa_fp16_overflow 0
		.amdhsa_tg_split 0
		.amdhsa_exception_fp_ieee_invalid_op 0
		.amdhsa_exception_fp_denorm_src 0
		.amdhsa_exception_fp_ieee_div_zero 0
		.amdhsa_exception_fp_ieee_overflow 0
		.amdhsa_exception_fp_ieee_underflow 0
		.amdhsa_exception_fp_ieee_inexact 0
		.amdhsa_exception_int_div_zero 0
	.end_amdhsa_kernel
	.section	.text._ZN7rocprim17ROCPRIM_400000_NS6detail17trampoline_kernelINS0_14default_configENS1_38merge_sort_block_merge_config_selectorIxNS0_10empty_typeEEEZZNS1_27merge_sort_block_merge_implIS3_N6thrust23THRUST_200600_302600_NS6detail15normal_iteratorINS9_10device_ptrIxEEEEPS5_jNS1_19radix_merge_compareILb0ELb0ExNS0_19identity_decomposerEEEEE10hipError_tT0_T1_T2_jT3_P12ihipStream_tbPNSt15iterator_traitsISK_E10value_typeEPNSQ_ISL_E10value_typeEPSM_NS1_7vsmem_tEENKUlT_SK_SL_SM_E_clISE_PxSF_SF_EESJ_SZ_SK_SL_SM_EUlSZ_E_NS1_11comp_targetILNS1_3genE9ELNS1_11target_archE1100ELNS1_3gpuE3ELNS1_3repE0EEENS1_48merge_mergepath_partition_config_static_selectorELNS0_4arch9wavefront6targetE1EEEvSL_,"axG",@progbits,_ZN7rocprim17ROCPRIM_400000_NS6detail17trampoline_kernelINS0_14default_configENS1_38merge_sort_block_merge_config_selectorIxNS0_10empty_typeEEEZZNS1_27merge_sort_block_merge_implIS3_N6thrust23THRUST_200600_302600_NS6detail15normal_iteratorINS9_10device_ptrIxEEEEPS5_jNS1_19radix_merge_compareILb0ELb0ExNS0_19identity_decomposerEEEEE10hipError_tT0_T1_T2_jT3_P12ihipStream_tbPNSt15iterator_traitsISK_E10value_typeEPNSQ_ISL_E10value_typeEPSM_NS1_7vsmem_tEENKUlT_SK_SL_SM_E_clISE_PxSF_SF_EESJ_SZ_SK_SL_SM_EUlSZ_E_NS1_11comp_targetILNS1_3genE9ELNS1_11target_archE1100ELNS1_3gpuE3ELNS1_3repE0EEENS1_48merge_mergepath_partition_config_static_selectorELNS0_4arch9wavefront6targetE1EEEvSL_,comdat
.Lfunc_end1440:
	.size	_ZN7rocprim17ROCPRIM_400000_NS6detail17trampoline_kernelINS0_14default_configENS1_38merge_sort_block_merge_config_selectorIxNS0_10empty_typeEEEZZNS1_27merge_sort_block_merge_implIS3_N6thrust23THRUST_200600_302600_NS6detail15normal_iteratorINS9_10device_ptrIxEEEEPS5_jNS1_19radix_merge_compareILb0ELb0ExNS0_19identity_decomposerEEEEE10hipError_tT0_T1_T2_jT3_P12ihipStream_tbPNSt15iterator_traitsISK_E10value_typeEPNSQ_ISL_E10value_typeEPSM_NS1_7vsmem_tEENKUlT_SK_SL_SM_E_clISE_PxSF_SF_EESJ_SZ_SK_SL_SM_EUlSZ_E_NS1_11comp_targetILNS1_3genE9ELNS1_11target_archE1100ELNS1_3gpuE3ELNS1_3repE0EEENS1_48merge_mergepath_partition_config_static_selectorELNS0_4arch9wavefront6targetE1EEEvSL_, .Lfunc_end1440-_ZN7rocprim17ROCPRIM_400000_NS6detail17trampoline_kernelINS0_14default_configENS1_38merge_sort_block_merge_config_selectorIxNS0_10empty_typeEEEZZNS1_27merge_sort_block_merge_implIS3_N6thrust23THRUST_200600_302600_NS6detail15normal_iteratorINS9_10device_ptrIxEEEEPS5_jNS1_19radix_merge_compareILb0ELb0ExNS0_19identity_decomposerEEEEE10hipError_tT0_T1_T2_jT3_P12ihipStream_tbPNSt15iterator_traitsISK_E10value_typeEPNSQ_ISL_E10value_typeEPSM_NS1_7vsmem_tEENKUlT_SK_SL_SM_E_clISE_PxSF_SF_EESJ_SZ_SK_SL_SM_EUlSZ_E_NS1_11comp_targetILNS1_3genE9ELNS1_11target_archE1100ELNS1_3gpuE3ELNS1_3repE0EEENS1_48merge_mergepath_partition_config_static_selectorELNS0_4arch9wavefront6targetE1EEEvSL_
                                        ; -- End function
	.section	.AMDGPU.csdata,"",@progbits
; Kernel info:
; codeLenInByte = 0
; NumSgprs: 4
; NumVgprs: 0
; NumAgprs: 0
; TotalNumVgprs: 0
; ScratchSize: 0
; MemoryBound: 0
; FloatMode: 240
; IeeeMode: 1
; LDSByteSize: 0 bytes/workgroup (compile time only)
; SGPRBlocks: 0
; VGPRBlocks: 0
; NumSGPRsForWavesPerEU: 4
; NumVGPRsForWavesPerEU: 1
; AccumOffset: 4
; Occupancy: 8
; WaveLimiterHint : 0
; COMPUTE_PGM_RSRC2:SCRATCH_EN: 0
; COMPUTE_PGM_RSRC2:USER_SGPR: 6
; COMPUTE_PGM_RSRC2:TRAP_HANDLER: 0
; COMPUTE_PGM_RSRC2:TGID_X_EN: 1
; COMPUTE_PGM_RSRC2:TGID_Y_EN: 0
; COMPUTE_PGM_RSRC2:TGID_Z_EN: 0
; COMPUTE_PGM_RSRC2:TIDIG_COMP_CNT: 0
; COMPUTE_PGM_RSRC3_GFX90A:ACCUM_OFFSET: 0
; COMPUTE_PGM_RSRC3_GFX90A:TG_SPLIT: 0
	.section	.text._ZN7rocprim17ROCPRIM_400000_NS6detail17trampoline_kernelINS0_14default_configENS1_38merge_sort_block_merge_config_selectorIxNS0_10empty_typeEEEZZNS1_27merge_sort_block_merge_implIS3_N6thrust23THRUST_200600_302600_NS6detail15normal_iteratorINS9_10device_ptrIxEEEEPS5_jNS1_19radix_merge_compareILb0ELb0ExNS0_19identity_decomposerEEEEE10hipError_tT0_T1_T2_jT3_P12ihipStream_tbPNSt15iterator_traitsISK_E10value_typeEPNSQ_ISL_E10value_typeEPSM_NS1_7vsmem_tEENKUlT_SK_SL_SM_E_clISE_PxSF_SF_EESJ_SZ_SK_SL_SM_EUlSZ_E_NS1_11comp_targetILNS1_3genE8ELNS1_11target_archE1030ELNS1_3gpuE2ELNS1_3repE0EEENS1_48merge_mergepath_partition_config_static_selectorELNS0_4arch9wavefront6targetE1EEEvSL_,"axG",@progbits,_ZN7rocprim17ROCPRIM_400000_NS6detail17trampoline_kernelINS0_14default_configENS1_38merge_sort_block_merge_config_selectorIxNS0_10empty_typeEEEZZNS1_27merge_sort_block_merge_implIS3_N6thrust23THRUST_200600_302600_NS6detail15normal_iteratorINS9_10device_ptrIxEEEEPS5_jNS1_19radix_merge_compareILb0ELb0ExNS0_19identity_decomposerEEEEE10hipError_tT0_T1_T2_jT3_P12ihipStream_tbPNSt15iterator_traitsISK_E10value_typeEPNSQ_ISL_E10value_typeEPSM_NS1_7vsmem_tEENKUlT_SK_SL_SM_E_clISE_PxSF_SF_EESJ_SZ_SK_SL_SM_EUlSZ_E_NS1_11comp_targetILNS1_3genE8ELNS1_11target_archE1030ELNS1_3gpuE2ELNS1_3repE0EEENS1_48merge_mergepath_partition_config_static_selectorELNS0_4arch9wavefront6targetE1EEEvSL_,comdat
	.protected	_ZN7rocprim17ROCPRIM_400000_NS6detail17trampoline_kernelINS0_14default_configENS1_38merge_sort_block_merge_config_selectorIxNS0_10empty_typeEEEZZNS1_27merge_sort_block_merge_implIS3_N6thrust23THRUST_200600_302600_NS6detail15normal_iteratorINS9_10device_ptrIxEEEEPS5_jNS1_19radix_merge_compareILb0ELb0ExNS0_19identity_decomposerEEEEE10hipError_tT0_T1_T2_jT3_P12ihipStream_tbPNSt15iterator_traitsISK_E10value_typeEPNSQ_ISL_E10value_typeEPSM_NS1_7vsmem_tEENKUlT_SK_SL_SM_E_clISE_PxSF_SF_EESJ_SZ_SK_SL_SM_EUlSZ_E_NS1_11comp_targetILNS1_3genE8ELNS1_11target_archE1030ELNS1_3gpuE2ELNS1_3repE0EEENS1_48merge_mergepath_partition_config_static_selectorELNS0_4arch9wavefront6targetE1EEEvSL_ ; -- Begin function _ZN7rocprim17ROCPRIM_400000_NS6detail17trampoline_kernelINS0_14default_configENS1_38merge_sort_block_merge_config_selectorIxNS0_10empty_typeEEEZZNS1_27merge_sort_block_merge_implIS3_N6thrust23THRUST_200600_302600_NS6detail15normal_iteratorINS9_10device_ptrIxEEEEPS5_jNS1_19radix_merge_compareILb0ELb0ExNS0_19identity_decomposerEEEEE10hipError_tT0_T1_T2_jT3_P12ihipStream_tbPNSt15iterator_traitsISK_E10value_typeEPNSQ_ISL_E10value_typeEPSM_NS1_7vsmem_tEENKUlT_SK_SL_SM_E_clISE_PxSF_SF_EESJ_SZ_SK_SL_SM_EUlSZ_E_NS1_11comp_targetILNS1_3genE8ELNS1_11target_archE1030ELNS1_3gpuE2ELNS1_3repE0EEENS1_48merge_mergepath_partition_config_static_selectorELNS0_4arch9wavefront6targetE1EEEvSL_
	.globl	_ZN7rocprim17ROCPRIM_400000_NS6detail17trampoline_kernelINS0_14default_configENS1_38merge_sort_block_merge_config_selectorIxNS0_10empty_typeEEEZZNS1_27merge_sort_block_merge_implIS3_N6thrust23THRUST_200600_302600_NS6detail15normal_iteratorINS9_10device_ptrIxEEEEPS5_jNS1_19radix_merge_compareILb0ELb0ExNS0_19identity_decomposerEEEEE10hipError_tT0_T1_T2_jT3_P12ihipStream_tbPNSt15iterator_traitsISK_E10value_typeEPNSQ_ISL_E10value_typeEPSM_NS1_7vsmem_tEENKUlT_SK_SL_SM_E_clISE_PxSF_SF_EESJ_SZ_SK_SL_SM_EUlSZ_E_NS1_11comp_targetILNS1_3genE8ELNS1_11target_archE1030ELNS1_3gpuE2ELNS1_3repE0EEENS1_48merge_mergepath_partition_config_static_selectorELNS0_4arch9wavefront6targetE1EEEvSL_
	.p2align	8
	.type	_ZN7rocprim17ROCPRIM_400000_NS6detail17trampoline_kernelINS0_14default_configENS1_38merge_sort_block_merge_config_selectorIxNS0_10empty_typeEEEZZNS1_27merge_sort_block_merge_implIS3_N6thrust23THRUST_200600_302600_NS6detail15normal_iteratorINS9_10device_ptrIxEEEEPS5_jNS1_19radix_merge_compareILb0ELb0ExNS0_19identity_decomposerEEEEE10hipError_tT0_T1_T2_jT3_P12ihipStream_tbPNSt15iterator_traitsISK_E10value_typeEPNSQ_ISL_E10value_typeEPSM_NS1_7vsmem_tEENKUlT_SK_SL_SM_E_clISE_PxSF_SF_EESJ_SZ_SK_SL_SM_EUlSZ_E_NS1_11comp_targetILNS1_3genE8ELNS1_11target_archE1030ELNS1_3gpuE2ELNS1_3repE0EEENS1_48merge_mergepath_partition_config_static_selectorELNS0_4arch9wavefront6targetE1EEEvSL_,@function
_ZN7rocprim17ROCPRIM_400000_NS6detail17trampoline_kernelINS0_14default_configENS1_38merge_sort_block_merge_config_selectorIxNS0_10empty_typeEEEZZNS1_27merge_sort_block_merge_implIS3_N6thrust23THRUST_200600_302600_NS6detail15normal_iteratorINS9_10device_ptrIxEEEEPS5_jNS1_19radix_merge_compareILb0ELb0ExNS0_19identity_decomposerEEEEE10hipError_tT0_T1_T2_jT3_P12ihipStream_tbPNSt15iterator_traitsISK_E10value_typeEPNSQ_ISL_E10value_typeEPSM_NS1_7vsmem_tEENKUlT_SK_SL_SM_E_clISE_PxSF_SF_EESJ_SZ_SK_SL_SM_EUlSZ_E_NS1_11comp_targetILNS1_3genE8ELNS1_11target_archE1030ELNS1_3gpuE2ELNS1_3repE0EEENS1_48merge_mergepath_partition_config_static_selectorELNS0_4arch9wavefront6targetE1EEEvSL_: ; @_ZN7rocprim17ROCPRIM_400000_NS6detail17trampoline_kernelINS0_14default_configENS1_38merge_sort_block_merge_config_selectorIxNS0_10empty_typeEEEZZNS1_27merge_sort_block_merge_implIS3_N6thrust23THRUST_200600_302600_NS6detail15normal_iteratorINS9_10device_ptrIxEEEEPS5_jNS1_19radix_merge_compareILb0ELb0ExNS0_19identity_decomposerEEEEE10hipError_tT0_T1_T2_jT3_P12ihipStream_tbPNSt15iterator_traitsISK_E10value_typeEPNSQ_ISL_E10value_typeEPSM_NS1_7vsmem_tEENKUlT_SK_SL_SM_E_clISE_PxSF_SF_EESJ_SZ_SK_SL_SM_EUlSZ_E_NS1_11comp_targetILNS1_3genE8ELNS1_11target_archE1030ELNS1_3gpuE2ELNS1_3repE0EEENS1_48merge_mergepath_partition_config_static_selectorELNS0_4arch9wavefront6targetE1EEEvSL_
; %bb.0:
	.section	.rodata,"a",@progbits
	.p2align	6, 0x0
	.amdhsa_kernel _ZN7rocprim17ROCPRIM_400000_NS6detail17trampoline_kernelINS0_14default_configENS1_38merge_sort_block_merge_config_selectorIxNS0_10empty_typeEEEZZNS1_27merge_sort_block_merge_implIS3_N6thrust23THRUST_200600_302600_NS6detail15normal_iteratorINS9_10device_ptrIxEEEEPS5_jNS1_19radix_merge_compareILb0ELb0ExNS0_19identity_decomposerEEEEE10hipError_tT0_T1_T2_jT3_P12ihipStream_tbPNSt15iterator_traitsISK_E10value_typeEPNSQ_ISL_E10value_typeEPSM_NS1_7vsmem_tEENKUlT_SK_SL_SM_E_clISE_PxSF_SF_EESJ_SZ_SK_SL_SM_EUlSZ_E_NS1_11comp_targetILNS1_3genE8ELNS1_11target_archE1030ELNS1_3gpuE2ELNS1_3repE0EEENS1_48merge_mergepath_partition_config_static_selectorELNS0_4arch9wavefront6targetE1EEEvSL_
		.amdhsa_group_segment_fixed_size 0
		.amdhsa_private_segment_fixed_size 0
		.amdhsa_kernarg_size 40
		.amdhsa_user_sgpr_count 6
		.amdhsa_user_sgpr_private_segment_buffer 1
		.amdhsa_user_sgpr_dispatch_ptr 0
		.amdhsa_user_sgpr_queue_ptr 0
		.amdhsa_user_sgpr_kernarg_segment_ptr 1
		.amdhsa_user_sgpr_dispatch_id 0
		.amdhsa_user_sgpr_flat_scratch_init 0
		.amdhsa_user_sgpr_kernarg_preload_length 0
		.amdhsa_user_sgpr_kernarg_preload_offset 0
		.amdhsa_user_sgpr_private_segment_size 0
		.amdhsa_uses_dynamic_stack 0
		.amdhsa_system_sgpr_private_segment_wavefront_offset 0
		.amdhsa_system_sgpr_workgroup_id_x 1
		.amdhsa_system_sgpr_workgroup_id_y 0
		.amdhsa_system_sgpr_workgroup_id_z 0
		.amdhsa_system_sgpr_workgroup_info 0
		.amdhsa_system_vgpr_workitem_id 0
		.amdhsa_next_free_vgpr 1
		.amdhsa_next_free_sgpr 0
		.amdhsa_accum_offset 4
		.amdhsa_reserve_vcc 0
		.amdhsa_reserve_flat_scratch 0
		.amdhsa_float_round_mode_32 0
		.amdhsa_float_round_mode_16_64 0
		.amdhsa_float_denorm_mode_32 3
		.amdhsa_float_denorm_mode_16_64 3
		.amdhsa_dx10_clamp 1
		.amdhsa_ieee_mode 1
		.amdhsa_fp16_overflow 0
		.amdhsa_tg_split 0
		.amdhsa_exception_fp_ieee_invalid_op 0
		.amdhsa_exception_fp_denorm_src 0
		.amdhsa_exception_fp_ieee_div_zero 0
		.amdhsa_exception_fp_ieee_overflow 0
		.amdhsa_exception_fp_ieee_underflow 0
		.amdhsa_exception_fp_ieee_inexact 0
		.amdhsa_exception_int_div_zero 0
	.end_amdhsa_kernel
	.section	.text._ZN7rocprim17ROCPRIM_400000_NS6detail17trampoline_kernelINS0_14default_configENS1_38merge_sort_block_merge_config_selectorIxNS0_10empty_typeEEEZZNS1_27merge_sort_block_merge_implIS3_N6thrust23THRUST_200600_302600_NS6detail15normal_iteratorINS9_10device_ptrIxEEEEPS5_jNS1_19radix_merge_compareILb0ELb0ExNS0_19identity_decomposerEEEEE10hipError_tT0_T1_T2_jT3_P12ihipStream_tbPNSt15iterator_traitsISK_E10value_typeEPNSQ_ISL_E10value_typeEPSM_NS1_7vsmem_tEENKUlT_SK_SL_SM_E_clISE_PxSF_SF_EESJ_SZ_SK_SL_SM_EUlSZ_E_NS1_11comp_targetILNS1_3genE8ELNS1_11target_archE1030ELNS1_3gpuE2ELNS1_3repE0EEENS1_48merge_mergepath_partition_config_static_selectorELNS0_4arch9wavefront6targetE1EEEvSL_,"axG",@progbits,_ZN7rocprim17ROCPRIM_400000_NS6detail17trampoline_kernelINS0_14default_configENS1_38merge_sort_block_merge_config_selectorIxNS0_10empty_typeEEEZZNS1_27merge_sort_block_merge_implIS3_N6thrust23THRUST_200600_302600_NS6detail15normal_iteratorINS9_10device_ptrIxEEEEPS5_jNS1_19radix_merge_compareILb0ELb0ExNS0_19identity_decomposerEEEEE10hipError_tT0_T1_T2_jT3_P12ihipStream_tbPNSt15iterator_traitsISK_E10value_typeEPNSQ_ISL_E10value_typeEPSM_NS1_7vsmem_tEENKUlT_SK_SL_SM_E_clISE_PxSF_SF_EESJ_SZ_SK_SL_SM_EUlSZ_E_NS1_11comp_targetILNS1_3genE8ELNS1_11target_archE1030ELNS1_3gpuE2ELNS1_3repE0EEENS1_48merge_mergepath_partition_config_static_selectorELNS0_4arch9wavefront6targetE1EEEvSL_,comdat
.Lfunc_end1441:
	.size	_ZN7rocprim17ROCPRIM_400000_NS6detail17trampoline_kernelINS0_14default_configENS1_38merge_sort_block_merge_config_selectorIxNS0_10empty_typeEEEZZNS1_27merge_sort_block_merge_implIS3_N6thrust23THRUST_200600_302600_NS6detail15normal_iteratorINS9_10device_ptrIxEEEEPS5_jNS1_19radix_merge_compareILb0ELb0ExNS0_19identity_decomposerEEEEE10hipError_tT0_T1_T2_jT3_P12ihipStream_tbPNSt15iterator_traitsISK_E10value_typeEPNSQ_ISL_E10value_typeEPSM_NS1_7vsmem_tEENKUlT_SK_SL_SM_E_clISE_PxSF_SF_EESJ_SZ_SK_SL_SM_EUlSZ_E_NS1_11comp_targetILNS1_3genE8ELNS1_11target_archE1030ELNS1_3gpuE2ELNS1_3repE0EEENS1_48merge_mergepath_partition_config_static_selectorELNS0_4arch9wavefront6targetE1EEEvSL_, .Lfunc_end1441-_ZN7rocprim17ROCPRIM_400000_NS6detail17trampoline_kernelINS0_14default_configENS1_38merge_sort_block_merge_config_selectorIxNS0_10empty_typeEEEZZNS1_27merge_sort_block_merge_implIS3_N6thrust23THRUST_200600_302600_NS6detail15normal_iteratorINS9_10device_ptrIxEEEEPS5_jNS1_19radix_merge_compareILb0ELb0ExNS0_19identity_decomposerEEEEE10hipError_tT0_T1_T2_jT3_P12ihipStream_tbPNSt15iterator_traitsISK_E10value_typeEPNSQ_ISL_E10value_typeEPSM_NS1_7vsmem_tEENKUlT_SK_SL_SM_E_clISE_PxSF_SF_EESJ_SZ_SK_SL_SM_EUlSZ_E_NS1_11comp_targetILNS1_3genE8ELNS1_11target_archE1030ELNS1_3gpuE2ELNS1_3repE0EEENS1_48merge_mergepath_partition_config_static_selectorELNS0_4arch9wavefront6targetE1EEEvSL_
                                        ; -- End function
	.section	.AMDGPU.csdata,"",@progbits
; Kernel info:
; codeLenInByte = 0
; NumSgprs: 4
; NumVgprs: 0
; NumAgprs: 0
; TotalNumVgprs: 0
; ScratchSize: 0
; MemoryBound: 0
; FloatMode: 240
; IeeeMode: 1
; LDSByteSize: 0 bytes/workgroup (compile time only)
; SGPRBlocks: 0
; VGPRBlocks: 0
; NumSGPRsForWavesPerEU: 4
; NumVGPRsForWavesPerEU: 1
; AccumOffset: 4
; Occupancy: 8
; WaveLimiterHint : 0
; COMPUTE_PGM_RSRC2:SCRATCH_EN: 0
; COMPUTE_PGM_RSRC2:USER_SGPR: 6
; COMPUTE_PGM_RSRC2:TRAP_HANDLER: 0
; COMPUTE_PGM_RSRC2:TGID_X_EN: 1
; COMPUTE_PGM_RSRC2:TGID_Y_EN: 0
; COMPUTE_PGM_RSRC2:TGID_Z_EN: 0
; COMPUTE_PGM_RSRC2:TIDIG_COMP_CNT: 0
; COMPUTE_PGM_RSRC3_GFX90A:ACCUM_OFFSET: 0
; COMPUTE_PGM_RSRC3_GFX90A:TG_SPLIT: 0
	.section	.text._ZN7rocprim17ROCPRIM_400000_NS6detail17trampoline_kernelINS0_14default_configENS1_38merge_sort_block_merge_config_selectorIxNS0_10empty_typeEEEZZNS1_27merge_sort_block_merge_implIS3_N6thrust23THRUST_200600_302600_NS6detail15normal_iteratorINS9_10device_ptrIxEEEEPS5_jNS1_19radix_merge_compareILb0ELb0ExNS0_19identity_decomposerEEEEE10hipError_tT0_T1_T2_jT3_P12ihipStream_tbPNSt15iterator_traitsISK_E10value_typeEPNSQ_ISL_E10value_typeEPSM_NS1_7vsmem_tEENKUlT_SK_SL_SM_E_clISE_PxSF_SF_EESJ_SZ_SK_SL_SM_EUlSZ_E0_NS1_11comp_targetILNS1_3genE0ELNS1_11target_archE4294967295ELNS1_3gpuE0ELNS1_3repE0EEENS1_38merge_mergepath_config_static_selectorELNS0_4arch9wavefront6targetE1EEEvSL_,"axG",@progbits,_ZN7rocprim17ROCPRIM_400000_NS6detail17trampoline_kernelINS0_14default_configENS1_38merge_sort_block_merge_config_selectorIxNS0_10empty_typeEEEZZNS1_27merge_sort_block_merge_implIS3_N6thrust23THRUST_200600_302600_NS6detail15normal_iteratorINS9_10device_ptrIxEEEEPS5_jNS1_19radix_merge_compareILb0ELb0ExNS0_19identity_decomposerEEEEE10hipError_tT0_T1_T2_jT3_P12ihipStream_tbPNSt15iterator_traitsISK_E10value_typeEPNSQ_ISL_E10value_typeEPSM_NS1_7vsmem_tEENKUlT_SK_SL_SM_E_clISE_PxSF_SF_EESJ_SZ_SK_SL_SM_EUlSZ_E0_NS1_11comp_targetILNS1_3genE0ELNS1_11target_archE4294967295ELNS1_3gpuE0ELNS1_3repE0EEENS1_38merge_mergepath_config_static_selectorELNS0_4arch9wavefront6targetE1EEEvSL_,comdat
	.protected	_ZN7rocprim17ROCPRIM_400000_NS6detail17trampoline_kernelINS0_14default_configENS1_38merge_sort_block_merge_config_selectorIxNS0_10empty_typeEEEZZNS1_27merge_sort_block_merge_implIS3_N6thrust23THRUST_200600_302600_NS6detail15normal_iteratorINS9_10device_ptrIxEEEEPS5_jNS1_19radix_merge_compareILb0ELb0ExNS0_19identity_decomposerEEEEE10hipError_tT0_T1_T2_jT3_P12ihipStream_tbPNSt15iterator_traitsISK_E10value_typeEPNSQ_ISL_E10value_typeEPSM_NS1_7vsmem_tEENKUlT_SK_SL_SM_E_clISE_PxSF_SF_EESJ_SZ_SK_SL_SM_EUlSZ_E0_NS1_11comp_targetILNS1_3genE0ELNS1_11target_archE4294967295ELNS1_3gpuE0ELNS1_3repE0EEENS1_38merge_mergepath_config_static_selectorELNS0_4arch9wavefront6targetE1EEEvSL_ ; -- Begin function _ZN7rocprim17ROCPRIM_400000_NS6detail17trampoline_kernelINS0_14default_configENS1_38merge_sort_block_merge_config_selectorIxNS0_10empty_typeEEEZZNS1_27merge_sort_block_merge_implIS3_N6thrust23THRUST_200600_302600_NS6detail15normal_iteratorINS9_10device_ptrIxEEEEPS5_jNS1_19radix_merge_compareILb0ELb0ExNS0_19identity_decomposerEEEEE10hipError_tT0_T1_T2_jT3_P12ihipStream_tbPNSt15iterator_traitsISK_E10value_typeEPNSQ_ISL_E10value_typeEPSM_NS1_7vsmem_tEENKUlT_SK_SL_SM_E_clISE_PxSF_SF_EESJ_SZ_SK_SL_SM_EUlSZ_E0_NS1_11comp_targetILNS1_3genE0ELNS1_11target_archE4294967295ELNS1_3gpuE0ELNS1_3repE0EEENS1_38merge_mergepath_config_static_selectorELNS0_4arch9wavefront6targetE1EEEvSL_
	.globl	_ZN7rocprim17ROCPRIM_400000_NS6detail17trampoline_kernelINS0_14default_configENS1_38merge_sort_block_merge_config_selectorIxNS0_10empty_typeEEEZZNS1_27merge_sort_block_merge_implIS3_N6thrust23THRUST_200600_302600_NS6detail15normal_iteratorINS9_10device_ptrIxEEEEPS5_jNS1_19radix_merge_compareILb0ELb0ExNS0_19identity_decomposerEEEEE10hipError_tT0_T1_T2_jT3_P12ihipStream_tbPNSt15iterator_traitsISK_E10value_typeEPNSQ_ISL_E10value_typeEPSM_NS1_7vsmem_tEENKUlT_SK_SL_SM_E_clISE_PxSF_SF_EESJ_SZ_SK_SL_SM_EUlSZ_E0_NS1_11comp_targetILNS1_3genE0ELNS1_11target_archE4294967295ELNS1_3gpuE0ELNS1_3repE0EEENS1_38merge_mergepath_config_static_selectorELNS0_4arch9wavefront6targetE1EEEvSL_
	.p2align	8
	.type	_ZN7rocprim17ROCPRIM_400000_NS6detail17trampoline_kernelINS0_14default_configENS1_38merge_sort_block_merge_config_selectorIxNS0_10empty_typeEEEZZNS1_27merge_sort_block_merge_implIS3_N6thrust23THRUST_200600_302600_NS6detail15normal_iteratorINS9_10device_ptrIxEEEEPS5_jNS1_19radix_merge_compareILb0ELb0ExNS0_19identity_decomposerEEEEE10hipError_tT0_T1_T2_jT3_P12ihipStream_tbPNSt15iterator_traitsISK_E10value_typeEPNSQ_ISL_E10value_typeEPSM_NS1_7vsmem_tEENKUlT_SK_SL_SM_E_clISE_PxSF_SF_EESJ_SZ_SK_SL_SM_EUlSZ_E0_NS1_11comp_targetILNS1_3genE0ELNS1_11target_archE4294967295ELNS1_3gpuE0ELNS1_3repE0EEENS1_38merge_mergepath_config_static_selectorELNS0_4arch9wavefront6targetE1EEEvSL_,@function
_ZN7rocprim17ROCPRIM_400000_NS6detail17trampoline_kernelINS0_14default_configENS1_38merge_sort_block_merge_config_selectorIxNS0_10empty_typeEEEZZNS1_27merge_sort_block_merge_implIS3_N6thrust23THRUST_200600_302600_NS6detail15normal_iteratorINS9_10device_ptrIxEEEEPS5_jNS1_19radix_merge_compareILb0ELb0ExNS0_19identity_decomposerEEEEE10hipError_tT0_T1_T2_jT3_P12ihipStream_tbPNSt15iterator_traitsISK_E10value_typeEPNSQ_ISL_E10value_typeEPSM_NS1_7vsmem_tEENKUlT_SK_SL_SM_E_clISE_PxSF_SF_EESJ_SZ_SK_SL_SM_EUlSZ_E0_NS1_11comp_targetILNS1_3genE0ELNS1_11target_archE4294967295ELNS1_3gpuE0ELNS1_3repE0EEENS1_38merge_mergepath_config_static_selectorELNS0_4arch9wavefront6targetE1EEEvSL_: ; @_ZN7rocprim17ROCPRIM_400000_NS6detail17trampoline_kernelINS0_14default_configENS1_38merge_sort_block_merge_config_selectorIxNS0_10empty_typeEEEZZNS1_27merge_sort_block_merge_implIS3_N6thrust23THRUST_200600_302600_NS6detail15normal_iteratorINS9_10device_ptrIxEEEEPS5_jNS1_19radix_merge_compareILb0ELb0ExNS0_19identity_decomposerEEEEE10hipError_tT0_T1_T2_jT3_P12ihipStream_tbPNSt15iterator_traitsISK_E10value_typeEPNSQ_ISL_E10value_typeEPSM_NS1_7vsmem_tEENKUlT_SK_SL_SM_E_clISE_PxSF_SF_EESJ_SZ_SK_SL_SM_EUlSZ_E0_NS1_11comp_targetILNS1_3genE0ELNS1_11target_archE4294967295ELNS1_3gpuE0ELNS1_3repE0EEENS1_38merge_mergepath_config_static_selectorELNS0_4arch9wavefront6targetE1EEEvSL_
; %bb.0:
	.section	.rodata,"a",@progbits
	.p2align	6, 0x0
	.amdhsa_kernel _ZN7rocprim17ROCPRIM_400000_NS6detail17trampoline_kernelINS0_14default_configENS1_38merge_sort_block_merge_config_selectorIxNS0_10empty_typeEEEZZNS1_27merge_sort_block_merge_implIS3_N6thrust23THRUST_200600_302600_NS6detail15normal_iteratorINS9_10device_ptrIxEEEEPS5_jNS1_19radix_merge_compareILb0ELb0ExNS0_19identity_decomposerEEEEE10hipError_tT0_T1_T2_jT3_P12ihipStream_tbPNSt15iterator_traitsISK_E10value_typeEPNSQ_ISL_E10value_typeEPSM_NS1_7vsmem_tEENKUlT_SK_SL_SM_E_clISE_PxSF_SF_EESJ_SZ_SK_SL_SM_EUlSZ_E0_NS1_11comp_targetILNS1_3genE0ELNS1_11target_archE4294967295ELNS1_3gpuE0ELNS1_3repE0EEENS1_38merge_mergepath_config_static_selectorELNS0_4arch9wavefront6targetE1EEEvSL_
		.amdhsa_group_segment_fixed_size 0
		.amdhsa_private_segment_fixed_size 0
		.amdhsa_kernarg_size 64
		.amdhsa_user_sgpr_count 6
		.amdhsa_user_sgpr_private_segment_buffer 1
		.amdhsa_user_sgpr_dispatch_ptr 0
		.amdhsa_user_sgpr_queue_ptr 0
		.amdhsa_user_sgpr_kernarg_segment_ptr 1
		.amdhsa_user_sgpr_dispatch_id 0
		.amdhsa_user_sgpr_flat_scratch_init 0
		.amdhsa_user_sgpr_kernarg_preload_length 0
		.amdhsa_user_sgpr_kernarg_preload_offset 0
		.amdhsa_user_sgpr_private_segment_size 0
		.amdhsa_uses_dynamic_stack 0
		.amdhsa_system_sgpr_private_segment_wavefront_offset 0
		.amdhsa_system_sgpr_workgroup_id_x 1
		.amdhsa_system_sgpr_workgroup_id_y 0
		.amdhsa_system_sgpr_workgroup_id_z 0
		.amdhsa_system_sgpr_workgroup_info 0
		.amdhsa_system_vgpr_workitem_id 0
		.amdhsa_next_free_vgpr 1
		.amdhsa_next_free_sgpr 0
		.amdhsa_accum_offset 4
		.amdhsa_reserve_vcc 0
		.amdhsa_reserve_flat_scratch 0
		.amdhsa_float_round_mode_32 0
		.amdhsa_float_round_mode_16_64 0
		.amdhsa_float_denorm_mode_32 3
		.amdhsa_float_denorm_mode_16_64 3
		.amdhsa_dx10_clamp 1
		.amdhsa_ieee_mode 1
		.amdhsa_fp16_overflow 0
		.amdhsa_tg_split 0
		.amdhsa_exception_fp_ieee_invalid_op 0
		.amdhsa_exception_fp_denorm_src 0
		.amdhsa_exception_fp_ieee_div_zero 0
		.amdhsa_exception_fp_ieee_overflow 0
		.amdhsa_exception_fp_ieee_underflow 0
		.amdhsa_exception_fp_ieee_inexact 0
		.amdhsa_exception_int_div_zero 0
	.end_amdhsa_kernel
	.section	.text._ZN7rocprim17ROCPRIM_400000_NS6detail17trampoline_kernelINS0_14default_configENS1_38merge_sort_block_merge_config_selectorIxNS0_10empty_typeEEEZZNS1_27merge_sort_block_merge_implIS3_N6thrust23THRUST_200600_302600_NS6detail15normal_iteratorINS9_10device_ptrIxEEEEPS5_jNS1_19radix_merge_compareILb0ELb0ExNS0_19identity_decomposerEEEEE10hipError_tT0_T1_T2_jT3_P12ihipStream_tbPNSt15iterator_traitsISK_E10value_typeEPNSQ_ISL_E10value_typeEPSM_NS1_7vsmem_tEENKUlT_SK_SL_SM_E_clISE_PxSF_SF_EESJ_SZ_SK_SL_SM_EUlSZ_E0_NS1_11comp_targetILNS1_3genE0ELNS1_11target_archE4294967295ELNS1_3gpuE0ELNS1_3repE0EEENS1_38merge_mergepath_config_static_selectorELNS0_4arch9wavefront6targetE1EEEvSL_,"axG",@progbits,_ZN7rocprim17ROCPRIM_400000_NS6detail17trampoline_kernelINS0_14default_configENS1_38merge_sort_block_merge_config_selectorIxNS0_10empty_typeEEEZZNS1_27merge_sort_block_merge_implIS3_N6thrust23THRUST_200600_302600_NS6detail15normal_iteratorINS9_10device_ptrIxEEEEPS5_jNS1_19radix_merge_compareILb0ELb0ExNS0_19identity_decomposerEEEEE10hipError_tT0_T1_T2_jT3_P12ihipStream_tbPNSt15iterator_traitsISK_E10value_typeEPNSQ_ISL_E10value_typeEPSM_NS1_7vsmem_tEENKUlT_SK_SL_SM_E_clISE_PxSF_SF_EESJ_SZ_SK_SL_SM_EUlSZ_E0_NS1_11comp_targetILNS1_3genE0ELNS1_11target_archE4294967295ELNS1_3gpuE0ELNS1_3repE0EEENS1_38merge_mergepath_config_static_selectorELNS0_4arch9wavefront6targetE1EEEvSL_,comdat
.Lfunc_end1442:
	.size	_ZN7rocprim17ROCPRIM_400000_NS6detail17trampoline_kernelINS0_14default_configENS1_38merge_sort_block_merge_config_selectorIxNS0_10empty_typeEEEZZNS1_27merge_sort_block_merge_implIS3_N6thrust23THRUST_200600_302600_NS6detail15normal_iteratorINS9_10device_ptrIxEEEEPS5_jNS1_19radix_merge_compareILb0ELb0ExNS0_19identity_decomposerEEEEE10hipError_tT0_T1_T2_jT3_P12ihipStream_tbPNSt15iterator_traitsISK_E10value_typeEPNSQ_ISL_E10value_typeEPSM_NS1_7vsmem_tEENKUlT_SK_SL_SM_E_clISE_PxSF_SF_EESJ_SZ_SK_SL_SM_EUlSZ_E0_NS1_11comp_targetILNS1_3genE0ELNS1_11target_archE4294967295ELNS1_3gpuE0ELNS1_3repE0EEENS1_38merge_mergepath_config_static_selectorELNS0_4arch9wavefront6targetE1EEEvSL_, .Lfunc_end1442-_ZN7rocprim17ROCPRIM_400000_NS6detail17trampoline_kernelINS0_14default_configENS1_38merge_sort_block_merge_config_selectorIxNS0_10empty_typeEEEZZNS1_27merge_sort_block_merge_implIS3_N6thrust23THRUST_200600_302600_NS6detail15normal_iteratorINS9_10device_ptrIxEEEEPS5_jNS1_19radix_merge_compareILb0ELb0ExNS0_19identity_decomposerEEEEE10hipError_tT0_T1_T2_jT3_P12ihipStream_tbPNSt15iterator_traitsISK_E10value_typeEPNSQ_ISL_E10value_typeEPSM_NS1_7vsmem_tEENKUlT_SK_SL_SM_E_clISE_PxSF_SF_EESJ_SZ_SK_SL_SM_EUlSZ_E0_NS1_11comp_targetILNS1_3genE0ELNS1_11target_archE4294967295ELNS1_3gpuE0ELNS1_3repE0EEENS1_38merge_mergepath_config_static_selectorELNS0_4arch9wavefront6targetE1EEEvSL_
                                        ; -- End function
	.section	.AMDGPU.csdata,"",@progbits
; Kernel info:
; codeLenInByte = 0
; NumSgprs: 4
; NumVgprs: 0
; NumAgprs: 0
; TotalNumVgprs: 0
; ScratchSize: 0
; MemoryBound: 0
; FloatMode: 240
; IeeeMode: 1
; LDSByteSize: 0 bytes/workgroup (compile time only)
; SGPRBlocks: 0
; VGPRBlocks: 0
; NumSGPRsForWavesPerEU: 4
; NumVGPRsForWavesPerEU: 1
; AccumOffset: 4
; Occupancy: 8
; WaveLimiterHint : 0
; COMPUTE_PGM_RSRC2:SCRATCH_EN: 0
; COMPUTE_PGM_RSRC2:USER_SGPR: 6
; COMPUTE_PGM_RSRC2:TRAP_HANDLER: 0
; COMPUTE_PGM_RSRC2:TGID_X_EN: 1
; COMPUTE_PGM_RSRC2:TGID_Y_EN: 0
; COMPUTE_PGM_RSRC2:TGID_Z_EN: 0
; COMPUTE_PGM_RSRC2:TIDIG_COMP_CNT: 0
; COMPUTE_PGM_RSRC3_GFX90A:ACCUM_OFFSET: 0
; COMPUTE_PGM_RSRC3_GFX90A:TG_SPLIT: 0
	.section	.text._ZN7rocprim17ROCPRIM_400000_NS6detail17trampoline_kernelINS0_14default_configENS1_38merge_sort_block_merge_config_selectorIxNS0_10empty_typeEEEZZNS1_27merge_sort_block_merge_implIS3_N6thrust23THRUST_200600_302600_NS6detail15normal_iteratorINS9_10device_ptrIxEEEEPS5_jNS1_19radix_merge_compareILb0ELb0ExNS0_19identity_decomposerEEEEE10hipError_tT0_T1_T2_jT3_P12ihipStream_tbPNSt15iterator_traitsISK_E10value_typeEPNSQ_ISL_E10value_typeEPSM_NS1_7vsmem_tEENKUlT_SK_SL_SM_E_clISE_PxSF_SF_EESJ_SZ_SK_SL_SM_EUlSZ_E0_NS1_11comp_targetILNS1_3genE10ELNS1_11target_archE1201ELNS1_3gpuE5ELNS1_3repE0EEENS1_38merge_mergepath_config_static_selectorELNS0_4arch9wavefront6targetE1EEEvSL_,"axG",@progbits,_ZN7rocprim17ROCPRIM_400000_NS6detail17trampoline_kernelINS0_14default_configENS1_38merge_sort_block_merge_config_selectorIxNS0_10empty_typeEEEZZNS1_27merge_sort_block_merge_implIS3_N6thrust23THRUST_200600_302600_NS6detail15normal_iteratorINS9_10device_ptrIxEEEEPS5_jNS1_19radix_merge_compareILb0ELb0ExNS0_19identity_decomposerEEEEE10hipError_tT0_T1_T2_jT3_P12ihipStream_tbPNSt15iterator_traitsISK_E10value_typeEPNSQ_ISL_E10value_typeEPSM_NS1_7vsmem_tEENKUlT_SK_SL_SM_E_clISE_PxSF_SF_EESJ_SZ_SK_SL_SM_EUlSZ_E0_NS1_11comp_targetILNS1_3genE10ELNS1_11target_archE1201ELNS1_3gpuE5ELNS1_3repE0EEENS1_38merge_mergepath_config_static_selectorELNS0_4arch9wavefront6targetE1EEEvSL_,comdat
	.protected	_ZN7rocprim17ROCPRIM_400000_NS6detail17trampoline_kernelINS0_14default_configENS1_38merge_sort_block_merge_config_selectorIxNS0_10empty_typeEEEZZNS1_27merge_sort_block_merge_implIS3_N6thrust23THRUST_200600_302600_NS6detail15normal_iteratorINS9_10device_ptrIxEEEEPS5_jNS1_19radix_merge_compareILb0ELb0ExNS0_19identity_decomposerEEEEE10hipError_tT0_T1_T2_jT3_P12ihipStream_tbPNSt15iterator_traitsISK_E10value_typeEPNSQ_ISL_E10value_typeEPSM_NS1_7vsmem_tEENKUlT_SK_SL_SM_E_clISE_PxSF_SF_EESJ_SZ_SK_SL_SM_EUlSZ_E0_NS1_11comp_targetILNS1_3genE10ELNS1_11target_archE1201ELNS1_3gpuE5ELNS1_3repE0EEENS1_38merge_mergepath_config_static_selectorELNS0_4arch9wavefront6targetE1EEEvSL_ ; -- Begin function _ZN7rocprim17ROCPRIM_400000_NS6detail17trampoline_kernelINS0_14default_configENS1_38merge_sort_block_merge_config_selectorIxNS0_10empty_typeEEEZZNS1_27merge_sort_block_merge_implIS3_N6thrust23THRUST_200600_302600_NS6detail15normal_iteratorINS9_10device_ptrIxEEEEPS5_jNS1_19radix_merge_compareILb0ELb0ExNS0_19identity_decomposerEEEEE10hipError_tT0_T1_T2_jT3_P12ihipStream_tbPNSt15iterator_traitsISK_E10value_typeEPNSQ_ISL_E10value_typeEPSM_NS1_7vsmem_tEENKUlT_SK_SL_SM_E_clISE_PxSF_SF_EESJ_SZ_SK_SL_SM_EUlSZ_E0_NS1_11comp_targetILNS1_3genE10ELNS1_11target_archE1201ELNS1_3gpuE5ELNS1_3repE0EEENS1_38merge_mergepath_config_static_selectorELNS0_4arch9wavefront6targetE1EEEvSL_
	.globl	_ZN7rocprim17ROCPRIM_400000_NS6detail17trampoline_kernelINS0_14default_configENS1_38merge_sort_block_merge_config_selectorIxNS0_10empty_typeEEEZZNS1_27merge_sort_block_merge_implIS3_N6thrust23THRUST_200600_302600_NS6detail15normal_iteratorINS9_10device_ptrIxEEEEPS5_jNS1_19radix_merge_compareILb0ELb0ExNS0_19identity_decomposerEEEEE10hipError_tT0_T1_T2_jT3_P12ihipStream_tbPNSt15iterator_traitsISK_E10value_typeEPNSQ_ISL_E10value_typeEPSM_NS1_7vsmem_tEENKUlT_SK_SL_SM_E_clISE_PxSF_SF_EESJ_SZ_SK_SL_SM_EUlSZ_E0_NS1_11comp_targetILNS1_3genE10ELNS1_11target_archE1201ELNS1_3gpuE5ELNS1_3repE0EEENS1_38merge_mergepath_config_static_selectorELNS0_4arch9wavefront6targetE1EEEvSL_
	.p2align	8
	.type	_ZN7rocprim17ROCPRIM_400000_NS6detail17trampoline_kernelINS0_14default_configENS1_38merge_sort_block_merge_config_selectorIxNS0_10empty_typeEEEZZNS1_27merge_sort_block_merge_implIS3_N6thrust23THRUST_200600_302600_NS6detail15normal_iteratorINS9_10device_ptrIxEEEEPS5_jNS1_19radix_merge_compareILb0ELb0ExNS0_19identity_decomposerEEEEE10hipError_tT0_T1_T2_jT3_P12ihipStream_tbPNSt15iterator_traitsISK_E10value_typeEPNSQ_ISL_E10value_typeEPSM_NS1_7vsmem_tEENKUlT_SK_SL_SM_E_clISE_PxSF_SF_EESJ_SZ_SK_SL_SM_EUlSZ_E0_NS1_11comp_targetILNS1_3genE10ELNS1_11target_archE1201ELNS1_3gpuE5ELNS1_3repE0EEENS1_38merge_mergepath_config_static_selectorELNS0_4arch9wavefront6targetE1EEEvSL_,@function
_ZN7rocprim17ROCPRIM_400000_NS6detail17trampoline_kernelINS0_14default_configENS1_38merge_sort_block_merge_config_selectorIxNS0_10empty_typeEEEZZNS1_27merge_sort_block_merge_implIS3_N6thrust23THRUST_200600_302600_NS6detail15normal_iteratorINS9_10device_ptrIxEEEEPS5_jNS1_19radix_merge_compareILb0ELb0ExNS0_19identity_decomposerEEEEE10hipError_tT0_T1_T2_jT3_P12ihipStream_tbPNSt15iterator_traitsISK_E10value_typeEPNSQ_ISL_E10value_typeEPSM_NS1_7vsmem_tEENKUlT_SK_SL_SM_E_clISE_PxSF_SF_EESJ_SZ_SK_SL_SM_EUlSZ_E0_NS1_11comp_targetILNS1_3genE10ELNS1_11target_archE1201ELNS1_3gpuE5ELNS1_3repE0EEENS1_38merge_mergepath_config_static_selectorELNS0_4arch9wavefront6targetE1EEEvSL_: ; @_ZN7rocprim17ROCPRIM_400000_NS6detail17trampoline_kernelINS0_14default_configENS1_38merge_sort_block_merge_config_selectorIxNS0_10empty_typeEEEZZNS1_27merge_sort_block_merge_implIS3_N6thrust23THRUST_200600_302600_NS6detail15normal_iteratorINS9_10device_ptrIxEEEEPS5_jNS1_19radix_merge_compareILb0ELb0ExNS0_19identity_decomposerEEEEE10hipError_tT0_T1_T2_jT3_P12ihipStream_tbPNSt15iterator_traitsISK_E10value_typeEPNSQ_ISL_E10value_typeEPSM_NS1_7vsmem_tEENKUlT_SK_SL_SM_E_clISE_PxSF_SF_EESJ_SZ_SK_SL_SM_EUlSZ_E0_NS1_11comp_targetILNS1_3genE10ELNS1_11target_archE1201ELNS1_3gpuE5ELNS1_3repE0EEENS1_38merge_mergepath_config_static_selectorELNS0_4arch9wavefront6targetE1EEEvSL_
; %bb.0:
	.section	.rodata,"a",@progbits
	.p2align	6, 0x0
	.amdhsa_kernel _ZN7rocprim17ROCPRIM_400000_NS6detail17trampoline_kernelINS0_14default_configENS1_38merge_sort_block_merge_config_selectorIxNS0_10empty_typeEEEZZNS1_27merge_sort_block_merge_implIS3_N6thrust23THRUST_200600_302600_NS6detail15normal_iteratorINS9_10device_ptrIxEEEEPS5_jNS1_19radix_merge_compareILb0ELb0ExNS0_19identity_decomposerEEEEE10hipError_tT0_T1_T2_jT3_P12ihipStream_tbPNSt15iterator_traitsISK_E10value_typeEPNSQ_ISL_E10value_typeEPSM_NS1_7vsmem_tEENKUlT_SK_SL_SM_E_clISE_PxSF_SF_EESJ_SZ_SK_SL_SM_EUlSZ_E0_NS1_11comp_targetILNS1_3genE10ELNS1_11target_archE1201ELNS1_3gpuE5ELNS1_3repE0EEENS1_38merge_mergepath_config_static_selectorELNS0_4arch9wavefront6targetE1EEEvSL_
		.amdhsa_group_segment_fixed_size 0
		.amdhsa_private_segment_fixed_size 0
		.amdhsa_kernarg_size 64
		.amdhsa_user_sgpr_count 6
		.amdhsa_user_sgpr_private_segment_buffer 1
		.amdhsa_user_sgpr_dispatch_ptr 0
		.amdhsa_user_sgpr_queue_ptr 0
		.amdhsa_user_sgpr_kernarg_segment_ptr 1
		.amdhsa_user_sgpr_dispatch_id 0
		.amdhsa_user_sgpr_flat_scratch_init 0
		.amdhsa_user_sgpr_kernarg_preload_length 0
		.amdhsa_user_sgpr_kernarg_preload_offset 0
		.amdhsa_user_sgpr_private_segment_size 0
		.amdhsa_uses_dynamic_stack 0
		.amdhsa_system_sgpr_private_segment_wavefront_offset 0
		.amdhsa_system_sgpr_workgroup_id_x 1
		.amdhsa_system_sgpr_workgroup_id_y 0
		.amdhsa_system_sgpr_workgroup_id_z 0
		.amdhsa_system_sgpr_workgroup_info 0
		.amdhsa_system_vgpr_workitem_id 0
		.amdhsa_next_free_vgpr 1
		.amdhsa_next_free_sgpr 0
		.amdhsa_accum_offset 4
		.amdhsa_reserve_vcc 0
		.amdhsa_reserve_flat_scratch 0
		.amdhsa_float_round_mode_32 0
		.amdhsa_float_round_mode_16_64 0
		.amdhsa_float_denorm_mode_32 3
		.amdhsa_float_denorm_mode_16_64 3
		.amdhsa_dx10_clamp 1
		.amdhsa_ieee_mode 1
		.amdhsa_fp16_overflow 0
		.amdhsa_tg_split 0
		.amdhsa_exception_fp_ieee_invalid_op 0
		.amdhsa_exception_fp_denorm_src 0
		.amdhsa_exception_fp_ieee_div_zero 0
		.amdhsa_exception_fp_ieee_overflow 0
		.amdhsa_exception_fp_ieee_underflow 0
		.amdhsa_exception_fp_ieee_inexact 0
		.amdhsa_exception_int_div_zero 0
	.end_amdhsa_kernel
	.section	.text._ZN7rocprim17ROCPRIM_400000_NS6detail17trampoline_kernelINS0_14default_configENS1_38merge_sort_block_merge_config_selectorIxNS0_10empty_typeEEEZZNS1_27merge_sort_block_merge_implIS3_N6thrust23THRUST_200600_302600_NS6detail15normal_iteratorINS9_10device_ptrIxEEEEPS5_jNS1_19radix_merge_compareILb0ELb0ExNS0_19identity_decomposerEEEEE10hipError_tT0_T1_T2_jT3_P12ihipStream_tbPNSt15iterator_traitsISK_E10value_typeEPNSQ_ISL_E10value_typeEPSM_NS1_7vsmem_tEENKUlT_SK_SL_SM_E_clISE_PxSF_SF_EESJ_SZ_SK_SL_SM_EUlSZ_E0_NS1_11comp_targetILNS1_3genE10ELNS1_11target_archE1201ELNS1_3gpuE5ELNS1_3repE0EEENS1_38merge_mergepath_config_static_selectorELNS0_4arch9wavefront6targetE1EEEvSL_,"axG",@progbits,_ZN7rocprim17ROCPRIM_400000_NS6detail17trampoline_kernelINS0_14default_configENS1_38merge_sort_block_merge_config_selectorIxNS0_10empty_typeEEEZZNS1_27merge_sort_block_merge_implIS3_N6thrust23THRUST_200600_302600_NS6detail15normal_iteratorINS9_10device_ptrIxEEEEPS5_jNS1_19radix_merge_compareILb0ELb0ExNS0_19identity_decomposerEEEEE10hipError_tT0_T1_T2_jT3_P12ihipStream_tbPNSt15iterator_traitsISK_E10value_typeEPNSQ_ISL_E10value_typeEPSM_NS1_7vsmem_tEENKUlT_SK_SL_SM_E_clISE_PxSF_SF_EESJ_SZ_SK_SL_SM_EUlSZ_E0_NS1_11comp_targetILNS1_3genE10ELNS1_11target_archE1201ELNS1_3gpuE5ELNS1_3repE0EEENS1_38merge_mergepath_config_static_selectorELNS0_4arch9wavefront6targetE1EEEvSL_,comdat
.Lfunc_end1443:
	.size	_ZN7rocprim17ROCPRIM_400000_NS6detail17trampoline_kernelINS0_14default_configENS1_38merge_sort_block_merge_config_selectorIxNS0_10empty_typeEEEZZNS1_27merge_sort_block_merge_implIS3_N6thrust23THRUST_200600_302600_NS6detail15normal_iteratorINS9_10device_ptrIxEEEEPS5_jNS1_19radix_merge_compareILb0ELb0ExNS0_19identity_decomposerEEEEE10hipError_tT0_T1_T2_jT3_P12ihipStream_tbPNSt15iterator_traitsISK_E10value_typeEPNSQ_ISL_E10value_typeEPSM_NS1_7vsmem_tEENKUlT_SK_SL_SM_E_clISE_PxSF_SF_EESJ_SZ_SK_SL_SM_EUlSZ_E0_NS1_11comp_targetILNS1_3genE10ELNS1_11target_archE1201ELNS1_3gpuE5ELNS1_3repE0EEENS1_38merge_mergepath_config_static_selectorELNS0_4arch9wavefront6targetE1EEEvSL_, .Lfunc_end1443-_ZN7rocprim17ROCPRIM_400000_NS6detail17trampoline_kernelINS0_14default_configENS1_38merge_sort_block_merge_config_selectorIxNS0_10empty_typeEEEZZNS1_27merge_sort_block_merge_implIS3_N6thrust23THRUST_200600_302600_NS6detail15normal_iteratorINS9_10device_ptrIxEEEEPS5_jNS1_19radix_merge_compareILb0ELb0ExNS0_19identity_decomposerEEEEE10hipError_tT0_T1_T2_jT3_P12ihipStream_tbPNSt15iterator_traitsISK_E10value_typeEPNSQ_ISL_E10value_typeEPSM_NS1_7vsmem_tEENKUlT_SK_SL_SM_E_clISE_PxSF_SF_EESJ_SZ_SK_SL_SM_EUlSZ_E0_NS1_11comp_targetILNS1_3genE10ELNS1_11target_archE1201ELNS1_3gpuE5ELNS1_3repE0EEENS1_38merge_mergepath_config_static_selectorELNS0_4arch9wavefront6targetE1EEEvSL_
                                        ; -- End function
	.section	.AMDGPU.csdata,"",@progbits
; Kernel info:
; codeLenInByte = 0
; NumSgprs: 4
; NumVgprs: 0
; NumAgprs: 0
; TotalNumVgprs: 0
; ScratchSize: 0
; MemoryBound: 0
; FloatMode: 240
; IeeeMode: 1
; LDSByteSize: 0 bytes/workgroup (compile time only)
; SGPRBlocks: 0
; VGPRBlocks: 0
; NumSGPRsForWavesPerEU: 4
; NumVGPRsForWavesPerEU: 1
; AccumOffset: 4
; Occupancy: 8
; WaveLimiterHint : 0
; COMPUTE_PGM_RSRC2:SCRATCH_EN: 0
; COMPUTE_PGM_RSRC2:USER_SGPR: 6
; COMPUTE_PGM_RSRC2:TRAP_HANDLER: 0
; COMPUTE_PGM_RSRC2:TGID_X_EN: 1
; COMPUTE_PGM_RSRC2:TGID_Y_EN: 0
; COMPUTE_PGM_RSRC2:TGID_Z_EN: 0
; COMPUTE_PGM_RSRC2:TIDIG_COMP_CNT: 0
; COMPUTE_PGM_RSRC3_GFX90A:ACCUM_OFFSET: 0
; COMPUTE_PGM_RSRC3_GFX90A:TG_SPLIT: 0
	.section	.text._ZN7rocprim17ROCPRIM_400000_NS6detail17trampoline_kernelINS0_14default_configENS1_38merge_sort_block_merge_config_selectorIxNS0_10empty_typeEEEZZNS1_27merge_sort_block_merge_implIS3_N6thrust23THRUST_200600_302600_NS6detail15normal_iteratorINS9_10device_ptrIxEEEEPS5_jNS1_19radix_merge_compareILb0ELb0ExNS0_19identity_decomposerEEEEE10hipError_tT0_T1_T2_jT3_P12ihipStream_tbPNSt15iterator_traitsISK_E10value_typeEPNSQ_ISL_E10value_typeEPSM_NS1_7vsmem_tEENKUlT_SK_SL_SM_E_clISE_PxSF_SF_EESJ_SZ_SK_SL_SM_EUlSZ_E0_NS1_11comp_targetILNS1_3genE5ELNS1_11target_archE942ELNS1_3gpuE9ELNS1_3repE0EEENS1_38merge_mergepath_config_static_selectorELNS0_4arch9wavefront6targetE1EEEvSL_,"axG",@progbits,_ZN7rocprim17ROCPRIM_400000_NS6detail17trampoline_kernelINS0_14default_configENS1_38merge_sort_block_merge_config_selectorIxNS0_10empty_typeEEEZZNS1_27merge_sort_block_merge_implIS3_N6thrust23THRUST_200600_302600_NS6detail15normal_iteratorINS9_10device_ptrIxEEEEPS5_jNS1_19radix_merge_compareILb0ELb0ExNS0_19identity_decomposerEEEEE10hipError_tT0_T1_T2_jT3_P12ihipStream_tbPNSt15iterator_traitsISK_E10value_typeEPNSQ_ISL_E10value_typeEPSM_NS1_7vsmem_tEENKUlT_SK_SL_SM_E_clISE_PxSF_SF_EESJ_SZ_SK_SL_SM_EUlSZ_E0_NS1_11comp_targetILNS1_3genE5ELNS1_11target_archE942ELNS1_3gpuE9ELNS1_3repE0EEENS1_38merge_mergepath_config_static_selectorELNS0_4arch9wavefront6targetE1EEEvSL_,comdat
	.protected	_ZN7rocprim17ROCPRIM_400000_NS6detail17trampoline_kernelINS0_14default_configENS1_38merge_sort_block_merge_config_selectorIxNS0_10empty_typeEEEZZNS1_27merge_sort_block_merge_implIS3_N6thrust23THRUST_200600_302600_NS6detail15normal_iteratorINS9_10device_ptrIxEEEEPS5_jNS1_19radix_merge_compareILb0ELb0ExNS0_19identity_decomposerEEEEE10hipError_tT0_T1_T2_jT3_P12ihipStream_tbPNSt15iterator_traitsISK_E10value_typeEPNSQ_ISL_E10value_typeEPSM_NS1_7vsmem_tEENKUlT_SK_SL_SM_E_clISE_PxSF_SF_EESJ_SZ_SK_SL_SM_EUlSZ_E0_NS1_11comp_targetILNS1_3genE5ELNS1_11target_archE942ELNS1_3gpuE9ELNS1_3repE0EEENS1_38merge_mergepath_config_static_selectorELNS0_4arch9wavefront6targetE1EEEvSL_ ; -- Begin function _ZN7rocprim17ROCPRIM_400000_NS6detail17trampoline_kernelINS0_14default_configENS1_38merge_sort_block_merge_config_selectorIxNS0_10empty_typeEEEZZNS1_27merge_sort_block_merge_implIS3_N6thrust23THRUST_200600_302600_NS6detail15normal_iteratorINS9_10device_ptrIxEEEEPS5_jNS1_19radix_merge_compareILb0ELb0ExNS0_19identity_decomposerEEEEE10hipError_tT0_T1_T2_jT3_P12ihipStream_tbPNSt15iterator_traitsISK_E10value_typeEPNSQ_ISL_E10value_typeEPSM_NS1_7vsmem_tEENKUlT_SK_SL_SM_E_clISE_PxSF_SF_EESJ_SZ_SK_SL_SM_EUlSZ_E0_NS1_11comp_targetILNS1_3genE5ELNS1_11target_archE942ELNS1_3gpuE9ELNS1_3repE0EEENS1_38merge_mergepath_config_static_selectorELNS0_4arch9wavefront6targetE1EEEvSL_
	.globl	_ZN7rocprim17ROCPRIM_400000_NS6detail17trampoline_kernelINS0_14default_configENS1_38merge_sort_block_merge_config_selectorIxNS0_10empty_typeEEEZZNS1_27merge_sort_block_merge_implIS3_N6thrust23THRUST_200600_302600_NS6detail15normal_iteratorINS9_10device_ptrIxEEEEPS5_jNS1_19radix_merge_compareILb0ELb0ExNS0_19identity_decomposerEEEEE10hipError_tT0_T1_T2_jT3_P12ihipStream_tbPNSt15iterator_traitsISK_E10value_typeEPNSQ_ISL_E10value_typeEPSM_NS1_7vsmem_tEENKUlT_SK_SL_SM_E_clISE_PxSF_SF_EESJ_SZ_SK_SL_SM_EUlSZ_E0_NS1_11comp_targetILNS1_3genE5ELNS1_11target_archE942ELNS1_3gpuE9ELNS1_3repE0EEENS1_38merge_mergepath_config_static_selectorELNS0_4arch9wavefront6targetE1EEEvSL_
	.p2align	8
	.type	_ZN7rocprim17ROCPRIM_400000_NS6detail17trampoline_kernelINS0_14default_configENS1_38merge_sort_block_merge_config_selectorIxNS0_10empty_typeEEEZZNS1_27merge_sort_block_merge_implIS3_N6thrust23THRUST_200600_302600_NS6detail15normal_iteratorINS9_10device_ptrIxEEEEPS5_jNS1_19radix_merge_compareILb0ELb0ExNS0_19identity_decomposerEEEEE10hipError_tT0_T1_T2_jT3_P12ihipStream_tbPNSt15iterator_traitsISK_E10value_typeEPNSQ_ISL_E10value_typeEPSM_NS1_7vsmem_tEENKUlT_SK_SL_SM_E_clISE_PxSF_SF_EESJ_SZ_SK_SL_SM_EUlSZ_E0_NS1_11comp_targetILNS1_3genE5ELNS1_11target_archE942ELNS1_3gpuE9ELNS1_3repE0EEENS1_38merge_mergepath_config_static_selectorELNS0_4arch9wavefront6targetE1EEEvSL_,@function
_ZN7rocprim17ROCPRIM_400000_NS6detail17trampoline_kernelINS0_14default_configENS1_38merge_sort_block_merge_config_selectorIxNS0_10empty_typeEEEZZNS1_27merge_sort_block_merge_implIS3_N6thrust23THRUST_200600_302600_NS6detail15normal_iteratorINS9_10device_ptrIxEEEEPS5_jNS1_19radix_merge_compareILb0ELb0ExNS0_19identity_decomposerEEEEE10hipError_tT0_T1_T2_jT3_P12ihipStream_tbPNSt15iterator_traitsISK_E10value_typeEPNSQ_ISL_E10value_typeEPSM_NS1_7vsmem_tEENKUlT_SK_SL_SM_E_clISE_PxSF_SF_EESJ_SZ_SK_SL_SM_EUlSZ_E0_NS1_11comp_targetILNS1_3genE5ELNS1_11target_archE942ELNS1_3gpuE9ELNS1_3repE0EEENS1_38merge_mergepath_config_static_selectorELNS0_4arch9wavefront6targetE1EEEvSL_: ; @_ZN7rocprim17ROCPRIM_400000_NS6detail17trampoline_kernelINS0_14default_configENS1_38merge_sort_block_merge_config_selectorIxNS0_10empty_typeEEEZZNS1_27merge_sort_block_merge_implIS3_N6thrust23THRUST_200600_302600_NS6detail15normal_iteratorINS9_10device_ptrIxEEEEPS5_jNS1_19radix_merge_compareILb0ELb0ExNS0_19identity_decomposerEEEEE10hipError_tT0_T1_T2_jT3_P12ihipStream_tbPNSt15iterator_traitsISK_E10value_typeEPNSQ_ISL_E10value_typeEPSM_NS1_7vsmem_tEENKUlT_SK_SL_SM_E_clISE_PxSF_SF_EESJ_SZ_SK_SL_SM_EUlSZ_E0_NS1_11comp_targetILNS1_3genE5ELNS1_11target_archE942ELNS1_3gpuE9ELNS1_3repE0EEENS1_38merge_mergepath_config_static_selectorELNS0_4arch9wavefront6targetE1EEEvSL_
; %bb.0:
	.section	.rodata,"a",@progbits
	.p2align	6, 0x0
	.amdhsa_kernel _ZN7rocprim17ROCPRIM_400000_NS6detail17trampoline_kernelINS0_14default_configENS1_38merge_sort_block_merge_config_selectorIxNS0_10empty_typeEEEZZNS1_27merge_sort_block_merge_implIS3_N6thrust23THRUST_200600_302600_NS6detail15normal_iteratorINS9_10device_ptrIxEEEEPS5_jNS1_19radix_merge_compareILb0ELb0ExNS0_19identity_decomposerEEEEE10hipError_tT0_T1_T2_jT3_P12ihipStream_tbPNSt15iterator_traitsISK_E10value_typeEPNSQ_ISL_E10value_typeEPSM_NS1_7vsmem_tEENKUlT_SK_SL_SM_E_clISE_PxSF_SF_EESJ_SZ_SK_SL_SM_EUlSZ_E0_NS1_11comp_targetILNS1_3genE5ELNS1_11target_archE942ELNS1_3gpuE9ELNS1_3repE0EEENS1_38merge_mergepath_config_static_selectorELNS0_4arch9wavefront6targetE1EEEvSL_
		.amdhsa_group_segment_fixed_size 0
		.amdhsa_private_segment_fixed_size 0
		.amdhsa_kernarg_size 64
		.amdhsa_user_sgpr_count 6
		.amdhsa_user_sgpr_private_segment_buffer 1
		.amdhsa_user_sgpr_dispatch_ptr 0
		.amdhsa_user_sgpr_queue_ptr 0
		.amdhsa_user_sgpr_kernarg_segment_ptr 1
		.amdhsa_user_sgpr_dispatch_id 0
		.amdhsa_user_sgpr_flat_scratch_init 0
		.amdhsa_user_sgpr_kernarg_preload_length 0
		.amdhsa_user_sgpr_kernarg_preload_offset 0
		.amdhsa_user_sgpr_private_segment_size 0
		.amdhsa_uses_dynamic_stack 0
		.amdhsa_system_sgpr_private_segment_wavefront_offset 0
		.amdhsa_system_sgpr_workgroup_id_x 1
		.amdhsa_system_sgpr_workgroup_id_y 0
		.amdhsa_system_sgpr_workgroup_id_z 0
		.amdhsa_system_sgpr_workgroup_info 0
		.amdhsa_system_vgpr_workitem_id 0
		.amdhsa_next_free_vgpr 1
		.amdhsa_next_free_sgpr 0
		.amdhsa_accum_offset 4
		.amdhsa_reserve_vcc 0
		.amdhsa_reserve_flat_scratch 0
		.amdhsa_float_round_mode_32 0
		.amdhsa_float_round_mode_16_64 0
		.amdhsa_float_denorm_mode_32 3
		.amdhsa_float_denorm_mode_16_64 3
		.amdhsa_dx10_clamp 1
		.amdhsa_ieee_mode 1
		.amdhsa_fp16_overflow 0
		.amdhsa_tg_split 0
		.amdhsa_exception_fp_ieee_invalid_op 0
		.amdhsa_exception_fp_denorm_src 0
		.amdhsa_exception_fp_ieee_div_zero 0
		.amdhsa_exception_fp_ieee_overflow 0
		.amdhsa_exception_fp_ieee_underflow 0
		.amdhsa_exception_fp_ieee_inexact 0
		.amdhsa_exception_int_div_zero 0
	.end_amdhsa_kernel
	.section	.text._ZN7rocprim17ROCPRIM_400000_NS6detail17trampoline_kernelINS0_14default_configENS1_38merge_sort_block_merge_config_selectorIxNS0_10empty_typeEEEZZNS1_27merge_sort_block_merge_implIS3_N6thrust23THRUST_200600_302600_NS6detail15normal_iteratorINS9_10device_ptrIxEEEEPS5_jNS1_19radix_merge_compareILb0ELb0ExNS0_19identity_decomposerEEEEE10hipError_tT0_T1_T2_jT3_P12ihipStream_tbPNSt15iterator_traitsISK_E10value_typeEPNSQ_ISL_E10value_typeEPSM_NS1_7vsmem_tEENKUlT_SK_SL_SM_E_clISE_PxSF_SF_EESJ_SZ_SK_SL_SM_EUlSZ_E0_NS1_11comp_targetILNS1_3genE5ELNS1_11target_archE942ELNS1_3gpuE9ELNS1_3repE0EEENS1_38merge_mergepath_config_static_selectorELNS0_4arch9wavefront6targetE1EEEvSL_,"axG",@progbits,_ZN7rocprim17ROCPRIM_400000_NS6detail17trampoline_kernelINS0_14default_configENS1_38merge_sort_block_merge_config_selectorIxNS0_10empty_typeEEEZZNS1_27merge_sort_block_merge_implIS3_N6thrust23THRUST_200600_302600_NS6detail15normal_iteratorINS9_10device_ptrIxEEEEPS5_jNS1_19radix_merge_compareILb0ELb0ExNS0_19identity_decomposerEEEEE10hipError_tT0_T1_T2_jT3_P12ihipStream_tbPNSt15iterator_traitsISK_E10value_typeEPNSQ_ISL_E10value_typeEPSM_NS1_7vsmem_tEENKUlT_SK_SL_SM_E_clISE_PxSF_SF_EESJ_SZ_SK_SL_SM_EUlSZ_E0_NS1_11comp_targetILNS1_3genE5ELNS1_11target_archE942ELNS1_3gpuE9ELNS1_3repE0EEENS1_38merge_mergepath_config_static_selectorELNS0_4arch9wavefront6targetE1EEEvSL_,comdat
.Lfunc_end1444:
	.size	_ZN7rocprim17ROCPRIM_400000_NS6detail17trampoline_kernelINS0_14default_configENS1_38merge_sort_block_merge_config_selectorIxNS0_10empty_typeEEEZZNS1_27merge_sort_block_merge_implIS3_N6thrust23THRUST_200600_302600_NS6detail15normal_iteratorINS9_10device_ptrIxEEEEPS5_jNS1_19radix_merge_compareILb0ELb0ExNS0_19identity_decomposerEEEEE10hipError_tT0_T1_T2_jT3_P12ihipStream_tbPNSt15iterator_traitsISK_E10value_typeEPNSQ_ISL_E10value_typeEPSM_NS1_7vsmem_tEENKUlT_SK_SL_SM_E_clISE_PxSF_SF_EESJ_SZ_SK_SL_SM_EUlSZ_E0_NS1_11comp_targetILNS1_3genE5ELNS1_11target_archE942ELNS1_3gpuE9ELNS1_3repE0EEENS1_38merge_mergepath_config_static_selectorELNS0_4arch9wavefront6targetE1EEEvSL_, .Lfunc_end1444-_ZN7rocprim17ROCPRIM_400000_NS6detail17trampoline_kernelINS0_14default_configENS1_38merge_sort_block_merge_config_selectorIxNS0_10empty_typeEEEZZNS1_27merge_sort_block_merge_implIS3_N6thrust23THRUST_200600_302600_NS6detail15normal_iteratorINS9_10device_ptrIxEEEEPS5_jNS1_19radix_merge_compareILb0ELb0ExNS0_19identity_decomposerEEEEE10hipError_tT0_T1_T2_jT3_P12ihipStream_tbPNSt15iterator_traitsISK_E10value_typeEPNSQ_ISL_E10value_typeEPSM_NS1_7vsmem_tEENKUlT_SK_SL_SM_E_clISE_PxSF_SF_EESJ_SZ_SK_SL_SM_EUlSZ_E0_NS1_11comp_targetILNS1_3genE5ELNS1_11target_archE942ELNS1_3gpuE9ELNS1_3repE0EEENS1_38merge_mergepath_config_static_selectorELNS0_4arch9wavefront6targetE1EEEvSL_
                                        ; -- End function
	.section	.AMDGPU.csdata,"",@progbits
; Kernel info:
; codeLenInByte = 0
; NumSgprs: 4
; NumVgprs: 0
; NumAgprs: 0
; TotalNumVgprs: 0
; ScratchSize: 0
; MemoryBound: 0
; FloatMode: 240
; IeeeMode: 1
; LDSByteSize: 0 bytes/workgroup (compile time only)
; SGPRBlocks: 0
; VGPRBlocks: 0
; NumSGPRsForWavesPerEU: 4
; NumVGPRsForWavesPerEU: 1
; AccumOffset: 4
; Occupancy: 8
; WaveLimiterHint : 0
; COMPUTE_PGM_RSRC2:SCRATCH_EN: 0
; COMPUTE_PGM_RSRC2:USER_SGPR: 6
; COMPUTE_PGM_RSRC2:TRAP_HANDLER: 0
; COMPUTE_PGM_RSRC2:TGID_X_EN: 1
; COMPUTE_PGM_RSRC2:TGID_Y_EN: 0
; COMPUTE_PGM_RSRC2:TGID_Z_EN: 0
; COMPUTE_PGM_RSRC2:TIDIG_COMP_CNT: 0
; COMPUTE_PGM_RSRC3_GFX90A:ACCUM_OFFSET: 0
; COMPUTE_PGM_RSRC3_GFX90A:TG_SPLIT: 0
	.section	.text._ZN7rocprim17ROCPRIM_400000_NS6detail17trampoline_kernelINS0_14default_configENS1_38merge_sort_block_merge_config_selectorIxNS0_10empty_typeEEEZZNS1_27merge_sort_block_merge_implIS3_N6thrust23THRUST_200600_302600_NS6detail15normal_iteratorINS9_10device_ptrIxEEEEPS5_jNS1_19radix_merge_compareILb0ELb0ExNS0_19identity_decomposerEEEEE10hipError_tT0_T1_T2_jT3_P12ihipStream_tbPNSt15iterator_traitsISK_E10value_typeEPNSQ_ISL_E10value_typeEPSM_NS1_7vsmem_tEENKUlT_SK_SL_SM_E_clISE_PxSF_SF_EESJ_SZ_SK_SL_SM_EUlSZ_E0_NS1_11comp_targetILNS1_3genE4ELNS1_11target_archE910ELNS1_3gpuE8ELNS1_3repE0EEENS1_38merge_mergepath_config_static_selectorELNS0_4arch9wavefront6targetE1EEEvSL_,"axG",@progbits,_ZN7rocprim17ROCPRIM_400000_NS6detail17trampoline_kernelINS0_14default_configENS1_38merge_sort_block_merge_config_selectorIxNS0_10empty_typeEEEZZNS1_27merge_sort_block_merge_implIS3_N6thrust23THRUST_200600_302600_NS6detail15normal_iteratorINS9_10device_ptrIxEEEEPS5_jNS1_19radix_merge_compareILb0ELb0ExNS0_19identity_decomposerEEEEE10hipError_tT0_T1_T2_jT3_P12ihipStream_tbPNSt15iterator_traitsISK_E10value_typeEPNSQ_ISL_E10value_typeEPSM_NS1_7vsmem_tEENKUlT_SK_SL_SM_E_clISE_PxSF_SF_EESJ_SZ_SK_SL_SM_EUlSZ_E0_NS1_11comp_targetILNS1_3genE4ELNS1_11target_archE910ELNS1_3gpuE8ELNS1_3repE0EEENS1_38merge_mergepath_config_static_selectorELNS0_4arch9wavefront6targetE1EEEvSL_,comdat
	.protected	_ZN7rocprim17ROCPRIM_400000_NS6detail17trampoline_kernelINS0_14default_configENS1_38merge_sort_block_merge_config_selectorIxNS0_10empty_typeEEEZZNS1_27merge_sort_block_merge_implIS3_N6thrust23THRUST_200600_302600_NS6detail15normal_iteratorINS9_10device_ptrIxEEEEPS5_jNS1_19radix_merge_compareILb0ELb0ExNS0_19identity_decomposerEEEEE10hipError_tT0_T1_T2_jT3_P12ihipStream_tbPNSt15iterator_traitsISK_E10value_typeEPNSQ_ISL_E10value_typeEPSM_NS1_7vsmem_tEENKUlT_SK_SL_SM_E_clISE_PxSF_SF_EESJ_SZ_SK_SL_SM_EUlSZ_E0_NS1_11comp_targetILNS1_3genE4ELNS1_11target_archE910ELNS1_3gpuE8ELNS1_3repE0EEENS1_38merge_mergepath_config_static_selectorELNS0_4arch9wavefront6targetE1EEEvSL_ ; -- Begin function _ZN7rocprim17ROCPRIM_400000_NS6detail17trampoline_kernelINS0_14default_configENS1_38merge_sort_block_merge_config_selectorIxNS0_10empty_typeEEEZZNS1_27merge_sort_block_merge_implIS3_N6thrust23THRUST_200600_302600_NS6detail15normal_iteratorINS9_10device_ptrIxEEEEPS5_jNS1_19radix_merge_compareILb0ELb0ExNS0_19identity_decomposerEEEEE10hipError_tT0_T1_T2_jT3_P12ihipStream_tbPNSt15iterator_traitsISK_E10value_typeEPNSQ_ISL_E10value_typeEPSM_NS1_7vsmem_tEENKUlT_SK_SL_SM_E_clISE_PxSF_SF_EESJ_SZ_SK_SL_SM_EUlSZ_E0_NS1_11comp_targetILNS1_3genE4ELNS1_11target_archE910ELNS1_3gpuE8ELNS1_3repE0EEENS1_38merge_mergepath_config_static_selectorELNS0_4arch9wavefront6targetE1EEEvSL_
	.globl	_ZN7rocprim17ROCPRIM_400000_NS6detail17trampoline_kernelINS0_14default_configENS1_38merge_sort_block_merge_config_selectorIxNS0_10empty_typeEEEZZNS1_27merge_sort_block_merge_implIS3_N6thrust23THRUST_200600_302600_NS6detail15normal_iteratorINS9_10device_ptrIxEEEEPS5_jNS1_19radix_merge_compareILb0ELb0ExNS0_19identity_decomposerEEEEE10hipError_tT0_T1_T2_jT3_P12ihipStream_tbPNSt15iterator_traitsISK_E10value_typeEPNSQ_ISL_E10value_typeEPSM_NS1_7vsmem_tEENKUlT_SK_SL_SM_E_clISE_PxSF_SF_EESJ_SZ_SK_SL_SM_EUlSZ_E0_NS1_11comp_targetILNS1_3genE4ELNS1_11target_archE910ELNS1_3gpuE8ELNS1_3repE0EEENS1_38merge_mergepath_config_static_selectorELNS0_4arch9wavefront6targetE1EEEvSL_
	.p2align	8
	.type	_ZN7rocprim17ROCPRIM_400000_NS6detail17trampoline_kernelINS0_14default_configENS1_38merge_sort_block_merge_config_selectorIxNS0_10empty_typeEEEZZNS1_27merge_sort_block_merge_implIS3_N6thrust23THRUST_200600_302600_NS6detail15normal_iteratorINS9_10device_ptrIxEEEEPS5_jNS1_19radix_merge_compareILb0ELb0ExNS0_19identity_decomposerEEEEE10hipError_tT0_T1_T2_jT3_P12ihipStream_tbPNSt15iterator_traitsISK_E10value_typeEPNSQ_ISL_E10value_typeEPSM_NS1_7vsmem_tEENKUlT_SK_SL_SM_E_clISE_PxSF_SF_EESJ_SZ_SK_SL_SM_EUlSZ_E0_NS1_11comp_targetILNS1_3genE4ELNS1_11target_archE910ELNS1_3gpuE8ELNS1_3repE0EEENS1_38merge_mergepath_config_static_selectorELNS0_4arch9wavefront6targetE1EEEvSL_,@function
_ZN7rocprim17ROCPRIM_400000_NS6detail17trampoline_kernelINS0_14default_configENS1_38merge_sort_block_merge_config_selectorIxNS0_10empty_typeEEEZZNS1_27merge_sort_block_merge_implIS3_N6thrust23THRUST_200600_302600_NS6detail15normal_iteratorINS9_10device_ptrIxEEEEPS5_jNS1_19radix_merge_compareILb0ELb0ExNS0_19identity_decomposerEEEEE10hipError_tT0_T1_T2_jT3_P12ihipStream_tbPNSt15iterator_traitsISK_E10value_typeEPNSQ_ISL_E10value_typeEPSM_NS1_7vsmem_tEENKUlT_SK_SL_SM_E_clISE_PxSF_SF_EESJ_SZ_SK_SL_SM_EUlSZ_E0_NS1_11comp_targetILNS1_3genE4ELNS1_11target_archE910ELNS1_3gpuE8ELNS1_3repE0EEENS1_38merge_mergepath_config_static_selectorELNS0_4arch9wavefront6targetE1EEEvSL_: ; @_ZN7rocprim17ROCPRIM_400000_NS6detail17trampoline_kernelINS0_14default_configENS1_38merge_sort_block_merge_config_selectorIxNS0_10empty_typeEEEZZNS1_27merge_sort_block_merge_implIS3_N6thrust23THRUST_200600_302600_NS6detail15normal_iteratorINS9_10device_ptrIxEEEEPS5_jNS1_19radix_merge_compareILb0ELb0ExNS0_19identity_decomposerEEEEE10hipError_tT0_T1_T2_jT3_P12ihipStream_tbPNSt15iterator_traitsISK_E10value_typeEPNSQ_ISL_E10value_typeEPSM_NS1_7vsmem_tEENKUlT_SK_SL_SM_E_clISE_PxSF_SF_EESJ_SZ_SK_SL_SM_EUlSZ_E0_NS1_11comp_targetILNS1_3genE4ELNS1_11target_archE910ELNS1_3gpuE8ELNS1_3repE0EEENS1_38merge_mergepath_config_static_selectorELNS0_4arch9wavefront6targetE1EEEvSL_
; %bb.0:
	s_load_dwordx2 s[14:15], s[4:5], 0x40
	s_load_dword s3, s[4:5], 0x30
	s_add_u32 s0, s4, 64
	s_addc_u32 s1, s5, 0
	s_waitcnt lgkmcnt(0)
	s_mul_i32 s2, s15, s8
	s_add_i32 s2, s2, s7
	s_mul_i32 s2, s2, s14
	s_add_i32 s2, s2, s6
	s_cmp_ge_u32 s2, s3
	s_cbranch_scc1 .LBB1445_31
; %bb.1:
	s_load_dwordx2 s[8:9], s[4:5], 0x28
	s_load_dwordx2 s[10:11], s[4:5], 0x38
	;; [unrolled: 1-line block ×3, first 2 shown]
	s_mov_b32 s3, 0
	v_mov_b32_e32 v7, 0
	s_waitcnt lgkmcnt(0)
	s_lshr_b32 s22, s8, 10
	s_cmp_lg_u32 s2, s22
	s_cselect_b64 s[12:13], -1, 0
	s_lshl_b64 s[18:19], s[2:3], 2
	s_add_u32 s10, s10, s18
	s_addc_u32 s11, s11, s19
	s_lshr_b32 s7, s9, 9
	s_and_b32 s7, s7, 0x7ffffe
	s_load_dwordx2 s[18:19], s[10:11], 0x0
	s_sub_i32 s7, 0, s7
	s_and_b32 s11, s2, s7
	s_lshl_b32 s15, s11, 10
	s_lshl_b32 s10, s2, 10
	;; [unrolled: 1-line block ×3, first 2 shown]
	s_sub_i32 s20, s10, s15
	s_add_i32 s11, s11, s9
	s_add_i32 s21, s11, s20
	s_waitcnt lgkmcnt(0)
	s_sub_i32 s20, s21, s18
	s_sub_i32 s21, s21, s19
	;; [unrolled: 1-line block ×3, first 2 shown]
	s_min_u32 s20, s8, s20
	s_addk_i32 s21, 0x400
	s_or_b32 s7, s2, s7
	s_min_u32 s15, s8, s11
	s_add_i32 s11, s11, s9
	s_cmp_eq_u32 s7, -1
	s_cselect_b32 s7, s11, s21
	s_cselect_b32 s9, s15, s19
	s_min_u32 s7, s7, s8
	s_mov_b32 s19, s3
	s_sub_i32 s9, s9, s18
	s_sub_i32 s11, s7, s20
	s_lshl_b64 s[18:19], s[18:19], 3
	s_add_u32 s7, s16, s18
	s_mov_b32 s21, s3
	s_addc_u32 s15, s17, s19
	s_lshl_b64 s[18:19], s[20:21], 3
	s_add_u32 s16, s16, s18
	s_addc_u32 s17, s17, s19
	s_cmp_lt_u32 s6, s14
	s_cselect_b32 s3, 12, 18
	global_load_dword v1, v7, s[0:1] offset:14
	s_add_u32 s0, s0, s3
	s_addc_u32 s1, s1, 0
	global_load_ushort v2, v7, s[0:1]
	s_cmp_eq_u32 s2, s22
	s_waitcnt vmcnt(1)
	v_lshrrev_b32_e32 v3, 16, v1
	v_and_b32_e32 v1, 0xffff, v1
	v_mul_lo_u32 v1, v1, v3
	s_waitcnt vmcnt(0)
	v_mul_lo_u32 v15, v1, v2
	v_add_u32_e32 v12, v15, v0
	v_lshlrev_b32_e32 v1, 3, v0
	v_add_u32_e32 v10, v12, v15
	s_cbranch_scc1 .LBB1445_3
; %bb.2:
	v_subrev_u32_e32 v6, s9, v0
	v_lshlrev_b64 v[2:3], 3, v[6:7]
	v_mov_b32_e32 v4, s17
	v_add_co_u32_e32 v2, vcc, s16, v2
	v_addc_co_u32_e32 v3, vcc, v4, v3, vcc
	v_mov_b32_e32 v4, s15
	v_add_co_u32_e32 v5, vcc, s7, v1
	v_addc_co_u32_e32 v4, vcc, 0, v4, vcc
	v_cmp_gt_u32_e32 vcc, s9, v0
	v_subrev_u32_e32 v6, s9, v12
	v_cndmask_b32_e32 v3, v3, v4, vcc
	v_cndmask_b32_e32 v2, v2, v5, vcc
	v_lshlrev_b64 v[4:5], 3, v[6:7]
	v_mov_b32_e32 v6, s17
	v_add_co_u32_e32 v8, vcc, s16, v4
	v_mov_b32_e32 v13, v7
	v_addc_co_u32_e32 v6, vcc, v6, v5, vcc
	v_lshlrev_b64 v[4:5], 3, v[12:13]
	v_mov_b32_e32 v9, s15
	v_add_co_u32_e32 v4, vcc, s7, v4
	v_addc_co_u32_e32 v5, vcc, v9, v5, vcc
	v_cmp_gt_u32_e32 vcc, s9, v12
	v_cndmask_b32_e32 v5, v6, v5, vcc
	v_subrev_u32_e32 v6, s9, v10
	v_cndmask_b32_e32 v4, v8, v4, vcc
	v_lshlrev_b64 v[8:9], 3, v[6:7]
	v_mov_b32_e32 v6, s17
	v_add_co_u32_e32 v8, vcc, s16, v8
	v_mov_b32_e32 v11, v7
	v_addc_co_u32_e32 v9, vcc, v6, v9, vcc
	v_lshlrev_b64 v[6:7], 3, v[10:11]
	v_mov_b32_e32 v11, s15
	v_add_co_u32_e32 v6, vcc, s7, v6
	v_addc_co_u32_e32 v7, vcc, v11, v7, vcc
	v_cmp_gt_u32_e32 vcc, s9, v10
	v_cndmask_b32_e32 v7, v9, v7, vcc
	v_cndmask_b32_e32 v6, v8, v6, vcc
	global_load_dwordx2 v[2:3], v[2:3], off
	v_add_u32_e32 v14, v10, v15
	global_load_dwordx2 v[4:5], v[4:5], off
	s_add_i32 s6, s11, s9
	global_load_dwordx2 v[6:7], v[6:7], off
	s_mov_b64 s[0:1], -1
	s_cbranch_execz .LBB1445_4
	s_branch .LBB1445_9
.LBB1445_3:
	s_mov_b64 s[0:1], 0
                                        ; implicit-def: $vgpr14
                                        ; implicit-def: $vgpr2_vgpr3_vgpr4_vgpr5_vgpr6_vgpr7_vgpr8_vgpr9
                                        ; implicit-def: $sgpr6
.LBB1445_4:
	s_add_i32 s6, s11, s9
	v_cmp_gt_u32_e32 vcc, s6, v0
                                        ; implicit-def: $vgpr2_vgpr3_vgpr4_vgpr5_vgpr6_vgpr7_vgpr8_vgpr9
	s_and_saveexec_b64 s[0:1], vcc
	s_cbranch_execnz .LBB1445_32
; %bb.5:
	s_or_b64 exec, exec, s[0:1]
	v_cmp_gt_u32_e32 vcc, s6, v12
	s_and_saveexec_b64 s[2:3], vcc
	s_cbranch_execnz .LBB1445_33
.LBB1445_6:
	s_or_b64 exec, exec, s[2:3]
	v_cmp_gt_u32_e32 vcc, s6, v10
	s_and_saveexec_b64 s[0:1], vcc
	s_cbranch_execz .LBB1445_8
.LBB1445_7:
	v_mov_b32_e32 v11, 0
	s_waitcnt vmcnt(0)
	v_lshlrev_b64 v[6:7], 3, v[10:11]
	v_mov_b32_e32 v12, s15
	v_add_co_u32_e32 v13, vcc, s7, v6
	v_addc_co_u32_e32 v12, vcc, v12, v7, vcc
	v_subrev_u32_e32 v6, s9, v10
	v_mov_b32_e32 v7, v11
	v_lshlrev_b64 v[6:7], 3, v[6:7]
	v_mov_b32_e32 v11, s17
	v_add_co_u32_e32 v6, vcc, s16, v6
	v_addc_co_u32_e32 v7, vcc, v11, v7, vcc
	v_cmp_gt_u32_e32 vcc, s9, v10
	v_cndmask_b32_e32 v7, v7, v12, vcc
	v_cndmask_b32_e32 v6, v6, v13, vcc
	global_load_dwordx2 v[6:7], v[6:7], off
.LBB1445_8:
	s_or_b64 exec, exec, s[0:1]
	v_add_u32_e32 v14, v10, v15
	v_cmp_gt_u32_e64 s[0:1], s6, v14
.LBB1445_9:
	v_mov_b32_e32 v10, s6
	s_and_saveexec_b64 s[2:3], s[0:1]
	s_cbranch_execz .LBB1445_11
; %bb.10:
	v_subrev_u32_e32 v8, s9, v14
	v_mov_b32_e32 v9, 0
	v_lshlrev_b64 v[10:11], 3, v[8:9]
	v_mov_b32_e32 v8, s17
	v_add_co_u32_e32 v10, vcc, s16, v10
	v_mov_b32_e32 v15, v9
	v_addc_co_u32_e32 v11, vcc, v8, v11, vcc
	v_lshlrev_b64 v[8:9], 3, v[14:15]
	v_mov_b32_e32 v12, s15
	v_add_co_u32_e32 v8, vcc, s7, v8
	v_addc_co_u32_e32 v9, vcc, v12, v9, vcc
	v_cmp_gt_u32_e32 vcc, s9, v14
	v_cndmask_b32_e32 v9, v11, v9, vcc
	v_cndmask_b32_e32 v8, v10, v8, vcc
	global_load_dwordx2 v[8:9], v[8:9], off
	v_mov_b32_e32 v10, s6
.LBB1445_11:
	s_or_b64 exec, exec, s[2:3]
	s_load_dwordx2 s[6:7], s[4:5], 0x10
	v_lshlrev_b32_e32 v11, 2, v0
	v_min_u32_e32 v13, v10, v11
	v_sub_u32_e64 v12, v13, s11 clamp
	v_min_u32_e32 v14, s9, v13
	v_cmp_lt_u32_e32 vcc, v12, v14
	s_waitcnt vmcnt(0)
	ds_write2st64_b64 v1, v[2:3], v[4:5] offset1:4
	ds_write2st64_b64 v1, v[6:7], v[8:9] offset0:8 offset1:12
	s_waitcnt lgkmcnt(0)
	s_barrier
	s_and_saveexec_b64 s[0:1], vcc
	s_cbranch_execz .LBB1445_15
; %bb.12:
	v_lshlrev_b32_e32 v15, 3, v13
	v_lshl_add_u32 v15, s9, 3, v15
	s_mov_b64 s[2:3], 0
.LBB1445_13:                            ; =>This Inner Loop Header: Depth=1
	v_add_u32_e32 v16, v14, v12
	v_lshrrev_b32_e32 v20, 1, v16
	v_not_b32_e32 v16, v20
	v_lshlrev_b32_e32 v17, 3, v20
	v_lshl_add_u32 v18, v16, 3, v15
	ds_read_b64 v[16:17], v17
	ds_read_b64 v[18:19], v18
	v_add_u32_e32 v21, 1, v20
	s_waitcnt lgkmcnt(0)
	v_cmp_gt_i64_e32 vcc, v[16:17], v[18:19]
	v_cndmask_b32_e32 v14, v14, v20, vcc
	v_cndmask_b32_e32 v12, v21, v12, vcc
	v_cmp_ge_u32_e32 vcc, v12, v14
	s_or_b64 s[2:3], vcc, s[2:3]
	s_andn2_b64 exec, exec, s[2:3]
	s_cbranch_execnz .LBB1445_13
; %bb.14:
	s_or_b64 exec, exec, s[2:3]
.LBB1445_15:
	s_or_b64 exec, exec, s[0:1]
	v_sub_u32_e32 v13, v13, v12
	v_add_u32_e32 v13, s9, v13
	v_cmp_ge_u32_e32 vcc, s9, v12
	v_cmp_le_u32_e64 s[0:1], v13, v10
	s_or_b64 s[0:1], vcc, s[0:1]
	s_and_saveexec_b64 s[14:15], s[0:1]
	s_cbranch_execz .LBB1445_21
; %bb.16:
	v_cmp_gt_u32_e32 vcc, s9, v12
                                        ; implicit-def: $vgpr2_vgpr3
	s_and_saveexec_b64 s[0:1], vcc
	s_cbranch_execz .LBB1445_18
; %bb.17:
	v_lshlrev_b32_e32 v2, 3, v12
	ds_read_b64 v[2:3], v2
.LBB1445_18:
	s_or_b64 exec, exec, s[0:1]
	v_cmp_ge_u32_e64 s[0:1], v13, v10
	v_cmp_lt_u32_e64 s[2:3], v13, v10
                                        ; implicit-def: $vgpr4_vgpr5
	s_and_saveexec_b64 s[4:5], s[2:3]
	s_cbranch_execz .LBB1445_20
; %bb.19:
	v_lshlrev_b32_e32 v4, 3, v13
	ds_read_b64 v[4:5], v4
.LBB1445_20:
	s_or_b64 exec, exec, s[4:5]
	s_waitcnt lgkmcnt(0)
	v_cmp_le_i64_e64 s[2:3], v[2:3], v[4:5]
	s_and_b64 s[2:3], vcc, s[2:3]
	s_or_b64 vcc, s[0:1], s[2:3]
	v_mov_b32_e32 v16, s9
	v_cndmask_b32_e32 v6, v13, v12, vcc
	v_cndmask_b32_e32 v7, v10, v16, vcc
	v_add_u32_e32 v14, 1, v6
	v_add_u32_e32 v6, -1, v7
	v_min_u32_e32 v6, v14, v6
	v_lshlrev_b32_e32 v6, 3, v6
	ds_read_b64 v[6:7], v6
	v_cndmask_b32_e32 v18, v12, v14, vcc
	v_cndmask_b32_e32 v17, v14, v13, vcc
	v_cmp_gt_u32_e64 s[2:3], s9, v18
	v_cmp_ge_u32_e64 s[0:1], v17, v10
	s_waitcnt lgkmcnt(0)
	v_cndmask_b32_e32 v9, v7, v5, vcc
	v_cndmask_b32_e32 v8, v6, v4, vcc
	;; [unrolled: 1-line block ×4, first 2 shown]
	v_cmp_le_i64_e64 s[4:5], v[6:7], v[8:9]
	s_and_b64 s[2:3], s[2:3], s[4:5]
	s_or_b64 s[0:1], s[0:1], s[2:3]
	v_cndmask_b32_e64 v12, v17, v18, s[0:1]
	v_cndmask_b32_e64 v13, v10, v16, s[0:1]
	v_add_u32_e32 v19, 1, v12
	v_add_u32_e32 v12, -1, v13
	v_min_u32_e32 v12, v19, v12
	v_lshlrev_b32_e32 v12, 3, v12
	ds_read_b64 v[12:13], v12
	v_cndmask_b32_e64 v18, v18, v19, s[0:1]
	v_cndmask_b32_e64 v20, v19, v17, s[0:1]
	v_cmp_gt_u32_e64 s[2:3], s9, v18
	v_cndmask_b32_e32 v3, v5, v3, vcc
	s_waitcnt lgkmcnt(0)
	v_cndmask_b32_e64 v15, v13, v9, s[0:1]
	v_cndmask_b32_e64 v14, v12, v8, s[0:1]
	;; [unrolled: 1-line block ×4, first 2 shown]
	v_cmp_le_i64_e64 s[4:5], v[12:13], v[14:15]
	v_cndmask_b32_e32 v2, v4, v2, vcc
	v_cmp_ge_u32_e32 vcc, v20, v10
	s_and_b64 s[2:3], s[2:3], s[4:5]
	s_or_b64 vcc, vcc, s[2:3]
	v_cndmask_b32_e32 v4, v20, v18, vcc
	v_cndmask_b32_e32 v5, v10, v16, vcc
	v_add_u32_e32 v19, 1, v4
	v_add_u32_e32 v4, -1, v5
	v_min_u32_e32 v4, v19, v4
	v_lshlrev_b32_e32 v4, 3, v4
	ds_read_b64 v[16:17], v4
	v_cndmask_b32_e64 v5, v9, v7, s[0:1]
	v_cndmask_b32_e64 v4, v8, v6, s[0:1]
	v_cndmask_b32_e32 v7, v15, v13, vcc
	v_cndmask_b32_e32 v6, v14, v12, vcc
	s_waitcnt lgkmcnt(0)
	v_cndmask_b32_e32 v9, v17, v15, vcc
	v_cndmask_b32_e32 v8, v16, v14, vcc
	;; [unrolled: 1-line block ×6, first 2 shown]
	v_cmp_gt_u32_e64 s[0:1], s9, v15
	v_cmp_le_i64_e64 s[2:3], v[12:13], v[8:9]
	v_cmp_ge_u32_e32 vcc, v14, v10
	s_and_b64 s[0:1], s[0:1], s[2:3]
	s_or_b64 vcc, vcc, s[0:1]
	v_cndmask_b32_e32 v9, v9, v13, vcc
	v_cndmask_b32_e32 v8, v8, v12, vcc
.LBB1445_21:
	s_or_b64 exec, exec, s[14:15]
	v_and_b32_e32 v10, 0xf8, v0
	v_lshl_add_u32 v10, v11, 3, v10
	s_barrier
	s_barrier
	ds_write2_b64 v10, v[2:3], v[4:5] offset1:1
	ds_write2_b64 v10, v[6:7], v[8:9] offset0:2 offset1:3
	v_lshrrev_b32_e32 v2, 2, v0
	v_and_b32_e32 v2, 56, v2
	v_or_b32_e32 v12, 0x100, v0
	v_add_u32_e32 v13, v1, v2
	v_lshrrev_b32_e32 v2, 2, v12
	v_and_b32_e32 v2, 0x78, v2
	v_or_b32_e32 v11, 0x200, v0
	s_mov_b32 s11, 0
	v_add_u32_e32 v6, v1, v2
	v_lshrrev_b32_e32 v2, 2, v11
	s_lshl_b64 s[0:1], s[10:11], 3
	v_and_b32_e32 v2, 0xb8, v2
	v_or_b32_e32 v10, 0x300, v0
	s_add_u32 s0, s6, s0
	v_add_u32_e32 v7, v1, v2
	v_lshrrev_b32_e32 v2, 2, v10
	s_addc_u32 s1, s7, s1
	v_and_b32_e32 v2, 0xf8, v2
	v_add_u32_e32 v14, v1, v2
	v_mov_b32_e32 v3, s1
	v_add_co_u32_e32 v2, vcc, s0, v1
	v_addc_co_u32_e32 v3, vcc, 0, v3, vcc
	s_and_b64 vcc, exec, s[12:13]
	s_waitcnt lgkmcnt(0)
	s_cbranch_vccz .LBB1445_23
; %bb.22:
	s_barrier
	ds_read_b64 v[8:9], v13
	ds_read_b64 v[16:17], v6 offset:2048
	ds_read_b64 v[18:19], v7 offset:4096
	;; [unrolled: 1-line block ×3, first 2 shown]
	s_waitcnt lgkmcnt(3)
	global_store_dwordx2 v[2:3], v[8:9], off
	s_waitcnt lgkmcnt(2)
	global_store_dwordx2 v[2:3], v[16:17], off offset:2048
	v_add_co_u32_e32 v8, vcc, 0x1000, v2
	v_addc_co_u32_e32 v9, vcc, 0, v3, vcc
	s_waitcnt lgkmcnt(1)
	global_store_dwordx2 v[8:9], v[18:19], off
	s_mov_b64 s[0:1], -1
	s_cbranch_execz .LBB1445_24
	s_branch .LBB1445_29
.LBB1445_23:
	s_mov_b64 s[0:1], 0
                                        ; implicit-def: $vgpr4_vgpr5
.LBB1445_24:
	s_barrier
	s_waitcnt lgkmcnt(0)
	ds_read_b64 v[8:9], v6 offset:2048
	ds_read_b64 v[6:7], v7 offset:4096
	;; [unrolled: 1-line block ×3, first 2 shown]
	s_sub_i32 s2, s8, s10
	v_cmp_gt_u32_e32 vcc, s2, v0
	s_and_saveexec_b64 s[0:1], vcc
	s_cbranch_execnz .LBB1445_34
; %bb.25:
	s_or_b64 exec, exec, s[0:1]
	v_cmp_gt_u32_e32 vcc, s2, v12
	s_and_saveexec_b64 s[0:1], vcc
	s_cbranch_execnz .LBB1445_35
.LBB1445_26:
	s_or_b64 exec, exec, s[0:1]
	v_cmp_gt_u32_e32 vcc, s2, v11
	s_and_saveexec_b64 s[0:1], vcc
	s_cbranch_execz .LBB1445_28
.LBB1445_27:
	v_add_co_u32_e32 v0, vcc, 0x1000, v2
	v_addc_co_u32_e32 v1, vcc, 0, v3, vcc
	s_waitcnt lgkmcnt(1)
	global_store_dwordx2 v[0:1], v[6:7], off
.LBB1445_28:
	s_or_b64 exec, exec, s[0:1]
	v_cmp_gt_u32_e64 s[0:1], s2, v10
.LBB1445_29:
	s_and_saveexec_b64 s[2:3], s[0:1]
	s_cbranch_execz .LBB1445_31
; %bb.30:
	v_add_co_u32_e32 v0, vcc, 0x1000, v2
	v_addc_co_u32_e32 v1, vcc, 0, v3, vcc
	s_waitcnt lgkmcnt(0)
	global_store_dwordx2 v[0:1], v[4:5], off offset:2048
.LBB1445_31:
	s_endpgm
.LBB1445_32:
	s_waitcnt vmcnt(2)
	v_mov_b32_e32 v2, s15
	s_waitcnt vmcnt(1)
	v_add_co_u32_e32 v4, vcc, s7, v1
	v_mov_b32_e32 v3, 0
	v_addc_co_u32_e32 v5, vcc, 0, v2, vcc
	v_subrev_u32_e32 v2, s9, v0
	v_lshlrev_b64 v[2:3], 3, v[2:3]
	s_waitcnt vmcnt(0)
	v_mov_b32_e32 v6, s17
	v_add_co_u32_e32 v2, vcc, s16, v2
	v_addc_co_u32_e32 v3, vcc, v6, v3, vcc
	v_cmp_gt_u32_e32 vcc, s9, v0
	v_cndmask_b32_e32 v3, v3, v5, vcc
	v_cndmask_b32_e32 v2, v2, v4, vcc
	global_load_dwordx2 v[2:3], v[2:3], off
	s_or_b64 exec, exec, s[0:1]
	v_cmp_gt_u32_e32 vcc, s6, v12
	s_and_saveexec_b64 s[2:3], vcc
	s_cbranch_execz .LBB1445_6
.LBB1445_33:
	v_mov_b32_e32 v13, 0
	s_waitcnt vmcnt(1)
	v_lshlrev_b64 v[4:5], 3, v[12:13]
	v_mov_b32_e32 v11, s15
	v_add_co_u32_e32 v14, vcc, s7, v4
	v_addc_co_u32_e32 v11, vcc, v11, v5, vcc
	v_cmp_gt_u32_e32 vcc, s9, v12
	v_subrev_u32_e32 v12, s9, v12
	v_lshlrev_b64 v[4:5], 3, v[12:13]
	v_mov_b32_e32 v12, s17
	v_add_co_u32_e64 v4, s[0:1], s16, v4
	v_addc_co_u32_e64 v5, s[0:1], v12, v5, s[0:1]
	v_cndmask_b32_e32 v5, v5, v11, vcc
	v_cndmask_b32_e32 v4, v4, v14, vcc
	global_load_dwordx2 v[4:5], v[4:5], off
	s_or_b64 exec, exec, s[2:3]
	v_cmp_gt_u32_e32 vcc, s6, v10
	s_and_saveexec_b64 s[0:1], vcc
	s_cbranch_execnz .LBB1445_7
	s_branch .LBB1445_8
.LBB1445_34:
	ds_read_b64 v[0:1], v13
	s_waitcnt lgkmcnt(0)
	global_store_dwordx2 v[2:3], v[0:1], off
	s_or_b64 exec, exec, s[0:1]
	v_cmp_gt_u32_e32 vcc, s2, v12
	s_and_saveexec_b64 s[0:1], vcc
	s_cbranch_execz .LBB1445_26
.LBB1445_35:
	s_waitcnt lgkmcnt(2)
	global_store_dwordx2 v[2:3], v[8:9], off offset:2048
	s_or_b64 exec, exec, s[0:1]
	v_cmp_gt_u32_e32 vcc, s2, v11
	s_and_saveexec_b64 s[0:1], vcc
	s_cbranch_execnz .LBB1445_27
	s_branch .LBB1445_28
	.section	.rodata,"a",@progbits
	.p2align	6, 0x0
	.amdhsa_kernel _ZN7rocprim17ROCPRIM_400000_NS6detail17trampoline_kernelINS0_14default_configENS1_38merge_sort_block_merge_config_selectorIxNS0_10empty_typeEEEZZNS1_27merge_sort_block_merge_implIS3_N6thrust23THRUST_200600_302600_NS6detail15normal_iteratorINS9_10device_ptrIxEEEEPS5_jNS1_19radix_merge_compareILb0ELb0ExNS0_19identity_decomposerEEEEE10hipError_tT0_T1_T2_jT3_P12ihipStream_tbPNSt15iterator_traitsISK_E10value_typeEPNSQ_ISL_E10value_typeEPSM_NS1_7vsmem_tEENKUlT_SK_SL_SM_E_clISE_PxSF_SF_EESJ_SZ_SK_SL_SM_EUlSZ_E0_NS1_11comp_targetILNS1_3genE4ELNS1_11target_archE910ELNS1_3gpuE8ELNS1_3repE0EEENS1_38merge_mergepath_config_static_selectorELNS0_4arch9wavefront6targetE1EEEvSL_
		.amdhsa_group_segment_fixed_size 8448
		.amdhsa_private_segment_fixed_size 0
		.amdhsa_kernarg_size 320
		.amdhsa_user_sgpr_count 6
		.amdhsa_user_sgpr_private_segment_buffer 1
		.amdhsa_user_sgpr_dispatch_ptr 0
		.amdhsa_user_sgpr_queue_ptr 0
		.amdhsa_user_sgpr_kernarg_segment_ptr 1
		.amdhsa_user_sgpr_dispatch_id 0
		.amdhsa_user_sgpr_flat_scratch_init 0
		.amdhsa_user_sgpr_kernarg_preload_length 0
		.amdhsa_user_sgpr_kernarg_preload_offset 0
		.amdhsa_user_sgpr_private_segment_size 0
		.amdhsa_uses_dynamic_stack 0
		.amdhsa_system_sgpr_private_segment_wavefront_offset 0
		.amdhsa_system_sgpr_workgroup_id_x 1
		.amdhsa_system_sgpr_workgroup_id_y 1
		.amdhsa_system_sgpr_workgroup_id_z 1
		.amdhsa_system_sgpr_workgroup_info 0
		.amdhsa_system_vgpr_workitem_id 0
		.amdhsa_next_free_vgpr 22
		.amdhsa_next_free_sgpr 23
		.amdhsa_accum_offset 24
		.amdhsa_reserve_vcc 1
		.amdhsa_reserve_flat_scratch 0
		.amdhsa_float_round_mode_32 0
		.amdhsa_float_round_mode_16_64 0
		.amdhsa_float_denorm_mode_32 3
		.amdhsa_float_denorm_mode_16_64 3
		.amdhsa_dx10_clamp 1
		.amdhsa_ieee_mode 1
		.amdhsa_fp16_overflow 0
		.amdhsa_tg_split 0
		.amdhsa_exception_fp_ieee_invalid_op 0
		.amdhsa_exception_fp_denorm_src 0
		.amdhsa_exception_fp_ieee_div_zero 0
		.amdhsa_exception_fp_ieee_overflow 0
		.amdhsa_exception_fp_ieee_underflow 0
		.amdhsa_exception_fp_ieee_inexact 0
		.amdhsa_exception_int_div_zero 0
	.end_amdhsa_kernel
	.section	.text._ZN7rocprim17ROCPRIM_400000_NS6detail17trampoline_kernelINS0_14default_configENS1_38merge_sort_block_merge_config_selectorIxNS0_10empty_typeEEEZZNS1_27merge_sort_block_merge_implIS3_N6thrust23THRUST_200600_302600_NS6detail15normal_iteratorINS9_10device_ptrIxEEEEPS5_jNS1_19radix_merge_compareILb0ELb0ExNS0_19identity_decomposerEEEEE10hipError_tT0_T1_T2_jT3_P12ihipStream_tbPNSt15iterator_traitsISK_E10value_typeEPNSQ_ISL_E10value_typeEPSM_NS1_7vsmem_tEENKUlT_SK_SL_SM_E_clISE_PxSF_SF_EESJ_SZ_SK_SL_SM_EUlSZ_E0_NS1_11comp_targetILNS1_3genE4ELNS1_11target_archE910ELNS1_3gpuE8ELNS1_3repE0EEENS1_38merge_mergepath_config_static_selectorELNS0_4arch9wavefront6targetE1EEEvSL_,"axG",@progbits,_ZN7rocprim17ROCPRIM_400000_NS6detail17trampoline_kernelINS0_14default_configENS1_38merge_sort_block_merge_config_selectorIxNS0_10empty_typeEEEZZNS1_27merge_sort_block_merge_implIS3_N6thrust23THRUST_200600_302600_NS6detail15normal_iteratorINS9_10device_ptrIxEEEEPS5_jNS1_19radix_merge_compareILb0ELb0ExNS0_19identity_decomposerEEEEE10hipError_tT0_T1_T2_jT3_P12ihipStream_tbPNSt15iterator_traitsISK_E10value_typeEPNSQ_ISL_E10value_typeEPSM_NS1_7vsmem_tEENKUlT_SK_SL_SM_E_clISE_PxSF_SF_EESJ_SZ_SK_SL_SM_EUlSZ_E0_NS1_11comp_targetILNS1_3genE4ELNS1_11target_archE910ELNS1_3gpuE8ELNS1_3repE0EEENS1_38merge_mergepath_config_static_selectorELNS0_4arch9wavefront6targetE1EEEvSL_,comdat
.Lfunc_end1445:
	.size	_ZN7rocprim17ROCPRIM_400000_NS6detail17trampoline_kernelINS0_14default_configENS1_38merge_sort_block_merge_config_selectorIxNS0_10empty_typeEEEZZNS1_27merge_sort_block_merge_implIS3_N6thrust23THRUST_200600_302600_NS6detail15normal_iteratorINS9_10device_ptrIxEEEEPS5_jNS1_19radix_merge_compareILb0ELb0ExNS0_19identity_decomposerEEEEE10hipError_tT0_T1_T2_jT3_P12ihipStream_tbPNSt15iterator_traitsISK_E10value_typeEPNSQ_ISL_E10value_typeEPSM_NS1_7vsmem_tEENKUlT_SK_SL_SM_E_clISE_PxSF_SF_EESJ_SZ_SK_SL_SM_EUlSZ_E0_NS1_11comp_targetILNS1_3genE4ELNS1_11target_archE910ELNS1_3gpuE8ELNS1_3repE0EEENS1_38merge_mergepath_config_static_selectorELNS0_4arch9wavefront6targetE1EEEvSL_, .Lfunc_end1445-_ZN7rocprim17ROCPRIM_400000_NS6detail17trampoline_kernelINS0_14default_configENS1_38merge_sort_block_merge_config_selectorIxNS0_10empty_typeEEEZZNS1_27merge_sort_block_merge_implIS3_N6thrust23THRUST_200600_302600_NS6detail15normal_iteratorINS9_10device_ptrIxEEEEPS5_jNS1_19radix_merge_compareILb0ELb0ExNS0_19identity_decomposerEEEEE10hipError_tT0_T1_T2_jT3_P12ihipStream_tbPNSt15iterator_traitsISK_E10value_typeEPNSQ_ISL_E10value_typeEPSM_NS1_7vsmem_tEENKUlT_SK_SL_SM_E_clISE_PxSF_SF_EESJ_SZ_SK_SL_SM_EUlSZ_E0_NS1_11comp_targetILNS1_3genE4ELNS1_11target_archE910ELNS1_3gpuE8ELNS1_3repE0EEENS1_38merge_mergepath_config_static_selectorELNS0_4arch9wavefront6targetE1EEEvSL_
                                        ; -- End function
	.section	.AMDGPU.csdata,"",@progbits
; Kernel info:
; codeLenInByte = 2100
; NumSgprs: 27
; NumVgprs: 22
; NumAgprs: 0
; TotalNumVgprs: 22
; ScratchSize: 0
; MemoryBound: 0
; FloatMode: 240
; IeeeMode: 1
; LDSByteSize: 8448 bytes/workgroup (compile time only)
; SGPRBlocks: 3
; VGPRBlocks: 2
; NumSGPRsForWavesPerEU: 27
; NumVGPRsForWavesPerEU: 22
; AccumOffset: 24
; Occupancy: 7
; WaveLimiterHint : 1
; COMPUTE_PGM_RSRC2:SCRATCH_EN: 0
; COMPUTE_PGM_RSRC2:USER_SGPR: 6
; COMPUTE_PGM_RSRC2:TRAP_HANDLER: 0
; COMPUTE_PGM_RSRC2:TGID_X_EN: 1
; COMPUTE_PGM_RSRC2:TGID_Y_EN: 1
; COMPUTE_PGM_RSRC2:TGID_Z_EN: 1
; COMPUTE_PGM_RSRC2:TIDIG_COMP_CNT: 0
; COMPUTE_PGM_RSRC3_GFX90A:ACCUM_OFFSET: 5
; COMPUTE_PGM_RSRC3_GFX90A:TG_SPLIT: 0
	.section	.text._ZN7rocprim17ROCPRIM_400000_NS6detail17trampoline_kernelINS0_14default_configENS1_38merge_sort_block_merge_config_selectorIxNS0_10empty_typeEEEZZNS1_27merge_sort_block_merge_implIS3_N6thrust23THRUST_200600_302600_NS6detail15normal_iteratorINS9_10device_ptrIxEEEEPS5_jNS1_19radix_merge_compareILb0ELb0ExNS0_19identity_decomposerEEEEE10hipError_tT0_T1_T2_jT3_P12ihipStream_tbPNSt15iterator_traitsISK_E10value_typeEPNSQ_ISL_E10value_typeEPSM_NS1_7vsmem_tEENKUlT_SK_SL_SM_E_clISE_PxSF_SF_EESJ_SZ_SK_SL_SM_EUlSZ_E0_NS1_11comp_targetILNS1_3genE3ELNS1_11target_archE908ELNS1_3gpuE7ELNS1_3repE0EEENS1_38merge_mergepath_config_static_selectorELNS0_4arch9wavefront6targetE1EEEvSL_,"axG",@progbits,_ZN7rocprim17ROCPRIM_400000_NS6detail17trampoline_kernelINS0_14default_configENS1_38merge_sort_block_merge_config_selectorIxNS0_10empty_typeEEEZZNS1_27merge_sort_block_merge_implIS3_N6thrust23THRUST_200600_302600_NS6detail15normal_iteratorINS9_10device_ptrIxEEEEPS5_jNS1_19radix_merge_compareILb0ELb0ExNS0_19identity_decomposerEEEEE10hipError_tT0_T1_T2_jT3_P12ihipStream_tbPNSt15iterator_traitsISK_E10value_typeEPNSQ_ISL_E10value_typeEPSM_NS1_7vsmem_tEENKUlT_SK_SL_SM_E_clISE_PxSF_SF_EESJ_SZ_SK_SL_SM_EUlSZ_E0_NS1_11comp_targetILNS1_3genE3ELNS1_11target_archE908ELNS1_3gpuE7ELNS1_3repE0EEENS1_38merge_mergepath_config_static_selectorELNS0_4arch9wavefront6targetE1EEEvSL_,comdat
	.protected	_ZN7rocprim17ROCPRIM_400000_NS6detail17trampoline_kernelINS0_14default_configENS1_38merge_sort_block_merge_config_selectorIxNS0_10empty_typeEEEZZNS1_27merge_sort_block_merge_implIS3_N6thrust23THRUST_200600_302600_NS6detail15normal_iteratorINS9_10device_ptrIxEEEEPS5_jNS1_19radix_merge_compareILb0ELb0ExNS0_19identity_decomposerEEEEE10hipError_tT0_T1_T2_jT3_P12ihipStream_tbPNSt15iterator_traitsISK_E10value_typeEPNSQ_ISL_E10value_typeEPSM_NS1_7vsmem_tEENKUlT_SK_SL_SM_E_clISE_PxSF_SF_EESJ_SZ_SK_SL_SM_EUlSZ_E0_NS1_11comp_targetILNS1_3genE3ELNS1_11target_archE908ELNS1_3gpuE7ELNS1_3repE0EEENS1_38merge_mergepath_config_static_selectorELNS0_4arch9wavefront6targetE1EEEvSL_ ; -- Begin function _ZN7rocprim17ROCPRIM_400000_NS6detail17trampoline_kernelINS0_14default_configENS1_38merge_sort_block_merge_config_selectorIxNS0_10empty_typeEEEZZNS1_27merge_sort_block_merge_implIS3_N6thrust23THRUST_200600_302600_NS6detail15normal_iteratorINS9_10device_ptrIxEEEEPS5_jNS1_19radix_merge_compareILb0ELb0ExNS0_19identity_decomposerEEEEE10hipError_tT0_T1_T2_jT3_P12ihipStream_tbPNSt15iterator_traitsISK_E10value_typeEPNSQ_ISL_E10value_typeEPSM_NS1_7vsmem_tEENKUlT_SK_SL_SM_E_clISE_PxSF_SF_EESJ_SZ_SK_SL_SM_EUlSZ_E0_NS1_11comp_targetILNS1_3genE3ELNS1_11target_archE908ELNS1_3gpuE7ELNS1_3repE0EEENS1_38merge_mergepath_config_static_selectorELNS0_4arch9wavefront6targetE1EEEvSL_
	.globl	_ZN7rocprim17ROCPRIM_400000_NS6detail17trampoline_kernelINS0_14default_configENS1_38merge_sort_block_merge_config_selectorIxNS0_10empty_typeEEEZZNS1_27merge_sort_block_merge_implIS3_N6thrust23THRUST_200600_302600_NS6detail15normal_iteratorINS9_10device_ptrIxEEEEPS5_jNS1_19radix_merge_compareILb0ELb0ExNS0_19identity_decomposerEEEEE10hipError_tT0_T1_T2_jT3_P12ihipStream_tbPNSt15iterator_traitsISK_E10value_typeEPNSQ_ISL_E10value_typeEPSM_NS1_7vsmem_tEENKUlT_SK_SL_SM_E_clISE_PxSF_SF_EESJ_SZ_SK_SL_SM_EUlSZ_E0_NS1_11comp_targetILNS1_3genE3ELNS1_11target_archE908ELNS1_3gpuE7ELNS1_3repE0EEENS1_38merge_mergepath_config_static_selectorELNS0_4arch9wavefront6targetE1EEEvSL_
	.p2align	8
	.type	_ZN7rocprim17ROCPRIM_400000_NS6detail17trampoline_kernelINS0_14default_configENS1_38merge_sort_block_merge_config_selectorIxNS0_10empty_typeEEEZZNS1_27merge_sort_block_merge_implIS3_N6thrust23THRUST_200600_302600_NS6detail15normal_iteratorINS9_10device_ptrIxEEEEPS5_jNS1_19radix_merge_compareILb0ELb0ExNS0_19identity_decomposerEEEEE10hipError_tT0_T1_T2_jT3_P12ihipStream_tbPNSt15iterator_traitsISK_E10value_typeEPNSQ_ISL_E10value_typeEPSM_NS1_7vsmem_tEENKUlT_SK_SL_SM_E_clISE_PxSF_SF_EESJ_SZ_SK_SL_SM_EUlSZ_E0_NS1_11comp_targetILNS1_3genE3ELNS1_11target_archE908ELNS1_3gpuE7ELNS1_3repE0EEENS1_38merge_mergepath_config_static_selectorELNS0_4arch9wavefront6targetE1EEEvSL_,@function
_ZN7rocprim17ROCPRIM_400000_NS6detail17trampoline_kernelINS0_14default_configENS1_38merge_sort_block_merge_config_selectorIxNS0_10empty_typeEEEZZNS1_27merge_sort_block_merge_implIS3_N6thrust23THRUST_200600_302600_NS6detail15normal_iteratorINS9_10device_ptrIxEEEEPS5_jNS1_19radix_merge_compareILb0ELb0ExNS0_19identity_decomposerEEEEE10hipError_tT0_T1_T2_jT3_P12ihipStream_tbPNSt15iterator_traitsISK_E10value_typeEPNSQ_ISL_E10value_typeEPSM_NS1_7vsmem_tEENKUlT_SK_SL_SM_E_clISE_PxSF_SF_EESJ_SZ_SK_SL_SM_EUlSZ_E0_NS1_11comp_targetILNS1_3genE3ELNS1_11target_archE908ELNS1_3gpuE7ELNS1_3repE0EEENS1_38merge_mergepath_config_static_selectorELNS0_4arch9wavefront6targetE1EEEvSL_: ; @_ZN7rocprim17ROCPRIM_400000_NS6detail17trampoline_kernelINS0_14default_configENS1_38merge_sort_block_merge_config_selectorIxNS0_10empty_typeEEEZZNS1_27merge_sort_block_merge_implIS3_N6thrust23THRUST_200600_302600_NS6detail15normal_iteratorINS9_10device_ptrIxEEEEPS5_jNS1_19radix_merge_compareILb0ELb0ExNS0_19identity_decomposerEEEEE10hipError_tT0_T1_T2_jT3_P12ihipStream_tbPNSt15iterator_traitsISK_E10value_typeEPNSQ_ISL_E10value_typeEPSM_NS1_7vsmem_tEENKUlT_SK_SL_SM_E_clISE_PxSF_SF_EESJ_SZ_SK_SL_SM_EUlSZ_E0_NS1_11comp_targetILNS1_3genE3ELNS1_11target_archE908ELNS1_3gpuE7ELNS1_3repE0EEENS1_38merge_mergepath_config_static_selectorELNS0_4arch9wavefront6targetE1EEEvSL_
; %bb.0:
	.section	.rodata,"a",@progbits
	.p2align	6, 0x0
	.amdhsa_kernel _ZN7rocprim17ROCPRIM_400000_NS6detail17trampoline_kernelINS0_14default_configENS1_38merge_sort_block_merge_config_selectorIxNS0_10empty_typeEEEZZNS1_27merge_sort_block_merge_implIS3_N6thrust23THRUST_200600_302600_NS6detail15normal_iteratorINS9_10device_ptrIxEEEEPS5_jNS1_19radix_merge_compareILb0ELb0ExNS0_19identity_decomposerEEEEE10hipError_tT0_T1_T2_jT3_P12ihipStream_tbPNSt15iterator_traitsISK_E10value_typeEPNSQ_ISL_E10value_typeEPSM_NS1_7vsmem_tEENKUlT_SK_SL_SM_E_clISE_PxSF_SF_EESJ_SZ_SK_SL_SM_EUlSZ_E0_NS1_11comp_targetILNS1_3genE3ELNS1_11target_archE908ELNS1_3gpuE7ELNS1_3repE0EEENS1_38merge_mergepath_config_static_selectorELNS0_4arch9wavefront6targetE1EEEvSL_
		.amdhsa_group_segment_fixed_size 0
		.amdhsa_private_segment_fixed_size 0
		.amdhsa_kernarg_size 64
		.amdhsa_user_sgpr_count 6
		.amdhsa_user_sgpr_private_segment_buffer 1
		.amdhsa_user_sgpr_dispatch_ptr 0
		.amdhsa_user_sgpr_queue_ptr 0
		.amdhsa_user_sgpr_kernarg_segment_ptr 1
		.amdhsa_user_sgpr_dispatch_id 0
		.amdhsa_user_sgpr_flat_scratch_init 0
		.amdhsa_user_sgpr_kernarg_preload_length 0
		.amdhsa_user_sgpr_kernarg_preload_offset 0
		.amdhsa_user_sgpr_private_segment_size 0
		.amdhsa_uses_dynamic_stack 0
		.amdhsa_system_sgpr_private_segment_wavefront_offset 0
		.amdhsa_system_sgpr_workgroup_id_x 1
		.amdhsa_system_sgpr_workgroup_id_y 0
		.amdhsa_system_sgpr_workgroup_id_z 0
		.amdhsa_system_sgpr_workgroup_info 0
		.amdhsa_system_vgpr_workitem_id 0
		.amdhsa_next_free_vgpr 1
		.amdhsa_next_free_sgpr 0
		.amdhsa_accum_offset 4
		.amdhsa_reserve_vcc 0
		.amdhsa_reserve_flat_scratch 0
		.amdhsa_float_round_mode_32 0
		.amdhsa_float_round_mode_16_64 0
		.amdhsa_float_denorm_mode_32 3
		.amdhsa_float_denorm_mode_16_64 3
		.amdhsa_dx10_clamp 1
		.amdhsa_ieee_mode 1
		.amdhsa_fp16_overflow 0
		.amdhsa_tg_split 0
		.amdhsa_exception_fp_ieee_invalid_op 0
		.amdhsa_exception_fp_denorm_src 0
		.amdhsa_exception_fp_ieee_div_zero 0
		.amdhsa_exception_fp_ieee_overflow 0
		.amdhsa_exception_fp_ieee_underflow 0
		.amdhsa_exception_fp_ieee_inexact 0
		.amdhsa_exception_int_div_zero 0
	.end_amdhsa_kernel
	.section	.text._ZN7rocprim17ROCPRIM_400000_NS6detail17trampoline_kernelINS0_14default_configENS1_38merge_sort_block_merge_config_selectorIxNS0_10empty_typeEEEZZNS1_27merge_sort_block_merge_implIS3_N6thrust23THRUST_200600_302600_NS6detail15normal_iteratorINS9_10device_ptrIxEEEEPS5_jNS1_19radix_merge_compareILb0ELb0ExNS0_19identity_decomposerEEEEE10hipError_tT0_T1_T2_jT3_P12ihipStream_tbPNSt15iterator_traitsISK_E10value_typeEPNSQ_ISL_E10value_typeEPSM_NS1_7vsmem_tEENKUlT_SK_SL_SM_E_clISE_PxSF_SF_EESJ_SZ_SK_SL_SM_EUlSZ_E0_NS1_11comp_targetILNS1_3genE3ELNS1_11target_archE908ELNS1_3gpuE7ELNS1_3repE0EEENS1_38merge_mergepath_config_static_selectorELNS0_4arch9wavefront6targetE1EEEvSL_,"axG",@progbits,_ZN7rocprim17ROCPRIM_400000_NS6detail17trampoline_kernelINS0_14default_configENS1_38merge_sort_block_merge_config_selectorIxNS0_10empty_typeEEEZZNS1_27merge_sort_block_merge_implIS3_N6thrust23THRUST_200600_302600_NS6detail15normal_iteratorINS9_10device_ptrIxEEEEPS5_jNS1_19radix_merge_compareILb0ELb0ExNS0_19identity_decomposerEEEEE10hipError_tT0_T1_T2_jT3_P12ihipStream_tbPNSt15iterator_traitsISK_E10value_typeEPNSQ_ISL_E10value_typeEPSM_NS1_7vsmem_tEENKUlT_SK_SL_SM_E_clISE_PxSF_SF_EESJ_SZ_SK_SL_SM_EUlSZ_E0_NS1_11comp_targetILNS1_3genE3ELNS1_11target_archE908ELNS1_3gpuE7ELNS1_3repE0EEENS1_38merge_mergepath_config_static_selectorELNS0_4arch9wavefront6targetE1EEEvSL_,comdat
.Lfunc_end1446:
	.size	_ZN7rocprim17ROCPRIM_400000_NS6detail17trampoline_kernelINS0_14default_configENS1_38merge_sort_block_merge_config_selectorIxNS0_10empty_typeEEEZZNS1_27merge_sort_block_merge_implIS3_N6thrust23THRUST_200600_302600_NS6detail15normal_iteratorINS9_10device_ptrIxEEEEPS5_jNS1_19radix_merge_compareILb0ELb0ExNS0_19identity_decomposerEEEEE10hipError_tT0_T1_T2_jT3_P12ihipStream_tbPNSt15iterator_traitsISK_E10value_typeEPNSQ_ISL_E10value_typeEPSM_NS1_7vsmem_tEENKUlT_SK_SL_SM_E_clISE_PxSF_SF_EESJ_SZ_SK_SL_SM_EUlSZ_E0_NS1_11comp_targetILNS1_3genE3ELNS1_11target_archE908ELNS1_3gpuE7ELNS1_3repE0EEENS1_38merge_mergepath_config_static_selectorELNS0_4arch9wavefront6targetE1EEEvSL_, .Lfunc_end1446-_ZN7rocprim17ROCPRIM_400000_NS6detail17trampoline_kernelINS0_14default_configENS1_38merge_sort_block_merge_config_selectorIxNS0_10empty_typeEEEZZNS1_27merge_sort_block_merge_implIS3_N6thrust23THRUST_200600_302600_NS6detail15normal_iteratorINS9_10device_ptrIxEEEEPS5_jNS1_19radix_merge_compareILb0ELb0ExNS0_19identity_decomposerEEEEE10hipError_tT0_T1_T2_jT3_P12ihipStream_tbPNSt15iterator_traitsISK_E10value_typeEPNSQ_ISL_E10value_typeEPSM_NS1_7vsmem_tEENKUlT_SK_SL_SM_E_clISE_PxSF_SF_EESJ_SZ_SK_SL_SM_EUlSZ_E0_NS1_11comp_targetILNS1_3genE3ELNS1_11target_archE908ELNS1_3gpuE7ELNS1_3repE0EEENS1_38merge_mergepath_config_static_selectorELNS0_4arch9wavefront6targetE1EEEvSL_
                                        ; -- End function
	.section	.AMDGPU.csdata,"",@progbits
; Kernel info:
; codeLenInByte = 0
; NumSgprs: 4
; NumVgprs: 0
; NumAgprs: 0
; TotalNumVgprs: 0
; ScratchSize: 0
; MemoryBound: 0
; FloatMode: 240
; IeeeMode: 1
; LDSByteSize: 0 bytes/workgroup (compile time only)
; SGPRBlocks: 0
; VGPRBlocks: 0
; NumSGPRsForWavesPerEU: 4
; NumVGPRsForWavesPerEU: 1
; AccumOffset: 4
; Occupancy: 8
; WaveLimiterHint : 0
; COMPUTE_PGM_RSRC2:SCRATCH_EN: 0
; COMPUTE_PGM_RSRC2:USER_SGPR: 6
; COMPUTE_PGM_RSRC2:TRAP_HANDLER: 0
; COMPUTE_PGM_RSRC2:TGID_X_EN: 1
; COMPUTE_PGM_RSRC2:TGID_Y_EN: 0
; COMPUTE_PGM_RSRC2:TGID_Z_EN: 0
; COMPUTE_PGM_RSRC2:TIDIG_COMP_CNT: 0
; COMPUTE_PGM_RSRC3_GFX90A:ACCUM_OFFSET: 0
; COMPUTE_PGM_RSRC3_GFX90A:TG_SPLIT: 0
	.section	.text._ZN7rocprim17ROCPRIM_400000_NS6detail17trampoline_kernelINS0_14default_configENS1_38merge_sort_block_merge_config_selectorIxNS0_10empty_typeEEEZZNS1_27merge_sort_block_merge_implIS3_N6thrust23THRUST_200600_302600_NS6detail15normal_iteratorINS9_10device_ptrIxEEEEPS5_jNS1_19radix_merge_compareILb0ELb0ExNS0_19identity_decomposerEEEEE10hipError_tT0_T1_T2_jT3_P12ihipStream_tbPNSt15iterator_traitsISK_E10value_typeEPNSQ_ISL_E10value_typeEPSM_NS1_7vsmem_tEENKUlT_SK_SL_SM_E_clISE_PxSF_SF_EESJ_SZ_SK_SL_SM_EUlSZ_E0_NS1_11comp_targetILNS1_3genE2ELNS1_11target_archE906ELNS1_3gpuE6ELNS1_3repE0EEENS1_38merge_mergepath_config_static_selectorELNS0_4arch9wavefront6targetE1EEEvSL_,"axG",@progbits,_ZN7rocprim17ROCPRIM_400000_NS6detail17trampoline_kernelINS0_14default_configENS1_38merge_sort_block_merge_config_selectorIxNS0_10empty_typeEEEZZNS1_27merge_sort_block_merge_implIS3_N6thrust23THRUST_200600_302600_NS6detail15normal_iteratorINS9_10device_ptrIxEEEEPS5_jNS1_19radix_merge_compareILb0ELb0ExNS0_19identity_decomposerEEEEE10hipError_tT0_T1_T2_jT3_P12ihipStream_tbPNSt15iterator_traitsISK_E10value_typeEPNSQ_ISL_E10value_typeEPSM_NS1_7vsmem_tEENKUlT_SK_SL_SM_E_clISE_PxSF_SF_EESJ_SZ_SK_SL_SM_EUlSZ_E0_NS1_11comp_targetILNS1_3genE2ELNS1_11target_archE906ELNS1_3gpuE6ELNS1_3repE0EEENS1_38merge_mergepath_config_static_selectorELNS0_4arch9wavefront6targetE1EEEvSL_,comdat
	.protected	_ZN7rocprim17ROCPRIM_400000_NS6detail17trampoline_kernelINS0_14default_configENS1_38merge_sort_block_merge_config_selectorIxNS0_10empty_typeEEEZZNS1_27merge_sort_block_merge_implIS3_N6thrust23THRUST_200600_302600_NS6detail15normal_iteratorINS9_10device_ptrIxEEEEPS5_jNS1_19radix_merge_compareILb0ELb0ExNS0_19identity_decomposerEEEEE10hipError_tT0_T1_T2_jT3_P12ihipStream_tbPNSt15iterator_traitsISK_E10value_typeEPNSQ_ISL_E10value_typeEPSM_NS1_7vsmem_tEENKUlT_SK_SL_SM_E_clISE_PxSF_SF_EESJ_SZ_SK_SL_SM_EUlSZ_E0_NS1_11comp_targetILNS1_3genE2ELNS1_11target_archE906ELNS1_3gpuE6ELNS1_3repE0EEENS1_38merge_mergepath_config_static_selectorELNS0_4arch9wavefront6targetE1EEEvSL_ ; -- Begin function _ZN7rocprim17ROCPRIM_400000_NS6detail17trampoline_kernelINS0_14default_configENS1_38merge_sort_block_merge_config_selectorIxNS0_10empty_typeEEEZZNS1_27merge_sort_block_merge_implIS3_N6thrust23THRUST_200600_302600_NS6detail15normal_iteratorINS9_10device_ptrIxEEEEPS5_jNS1_19radix_merge_compareILb0ELb0ExNS0_19identity_decomposerEEEEE10hipError_tT0_T1_T2_jT3_P12ihipStream_tbPNSt15iterator_traitsISK_E10value_typeEPNSQ_ISL_E10value_typeEPSM_NS1_7vsmem_tEENKUlT_SK_SL_SM_E_clISE_PxSF_SF_EESJ_SZ_SK_SL_SM_EUlSZ_E0_NS1_11comp_targetILNS1_3genE2ELNS1_11target_archE906ELNS1_3gpuE6ELNS1_3repE0EEENS1_38merge_mergepath_config_static_selectorELNS0_4arch9wavefront6targetE1EEEvSL_
	.globl	_ZN7rocprim17ROCPRIM_400000_NS6detail17trampoline_kernelINS0_14default_configENS1_38merge_sort_block_merge_config_selectorIxNS0_10empty_typeEEEZZNS1_27merge_sort_block_merge_implIS3_N6thrust23THRUST_200600_302600_NS6detail15normal_iteratorINS9_10device_ptrIxEEEEPS5_jNS1_19radix_merge_compareILb0ELb0ExNS0_19identity_decomposerEEEEE10hipError_tT0_T1_T2_jT3_P12ihipStream_tbPNSt15iterator_traitsISK_E10value_typeEPNSQ_ISL_E10value_typeEPSM_NS1_7vsmem_tEENKUlT_SK_SL_SM_E_clISE_PxSF_SF_EESJ_SZ_SK_SL_SM_EUlSZ_E0_NS1_11comp_targetILNS1_3genE2ELNS1_11target_archE906ELNS1_3gpuE6ELNS1_3repE0EEENS1_38merge_mergepath_config_static_selectorELNS0_4arch9wavefront6targetE1EEEvSL_
	.p2align	8
	.type	_ZN7rocprim17ROCPRIM_400000_NS6detail17trampoline_kernelINS0_14default_configENS1_38merge_sort_block_merge_config_selectorIxNS0_10empty_typeEEEZZNS1_27merge_sort_block_merge_implIS3_N6thrust23THRUST_200600_302600_NS6detail15normal_iteratorINS9_10device_ptrIxEEEEPS5_jNS1_19radix_merge_compareILb0ELb0ExNS0_19identity_decomposerEEEEE10hipError_tT0_T1_T2_jT3_P12ihipStream_tbPNSt15iterator_traitsISK_E10value_typeEPNSQ_ISL_E10value_typeEPSM_NS1_7vsmem_tEENKUlT_SK_SL_SM_E_clISE_PxSF_SF_EESJ_SZ_SK_SL_SM_EUlSZ_E0_NS1_11comp_targetILNS1_3genE2ELNS1_11target_archE906ELNS1_3gpuE6ELNS1_3repE0EEENS1_38merge_mergepath_config_static_selectorELNS0_4arch9wavefront6targetE1EEEvSL_,@function
_ZN7rocprim17ROCPRIM_400000_NS6detail17trampoline_kernelINS0_14default_configENS1_38merge_sort_block_merge_config_selectorIxNS0_10empty_typeEEEZZNS1_27merge_sort_block_merge_implIS3_N6thrust23THRUST_200600_302600_NS6detail15normal_iteratorINS9_10device_ptrIxEEEEPS5_jNS1_19radix_merge_compareILb0ELb0ExNS0_19identity_decomposerEEEEE10hipError_tT0_T1_T2_jT3_P12ihipStream_tbPNSt15iterator_traitsISK_E10value_typeEPNSQ_ISL_E10value_typeEPSM_NS1_7vsmem_tEENKUlT_SK_SL_SM_E_clISE_PxSF_SF_EESJ_SZ_SK_SL_SM_EUlSZ_E0_NS1_11comp_targetILNS1_3genE2ELNS1_11target_archE906ELNS1_3gpuE6ELNS1_3repE0EEENS1_38merge_mergepath_config_static_selectorELNS0_4arch9wavefront6targetE1EEEvSL_: ; @_ZN7rocprim17ROCPRIM_400000_NS6detail17trampoline_kernelINS0_14default_configENS1_38merge_sort_block_merge_config_selectorIxNS0_10empty_typeEEEZZNS1_27merge_sort_block_merge_implIS3_N6thrust23THRUST_200600_302600_NS6detail15normal_iteratorINS9_10device_ptrIxEEEEPS5_jNS1_19radix_merge_compareILb0ELb0ExNS0_19identity_decomposerEEEEE10hipError_tT0_T1_T2_jT3_P12ihipStream_tbPNSt15iterator_traitsISK_E10value_typeEPNSQ_ISL_E10value_typeEPSM_NS1_7vsmem_tEENKUlT_SK_SL_SM_E_clISE_PxSF_SF_EESJ_SZ_SK_SL_SM_EUlSZ_E0_NS1_11comp_targetILNS1_3genE2ELNS1_11target_archE906ELNS1_3gpuE6ELNS1_3repE0EEENS1_38merge_mergepath_config_static_selectorELNS0_4arch9wavefront6targetE1EEEvSL_
; %bb.0:
	.section	.rodata,"a",@progbits
	.p2align	6, 0x0
	.amdhsa_kernel _ZN7rocprim17ROCPRIM_400000_NS6detail17trampoline_kernelINS0_14default_configENS1_38merge_sort_block_merge_config_selectorIxNS0_10empty_typeEEEZZNS1_27merge_sort_block_merge_implIS3_N6thrust23THRUST_200600_302600_NS6detail15normal_iteratorINS9_10device_ptrIxEEEEPS5_jNS1_19radix_merge_compareILb0ELb0ExNS0_19identity_decomposerEEEEE10hipError_tT0_T1_T2_jT3_P12ihipStream_tbPNSt15iterator_traitsISK_E10value_typeEPNSQ_ISL_E10value_typeEPSM_NS1_7vsmem_tEENKUlT_SK_SL_SM_E_clISE_PxSF_SF_EESJ_SZ_SK_SL_SM_EUlSZ_E0_NS1_11comp_targetILNS1_3genE2ELNS1_11target_archE906ELNS1_3gpuE6ELNS1_3repE0EEENS1_38merge_mergepath_config_static_selectorELNS0_4arch9wavefront6targetE1EEEvSL_
		.amdhsa_group_segment_fixed_size 0
		.amdhsa_private_segment_fixed_size 0
		.amdhsa_kernarg_size 64
		.amdhsa_user_sgpr_count 6
		.amdhsa_user_sgpr_private_segment_buffer 1
		.amdhsa_user_sgpr_dispatch_ptr 0
		.amdhsa_user_sgpr_queue_ptr 0
		.amdhsa_user_sgpr_kernarg_segment_ptr 1
		.amdhsa_user_sgpr_dispatch_id 0
		.amdhsa_user_sgpr_flat_scratch_init 0
		.amdhsa_user_sgpr_kernarg_preload_length 0
		.amdhsa_user_sgpr_kernarg_preload_offset 0
		.amdhsa_user_sgpr_private_segment_size 0
		.amdhsa_uses_dynamic_stack 0
		.amdhsa_system_sgpr_private_segment_wavefront_offset 0
		.amdhsa_system_sgpr_workgroup_id_x 1
		.amdhsa_system_sgpr_workgroup_id_y 0
		.amdhsa_system_sgpr_workgroup_id_z 0
		.amdhsa_system_sgpr_workgroup_info 0
		.amdhsa_system_vgpr_workitem_id 0
		.amdhsa_next_free_vgpr 1
		.amdhsa_next_free_sgpr 0
		.amdhsa_accum_offset 4
		.amdhsa_reserve_vcc 0
		.amdhsa_reserve_flat_scratch 0
		.amdhsa_float_round_mode_32 0
		.amdhsa_float_round_mode_16_64 0
		.amdhsa_float_denorm_mode_32 3
		.amdhsa_float_denorm_mode_16_64 3
		.amdhsa_dx10_clamp 1
		.amdhsa_ieee_mode 1
		.amdhsa_fp16_overflow 0
		.amdhsa_tg_split 0
		.amdhsa_exception_fp_ieee_invalid_op 0
		.amdhsa_exception_fp_denorm_src 0
		.amdhsa_exception_fp_ieee_div_zero 0
		.amdhsa_exception_fp_ieee_overflow 0
		.amdhsa_exception_fp_ieee_underflow 0
		.amdhsa_exception_fp_ieee_inexact 0
		.amdhsa_exception_int_div_zero 0
	.end_amdhsa_kernel
	.section	.text._ZN7rocprim17ROCPRIM_400000_NS6detail17trampoline_kernelINS0_14default_configENS1_38merge_sort_block_merge_config_selectorIxNS0_10empty_typeEEEZZNS1_27merge_sort_block_merge_implIS3_N6thrust23THRUST_200600_302600_NS6detail15normal_iteratorINS9_10device_ptrIxEEEEPS5_jNS1_19radix_merge_compareILb0ELb0ExNS0_19identity_decomposerEEEEE10hipError_tT0_T1_T2_jT3_P12ihipStream_tbPNSt15iterator_traitsISK_E10value_typeEPNSQ_ISL_E10value_typeEPSM_NS1_7vsmem_tEENKUlT_SK_SL_SM_E_clISE_PxSF_SF_EESJ_SZ_SK_SL_SM_EUlSZ_E0_NS1_11comp_targetILNS1_3genE2ELNS1_11target_archE906ELNS1_3gpuE6ELNS1_3repE0EEENS1_38merge_mergepath_config_static_selectorELNS0_4arch9wavefront6targetE1EEEvSL_,"axG",@progbits,_ZN7rocprim17ROCPRIM_400000_NS6detail17trampoline_kernelINS0_14default_configENS1_38merge_sort_block_merge_config_selectorIxNS0_10empty_typeEEEZZNS1_27merge_sort_block_merge_implIS3_N6thrust23THRUST_200600_302600_NS6detail15normal_iteratorINS9_10device_ptrIxEEEEPS5_jNS1_19radix_merge_compareILb0ELb0ExNS0_19identity_decomposerEEEEE10hipError_tT0_T1_T2_jT3_P12ihipStream_tbPNSt15iterator_traitsISK_E10value_typeEPNSQ_ISL_E10value_typeEPSM_NS1_7vsmem_tEENKUlT_SK_SL_SM_E_clISE_PxSF_SF_EESJ_SZ_SK_SL_SM_EUlSZ_E0_NS1_11comp_targetILNS1_3genE2ELNS1_11target_archE906ELNS1_3gpuE6ELNS1_3repE0EEENS1_38merge_mergepath_config_static_selectorELNS0_4arch9wavefront6targetE1EEEvSL_,comdat
.Lfunc_end1447:
	.size	_ZN7rocprim17ROCPRIM_400000_NS6detail17trampoline_kernelINS0_14default_configENS1_38merge_sort_block_merge_config_selectorIxNS0_10empty_typeEEEZZNS1_27merge_sort_block_merge_implIS3_N6thrust23THRUST_200600_302600_NS6detail15normal_iteratorINS9_10device_ptrIxEEEEPS5_jNS1_19radix_merge_compareILb0ELb0ExNS0_19identity_decomposerEEEEE10hipError_tT0_T1_T2_jT3_P12ihipStream_tbPNSt15iterator_traitsISK_E10value_typeEPNSQ_ISL_E10value_typeEPSM_NS1_7vsmem_tEENKUlT_SK_SL_SM_E_clISE_PxSF_SF_EESJ_SZ_SK_SL_SM_EUlSZ_E0_NS1_11comp_targetILNS1_3genE2ELNS1_11target_archE906ELNS1_3gpuE6ELNS1_3repE0EEENS1_38merge_mergepath_config_static_selectorELNS0_4arch9wavefront6targetE1EEEvSL_, .Lfunc_end1447-_ZN7rocprim17ROCPRIM_400000_NS6detail17trampoline_kernelINS0_14default_configENS1_38merge_sort_block_merge_config_selectorIxNS0_10empty_typeEEEZZNS1_27merge_sort_block_merge_implIS3_N6thrust23THRUST_200600_302600_NS6detail15normal_iteratorINS9_10device_ptrIxEEEEPS5_jNS1_19radix_merge_compareILb0ELb0ExNS0_19identity_decomposerEEEEE10hipError_tT0_T1_T2_jT3_P12ihipStream_tbPNSt15iterator_traitsISK_E10value_typeEPNSQ_ISL_E10value_typeEPSM_NS1_7vsmem_tEENKUlT_SK_SL_SM_E_clISE_PxSF_SF_EESJ_SZ_SK_SL_SM_EUlSZ_E0_NS1_11comp_targetILNS1_3genE2ELNS1_11target_archE906ELNS1_3gpuE6ELNS1_3repE0EEENS1_38merge_mergepath_config_static_selectorELNS0_4arch9wavefront6targetE1EEEvSL_
                                        ; -- End function
	.section	.AMDGPU.csdata,"",@progbits
; Kernel info:
; codeLenInByte = 0
; NumSgprs: 4
; NumVgprs: 0
; NumAgprs: 0
; TotalNumVgprs: 0
; ScratchSize: 0
; MemoryBound: 0
; FloatMode: 240
; IeeeMode: 1
; LDSByteSize: 0 bytes/workgroup (compile time only)
; SGPRBlocks: 0
; VGPRBlocks: 0
; NumSGPRsForWavesPerEU: 4
; NumVGPRsForWavesPerEU: 1
; AccumOffset: 4
; Occupancy: 8
; WaveLimiterHint : 0
; COMPUTE_PGM_RSRC2:SCRATCH_EN: 0
; COMPUTE_PGM_RSRC2:USER_SGPR: 6
; COMPUTE_PGM_RSRC2:TRAP_HANDLER: 0
; COMPUTE_PGM_RSRC2:TGID_X_EN: 1
; COMPUTE_PGM_RSRC2:TGID_Y_EN: 0
; COMPUTE_PGM_RSRC2:TGID_Z_EN: 0
; COMPUTE_PGM_RSRC2:TIDIG_COMP_CNT: 0
; COMPUTE_PGM_RSRC3_GFX90A:ACCUM_OFFSET: 0
; COMPUTE_PGM_RSRC3_GFX90A:TG_SPLIT: 0
	.section	.text._ZN7rocprim17ROCPRIM_400000_NS6detail17trampoline_kernelINS0_14default_configENS1_38merge_sort_block_merge_config_selectorIxNS0_10empty_typeEEEZZNS1_27merge_sort_block_merge_implIS3_N6thrust23THRUST_200600_302600_NS6detail15normal_iteratorINS9_10device_ptrIxEEEEPS5_jNS1_19radix_merge_compareILb0ELb0ExNS0_19identity_decomposerEEEEE10hipError_tT0_T1_T2_jT3_P12ihipStream_tbPNSt15iterator_traitsISK_E10value_typeEPNSQ_ISL_E10value_typeEPSM_NS1_7vsmem_tEENKUlT_SK_SL_SM_E_clISE_PxSF_SF_EESJ_SZ_SK_SL_SM_EUlSZ_E0_NS1_11comp_targetILNS1_3genE9ELNS1_11target_archE1100ELNS1_3gpuE3ELNS1_3repE0EEENS1_38merge_mergepath_config_static_selectorELNS0_4arch9wavefront6targetE1EEEvSL_,"axG",@progbits,_ZN7rocprim17ROCPRIM_400000_NS6detail17trampoline_kernelINS0_14default_configENS1_38merge_sort_block_merge_config_selectorIxNS0_10empty_typeEEEZZNS1_27merge_sort_block_merge_implIS3_N6thrust23THRUST_200600_302600_NS6detail15normal_iteratorINS9_10device_ptrIxEEEEPS5_jNS1_19radix_merge_compareILb0ELb0ExNS0_19identity_decomposerEEEEE10hipError_tT0_T1_T2_jT3_P12ihipStream_tbPNSt15iterator_traitsISK_E10value_typeEPNSQ_ISL_E10value_typeEPSM_NS1_7vsmem_tEENKUlT_SK_SL_SM_E_clISE_PxSF_SF_EESJ_SZ_SK_SL_SM_EUlSZ_E0_NS1_11comp_targetILNS1_3genE9ELNS1_11target_archE1100ELNS1_3gpuE3ELNS1_3repE0EEENS1_38merge_mergepath_config_static_selectorELNS0_4arch9wavefront6targetE1EEEvSL_,comdat
	.protected	_ZN7rocprim17ROCPRIM_400000_NS6detail17trampoline_kernelINS0_14default_configENS1_38merge_sort_block_merge_config_selectorIxNS0_10empty_typeEEEZZNS1_27merge_sort_block_merge_implIS3_N6thrust23THRUST_200600_302600_NS6detail15normal_iteratorINS9_10device_ptrIxEEEEPS5_jNS1_19radix_merge_compareILb0ELb0ExNS0_19identity_decomposerEEEEE10hipError_tT0_T1_T2_jT3_P12ihipStream_tbPNSt15iterator_traitsISK_E10value_typeEPNSQ_ISL_E10value_typeEPSM_NS1_7vsmem_tEENKUlT_SK_SL_SM_E_clISE_PxSF_SF_EESJ_SZ_SK_SL_SM_EUlSZ_E0_NS1_11comp_targetILNS1_3genE9ELNS1_11target_archE1100ELNS1_3gpuE3ELNS1_3repE0EEENS1_38merge_mergepath_config_static_selectorELNS0_4arch9wavefront6targetE1EEEvSL_ ; -- Begin function _ZN7rocprim17ROCPRIM_400000_NS6detail17trampoline_kernelINS0_14default_configENS1_38merge_sort_block_merge_config_selectorIxNS0_10empty_typeEEEZZNS1_27merge_sort_block_merge_implIS3_N6thrust23THRUST_200600_302600_NS6detail15normal_iteratorINS9_10device_ptrIxEEEEPS5_jNS1_19radix_merge_compareILb0ELb0ExNS0_19identity_decomposerEEEEE10hipError_tT0_T1_T2_jT3_P12ihipStream_tbPNSt15iterator_traitsISK_E10value_typeEPNSQ_ISL_E10value_typeEPSM_NS1_7vsmem_tEENKUlT_SK_SL_SM_E_clISE_PxSF_SF_EESJ_SZ_SK_SL_SM_EUlSZ_E0_NS1_11comp_targetILNS1_3genE9ELNS1_11target_archE1100ELNS1_3gpuE3ELNS1_3repE0EEENS1_38merge_mergepath_config_static_selectorELNS0_4arch9wavefront6targetE1EEEvSL_
	.globl	_ZN7rocprim17ROCPRIM_400000_NS6detail17trampoline_kernelINS0_14default_configENS1_38merge_sort_block_merge_config_selectorIxNS0_10empty_typeEEEZZNS1_27merge_sort_block_merge_implIS3_N6thrust23THRUST_200600_302600_NS6detail15normal_iteratorINS9_10device_ptrIxEEEEPS5_jNS1_19radix_merge_compareILb0ELb0ExNS0_19identity_decomposerEEEEE10hipError_tT0_T1_T2_jT3_P12ihipStream_tbPNSt15iterator_traitsISK_E10value_typeEPNSQ_ISL_E10value_typeEPSM_NS1_7vsmem_tEENKUlT_SK_SL_SM_E_clISE_PxSF_SF_EESJ_SZ_SK_SL_SM_EUlSZ_E0_NS1_11comp_targetILNS1_3genE9ELNS1_11target_archE1100ELNS1_3gpuE3ELNS1_3repE0EEENS1_38merge_mergepath_config_static_selectorELNS0_4arch9wavefront6targetE1EEEvSL_
	.p2align	8
	.type	_ZN7rocprim17ROCPRIM_400000_NS6detail17trampoline_kernelINS0_14default_configENS1_38merge_sort_block_merge_config_selectorIxNS0_10empty_typeEEEZZNS1_27merge_sort_block_merge_implIS3_N6thrust23THRUST_200600_302600_NS6detail15normal_iteratorINS9_10device_ptrIxEEEEPS5_jNS1_19radix_merge_compareILb0ELb0ExNS0_19identity_decomposerEEEEE10hipError_tT0_T1_T2_jT3_P12ihipStream_tbPNSt15iterator_traitsISK_E10value_typeEPNSQ_ISL_E10value_typeEPSM_NS1_7vsmem_tEENKUlT_SK_SL_SM_E_clISE_PxSF_SF_EESJ_SZ_SK_SL_SM_EUlSZ_E0_NS1_11comp_targetILNS1_3genE9ELNS1_11target_archE1100ELNS1_3gpuE3ELNS1_3repE0EEENS1_38merge_mergepath_config_static_selectorELNS0_4arch9wavefront6targetE1EEEvSL_,@function
_ZN7rocprim17ROCPRIM_400000_NS6detail17trampoline_kernelINS0_14default_configENS1_38merge_sort_block_merge_config_selectorIxNS0_10empty_typeEEEZZNS1_27merge_sort_block_merge_implIS3_N6thrust23THRUST_200600_302600_NS6detail15normal_iteratorINS9_10device_ptrIxEEEEPS5_jNS1_19radix_merge_compareILb0ELb0ExNS0_19identity_decomposerEEEEE10hipError_tT0_T1_T2_jT3_P12ihipStream_tbPNSt15iterator_traitsISK_E10value_typeEPNSQ_ISL_E10value_typeEPSM_NS1_7vsmem_tEENKUlT_SK_SL_SM_E_clISE_PxSF_SF_EESJ_SZ_SK_SL_SM_EUlSZ_E0_NS1_11comp_targetILNS1_3genE9ELNS1_11target_archE1100ELNS1_3gpuE3ELNS1_3repE0EEENS1_38merge_mergepath_config_static_selectorELNS0_4arch9wavefront6targetE1EEEvSL_: ; @_ZN7rocprim17ROCPRIM_400000_NS6detail17trampoline_kernelINS0_14default_configENS1_38merge_sort_block_merge_config_selectorIxNS0_10empty_typeEEEZZNS1_27merge_sort_block_merge_implIS3_N6thrust23THRUST_200600_302600_NS6detail15normal_iteratorINS9_10device_ptrIxEEEEPS5_jNS1_19radix_merge_compareILb0ELb0ExNS0_19identity_decomposerEEEEE10hipError_tT0_T1_T2_jT3_P12ihipStream_tbPNSt15iterator_traitsISK_E10value_typeEPNSQ_ISL_E10value_typeEPSM_NS1_7vsmem_tEENKUlT_SK_SL_SM_E_clISE_PxSF_SF_EESJ_SZ_SK_SL_SM_EUlSZ_E0_NS1_11comp_targetILNS1_3genE9ELNS1_11target_archE1100ELNS1_3gpuE3ELNS1_3repE0EEENS1_38merge_mergepath_config_static_selectorELNS0_4arch9wavefront6targetE1EEEvSL_
; %bb.0:
	.section	.rodata,"a",@progbits
	.p2align	6, 0x0
	.amdhsa_kernel _ZN7rocprim17ROCPRIM_400000_NS6detail17trampoline_kernelINS0_14default_configENS1_38merge_sort_block_merge_config_selectorIxNS0_10empty_typeEEEZZNS1_27merge_sort_block_merge_implIS3_N6thrust23THRUST_200600_302600_NS6detail15normal_iteratorINS9_10device_ptrIxEEEEPS5_jNS1_19radix_merge_compareILb0ELb0ExNS0_19identity_decomposerEEEEE10hipError_tT0_T1_T2_jT3_P12ihipStream_tbPNSt15iterator_traitsISK_E10value_typeEPNSQ_ISL_E10value_typeEPSM_NS1_7vsmem_tEENKUlT_SK_SL_SM_E_clISE_PxSF_SF_EESJ_SZ_SK_SL_SM_EUlSZ_E0_NS1_11comp_targetILNS1_3genE9ELNS1_11target_archE1100ELNS1_3gpuE3ELNS1_3repE0EEENS1_38merge_mergepath_config_static_selectorELNS0_4arch9wavefront6targetE1EEEvSL_
		.amdhsa_group_segment_fixed_size 0
		.amdhsa_private_segment_fixed_size 0
		.amdhsa_kernarg_size 64
		.amdhsa_user_sgpr_count 6
		.amdhsa_user_sgpr_private_segment_buffer 1
		.amdhsa_user_sgpr_dispatch_ptr 0
		.amdhsa_user_sgpr_queue_ptr 0
		.amdhsa_user_sgpr_kernarg_segment_ptr 1
		.amdhsa_user_sgpr_dispatch_id 0
		.amdhsa_user_sgpr_flat_scratch_init 0
		.amdhsa_user_sgpr_kernarg_preload_length 0
		.amdhsa_user_sgpr_kernarg_preload_offset 0
		.amdhsa_user_sgpr_private_segment_size 0
		.amdhsa_uses_dynamic_stack 0
		.amdhsa_system_sgpr_private_segment_wavefront_offset 0
		.amdhsa_system_sgpr_workgroup_id_x 1
		.amdhsa_system_sgpr_workgroup_id_y 0
		.amdhsa_system_sgpr_workgroup_id_z 0
		.amdhsa_system_sgpr_workgroup_info 0
		.amdhsa_system_vgpr_workitem_id 0
		.amdhsa_next_free_vgpr 1
		.amdhsa_next_free_sgpr 0
		.amdhsa_accum_offset 4
		.amdhsa_reserve_vcc 0
		.amdhsa_reserve_flat_scratch 0
		.amdhsa_float_round_mode_32 0
		.amdhsa_float_round_mode_16_64 0
		.amdhsa_float_denorm_mode_32 3
		.amdhsa_float_denorm_mode_16_64 3
		.amdhsa_dx10_clamp 1
		.amdhsa_ieee_mode 1
		.amdhsa_fp16_overflow 0
		.amdhsa_tg_split 0
		.amdhsa_exception_fp_ieee_invalid_op 0
		.amdhsa_exception_fp_denorm_src 0
		.amdhsa_exception_fp_ieee_div_zero 0
		.amdhsa_exception_fp_ieee_overflow 0
		.amdhsa_exception_fp_ieee_underflow 0
		.amdhsa_exception_fp_ieee_inexact 0
		.amdhsa_exception_int_div_zero 0
	.end_amdhsa_kernel
	.section	.text._ZN7rocprim17ROCPRIM_400000_NS6detail17trampoline_kernelINS0_14default_configENS1_38merge_sort_block_merge_config_selectorIxNS0_10empty_typeEEEZZNS1_27merge_sort_block_merge_implIS3_N6thrust23THRUST_200600_302600_NS6detail15normal_iteratorINS9_10device_ptrIxEEEEPS5_jNS1_19radix_merge_compareILb0ELb0ExNS0_19identity_decomposerEEEEE10hipError_tT0_T1_T2_jT3_P12ihipStream_tbPNSt15iterator_traitsISK_E10value_typeEPNSQ_ISL_E10value_typeEPSM_NS1_7vsmem_tEENKUlT_SK_SL_SM_E_clISE_PxSF_SF_EESJ_SZ_SK_SL_SM_EUlSZ_E0_NS1_11comp_targetILNS1_3genE9ELNS1_11target_archE1100ELNS1_3gpuE3ELNS1_3repE0EEENS1_38merge_mergepath_config_static_selectorELNS0_4arch9wavefront6targetE1EEEvSL_,"axG",@progbits,_ZN7rocprim17ROCPRIM_400000_NS6detail17trampoline_kernelINS0_14default_configENS1_38merge_sort_block_merge_config_selectorIxNS0_10empty_typeEEEZZNS1_27merge_sort_block_merge_implIS3_N6thrust23THRUST_200600_302600_NS6detail15normal_iteratorINS9_10device_ptrIxEEEEPS5_jNS1_19radix_merge_compareILb0ELb0ExNS0_19identity_decomposerEEEEE10hipError_tT0_T1_T2_jT3_P12ihipStream_tbPNSt15iterator_traitsISK_E10value_typeEPNSQ_ISL_E10value_typeEPSM_NS1_7vsmem_tEENKUlT_SK_SL_SM_E_clISE_PxSF_SF_EESJ_SZ_SK_SL_SM_EUlSZ_E0_NS1_11comp_targetILNS1_3genE9ELNS1_11target_archE1100ELNS1_3gpuE3ELNS1_3repE0EEENS1_38merge_mergepath_config_static_selectorELNS0_4arch9wavefront6targetE1EEEvSL_,comdat
.Lfunc_end1448:
	.size	_ZN7rocprim17ROCPRIM_400000_NS6detail17trampoline_kernelINS0_14default_configENS1_38merge_sort_block_merge_config_selectorIxNS0_10empty_typeEEEZZNS1_27merge_sort_block_merge_implIS3_N6thrust23THRUST_200600_302600_NS6detail15normal_iteratorINS9_10device_ptrIxEEEEPS5_jNS1_19radix_merge_compareILb0ELb0ExNS0_19identity_decomposerEEEEE10hipError_tT0_T1_T2_jT3_P12ihipStream_tbPNSt15iterator_traitsISK_E10value_typeEPNSQ_ISL_E10value_typeEPSM_NS1_7vsmem_tEENKUlT_SK_SL_SM_E_clISE_PxSF_SF_EESJ_SZ_SK_SL_SM_EUlSZ_E0_NS1_11comp_targetILNS1_3genE9ELNS1_11target_archE1100ELNS1_3gpuE3ELNS1_3repE0EEENS1_38merge_mergepath_config_static_selectorELNS0_4arch9wavefront6targetE1EEEvSL_, .Lfunc_end1448-_ZN7rocprim17ROCPRIM_400000_NS6detail17trampoline_kernelINS0_14default_configENS1_38merge_sort_block_merge_config_selectorIxNS0_10empty_typeEEEZZNS1_27merge_sort_block_merge_implIS3_N6thrust23THRUST_200600_302600_NS6detail15normal_iteratorINS9_10device_ptrIxEEEEPS5_jNS1_19radix_merge_compareILb0ELb0ExNS0_19identity_decomposerEEEEE10hipError_tT0_T1_T2_jT3_P12ihipStream_tbPNSt15iterator_traitsISK_E10value_typeEPNSQ_ISL_E10value_typeEPSM_NS1_7vsmem_tEENKUlT_SK_SL_SM_E_clISE_PxSF_SF_EESJ_SZ_SK_SL_SM_EUlSZ_E0_NS1_11comp_targetILNS1_3genE9ELNS1_11target_archE1100ELNS1_3gpuE3ELNS1_3repE0EEENS1_38merge_mergepath_config_static_selectorELNS0_4arch9wavefront6targetE1EEEvSL_
                                        ; -- End function
	.section	.AMDGPU.csdata,"",@progbits
; Kernel info:
; codeLenInByte = 0
; NumSgprs: 4
; NumVgprs: 0
; NumAgprs: 0
; TotalNumVgprs: 0
; ScratchSize: 0
; MemoryBound: 0
; FloatMode: 240
; IeeeMode: 1
; LDSByteSize: 0 bytes/workgroup (compile time only)
; SGPRBlocks: 0
; VGPRBlocks: 0
; NumSGPRsForWavesPerEU: 4
; NumVGPRsForWavesPerEU: 1
; AccumOffset: 4
; Occupancy: 8
; WaveLimiterHint : 0
; COMPUTE_PGM_RSRC2:SCRATCH_EN: 0
; COMPUTE_PGM_RSRC2:USER_SGPR: 6
; COMPUTE_PGM_RSRC2:TRAP_HANDLER: 0
; COMPUTE_PGM_RSRC2:TGID_X_EN: 1
; COMPUTE_PGM_RSRC2:TGID_Y_EN: 0
; COMPUTE_PGM_RSRC2:TGID_Z_EN: 0
; COMPUTE_PGM_RSRC2:TIDIG_COMP_CNT: 0
; COMPUTE_PGM_RSRC3_GFX90A:ACCUM_OFFSET: 0
; COMPUTE_PGM_RSRC3_GFX90A:TG_SPLIT: 0
	.section	.text._ZN7rocprim17ROCPRIM_400000_NS6detail17trampoline_kernelINS0_14default_configENS1_38merge_sort_block_merge_config_selectorIxNS0_10empty_typeEEEZZNS1_27merge_sort_block_merge_implIS3_N6thrust23THRUST_200600_302600_NS6detail15normal_iteratorINS9_10device_ptrIxEEEEPS5_jNS1_19radix_merge_compareILb0ELb0ExNS0_19identity_decomposerEEEEE10hipError_tT0_T1_T2_jT3_P12ihipStream_tbPNSt15iterator_traitsISK_E10value_typeEPNSQ_ISL_E10value_typeEPSM_NS1_7vsmem_tEENKUlT_SK_SL_SM_E_clISE_PxSF_SF_EESJ_SZ_SK_SL_SM_EUlSZ_E0_NS1_11comp_targetILNS1_3genE8ELNS1_11target_archE1030ELNS1_3gpuE2ELNS1_3repE0EEENS1_38merge_mergepath_config_static_selectorELNS0_4arch9wavefront6targetE1EEEvSL_,"axG",@progbits,_ZN7rocprim17ROCPRIM_400000_NS6detail17trampoline_kernelINS0_14default_configENS1_38merge_sort_block_merge_config_selectorIxNS0_10empty_typeEEEZZNS1_27merge_sort_block_merge_implIS3_N6thrust23THRUST_200600_302600_NS6detail15normal_iteratorINS9_10device_ptrIxEEEEPS5_jNS1_19radix_merge_compareILb0ELb0ExNS0_19identity_decomposerEEEEE10hipError_tT0_T1_T2_jT3_P12ihipStream_tbPNSt15iterator_traitsISK_E10value_typeEPNSQ_ISL_E10value_typeEPSM_NS1_7vsmem_tEENKUlT_SK_SL_SM_E_clISE_PxSF_SF_EESJ_SZ_SK_SL_SM_EUlSZ_E0_NS1_11comp_targetILNS1_3genE8ELNS1_11target_archE1030ELNS1_3gpuE2ELNS1_3repE0EEENS1_38merge_mergepath_config_static_selectorELNS0_4arch9wavefront6targetE1EEEvSL_,comdat
	.protected	_ZN7rocprim17ROCPRIM_400000_NS6detail17trampoline_kernelINS0_14default_configENS1_38merge_sort_block_merge_config_selectorIxNS0_10empty_typeEEEZZNS1_27merge_sort_block_merge_implIS3_N6thrust23THRUST_200600_302600_NS6detail15normal_iteratorINS9_10device_ptrIxEEEEPS5_jNS1_19radix_merge_compareILb0ELb0ExNS0_19identity_decomposerEEEEE10hipError_tT0_T1_T2_jT3_P12ihipStream_tbPNSt15iterator_traitsISK_E10value_typeEPNSQ_ISL_E10value_typeEPSM_NS1_7vsmem_tEENKUlT_SK_SL_SM_E_clISE_PxSF_SF_EESJ_SZ_SK_SL_SM_EUlSZ_E0_NS1_11comp_targetILNS1_3genE8ELNS1_11target_archE1030ELNS1_3gpuE2ELNS1_3repE0EEENS1_38merge_mergepath_config_static_selectorELNS0_4arch9wavefront6targetE1EEEvSL_ ; -- Begin function _ZN7rocprim17ROCPRIM_400000_NS6detail17trampoline_kernelINS0_14default_configENS1_38merge_sort_block_merge_config_selectorIxNS0_10empty_typeEEEZZNS1_27merge_sort_block_merge_implIS3_N6thrust23THRUST_200600_302600_NS6detail15normal_iteratorINS9_10device_ptrIxEEEEPS5_jNS1_19radix_merge_compareILb0ELb0ExNS0_19identity_decomposerEEEEE10hipError_tT0_T1_T2_jT3_P12ihipStream_tbPNSt15iterator_traitsISK_E10value_typeEPNSQ_ISL_E10value_typeEPSM_NS1_7vsmem_tEENKUlT_SK_SL_SM_E_clISE_PxSF_SF_EESJ_SZ_SK_SL_SM_EUlSZ_E0_NS1_11comp_targetILNS1_3genE8ELNS1_11target_archE1030ELNS1_3gpuE2ELNS1_3repE0EEENS1_38merge_mergepath_config_static_selectorELNS0_4arch9wavefront6targetE1EEEvSL_
	.globl	_ZN7rocprim17ROCPRIM_400000_NS6detail17trampoline_kernelINS0_14default_configENS1_38merge_sort_block_merge_config_selectorIxNS0_10empty_typeEEEZZNS1_27merge_sort_block_merge_implIS3_N6thrust23THRUST_200600_302600_NS6detail15normal_iteratorINS9_10device_ptrIxEEEEPS5_jNS1_19radix_merge_compareILb0ELb0ExNS0_19identity_decomposerEEEEE10hipError_tT0_T1_T2_jT3_P12ihipStream_tbPNSt15iterator_traitsISK_E10value_typeEPNSQ_ISL_E10value_typeEPSM_NS1_7vsmem_tEENKUlT_SK_SL_SM_E_clISE_PxSF_SF_EESJ_SZ_SK_SL_SM_EUlSZ_E0_NS1_11comp_targetILNS1_3genE8ELNS1_11target_archE1030ELNS1_3gpuE2ELNS1_3repE0EEENS1_38merge_mergepath_config_static_selectorELNS0_4arch9wavefront6targetE1EEEvSL_
	.p2align	8
	.type	_ZN7rocprim17ROCPRIM_400000_NS6detail17trampoline_kernelINS0_14default_configENS1_38merge_sort_block_merge_config_selectorIxNS0_10empty_typeEEEZZNS1_27merge_sort_block_merge_implIS3_N6thrust23THRUST_200600_302600_NS6detail15normal_iteratorINS9_10device_ptrIxEEEEPS5_jNS1_19radix_merge_compareILb0ELb0ExNS0_19identity_decomposerEEEEE10hipError_tT0_T1_T2_jT3_P12ihipStream_tbPNSt15iterator_traitsISK_E10value_typeEPNSQ_ISL_E10value_typeEPSM_NS1_7vsmem_tEENKUlT_SK_SL_SM_E_clISE_PxSF_SF_EESJ_SZ_SK_SL_SM_EUlSZ_E0_NS1_11comp_targetILNS1_3genE8ELNS1_11target_archE1030ELNS1_3gpuE2ELNS1_3repE0EEENS1_38merge_mergepath_config_static_selectorELNS0_4arch9wavefront6targetE1EEEvSL_,@function
_ZN7rocprim17ROCPRIM_400000_NS6detail17trampoline_kernelINS0_14default_configENS1_38merge_sort_block_merge_config_selectorIxNS0_10empty_typeEEEZZNS1_27merge_sort_block_merge_implIS3_N6thrust23THRUST_200600_302600_NS6detail15normal_iteratorINS9_10device_ptrIxEEEEPS5_jNS1_19radix_merge_compareILb0ELb0ExNS0_19identity_decomposerEEEEE10hipError_tT0_T1_T2_jT3_P12ihipStream_tbPNSt15iterator_traitsISK_E10value_typeEPNSQ_ISL_E10value_typeEPSM_NS1_7vsmem_tEENKUlT_SK_SL_SM_E_clISE_PxSF_SF_EESJ_SZ_SK_SL_SM_EUlSZ_E0_NS1_11comp_targetILNS1_3genE8ELNS1_11target_archE1030ELNS1_3gpuE2ELNS1_3repE0EEENS1_38merge_mergepath_config_static_selectorELNS0_4arch9wavefront6targetE1EEEvSL_: ; @_ZN7rocprim17ROCPRIM_400000_NS6detail17trampoline_kernelINS0_14default_configENS1_38merge_sort_block_merge_config_selectorIxNS0_10empty_typeEEEZZNS1_27merge_sort_block_merge_implIS3_N6thrust23THRUST_200600_302600_NS6detail15normal_iteratorINS9_10device_ptrIxEEEEPS5_jNS1_19radix_merge_compareILb0ELb0ExNS0_19identity_decomposerEEEEE10hipError_tT0_T1_T2_jT3_P12ihipStream_tbPNSt15iterator_traitsISK_E10value_typeEPNSQ_ISL_E10value_typeEPSM_NS1_7vsmem_tEENKUlT_SK_SL_SM_E_clISE_PxSF_SF_EESJ_SZ_SK_SL_SM_EUlSZ_E0_NS1_11comp_targetILNS1_3genE8ELNS1_11target_archE1030ELNS1_3gpuE2ELNS1_3repE0EEENS1_38merge_mergepath_config_static_selectorELNS0_4arch9wavefront6targetE1EEEvSL_
; %bb.0:
	.section	.rodata,"a",@progbits
	.p2align	6, 0x0
	.amdhsa_kernel _ZN7rocprim17ROCPRIM_400000_NS6detail17trampoline_kernelINS0_14default_configENS1_38merge_sort_block_merge_config_selectorIxNS0_10empty_typeEEEZZNS1_27merge_sort_block_merge_implIS3_N6thrust23THRUST_200600_302600_NS6detail15normal_iteratorINS9_10device_ptrIxEEEEPS5_jNS1_19radix_merge_compareILb0ELb0ExNS0_19identity_decomposerEEEEE10hipError_tT0_T1_T2_jT3_P12ihipStream_tbPNSt15iterator_traitsISK_E10value_typeEPNSQ_ISL_E10value_typeEPSM_NS1_7vsmem_tEENKUlT_SK_SL_SM_E_clISE_PxSF_SF_EESJ_SZ_SK_SL_SM_EUlSZ_E0_NS1_11comp_targetILNS1_3genE8ELNS1_11target_archE1030ELNS1_3gpuE2ELNS1_3repE0EEENS1_38merge_mergepath_config_static_selectorELNS0_4arch9wavefront6targetE1EEEvSL_
		.amdhsa_group_segment_fixed_size 0
		.amdhsa_private_segment_fixed_size 0
		.amdhsa_kernarg_size 64
		.amdhsa_user_sgpr_count 6
		.amdhsa_user_sgpr_private_segment_buffer 1
		.amdhsa_user_sgpr_dispatch_ptr 0
		.amdhsa_user_sgpr_queue_ptr 0
		.amdhsa_user_sgpr_kernarg_segment_ptr 1
		.amdhsa_user_sgpr_dispatch_id 0
		.amdhsa_user_sgpr_flat_scratch_init 0
		.amdhsa_user_sgpr_kernarg_preload_length 0
		.amdhsa_user_sgpr_kernarg_preload_offset 0
		.amdhsa_user_sgpr_private_segment_size 0
		.amdhsa_uses_dynamic_stack 0
		.amdhsa_system_sgpr_private_segment_wavefront_offset 0
		.amdhsa_system_sgpr_workgroup_id_x 1
		.amdhsa_system_sgpr_workgroup_id_y 0
		.amdhsa_system_sgpr_workgroup_id_z 0
		.amdhsa_system_sgpr_workgroup_info 0
		.amdhsa_system_vgpr_workitem_id 0
		.amdhsa_next_free_vgpr 1
		.amdhsa_next_free_sgpr 0
		.amdhsa_accum_offset 4
		.amdhsa_reserve_vcc 0
		.amdhsa_reserve_flat_scratch 0
		.amdhsa_float_round_mode_32 0
		.amdhsa_float_round_mode_16_64 0
		.amdhsa_float_denorm_mode_32 3
		.amdhsa_float_denorm_mode_16_64 3
		.amdhsa_dx10_clamp 1
		.amdhsa_ieee_mode 1
		.amdhsa_fp16_overflow 0
		.amdhsa_tg_split 0
		.amdhsa_exception_fp_ieee_invalid_op 0
		.amdhsa_exception_fp_denorm_src 0
		.amdhsa_exception_fp_ieee_div_zero 0
		.amdhsa_exception_fp_ieee_overflow 0
		.amdhsa_exception_fp_ieee_underflow 0
		.amdhsa_exception_fp_ieee_inexact 0
		.amdhsa_exception_int_div_zero 0
	.end_amdhsa_kernel
	.section	.text._ZN7rocprim17ROCPRIM_400000_NS6detail17trampoline_kernelINS0_14default_configENS1_38merge_sort_block_merge_config_selectorIxNS0_10empty_typeEEEZZNS1_27merge_sort_block_merge_implIS3_N6thrust23THRUST_200600_302600_NS6detail15normal_iteratorINS9_10device_ptrIxEEEEPS5_jNS1_19radix_merge_compareILb0ELb0ExNS0_19identity_decomposerEEEEE10hipError_tT0_T1_T2_jT3_P12ihipStream_tbPNSt15iterator_traitsISK_E10value_typeEPNSQ_ISL_E10value_typeEPSM_NS1_7vsmem_tEENKUlT_SK_SL_SM_E_clISE_PxSF_SF_EESJ_SZ_SK_SL_SM_EUlSZ_E0_NS1_11comp_targetILNS1_3genE8ELNS1_11target_archE1030ELNS1_3gpuE2ELNS1_3repE0EEENS1_38merge_mergepath_config_static_selectorELNS0_4arch9wavefront6targetE1EEEvSL_,"axG",@progbits,_ZN7rocprim17ROCPRIM_400000_NS6detail17trampoline_kernelINS0_14default_configENS1_38merge_sort_block_merge_config_selectorIxNS0_10empty_typeEEEZZNS1_27merge_sort_block_merge_implIS3_N6thrust23THRUST_200600_302600_NS6detail15normal_iteratorINS9_10device_ptrIxEEEEPS5_jNS1_19radix_merge_compareILb0ELb0ExNS0_19identity_decomposerEEEEE10hipError_tT0_T1_T2_jT3_P12ihipStream_tbPNSt15iterator_traitsISK_E10value_typeEPNSQ_ISL_E10value_typeEPSM_NS1_7vsmem_tEENKUlT_SK_SL_SM_E_clISE_PxSF_SF_EESJ_SZ_SK_SL_SM_EUlSZ_E0_NS1_11comp_targetILNS1_3genE8ELNS1_11target_archE1030ELNS1_3gpuE2ELNS1_3repE0EEENS1_38merge_mergepath_config_static_selectorELNS0_4arch9wavefront6targetE1EEEvSL_,comdat
.Lfunc_end1449:
	.size	_ZN7rocprim17ROCPRIM_400000_NS6detail17trampoline_kernelINS0_14default_configENS1_38merge_sort_block_merge_config_selectorIxNS0_10empty_typeEEEZZNS1_27merge_sort_block_merge_implIS3_N6thrust23THRUST_200600_302600_NS6detail15normal_iteratorINS9_10device_ptrIxEEEEPS5_jNS1_19radix_merge_compareILb0ELb0ExNS0_19identity_decomposerEEEEE10hipError_tT0_T1_T2_jT3_P12ihipStream_tbPNSt15iterator_traitsISK_E10value_typeEPNSQ_ISL_E10value_typeEPSM_NS1_7vsmem_tEENKUlT_SK_SL_SM_E_clISE_PxSF_SF_EESJ_SZ_SK_SL_SM_EUlSZ_E0_NS1_11comp_targetILNS1_3genE8ELNS1_11target_archE1030ELNS1_3gpuE2ELNS1_3repE0EEENS1_38merge_mergepath_config_static_selectorELNS0_4arch9wavefront6targetE1EEEvSL_, .Lfunc_end1449-_ZN7rocprim17ROCPRIM_400000_NS6detail17trampoline_kernelINS0_14default_configENS1_38merge_sort_block_merge_config_selectorIxNS0_10empty_typeEEEZZNS1_27merge_sort_block_merge_implIS3_N6thrust23THRUST_200600_302600_NS6detail15normal_iteratorINS9_10device_ptrIxEEEEPS5_jNS1_19radix_merge_compareILb0ELb0ExNS0_19identity_decomposerEEEEE10hipError_tT0_T1_T2_jT3_P12ihipStream_tbPNSt15iterator_traitsISK_E10value_typeEPNSQ_ISL_E10value_typeEPSM_NS1_7vsmem_tEENKUlT_SK_SL_SM_E_clISE_PxSF_SF_EESJ_SZ_SK_SL_SM_EUlSZ_E0_NS1_11comp_targetILNS1_3genE8ELNS1_11target_archE1030ELNS1_3gpuE2ELNS1_3repE0EEENS1_38merge_mergepath_config_static_selectorELNS0_4arch9wavefront6targetE1EEEvSL_
                                        ; -- End function
	.section	.AMDGPU.csdata,"",@progbits
; Kernel info:
; codeLenInByte = 0
; NumSgprs: 4
; NumVgprs: 0
; NumAgprs: 0
; TotalNumVgprs: 0
; ScratchSize: 0
; MemoryBound: 0
; FloatMode: 240
; IeeeMode: 1
; LDSByteSize: 0 bytes/workgroup (compile time only)
; SGPRBlocks: 0
; VGPRBlocks: 0
; NumSGPRsForWavesPerEU: 4
; NumVGPRsForWavesPerEU: 1
; AccumOffset: 4
; Occupancy: 8
; WaveLimiterHint : 0
; COMPUTE_PGM_RSRC2:SCRATCH_EN: 0
; COMPUTE_PGM_RSRC2:USER_SGPR: 6
; COMPUTE_PGM_RSRC2:TRAP_HANDLER: 0
; COMPUTE_PGM_RSRC2:TGID_X_EN: 1
; COMPUTE_PGM_RSRC2:TGID_Y_EN: 0
; COMPUTE_PGM_RSRC2:TGID_Z_EN: 0
; COMPUTE_PGM_RSRC2:TIDIG_COMP_CNT: 0
; COMPUTE_PGM_RSRC3_GFX90A:ACCUM_OFFSET: 0
; COMPUTE_PGM_RSRC3_GFX90A:TG_SPLIT: 0
	.section	.text._ZN7rocprim17ROCPRIM_400000_NS6detail17trampoline_kernelINS0_14default_configENS1_38merge_sort_block_merge_config_selectorIxNS0_10empty_typeEEEZZNS1_27merge_sort_block_merge_implIS3_N6thrust23THRUST_200600_302600_NS6detail15normal_iteratorINS9_10device_ptrIxEEEEPS5_jNS1_19radix_merge_compareILb0ELb0ExNS0_19identity_decomposerEEEEE10hipError_tT0_T1_T2_jT3_P12ihipStream_tbPNSt15iterator_traitsISK_E10value_typeEPNSQ_ISL_E10value_typeEPSM_NS1_7vsmem_tEENKUlT_SK_SL_SM_E_clISE_PxSF_SF_EESJ_SZ_SK_SL_SM_EUlSZ_E1_NS1_11comp_targetILNS1_3genE0ELNS1_11target_archE4294967295ELNS1_3gpuE0ELNS1_3repE0EEENS1_36merge_oddeven_config_static_selectorELNS0_4arch9wavefront6targetE1EEEvSL_,"axG",@progbits,_ZN7rocprim17ROCPRIM_400000_NS6detail17trampoline_kernelINS0_14default_configENS1_38merge_sort_block_merge_config_selectorIxNS0_10empty_typeEEEZZNS1_27merge_sort_block_merge_implIS3_N6thrust23THRUST_200600_302600_NS6detail15normal_iteratorINS9_10device_ptrIxEEEEPS5_jNS1_19radix_merge_compareILb0ELb0ExNS0_19identity_decomposerEEEEE10hipError_tT0_T1_T2_jT3_P12ihipStream_tbPNSt15iterator_traitsISK_E10value_typeEPNSQ_ISL_E10value_typeEPSM_NS1_7vsmem_tEENKUlT_SK_SL_SM_E_clISE_PxSF_SF_EESJ_SZ_SK_SL_SM_EUlSZ_E1_NS1_11comp_targetILNS1_3genE0ELNS1_11target_archE4294967295ELNS1_3gpuE0ELNS1_3repE0EEENS1_36merge_oddeven_config_static_selectorELNS0_4arch9wavefront6targetE1EEEvSL_,comdat
	.protected	_ZN7rocprim17ROCPRIM_400000_NS6detail17trampoline_kernelINS0_14default_configENS1_38merge_sort_block_merge_config_selectorIxNS0_10empty_typeEEEZZNS1_27merge_sort_block_merge_implIS3_N6thrust23THRUST_200600_302600_NS6detail15normal_iteratorINS9_10device_ptrIxEEEEPS5_jNS1_19radix_merge_compareILb0ELb0ExNS0_19identity_decomposerEEEEE10hipError_tT0_T1_T2_jT3_P12ihipStream_tbPNSt15iterator_traitsISK_E10value_typeEPNSQ_ISL_E10value_typeEPSM_NS1_7vsmem_tEENKUlT_SK_SL_SM_E_clISE_PxSF_SF_EESJ_SZ_SK_SL_SM_EUlSZ_E1_NS1_11comp_targetILNS1_3genE0ELNS1_11target_archE4294967295ELNS1_3gpuE0ELNS1_3repE0EEENS1_36merge_oddeven_config_static_selectorELNS0_4arch9wavefront6targetE1EEEvSL_ ; -- Begin function _ZN7rocprim17ROCPRIM_400000_NS6detail17trampoline_kernelINS0_14default_configENS1_38merge_sort_block_merge_config_selectorIxNS0_10empty_typeEEEZZNS1_27merge_sort_block_merge_implIS3_N6thrust23THRUST_200600_302600_NS6detail15normal_iteratorINS9_10device_ptrIxEEEEPS5_jNS1_19radix_merge_compareILb0ELb0ExNS0_19identity_decomposerEEEEE10hipError_tT0_T1_T2_jT3_P12ihipStream_tbPNSt15iterator_traitsISK_E10value_typeEPNSQ_ISL_E10value_typeEPSM_NS1_7vsmem_tEENKUlT_SK_SL_SM_E_clISE_PxSF_SF_EESJ_SZ_SK_SL_SM_EUlSZ_E1_NS1_11comp_targetILNS1_3genE0ELNS1_11target_archE4294967295ELNS1_3gpuE0ELNS1_3repE0EEENS1_36merge_oddeven_config_static_selectorELNS0_4arch9wavefront6targetE1EEEvSL_
	.globl	_ZN7rocprim17ROCPRIM_400000_NS6detail17trampoline_kernelINS0_14default_configENS1_38merge_sort_block_merge_config_selectorIxNS0_10empty_typeEEEZZNS1_27merge_sort_block_merge_implIS3_N6thrust23THRUST_200600_302600_NS6detail15normal_iteratorINS9_10device_ptrIxEEEEPS5_jNS1_19radix_merge_compareILb0ELb0ExNS0_19identity_decomposerEEEEE10hipError_tT0_T1_T2_jT3_P12ihipStream_tbPNSt15iterator_traitsISK_E10value_typeEPNSQ_ISL_E10value_typeEPSM_NS1_7vsmem_tEENKUlT_SK_SL_SM_E_clISE_PxSF_SF_EESJ_SZ_SK_SL_SM_EUlSZ_E1_NS1_11comp_targetILNS1_3genE0ELNS1_11target_archE4294967295ELNS1_3gpuE0ELNS1_3repE0EEENS1_36merge_oddeven_config_static_selectorELNS0_4arch9wavefront6targetE1EEEvSL_
	.p2align	8
	.type	_ZN7rocprim17ROCPRIM_400000_NS6detail17trampoline_kernelINS0_14default_configENS1_38merge_sort_block_merge_config_selectorIxNS0_10empty_typeEEEZZNS1_27merge_sort_block_merge_implIS3_N6thrust23THRUST_200600_302600_NS6detail15normal_iteratorINS9_10device_ptrIxEEEEPS5_jNS1_19radix_merge_compareILb0ELb0ExNS0_19identity_decomposerEEEEE10hipError_tT0_T1_T2_jT3_P12ihipStream_tbPNSt15iterator_traitsISK_E10value_typeEPNSQ_ISL_E10value_typeEPSM_NS1_7vsmem_tEENKUlT_SK_SL_SM_E_clISE_PxSF_SF_EESJ_SZ_SK_SL_SM_EUlSZ_E1_NS1_11comp_targetILNS1_3genE0ELNS1_11target_archE4294967295ELNS1_3gpuE0ELNS1_3repE0EEENS1_36merge_oddeven_config_static_selectorELNS0_4arch9wavefront6targetE1EEEvSL_,@function
_ZN7rocprim17ROCPRIM_400000_NS6detail17trampoline_kernelINS0_14default_configENS1_38merge_sort_block_merge_config_selectorIxNS0_10empty_typeEEEZZNS1_27merge_sort_block_merge_implIS3_N6thrust23THRUST_200600_302600_NS6detail15normal_iteratorINS9_10device_ptrIxEEEEPS5_jNS1_19radix_merge_compareILb0ELb0ExNS0_19identity_decomposerEEEEE10hipError_tT0_T1_T2_jT3_P12ihipStream_tbPNSt15iterator_traitsISK_E10value_typeEPNSQ_ISL_E10value_typeEPSM_NS1_7vsmem_tEENKUlT_SK_SL_SM_E_clISE_PxSF_SF_EESJ_SZ_SK_SL_SM_EUlSZ_E1_NS1_11comp_targetILNS1_3genE0ELNS1_11target_archE4294967295ELNS1_3gpuE0ELNS1_3repE0EEENS1_36merge_oddeven_config_static_selectorELNS0_4arch9wavefront6targetE1EEEvSL_: ; @_ZN7rocprim17ROCPRIM_400000_NS6detail17trampoline_kernelINS0_14default_configENS1_38merge_sort_block_merge_config_selectorIxNS0_10empty_typeEEEZZNS1_27merge_sort_block_merge_implIS3_N6thrust23THRUST_200600_302600_NS6detail15normal_iteratorINS9_10device_ptrIxEEEEPS5_jNS1_19radix_merge_compareILb0ELb0ExNS0_19identity_decomposerEEEEE10hipError_tT0_T1_T2_jT3_P12ihipStream_tbPNSt15iterator_traitsISK_E10value_typeEPNSQ_ISL_E10value_typeEPSM_NS1_7vsmem_tEENKUlT_SK_SL_SM_E_clISE_PxSF_SF_EESJ_SZ_SK_SL_SM_EUlSZ_E1_NS1_11comp_targetILNS1_3genE0ELNS1_11target_archE4294967295ELNS1_3gpuE0ELNS1_3repE0EEENS1_36merge_oddeven_config_static_selectorELNS0_4arch9wavefront6targetE1EEEvSL_
; %bb.0:
	.section	.rodata,"a",@progbits
	.p2align	6, 0x0
	.amdhsa_kernel _ZN7rocprim17ROCPRIM_400000_NS6detail17trampoline_kernelINS0_14default_configENS1_38merge_sort_block_merge_config_selectorIxNS0_10empty_typeEEEZZNS1_27merge_sort_block_merge_implIS3_N6thrust23THRUST_200600_302600_NS6detail15normal_iteratorINS9_10device_ptrIxEEEEPS5_jNS1_19radix_merge_compareILb0ELb0ExNS0_19identity_decomposerEEEEE10hipError_tT0_T1_T2_jT3_P12ihipStream_tbPNSt15iterator_traitsISK_E10value_typeEPNSQ_ISL_E10value_typeEPSM_NS1_7vsmem_tEENKUlT_SK_SL_SM_E_clISE_PxSF_SF_EESJ_SZ_SK_SL_SM_EUlSZ_E1_NS1_11comp_targetILNS1_3genE0ELNS1_11target_archE4294967295ELNS1_3gpuE0ELNS1_3repE0EEENS1_36merge_oddeven_config_static_selectorELNS0_4arch9wavefront6targetE1EEEvSL_
		.amdhsa_group_segment_fixed_size 0
		.amdhsa_private_segment_fixed_size 0
		.amdhsa_kernarg_size 48
		.amdhsa_user_sgpr_count 6
		.amdhsa_user_sgpr_private_segment_buffer 1
		.amdhsa_user_sgpr_dispatch_ptr 0
		.amdhsa_user_sgpr_queue_ptr 0
		.amdhsa_user_sgpr_kernarg_segment_ptr 1
		.amdhsa_user_sgpr_dispatch_id 0
		.amdhsa_user_sgpr_flat_scratch_init 0
		.amdhsa_user_sgpr_kernarg_preload_length 0
		.amdhsa_user_sgpr_kernarg_preload_offset 0
		.amdhsa_user_sgpr_private_segment_size 0
		.amdhsa_uses_dynamic_stack 0
		.amdhsa_system_sgpr_private_segment_wavefront_offset 0
		.amdhsa_system_sgpr_workgroup_id_x 1
		.amdhsa_system_sgpr_workgroup_id_y 0
		.amdhsa_system_sgpr_workgroup_id_z 0
		.amdhsa_system_sgpr_workgroup_info 0
		.amdhsa_system_vgpr_workitem_id 0
		.amdhsa_next_free_vgpr 1
		.amdhsa_next_free_sgpr 0
		.amdhsa_accum_offset 4
		.amdhsa_reserve_vcc 0
		.amdhsa_reserve_flat_scratch 0
		.amdhsa_float_round_mode_32 0
		.amdhsa_float_round_mode_16_64 0
		.amdhsa_float_denorm_mode_32 3
		.amdhsa_float_denorm_mode_16_64 3
		.amdhsa_dx10_clamp 1
		.amdhsa_ieee_mode 1
		.amdhsa_fp16_overflow 0
		.amdhsa_tg_split 0
		.amdhsa_exception_fp_ieee_invalid_op 0
		.amdhsa_exception_fp_denorm_src 0
		.amdhsa_exception_fp_ieee_div_zero 0
		.amdhsa_exception_fp_ieee_overflow 0
		.amdhsa_exception_fp_ieee_underflow 0
		.amdhsa_exception_fp_ieee_inexact 0
		.amdhsa_exception_int_div_zero 0
	.end_amdhsa_kernel
	.section	.text._ZN7rocprim17ROCPRIM_400000_NS6detail17trampoline_kernelINS0_14default_configENS1_38merge_sort_block_merge_config_selectorIxNS0_10empty_typeEEEZZNS1_27merge_sort_block_merge_implIS3_N6thrust23THRUST_200600_302600_NS6detail15normal_iteratorINS9_10device_ptrIxEEEEPS5_jNS1_19radix_merge_compareILb0ELb0ExNS0_19identity_decomposerEEEEE10hipError_tT0_T1_T2_jT3_P12ihipStream_tbPNSt15iterator_traitsISK_E10value_typeEPNSQ_ISL_E10value_typeEPSM_NS1_7vsmem_tEENKUlT_SK_SL_SM_E_clISE_PxSF_SF_EESJ_SZ_SK_SL_SM_EUlSZ_E1_NS1_11comp_targetILNS1_3genE0ELNS1_11target_archE4294967295ELNS1_3gpuE0ELNS1_3repE0EEENS1_36merge_oddeven_config_static_selectorELNS0_4arch9wavefront6targetE1EEEvSL_,"axG",@progbits,_ZN7rocprim17ROCPRIM_400000_NS6detail17trampoline_kernelINS0_14default_configENS1_38merge_sort_block_merge_config_selectorIxNS0_10empty_typeEEEZZNS1_27merge_sort_block_merge_implIS3_N6thrust23THRUST_200600_302600_NS6detail15normal_iteratorINS9_10device_ptrIxEEEEPS5_jNS1_19radix_merge_compareILb0ELb0ExNS0_19identity_decomposerEEEEE10hipError_tT0_T1_T2_jT3_P12ihipStream_tbPNSt15iterator_traitsISK_E10value_typeEPNSQ_ISL_E10value_typeEPSM_NS1_7vsmem_tEENKUlT_SK_SL_SM_E_clISE_PxSF_SF_EESJ_SZ_SK_SL_SM_EUlSZ_E1_NS1_11comp_targetILNS1_3genE0ELNS1_11target_archE4294967295ELNS1_3gpuE0ELNS1_3repE0EEENS1_36merge_oddeven_config_static_selectorELNS0_4arch9wavefront6targetE1EEEvSL_,comdat
.Lfunc_end1450:
	.size	_ZN7rocprim17ROCPRIM_400000_NS6detail17trampoline_kernelINS0_14default_configENS1_38merge_sort_block_merge_config_selectorIxNS0_10empty_typeEEEZZNS1_27merge_sort_block_merge_implIS3_N6thrust23THRUST_200600_302600_NS6detail15normal_iteratorINS9_10device_ptrIxEEEEPS5_jNS1_19radix_merge_compareILb0ELb0ExNS0_19identity_decomposerEEEEE10hipError_tT0_T1_T2_jT3_P12ihipStream_tbPNSt15iterator_traitsISK_E10value_typeEPNSQ_ISL_E10value_typeEPSM_NS1_7vsmem_tEENKUlT_SK_SL_SM_E_clISE_PxSF_SF_EESJ_SZ_SK_SL_SM_EUlSZ_E1_NS1_11comp_targetILNS1_3genE0ELNS1_11target_archE4294967295ELNS1_3gpuE0ELNS1_3repE0EEENS1_36merge_oddeven_config_static_selectorELNS0_4arch9wavefront6targetE1EEEvSL_, .Lfunc_end1450-_ZN7rocprim17ROCPRIM_400000_NS6detail17trampoline_kernelINS0_14default_configENS1_38merge_sort_block_merge_config_selectorIxNS0_10empty_typeEEEZZNS1_27merge_sort_block_merge_implIS3_N6thrust23THRUST_200600_302600_NS6detail15normal_iteratorINS9_10device_ptrIxEEEEPS5_jNS1_19radix_merge_compareILb0ELb0ExNS0_19identity_decomposerEEEEE10hipError_tT0_T1_T2_jT3_P12ihipStream_tbPNSt15iterator_traitsISK_E10value_typeEPNSQ_ISL_E10value_typeEPSM_NS1_7vsmem_tEENKUlT_SK_SL_SM_E_clISE_PxSF_SF_EESJ_SZ_SK_SL_SM_EUlSZ_E1_NS1_11comp_targetILNS1_3genE0ELNS1_11target_archE4294967295ELNS1_3gpuE0ELNS1_3repE0EEENS1_36merge_oddeven_config_static_selectorELNS0_4arch9wavefront6targetE1EEEvSL_
                                        ; -- End function
	.section	.AMDGPU.csdata,"",@progbits
; Kernel info:
; codeLenInByte = 0
; NumSgprs: 4
; NumVgprs: 0
; NumAgprs: 0
; TotalNumVgprs: 0
; ScratchSize: 0
; MemoryBound: 0
; FloatMode: 240
; IeeeMode: 1
; LDSByteSize: 0 bytes/workgroup (compile time only)
; SGPRBlocks: 0
; VGPRBlocks: 0
; NumSGPRsForWavesPerEU: 4
; NumVGPRsForWavesPerEU: 1
; AccumOffset: 4
; Occupancy: 8
; WaveLimiterHint : 0
; COMPUTE_PGM_RSRC2:SCRATCH_EN: 0
; COMPUTE_PGM_RSRC2:USER_SGPR: 6
; COMPUTE_PGM_RSRC2:TRAP_HANDLER: 0
; COMPUTE_PGM_RSRC2:TGID_X_EN: 1
; COMPUTE_PGM_RSRC2:TGID_Y_EN: 0
; COMPUTE_PGM_RSRC2:TGID_Z_EN: 0
; COMPUTE_PGM_RSRC2:TIDIG_COMP_CNT: 0
; COMPUTE_PGM_RSRC3_GFX90A:ACCUM_OFFSET: 0
; COMPUTE_PGM_RSRC3_GFX90A:TG_SPLIT: 0
	.section	.text._ZN7rocprim17ROCPRIM_400000_NS6detail17trampoline_kernelINS0_14default_configENS1_38merge_sort_block_merge_config_selectorIxNS0_10empty_typeEEEZZNS1_27merge_sort_block_merge_implIS3_N6thrust23THRUST_200600_302600_NS6detail15normal_iteratorINS9_10device_ptrIxEEEEPS5_jNS1_19radix_merge_compareILb0ELb0ExNS0_19identity_decomposerEEEEE10hipError_tT0_T1_T2_jT3_P12ihipStream_tbPNSt15iterator_traitsISK_E10value_typeEPNSQ_ISL_E10value_typeEPSM_NS1_7vsmem_tEENKUlT_SK_SL_SM_E_clISE_PxSF_SF_EESJ_SZ_SK_SL_SM_EUlSZ_E1_NS1_11comp_targetILNS1_3genE10ELNS1_11target_archE1201ELNS1_3gpuE5ELNS1_3repE0EEENS1_36merge_oddeven_config_static_selectorELNS0_4arch9wavefront6targetE1EEEvSL_,"axG",@progbits,_ZN7rocprim17ROCPRIM_400000_NS6detail17trampoline_kernelINS0_14default_configENS1_38merge_sort_block_merge_config_selectorIxNS0_10empty_typeEEEZZNS1_27merge_sort_block_merge_implIS3_N6thrust23THRUST_200600_302600_NS6detail15normal_iteratorINS9_10device_ptrIxEEEEPS5_jNS1_19radix_merge_compareILb0ELb0ExNS0_19identity_decomposerEEEEE10hipError_tT0_T1_T2_jT3_P12ihipStream_tbPNSt15iterator_traitsISK_E10value_typeEPNSQ_ISL_E10value_typeEPSM_NS1_7vsmem_tEENKUlT_SK_SL_SM_E_clISE_PxSF_SF_EESJ_SZ_SK_SL_SM_EUlSZ_E1_NS1_11comp_targetILNS1_3genE10ELNS1_11target_archE1201ELNS1_3gpuE5ELNS1_3repE0EEENS1_36merge_oddeven_config_static_selectorELNS0_4arch9wavefront6targetE1EEEvSL_,comdat
	.protected	_ZN7rocprim17ROCPRIM_400000_NS6detail17trampoline_kernelINS0_14default_configENS1_38merge_sort_block_merge_config_selectorIxNS0_10empty_typeEEEZZNS1_27merge_sort_block_merge_implIS3_N6thrust23THRUST_200600_302600_NS6detail15normal_iteratorINS9_10device_ptrIxEEEEPS5_jNS1_19radix_merge_compareILb0ELb0ExNS0_19identity_decomposerEEEEE10hipError_tT0_T1_T2_jT3_P12ihipStream_tbPNSt15iterator_traitsISK_E10value_typeEPNSQ_ISL_E10value_typeEPSM_NS1_7vsmem_tEENKUlT_SK_SL_SM_E_clISE_PxSF_SF_EESJ_SZ_SK_SL_SM_EUlSZ_E1_NS1_11comp_targetILNS1_3genE10ELNS1_11target_archE1201ELNS1_3gpuE5ELNS1_3repE0EEENS1_36merge_oddeven_config_static_selectorELNS0_4arch9wavefront6targetE1EEEvSL_ ; -- Begin function _ZN7rocprim17ROCPRIM_400000_NS6detail17trampoline_kernelINS0_14default_configENS1_38merge_sort_block_merge_config_selectorIxNS0_10empty_typeEEEZZNS1_27merge_sort_block_merge_implIS3_N6thrust23THRUST_200600_302600_NS6detail15normal_iteratorINS9_10device_ptrIxEEEEPS5_jNS1_19radix_merge_compareILb0ELb0ExNS0_19identity_decomposerEEEEE10hipError_tT0_T1_T2_jT3_P12ihipStream_tbPNSt15iterator_traitsISK_E10value_typeEPNSQ_ISL_E10value_typeEPSM_NS1_7vsmem_tEENKUlT_SK_SL_SM_E_clISE_PxSF_SF_EESJ_SZ_SK_SL_SM_EUlSZ_E1_NS1_11comp_targetILNS1_3genE10ELNS1_11target_archE1201ELNS1_3gpuE5ELNS1_3repE0EEENS1_36merge_oddeven_config_static_selectorELNS0_4arch9wavefront6targetE1EEEvSL_
	.globl	_ZN7rocprim17ROCPRIM_400000_NS6detail17trampoline_kernelINS0_14default_configENS1_38merge_sort_block_merge_config_selectorIxNS0_10empty_typeEEEZZNS1_27merge_sort_block_merge_implIS3_N6thrust23THRUST_200600_302600_NS6detail15normal_iteratorINS9_10device_ptrIxEEEEPS5_jNS1_19radix_merge_compareILb0ELb0ExNS0_19identity_decomposerEEEEE10hipError_tT0_T1_T2_jT3_P12ihipStream_tbPNSt15iterator_traitsISK_E10value_typeEPNSQ_ISL_E10value_typeEPSM_NS1_7vsmem_tEENKUlT_SK_SL_SM_E_clISE_PxSF_SF_EESJ_SZ_SK_SL_SM_EUlSZ_E1_NS1_11comp_targetILNS1_3genE10ELNS1_11target_archE1201ELNS1_3gpuE5ELNS1_3repE0EEENS1_36merge_oddeven_config_static_selectorELNS0_4arch9wavefront6targetE1EEEvSL_
	.p2align	8
	.type	_ZN7rocprim17ROCPRIM_400000_NS6detail17trampoline_kernelINS0_14default_configENS1_38merge_sort_block_merge_config_selectorIxNS0_10empty_typeEEEZZNS1_27merge_sort_block_merge_implIS3_N6thrust23THRUST_200600_302600_NS6detail15normal_iteratorINS9_10device_ptrIxEEEEPS5_jNS1_19radix_merge_compareILb0ELb0ExNS0_19identity_decomposerEEEEE10hipError_tT0_T1_T2_jT3_P12ihipStream_tbPNSt15iterator_traitsISK_E10value_typeEPNSQ_ISL_E10value_typeEPSM_NS1_7vsmem_tEENKUlT_SK_SL_SM_E_clISE_PxSF_SF_EESJ_SZ_SK_SL_SM_EUlSZ_E1_NS1_11comp_targetILNS1_3genE10ELNS1_11target_archE1201ELNS1_3gpuE5ELNS1_3repE0EEENS1_36merge_oddeven_config_static_selectorELNS0_4arch9wavefront6targetE1EEEvSL_,@function
_ZN7rocprim17ROCPRIM_400000_NS6detail17trampoline_kernelINS0_14default_configENS1_38merge_sort_block_merge_config_selectorIxNS0_10empty_typeEEEZZNS1_27merge_sort_block_merge_implIS3_N6thrust23THRUST_200600_302600_NS6detail15normal_iteratorINS9_10device_ptrIxEEEEPS5_jNS1_19radix_merge_compareILb0ELb0ExNS0_19identity_decomposerEEEEE10hipError_tT0_T1_T2_jT3_P12ihipStream_tbPNSt15iterator_traitsISK_E10value_typeEPNSQ_ISL_E10value_typeEPSM_NS1_7vsmem_tEENKUlT_SK_SL_SM_E_clISE_PxSF_SF_EESJ_SZ_SK_SL_SM_EUlSZ_E1_NS1_11comp_targetILNS1_3genE10ELNS1_11target_archE1201ELNS1_3gpuE5ELNS1_3repE0EEENS1_36merge_oddeven_config_static_selectorELNS0_4arch9wavefront6targetE1EEEvSL_: ; @_ZN7rocprim17ROCPRIM_400000_NS6detail17trampoline_kernelINS0_14default_configENS1_38merge_sort_block_merge_config_selectorIxNS0_10empty_typeEEEZZNS1_27merge_sort_block_merge_implIS3_N6thrust23THRUST_200600_302600_NS6detail15normal_iteratorINS9_10device_ptrIxEEEEPS5_jNS1_19radix_merge_compareILb0ELb0ExNS0_19identity_decomposerEEEEE10hipError_tT0_T1_T2_jT3_P12ihipStream_tbPNSt15iterator_traitsISK_E10value_typeEPNSQ_ISL_E10value_typeEPSM_NS1_7vsmem_tEENKUlT_SK_SL_SM_E_clISE_PxSF_SF_EESJ_SZ_SK_SL_SM_EUlSZ_E1_NS1_11comp_targetILNS1_3genE10ELNS1_11target_archE1201ELNS1_3gpuE5ELNS1_3repE0EEENS1_36merge_oddeven_config_static_selectorELNS0_4arch9wavefront6targetE1EEEvSL_
; %bb.0:
	.section	.rodata,"a",@progbits
	.p2align	6, 0x0
	.amdhsa_kernel _ZN7rocprim17ROCPRIM_400000_NS6detail17trampoline_kernelINS0_14default_configENS1_38merge_sort_block_merge_config_selectorIxNS0_10empty_typeEEEZZNS1_27merge_sort_block_merge_implIS3_N6thrust23THRUST_200600_302600_NS6detail15normal_iteratorINS9_10device_ptrIxEEEEPS5_jNS1_19radix_merge_compareILb0ELb0ExNS0_19identity_decomposerEEEEE10hipError_tT0_T1_T2_jT3_P12ihipStream_tbPNSt15iterator_traitsISK_E10value_typeEPNSQ_ISL_E10value_typeEPSM_NS1_7vsmem_tEENKUlT_SK_SL_SM_E_clISE_PxSF_SF_EESJ_SZ_SK_SL_SM_EUlSZ_E1_NS1_11comp_targetILNS1_3genE10ELNS1_11target_archE1201ELNS1_3gpuE5ELNS1_3repE0EEENS1_36merge_oddeven_config_static_selectorELNS0_4arch9wavefront6targetE1EEEvSL_
		.amdhsa_group_segment_fixed_size 0
		.amdhsa_private_segment_fixed_size 0
		.amdhsa_kernarg_size 48
		.amdhsa_user_sgpr_count 6
		.amdhsa_user_sgpr_private_segment_buffer 1
		.amdhsa_user_sgpr_dispatch_ptr 0
		.amdhsa_user_sgpr_queue_ptr 0
		.amdhsa_user_sgpr_kernarg_segment_ptr 1
		.amdhsa_user_sgpr_dispatch_id 0
		.amdhsa_user_sgpr_flat_scratch_init 0
		.amdhsa_user_sgpr_kernarg_preload_length 0
		.amdhsa_user_sgpr_kernarg_preload_offset 0
		.amdhsa_user_sgpr_private_segment_size 0
		.amdhsa_uses_dynamic_stack 0
		.amdhsa_system_sgpr_private_segment_wavefront_offset 0
		.amdhsa_system_sgpr_workgroup_id_x 1
		.amdhsa_system_sgpr_workgroup_id_y 0
		.amdhsa_system_sgpr_workgroup_id_z 0
		.amdhsa_system_sgpr_workgroup_info 0
		.amdhsa_system_vgpr_workitem_id 0
		.amdhsa_next_free_vgpr 1
		.amdhsa_next_free_sgpr 0
		.amdhsa_accum_offset 4
		.amdhsa_reserve_vcc 0
		.amdhsa_reserve_flat_scratch 0
		.amdhsa_float_round_mode_32 0
		.amdhsa_float_round_mode_16_64 0
		.amdhsa_float_denorm_mode_32 3
		.amdhsa_float_denorm_mode_16_64 3
		.amdhsa_dx10_clamp 1
		.amdhsa_ieee_mode 1
		.amdhsa_fp16_overflow 0
		.amdhsa_tg_split 0
		.amdhsa_exception_fp_ieee_invalid_op 0
		.amdhsa_exception_fp_denorm_src 0
		.amdhsa_exception_fp_ieee_div_zero 0
		.amdhsa_exception_fp_ieee_overflow 0
		.amdhsa_exception_fp_ieee_underflow 0
		.amdhsa_exception_fp_ieee_inexact 0
		.amdhsa_exception_int_div_zero 0
	.end_amdhsa_kernel
	.section	.text._ZN7rocprim17ROCPRIM_400000_NS6detail17trampoline_kernelINS0_14default_configENS1_38merge_sort_block_merge_config_selectorIxNS0_10empty_typeEEEZZNS1_27merge_sort_block_merge_implIS3_N6thrust23THRUST_200600_302600_NS6detail15normal_iteratorINS9_10device_ptrIxEEEEPS5_jNS1_19radix_merge_compareILb0ELb0ExNS0_19identity_decomposerEEEEE10hipError_tT0_T1_T2_jT3_P12ihipStream_tbPNSt15iterator_traitsISK_E10value_typeEPNSQ_ISL_E10value_typeEPSM_NS1_7vsmem_tEENKUlT_SK_SL_SM_E_clISE_PxSF_SF_EESJ_SZ_SK_SL_SM_EUlSZ_E1_NS1_11comp_targetILNS1_3genE10ELNS1_11target_archE1201ELNS1_3gpuE5ELNS1_3repE0EEENS1_36merge_oddeven_config_static_selectorELNS0_4arch9wavefront6targetE1EEEvSL_,"axG",@progbits,_ZN7rocprim17ROCPRIM_400000_NS6detail17trampoline_kernelINS0_14default_configENS1_38merge_sort_block_merge_config_selectorIxNS0_10empty_typeEEEZZNS1_27merge_sort_block_merge_implIS3_N6thrust23THRUST_200600_302600_NS6detail15normal_iteratorINS9_10device_ptrIxEEEEPS5_jNS1_19radix_merge_compareILb0ELb0ExNS0_19identity_decomposerEEEEE10hipError_tT0_T1_T2_jT3_P12ihipStream_tbPNSt15iterator_traitsISK_E10value_typeEPNSQ_ISL_E10value_typeEPSM_NS1_7vsmem_tEENKUlT_SK_SL_SM_E_clISE_PxSF_SF_EESJ_SZ_SK_SL_SM_EUlSZ_E1_NS1_11comp_targetILNS1_3genE10ELNS1_11target_archE1201ELNS1_3gpuE5ELNS1_3repE0EEENS1_36merge_oddeven_config_static_selectorELNS0_4arch9wavefront6targetE1EEEvSL_,comdat
.Lfunc_end1451:
	.size	_ZN7rocprim17ROCPRIM_400000_NS6detail17trampoline_kernelINS0_14default_configENS1_38merge_sort_block_merge_config_selectorIxNS0_10empty_typeEEEZZNS1_27merge_sort_block_merge_implIS3_N6thrust23THRUST_200600_302600_NS6detail15normal_iteratorINS9_10device_ptrIxEEEEPS5_jNS1_19radix_merge_compareILb0ELb0ExNS0_19identity_decomposerEEEEE10hipError_tT0_T1_T2_jT3_P12ihipStream_tbPNSt15iterator_traitsISK_E10value_typeEPNSQ_ISL_E10value_typeEPSM_NS1_7vsmem_tEENKUlT_SK_SL_SM_E_clISE_PxSF_SF_EESJ_SZ_SK_SL_SM_EUlSZ_E1_NS1_11comp_targetILNS1_3genE10ELNS1_11target_archE1201ELNS1_3gpuE5ELNS1_3repE0EEENS1_36merge_oddeven_config_static_selectorELNS0_4arch9wavefront6targetE1EEEvSL_, .Lfunc_end1451-_ZN7rocprim17ROCPRIM_400000_NS6detail17trampoline_kernelINS0_14default_configENS1_38merge_sort_block_merge_config_selectorIxNS0_10empty_typeEEEZZNS1_27merge_sort_block_merge_implIS3_N6thrust23THRUST_200600_302600_NS6detail15normal_iteratorINS9_10device_ptrIxEEEEPS5_jNS1_19radix_merge_compareILb0ELb0ExNS0_19identity_decomposerEEEEE10hipError_tT0_T1_T2_jT3_P12ihipStream_tbPNSt15iterator_traitsISK_E10value_typeEPNSQ_ISL_E10value_typeEPSM_NS1_7vsmem_tEENKUlT_SK_SL_SM_E_clISE_PxSF_SF_EESJ_SZ_SK_SL_SM_EUlSZ_E1_NS1_11comp_targetILNS1_3genE10ELNS1_11target_archE1201ELNS1_3gpuE5ELNS1_3repE0EEENS1_36merge_oddeven_config_static_selectorELNS0_4arch9wavefront6targetE1EEEvSL_
                                        ; -- End function
	.section	.AMDGPU.csdata,"",@progbits
; Kernel info:
; codeLenInByte = 0
; NumSgprs: 4
; NumVgprs: 0
; NumAgprs: 0
; TotalNumVgprs: 0
; ScratchSize: 0
; MemoryBound: 0
; FloatMode: 240
; IeeeMode: 1
; LDSByteSize: 0 bytes/workgroup (compile time only)
; SGPRBlocks: 0
; VGPRBlocks: 0
; NumSGPRsForWavesPerEU: 4
; NumVGPRsForWavesPerEU: 1
; AccumOffset: 4
; Occupancy: 8
; WaveLimiterHint : 0
; COMPUTE_PGM_RSRC2:SCRATCH_EN: 0
; COMPUTE_PGM_RSRC2:USER_SGPR: 6
; COMPUTE_PGM_RSRC2:TRAP_HANDLER: 0
; COMPUTE_PGM_RSRC2:TGID_X_EN: 1
; COMPUTE_PGM_RSRC2:TGID_Y_EN: 0
; COMPUTE_PGM_RSRC2:TGID_Z_EN: 0
; COMPUTE_PGM_RSRC2:TIDIG_COMP_CNT: 0
; COMPUTE_PGM_RSRC3_GFX90A:ACCUM_OFFSET: 0
; COMPUTE_PGM_RSRC3_GFX90A:TG_SPLIT: 0
	.section	.text._ZN7rocprim17ROCPRIM_400000_NS6detail17trampoline_kernelINS0_14default_configENS1_38merge_sort_block_merge_config_selectorIxNS0_10empty_typeEEEZZNS1_27merge_sort_block_merge_implIS3_N6thrust23THRUST_200600_302600_NS6detail15normal_iteratorINS9_10device_ptrIxEEEEPS5_jNS1_19radix_merge_compareILb0ELb0ExNS0_19identity_decomposerEEEEE10hipError_tT0_T1_T2_jT3_P12ihipStream_tbPNSt15iterator_traitsISK_E10value_typeEPNSQ_ISL_E10value_typeEPSM_NS1_7vsmem_tEENKUlT_SK_SL_SM_E_clISE_PxSF_SF_EESJ_SZ_SK_SL_SM_EUlSZ_E1_NS1_11comp_targetILNS1_3genE5ELNS1_11target_archE942ELNS1_3gpuE9ELNS1_3repE0EEENS1_36merge_oddeven_config_static_selectorELNS0_4arch9wavefront6targetE1EEEvSL_,"axG",@progbits,_ZN7rocprim17ROCPRIM_400000_NS6detail17trampoline_kernelINS0_14default_configENS1_38merge_sort_block_merge_config_selectorIxNS0_10empty_typeEEEZZNS1_27merge_sort_block_merge_implIS3_N6thrust23THRUST_200600_302600_NS6detail15normal_iteratorINS9_10device_ptrIxEEEEPS5_jNS1_19radix_merge_compareILb0ELb0ExNS0_19identity_decomposerEEEEE10hipError_tT0_T1_T2_jT3_P12ihipStream_tbPNSt15iterator_traitsISK_E10value_typeEPNSQ_ISL_E10value_typeEPSM_NS1_7vsmem_tEENKUlT_SK_SL_SM_E_clISE_PxSF_SF_EESJ_SZ_SK_SL_SM_EUlSZ_E1_NS1_11comp_targetILNS1_3genE5ELNS1_11target_archE942ELNS1_3gpuE9ELNS1_3repE0EEENS1_36merge_oddeven_config_static_selectorELNS0_4arch9wavefront6targetE1EEEvSL_,comdat
	.protected	_ZN7rocprim17ROCPRIM_400000_NS6detail17trampoline_kernelINS0_14default_configENS1_38merge_sort_block_merge_config_selectorIxNS0_10empty_typeEEEZZNS1_27merge_sort_block_merge_implIS3_N6thrust23THRUST_200600_302600_NS6detail15normal_iteratorINS9_10device_ptrIxEEEEPS5_jNS1_19radix_merge_compareILb0ELb0ExNS0_19identity_decomposerEEEEE10hipError_tT0_T1_T2_jT3_P12ihipStream_tbPNSt15iterator_traitsISK_E10value_typeEPNSQ_ISL_E10value_typeEPSM_NS1_7vsmem_tEENKUlT_SK_SL_SM_E_clISE_PxSF_SF_EESJ_SZ_SK_SL_SM_EUlSZ_E1_NS1_11comp_targetILNS1_3genE5ELNS1_11target_archE942ELNS1_3gpuE9ELNS1_3repE0EEENS1_36merge_oddeven_config_static_selectorELNS0_4arch9wavefront6targetE1EEEvSL_ ; -- Begin function _ZN7rocprim17ROCPRIM_400000_NS6detail17trampoline_kernelINS0_14default_configENS1_38merge_sort_block_merge_config_selectorIxNS0_10empty_typeEEEZZNS1_27merge_sort_block_merge_implIS3_N6thrust23THRUST_200600_302600_NS6detail15normal_iteratorINS9_10device_ptrIxEEEEPS5_jNS1_19radix_merge_compareILb0ELb0ExNS0_19identity_decomposerEEEEE10hipError_tT0_T1_T2_jT3_P12ihipStream_tbPNSt15iterator_traitsISK_E10value_typeEPNSQ_ISL_E10value_typeEPSM_NS1_7vsmem_tEENKUlT_SK_SL_SM_E_clISE_PxSF_SF_EESJ_SZ_SK_SL_SM_EUlSZ_E1_NS1_11comp_targetILNS1_3genE5ELNS1_11target_archE942ELNS1_3gpuE9ELNS1_3repE0EEENS1_36merge_oddeven_config_static_selectorELNS0_4arch9wavefront6targetE1EEEvSL_
	.globl	_ZN7rocprim17ROCPRIM_400000_NS6detail17trampoline_kernelINS0_14default_configENS1_38merge_sort_block_merge_config_selectorIxNS0_10empty_typeEEEZZNS1_27merge_sort_block_merge_implIS3_N6thrust23THRUST_200600_302600_NS6detail15normal_iteratorINS9_10device_ptrIxEEEEPS5_jNS1_19radix_merge_compareILb0ELb0ExNS0_19identity_decomposerEEEEE10hipError_tT0_T1_T2_jT3_P12ihipStream_tbPNSt15iterator_traitsISK_E10value_typeEPNSQ_ISL_E10value_typeEPSM_NS1_7vsmem_tEENKUlT_SK_SL_SM_E_clISE_PxSF_SF_EESJ_SZ_SK_SL_SM_EUlSZ_E1_NS1_11comp_targetILNS1_3genE5ELNS1_11target_archE942ELNS1_3gpuE9ELNS1_3repE0EEENS1_36merge_oddeven_config_static_selectorELNS0_4arch9wavefront6targetE1EEEvSL_
	.p2align	8
	.type	_ZN7rocprim17ROCPRIM_400000_NS6detail17trampoline_kernelINS0_14default_configENS1_38merge_sort_block_merge_config_selectorIxNS0_10empty_typeEEEZZNS1_27merge_sort_block_merge_implIS3_N6thrust23THRUST_200600_302600_NS6detail15normal_iteratorINS9_10device_ptrIxEEEEPS5_jNS1_19radix_merge_compareILb0ELb0ExNS0_19identity_decomposerEEEEE10hipError_tT0_T1_T2_jT3_P12ihipStream_tbPNSt15iterator_traitsISK_E10value_typeEPNSQ_ISL_E10value_typeEPSM_NS1_7vsmem_tEENKUlT_SK_SL_SM_E_clISE_PxSF_SF_EESJ_SZ_SK_SL_SM_EUlSZ_E1_NS1_11comp_targetILNS1_3genE5ELNS1_11target_archE942ELNS1_3gpuE9ELNS1_3repE0EEENS1_36merge_oddeven_config_static_selectorELNS0_4arch9wavefront6targetE1EEEvSL_,@function
_ZN7rocprim17ROCPRIM_400000_NS6detail17trampoline_kernelINS0_14default_configENS1_38merge_sort_block_merge_config_selectorIxNS0_10empty_typeEEEZZNS1_27merge_sort_block_merge_implIS3_N6thrust23THRUST_200600_302600_NS6detail15normal_iteratorINS9_10device_ptrIxEEEEPS5_jNS1_19radix_merge_compareILb0ELb0ExNS0_19identity_decomposerEEEEE10hipError_tT0_T1_T2_jT3_P12ihipStream_tbPNSt15iterator_traitsISK_E10value_typeEPNSQ_ISL_E10value_typeEPSM_NS1_7vsmem_tEENKUlT_SK_SL_SM_E_clISE_PxSF_SF_EESJ_SZ_SK_SL_SM_EUlSZ_E1_NS1_11comp_targetILNS1_3genE5ELNS1_11target_archE942ELNS1_3gpuE9ELNS1_3repE0EEENS1_36merge_oddeven_config_static_selectorELNS0_4arch9wavefront6targetE1EEEvSL_: ; @_ZN7rocprim17ROCPRIM_400000_NS6detail17trampoline_kernelINS0_14default_configENS1_38merge_sort_block_merge_config_selectorIxNS0_10empty_typeEEEZZNS1_27merge_sort_block_merge_implIS3_N6thrust23THRUST_200600_302600_NS6detail15normal_iteratorINS9_10device_ptrIxEEEEPS5_jNS1_19radix_merge_compareILb0ELb0ExNS0_19identity_decomposerEEEEE10hipError_tT0_T1_T2_jT3_P12ihipStream_tbPNSt15iterator_traitsISK_E10value_typeEPNSQ_ISL_E10value_typeEPSM_NS1_7vsmem_tEENKUlT_SK_SL_SM_E_clISE_PxSF_SF_EESJ_SZ_SK_SL_SM_EUlSZ_E1_NS1_11comp_targetILNS1_3genE5ELNS1_11target_archE942ELNS1_3gpuE9ELNS1_3repE0EEENS1_36merge_oddeven_config_static_selectorELNS0_4arch9wavefront6targetE1EEEvSL_
; %bb.0:
	.section	.rodata,"a",@progbits
	.p2align	6, 0x0
	.amdhsa_kernel _ZN7rocprim17ROCPRIM_400000_NS6detail17trampoline_kernelINS0_14default_configENS1_38merge_sort_block_merge_config_selectorIxNS0_10empty_typeEEEZZNS1_27merge_sort_block_merge_implIS3_N6thrust23THRUST_200600_302600_NS6detail15normal_iteratorINS9_10device_ptrIxEEEEPS5_jNS1_19radix_merge_compareILb0ELb0ExNS0_19identity_decomposerEEEEE10hipError_tT0_T1_T2_jT3_P12ihipStream_tbPNSt15iterator_traitsISK_E10value_typeEPNSQ_ISL_E10value_typeEPSM_NS1_7vsmem_tEENKUlT_SK_SL_SM_E_clISE_PxSF_SF_EESJ_SZ_SK_SL_SM_EUlSZ_E1_NS1_11comp_targetILNS1_3genE5ELNS1_11target_archE942ELNS1_3gpuE9ELNS1_3repE0EEENS1_36merge_oddeven_config_static_selectorELNS0_4arch9wavefront6targetE1EEEvSL_
		.amdhsa_group_segment_fixed_size 0
		.amdhsa_private_segment_fixed_size 0
		.amdhsa_kernarg_size 48
		.amdhsa_user_sgpr_count 6
		.amdhsa_user_sgpr_private_segment_buffer 1
		.amdhsa_user_sgpr_dispatch_ptr 0
		.amdhsa_user_sgpr_queue_ptr 0
		.amdhsa_user_sgpr_kernarg_segment_ptr 1
		.amdhsa_user_sgpr_dispatch_id 0
		.amdhsa_user_sgpr_flat_scratch_init 0
		.amdhsa_user_sgpr_kernarg_preload_length 0
		.amdhsa_user_sgpr_kernarg_preload_offset 0
		.amdhsa_user_sgpr_private_segment_size 0
		.amdhsa_uses_dynamic_stack 0
		.amdhsa_system_sgpr_private_segment_wavefront_offset 0
		.amdhsa_system_sgpr_workgroup_id_x 1
		.amdhsa_system_sgpr_workgroup_id_y 0
		.amdhsa_system_sgpr_workgroup_id_z 0
		.amdhsa_system_sgpr_workgroup_info 0
		.amdhsa_system_vgpr_workitem_id 0
		.amdhsa_next_free_vgpr 1
		.amdhsa_next_free_sgpr 0
		.amdhsa_accum_offset 4
		.amdhsa_reserve_vcc 0
		.amdhsa_reserve_flat_scratch 0
		.amdhsa_float_round_mode_32 0
		.amdhsa_float_round_mode_16_64 0
		.amdhsa_float_denorm_mode_32 3
		.amdhsa_float_denorm_mode_16_64 3
		.amdhsa_dx10_clamp 1
		.amdhsa_ieee_mode 1
		.amdhsa_fp16_overflow 0
		.amdhsa_tg_split 0
		.amdhsa_exception_fp_ieee_invalid_op 0
		.amdhsa_exception_fp_denorm_src 0
		.amdhsa_exception_fp_ieee_div_zero 0
		.amdhsa_exception_fp_ieee_overflow 0
		.amdhsa_exception_fp_ieee_underflow 0
		.amdhsa_exception_fp_ieee_inexact 0
		.amdhsa_exception_int_div_zero 0
	.end_amdhsa_kernel
	.section	.text._ZN7rocprim17ROCPRIM_400000_NS6detail17trampoline_kernelINS0_14default_configENS1_38merge_sort_block_merge_config_selectorIxNS0_10empty_typeEEEZZNS1_27merge_sort_block_merge_implIS3_N6thrust23THRUST_200600_302600_NS6detail15normal_iteratorINS9_10device_ptrIxEEEEPS5_jNS1_19radix_merge_compareILb0ELb0ExNS0_19identity_decomposerEEEEE10hipError_tT0_T1_T2_jT3_P12ihipStream_tbPNSt15iterator_traitsISK_E10value_typeEPNSQ_ISL_E10value_typeEPSM_NS1_7vsmem_tEENKUlT_SK_SL_SM_E_clISE_PxSF_SF_EESJ_SZ_SK_SL_SM_EUlSZ_E1_NS1_11comp_targetILNS1_3genE5ELNS1_11target_archE942ELNS1_3gpuE9ELNS1_3repE0EEENS1_36merge_oddeven_config_static_selectorELNS0_4arch9wavefront6targetE1EEEvSL_,"axG",@progbits,_ZN7rocprim17ROCPRIM_400000_NS6detail17trampoline_kernelINS0_14default_configENS1_38merge_sort_block_merge_config_selectorIxNS0_10empty_typeEEEZZNS1_27merge_sort_block_merge_implIS3_N6thrust23THRUST_200600_302600_NS6detail15normal_iteratorINS9_10device_ptrIxEEEEPS5_jNS1_19radix_merge_compareILb0ELb0ExNS0_19identity_decomposerEEEEE10hipError_tT0_T1_T2_jT3_P12ihipStream_tbPNSt15iterator_traitsISK_E10value_typeEPNSQ_ISL_E10value_typeEPSM_NS1_7vsmem_tEENKUlT_SK_SL_SM_E_clISE_PxSF_SF_EESJ_SZ_SK_SL_SM_EUlSZ_E1_NS1_11comp_targetILNS1_3genE5ELNS1_11target_archE942ELNS1_3gpuE9ELNS1_3repE0EEENS1_36merge_oddeven_config_static_selectorELNS0_4arch9wavefront6targetE1EEEvSL_,comdat
.Lfunc_end1452:
	.size	_ZN7rocprim17ROCPRIM_400000_NS6detail17trampoline_kernelINS0_14default_configENS1_38merge_sort_block_merge_config_selectorIxNS0_10empty_typeEEEZZNS1_27merge_sort_block_merge_implIS3_N6thrust23THRUST_200600_302600_NS6detail15normal_iteratorINS9_10device_ptrIxEEEEPS5_jNS1_19radix_merge_compareILb0ELb0ExNS0_19identity_decomposerEEEEE10hipError_tT0_T1_T2_jT3_P12ihipStream_tbPNSt15iterator_traitsISK_E10value_typeEPNSQ_ISL_E10value_typeEPSM_NS1_7vsmem_tEENKUlT_SK_SL_SM_E_clISE_PxSF_SF_EESJ_SZ_SK_SL_SM_EUlSZ_E1_NS1_11comp_targetILNS1_3genE5ELNS1_11target_archE942ELNS1_3gpuE9ELNS1_3repE0EEENS1_36merge_oddeven_config_static_selectorELNS0_4arch9wavefront6targetE1EEEvSL_, .Lfunc_end1452-_ZN7rocprim17ROCPRIM_400000_NS6detail17trampoline_kernelINS0_14default_configENS1_38merge_sort_block_merge_config_selectorIxNS0_10empty_typeEEEZZNS1_27merge_sort_block_merge_implIS3_N6thrust23THRUST_200600_302600_NS6detail15normal_iteratorINS9_10device_ptrIxEEEEPS5_jNS1_19radix_merge_compareILb0ELb0ExNS0_19identity_decomposerEEEEE10hipError_tT0_T1_T2_jT3_P12ihipStream_tbPNSt15iterator_traitsISK_E10value_typeEPNSQ_ISL_E10value_typeEPSM_NS1_7vsmem_tEENKUlT_SK_SL_SM_E_clISE_PxSF_SF_EESJ_SZ_SK_SL_SM_EUlSZ_E1_NS1_11comp_targetILNS1_3genE5ELNS1_11target_archE942ELNS1_3gpuE9ELNS1_3repE0EEENS1_36merge_oddeven_config_static_selectorELNS0_4arch9wavefront6targetE1EEEvSL_
                                        ; -- End function
	.section	.AMDGPU.csdata,"",@progbits
; Kernel info:
; codeLenInByte = 0
; NumSgprs: 4
; NumVgprs: 0
; NumAgprs: 0
; TotalNumVgprs: 0
; ScratchSize: 0
; MemoryBound: 0
; FloatMode: 240
; IeeeMode: 1
; LDSByteSize: 0 bytes/workgroup (compile time only)
; SGPRBlocks: 0
; VGPRBlocks: 0
; NumSGPRsForWavesPerEU: 4
; NumVGPRsForWavesPerEU: 1
; AccumOffset: 4
; Occupancy: 8
; WaveLimiterHint : 0
; COMPUTE_PGM_RSRC2:SCRATCH_EN: 0
; COMPUTE_PGM_RSRC2:USER_SGPR: 6
; COMPUTE_PGM_RSRC2:TRAP_HANDLER: 0
; COMPUTE_PGM_RSRC2:TGID_X_EN: 1
; COMPUTE_PGM_RSRC2:TGID_Y_EN: 0
; COMPUTE_PGM_RSRC2:TGID_Z_EN: 0
; COMPUTE_PGM_RSRC2:TIDIG_COMP_CNT: 0
; COMPUTE_PGM_RSRC3_GFX90A:ACCUM_OFFSET: 0
; COMPUTE_PGM_RSRC3_GFX90A:TG_SPLIT: 0
	.section	.text._ZN7rocprim17ROCPRIM_400000_NS6detail17trampoline_kernelINS0_14default_configENS1_38merge_sort_block_merge_config_selectorIxNS0_10empty_typeEEEZZNS1_27merge_sort_block_merge_implIS3_N6thrust23THRUST_200600_302600_NS6detail15normal_iteratorINS9_10device_ptrIxEEEEPS5_jNS1_19radix_merge_compareILb0ELb0ExNS0_19identity_decomposerEEEEE10hipError_tT0_T1_T2_jT3_P12ihipStream_tbPNSt15iterator_traitsISK_E10value_typeEPNSQ_ISL_E10value_typeEPSM_NS1_7vsmem_tEENKUlT_SK_SL_SM_E_clISE_PxSF_SF_EESJ_SZ_SK_SL_SM_EUlSZ_E1_NS1_11comp_targetILNS1_3genE4ELNS1_11target_archE910ELNS1_3gpuE8ELNS1_3repE0EEENS1_36merge_oddeven_config_static_selectorELNS0_4arch9wavefront6targetE1EEEvSL_,"axG",@progbits,_ZN7rocprim17ROCPRIM_400000_NS6detail17trampoline_kernelINS0_14default_configENS1_38merge_sort_block_merge_config_selectorIxNS0_10empty_typeEEEZZNS1_27merge_sort_block_merge_implIS3_N6thrust23THRUST_200600_302600_NS6detail15normal_iteratorINS9_10device_ptrIxEEEEPS5_jNS1_19radix_merge_compareILb0ELb0ExNS0_19identity_decomposerEEEEE10hipError_tT0_T1_T2_jT3_P12ihipStream_tbPNSt15iterator_traitsISK_E10value_typeEPNSQ_ISL_E10value_typeEPSM_NS1_7vsmem_tEENKUlT_SK_SL_SM_E_clISE_PxSF_SF_EESJ_SZ_SK_SL_SM_EUlSZ_E1_NS1_11comp_targetILNS1_3genE4ELNS1_11target_archE910ELNS1_3gpuE8ELNS1_3repE0EEENS1_36merge_oddeven_config_static_selectorELNS0_4arch9wavefront6targetE1EEEvSL_,comdat
	.protected	_ZN7rocprim17ROCPRIM_400000_NS6detail17trampoline_kernelINS0_14default_configENS1_38merge_sort_block_merge_config_selectorIxNS0_10empty_typeEEEZZNS1_27merge_sort_block_merge_implIS3_N6thrust23THRUST_200600_302600_NS6detail15normal_iteratorINS9_10device_ptrIxEEEEPS5_jNS1_19radix_merge_compareILb0ELb0ExNS0_19identity_decomposerEEEEE10hipError_tT0_T1_T2_jT3_P12ihipStream_tbPNSt15iterator_traitsISK_E10value_typeEPNSQ_ISL_E10value_typeEPSM_NS1_7vsmem_tEENKUlT_SK_SL_SM_E_clISE_PxSF_SF_EESJ_SZ_SK_SL_SM_EUlSZ_E1_NS1_11comp_targetILNS1_3genE4ELNS1_11target_archE910ELNS1_3gpuE8ELNS1_3repE0EEENS1_36merge_oddeven_config_static_selectorELNS0_4arch9wavefront6targetE1EEEvSL_ ; -- Begin function _ZN7rocprim17ROCPRIM_400000_NS6detail17trampoline_kernelINS0_14default_configENS1_38merge_sort_block_merge_config_selectorIxNS0_10empty_typeEEEZZNS1_27merge_sort_block_merge_implIS3_N6thrust23THRUST_200600_302600_NS6detail15normal_iteratorINS9_10device_ptrIxEEEEPS5_jNS1_19radix_merge_compareILb0ELb0ExNS0_19identity_decomposerEEEEE10hipError_tT0_T1_T2_jT3_P12ihipStream_tbPNSt15iterator_traitsISK_E10value_typeEPNSQ_ISL_E10value_typeEPSM_NS1_7vsmem_tEENKUlT_SK_SL_SM_E_clISE_PxSF_SF_EESJ_SZ_SK_SL_SM_EUlSZ_E1_NS1_11comp_targetILNS1_3genE4ELNS1_11target_archE910ELNS1_3gpuE8ELNS1_3repE0EEENS1_36merge_oddeven_config_static_selectorELNS0_4arch9wavefront6targetE1EEEvSL_
	.globl	_ZN7rocprim17ROCPRIM_400000_NS6detail17trampoline_kernelINS0_14default_configENS1_38merge_sort_block_merge_config_selectorIxNS0_10empty_typeEEEZZNS1_27merge_sort_block_merge_implIS3_N6thrust23THRUST_200600_302600_NS6detail15normal_iteratorINS9_10device_ptrIxEEEEPS5_jNS1_19radix_merge_compareILb0ELb0ExNS0_19identity_decomposerEEEEE10hipError_tT0_T1_T2_jT3_P12ihipStream_tbPNSt15iterator_traitsISK_E10value_typeEPNSQ_ISL_E10value_typeEPSM_NS1_7vsmem_tEENKUlT_SK_SL_SM_E_clISE_PxSF_SF_EESJ_SZ_SK_SL_SM_EUlSZ_E1_NS1_11comp_targetILNS1_3genE4ELNS1_11target_archE910ELNS1_3gpuE8ELNS1_3repE0EEENS1_36merge_oddeven_config_static_selectorELNS0_4arch9wavefront6targetE1EEEvSL_
	.p2align	8
	.type	_ZN7rocprim17ROCPRIM_400000_NS6detail17trampoline_kernelINS0_14default_configENS1_38merge_sort_block_merge_config_selectorIxNS0_10empty_typeEEEZZNS1_27merge_sort_block_merge_implIS3_N6thrust23THRUST_200600_302600_NS6detail15normal_iteratorINS9_10device_ptrIxEEEEPS5_jNS1_19radix_merge_compareILb0ELb0ExNS0_19identity_decomposerEEEEE10hipError_tT0_T1_T2_jT3_P12ihipStream_tbPNSt15iterator_traitsISK_E10value_typeEPNSQ_ISL_E10value_typeEPSM_NS1_7vsmem_tEENKUlT_SK_SL_SM_E_clISE_PxSF_SF_EESJ_SZ_SK_SL_SM_EUlSZ_E1_NS1_11comp_targetILNS1_3genE4ELNS1_11target_archE910ELNS1_3gpuE8ELNS1_3repE0EEENS1_36merge_oddeven_config_static_selectorELNS0_4arch9wavefront6targetE1EEEvSL_,@function
_ZN7rocprim17ROCPRIM_400000_NS6detail17trampoline_kernelINS0_14default_configENS1_38merge_sort_block_merge_config_selectorIxNS0_10empty_typeEEEZZNS1_27merge_sort_block_merge_implIS3_N6thrust23THRUST_200600_302600_NS6detail15normal_iteratorINS9_10device_ptrIxEEEEPS5_jNS1_19radix_merge_compareILb0ELb0ExNS0_19identity_decomposerEEEEE10hipError_tT0_T1_T2_jT3_P12ihipStream_tbPNSt15iterator_traitsISK_E10value_typeEPNSQ_ISL_E10value_typeEPSM_NS1_7vsmem_tEENKUlT_SK_SL_SM_E_clISE_PxSF_SF_EESJ_SZ_SK_SL_SM_EUlSZ_E1_NS1_11comp_targetILNS1_3genE4ELNS1_11target_archE910ELNS1_3gpuE8ELNS1_3repE0EEENS1_36merge_oddeven_config_static_selectorELNS0_4arch9wavefront6targetE1EEEvSL_: ; @_ZN7rocprim17ROCPRIM_400000_NS6detail17trampoline_kernelINS0_14default_configENS1_38merge_sort_block_merge_config_selectorIxNS0_10empty_typeEEEZZNS1_27merge_sort_block_merge_implIS3_N6thrust23THRUST_200600_302600_NS6detail15normal_iteratorINS9_10device_ptrIxEEEEPS5_jNS1_19radix_merge_compareILb0ELb0ExNS0_19identity_decomposerEEEEE10hipError_tT0_T1_T2_jT3_P12ihipStream_tbPNSt15iterator_traitsISK_E10value_typeEPNSQ_ISL_E10value_typeEPSM_NS1_7vsmem_tEENKUlT_SK_SL_SM_E_clISE_PxSF_SF_EESJ_SZ_SK_SL_SM_EUlSZ_E1_NS1_11comp_targetILNS1_3genE4ELNS1_11target_archE910ELNS1_3gpuE8ELNS1_3repE0EEENS1_36merge_oddeven_config_static_selectorELNS0_4arch9wavefront6targetE1EEEvSL_
; %bb.0:
	s_load_dword s18, s[4:5], 0x20
	s_waitcnt lgkmcnt(0)
	s_lshr_b32 s0, s18, 8
	s_cmp_lg_u32 s6, s0
	s_cselect_b64 s[14:15], -1, 0
	s_cmp_eq_u32 s6, s0
	s_cselect_b64 s[12:13], -1, 0
	s_lshl_b32 s16, s6, 8
	s_sub_i32 s0, s18, s16
	v_cmp_gt_u32_e64 s[2:3], s0, v0
	s_or_b64 s[0:1], s[14:15], s[2:3]
	s_and_saveexec_b64 s[8:9], s[0:1]
	s_cbranch_execz .LBB1453_20
; %bb.1:
	s_load_dwordx4 s[8:11], s[4:5], 0x0
	s_load_dword s19, s[4:5], 0x24
	s_mov_b32 s17, 0
	s_lshl_b64 s[0:1], s[16:17], 3
	v_lshlrev_b32_e32 v1, 3, v0
	s_waitcnt lgkmcnt(0)
	s_add_u32 s0, s8, s0
	s_addc_u32 s1, s9, s1
	global_load_dwordx2 v[2:3], v1, s[0:1]
	s_lshr_b32 s0, s19, 8
	s_sub_i32 s1, 0, s0
	s_and_b32 s1, s6, s1
	s_and_b32 s0, s1, s0
	s_lshl_b32 s20, s1, 8
	s_sub_i32 s6, 0, s19
	s_cmp_eq_u32 s0, 0
	s_cselect_b64 s[0:1], -1, 0
	s_and_b64 s[4:5], s[0:1], exec
	s_cselect_b32 s17, s19, s6
	s_add_i32 s17, s17, s20
	s_cmp_lt_u32 s17, s18
	v_add_u32_e32 v0, s16, v0
	s_cbranch_scc1 .LBB1453_3
; %bb.2:
	v_cmp_gt_u32_e32 vcc, s18, v0
	s_or_b64 s[4:5], vcc, s[14:15]
	s_and_b64 s[4:5], s[4:5], exec
	s_cbranch_execz .LBB1453_4
	s_branch .LBB1453_18
.LBB1453_3:
	s_mov_b64 s[4:5], 0
.LBB1453_4:
	s_min_u32 s14, s17, s18
	s_add_i32 s6, s14, s19
	s_min_u32 s15, s6, s18
	s_min_u32 s6, s20, s14
	s_add_i32 s20, s20, s14
	v_subrev_u32_e32 v0, s20, v0
	v_add_u32_e32 v4, s6, v0
	s_and_b64 vcc, exec, s[12:13]
	s_cbranch_vccz .LBB1453_12
; %bb.5:
                                        ; implicit-def: $vgpr0
	s_and_saveexec_b64 s[6:7], s[2:3]
	s_cbranch_execz .LBB1453_11
; %bb.6:
	s_cmp_ge_u32 s17, s15
	v_mov_b32_e32 v5, s14
	s_cbranch_scc1 .LBB1453_10
; %bb.7:
	s_mov_b64 s[2:3], 0
	v_mov_b32_e32 v6, s15
	v_mov_b32_e32 v5, s14
	;; [unrolled: 1-line block ×4, first 2 shown]
.LBB1453_8:                             ; =>This Inner Loop Header: Depth=1
	v_add_u32_e32 v0, v5, v6
	v_lshrrev_b32_e32 v0, 1, v0
	v_lshlrev_b64 v[8:9], 3, v[0:1]
	v_add_co_u32_e32 v8, vcc, s8, v8
	v_addc_co_u32_e32 v9, vcc, v7, v9, vcc
	global_load_dwordx2 v[8:9], v[8:9], off
	v_add_u32_e32 v10, 1, v0
	s_waitcnt vmcnt(0)
	v_cmp_gt_i64_e32 vcc, v[2:3], v[8:9]
	v_cndmask_b32_e64 v11, 0, 1, vcc
	v_cmp_le_i64_e32 vcc, v[8:9], v[2:3]
	v_cndmask_b32_e64 v8, 0, 1, vcc
	v_cndmask_b32_e64 v8, v8, v11, s[0:1]
	v_and_b32_e32 v8, 1, v8
	v_cmp_eq_u32_e32 vcc, 1, v8
	v_cndmask_b32_e32 v6, v0, v6, vcc
	v_cndmask_b32_e32 v5, v5, v10, vcc
	v_cmp_ge_u32_e32 vcc, v5, v6
	s_or_b64 s[2:3], vcc, s[2:3]
	s_andn2_b64 exec, exec, s[2:3]
	s_cbranch_execnz .LBB1453_8
; %bb.9:
	s_or_b64 exec, exec, s[2:3]
.LBB1453_10:
	v_add_u32_e32 v0, v5, v4
	s_or_b64 s[4:5], s[4:5], exec
.LBB1453_11:
	s_or_b64 exec, exec, s[6:7]
	s_branch .LBB1453_18
.LBB1453_12:
                                        ; implicit-def: $vgpr0
	s_cbranch_execz .LBB1453_18
; %bb.13:
	s_cmp_ge_u32 s17, s15
	v_mov_b32_e32 v5, s14
	s_cbranch_scc1 .LBB1453_17
; %bb.14:
	s_mov_b64 s[2:3], 0
	v_mov_b32_e32 v6, s15
	v_mov_b32_e32 v5, s14
	;; [unrolled: 1-line block ×4, first 2 shown]
.LBB1453_15:                            ; =>This Inner Loop Header: Depth=1
	v_add_u32_e32 v0, v5, v6
	v_lshrrev_b32_e32 v0, 1, v0
	v_lshlrev_b64 v[8:9], 3, v[0:1]
	v_add_co_u32_e32 v8, vcc, s8, v8
	v_addc_co_u32_e32 v9, vcc, v7, v9, vcc
	global_load_dwordx2 v[8:9], v[8:9], off
	v_add_u32_e32 v10, 1, v0
	s_waitcnt vmcnt(0)
	v_cmp_gt_i64_e32 vcc, v[2:3], v[8:9]
	v_cndmask_b32_e64 v11, 0, 1, vcc
	v_cmp_le_i64_e32 vcc, v[8:9], v[2:3]
	v_cndmask_b32_e64 v8, 0, 1, vcc
	v_cndmask_b32_e64 v8, v8, v11, s[0:1]
	v_and_b32_e32 v8, 1, v8
	v_cmp_eq_u32_e32 vcc, 1, v8
	v_cndmask_b32_e32 v6, v0, v6, vcc
	v_cndmask_b32_e32 v5, v5, v10, vcc
	v_cmp_ge_u32_e32 vcc, v5, v6
	s_or_b64 s[2:3], vcc, s[2:3]
	s_andn2_b64 exec, exec, s[2:3]
	s_cbranch_execnz .LBB1453_15
; %bb.16:
	s_or_b64 exec, exec, s[2:3]
.LBB1453_17:
	v_add_u32_e32 v0, v5, v4
	s_mov_b64 s[4:5], -1
.LBB1453_18:
	s_and_b64 exec, exec, s[4:5]
	s_cbranch_execz .LBB1453_20
; %bb.19:
	v_mov_b32_e32 v1, 0
	v_lshlrev_b64 v[0:1], 3, v[0:1]
	v_mov_b32_e32 v4, s11
	v_add_co_u32_e32 v0, vcc, s10, v0
	v_addc_co_u32_e32 v1, vcc, v4, v1, vcc
	s_waitcnt vmcnt(0)
	global_store_dwordx2 v[0:1], v[2:3], off
.LBB1453_20:
	s_endpgm
	.section	.rodata,"a",@progbits
	.p2align	6, 0x0
	.amdhsa_kernel _ZN7rocprim17ROCPRIM_400000_NS6detail17trampoline_kernelINS0_14default_configENS1_38merge_sort_block_merge_config_selectorIxNS0_10empty_typeEEEZZNS1_27merge_sort_block_merge_implIS3_N6thrust23THRUST_200600_302600_NS6detail15normal_iteratorINS9_10device_ptrIxEEEEPS5_jNS1_19radix_merge_compareILb0ELb0ExNS0_19identity_decomposerEEEEE10hipError_tT0_T1_T2_jT3_P12ihipStream_tbPNSt15iterator_traitsISK_E10value_typeEPNSQ_ISL_E10value_typeEPSM_NS1_7vsmem_tEENKUlT_SK_SL_SM_E_clISE_PxSF_SF_EESJ_SZ_SK_SL_SM_EUlSZ_E1_NS1_11comp_targetILNS1_3genE4ELNS1_11target_archE910ELNS1_3gpuE8ELNS1_3repE0EEENS1_36merge_oddeven_config_static_selectorELNS0_4arch9wavefront6targetE1EEEvSL_
		.amdhsa_group_segment_fixed_size 0
		.amdhsa_private_segment_fixed_size 0
		.amdhsa_kernarg_size 48
		.amdhsa_user_sgpr_count 6
		.amdhsa_user_sgpr_private_segment_buffer 1
		.amdhsa_user_sgpr_dispatch_ptr 0
		.amdhsa_user_sgpr_queue_ptr 0
		.amdhsa_user_sgpr_kernarg_segment_ptr 1
		.amdhsa_user_sgpr_dispatch_id 0
		.amdhsa_user_sgpr_flat_scratch_init 0
		.amdhsa_user_sgpr_kernarg_preload_length 0
		.amdhsa_user_sgpr_kernarg_preload_offset 0
		.amdhsa_user_sgpr_private_segment_size 0
		.amdhsa_uses_dynamic_stack 0
		.amdhsa_system_sgpr_private_segment_wavefront_offset 0
		.amdhsa_system_sgpr_workgroup_id_x 1
		.amdhsa_system_sgpr_workgroup_id_y 0
		.amdhsa_system_sgpr_workgroup_id_z 0
		.amdhsa_system_sgpr_workgroup_info 0
		.amdhsa_system_vgpr_workitem_id 0
		.amdhsa_next_free_vgpr 12
		.amdhsa_next_free_sgpr 21
		.amdhsa_accum_offset 12
		.amdhsa_reserve_vcc 1
		.amdhsa_reserve_flat_scratch 0
		.amdhsa_float_round_mode_32 0
		.amdhsa_float_round_mode_16_64 0
		.amdhsa_float_denorm_mode_32 3
		.amdhsa_float_denorm_mode_16_64 3
		.amdhsa_dx10_clamp 1
		.amdhsa_ieee_mode 1
		.amdhsa_fp16_overflow 0
		.amdhsa_tg_split 0
		.amdhsa_exception_fp_ieee_invalid_op 0
		.amdhsa_exception_fp_denorm_src 0
		.amdhsa_exception_fp_ieee_div_zero 0
		.amdhsa_exception_fp_ieee_overflow 0
		.amdhsa_exception_fp_ieee_underflow 0
		.amdhsa_exception_fp_ieee_inexact 0
		.amdhsa_exception_int_div_zero 0
	.end_amdhsa_kernel
	.section	.text._ZN7rocprim17ROCPRIM_400000_NS6detail17trampoline_kernelINS0_14default_configENS1_38merge_sort_block_merge_config_selectorIxNS0_10empty_typeEEEZZNS1_27merge_sort_block_merge_implIS3_N6thrust23THRUST_200600_302600_NS6detail15normal_iteratorINS9_10device_ptrIxEEEEPS5_jNS1_19radix_merge_compareILb0ELb0ExNS0_19identity_decomposerEEEEE10hipError_tT0_T1_T2_jT3_P12ihipStream_tbPNSt15iterator_traitsISK_E10value_typeEPNSQ_ISL_E10value_typeEPSM_NS1_7vsmem_tEENKUlT_SK_SL_SM_E_clISE_PxSF_SF_EESJ_SZ_SK_SL_SM_EUlSZ_E1_NS1_11comp_targetILNS1_3genE4ELNS1_11target_archE910ELNS1_3gpuE8ELNS1_3repE0EEENS1_36merge_oddeven_config_static_selectorELNS0_4arch9wavefront6targetE1EEEvSL_,"axG",@progbits,_ZN7rocprim17ROCPRIM_400000_NS6detail17trampoline_kernelINS0_14default_configENS1_38merge_sort_block_merge_config_selectorIxNS0_10empty_typeEEEZZNS1_27merge_sort_block_merge_implIS3_N6thrust23THRUST_200600_302600_NS6detail15normal_iteratorINS9_10device_ptrIxEEEEPS5_jNS1_19radix_merge_compareILb0ELb0ExNS0_19identity_decomposerEEEEE10hipError_tT0_T1_T2_jT3_P12ihipStream_tbPNSt15iterator_traitsISK_E10value_typeEPNSQ_ISL_E10value_typeEPSM_NS1_7vsmem_tEENKUlT_SK_SL_SM_E_clISE_PxSF_SF_EESJ_SZ_SK_SL_SM_EUlSZ_E1_NS1_11comp_targetILNS1_3genE4ELNS1_11target_archE910ELNS1_3gpuE8ELNS1_3repE0EEENS1_36merge_oddeven_config_static_selectorELNS0_4arch9wavefront6targetE1EEEvSL_,comdat
.Lfunc_end1453:
	.size	_ZN7rocprim17ROCPRIM_400000_NS6detail17trampoline_kernelINS0_14default_configENS1_38merge_sort_block_merge_config_selectorIxNS0_10empty_typeEEEZZNS1_27merge_sort_block_merge_implIS3_N6thrust23THRUST_200600_302600_NS6detail15normal_iteratorINS9_10device_ptrIxEEEEPS5_jNS1_19radix_merge_compareILb0ELb0ExNS0_19identity_decomposerEEEEE10hipError_tT0_T1_T2_jT3_P12ihipStream_tbPNSt15iterator_traitsISK_E10value_typeEPNSQ_ISL_E10value_typeEPSM_NS1_7vsmem_tEENKUlT_SK_SL_SM_E_clISE_PxSF_SF_EESJ_SZ_SK_SL_SM_EUlSZ_E1_NS1_11comp_targetILNS1_3genE4ELNS1_11target_archE910ELNS1_3gpuE8ELNS1_3repE0EEENS1_36merge_oddeven_config_static_selectorELNS0_4arch9wavefront6targetE1EEEvSL_, .Lfunc_end1453-_ZN7rocprim17ROCPRIM_400000_NS6detail17trampoline_kernelINS0_14default_configENS1_38merge_sort_block_merge_config_selectorIxNS0_10empty_typeEEEZZNS1_27merge_sort_block_merge_implIS3_N6thrust23THRUST_200600_302600_NS6detail15normal_iteratorINS9_10device_ptrIxEEEEPS5_jNS1_19radix_merge_compareILb0ELb0ExNS0_19identity_decomposerEEEEE10hipError_tT0_T1_T2_jT3_P12ihipStream_tbPNSt15iterator_traitsISK_E10value_typeEPNSQ_ISL_E10value_typeEPSM_NS1_7vsmem_tEENKUlT_SK_SL_SM_E_clISE_PxSF_SF_EESJ_SZ_SK_SL_SM_EUlSZ_E1_NS1_11comp_targetILNS1_3genE4ELNS1_11target_archE910ELNS1_3gpuE8ELNS1_3repE0EEENS1_36merge_oddeven_config_static_selectorELNS0_4arch9wavefront6targetE1EEEvSL_
                                        ; -- End function
	.section	.AMDGPU.csdata,"",@progbits
; Kernel info:
; codeLenInByte = 588
; NumSgprs: 25
; NumVgprs: 12
; NumAgprs: 0
; TotalNumVgprs: 12
; ScratchSize: 0
; MemoryBound: 0
; FloatMode: 240
; IeeeMode: 1
; LDSByteSize: 0 bytes/workgroup (compile time only)
; SGPRBlocks: 3
; VGPRBlocks: 1
; NumSGPRsForWavesPerEU: 25
; NumVGPRsForWavesPerEU: 12
; AccumOffset: 12
; Occupancy: 8
; WaveLimiterHint : 0
; COMPUTE_PGM_RSRC2:SCRATCH_EN: 0
; COMPUTE_PGM_RSRC2:USER_SGPR: 6
; COMPUTE_PGM_RSRC2:TRAP_HANDLER: 0
; COMPUTE_PGM_RSRC2:TGID_X_EN: 1
; COMPUTE_PGM_RSRC2:TGID_Y_EN: 0
; COMPUTE_PGM_RSRC2:TGID_Z_EN: 0
; COMPUTE_PGM_RSRC2:TIDIG_COMP_CNT: 0
; COMPUTE_PGM_RSRC3_GFX90A:ACCUM_OFFSET: 2
; COMPUTE_PGM_RSRC3_GFX90A:TG_SPLIT: 0
	.section	.text._ZN7rocprim17ROCPRIM_400000_NS6detail17trampoline_kernelINS0_14default_configENS1_38merge_sort_block_merge_config_selectorIxNS0_10empty_typeEEEZZNS1_27merge_sort_block_merge_implIS3_N6thrust23THRUST_200600_302600_NS6detail15normal_iteratorINS9_10device_ptrIxEEEEPS5_jNS1_19radix_merge_compareILb0ELb0ExNS0_19identity_decomposerEEEEE10hipError_tT0_T1_T2_jT3_P12ihipStream_tbPNSt15iterator_traitsISK_E10value_typeEPNSQ_ISL_E10value_typeEPSM_NS1_7vsmem_tEENKUlT_SK_SL_SM_E_clISE_PxSF_SF_EESJ_SZ_SK_SL_SM_EUlSZ_E1_NS1_11comp_targetILNS1_3genE3ELNS1_11target_archE908ELNS1_3gpuE7ELNS1_3repE0EEENS1_36merge_oddeven_config_static_selectorELNS0_4arch9wavefront6targetE1EEEvSL_,"axG",@progbits,_ZN7rocprim17ROCPRIM_400000_NS6detail17trampoline_kernelINS0_14default_configENS1_38merge_sort_block_merge_config_selectorIxNS0_10empty_typeEEEZZNS1_27merge_sort_block_merge_implIS3_N6thrust23THRUST_200600_302600_NS6detail15normal_iteratorINS9_10device_ptrIxEEEEPS5_jNS1_19radix_merge_compareILb0ELb0ExNS0_19identity_decomposerEEEEE10hipError_tT0_T1_T2_jT3_P12ihipStream_tbPNSt15iterator_traitsISK_E10value_typeEPNSQ_ISL_E10value_typeEPSM_NS1_7vsmem_tEENKUlT_SK_SL_SM_E_clISE_PxSF_SF_EESJ_SZ_SK_SL_SM_EUlSZ_E1_NS1_11comp_targetILNS1_3genE3ELNS1_11target_archE908ELNS1_3gpuE7ELNS1_3repE0EEENS1_36merge_oddeven_config_static_selectorELNS0_4arch9wavefront6targetE1EEEvSL_,comdat
	.protected	_ZN7rocprim17ROCPRIM_400000_NS6detail17trampoline_kernelINS0_14default_configENS1_38merge_sort_block_merge_config_selectorIxNS0_10empty_typeEEEZZNS1_27merge_sort_block_merge_implIS3_N6thrust23THRUST_200600_302600_NS6detail15normal_iteratorINS9_10device_ptrIxEEEEPS5_jNS1_19radix_merge_compareILb0ELb0ExNS0_19identity_decomposerEEEEE10hipError_tT0_T1_T2_jT3_P12ihipStream_tbPNSt15iterator_traitsISK_E10value_typeEPNSQ_ISL_E10value_typeEPSM_NS1_7vsmem_tEENKUlT_SK_SL_SM_E_clISE_PxSF_SF_EESJ_SZ_SK_SL_SM_EUlSZ_E1_NS1_11comp_targetILNS1_3genE3ELNS1_11target_archE908ELNS1_3gpuE7ELNS1_3repE0EEENS1_36merge_oddeven_config_static_selectorELNS0_4arch9wavefront6targetE1EEEvSL_ ; -- Begin function _ZN7rocprim17ROCPRIM_400000_NS6detail17trampoline_kernelINS0_14default_configENS1_38merge_sort_block_merge_config_selectorIxNS0_10empty_typeEEEZZNS1_27merge_sort_block_merge_implIS3_N6thrust23THRUST_200600_302600_NS6detail15normal_iteratorINS9_10device_ptrIxEEEEPS5_jNS1_19radix_merge_compareILb0ELb0ExNS0_19identity_decomposerEEEEE10hipError_tT0_T1_T2_jT3_P12ihipStream_tbPNSt15iterator_traitsISK_E10value_typeEPNSQ_ISL_E10value_typeEPSM_NS1_7vsmem_tEENKUlT_SK_SL_SM_E_clISE_PxSF_SF_EESJ_SZ_SK_SL_SM_EUlSZ_E1_NS1_11comp_targetILNS1_3genE3ELNS1_11target_archE908ELNS1_3gpuE7ELNS1_3repE0EEENS1_36merge_oddeven_config_static_selectorELNS0_4arch9wavefront6targetE1EEEvSL_
	.globl	_ZN7rocprim17ROCPRIM_400000_NS6detail17trampoline_kernelINS0_14default_configENS1_38merge_sort_block_merge_config_selectorIxNS0_10empty_typeEEEZZNS1_27merge_sort_block_merge_implIS3_N6thrust23THRUST_200600_302600_NS6detail15normal_iteratorINS9_10device_ptrIxEEEEPS5_jNS1_19radix_merge_compareILb0ELb0ExNS0_19identity_decomposerEEEEE10hipError_tT0_T1_T2_jT3_P12ihipStream_tbPNSt15iterator_traitsISK_E10value_typeEPNSQ_ISL_E10value_typeEPSM_NS1_7vsmem_tEENKUlT_SK_SL_SM_E_clISE_PxSF_SF_EESJ_SZ_SK_SL_SM_EUlSZ_E1_NS1_11comp_targetILNS1_3genE3ELNS1_11target_archE908ELNS1_3gpuE7ELNS1_3repE0EEENS1_36merge_oddeven_config_static_selectorELNS0_4arch9wavefront6targetE1EEEvSL_
	.p2align	8
	.type	_ZN7rocprim17ROCPRIM_400000_NS6detail17trampoline_kernelINS0_14default_configENS1_38merge_sort_block_merge_config_selectorIxNS0_10empty_typeEEEZZNS1_27merge_sort_block_merge_implIS3_N6thrust23THRUST_200600_302600_NS6detail15normal_iteratorINS9_10device_ptrIxEEEEPS5_jNS1_19radix_merge_compareILb0ELb0ExNS0_19identity_decomposerEEEEE10hipError_tT0_T1_T2_jT3_P12ihipStream_tbPNSt15iterator_traitsISK_E10value_typeEPNSQ_ISL_E10value_typeEPSM_NS1_7vsmem_tEENKUlT_SK_SL_SM_E_clISE_PxSF_SF_EESJ_SZ_SK_SL_SM_EUlSZ_E1_NS1_11comp_targetILNS1_3genE3ELNS1_11target_archE908ELNS1_3gpuE7ELNS1_3repE0EEENS1_36merge_oddeven_config_static_selectorELNS0_4arch9wavefront6targetE1EEEvSL_,@function
_ZN7rocprim17ROCPRIM_400000_NS6detail17trampoline_kernelINS0_14default_configENS1_38merge_sort_block_merge_config_selectorIxNS0_10empty_typeEEEZZNS1_27merge_sort_block_merge_implIS3_N6thrust23THRUST_200600_302600_NS6detail15normal_iteratorINS9_10device_ptrIxEEEEPS5_jNS1_19radix_merge_compareILb0ELb0ExNS0_19identity_decomposerEEEEE10hipError_tT0_T1_T2_jT3_P12ihipStream_tbPNSt15iterator_traitsISK_E10value_typeEPNSQ_ISL_E10value_typeEPSM_NS1_7vsmem_tEENKUlT_SK_SL_SM_E_clISE_PxSF_SF_EESJ_SZ_SK_SL_SM_EUlSZ_E1_NS1_11comp_targetILNS1_3genE3ELNS1_11target_archE908ELNS1_3gpuE7ELNS1_3repE0EEENS1_36merge_oddeven_config_static_selectorELNS0_4arch9wavefront6targetE1EEEvSL_: ; @_ZN7rocprim17ROCPRIM_400000_NS6detail17trampoline_kernelINS0_14default_configENS1_38merge_sort_block_merge_config_selectorIxNS0_10empty_typeEEEZZNS1_27merge_sort_block_merge_implIS3_N6thrust23THRUST_200600_302600_NS6detail15normal_iteratorINS9_10device_ptrIxEEEEPS5_jNS1_19radix_merge_compareILb0ELb0ExNS0_19identity_decomposerEEEEE10hipError_tT0_T1_T2_jT3_P12ihipStream_tbPNSt15iterator_traitsISK_E10value_typeEPNSQ_ISL_E10value_typeEPSM_NS1_7vsmem_tEENKUlT_SK_SL_SM_E_clISE_PxSF_SF_EESJ_SZ_SK_SL_SM_EUlSZ_E1_NS1_11comp_targetILNS1_3genE3ELNS1_11target_archE908ELNS1_3gpuE7ELNS1_3repE0EEENS1_36merge_oddeven_config_static_selectorELNS0_4arch9wavefront6targetE1EEEvSL_
; %bb.0:
	.section	.rodata,"a",@progbits
	.p2align	6, 0x0
	.amdhsa_kernel _ZN7rocprim17ROCPRIM_400000_NS6detail17trampoline_kernelINS0_14default_configENS1_38merge_sort_block_merge_config_selectorIxNS0_10empty_typeEEEZZNS1_27merge_sort_block_merge_implIS3_N6thrust23THRUST_200600_302600_NS6detail15normal_iteratorINS9_10device_ptrIxEEEEPS5_jNS1_19radix_merge_compareILb0ELb0ExNS0_19identity_decomposerEEEEE10hipError_tT0_T1_T2_jT3_P12ihipStream_tbPNSt15iterator_traitsISK_E10value_typeEPNSQ_ISL_E10value_typeEPSM_NS1_7vsmem_tEENKUlT_SK_SL_SM_E_clISE_PxSF_SF_EESJ_SZ_SK_SL_SM_EUlSZ_E1_NS1_11comp_targetILNS1_3genE3ELNS1_11target_archE908ELNS1_3gpuE7ELNS1_3repE0EEENS1_36merge_oddeven_config_static_selectorELNS0_4arch9wavefront6targetE1EEEvSL_
		.amdhsa_group_segment_fixed_size 0
		.amdhsa_private_segment_fixed_size 0
		.amdhsa_kernarg_size 48
		.amdhsa_user_sgpr_count 6
		.amdhsa_user_sgpr_private_segment_buffer 1
		.amdhsa_user_sgpr_dispatch_ptr 0
		.amdhsa_user_sgpr_queue_ptr 0
		.amdhsa_user_sgpr_kernarg_segment_ptr 1
		.amdhsa_user_sgpr_dispatch_id 0
		.amdhsa_user_sgpr_flat_scratch_init 0
		.amdhsa_user_sgpr_kernarg_preload_length 0
		.amdhsa_user_sgpr_kernarg_preload_offset 0
		.amdhsa_user_sgpr_private_segment_size 0
		.amdhsa_uses_dynamic_stack 0
		.amdhsa_system_sgpr_private_segment_wavefront_offset 0
		.amdhsa_system_sgpr_workgroup_id_x 1
		.amdhsa_system_sgpr_workgroup_id_y 0
		.amdhsa_system_sgpr_workgroup_id_z 0
		.amdhsa_system_sgpr_workgroup_info 0
		.amdhsa_system_vgpr_workitem_id 0
		.amdhsa_next_free_vgpr 1
		.amdhsa_next_free_sgpr 0
		.amdhsa_accum_offset 4
		.amdhsa_reserve_vcc 0
		.amdhsa_reserve_flat_scratch 0
		.amdhsa_float_round_mode_32 0
		.amdhsa_float_round_mode_16_64 0
		.amdhsa_float_denorm_mode_32 3
		.amdhsa_float_denorm_mode_16_64 3
		.amdhsa_dx10_clamp 1
		.amdhsa_ieee_mode 1
		.amdhsa_fp16_overflow 0
		.amdhsa_tg_split 0
		.amdhsa_exception_fp_ieee_invalid_op 0
		.amdhsa_exception_fp_denorm_src 0
		.amdhsa_exception_fp_ieee_div_zero 0
		.amdhsa_exception_fp_ieee_overflow 0
		.amdhsa_exception_fp_ieee_underflow 0
		.amdhsa_exception_fp_ieee_inexact 0
		.amdhsa_exception_int_div_zero 0
	.end_amdhsa_kernel
	.section	.text._ZN7rocprim17ROCPRIM_400000_NS6detail17trampoline_kernelINS0_14default_configENS1_38merge_sort_block_merge_config_selectorIxNS0_10empty_typeEEEZZNS1_27merge_sort_block_merge_implIS3_N6thrust23THRUST_200600_302600_NS6detail15normal_iteratorINS9_10device_ptrIxEEEEPS5_jNS1_19radix_merge_compareILb0ELb0ExNS0_19identity_decomposerEEEEE10hipError_tT0_T1_T2_jT3_P12ihipStream_tbPNSt15iterator_traitsISK_E10value_typeEPNSQ_ISL_E10value_typeEPSM_NS1_7vsmem_tEENKUlT_SK_SL_SM_E_clISE_PxSF_SF_EESJ_SZ_SK_SL_SM_EUlSZ_E1_NS1_11comp_targetILNS1_3genE3ELNS1_11target_archE908ELNS1_3gpuE7ELNS1_3repE0EEENS1_36merge_oddeven_config_static_selectorELNS0_4arch9wavefront6targetE1EEEvSL_,"axG",@progbits,_ZN7rocprim17ROCPRIM_400000_NS6detail17trampoline_kernelINS0_14default_configENS1_38merge_sort_block_merge_config_selectorIxNS0_10empty_typeEEEZZNS1_27merge_sort_block_merge_implIS3_N6thrust23THRUST_200600_302600_NS6detail15normal_iteratorINS9_10device_ptrIxEEEEPS5_jNS1_19radix_merge_compareILb0ELb0ExNS0_19identity_decomposerEEEEE10hipError_tT0_T1_T2_jT3_P12ihipStream_tbPNSt15iterator_traitsISK_E10value_typeEPNSQ_ISL_E10value_typeEPSM_NS1_7vsmem_tEENKUlT_SK_SL_SM_E_clISE_PxSF_SF_EESJ_SZ_SK_SL_SM_EUlSZ_E1_NS1_11comp_targetILNS1_3genE3ELNS1_11target_archE908ELNS1_3gpuE7ELNS1_3repE0EEENS1_36merge_oddeven_config_static_selectorELNS0_4arch9wavefront6targetE1EEEvSL_,comdat
.Lfunc_end1454:
	.size	_ZN7rocprim17ROCPRIM_400000_NS6detail17trampoline_kernelINS0_14default_configENS1_38merge_sort_block_merge_config_selectorIxNS0_10empty_typeEEEZZNS1_27merge_sort_block_merge_implIS3_N6thrust23THRUST_200600_302600_NS6detail15normal_iteratorINS9_10device_ptrIxEEEEPS5_jNS1_19radix_merge_compareILb0ELb0ExNS0_19identity_decomposerEEEEE10hipError_tT0_T1_T2_jT3_P12ihipStream_tbPNSt15iterator_traitsISK_E10value_typeEPNSQ_ISL_E10value_typeEPSM_NS1_7vsmem_tEENKUlT_SK_SL_SM_E_clISE_PxSF_SF_EESJ_SZ_SK_SL_SM_EUlSZ_E1_NS1_11comp_targetILNS1_3genE3ELNS1_11target_archE908ELNS1_3gpuE7ELNS1_3repE0EEENS1_36merge_oddeven_config_static_selectorELNS0_4arch9wavefront6targetE1EEEvSL_, .Lfunc_end1454-_ZN7rocprim17ROCPRIM_400000_NS6detail17trampoline_kernelINS0_14default_configENS1_38merge_sort_block_merge_config_selectorIxNS0_10empty_typeEEEZZNS1_27merge_sort_block_merge_implIS3_N6thrust23THRUST_200600_302600_NS6detail15normal_iteratorINS9_10device_ptrIxEEEEPS5_jNS1_19radix_merge_compareILb0ELb0ExNS0_19identity_decomposerEEEEE10hipError_tT0_T1_T2_jT3_P12ihipStream_tbPNSt15iterator_traitsISK_E10value_typeEPNSQ_ISL_E10value_typeEPSM_NS1_7vsmem_tEENKUlT_SK_SL_SM_E_clISE_PxSF_SF_EESJ_SZ_SK_SL_SM_EUlSZ_E1_NS1_11comp_targetILNS1_3genE3ELNS1_11target_archE908ELNS1_3gpuE7ELNS1_3repE0EEENS1_36merge_oddeven_config_static_selectorELNS0_4arch9wavefront6targetE1EEEvSL_
                                        ; -- End function
	.section	.AMDGPU.csdata,"",@progbits
; Kernel info:
; codeLenInByte = 0
; NumSgprs: 4
; NumVgprs: 0
; NumAgprs: 0
; TotalNumVgprs: 0
; ScratchSize: 0
; MemoryBound: 0
; FloatMode: 240
; IeeeMode: 1
; LDSByteSize: 0 bytes/workgroup (compile time only)
; SGPRBlocks: 0
; VGPRBlocks: 0
; NumSGPRsForWavesPerEU: 4
; NumVGPRsForWavesPerEU: 1
; AccumOffset: 4
; Occupancy: 8
; WaveLimiterHint : 0
; COMPUTE_PGM_RSRC2:SCRATCH_EN: 0
; COMPUTE_PGM_RSRC2:USER_SGPR: 6
; COMPUTE_PGM_RSRC2:TRAP_HANDLER: 0
; COMPUTE_PGM_RSRC2:TGID_X_EN: 1
; COMPUTE_PGM_RSRC2:TGID_Y_EN: 0
; COMPUTE_PGM_RSRC2:TGID_Z_EN: 0
; COMPUTE_PGM_RSRC2:TIDIG_COMP_CNT: 0
; COMPUTE_PGM_RSRC3_GFX90A:ACCUM_OFFSET: 0
; COMPUTE_PGM_RSRC3_GFX90A:TG_SPLIT: 0
	.section	.text._ZN7rocprim17ROCPRIM_400000_NS6detail17trampoline_kernelINS0_14default_configENS1_38merge_sort_block_merge_config_selectorIxNS0_10empty_typeEEEZZNS1_27merge_sort_block_merge_implIS3_N6thrust23THRUST_200600_302600_NS6detail15normal_iteratorINS9_10device_ptrIxEEEEPS5_jNS1_19radix_merge_compareILb0ELb0ExNS0_19identity_decomposerEEEEE10hipError_tT0_T1_T2_jT3_P12ihipStream_tbPNSt15iterator_traitsISK_E10value_typeEPNSQ_ISL_E10value_typeEPSM_NS1_7vsmem_tEENKUlT_SK_SL_SM_E_clISE_PxSF_SF_EESJ_SZ_SK_SL_SM_EUlSZ_E1_NS1_11comp_targetILNS1_3genE2ELNS1_11target_archE906ELNS1_3gpuE6ELNS1_3repE0EEENS1_36merge_oddeven_config_static_selectorELNS0_4arch9wavefront6targetE1EEEvSL_,"axG",@progbits,_ZN7rocprim17ROCPRIM_400000_NS6detail17trampoline_kernelINS0_14default_configENS1_38merge_sort_block_merge_config_selectorIxNS0_10empty_typeEEEZZNS1_27merge_sort_block_merge_implIS3_N6thrust23THRUST_200600_302600_NS6detail15normal_iteratorINS9_10device_ptrIxEEEEPS5_jNS1_19radix_merge_compareILb0ELb0ExNS0_19identity_decomposerEEEEE10hipError_tT0_T1_T2_jT3_P12ihipStream_tbPNSt15iterator_traitsISK_E10value_typeEPNSQ_ISL_E10value_typeEPSM_NS1_7vsmem_tEENKUlT_SK_SL_SM_E_clISE_PxSF_SF_EESJ_SZ_SK_SL_SM_EUlSZ_E1_NS1_11comp_targetILNS1_3genE2ELNS1_11target_archE906ELNS1_3gpuE6ELNS1_3repE0EEENS1_36merge_oddeven_config_static_selectorELNS0_4arch9wavefront6targetE1EEEvSL_,comdat
	.protected	_ZN7rocprim17ROCPRIM_400000_NS6detail17trampoline_kernelINS0_14default_configENS1_38merge_sort_block_merge_config_selectorIxNS0_10empty_typeEEEZZNS1_27merge_sort_block_merge_implIS3_N6thrust23THRUST_200600_302600_NS6detail15normal_iteratorINS9_10device_ptrIxEEEEPS5_jNS1_19radix_merge_compareILb0ELb0ExNS0_19identity_decomposerEEEEE10hipError_tT0_T1_T2_jT3_P12ihipStream_tbPNSt15iterator_traitsISK_E10value_typeEPNSQ_ISL_E10value_typeEPSM_NS1_7vsmem_tEENKUlT_SK_SL_SM_E_clISE_PxSF_SF_EESJ_SZ_SK_SL_SM_EUlSZ_E1_NS1_11comp_targetILNS1_3genE2ELNS1_11target_archE906ELNS1_3gpuE6ELNS1_3repE0EEENS1_36merge_oddeven_config_static_selectorELNS0_4arch9wavefront6targetE1EEEvSL_ ; -- Begin function _ZN7rocprim17ROCPRIM_400000_NS6detail17trampoline_kernelINS0_14default_configENS1_38merge_sort_block_merge_config_selectorIxNS0_10empty_typeEEEZZNS1_27merge_sort_block_merge_implIS3_N6thrust23THRUST_200600_302600_NS6detail15normal_iteratorINS9_10device_ptrIxEEEEPS5_jNS1_19radix_merge_compareILb0ELb0ExNS0_19identity_decomposerEEEEE10hipError_tT0_T1_T2_jT3_P12ihipStream_tbPNSt15iterator_traitsISK_E10value_typeEPNSQ_ISL_E10value_typeEPSM_NS1_7vsmem_tEENKUlT_SK_SL_SM_E_clISE_PxSF_SF_EESJ_SZ_SK_SL_SM_EUlSZ_E1_NS1_11comp_targetILNS1_3genE2ELNS1_11target_archE906ELNS1_3gpuE6ELNS1_3repE0EEENS1_36merge_oddeven_config_static_selectorELNS0_4arch9wavefront6targetE1EEEvSL_
	.globl	_ZN7rocprim17ROCPRIM_400000_NS6detail17trampoline_kernelINS0_14default_configENS1_38merge_sort_block_merge_config_selectorIxNS0_10empty_typeEEEZZNS1_27merge_sort_block_merge_implIS3_N6thrust23THRUST_200600_302600_NS6detail15normal_iteratorINS9_10device_ptrIxEEEEPS5_jNS1_19radix_merge_compareILb0ELb0ExNS0_19identity_decomposerEEEEE10hipError_tT0_T1_T2_jT3_P12ihipStream_tbPNSt15iterator_traitsISK_E10value_typeEPNSQ_ISL_E10value_typeEPSM_NS1_7vsmem_tEENKUlT_SK_SL_SM_E_clISE_PxSF_SF_EESJ_SZ_SK_SL_SM_EUlSZ_E1_NS1_11comp_targetILNS1_3genE2ELNS1_11target_archE906ELNS1_3gpuE6ELNS1_3repE0EEENS1_36merge_oddeven_config_static_selectorELNS0_4arch9wavefront6targetE1EEEvSL_
	.p2align	8
	.type	_ZN7rocprim17ROCPRIM_400000_NS6detail17trampoline_kernelINS0_14default_configENS1_38merge_sort_block_merge_config_selectorIxNS0_10empty_typeEEEZZNS1_27merge_sort_block_merge_implIS3_N6thrust23THRUST_200600_302600_NS6detail15normal_iteratorINS9_10device_ptrIxEEEEPS5_jNS1_19radix_merge_compareILb0ELb0ExNS0_19identity_decomposerEEEEE10hipError_tT0_T1_T2_jT3_P12ihipStream_tbPNSt15iterator_traitsISK_E10value_typeEPNSQ_ISL_E10value_typeEPSM_NS1_7vsmem_tEENKUlT_SK_SL_SM_E_clISE_PxSF_SF_EESJ_SZ_SK_SL_SM_EUlSZ_E1_NS1_11comp_targetILNS1_3genE2ELNS1_11target_archE906ELNS1_3gpuE6ELNS1_3repE0EEENS1_36merge_oddeven_config_static_selectorELNS0_4arch9wavefront6targetE1EEEvSL_,@function
_ZN7rocprim17ROCPRIM_400000_NS6detail17trampoline_kernelINS0_14default_configENS1_38merge_sort_block_merge_config_selectorIxNS0_10empty_typeEEEZZNS1_27merge_sort_block_merge_implIS3_N6thrust23THRUST_200600_302600_NS6detail15normal_iteratorINS9_10device_ptrIxEEEEPS5_jNS1_19radix_merge_compareILb0ELb0ExNS0_19identity_decomposerEEEEE10hipError_tT0_T1_T2_jT3_P12ihipStream_tbPNSt15iterator_traitsISK_E10value_typeEPNSQ_ISL_E10value_typeEPSM_NS1_7vsmem_tEENKUlT_SK_SL_SM_E_clISE_PxSF_SF_EESJ_SZ_SK_SL_SM_EUlSZ_E1_NS1_11comp_targetILNS1_3genE2ELNS1_11target_archE906ELNS1_3gpuE6ELNS1_3repE0EEENS1_36merge_oddeven_config_static_selectorELNS0_4arch9wavefront6targetE1EEEvSL_: ; @_ZN7rocprim17ROCPRIM_400000_NS6detail17trampoline_kernelINS0_14default_configENS1_38merge_sort_block_merge_config_selectorIxNS0_10empty_typeEEEZZNS1_27merge_sort_block_merge_implIS3_N6thrust23THRUST_200600_302600_NS6detail15normal_iteratorINS9_10device_ptrIxEEEEPS5_jNS1_19radix_merge_compareILb0ELb0ExNS0_19identity_decomposerEEEEE10hipError_tT0_T1_T2_jT3_P12ihipStream_tbPNSt15iterator_traitsISK_E10value_typeEPNSQ_ISL_E10value_typeEPSM_NS1_7vsmem_tEENKUlT_SK_SL_SM_E_clISE_PxSF_SF_EESJ_SZ_SK_SL_SM_EUlSZ_E1_NS1_11comp_targetILNS1_3genE2ELNS1_11target_archE906ELNS1_3gpuE6ELNS1_3repE0EEENS1_36merge_oddeven_config_static_selectorELNS0_4arch9wavefront6targetE1EEEvSL_
; %bb.0:
	.section	.rodata,"a",@progbits
	.p2align	6, 0x0
	.amdhsa_kernel _ZN7rocprim17ROCPRIM_400000_NS6detail17trampoline_kernelINS0_14default_configENS1_38merge_sort_block_merge_config_selectorIxNS0_10empty_typeEEEZZNS1_27merge_sort_block_merge_implIS3_N6thrust23THRUST_200600_302600_NS6detail15normal_iteratorINS9_10device_ptrIxEEEEPS5_jNS1_19radix_merge_compareILb0ELb0ExNS0_19identity_decomposerEEEEE10hipError_tT0_T1_T2_jT3_P12ihipStream_tbPNSt15iterator_traitsISK_E10value_typeEPNSQ_ISL_E10value_typeEPSM_NS1_7vsmem_tEENKUlT_SK_SL_SM_E_clISE_PxSF_SF_EESJ_SZ_SK_SL_SM_EUlSZ_E1_NS1_11comp_targetILNS1_3genE2ELNS1_11target_archE906ELNS1_3gpuE6ELNS1_3repE0EEENS1_36merge_oddeven_config_static_selectorELNS0_4arch9wavefront6targetE1EEEvSL_
		.amdhsa_group_segment_fixed_size 0
		.amdhsa_private_segment_fixed_size 0
		.amdhsa_kernarg_size 48
		.amdhsa_user_sgpr_count 6
		.amdhsa_user_sgpr_private_segment_buffer 1
		.amdhsa_user_sgpr_dispatch_ptr 0
		.amdhsa_user_sgpr_queue_ptr 0
		.amdhsa_user_sgpr_kernarg_segment_ptr 1
		.amdhsa_user_sgpr_dispatch_id 0
		.amdhsa_user_sgpr_flat_scratch_init 0
		.amdhsa_user_sgpr_kernarg_preload_length 0
		.amdhsa_user_sgpr_kernarg_preload_offset 0
		.amdhsa_user_sgpr_private_segment_size 0
		.amdhsa_uses_dynamic_stack 0
		.amdhsa_system_sgpr_private_segment_wavefront_offset 0
		.amdhsa_system_sgpr_workgroup_id_x 1
		.amdhsa_system_sgpr_workgroup_id_y 0
		.amdhsa_system_sgpr_workgroup_id_z 0
		.amdhsa_system_sgpr_workgroup_info 0
		.amdhsa_system_vgpr_workitem_id 0
		.amdhsa_next_free_vgpr 1
		.amdhsa_next_free_sgpr 0
		.amdhsa_accum_offset 4
		.amdhsa_reserve_vcc 0
		.amdhsa_reserve_flat_scratch 0
		.amdhsa_float_round_mode_32 0
		.amdhsa_float_round_mode_16_64 0
		.amdhsa_float_denorm_mode_32 3
		.amdhsa_float_denorm_mode_16_64 3
		.amdhsa_dx10_clamp 1
		.amdhsa_ieee_mode 1
		.amdhsa_fp16_overflow 0
		.amdhsa_tg_split 0
		.amdhsa_exception_fp_ieee_invalid_op 0
		.amdhsa_exception_fp_denorm_src 0
		.amdhsa_exception_fp_ieee_div_zero 0
		.amdhsa_exception_fp_ieee_overflow 0
		.amdhsa_exception_fp_ieee_underflow 0
		.amdhsa_exception_fp_ieee_inexact 0
		.amdhsa_exception_int_div_zero 0
	.end_amdhsa_kernel
	.section	.text._ZN7rocprim17ROCPRIM_400000_NS6detail17trampoline_kernelINS0_14default_configENS1_38merge_sort_block_merge_config_selectorIxNS0_10empty_typeEEEZZNS1_27merge_sort_block_merge_implIS3_N6thrust23THRUST_200600_302600_NS6detail15normal_iteratorINS9_10device_ptrIxEEEEPS5_jNS1_19radix_merge_compareILb0ELb0ExNS0_19identity_decomposerEEEEE10hipError_tT0_T1_T2_jT3_P12ihipStream_tbPNSt15iterator_traitsISK_E10value_typeEPNSQ_ISL_E10value_typeEPSM_NS1_7vsmem_tEENKUlT_SK_SL_SM_E_clISE_PxSF_SF_EESJ_SZ_SK_SL_SM_EUlSZ_E1_NS1_11comp_targetILNS1_3genE2ELNS1_11target_archE906ELNS1_3gpuE6ELNS1_3repE0EEENS1_36merge_oddeven_config_static_selectorELNS0_4arch9wavefront6targetE1EEEvSL_,"axG",@progbits,_ZN7rocprim17ROCPRIM_400000_NS6detail17trampoline_kernelINS0_14default_configENS1_38merge_sort_block_merge_config_selectorIxNS0_10empty_typeEEEZZNS1_27merge_sort_block_merge_implIS3_N6thrust23THRUST_200600_302600_NS6detail15normal_iteratorINS9_10device_ptrIxEEEEPS5_jNS1_19radix_merge_compareILb0ELb0ExNS0_19identity_decomposerEEEEE10hipError_tT0_T1_T2_jT3_P12ihipStream_tbPNSt15iterator_traitsISK_E10value_typeEPNSQ_ISL_E10value_typeEPSM_NS1_7vsmem_tEENKUlT_SK_SL_SM_E_clISE_PxSF_SF_EESJ_SZ_SK_SL_SM_EUlSZ_E1_NS1_11comp_targetILNS1_3genE2ELNS1_11target_archE906ELNS1_3gpuE6ELNS1_3repE0EEENS1_36merge_oddeven_config_static_selectorELNS0_4arch9wavefront6targetE1EEEvSL_,comdat
.Lfunc_end1455:
	.size	_ZN7rocprim17ROCPRIM_400000_NS6detail17trampoline_kernelINS0_14default_configENS1_38merge_sort_block_merge_config_selectorIxNS0_10empty_typeEEEZZNS1_27merge_sort_block_merge_implIS3_N6thrust23THRUST_200600_302600_NS6detail15normal_iteratorINS9_10device_ptrIxEEEEPS5_jNS1_19radix_merge_compareILb0ELb0ExNS0_19identity_decomposerEEEEE10hipError_tT0_T1_T2_jT3_P12ihipStream_tbPNSt15iterator_traitsISK_E10value_typeEPNSQ_ISL_E10value_typeEPSM_NS1_7vsmem_tEENKUlT_SK_SL_SM_E_clISE_PxSF_SF_EESJ_SZ_SK_SL_SM_EUlSZ_E1_NS1_11comp_targetILNS1_3genE2ELNS1_11target_archE906ELNS1_3gpuE6ELNS1_3repE0EEENS1_36merge_oddeven_config_static_selectorELNS0_4arch9wavefront6targetE1EEEvSL_, .Lfunc_end1455-_ZN7rocprim17ROCPRIM_400000_NS6detail17trampoline_kernelINS0_14default_configENS1_38merge_sort_block_merge_config_selectorIxNS0_10empty_typeEEEZZNS1_27merge_sort_block_merge_implIS3_N6thrust23THRUST_200600_302600_NS6detail15normal_iteratorINS9_10device_ptrIxEEEEPS5_jNS1_19radix_merge_compareILb0ELb0ExNS0_19identity_decomposerEEEEE10hipError_tT0_T1_T2_jT3_P12ihipStream_tbPNSt15iterator_traitsISK_E10value_typeEPNSQ_ISL_E10value_typeEPSM_NS1_7vsmem_tEENKUlT_SK_SL_SM_E_clISE_PxSF_SF_EESJ_SZ_SK_SL_SM_EUlSZ_E1_NS1_11comp_targetILNS1_3genE2ELNS1_11target_archE906ELNS1_3gpuE6ELNS1_3repE0EEENS1_36merge_oddeven_config_static_selectorELNS0_4arch9wavefront6targetE1EEEvSL_
                                        ; -- End function
	.section	.AMDGPU.csdata,"",@progbits
; Kernel info:
; codeLenInByte = 0
; NumSgprs: 4
; NumVgprs: 0
; NumAgprs: 0
; TotalNumVgprs: 0
; ScratchSize: 0
; MemoryBound: 0
; FloatMode: 240
; IeeeMode: 1
; LDSByteSize: 0 bytes/workgroup (compile time only)
; SGPRBlocks: 0
; VGPRBlocks: 0
; NumSGPRsForWavesPerEU: 4
; NumVGPRsForWavesPerEU: 1
; AccumOffset: 4
; Occupancy: 8
; WaveLimiterHint : 0
; COMPUTE_PGM_RSRC2:SCRATCH_EN: 0
; COMPUTE_PGM_RSRC2:USER_SGPR: 6
; COMPUTE_PGM_RSRC2:TRAP_HANDLER: 0
; COMPUTE_PGM_RSRC2:TGID_X_EN: 1
; COMPUTE_PGM_RSRC2:TGID_Y_EN: 0
; COMPUTE_PGM_RSRC2:TGID_Z_EN: 0
; COMPUTE_PGM_RSRC2:TIDIG_COMP_CNT: 0
; COMPUTE_PGM_RSRC3_GFX90A:ACCUM_OFFSET: 0
; COMPUTE_PGM_RSRC3_GFX90A:TG_SPLIT: 0
	.section	.text._ZN7rocprim17ROCPRIM_400000_NS6detail17trampoline_kernelINS0_14default_configENS1_38merge_sort_block_merge_config_selectorIxNS0_10empty_typeEEEZZNS1_27merge_sort_block_merge_implIS3_N6thrust23THRUST_200600_302600_NS6detail15normal_iteratorINS9_10device_ptrIxEEEEPS5_jNS1_19radix_merge_compareILb0ELb0ExNS0_19identity_decomposerEEEEE10hipError_tT0_T1_T2_jT3_P12ihipStream_tbPNSt15iterator_traitsISK_E10value_typeEPNSQ_ISL_E10value_typeEPSM_NS1_7vsmem_tEENKUlT_SK_SL_SM_E_clISE_PxSF_SF_EESJ_SZ_SK_SL_SM_EUlSZ_E1_NS1_11comp_targetILNS1_3genE9ELNS1_11target_archE1100ELNS1_3gpuE3ELNS1_3repE0EEENS1_36merge_oddeven_config_static_selectorELNS0_4arch9wavefront6targetE1EEEvSL_,"axG",@progbits,_ZN7rocprim17ROCPRIM_400000_NS6detail17trampoline_kernelINS0_14default_configENS1_38merge_sort_block_merge_config_selectorIxNS0_10empty_typeEEEZZNS1_27merge_sort_block_merge_implIS3_N6thrust23THRUST_200600_302600_NS6detail15normal_iteratorINS9_10device_ptrIxEEEEPS5_jNS1_19radix_merge_compareILb0ELb0ExNS0_19identity_decomposerEEEEE10hipError_tT0_T1_T2_jT3_P12ihipStream_tbPNSt15iterator_traitsISK_E10value_typeEPNSQ_ISL_E10value_typeEPSM_NS1_7vsmem_tEENKUlT_SK_SL_SM_E_clISE_PxSF_SF_EESJ_SZ_SK_SL_SM_EUlSZ_E1_NS1_11comp_targetILNS1_3genE9ELNS1_11target_archE1100ELNS1_3gpuE3ELNS1_3repE0EEENS1_36merge_oddeven_config_static_selectorELNS0_4arch9wavefront6targetE1EEEvSL_,comdat
	.protected	_ZN7rocprim17ROCPRIM_400000_NS6detail17trampoline_kernelINS0_14default_configENS1_38merge_sort_block_merge_config_selectorIxNS0_10empty_typeEEEZZNS1_27merge_sort_block_merge_implIS3_N6thrust23THRUST_200600_302600_NS6detail15normal_iteratorINS9_10device_ptrIxEEEEPS5_jNS1_19radix_merge_compareILb0ELb0ExNS0_19identity_decomposerEEEEE10hipError_tT0_T1_T2_jT3_P12ihipStream_tbPNSt15iterator_traitsISK_E10value_typeEPNSQ_ISL_E10value_typeEPSM_NS1_7vsmem_tEENKUlT_SK_SL_SM_E_clISE_PxSF_SF_EESJ_SZ_SK_SL_SM_EUlSZ_E1_NS1_11comp_targetILNS1_3genE9ELNS1_11target_archE1100ELNS1_3gpuE3ELNS1_3repE0EEENS1_36merge_oddeven_config_static_selectorELNS0_4arch9wavefront6targetE1EEEvSL_ ; -- Begin function _ZN7rocprim17ROCPRIM_400000_NS6detail17trampoline_kernelINS0_14default_configENS1_38merge_sort_block_merge_config_selectorIxNS0_10empty_typeEEEZZNS1_27merge_sort_block_merge_implIS3_N6thrust23THRUST_200600_302600_NS6detail15normal_iteratorINS9_10device_ptrIxEEEEPS5_jNS1_19radix_merge_compareILb0ELb0ExNS0_19identity_decomposerEEEEE10hipError_tT0_T1_T2_jT3_P12ihipStream_tbPNSt15iterator_traitsISK_E10value_typeEPNSQ_ISL_E10value_typeEPSM_NS1_7vsmem_tEENKUlT_SK_SL_SM_E_clISE_PxSF_SF_EESJ_SZ_SK_SL_SM_EUlSZ_E1_NS1_11comp_targetILNS1_3genE9ELNS1_11target_archE1100ELNS1_3gpuE3ELNS1_3repE0EEENS1_36merge_oddeven_config_static_selectorELNS0_4arch9wavefront6targetE1EEEvSL_
	.globl	_ZN7rocprim17ROCPRIM_400000_NS6detail17trampoline_kernelINS0_14default_configENS1_38merge_sort_block_merge_config_selectorIxNS0_10empty_typeEEEZZNS1_27merge_sort_block_merge_implIS3_N6thrust23THRUST_200600_302600_NS6detail15normal_iteratorINS9_10device_ptrIxEEEEPS5_jNS1_19radix_merge_compareILb0ELb0ExNS0_19identity_decomposerEEEEE10hipError_tT0_T1_T2_jT3_P12ihipStream_tbPNSt15iterator_traitsISK_E10value_typeEPNSQ_ISL_E10value_typeEPSM_NS1_7vsmem_tEENKUlT_SK_SL_SM_E_clISE_PxSF_SF_EESJ_SZ_SK_SL_SM_EUlSZ_E1_NS1_11comp_targetILNS1_3genE9ELNS1_11target_archE1100ELNS1_3gpuE3ELNS1_3repE0EEENS1_36merge_oddeven_config_static_selectorELNS0_4arch9wavefront6targetE1EEEvSL_
	.p2align	8
	.type	_ZN7rocprim17ROCPRIM_400000_NS6detail17trampoline_kernelINS0_14default_configENS1_38merge_sort_block_merge_config_selectorIxNS0_10empty_typeEEEZZNS1_27merge_sort_block_merge_implIS3_N6thrust23THRUST_200600_302600_NS6detail15normal_iteratorINS9_10device_ptrIxEEEEPS5_jNS1_19radix_merge_compareILb0ELb0ExNS0_19identity_decomposerEEEEE10hipError_tT0_T1_T2_jT3_P12ihipStream_tbPNSt15iterator_traitsISK_E10value_typeEPNSQ_ISL_E10value_typeEPSM_NS1_7vsmem_tEENKUlT_SK_SL_SM_E_clISE_PxSF_SF_EESJ_SZ_SK_SL_SM_EUlSZ_E1_NS1_11comp_targetILNS1_3genE9ELNS1_11target_archE1100ELNS1_3gpuE3ELNS1_3repE0EEENS1_36merge_oddeven_config_static_selectorELNS0_4arch9wavefront6targetE1EEEvSL_,@function
_ZN7rocprim17ROCPRIM_400000_NS6detail17trampoline_kernelINS0_14default_configENS1_38merge_sort_block_merge_config_selectorIxNS0_10empty_typeEEEZZNS1_27merge_sort_block_merge_implIS3_N6thrust23THRUST_200600_302600_NS6detail15normal_iteratorINS9_10device_ptrIxEEEEPS5_jNS1_19radix_merge_compareILb0ELb0ExNS0_19identity_decomposerEEEEE10hipError_tT0_T1_T2_jT3_P12ihipStream_tbPNSt15iterator_traitsISK_E10value_typeEPNSQ_ISL_E10value_typeEPSM_NS1_7vsmem_tEENKUlT_SK_SL_SM_E_clISE_PxSF_SF_EESJ_SZ_SK_SL_SM_EUlSZ_E1_NS1_11comp_targetILNS1_3genE9ELNS1_11target_archE1100ELNS1_3gpuE3ELNS1_3repE0EEENS1_36merge_oddeven_config_static_selectorELNS0_4arch9wavefront6targetE1EEEvSL_: ; @_ZN7rocprim17ROCPRIM_400000_NS6detail17trampoline_kernelINS0_14default_configENS1_38merge_sort_block_merge_config_selectorIxNS0_10empty_typeEEEZZNS1_27merge_sort_block_merge_implIS3_N6thrust23THRUST_200600_302600_NS6detail15normal_iteratorINS9_10device_ptrIxEEEEPS5_jNS1_19radix_merge_compareILb0ELb0ExNS0_19identity_decomposerEEEEE10hipError_tT0_T1_T2_jT3_P12ihipStream_tbPNSt15iterator_traitsISK_E10value_typeEPNSQ_ISL_E10value_typeEPSM_NS1_7vsmem_tEENKUlT_SK_SL_SM_E_clISE_PxSF_SF_EESJ_SZ_SK_SL_SM_EUlSZ_E1_NS1_11comp_targetILNS1_3genE9ELNS1_11target_archE1100ELNS1_3gpuE3ELNS1_3repE0EEENS1_36merge_oddeven_config_static_selectorELNS0_4arch9wavefront6targetE1EEEvSL_
; %bb.0:
	.section	.rodata,"a",@progbits
	.p2align	6, 0x0
	.amdhsa_kernel _ZN7rocprim17ROCPRIM_400000_NS6detail17trampoline_kernelINS0_14default_configENS1_38merge_sort_block_merge_config_selectorIxNS0_10empty_typeEEEZZNS1_27merge_sort_block_merge_implIS3_N6thrust23THRUST_200600_302600_NS6detail15normal_iteratorINS9_10device_ptrIxEEEEPS5_jNS1_19radix_merge_compareILb0ELb0ExNS0_19identity_decomposerEEEEE10hipError_tT0_T1_T2_jT3_P12ihipStream_tbPNSt15iterator_traitsISK_E10value_typeEPNSQ_ISL_E10value_typeEPSM_NS1_7vsmem_tEENKUlT_SK_SL_SM_E_clISE_PxSF_SF_EESJ_SZ_SK_SL_SM_EUlSZ_E1_NS1_11comp_targetILNS1_3genE9ELNS1_11target_archE1100ELNS1_3gpuE3ELNS1_3repE0EEENS1_36merge_oddeven_config_static_selectorELNS0_4arch9wavefront6targetE1EEEvSL_
		.amdhsa_group_segment_fixed_size 0
		.amdhsa_private_segment_fixed_size 0
		.amdhsa_kernarg_size 48
		.amdhsa_user_sgpr_count 6
		.amdhsa_user_sgpr_private_segment_buffer 1
		.amdhsa_user_sgpr_dispatch_ptr 0
		.amdhsa_user_sgpr_queue_ptr 0
		.amdhsa_user_sgpr_kernarg_segment_ptr 1
		.amdhsa_user_sgpr_dispatch_id 0
		.amdhsa_user_sgpr_flat_scratch_init 0
		.amdhsa_user_sgpr_kernarg_preload_length 0
		.amdhsa_user_sgpr_kernarg_preload_offset 0
		.amdhsa_user_sgpr_private_segment_size 0
		.amdhsa_uses_dynamic_stack 0
		.amdhsa_system_sgpr_private_segment_wavefront_offset 0
		.amdhsa_system_sgpr_workgroup_id_x 1
		.amdhsa_system_sgpr_workgroup_id_y 0
		.amdhsa_system_sgpr_workgroup_id_z 0
		.amdhsa_system_sgpr_workgroup_info 0
		.amdhsa_system_vgpr_workitem_id 0
		.amdhsa_next_free_vgpr 1
		.amdhsa_next_free_sgpr 0
		.amdhsa_accum_offset 4
		.amdhsa_reserve_vcc 0
		.amdhsa_reserve_flat_scratch 0
		.amdhsa_float_round_mode_32 0
		.amdhsa_float_round_mode_16_64 0
		.amdhsa_float_denorm_mode_32 3
		.amdhsa_float_denorm_mode_16_64 3
		.amdhsa_dx10_clamp 1
		.amdhsa_ieee_mode 1
		.amdhsa_fp16_overflow 0
		.amdhsa_tg_split 0
		.amdhsa_exception_fp_ieee_invalid_op 0
		.amdhsa_exception_fp_denorm_src 0
		.amdhsa_exception_fp_ieee_div_zero 0
		.amdhsa_exception_fp_ieee_overflow 0
		.amdhsa_exception_fp_ieee_underflow 0
		.amdhsa_exception_fp_ieee_inexact 0
		.amdhsa_exception_int_div_zero 0
	.end_amdhsa_kernel
	.section	.text._ZN7rocprim17ROCPRIM_400000_NS6detail17trampoline_kernelINS0_14default_configENS1_38merge_sort_block_merge_config_selectorIxNS0_10empty_typeEEEZZNS1_27merge_sort_block_merge_implIS3_N6thrust23THRUST_200600_302600_NS6detail15normal_iteratorINS9_10device_ptrIxEEEEPS5_jNS1_19radix_merge_compareILb0ELb0ExNS0_19identity_decomposerEEEEE10hipError_tT0_T1_T2_jT3_P12ihipStream_tbPNSt15iterator_traitsISK_E10value_typeEPNSQ_ISL_E10value_typeEPSM_NS1_7vsmem_tEENKUlT_SK_SL_SM_E_clISE_PxSF_SF_EESJ_SZ_SK_SL_SM_EUlSZ_E1_NS1_11comp_targetILNS1_3genE9ELNS1_11target_archE1100ELNS1_3gpuE3ELNS1_3repE0EEENS1_36merge_oddeven_config_static_selectorELNS0_4arch9wavefront6targetE1EEEvSL_,"axG",@progbits,_ZN7rocprim17ROCPRIM_400000_NS6detail17trampoline_kernelINS0_14default_configENS1_38merge_sort_block_merge_config_selectorIxNS0_10empty_typeEEEZZNS1_27merge_sort_block_merge_implIS3_N6thrust23THRUST_200600_302600_NS6detail15normal_iteratorINS9_10device_ptrIxEEEEPS5_jNS1_19radix_merge_compareILb0ELb0ExNS0_19identity_decomposerEEEEE10hipError_tT0_T1_T2_jT3_P12ihipStream_tbPNSt15iterator_traitsISK_E10value_typeEPNSQ_ISL_E10value_typeEPSM_NS1_7vsmem_tEENKUlT_SK_SL_SM_E_clISE_PxSF_SF_EESJ_SZ_SK_SL_SM_EUlSZ_E1_NS1_11comp_targetILNS1_3genE9ELNS1_11target_archE1100ELNS1_3gpuE3ELNS1_3repE0EEENS1_36merge_oddeven_config_static_selectorELNS0_4arch9wavefront6targetE1EEEvSL_,comdat
.Lfunc_end1456:
	.size	_ZN7rocprim17ROCPRIM_400000_NS6detail17trampoline_kernelINS0_14default_configENS1_38merge_sort_block_merge_config_selectorIxNS0_10empty_typeEEEZZNS1_27merge_sort_block_merge_implIS3_N6thrust23THRUST_200600_302600_NS6detail15normal_iteratorINS9_10device_ptrIxEEEEPS5_jNS1_19radix_merge_compareILb0ELb0ExNS0_19identity_decomposerEEEEE10hipError_tT0_T1_T2_jT3_P12ihipStream_tbPNSt15iterator_traitsISK_E10value_typeEPNSQ_ISL_E10value_typeEPSM_NS1_7vsmem_tEENKUlT_SK_SL_SM_E_clISE_PxSF_SF_EESJ_SZ_SK_SL_SM_EUlSZ_E1_NS1_11comp_targetILNS1_3genE9ELNS1_11target_archE1100ELNS1_3gpuE3ELNS1_3repE0EEENS1_36merge_oddeven_config_static_selectorELNS0_4arch9wavefront6targetE1EEEvSL_, .Lfunc_end1456-_ZN7rocprim17ROCPRIM_400000_NS6detail17trampoline_kernelINS0_14default_configENS1_38merge_sort_block_merge_config_selectorIxNS0_10empty_typeEEEZZNS1_27merge_sort_block_merge_implIS3_N6thrust23THRUST_200600_302600_NS6detail15normal_iteratorINS9_10device_ptrIxEEEEPS5_jNS1_19radix_merge_compareILb0ELb0ExNS0_19identity_decomposerEEEEE10hipError_tT0_T1_T2_jT3_P12ihipStream_tbPNSt15iterator_traitsISK_E10value_typeEPNSQ_ISL_E10value_typeEPSM_NS1_7vsmem_tEENKUlT_SK_SL_SM_E_clISE_PxSF_SF_EESJ_SZ_SK_SL_SM_EUlSZ_E1_NS1_11comp_targetILNS1_3genE9ELNS1_11target_archE1100ELNS1_3gpuE3ELNS1_3repE0EEENS1_36merge_oddeven_config_static_selectorELNS0_4arch9wavefront6targetE1EEEvSL_
                                        ; -- End function
	.section	.AMDGPU.csdata,"",@progbits
; Kernel info:
; codeLenInByte = 0
; NumSgprs: 4
; NumVgprs: 0
; NumAgprs: 0
; TotalNumVgprs: 0
; ScratchSize: 0
; MemoryBound: 0
; FloatMode: 240
; IeeeMode: 1
; LDSByteSize: 0 bytes/workgroup (compile time only)
; SGPRBlocks: 0
; VGPRBlocks: 0
; NumSGPRsForWavesPerEU: 4
; NumVGPRsForWavesPerEU: 1
; AccumOffset: 4
; Occupancy: 8
; WaveLimiterHint : 0
; COMPUTE_PGM_RSRC2:SCRATCH_EN: 0
; COMPUTE_PGM_RSRC2:USER_SGPR: 6
; COMPUTE_PGM_RSRC2:TRAP_HANDLER: 0
; COMPUTE_PGM_RSRC2:TGID_X_EN: 1
; COMPUTE_PGM_RSRC2:TGID_Y_EN: 0
; COMPUTE_PGM_RSRC2:TGID_Z_EN: 0
; COMPUTE_PGM_RSRC2:TIDIG_COMP_CNT: 0
; COMPUTE_PGM_RSRC3_GFX90A:ACCUM_OFFSET: 0
; COMPUTE_PGM_RSRC3_GFX90A:TG_SPLIT: 0
	.section	.text._ZN7rocprim17ROCPRIM_400000_NS6detail17trampoline_kernelINS0_14default_configENS1_38merge_sort_block_merge_config_selectorIxNS0_10empty_typeEEEZZNS1_27merge_sort_block_merge_implIS3_N6thrust23THRUST_200600_302600_NS6detail15normal_iteratorINS9_10device_ptrIxEEEEPS5_jNS1_19radix_merge_compareILb0ELb0ExNS0_19identity_decomposerEEEEE10hipError_tT0_T1_T2_jT3_P12ihipStream_tbPNSt15iterator_traitsISK_E10value_typeEPNSQ_ISL_E10value_typeEPSM_NS1_7vsmem_tEENKUlT_SK_SL_SM_E_clISE_PxSF_SF_EESJ_SZ_SK_SL_SM_EUlSZ_E1_NS1_11comp_targetILNS1_3genE8ELNS1_11target_archE1030ELNS1_3gpuE2ELNS1_3repE0EEENS1_36merge_oddeven_config_static_selectorELNS0_4arch9wavefront6targetE1EEEvSL_,"axG",@progbits,_ZN7rocprim17ROCPRIM_400000_NS6detail17trampoline_kernelINS0_14default_configENS1_38merge_sort_block_merge_config_selectorIxNS0_10empty_typeEEEZZNS1_27merge_sort_block_merge_implIS3_N6thrust23THRUST_200600_302600_NS6detail15normal_iteratorINS9_10device_ptrIxEEEEPS5_jNS1_19radix_merge_compareILb0ELb0ExNS0_19identity_decomposerEEEEE10hipError_tT0_T1_T2_jT3_P12ihipStream_tbPNSt15iterator_traitsISK_E10value_typeEPNSQ_ISL_E10value_typeEPSM_NS1_7vsmem_tEENKUlT_SK_SL_SM_E_clISE_PxSF_SF_EESJ_SZ_SK_SL_SM_EUlSZ_E1_NS1_11comp_targetILNS1_3genE8ELNS1_11target_archE1030ELNS1_3gpuE2ELNS1_3repE0EEENS1_36merge_oddeven_config_static_selectorELNS0_4arch9wavefront6targetE1EEEvSL_,comdat
	.protected	_ZN7rocprim17ROCPRIM_400000_NS6detail17trampoline_kernelINS0_14default_configENS1_38merge_sort_block_merge_config_selectorIxNS0_10empty_typeEEEZZNS1_27merge_sort_block_merge_implIS3_N6thrust23THRUST_200600_302600_NS6detail15normal_iteratorINS9_10device_ptrIxEEEEPS5_jNS1_19radix_merge_compareILb0ELb0ExNS0_19identity_decomposerEEEEE10hipError_tT0_T1_T2_jT3_P12ihipStream_tbPNSt15iterator_traitsISK_E10value_typeEPNSQ_ISL_E10value_typeEPSM_NS1_7vsmem_tEENKUlT_SK_SL_SM_E_clISE_PxSF_SF_EESJ_SZ_SK_SL_SM_EUlSZ_E1_NS1_11comp_targetILNS1_3genE8ELNS1_11target_archE1030ELNS1_3gpuE2ELNS1_3repE0EEENS1_36merge_oddeven_config_static_selectorELNS0_4arch9wavefront6targetE1EEEvSL_ ; -- Begin function _ZN7rocprim17ROCPRIM_400000_NS6detail17trampoline_kernelINS0_14default_configENS1_38merge_sort_block_merge_config_selectorIxNS0_10empty_typeEEEZZNS1_27merge_sort_block_merge_implIS3_N6thrust23THRUST_200600_302600_NS6detail15normal_iteratorINS9_10device_ptrIxEEEEPS5_jNS1_19radix_merge_compareILb0ELb0ExNS0_19identity_decomposerEEEEE10hipError_tT0_T1_T2_jT3_P12ihipStream_tbPNSt15iterator_traitsISK_E10value_typeEPNSQ_ISL_E10value_typeEPSM_NS1_7vsmem_tEENKUlT_SK_SL_SM_E_clISE_PxSF_SF_EESJ_SZ_SK_SL_SM_EUlSZ_E1_NS1_11comp_targetILNS1_3genE8ELNS1_11target_archE1030ELNS1_3gpuE2ELNS1_3repE0EEENS1_36merge_oddeven_config_static_selectorELNS0_4arch9wavefront6targetE1EEEvSL_
	.globl	_ZN7rocprim17ROCPRIM_400000_NS6detail17trampoline_kernelINS0_14default_configENS1_38merge_sort_block_merge_config_selectorIxNS0_10empty_typeEEEZZNS1_27merge_sort_block_merge_implIS3_N6thrust23THRUST_200600_302600_NS6detail15normal_iteratorINS9_10device_ptrIxEEEEPS5_jNS1_19radix_merge_compareILb0ELb0ExNS0_19identity_decomposerEEEEE10hipError_tT0_T1_T2_jT3_P12ihipStream_tbPNSt15iterator_traitsISK_E10value_typeEPNSQ_ISL_E10value_typeEPSM_NS1_7vsmem_tEENKUlT_SK_SL_SM_E_clISE_PxSF_SF_EESJ_SZ_SK_SL_SM_EUlSZ_E1_NS1_11comp_targetILNS1_3genE8ELNS1_11target_archE1030ELNS1_3gpuE2ELNS1_3repE0EEENS1_36merge_oddeven_config_static_selectorELNS0_4arch9wavefront6targetE1EEEvSL_
	.p2align	8
	.type	_ZN7rocprim17ROCPRIM_400000_NS6detail17trampoline_kernelINS0_14default_configENS1_38merge_sort_block_merge_config_selectorIxNS0_10empty_typeEEEZZNS1_27merge_sort_block_merge_implIS3_N6thrust23THRUST_200600_302600_NS6detail15normal_iteratorINS9_10device_ptrIxEEEEPS5_jNS1_19radix_merge_compareILb0ELb0ExNS0_19identity_decomposerEEEEE10hipError_tT0_T1_T2_jT3_P12ihipStream_tbPNSt15iterator_traitsISK_E10value_typeEPNSQ_ISL_E10value_typeEPSM_NS1_7vsmem_tEENKUlT_SK_SL_SM_E_clISE_PxSF_SF_EESJ_SZ_SK_SL_SM_EUlSZ_E1_NS1_11comp_targetILNS1_3genE8ELNS1_11target_archE1030ELNS1_3gpuE2ELNS1_3repE0EEENS1_36merge_oddeven_config_static_selectorELNS0_4arch9wavefront6targetE1EEEvSL_,@function
_ZN7rocprim17ROCPRIM_400000_NS6detail17trampoline_kernelINS0_14default_configENS1_38merge_sort_block_merge_config_selectorIxNS0_10empty_typeEEEZZNS1_27merge_sort_block_merge_implIS3_N6thrust23THRUST_200600_302600_NS6detail15normal_iteratorINS9_10device_ptrIxEEEEPS5_jNS1_19radix_merge_compareILb0ELb0ExNS0_19identity_decomposerEEEEE10hipError_tT0_T1_T2_jT3_P12ihipStream_tbPNSt15iterator_traitsISK_E10value_typeEPNSQ_ISL_E10value_typeEPSM_NS1_7vsmem_tEENKUlT_SK_SL_SM_E_clISE_PxSF_SF_EESJ_SZ_SK_SL_SM_EUlSZ_E1_NS1_11comp_targetILNS1_3genE8ELNS1_11target_archE1030ELNS1_3gpuE2ELNS1_3repE0EEENS1_36merge_oddeven_config_static_selectorELNS0_4arch9wavefront6targetE1EEEvSL_: ; @_ZN7rocprim17ROCPRIM_400000_NS6detail17trampoline_kernelINS0_14default_configENS1_38merge_sort_block_merge_config_selectorIxNS0_10empty_typeEEEZZNS1_27merge_sort_block_merge_implIS3_N6thrust23THRUST_200600_302600_NS6detail15normal_iteratorINS9_10device_ptrIxEEEEPS5_jNS1_19radix_merge_compareILb0ELb0ExNS0_19identity_decomposerEEEEE10hipError_tT0_T1_T2_jT3_P12ihipStream_tbPNSt15iterator_traitsISK_E10value_typeEPNSQ_ISL_E10value_typeEPSM_NS1_7vsmem_tEENKUlT_SK_SL_SM_E_clISE_PxSF_SF_EESJ_SZ_SK_SL_SM_EUlSZ_E1_NS1_11comp_targetILNS1_3genE8ELNS1_11target_archE1030ELNS1_3gpuE2ELNS1_3repE0EEENS1_36merge_oddeven_config_static_selectorELNS0_4arch9wavefront6targetE1EEEvSL_
; %bb.0:
	.section	.rodata,"a",@progbits
	.p2align	6, 0x0
	.amdhsa_kernel _ZN7rocprim17ROCPRIM_400000_NS6detail17trampoline_kernelINS0_14default_configENS1_38merge_sort_block_merge_config_selectorIxNS0_10empty_typeEEEZZNS1_27merge_sort_block_merge_implIS3_N6thrust23THRUST_200600_302600_NS6detail15normal_iteratorINS9_10device_ptrIxEEEEPS5_jNS1_19radix_merge_compareILb0ELb0ExNS0_19identity_decomposerEEEEE10hipError_tT0_T1_T2_jT3_P12ihipStream_tbPNSt15iterator_traitsISK_E10value_typeEPNSQ_ISL_E10value_typeEPSM_NS1_7vsmem_tEENKUlT_SK_SL_SM_E_clISE_PxSF_SF_EESJ_SZ_SK_SL_SM_EUlSZ_E1_NS1_11comp_targetILNS1_3genE8ELNS1_11target_archE1030ELNS1_3gpuE2ELNS1_3repE0EEENS1_36merge_oddeven_config_static_selectorELNS0_4arch9wavefront6targetE1EEEvSL_
		.amdhsa_group_segment_fixed_size 0
		.amdhsa_private_segment_fixed_size 0
		.amdhsa_kernarg_size 48
		.amdhsa_user_sgpr_count 6
		.amdhsa_user_sgpr_private_segment_buffer 1
		.amdhsa_user_sgpr_dispatch_ptr 0
		.amdhsa_user_sgpr_queue_ptr 0
		.amdhsa_user_sgpr_kernarg_segment_ptr 1
		.amdhsa_user_sgpr_dispatch_id 0
		.amdhsa_user_sgpr_flat_scratch_init 0
		.amdhsa_user_sgpr_kernarg_preload_length 0
		.amdhsa_user_sgpr_kernarg_preload_offset 0
		.amdhsa_user_sgpr_private_segment_size 0
		.amdhsa_uses_dynamic_stack 0
		.amdhsa_system_sgpr_private_segment_wavefront_offset 0
		.amdhsa_system_sgpr_workgroup_id_x 1
		.amdhsa_system_sgpr_workgroup_id_y 0
		.amdhsa_system_sgpr_workgroup_id_z 0
		.amdhsa_system_sgpr_workgroup_info 0
		.amdhsa_system_vgpr_workitem_id 0
		.amdhsa_next_free_vgpr 1
		.amdhsa_next_free_sgpr 0
		.amdhsa_accum_offset 4
		.amdhsa_reserve_vcc 0
		.amdhsa_reserve_flat_scratch 0
		.amdhsa_float_round_mode_32 0
		.amdhsa_float_round_mode_16_64 0
		.amdhsa_float_denorm_mode_32 3
		.amdhsa_float_denorm_mode_16_64 3
		.amdhsa_dx10_clamp 1
		.amdhsa_ieee_mode 1
		.amdhsa_fp16_overflow 0
		.amdhsa_tg_split 0
		.amdhsa_exception_fp_ieee_invalid_op 0
		.amdhsa_exception_fp_denorm_src 0
		.amdhsa_exception_fp_ieee_div_zero 0
		.amdhsa_exception_fp_ieee_overflow 0
		.amdhsa_exception_fp_ieee_underflow 0
		.amdhsa_exception_fp_ieee_inexact 0
		.amdhsa_exception_int_div_zero 0
	.end_amdhsa_kernel
	.section	.text._ZN7rocprim17ROCPRIM_400000_NS6detail17trampoline_kernelINS0_14default_configENS1_38merge_sort_block_merge_config_selectorIxNS0_10empty_typeEEEZZNS1_27merge_sort_block_merge_implIS3_N6thrust23THRUST_200600_302600_NS6detail15normal_iteratorINS9_10device_ptrIxEEEEPS5_jNS1_19radix_merge_compareILb0ELb0ExNS0_19identity_decomposerEEEEE10hipError_tT0_T1_T2_jT3_P12ihipStream_tbPNSt15iterator_traitsISK_E10value_typeEPNSQ_ISL_E10value_typeEPSM_NS1_7vsmem_tEENKUlT_SK_SL_SM_E_clISE_PxSF_SF_EESJ_SZ_SK_SL_SM_EUlSZ_E1_NS1_11comp_targetILNS1_3genE8ELNS1_11target_archE1030ELNS1_3gpuE2ELNS1_3repE0EEENS1_36merge_oddeven_config_static_selectorELNS0_4arch9wavefront6targetE1EEEvSL_,"axG",@progbits,_ZN7rocprim17ROCPRIM_400000_NS6detail17trampoline_kernelINS0_14default_configENS1_38merge_sort_block_merge_config_selectorIxNS0_10empty_typeEEEZZNS1_27merge_sort_block_merge_implIS3_N6thrust23THRUST_200600_302600_NS6detail15normal_iteratorINS9_10device_ptrIxEEEEPS5_jNS1_19radix_merge_compareILb0ELb0ExNS0_19identity_decomposerEEEEE10hipError_tT0_T1_T2_jT3_P12ihipStream_tbPNSt15iterator_traitsISK_E10value_typeEPNSQ_ISL_E10value_typeEPSM_NS1_7vsmem_tEENKUlT_SK_SL_SM_E_clISE_PxSF_SF_EESJ_SZ_SK_SL_SM_EUlSZ_E1_NS1_11comp_targetILNS1_3genE8ELNS1_11target_archE1030ELNS1_3gpuE2ELNS1_3repE0EEENS1_36merge_oddeven_config_static_selectorELNS0_4arch9wavefront6targetE1EEEvSL_,comdat
.Lfunc_end1457:
	.size	_ZN7rocprim17ROCPRIM_400000_NS6detail17trampoline_kernelINS0_14default_configENS1_38merge_sort_block_merge_config_selectorIxNS0_10empty_typeEEEZZNS1_27merge_sort_block_merge_implIS3_N6thrust23THRUST_200600_302600_NS6detail15normal_iteratorINS9_10device_ptrIxEEEEPS5_jNS1_19radix_merge_compareILb0ELb0ExNS0_19identity_decomposerEEEEE10hipError_tT0_T1_T2_jT3_P12ihipStream_tbPNSt15iterator_traitsISK_E10value_typeEPNSQ_ISL_E10value_typeEPSM_NS1_7vsmem_tEENKUlT_SK_SL_SM_E_clISE_PxSF_SF_EESJ_SZ_SK_SL_SM_EUlSZ_E1_NS1_11comp_targetILNS1_3genE8ELNS1_11target_archE1030ELNS1_3gpuE2ELNS1_3repE0EEENS1_36merge_oddeven_config_static_selectorELNS0_4arch9wavefront6targetE1EEEvSL_, .Lfunc_end1457-_ZN7rocprim17ROCPRIM_400000_NS6detail17trampoline_kernelINS0_14default_configENS1_38merge_sort_block_merge_config_selectorIxNS0_10empty_typeEEEZZNS1_27merge_sort_block_merge_implIS3_N6thrust23THRUST_200600_302600_NS6detail15normal_iteratorINS9_10device_ptrIxEEEEPS5_jNS1_19radix_merge_compareILb0ELb0ExNS0_19identity_decomposerEEEEE10hipError_tT0_T1_T2_jT3_P12ihipStream_tbPNSt15iterator_traitsISK_E10value_typeEPNSQ_ISL_E10value_typeEPSM_NS1_7vsmem_tEENKUlT_SK_SL_SM_E_clISE_PxSF_SF_EESJ_SZ_SK_SL_SM_EUlSZ_E1_NS1_11comp_targetILNS1_3genE8ELNS1_11target_archE1030ELNS1_3gpuE2ELNS1_3repE0EEENS1_36merge_oddeven_config_static_selectorELNS0_4arch9wavefront6targetE1EEEvSL_
                                        ; -- End function
	.section	.AMDGPU.csdata,"",@progbits
; Kernel info:
; codeLenInByte = 0
; NumSgprs: 4
; NumVgprs: 0
; NumAgprs: 0
; TotalNumVgprs: 0
; ScratchSize: 0
; MemoryBound: 0
; FloatMode: 240
; IeeeMode: 1
; LDSByteSize: 0 bytes/workgroup (compile time only)
; SGPRBlocks: 0
; VGPRBlocks: 0
; NumSGPRsForWavesPerEU: 4
; NumVGPRsForWavesPerEU: 1
; AccumOffset: 4
; Occupancy: 8
; WaveLimiterHint : 0
; COMPUTE_PGM_RSRC2:SCRATCH_EN: 0
; COMPUTE_PGM_RSRC2:USER_SGPR: 6
; COMPUTE_PGM_RSRC2:TRAP_HANDLER: 0
; COMPUTE_PGM_RSRC2:TGID_X_EN: 1
; COMPUTE_PGM_RSRC2:TGID_Y_EN: 0
; COMPUTE_PGM_RSRC2:TGID_Z_EN: 0
; COMPUTE_PGM_RSRC2:TIDIG_COMP_CNT: 0
; COMPUTE_PGM_RSRC3_GFX90A:ACCUM_OFFSET: 0
; COMPUTE_PGM_RSRC3_GFX90A:TG_SPLIT: 0
	.section	.text._ZN7rocprim17ROCPRIM_400000_NS6detail17trampoline_kernelINS0_14default_configENS1_25transform_config_selectorIxLb0EEEZNS1_14transform_implILb0ES3_S5_PxN6thrust23THRUST_200600_302600_NS6detail15normal_iteratorINS9_10device_ptrIxEEEENS0_8identityIxEEEE10hipError_tT2_T3_mT4_P12ihipStream_tbEUlT_E_NS1_11comp_targetILNS1_3genE0ELNS1_11target_archE4294967295ELNS1_3gpuE0ELNS1_3repE0EEENS1_30default_config_static_selectorELNS0_4arch9wavefront6targetE1EEEvT1_,"axG",@progbits,_ZN7rocprim17ROCPRIM_400000_NS6detail17trampoline_kernelINS0_14default_configENS1_25transform_config_selectorIxLb0EEEZNS1_14transform_implILb0ES3_S5_PxN6thrust23THRUST_200600_302600_NS6detail15normal_iteratorINS9_10device_ptrIxEEEENS0_8identityIxEEEE10hipError_tT2_T3_mT4_P12ihipStream_tbEUlT_E_NS1_11comp_targetILNS1_3genE0ELNS1_11target_archE4294967295ELNS1_3gpuE0ELNS1_3repE0EEENS1_30default_config_static_selectorELNS0_4arch9wavefront6targetE1EEEvT1_,comdat
	.protected	_ZN7rocprim17ROCPRIM_400000_NS6detail17trampoline_kernelINS0_14default_configENS1_25transform_config_selectorIxLb0EEEZNS1_14transform_implILb0ES3_S5_PxN6thrust23THRUST_200600_302600_NS6detail15normal_iteratorINS9_10device_ptrIxEEEENS0_8identityIxEEEE10hipError_tT2_T3_mT4_P12ihipStream_tbEUlT_E_NS1_11comp_targetILNS1_3genE0ELNS1_11target_archE4294967295ELNS1_3gpuE0ELNS1_3repE0EEENS1_30default_config_static_selectorELNS0_4arch9wavefront6targetE1EEEvT1_ ; -- Begin function _ZN7rocprim17ROCPRIM_400000_NS6detail17trampoline_kernelINS0_14default_configENS1_25transform_config_selectorIxLb0EEEZNS1_14transform_implILb0ES3_S5_PxN6thrust23THRUST_200600_302600_NS6detail15normal_iteratorINS9_10device_ptrIxEEEENS0_8identityIxEEEE10hipError_tT2_T3_mT4_P12ihipStream_tbEUlT_E_NS1_11comp_targetILNS1_3genE0ELNS1_11target_archE4294967295ELNS1_3gpuE0ELNS1_3repE0EEENS1_30default_config_static_selectorELNS0_4arch9wavefront6targetE1EEEvT1_
	.globl	_ZN7rocprim17ROCPRIM_400000_NS6detail17trampoline_kernelINS0_14default_configENS1_25transform_config_selectorIxLb0EEEZNS1_14transform_implILb0ES3_S5_PxN6thrust23THRUST_200600_302600_NS6detail15normal_iteratorINS9_10device_ptrIxEEEENS0_8identityIxEEEE10hipError_tT2_T3_mT4_P12ihipStream_tbEUlT_E_NS1_11comp_targetILNS1_3genE0ELNS1_11target_archE4294967295ELNS1_3gpuE0ELNS1_3repE0EEENS1_30default_config_static_selectorELNS0_4arch9wavefront6targetE1EEEvT1_
	.p2align	8
	.type	_ZN7rocprim17ROCPRIM_400000_NS6detail17trampoline_kernelINS0_14default_configENS1_25transform_config_selectorIxLb0EEEZNS1_14transform_implILb0ES3_S5_PxN6thrust23THRUST_200600_302600_NS6detail15normal_iteratorINS9_10device_ptrIxEEEENS0_8identityIxEEEE10hipError_tT2_T3_mT4_P12ihipStream_tbEUlT_E_NS1_11comp_targetILNS1_3genE0ELNS1_11target_archE4294967295ELNS1_3gpuE0ELNS1_3repE0EEENS1_30default_config_static_selectorELNS0_4arch9wavefront6targetE1EEEvT1_,@function
_ZN7rocprim17ROCPRIM_400000_NS6detail17trampoline_kernelINS0_14default_configENS1_25transform_config_selectorIxLb0EEEZNS1_14transform_implILb0ES3_S5_PxN6thrust23THRUST_200600_302600_NS6detail15normal_iteratorINS9_10device_ptrIxEEEENS0_8identityIxEEEE10hipError_tT2_T3_mT4_P12ihipStream_tbEUlT_E_NS1_11comp_targetILNS1_3genE0ELNS1_11target_archE4294967295ELNS1_3gpuE0ELNS1_3repE0EEENS1_30default_config_static_selectorELNS0_4arch9wavefront6targetE1EEEvT1_: ; @_ZN7rocprim17ROCPRIM_400000_NS6detail17trampoline_kernelINS0_14default_configENS1_25transform_config_selectorIxLb0EEEZNS1_14transform_implILb0ES3_S5_PxN6thrust23THRUST_200600_302600_NS6detail15normal_iteratorINS9_10device_ptrIxEEEENS0_8identityIxEEEE10hipError_tT2_T3_mT4_P12ihipStream_tbEUlT_E_NS1_11comp_targetILNS1_3genE0ELNS1_11target_archE4294967295ELNS1_3gpuE0ELNS1_3repE0EEENS1_30default_config_static_selectorELNS0_4arch9wavefront6targetE1EEEvT1_
; %bb.0:
	.section	.rodata,"a",@progbits
	.p2align	6, 0x0
	.amdhsa_kernel _ZN7rocprim17ROCPRIM_400000_NS6detail17trampoline_kernelINS0_14default_configENS1_25transform_config_selectorIxLb0EEEZNS1_14transform_implILb0ES3_S5_PxN6thrust23THRUST_200600_302600_NS6detail15normal_iteratorINS9_10device_ptrIxEEEENS0_8identityIxEEEE10hipError_tT2_T3_mT4_P12ihipStream_tbEUlT_E_NS1_11comp_targetILNS1_3genE0ELNS1_11target_archE4294967295ELNS1_3gpuE0ELNS1_3repE0EEENS1_30default_config_static_selectorELNS0_4arch9wavefront6targetE1EEEvT1_
		.amdhsa_group_segment_fixed_size 0
		.amdhsa_private_segment_fixed_size 0
		.amdhsa_kernarg_size 40
		.amdhsa_user_sgpr_count 6
		.amdhsa_user_sgpr_private_segment_buffer 1
		.amdhsa_user_sgpr_dispatch_ptr 0
		.amdhsa_user_sgpr_queue_ptr 0
		.amdhsa_user_sgpr_kernarg_segment_ptr 1
		.amdhsa_user_sgpr_dispatch_id 0
		.amdhsa_user_sgpr_flat_scratch_init 0
		.amdhsa_user_sgpr_kernarg_preload_length 0
		.amdhsa_user_sgpr_kernarg_preload_offset 0
		.amdhsa_user_sgpr_private_segment_size 0
		.amdhsa_uses_dynamic_stack 0
		.amdhsa_system_sgpr_private_segment_wavefront_offset 0
		.amdhsa_system_sgpr_workgroup_id_x 1
		.amdhsa_system_sgpr_workgroup_id_y 0
		.amdhsa_system_sgpr_workgroup_id_z 0
		.amdhsa_system_sgpr_workgroup_info 0
		.amdhsa_system_vgpr_workitem_id 0
		.amdhsa_next_free_vgpr 1
		.amdhsa_next_free_sgpr 0
		.amdhsa_accum_offset 4
		.amdhsa_reserve_vcc 0
		.amdhsa_reserve_flat_scratch 0
		.amdhsa_float_round_mode_32 0
		.amdhsa_float_round_mode_16_64 0
		.amdhsa_float_denorm_mode_32 3
		.amdhsa_float_denorm_mode_16_64 3
		.amdhsa_dx10_clamp 1
		.amdhsa_ieee_mode 1
		.amdhsa_fp16_overflow 0
		.amdhsa_tg_split 0
		.amdhsa_exception_fp_ieee_invalid_op 0
		.amdhsa_exception_fp_denorm_src 0
		.amdhsa_exception_fp_ieee_div_zero 0
		.amdhsa_exception_fp_ieee_overflow 0
		.amdhsa_exception_fp_ieee_underflow 0
		.amdhsa_exception_fp_ieee_inexact 0
		.amdhsa_exception_int_div_zero 0
	.end_amdhsa_kernel
	.section	.text._ZN7rocprim17ROCPRIM_400000_NS6detail17trampoline_kernelINS0_14default_configENS1_25transform_config_selectorIxLb0EEEZNS1_14transform_implILb0ES3_S5_PxN6thrust23THRUST_200600_302600_NS6detail15normal_iteratorINS9_10device_ptrIxEEEENS0_8identityIxEEEE10hipError_tT2_T3_mT4_P12ihipStream_tbEUlT_E_NS1_11comp_targetILNS1_3genE0ELNS1_11target_archE4294967295ELNS1_3gpuE0ELNS1_3repE0EEENS1_30default_config_static_selectorELNS0_4arch9wavefront6targetE1EEEvT1_,"axG",@progbits,_ZN7rocprim17ROCPRIM_400000_NS6detail17trampoline_kernelINS0_14default_configENS1_25transform_config_selectorIxLb0EEEZNS1_14transform_implILb0ES3_S5_PxN6thrust23THRUST_200600_302600_NS6detail15normal_iteratorINS9_10device_ptrIxEEEENS0_8identityIxEEEE10hipError_tT2_T3_mT4_P12ihipStream_tbEUlT_E_NS1_11comp_targetILNS1_3genE0ELNS1_11target_archE4294967295ELNS1_3gpuE0ELNS1_3repE0EEENS1_30default_config_static_selectorELNS0_4arch9wavefront6targetE1EEEvT1_,comdat
.Lfunc_end1458:
	.size	_ZN7rocprim17ROCPRIM_400000_NS6detail17trampoline_kernelINS0_14default_configENS1_25transform_config_selectorIxLb0EEEZNS1_14transform_implILb0ES3_S5_PxN6thrust23THRUST_200600_302600_NS6detail15normal_iteratorINS9_10device_ptrIxEEEENS0_8identityIxEEEE10hipError_tT2_T3_mT4_P12ihipStream_tbEUlT_E_NS1_11comp_targetILNS1_3genE0ELNS1_11target_archE4294967295ELNS1_3gpuE0ELNS1_3repE0EEENS1_30default_config_static_selectorELNS0_4arch9wavefront6targetE1EEEvT1_, .Lfunc_end1458-_ZN7rocprim17ROCPRIM_400000_NS6detail17trampoline_kernelINS0_14default_configENS1_25transform_config_selectorIxLb0EEEZNS1_14transform_implILb0ES3_S5_PxN6thrust23THRUST_200600_302600_NS6detail15normal_iteratorINS9_10device_ptrIxEEEENS0_8identityIxEEEE10hipError_tT2_T3_mT4_P12ihipStream_tbEUlT_E_NS1_11comp_targetILNS1_3genE0ELNS1_11target_archE4294967295ELNS1_3gpuE0ELNS1_3repE0EEENS1_30default_config_static_selectorELNS0_4arch9wavefront6targetE1EEEvT1_
                                        ; -- End function
	.section	.AMDGPU.csdata,"",@progbits
; Kernel info:
; codeLenInByte = 0
; NumSgprs: 4
; NumVgprs: 0
; NumAgprs: 0
; TotalNumVgprs: 0
; ScratchSize: 0
; MemoryBound: 0
; FloatMode: 240
; IeeeMode: 1
; LDSByteSize: 0 bytes/workgroup (compile time only)
; SGPRBlocks: 0
; VGPRBlocks: 0
; NumSGPRsForWavesPerEU: 4
; NumVGPRsForWavesPerEU: 1
; AccumOffset: 4
; Occupancy: 8
; WaveLimiterHint : 0
; COMPUTE_PGM_RSRC2:SCRATCH_EN: 0
; COMPUTE_PGM_RSRC2:USER_SGPR: 6
; COMPUTE_PGM_RSRC2:TRAP_HANDLER: 0
; COMPUTE_PGM_RSRC2:TGID_X_EN: 1
; COMPUTE_PGM_RSRC2:TGID_Y_EN: 0
; COMPUTE_PGM_RSRC2:TGID_Z_EN: 0
; COMPUTE_PGM_RSRC2:TIDIG_COMP_CNT: 0
; COMPUTE_PGM_RSRC3_GFX90A:ACCUM_OFFSET: 0
; COMPUTE_PGM_RSRC3_GFX90A:TG_SPLIT: 0
	.section	.text._ZN7rocprim17ROCPRIM_400000_NS6detail17trampoline_kernelINS0_14default_configENS1_25transform_config_selectorIxLb0EEEZNS1_14transform_implILb0ES3_S5_PxN6thrust23THRUST_200600_302600_NS6detail15normal_iteratorINS9_10device_ptrIxEEEENS0_8identityIxEEEE10hipError_tT2_T3_mT4_P12ihipStream_tbEUlT_E_NS1_11comp_targetILNS1_3genE5ELNS1_11target_archE942ELNS1_3gpuE9ELNS1_3repE0EEENS1_30default_config_static_selectorELNS0_4arch9wavefront6targetE1EEEvT1_,"axG",@progbits,_ZN7rocprim17ROCPRIM_400000_NS6detail17trampoline_kernelINS0_14default_configENS1_25transform_config_selectorIxLb0EEEZNS1_14transform_implILb0ES3_S5_PxN6thrust23THRUST_200600_302600_NS6detail15normal_iteratorINS9_10device_ptrIxEEEENS0_8identityIxEEEE10hipError_tT2_T3_mT4_P12ihipStream_tbEUlT_E_NS1_11comp_targetILNS1_3genE5ELNS1_11target_archE942ELNS1_3gpuE9ELNS1_3repE0EEENS1_30default_config_static_selectorELNS0_4arch9wavefront6targetE1EEEvT1_,comdat
	.protected	_ZN7rocprim17ROCPRIM_400000_NS6detail17trampoline_kernelINS0_14default_configENS1_25transform_config_selectorIxLb0EEEZNS1_14transform_implILb0ES3_S5_PxN6thrust23THRUST_200600_302600_NS6detail15normal_iteratorINS9_10device_ptrIxEEEENS0_8identityIxEEEE10hipError_tT2_T3_mT4_P12ihipStream_tbEUlT_E_NS1_11comp_targetILNS1_3genE5ELNS1_11target_archE942ELNS1_3gpuE9ELNS1_3repE0EEENS1_30default_config_static_selectorELNS0_4arch9wavefront6targetE1EEEvT1_ ; -- Begin function _ZN7rocprim17ROCPRIM_400000_NS6detail17trampoline_kernelINS0_14default_configENS1_25transform_config_selectorIxLb0EEEZNS1_14transform_implILb0ES3_S5_PxN6thrust23THRUST_200600_302600_NS6detail15normal_iteratorINS9_10device_ptrIxEEEENS0_8identityIxEEEE10hipError_tT2_T3_mT4_P12ihipStream_tbEUlT_E_NS1_11comp_targetILNS1_3genE5ELNS1_11target_archE942ELNS1_3gpuE9ELNS1_3repE0EEENS1_30default_config_static_selectorELNS0_4arch9wavefront6targetE1EEEvT1_
	.globl	_ZN7rocprim17ROCPRIM_400000_NS6detail17trampoline_kernelINS0_14default_configENS1_25transform_config_selectorIxLb0EEEZNS1_14transform_implILb0ES3_S5_PxN6thrust23THRUST_200600_302600_NS6detail15normal_iteratorINS9_10device_ptrIxEEEENS0_8identityIxEEEE10hipError_tT2_T3_mT4_P12ihipStream_tbEUlT_E_NS1_11comp_targetILNS1_3genE5ELNS1_11target_archE942ELNS1_3gpuE9ELNS1_3repE0EEENS1_30default_config_static_selectorELNS0_4arch9wavefront6targetE1EEEvT1_
	.p2align	8
	.type	_ZN7rocprim17ROCPRIM_400000_NS6detail17trampoline_kernelINS0_14default_configENS1_25transform_config_selectorIxLb0EEEZNS1_14transform_implILb0ES3_S5_PxN6thrust23THRUST_200600_302600_NS6detail15normal_iteratorINS9_10device_ptrIxEEEENS0_8identityIxEEEE10hipError_tT2_T3_mT4_P12ihipStream_tbEUlT_E_NS1_11comp_targetILNS1_3genE5ELNS1_11target_archE942ELNS1_3gpuE9ELNS1_3repE0EEENS1_30default_config_static_selectorELNS0_4arch9wavefront6targetE1EEEvT1_,@function
_ZN7rocprim17ROCPRIM_400000_NS6detail17trampoline_kernelINS0_14default_configENS1_25transform_config_selectorIxLb0EEEZNS1_14transform_implILb0ES3_S5_PxN6thrust23THRUST_200600_302600_NS6detail15normal_iteratorINS9_10device_ptrIxEEEENS0_8identityIxEEEE10hipError_tT2_T3_mT4_P12ihipStream_tbEUlT_E_NS1_11comp_targetILNS1_3genE5ELNS1_11target_archE942ELNS1_3gpuE9ELNS1_3repE0EEENS1_30default_config_static_selectorELNS0_4arch9wavefront6targetE1EEEvT1_: ; @_ZN7rocprim17ROCPRIM_400000_NS6detail17trampoline_kernelINS0_14default_configENS1_25transform_config_selectorIxLb0EEEZNS1_14transform_implILb0ES3_S5_PxN6thrust23THRUST_200600_302600_NS6detail15normal_iteratorINS9_10device_ptrIxEEEENS0_8identityIxEEEE10hipError_tT2_T3_mT4_P12ihipStream_tbEUlT_E_NS1_11comp_targetILNS1_3genE5ELNS1_11target_archE942ELNS1_3gpuE9ELNS1_3repE0EEENS1_30default_config_static_selectorELNS0_4arch9wavefront6targetE1EEEvT1_
; %bb.0:
	.section	.rodata,"a",@progbits
	.p2align	6, 0x0
	.amdhsa_kernel _ZN7rocprim17ROCPRIM_400000_NS6detail17trampoline_kernelINS0_14default_configENS1_25transform_config_selectorIxLb0EEEZNS1_14transform_implILb0ES3_S5_PxN6thrust23THRUST_200600_302600_NS6detail15normal_iteratorINS9_10device_ptrIxEEEENS0_8identityIxEEEE10hipError_tT2_T3_mT4_P12ihipStream_tbEUlT_E_NS1_11comp_targetILNS1_3genE5ELNS1_11target_archE942ELNS1_3gpuE9ELNS1_3repE0EEENS1_30default_config_static_selectorELNS0_4arch9wavefront6targetE1EEEvT1_
		.amdhsa_group_segment_fixed_size 0
		.amdhsa_private_segment_fixed_size 0
		.amdhsa_kernarg_size 40
		.amdhsa_user_sgpr_count 6
		.amdhsa_user_sgpr_private_segment_buffer 1
		.amdhsa_user_sgpr_dispatch_ptr 0
		.amdhsa_user_sgpr_queue_ptr 0
		.amdhsa_user_sgpr_kernarg_segment_ptr 1
		.amdhsa_user_sgpr_dispatch_id 0
		.amdhsa_user_sgpr_flat_scratch_init 0
		.amdhsa_user_sgpr_kernarg_preload_length 0
		.amdhsa_user_sgpr_kernarg_preload_offset 0
		.amdhsa_user_sgpr_private_segment_size 0
		.amdhsa_uses_dynamic_stack 0
		.amdhsa_system_sgpr_private_segment_wavefront_offset 0
		.amdhsa_system_sgpr_workgroup_id_x 1
		.amdhsa_system_sgpr_workgroup_id_y 0
		.amdhsa_system_sgpr_workgroup_id_z 0
		.amdhsa_system_sgpr_workgroup_info 0
		.amdhsa_system_vgpr_workitem_id 0
		.amdhsa_next_free_vgpr 1
		.amdhsa_next_free_sgpr 0
		.amdhsa_accum_offset 4
		.amdhsa_reserve_vcc 0
		.amdhsa_reserve_flat_scratch 0
		.amdhsa_float_round_mode_32 0
		.amdhsa_float_round_mode_16_64 0
		.amdhsa_float_denorm_mode_32 3
		.amdhsa_float_denorm_mode_16_64 3
		.amdhsa_dx10_clamp 1
		.amdhsa_ieee_mode 1
		.amdhsa_fp16_overflow 0
		.amdhsa_tg_split 0
		.amdhsa_exception_fp_ieee_invalid_op 0
		.amdhsa_exception_fp_denorm_src 0
		.amdhsa_exception_fp_ieee_div_zero 0
		.amdhsa_exception_fp_ieee_overflow 0
		.amdhsa_exception_fp_ieee_underflow 0
		.amdhsa_exception_fp_ieee_inexact 0
		.amdhsa_exception_int_div_zero 0
	.end_amdhsa_kernel
	.section	.text._ZN7rocprim17ROCPRIM_400000_NS6detail17trampoline_kernelINS0_14default_configENS1_25transform_config_selectorIxLb0EEEZNS1_14transform_implILb0ES3_S5_PxN6thrust23THRUST_200600_302600_NS6detail15normal_iteratorINS9_10device_ptrIxEEEENS0_8identityIxEEEE10hipError_tT2_T3_mT4_P12ihipStream_tbEUlT_E_NS1_11comp_targetILNS1_3genE5ELNS1_11target_archE942ELNS1_3gpuE9ELNS1_3repE0EEENS1_30default_config_static_selectorELNS0_4arch9wavefront6targetE1EEEvT1_,"axG",@progbits,_ZN7rocprim17ROCPRIM_400000_NS6detail17trampoline_kernelINS0_14default_configENS1_25transform_config_selectorIxLb0EEEZNS1_14transform_implILb0ES3_S5_PxN6thrust23THRUST_200600_302600_NS6detail15normal_iteratorINS9_10device_ptrIxEEEENS0_8identityIxEEEE10hipError_tT2_T3_mT4_P12ihipStream_tbEUlT_E_NS1_11comp_targetILNS1_3genE5ELNS1_11target_archE942ELNS1_3gpuE9ELNS1_3repE0EEENS1_30default_config_static_selectorELNS0_4arch9wavefront6targetE1EEEvT1_,comdat
.Lfunc_end1459:
	.size	_ZN7rocprim17ROCPRIM_400000_NS6detail17trampoline_kernelINS0_14default_configENS1_25transform_config_selectorIxLb0EEEZNS1_14transform_implILb0ES3_S5_PxN6thrust23THRUST_200600_302600_NS6detail15normal_iteratorINS9_10device_ptrIxEEEENS0_8identityIxEEEE10hipError_tT2_T3_mT4_P12ihipStream_tbEUlT_E_NS1_11comp_targetILNS1_3genE5ELNS1_11target_archE942ELNS1_3gpuE9ELNS1_3repE0EEENS1_30default_config_static_selectorELNS0_4arch9wavefront6targetE1EEEvT1_, .Lfunc_end1459-_ZN7rocprim17ROCPRIM_400000_NS6detail17trampoline_kernelINS0_14default_configENS1_25transform_config_selectorIxLb0EEEZNS1_14transform_implILb0ES3_S5_PxN6thrust23THRUST_200600_302600_NS6detail15normal_iteratorINS9_10device_ptrIxEEEENS0_8identityIxEEEE10hipError_tT2_T3_mT4_P12ihipStream_tbEUlT_E_NS1_11comp_targetILNS1_3genE5ELNS1_11target_archE942ELNS1_3gpuE9ELNS1_3repE0EEENS1_30default_config_static_selectorELNS0_4arch9wavefront6targetE1EEEvT1_
                                        ; -- End function
	.section	.AMDGPU.csdata,"",@progbits
; Kernel info:
; codeLenInByte = 0
; NumSgprs: 4
; NumVgprs: 0
; NumAgprs: 0
; TotalNumVgprs: 0
; ScratchSize: 0
; MemoryBound: 0
; FloatMode: 240
; IeeeMode: 1
; LDSByteSize: 0 bytes/workgroup (compile time only)
; SGPRBlocks: 0
; VGPRBlocks: 0
; NumSGPRsForWavesPerEU: 4
; NumVGPRsForWavesPerEU: 1
; AccumOffset: 4
; Occupancy: 8
; WaveLimiterHint : 0
; COMPUTE_PGM_RSRC2:SCRATCH_EN: 0
; COMPUTE_PGM_RSRC2:USER_SGPR: 6
; COMPUTE_PGM_RSRC2:TRAP_HANDLER: 0
; COMPUTE_PGM_RSRC2:TGID_X_EN: 1
; COMPUTE_PGM_RSRC2:TGID_Y_EN: 0
; COMPUTE_PGM_RSRC2:TGID_Z_EN: 0
; COMPUTE_PGM_RSRC2:TIDIG_COMP_CNT: 0
; COMPUTE_PGM_RSRC3_GFX90A:ACCUM_OFFSET: 0
; COMPUTE_PGM_RSRC3_GFX90A:TG_SPLIT: 0
	.section	.text._ZN7rocprim17ROCPRIM_400000_NS6detail17trampoline_kernelINS0_14default_configENS1_25transform_config_selectorIxLb0EEEZNS1_14transform_implILb0ES3_S5_PxN6thrust23THRUST_200600_302600_NS6detail15normal_iteratorINS9_10device_ptrIxEEEENS0_8identityIxEEEE10hipError_tT2_T3_mT4_P12ihipStream_tbEUlT_E_NS1_11comp_targetILNS1_3genE4ELNS1_11target_archE910ELNS1_3gpuE8ELNS1_3repE0EEENS1_30default_config_static_selectorELNS0_4arch9wavefront6targetE1EEEvT1_,"axG",@progbits,_ZN7rocprim17ROCPRIM_400000_NS6detail17trampoline_kernelINS0_14default_configENS1_25transform_config_selectorIxLb0EEEZNS1_14transform_implILb0ES3_S5_PxN6thrust23THRUST_200600_302600_NS6detail15normal_iteratorINS9_10device_ptrIxEEEENS0_8identityIxEEEE10hipError_tT2_T3_mT4_P12ihipStream_tbEUlT_E_NS1_11comp_targetILNS1_3genE4ELNS1_11target_archE910ELNS1_3gpuE8ELNS1_3repE0EEENS1_30default_config_static_selectorELNS0_4arch9wavefront6targetE1EEEvT1_,comdat
	.protected	_ZN7rocprim17ROCPRIM_400000_NS6detail17trampoline_kernelINS0_14default_configENS1_25transform_config_selectorIxLb0EEEZNS1_14transform_implILb0ES3_S5_PxN6thrust23THRUST_200600_302600_NS6detail15normal_iteratorINS9_10device_ptrIxEEEENS0_8identityIxEEEE10hipError_tT2_T3_mT4_P12ihipStream_tbEUlT_E_NS1_11comp_targetILNS1_3genE4ELNS1_11target_archE910ELNS1_3gpuE8ELNS1_3repE0EEENS1_30default_config_static_selectorELNS0_4arch9wavefront6targetE1EEEvT1_ ; -- Begin function _ZN7rocprim17ROCPRIM_400000_NS6detail17trampoline_kernelINS0_14default_configENS1_25transform_config_selectorIxLb0EEEZNS1_14transform_implILb0ES3_S5_PxN6thrust23THRUST_200600_302600_NS6detail15normal_iteratorINS9_10device_ptrIxEEEENS0_8identityIxEEEE10hipError_tT2_T3_mT4_P12ihipStream_tbEUlT_E_NS1_11comp_targetILNS1_3genE4ELNS1_11target_archE910ELNS1_3gpuE8ELNS1_3repE0EEENS1_30default_config_static_selectorELNS0_4arch9wavefront6targetE1EEEvT1_
	.globl	_ZN7rocprim17ROCPRIM_400000_NS6detail17trampoline_kernelINS0_14default_configENS1_25transform_config_selectorIxLb0EEEZNS1_14transform_implILb0ES3_S5_PxN6thrust23THRUST_200600_302600_NS6detail15normal_iteratorINS9_10device_ptrIxEEEENS0_8identityIxEEEE10hipError_tT2_T3_mT4_P12ihipStream_tbEUlT_E_NS1_11comp_targetILNS1_3genE4ELNS1_11target_archE910ELNS1_3gpuE8ELNS1_3repE0EEENS1_30default_config_static_selectorELNS0_4arch9wavefront6targetE1EEEvT1_
	.p2align	8
	.type	_ZN7rocprim17ROCPRIM_400000_NS6detail17trampoline_kernelINS0_14default_configENS1_25transform_config_selectorIxLb0EEEZNS1_14transform_implILb0ES3_S5_PxN6thrust23THRUST_200600_302600_NS6detail15normal_iteratorINS9_10device_ptrIxEEEENS0_8identityIxEEEE10hipError_tT2_T3_mT4_P12ihipStream_tbEUlT_E_NS1_11comp_targetILNS1_3genE4ELNS1_11target_archE910ELNS1_3gpuE8ELNS1_3repE0EEENS1_30default_config_static_selectorELNS0_4arch9wavefront6targetE1EEEvT1_,@function
_ZN7rocprim17ROCPRIM_400000_NS6detail17trampoline_kernelINS0_14default_configENS1_25transform_config_selectorIxLb0EEEZNS1_14transform_implILb0ES3_S5_PxN6thrust23THRUST_200600_302600_NS6detail15normal_iteratorINS9_10device_ptrIxEEEENS0_8identityIxEEEE10hipError_tT2_T3_mT4_P12ihipStream_tbEUlT_E_NS1_11comp_targetILNS1_3genE4ELNS1_11target_archE910ELNS1_3gpuE8ELNS1_3repE0EEENS1_30default_config_static_selectorELNS0_4arch9wavefront6targetE1EEEvT1_: ; @_ZN7rocprim17ROCPRIM_400000_NS6detail17trampoline_kernelINS0_14default_configENS1_25transform_config_selectorIxLb0EEEZNS1_14transform_implILb0ES3_S5_PxN6thrust23THRUST_200600_302600_NS6detail15normal_iteratorINS9_10device_ptrIxEEEENS0_8identityIxEEEE10hipError_tT2_T3_mT4_P12ihipStream_tbEUlT_E_NS1_11comp_targetILNS1_3genE4ELNS1_11target_archE910ELNS1_3gpuE8ELNS1_3repE0EEENS1_30default_config_static_selectorELNS0_4arch9wavefront6targetE1EEEvT1_
; %bb.0:
	s_load_dwordx8 s[8:15], s[4:5], 0x0
	s_load_dword s2, s[4:5], 0x28
	v_lshlrev_b32_e32 v8, 3, v0
	s_waitcnt lgkmcnt(0)
	s_lshl_b64 s[0:1], s[10:11], 3
	s_add_u32 s3, s8, s0
	s_addc_u32 s4, s9, s1
	s_add_u32 s7, s14, s0
	s_addc_u32 s13, s15, s1
	s_lshl_b32 s0, s6, 9
	s_mov_b32 s1, 0
	s_add_i32 s2, s2, -1
	s_lshl_b64 s[8:9], s[0:1], 3
	s_add_u32 s10, s3, s8
	s_addc_u32 s11, s4, s9
	s_cmp_lg_u32 s6, s2
	s_cbranch_scc0 .LBB1460_2
; %bb.1:
	global_load_dwordx2 v[2:3], v8, s[10:11]
	global_load_dwordx2 v[4:5], v8, s[10:11] offset:2048
	s_add_u32 s1, s7, s8
	s_addc_u32 s4, s13, s9
	v_mov_b32_e32 v1, s4
	v_add_co_u32_e32 v6, vcc, s1, v8
	v_addc_co_u32_e32 v7, vcc, 0, v1, vcc
	s_mov_b64 s[4:5], -1
	s_waitcnt vmcnt(1)
	flat_store_dwordx2 v[6:7], v[2:3]
	s_cbranch_execz .LBB1460_3
	s_branch .LBB1460_14
.LBB1460_2:
	s_mov_b64 s[4:5], 0
                                        ; implicit-def: $vgpr4_vgpr5
                                        ; implicit-def: $vgpr6_vgpr7
.LBB1460_3:
	s_sub_i32 s2, s12, s0
	v_cmp_gt_u32_e32 vcc, s2, v0
                                        ; implicit-def: $vgpr2_vgpr3_vgpr4_vgpr5
	s_and_saveexec_b64 s[0:1], vcc
	s_cbranch_execz .LBB1460_5
; %bb.4:
	global_load_dwordx2 v[2:3], v8, s[10:11]
.LBB1460_5:
	s_or_b64 exec, exec, s[0:1]
	v_or_b32_e32 v1, 0x100, v0
	v_cmp_gt_u32_e64 s[0:1], s2, v1
	v_cmp_le_u32_e64 s[2:3], s2, v1
	s_and_saveexec_b64 s[14:15], s[2:3]
	s_xor_b64 s[2:3], exec, s[14:15]
; %bb.6:
	v_mov_b32_e32 v1, 0
                                        ; implicit-def: $vgpr8
; %bb.7:
	s_andn2_saveexec_b64 s[2:3], s[2:3]
	s_cbranch_execz .LBB1460_9
; %bb.8:
	global_load_dwordx2 v[4:5], v8, s[10:11] offset:2048
	v_mov_b32_e32 v1, 0
.LBB1460_9:
	s_or_b64 exec, exec, s[2:3]
	s_add_u32 s2, s7, s8
	s_addc_u32 s3, s13, s9
	v_lshlrev_b64 v[0:1], 3, v[0:1]
	v_mov_b32_e32 v7, s3
	v_add_co_u32_e64 v6, s[2:3], s2, v0
	v_addc_co_u32_e64 v7, s[2:3], v7, v1, s[2:3]
	s_and_saveexec_b64 s[2:3], vcc
	s_cbranch_execz .LBB1460_11
; %bb.10:
	s_waitcnt vmcnt(0)
	flat_store_dwordx2 v[6:7], v[2:3]
.LBB1460_11:
	s_or_b64 exec, exec, s[2:3]
	s_and_saveexec_b64 s[2:3], s[0:1]
; %bb.12:
	s_or_b64 s[4:5], s[4:5], exec
; %bb.13:
	s_or_b64 exec, exec, s[2:3]
.LBB1460_14:
	s_and_saveexec_b64 s[0:1], s[4:5]
	s_cbranch_execnz .LBB1460_16
; %bb.15:
	s_endpgm
.LBB1460_16:
	s_waitcnt vmcnt(0)
	flat_store_dwordx2 v[6:7], v[4:5] offset:2048
	s_endpgm
	.section	.rodata,"a",@progbits
	.p2align	6, 0x0
	.amdhsa_kernel _ZN7rocprim17ROCPRIM_400000_NS6detail17trampoline_kernelINS0_14default_configENS1_25transform_config_selectorIxLb0EEEZNS1_14transform_implILb0ES3_S5_PxN6thrust23THRUST_200600_302600_NS6detail15normal_iteratorINS9_10device_ptrIxEEEENS0_8identityIxEEEE10hipError_tT2_T3_mT4_P12ihipStream_tbEUlT_E_NS1_11comp_targetILNS1_3genE4ELNS1_11target_archE910ELNS1_3gpuE8ELNS1_3repE0EEENS1_30default_config_static_selectorELNS0_4arch9wavefront6targetE1EEEvT1_
		.amdhsa_group_segment_fixed_size 0
		.amdhsa_private_segment_fixed_size 0
		.amdhsa_kernarg_size 296
		.amdhsa_user_sgpr_count 6
		.amdhsa_user_sgpr_private_segment_buffer 1
		.amdhsa_user_sgpr_dispatch_ptr 0
		.amdhsa_user_sgpr_queue_ptr 0
		.amdhsa_user_sgpr_kernarg_segment_ptr 1
		.amdhsa_user_sgpr_dispatch_id 0
		.amdhsa_user_sgpr_flat_scratch_init 0
		.amdhsa_user_sgpr_kernarg_preload_length 0
		.amdhsa_user_sgpr_kernarg_preload_offset 0
		.amdhsa_user_sgpr_private_segment_size 0
		.amdhsa_uses_dynamic_stack 0
		.amdhsa_system_sgpr_private_segment_wavefront_offset 0
		.amdhsa_system_sgpr_workgroup_id_x 1
		.amdhsa_system_sgpr_workgroup_id_y 0
		.amdhsa_system_sgpr_workgroup_id_z 0
		.amdhsa_system_sgpr_workgroup_info 0
		.amdhsa_system_vgpr_workitem_id 0
		.amdhsa_next_free_vgpr 9
		.amdhsa_next_free_sgpr 16
		.amdhsa_accum_offset 12
		.amdhsa_reserve_vcc 1
		.amdhsa_reserve_flat_scratch 0
		.amdhsa_float_round_mode_32 0
		.amdhsa_float_round_mode_16_64 0
		.amdhsa_float_denorm_mode_32 3
		.amdhsa_float_denorm_mode_16_64 3
		.amdhsa_dx10_clamp 1
		.amdhsa_ieee_mode 1
		.amdhsa_fp16_overflow 0
		.amdhsa_tg_split 0
		.amdhsa_exception_fp_ieee_invalid_op 0
		.amdhsa_exception_fp_denorm_src 0
		.amdhsa_exception_fp_ieee_div_zero 0
		.amdhsa_exception_fp_ieee_overflow 0
		.amdhsa_exception_fp_ieee_underflow 0
		.amdhsa_exception_fp_ieee_inexact 0
		.amdhsa_exception_int_div_zero 0
	.end_amdhsa_kernel
	.section	.text._ZN7rocprim17ROCPRIM_400000_NS6detail17trampoline_kernelINS0_14default_configENS1_25transform_config_selectorIxLb0EEEZNS1_14transform_implILb0ES3_S5_PxN6thrust23THRUST_200600_302600_NS6detail15normal_iteratorINS9_10device_ptrIxEEEENS0_8identityIxEEEE10hipError_tT2_T3_mT4_P12ihipStream_tbEUlT_E_NS1_11comp_targetILNS1_3genE4ELNS1_11target_archE910ELNS1_3gpuE8ELNS1_3repE0EEENS1_30default_config_static_selectorELNS0_4arch9wavefront6targetE1EEEvT1_,"axG",@progbits,_ZN7rocprim17ROCPRIM_400000_NS6detail17trampoline_kernelINS0_14default_configENS1_25transform_config_selectorIxLb0EEEZNS1_14transform_implILb0ES3_S5_PxN6thrust23THRUST_200600_302600_NS6detail15normal_iteratorINS9_10device_ptrIxEEEENS0_8identityIxEEEE10hipError_tT2_T3_mT4_P12ihipStream_tbEUlT_E_NS1_11comp_targetILNS1_3genE4ELNS1_11target_archE910ELNS1_3gpuE8ELNS1_3repE0EEENS1_30default_config_static_selectorELNS0_4arch9wavefront6targetE1EEEvT1_,comdat
.Lfunc_end1460:
	.size	_ZN7rocprim17ROCPRIM_400000_NS6detail17trampoline_kernelINS0_14default_configENS1_25transform_config_selectorIxLb0EEEZNS1_14transform_implILb0ES3_S5_PxN6thrust23THRUST_200600_302600_NS6detail15normal_iteratorINS9_10device_ptrIxEEEENS0_8identityIxEEEE10hipError_tT2_T3_mT4_P12ihipStream_tbEUlT_E_NS1_11comp_targetILNS1_3genE4ELNS1_11target_archE910ELNS1_3gpuE8ELNS1_3repE0EEENS1_30default_config_static_selectorELNS0_4arch9wavefront6targetE1EEEvT1_, .Lfunc_end1460-_ZN7rocprim17ROCPRIM_400000_NS6detail17trampoline_kernelINS0_14default_configENS1_25transform_config_selectorIxLb0EEEZNS1_14transform_implILb0ES3_S5_PxN6thrust23THRUST_200600_302600_NS6detail15normal_iteratorINS9_10device_ptrIxEEEENS0_8identityIxEEEE10hipError_tT2_T3_mT4_P12ihipStream_tbEUlT_E_NS1_11comp_targetILNS1_3genE4ELNS1_11target_archE910ELNS1_3gpuE8ELNS1_3repE0EEENS1_30default_config_static_selectorELNS0_4arch9wavefront6targetE1EEEvT1_
                                        ; -- End function
	.section	.AMDGPU.csdata,"",@progbits
; Kernel info:
; codeLenInByte = 328
; NumSgprs: 20
; NumVgprs: 9
; NumAgprs: 0
; TotalNumVgprs: 9
; ScratchSize: 0
; MemoryBound: 0
; FloatMode: 240
; IeeeMode: 1
; LDSByteSize: 0 bytes/workgroup (compile time only)
; SGPRBlocks: 2
; VGPRBlocks: 1
; NumSGPRsForWavesPerEU: 20
; NumVGPRsForWavesPerEU: 9
; AccumOffset: 12
; Occupancy: 8
; WaveLimiterHint : 1
; COMPUTE_PGM_RSRC2:SCRATCH_EN: 0
; COMPUTE_PGM_RSRC2:USER_SGPR: 6
; COMPUTE_PGM_RSRC2:TRAP_HANDLER: 0
; COMPUTE_PGM_RSRC2:TGID_X_EN: 1
; COMPUTE_PGM_RSRC2:TGID_Y_EN: 0
; COMPUTE_PGM_RSRC2:TGID_Z_EN: 0
; COMPUTE_PGM_RSRC2:TIDIG_COMP_CNT: 0
; COMPUTE_PGM_RSRC3_GFX90A:ACCUM_OFFSET: 2
; COMPUTE_PGM_RSRC3_GFX90A:TG_SPLIT: 0
	.section	.text._ZN7rocprim17ROCPRIM_400000_NS6detail17trampoline_kernelINS0_14default_configENS1_25transform_config_selectorIxLb0EEEZNS1_14transform_implILb0ES3_S5_PxN6thrust23THRUST_200600_302600_NS6detail15normal_iteratorINS9_10device_ptrIxEEEENS0_8identityIxEEEE10hipError_tT2_T3_mT4_P12ihipStream_tbEUlT_E_NS1_11comp_targetILNS1_3genE3ELNS1_11target_archE908ELNS1_3gpuE7ELNS1_3repE0EEENS1_30default_config_static_selectorELNS0_4arch9wavefront6targetE1EEEvT1_,"axG",@progbits,_ZN7rocprim17ROCPRIM_400000_NS6detail17trampoline_kernelINS0_14default_configENS1_25transform_config_selectorIxLb0EEEZNS1_14transform_implILb0ES3_S5_PxN6thrust23THRUST_200600_302600_NS6detail15normal_iteratorINS9_10device_ptrIxEEEENS0_8identityIxEEEE10hipError_tT2_T3_mT4_P12ihipStream_tbEUlT_E_NS1_11comp_targetILNS1_3genE3ELNS1_11target_archE908ELNS1_3gpuE7ELNS1_3repE0EEENS1_30default_config_static_selectorELNS0_4arch9wavefront6targetE1EEEvT1_,comdat
	.protected	_ZN7rocprim17ROCPRIM_400000_NS6detail17trampoline_kernelINS0_14default_configENS1_25transform_config_selectorIxLb0EEEZNS1_14transform_implILb0ES3_S5_PxN6thrust23THRUST_200600_302600_NS6detail15normal_iteratorINS9_10device_ptrIxEEEENS0_8identityIxEEEE10hipError_tT2_T3_mT4_P12ihipStream_tbEUlT_E_NS1_11comp_targetILNS1_3genE3ELNS1_11target_archE908ELNS1_3gpuE7ELNS1_3repE0EEENS1_30default_config_static_selectorELNS0_4arch9wavefront6targetE1EEEvT1_ ; -- Begin function _ZN7rocprim17ROCPRIM_400000_NS6detail17trampoline_kernelINS0_14default_configENS1_25transform_config_selectorIxLb0EEEZNS1_14transform_implILb0ES3_S5_PxN6thrust23THRUST_200600_302600_NS6detail15normal_iteratorINS9_10device_ptrIxEEEENS0_8identityIxEEEE10hipError_tT2_T3_mT4_P12ihipStream_tbEUlT_E_NS1_11comp_targetILNS1_3genE3ELNS1_11target_archE908ELNS1_3gpuE7ELNS1_3repE0EEENS1_30default_config_static_selectorELNS0_4arch9wavefront6targetE1EEEvT1_
	.globl	_ZN7rocprim17ROCPRIM_400000_NS6detail17trampoline_kernelINS0_14default_configENS1_25transform_config_selectorIxLb0EEEZNS1_14transform_implILb0ES3_S5_PxN6thrust23THRUST_200600_302600_NS6detail15normal_iteratorINS9_10device_ptrIxEEEENS0_8identityIxEEEE10hipError_tT2_T3_mT4_P12ihipStream_tbEUlT_E_NS1_11comp_targetILNS1_3genE3ELNS1_11target_archE908ELNS1_3gpuE7ELNS1_3repE0EEENS1_30default_config_static_selectorELNS0_4arch9wavefront6targetE1EEEvT1_
	.p2align	8
	.type	_ZN7rocprim17ROCPRIM_400000_NS6detail17trampoline_kernelINS0_14default_configENS1_25transform_config_selectorIxLb0EEEZNS1_14transform_implILb0ES3_S5_PxN6thrust23THRUST_200600_302600_NS6detail15normal_iteratorINS9_10device_ptrIxEEEENS0_8identityIxEEEE10hipError_tT2_T3_mT4_P12ihipStream_tbEUlT_E_NS1_11comp_targetILNS1_3genE3ELNS1_11target_archE908ELNS1_3gpuE7ELNS1_3repE0EEENS1_30default_config_static_selectorELNS0_4arch9wavefront6targetE1EEEvT1_,@function
_ZN7rocprim17ROCPRIM_400000_NS6detail17trampoline_kernelINS0_14default_configENS1_25transform_config_selectorIxLb0EEEZNS1_14transform_implILb0ES3_S5_PxN6thrust23THRUST_200600_302600_NS6detail15normal_iteratorINS9_10device_ptrIxEEEENS0_8identityIxEEEE10hipError_tT2_T3_mT4_P12ihipStream_tbEUlT_E_NS1_11comp_targetILNS1_3genE3ELNS1_11target_archE908ELNS1_3gpuE7ELNS1_3repE0EEENS1_30default_config_static_selectorELNS0_4arch9wavefront6targetE1EEEvT1_: ; @_ZN7rocprim17ROCPRIM_400000_NS6detail17trampoline_kernelINS0_14default_configENS1_25transform_config_selectorIxLb0EEEZNS1_14transform_implILb0ES3_S5_PxN6thrust23THRUST_200600_302600_NS6detail15normal_iteratorINS9_10device_ptrIxEEEENS0_8identityIxEEEE10hipError_tT2_T3_mT4_P12ihipStream_tbEUlT_E_NS1_11comp_targetILNS1_3genE3ELNS1_11target_archE908ELNS1_3gpuE7ELNS1_3repE0EEENS1_30default_config_static_selectorELNS0_4arch9wavefront6targetE1EEEvT1_
; %bb.0:
	.section	.rodata,"a",@progbits
	.p2align	6, 0x0
	.amdhsa_kernel _ZN7rocprim17ROCPRIM_400000_NS6detail17trampoline_kernelINS0_14default_configENS1_25transform_config_selectorIxLb0EEEZNS1_14transform_implILb0ES3_S5_PxN6thrust23THRUST_200600_302600_NS6detail15normal_iteratorINS9_10device_ptrIxEEEENS0_8identityIxEEEE10hipError_tT2_T3_mT4_P12ihipStream_tbEUlT_E_NS1_11comp_targetILNS1_3genE3ELNS1_11target_archE908ELNS1_3gpuE7ELNS1_3repE0EEENS1_30default_config_static_selectorELNS0_4arch9wavefront6targetE1EEEvT1_
		.amdhsa_group_segment_fixed_size 0
		.amdhsa_private_segment_fixed_size 0
		.amdhsa_kernarg_size 40
		.amdhsa_user_sgpr_count 6
		.amdhsa_user_sgpr_private_segment_buffer 1
		.amdhsa_user_sgpr_dispatch_ptr 0
		.amdhsa_user_sgpr_queue_ptr 0
		.amdhsa_user_sgpr_kernarg_segment_ptr 1
		.amdhsa_user_sgpr_dispatch_id 0
		.amdhsa_user_sgpr_flat_scratch_init 0
		.amdhsa_user_sgpr_kernarg_preload_length 0
		.amdhsa_user_sgpr_kernarg_preload_offset 0
		.amdhsa_user_sgpr_private_segment_size 0
		.amdhsa_uses_dynamic_stack 0
		.amdhsa_system_sgpr_private_segment_wavefront_offset 0
		.amdhsa_system_sgpr_workgroup_id_x 1
		.amdhsa_system_sgpr_workgroup_id_y 0
		.amdhsa_system_sgpr_workgroup_id_z 0
		.amdhsa_system_sgpr_workgroup_info 0
		.amdhsa_system_vgpr_workitem_id 0
		.amdhsa_next_free_vgpr 1
		.amdhsa_next_free_sgpr 0
		.amdhsa_accum_offset 4
		.amdhsa_reserve_vcc 0
		.amdhsa_reserve_flat_scratch 0
		.amdhsa_float_round_mode_32 0
		.amdhsa_float_round_mode_16_64 0
		.amdhsa_float_denorm_mode_32 3
		.amdhsa_float_denorm_mode_16_64 3
		.amdhsa_dx10_clamp 1
		.amdhsa_ieee_mode 1
		.amdhsa_fp16_overflow 0
		.amdhsa_tg_split 0
		.amdhsa_exception_fp_ieee_invalid_op 0
		.amdhsa_exception_fp_denorm_src 0
		.amdhsa_exception_fp_ieee_div_zero 0
		.amdhsa_exception_fp_ieee_overflow 0
		.amdhsa_exception_fp_ieee_underflow 0
		.amdhsa_exception_fp_ieee_inexact 0
		.amdhsa_exception_int_div_zero 0
	.end_amdhsa_kernel
	.section	.text._ZN7rocprim17ROCPRIM_400000_NS6detail17trampoline_kernelINS0_14default_configENS1_25transform_config_selectorIxLb0EEEZNS1_14transform_implILb0ES3_S5_PxN6thrust23THRUST_200600_302600_NS6detail15normal_iteratorINS9_10device_ptrIxEEEENS0_8identityIxEEEE10hipError_tT2_T3_mT4_P12ihipStream_tbEUlT_E_NS1_11comp_targetILNS1_3genE3ELNS1_11target_archE908ELNS1_3gpuE7ELNS1_3repE0EEENS1_30default_config_static_selectorELNS0_4arch9wavefront6targetE1EEEvT1_,"axG",@progbits,_ZN7rocprim17ROCPRIM_400000_NS6detail17trampoline_kernelINS0_14default_configENS1_25transform_config_selectorIxLb0EEEZNS1_14transform_implILb0ES3_S5_PxN6thrust23THRUST_200600_302600_NS6detail15normal_iteratorINS9_10device_ptrIxEEEENS0_8identityIxEEEE10hipError_tT2_T3_mT4_P12ihipStream_tbEUlT_E_NS1_11comp_targetILNS1_3genE3ELNS1_11target_archE908ELNS1_3gpuE7ELNS1_3repE0EEENS1_30default_config_static_selectorELNS0_4arch9wavefront6targetE1EEEvT1_,comdat
.Lfunc_end1461:
	.size	_ZN7rocprim17ROCPRIM_400000_NS6detail17trampoline_kernelINS0_14default_configENS1_25transform_config_selectorIxLb0EEEZNS1_14transform_implILb0ES3_S5_PxN6thrust23THRUST_200600_302600_NS6detail15normal_iteratorINS9_10device_ptrIxEEEENS0_8identityIxEEEE10hipError_tT2_T3_mT4_P12ihipStream_tbEUlT_E_NS1_11comp_targetILNS1_3genE3ELNS1_11target_archE908ELNS1_3gpuE7ELNS1_3repE0EEENS1_30default_config_static_selectorELNS0_4arch9wavefront6targetE1EEEvT1_, .Lfunc_end1461-_ZN7rocprim17ROCPRIM_400000_NS6detail17trampoline_kernelINS0_14default_configENS1_25transform_config_selectorIxLb0EEEZNS1_14transform_implILb0ES3_S5_PxN6thrust23THRUST_200600_302600_NS6detail15normal_iteratorINS9_10device_ptrIxEEEENS0_8identityIxEEEE10hipError_tT2_T3_mT4_P12ihipStream_tbEUlT_E_NS1_11comp_targetILNS1_3genE3ELNS1_11target_archE908ELNS1_3gpuE7ELNS1_3repE0EEENS1_30default_config_static_selectorELNS0_4arch9wavefront6targetE1EEEvT1_
                                        ; -- End function
	.section	.AMDGPU.csdata,"",@progbits
; Kernel info:
; codeLenInByte = 0
; NumSgprs: 4
; NumVgprs: 0
; NumAgprs: 0
; TotalNumVgprs: 0
; ScratchSize: 0
; MemoryBound: 0
; FloatMode: 240
; IeeeMode: 1
; LDSByteSize: 0 bytes/workgroup (compile time only)
; SGPRBlocks: 0
; VGPRBlocks: 0
; NumSGPRsForWavesPerEU: 4
; NumVGPRsForWavesPerEU: 1
; AccumOffset: 4
; Occupancy: 8
; WaveLimiterHint : 0
; COMPUTE_PGM_RSRC2:SCRATCH_EN: 0
; COMPUTE_PGM_RSRC2:USER_SGPR: 6
; COMPUTE_PGM_RSRC2:TRAP_HANDLER: 0
; COMPUTE_PGM_RSRC2:TGID_X_EN: 1
; COMPUTE_PGM_RSRC2:TGID_Y_EN: 0
; COMPUTE_PGM_RSRC2:TGID_Z_EN: 0
; COMPUTE_PGM_RSRC2:TIDIG_COMP_CNT: 0
; COMPUTE_PGM_RSRC3_GFX90A:ACCUM_OFFSET: 0
; COMPUTE_PGM_RSRC3_GFX90A:TG_SPLIT: 0
	.section	.text._ZN7rocprim17ROCPRIM_400000_NS6detail17trampoline_kernelINS0_14default_configENS1_25transform_config_selectorIxLb0EEEZNS1_14transform_implILb0ES3_S5_PxN6thrust23THRUST_200600_302600_NS6detail15normal_iteratorINS9_10device_ptrIxEEEENS0_8identityIxEEEE10hipError_tT2_T3_mT4_P12ihipStream_tbEUlT_E_NS1_11comp_targetILNS1_3genE2ELNS1_11target_archE906ELNS1_3gpuE6ELNS1_3repE0EEENS1_30default_config_static_selectorELNS0_4arch9wavefront6targetE1EEEvT1_,"axG",@progbits,_ZN7rocprim17ROCPRIM_400000_NS6detail17trampoline_kernelINS0_14default_configENS1_25transform_config_selectorIxLb0EEEZNS1_14transform_implILb0ES3_S5_PxN6thrust23THRUST_200600_302600_NS6detail15normal_iteratorINS9_10device_ptrIxEEEENS0_8identityIxEEEE10hipError_tT2_T3_mT4_P12ihipStream_tbEUlT_E_NS1_11comp_targetILNS1_3genE2ELNS1_11target_archE906ELNS1_3gpuE6ELNS1_3repE0EEENS1_30default_config_static_selectorELNS0_4arch9wavefront6targetE1EEEvT1_,comdat
	.protected	_ZN7rocprim17ROCPRIM_400000_NS6detail17trampoline_kernelINS0_14default_configENS1_25transform_config_selectorIxLb0EEEZNS1_14transform_implILb0ES3_S5_PxN6thrust23THRUST_200600_302600_NS6detail15normal_iteratorINS9_10device_ptrIxEEEENS0_8identityIxEEEE10hipError_tT2_T3_mT4_P12ihipStream_tbEUlT_E_NS1_11comp_targetILNS1_3genE2ELNS1_11target_archE906ELNS1_3gpuE6ELNS1_3repE0EEENS1_30default_config_static_selectorELNS0_4arch9wavefront6targetE1EEEvT1_ ; -- Begin function _ZN7rocprim17ROCPRIM_400000_NS6detail17trampoline_kernelINS0_14default_configENS1_25transform_config_selectorIxLb0EEEZNS1_14transform_implILb0ES3_S5_PxN6thrust23THRUST_200600_302600_NS6detail15normal_iteratorINS9_10device_ptrIxEEEENS0_8identityIxEEEE10hipError_tT2_T3_mT4_P12ihipStream_tbEUlT_E_NS1_11comp_targetILNS1_3genE2ELNS1_11target_archE906ELNS1_3gpuE6ELNS1_3repE0EEENS1_30default_config_static_selectorELNS0_4arch9wavefront6targetE1EEEvT1_
	.globl	_ZN7rocprim17ROCPRIM_400000_NS6detail17trampoline_kernelINS0_14default_configENS1_25transform_config_selectorIxLb0EEEZNS1_14transform_implILb0ES3_S5_PxN6thrust23THRUST_200600_302600_NS6detail15normal_iteratorINS9_10device_ptrIxEEEENS0_8identityIxEEEE10hipError_tT2_T3_mT4_P12ihipStream_tbEUlT_E_NS1_11comp_targetILNS1_3genE2ELNS1_11target_archE906ELNS1_3gpuE6ELNS1_3repE0EEENS1_30default_config_static_selectorELNS0_4arch9wavefront6targetE1EEEvT1_
	.p2align	8
	.type	_ZN7rocprim17ROCPRIM_400000_NS6detail17trampoline_kernelINS0_14default_configENS1_25transform_config_selectorIxLb0EEEZNS1_14transform_implILb0ES3_S5_PxN6thrust23THRUST_200600_302600_NS6detail15normal_iteratorINS9_10device_ptrIxEEEENS0_8identityIxEEEE10hipError_tT2_T3_mT4_P12ihipStream_tbEUlT_E_NS1_11comp_targetILNS1_3genE2ELNS1_11target_archE906ELNS1_3gpuE6ELNS1_3repE0EEENS1_30default_config_static_selectorELNS0_4arch9wavefront6targetE1EEEvT1_,@function
_ZN7rocprim17ROCPRIM_400000_NS6detail17trampoline_kernelINS0_14default_configENS1_25transform_config_selectorIxLb0EEEZNS1_14transform_implILb0ES3_S5_PxN6thrust23THRUST_200600_302600_NS6detail15normal_iteratorINS9_10device_ptrIxEEEENS0_8identityIxEEEE10hipError_tT2_T3_mT4_P12ihipStream_tbEUlT_E_NS1_11comp_targetILNS1_3genE2ELNS1_11target_archE906ELNS1_3gpuE6ELNS1_3repE0EEENS1_30default_config_static_selectorELNS0_4arch9wavefront6targetE1EEEvT1_: ; @_ZN7rocprim17ROCPRIM_400000_NS6detail17trampoline_kernelINS0_14default_configENS1_25transform_config_selectorIxLb0EEEZNS1_14transform_implILb0ES3_S5_PxN6thrust23THRUST_200600_302600_NS6detail15normal_iteratorINS9_10device_ptrIxEEEENS0_8identityIxEEEE10hipError_tT2_T3_mT4_P12ihipStream_tbEUlT_E_NS1_11comp_targetILNS1_3genE2ELNS1_11target_archE906ELNS1_3gpuE6ELNS1_3repE0EEENS1_30default_config_static_selectorELNS0_4arch9wavefront6targetE1EEEvT1_
; %bb.0:
	.section	.rodata,"a",@progbits
	.p2align	6, 0x0
	.amdhsa_kernel _ZN7rocprim17ROCPRIM_400000_NS6detail17trampoline_kernelINS0_14default_configENS1_25transform_config_selectorIxLb0EEEZNS1_14transform_implILb0ES3_S5_PxN6thrust23THRUST_200600_302600_NS6detail15normal_iteratorINS9_10device_ptrIxEEEENS0_8identityIxEEEE10hipError_tT2_T3_mT4_P12ihipStream_tbEUlT_E_NS1_11comp_targetILNS1_3genE2ELNS1_11target_archE906ELNS1_3gpuE6ELNS1_3repE0EEENS1_30default_config_static_selectorELNS0_4arch9wavefront6targetE1EEEvT1_
		.amdhsa_group_segment_fixed_size 0
		.amdhsa_private_segment_fixed_size 0
		.amdhsa_kernarg_size 40
		.amdhsa_user_sgpr_count 6
		.amdhsa_user_sgpr_private_segment_buffer 1
		.amdhsa_user_sgpr_dispatch_ptr 0
		.amdhsa_user_sgpr_queue_ptr 0
		.amdhsa_user_sgpr_kernarg_segment_ptr 1
		.amdhsa_user_sgpr_dispatch_id 0
		.amdhsa_user_sgpr_flat_scratch_init 0
		.amdhsa_user_sgpr_kernarg_preload_length 0
		.amdhsa_user_sgpr_kernarg_preload_offset 0
		.amdhsa_user_sgpr_private_segment_size 0
		.amdhsa_uses_dynamic_stack 0
		.amdhsa_system_sgpr_private_segment_wavefront_offset 0
		.amdhsa_system_sgpr_workgroup_id_x 1
		.amdhsa_system_sgpr_workgroup_id_y 0
		.amdhsa_system_sgpr_workgroup_id_z 0
		.amdhsa_system_sgpr_workgroup_info 0
		.amdhsa_system_vgpr_workitem_id 0
		.amdhsa_next_free_vgpr 1
		.amdhsa_next_free_sgpr 0
		.amdhsa_accum_offset 4
		.amdhsa_reserve_vcc 0
		.amdhsa_reserve_flat_scratch 0
		.amdhsa_float_round_mode_32 0
		.amdhsa_float_round_mode_16_64 0
		.amdhsa_float_denorm_mode_32 3
		.amdhsa_float_denorm_mode_16_64 3
		.amdhsa_dx10_clamp 1
		.amdhsa_ieee_mode 1
		.amdhsa_fp16_overflow 0
		.amdhsa_tg_split 0
		.amdhsa_exception_fp_ieee_invalid_op 0
		.amdhsa_exception_fp_denorm_src 0
		.amdhsa_exception_fp_ieee_div_zero 0
		.amdhsa_exception_fp_ieee_overflow 0
		.amdhsa_exception_fp_ieee_underflow 0
		.amdhsa_exception_fp_ieee_inexact 0
		.amdhsa_exception_int_div_zero 0
	.end_amdhsa_kernel
	.section	.text._ZN7rocprim17ROCPRIM_400000_NS6detail17trampoline_kernelINS0_14default_configENS1_25transform_config_selectorIxLb0EEEZNS1_14transform_implILb0ES3_S5_PxN6thrust23THRUST_200600_302600_NS6detail15normal_iteratorINS9_10device_ptrIxEEEENS0_8identityIxEEEE10hipError_tT2_T3_mT4_P12ihipStream_tbEUlT_E_NS1_11comp_targetILNS1_3genE2ELNS1_11target_archE906ELNS1_3gpuE6ELNS1_3repE0EEENS1_30default_config_static_selectorELNS0_4arch9wavefront6targetE1EEEvT1_,"axG",@progbits,_ZN7rocprim17ROCPRIM_400000_NS6detail17trampoline_kernelINS0_14default_configENS1_25transform_config_selectorIxLb0EEEZNS1_14transform_implILb0ES3_S5_PxN6thrust23THRUST_200600_302600_NS6detail15normal_iteratorINS9_10device_ptrIxEEEENS0_8identityIxEEEE10hipError_tT2_T3_mT4_P12ihipStream_tbEUlT_E_NS1_11comp_targetILNS1_3genE2ELNS1_11target_archE906ELNS1_3gpuE6ELNS1_3repE0EEENS1_30default_config_static_selectorELNS0_4arch9wavefront6targetE1EEEvT1_,comdat
.Lfunc_end1462:
	.size	_ZN7rocprim17ROCPRIM_400000_NS6detail17trampoline_kernelINS0_14default_configENS1_25transform_config_selectorIxLb0EEEZNS1_14transform_implILb0ES3_S5_PxN6thrust23THRUST_200600_302600_NS6detail15normal_iteratorINS9_10device_ptrIxEEEENS0_8identityIxEEEE10hipError_tT2_T3_mT4_P12ihipStream_tbEUlT_E_NS1_11comp_targetILNS1_3genE2ELNS1_11target_archE906ELNS1_3gpuE6ELNS1_3repE0EEENS1_30default_config_static_selectorELNS0_4arch9wavefront6targetE1EEEvT1_, .Lfunc_end1462-_ZN7rocprim17ROCPRIM_400000_NS6detail17trampoline_kernelINS0_14default_configENS1_25transform_config_selectorIxLb0EEEZNS1_14transform_implILb0ES3_S5_PxN6thrust23THRUST_200600_302600_NS6detail15normal_iteratorINS9_10device_ptrIxEEEENS0_8identityIxEEEE10hipError_tT2_T3_mT4_P12ihipStream_tbEUlT_E_NS1_11comp_targetILNS1_3genE2ELNS1_11target_archE906ELNS1_3gpuE6ELNS1_3repE0EEENS1_30default_config_static_selectorELNS0_4arch9wavefront6targetE1EEEvT1_
                                        ; -- End function
	.section	.AMDGPU.csdata,"",@progbits
; Kernel info:
; codeLenInByte = 0
; NumSgprs: 4
; NumVgprs: 0
; NumAgprs: 0
; TotalNumVgprs: 0
; ScratchSize: 0
; MemoryBound: 0
; FloatMode: 240
; IeeeMode: 1
; LDSByteSize: 0 bytes/workgroup (compile time only)
; SGPRBlocks: 0
; VGPRBlocks: 0
; NumSGPRsForWavesPerEU: 4
; NumVGPRsForWavesPerEU: 1
; AccumOffset: 4
; Occupancy: 8
; WaveLimiterHint : 0
; COMPUTE_PGM_RSRC2:SCRATCH_EN: 0
; COMPUTE_PGM_RSRC2:USER_SGPR: 6
; COMPUTE_PGM_RSRC2:TRAP_HANDLER: 0
; COMPUTE_PGM_RSRC2:TGID_X_EN: 1
; COMPUTE_PGM_RSRC2:TGID_Y_EN: 0
; COMPUTE_PGM_RSRC2:TGID_Z_EN: 0
; COMPUTE_PGM_RSRC2:TIDIG_COMP_CNT: 0
; COMPUTE_PGM_RSRC3_GFX90A:ACCUM_OFFSET: 0
; COMPUTE_PGM_RSRC3_GFX90A:TG_SPLIT: 0
	.section	.text._ZN7rocprim17ROCPRIM_400000_NS6detail17trampoline_kernelINS0_14default_configENS1_25transform_config_selectorIxLb0EEEZNS1_14transform_implILb0ES3_S5_PxN6thrust23THRUST_200600_302600_NS6detail15normal_iteratorINS9_10device_ptrIxEEEENS0_8identityIxEEEE10hipError_tT2_T3_mT4_P12ihipStream_tbEUlT_E_NS1_11comp_targetILNS1_3genE10ELNS1_11target_archE1201ELNS1_3gpuE5ELNS1_3repE0EEENS1_30default_config_static_selectorELNS0_4arch9wavefront6targetE1EEEvT1_,"axG",@progbits,_ZN7rocprim17ROCPRIM_400000_NS6detail17trampoline_kernelINS0_14default_configENS1_25transform_config_selectorIxLb0EEEZNS1_14transform_implILb0ES3_S5_PxN6thrust23THRUST_200600_302600_NS6detail15normal_iteratorINS9_10device_ptrIxEEEENS0_8identityIxEEEE10hipError_tT2_T3_mT4_P12ihipStream_tbEUlT_E_NS1_11comp_targetILNS1_3genE10ELNS1_11target_archE1201ELNS1_3gpuE5ELNS1_3repE0EEENS1_30default_config_static_selectorELNS0_4arch9wavefront6targetE1EEEvT1_,comdat
	.protected	_ZN7rocprim17ROCPRIM_400000_NS6detail17trampoline_kernelINS0_14default_configENS1_25transform_config_selectorIxLb0EEEZNS1_14transform_implILb0ES3_S5_PxN6thrust23THRUST_200600_302600_NS6detail15normal_iteratorINS9_10device_ptrIxEEEENS0_8identityIxEEEE10hipError_tT2_T3_mT4_P12ihipStream_tbEUlT_E_NS1_11comp_targetILNS1_3genE10ELNS1_11target_archE1201ELNS1_3gpuE5ELNS1_3repE0EEENS1_30default_config_static_selectorELNS0_4arch9wavefront6targetE1EEEvT1_ ; -- Begin function _ZN7rocprim17ROCPRIM_400000_NS6detail17trampoline_kernelINS0_14default_configENS1_25transform_config_selectorIxLb0EEEZNS1_14transform_implILb0ES3_S5_PxN6thrust23THRUST_200600_302600_NS6detail15normal_iteratorINS9_10device_ptrIxEEEENS0_8identityIxEEEE10hipError_tT2_T3_mT4_P12ihipStream_tbEUlT_E_NS1_11comp_targetILNS1_3genE10ELNS1_11target_archE1201ELNS1_3gpuE5ELNS1_3repE0EEENS1_30default_config_static_selectorELNS0_4arch9wavefront6targetE1EEEvT1_
	.globl	_ZN7rocprim17ROCPRIM_400000_NS6detail17trampoline_kernelINS0_14default_configENS1_25transform_config_selectorIxLb0EEEZNS1_14transform_implILb0ES3_S5_PxN6thrust23THRUST_200600_302600_NS6detail15normal_iteratorINS9_10device_ptrIxEEEENS0_8identityIxEEEE10hipError_tT2_T3_mT4_P12ihipStream_tbEUlT_E_NS1_11comp_targetILNS1_3genE10ELNS1_11target_archE1201ELNS1_3gpuE5ELNS1_3repE0EEENS1_30default_config_static_selectorELNS0_4arch9wavefront6targetE1EEEvT1_
	.p2align	8
	.type	_ZN7rocprim17ROCPRIM_400000_NS6detail17trampoline_kernelINS0_14default_configENS1_25transform_config_selectorIxLb0EEEZNS1_14transform_implILb0ES3_S5_PxN6thrust23THRUST_200600_302600_NS6detail15normal_iteratorINS9_10device_ptrIxEEEENS0_8identityIxEEEE10hipError_tT2_T3_mT4_P12ihipStream_tbEUlT_E_NS1_11comp_targetILNS1_3genE10ELNS1_11target_archE1201ELNS1_3gpuE5ELNS1_3repE0EEENS1_30default_config_static_selectorELNS0_4arch9wavefront6targetE1EEEvT1_,@function
_ZN7rocprim17ROCPRIM_400000_NS6detail17trampoline_kernelINS0_14default_configENS1_25transform_config_selectorIxLb0EEEZNS1_14transform_implILb0ES3_S5_PxN6thrust23THRUST_200600_302600_NS6detail15normal_iteratorINS9_10device_ptrIxEEEENS0_8identityIxEEEE10hipError_tT2_T3_mT4_P12ihipStream_tbEUlT_E_NS1_11comp_targetILNS1_3genE10ELNS1_11target_archE1201ELNS1_3gpuE5ELNS1_3repE0EEENS1_30default_config_static_selectorELNS0_4arch9wavefront6targetE1EEEvT1_: ; @_ZN7rocprim17ROCPRIM_400000_NS6detail17trampoline_kernelINS0_14default_configENS1_25transform_config_selectorIxLb0EEEZNS1_14transform_implILb0ES3_S5_PxN6thrust23THRUST_200600_302600_NS6detail15normal_iteratorINS9_10device_ptrIxEEEENS0_8identityIxEEEE10hipError_tT2_T3_mT4_P12ihipStream_tbEUlT_E_NS1_11comp_targetILNS1_3genE10ELNS1_11target_archE1201ELNS1_3gpuE5ELNS1_3repE0EEENS1_30default_config_static_selectorELNS0_4arch9wavefront6targetE1EEEvT1_
; %bb.0:
	.section	.rodata,"a",@progbits
	.p2align	6, 0x0
	.amdhsa_kernel _ZN7rocprim17ROCPRIM_400000_NS6detail17trampoline_kernelINS0_14default_configENS1_25transform_config_selectorIxLb0EEEZNS1_14transform_implILb0ES3_S5_PxN6thrust23THRUST_200600_302600_NS6detail15normal_iteratorINS9_10device_ptrIxEEEENS0_8identityIxEEEE10hipError_tT2_T3_mT4_P12ihipStream_tbEUlT_E_NS1_11comp_targetILNS1_3genE10ELNS1_11target_archE1201ELNS1_3gpuE5ELNS1_3repE0EEENS1_30default_config_static_selectorELNS0_4arch9wavefront6targetE1EEEvT1_
		.amdhsa_group_segment_fixed_size 0
		.amdhsa_private_segment_fixed_size 0
		.amdhsa_kernarg_size 40
		.amdhsa_user_sgpr_count 6
		.amdhsa_user_sgpr_private_segment_buffer 1
		.amdhsa_user_sgpr_dispatch_ptr 0
		.amdhsa_user_sgpr_queue_ptr 0
		.amdhsa_user_sgpr_kernarg_segment_ptr 1
		.amdhsa_user_sgpr_dispatch_id 0
		.amdhsa_user_sgpr_flat_scratch_init 0
		.amdhsa_user_sgpr_kernarg_preload_length 0
		.amdhsa_user_sgpr_kernarg_preload_offset 0
		.amdhsa_user_sgpr_private_segment_size 0
		.amdhsa_uses_dynamic_stack 0
		.amdhsa_system_sgpr_private_segment_wavefront_offset 0
		.amdhsa_system_sgpr_workgroup_id_x 1
		.amdhsa_system_sgpr_workgroup_id_y 0
		.amdhsa_system_sgpr_workgroup_id_z 0
		.amdhsa_system_sgpr_workgroup_info 0
		.amdhsa_system_vgpr_workitem_id 0
		.amdhsa_next_free_vgpr 1
		.amdhsa_next_free_sgpr 0
		.amdhsa_accum_offset 4
		.amdhsa_reserve_vcc 0
		.amdhsa_reserve_flat_scratch 0
		.amdhsa_float_round_mode_32 0
		.amdhsa_float_round_mode_16_64 0
		.amdhsa_float_denorm_mode_32 3
		.amdhsa_float_denorm_mode_16_64 3
		.amdhsa_dx10_clamp 1
		.amdhsa_ieee_mode 1
		.amdhsa_fp16_overflow 0
		.amdhsa_tg_split 0
		.amdhsa_exception_fp_ieee_invalid_op 0
		.amdhsa_exception_fp_denorm_src 0
		.amdhsa_exception_fp_ieee_div_zero 0
		.amdhsa_exception_fp_ieee_overflow 0
		.amdhsa_exception_fp_ieee_underflow 0
		.amdhsa_exception_fp_ieee_inexact 0
		.amdhsa_exception_int_div_zero 0
	.end_amdhsa_kernel
	.section	.text._ZN7rocprim17ROCPRIM_400000_NS6detail17trampoline_kernelINS0_14default_configENS1_25transform_config_selectorIxLb0EEEZNS1_14transform_implILb0ES3_S5_PxN6thrust23THRUST_200600_302600_NS6detail15normal_iteratorINS9_10device_ptrIxEEEENS0_8identityIxEEEE10hipError_tT2_T3_mT4_P12ihipStream_tbEUlT_E_NS1_11comp_targetILNS1_3genE10ELNS1_11target_archE1201ELNS1_3gpuE5ELNS1_3repE0EEENS1_30default_config_static_selectorELNS0_4arch9wavefront6targetE1EEEvT1_,"axG",@progbits,_ZN7rocprim17ROCPRIM_400000_NS6detail17trampoline_kernelINS0_14default_configENS1_25transform_config_selectorIxLb0EEEZNS1_14transform_implILb0ES3_S5_PxN6thrust23THRUST_200600_302600_NS6detail15normal_iteratorINS9_10device_ptrIxEEEENS0_8identityIxEEEE10hipError_tT2_T3_mT4_P12ihipStream_tbEUlT_E_NS1_11comp_targetILNS1_3genE10ELNS1_11target_archE1201ELNS1_3gpuE5ELNS1_3repE0EEENS1_30default_config_static_selectorELNS0_4arch9wavefront6targetE1EEEvT1_,comdat
.Lfunc_end1463:
	.size	_ZN7rocprim17ROCPRIM_400000_NS6detail17trampoline_kernelINS0_14default_configENS1_25transform_config_selectorIxLb0EEEZNS1_14transform_implILb0ES3_S5_PxN6thrust23THRUST_200600_302600_NS6detail15normal_iteratorINS9_10device_ptrIxEEEENS0_8identityIxEEEE10hipError_tT2_T3_mT4_P12ihipStream_tbEUlT_E_NS1_11comp_targetILNS1_3genE10ELNS1_11target_archE1201ELNS1_3gpuE5ELNS1_3repE0EEENS1_30default_config_static_selectorELNS0_4arch9wavefront6targetE1EEEvT1_, .Lfunc_end1463-_ZN7rocprim17ROCPRIM_400000_NS6detail17trampoline_kernelINS0_14default_configENS1_25transform_config_selectorIxLb0EEEZNS1_14transform_implILb0ES3_S5_PxN6thrust23THRUST_200600_302600_NS6detail15normal_iteratorINS9_10device_ptrIxEEEENS0_8identityIxEEEE10hipError_tT2_T3_mT4_P12ihipStream_tbEUlT_E_NS1_11comp_targetILNS1_3genE10ELNS1_11target_archE1201ELNS1_3gpuE5ELNS1_3repE0EEENS1_30default_config_static_selectorELNS0_4arch9wavefront6targetE1EEEvT1_
                                        ; -- End function
	.section	.AMDGPU.csdata,"",@progbits
; Kernel info:
; codeLenInByte = 0
; NumSgprs: 4
; NumVgprs: 0
; NumAgprs: 0
; TotalNumVgprs: 0
; ScratchSize: 0
; MemoryBound: 0
; FloatMode: 240
; IeeeMode: 1
; LDSByteSize: 0 bytes/workgroup (compile time only)
; SGPRBlocks: 0
; VGPRBlocks: 0
; NumSGPRsForWavesPerEU: 4
; NumVGPRsForWavesPerEU: 1
; AccumOffset: 4
; Occupancy: 8
; WaveLimiterHint : 0
; COMPUTE_PGM_RSRC2:SCRATCH_EN: 0
; COMPUTE_PGM_RSRC2:USER_SGPR: 6
; COMPUTE_PGM_RSRC2:TRAP_HANDLER: 0
; COMPUTE_PGM_RSRC2:TGID_X_EN: 1
; COMPUTE_PGM_RSRC2:TGID_Y_EN: 0
; COMPUTE_PGM_RSRC2:TGID_Z_EN: 0
; COMPUTE_PGM_RSRC2:TIDIG_COMP_CNT: 0
; COMPUTE_PGM_RSRC3_GFX90A:ACCUM_OFFSET: 0
; COMPUTE_PGM_RSRC3_GFX90A:TG_SPLIT: 0
	.section	.text._ZN7rocprim17ROCPRIM_400000_NS6detail17trampoline_kernelINS0_14default_configENS1_25transform_config_selectorIxLb0EEEZNS1_14transform_implILb0ES3_S5_PxN6thrust23THRUST_200600_302600_NS6detail15normal_iteratorINS9_10device_ptrIxEEEENS0_8identityIxEEEE10hipError_tT2_T3_mT4_P12ihipStream_tbEUlT_E_NS1_11comp_targetILNS1_3genE10ELNS1_11target_archE1200ELNS1_3gpuE4ELNS1_3repE0EEENS1_30default_config_static_selectorELNS0_4arch9wavefront6targetE1EEEvT1_,"axG",@progbits,_ZN7rocprim17ROCPRIM_400000_NS6detail17trampoline_kernelINS0_14default_configENS1_25transform_config_selectorIxLb0EEEZNS1_14transform_implILb0ES3_S5_PxN6thrust23THRUST_200600_302600_NS6detail15normal_iteratorINS9_10device_ptrIxEEEENS0_8identityIxEEEE10hipError_tT2_T3_mT4_P12ihipStream_tbEUlT_E_NS1_11comp_targetILNS1_3genE10ELNS1_11target_archE1200ELNS1_3gpuE4ELNS1_3repE0EEENS1_30default_config_static_selectorELNS0_4arch9wavefront6targetE1EEEvT1_,comdat
	.protected	_ZN7rocprim17ROCPRIM_400000_NS6detail17trampoline_kernelINS0_14default_configENS1_25transform_config_selectorIxLb0EEEZNS1_14transform_implILb0ES3_S5_PxN6thrust23THRUST_200600_302600_NS6detail15normal_iteratorINS9_10device_ptrIxEEEENS0_8identityIxEEEE10hipError_tT2_T3_mT4_P12ihipStream_tbEUlT_E_NS1_11comp_targetILNS1_3genE10ELNS1_11target_archE1200ELNS1_3gpuE4ELNS1_3repE0EEENS1_30default_config_static_selectorELNS0_4arch9wavefront6targetE1EEEvT1_ ; -- Begin function _ZN7rocprim17ROCPRIM_400000_NS6detail17trampoline_kernelINS0_14default_configENS1_25transform_config_selectorIxLb0EEEZNS1_14transform_implILb0ES3_S5_PxN6thrust23THRUST_200600_302600_NS6detail15normal_iteratorINS9_10device_ptrIxEEEENS0_8identityIxEEEE10hipError_tT2_T3_mT4_P12ihipStream_tbEUlT_E_NS1_11comp_targetILNS1_3genE10ELNS1_11target_archE1200ELNS1_3gpuE4ELNS1_3repE0EEENS1_30default_config_static_selectorELNS0_4arch9wavefront6targetE1EEEvT1_
	.globl	_ZN7rocprim17ROCPRIM_400000_NS6detail17trampoline_kernelINS0_14default_configENS1_25transform_config_selectorIxLb0EEEZNS1_14transform_implILb0ES3_S5_PxN6thrust23THRUST_200600_302600_NS6detail15normal_iteratorINS9_10device_ptrIxEEEENS0_8identityIxEEEE10hipError_tT2_T3_mT4_P12ihipStream_tbEUlT_E_NS1_11comp_targetILNS1_3genE10ELNS1_11target_archE1200ELNS1_3gpuE4ELNS1_3repE0EEENS1_30default_config_static_selectorELNS0_4arch9wavefront6targetE1EEEvT1_
	.p2align	8
	.type	_ZN7rocprim17ROCPRIM_400000_NS6detail17trampoline_kernelINS0_14default_configENS1_25transform_config_selectorIxLb0EEEZNS1_14transform_implILb0ES3_S5_PxN6thrust23THRUST_200600_302600_NS6detail15normal_iteratorINS9_10device_ptrIxEEEENS0_8identityIxEEEE10hipError_tT2_T3_mT4_P12ihipStream_tbEUlT_E_NS1_11comp_targetILNS1_3genE10ELNS1_11target_archE1200ELNS1_3gpuE4ELNS1_3repE0EEENS1_30default_config_static_selectorELNS0_4arch9wavefront6targetE1EEEvT1_,@function
_ZN7rocprim17ROCPRIM_400000_NS6detail17trampoline_kernelINS0_14default_configENS1_25transform_config_selectorIxLb0EEEZNS1_14transform_implILb0ES3_S5_PxN6thrust23THRUST_200600_302600_NS6detail15normal_iteratorINS9_10device_ptrIxEEEENS0_8identityIxEEEE10hipError_tT2_T3_mT4_P12ihipStream_tbEUlT_E_NS1_11comp_targetILNS1_3genE10ELNS1_11target_archE1200ELNS1_3gpuE4ELNS1_3repE0EEENS1_30default_config_static_selectorELNS0_4arch9wavefront6targetE1EEEvT1_: ; @_ZN7rocprim17ROCPRIM_400000_NS6detail17trampoline_kernelINS0_14default_configENS1_25transform_config_selectorIxLb0EEEZNS1_14transform_implILb0ES3_S5_PxN6thrust23THRUST_200600_302600_NS6detail15normal_iteratorINS9_10device_ptrIxEEEENS0_8identityIxEEEE10hipError_tT2_T3_mT4_P12ihipStream_tbEUlT_E_NS1_11comp_targetILNS1_3genE10ELNS1_11target_archE1200ELNS1_3gpuE4ELNS1_3repE0EEENS1_30default_config_static_selectorELNS0_4arch9wavefront6targetE1EEEvT1_
; %bb.0:
	.section	.rodata,"a",@progbits
	.p2align	6, 0x0
	.amdhsa_kernel _ZN7rocprim17ROCPRIM_400000_NS6detail17trampoline_kernelINS0_14default_configENS1_25transform_config_selectorIxLb0EEEZNS1_14transform_implILb0ES3_S5_PxN6thrust23THRUST_200600_302600_NS6detail15normal_iteratorINS9_10device_ptrIxEEEENS0_8identityIxEEEE10hipError_tT2_T3_mT4_P12ihipStream_tbEUlT_E_NS1_11comp_targetILNS1_3genE10ELNS1_11target_archE1200ELNS1_3gpuE4ELNS1_3repE0EEENS1_30default_config_static_selectorELNS0_4arch9wavefront6targetE1EEEvT1_
		.amdhsa_group_segment_fixed_size 0
		.amdhsa_private_segment_fixed_size 0
		.amdhsa_kernarg_size 40
		.amdhsa_user_sgpr_count 6
		.amdhsa_user_sgpr_private_segment_buffer 1
		.amdhsa_user_sgpr_dispatch_ptr 0
		.amdhsa_user_sgpr_queue_ptr 0
		.amdhsa_user_sgpr_kernarg_segment_ptr 1
		.amdhsa_user_sgpr_dispatch_id 0
		.amdhsa_user_sgpr_flat_scratch_init 0
		.amdhsa_user_sgpr_kernarg_preload_length 0
		.amdhsa_user_sgpr_kernarg_preload_offset 0
		.amdhsa_user_sgpr_private_segment_size 0
		.amdhsa_uses_dynamic_stack 0
		.amdhsa_system_sgpr_private_segment_wavefront_offset 0
		.amdhsa_system_sgpr_workgroup_id_x 1
		.amdhsa_system_sgpr_workgroup_id_y 0
		.amdhsa_system_sgpr_workgroup_id_z 0
		.amdhsa_system_sgpr_workgroup_info 0
		.amdhsa_system_vgpr_workitem_id 0
		.amdhsa_next_free_vgpr 1
		.amdhsa_next_free_sgpr 0
		.amdhsa_accum_offset 4
		.amdhsa_reserve_vcc 0
		.amdhsa_reserve_flat_scratch 0
		.amdhsa_float_round_mode_32 0
		.amdhsa_float_round_mode_16_64 0
		.amdhsa_float_denorm_mode_32 3
		.amdhsa_float_denorm_mode_16_64 3
		.amdhsa_dx10_clamp 1
		.amdhsa_ieee_mode 1
		.amdhsa_fp16_overflow 0
		.amdhsa_tg_split 0
		.amdhsa_exception_fp_ieee_invalid_op 0
		.amdhsa_exception_fp_denorm_src 0
		.amdhsa_exception_fp_ieee_div_zero 0
		.amdhsa_exception_fp_ieee_overflow 0
		.amdhsa_exception_fp_ieee_underflow 0
		.amdhsa_exception_fp_ieee_inexact 0
		.amdhsa_exception_int_div_zero 0
	.end_amdhsa_kernel
	.section	.text._ZN7rocprim17ROCPRIM_400000_NS6detail17trampoline_kernelINS0_14default_configENS1_25transform_config_selectorIxLb0EEEZNS1_14transform_implILb0ES3_S5_PxN6thrust23THRUST_200600_302600_NS6detail15normal_iteratorINS9_10device_ptrIxEEEENS0_8identityIxEEEE10hipError_tT2_T3_mT4_P12ihipStream_tbEUlT_E_NS1_11comp_targetILNS1_3genE10ELNS1_11target_archE1200ELNS1_3gpuE4ELNS1_3repE0EEENS1_30default_config_static_selectorELNS0_4arch9wavefront6targetE1EEEvT1_,"axG",@progbits,_ZN7rocprim17ROCPRIM_400000_NS6detail17trampoline_kernelINS0_14default_configENS1_25transform_config_selectorIxLb0EEEZNS1_14transform_implILb0ES3_S5_PxN6thrust23THRUST_200600_302600_NS6detail15normal_iteratorINS9_10device_ptrIxEEEENS0_8identityIxEEEE10hipError_tT2_T3_mT4_P12ihipStream_tbEUlT_E_NS1_11comp_targetILNS1_3genE10ELNS1_11target_archE1200ELNS1_3gpuE4ELNS1_3repE0EEENS1_30default_config_static_selectorELNS0_4arch9wavefront6targetE1EEEvT1_,comdat
.Lfunc_end1464:
	.size	_ZN7rocprim17ROCPRIM_400000_NS6detail17trampoline_kernelINS0_14default_configENS1_25transform_config_selectorIxLb0EEEZNS1_14transform_implILb0ES3_S5_PxN6thrust23THRUST_200600_302600_NS6detail15normal_iteratorINS9_10device_ptrIxEEEENS0_8identityIxEEEE10hipError_tT2_T3_mT4_P12ihipStream_tbEUlT_E_NS1_11comp_targetILNS1_3genE10ELNS1_11target_archE1200ELNS1_3gpuE4ELNS1_3repE0EEENS1_30default_config_static_selectorELNS0_4arch9wavefront6targetE1EEEvT1_, .Lfunc_end1464-_ZN7rocprim17ROCPRIM_400000_NS6detail17trampoline_kernelINS0_14default_configENS1_25transform_config_selectorIxLb0EEEZNS1_14transform_implILb0ES3_S5_PxN6thrust23THRUST_200600_302600_NS6detail15normal_iteratorINS9_10device_ptrIxEEEENS0_8identityIxEEEE10hipError_tT2_T3_mT4_P12ihipStream_tbEUlT_E_NS1_11comp_targetILNS1_3genE10ELNS1_11target_archE1200ELNS1_3gpuE4ELNS1_3repE0EEENS1_30default_config_static_selectorELNS0_4arch9wavefront6targetE1EEEvT1_
                                        ; -- End function
	.section	.AMDGPU.csdata,"",@progbits
; Kernel info:
; codeLenInByte = 0
; NumSgprs: 4
; NumVgprs: 0
; NumAgprs: 0
; TotalNumVgprs: 0
; ScratchSize: 0
; MemoryBound: 0
; FloatMode: 240
; IeeeMode: 1
; LDSByteSize: 0 bytes/workgroup (compile time only)
; SGPRBlocks: 0
; VGPRBlocks: 0
; NumSGPRsForWavesPerEU: 4
; NumVGPRsForWavesPerEU: 1
; AccumOffset: 4
; Occupancy: 8
; WaveLimiterHint : 0
; COMPUTE_PGM_RSRC2:SCRATCH_EN: 0
; COMPUTE_PGM_RSRC2:USER_SGPR: 6
; COMPUTE_PGM_RSRC2:TRAP_HANDLER: 0
; COMPUTE_PGM_RSRC2:TGID_X_EN: 1
; COMPUTE_PGM_RSRC2:TGID_Y_EN: 0
; COMPUTE_PGM_RSRC2:TGID_Z_EN: 0
; COMPUTE_PGM_RSRC2:TIDIG_COMP_CNT: 0
; COMPUTE_PGM_RSRC3_GFX90A:ACCUM_OFFSET: 0
; COMPUTE_PGM_RSRC3_GFX90A:TG_SPLIT: 0
	.section	.text._ZN7rocprim17ROCPRIM_400000_NS6detail17trampoline_kernelINS0_14default_configENS1_25transform_config_selectorIxLb0EEEZNS1_14transform_implILb0ES3_S5_PxN6thrust23THRUST_200600_302600_NS6detail15normal_iteratorINS9_10device_ptrIxEEEENS0_8identityIxEEEE10hipError_tT2_T3_mT4_P12ihipStream_tbEUlT_E_NS1_11comp_targetILNS1_3genE9ELNS1_11target_archE1100ELNS1_3gpuE3ELNS1_3repE0EEENS1_30default_config_static_selectorELNS0_4arch9wavefront6targetE1EEEvT1_,"axG",@progbits,_ZN7rocprim17ROCPRIM_400000_NS6detail17trampoline_kernelINS0_14default_configENS1_25transform_config_selectorIxLb0EEEZNS1_14transform_implILb0ES3_S5_PxN6thrust23THRUST_200600_302600_NS6detail15normal_iteratorINS9_10device_ptrIxEEEENS0_8identityIxEEEE10hipError_tT2_T3_mT4_P12ihipStream_tbEUlT_E_NS1_11comp_targetILNS1_3genE9ELNS1_11target_archE1100ELNS1_3gpuE3ELNS1_3repE0EEENS1_30default_config_static_selectorELNS0_4arch9wavefront6targetE1EEEvT1_,comdat
	.protected	_ZN7rocprim17ROCPRIM_400000_NS6detail17trampoline_kernelINS0_14default_configENS1_25transform_config_selectorIxLb0EEEZNS1_14transform_implILb0ES3_S5_PxN6thrust23THRUST_200600_302600_NS6detail15normal_iteratorINS9_10device_ptrIxEEEENS0_8identityIxEEEE10hipError_tT2_T3_mT4_P12ihipStream_tbEUlT_E_NS1_11comp_targetILNS1_3genE9ELNS1_11target_archE1100ELNS1_3gpuE3ELNS1_3repE0EEENS1_30default_config_static_selectorELNS0_4arch9wavefront6targetE1EEEvT1_ ; -- Begin function _ZN7rocprim17ROCPRIM_400000_NS6detail17trampoline_kernelINS0_14default_configENS1_25transform_config_selectorIxLb0EEEZNS1_14transform_implILb0ES3_S5_PxN6thrust23THRUST_200600_302600_NS6detail15normal_iteratorINS9_10device_ptrIxEEEENS0_8identityIxEEEE10hipError_tT2_T3_mT4_P12ihipStream_tbEUlT_E_NS1_11comp_targetILNS1_3genE9ELNS1_11target_archE1100ELNS1_3gpuE3ELNS1_3repE0EEENS1_30default_config_static_selectorELNS0_4arch9wavefront6targetE1EEEvT1_
	.globl	_ZN7rocprim17ROCPRIM_400000_NS6detail17trampoline_kernelINS0_14default_configENS1_25transform_config_selectorIxLb0EEEZNS1_14transform_implILb0ES3_S5_PxN6thrust23THRUST_200600_302600_NS6detail15normal_iteratorINS9_10device_ptrIxEEEENS0_8identityIxEEEE10hipError_tT2_T3_mT4_P12ihipStream_tbEUlT_E_NS1_11comp_targetILNS1_3genE9ELNS1_11target_archE1100ELNS1_3gpuE3ELNS1_3repE0EEENS1_30default_config_static_selectorELNS0_4arch9wavefront6targetE1EEEvT1_
	.p2align	8
	.type	_ZN7rocprim17ROCPRIM_400000_NS6detail17trampoline_kernelINS0_14default_configENS1_25transform_config_selectorIxLb0EEEZNS1_14transform_implILb0ES3_S5_PxN6thrust23THRUST_200600_302600_NS6detail15normal_iteratorINS9_10device_ptrIxEEEENS0_8identityIxEEEE10hipError_tT2_T3_mT4_P12ihipStream_tbEUlT_E_NS1_11comp_targetILNS1_3genE9ELNS1_11target_archE1100ELNS1_3gpuE3ELNS1_3repE0EEENS1_30default_config_static_selectorELNS0_4arch9wavefront6targetE1EEEvT1_,@function
_ZN7rocprim17ROCPRIM_400000_NS6detail17trampoline_kernelINS0_14default_configENS1_25transform_config_selectorIxLb0EEEZNS1_14transform_implILb0ES3_S5_PxN6thrust23THRUST_200600_302600_NS6detail15normal_iteratorINS9_10device_ptrIxEEEENS0_8identityIxEEEE10hipError_tT2_T3_mT4_P12ihipStream_tbEUlT_E_NS1_11comp_targetILNS1_3genE9ELNS1_11target_archE1100ELNS1_3gpuE3ELNS1_3repE0EEENS1_30default_config_static_selectorELNS0_4arch9wavefront6targetE1EEEvT1_: ; @_ZN7rocprim17ROCPRIM_400000_NS6detail17trampoline_kernelINS0_14default_configENS1_25transform_config_selectorIxLb0EEEZNS1_14transform_implILb0ES3_S5_PxN6thrust23THRUST_200600_302600_NS6detail15normal_iteratorINS9_10device_ptrIxEEEENS0_8identityIxEEEE10hipError_tT2_T3_mT4_P12ihipStream_tbEUlT_E_NS1_11comp_targetILNS1_3genE9ELNS1_11target_archE1100ELNS1_3gpuE3ELNS1_3repE0EEENS1_30default_config_static_selectorELNS0_4arch9wavefront6targetE1EEEvT1_
; %bb.0:
	.section	.rodata,"a",@progbits
	.p2align	6, 0x0
	.amdhsa_kernel _ZN7rocprim17ROCPRIM_400000_NS6detail17trampoline_kernelINS0_14default_configENS1_25transform_config_selectorIxLb0EEEZNS1_14transform_implILb0ES3_S5_PxN6thrust23THRUST_200600_302600_NS6detail15normal_iteratorINS9_10device_ptrIxEEEENS0_8identityIxEEEE10hipError_tT2_T3_mT4_P12ihipStream_tbEUlT_E_NS1_11comp_targetILNS1_3genE9ELNS1_11target_archE1100ELNS1_3gpuE3ELNS1_3repE0EEENS1_30default_config_static_selectorELNS0_4arch9wavefront6targetE1EEEvT1_
		.amdhsa_group_segment_fixed_size 0
		.amdhsa_private_segment_fixed_size 0
		.amdhsa_kernarg_size 40
		.amdhsa_user_sgpr_count 6
		.amdhsa_user_sgpr_private_segment_buffer 1
		.amdhsa_user_sgpr_dispatch_ptr 0
		.amdhsa_user_sgpr_queue_ptr 0
		.amdhsa_user_sgpr_kernarg_segment_ptr 1
		.amdhsa_user_sgpr_dispatch_id 0
		.amdhsa_user_sgpr_flat_scratch_init 0
		.amdhsa_user_sgpr_kernarg_preload_length 0
		.amdhsa_user_sgpr_kernarg_preload_offset 0
		.amdhsa_user_sgpr_private_segment_size 0
		.amdhsa_uses_dynamic_stack 0
		.amdhsa_system_sgpr_private_segment_wavefront_offset 0
		.amdhsa_system_sgpr_workgroup_id_x 1
		.amdhsa_system_sgpr_workgroup_id_y 0
		.amdhsa_system_sgpr_workgroup_id_z 0
		.amdhsa_system_sgpr_workgroup_info 0
		.amdhsa_system_vgpr_workitem_id 0
		.amdhsa_next_free_vgpr 1
		.amdhsa_next_free_sgpr 0
		.amdhsa_accum_offset 4
		.amdhsa_reserve_vcc 0
		.amdhsa_reserve_flat_scratch 0
		.amdhsa_float_round_mode_32 0
		.amdhsa_float_round_mode_16_64 0
		.amdhsa_float_denorm_mode_32 3
		.amdhsa_float_denorm_mode_16_64 3
		.amdhsa_dx10_clamp 1
		.amdhsa_ieee_mode 1
		.amdhsa_fp16_overflow 0
		.amdhsa_tg_split 0
		.amdhsa_exception_fp_ieee_invalid_op 0
		.amdhsa_exception_fp_denorm_src 0
		.amdhsa_exception_fp_ieee_div_zero 0
		.amdhsa_exception_fp_ieee_overflow 0
		.amdhsa_exception_fp_ieee_underflow 0
		.amdhsa_exception_fp_ieee_inexact 0
		.amdhsa_exception_int_div_zero 0
	.end_amdhsa_kernel
	.section	.text._ZN7rocprim17ROCPRIM_400000_NS6detail17trampoline_kernelINS0_14default_configENS1_25transform_config_selectorIxLb0EEEZNS1_14transform_implILb0ES3_S5_PxN6thrust23THRUST_200600_302600_NS6detail15normal_iteratorINS9_10device_ptrIxEEEENS0_8identityIxEEEE10hipError_tT2_T3_mT4_P12ihipStream_tbEUlT_E_NS1_11comp_targetILNS1_3genE9ELNS1_11target_archE1100ELNS1_3gpuE3ELNS1_3repE0EEENS1_30default_config_static_selectorELNS0_4arch9wavefront6targetE1EEEvT1_,"axG",@progbits,_ZN7rocprim17ROCPRIM_400000_NS6detail17trampoline_kernelINS0_14default_configENS1_25transform_config_selectorIxLb0EEEZNS1_14transform_implILb0ES3_S5_PxN6thrust23THRUST_200600_302600_NS6detail15normal_iteratorINS9_10device_ptrIxEEEENS0_8identityIxEEEE10hipError_tT2_T3_mT4_P12ihipStream_tbEUlT_E_NS1_11comp_targetILNS1_3genE9ELNS1_11target_archE1100ELNS1_3gpuE3ELNS1_3repE0EEENS1_30default_config_static_selectorELNS0_4arch9wavefront6targetE1EEEvT1_,comdat
.Lfunc_end1465:
	.size	_ZN7rocprim17ROCPRIM_400000_NS6detail17trampoline_kernelINS0_14default_configENS1_25transform_config_selectorIxLb0EEEZNS1_14transform_implILb0ES3_S5_PxN6thrust23THRUST_200600_302600_NS6detail15normal_iteratorINS9_10device_ptrIxEEEENS0_8identityIxEEEE10hipError_tT2_T3_mT4_P12ihipStream_tbEUlT_E_NS1_11comp_targetILNS1_3genE9ELNS1_11target_archE1100ELNS1_3gpuE3ELNS1_3repE0EEENS1_30default_config_static_selectorELNS0_4arch9wavefront6targetE1EEEvT1_, .Lfunc_end1465-_ZN7rocprim17ROCPRIM_400000_NS6detail17trampoline_kernelINS0_14default_configENS1_25transform_config_selectorIxLb0EEEZNS1_14transform_implILb0ES3_S5_PxN6thrust23THRUST_200600_302600_NS6detail15normal_iteratorINS9_10device_ptrIxEEEENS0_8identityIxEEEE10hipError_tT2_T3_mT4_P12ihipStream_tbEUlT_E_NS1_11comp_targetILNS1_3genE9ELNS1_11target_archE1100ELNS1_3gpuE3ELNS1_3repE0EEENS1_30default_config_static_selectorELNS0_4arch9wavefront6targetE1EEEvT1_
                                        ; -- End function
	.section	.AMDGPU.csdata,"",@progbits
; Kernel info:
; codeLenInByte = 0
; NumSgprs: 4
; NumVgprs: 0
; NumAgprs: 0
; TotalNumVgprs: 0
; ScratchSize: 0
; MemoryBound: 0
; FloatMode: 240
; IeeeMode: 1
; LDSByteSize: 0 bytes/workgroup (compile time only)
; SGPRBlocks: 0
; VGPRBlocks: 0
; NumSGPRsForWavesPerEU: 4
; NumVGPRsForWavesPerEU: 1
; AccumOffset: 4
; Occupancy: 8
; WaveLimiterHint : 0
; COMPUTE_PGM_RSRC2:SCRATCH_EN: 0
; COMPUTE_PGM_RSRC2:USER_SGPR: 6
; COMPUTE_PGM_RSRC2:TRAP_HANDLER: 0
; COMPUTE_PGM_RSRC2:TGID_X_EN: 1
; COMPUTE_PGM_RSRC2:TGID_Y_EN: 0
; COMPUTE_PGM_RSRC2:TGID_Z_EN: 0
; COMPUTE_PGM_RSRC2:TIDIG_COMP_CNT: 0
; COMPUTE_PGM_RSRC3_GFX90A:ACCUM_OFFSET: 0
; COMPUTE_PGM_RSRC3_GFX90A:TG_SPLIT: 0
	.section	.text._ZN7rocprim17ROCPRIM_400000_NS6detail17trampoline_kernelINS0_14default_configENS1_25transform_config_selectorIxLb0EEEZNS1_14transform_implILb0ES3_S5_PxN6thrust23THRUST_200600_302600_NS6detail15normal_iteratorINS9_10device_ptrIxEEEENS0_8identityIxEEEE10hipError_tT2_T3_mT4_P12ihipStream_tbEUlT_E_NS1_11comp_targetILNS1_3genE8ELNS1_11target_archE1030ELNS1_3gpuE2ELNS1_3repE0EEENS1_30default_config_static_selectorELNS0_4arch9wavefront6targetE1EEEvT1_,"axG",@progbits,_ZN7rocprim17ROCPRIM_400000_NS6detail17trampoline_kernelINS0_14default_configENS1_25transform_config_selectorIxLb0EEEZNS1_14transform_implILb0ES3_S5_PxN6thrust23THRUST_200600_302600_NS6detail15normal_iteratorINS9_10device_ptrIxEEEENS0_8identityIxEEEE10hipError_tT2_T3_mT4_P12ihipStream_tbEUlT_E_NS1_11comp_targetILNS1_3genE8ELNS1_11target_archE1030ELNS1_3gpuE2ELNS1_3repE0EEENS1_30default_config_static_selectorELNS0_4arch9wavefront6targetE1EEEvT1_,comdat
	.protected	_ZN7rocprim17ROCPRIM_400000_NS6detail17trampoline_kernelINS0_14default_configENS1_25transform_config_selectorIxLb0EEEZNS1_14transform_implILb0ES3_S5_PxN6thrust23THRUST_200600_302600_NS6detail15normal_iteratorINS9_10device_ptrIxEEEENS0_8identityIxEEEE10hipError_tT2_T3_mT4_P12ihipStream_tbEUlT_E_NS1_11comp_targetILNS1_3genE8ELNS1_11target_archE1030ELNS1_3gpuE2ELNS1_3repE0EEENS1_30default_config_static_selectorELNS0_4arch9wavefront6targetE1EEEvT1_ ; -- Begin function _ZN7rocprim17ROCPRIM_400000_NS6detail17trampoline_kernelINS0_14default_configENS1_25transform_config_selectorIxLb0EEEZNS1_14transform_implILb0ES3_S5_PxN6thrust23THRUST_200600_302600_NS6detail15normal_iteratorINS9_10device_ptrIxEEEENS0_8identityIxEEEE10hipError_tT2_T3_mT4_P12ihipStream_tbEUlT_E_NS1_11comp_targetILNS1_3genE8ELNS1_11target_archE1030ELNS1_3gpuE2ELNS1_3repE0EEENS1_30default_config_static_selectorELNS0_4arch9wavefront6targetE1EEEvT1_
	.globl	_ZN7rocprim17ROCPRIM_400000_NS6detail17trampoline_kernelINS0_14default_configENS1_25transform_config_selectorIxLb0EEEZNS1_14transform_implILb0ES3_S5_PxN6thrust23THRUST_200600_302600_NS6detail15normal_iteratorINS9_10device_ptrIxEEEENS0_8identityIxEEEE10hipError_tT2_T3_mT4_P12ihipStream_tbEUlT_E_NS1_11comp_targetILNS1_3genE8ELNS1_11target_archE1030ELNS1_3gpuE2ELNS1_3repE0EEENS1_30default_config_static_selectorELNS0_4arch9wavefront6targetE1EEEvT1_
	.p2align	8
	.type	_ZN7rocprim17ROCPRIM_400000_NS6detail17trampoline_kernelINS0_14default_configENS1_25transform_config_selectorIxLb0EEEZNS1_14transform_implILb0ES3_S5_PxN6thrust23THRUST_200600_302600_NS6detail15normal_iteratorINS9_10device_ptrIxEEEENS0_8identityIxEEEE10hipError_tT2_T3_mT4_P12ihipStream_tbEUlT_E_NS1_11comp_targetILNS1_3genE8ELNS1_11target_archE1030ELNS1_3gpuE2ELNS1_3repE0EEENS1_30default_config_static_selectorELNS0_4arch9wavefront6targetE1EEEvT1_,@function
_ZN7rocprim17ROCPRIM_400000_NS6detail17trampoline_kernelINS0_14default_configENS1_25transform_config_selectorIxLb0EEEZNS1_14transform_implILb0ES3_S5_PxN6thrust23THRUST_200600_302600_NS6detail15normal_iteratorINS9_10device_ptrIxEEEENS0_8identityIxEEEE10hipError_tT2_T3_mT4_P12ihipStream_tbEUlT_E_NS1_11comp_targetILNS1_3genE8ELNS1_11target_archE1030ELNS1_3gpuE2ELNS1_3repE0EEENS1_30default_config_static_selectorELNS0_4arch9wavefront6targetE1EEEvT1_: ; @_ZN7rocprim17ROCPRIM_400000_NS6detail17trampoline_kernelINS0_14default_configENS1_25transform_config_selectorIxLb0EEEZNS1_14transform_implILb0ES3_S5_PxN6thrust23THRUST_200600_302600_NS6detail15normal_iteratorINS9_10device_ptrIxEEEENS0_8identityIxEEEE10hipError_tT2_T3_mT4_P12ihipStream_tbEUlT_E_NS1_11comp_targetILNS1_3genE8ELNS1_11target_archE1030ELNS1_3gpuE2ELNS1_3repE0EEENS1_30default_config_static_selectorELNS0_4arch9wavefront6targetE1EEEvT1_
; %bb.0:
	.section	.rodata,"a",@progbits
	.p2align	6, 0x0
	.amdhsa_kernel _ZN7rocprim17ROCPRIM_400000_NS6detail17trampoline_kernelINS0_14default_configENS1_25transform_config_selectorIxLb0EEEZNS1_14transform_implILb0ES3_S5_PxN6thrust23THRUST_200600_302600_NS6detail15normal_iteratorINS9_10device_ptrIxEEEENS0_8identityIxEEEE10hipError_tT2_T3_mT4_P12ihipStream_tbEUlT_E_NS1_11comp_targetILNS1_3genE8ELNS1_11target_archE1030ELNS1_3gpuE2ELNS1_3repE0EEENS1_30default_config_static_selectorELNS0_4arch9wavefront6targetE1EEEvT1_
		.amdhsa_group_segment_fixed_size 0
		.amdhsa_private_segment_fixed_size 0
		.amdhsa_kernarg_size 40
		.amdhsa_user_sgpr_count 6
		.amdhsa_user_sgpr_private_segment_buffer 1
		.amdhsa_user_sgpr_dispatch_ptr 0
		.amdhsa_user_sgpr_queue_ptr 0
		.amdhsa_user_sgpr_kernarg_segment_ptr 1
		.amdhsa_user_sgpr_dispatch_id 0
		.amdhsa_user_sgpr_flat_scratch_init 0
		.amdhsa_user_sgpr_kernarg_preload_length 0
		.amdhsa_user_sgpr_kernarg_preload_offset 0
		.amdhsa_user_sgpr_private_segment_size 0
		.amdhsa_uses_dynamic_stack 0
		.amdhsa_system_sgpr_private_segment_wavefront_offset 0
		.amdhsa_system_sgpr_workgroup_id_x 1
		.amdhsa_system_sgpr_workgroup_id_y 0
		.amdhsa_system_sgpr_workgroup_id_z 0
		.amdhsa_system_sgpr_workgroup_info 0
		.amdhsa_system_vgpr_workitem_id 0
		.amdhsa_next_free_vgpr 1
		.amdhsa_next_free_sgpr 0
		.amdhsa_accum_offset 4
		.amdhsa_reserve_vcc 0
		.amdhsa_reserve_flat_scratch 0
		.amdhsa_float_round_mode_32 0
		.amdhsa_float_round_mode_16_64 0
		.amdhsa_float_denorm_mode_32 3
		.amdhsa_float_denorm_mode_16_64 3
		.amdhsa_dx10_clamp 1
		.amdhsa_ieee_mode 1
		.amdhsa_fp16_overflow 0
		.amdhsa_tg_split 0
		.amdhsa_exception_fp_ieee_invalid_op 0
		.amdhsa_exception_fp_denorm_src 0
		.amdhsa_exception_fp_ieee_div_zero 0
		.amdhsa_exception_fp_ieee_overflow 0
		.amdhsa_exception_fp_ieee_underflow 0
		.amdhsa_exception_fp_ieee_inexact 0
		.amdhsa_exception_int_div_zero 0
	.end_amdhsa_kernel
	.section	.text._ZN7rocprim17ROCPRIM_400000_NS6detail17trampoline_kernelINS0_14default_configENS1_25transform_config_selectorIxLb0EEEZNS1_14transform_implILb0ES3_S5_PxN6thrust23THRUST_200600_302600_NS6detail15normal_iteratorINS9_10device_ptrIxEEEENS0_8identityIxEEEE10hipError_tT2_T3_mT4_P12ihipStream_tbEUlT_E_NS1_11comp_targetILNS1_3genE8ELNS1_11target_archE1030ELNS1_3gpuE2ELNS1_3repE0EEENS1_30default_config_static_selectorELNS0_4arch9wavefront6targetE1EEEvT1_,"axG",@progbits,_ZN7rocprim17ROCPRIM_400000_NS6detail17trampoline_kernelINS0_14default_configENS1_25transform_config_selectorIxLb0EEEZNS1_14transform_implILb0ES3_S5_PxN6thrust23THRUST_200600_302600_NS6detail15normal_iteratorINS9_10device_ptrIxEEEENS0_8identityIxEEEE10hipError_tT2_T3_mT4_P12ihipStream_tbEUlT_E_NS1_11comp_targetILNS1_3genE8ELNS1_11target_archE1030ELNS1_3gpuE2ELNS1_3repE0EEENS1_30default_config_static_selectorELNS0_4arch9wavefront6targetE1EEEvT1_,comdat
.Lfunc_end1466:
	.size	_ZN7rocprim17ROCPRIM_400000_NS6detail17trampoline_kernelINS0_14default_configENS1_25transform_config_selectorIxLb0EEEZNS1_14transform_implILb0ES3_S5_PxN6thrust23THRUST_200600_302600_NS6detail15normal_iteratorINS9_10device_ptrIxEEEENS0_8identityIxEEEE10hipError_tT2_T3_mT4_P12ihipStream_tbEUlT_E_NS1_11comp_targetILNS1_3genE8ELNS1_11target_archE1030ELNS1_3gpuE2ELNS1_3repE0EEENS1_30default_config_static_selectorELNS0_4arch9wavefront6targetE1EEEvT1_, .Lfunc_end1466-_ZN7rocprim17ROCPRIM_400000_NS6detail17trampoline_kernelINS0_14default_configENS1_25transform_config_selectorIxLb0EEEZNS1_14transform_implILb0ES3_S5_PxN6thrust23THRUST_200600_302600_NS6detail15normal_iteratorINS9_10device_ptrIxEEEENS0_8identityIxEEEE10hipError_tT2_T3_mT4_P12ihipStream_tbEUlT_E_NS1_11comp_targetILNS1_3genE8ELNS1_11target_archE1030ELNS1_3gpuE2ELNS1_3repE0EEENS1_30default_config_static_selectorELNS0_4arch9wavefront6targetE1EEEvT1_
                                        ; -- End function
	.section	.AMDGPU.csdata,"",@progbits
; Kernel info:
; codeLenInByte = 0
; NumSgprs: 4
; NumVgprs: 0
; NumAgprs: 0
; TotalNumVgprs: 0
; ScratchSize: 0
; MemoryBound: 0
; FloatMode: 240
; IeeeMode: 1
; LDSByteSize: 0 bytes/workgroup (compile time only)
; SGPRBlocks: 0
; VGPRBlocks: 0
; NumSGPRsForWavesPerEU: 4
; NumVGPRsForWavesPerEU: 1
; AccumOffset: 4
; Occupancy: 8
; WaveLimiterHint : 0
; COMPUTE_PGM_RSRC2:SCRATCH_EN: 0
; COMPUTE_PGM_RSRC2:USER_SGPR: 6
; COMPUTE_PGM_RSRC2:TRAP_HANDLER: 0
; COMPUTE_PGM_RSRC2:TGID_X_EN: 1
; COMPUTE_PGM_RSRC2:TGID_Y_EN: 0
; COMPUTE_PGM_RSRC2:TGID_Z_EN: 0
; COMPUTE_PGM_RSRC2:TIDIG_COMP_CNT: 0
; COMPUTE_PGM_RSRC3_GFX90A:ACCUM_OFFSET: 0
; COMPUTE_PGM_RSRC3_GFX90A:TG_SPLIT: 0
	.section	.text._ZN7rocprim17ROCPRIM_400000_NS6detail17trampoline_kernelINS0_14default_configENS1_38merge_sort_block_merge_config_selectorIxNS0_10empty_typeEEEZZNS1_27merge_sort_block_merge_implIS3_N6thrust23THRUST_200600_302600_NS6detail15normal_iteratorINS9_10device_ptrIxEEEEPS5_jNS1_19radix_merge_compareILb0ELb1ExNS0_19identity_decomposerEEEEE10hipError_tT0_T1_T2_jT3_P12ihipStream_tbPNSt15iterator_traitsISK_E10value_typeEPNSQ_ISL_E10value_typeEPSM_NS1_7vsmem_tEENKUlT_SK_SL_SM_E_clIPxSE_SF_SF_EESJ_SZ_SK_SL_SM_EUlSZ_E_NS1_11comp_targetILNS1_3genE0ELNS1_11target_archE4294967295ELNS1_3gpuE0ELNS1_3repE0EEENS1_48merge_mergepath_partition_config_static_selectorELNS0_4arch9wavefront6targetE1EEEvSL_,"axG",@progbits,_ZN7rocprim17ROCPRIM_400000_NS6detail17trampoline_kernelINS0_14default_configENS1_38merge_sort_block_merge_config_selectorIxNS0_10empty_typeEEEZZNS1_27merge_sort_block_merge_implIS3_N6thrust23THRUST_200600_302600_NS6detail15normal_iteratorINS9_10device_ptrIxEEEEPS5_jNS1_19radix_merge_compareILb0ELb1ExNS0_19identity_decomposerEEEEE10hipError_tT0_T1_T2_jT3_P12ihipStream_tbPNSt15iterator_traitsISK_E10value_typeEPNSQ_ISL_E10value_typeEPSM_NS1_7vsmem_tEENKUlT_SK_SL_SM_E_clIPxSE_SF_SF_EESJ_SZ_SK_SL_SM_EUlSZ_E_NS1_11comp_targetILNS1_3genE0ELNS1_11target_archE4294967295ELNS1_3gpuE0ELNS1_3repE0EEENS1_48merge_mergepath_partition_config_static_selectorELNS0_4arch9wavefront6targetE1EEEvSL_,comdat
	.protected	_ZN7rocprim17ROCPRIM_400000_NS6detail17trampoline_kernelINS0_14default_configENS1_38merge_sort_block_merge_config_selectorIxNS0_10empty_typeEEEZZNS1_27merge_sort_block_merge_implIS3_N6thrust23THRUST_200600_302600_NS6detail15normal_iteratorINS9_10device_ptrIxEEEEPS5_jNS1_19radix_merge_compareILb0ELb1ExNS0_19identity_decomposerEEEEE10hipError_tT0_T1_T2_jT3_P12ihipStream_tbPNSt15iterator_traitsISK_E10value_typeEPNSQ_ISL_E10value_typeEPSM_NS1_7vsmem_tEENKUlT_SK_SL_SM_E_clIPxSE_SF_SF_EESJ_SZ_SK_SL_SM_EUlSZ_E_NS1_11comp_targetILNS1_3genE0ELNS1_11target_archE4294967295ELNS1_3gpuE0ELNS1_3repE0EEENS1_48merge_mergepath_partition_config_static_selectorELNS0_4arch9wavefront6targetE1EEEvSL_ ; -- Begin function _ZN7rocprim17ROCPRIM_400000_NS6detail17trampoline_kernelINS0_14default_configENS1_38merge_sort_block_merge_config_selectorIxNS0_10empty_typeEEEZZNS1_27merge_sort_block_merge_implIS3_N6thrust23THRUST_200600_302600_NS6detail15normal_iteratorINS9_10device_ptrIxEEEEPS5_jNS1_19radix_merge_compareILb0ELb1ExNS0_19identity_decomposerEEEEE10hipError_tT0_T1_T2_jT3_P12ihipStream_tbPNSt15iterator_traitsISK_E10value_typeEPNSQ_ISL_E10value_typeEPSM_NS1_7vsmem_tEENKUlT_SK_SL_SM_E_clIPxSE_SF_SF_EESJ_SZ_SK_SL_SM_EUlSZ_E_NS1_11comp_targetILNS1_3genE0ELNS1_11target_archE4294967295ELNS1_3gpuE0ELNS1_3repE0EEENS1_48merge_mergepath_partition_config_static_selectorELNS0_4arch9wavefront6targetE1EEEvSL_
	.globl	_ZN7rocprim17ROCPRIM_400000_NS6detail17trampoline_kernelINS0_14default_configENS1_38merge_sort_block_merge_config_selectorIxNS0_10empty_typeEEEZZNS1_27merge_sort_block_merge_implIS3_N6thrust23THRUST_200600_302600_NS6detail15normal_iteratorINS9_10device_ptrIxEEEEPS5_jNS1_19radix_merge_compareILb0ELb1ExNS0_19identity_decomposerEEEEE10hipError_tT0_T1_T2_jT3_P12ihipStream_tbPNSt15iterator_traitsISK_E10value_typeEPNSQ_ISL_E10value_typeEPSM_NS1_7vsmem_tEENKUlT_SK_SL_SM_E_clIPxSE_SF_SF_EESJ_SZ_SK_SL_SM_EUlSZ_E_NS1_11comp_targetILNS1_3genE0ELNS1_11target_archE4294967295ELNS1_3gpuE0ELNS1_3repE0EEENS1_48merge_mergepath_partition_config_static_selectorELNS0_4arch9wavefront6targetE1EEEvSL_
	.p2align	8
	.type	_ZN7rocprim17ROCPRIM_400000_NS6detail17trampoline_kernelINS0_14default_configENS1_38merge_sort_block_merge_config_selectorIxNS0_10empty_typeEEEZZNS1_27merge_sort_block_merge_implIS3_N6thrust23THRUST_200600_302600_NS6detail15normal_iteratorINS9_10device_ptrIxEEEEPS5_jNS1_19radix_merge_compareILb0ELb1ExNS0_19identity_decomposerEEEEE10hipError_tT0_T1_T2_jT3_P12ihipStream_tbPNSt15iterator_traitsISK_E10value_typeEPNSQ_ISL_E10value_typeEPSM_NS1_7vsmem_tEENKUlT_SK_SL_SM_E_clIPxSE_SF_SF_EESJ_SZ_SK_SL_SM_EUlSZ_E_NS1_11comp_targetILNS1_3genE0ELNS1_11target_archE4294967295ELNS1_3gpuE0ELNS1_3repE0EEENS1_48merge_mergepath_partition_config_static_selectorELNS0_4arch9wavefront6targetE1EEEvSL_,@function
_ZN7rocprim17ROCPRIM_400000_NS6detail17trampoline_kernelINS0_14default_configENS1_38merge_sort_block_merge_config_selectorIxNS0_10empty_typeEEEZZNS1_27merge_sort_block_merge_implIS3_N6thrust23THRUST_200600_302600_NS6detail15normal_iteratorINS9_10device_ptrIxEEEEPS5_jNS1_19radix_merge_compareILb0ELb1ExNS0_19identity_decomposerEEEEE10hipError_tT0_T1_T2_jT3_P12ihipStream_tbPNSt15iterator_traitsISK_E10value_typeEPNSQ_ISL_E10value_typeEPSM_NS1_7vsmem_tEENKUlT_SK_SL_SM_E_clIPxSE_SF_SF_EESJ_SZ_SK_SL_SM_EUlSZ_E_NS1_11comp_targetILNS1_3genE0ELNS1_11target_archE4294967295ELNS1_3gpuE0ELNS1_3repE0EEENS1_48merge_mergepath_partition_config_static_selectorELNS0_4arch9wavefront6targetE1EEEvSL_: ; @_ZN7rocprim17ROCPRIM_400000_NS6detail17trampoline_kernelINS0_14default_configENS1_38merge_sort_block_merge_config_selectorIxNS0_10empty_typeEEEZZNS1_27merge_sort_block_merge_implIS3_N6thrust23THRUST_200600_302600_NS6detail15normal_iteratorINS9_10device_ptrIxEEEEPS5_jNS1_19radix_merge_compareILb0ELb1ExNS0_19identity_decomposerEEEEE10hipError_tT0_T1_T2_jT3_P12ihipStream_tbPNSt15iterator_traitsISK_E10value_typeEPNSQ_ISL_E10value_typeEPSM_NS1_7vsmem_tEENKUlT_SK_SL_SM_E_clIPxSE_SF_SF_EESJ_SZ_SK_SL_SM_EUlSZ_E_NS1_11comp_targetILNS1_3genE0ELNS1_11target_archE4294967295ELNS1_3gpuE0ELNS1_3repE0EEENS1_48merge_mergepath_partition_config_static_selectorELNS0_4arch9wavefront6targetE1EEEvSL_
; %bb.0:
	.section	.rodata,"a",@progbits
	.p2align	6, 0x0
	.amdhsa_kernel _ZN7rocprim17ROCPRIM_400000_NS6detail17trampoline_kernelINS0_14default_configENS1_38merge_sort_block_merge_config_selectorIxNS0_10empty_typeEEEZZNS1_27merge_sort_block_merge_implIS3_N6thrust23THRUST_200600_302600_NS6detail15normal_iteratorINS9_10device_ptrIxEEEEPS5_jNS1_19radix_merge_compareILb0ELb1ExNS0_19identity_decomposerEEEEE10hipError_tT0_T1_T2_jT3_P12ihipStream_tbPNSt15iterator_traitsISK_E10value_typeEPNSQ_ISL_E10value_typeEPSM_NS1_7vsmem_tEENKUlT_SK_SL_SM_E_clIPxSE_SF_SF_EESJ_SZ_SK_SL_SM_EUlSZ_E_NS1_11comp_targetILNS1_3genE0ELNS1_11target_archE4294967295ELNS1_3gpuE0ELNS1_3repE0EEENS1_48merge_mergepath_partition_config_static_selectorELNS0_4arch9wavefront6targetE1EEEvSL_
		.amdhsa_group_segment_fixed_size 0
		.amdhsa_private_segment_fixed_size 0
		.amdhsa_kernarg_size 40
		.amdhsa_user_sgpr_count 6
		.amdhsa_user_sgpr_private_segment_buffer 1
		.amdhsa_user_sgpr_dispatch_ptr 0
		.amdhsa_user_sgpr_queue_ptr 0
		.amdhsa_user_sgpr_kernarg_segment_ptr 1
		.amdhsa_user_sgpr_dispatch_id 0
		.amdhsa_user_sgpr_flat_scratch_init 0
		.amdhsa_user_sgpr_kernarg_preload_length 0
		.amdhsa_user_sgpr_kernarg_preload_offset 0
		.amdhsa_user_sgpr_private_segment_size 0
		.amdhsa_uses_dynamic_stack 0
		.amdhsa_system_sgpr_private_segment_wavefront_offset 0
		.amdhsa_system_sgpr_workgroup_id_x 1
		.amdhsa_system_sgpr_workgroup_id_y 0
		.amdhsa_system_sgpr_workgroup_id_z 0
		.amdhsa_system_sgpr_workgroup_info 0
		.amdhsa_system_vgpr_workitem_id 0
		.amdhsa_next_free_vgpr 1
		.amdhsa_next_free_sgpr 0
		.amdhsa_accum_offset 4
		.amdhsa_reserve_vcc 0
		.amdhsa_reserve_flat_scratch 0
		.amdhsa_float_round_mode_32 0
		.amdhsa_float_round_mode_16_64 0
		.amdhsa_float_denorm_mode_32 3
		.amdhsa_float_denorm_mode_16_64 3
		.amdhsa_dx10_clamp 1
		.amdhsa_ieee_mode 1
		.amdhsa_fp16_overflow 0
		.amdhsa_tg_split 0
		.amdhsa_exception_fp_ieee_invalid_op 0
		.amdhsa_exception_fp_denorm_src 0
		.amdhsa_exception_fp_ieee_div_zero 0
		.amdhsa_exception_fp_ieee_overflow 0
		.amdhsa_exception_fp_ieee_underflow 0
		.amdhsa_exception_fp_ieee_inexact 0
		.amdhsa_exception_int_div_zero 0
	.end_amdhsa_kernel
	.section	.text._ZN7rocprim17ROCPRIM_400000_NS6detail17trampoline_kernelINS0_14default_configENS1_38merge_sort_block_merge_config_selectorIxNS0_10empty_typeEEEZZNS1_27merge_sort_block_merge_implIS3_N6thrust23THRUST_200600_302600_NS6detail15normal_iteratorINS9_10device_ptrIxEEEEPS5_jNS1_19radix_merge_compareILb0ELb1ExNS0_19identity_decomposerEEEEE10hipError_tT0_T1_T2_jT3_P12ihipStream_tbPNSt15iterator_traitsISK_E10value_typeEPNSQ_ISL_E10value_typeEPSM_NS1_7vsmem_tEENKUlT_SK_SL_SM_E_clIPxSE_SF_SF_EESJ_SZ_SK_SL_SM_EUlSZ_E_NS1_11comp_targetILNS1_3genE0ELNS1_11target_archE4294967295ELNS1_3gpuE0ELNS1_3repE0EEENS1_48merge_mergepath_partition_config_static_selectorELNS0_4arch9wavefront6targetE1EEEvSL_,"axG",@progbits,_ZN7rocprim17ROCPRIM_400000_NS6detail17trampoline_kernelINS0_14default_configENS1_38merge_sort_block_merge_config_selectorIxNS0_10empty_typeEEEZZNS1_27merge_sort_block_merge_implIS3_N6thrust23THRUST_200600_302600_NS6detail15normal_iteratorINS9_10device_ptrIxEEEEPS5_jNS1_19radix_merge_compareILb0ELb1ExNS0_19identity_decomposerEEEEE10hipError_tT0_T1_T2_jT3_P12ihipStream_tbPNSt15iterator_traitsISK_E10value_typeEPNSQ_ISL_E10value_typeEPSM_NS1_7vsmem_tEENKUlT_SK_SL_SM_E_clIPxSE_SF_SF_EESJ_SZ_SK_SL_SM_EUlSZ_E_NS1_11comp_targetILNS1_3genE0ELNS1_11target_archE4294967295ELNS1_3gpuE0ELNS1_3repE0EEENS1_48merge_mergepath_partition_config_static_selectorELNS0_4arch9wavefront6targetE1EEEvSL_,comdat
.Lfunc_end1467:
	.size	_ZN7rocprim17ROCPRIM_400000_NS6detail17trampoline_kernelINS0_14default_configENS1_38merge_sort_block_merge_config_selectorIxNS0_10empty_typeEEEZZNS1_27merge_sort_block_merge_implIS3_N6thrust23THRUST_200600_302600_NS6detail15normal_iteratorINS9_10device_ptrIxEEEEPS5_jNS1_19radix_merge_compareILb0ELb1ExNS0_19identity_decomposerEEEEE10hipError_tT0_T1_T2_jT3_P12ihipStream_tbPNSt15iterator_traitsISK_E10value_typeEPNSQ_ISL_E10value_typeEPSM_NS1_7vsmem_tEENKUlT_SK_SL_SM_E_clIPxSE_SF_SF_EESJ_SZ_SK_SL_SM_EUlSZ_E_NS1_11comp_targetILNS1_3genE0ELNS1_11target_archE4294967295ELNS1_3gpuE0ELNS1_3repE0EEENS1_48merge_mergepath_partition_config_static_selectorELNS0_4arch9wavefront6targetE1EEEvSL_, .Lfunc_end1467-_ZN7rocprim17ROCPRIM_400000_NS6detail17trampoline_kernelINS0_14default_configENS1_38merge_sort_block_merge_config_selectorIxNS0_10empty_typeEEEZZNS1_27merge_sort_block_merge_implIS3_N6thrust23THRUST_200600_302600_NS6detail15normal_iteratorINS9_10device_ptrIxEEEEPS5_jNS1_19radix_merge_compareILb0ELb1ExNS0_19identity_decomposerEEEEE10hipError_tT0_T1_T2_jT3_P12ihipStream_tbPNSt15iterator_traitsISK_E10value_typeEPNSQ_ISL_E10value_typeEPSM_NS1_7vsmem_tEENKUlT_SK_SL_SM_E_clIPxSE_SF_SF_EESJ_SZ_SK_SL_SM_EUlSZ_E_NS1_11comp_targetILNS1_3genE0ELNS1_11target_archE4294967295ELNS1_3gpuE0ELNS1_3repE0EEENS1_48merge_mergepath_partition_config_static_selectorELNS0_4arch9wavefront6targetE1EEEvSL_
                                        ; -- End function
	.section	.AMDGPU.csdata,"",@progbits
; Kernel info:
; codeLenInByte = 0
; NumSgprs: 4
; NumVgprs: 0
; NumAgprs: 0
; TotalNumVgprs: 0
; ScratchSize: 0
; MemoryBound: 0
; FloatMode: 240
; IeeeMode: 1
; LDSByteSize: 0 bytes/workgroup (compile time only)
; SGPRBlocks: 0
; VGPRBlocks: 0
; NumSGPRsForWavesPerEU: 4
; NumVGPRsForWavesPerEU: 1
; AccumOffset: 4
; Occupancy: 8
; WaveLimiterHint : 0
; COMPUTE_PGM_RSRC2:SCRATCH_EN: 0
; COMPUTE_PGM_RSRC2:USER_SGPR: 6
; COMPUTE_PGM_RSRC2:TRAP_HANDLER: 0
; COMPUTE_PGM_RSRC2:TGID_X_EN: 1
; COMPUTE_PGM_RSRC2:TGID_Y_EN: 0
; COMPUTE_PGM_RSRC2:TGID_Z_EN: 0
; COMPUTE_PGM_RSRC2:TIDIG_COMP_CNT: 0
; COMPUTE_PGM_RSRC3_GFX90A:ACCUM_OFFSET: 0
; COMPUTE_PGM_RSRC3_GFX90A:TG_SPLIT: 0
	.section	.text._ZN7rocprim17ROCPRIM_400000_NS6detail17trampoline_kernelINS0_14default_configENS1_38merge_sort_block_merge_config_selectorIxNS0_10empty_typeEEEZZNS1_27merge_sort_block_merge_implIS3_N6thrust23THRUST_200600_302600_NS6detail15normal_iteratorINS9_10device_ptrIxEEEEPS5_jNS1_19radix_merge_compareILb0ELb1ExNS0_19identity_decomposerEEEEE10hipError_tT0_T1_T2_jT3_P12ihipStream_tbPNSt15iterator_traitsISK_E10value_typeEPNSQ_ISL_E10value_typeEPSM_NS1_7vsmem_tEENKUlT_SK_SL_SM_E_clIPxSE_SF_SF_EESJ_SZ_SK_SL_SM_EUlSZ_E_NS1_11comp_targetILNS1_3genE10ELNS1_11target_archE1201ELNS1_3gpuE5ELNS1_3repE0EEENS1_48merge_mergepath_partition_config_static_selectorELNS0_4arch9wavefront6targetE1EEEvSL_,"axG",@progbits,_ZN7rocprim17ROCPRIM_400000_NS6detail17trampoline_kernelINS0_14default_configENS1_38merge_sort_block_merge_config_selectorIxNS0_10empty_typeEEEZZNS1_27merge_sort_block_merge_implIS3_N6thrust23THRUST_200600_302600_NS6detail15normal_iteratorINS9_10device_ptrIxEEEEPS5_jNS1_19radix_merge_compareILb0ELb1ExNS0_19identity_decomposerEEEEE10hipError_tT0_T1_T2_jT3_P12ihipStream_tbPNSt15iterator_traitsISK_E10value_typeEPNSQ_ISL_E10value_typeEPSM_NS1_7vsmem_tEENKUlT_SK_SL_SM_E_clIPxSE_SF_SF_EESJ_SZ_SK_SL_SM_EUlSZ_E_NS1_11comp_targetILNS1_3genE10ELNS1_11target_archE1201ELNS1_3gpuE5ELNS1_3repE0EEENS1_48merge_mergepath_partition_config_static_selectorELNS0_4arch9wavefront6targetE1EEEvSL_,comdat
	.protected	_ZN7rocprim17ROCPRIM_400000_NS6detail17trampoline_kernelINS0_14default_configENS1_38merge_sort_block_merge_config_selectorIxNS0_10empty_typeEEEZZNS1_27merge_sort_block_merge_implIS3_N6thrust23THRUST_200600_302600_NS6detail15normal_iteratorINS9_10device_ptrIxEEEEPS5_jNS1_19radix_merge_compareILb0ELb1ExNS0_19identity_decomposerEEEEE10hipError_tT0_T1_T2_jT3_P12ihipStream_tbPNSt15iterator_traitsISK_E10value_typeEPNSQ_ISL_E10value_typeEPSM_NS1_7vsmem_tEENKUlT_SK_SL_SM_E_clIPxSE_SF_SF_EESJ_SZ_SK_SL_SM_EUlSZ_E_NS1_11comp_targetILNS1_3genE10ELNS1_11target_archE1201ELNS1_3gpuE5ELNS1_3repE0EEENS1_48merge_mergepath_partition_config_static_selectorELNS0_4arch9wavefront6targetE1EEEvSL_ ; -- Begin function _ZN7rocprim17ROCPRIM_400000_NS6detail17trampoline_kernelINS0_14default_configENS1_38merge_sort_block_merge_config_selectorIxNS0_10empty_typeEEEZZNS1_27merge_sort_block_merge_implIS3_N6thrust23THRUST_200600_302600_NS6detail15normal_iteratorINS9_10device_ptrIxEEEEPS5_jNS1_19radix_merge_compareILb0ELb1ExNS0_19identity_decomposerEEEEE10hipError_tT0_T1_T2_jT3_P12ihipStream_tbPNSt15iterator_traitsISK_E10value_typeEPNSQ_ISL_E10value_typeEPSM_NS1_7vsmem_tEENKUlT_SK_SL_SM_E_clIPxSE_SF_SF_EESJ_SZ_SK_SL_SM_EUlSZ_E_NS1_11comp_targetILNS1_3genE10ELNS1_11target_archE1201ELNS1_3gpuE5ELNS1_3repE0EEENS1_48merge_mergepath_partition_config_static_selectorELNS0_4arch9wavefront6targetE1EEEvSL_
	.globl	_ZN7rocprim17ROCPRIM_400000_NS6detail17trampoline_kernelINS0_14default_configENS1_38merge_sort_block_merge_config_selectorIxNS0_10empty_typeEEEZZNS1_27merge_sort_block_merge_implIS3_N6thrust23THRUST_200600_302600_NS6detail15normal_iteratorINS9_10device_ptrIxEEEEPS5_jNS1_19radix_merge_compareILb0ELb1ExNS0_19identity_decomposerEEEEE10hipError_tT0_T1_T2_jT3_P12ihipStream_tbPNSt15iterator_traitsISK_E10value_typeEPNSQ_ISL_E10value_typeEPSM_NS1_7vsmem_tEENKUlT_SK_SL_SM_E_clIPxSE_SF_SF_EESJ_SZ_SK_SL_SM_EUlSZ_E_NS1_11comp_targetILNS1_3genE10ELNS1_11target_archE1201ELNS1_3gpuE5ELNS1_3repE0EEENS1_48merge_mergepath_partition_config_static_selectorELNS0_4arch9wavefront6targetE1EEEvSL_
	.p2align	8
	.type	_ZN7rocprim17ROCPRIM_400000_NS6detail17trampoline_kernelINS0_14default_configENS1_38merge_sort_block_merge_config_selectorIxNS0_10empty_typeEEEZZNS1_27merge_sort_block_merge_implIS3_N6thrust23THRUST_200600_302600_NS6detail15normal_iteratorINS9_10device_ptrIxEEEEPS5_jNS1_19radix_merge_compareILb0ELb1ExNS0_19identity_decomposerEEEEE10hipError_tT0_T1_T2_jT3_P12ihipStream_tbPNSt15iterator_traitsISK_E10value_typeEPNSQ_ISL_E10value_typeEPSM_NS1_7vsmem_tEENKUlT_SK_SL_SM_E_clIPxSE_SF_SF_EESJ_SZ_SK_SL_SM_EUlSZ_E_NS1_11comp_targetILNS1_3genE10ELNS1_11target_archE1201ELNS1_3gpuE5ELNS1_3repE0EEENS1_48merge_mergepath_partition_config_static_selectorELNS0_4arch9wavefront6targetE1EEEvSL_,@function
_ZN7rocprim17ROCPRIM_400000_NS6detail17trampoline_kernelINS0_14default_configENS1_38merge_sort_block_merge_config_selectorIxNS0_10empty_typeEEEZZNS1_27merge_sort_block_merge_implIS3_N6thrust23THRUST_200600_302600_NS6detail15normal_iteratorINS9_10device_ptrIxEEEEPS5_jNS1_19radix_merge_compareILb0ELb1ExNS0_19identity_decomposerEEEEE10hipError_tT0_T1_T2_jT3_P12ihipStream_tbPNSt15iterator_traitsISK_E10value_typeEPNSQ_ISL_E10value_typeEPSM_NS1_7vsmem_tEENKUlT_SK_SL_SM_E_clIPxSE_SF_SF_EESJ_SZ_SK_SL_SM_EUlSZ_E_NS1_11comp_targetILNS1_3genE10ELNS1_11target_archE1201ELNS1_3gpuE5ELNS1_3repE0EEENS1_48merge_mergepath_partition_config_static_selectorELNS0_4arch9wavefront6targetE1EEEvSL_: ; @_ZN7rocprim17ROCPRIM_400000_NS6detail17trampoline_kernelINS0_14default_configENS1_38merge_sort_block_merge_config_selectorIxNS0_10empty_typeEEEZZNS1_27merge_sort_block_merge_implIS3_N6thrust23THRUST_200600_302600_NS6detail15normal_iteratorINS9_10device_ptrIxEEEEPS5_jNS1_19radix_merge_compareILb0ELb1ExNS0_19identity_decomposerEEEEE10hipError_tT0_T1_T2_jT3_P12ihipStream_tbPNSt15iterator_traitsISK_E10value_typeEPNSQ_ISL_E10value_typeEPSM_NS1_7vsmem_tEENKUlT_SK_SL_SM_E_clIPxSE_SF_SF_EESJ_SZ_SK_SL_SM_EUlSZ_E_NS1_11comp_targetILNS1_3genE10ELNS1_11target_archE1201ELNS1_3gpuE5ELNS1_3repE0EEENS1_48merge_mergepath_partition_config_static_selectorELNS0_4arch9wavefront6targetE1EEEvSL_
; %bb.0:
	.section	.rodata,"a",@progbits
	.p2align	6, 0x0
	.amdhsa_kernel _ZN7rocprim17ROCPRIM_400000_NS6detail17trampoline_kernelINS0_14default_configENS1_38merge_sort_block_merge_config_selectorIxNS0_10empty_typeEEEZZNS1_27merge_sort_block_merge_implIS3_N6thrust23THRUST_200600_302600_NS6detail15normal_iteratorINS9_10device_ptrIxEEEEPS5_jNS1_19radix_merge_compareILb0ELb1ExNS0_19identity_decomposerEEEEE10hipError_tT0_T1_T2_jT3_P12ihipStream_tbPNSt15iterator_traitsISK_E10value_typeEPNSQ_ISL_E10value_typeEPSM_NS1_7vsmem_tEENKUlT_SK_SL_SM_E_clIPxSE_SF_SF_EESJ_SZ_SK_SL_SM_EUlSZ_E_NS1_11comp_targetILNS1_3genE10ELNS1_11target_archE1201ELNS1_3gpuE5ELNS1_3repE0EEENS1_48merge_mergepath_partition_config_static_selectorELNS0_4arch9wavefront6targetE1EEEvSL_
		.amdhsa_group_segment_fixed_size 0
		.amdhsa_private_segment_fixed_size 0
		.amdhsa_kernarg_size 40
		.amdhsa_user_sgpr_count 6
		.amdhsa_user_sgpr_private_segment_buffer 1
		.amdhsa_user_sgpr_dispatch_ptr 0
		.amdhsa_user_sgpr_queue_ptr 0
		.amdhsa_user_sgpr_kernarg_segment_ptr 1
		.amdhsa_user_sgpr_dispatch_id 0
		.amdhsa_user_sgpr_flat_scratch_init 0
		.amdhsa_user_sgpr_kernarg_preload_length 0
		.amdhsa_user_sgpr_kernarg_preload_offset 0
		.amdhsa_user_sgpr_private_segment_size 0
		.amdhsa_uses_dynamic_stack 0
		.amdhsa_system_sgpr_private_segment_wavefront_offset 0
		.amdhsa_system_sgpr_workgroup_id_x 1
		.amdhsa_system_sgpr_workgroup_id_y 0
		.amdhsa_system_sgpr_workgroup_id_z 0
		.amdhsa_system_sgpr_workgroup_info 0
		.amdhsa_system_vgpr_workitem_id 0
		.amdhsa_next_free_vgpr 1
		.amdhsa_next_free_sgpr 0
		.amdhsa_accum_offset 4
		.amdhsa_reserve_vcc 0
		.amdhsa_reserve_flat_scratch 0
		.amdhsa_float_round_mode_32 0
		.amdhsa_float_round_mode_16_64 0
		.amdhsa_float_denorm_mode_32 3
		.amdhsa_float_denorm_mode_16_64 3
		.amdhsa_dx10_clamp 1
		.amdhsa_ieee_mode 1
		.amdhsa_fp16_overflow 0
		.amdhsa_tg_split 0
		.amdhsa_exception_fp_ieee_invalid_op 0
		.amdhsa_exception_fp_denorm_src 0
		.amdhsa_exception_fp_ieee_div_zero 0
		.amdhsa_exception_fp_ieee_overflow 0
		.amdhsa_exception_fp_ieee_underflow 0
		.amdhsa_exception_fp_ieee_inexact 0
		.amdhsa_exception_int_div_zero 0
	.end_amdhsa_kernel
	.section	.text._ZN7rocprim17ROCPRIM_400000_NS6detail17trampoline_kernelINS0_14default_configENS1_38merge_sort_block_merge_config_selectorIxNS0_10empty_typeEEEZZNS1_27merge_sort_block_merge_implIS3_N6thrust23THRUST_200600_302600_NS6detail15normal_iteratorINS9_10device_ptrIxEEEEPS5_jNS1_19radix_merge_compareILb0ELb1ExNS0_19identity_decomposerEEEEE10hipError_tT0_T1_T2_jT3_P12ihipStream_tbPNSt15iterator_traitsISK_E10value_typeEPNSQ_ISL_E10value_typeEPSM_NS1_7vsmem_tEENKUlT_SK_SL_SM_E_clIPxSE_SF_SF_EESJ_SZ_SK_SL_SM_EUlSZ_E_NS1_11comp_targetILNS1_3genE10ELNS1_11target_archE1201ELNS1_3gpuE5ELNS1_3repE0EEENS1_48merge_mergepath_partition_config_static_selectorELNS0_4arch9wavefront6targetE1EEEvSL_,"axG",@progbits,_ZN7rocprim17ROCPRIM_400000_NS6detail17trampoline_kernelINS0_14default_configENS1_38merge_sort_block_merge_config_selectorIxNS0_10empty_typeEEEZZNS1_27merge_sort_block_merge_implIS3_N6thrust23THRUST_200600_302600_NS6detail15normal_iteratorINS9_10device_ptrIxEEEEPS5_jNS1_19radix_merge_compareILb0ELb1ExNS0_19identity_decomposerEEEEE10hipError_tT0_T1_T2_jT3_P12ihipStream_tbPNSt15iterator_traitsISK_E10value_typeEPNSQ_ISL_E10value_typeEPSM_NS1_7vsmem_tEENKUlT_SK_SL_SM_E_clIPxSE_SF_SF_EESJ_SZ_SK_SL_SM_EUlSZ_E_NS1_11comp_targetILNS1_3genE10ELNS1_11target_archE1201ELNS1_3gpuE5ELNS1_3repE0EEENS1_48merge_mergepath_partition_config_static_selectorELNS0_4arch9wavefront6targetE1EEEvSL_,comdat
.Lfunc_end1468:
	.size	_ZN7rocprim17ROCPRIM_400000_NS6detail17trampoline_kernelINS0_14default_configENS1_38merge_sort_block_merge_config_selectorIxNS0_10empty_typeEEEZZNS1_27merge_sort_block_merge_implIS3_N6thrust23THRUST_200600_302600_NS6detail15normal_iteratorINS9_10device_ptrIxEEEEPS5_jNS1_19radix_merge_compareILb0ELb1ExNS0_19identity_decomposerEEEEE10hipError_tT0_T1_T2_jT3_P12ihipStream_tbPNSt15iterator_traitsISK_E10value_typeEPNSQ_ISL_E10value_typeEPSM_NS1_7vsmem_tEENKUlT_SK_SL_SM_E_clIPxSE_SF_SF_EESJ_SZ_SK_SL_SM_EUlSZ_E_NS1_11comp_targetILNS1_3genE10ELNS1_11target_archE1201ELNS1_3gpuE5ELNS1_3repE0EEENS1_48merge_mergepath_partition_config_static_selectorELNS0_4arch9wavefront6targetE1EEEvSL_, .Lfunc_end1468-_ZN7rocprim17ROCPRIM_400000_NS6detail17trampoline_kernelINS0_14default_configENS1_38merge_sort_block_merge_config_selectorIxNS0_10empty_typeEEEZZNS1_27merge_sort_block_merge_implIS3_N6thrust23THRUST_200600_302600_NS6detail15normal_iteratorINS9_10device_ptrIxEEEEPS5_jNS1_19radix_merge_compareILb0ELb1ExNS0_19identity_decomposerEEEEE10hipError_tT0_T1_T2_jT3_P12ihipStream_tbPNSt15iterator_traitsISK_E10value_typeEPNSQ_ISL_E10value_typeEPSM_NS1_7vsmem_tEENKUlT_SK_SL_SM_E_clIPxSE_SF_SF_EESJ_SZ_SK_SL_SM_EUlSZ_E_NS1_11comp_targetILNS1_3genE10ELNS1_11target_archE1201ELNS1_3gpuE5ELNS1_3repE0EEENS1_48merge_mergepath_partition_config_static_selectorELNS0_4arch9wavefront6targetE1EEEvSL_
                                        ; -- End function
	.section	.AMDGPU.csdata,"",@progbits
; Kernel info:
; codeLenInByte = 0
; NumSgprs: 4
; NumVgprs: 0
; NumAgprs: 0
; TotalNumVgprs: 0
; ScratchSize: 0
; MemoryBound: 0
; FloatMode: 240
; IeeeMode: 1
; LDSByteSize: 0 bytes/workgroup (compile time only)
; SGPRBlocks: 0
; VGPRBlocks: 0
; NumSGPRsForWavesPerEU: 4
; NumVGPRsForWavesPerEU: 1
; AccumOffset: 4
; Occupancy: 8
; WaveLimiterHint : 0
; COMPUTE_PGM_RSRC2:SCRATCH_EN: 0
; COMPUTE_PGM_RSRC2:USER_SGPR: 6
; COMPUTE_PGM_RSRC2:TRAP_HANDLER: 0
; COMPUTE_PGM_RSRC2:TGID_X_EN: 1
; COMPUTE_PGM_RSRC2:TGID_Y_EN: 0
; COMPUTE_PGM_RSRC2:TGID_Z_EN: 0
; COMPUTE_PGM_RSRC2:TIDIG_COMP_CNT: 0
; COMPUTE_PGM_RSRC3_GFX90A:ACCUM_OFFSET: 0
; COMPUTE_PGM_RSRC3_GFX90A:TG_SPLIT: 0
	.section	.text._ZN7rocprim17ROCPRIM_400000_NS6detail17trampoline_kernelINS0_14default_configENS1_38merge_sort_block_merge_config_selectorIxNS0_10empty_typeEEEZZNS1_27merge_sort_block_merge_implIS3_N6thrust23THRUST_200600_302600_NS6detail15normal_iteratorINS9_10device_ptrIxEEEEPS5_jNS1_19radix_merge_compareILb0ELb1ExNS0_19identity_decomposerEEEEE10hipError_tT0_T1_T2_jT3_P12ihipStream_tbPNSt15iterator_traitsISK_E10value_typeEPNSQ_ISL_E10value_typeEPSM_NS1_7vsmem_tEENKUlT_SK_SL_SM_E_clIPxSE_SF_SF_EESJ_SZ_SK_SL_SM_EUlSZ_E_NS1_11comp_targetILNS1_3genE5ELNS1_11target_archE942ELNS1_3gpuE9ELNS1_3repE0EEENS1_48merge_mergepath_partition_config_static_selectorELNS0_4arch9wavefront6targetE1EEEvSL_,"axG",@progbits,_ZN7rocprim17ROCPRIM_400000_NS6detail17trampoline_kernelINS0_14default_configENS1_38merge_sort_block_merge_config_selectorIxNS0_10empty_typeEEEZZNS1_27merge_sort_block_merge_implIS3_N6thrust23THRUST_200600_302600_NS6detail15normal_iteratorINS9_10device_ptrIxEEEEPS5_jNS1_19radix_merge_compareILb0ELb1ExNS0_19identity_decomposerEEEEE10hipError_tT0_T1_T2_jT3_P12ihipStream_tbPNSt15iterator_traitsISK_E10value_typeEPNSQ_ISL_E10value_typeEPSM_NS1_7vsmem_tEENKUlT_SK_SL_SM_E_clIPxSE_SF_SF_EESJ_SZ_SK_SL_SM_EUlSZ_E_NS1_11comp_targetILNS1_3genE5ELNS1_11target_archE942ELNS1_3gpuE9ELNS1_3repE0EEENS1_48merge_mergepath_partition_config_static_selectorELNS0_4arch9wavefront6targetE1EEEvSL_,comdat
	.protected	_ZN7rocprim17ROCPRIM_400000_NS6detail17trampoline_kernelINS0_14default_configENS1_38merge_sort_block_merge_config_selectorIxNS0_10empty_typeEEEZZNS1_27merge_sort_block_merge_implIS3_N6thrust23THRUST_200600_302600_NS6detail15normal_iteratorINS9_10device_ptrIxEEEEPS5_jNS1_19radix_merge_compareILb0ELb1ExNS0_19identity_decomposerEEEEE10hipError_tT0_T1_T2_jT3_P12ihipStream_tbPNSt15iterator_traitsISK_E10value_typeEPNSQ_ISL_E10value_typeEPSM_NS1_7vsmem_tEENKUlT_SK_SL_SM_E_clIPxSE_SF_SF_EESJ_SZ_SK_SL_SM_EUlSZ_E_NS1_11comp_targetILNS1_3genE5ELNS1_11target_archE942ELNS1_3gpuE9ELNS1_3repE0EEENS1_48merge_mergepath_partition_config_static_selectorELNS0_4arch9wavefront6targetE1EEEvSL_ ; -- Begin function _ZN7rocprim17ROCPRIM_400000_NS6detail17trampoline_kernelINS0_14default_configENS1_38merge_sort_block_merge_config_selectorIxNS0_10empty_typeEEEZZNS1_27merge_sort_block_merge_implIS3_N6thrust23THRUST_200600_302600_NS6detail15normal_iteratorINS9_10device_ptrIxEEEEPS5_jNS1_19radix_merge_compareILb0ELb1ExNS0_19identity_decomposerEEEEE10hipError_tT0_T1_T2_jT3_P12ihipStream_tbPNSt15iterator_traitsISK_E10value_typeEPNSQ_ISL_E10value_typeEPSM_NS1_7vsmem_tEENKUlT_SK_SL_SM_E_clIPxSE_SF_SF_EESJ_SZ_SK_SL_SM_EUlSZ_E_NS1_11comp_targetILNS1_3genE5ELNS1_11target_archE942ELNS1_3gpuE9ELNS1_3repE0EEENS1_48merge_mergepath_partition_config_static_selectorELNS0_4arch9wavefront6targetE1EEEvSL_
	.globl	_ZN7rocprim17ROCPRIM_400000_NS6detail17trampoline_kernelINS0_14default_configENS1_38merge_sort_block_merge_config_selectorIxNS0_10empty_typeEEEZZNS1_27merge_sort_block_merge_implIS3_N6thrust23THRUST_200600_302600_NS6detail15normal_iteratorINS9_10device_ptrIxEEEEPS5_jNS1_19radix_merge_compareILb0ELb1ExNS0_19identity_decomposerEEEEE10hipError_tT0_T1_T2_jT3_P12ihipStream_tbPNSt15iterator_traitsISK_E10value_typeEPNSQ_ISL_E10value_typeEPSM_NS1_7vsmem_tEENKUlT_SK_SL_SM_E_clIPxSE_SF_SF_EESJ_SZ_SK_SL_SM_EUlSZ_E_NS1_11comp_targetILNS1_3genE5ELNS1_11target_archE942ELNS1_3gpuE9ELNS1_3repE0EEENS1_48merge_mergepath_partition_config_static_selectorELNS0_4arch9wavefront6targetE1EEEvSL_
	.p2align	8
	.type	_ZN7rocprim17ROCPRIM_400000_NS6detail17trampoline_kernelINS0_14default_configENS1_38merge_sort_block_merge_config_selectorIxNS0_10empty_typeEEEZZNS1_27merge_sort_block_merge_implIS3_N6thrust23THRUST_200600_302600_NS6detail15normal_iteratorINS9_10device_ptrIxEEEEPS5_jNS1_19radix_merge_compareILb0ELb1ExNS0_19identity_decomposerEEEEE10hipError_tT0_T1_T2_jT3_P12ihipStream_tbPNSt15iterator_traitsISK_E10value_typeEPNSQ_ISL_E10value_typeEPSM_NS1_7vsmem_tEENKUlT_SK_SL_SM_E_clIPxSE_SF_SF_EESJ_SZ_SK_SL_SM_EUlSZ_E_NS1_11comp_targetILNS1_3genE5ELNS1_11target_archE942ELNS1_3gpuE9ELNS1_3repE0EEENS1_48merge_mergepath_partition_config_static_selectorELNS0_4arch9wavefront6targetE1EEEvSL_,@function
_ZN7rocprim17ROCPRIM_400000_NS6detail17trampoline_kernelINS0_14default_configENS1_38merge_sort_block_merge_config_selectorIxNS0_10empty_typeEEEZZNS1_27merge_sort_block_merge_implIS3_N6thrust23THRUST_200600_302600_NS6detail15normal_iteratorINS9_10device_ptrIxEEEEPS5_jNS1_19radix_merge_compareILb0ELb1ExNS0_19identity_decomposerEEEEE10hipError_tT0_T1_T2_jT3_P12ihipStream_tbPNSt15iterator_traitsISK_E10value_typeEPNSQ_ISL_E10value_typeEPSM_NS1_7vsmem_tEENKUlT_SK_SL_SM_E_clIPxSE_SF_SF_EESJ_SZ_SK_SL_SM_EUlSZ_E_NS1_11comp_targetILNS1_3genE5ELNS1_11target_archE942ELNS1_3gpuE9ELNS1_3repE0EEENS1_48merge_mergepath_partition_config_static_selectorELNS0_4arch9wavefront6targetE1EEEvSL_: ; @_ZN7rocprim17ROCPRIM_400000_NS6detail17trampoline_kernelINS0_14default_configENS1_38merge_sort_block_merge_config_selectorIxNS0_10empty_typeEEEZZNS1_27merge_sort_block_merge_implIS3_N6thrust23THRUST_200600_302600_NS6detail15normal_iteratorINS9_10device_ptrIxEEEEPS5_jNS1_19radix_merge_compareILb0ELb1ExNS0_19identity_decomposerEEEEE10hipError_tT0_T1_T2_jT3_P12ihipStream_tbPNSt15iterator_traitsISK_E10value_typeEPNSQ_ISL_E10value_typeEPSM_NS1_7vsmem_tEENKUlT_SK_SL_SM_E_clIPxSE_SF_SF_EESJ_SZ_SK_SL_SM_EUlSZ_E_NS1_11comp_targetILNS1_3genE5ELNS1_11target_archE942ELNS1_3gpuE9ELNS1_3repE0EEENS1_48merge_mergepath_partition_config_static_selectorELNS0_4arch9wavefront6targetE1EEEvSL_
; %bb.0:
	.section	.rodata,"a",@progbits
	.p2align	6, 0x0
	.amdhsa_kernel _ZN7rocprim17ROCPRIM_400000_NS6detail17trampoline_kernelINS0_14default_configENS1_38merge_sort_block_merge_config_selectorIxNS0_10empty_typeEEEZZNS1_27merge_sort_block_merge_implIS3_N6thrust23THRUST_200600_302600_NS6detail15normal_iteratorINS9_10device_ptrIxEEEEPS5_jNS1_19radix_merge_compareILb0ELb1ExNS0_19identity_decomposerEEEEE10hipError_tT0_T1_T2_jT3_P12ihipStream_tbPNSt15iterator_traitsISK_E10value_typeEPNSQ_ISL_E10value_typeEPSM_NS1_7vsmem_tEENKUlT_SK_SL_SM_E_clIPxSE_SF_SF_EESJ_SZ_SK_SL_SM_EUlSZ_E_NS1_11comp_targetILNS1_3genE5ELNS1_11target_archE942ELNS1_3gpuE9ELNS1_3repE0EEENS1_48merge_mergepath_partition_config_static_selectorELNS0_4arch9wavefront6targetE1EEEvSL_
		.amdhsa_group_segment_fixed_size 0
		.amdhsa_private_segment_fixed_size 0
		.amdhsa_kernarg_size 40
		.amdhsa_user_sgpr_count 6
		.amdhsa_user_sgpr_private_segment_buffer 1
		.amdhsa_user_sgpr_dispatch_ptr 0
		.amdhsa_user_sgpr_queue_ptr 0
		.amdhsa_user_sgpr_kernarg_segment_ptr 1
		.amdhsa_user_sgpr_dispatch_id 0
		.amdhsa_user_sgpr_flat_scratch_init 0
		.amdhsa_user_sgpr_kernarg_preload_length 0
		.amdhsa_user_sgpr_kernarg_preload_offset 0
		.amdhsa_user_sgpr_private_segment_size 0
		.amdhsa_uses_dynamic_stack 0
		.amdhsa_system_sgpr_private_segment_wavefront_offset 0
		.amdhsa_system_sgpr_workgroup_id_x 1
		.amdhsa_system_sgpr_workgroup_id_y 0
		.amdhsa_system_sgpr_workgroup_id_z 0
		.amdhsa_system_sgpr_workgroup_info 0
		.amdhsa_system_vgpr_workitem_id 0
		.amdhsa_next_free_vgpr 1
		.amdhsa_next_free_sgpr 0
		.amdhsa_accum_offset 4
		.amdhsa_reserve_vcc 0
		.amdhsa_reserve_flat_scratch 0
		.amdhsa_float_round_mode_32 0
		.amdhsa_float_round_mode_16_64 0
		.amdhsa_float_denorm_mode_32 3
		.amdhsa_float_denorm_mode_16_64 3
		.amdhsa_dx10_clamp 1
		.amdhsa_ieee_mode 1
		.amdhsa_fp16_overflow 0
		.amdhsa_tg_split 0
		.amdhsa_exception_fp_ieee_invalid_op 0
		.amdhsa_exception_fp_denorm_src 0
		.amdhsa_exception_fp_ieee_div_zero 0
		.amdhsa_exception_fp_ieee_overflow 0
		.amdhsa_exception_fp_ieee_underflow 0
		.amdhsa_exception_fp_ieee_inexact 0
		.amdhsa_exception_int_div_zero 0
	.end_amdhsa_kernel
	.section	.text._ZN7rocprim17ROCPRIM_400000_NS6detail17trampoline_kernelINS0_14default_configENS1_38merge_sort_block_merge_config_selectorIxNS0_10empty_typeEEEZZNS1_27merge_sort_block_merge_implIS3_N6thrust23THRUST_200600_302600_NS6detail15normal_iteratorINS9_10device_ptrIxEEEEPS5_jNS1_19radix_merge_compareILb0ELb1ExNS0_19identity_decomposerEEEEE10hipError_tT0_T1_T2_jT3_P12ihipStream_tbPNSt15iterator_traitsISK_E10value_typeEPNSQ_ISL_E10value_typeEPSM_NS1_7vsmem_tEENKUlT_SK_SL_SM_E_clIPxSE_SF_SF_EESJ_SZ_SK_SL_SM_EUlSZ_E_NS1_11comp_targetILNS1_3genE5ELNS1_11target_archE942ELNS1_3gpuE9ELNS1_3repE0EEENS1_48merge_mergepath_partition_config_static_selectorELNS0_4arch9wavefront6targetE1EEEvSL_,"axG",@progbits,_ZN7rocprim17ROCPRIM_400000_NS6detail17trampoline_kernelINS0_14default_configENS1_38merge_sort_block_merge_config_selectorIxNS0_10empty_typeEEEZZNS1_27merge_sort_block_merge_implIS3_N6thrust23THRUST_200600_302600_NS6detail15normal_iteratorINS9_10device_ptrIxEEEEPS5_jNS1_19radix_merge_compareILb0ELb1ExNS0_19identity_decomposerEEEEE10hipError_tT0_T1_T2_jT3_P12ihipStream_tbPNSt15iterator_traitsISK_E10value_typeEPNSQ_ISL_E10value_typeEPSM_NS1_7vsmem_tEENKUlT_SK_SL_SM_E_clIPxSE_SF_SF_EESJ_SZ_SK_SL_SM_EUlSZ_E_NS1_11comp_targetILNS1_3genE5ELNS1_11target_archE942ELNS1_3gpuE9ELNS1_3repE0EEENS1_48merge_mergepath_partition_config_static_selectorELNS0_4arch9wavefront6targetE1EEEvSL_,comdat
.Lfunc_end1469:
	.size	_ZN7rocprim17ROCPRIM_400000_NS6detail17trampoline_kernelINS0_14default_configENS1_38merge_sort_block_merge_config_selectorIxNS0_10empty_typeEEEZZNS1_27merge_sort_block_merge_implIS3_N6thrust23THRUST_200600_302600_NS6detail15normal_iteratorINS9_10device_ptrIxEEEEPS5_jNS1_19radix_merge_compareILb0ELb1ExNS0_19identity_decomposerEEEEE10hipError_tT0_T1_T2_jT3_P12ihipStream_tbPNSt15iterator_traitsISK_E10value_typeEPNSQ_ISL_E10value_typeEPSM_NS1_7vsmem_tEENKUlT_SK_SL_SM_E_clIPxSE_SF_SF_EESJ_SZ_SK_SL_SM_EUlSZ_E_NS1_11comp_targetILNS1_3genE5ELNS1_11target_archE942ELNS1_3gpuE9ELNS1_3repE0EEENS1_48merge_mergepath_partition_config_static_selectorELNS0_4arch9wavefront6targetE1EEEvSL_, .Lfunc_end1469-_ZN7rocprim17ROCPRIM_400000_NS6detail17trampoline_kernelINS0_14default_configENS1_38merge_sort_block_merge_config_selectorIxNS0_10empty_typeEEEZZNS1_27merge_sort_block_merge_implIS3_N6thrust23THRUST_200600_302600_NS6detail15normal_iteratorINS9_10device_ptrIxEEEEPS5_jNS1_19radix_merge_compareILb0ELb1ExNS0_19identity_decomposerEEEEE10hipError_tT0_T1_T2_jT3_P12ihipStream_tbPNSt15iterator_traitsISK_E10value_typeEPNSQ_ISL_E10value_typeEPSM_NS1_7vsmem_tEENKUlT_SK_SL_SM_E_clIPxSE_SF_SF_EESJ_SZ_SK_SL_SM_EUlSZ_E_NS1_11comp_targetILNS1_3genE5ELNS1_11target_archE942ELNS1_3gpuE9ELNS1_3repE0EEENS1_48merge_mergepath_partition_config_static_selectorELNS0_4arch9wavefront6targetE1EEEvSL_
                                        ; -- End function
	.section	.AMDGPU.csdata,"",@progbits
; Kernel info:
; codeLenInByte = 0
; NumSgprs: 4
; NumVgprs: 0
; NumAgprs: 0
; TotalNumVgprs: 0
; ScratchSize: 0
; MemoryBound: 0
; FloatMode: 240
; IeeeMode: 1
; LDSByteSize: 0 bytes/workgroup (compile time only)
; SGPRBlocks: 0
; VGPRBlocks: 0
; NumSGPRsForWavesPerEU: 4
; NumVGPRsForWavesPerEU: 1
; AccumOffset: 4
; Occupancy: 8
; WaveLimiterHint : 0
; COMPUTE_PGM_RSRC2:SCRATCH_EN: 0
; COMPUTE_PGM_RSRC2:USER_SGPR: 6
; COMPUTE_PGM_RSRC2:TRAP_HANDLER: 0
; COMPUTE_PGM_RSRC2:TGID_X_EN: 1
; COMPUTE_PGM_RSRC2:TGID_Y_EN: 0
; COMPUTE_PGM_RSRC2:TGID_Z_EN: 0
; COMPUTE_PGM_RSRC2:TIDIG_COMP_CNT: 0
; COMPUTE_PGM_RSRC3_GFX90A:ACCUM_OFFSET: 0
; COMPUTE_PGM_RSRC3_GFX90A:TG_SPLIT: 0
	.section	.text._ZN7rocprim17ROCPRIM_400000_NS6detail17trampoline_kernelINS0_14default_configENS1_38merge_sort_block_merge_config_selectorIxNS0_10empty_typeEEEZZNS1_27merge_sort_block_merge_implIS3_N6thrust23THRUST_200600_302600_NS6detail15normal_iteratorINS9_10device_ptrIxEEEEPS5_jNS1_19radix_merge_compareILb0ELb1ExNS0_19identity_decomposerEEEEE10hipError_tT0_T1_T2_jT3_P12ihipStream_tbPNSt15iterator_traitsISK_E10value_typeEPNSQ_ISL_E10value_typeEPSM_NS1_7vsmem_tEENKUlT_SK_SL_SM_E_clIPxSE_SF_SF_EESJ_SZ_SK_SL_SM_EUlSZ_E_NS1_11comp_targetILNS1_3genE4ELNS1_11target_archE910ELNS1_3gpuE8ELNS1_3repE0EEENS1_48merge_mergepath_partition_config_static_selectorELNS0_4arch9wavefront6targetE1EEEvSL_,"axG",@progbits,_ZN7rocprim17ROCPRIM_400000_NS6detail17trampoline_kernelINS0_14default_configENS1_38merge_sort_block_merge_config_selectorIxNS0_10empty_typeEEEZZNS1_27merge_sort_block_merge_implIS3_N6thrust23THRUST_200600_302600_NS6detail15normal_iteratorINS9_10device_ptrIxEEEEPS5_jNS1_19radix_merge_compareILb0ELb1ExNS0_19identity_decomposerEEEEE10hipError_tT0_T1_T2_jT3_P12ihipStream_tbPNSt15iterator_traitsISK_E10value_typeEPNSQ_ISL_E10value_typeEPSM_NS1_7vsmem_tEENKUlT_SK_SL_SM_E_clIPxSE_SF_SF_EESJ_SZ_SK_SL_SM_EUlSZ_E_NS1_11comp_targetILNS1_3genE4ELNS1_11target_archE910ELNS1_3gpuE8ELNS1_3repE0EEENS1_48merge_mergepath_partition_config_static_selectorELNS0_4arch9wavefront6targetE1EEEvSL_,comdat
	.protected	_ZN7rocprim17ROCPRIM_400000_NS6detail17trampoline_kernelINS0_14default_configENS1_38merge_sort_block_merge_config_selectorIxNS0_10empty_typeEEEZZNS1_27merge_sort_block_merge_implIS3_N6thrust23THRUST_200600_302600_NS6detail15normal_iteratorINS9_10device_ptrIxEEEEPS5_jNS1_19radix_merge_compareILb0ELb1ExNS0_19identity_decomposerEEEEE10hipError_tT0_T1_T2_jT3_P12ihipStream_tbPNSt15iterator_traitsISK_E10value_typeEPNSQ_ISL_E10value_typeEPSM_NS1_7vsmem_tEENKUlT_SK_SL_SM_E_clIPxSE_SF_SF_EESJ_SZ_SK_SL_SM_EUlSZ_E_NS1_11comp_targetILNS1_3genE4ELNS1_11target_archE910ELNS1_3gpuE8ELNS1_3repE0EEENS1_48merge_mergepath_partition_config_static_selectorELNS0_4arch9wavefront6targetE1EEEvSL_ ; -- Begin function _ZN7rocprim17ROCPRIM_400000_NS6detail17trampoline_kernelINS0_14default_configENS1_38merge_sort_block_merge_config_selectorIxNS0_10empty_typeEEEZZNS1_27merge_sort_block_merge_implIS3_N6thrust23THRUST_200600_302600_NS6detail15normal_iteratorINS9_10device_ptrIxEEEEPS5_jNS1_19radix_merge_compareILb0ELb1ExNS0_19identity_decomposerEEEEE10hipError_tT0_T1_T2_jT3_P12ihipStream_tbPNSt15iterator_traitsISK_E10value_typeEPNSQ_ISL_E10value_typeEPSM_NS1_7vsmem_tEENKUlT_SK_SL_SM_E_clIPxSE_SF_SF_EESJ_SZ_SK_SL_SM_EUlSZ_E_NS1_11comp_targetILNS1_3genE4ELNS1_11target_archE910ELNS1_3gpuE8ELNS1_3repE0EEENS1_48merge_mergepath_partition_config_static_selectorELNS0_4arch9wavefront6targetE1EEEvSL_
	.globl	_ZN7rocprim17ROCPRIM_400000_NS6detail17trampoline_kernelINS0_14default_configENS1_38merge_sort_block_merge_config_selectorIxNS0_10empty_typeEEEZZNS1_27merge_sort_block_merge_implIS3_N6thrust23THRUST_200600_302600_NS6detail15normal_iteratorINS9_10device_ptrIxEEEEPS5_jNS1_19radix_merge_compareILb0ELb1ExNS0_19identity_decomposerEEEEE10hipError_tT0_T1_T2_jT3_P12ihipStream_tbPNSt15iterator_traitsISK_E10value_typeEPNSQ_ISL_E10value_typeEPSM_NS1_7vsmem_tEENKUlT_SK_SL_SM_E_clIPxSE_SF_SF_EESJ_SZ_SK_SL_SM_EUlSZ_E_NS1_11comp_targetILNS1_3genE4ELNS1_11target_archE910ELNS1_3gpuE8ELNS1_3repE0EEENS1_48merge_mergepath_partition_config_static_selectorELNS0_4arch9wavefront6targetE1EEEvSL_
	.p2align	8
	.type	_ZN7rocprim17ROCPRIM_400000_NS6detail17trampoline_kernelINS0_14default_configENS1_38merge_sort_block_merge_config_selectorIxNS0_10empty_typeEEEZZNS1_27merge_sort_block_merge_implIS3_N6thrust23THRUST_200600_302600_NS6detail15normal_iteratorINS9_10device_ptrIxEEEEPS5_jNS1_19radix_merge_compareILb0ELb1ExNS0_19identity_decomposerEEEEE10hipError_tT0_T1_T2_jT3_P12ihipStream_tbPNSt15iterator_traitsISK_E10value_typeEPNSQ_ISL_E10value_typeEPSM_NS1_7vsmem_tEENKUlT_SK_SL_SM_E_clIPxSE_SF_SF_EESJ_SZ_SK_SL_SM_EUlSZ_E_NS1_11comp_targetILNS1_3genE4ELNS1_11target_archE910ELNS1_3gpuE8ELNS1_3repE0EEENS1_48merge_mergepath_partition_config_static_selectorELNS0_4arch9wavefront6targetE1EEEvSL_,@function
_ZN7rocprim17ROCPRIM_400000_NS6detail17trampoline_kernelINS0_14default_configENS1_38merge_sort_block_merge_config_selectorIxNS0_10empty_typeEEEZZNS1_27merge_sort_block_merge_implIS3_N6thrust23THRUST_200600_302600_NS6detail15normal_iteratorINS9_10device_ptrIxEEEEPS5_jNS1_19radix_merge_compareILb0ELb1ExNS0_19identity_decomposerEEEEE10hipError_tT0_T1_T2_jT3_P12ihipStream_tbPNSt15iterator_traitsISK_E10value_typeEPNSQ_ISL_E10value_typeEPSM_NS1_7vsmem_tEENKUlT_SK_SL_SM_E_clIPxSE_SF_SF_EESJ_SZ_SK_SL_SM_EUlSZ_E_NS1_11comp_targetILNS1_3genE4ELNS1_11target_archE910ELNS1_3gpuE8ELNS1_3repE0EEENS1_48merge_mergepath_partition_config_static_selectorELNS0_4arch9wavefront6targetE1EEEvSL_: ; @_ZN7rocprim17ROCPRIM_400000_NS6detail17trampoline_kernelINS0_14default_configENS1_38merge_sort_block_merge_config_selectorIxNS0_10empty_typeEEEZZNS1_27merge_sort_block_merge_implIS3_N6thrust23THRUST_200600_302600_NS6detail15normal_iteratorINS9_10device_ptrIxEEEEPS5_jNS1_19radix_merge_compareILb0ELb1ExNS0_19identity_decomposerEEEEE10hipError_tT0_T1_T2_jT3_P12ihipStream_tbPNSt15iterator_traitsISK_E10value_typeEPNSQ_ISL_E10value_typeEPSM_NS1_7vsmem_tEENKUlT_SK_SL_SM_E_clIPxSE_SF_SF_EESJ_SZ_SK_SL_SM_EUlSZ_E_NS1_11comp_targetILNS1_3genE4ELNS1_11target_archE910ELNS1_3gpuE8ELNS1_3repE0EEENS1_48merge_mergepath_partition_config_static_selectorELNS0_4arch9wavefront6targetE1EEEvSL_
; %bb.0:
	s_load_dword s0, s[4:5], 0x0
	v_lshl_or_b32 v0, s6, 7, v0
	s_waitcnt lgkmcnt(0)
	v_cmp_gt_u32_e32 vcc, s0, v0
	s_and_saveexec_b64 s[0:1], vcc
	s_cbranch_execz .LBB1470_6
; %bb.1:
	s_load_dwordx2 s[6:7], s[4:5], 0x4
	s_load_dwordx4 s[0:3], s[4:5], 0x18
	s_waitcnt lgkmcnt(0)
	s_lshr_b32 s8, s6, 9
	s_and_b32 s8, s8, 0x7ffffe
	s_add_i32 s9, s8, -1
	s_sub_i32 s8, 0, s8
	v_and_b32_e32 v1, s8, v0
	v_lshlrev_b32_e32 v1, 10, v1
	v_min_u32_e32 v2, s7, v1
	v_add_u32_e32 v1, s6, v1
	v_min_u32_e32 v4, s7, v1
	v_add_u32_e32 v1, s6, v4
	v_and_b32_e32 v3, s9, v0
	v_min_u32_e32 v1, s7, v1
	v_sub_u32_e32 v5, v1, v2
	v_lshlrev_b32_e32 v3, 10, v3
	v_min_u32_e32 v6, v5, v3
	v_sub_u32_e32 v3, v4, v2
	v_sub_u32_e32 v1, v1, v4
	v_sub_u32_e64 v1, v6, v1 clamp
	v_min_u32_e32 v7, v6, v3
	v_cmp_lt_u32_e32 vcc, v1, v7
	s_and_saveexec_b64 s[6:7], vcc
	s_cbranch_execz .LBB1470_5
; %bb.2:
	s_load_dwordx2 s[4:5], s[4:5], 0x10
	v_mov_b32_e32 v5, 0
	v_mov_b32_e32 v3, v5
	v_lshlrev_b64 v[8:9], 3, v[2:3]
	v_lshlrev_b64 v[10:11], 3, v[4:5]
	s_waitcnt lgkmcnt(0)
	v_mov_b32_e32 v12, s5
	v_add_co_u32_e32 v3, vcc, s4, v8
	v_addc_co_u32_e32 v8, vcc, v12, v9, vcc
	v_add_co_u32_e32 v9, vcc, s4, v10
	v_addc_co_u32_e32 v10, vcc, v12, v11, vcc
	s_mov_b64 s[4:5], 0
.LBB1470_3:                             ; =>This Inner Loop Header: Depth=1
	v_add_u32_e32 v4, v7, v1
	v_lshrrev_b32_e32 v4, 1, v4
	v_lshlrev_b64 v[14:15], 3, v[4:5]
	v_mov_b32_e32 v13, v5
	v_xad_u32 v12, v4, -1, v6
	v_add_co_u32_e32 v14, vcc, v3, v14
	v_addc_co_u32_e32 v15, vcc, v8, v15, vcc
	v_lshlrev_b64 v[12:13], 3, v[12:13]
	v_add_co_u32_e32 v12, vcc, v9, v12
	v_addc_co_u32_e32 v13, vcc, v10, v13, vcc
	global_load_dwordx2 v[14:15], v[14:15], off
	v_add_u32_e32 v11, 1, v4
	global_load_dwordx2 v[12:13], v[12:13], off
	s_waitcnt vmcnt(1)
	v_and_b32_e32 v15, s1, v15
	v_and_b32_e32 v14, s0, v14
	s_waitcnt vmcnt(0)
	v_and_b32_e32 v13, s1, v13
	v_and_b32_e32 v12, s0, v12
	v_cmp_gt_i64_e32 vcc, v[14:15], v[12:13]
	v_cndmask_b32_e32 v7, v7, v4, vcc
	v_cndmask_b32_e32 v1, v11, v1, vcc
	v_cmp_ge_u32_e32 vcc, v1, v7
	s_or_b64 s[4:5], vcc, s[4:5]
	s_andn2_b64 exec, exec, s[4:5]
	s_cbranch_execnz .LBB1470_3
; %bb.4:
	s_or_b64 exec, exec, s[4:5]
.LBB1470_5:
	s_or_b64 exec, exec, s[6:7]
	v_add_u32_e32 v2, v1, v2
	v_mov_b32_e32 v1, 0
	v_lshlrev_b64 v[0:1], 2, v[0:1]
	v_mov_b32_e32 v3, s3
	v_add_co_u32_e32 v0, vcc, s2, v0
	v_addc_co_u32_e32 v1, vcc, v3, v1, vcc
	global_store_dword v[0:1], v2, off
.LBB1470_6:
	s_endpgm
	.section	.rodata,"a",@progbits
	.p2align	6, 0x0
	.amdhsa_kernel _ZN7rocprim17ROCPRIM_400000_NS6detail17trampoline_kernelINS0_14default_configENS1_38merge_sort_block_merge_config_selectorIxNS0_10empty_typeEEEZZNS1_27merge_sort_block_merge_implIS3_N6thrust23THRUST_200600_302600_NS6detail15normal_iteratorINS9_10device_ptrIxEEEEPS5_jNS1_19radix_merge_compareILb0ELb1ExNS0_19identity_decomposerEEEEE10hipError_tT0_T1_T2_jT3_P12ihipStream_tbPNSt15iterator_traitsISK_E10value_typeEPNSQ_ISL_E10value_typeEPSM_NS1_7vsmem_tEENKUlT_SK_SL_SM_E_clIPxSE_SF_SF_EESJ_SZ_SK_SL_SM_EUlSZ_E_NS1_11comp_targetILNS1_3genE4ELNS1_11target_archE910ELNS1_3gpuE8ELNS1_3repE0EEENS1_48merge_mergepath_partition_config_static_selectorELNS0_4arch9wavefront6targetE1EEEvSL_
		.amdhsa_group_segment_fixed_size 0
		.amdhsa_private_segment_fixed_size 0
		.amdhsa_kernarg_size 40
		.amdhsa_user_sgpr_count 6
		.amdhsa_user_sgpr_private_segment_buffer 1
		.amdhsa_user_sgpr_dispatch_ptr 0
		.amdhsa_user_sgpr_queue_ptr 0
		.amdhsa_user_sgpr_kernarg_segment_ptr 1
		.amdhsa_user_sgpr_dispatch_id 0
		.amdhsa_user_sgpr_flat_scratch_init 0
		.amdhsa_user_sgpr_kernarg_preload_length 0
		.amdhsa_user_sgpr_kernarg_preload_offset 0
		.amdhsa_user_sgpr_private_segment_size 0
		.amdhsa_uses_dynamic_stack 0
		.amdhsa_system_sgpr_private_segment_wavefront_offset 0
		.amdhsa_system_sgpr_workgroup_id_x 1
		.amdhsa_system_sgpr_workgroup_id_y 0
		.amdhsa_system_sgpr_workgroup_id_z 0
		.amdhsa_system_sgpr_workgroup_info 0
		.amdhsa_system_vgpr_workitem_id 0
		.amdhsa_next_free_vgpr 16
		.amdhsa_next_free_sgpr 10
		.amdhsa_accum_offset 16
		.amdhsa_reserve_vcc 1
		.amdhsa_reserve_flat_scratch 0
		.amdhsa_float_round_mode_32 0
		.amdhsa_float_round_mode_16_64 0
		.amdhsa_float_denorm_mode_32 3
		.amdhsa_float_denorm_mode_16_64 3
		.amdhsa_dx10_clamp 1
		.amdhsa_ieee_mode 1
		.amdhsa_fp16_overflow 0
		.amdhsa_tg_split 0
		.amdhsa_exception_fp_ieee_invalid_op 0
		.amdhsa_exception_fp_denorm_src 0
		.amdhsa_exception_fp_ieee_div_zero 0
		.amdhsa_exception_fp_ieee_overflow 0
		.amdhsa_exception_fp_ieee_underflow 0
		.amdhsa_exception_fp_ieee_inexact 0
		.amdhsa_exception_int_div_zero 0
	.end_amdhsa_kernel
	.section	.text._ZN7rocprim17ROCPRIM_400000_NS6detail17trampoline_kernelINS0_14default_configENS1_38merge_sort_block_merge_config_selectorIxNS0_10empty_typeEEEZZNS1_27merge_sort_block_merge_implIS3_N6thrust23THRUST_200600_302600_NS6detail15normal_iteratorINS9_10device_ptrIxEEEEPS5_jNS1_19radix_merge_compareILb0ELb1ExNS0_19identity_decomposerEEEEE10hipError_tT0_T1_T2_jT3_P12ihipStream_tbPNSt15iterator_traitsISK_E10value_typeEPNSQ_ISL_E10value_typeEPSM_NS1_7vsmem_tEENKUlT_SK_SL_SM_E_clIPxSE_SF_SF_EESJ_SZ_SK_SL_SM_EUlSZ_E_NS1_11comp_targetILNS1_3genE4ELNS1_11target_archE910ELNS1_3gpuE8ELNS1_3repE0EEENS1_48merge_mergepath_partition_config_static_selectorELNS0_4arch9wavefront6targetE1EEEvSL_,"axG",@progbits,_ZN7rocprim17ROCPRIM_400000_NS6detail17trampoline_kernelINS0_14default_configENS1_38merge_sort_block_merge_config_selectorIxNS0_10empty_typeEEEZZNS1_27merge_sort_block_merge_implIS3_N6thrust23THRUST_200600_302600_NS6detail15normal_iteratorINS9_10device_ptrIxEEEEPS5_jNS1_19radix_merge_compareILb0ELb1ExNS0_19identity_decomposerEEEEE10hipError_tT0_T1_T2_jT3_P12ihipStream_tbPNSt15iterator_traitsISK_E10value_typeEPNSQ_ISL_E10value_typeEPSM_NS1_7vsmem_tEENKUlT_SK_SL_SM_E_clIPxSE_SF_SF_EESJ_SZ_SK_SL_SM_EUlSZ_E_NS1_11comp_targetILNS1_3genE4ELNS1_11target_archE910ELNS1_3gpuE8ELNS1_3repE0EEENS1_48merge_mergepath_partition_config_static_selectorELNS0_4arch9wavefront6targetE1EEEvSL_,comdat
.Lfunc_end1470:
	.size	_ZN7rocprim17ROCPRIM_400000_NS6detail17trampoline_kernelINS0_14default_configENS1_38merge_sort_block_merge_config_selectorIxNS0_10empty_typeEEEZZNS1_27merge_sort_block_merge_implIS3_N6thrust23THRUST_200600_302600_NS6detail15normal_iteratorINS9_10device_ptrIxEEEEPS5_jNS1_19radix_merge_compareILb0ELb1ExNS0_19identity_decomposerEEEEE10hipError_tT0_T1_T2_jT3_P12ihipStream_tbPNSt15iterator_traitsISK_E10value_typeEPNSQ_ISL_E10value_typeEPSM_NS1_7vsmem_tEENKUlT_SK_SL_SM_E_clIPxSE_SF_SF_EESJ_SZ_SK_SL_SM_EUlSZ_E_NS1_11comp_targetILNS1_3genE4ELNS1_11target_archE910ELNS1_3gpuE8ELNS1_3repE0EEENS1_48merge_mergepath_partition_config_static_selectorELNS0_4arch9wavefront6targetE1EEEvSL_, .Lfunc_end1470-_ZN7rocprim17ROCPRIM_400000_NS6detail17trampoline_kernelINS0_14default_configENS1_38merge_sort_block_merge_config_selectorIxNS0_10empty_typeEEEZZNS1_27merge_sort_block_merge_implIS3_N6thrust23THRUST_200600_302600_NS6detail15normal_iteratorINS9_10device_ptrIxEEEEPS5_jNS1_19radix_merge_compareILb0ELb1ExNS0_19identity_decomposerEEEEE10hipError_tT0_T1_T2_jT3_P12ihipStream_tbPNSt15iterator_traitsISK_E10value_typeEPNSQ_ISL_E10value_typeEPSM_NS1_7vsmem_tEENKUlT_SK_SL_SM_E_clIPxSE_SF_SF_EESJ_SZ_SK_SL_SM_EUlSZ_E_NS1_11comp_targetILNS1_3genE4ELNS1_11target_archE910ELNS1_3gpuE8ELNS1_3repE0EEENS1_48merge_mergepath_partition_config_static_selectorELNS0_4arch9wavefront6targetE1EEEvSL_
                                        ; -- End function
	.section	.AMDGPU.csdata,"",@progbits
; Kernel info:
; codeLenInByte = 380
; NumSgprs: 14
; NumVgprs: 16
; NumAgprs: 0
; TotalNumVgprs: 16
; ScratchSize: 0
; MemoryBound: 0
; FloatMode: 240
; IeeeMode: 1
; LDSByteSize: 0 bytes/workgroup (compile time only)
; SGPRBlocks: 1
; VGPRBlocks: 1
; NumSGPRsForWavesPerEU: 14
; NumVGPRsForWavesPerEU: 16
; AccumOffset: 16
; Occupancy: 8
; WaveLimiterHint : 0
; COMPUTE_PGM_RSRC2:SCRATCH_EN: 0
; COMPUTE_PGM_RSRC2:USER_SGPR: 6
; COMPUTE_PGM_RSRC2:TRAP_HANDLER: 0
; COMPUTE_PGM_RSRC2:TGID_X_EN: 1
; COMPUTE_PGM_RSRC2:TGID_Y_EN: 0
; COMPUTE_PGM_RSRC2:TGID_Z_EN: 0
; COMPUTE_PGM_RSRC2:TIDIG_COMP_CNT: 0
; COMPUTE_PGM_RSRC3_GFX90A:ACCUM_OFFSET: 3
; COMPUTE_PGM_RSRC3_GFX90A:TG_SPLIT: 0
	.section	.text._ZN7rocprim17ROCPRIM_400000_NS6detail17trampoline_kernelINS0_14default_configENS1_38merge_sort_block_merge_config_selectorIxNS0_10empty_typeEEEZZNS1_27merge_sort_block_merge_implIS3_N6thrust23THRUST_200600_302600_NS6detail15normal_iteratorINS9_10device_ptrIxEEEEPS5_jNS1_19radix_merge_compareILb0ELb1ExNS0_19identity_decomposerEEEEE10hipError_tT0_T1_T2_jT3_P12ihipStream_tbPNSt15iterator_traitsISK_E10value_typeEPNSQ_ISL_E10value_typeEPSM_NS1_7vsmem_tEENKUlT_SK_SL_SM_E_clIPxSE_SF_SF_EESJ_SZ_SK_SL_SM_EUlSZ_E_NS1_11comp_targetILNS1_3genE3ELNS1_11target_archE908ELNS1_3gpuE7ELNS1_3repE0EEENS1_48merge_mergepath_partition_config_static_selectorELNS0_4arch9wavefront6targetE1EEEvSL_,"axG",@progbits,_ZN7rocprim17ROCPRIM_400000_NS6detail17trampoline_kernelINS0_14default_configENS1_38merge_sort_block_merge_config_selectorIxNS0_10empty_typeEEEZZNS1_27merge_sort_block_merge_implIS3_N6thrust23THRUST_200600_302600_NS6detail15normal_iteratorINS9_10device_ptrIxEEEEPS5_jNS1_19radix_merge_compareILb0ELb1ExNS0_19identity_decomposerEEEEE10hipError_tT0_T1_T2_jT3_P12ihipStream_tbPNSt15iterator_traitsISK_E10value_typeEPNSQ_ISL_E10value_typeEPSM_NS1_7vsmem_tEENKUlT_SK_SL_SM_E_clIPxSE_SF_SF_EESJ_SZ_SK_SL_SM_EUlSZ_E_NS1_11comp_targetILNS1_3genE3ELNS1_11target_archE908ELNS1_3gpuE7ELNS1_3repE0EEENS1_48merge_mergepath_partition_config_static_selectorELNS0_4arch9wavefront6targetE1EEEvSL_,comdat
	.protected	_ZN7rocprim17ROCPRIM_400000_NS6detail17trampoline_kernelINS0_14default_configENS1_38merge_sort_block_merge_config_selectorIxNS0_10empty_typeEEEZZNS1_27merge_sort_block_merge_implIS3_N6thrust23THRUST_200600_302600_NS6detail15normal_iteratorINS9_10device_ptrIxEEEEPS5_jNS1_19radix_merge_compareILb0ELb1ExNS0_19identity_decomposerEEEEE10hipError_tT0_T1_T2_jT3_P12ihipStream_tbPNSt15iterator_traitsISK_E10value_typeEPNSQ_ISL_E10value_typeEPSM_NS1_7vsmem_tEENKUlT_SK_SL_SM_E_clIPxSE_SF_SF_EESJ_SZ_SK_SL_SM_EUlSZ_E_NS1_11comp_targetILNS1_3genE3ELNS1_11target_archE908ELNS1_3gpuE7ELNS1_3repE0EEENS1_48merge_mergepath_partition_config_static_selectorELNS0_4arch9wavefront6targetE1EEEvSL_ ; -- Begin function _ZN7rocprim17ROCPRIM_400000_NS6detail17trampoline_kernelINS0_14default_configENS1_38merge_sort_block_merge_config_selectorIxNS0_10empty_typeEEEZZNS1_27merge_sort_block_merge_implIS3_N6thrust23THRUST_200600_302600_NS6detail15normal_iteratorINS9_10device_ptrIxEEEEPS5_jNS1_19radix_merge_compareILb0ELb1ExNS0_19identity_decomposerEEEEE10hipError_tT0_T1_T2_jT3_P12ihipStream_tbPNSt15iterator_traitsISK_E10value_typeEPNSQ_ISL_E10value_typeEPSM_NS1_7vsmem_tEENKUlT_SK_SL_SM_E_clIPxSE_SF_SF_EESJ_SZ_SK_SL_SM_EUlSZ_E_NS1_11comp_targetILNS1_3genE3ELNS1_11target_archE908ELNS1_3gpuE7ELNS1_3repE0EEENS1_48merge_mergepath_partition_config_static_selectorELNS0_4arch9wavefront6targetE1EEEvSL_
	.globl	_ZN7rocprim17ROCPRIM_400000_NS6detail17trampoline_kernelINS0_14default_configENS1_38merge_sort_block_merge_config_selectorIxNS0_10empty_typeEEEZZNS1_27merge_sort_block_merge_implIS3_N6thrust23THRUST_200600_302600_NS6detail15normal_iteratorINS9_10device_ptrIxEEEEPS5_jNS1_19radix_merge_compareILb0ELb1ExNS0_19identity_decomposerEEEEE10hipError_tT0_T1_T2_jT3_P12ihipStream_tbPNSt15iterator_traitsISK_E10value_typeEPNSQ_ISL_E10value_typeEPSM_NS1_7vsmem_tEENKUlT_SK_SL_SM_E_clIPxSE_SF_SF_EESJ_SZ_SK_SL_SM_EUlSZ_E_NS1_11comp_targetILNS1_3genE3ELNS1_11target_archE908ELNS1_3gpuE7ELNS1_3repE0EEENS1_48merge_mergepath_partition_config_static_selectorELNS0_4arch9wavefront6targetE1EEEvSL_
	.p2align	8
	.type	_ZN7rocprim17ROCPRIM_400000_NS6detail17trampoline_kernelINS0_14default_configENS1_38merge_sort_block_merge_config_selectorIxNS0_10empty_typeEEEZZNS1_27merge_sort_block_merge_implIS3_N6thrust23THRUST_200600_302600_NS6detail15normal_iteratorINS9_10device_ptrIxEEEEPS5_jNS1_19radix_merge_compareILb0ELb1ExNS0_19identity_decomposerEEEEE10hipError_tT0_T1_T2_jT3_P12ihipStream_tbPNSt15iterator_traitsISK_E10value_typeEPNSQ_ISL_E10value_typeEPSM_NS1_7vsmem_tEENKUlT_SK_SL_SM_E_clIPxSE_SF_SF_EESJ_SZ_SK_SL_SM_EUlSZ_E_NS1_11comp_targetILNS1_3genE3ELNS1_11target_archE908ELNS1_3gpuE7ELNS1_3repE0EEENS1_48merge_mergepath_partition_config_static_selectorELNS0_4arch9wavefront6targetE1EEEvSL_,@function
_ZN7rocprim17ROCPRIM_400000_NS6detail17trampoline_kernelINS0_14default_configENS1_38merge_sort_block_merge_config_selectorIxNS0_10empty_typeEEEZZNS1_27merge_sort_block_merge_implIS3_N6thrust23THRUST_200600_302600_NS6detail15normal_iteratorINS9_10device_ptrIxEEEEPS5_jNS1_19radix_merge_compareILb0ELb1ExNS0_19identity_decomposerEEEEE10hipError_tT0_T1_T2_jT3_P12ihipStream_tbPNSt15iterator_traitsISK_E10value_typeEPNSQ_ISL_E10value_typeEPSM_NS1_7vsmem_tEENKUlT_SK_SL_SM_E_clIPxSE_SF_SF_EESJ_SZ_SK_SL_SM_EUlSZ_E_NS1_11comp_targetILNS1_3genE3ELNS1_11target_archE908ELNS1_3gpuE7ELNS1_3repE0EEENS1_48merge_mergepath_partition_config_static_selectorELNS0_4arch9wavefront6targetE1EEEvSL_: ; @_ZN7rocprim17ROCPRIM_400000_NS6detail17trampoline_kernelINS0_14default_configENS1_38merge_sort_block_merge_config_selectorIxNS0_10empty_typeEEEZZNS1_27merge_sort_block_merge_implIS3_N6thrust23THRUST_200600_302600_NS6detail15normal_iteratorINS9_10device_ptrIxEEEEPS5_jNS1_19radix_merge_compareILb0ELb1ExNS0_19identity_decomposerEEEEE10hipError_tT0_T1_T2_jT3_P12ihipStream_tbPNSt15iterator_traitsISK_E10value_typeEPNSQ_ISL_E10value_typeEPSM_NS1_7vsmem_tEENKUlT_SK_SL_SM_E_clIPxSE_SF_SF_EESJ_SZ_SK_SL_SM_EUlSZ_E_NS1_11comp_targetILNS1_3genE3ELNS1_11target_archE908ELNS1_3gpuE7ELNS1_3repE0EEENS1_48merge_mergepath_partition_config_static_selectorELNS0_4arch9wavefront6targetE1EEEvSL_
; %bb.0:
	.section	.rodata,"a",@progbits
	.p2align	6, 0x0
	.amdhsa_kernel _ZN7rocprim17ROCPRIM_400000_NS6detail17trampoline_kernelINS0_14default_configENS1_38merge_sort_block_merge_config_selectorIxNS0_10empty_typeEEEZZNS1_27merge_sort_block_merge_implIS3_N6thrust23THRUST_200600_302600_NS6detail15normal_iteratorINS9_10device_ptrIxEEEEPS5_jNS1_19radix_merge_compareILb0ELb1ExNS0_19identity_decomposerEEEEE10hipError_tT0_T1_T2_jT3_P12ihipStream_tbPNSt15iterator_traitsISK_E10value_typeEPNSQ_ISL_E10value_typeEPSM_NS1_7vsmem_tEENKUlT_SK_SL_SM_E_clIPxSE_SF_SF_EESJ_SZ_SK_SL_SM_EUlSZ_E_NS1_11comp_targetILNS1_3genE3ELNS1_11target_archE908ELNS1_3gpuE7ELNS1_3repE0EEENS1_48merge_mergepath_partition_config_static_selectorELNS0_4arch9wavefront6targetE1EEEvSL_
		.amdhsa_group_segment_fixed_size 0
		.amdhsa_private_segment_fixed_size 0
		.amdhsa_kernarg_size 40
		.amdhsa_user_sgpr_count 6
		.amdhsa_user_sgpr_private_segment_buffer 1
		.amdhsa_user_sgpr_dispatch_ptr 0
		.amdhsa_user_sgpr_queue_ptr 0
		.amdhsa_user_sgpr_kernarg_segment_ptr 1
		.amdhsa_user_sgpr_dispatch_id 0
		.amdhsa_user_sgpr_flat_scratch_init 0
		.amdhsa_user_sgpr_kernarg_preload_length 0
		.amdhsa_user_sgpr_kernarg_preload_offset 0
		.amdhsa_user_sgpr_private_segment_size 0
		.amdhsa_uses_dynamic_stack 0
		.amdhsa_system_sgpr_private_segment_wavefront_offset 0
		.amdhsa_system_sgpr_workgroup_id_x 1
		.amdhsa_system_sgpr_workgroup_id_y 0
		.amdhsa_system_sgpr_workgroup_id_z 0
		.amdhsa_system_sgpr_workgroup_info 0
		.amdhsa_system_vgpr_workitem_id 0
		.amdhsa_next_free_vgpr 1
		.amdhsa_next_free_sgpr 0
		.amdhsa_accum_offset 4
		.amdhsa_reserve_vcc 0
		.amdhsa_reserve_flat_scratch 0
		.amdhsa_float_round_mode_32 0
		.amdhsa_float_round_mode_16_64 0
		.amdhsa_float_denorm_mode_32 3
		.amdhsa_float_denorm_mode_16_64 3
		.amdhsa_dx10_clamp 1
		.amdhsa_ieee_mode 1
		.amdhsa_fp16_overflow 0
		.amdhsa_tg_split 0
		.amdhsa_exception_fp_ieee_invalid_op 0
		.amdhsa_exception_fp_denorm_src 0
		.amdhsa_exception_fp_ieee_div_zero 0
		.amdhsa_exception_fp_ieee_overflow 0
		.amdhsa_exception_fp_ieee_underflow 0
		.amdhsa_exception_fp_ieee_inexact 0
		.amdhsa_exception_int_div_zero 0
	.end_amdhsa_kernel
	.section	.text._ZN7rocprim17ROCPRIM_400000_NS6detail17trampoline_kernelINS0_14default_configENS1_38merge_sort_block_merge_config_selectorIxNS0_10empty_typeEEEZZNS1_27merge_sort_block_merge_implIS3_N6thrust23THRUST_200600_302600_NS6detail15normal_iteratorINS9_10device_ptrIxEEEEPS5_jNS1_19radix_merge_compareILb0ELb1ExNS0_19identity_decomposerEEEEE10hipError_tT0_T1_T2_jT3_P12ihipStream_tbPNSt15iterator_traitsISK_E10value_typeEPNSQ_ISL_E10value_typeEPSM_NS1_7vsmem_tEENKUlT_SK_SL_SM_E_clIPxSE_SF_SF_EESJ_SZ_SK_SL_SM_EUlSZ_E_NS1_11comp_targetILNS1_3genE3ELNS1_11target_archE908ELNS1_3gpuE7ELNS1_3repE0EEENS1_48merge_mergepath_partition_config_static_selectorELNS0_4arch9wavefront6targetE1EEEvSL_,"axG",@progbits,_ZN7rocprim17ROCPRIM_400000_NS6detail17trampoline_kernelINS0_14default_configENS1_38merge_sort_block_merge_config_selectorIxNS0_10empty_typeEEEZZNS1_27merge_sort_block_merge_implIS3_N6thrust23THRUST_200600_302600_NS6detail15normal_iteratorINS9_10device_ptrIxEEEEPS5_jNS1_19radix_merge_compareILb0ELb1ExNS0_19identity_decomposerEEEEE10hipError_tT0_T1_T2_jT3_P12ihipStream_tbPNSt15iterator_traitsISK_E10value_typeEPNSQ_ISL_E10value_typeEPSM_NS1_7vsmem_tEENKUlT_SK_SL_SM_E_clIPxSE_SF_SF_EESJ_SZ_SK_SL_SM_EUlSZ_E_NS1_11comp_targetILNS1_3genE3ELNS1_11target_archE908ELNS1_3gpuE7ELNS1_3repE0EEENS1_48merge_mergepath_partition_config_static_selectorELNS0_4arch9wavefront6targetE1EEEvSL_,comdat
.Lfunc_end1471:
	.size	_ZN7rocprim17ROCPRIM_400000_NS6detail17trampoline_kernelINS0_14default_configENS1_38merge_sort_block_merge_config_selectorIxNS0_10empty_typeEEEZZNS1_27merge_sort_block_merge_implIS3_N6thrust23THRUST_200600_302600_NS6detail15normal_iteratorINS9_10device_ptrIxEEEEPS5_jNS1_19radix_merge_compareILb0ELb1ExNS0_19identity_decomposerEEEEE10hipError_tT0_T1_T2_jT3_P12ihipStream_tbPNSt15iterator_traitsISK_E10value_typeEPNSQ_ISL_E10value_typeEPSM_NS1_7vsmem_tEENKUlT_SK_SL_SM_E_clIPxSE_SF_SF_EESJ_SZ_SK_SL_SM_EUlSZ_E_NS1_11comp_targetILNS1_3genE3ELNS1_11target_archE908ELNS1_3gpuE7ELNS1_3repE0EEENS1_48merge_mergepath_partition_config_static_selectorELNS0_4arch9wavefront6targetE1EEEvSL_, .Lfunc_end1471-_ZN7rocprim17ROCPRIM_400000_NS6detail17trampoline_kernelINS0_14default_configENS1_38merge_sort_block_merge_config_selectorIxNS0_10empty_typeEEEZZNS1_27merge_sort_block_merge_implIS3_N6thrust23THRUST_200600_302600_NS6detail15normal_iteratorINS9_10device_ptrIxEEEEPS5_jNS1_19radix_merge_compareILb0ELb1ExNS0_19identity_decomposerEEEEE10hipError_tT0_T1_T2_jT3_P12ihipStream_tbPNSt15iterator_traitsISK_E10value_typeEPNSQ_ISL_E10value_typeEPSM_NS1_7vsmem_tEENKUlT_SK_SL_SM_E_clIPxSE_SF_SF_EESJ_SZ_SK_SL_SM_EUlSZ_E_NS1_11comp_targetILNS1_3genE3ELNS1_11target_archE908ELNS1_3gpuE7ELNS1_3repE0EEENS1_48merge_mergepath_partition_config_static_selectorELNS0_4arch9wavefront6targetE1EEEvSL_
                                        ; -- End function
	.section	.AMDGPU.csdata,"",@progbits
; Kernel info:
; codeLenInByte = 0
; NumSgprs: 4
; NumVgprs: 0
; NumAgprs: 0
; TotalNumVgprs: 0
; ScratchSize: 0
; MemoryBound: 0
; FloatMode: 240
; IeeeMode: 1
; LDSByteSize: 0 bytes/workgroup (compile time only)
; SGPRBlocks: 0
; VGPRBlocks: 0
; NumSGPRsForWavesPerEU: 4
; NumVGPRsForWavesPerEU: 1
; AccumOffset: 4
; Occupancy: 8
; WaveLimiterHint : 0
; COMPUTE_PGM_RSRC2:SCRATCH_EN: 0
; COMPUTE_PGM_RSRC2:USER_SGPR: 6
; COMPUTE_PGM_RSRC2:TRAP_HANDLER: 0
; COMPUTE_PGM_RSRC2:TGID_X_EN: 1
; COMPUTE_PGM_RSRC2:TGID_Y_EN: 0
; COMPUTE_PGM_RSRC2:TGID_Z_EN: 0
; COMPUTE_PGM_RSRC2:TIDIG_COMP_CNT: 0
; COMPUTE_PGM_RSRC3_GFX90A:ACCUM_OFFSET: 0
; COMPUTE_PGM_RSRC3_GFX90A:TG_SPLIT: 0
	.section	.text._ZN7rocprim17ROCPRIM_400000_NS6detail17trampoline_kernelINS0_14default_configENS1_38merge_sort_block_merge_config_selectorIxNS0_10empty_typeEEEZZNS1_27merge_sort_block_merge_implIS3_N6thrust23THRUST_200600_302600_NS6detail15normal_iteratorINS9_10device_ptrIxEEEEPS5_jNS1_19radix_merge_compareILb0ELb1ExNS0_19identity_decomposerEEEEE10hipError_tT0_T1_T2_jT3_P12ihipStream_tbPNSt15iterator_traitsISK_E10value_typeEPNSQ_ISL_E10value_typeEPSM_NS1_7vsmem_tEENKUlT_SK_SL_SM_E_clIPxSE_SF_SF_EESJ_SZ_SK_SL_SM_EUlSZ_E_NS1_11comp_targetILNS1_3genE2ELNS1_11target_archE906ELNS1_3gpuE6ELNS1_3repE0EEENS1_48merge_mergepath_partition_config_static_selectorELNS0_4arch9wavefront6targetE1EEEvSL_,"axG",@progbits,_ZN7rocprim17ROCPRIM_400000_NS6detail17trampoline_kernelINS0_14default_configENS1_38merge_sort_block_merge_config_selectorIxNS0_10empty_typeEEEZZNS1_27merge_sort_block_merge_implIS3_N6thrust23THRUST_200600_302600_NS6detail15normal_iteratorINS9_10device_ptrIxEEEEPS5_jNS1_19radix_merge_compareILb0ELb1ExNS0_19identity_decomposerEEEEE10hipError_tT0_T1_T2_jT3_P12ihipStream_tbPNSt15iterator_traitsISK_E10value_typeEPNSQ_ISL_E10value_typeEPSM_NS1_7vsmem_tEENKUlT_SK_SL_SM_E_clIPxSE_SF_SF_EESJ_SZ_SK_SL_SM_EUlSZ_E_NS1_11comp_targetILNS1_3genE2ELNS1_11target_archE906ELNS1_3gpuE6ELNS1_3repE0EEENS1_48merge_mergepath_partition_config_static_selectorELNS0_4arch9wavefront6targetE1EEEvSL_,comdat
	.protected	_ZN7rocprim17ROCPRIM_400000_NS6detail17trampoline_kernelINS0_14default_configENS1_38merge_sort_block_merge_config_selectorIxNS0_10empty_typeEEEZZNS1_27merge_sort_block_merge_implIS3_N6thrust23THRUST_200600_302600_NS6detail15normal_iteratorINS9_10device_ptrIxEEEEPS5_jNS1_19radix_merge_compareILb0ELb1ExNS0_19identity_decomposerEEEEE10hipError_tT0_T1_T2_jT3_P12ihipStream_tbPNSt15iterator_traitsISK_E10value_typeEPNSQ_ISL_E10value_typeEPSM_NS1_7vsmem_tEENKUlT_SK_SL_SM_E_clIPxSE_SF_SF_EESJ_SZ_SK_SL_SM_EUlSZ_E_NS1_11comp_targetILNS1_3genE2ELNS1_11target_archE906ELNS1_3gpuE6ELNS1_3repE0EEENS1_48merge_mergepath_partition_config_static_selectorELNS0_4arch9wavefront6targetE1EEEvSL_ ; -- Begin function _ZN7rocprim17ROCPRIM_400000_NS6detail17trampoline_kernelINS0_14default_configENS1_38merge_sort_block_merge_config_selectorIxNS0_10empty_typeEEEZZNS1_27merge_sort_block_merge_implIS3_N6thrust23THRUST_200600_302600_NS6detail15normal_iteratorINS9_10device_ptrIxEEEEPS5_jNS1_19radix_merge_compareILb0ELb1ExNS0_19identity_decomposerEEEEE10hipError_tT0_T1_T2_jT3_P12ihipStream_tbPNSt15iterator_traitsISK_E10value_typeEPNSQ_ISL_E10value_typeEPSM_NS1_7vsmem_tEENKUlT_SK_SL_SM_E_clIPxSE_SF_SF_EESJ_SZ_SK_SL_SM_EUlSZ_E_NS1_11comp_targetILNS1_3genE2ELNS1_11target_archE906ELNS1_3gpuE6ELNS1_3repE0EEENS1_48merge_mergepath_partition_config_static_selectorELNS0_4arch9wavefront6targetE1EEEvSL_
	.globl	_ZN7rocprim17ROCPRIM_400000_NS6detail17trampoline_kernelINS0_14default_configENS1_38merge_sort_block_merge_config_selectorIxNS0_10empty_typeEEEZZNS1_27merge_sort_block_merge_implIS3_N6thrust23THRUST_200600_302600_NS6detail15normal_iteratorINS9_10device_ptrIxEEEEPS5_jNS1_19radix_merge_compareILb0ELb1ExNS0_19identity_decomposerEEEEE10hipError_tT0_T1_T2_jT3_P12ihipStream_tbPNSt15iterator_traitsISK_E10value_typeEPNSQ_ISL_E10value_typeEPSM_NS1_7vsmem_tEENKUlT_SK_SL_SM_E_clIPxSE_SF_SF_EESJ_SZ_SK_SL_SM_EUlSZ_E_NS1_11comp_targetILNS1_3genE2ELNS1_11target_archE906ELNS1_3gpuE6ELNS1_3repE0EEENS1_48merge_mergepath_partition_config_static_selectorELNS0_4arch9wavefront6targetE1EEEvSL_
	.p2align	8
	.type	_ZN7rocprim17ROCPRIM_400000_NS6detail17trampoline_kernelINS0_14default_configENS1_38merge_sort_block_merge_config_selectorIxNS0_10empty_typeEEEZZNS1_27merge_sort_block_merge_implIS3_N6thrust23THRUST_200600_302600_NS6detail15normal_iteratorINS9_10device_ptrIxEEEEPS5_jNS1_19radix_merge_compareILb0ELb1ExNS0_19identity_decomposerEEEEE10hipError_tT0_T1_T2_jT3_P12ihipStream_tbPNSt15iterator_traitsISK_E10value_typeEPNSQ_ISL_E10value_typeEPSM_NS1_7vsmem_tEENKUlT_SK_SL_SM_E_clIPxSE_SF_SF_EESJ_SZ_SK_SL_SM_EUlSZ_E_NS1_11comp_targetILNS1_3genE2ELNS1_11target_archE906ELNS1_3gpuE6ELNS1_3repE0EEENS1_48merge_mergepath_partition_config_static_selectorELNS0_4arch9wavefront6targetE1EEEvSL_,@function
_ZN7rocprim17ROCPRIM_400000_NS6detail17trampoline_kernelINS0_14default_configENS1_38merge_sort_block_merge_config_selectorIxNS0_10empty_typeEEEZZNS1_27merge_sort_block_merge_implIS3_N6thrust23THRUST_200600_302600_NS6detail15normal_iteratorINS9_10device_ptrIxEEEEPS5_jNS1_19radix_merge_compareILb0ELb1ExNS0_19identity_decomposerEEEEE10hipError_tT0_T1_T2_jT3_P12ihipStream_tbPNSt15iterator_traitsISK_E10value_typeEPNSQ_ISL_E10value_typeEPSM_NS1_7vsmem_tEENKUlT_SK_SL_SM_E_clIPxSE_SF_SF_EESJ_SZ_SK_SL_SM_EUlSZ_E_NS1_11comp_targetILNS1_3genE2ELNS1_11target_archE906ELNS1_3gpuE6ELNS1_3repE0EEENS1_48merge_mergepath_partition_config_static_selectorELNS0_4arch9wavefront6targetE1EEEvSL_: ; @_ZN7rocprim17ROCPRIM_400000_NS6detail17trampoline_kernelINS0_14default_configENS1_38merge_sort_block_merge_config_selectorIxNS0_10empty_typeEEEZZNS1_27merge_sort_block_merge_implIS3_N6thrust23THRUST_200600_302600_NS6detail15normal_iteratorINS9_10device_ptrIxEEEEPS5_jNS1_19radix_merge_compareILb0ELb1ExNS0_19identity_decomposerEEEEE10hipError_tT0_T1_T2_jT3_P12ihipStream_tbPNSt15iterator_traitsISK_E10value_typeEPNSQ_ISL_E10value_typeEPSM_NS1_7vsmem_tEENKUlT_SK_SL_SM_E_clIPxSE_SF_SF_EESJ_SZ_SK_SL_SM_EUlSZ_E_NS1_11comp_targetILNS1_3genE2ELNS1_11target_archE906ELNS1_3gpuE6ELNS1_3repE0EEENS1_48merge_mergepath_partition_config_static_selectorELNS0_4arch9wavefront6targetE1EEEvSL_
; %bb.0:
	.section	.rodata,"a",@progbits
	.p2align	6, 0x0
	.amdhsa_kernel _ZN7rocprim17ROCPRIM_400000_NS6detail17trampoline_kernelINS0_14default_configENS1_38merge_sort_block_merge_config_selectorIxNS0_10empty_typeEEEZZNS1_27merge_sort_block_merge_implIS3_N6thrust23THRUST_200600_302600_NS6detail15normal_iteratorINS9_10device_ptrIxEEEEPS5_jNS1_19radix_merge_compareILb0ELb1ExNS0_19identity_decomposerEEEEE10hipError_tT0_T1_T2_jT3_P12ihipStream_tbPNSt15iterator_traitsISK_E10value_typeEPNSQ_ISL_E10value_typeEPSM_NS1_7vsmem_tEENKUlT_SK_SL_SM_E_clIPxSE_SF_SF_EESJ_SZ_SK_SL_SM_EUlSZ_E_NS1_11comp_targetILNS1_3genE2ELNS1_11target_archE906ELNS1_3gpuE6ELNS1_3repE0EEENS1_48merge_mergepath_partition_config_static_selectorELNS0_4arch9wavefront6targetE1EEEvSL_
		.amdhsa_group_segment_fixed_size 0
		.amdhsa_private_segment_fixed_size 0
		.amdhsa_kernarg_size 40
		.amdhsa_user_sgpr_count 6
		.amdhsa_user_sgpr_private_segment_buffer 1
		.amdhsa_user_sgpr_dispatch_ptr 0
		.amdhsa_user_sgpr_queue_ptr 0
		.amdhsa_user_sgpr_kernarg_segment_ptr 1
		.amdhsa_user_sgpr_dispatch_id 0
		.amdhsa_user_sgpr_flat_scratch_init 0
		.amdhsa_user_sgpr_kernarg_preload_length 0
		.amdhsa_user_sgpr_kernarg_preload_offset 0
		.amdhsa_user_sgpr_private_segment_size 0
		.amdhsa_uses_dynamic_stack 0
		.amdhsa_system_sgpr_private_segment_wavefront_offset 0
		.amdhsa_system_sgpr_workgroup_id_x 1
		.amdhsa_system_sgpr_workgroup_id_y 0
		.amdhsa_system_sgpr_workgroup_id_z 0
		.amdhsa_system_sgpr_workgroup_info 0
		.amdhsa_system_vgpr_workitem_id 0
		.amdhsa_next_free_vgpr 1
		.amdhsa_next_free_sgpr 0
		.amdhsa_accum_offset 4
		.amdhsa_reserve_vcc 0
		.amdhsa_reserve_flat_scratch 0
		.amdhsa_float_round_mode_32 0
		.amdhsa_float_round_mode_16_64 0
		.amdhsa_float_denorm_mode_32 3
		.amdhsa_float_denorm_mode_16_64 3
		.amdhsa_dx10_clamp 1
		.amdhsa_ieee_mode 1
		.amdhsa_fp16_overflow 0
		.amdhsa_tg_split 0
		.amdhsa_exception_fp_ieee_invalid_op 0
		.amdhsa_exception_fp_denorm_src 0
		.amdhsa_exception_fp_ieee_div_zero 0
		.amdhsa_exception_fp_ieee_overflow 0
		.amdhsa_exception_fp_ieee_underflow 0
		.amdhsa_exception_fp_ieee_inexact 0
		.amdhsa_exception_int_div_zero 0
	.end_amdhsa_kernel
	.section	.text._ZN7rocprim17ROCPRIM_400000_NS6detail17trampoline_kernelINS0_14default_configENS1_38merge_sort_block_merge_config_selectorIxNS0_10empty_typeEEEZZNS1_27merge_sort_block_merge_implIS3_N6thrust23THRUST_200600_302600_NS6detail15normal_iteratorINS9_10device_ptrIxEEEEPS5_jNS1_19radix_merge_compareILb0ELb1ExNS0_19identity_decomposerEEEEE10hipError_tT0_T1_T2_jT3_P12ihipStream_tbPNSt15iterator_traitsISK_E10value_typeEPNSQ_ISL_E10value_typeEPSM_NS1_7vsmem_tEENKUlT_SK_SL_SM_E_clIPxSE_SF_SF_EESJ_SZ_SK_SL_SM_EUlSZ_E_NS1_11comp_targetILNS1_3genE2ELNS1_11target_archE906ELNS1_3gpuE6ELNS1_3repE0EEENS1_48merge_mergepath_partition_config_static_selectorELNS0_4arch9wavefront6targetE1EEEvSL_,"axG",@progbits,_ZN7rocprim17ROCPRIM_400000_NS6detail17trampoline_kernelINS0_14default_configENS1_38merge_sort_block_merge_config_selectorIxNS0_10empty_typeEEEZZNS1_27merge_sort_block_merge_implIS3_N6thrust23THRUST_200600_302600_NS6detail15normal_iteratorINS9_10device_ptrIxEEEEPS5_jNS1_19radix_merge_compareILb0ELb1ExNS0_19identity_decomposerEEEEE10hipError_tT0_T1_T2_jT3_P12ihipStream_tbPNSt15iterator_traitsISK_E10value_typeEPNSQ_ISL_E10value_typeEPSM_NS1_7vsmem_tEENKUlT_SK_SL_SM_E_clIPxSE_SF_SF_EESJ_SZ_SK_SL_SM_EUlSZ_E_NS1_11comp_targetILNS1_3genE2ELNS1_11target_archE906ELNS1_3gpuE6ELNS1_3repE0EEENS1_48merge_mergepath_partition_config_static_selectorELNS0_4arch9wavefront6targetE1EEEvSL_,comdat
.Lfunc_end1472:
	.size	_ZN7rocprim17ROCPRIM_400000_NS6detail17trampoline_kernelINS0_14default_configENS1_38merge_sort_block_merge_config_selectorIxNS0_10empty_typeEEEZZNS1_27merge_sort_block_merge_implIS3_N6thrust23THRUST_200600_302600_NS6detail15normal_iteratorINS9_10device_ptrIxEEEEPS5_jNS1_19radix_merge_compareILb0ELb1ExNS0_19identity_decomposerEEEEE10hipError_tT0_T1_T2_jT3_P12ihipStream_tbPNSt15iterator_traitsISK_E10value_typeEPNSQ_ISL_E10value_typeEPSM_NS1_7vsmem_tEENKUlT_SK_SL_SM_E_clIPxSE_SF_SF_EESJ_SZ_SK_SL_SM_EUlSZ_E_NS1_11comp_targetILNS1_3genE2ELNS1_11target_archE906ELNS1_3gpuE6ELNS1_3repE0EEENS1_48merge_mergepath_partition_config_static_selectorELNS0_4arch9wavefront6targetE1EEEvSL_, .Lfunc_end1472-_ZN7rocprim17ROCPRIM_400000_NS6detail17trampoline_kernelINS0_14default_configENS1_38merge_sort_block_merge_config_selectorIxNS0_10empty_typeEEEZZNS1_27merge_sort_block_merge_implIS3_N6thrust23THRUST_200600_302600_NS6detail15normal_iteratorINS9_10device_ptrIxEEEEPS5_jNS1_19radix_merge_compareILb0ELb1ExNS0_19identity_decomposerEEEEE10hipError_tT0_T1_T2_jT3_P12ihipStream_tbPNSt15iterator_traitsISK_E10value_typeEPNSQ_ISL_E10value_typeEPSM_NS1_7vsmem_tEENKUlT_SK_SL_SM_E_clIPxSE_SF_SF_EESJ_SZ_SK_SL_SM_EUlSZ_E_NS1_11comp_targetILNS1_3genE2ELNS1_11target_archE906ELNS1_3gpuE6ELNS1_3repE0EEENS1_48merge_mergepath_partition_config_static_selectorELNS0_4arch9wavefront6targetE1EEEvSL_
                                        ; -- End function
	.section	.AMDGPU.csdata,"",@progbits
; Kernel info:
; codeLenInByte = 0
; NumSgprs: 4
; NumVgprs: 0
; NumAgprs: 0
; TotalNumVgprs: 0
; ScratchSize: 0
; MemoryBound: 0
; FloatMode: 240
; IeeeMode: 1
; LDSByteSize: 0 bytes/workgroup (compile time only)
; SGPRBlocks: 0
; VGPRBlocks: 0
; NumSGPRsForWavesPerEU: 4
; NumVGPRsForWavesPerEU: 1
; AccumOffset: 4
; Occupancy: 8
; WaveLimiterHint : 0
; COMPUTE_PGM_RSRC2:SCRATCH_EN: 0
; COMPUTE_PGM_RSRC2:USER_SGPR: 6
; COMPUTE_PGM_RSRC2:TRAP_HANDLER: 0
; COMPUTE_PGM_RSRC2:TGID_X_EN: 1
; COMPUTE_PGM_RSRC2:TGID_Y_EN: 0
; COMPUTE_PGM_RSRC2:TGID_Z_EN: 0
; COMPUTE_PGM_RSRC2:TIDIG_COMP_CNT: 0
; COMPUTE_PGM_RSRC3_GFX90A:ACCUM_OFFSET: 0
; COMPUTE_PGM_RSRC3_GFX90A:TG_SPLIT: 0
	.section	.text._ZN7rocprim17ROCPRIM_400000_NS6detail17trampoline_kernelINS0_14default_configENS1_38merge_sort_block_merge_config_selectorIxNS0_10empty_typeEEEZZNS1_27merge_sort_block_merge_implIS3_N6thrust23THRUST_200600_302600_NS6detail15normal_iteratorINS9_10device_ptrIxEEEEPS5_jNS1_19radix_merge_compareILb0ELb1ExNS0_19identity_decomposerEEEEE10hipError_tT0_T1_T2_jT3_P12ihipStream_tbPNSt15iterator_traitsISK_E10value_typeEPNSQ_ISL_E10value_typeEPSM_NS1_7vsmem_tEENKUlT_SK_SL_SM_E_clIPxSE_SF_SF_EESJ_SZ_SK_SL_SM_EUlSZ_E_NS1_11comp_targetILNS1_3genE9ELNS1_11target_archE1100ELNS1_3gpuE3ELNS1_3repE0EEENS1_48merge_mergepath_partition_config_static_selectorELNS0_4arch9wavefront6targetE1EEEvSL_,"axG",@progbits,_ZN7rocprim17ROCPRIM_400000_NS6detail17trampoline_kernelINS0_14default_configENS1_38merge_sort_block_merge_config_selectorIxNS0_10empty_typeEEEZZNS1_27merge_sort_block_merge_implIS3_N6thrust23THRUST_200600_302600_NS6detail15normal_iteratorINS9_10device_ptrIxEEEEPS5_jNS1_19radix_merge_compareILb0ELb1ExNS0_19identity_decomposerEEEEE10hipError_tT0_T1_T2_jT3_P12ihipStream_tbPNSt15iterator_traitsISK_E10value_typeEPNSQ_ISL_E10value_typeEPSM_NS1_7vsmem_tEENKUlT_SK_SL_SM_E_clIPxSE_SF_SF_EESJ_SZ_SK_SL_SM_EUlSZ_E_NS1_11comp_targetILNS1_3genE9ELNS1_11target_archE1100ELNS1_3gpuE3ELNS1_3repE0EEENS1_48merge_mergepath_partition_config_static_selectorELNS0_4arch9wavefront6targetE1EEEvSL_,comdat
	.protected	_ZN7rocprim17ROCPRIM_400000_NS6detail17trampoline_kernelINS0_14default_configENS1_38merge_sort_block_merge_config_selectorIxNS0_10empty_typeEEEZZNS1_27merge_sort_block_merge_implIS3_N6thrust23THRUST_200600_302600_NS6detail15normal_iteratorINS9_10device_ptrIxEEEEPS5_jNS1_19radix_merge_compareILb0ELb1ExNS0_19identity_decomposerEEEEE10hipError_tT0_T1_T2_jT3_P12ihipStream_tbPNSt15iterator_traitsISK_E10value_typeEPNSQ_ISL_E10value_typeEPSM_NS1_7vsmem_tEENKUlT_SK_SL_SM_E_clIPxSE_SF_SF_EESJ_SZ_SK_SL_SM_EUlSZ_E_NS1_11comp_targetILNS1_3genE9ELNS1_11target_archE1100ELNS1_3gpuE3ELNS1_3repE0EEENS1_48merge_mergepath_partition_config_static_selectorELNS0_4arch9wavefront6targetE1EEEvSL_ ; -- Begin function _ZN7rocprim17ROCPRIM_400000_NS6detail17trampoline_kernelINS0_14default_configENS1_38merge_sort_block_merge_config_selectorIxNS0_10empty_typeEEEZZNS1_27merge_sort_block_merge_implIS3_N6thrust23THRUST_200600_302600_NS6detail15normal_iteratorINS9_10device_ptrIxEEEEPS5_jNS1_19radix_merge_compareILb0ELb1ExNS0_19identity_decomposerEEEEE10hipError_tT0_T1_T2_jT3_P12ihipStream_tbPNSt15iterator_traitsISK_E10value_typeEPNSQ_ISL_E10value_typeEPSM_NS1_7vsmem_tEENKUlT_SK_SL_SM_E_clIPxSE_SF_SF_EESJ_SZ_SK_SL_SM_EUlSZ_E_NS1_11comp_targetILNS1_3genE9ELNS1_11target_archE1100ELNS1_3gpuE3ELNS1_3repE0EEENS1_48merge_mergepath_partition_config_static_selectorELNS0_4arch9wavefront6targetE1EEEvSL_
	.globl	_ZN7rocprim17ROCPRIM_400000_NS6detail17trampoline_kernelINS0_14default_configENS1_38merge_sort_block_merge_config_selectorIxNS0_10empty_typeEEEZZNS1_27merge_sort_block_merge_implIS3_N6thrust23THRUST_200600_302600_NS6detail15normal_iteratorINS9_10device_ptrIxEEEEPS5_jNS1_19radix_merge_compareILb0ELb1ExNS0_19identity_decomposerEEEEE10hipError_tT0_T1_T2_jT3_P12ihipStream_tbPNSt15iterator_traitsISK_E10value_typeEPNSQ_ISL_E10value_typeEPSM_NS1_7vsmem_tEENKUlT_SK_SL_SM_E_clIPxSE_SF_SF_EESJ_SZ_SK_SL_SM_EUlSZ_E_NS1_11comp_targetILNS1_3genE9ELNS1_11target_archE1100ELNS1_3gpuE3ELNS1_3repE0EEENS1_48merge_mergepath_partition_config_static_selectorELNS0_4arch9wavefront6targetE1EEEvSL_
	.p2align	8
	.type	_ZN7rocprim17ROCPRIM_400000_NS6detail17trampoline_kernelINS0_14default_configENS1_38merge_sort_block_merge_config_selectorIxNS0_10empty_typeEEEZZNS1_27merge_sort_block_merge_implIS3_N6thrust23THRUST_200600_302600_NS6detail15normal_iteratorINS9_10device_ptrIxEEEEPS5_jNS1_19radix_merge_compareILb0ELb1ExNS0_19identity_decomposerEEEEE10hipError_tT0_T1_T2_jT3_P12ihipStream_tbPNSt15iterator_traitsISK_E10value_typeEPNSQ_ISL_E10value_typeEPSM_NS1_7vsmem_tEENKUlT_SK_SL_SM_E_clIPxSE_SF_SF_EESJ_SZ_SK_SL_SM_EUlSZ_E_NS1_11comp_targetILNS1_3genE9ELNS1_11target_archE1100ELNS1_3gpuE3ELNS1_3repE0EEENS1_48merge_mergepath_partition_config_static_selectorELNS0_4arch9wavefront6targetE1EEEvSL_,@function
_ZN7rocprim17ROCPRIM_400000_NS6detail17trampoline_kernelINS0_14default_configENS1_38merge_sort_block_merge_config_selectorIxNS0_10empty_typeEEEZZNS1_27merge_sort_block_merge_implIS3_N6thrust23THRUST_200600_302600_NS6detail15normal_iteratorINS9_10device_ptrIxEEEEPS5_jNS1_19radix_merge_compareILb0ELb1ExNS0_19identity_decomposerEEEEE10hipError_tT0_T1_T2_jT3_P12ihipStream_tbPNSt15iterator_traitsISK_E10value_typeEPNSQ_ISL_E10value_typeEPSM_NS1_7vsmem_tEENKUlT_SK_SL_SM_E_clIPxSE_SF_SF_EESJ_SZ_SK_SL_SM_EUlSZ_E_NS1_11comp_targetILNS1_3genE9ELNS1_11target_archE1100ELNS1_3gpuE3ELNS1_3repE0EEENS1_48merge_mergepath_partition_config_static_selectorELNS0_4arch9wavefront6targetE1EEEvSL_: ; @_ZN7rocprim17ROCPRIM_400000_NS6detail17trampoline_kernelINS0_14default_configENS1_38merge_sort_block_merge_config_selectorIxNS0_10empty_typeEEEZZNS1_27merge_sort_block_merge_implIS3_N6thrust23THRUST_200600_302600_NS6detail15normal_iteratorINS9_10device_ptrIxEEEEPS5_jNS1_19radix_merge_compareILb0ELb1ExNS0_19identity_decomposerEEEEE10hipError_tT0_T1_T2_jT3_P12ihipStream_tbPNSt15iterator_traitsISK_E10value_typeEPNSQ_ISL_E10value_typeEPSM_NS1_7vsmem_tEENKUlT_SK_SL_SM_E_clIPxSE_SF_SF_EESJ_SZ_SK_SL_SM_EUlSZ_E_NS1_11comp_targetILNS1_3genE9ELNS1_11target_archE1100ELNS1_3gpuE3ELNS1_3repE0EEENS1_48merge_mergepath_partition_config_static_selectorELNS0_4arch9wavefront6targetE1EEEvSL_
; %bb.0:
	.section	.rodata,"a",@progbits
	.p2align	6, 0x0
	.amdhsa_kernel _ZN7rocprim17ROCPRIM_400000_NS6detail17trampoline_kernelINS0_14default_configENS1_38merge_sort_block_merge_config_selectorIxNS0_10empty_typeEEEZZNS1_27merge_sort_block_merge_implIS3_N6thrust23THRUST_200600_302600_NS6detail15normal_iteratorINS9_10device_ptrIxEEEEPS5_jNS1_19radix_merge_compareILb0ELb1ExNS0_19identity_decomposerEEEEE10hipError_tT0_T1_T2_jT3_P12ihipStream_tbPNSt15iterator_traitsISK_E10value_typeEPNSQ_ISL_E10value_typeEPSM_NS1_7vsmem_tEENKUlT_SK_SL_SM_E_clIPxSE_SF_SF_EESJ_SZ_SK_SL_SM_EUlSZ_E_NS1_11comp_targetILNS1_3genE9ELNS1_11target_archE1100ELNS1_3gpuE3ELNS1_3repE0EEENS1_48merge_mergepath_partition_config_static_selectorELNS0_4arch9wavefront6targetE1EEEvSL_
		.amdhsa_group_segment_fixed_size 0
		.amdhsa_private_segment_fixed_size 0
		.amdhsa_kernarg_size 40
		.amdhsa_user_sgpr_count 6
		.amdhsa_user_sgpr_private_segment_buffer 1
		.amdhsa_user_sgpr_dispatch_ptr 0
		.amdhsa_user_sgpr_queue_ptr 0
		.amdhsa_user_sgpr_kernarg_segment_ptr 1
		.amdhsa_user_sgpr_dispatch_id 0
		.amdhsa_user_sgpr_flat_scratch_init 0
		.amdhsa_user_sgpr_kernarg_preload_length 0
		.amdhsa_user_sgpr_kernarg_preload_offset 0
		.amdhsa_user_sgpr_private_segment_size 0
		.amdhsa_uses_dynamic_stack 0
		.amdhsa_system_sgpr_private_segment_wavefront_offset 0
		.amdhsa_system_sgpr_workgroup_id_x 1
		.amdhsa_system_sgpr_workgroup_id_y 0
		.amdhsa_system_sgpr_workgroup_id_z 0
		.amdhsa_system_sgpr_workgroup_info 0
		.amdhsa_system_vgpr_workitem_id 0
		.amdhsa_next_free_vgpr 1
		.amdhsa_next_free_sgpr 0
		.amdhsa_accum_offset 4
		.amdhsa_reserve_vcc 0
		.amdhsa_reserve_flat_scratch 0
		.amdhsa_float_round_mode_32 0
		.amdhsa_float_round_mode_16_64 0
		.amdhsa_float_denorm_mode_32 3
		.amdhsa_float_denorm_mode_16_64 3
		.amdhsa_dx10_clamp 1
		.amdhsa_ieee_mode 1
		.amdhsa_fp16_overflow 0
		.amdhsa_tg_split 0
		.amdhsa_exception_fp_ieee_invalid_op 0
		.amdhsa_exception_fp_denorm_src 0
		.amdhsa_exception_fp_ieee_div_zero 0
		.amdhsa_exception_fp_ieee_overflow 0
		.amdhsa_exception_fp_ieee_underflow 0
		.amdhsa_exception_fp_ieee_inexact 0
		.amdhsa_exception_int_div_zero 0
	.end_amdhsa_kernel
	.section	.text._ZN7rocprim17ROCPRIM_400000_NS6detail17trampoline_kernelINS0_14default_configENS1_38merge_sort_block_merge_config_selectorIxNS0_10empty_typeEEEZZNS1_27merge_sort_block_merge_implIS3_N6thrust23THRUST_200600_302600_NS6detail15normal_iteratorINS9_10device_ptrIxEEEEPS5_jNS1_19radix_merge_compareILb0ELb1ExNS0_19identity_decomposerEEEEE10hipError_tT0_T1_T2_jT3_P12ihipStream_tbPNSt15iterator_traitsISK_E10value_typeEPNSQ_ISL_E10value_typeEPSM_NS1_7vsmem_tEENKUlT_SK_SL_SM_E_clIPxSE_SF_SF_EESJ_SZ_SK_SL_SM_EUlSZ_E_NS1_11comp_targetILNS1_3genE9ELNS1_11target_archE1100ELNS1_3gpuE3ELNS1_3repE0EEENS1_48merge_mergepath_partition_config_static_selectorELNS0_4arch9wavefront6targetE1EEEvSL_,"axG",@progbits,_ZN7rocprim17ROCPRIM_400000_NS6detail17trampoline_kernelINS0_14default_configENS1_38merge_sort_block_merge_config_selectorIxNS0_10empty_typeEEEZZNS1_27merge_sort_block_merge_implIS3_N6thrust23THRUST_200600_302600_NS6detail15normal_iteratorINS9_10device_ptrIxEEEEPS5_jNS1_19radix_merge_compareILb0ELb1ExNS0_19identity_decomposerEEEEE10hipError_tT0_T1_T2_jT3_P12ihipStream_tbPNSt15iterator_traitsISK_E10value_typeEPNSQ_ISL_E10value_typeEPSM_NS1_7vsmem_tEENKUlT_SK_SL_SM_E_clIPxSE_SF_SF_EESJ_SZ_SK_SL_SM_EUlSZ_E_NS1_11comp_targetILNS1_3genE9ELNS1_11target_archE1100ELNS1_3gpuE3ELNS1_3repE0EEENS1_48merge_mergepath_partition_config_static_selectorELNS0_4arch9wavefront6targetE1EEEvSL_,comdat
.Lfunc_end1473:
	.size	_ZN7rocprim17ROCPRIM_400000_NS6detail17trampoline_kernelINS0_14default_configENS1_38merge_sort_block_merge_config_selectorIxNS0_10empty_typeEEEZZNS1_27merge_sort_block_merge_implIS3_N6thrust23THRUST_200600_302600_NS6detail15normal_iteratorINS9_10device_ptrIxEEEEPS5_jNS1_19radix_merge_compareILb0ELb1ExNS0_19identity_decomposerEEEEE10hipError_tT0_T1_T2_jT3_P12ihipStream_tbPNSt15iterator_traitsISK_E10value_typeEPNSQ_ISL_E10value_typeEPSM_NS1_7vsmem_tEENKUlT_SK_SL_SM_E_clIPxSE_SF_SF_EESJ_SZ_SK_SL_SM_EUlSZ_E_NS1_11comp_targetILNS1_3genE9ELNS1_11target_archE1100ELNS1_3gpuE3ELNS1_3repE0EEENS1_48merge_mergepath_partition_config_static_selectorELNS0_4arch9wavefront6targetE1EEEvSL_, .Lfunc_end1473-_ZN7rocprim17ROCPRIM_400000_NS6detail17trampoline_kernelINS0_14default_configENS1_38merge_sort_block_merge_config_selectorIxNS0_10empty_typeEEEZZNS1_27merge_sort_block_merge_implIS3_N6thrust23THRUST_200600_302600_NS6detail15normal_iteratorINS9_10device_ptrIxEEEEPS5_jNS1_19radix_merge_compareILb0ELb1ExNS0_19identity_decomposerEEEEE10hipError_tT0_T1_T2_jT3_P12ihipStream_tbPNSt15iterator_traitsISK_E10value_typeEPNSQ_ISL_E10value_typeEPSM_NS1_7vsmem_tEENKUlT_SK_SL_SM_E_clIPxSE_SF_SF_EESJ_SZ_SK_SL_SM_EUlSZ_E_NS1_11comp_targetILNS1_3genE9ELNS1_11target_archE1100ELNS1_3gpuE3ELNS1_3repE0EEENS1_48merge_mergepath_partition_config_static_selectorELNS0_4arch9wavefront6targetE1EEEvSL_
                                        ; -- End function
	.section	.AMDGPU.csdata,"",@progbits
; Kernel info:
; codeLenInByte = 0
; NumSgprs: 4
; NumVgprs: 0
; NumAgprs: 0
; TotalNumVgprs: 0
; ScratchSize: 0
; MemoryBound: 0
; FloatMode: 240
; IeeeMode: 1
; LDSByteSize: 0 bytes/workgroup (compile time only)
; SGPRBlocks: 0
; VGPRBlocks: 0
; NumSGPRsForWavesPerEU: 4
; NumVGPRsForWavesPerEU: 1
; AccumOffset: 4
; Occupancy: 8
; WaveLimiterHint : 0
; COMPUTE_PGM_RSRC2:SCRATCH_EN: 0
; COMPUTE_PGM_RSRC2:USER_SGPR: 6
; COMPUTE_PGM_RSRC2:TRAP_HANDLER: 0
; COMPUTE_PGM_RSRC2:TGID_X_EN: 1
; COMPUTE_PGM_RSRC2:TGID_Y_EN: 0
; COMPUTE_PGM_RSRC2:TGID_Z_EN: 0
; COMPUTE_PGM_RSRC2:TIDIG_COMP_CNT: 0
; COMPUTE_PGM_RSRC3_GFX90A:ACCUM_OFFSET: 0
; COMPUTE_PGM_RSRC3_GFX90A:TG_SPLIT: 0
	.section	.text._ZN7rocprim17ROCPRIM_400000_NS6detail17trampoline_kernelINS0_14default_configENS1_38merge_sort_block_merge_config_selectorIxNS0_10empty_typeEEEZZNS1_27merge_sort_block_merge_implIS3_N6thrust23THRUST_200600_302600_NS6detail15normal_iteratorINS9_10device_ptrIxEEEEPS5_jNS1_19radix_merge_compareILb0ELb1ExNS0_19identity_decomposerEEEEE10hipError_tT0_T1_T2_jT3_P12ihipStream_tbPNSt15iterator_traitsISK_E10value_typeEPNSQ_ISL_E10value_typeEPSM_NS1_7vsmem_tEENKUlT_SK_SL_SM_E_clIPxSE_SF_SF_EESJ_SZ_SK_SL_SM_EUlSZ_E_NS1_11comp_targetILNS1_3genE8ELNS1_11target_archE1030ELNS1_3gpuE2ELNS1_3repE0EEENS1_48merge_mergepath_partition_config_static_selectorELNS0_4arch9wavefront6targetE1EEEvSL_,"axG",@progbits,_ZN7rocprim17ROCPRIM_400000_NS6detail17trampoline_kernelINS0_14default_configENS1_38merge_sort_block_merge_config_selectorIxNS0_10empty_typeEEEZZNS1_27merge_sort_block_merge_implIS3_N6thrust23THRUST_200600_302600_NS6detail15normal_iteratorINS9_10device_ptrIxEEEEPS5_jNS1_19radix_merge_compareILb0ELb1ExNS0_19identity_decomposerEEEEE10hipError_tT0_T1_T2_jT3_P12ihipStream_tbPNSt15iterator_traitsISK_E10value_typeEPNSQ_ISL_E10value_typeEPSM_NS1_7vsmem_tEENKUlT_SK_SL_SM_E_clIPxSE_SF_SF_EESJ_SZ_SK_SL_SM_EUlSZ_E_NS1_11comp_targetILNS1_3genE8ELNS1_11target_archE1030ELNS1_3gpuE2ELNS1_3repE0EEENS1_48merge_mergepath_partition_config_static_selectorELNS0_4arch9wavefront6targetE1EEEvSL_,comdat
	.protected	_ZN7rocprim17ROCPRIM_400000_NS6detail17trampoline_kernelINS0_14default_configENS1_38merge_sort_block_merge_config_selectorIxNS0_10empty_typeEEEZZNS1_27merge_sort_block_merge_implIS3_N6thrust23THRUST_200600_302600_NS6detail15normal_iteratorINS9_10device_ptrIxEEEEPS5_jNS1_19radix_merge_compareILb0ELb1ExNS0_19identity_decomposerEEEEE10hipError_tT0_T1_T2_jT3_P12ihipStream_tbPNSt15iterator_traitsISK_E10value_typeEPNSQ_ISL_E10value_typeEPSM_NS1_7vsmem_tEENKUlT_SK_SL_SM_E_clIPxSE_SF_SF_EESJ_SZ_SK_SL_SM_EUlSZ_E_NS1_11comp_targetILNS1_3genE8ELNS1_11target_archE1030ELNS1_3gpuE2ELNS1_3repE0EEENS1_48merge_mergepath_partition_config_static_selectorELNS0_4arch9wavefront6targetE1EEEvSL_ ; -- Begin function _ZN7rocprim17ROCPRIM_400000_NS6detail17trampoline_kernelINS0_14default_configENS1_38merge_sort_block_merge_config_selectorIxNS0_10empty_typeEEEZZNS1_27merge_sort_block_merge_implIS3_N6thrust23THRUST_200600_302600_NS6detail15normal_iteratorINS9_10device_ptrIxEEEEPS5_jNS1_19radix_merge_compareILb0ELb1ExNS0_19identity_decomposerEEEEE10hipError_tT0_T1_T2_jT3_P12ihipStream_tbPNSt15iterator_traitsISK_E10value_typeEPNSQ_ISL_E10value_typeEPSM_NS1_7vsmem_tEENKUlT_SK_SL_SM_E_clIPxSE_SF_SF_EESJ_SZ_SK_SL_SM_EUlSZ_E_NS1_11comp_targetILNS1_3genE8ELNS1_11target_archE1030ELNS1_3gpuE2ELNS1_3repE0EEENS1_48merge_mergepath_partition_config_static_selectorELNS0_4arch9wavefront6targetE1EEEvSL_
	.globl	_ZN7rocprim17ROCPRIM_400000_NS6detail17trampoline_kernelINS0_14default_configENS1_38merge_sort_block_merge_config_selectorIxNS0_10empty_typeEEEZZNS1_27merge_sort_block_merge_implIS3_N6thrust23THRUST_200600_302600_NS6detail15normal_iteratorINS9_10device_ptrIxEEEEPS5_jNS1_19radix_merge_compareILb0ELb1ExNS0_19identity_decomposerEEEEE10hipError_tT0_T1_T2_jT3_P12ihipStream_tbPNSt15iterator_traitsISK_E10value_typeEPNSQ_ISL_E10value_typeEPSM_NS1_7vsmem_tEENKUlT_SK_SL_SM_E_clIPxSE_SF_SF_EESJ_SZ_SK_SL_SM_EUlSZ_E_NS1_11comp_targetILNS1_3genE8ELNS1_11target_archE1030ELNS1_3gpuE2ELNS1_3repE0EEENS1_48merge_mergepath_partition_config_static_selectorELNS0_4arch9wavefront6targetE1EEEvSL_
	.p2align	8
	.type	_ZN7rocprim17ROCPRIM_400000_NS6detail17trampoline_kernelINS0_14default_configENS1_38merge_sort_block_merge_config_selectorIxNS0_10empty_typeEEEZZNS1_27merge_sort_block_merge_implIS3_N6thrust23THRUST_200600_302600_NS6detail15normal_iteratorINS9_10device_ptrIxEEEEPS5_jNS1_19radix_merge_compareILb0ELb1ExNS0_19identity_decomposerEEEEE10hipError_tT0_T1_T2_jT3_P12ihipStream_tbPNSt15iterator_traitsISK_E10value_typeEPNSQ_ISL_E10value_typeEPSM_NS1_7vsmem_tEENKUlT_SK_SL_SM_E_clIPxSE_SF_SF_EESJ_SZ_SK_SL_SM_EUlSZ_E_NS1_11comp_targetILNS1_3genE8ELNS1_11target_archE1030ELNS1_3gpuE2ELNS1_3repE0EEENS1_48merge_mergepath_partition_config_static_selectorELNS0_4arch9wavefront6targetE1EEEvSL_,@function
_ZN7rocprim17ROCPRIM_400000_NS6detail17trampoline_kernelINS0_14default_configENS1_38merge_sort_block_merge_config_selectorIxNS0_10empty_typeEEEZZNS1_27merge_sort_block_merge_implIS3_N6thrust23THRUST_200600_302600_NS6detail15normal_iteratorINS9_10device_ptrIxEEEEPS5_jNS1_19radix_merge_compareILb0ELb1ExNS0_19identity_decomposerEEEEE10hipError_tT0_T1_T2_jT3_P12ihipStream_tbPNSt15iterator_traitsISK_E10value_typeEPNSQ_ISL_E10value_typeEPSM_NS1_7vsmem_tEENKUlT_SK_SL_SM_E_clIPxSE_SF_SF_EESJ_SZ_SK_SL_SM_EUlSZ_E_NS1_11comp_targetILNS1_3genE8ELNS1_11target_archE1030ELNS1_3gpuE2ELNS1_3repE0EEENS1_48merge_mergepath_partition_config_static_selectorELNS0_4arch9wavefront6targetE1EEEvSL_: ; @_ZN7rocprim17ROCPRIM_400000_NS6detail17trampoline_kernelINS0_14default_configENS1_38merge_sort_block_merge_config_selectorIxNS0_10empty_typeEEEZZNS1_27merge_sort_block_merge_implIS3_N6thrust23THRUST_200600_302600_NS6detail15normal_iteratorINS9_10device_ptrIxEEEEPS5_jNS1_19radix_merge_compareILb0ELb1ExNS0_19identity_decomposerEEEEE10hipError_tT0_T1_T2_jT3_P12ihipStream_tbPNSt15iterator_traitsISK_E10value_typeEPNSQ_ISL_E10value_typeEPSM_NS1_7vsmem_tEENKUlT_SK_SL_SM_E_clIPxSE_SF_SF_EESJ_SZ_SK_SL_SM_EUlSZ_E_NS1_11comp_targetILNS1_3genE8ELNS1_11target_archE1030ELNS1_3gpuE2ELNS1_3repE0EEENS1_48merge_mergepath_partition_config_static_selectorELNS0_4arch9wavefront6targetE1EEEvSL_
; %bb.0:
	.section	.rodata,"a",@progbits
	.p2align	6, 0x0
	.amdhsa_kernel _ZN7rocprim17ROCPRIM_400000_NS6detail17trampoline_kernelINS0_14default_configENS1_38merge_sort_block_merge_config_selectorIxNS0_10empty_typeEEEZZNS1_27merge_sort_block_merge_implIS3_N6thrust23THRUST_200600_302600_NS6detail15normal_iteratorINS9_10device_ptrIxEEEEPS5_jNS1_19radix_merge_compareILb0ELb1ExNS0_19identity_decomposerEEEEE10hipError_tT0_T1_T2_jT3_P12ihipStream_tbPNSt15iterator_traitsISK_E10value_typeEPNSQ_ISL_E10value_typeEPSM_NS1_7vsmem_tEENKUlT_SK_SL_SM_E_clIPxSE_SF_SF_EESJ_SZ_SK_SL_SM_EUlSZ_E_NS1_11comp_targetILNS1_3genE8ELNS1_11target_archE1030ELNS1_3gpuE2ELNS1_3repE0EEENS1_48merge_mergepath_partition_config_static_selectorELNS0_4arch9wavefront6targetE1EEEvSL_
		.amdhsa_group_segment_fixed_size 0
		.amdhsa_private_segment_fixed_size 0
		.amdhsa_kernarg_size 40
		.amdhsa_user_sgpr_count 6
		.amdhsa_user_sgpr_private_segment_buffer 1
		.amdhsa_user_sgpr_dispatch_ptr 0
		.amdhsa_user_sgpr_queue_ptr 0
		.amdhsa_user_sgpr_kernarg_segment_ptr 1
		.amdhsa_user_sgpr_dispatch_id 0
		.amdhsa_user_sgpr_flat_scratch_init 0
		.amdhsa_user_sgpr_kernarg_preload_length 0
		.amdhsa_user_sgpr_kernarg_preload_offset 0
		.amdhsa_user_sgpr_private_segment_size 0
		.amdhsa_uses_dynamic_stack 0
		.amdhsa_system_sgpr_private_segment_wavefront_offset 0
		.amdhsa_system_sgpr_workgroup_id_x 1
		.amdhsa_system_sgpr_workgroup_id_y 0
		.amdhsa_system_sgpr_workgroup_id_z 0
		.amdhsa_system_sgpr_workgroup_info 0
		.amdhsa_system_vgpr_workitem_id 0
		.amdhsa_next_free_vgpr 1
		.amdhsa_next_free_sgpr 0
		.amdhsa_accum_offset 4
		.amdhsa_reserve_vcc 0
		.amdhsa_reserve_flat_scratch 0
		.amdhsa_float_round_mode_32 0
		.amdhsa_float_round_mode_16_64 0
		.amdhsa_float_denorm_mode_32 3
		.amdhsa_float_denorm_mode_16_64 3
		.amdhsa_dx10_clamp 1
		.amdhsa_ieee_mode 1
		.amdhsa_fp16_overflow 0
		.amdhsa_tg_split 0
		.amdhsa_exception_fp_ieee_invalid_op 0
		.amdhsa_exception_fp_denorm_src 0
		.amdhsa_exception_fp_ieee_div_zero 0
		.amdhsa_exception_fp_ieee_overflow 0
		.amdhsa_exception_fp_ieee_underflow 0
		.amdhsa_exception_fp_ieee_inexact 0
		.amdhsa_exception_int_div_zero 0
	.end_amdhsa_kernel
	.section	.text._ZN7rocprim17ROCPRIM_400000_NS6detail17trampoline_kernelINS0_14default_configENS1_38merge_sort_block_merge_config_selectorIxNS0_10empty_typeEEEZZNS1_27merge_sort_block_merge_implIS3_N6thrust23THRUST_200600_302600_NS6detail15normal_iteratorINS9_10device_ptrIxEEEEPS5_jNS1_19radix_merge_compareILb0ELb1ExNS0_19identity_decomposerEEEEE10hipError_tT0_T1_T2_jT3_P12ihipStream_tbPNSt15iterator_traitsISK_E10value_typeEPNSQ_ISL_E10value_typeEPSM_NS1_7vsmem_tEENKUlT_SK_SL_SM_E_clIPxSE_SF_SF_EESJ_SZ_SK_SL_SM_EUlSZ_E_NS1_11comp_targetILNS1_3genE8ELNS1_11target_archE1030ELNS1_3gpuE2ELNS1_3repE0EEENS1_48merge_mergepath_partition_config_static_selectorELNS0_4arch9wavefront6targetE1EEEvSL_,"axG",@progbits,_ZN7rocprim17ROCPRIM_400000_NS6detail17trampoline_kernelINS0_14default_configENS1_38merge_sort_block_merge_config_selectorIxNS0_10empty_typeEEEZZNS1_27merge_sort_block_merge_implIS3_N6thrust23THRUST_200600_302600_NS6detail15normal_iteratorINS9_10device_ptrIxEEEEPS5_jNS1_19radix_merge_compareILb0ELb1ExNS0_19identity_decomposerEEEEE10hipError_tT0_T1_T2_jT3_P12ihipStream_tbPNSt15iterator_traitsISK_E10value_typeEPNSQ_ISL_E10value_typeEPSM_NS1_7vsmem_tEENKUlT_SK_SL_SM_E_clIPxSE_SF_SF_EESJ_SZ_SK_SL_SM_EUlSZ_E_NS1_11comp_targetILNS1_3genE8ELNS1_11target_archE1030ELNS1_3gpuE2ELNS1_3repE0EEENS1_48merge_mergepath_partition_config_static_selectorELNS0_4arch9wavefront6targetE1EEEvSL_,comdat
.Lfunc_end1474:
	.size	_ZN7rocprim17ROCPRIM_400000_NS6detail17trampoline_kernelINS0_14default_configENS1_38merge_sort_block_merge_config_selectorIxNS0_10empty_typeEEEZZNS1_27merge_sort_block_merge_implIS3_N6thrust23THRUST_200600_302600_NS6detail15normal_iteratorINS9_10device_ptrIxEEEEPS5_jNS1_19radix_merge_compareILb0ELb1ExNS0_19identity_decomposerEEEEE10hipError_tT0_T1_T2_jT3_P12ihipStream_tbPNSt15iterator_traitsISK_E10value_typeEPNSQ_ISL_E10value_typeEPSM_NS1_7vsmem_tEENKUlT_SK_SL_SM_E_clIPxSE_SF_SF_EESJ_SZ_SK_SL_SM_EUlSZ_E_NS1_11comp_targetILNS1_3genE8ELNS1_11target_archE1030ELNS1_3gpuE2ELNS1_3repE0EEENS1_48merge_mergepath_partition_config_static_selectorELNS0_4arch9wavefront6targetE1EEEvSL_, .Lfunc_end1474-_ZN7rocprim17ROCPRIM_400000_NS6detail17trampoline_kernelINS0_14default_configENS1_38merge_sort_block_merge_config_selectorIxNS0_10empty_typeEEEZZNS1_27merge_sort_block_merge_implIS3_N6thrust23THRUST_200600_302600_NS6detail15normal_iteratorINS9_10device_ptrIxEEEEPS5_jNS1_19radix_merge_compareILb0ELb1ExNS0_19identity_decomposerEEEEE10hipError_tT0_T1_T2_jT3_P12ihipStream_tbPNSt15iterator_traitsISK_E10value_typeEPNSQ_ISL_E10value_typeEPSM_NS1_7vsmem_tEENKUlT_SK_SL_SM_E_clIPxSE_SF_SF_EESJ_SZ_SK_SL_SM_EUlSZ_E_NS1_11comp_targetILNS1_3genE8ELNS1_11target_archE1030ELNS1_3gpuE2ELNS1_3repE0EEENS1_48merge_mergepath_partition_config_static_selectorELNS0_4arch9wavefront6targetE1EEEvSL_
                                        ; -- End function
	.section	.AMDGPU.csdata,"",@progbits
; Kernel info:
; codeLenInByte = 0
; NumSgprs: 4
; NumVgprs: 0
; NumAgprs: 0
; TotalNumVgprs: 0
; ScratchSize: 0
; MemoryBound: 0
; FloatMode: 240
; IeeeMode: 1
; LDSByteSize: 0 bytes/workgroup (compile time only)
; SGPRBlocks: 0
; VGPRBlocks: 0
; NumSGPRsForWavesPerEU: 4
; NumVGPRsForWavesPerEU: 1
; AccumOffset: 4
; Occupancy: 8
; WaveLimiterHint : 0
; COMPUTE_PGM_RSRC2:SCRATCH_EN: 0
; COMPUTE_PGM_RSRC2:USER_SGPR: 6
; COMPUTE_PGM_RSRC2:TRAP_HANDLER: 0
; COMPUTE_PGM_RSRC2:TGID_X_EN: 1
; COMPUTE_PGM_RSRC2:TGID_Y_EN: 0
; COMPUTE_PGM_RSRC2:TGID_Z_EN: 0
; COMPUTE_PGM_RSRC2:TIDIG_COMP_CNT: 0
; COMPUTE_PGM_RSRC3_GFX90A:ACCUM_OFFSET: 0
; COMPUTE_PGM_RSRC3_GFX90A:TG_SPLIT: 0
	.section	.text._ZN7rocprim17ROCPRIM_400000_NS6detail17trampoline_kernelINS0_14default_configENS1_38merge_sort_block_merge_config_selectorIxNS0_10empty_typeEEEZZNS1_27merge_sort_block_merge_implIS3_N6thrust23THRUST_200600_302600_NS6detail15normal_iteratorINS9_10device_ptrIxEEEEPS5_jNS1_19radix_merge_compareILb0ELb1ExNS0_19identity_decomposerEEEEE10hipError_tT0_T1_T2_jT3_P12ihipStream_tbPNSt15iterator_traitsISK_E10value_typeEPNSQ_ISL_E10value_typeEPSM_NS1_7vsmem_tEENKUlT_SK_SL_SM_E_clIPxSE_SF_SF_EESJ_SZ_SK_SL_SM_EUlSZ_E0_NS1_11comp_targetILNS1_3genE0ELNS1_11target_archE4294967295ELNS1_3gpuE0ELNS1_3repE0EEENS1_38merge_mergepath_config_static_selectorELNS0_4arch9wavefront6targetE1EEEvSL_,"axG",@progbits,_ZN7rocprim17ROCPRIM_400000_NS6detail17trampoline_kernelINS0_14default_configENS1_38merge_sort_block_merge_config_selectorIxNS0_10empty_typeEEEZZNS1_27merge_sort_block_merge_implIS3_N6thrust23THRUST_200600_302600_NS6detail15normal_iteratorINS9_10device_ptrIxEEEEPS5_jNS1_19radix_merge_compareILb0ELb1ExNS0_19identity_decomposerEEEEE10hipError_tT0_T1_T2_jT3_P12ihipStream_tbPNSt15iterator_traitsISK_E10value_typeEPNSQ_ISL_E10value_typeEPSM_NS1_7vsmem_tEENKUlT_SK_SL_SM_E_clIPxSE_SF_SF_EESJ_SZ_SK_SL_SM_EUlSZ_E0_NS1_11comp_targetILNS1_3genE0ELNS1_11target_archE4294967295ELNS1_3gpuE0ELNS1_3repE0EEENS1_38merge_mergepath_config_static_selectorELNS0_4arch9wavefront6targetE1EEEvSL_,comdat
	.protected	_ZN7rocprim17ROCPRIM_400000_NS6detail17trampoline_kernelINS0_14default_configENS1_38merge_sort_block_merge_config_selectorIxNS0_10empty_typeEEEZZNS1_27merge_sort_block_merge_implIS3_N6thrust23THRUST_200600_302600_NS6detail15normal_iteratorINS9_10device_ptrIxEEEEPS5_jNS1_19radix_merge_compareILb0ELb1ExNS0_19identity_decomposerEEEEE10hipError_tT0_T1_T2_jT3_P12ihipStream_tbPNSt15iterator_traitsISK_E10value_typeEPNSQ_ISL_E10value_typeEPSM_NS1_7vsmem_tEENKUlT_SK_SL_SM_E_clIPxSE_SF_SF_EESJ_SZ_SK_SL_SM_EUlSZ_E0_NS1_11comp_targetILNS1_3genE0ELNS1_11target_archE4294967295ELNS1_3gpuE0ELNS1_3repE0EEENS1_38merge_mergepath_config_static_selectorELNS0_4arch9wavefront6targetE1EEEvSL_ ; -- Begin function _ZN7rocprim17ROCPRIM_400000_NS6detail17trampoline_kernelINS0_14default_configENS1_38merge_sort_block_merge_config_selectorIxNS0_10empty_typeEEEZZNS1_27merge_sort_block_merge_implIS3_N6thrust23THRUST_200600_302600_NS6detail15normal_iteratorINS9_10device_ptrIxEEEEPS5_jNS1_19radix_merge_compareILb0ELb1ExNS0_19identity_decomposerEEEEE10hipError_tT0_T1_T2_jT3_P12ihipStream_tbPNSt15iterator_traitsISK_E10value_typeEPNSQ_ISL_E10value_typeEPSM_NS1_7vsmem_tEENKUlT_SK_SL_SM_E_clIPxSE_SF_SF_EESJ_SZ_SK_SL_SM_EUlSZ_E0_NS1_11comp_targetILNS1_3genE0ELNS1_11target_archE4294967295ELNS1_3gpuE0ELNS1_3repE0EEENS1_38merge_mergepath_config_static_selectorELNS0_4arch9wavefront6targetE1EEEvSL_
	.globl	_ZN7rocprim17ROCPRIM_400000_NS6detail17trampoline_kernelINS0_14default_configENS1_38merge_sort_block_merge_config_selectorIxNS0_10empty_typeEEEZZNS1_27merge_sort_block_merge_implIS3_N6thrust23THRUST_200600_302600_NS6detail15normal_iteratorINS9_10device_ptrIxEEEEPS5_jNS1_19radix_merge_compareILb0ELb1ExNS0_19identity_decomposerEEEEE10hipError_tT0_T1_T2_jT3_P12ihipStream_tbPNSt15iterator_traitsISK_E10value_typeEPNSQ_ISL_E10value_typeEPSM_NS1_7vsmem_tEENKUlT_SK_SL_SM_E_clIPxSE_SF_SF_EESJ_SZ_SK_SL_SM_EUlSZ_E0_NS1_11comp_targetILNS1_3genE0ELNS1_11target_archE4294967295ELNS1_3gpuE0ELNS1_3repE0EEENS1_38merge_mergepath_config_static_selectorELNS0_4arch9wavefront6targetE1EEEvSL_
	.p2align	8
	.type	_ZN7rocprim17ROCPRIM_400000_NS6detail17trampoline_kernelINS0_14default_configENS1_38merge_sort_block_merge_config_selectorIxNS0_10empty_typeEEEZZNS1_27merge_sort_block_merge_implIS3_N6thrust23THRUST_200600_302600_NS6detail15normal_iteratorINS9_10device_ptrIxEEEEPS5_jNS1_19radix_merge_compareILb0ELb1ExNS0_19identity_decomposerEEEEE10hipError_tT0_T1_T2_jT3_P12ihipStream_tbPNSt15iterator_traitsISK_E10value_typeEPNSQ_ISL_E10value_typeEPSM_NS1_7vsmem_tEENKUlT_SK_SL_SM_E_clIPxSE_SF_SF_EESJ_SZ_SK_SL_SM_EUlSZ_E0_NS1_11comp_targetILNS1_3genE0ELNS1_11target_archE4294967295ELNS1_3gpuE0ELNS1_3repE0EEENS1_38merge_mergepath_config_static_selectorELNS0_4arch9wavefront6targetE1EEEvSL_,@function
_ZN7rocprim17ROCPRIM_400000_NS6detail17trampoline_kernelINS0_14default_configENS1_38merge_sort_block_merge_config_selectorIxNS0_10empty_typeEEEZZNS1_27merge_sort_block_merge_implIS3_N6thrust23THRUST_200600_302600_NS6detail15normal_iteratorINS9_10device_ptrIxEEEEPS5_jNS1_19radix_merge_compareILb0ELb1ExNS0_19identity_decomposerEEEEE10hipError_tT0_T1_T2_jT3_P12ihipStream_tbPNSt15iterator_traitsISK_E10value_typeEPNSQ_ISL_E10value_typeEPSM_NS1_7vsmem_tEENKUlT_SK_SL_SM_E_clIPxSE_SF_SF_EESJ_SZ_SK_SL_SM_EUlSZ_E0_NS1_11comp_targetILNS1_3genE0ELNS1_11target_archE4294967295ELNS1_3gpuE0ELNS1_3repE0EEENS1_38merge_mergepath_config_static_selectorELNS0_4arch9wavefront6targetE1EEEvSL_: ; @_ZN7rocprim17ROCPRIM_400000_NS6detail17trampoline_kernelINS0_14default_configENS1_38merge_sort_block_merge_config_selectorIxNS0_10empty_typeEEEZZNS1_27merge_sort_block_merge_implIS3_N6thrust23THRUST_200600_302600_NS6detail15normal_iteratorINS9_10device_ptrIxEEEEPS5_jNS1_19radix_merge_compareILb0ELb1ExNS0_19identity_decomposerEEEEE10hipError_tT0_T1_T2_jT3_P12ihipStream_tbPNSt15iterator_traitsISK_E10value_typeEPNSQ_ISL_E10value_typeEPSM_NS1_7vsmem_tEENKUlT_SK_SL_SM_E_clIPxSE_SF_SF_EESJ_SZ_SK_SL_SM_EUlSZ_E0_NS1_11comp_targetILNS1_3genE0ELNS1_11target_archE4294967295ELNS1_3gpuE0ELNS1_3repE0EEENS1_38merge_mergepath_config_static_selectorELNS0_4arch9wavefront6targetE1EEEvSL_
; %bb.0:
	.section	.rodata,"a",@progbits
	.p2align	6, 0x0
	.amdhsa_kernel _ZN7rocprim17ROCPRIM_400000_NS6detail17trampoline_kernelINS0_14default_configENS1_38merge_sort_block_merge_config_selectorIxNS0_10empty_typeEEEZZNS1_27merge_sort_block_merge_implIS3_N6thrust23THRUST_200600_302600_NS6detail15normal_iteratorINS9_10device_ptrIxEEEEPS5_jNS1_19radix_merge_compareILb0ELb1ExNS0_19identity_decomposerEEEEE10hipError_tT0_T1_T2_jT3_P12ihipStream_tbPNSt15iterator_traitsISK_E10value_typeEPNSQ_ISL_E10value_typeEPSM_NS1_7vsmem_tEENKUlT_SK_SL_SM_E_clIPxSE_SF_SF_EESJ_SZ_SK_SL_SM_EUlSZ_E0_NS1_11comp_targetILNS1_3genE0ELNS1_11target_archE4294967295ELNS1_3gpuE0ELNS1_3repE0EEENS1_38merge_mergepath_config_static_selectorELNS0_4arch9wavefront6targetE1EEEvSL_
		.amdhsa_group_segment_fixed_size 0
		.amdhsa_private_segment_fixed_size 0
		.amdhsa_kernarg_size 72
		.amdhsa_user_sgpr_count 6
		.amdhsa_user_sgpr_private_segment_buffer 1
		.amdhsa_user_sgpr_dispatch_ptr 0
		.amdhsa_user_sgpr_queue_ptr 0
		.amdhsa_user_sgpr_kernarg_segment_ptr 1
		.amdhsa_user_sgpr_dispatch_id 0
		.amdhsa_user_sgpr_flat_scratch_init 0
		.amdhsa_user_sgpr_kernarg_preload_length 0
		.amdhsa_user_sgpr_kernarg_preload_offset 0
		.amdhsa_user_sgpr_private_segment_size 0
		.amdhsa_uses_dynamic_stack 0
		.amdhsa_system_sgpr_private_segment_wavefront_offset 0
		.amdhsa_system_sgpr_workgroup_id_x 1
		.amdhsa_system_sgpr_workgroup_id_y 0
		.amdhsa_system_sgpr_workgroup_id_z 0
		.amdhsa_system_sgpr_workgroup_info 0
		.amdhsa_system_vgpr_workitem_id 0
		.amdhsa_next_free_vgpr 1
		.amdhsa_next_free_sgpr 0
		.amdhsa_accum_offset 4
		.amdhsa_reserve_vcc 0
		.amdhsa_reserve_flat_scratch 0
		.amdhsa_float_round_mode_32 0
		.amdhsa_float_round_mode_16_64 0
		.amdhsa_float_denorm_mode_32 3
		.amdhsa_float_denorm_mode_16_64 3
		.amdhsa_dx10_clamp 1
		.amdhsa_ieee_mode 1
		.amdhsa_fp16_overflow 0
		.amdhsa_tg_split 0
		.amdhsa_exception_fp_ieee_invalid_op 0
		.amdhsa_exception_fp_denorm_src 0
		.amdhsa_exception_fp_ieee_div_zero 0
		.amdhsa_exception_fp_ieee_overflow 0
		.amdhsa_exception_fp_ieee_underflow 0
		.amdhsa_exception_fp_ieee_inexact 0
		.amdhsa_exception_int_div_zero 0
	.end_amdhsa_kernel
	.section	.text._ZN7rocprim17ROCPRIM_400000_NS6detail17trampoline_kernelINS0_14default_configENS1_38merge_sort_block_merge_config_selectorIxNS0_10empty_typeEEEZZNS1_27merge_sort_block_merge_implIS3_N6thrust23THRUST_200600_302600_NS6detail15normal_iteratorINS9_10device_ptrIxEEEEPS5_jNS1_19radix_merge_compareILb0ELb1ExNS0_19identity_decomposerEEEEE10hipError_tT0_T1_T2_jT3_P12ihipStream_tbPNSt15iterator_traitsISK_E10value_typeEPNSQ_ISL_E10value_typeEPSM_NS1_7vsmem_tEENKUlT_SK_SL_SM_E_clIPxSE_SF_SF_EESJ_SZ_SK_SL_SM_EUlSZ_E0_NS1_11comp_targetILNS1_3genE0ELNS1_11target_archE4294967295ELNS1_3gpuE0ELNS1_3repE0EEENS1_38merge_mergepath_config_static_selectorELNS0_4arch9wavefront6targetE1EEEvSL_,"axG",@progbits,_ZN7rocprim17ROCPRIM_400000_NS6detail17trampoline_kernelINS0_14default_configENS1_38merge_sort_block_merge_config_selectorIxNS0_10empty_typeEEEZZNS1_27merge_sort_block_merge_implIS3_N6thrust23THRUST_200600_302600_NS6detail15normal_iteratorINS9_10device_ptrIxEEEEPS5_jNS1_19radix_merge_compareILb0ELb1ExNS0_19identity_decomposerEEEEE10hipError_tT0_T1_T2_jT3_P12ihipStream_tbPNSt15iterator_traitsISK_E10value_typeEPNSQ_ISL_E10value_typeEPSM_NS1_7vsmem_tEENKUlT_SK_SL_SM_E_clIPxSE_SF_SF_EESJ_SZ_SK_SL_SM_EUlSZ_E0_NS1_11comp_targetILNS1_3genE0ELNS1_11target_archE4294967295ELNS1_3gpuE0ELNS1_3repE0EEENS1_38merge_mergepath_config_static_selectorELNS0_4arch9wavefront6targetE1EEEvSL_,comdat
.Lfunc_end1475:
	.size	_ZN7rocprim17ROCPRIM_400000_NS6detail17trampoline_kernelINS0_14default_configENS1_38merge_sort_block_merge_config_selectorIxNS0_10empty_typeEEEZZNS1_27merge_sort_block_merge_implIS3_N6thrust23THRUST_200600_302600_NS6detail15normal_iteratorINS9_10device_ptrIxEEEEPS5_jNS1_19radix_merge_compareILb0ELb1ExNS0_19identity_decomposerEEEEE10hipError_tT0_T1_T2_jT3_P12ihipStream_tbPNSt15iterator_traitsISK_E10value_typeEPNSQ_ISL_E10value_typeEPSM_NS1_7vsmem_tEENKUlT_SK_SL_SM_E_clIPxSE_SF_SF_EESJ_SZ_SK_SL_SM_EUlSZ_E0_NS1_11comp_targetILNS1_3genE0ELNS1_11target_archE4294967295ELNS1_3gpuE0ELNS1_3repE0EEENS1_38merge_mergepath_config_static_selectorELNS0_4arch9wavefront6targetE1EEEvSL_, .Lfunc_end1475-_ZN7rocprim17ROCPRIM_400000_NS6detail17trampoline_kernelINS0_14default_configENS1_38merge_sort_block_merge_config_selectorIxNS0_10empty_typeEEEZZNS1_27merge_sort_block_merge_implIS3_N6thrust23THRUST_200600_302600_NS6detail15normal_iteratorINS9_10device_ptrIxEEEEPS5_jNS1_19radix_merge_compareILb0ELb1ExNS0_19identity_decomposerEEEEE10hipError_tT0_T1_T2_jT3_P12ihipStream_tbPNSt15iterator_traitsISK_E10value_typeEPNSQ_ISL_E10value_typeEPSM_NS1_7vsmem_tEENKUlT_SK_SL_SM_E_clIPxSE_SF_SF_EESJ_SZ_SK_SL_SM_EUlSZ_E0_NS1_11comp_targetILNS1_3genE0ELNS1_11target_archE4294967295ELNS1_3gpuE0ELNS1_3repE0EEENS1_38merge_mergepath_config_static_selectorELNS0_4arch9wavefront6targetE1EEEvSL_
                                        ; -- End function
	.section	.AMDGPU.csdata,"",@progbits
; Kernel info:
; codeLenInByte = 0
; NumSgprs: 4
; NumVgprs: 0
; NumAgprs: 0
; TotalNumVgprs: 0
; ScratchSize: 0
; MemoryBound: 0
; FloatMode: 240
; IeeeMode: 1
; LDSByteSize: 0 bytes/workgroup (compile time only)
; SGPRBlocks: 0
; VGPRBlocks: 0
; NumSGPRsForWavesPerEU: 4
; NumVGPRsForWavesPerEU: 1
; AccumOffset: 4
; Occupancy: 8
; WaveLimiterHint : 0
; COMPUTE_PGM_RSRC2:SCRATCH_EN: 0
; COMPUTE_PGM_RSRC2:USER_SGPR: 6
; COMPUTE_PGM_RSRC2:TRAP_HANDLER: 0
; COMPUTE_PGM_RSRC2:TGID_X_EN: 1
; COMPUTE_PGM_RSRC2:TGID_Y_EN: 0
; COMPUTE_PGM_RSRC2:TGID_Z_EN: 0
; COMPUTE_PGM_RSRC2:TIDIG_COMP_CNT: 0
; COMPUTE_PGM_RSRC3_GFX90A:ACCUM_OFFSET: 0
; COMPUTE_PGM_RSRC3_GFX90A:TG_SPLIT: 0
	.section	.text._ZN7rocprim17ROCPRIM_400000_NS6detail17trampoline_kernelINS0_14default_configENS1_38merge_sort_block_merge_config_selectorIxNS0_10empty_typeEEEZZNS1_27merge_sort_block_merge_implIS3_N6thrust23THRUST_200600_302600_NS6detail15normal_iteratorINS9_10device_ptrIxEEEEPS5_jNS1_19radix_merge_compareILb0ELb1ExNS0_19identity_decomposerEEEEE10hipError_tT0_T1_T2_jT3_P12ihipStream_tbPNSt15iterator_traitsISK_E10value_typeEPNSQ_ISL_E10value_typeEPSM_NS1_7vsmem_tEENKUlT_SK_SL_SM_E_clIPxSE_SF_SF_EESJ_SZ_SK_SL_SM_EUlSZ_E0_NS1_11comp_targetILNS1_3genE10ELNS1_11target_archE1201ELNS1_3gpuE5ELNS1_3repE0EEENS1_38merge_mergepath_config_static_selectorELNS0_4arch9wavefront6targetE1EEEvSL_,"axG",@progbits,_ZN7rocprim17ROCPRIM_400000_NS6detail17trampoline_kernelINS0_14default_configENS1_38merge_sort_block_merge_config_selectorIxNS0_10empty_typeEEEZZNS1_27merge_sort_block_merge_implIS3_N6thrust23THRUST_200600_302600_NS6detail15normal_iteratorINS9_10device_ptrIxEEEEPS5_jNS1_19radix_merge_compareILb0ELb1ExNS0_19identity_decomposerEEEEE10hipError_tT0_T1_T2_jT3_P12ihipStream_tbPNSt15iterator_traitsISK_E10value_typeEPNSQ_ISL_E10value_typeEPSM_NS1_7vsmem_tEENKUlT_SK_SL_SM_E_clIPxSE_SF_SF_EESJ_SZ_SK_SL_SM_EUlSZ_E0_NS1_11comp_targetILNS1_3genE10ELNS1_11target_archE1201ELNS1_3gpuE5ELNS1_3repE0EEENS1_38merge_mergepath_config_static_selectorELNS0_4arch9wavefront6targetE1EEEvSL_,comdat
	.protected	_ZN7rocprim17ROCPRIM_400000_NS6detail17trampoline_kernelINS0_14default_configENS1_38merge_sort_block_merge_config_selectorIxNS0_10empty_typeEEEZZNS1_27merge_sort_block_merge_implIS3_N6thrust23THRUST_200600_302600_NS6detail15normal_iteratorINS9_10device_ptrIxEEEEPS5_jNS1_19radix_merge_compareILb0ELb1ExNS0_19identity_decomposerEEEEE10hipError_tT0_T1_T2_jT3_P12ihipStream_tbPNSt15iterator_traitsISK_E10value_typeEPNSQ_ISL_E10value_typeEPSM_NS1_7vsmem_tEENKUlT_SK_SL_SM_E_clIPxSE_SF_SF_EESJ_SZ_SK_SL_SM_EUlSZ_E0_NS1_11comp_targetILNS1_3genE10ELNS1_11target_archE1201ELNS1_3gpuE5ELNS1_3repE0EEENS1_38merge_mergepath_config_static_selectorELNS0_4arch9wavefront6targetE1EEEvSL_ ; -- Begin function _ZN7rocprim17ROCPRIM_400000_NS6detail17trampoline_kernelINS0_14default_configENS1_38merge_sort_block_merge_config_selectorIxNS0_10empty_typeEEEZZNS1_27merge_sort_block_merge_implIS3_N6thrust23THRUST_200600_302600_NS6detail15normal_iteratorINS9_10device_ptrIxEEEEPS5_jNS1_19radix_merge_compareILb0ELb1ExNS0_19identity_decomposerEEEEE10hipError_tT0_T1_T2_jT3_P12ihipStream_tbPNSt15iterator_traitsISK_E10value_typeEPNSQ_ISL_E10value_typeEPSM_NS1_7vsmem_tEENKUlT_SK_SL_SM_E_clIPxSE_SF_SF_EESJ_SZ_SK_SL_SM_EUlSZ_E0_NS1_11comp_targetILNS1_3genE10ELNS1_11target_archE1201ELNS1_3gpuE5ELNS1_3repE0EEENS1_38merge_mergepath_config_static_selectorELNS0_4arch9wavefront6targetE1EEEvSL_
	.globl	_ZN7rocprim17ROCPRIM_400000_NS6detail17trampoline_kernelINS0_14default_configENS1_38merge_sort_block_merge_config_selectorIxNS0_10empty_typeEEEZZNS1_27merge_sort_block_merge_implIS3_N6thrust23THRUST_200600_302600_NS6detail15normal_iteratorINS9_10device_ptrIxEEEEPS5_jNS1_19radix_merge_compareILb0ELb1ExNS0_19identity_decomposerEEEEE10hipError_tT0_T1_T2_jT3_P12ihipStream_tbPNSt15iterator_traitsISK_E10value_typeEPNSQ_ISL_E10value_typeEPSM_NS1_7vsmem_tEENKUlT_SK_SL_SM_E_clIPxSE_SF_SF_EESJ_SZ_SK_SL_SM_EUlSZ_E0_NS1_11comp_targetILNS1_3genE10ELNS1_11target_archE1201ELNS1_3gpuE5ELNS1_3repE0EEENS1_38merge_mergepath_config_static_selectorELNS0_4arch9wavefront6targetE1EEEvSL_
	.p2align	8
	.type	_ZN7rocprim17ROCPRIM_400000_NS6detail17trampoline_kernelINS0_14default_configENS1_38merge_sort_block_merge_config_selectorIxNS0_10empty_typeEEEZZNS1_27merge_sort_block_merge_implIS3_N6thrust23THRUST_200600_302600_NS6detail15normal_iteratorINS9_10device_ptrIxEEEEPS5_jNS1_19radix_merge_compareILb0ELb1ExNS0_19identity_decomposerEEEEE10hipError_tT0_T1_T2_jT3_P12ihipStream_tbPNSt15iterator_traitsISK_E10value_typeEPNSQ_ISL_E10value_typeEPSM_NS1_7vsmem_tEENKUlT_SK_SL_SM_E_clIPxSE_SF_SF_EESJ_SZ_SK_SL_SM_EUlSZ_E0_NS1_11comp_targetILNS1_3genE10ELNS1_11target_archE1201ELNS1_3gpuE5ELNS1_3repE0EEENS1_38merge_mergepath_config_static_selectorELNS0_4arch9wavefront6targetE1EEEvSL_,@function
_ZN7rocprim17ROCPRIM_400000_NS6detail17trampoline_kernelINS0_14default_configENS1_38merge_sort_block_merge_config_selectorIxNS0_10empty_typeEEEZZNS1_27merge_sort_block_merge_implIS3_N6thrust23THRUST_200600_302600_NS6detail15normal_iteratorINS9_10device_ptrIxEEEEPS5_jNS1_19radix_merge_compareILb0ELb1ExNS0_19identity_decomposerEEEEE10hipError_tT0_T1_T2_jT3_P12ihipStream_tbPNSt15iterator_traitsISK_E10value_typeEPNSQ_ISL_E10value_typeEPSM_NS1_7vsmem_tEENKUlT_SK_SL_SM_E_clIPxSE_SF_SF_EESJ_SZ_SK_SL_SM_EUlSZ_E0_NS1_11comp_targetILNS1_3genE10ELNS1_11target_archE1201ELNS1_3gpuE5ELNS1_3repE0EEENS1_38merge_mergepath_config_static_selectorELNS0_4arch9wavefront6targetE1EEEvSL_: ; @_ZN7rocprim17ROCPRIM_400000_NS6detail17trampoline_kernelINS0_14default_configENS1_38merge_sort_block_merge_config_selectorIxNS0_10empty_typeEEEZZNS1_27merge_sort_block_merge_implIS3_N6thrust23THRUST_200600_302600_NS6detail15normal_iteratorINS9_10device_ptrIxEEEEPS5_jNS1_19radix_merge_compareILb0ELb1ExNS0_19identity_decomposerEEEEE10hipError_tT0_T1_T2_jT3_P12ihipStream_tbPNSt15iterator_traitsISK_E10value_typeEPNSQ_ISL_E10value_typeEPSM_NS1_7vsmem_tEENKUlT_SK_SL_SM_E_clIPxSE_SF_SF_EESJ_SZ_SK_SL_SM_EUlSZ_E0_NS1_11comp_targetILNS1_3genE10ELNS1_11target_archE1201ELNS1_3gpuE5ELNS1_3repE0EEENS1_38merge_mergepath_config_static_selectorELNS0_4arch9wavefront6targetE1EEEvSL_
; %bb.0:
	.section	.rodata,"a",@progbits
	.p2align	6, 0x0
	.amdhsa_kernel _ZN7rocprim17ROCPRIM_400000_NS6detail17trampoline_kernelINS0_14default_configENS1_38merge_sort_block_merge_config_selectorIxNS0_10empty_typeEEEZZNS1_27merge_sort_block_merge_implIS3_N6thrust23THRUST_200600_302600_NS6detail15normal_iteratorINS9_10device_ptrIxEEEEPS5_jNS1_19radix_merge_compareILb0ELb1ExNS0_19identity_decomposerEEEEE10hipError_tT0_T1_T2_jT3_P12ihipStream_tbPNSt15iterator_traitsISK_E10value_typeEPNSQ_ISL_E10value_typeEPSM_NS1_7vsmem_tEENKUlT_SK_SL_SM_E_clIPxSE_SF_SF_EESJ_SZ_SK_SL_SM_EUlSZ_E0_NS1_11comp_targetILNS1_3genE10ELNS1_11target_archE1201ELNS1_3gpuE5ELNS1_3repE0EEENS1_38merge_mergepath_config_static_selectorELNS0_4arch9wavefront6targetE1EEEvSL_
		.amdhsa_group_segment_fixed_size 0
		.amdhsa_private_segment_fixed_size 0
		.amdhsa_kernarg_size 72
		.amdhsa_user_sgpr_count 6
		.amdhsa_user_sgpr_private_segment_buffer 1
		.amdhsa_user_sgpr_dispatch_ptr 0
		.amdhsa_user_sgpr_queue_ptr 0
		.amdhsa_user_sgpr_kernarg_segment_ptr 1
		.amdhsa_user_sgpr_dispatch_id 0
		.amdhsa_user_sgpr_flat_scratch_init 0
		.amdhsa_user_sgpr_kernarg_preload_length 0
		.amdhsa_user_sgpr_kernarg_preload_offset 0
		.amdhsa_user_sgpr_private_segment_size 0
		.amdhsa_uses_dynamic_stack 0
		.amdhsa_system_sgpr_private_segment_wavefront_offset 0
		.amdhsa_system_sgpr_workgroup_id_x 1
		.amdhsa_system_sgpr_workgroup_id_y 0
		.amdhsa_system_sgpr_workgroup_id_z 0
		.amdhsa_system_sgpr_workgroup_info 0
		.amdhsa_system_vgpr_workitem_id 0
		.amdhsa_next_free_vgpr 1
		.amdhsa_next_free_sgpr 0
		.amdhsa_accum_offset 4
		.amdhsa_reserve_vcc 0
		.amdhsa_reserve_flat_scratch 0
		.amdhsa_float_round_mode_32 0
		.amdhsa_float_round_mode_16_64 0
		.amdhsa_float_denorm_mode_32 3
		.amdhsa_float_denorm_mode_16_64 3
		.amdhsa_dx10_clamp 1
		.amdhsa_ieee_mode 1
		.amdhsa_fp16_overflow 0
		.amdhsa_tg_split 0
		.amdhsa_exception_fp_ieee_invalid_op 0
		.amdhsa_exception_fp_denorm_src 0
		.amdhsa_exception_fp_ieee_div_zero 0
		.amdhsa_exception_fp_ieee_overflow 0
		.amdhsa_exception_fp_ieee_underflow 0
		.amdhsa_exception_fp_ieee_inexact 0
		.amdhsa_exception_int_div_zero 0
	.end_amdhsa_kernel
	.section	.text._ZN7rocprim17ROCPRIM_400000_NS6detail17trampoline_kernelINS0_14default_configENS1_38merge_sort_block_merge_config_selectorIxNS0_10empty_typeEEEZZNS1_27merge_sort_block_merge_implIS3_N6thrust23THRUST_200600_302600_NS6detail15normal_iteratorINS9_10device_ptrIxEEEEPS5_jNS1_19radix_merge_compareILb0ELb1ExNS0_19identity_decomposerEEEEE10hipError_tT0_T1_T2_jT3_P12ihipStream_tbPNSt15iterator_traitsISK_E10value_typeEPNSQ_ISL_E10value_typeEPSM_NS1_7vsmem_tEENKUlT_SK_SL_SM_E_clIPxSE_SF_SF_EESJ_SZ_SK_SL_SM_EUlSZ_E0_NS1_11comp_targetILNS1_3genE10ELNS1_11target_archE1201ELNS1_3gpuE5ELNS1_3repE0EEENS1_38merge_mergepath_config_static_selectorELNS0_4arch9wavefront6targetE1EEEvSL_,"axG",@progbits,_ZN7rocprim17ROCPRIM_400000_NS6detail17trampoline_kernelINS0_14default_configENS1_38merge_sort_block_merge_config_selectorIxNS0_10empty_typeEEEZZNS1_27merge_sort_block_merge_implIS3_N6thrust23THRUST_200600_302600_NS6detail15normal_iteratorINS9_10device_ptrIxEEEEPS5_jNS1_19radix_merge_compareILb0ELb1ExNS0_19identity_decomposerEEEEE10hipError_tT0_T1_T2_jT3_P12ihipStream_tbPNSt15iterator_traitsISK_E10value_typeEPNSQ_ISL_E10value_typeEPSM_NS1_7vsmem_tEENKUlT_SK_SL_SM_E_clIPxSE_SF_SF_EESJ_SZ_SK_SL_SM_EUlSZ_E0_NS1_11comp_targetILNS1_3genE10ELNS1_11target_archE1201ELNS1_3gpuE5ELNS1_3repE0EEENS1_38merge_mergepath_config_static_selectorELNS0_4arch9wavefront6targetE1EEEvSL_,comdat
.Lfunc_end1476:
	.size	_ZN7rocprim17ROCPRIM_400000_NS6detail17trampoline_kernelINS0_14default_configENS1_38merge_sort_block_merge_config_selectorIxNS0_10empty_typeEEEZZNS1_27merge_sort_block_merge_implIS3_N6thrust23THRUST_200600_302600_NS6detail15normal_iteratorINS9_10device_ptrIxEEEEPS5_jNS1_19radix_merge_compareILb0ELb1ExNS0_19identity_decomposerEEEEE10hipError_tT0_T1_T2_jT3_P12ihipStream_tbPNSt15iterator_traitsISK_E10value_typeEPNSQ_ISL_E10value_typeEPSM_NS1_7vsmem_tEENKUlT_SK_SL_SM_E_clIPxSE_SF_SF_EESJ_SZ_SK_SL_SM_EUlSZ_E0_NS1_11comp_targetILNS1_3genE10ELNS1_11target_archE1201ELNS1_3gpuE5ELNS1_3repE0EEENS1_38merge_mergepath_config_static_selectorELNS0_4arch9wavefront6targetE1EEEvSL_, .Lfunc_end1476-_ZN7rocprim17ROCPRIM_400000_NS6detail17trampoline_kernelINS0_14default_configENS1_38merge_sort_block_merge_config_selectorIxNS0_10empty_typeEEEZZNS1_27merge_sort_block_merge_implIS3_N6thrust23THRUST_200600_302600_NS6detail15normal_iteratorINS9_10device_ptrIxEEEEPS5_jNS1_19radix_merge_compareILb0ELb1ExNS0_19identity_decomposerEEEEE10hipError_tT0_T1_T2_jT3_P12ihipStream_tbPNSt15iterator_traitsISK_E10value_typeEPNSQ_ISL_E10value_typeEPSM_NS1_7vsmem_tEENKUlT_SK_SL_SM_E_clIPxSE_SF_SF_EESJ_SZ_SK_SL_SM_EUlSZ_E0_NS1_11comp_targetILNS1_3genE10ELNS1_11target_archE1201ELNS1_3gpuE5ELNS1_3repE0EEENS1_38merge_mergepath_config_static_selectorELNS0_4arch9wavefront6targetE1EEEvSL_
                                        ; -- End function
	.section	.AMDGPU.csdata,"",@progbits
; Kernel info:
; codeLenInByte = 0
; NumSgprs: 4
; NumVgprs: 0
; NumAgprs: 0
; TotalNumVgprs: 0
; ScratchSize: 0
; MemoryBound: 0
; FloatMode: 240
; IeeeMode: 1
; LDSByteSize: 0 bytes/workgroup (compile time only)
; SGPRBlocks: 0
; VGPRBlocks: 0
; NumSGPRsForWavesPerEU: 4
; NumVGPRsForWavesPerEU: 1
; AccumOffset: 4
; Occupancy: 8
; WaveLimiterHint : 0
; COMPUTE_PGM_RSRC2:SCRATCH_EN: 0
; COMPUTE_PGM_RSRC2:USER_SGPR: 6
; COMPUTE_PGM_RSRC2:TRAP_HANDLER: 0
; COMPUTE_PGM_RSRC2:TGID_X_EN: 1
; COMPUTE_PGM_RSRC2:TGID_Y_EN: 0
; COMPUTE_PGM_RSRC2:TGID_Z_EN: 0
; COMPUTE_PGM_RSRC2:TIDIG_COMP_CNT: 0
; COMPUTE_PGM_RSRC3_GFX90A:ACCUM_OFFSET: 0
; COMPUTE_PGM_RSRC3_GFX90A:TG_SPLIT: 0
	.section	.text._ZN7rocprim17ROCPRIM_400000_NS6detail17trampoline_kernelINS0_14default_configENS1_38merge_sort_block_merge_config_selectorIxNS0_10empty_typeEEEZZNS1_27merge_sort_block_merge_implIS3_N6thrust23THRUST_200600_302600_NS6detail15normal_iteratorINS9_10device_ptrIxEEEEPS5_jNS1_19radix_merge_compareILb0ELb1ExNS0_19identity_decomposerEEEEE10hipError_tT0_T1_T2_jT3_P12ihipStream_tbPNSt15iterator_traitsISK_E10value_typeEPNSQ_ISL_E10value_typeEPSM_NS1_7vsmem_tEENKUlT_SK_SL_SM_E_clIPxSE_SF_SF_EESJ_SZ_SK_SL_SM_EUlSZ_E0_NS1_11comp_targetILNS1_3genE5ELNS1_11target_archE942ELNS1_3gpuE9ELNS1_3repE0EEENS1_38merge_mergepath_config_static_selectorELNS0_4arch9wavefront6targetE1EEEvSL_,"axG",@progbits,_ZN7rocprim17ROCPRIM_400000_NS6detail17trampoline_kernelINS0_14default_configENS1_38merge_sort_block_merge_config_selectorIxNS0_10empty_typeEEEZZNS1_27merge_sort_block_merge_implIS3_N6thrust23THRUST_200600_302600_NS6detail15normal_iteratorINS9_10device_ptrIxEEEEPS5_jNS1_19radix_merge_compareILb0ELb1ExNS0_19identity_decomposerEEEEE10hipError_tT0_T1_T2_jT3_P12ihipStream_tbPNSt15iterator_traitsISK_E10value_typeEPNSQ_ISL_E10value_typeEPSM_NS1_7vsmem_tEENKUlT_SK_SL_SM_E_clIPxSE_SF_SF_EESJ_SZ_SK_SL_SM_EUlSZ_E0_NS1_11comp_targetILNS1_3genE5ELNS1_11target_archE942ELNS1_3gpuE9ELNS1_3repE0EEENS1_38merge_mergepath_config_static_selectorELNS0_4arch9wavefront6targetE1EEEvSL_,comdat
	.protected	_ZN7rocprim17ROCPRIM_400000_NS6detail17trampoline_kernelINS0_14default_configENS1_38merge_sort_block_merge_config_selectorIxNS0_10empty_typeEEEZZNS1_27merge_sort_block_merge_implIS3_N6thrust23THRUST_200600_302600_NS6detail15normal_iteratorINS9_10device_ptrIxEEEEPS5_jNS1_19radix_merge_compareILb0ELb1ExNS0_19identity_decomposerEEEEE10hipError_tT0_T1_T2_jT3_P12ihipStream_tbPNSt15iterator_traitsISK_E10value_typeEPNSQ_ISL_E10value_typeEPSM_NS1_7vsmem_tEENKUlT_SK_SL_SM_E_clIPxSE_SF_SF_EESJ_SZ_SK_SL_SM_EUlSZ_E0_NS1_11comp_targetILNS1_3genE5ELNS1_11target_archE942ELNS1_3gpuE9ELNS1_3repE0EEENS1_38merge_mergepath_config_static_selectorELNS0_4arch9wavefront6targetE1EEEvSL_ ; -- Begin function _ZN7rocprim17ROCPRIM_400000_NS6detail17trampoline_kernelINS0_14default_configENS1_38merge_sort_block_merge_config_selectorIxNS0_10empty_typeEEEZZNS1_27merge_sort_block_merge_implIS3_N6thrust23THRUST_200600_302600_NS6detail15normal_iteratorINS9_10device_ptrIxEEEEPS5_jNS1_19radix_merge_compareILb0ELb1ExNS0_19identity_decomposerEEEEE10hipError_tT0_T1_T2_jT3_P12ihipStream_tbPNSt15iterator_traitsISK_E10value_typeEPNSQ_ISL_E10value_typeEPSM_NS1_7vsmem_tEENKUlT_SK_SL_SM_E_clIPxSE_SF_SF_EESJ_SZ_SK_SL_SM_EUlSZ_E0_NS1_11comp_targetILNS1_3genE5ELNS1_11target_archE942ELNS1_3gpuE9ELNS1_3repE0EEENS1_38merge_mergepath_config_static_selectorELNS0_4arch9wavefront6targetE1EEEvSL_
	.globl	_ZN7rocprim17ROCPRIM_400000_NS6detail17trampoline_kernelINS0_14default_configENS1_38merge_sort_block_merge_config_selectorIxNS0_10empty_typeEEEZZNS1_27merge_sort_block_merge_implIS3_N6thrust23THRUST_200600_302600_NS6detail15normal_iteratorINS9_10device_ptrIxEEEEPS5_jNS1_19radix_merge_compareILb0ELb1ExNS0_19identity_decomposerEEEEE10hipError_tT0_T1_T2_jT3_P12ihipStream_tbPNSt15iterator_traitsISK_E10value_typeEPNSQ_ISL_E10value_typeEPSM_NS1_7vsmem_tEENKUlT_SK_SL_SM_E_clIPxSE_SF_SF_EESJ_SZ_SK_SL_SM_EUlSZ_E0_NS1_11comp_targetILNS1_3genE5ELNS1_11target_archE942ELNS1_3gpuE9ELNS1_3repE0EEENS1_38merge_mergepath_config_static_selectorELNS0_4arch9wavefront6targetE1EEEvSL_
	.p2align	8
	.type	_ZN7rocprim17ROCPRIM_400000_NS6detail17trampoline_kernelINS0_14default_configENS1_38merge_sort_block_merge_config_selectorIxNS0_10empty_typeEEEZZNS1_27merge_sort_block_merge_implIS3_N6thrust23THRUST_200600_302600_NS6detail15normal_iteratorINS9_10device_ptrIxEEEEPS5_jNS1_19radix_merge_compareILb0ELb1ExNS0_19identity_decomposerEEEEE10hipError_tT0_T1_T2_jT3_P12ihipStream_tbPNSt15iterator_traitsISK_E10value_typeEPNSQ_ISL_E10value_typeEPSM_NS1_7vsmem_tEENKUlT_SK_SL_SM_E_clIPxSE_SF_SF_EESJ_SZ_SK_SL_SM_EUlSZ_E0_NS1_11comp_targetILNS1_3genE5ELNS1_11target_archE942ELNS1_3gpuE9ELNS1_3repE0EEENS1_38merge_mergepath_config_static_selectorELNS0_4arch9wavefront6targetE1EEEvSL_,@function
_ZN7rocprim17ROCPRIM_400000_NS6detail17trampoline_kernelINS0_14default_configENS1_38merge_sort_block_merge_config_selectorIxNS0_10empty_typeEEEZZNS1_27merge_sort_block_merge_implIS3_N6thrust23THRUST_200600_302600_NS6detail15normal_iteratorINS9_10device_ptrIxEEEEPS5_jNS1_19radix_merge_compareILb0ELb1ExNS0_19identity_decomposerEEEEE10hipError_tT0_T1_T2_jT3_P12ihipStream_tbPNSt15iterator_traitsISK_E10value_typeEPNSQ_ISL_E10value_typeEPSM_NS1_7vsmem_tEENKUlT_SK_SL_SM_E_clIPxSE_SF_SF_EESJ_SZ_SK_SL_SM_EUlSZ_E0_NS1_11comp_targetILNS1_3genE5ELNS1_11target_archE942ELNS1_3gpuE9ELNS1_3repE0EEENS1_38merge_mergepath_config_static_selectorELNS0_4arch9wavefront6targetE1EEEvSL_: ; @_ZN7rocprim17ROCPRIM_400000_NS6detail17trampoline_kernelINS0_14default_configENS1_38merge_sort_block_merge_config_selectorIxNS0_10empty_typeEEEZZNS1_27merge_sort_block_merge_implIS3_N6thrust23THRUST_200600_302600_NS6detail15normal_iteratorINS9_10device_ptrIxEEEEPS5_jNS1_19radix_merge_compareILb0ELb1ExNS0_19identity_decomposerEEEEE10hipError_tT0_T1_T2_jT3_P12ihipStream_tbPNSt15iterator_traitsISK_E10value_typeEPNSQ_ISL_E10value_typeEPSM_NS1_7vsmem_tEENKUlT_SK_SL_SM_E_clIPxSE_SF_SF_EESJ_SZ_SK_SL_SM_EUlSZ_E0_NS1_11comp_targetILNS1_3genE5ELNS1_11target_archE942ELNS1_3gpuE9ELNS1_3repE0EEENS1_38merge_mergepath_config_static_selectorELNS0_4arch9wavefront6targetE1EEEvSL_
; %bb.0:
	.section	.rodata,"a",@progbits
	.p2align	6, 0x0
	.amdhsa_kernel _ZN7rocprim17ROCPRIM_400000_NS6detail17trampoline_kernelINS0_14default_configENS1_38merge_sort_block_merge_config_selectorIxNS0_10empty_typeEEEZZNS1_27merge_sort_block_merge_implIS3_N6thrust23THRUST_200600_302600_NS6detail15normal_iteratorINS9_10device_ptrIxEEEEPS5_jNS1_19radix_merge_compareILb0ELb1ExNS0_19identity_decomposerEEEEE10hipError_tT0_T1_T2_jT3_P12ihipStream_tbPNSt15iterator_traitsISK_E10value_typeEPNSQ_ISL_E10value_typeEPSM_NS1_7vsmem_tEENKUlT_SK_SL_SM_E_clIPxSE_SF_SF_EESJ_SZ_SK_SL_SM_EUlSZ_E0_NS1_11comp_targetILNS1_3genE5ELNS1_11target_archE942ELNS1_3gpuE9ELNS1_3repE0EEENS1_38merge_mergepath_config_static_selectorELNS0_4arch9wavefront6targetE1EEEvSL_
		.amdhsa_group_segment_fixed_size 0
		.amdhsa_private_segment_fixed_size 0
		.amdhsa_kernarg_size 72
		.amdhsa_user_sgpr_count 6
		.amdhsa_user_sgpr_private_segment_buffer 1
		.amdhsa_user_sgpr_dispatch_ptr 0
		.amdhsa_user_sgpr_queue_ptr 0
		.amdhsa_user_sgpr_kernarg_segment_ptr 1
		.amdhsa_user_sgpr_dispatch_id 0
		.amdhsa_user_sgpr_flat_scratch_init 0
		.amdhsa_user_sgpr_kernarg_preload_length 0
		.amdhsa_user_sgpr_kernarg_preload_offset 0
		.amdhsa_user_sgpr_private_segment_size 0
		.amdhsa_uses_dynamic_stack 0
		.amdhsa_system_sgpr_private_segment_wavefront_offset 0
		.amdhsa_system_sgpr_workgroup_id_x 1
		.amdhsa_system_sgpr_workgroup_id_y 0
		.amdhsa_system_sgpr_workgroup_id_z 0
		.amdhsa_system_sgpr_workgroup_info 0
		.amdhsa_system_vgpr_workitem_id 0
		.amdhsa_next_free_vgpr 1
		.amdhsa_next_free_sgpr 0
		.amdhsa_accum_offset 4
		.amdhsa_reserve_vcc 0
		.amdhsa_reserve_flat_scratch 0
		.amdhsa_float_round_mode_32 0
		.amdhsa_float_round_mode_16_64 0
		.amdhsa_float_denorm_mode_32 3
		.amdhsa_float_denorm_mode_16_64 3
		.amdhsa_dx10_clamp 1
		.amdhsa_ieee_mode 1
		.amdhsa_fp16_overflow 0
		.amdhsa_tg_split 0
		.amdhsa_exception_fp_ieee_invalid_op 0
		.amdhsa_exception_fp_denorm_src 0
		.amdhsa_exception_fp_ieee_div_zero 0
		.amdhsa_exception_fp_ieee_overflow 0
		.amdhsa_exception_fp_ieee_underflow 0
		.amdhsa_exception_fp_ieee_inexact 0
		.amdhsa_exception_int_div_zero 0
	.end_amdhsa_kernel
	.section	.text._ZN7rocprim17ROCPRIM_400000_NS6detail17trampoline_kernelINS0_14default_configENS1_38merge_sort_block_merge_config_selectorIxNS0_10empty_typeEEEZZNS1_27merge_sort_block_merge_implIS3_N6thrust23THRUST_200600_302600_NS6detail15normal_iteratorINS9_10device_ptrIxEEEEPS5_jNS1_19radix_merge_compareILb0ELb1ExNS0_19identity_decomposerEEEEE10hipError_tT0_T1_T2_jT3_P12ihipStream_tbPNSt15iterator_traitsISK_E10value_typeEPNSQ_ISL_E10value_typeEPSM_NS1_7vsmem_tEENKUlT_SK_SL_SM_E_clIPxSE_SF_SF_EESJ_SZ_SK_SL_SM_EUlSZ_E0_NS1_11comp_targetILNS1_3genE5ELNS1_11target_archE942ELNS1_3gpuE9ELNS1_3repE0EEENS1_38merge_mergepath_config_static_selectorELNS0_4arch9wavefront6targetE1EEEvSL_,"axG",@progbits,_ZN7rocprim17ROCPRIM_400000_NS6detail17trampoline_kernelINS0_14default_configENS1_38merge_sort_block_merge_config_selectorIxNS0_10empty_typeEEEZZNS1_27merge_sort_block_merge_implIS3_N6thrust23THRUST_200600_302600_NS6detail15normal_iteratorINS9_10device_ptrIxEEEEPS5_jNS1_19radix_merge_compareILb0ELb1ExNS0_19identity_decomposerEEEEE10hipError_tT0_T1_T2_jT3_P12ihipStream_tbPNSt15iterator_traitsISK_E10value_typeEPNSQ_ISL_E10value_typeEPSM_NS1_7vsmem_tEENKUlT_SK_SL_SM_E_clIPxSE_SF_SF_EESJ_SZ_SK_SL_SM_EUlSZ_E0_NS1_11comp_targetILNS1_3genE5ELNS1_11target_archE942ELNS1_3gpuE9ELNS1_3repE0EEENS1_38merge_mergepath_config_static_selectorELNS0_4arch9wavefront6targetE1EEEvSL_,comdat
.Lfunc_end1477:
	.size	_ZN7rocprim17ROCPRIM_400000_NS6detail17trampoline_kernelINS0_14default_configENS1_38merge_sort_block_merge_config_selectorIxNS0_10empty_typeEEEZZNS1_27merge_sort_block_merge_implIS3_N6thrust23THRUST_200600_302600_NS6detail15normal_iteratorINS9_10device_ptrIxEEEEPS5_jNS1_19radix_merge_compareILb0ELb1ExNS0_19identity_decomposerEEEEE10hipError_tT0_T1_T2_jT3_P12ihipStream_tbPNSt15iterator_traitsISK_E10value_typeEPNSQ_ISL_E10value_typeEPSM_NS1_7vsmem_tEENKUlT_SK_SL_SM_E_clIPxSE_SF_SF_EESJ_SZ_SK_SL_SM_EUlSZ_E0_NS1_11comp_targetILNS1_3genE5ELNS1_11target_archE942ELNS1_3gpuE9ELNS1_3repE0EEENS1_38merge_mergepath_config_static_selectorELNS0_4arch9wavefront6targetE1EEEvSL_, .Lfunc_end1477-_ZN7rocprim17ROCPRIM_400000_NS6detail17trampoline_kernelINS0_14default_configENS1_38merge_sort_block_merge_config_selectorIxNS0_10empty_typeEEEZZNS1_27merge_sort_block_merge_implIS3_N6thrust23THRUST_200600_302600_NS6detail15normal_iteratorINS9_10device_ptrIxEEEEPS5_jNS1_19radix_merge_compareILb0ELb1ExNS0_19identity_decomposerEEEEE10hipError_tT0_T1_T2_jT3_P12ihipStream_tbPNSt15iterator_traitsISK_E10value_typeEPNSQ_ISL_E10value_typeEPSM_NS1_7vsmem_tEENKUlT_SK_SL_SM_E_clIPxSE_SF_SF_EESJ_SZ_SK_SL_SM_EUlSZ_E0_NS1_11comp_targetILNS1_3genE5ELNS1_11target_archE942ELNS1_3gpuE9ELNS1_3repE0EEENS1_38merge_mergepath_config_static_selectorELNS0_4arch9wavefront6targetE1EEEvSL_
                                        ; -- End function
	.section	.AMDGPU.csdata,"",@progbits
; Kernel info:
; codeLenInByte = 0
; NumSgprs: 4
; NumVgprs: 0
; NumAgprs: 0
; TotalNumVgprs: 0
; ScratchSize: 0
; MemoryBound: 0
; FloatMode: 240
; IeeeMode: 1
; LDSByteSize: 0 bytes/workgroup (compile time only)
; SGPRBlocks: 0
; VGPRBlocks: 0
; NumSGPRsForWavesPerEU: 4
; NumVGPRsForWavesPerEU: 1
; AccumOffset: 4
; Occupancy: 8
; WaveLimiterHint : 0
; COMPUTE_PGM_RSRC2:SCRATCH_EN: 0
; COMPUTE_PGM_RSRC2:USER_SGPR: 6
; COMPUTE_PGM_RSRC2:TRAP_HANDLER: 0
; COMPUTE_PGM_RSRC2:TGID_X_EN: 1
; COMPUTE_PGM_RSRC2:TGID_Y_EN: 0
; COMPUTE_PGM_RSRC2:TGID_Z_EN: 0
; COMPUTE_PGM_RSRC2:TIDIG_COMP_CNT: 0
; COMPUTE_PGM_RSRC3_GFX90A:ACCUM_OFFSET: 0
; COMPUTE_PGM_RSRC3_GFX90A:TG_SPLIT: 0
	.section	.text._ZN7rocprim17ROCPRIM_400000_NS6detail17trampoline_kernelINS0_14default_configENS1_38merge_sort_block_merge_config_selectorIxNS0_10empty_typeEEEZZNS1_27merge_sort_block_merge_implIS3_N6thrust23THRUST_200600_302600_NS6detail15normal_iteratorINS9_10device_ptrIxEEEEPS5_jNS1_19radix_merge_compareILb0ELb1ExNS0_19identity_decomposerEEEEE10hipError_tT0_T1_T2_jT3_P12ihipStream_tbPNSt15iterator_traitsISK_E10value_typeEPNSQ_ISL_E10value_typeEPSM_NS1_7vsmem_tEENKUlT_SK_SL_SM_E_clIPxSE_SF_SF_EESJ_SZ_SK_SL_SM_EUlSZ_E0_NS1_11comp_targetILNS1_3genE4ELNS1_11target_archE910ELNS1_3gpuE8ELNS1_3repE0EEENS1_38merge_mergepath_config_static_selectorELNS0_4arch9wavefront6targetE1EEEvSL_,"axG",@progbits,_ZN7rocprim17ROCPRIM_400000_NS6detail17trampoline_kernelINS0_14default_configENS1_38merge_sort_block_merge_config_selectorIxNS0_10empty_typeEEEZZNS1_27merge_sort_block_merge_implIS3_N6thrust23THRUST_200600_302600_NS6detail15normal_iteratorINS9_10device_ptrIxEEEEPS5_jNS1_19radix_merge_compareILb0ELb1ExNS0_19identity_decomposerEEEEE10hipError_tT0_T1_T2_jT3_P12ihipStream_tbPNSt15iterator_traitsISK_E10value_typeEPNSQ_ISL_E10value_typeEPSM_NS1_7vsmem_tEENKUlT_SK_SL_SM_E_clIPxSE_SF_SF_EESJ_SZ_SK_SL_SM_EUlSZ_E0_NS1_11comp_targetILNS1_3genE4ELNS1_11target_archE910ELNS1_3gpuE8ELNS1_3repE0EEENS1_38merge_mergepath_config_static_selectorELNS0_4arch9wavefront6targetE1EEEvSL_,comdat
	.protected	_ZN7rocprim17ROCPRIM_400000_NS6detail17trampoline_kernelINS0_14default_configENS1_38merge_sort_block_merge_config_selectorIxNS0_10empty_typeEEEZZNS1_27merge_sort_block_merge_implIS3_N6thrust23THRUST_200600_302600_NS6detail15normal_iteratorINS9_10device_ptrIxEEEEPS5_jNS1_19radix_merge_compareILb0ELb1ExNS0_19identity_decomposerEEEEE10hipError_tT0_T1_T2_jT3_P12ihipStream_tbPNSt15iterator_traitsISK_E10value_typeEPNSQ_ISL_E10value_typeEPSM_NS1_7vsmem_tEENKUlT_SK_SL_SM_E_clIPxSE_SF_SF_EESJ_SZ_SK_SL_SM_EUlSZ_E0_NS1_11comp_targetILNS1_3genE4ELNS1_11target_archE910ELNS1_3gpuE8ELNS1_3repE0EEENS1_38merge_mergepath_config_static_selectorELNS0_4arch9wavefront6targetE1EEEvSL_ ; -- Begin function _ZN7rocprim17ROCPRIM_400000_NS6detail17trampoline_kernelINS0_14default_configENS1_38merge_sort_block_merge_config_selectorIxNS0_10empty_typeEEEZZNS1_27merge_sort_block_merge_implIS3_N6thrust23THRUST_200600_302600_NS6detail15normal_iteratorINS9_10device_ptrIxEEEEPS5_jNS1_19radix_merge_compareILb0ELb1ExNS0_19identity_decomposerEEEEE10hipError_tT0_T1_T2_jT3_P12ihipStream_tbPNSt15iterator_traitsISK_E10value_typeEPNSQ_ISL_E10value_typeEPSM_NS1_7vsmem_tEENKUlT_SK_SL_SM_E_clIPxSE_SF_SF_EESJ_SZ_SK_SL_SM_EUlSZ_E0_NS1_11comp_targetILNS1_3genE4ELNS1_11target_archE910ELNS1_3gpuE8ELNS1_3repE0EEENS1_38merge_mergepath_config_static_selectorELNS0_4arch9wavefront6targetE1EEEvSL_
	.globl	_ZN7rocprim17ROCPRIM_400000_NS6detail17trampoline_kernelINS0_14default_configENS1_38merge_sort_block_merge_config_selectorIxNS0_10empty_typeEEEZZNS1_27merge_sort_block_merge_implIS3_N6thrust23THRUST_200600_302600_NS6detail15normal_iteratorINS9_10device_ptrIxEEEEPS5_jNS1_19radix_merge_compareILb0ELb1ExNS0_19identity_decomposerEEEEE10hipError_tT0_T1_T2_jT3_P12ihipStream_tbPNSt15iterator_traitsISK_E10value_typeEPNSQ_ISL_E10value_typeEPSM_NS1_7vsmem_tEENKUlT_SK_SL_SM_E_clIPxSE_SF_SF_EESJ_SZ_SK_SL_SM_EUlSZ_E0_NS1_11comp_targetILNS1_3genE4ELNS1_11target_archE910ELNS1_3gpuE8ELNS1_3repE0EEENS1_38merge_mergepath_config_static_selectorELNS0_4arch9wavefront6targetE1EEEvSL_
	.p2align	8
	.type	_ZN7rocprim17ROCPRIM_400000_NS6detail17trampoline_kernelINS0_14default_configENS1_38merge_sort_block_merge_config_selectorIxNS0_10empty_typeEEEZZNS1_27merge_sort_block_merge_implIS3_N6thrust23THRUST_200600_302600_NS6detail15normal_iteratorINS9_10device_ptrIxEEEEPS5_jNS1_19radix_merge_compareILb0ELb1ExNS0_19identity_decomposerEEEEE10hipError_tT0_T1_T2_jT3_P12ihipStream_tbPNSt15iterator_traitsISK_E10value_typeEPNSQ_ISL_E10value_typeEPSM_NS1_7vsmem_tEENKUlT_SK_SL_SM_E_clIPxSE_SF_SF_EESJ_SZ_SK_SL_SM_EUlSZ_E0_NS1_11comp_targetILNS1_3genE4ELNS1_11target_archE910ELNS1_3gpuE8ELNS1_3repE0EEENS1_38merge_mergepath_config_static_selectorELNS0_4arch9wavefront6targetE1EEEvSL_,@function
_ZN7rocprim17ROCPRIM_400000_NS6detail17trampoline_kernelINS0_14default_configENS1_38merge_sort_block_merge_config_selectorIxNS0_10empty_typeEEEZZNS1_27merge_sort_block_merge_implIS3_N6thrust23THRUST_200600_302600_NS6detail15normal_iteratorINS9_10device_ptrIxEEEEPS5_jNS1_19radix_merge_compareILb0ELb1ExNS0_19identity_decomposerEEEEE10hipError_tT0_T1_T2_jT3_P12ihipStream_tbPNSt15iterator_traitsISK_E10value_typeEPNSQ_ISL_E10value_typeEPSM_NS1_7vsmem_tEENKUlT_SK_SL_SM_E_clIPxSE_SF_SF_EESJ_SZ_SK_SL_SM_EUlSZ_E0_NS1_11comp_targetILNS1_3genE4ELNS1_11target_archE910ELNS1_3gpuE8ELNS1_3repE0EEENS1_38merge_mergepath_config_static_selectorELNS0_4arch9wavefront6targetE1EEEvSL_: ; @_ZN7rocprim17ROCPRIM_400000_NS6detail17trampoline_kernelINS0_14default_configENS1_38merge_sort_block_merge_config_selectorIxNS0_10empty_typeEEEZZNS1_27merge_sort_block_merge_implIS3_N6thrust23THRUST_200600_302600_NS6detail15normal_iteratorINS9_10device_ptrIxEEEEPS5_jNS1_19radix_merge_compareILb0ELb1ExNS0_19identity_decomposerEEEEE10hipError_tT0_T1_T2_jT3_P12ihipStream_tbPNSt15iterator_traitsISK_E10value_typeEPNSQ_ISL_E10value_typeEPSM_NS1_7vsmem_tEENKUlT_SK_SL_SM_E_clIPxSE_SF_SF_EESJ_SZ_SK_SL_SM_EUlSZ_E0_NS1_11comp_targetILNS1_3genE4ELNS1_11target_archE910ELNS1_3gpuE8ELNS1_3repE0EEENS1_38merge_mergepath_config_static_selectorELNS0_4arch9wavefront6targetE1EEEvSL_
; %bb.0:
	s_load_dwordx2 s[14:15], s[4:5], 0x48
	s_load_dword s3, s[4:5], 0x30
	s_add_u32 s0, s4, 0x48
	s_addc_u32 s1, s5, 0
	s_waitcnt lgkmcnt(0)
	s_mul_i32 s2, s15, s8
	s_add_i32 s2, s2, s7
	s_mul_i32 s2, s2, s14
	s_add_i32 s2, s2, s6
	s_cmp_ge_u32 s2, s3
	s_cbranch_scc1 .LBB1478_31
; %bb.1:
	s_load_dwordx2 s[8:9], s[4:5], 0x28
	s_load_dwordx2 s[10:11], s[4:5], 0x40
	;; [unrolled: 1-line block ×3, first 2 shown]
	s_mov_b32 s3, 0
	s_mov_b32 s25, s3
	s_waitcnt lgkmcnt(0)
	s_lshr_b32 s7, s8, 10
	s_cmp_lg_u32 s2, s7
	s_cselect_b64 s[12:13], -1, 0
	s_lshl_b64 s[16:17], s[2:3], 2
	s_add_u32 s10, s10, s16
	s_addc_u32 s11, s11, s17
	s_load_dwordx2 s[18:19], s[10:11], 0x0
	s_lshr_b32 s10, s9, 9
	s_and_b32 s10, s10, 0x7ffffe
	s_sub_i32 s11, 0, s10
	s_and_b32 s15, s2, s11
	s_lshl_b32 s16, s15, 10
	s_lshl_b32 s10, s2, 10
	;; [unrolled: 1-line block ×3, first 2 shown]
	s_sub_i32 s17, s10, s16
	s_add_i32 s15, s15, s9
	s_add_i32 s17, s15, s17
	s_waitcnt lgkmcnt(0)
	s_sub_i32 s20, s17, s18
	s_sub_i32 s17, s17, s19
	;; [unrolled: 1-line block ×3, first 2 shown]
	s_min_u32 s24, s8, s20
	s_addk_i32 s17, 0x400
	s_or_b32 s11, s2, s11
	s_min_u32 s16, s8, s15
	s_add_i32 s15, s15, s9
	s_cmp_eq_u32 s11, -1
	s_cselect_b32 s9, s15, s17
	s_cselect_b32 s11, s16, s19
	s_min_u32 s15, s9, s8
	s_mov_b32 s19, s3
	s_sub_i32 s9, s11, s18
	s_sub_i32 s16, s15, s24
	s_lshl_b64 s[20:21], s[18:19], 3
	s_add_u32 s19, s22, s20
	s_addc_u32 s20, s23, s21
	s_lshl_b64 s[24:25], s[24:25], 3
	s_add_u32 s17, s22, s24
	s_addc_u32 s18, s23, s25
	s_cmp_lt_u32 s6, s14
	v_mov_b32_e32 v9, 0
	s_cselect_b32 s3, 12, 18
	global_load_dword v1, v9, s[0:1] offset:14
	s_add_u32 s0, s0, s3
	s_addc_u32 s1, s1, 0
	global_load_ushort v2, v9, s[0:1]
	s_cmp_eq_u32 s2, s7
	s_waitcnt vmcnt(1)
	v_lshrrev_b32_e32 v3, 16, v1
	v_and_b32_e32 v1, 0xffff, v1
	v_mul_lo_u32 v1, v1, v3
	s_waitcnt vmcnt(0)
	v_mul_lo_u32 v14, v1, v2
	v_add_u32_e32 v12, v14, v0
	v_lshlrev_b32_e32 v1, 3, v0
	v_add_u32_e32 v10, v12, v14
	s_cbranch_scc1 .LBB1478_3
; %bb.2:
	v_mov_b32_e32 v2, s20
	v_add_co_u32_e32 v4, vcc, s19, v1
	v_subrev_u32_e32 v8, s9, v0
	v_addc_co_u32_e32 v5, vcc, 0, v2, vcc
	v_lshlrev_b64 v[2:3], 3, v[8:9]
	v_mov_b32_e32 v6, s18
	v_add_co_u32_e32 v2, vcc, s17, v2
	v_addc_co_u32_e32 v3, vcc, v6, v3, vcc
	v_cmp_gt_u32_e32 vcc, s9, v0
	v_mov_b32_e32 v13, v9
	v_cndmask_b32_e32 v3, v3, v5, vcc
	v_cndmask_b32_e32 v2, v2, v4, vcc
	v_lshlrev_b64 v[4:5], 3, v[12:13]
	v_mov_b32_e32 v6, s20
	v_add_co_u32_e32 v7, vcc, s19, v4
	v_subrev_u32_e32 v8, s9, v12
	v_addc_co_u32_e32 v6, vcc, v6, v5, vcc
	v_lshlrev_b64 v[4:5], 3, v[8:9]
	v_mov_b32_e32 v8, s18
	v_add_co_u32_e32 v4, vcc, s17, v4
	v_addc_co_u32_e32 v5, vcc, v8, v5, vcc
	v_cmp_gt_u32_e32 vcc, s9, v12
	v_mov_b32_e32 v11, v9
	v_cndmask_b32_e32 v5, v5, v6, vcc
	v_cndmask_b32_e32 v4, v4, v7, vcc
	v_lshlrev_b64 v[6:7], 3, v[10:11]
	v_mov_b32_e32 v8, s20
	v_add_co_u32_e32 v11, vcc, s19, v6
	v_addc_co_u32_e32 v13, vcc, v8, v7, vcc
	v_subrev_u32_e32 v8, s9, v10
	v_lshlrev_b64 v[6:7], 3, v[8:9]
	v_mov_b32_e32 v8, s18
	v_add_co_u32_e32 v6, vcc, s17, v6
	v_addc_co_u32_e32 v7, vcc, v8, v7, vcc
	v_add_u32_e32 v8, v10, v14
	v_cmp_gt_u32_e32 vcc, s9, v10
	v_lshlrev_b64 v[16:17], 3, v[8:9]
	v_cndmask_b32_e32 v7, v7, v13, vcc
	v_cndmask_b32_e32 v6, v6, v11, vcc
	v_mov_b32_e32 v11, s20
	v_add_co_u32_e32 v13, vcc, s19, v16
	v_addc_co_u32_e32 v11, vcc, v11, v17, vcc
	v_cmp_gt_u32_e32 vcc, s9, v8
	v_subrev_u32_e32 v8, s9, v8
	v_lshlrev_b64 v[8:9], 3, v[8:9]
	v_mov_b32_e32 v15, s18
	v_add_co_u32_e64 v8, s[0:1], s17, v8
	v_addc_co_u32_e64 v9, s[0:1], v15, v9, s[0:1]
	v_cndmask_b32_e32 v9, v9, v11, vcc
	v_cndmask_b32_e32 v8, v8, v13, vcc
	global_load_dwordx2 v[2:3], v[2:3], off
	s_add_i32 s11, s16, s9
	global_load_dwordx2 v[4:5], v[4:5], off
	s_nop 0
	global_load_dwordx2 v[6:7], v[6:7], off
	s_nop 0
	global_load_dwordx2 v[8:9], v[8:9], off
	s_load_dwordx2 s[6:7], s[4:5], 0x10
	s_load_dwordx2 s[14:15], s[4:5], 0x38
	s_cbranch_execz .LBB1478_4
	s_branch .LBB1478_11
.LBB1478_3:
                                        ; implicit-def: $vgpr2_vgpr3_vgpr4_vgpr5_vgpr6_vgpr7_vgpr8_vgpr9
                                        ; implicit-def: $sgpr11
	s_load_dwordx2 s[6:7], s[4:5], 0x10
	s_load_dwordx2 s[14:15], s[4:5], 0x38
.LBB1478_4:
	s_add_i32 s11, s16, s9
	v_cmp_gt_u32_e32 vcc, s11, v0
                                        ; implicit-def: $vgpr2_vgpr3_vgpr4_vgpr5_vgpr6_vgpr7_vgpr8_vgpr9
	s_and_saveexec_b64 s[0:1], vcc
	s_cbranch_execnz .LBB1478_32
; %bb.5:
	s_or_b64 exec, exec, s[0:1]
	v_cmp_gt_u32_e32 vcc, s11, v12
	s_and_saveexec_b64 s[2:3], vcc
	s_cbranch_execnz .LBB1478_33
.LBB1478_6:
	s_or_b64 exec, exec, s[2:3]
	v_cmp_gt_u32_e32 vcc, s11, v10
	s_and_saveexec_b64 s[0:1], vcc
	s_cbranch_execz .LBB1478_8
.LBB1478_7:
	v_mov_b32_e32 v11, 0
	s_waitcnt vmcnt(1)
	v_lshlrev_b64 v[6:7], 3, v[10:11]
	v_mov_b32_e32 v12, s20
	v_add_co_u32_e32 v13, vcc, s19, v6
	v_addc_co_u32_e32 v12, vcc, v12, v7, vcc
	v_subrev_u32_e32 v6, s9, v10
	v_mov_b32_e32 v7, v11
	v_lshlrev_b64 v[6:7], 3, v[6:7]
	v_mov_b32_e32 v11, s18
	v_add_co_u32_e32 v6, vcc, s17, v6
	v_addc_co_u32_e32 v7, vcc, v11, v7, vcc
	v_cmp_gt_u32_e32 vcc, s9, v10
	v_cndmask_b32_e32 v7, v7, v12, vcc
	v_cndmask_b32_e32 v6, v6, v13, vcc
	global_load_dwordx2 v[6:7], v[6:7], off
.LBB1478_8:
	s_or_b64 exec, exec, s[0:1]
	v_add_u32_e32 v10, v10, v14
	v_cmp_gt_u32_e32 vcc, s11, v10
	s_and_saveexec_b64 s[2:3], vcc
	s_cbranch_execz .LBB1478_10
; %bb.9:
	v_mov_b32_e32 v11, 0
	s_waitcnt vmcnt(0)
	v_lshlrev_b64 v[8:9], 3, v[10:11]
	v_mov_b32_e32 v12, s20
	v_add_co_u32_e32 v13, vcc, s19, v8
	v_addc_co_u32_e32 v12, vcc, v12, v9, vcc
	v_cmp_gt_u32_e32 vcc, s9, v10
	v_subrev_u32_e32 v10, s9, v10
	v_lshlrev_b64 v[8:9], 3, v[10:11]
	v_mov_b32_e32 v10, s18
	v_add_co_u32_e64 v8, s[0:1], s17, v8
	v_addc_co_u32_e64 v9, s[0:1], v10, v9, s[0:1]
	v_cndmask_b32_e32 v9, v9, v12, vcc
	v_cndmask_b32_e32 v8, v8, v13, vcc
	global_load_dwordx2 v[8:9], v[8:9], off
.LBB1478_10:
	s_or_b64 exec, exec, s[2:3]
.LBB1478_11:
	v_lshlrev_b32_e32 v10, 2, v0
	v_min_u32_e32 v12, s11, v10
	v_sub_u32_e64 v11, v12, s16 clamp
	v_min_u32_e32 v13, s9, v12
	v_cmp_lt_u32_e32 vcc, v11, v13
	s_waitcnt vmcnt(0)
	ds_write2st64_b64 v1, v[2:3], v[4:5] offset1:4
	ds_write2st64_b64 v1, v[6:7], v[8:9] offset0:8 offset1:12
	s_waitcnt lgkmcnt(0)
	s_barrier
	s_and_saveexec_b64 s[0:1], vcc
	s_cbranch_execz .LBB1478_15
; %bb.12:
	v_lshlrev_b32_e32 v14, 3, v12
	v_lshl_add_u32 v14, s9, 3, v14
	s_mov_b64 s[2:3], 0
.LBB1478_13:                            ; =>This Inner Loop Header: Depth=1
	v_add_u32_e32 v15, v13, v11
	v_lshrrev_b32_e32 v15, 1, v15
	v_not_b32_e32 v18, v15
	v_lshlrev_b32_e32 v16, 3, v15
	v_lshl_add_u32 v18, v18, 3, v14
	ds_read_b64 v[16:17], v16
	ds_read_b64 v[18:19], v18
	v_add_u32_e32 v20, 1, v15
	s_waitcnt lgkmcnt(1)
	v_and_b32_e32 v17, s15, v17
	v_and_b32_e32 v16, s14, v16
	s_waitcnt lgkmcnt(0)
	v_and_b32_e32 v19, s15, v19
	v_and_b32_e32 v18, s14, v18
	v_cmp_gt_i64_e32 vcc, v[16:17], v[18:19]
	v_cndmask_b32_e32 v13, v13, v15, vcc
	v_cndmask_b32_e32 v11, v20, v11, vcc
	v_cmp_ge_u32_e32 vcc, v11, v13
	s_or_b64 s[2:3], vcc, s[2:3]
	s_andn2_b64 exec, exec, s[2:3]
	s_cbranch_execnz .LBB1478_13
; %bb.14:
	s_or_b64 exec, exec, s[2:3]
.LBB1478_15:
	s_or_b64 exec, exec, s[0:1]
	v_sub_u32_e32 v12, v12, v11
	v_add_u32_e32 v12, s9, v12
	v_cmp_ge_u32_e32 vcc, s9, v11
	v_cmp_ge_u32_e64 s[0:1], s11, v12
	s_or_b64 s[0:1], vcc, s[0:1]
	s_and_saveexec_b64 s[16:17], s[0:1]
	s_cbranch_execz .LBB1478_21
; %bb.16:
	v_cmp_gt_u32_e32 vcc, s9, v11
                                        ; implicit-def: $vgpr2_vgpr3
	s_and_saveexec_b64 s[0:1], vcc
	s_cbranch_execz .LBB1478_18
; %bb.17:
	v_lshlrev_b32_e32 v2, 3, v11
	ds_read_b64 v[2:3], v2
.LBB1478_18:
	s_or_b64 exec, exec, s[0:1]
	v_cmp_le_u32_e64 s[0:1], s11, v12
	v_cmp_gt_u32_e64 s[2:3], s11, v12
                                        ; implicit-def: $vgpr4_vgpr5
	s_and_saveexec_b64 s[4:5], s[2:3]
	s_cbranch_execz .LBB1478_20
; %bb.19:
	v_lshlrev_b32_e32 v4, 3, v12
	ds_read_b64 v[4:5], v4
.LBB1478_20:
	s_or_b64 exec, exec, s[4:5]
	s_waitcnt lgkmcnt(0)
	v_and_b32_e32 v7, s15, v5
	v_and_b32_e32 v6, s14, v4
	;; [unrolled: 1-line block ×4, first 2 shown]
	v_cmp_le_i64_e64 s[2:3], v[8:9], v[6:7]
	s_and_b64 s[2:3], vcc, s[2:3]
	s_or_b64 vcc, s[0:1], s[2:3]
	v_mov_b32_e32 v13, s11
	v_mov_b32_e32 v14, s9
	v_cndmask_b32_e32 v6, v12, v11, vcc
	v_cndmask_b32_e32 v7, v13, v14, vcc
	v_add_u32_e32 v8, 1, v6
	v_add_u32_e32 v6, -1, v7
	v_min_u32_e32 v6, v8, v6
	v_lshlrev_b32_e32 v6, 3, v6
	ds_read_b64 v[6:7], v6
	v_cndmask_b32_e32 v12, v8, v12, vcc
	v_cndmask_b32_e32 v11, v11, v8, vcc
	v_cmp_gt_u32_e64 s[2:3], s9, v11
	v_cmp_le_u32_e64 s[0:1], s11, v12
	s_waitcnt lgkmcnt(0)
	v_cndmask_b32_e32 v15, v7, v5, vcc
	v_cndmask_b32_e32 v16, v6, v4, vcc
	v_cndmask_b32_e32 v17, v3, v7, vcc
	v_cndmask_b32_e32 v18, v2, v6, vcc
	v_and_b32_e32 v7, s15, v15
	v_and_b32_e32 v6, s14, v16
	;; [unrolled: 1-line block ×4, first 2 shown]
	v_cmp_le_i64_e64 s[4:5], v[8:9], v[6:7]
	s_and_b64 s[2:3], s[2:3], s[4:5]
	s_or_b64 s[0:1], s[0:1], s[2:3]
	v_cndmask_b32_e64 v6, v12, v11, s[0:1]
	v_cndmask_b32_e64 v7, v13, v14, s[0:1]
	v_add_u32_e32 v8, 1, v6
	v_add_u32_e32 v6, -1, v7
	v_min_u32_e32 v6, v8, v6
	v_lshlrev_b32_e32 v6, 3, v6
	ds_read_b64 v[6:7], v6
	v_cndmask_b32_e32 v3, v5, v3, vcc
	v_cndmask_b32_e32 v2, v4, v2, vcc
	v_cndmask_b32_e64 v11, v11, v8, s[0:1]
	v_cndmask_b32_e64 v12, v8, v12, s[0:1]
	s_waitcnt lgkmcnt(0)
	v_cndmask_b32_e64 v19, v7, v15, s[0:1]
	v_cndmask_b32_e64 v20, v6, v16, s[0:1]
	;; [unrolled: 1-line block ×4, first 2 shown]
	v_and_b32_e32 v5, s15, v19
	v_and_b32_e32 v4, s14, v20
	;; [unrolled: 1-line block ×4, first 2 shown]
	v_cmp_gt_u32_e64 s[2:3], s9, v11
	v_cmp_le_i64_e64 s[4:5], v[6:7], v[4:5]
	v_cmp_le_u32_e32 vcc, s11, v12
	s_and_b64 s[2:3], s[2:3], s[4:5]
	s_or_b64 vcc, vcc, s[2:3]
	v_cndmask_b32_e32 v4, v12, v11, vcc
	v_cndmask_b32_e32 v5, v13, v14, vcc
	v_add_u32_e32 v13, 1, v4
	v_add_u32_e32 v4, -1, v5
	v_min_u32_e32 v4, v13, v4
	v_lshlrev_b32_e32 v4, 3, v4
	ds_read_b64 v[8:9], v4
	v_cndmask_b32_e64 v5, v15, v17, s[0:1]
	v_cndmask_b32_e64 v4, v16, v18, s[0:1]
	v_cndmask_b32_e32 v7, v19, v21, vcc
	v_cndmask_b32_e32 v6, v20, v22, vcc
	s_waitcnt lgkmcnt(0)
	v_cndmask_b32_e32 v14, v9, v19, vcc
	v_cndmask_b32_e32 v15, v8, v20, vcc
	;; [unrolled: 1-line block ×6, first 2 shown]
	v_cmp_le_u32_e32 vcc, s11, v8
	v_cmp_gt_u32_e64 s[0:1], s9, v9
	v_and_b32_e32 v9, s15, v14
	v_and_b32_e32 v8, s14, v15
	;; [unrolled: 1-line block ×4, first 2 shown]
	v_cmp_le_i64_e64 s[2:3], v[12:13], v[8:9]
	s_and_b64 s[0:1], s[0:1], s[2:3]
	s_or_b64 vcc, vcc, s[0:1]
	v_cndmask_b32_e32 v9, v14, v16, vcc
	v_cndmask_b32_e32 v8, v15, v17, vcc
.LBB1478_21:
	s_or_b64 exec, exec, s[16:17]
	v_and_b32_e32 v11, 0xf8, v0
	v_lshl_add_u32 v10, v10, 3, v11
	s_barrier
	s_barrier
	ds_write2_b64 v10, v[2:3], v[4:5] offset1:1
	ds_write2_b64 v10, v[6:7], v[8:9] offset0:2 offset1:3
	v_lshrrev_b32_e32 v2, 2, v0
	v_and_b32_e32 v2, 56, v2
	v_or_b32_e32 v12, 0x100, v0
	v_add_u32_e32 v13, v1, v2
	v_lshrrev_b32_e32 v2, 2, v12
	v_and_b32_e32 v2, 0x78, v2
	v_or_b32_e32 v11, 0x200, v0
	s_mov_b32 s11, 0
	v_add_u32_e32 v6, v1, v2
	v_lshrrev_b32_e32 v2, 2, v11
	s_lshl_b64 s[0:1], s[10:11], 3
	v_and_b32_e32 v2, 0xb8, v2
	v_or_b32_e32 v10, 0x300, v0
	s_add_u32 s0, s6, s0
	v_add_u32_e32 v7, v1, v2
	v_lshrrev_b32_e32 v2, 2, v10
	s_addc_u32 s1, s7, s1
	v_and_b32_e32 v2, 0xf8, v2
	v_add_u32_e32 v14, v1, v2
	v_mov_b32_e32 v3, s1
	v_add_co_u32_e32 v2, vcc, s0, v1
	v_addc_co_u32_e32 v3, vcc, 0, v3, vcc
	s_and_b64 vcc, exec, s[12:13]
	s_waitcnt lgkmcnt(0)
	s_cbranch_vccz .LBB1478_23
; %bb.22:
	s_barrier
	ds_read_b64 v[8:9], v13
	ds_read_b64 v[16:17], v6 offset:2048
	ds_read_b64 v[18:19], v7 offset:4096
	;; [unrolled: 1-line block ×3, first 2 shown]
	s_waitcnt lgkmcnt(3)
	global_store_dwordx2 v[2:3], v[8:9], off
	s_waitcnt lgkmcnt(2)
	global_store_dwordx2 v[2:3], v[16:17], off offset:2048
	v_add_co_u32_e32 v8, vcc, 0x1000, v2
	v_addc_co_u32_e32 v9, vcc, 0, v3, vcc
	s_waitcnt lgkmcnt(1)
	global_store_dwordx2 v[8:9], v[18:19], off
	s_mov_b64 s[0:1], -1
	s_cbranch_execz .LBB1478_24
	s_branch .LBB1478_29
.LBB1478_23:
	s_mov_b64 s[0:1], 0
                                        ; implicit-def: $vgpr4_vgpr5
.LBB1478_24:
	s_barrier
	s_waitcnt lgkmcnt(0)
	ds_read_b64 v[8:9], v6 offset:2048
	ds_read_b64 v[6:7], v7 offset:4096
	;; [unrolled: 1-line block ×3, first 2 shown]
	s_sub_i32 s2, s8, s10
	v_cmp_gt_u32_e32 vcc, s2, v0
	s_and_saveexec_b64 s[0:1], vcc
	s_cbranch_execnz .LBB1478_34
; %bb.25:
	s_or_b64 exec, exec, s[0:1]
	v_cmp_gt_u32_e32 vcc, s2, v12
	s_and_saveexec_b64 s[0:1], vcc
	s_cbranch_execnz .LBB1478_35
.LBB1478_26:
	s_or_b64 exec, exec, s[0:1]
	v_cmp_gt_u32_e32 vcc, s2, v11
	s_and_saveexec_b64 s[0:1], vcc
	s_cbranch_execz .LBB1478_28
.LBB1478_27:
	v_add_co_u32_e32 v0, vcc, 0x1000, v2
	v_addc_co_u32_e32 v1, vcc, 0, v3, vcc
	s_waitcnt lgkmcnt(1)
	global_store_dwordx2 v[0:1], v[6:7], off
.LBB1478_28:
	s_or_b64 exec, exec, s[0:1]
	v_cmp_gt_u32_e64 s[0:1], s2, v10
.LBB1478_29:
	s_and_saveexec_b64 s[2:3], s[0:1]
	s_cbranch_execz .LBB1478_31
; %bb.30:
	v_add_co_u32_e32 v0, vcc, 0x1000, v2
	v_addc_co_u32_e32 v1, vcc, 0, v3, vcc
	s_waitcnt lgkmcnt(0)
	global_store_dwordx2 v[0:1], v[4:5], off offset:2048
.LBB1478_31:
	s_endpgm
.LBB1478_32:
	s_waitcnt vmcnt(3)
	v_mov_b32_e32 v2, s20
	s_waitcnt vmcnt(2)
	v_add_co_u32_e32 v4, vcc, s19, v1
	v_mov_b32_e32 v3, 0
	v_addc_co_u32_e32 v5, vcc, 0, v2, vcc
	v_subrev_u32_e32 v2, s9, v0
	v_lshlrev_b64 v[2:3], 3, v[2:3]
	s_waitcnt vmcnt(1)
	v_mov_b32_e32 v6, s18
	v_add_co_u32_e32 v2, vcc, s17, v2
	v_addc_co_u32_e32 v3, vcc, v6, v3, vcc
	v_cmp_gt_u32_e32 vcc, s9, v0
	v_cndmask_b32_e32 v3, v3, v5, vcc
	v_cndmask_b32_e32 v2, v2, v4, vcc
	global_load_dwordx2 v[2:3], v[2:3], off
	s_or_b64 exec, exec, s[0:1]
	v_cmp_gt_u32_e32 vcc, s11, v12
	s_and_saveexec_b64 s[2:3], vcc
	s_cbranch_execz .LBB1478_6
.LBB1478_33:
	v_mov_b32_e32 v13, 0
	s_waitcnt vmcnt(2)
	v_lshlrev_b64 v[4:5], 3, v[12:13]
	v_mov_b32_e32 v11, s20
	v_add_co_u32_e32 v15, vcc, s19, v4
	v_addc_co_u32_e32 v11, vcc, v11, v5, vcc
	v_cmp_gt_u32_e32 vcc, s9, v12
	v_subrev_u32_e32 v12, s9, v12
	v_lshlrev_b64 v[4:5], 3, v[12:13]
	v_mov_b32_e32 v12, s18
	v_add_co_u32_e64 v4, s[0:1], s17, v4
	v_addc_co_u32_e64 v5, s[0:1], v12, v5, s[0:1]
	v_cndmask_b32_e32 v5, v5, v11, vcc
	v_cndmask_b32_e32 v4, v4, v15, vcc
	global_load_dwordx2 v[4:5], v[4:5], off
	s_or_b64 exec, exec, s[2:3]
	v_cmp_gt_u32_e32 vcc, s11, v10
	s_and_saveexec_b64 s[0:1], vcc
	s_cbranch_execnz .LBB1478_7
	s_branch .LBB1478_8
.LBB1478_34:
	ds_read_b64 v[0:1], v13
	s_waitcnt lgkmcnt(0)
	global_store_dwordx2 v[2:3], v[0:1], off
	s_or_b64 exec, exec, s[0:1]
	v_cmp_gt_u32_e32 vcc, s2, v12
	s_and_saveexec_b64 s[0:1], vcc
	s_cbranch_execz .LBB1478_26
.LBB1478_35:
	s_waitcnt lgkmcnt(2)
	global_store_dwordx2 v[2:3], v[8:9], off offset:2048
	s_or_b64 exec, exec, s[0:1]
	v_cmp_gt_u32_e32 vcc, s2, v11
	s_and_saveexec_b64 s[0:1], vcc
	s_cbranch_execnz .LBB1478_27
	s_branch .LBB1478_28
	.section	.rodata,"a",@progbits
	.p2align	6, 0x0
	.amdhsa_kernel _ZN7rocprim17ROCPRIM_400000_NS6detail17trampoline_kernelINS0_14default_configENS1_38merge_sort_block_merge_config_selectorIxNS0_10empty_typeEEEZZNS1_27merge_sort_block_merge_implIS3_N6thrust23THRUST_200600_302600_NS6detail15normal_iteratorINS9_10device_ptrIxEEEEPS5_jNS1_19radix_merge_compareILb0ELb1ExNS0_19identity_decomposerEEEEE10hipError_tT0_T1_T2_jT3_P12ihipStream_tbPNSt15iterator_traitsISK_E10value_typeEPNSQ_ISL_E10value_typeEPSM_NS1_7vsmem_tEENKUlT_SK_SL_SM_E_clIPxSE_SF_SF_EESJ_SZ_SK_SL_SM_EUlSZ_E0_NS1_11comp_targetILNS1_3genE4ELNS1_11target_archE910ELNS1_3gpuE8ELNS1_3repE0EEENS1_38merge_mergepath_config_static_selectorELNS0_4arch9wavefront6targetE1EEEvSL_
		.amdhsa_group_segment_fixed_size 8448
		.amdhsa_private_segment_fixed_size 0
		.amdhsa_kernarg_size 328
		.amdhsa_user_sgpr_count 6
		.amdhsa_user_sgpr_private_segment_buffer 1
		.amdhsa_user_sgpr_dispatch_ptr 0
		.amdhsa_user_sgpr_queue_ptr 0
		.amdhsa_user_sgpr_kernarg_segment_ptr 1
		.amdhsa_user_sgpr_dispatch_id 0
		.amdhsa_user_sgpr_flat_scratch_init 0
		.amdhsa_user_sgpr_kernarg_preload_length 0
		.amdhsa_user_sgpr_kernarg_preload_offset 0
		.amdhsa_user_sgpr_private_segment_size 0
		.amdhsa_uses_dynamic_stack 0
		.amdhsa_system_sgpr_private_segment_wavefront_offset 0
		.amdhsa_system_sgpr_workgroup_id_x 1
		.amdhsa_system_sgpr_workgroup_id_y 1
		.amdhsa_system_sgpr_workgroup_id_z 1
		.amdhsa_system_sgpr_workgroup_info 0
		.amdhsa_system_vgpr_workitem_id 0
		.amdhsa_next_free_vgpr 23
		.amdhsa_next_free_sgpr 26
		.amdhsa_accum_offset 24
		.amdhsa_reserve_vcc 1
		.amdhsa_reserve_flat_scratch 0
		.amdhsa_float_round_mode_32 0
		.amdhsa_float_round_mode_16_64 0
		.amdhsa_float_denorm_mode_32 3
		.amdhsa_float_denorm_mode_16_64 3
		.amdhsa_dx10_clamp 1
		.amdhsa_ieee_mode 1
		.amdhsa_fp16_overflow 0
		.amdhsa_tg_split 0
		.amdhsa_exception_fp_ieee_invalid_op 0
		.amdhsa_exception_fp_denorm_src 0
		.amdhsa_exception_fp_ieee_div_zero 0
		.amdhsa_exception_fp_ieee_overflow 0
		.amdhsa_exception_fp_ieee_underflow 0
		.amdhsa_exception_fp_ieee_inexact 0
		.amdhsa_exception_int_div_zero 0
	.end_amdhsa_kernel
	.section	.text._ZN7rocprim17ROCPRIM_400000_NS6detail17trampoline_kernelINS0_14default_configENS1_38merge_sort_block_merge_config_selectorIxNS0_10empty_typeEEEZZNS1_27merge_sort_block_merge_implIS3_N6thrust23THRUST_200600_302600_NS6detail15normal_iteratorINS9_10device_ptrIxEEEEPS5_jNS1_19radix_merge_compareILb0ELb1ExNS0_19identity_decomposerEEEEE10hipError_tT0_T1_T2_jT3_P12ihipStream_tbPNSt15iterator_traitsISK_E10value_typeEPNSQ_ISL_E10value_typeEPSM_NS1_7vsmem_tEENKUlT_SK_SL_SM_E_clIPxSE_SF_SF_EESJ_SZ_SK_SL_SM_EUlSZ_E0_NS1_11comp_targetILNS1_3genE4ELNS1_11target_archE910ELNS1_3gpuE8ELNS1_3repE0EEENS1_38merge_mergepath_config_static_selectorELNS0_4arch9wavefront6targetE1EEEvSL_,"axG",@progbits,_ZN7rocprim17ROCPRIM_400000_NS6detail17trampoline_kernelINS0_14default_configENS1_38merge_sort_block_merge_config_selectorIxNS0_10empty_typeEEEZZNS1_27merge_sort_block_merge_implIS3_N6thrust23THRUST_200600_302600_NS6detail15normal_iteratorINS9_10device_ptrIxEEEEPS5_jNS1_19radix_merge_compareILb0ELb1ExNS0_19identity_decomposerEEEEE10hipError_tT0_T1_T2_jT3_P12ihipStream_tbPNSt15iterator_traitsISK_E10value_typeEPNSQ_ISL_E10value_typeEPSM_NS1_7vsmem_tEENKUlT_SK_SL_SM_E_clIPxSE_SF_SF_EESJ_SZ_SK_SL_SM_EUlSZ_E0_NS1_11comp_targetILNS1_3genE4ELNS1_11target_archE910ELNS1_3gpuE8ELNS1_3repE0EEENS1_38merge_mergepath_config_static_selectorELNS0_4arch9wavefront6targetE1EEEvSL_,comdat
.Lfunc_end1478:
	.size	_ZN7rocprim17ROCPRIM_400000_NS6detail17trampoline_kernelINS0_14default_configENS1_38merge_sort_block_merge_config_selectorIxNS0_10empty_typeEEEZZNS1_27merge_sort_block_merge_implIS3_N6thrust23THRUST_200600_302600_NS6detail15normal_iteratorINS9_10device_ptrIxEEEEPS5_jNS1_19radix_merge_compareILb0ELb1ExNS0_19identity_decomposerEEEEE10hipError_tT0_T1_T2_jT3_P12ihipStream_tbPNSt15iterator_traitsISK_E10value_typeEPNSQ_ISL_E10value_typeEPSM_NS1_7vsmem_tEENKUlT_SK_SL_SM_E_clIPxSE_SF_SF_EESJ_SZ_SK_SL_SM_EUlSZ_E0_NS1_11comp_targetILNS1_3genE4ELNS1_11target_archE910ELNS1_3gpuE8ELNS1_3repE0EEENS1_38merge_mergepath_config_static_selectorELNS0_4arch9wavefront6targetE1EEEvSL_, .Lfunc_end1478-_ZN7rocprim17ROCPRIM_400000_NS6detail17trampoline_kernelINS0_14default_configENS1_38merge_sort_block_merge_config_selectorIxNS0_10empty_typeEEEZZNS1_27merge_sort_block_merge_implIS3_N6thrust23THRUST_200600_302600_NS6detail15normal_iteratorINS9_10device_ptrIxEEEEPS5_jNS1_19radix_merge_compareILb0ELb1ExNS0_19identity_decomposerEEEEE10hipError_tT0_T1_T2_jT3_P12ihipStream_tbPNSt15iterator_traitsISK_E10value_typeEPNSQ_ISL_E10value_typeEPSM_NS1_7vsmem_tEENKUlT_SK_SL_SM_E_clIPxSE_SF_SF_EESJ_SZ_SK_SL_SM_EUlSZ_E0_NS1_11comp_targetILNS1_3genE4ELNS1_11target_archE910ELNS1_3gpuE8ELNS1_3repE0EEENS1_38merge_mergepath_config_static_selectorELNS0_4arch9wavefront6targetE1EEEvSL_
                                        ; -- End function
	.section	.AMDGPU.csdata,"",@progbits
; Kernel info:
; codeLenInByte = 2284
; NumSgprs: 30
; NumVgprs: 23
; NumAgprs: 0
; TotalNumVgprs: 23
; ScratchSize: 0
; MemoryBound: 0
; FloatMode: 240
; IeeeMode: 1
; LDSByteSize: 8448 bytes/workgroup (compile time only)
; SGPRBlocks: 3
; VGPRBlocks: 2
; NumSGPRsForWavesPerEU: 30
; NumVGPRsForWavesPerEU: 23
; AccumOffset: 24
; Occupancy: 7
; WaveLimiterHint : 1
; COMPUTE_PGM_RSRC2:SCRATCH_EN: 0
; COMPUTE_PGM_RSRC2:USER_SGPR: 6
; COMPUTE_PGM_RSRC2:TRAP_HANDLER: 0
; COMPUTE_PGM_RSRC2:TGID_X_EN: 1
; COMPUTE_PGM_RSRC2:TGID_Y_EN: 1
; COMPUTE_PGM_RSRC2:TGID_Z_EN: 1
; COMPUTE_PGM_RSRC2:TIDIG_COMP_CNT: 0
; COMPUTE_PGM_RSRC3_GFX90A:ACCUM_OFFSET: 5
; COMPUTE_PGM_RSRC3_GFX90A:TG_SPLIT: 0
	.section	.text._ZN7rocprim17ROCPRIM_400000_NS6detail17trampoline_kernelINS0_14default_configENS1_38merge_sort_block_merge_config_selectorIxNS0_10empty_typeEEEZZNS1_27merge_sort_block_merge_implIS3_N6thrust23THRUST_200600_302600_NS6detail15normal_iteratorINS9_10device_ptrIxEEEEPS5_jNS1_19radix_merge_compareILb0ELb1ExNS0_19identity_decomposerEEEEE10hipError_tT0_T1_T2_jT3_P12ihipStream_tbPNSt15iterator_traitsISK_E10value_typeEPNSQ_ISL_E10value_typeEPSM_NS1_7vsmem_tEENKUlT_SK_SL_SM_E_clIPxSE_SF_SF_EESJ_SZ_SK_SL_SM_EUlSZ_E0_NS1_11comp_targetILNS1_3genE3ELNS1_11target_archE908ELNS1_3gpuE7ELNS1_3repE0EEENS1_38merge_mergepath_config_static_selectorELNS0_4arch9wavefront6targetE1EEEvSL_,"axG",@progbits,_ZN7rocprim17ROCPRIM_400000_NS6detail17trampoline_kernelINS0_14default_configENS1_38merge_sort_block_merge_config_selectorIxNS0_10empty_typeEEEZZNS1_27merge_sort_block_merge_implIS3_N6thrust23THRUST_200600_302600_NS6detail15normal_iteratorINS9_10device_ptrIxEEEEPS5_jNS1_19radix_merge_compareILb0ELb1ExNS0_19identity_decomposerEEEEE10hipError_tT0_T1_T2_jT3_P12ihipStream_tbPNSt15iterator_traitsISK_E10value_typeEPNSQ_ISL_E10value_typeEPSM_NS1_7vsmem_tEENKUlT_SK_SL_SM_E_clIPxSE_SF_SF_EESJ_SZ_SK_SL_SM_EUlSZ_E0_NS1_11comp_targetILNS1_3genE3ELNS1_11target_archE908ELNS1_3gpuE7ELNS1_3repE0EEENS1_38merge_mergepath_config_static_selectorELNS0_4arch9wavefront6targetE1EEEvSL_,comdat
	.protected	_ZN7rocprim17ROCPRIM_400000_NS6detail17trampoline_kernelINS0_14default_configENS1_38merge_sort_block_merge_config_selectorIxNS0_10empty_typeEEEZZNS1_27merge_sort_block_merge_implIS3_N6thrust23THRUST_200600_302600_NS6detail15normal_iteratorINS9_10device_ptrIxEEEEPS5_jNS1_19radix_merge_compareILb0ELb1ExNS0_19identity_decomposerEEEEE10hipError_tT0_T1_T2_jT3_P12ihipStream_tbPNSt15iterator_traitsISK_E10value_typeEPNSQ_ISL_E10value_typeEPSM_NS1_7vsmem_tEENKUlT_SK_SL_SM_E_clIPxSE_SF_SF_EESJ_SZ_SK_SL_SM_EUlSZ_E0_NS1_11comp_targetILNS1_3genE3ELNS1_11target_archE908ELNS1_3gpuE7ELNS1_3repE0EEENS1_38merge_mergepath_config_static_selectorELNS0_4arch9wavefront6targetE1EEEvSL_ ; -- Begin function _ZN7rocprim17ROCPRIM_400000_NS6detail17trampoline_kernelINS0_14default_configENS1_38merge_sort_block_merge_config_selectorIxNS0_10empty_typeEEEZZNS1_27merge_sort_block_merge_implIS3_N6thrust23THRUST_200600_302600_NS6detail15normal_iteratorINS9_10device_ptrIxEEEEPS5_jNS1_19radix_merge_compareILb0ELb1ExNS0_19identity_decomposerEEEEE10hipError_tT0_T1_T2_jT3_P12ihipStream_tbPNSt15iterator_traitsISK_E10value_typeEPNSQ_ISL_E10value_typeEPSM_NS1_7vsmem_tEENKUlT_SK_SL_SM_E_clIPxSE_SF_SF_EESJ_SZ_SK_SL_SM_EUlSZ_E0_NS1_11comp_targetILNS1_3genE3ELNS1_11target_archE908ELNS1_3gpuE7ELNS1_3repE0EEENS1_38merge_mergepath_config_static_selectorELNS0_4arch9wavefront6targetE1EEEvSL_
	.globl	_ZN7rocprim17ROCPRIM_400000_NS6detail17trampoline_kernelINS0_14default_configENS1_38merge_sort_block_merge_config_selectorIxNS0_10empty_typeEEEZZNS1_27merge_sort_block_merge_implIS3_N6thrust23THRUST_200600_302600_NS6detail15normal_iteratorINS9_10device_ptrIxEEEEPS5_jNS1_19radix_merge_compareILb0ELb1ExNS0_19identity_decomposerEEEEE10hipError_tT0_T1_T2_jT3_P12ihipStream_tbPNSt15iterator_traitsISK_E10value_typeEPNSQ_ISL_E10value_typeEPSM_NS1_7vsmem_tEENKUlT_SK_SL_SM_E_clIPxSE_SF_SF_EESJ_SZ_SK_SL_SM_EUlSZ_E0_NS1_11comp_targetILNS1_3genE3ELNS1_11target_archE908ELNS1_3gpuE7ELNS1_3repE0EEENS1_38merge_mergepath_config_static_selectorELNS0_4arch9wavefront6targetE1EEEvSL_
	.p2align	8
	.type	_ZN7rocprim17ROCPRIM_400000_NS6detail17trampoline_kernelINS0_14default_configENS1_38merge_sort_block_merge_config_selectorIxNS0_10empty_typeEEEZZNS1_27merge_sort_block_merge_implIS3_N6thrust23THRUST_200600_302600_NS6detail15normal_iteratorINS9_10device_ptrIxEEEEPS5_jNS1_19radix_merge_compareILb0ELb1ExNS0_19identity_decomposerEEEEE10hipError_tT0_T1_T2_jT3_P12ihipStream_tbPNSt15iterator_traitsISK_E10value_typeEPNSQ_ISL_E10value_typeEPSM_NS1_7vsmem_tEENKUlT_SK_SL_SM_E_clIPxSE_SF_SF_EESJ_SZ_SK_SL_SM_EUlSZ_E0_NS1_11comp_targetILNS1_3genE3ELNS1_11target_archE908ELNS1_3gpuE7ELNS1_3repE0EEENS1_38merge_mergepath_config_static_selectorELNS0_4arch9wavefront6targetE1EEEvSL_,@function
_ZN7rocprim17ROCPRIM_400000_NS6detail17trampoline_kernelINS0_14default_configENS1_38merge_sort_block_merge_config_selectorIxNS0_10empty_typeEEEZZNS1_27merge_sort_block_merge_implIS3_N6thrust23THRUST_200600_302600_NS6detail15normal_iteratorINS9_10device_ptrIxEEEEPS5_jNS1_19radix_merge_compareILb0ELb1ExNS0_19identity_decomposerEEEEE10hipError_tT0_T1_T2_jT3_P12ihipStream_tbPNSt15iterator_traitsISK_E10value_typeEPNSQ_ISL_E10value_typeEPSM_NS1_7vsmem_tEENKUlT_SK_SL_SM_E_clIPxSE_SF_SF_EESJ_SZ_SK_SL_SM_EUlSZ_E0_NS1_11comp_targetILNS1_3genE3ELNS1_11target_archE908ELNS1_3gpuE7ELNS1_3repE0EEENS1_38merge_mergepath_config_static_selectorELNS0_4arch9wavefront6targetE1EEEvSL_: ; @_ZN7rocprim17ROCPRIM_400000_NS6detail17trampoline_kernelINS0_14default_configENS1_38merge_sort_block_merge_config_selectorIxNS0_10empty_typeEEEZZNS1_27merge_sort_block_merge_implIS3_N6thrust23THRUST_200600_302600_NS6detail15normal_iteratorINS9_10device_ptrIxEEEEPS5_jNS1_19radix_merge_compareILb0ELb1ExNS0_19identity_decomposerEEEEE10hipError_tT0_T1_T2_jT3_P12ihipStream_tbPNSt15iterator_traitsISK_E10value_typeEPNSQ_ISL_E10value_typeEPSM_NS1_7vsmem_tEENKUlT_SK_SL_SM_E_clIPxSE_SF_SF_EESJ_SZ_SK_SL_SM_EUlSZ_E0_NS1_11comp_targetILNS1_3genE3ELNS1_11target_archE908ELNS1_3gpuE7ELNS1_3repE0EEENS1_38merge_mergepath_config_static_selectorELNS0_4arch9wavefront6targetE1EEEvSL_
; %bb.0:
	.section	.rodata,"a",@progbits
	.p2align	6, 0x0
	.amdhsa_kernel _ZN7rocprim17ROCPRIM_400000_NS6detail17trampoline_kernelINS0_14default_configENS1_38merge_sort_block_merge_config_selectorIxNS0_10empty_typeEEEZZNS1_27merge_sort_block_merge_implIS3_N6thrust23THRUST_200600_302600_NS6detail15normal_iteratorINS9_10device_ptrIxEEEEPS5_jNS1_19radix_merge_compareILb0ELb1ExNS0_19identity_decomposerEEEEE10hipError_tT0_T1_T2_jT3_P12ihipStream_tbPNSt15iterator_traitsISK_E10value_typeEPNSQ_ISL_E10value_typeEPSM_NS1_7vsmem_tEENKUlT_SK_SL_SM_E_clIPxSE_SF_SF_EESJ_SZ_SK_SL_SM_EUlSZ_E0_NS1_11comp_targetILNS1_3genE3ELNS1_11target_archE908ELNS1_3gpuE7ELNS1_3repE0EEENS1_38merge_mergepath_config_static_selectorELNS0_4arch9wavefront6targetE1EEEvSL_
		.amdhsa_group_segment_fixed_size 0
		.amdhsa_private_segment_fixed_size 0
		.amdhsa_kernarg_size 72
		.amdhsa_user_sgpr_count 6
		.amdhsa_user_sgpr_private_segment_buffer 1
		.amdhsa_user_sgpr_dispatch_ptr 0
		.amdhsa_user_sgpr_queue_ptr 0
		.amdhsa_user_sgpr_kernarg_segment_ptr 1
		.amdhsa_user_sgpr_dispatch_id 0
		.amdhsa_user_sgpr_flat_scratch_init 0
		.amdhsa_user_sgpr_kernarg_preload_length 0
		.amdhsa_user_sgpr_kernarg_preload_offset 0
		.amdhsa_user_sgpr_private_segment_size 0
		.amdhsa_uses_dynamic_stack 0
		.amdhsa_system_sgpr_private_segment_wavefront_offset 0
		.amdhsa_system_sgpr_workgroup_id_x 1
		.amdhsa_system_sgpr_workgroup_id_y 0
		.amdhsa_system_sgpr_workgroup_id_z 0
		.amdhsa_system_sgpr_workgroup_info 0
		.amdhsa_system_vgpr_workitem_id 0
		.amdhsa_next_free_vgpr 1
		.amdhsa_next_free_sgpr 0
		.amdhsa_accum_offset 4
		.amdhsa_reserve_vcc 0
		.amdhsa_reserve_flat_scratch 0
		.amdhsa_float_round_mode_32 0
		.amdhsa_float_round_mode_16_64 0
		.amdhsa_float_denorm_mode_32 3
		.amdhsa_float_denorm_mode_16_64 3
		.amdhsa_dx10_clamp 1
		.amdhsa_ieee_mode 1
		.amdhsa_fp16_overflow 0
		.amdhsa_tg_split 0
		.amdhsa_exception_fp_ieee_invalid_op 0
		.amdhsa_exception_fp_denorm_src 0
		.amdhsa_exception_fp_ieee_div_zero 0
		.amdhsa_exception_fp_ieee_overflow 0
		.amdhsa_exception_fp_ieee_underflow 0
		.amdhsa_exception_fp_ieee_inexact 0
		.amdhsa_exception_int_div_zero 0
	.end_amdhsa_kernel
	.section	.text._ZN7rocprim17ROCPRIM_400000_NS6detail17trampoline_kernelINS0_14default_configENS1_38merge_sort_block_merge_config_selectorIxNS0_10empty_typeEEEZZNS1_27merge_sort_block_merge_implIS3_N6thrust23THRUST_200600_302600_NS6detail15normal_iteratorINS9_10device_ptrIxEEEEPS5_jNS1_19radix_merge_compareILb0ELb1ExNS0_19identity_decomposerEEEEE10hipError_tT0_T1_T2_jT3_P12ihipStream_tbPNSt15iterator_traitsISK_E10value_typeEPNSQ_ISL_E10value_typeEPSM_NS1_7vsmem_tEENKUlT_SK_SL_SM_E_clIPxSE_SF_SF_EESJ_SZ_SK_SL_SM_EUlSZ_E0_NS1_11comp_targetILNS1_3genE3ELNS1_11target_archE908ELNS1_3gpuE7ELNS1_3repE0EEENS1_38merge_mergepath_config_static_selectorELNS0_4arch9wavefront6targetE1EEEvSL_,"axG",@progbits,_ZN7rocprim17ROCPRIM_400000_NS6detail17trampoline_kernelINS0_14default_configENS1_38merge_sort_block_merge_config_selectorIxNS0_10empty_typeEEEZZNS1_27merge_sort_block_merge_implIS3_N6thrust23THRUST_200600_302600_NS6detail15normal_iteratorINS9_10device_ptrIxEEEEPS5_jNS1_19radix_merge_compareILb0ELb1ExNS0_19identity_decomposerEEEEE10hipError_tT0_T1_T2_jT3_P12ihipStream_tbPNSt15iterator_traitsISK_E10value_typeEPNSQ_ISL_E10value_typeEPSM_NS1_7vsmem_tEENKUlT_SK_SL_SM_E_clIPxSE_SF_SF_EESJ_SZ_SK_SL_SM_EUlSZ_E0_NS1_11comp_targetILNS1_3genE3ELNS1_11target_archE908ELNS1_3gpuE7ELNS1_3repE0EEENS1_38merge_mergepath_config_static_selectorELNS0_4arch9wavefront6targetE1EEEvSL_,comdat
.Lfunc_end1479:
	.size	_ZN7rocprim17ROCPRIM_400000_NS6detail17trampoline_kernelINS0_14default_configENS1_38merge_sort_block_merge_config_selectorIxNS0_10empty_typeEEEZZNS1_27merge_sort_block_merge_implIS3_N6thrust23THRUST_200600_302600_NS6detail15normal_iteratorINS9_10device_ptrIxEEEEPS5_jNS1_19radix_merge_compareILb0ELb1ExNS0_19identity_decomposerEEEEE10hipError_tT0_T1_T2_jT3_P12ihipStream_tbPNSt15iterator_traitsISK_E10value_typeEPNSQ_ISL_E10value_typeEPSM_NS1_7vsmem_tEENKUlT_SK_SL_SM_E_clIPxSE_SF_SF_EESJ_SZ_SK_SL_SM_EUlSZ_E0_NS1_11comp_targetILNS1_3genE3ELNS1_11target_archE908ELNS1_3gpuE7ELNS1_3repE0EEENS1_38merge_mergepath_config_static_selectorELNS0_4arch9wavefront6targetE1EEEvSL_, .Lfunc_end1479-_ZN7rocprim17ROCPRIM_400000_NS6detail17trampoline_kernelINS0_14default_configENS1_38merge_sort_block_merge_config_selectorIxNS0_10empty_typeEEEZZNS1_27merge_sort_block_merge_implIS3_N6thrust23THRUST_200600_302600_NS6detail15normal_iteratorINS9_10device_ptrIxEEEEPS5_jNS1_19radix_merge_compareILb0ELb1ExNS0_19identity_decomposerEEEEE10hipError_tT0_T1_T2_jT3_P12ihipStream_tbPNSt15iterator_traitsISK_E10value_typeEPNSQ_ISL_E10value_typeEPSM_NS1_7vsmem_tEENKUlT_SK_SL_SM_E_clIPxSE_SF_SF_EESJ_SZ_SK_SL_SM_EUlSZ_E0_NS1_11comp_targetILNS1_3genE3ELNS1_11target_archE908ELNS1_3gpuE7ELNS1_3repE0EEENS1_38merge_mergepath_config_static_selectorELNS0_4arch9wavefront6targetE1EEEvSL_
                                        ; -- End function
	.section	.AMDGPU.csdata,"",@progbits
; Kernel info:
; codeLenInByte = 0
; NumSgprs: 4
; NumVgprs: 0
; NumAgprs: 0
; TotalNumVgprs: 0
; ScratchSize: 0
; MemoryBound: 0
; FloatMode: 240
; IeeeMode: 1
; LDSByteSize: 0 bytes/workgroup (compile time only)
; SGPRBlocks: 0
; VGPRBlocks: 0
; NumSGPRsForWavesPerEU: 4
; NumVGPRsForWavesPerEU: 1
; AccumOffset: 4
; Occupancy: 8
; WaveLimiterHint : 0
; COMPUTE_PGM_RSRC2:SCRATCH_EN: 0
; COMPUTE_PGM_RSRC2:USER_SGPR: 6
; COMPUTE_PGM_RSRC2:TRAP_HANDLER: 0
; COMPUTE_PGM_RSRC2:TGID_X_EN: 1
; COMPUTE_PGM_RSRC2:TGID_Y_EN: 0
; COMPUTE_PGM_RSRC2:TGID_Z_EN: 0
; COMPUTE_PGM_RSRC2:TIDIG_COMP_CNT: 0
; COMPUTE_PGM_RSRC3_GFX90A:ACCUM_OFFSET: 0
; COMPUTE_PGM_RSRC3_GFX90A:TG_SPLIT: 0
	.section	.text._ZN7rocprim17ROCPRIM_400000_NS6detail17trampoline_kernelINS0_14default_configENS1_38merge_sort_block_merge_config_selectorIxNS0_10empty_typeEEEZZNS1_27merge_sort_block_merge_implIS3_N6thrust23THRUST_200600_302600_NS6detail15normal_iteratorINS9_10device_ptrIxEEEEPS5_jNS1_19radix_merge_compareILb0ELb1ExNS0_19identity_decomposerEEEEE10hipError_tT0_T1_T2_jT3_P12ihipStream_tbPNSt15iterator_traitsISK_E10value_typeEPNSQ_ISL_E10value_typeEPSM_NS1_7vsmem_tEENKUlT_SK_SL_SM_E_clIPxSE_SF_SF_EESJ_SZ_SK_SL_SM_EUlSZ_E0_NS1_11comp_targetILNS1_3genE2ELNS1_11target_archE906ELNS1_3gpuE6ELNS1_3repE0EEENS1_38merge_mergepath_config_static_selectorELNS0_4arch9wavefront6targetE1EEEvSL_,"axG",@progbits,_ZN7rocprim17ROCPRIM_400000_NS6detail17trampoline_kernelINS0_14default_configENS1_38merge_sort_block_merge_config_selectorIxNS0_10empty_typeEEEZZNS1_27merge_sort_block_merge_implIS3_N6thrust23THRUST_200600_302600_NS6detail15normal_iteratorINS9_10device_ptrIxEEEEPS5_jNS1_19radix_merge_compareILb0ELb1ExNS0_19identity_decomposerEEEEE10hipError_tT0_T1_T2_jT3_P12ihipStream_tbPNSt15iterator_traitsISK_E10value_typeEPNSQ_ISL_E10value_typeEPSM_NS1_7vsmem_tEENKUlT_SK_SL_SM_E_clIPxSE_SF_SF_EESJ_SZ_SK_SL_SM_EUlSZ_E0_NS1_11comp_targetILNS1_3genE2ELNS1_11target_archE906ELNS1_3gpuE6ELNS1_3repE0EEENS1_38merge_mergepath_config_static_selectorELNS0_4arch9wavefront6targetE1EEEvSL_,comdat
	.protected	_ZN7rocprim17ROCPRIM_400000_NS6detail17trampoline_kernelINS0_14default_configENS1_38merge_sort_block_merge_config_selectorIxNS0_10empty_typeEEEZZNS1_27merge_sort_block_merge_implIS3_N6thrust23THRUST_200600_302600_NS6detail15normal_iteratorINS9_10device_ptrIxEEEEPS5_jNS1_19radix_merge_compareILb0ELb1ExNS0_19identity_decomposerEEEEE10hipError_tT0_T1_T2_jT3_P12ihipStream_tbPNSt15iterator_traitsISK_E10value_typeEPNSQ_ISL_E10value_typeEPSM_NS1_7vsmem_tEENKUlT_SK_SL_SM_E_clIPxSE_SF_SF_EESJ_SZ_SK_SL_SM_EUlSZ_E0_NS1_11comp_targetILNS1_3genE2ELNS1_11target_archE906ELNS1_3gpuE6ELNS1_3repE0EEENS1_38merge_mergepath_config_static_selectorELNS0_4arch9wavefront6targetE1EEEvSL_ ; -- Begin function _ZN7rocprim17ROCPRIM_400000_NS6detail17trampoline_kernelINS0_14default_configENS1_38merge_sort_block_merge_config_selectorIxNS0_10empty_typeEEEZZNS1_27merge_sort_block_merge_implIS3_N6thrust23THRUST_200600_302600_NS6detail15normal_iteratorINS9_10device_ptrIxEEEEPS5_jNS1_19radix_merge_compareILb0ELb1ExNS0_19identity_decomposerEEEEE10hipError_tT0_T1_T2_jT3_P12ihipStream_tbPNSt15iterator_traitsISK_E10value_typeEPNSQ_ISL_E10value_typeEPSM_NS1_7vsmem_tEENKUlT_SK_SL_SM_E_clIPxSE_SF_SF_EESJ_SZ_SK_SL_SM_EUlSZ_E0_NS1_11comp_targetILNS1_3genE2ELNS1_11target_archE906ELNS1_3gpuE6ELNS1_3repE0EEENS1_38merge_mergepath_config_static_selectorELNS0_4arch9wavefront6targetE1EEEvSL_
	.globl	_ZN7rocprim17ROCPRIM_400000_NS6detail17trampoline_kernelINS0_14default_configENS1_38merge_sort_block_merge_config_selectorIxNS0_10empty_typeEEEZZNS1_27merge_sort_block_merge_implIS3_N6thrust23THRUST_200600_302600_NS6detail15normal_iteratorINS9_10device_ptrIxEEEEPS5_jNS1_19radix_merge_compareILb0ELb1ExNS0_19identity_decomposerEEEEE10hipError_tT0_T1_T2_jT3_P12ihipStream_tbPNSt15iterator_traitsISK_E10value_typeEPNSQ_ISL_E10value_typeEPSM_NS1_7vsmem_tEENKUlT_SK_SL_SM_E_clIPxSE_SF_SF_EESJ_SZ_SK_SL_SM_EUlSZ_E0_NS1_11comp_targetILNS1_3genE2ELNS1_11target_archE906ELNS1_3gpuE6ELNS1_3repE0EEENS1_38merge_mergepath_config_static_selectorELNS0_4arch9wavefront6targetE1EEEvSL_
	.p2align	8
	.type	_ZN7rocprim17ROCPRIM_400000_NS6detail17trampoline_kernelINS0_14default_configENS1_38merge_sort_block_merge_config_selectorIxNS0_10empty_typeEEEZZNS1_27merge_sort_block_merge_implIS3_N6thrust23THRUST_200600_302600_NS6detail15normal_iteratorINS9_10device_ptrIxEEEEPS5_jNS1_19radix_merge_compareILb0ELb1ExNS0_19identity_decomposerEEEEE10hipError_tT0_T1_T2_jT3_P12ihipStream_tbPNSt15iterator_traitsISK_E10value_typeEPNSQ_ISL_E10value_typeEPSM_NS1_7vsmem_tEENKUlT_SK_SL_SM_E_clIPxSE_SF_SF_EESJ_SZ_SK_SL_SM_EUlSZ_E0_NS1_11comp_targetILNS1_3genE2ELNS1_11target_archE906ELNS1_3gpuE6ELNS1_3repE0EEENS1_38merge_mergepath_config_static_selectorELNS0_4arch9wavefront6targetE1EEEvSL_,@function
_ZN7rocprim17ROCPRIM_400000_NS6detail17trampoline_kernelINS0_14default_configENS1_38merge_sort_block_merge_config_selectorIxNS0_10empty_typeEEEZZNS1_27merge_sort_block_merge_implIS3_N6thrust23THRUST_200600_302600_NS6detail15normal_iteratorINS9_10device_ptrIxEEEEPS5_jNS1_19radix_merge_compareILb0ELb1ExNS0_19identity_decomposerEEEEE10hipError_tT0_T1_T2_jT3_P12ihipStream_tbPNSt15iterator_traitsISK_E10value_typeEPNSQ_ISL_E10value_typeEPSM_NS1_7vsmem_tEENKUlT_SK_SL_SM_E_clIPxSE_SF_SF_EESJ_SZ_SK_SL_SM_EUlSZ_E0_NS1_11comp_targetILNS1_3genE2ELNS1_11target_archE906ELNS1_3gpuE6ELNS1_3repE0EEENS1_38merge_mergepath_config_static_selectorELNS0_4arch9wavefront6targetE1EEEvSL_: ; @_ZN7rocprim17ROCPRIM_400000_NS6detail17trampoline_kernelINS0_14default_configENS1_38merge_sort_block_merge_config_selectorIxNS0_10empty_typeEEEZZNS1_27merge_sort_block_merge_implIS3_N6thrust23THRUST_200600_302600_NS6detail15normal_iteratorINS9_10device_ptrIxEEEEPS5_jNS1_19radix_merge_compareILb0ELb1ExNS0_19identity_decomposerEEEEE10hipError_tT0_T1_T2_jT3_P12ihipStream_tbPNSt15iterator_traitsISK_E10value_typeEPNSQ_ISL_E10value_typeEPSM_NS1_7vsmem_tEENKUlT_SK_SL_SM_E_clIPxSE_SF_SF_EESJ_SZ_SK_SL_SM_EUlSZ_E0_NS1_11comp_targetILNS1_3genE2ELNS1_11target_archE906ELNS1_3gpuE6ELNS1_3repE0EEENS1_38merge_mergepath_config_static_selectorELNS0_4arch9wavefront6targetE1EEEvSL_
; %bb.0:
	.section	.rodata,"a",@progbits
	.p2align	6, 0x0
	.amdhsa_kernel _ZN7rocprim17ROCPRIM_400000_NS6detail17trampoline_kernelINS0_14default_configENS1_38merge_sort_block_merge_config_selectorIxNS0_10empty_typeEEEZZNS1_27merge_sort_block_merge_implIS3_N6thrust23THRUST_200600_302600_NS6detail15normal_iteratorINS9_10device_ptrIxEEEEPS5_jNS1_19radix_merge_compareILb0ELb1ExNS0_19identity_decomposerEEEEE10hipError_tT0_T1_T2_jT3_P12ihipStream_tbPNSt15iterator_traitsISK_E10value_typeEPNSQ_ISL_E10value_typeEPSM_NS1_7vsmem_tEENKUlT_SK_SL_SM_E_clIPxSE_SF_SF_EESJ_SZ_SK_SL_SM_EUlSZ_E0_NS1_11comp_targetILNS1_3genE2ELNS1_11target_archE906ELNS1_3gpuE6ELNS1_3repE0EEENS1_38merge_mergepath_config_static_selectorELNS0_4arch9wavefront6targetE1EEEvSL_
		.amdhsa_group_segment_fixed_size 0
		.amdhsa_private_segment_fixed_size 0
		.amdhsa_kernarg_size 72
		.amdhsa_user_sgpr_count 6
		.amdhsa_user_sgpr_private_segment_buffer 1
		.amdhsa_user_sgpr_dispatch_ptr 0
		.amdhsa_user_sgpr_queue_ptr 0
		.amdhsa_user_sgpr_kernarg_segment_ptr 1
		.amdhsa_user_sgpr_dispatch_id 0
		.amdhsa_user_sgpr_flat_scratch_init 0
		.amdhsa_user_sgpr_kernarg_preload_length 0
		.amdhsa_user_sgpr_kernarg_preload_offset 0
		.amdhsa_user_sgpr_private_segment_size 0
		.amdhsa_uses_dynamic_stack 0
		.amdhsa_system_sgpr_private_segment_wavefront_offset 0
		.amdhsa_system_sgpr_workgroup_id_x 1
		.amdhsa_system_sgpr_workgroup_id_y 0
		.amdhsa_system_sgpr_workgroup_id_z 0
		.amdhsa_system_sgpr_workgroup_info 0
		.amdhsa_system_vgpr_workitem_id 0
		.amdhsa_next_free_vgpr 1
		.amdhsa_next_free_sgpr 0
		.amdhsa_accum_offset 4
		.amdhsa_reserve_vcc 0
		.amdhsa_reserve_flat_scratch 0
		.amdhsa_float_round_mode_32 0
		.amdhsa_float_round_mode_16_64 0
		.amdhsa_float_denorm_mode_32 3
		.amdhsa_float_denorm_mode_16_64 3
		.amdhsa_dx10_clamp 1
		.amdhsa_ieee_mode 1
		.amdhsa_fp16_overflow 0
		.amdhsa_tg_split 0
		.amdhsa_exception_fp_ieee_invalid_op 0
		.amdhsa_exception_fp_denorm_src 0
		.amdhsa_exception_fp_ieee_div_zero 0
		.amdhsa_exception_fp_ieee_overflow 0
		.amdhsa_exception_fp_ieee_underflow 0
		.amdhsa_exception_fp_ieee_inexact 0
		.amdhsa_exception_int_div_zero 0
	.end_amdhsa_kernel
	.section	.text._ZN7rocprim17ROCPRIM_400000_NS6detail17trampoline_kernelINS0_14default_configENS1_38merge_sort_block_merge_config_selectorIxNS0_10empty_typeEEEZZNS1_27merge_sort_block_merge_implIS3_N6thrust23THRUST_200600_302600_NS6detail15normal_iteratorINS9_10device_ptrIxEEEEPS5_jNS1_19radix_merge_compareILb0ELb1ExNS0_19identity_decomposerEEEEE10hipError_tT0_T1_T2_jT3_P12ihipStream_tbPNSt15iterator_traitsISK_E10value_typeEPNSQ_ISL_E10value_typeEPSM_NS1_7vsmem_tEENKUlT_SK_SL_SM_E_clIPxSE_SF_SF_EESJ_SZ_SK_SL_SM_EUlSZ_E0_NS1_11comp_targetILNS1_3genE2ELNS1_11target_archE906ELNS1_3gpuE6ELNS1_3repE0EEENS1_38merge_mergepath_config_static_selectorELNS0_4arch9wavefront6targetE1EEEvSL_,"axG",@progbits,_ZN7rocprim17ROCPRIM_400000_NS6detail17trampoline_kernelINS0_14default_configENS1_38merge_sort_block_merge_config_selectorIxNS0_10empty_typeEEEZZNS1_27merge_sort_block_merge_implIS3_N6thrust23THRUST_200600_302600_NS6detail15normal_iteratorINS9_10device_ptrIxEEEEPS5_jNS1_19radix_merge_compareILb0ELb1ExNS0_19identity_decomposerEEEEE10hipError_tT0_T1_T2_jT3_P12ihipStream_tbPNSt15iterator_traitsISK_E10value_typeEPNSQ_ISL_E10value_typeEPSM_NS1_7vsmem_tEENKUlT_SK_SL_SM_E_clIPxSE_SF_SF_EESJ_SZ_SK_SL_SM_EUlSZ_E0_NS1_11comp_targetILNS1_3genE2ELNS1_11target_archE906ELNS1_3gpuE6ELNS1_3repE0EEENS1_38merge_mergepath_config_static_selectorELNS0_4arch9wavefront6targetE1EEEvSL_,comdat
.Lfunc_end1480:
	.size	_ZN7rocprim17ROCPRIM_400000_NS6detail17trampoline_kernelINS0_14default_configENS1_38merge_sort_block_merge_config_selectorIxNS0_10empty_typeEEEZZNS1_27merge_sort_block_merge_implIS3_N6thrust23THRUST_200600_302600_NS6detail15normal_iteratorINS9_10device_ptrIxEEEEPS5_jNS1_19radix_merge_compareILb0ELb1ExNS0_19identity_decomposerEEEEE10hipError_tT0_T1_T2_jT3_P12ihipStream_tbPNSt15iterator_traitsISK_E10value_typeEPNSQ_ISL_E10value_typeEPSM_NS1_7vsmem_tEENKUlT_SK_SL_SM_E_clIPxSE_SF_SF_EESJ_SZ_SK_SL_SM_EUlSZ_E0_NS1_11comp_targetILNS1_3genE2ELNS1_11target_archE906ELNS1_3gpuE6ELNS1_3repE0EEENS1_38merge_mergepath_config_static_selectorELNS0_4arch9wavefront6targetE1EEEvSL_, .Lfunc_end1480-_ZN7rocprim17ROCPRIM_400000_NS6detail17trampoline_kernelINS0_14default_configENS1_38merge_sort_block_merge_config_selectorIxNS0_10empty_typeEEEZZNS1_27merge_sort_block_merge_implIS3_N6thrust23THRUST_200600_302600_NS6detail15normal_iteratorINS9_10device_ptrIxEEEEPS5_jNS1_19radix_merge_compareILb0ELb1ExNS0_19identity_decomposerEEEEE10hipError_tT0_T1_T2_jT3_P12ihipStream_tbPNSt15iterator_traitsISK_E10value_typeEPNSQ_ISL_E10value_typeEPSM_NS1_7vsmem_tEENKUlT_SK_SL_SM_E_clIPxSE_SF_SF_EESJ_SZ_SK_SL_SM_EUlSZ_E0_NS1_11comp_targetILNS1_3genE2ELNS1_11target_archE906ELNS1_3gpuE6ELNS1_3repE0EEENS1_38merge_mergepath_config_static_selectorELNS0_4arch9wavefront6targetE1EEEvSL_
                                        ; -- End function
	.section	.AMDGPU.csdata,"",@progbits
; Kernel info:
; codeLenInByte = 0
; NumSgprs: 4
; NumVgprs: 0
; NumAgprs: 0
; TotalNumVgprs: 0
; ScratchSize: 0
; MemoryBound: 0
; FloatMode: 240
; IeeeMode: 1
; LDSByteSize: 0 bytes/workgroup (compile time only)
; SGPRBlocks: 0
; VGPRBlocks: 0
; NumSGPRsForWavesPerEU: 4
; NumVGPRsForWavesPerEU: 1
; AccumOffset: 4
; Occupancy: 8
; WaveLimiterHint : 0
; COMPUTE_PGM_RSRC2:SCRATCH_EN: 0
; COMPUTE_PGM_RSRC2:USER_SGPR: 6
; COMPUTE_PGM_RSRC2:TRAP_HANDLER: 0
; COMPUTE_PGM_RSRC2:TGID_X_EN: 1
; COMPUTE_PGM_RSRC2:TGID_Y_EN: 0
; COMPUTE_PGM_RSRC2:TGID_Z_EN: 0
; COMPUTE_PGM_RSRC2:TIDIG_COMP_CNT: 0
; COMPUTE_PGM_RSRC3_GFX90A:ACCUM_OFFSET: 0
; COMPUTE_PGM_RSRC3_GFX90A:TG_SPLIT: 0
	.section	.text._ZN7rocprim17ROCPRIM_400000_NS6detail17trampoline_kernelINS0_14default_configENS1_38merge_sort_block_merge_config_selectorIxNS0_10empty_typeEEEZZNS1_27merge_sort_block_merge_implIS3_N6thrust23THRUST_200600_302600_NS6detail15normal_iteratorINS9_10device_ptrIxEEEEPS5_jNS1_19radix_merge_compareILb0ELb1ExNS0_19identity_decomposerEEEEE10hipError_tT0_T1_T2_jT3_P12ihipStream_tbPNSt15iterator_traitsISK_E10value_typeEPNSQ_ISL_E10value_typeEPSM_NS1_7vsmem_tEENKUlT_SK_SL_SM_E_clIPxSE_SF_SF_EESJ_SZ_SK_SL_SM_EUlSZ_E0_NS1_11comp_targetILNS1_3genE9ELNS1_11target_archE1100ELNS1_3gpuE3ELNS1_3repE0EEENS1_38merge_mergepath_config_static_selectorELNS0_4arch9wavefront6targetE1EEEvSL_,"axG",@progbits,_ZN7rocprim17ROCPRIM_400000_NS6detail17trampoline_kernelINS0_14default_configENS1_38merge_sort_block_merge_config_selectorIxNS0_10empty_typeEEEZZNS1_27merge_sort_block_merge_implIS3_N6thrust23THRUST_200600_302600_NS6detail15normal_iteratorINS9_10device_ptrIxEEEEPS5_jNS1_19radix_merge_compareILb0ELb1ExNS0_19identity_decomposerEEEEE10hipError_tT0_T1_T2_jT3_P12ihipStream_tbPNSt15iterator_traitsISK_E10value_typeEPNSQ_ISL_E10value_typeEPSM_NS1_7vsmem_tEENKUlT_SK_SL_SM_E_clIPxSE_SF_SF_EESJ_SZ_SK_SL_SM_EUlSZ_E0_NS1_11comp_targetILNS1_3genE9ELNS1_11target_archE1100ELNS1_3gpuE3ELNS1_3repE0EEENS1_38merge_mergepath_config_static_selectorELNS0_4arch9wavefront6targetE1EEEvSL_,comdat
	.protected	_ZN7rocprim17ROCPRIM_400000_NS6detail17trampoline_kernelINS0_14default_configENS1_38merge_sort_block_merge_config_selectorIxNS0_10empty_typeEEEZZNS1_27merge_sort_block_merge_implIS3_N6thrust23THRUST_200600_302600_NS6detail15normal_iteratorINS9_10device_ptrIxEEEEPS5_jNS1_19radix_merge_compareILb0ELb1ExNS0_19identity_decomposerEEEEE10hipError_tT0_T1_T2_jT3_P12ihipStream_tbPNSt15iterator_traitsISK_E10value_typeEPNSQ_ISL_E10value_typeEPSM_NS1_7vsmem_tEENKUlT_SK_SL_SM_E_clIPxSE_SF_SF_EESJ_SZ_SK_SL_SM_EUlSZ_E0_NS1_11comp_targetILNS1_3genE9ELNS1_11target_archE1100ELNS1_3gpuE3ELNS1_3repE0EEENS1_38merge_mergepath_config_static_selectorELNS0_4arch9wavefront6targetE1EEEvSL_ ; -- Begin function _ZN7rocprim17ROCPRIM_400000_NS6detail17trampoline_kernelINS0_14default_configENS1_38merge_sort_block_merge_config_selectorIxNS0_10empty_typeEEEZZNS1_27merge_sort_block_merge_implIS3_N6thrust23THRUST_200600_302600_NS6detail15normal_iteratorINS9_10device_ptrIxEEEEPS5_jNS1_19radix_merge_compareILb0ELb1ExNS0_19identity_decomposerEEEEE10hipError_tT0_T1_T2_jT3_P12ihipStream_tbPNSt15iterator_traitsISK_E10value_typeEPNSQ_ISL_E10value_typeEPSM_NS1_7vsmem_tEENKUlT_SK_SL_SM_E_clIPxSE_SF_SF_EESJ_SZ_SK_SL_SM_EUlSZ_E0_NS1_11comp_targetILNS1_3genE9ELNS1_11target_archE1100ELNS1_3gpuE3ELNS1_3repE0EEENS1_38merge_mergepath_config_static_selectorELNS0_4arch9wavefront6targetE1EEEvSL_
	.globl	_ZN7rocprim17ROCPRIM_400000_NS6detail17trampoline_kernelINS0_14default_configENS1_38merge_sort_block_merge_config_selectorIxNS0_10empty_typeEEEZZNS1_27merge_sort_block_merge_implIS3_N6thrust23THRUST_200600_302600_NS6detail15normal_iteratorINS9_10device_ptrIxEEEEPS5_jNS1_19radix_merge_compareILb0ELb1ExNS0_19identity_decomposerEEEEE10hipError_tT0_T1_T2_jT3_P12ihipStream_tbPNSt15iterator_traitsISK_E10value_typeEPNSQ_ISL_E10value_typeEPSM_NS1_7vsmem_tEENKUlT_SK_SL_SM_E_clIPxSE_SF_SF_EESJ_SZ_SK_SL_SM_EUlSZ_E0_NS1_11comp_targetILNS1_3genE9ELNS1_11target_archE1100ELNS1_3gpuE3ELNS1_3repE0EEENS1_38merge_mergepath_config_static_selectorELNS0_4arch9wavefront6targetE1EEEvSL_
	.p2align	8
	.type	_ZN7rocprim17ROCPRIM_400000_NS6detail17trampoline_kernelINS0_14default_configENS1_38merge_sort_block_merge_config_selectorIxNS0_10empty_typeEEEZZNS1_27merge_sort_block_merge_implIS3_N6thrust23THRUST_200600_302600_NS6detail15normal_iteratorINS9_10device_ptrIxEEEEPS5_jNS1_19radix_merge_compareILb0ELb1ExNS0_19identity_decomposerEEEEE10hipError_tT0_T1_T2_jT3_P12ihipStream_tbPNSt15iterator_traitsISK_E10value_typeEPNSQ_ISL_E10value_typeEPSM_NS1_7vsmem_tEENKUlT_SK_SL_SM_E_clIPxSE_SF_SF_EESJ_SZ_SK_SL_SM_EUlSZ_E0_NS1_11comp_targetILNS1_3genE9ELNS1_11target_archE1100ELNS1_3gpuE3ELNS1_3repE0EEENS1_38merge_mergepath_config_static_selectorELNS0_4arch9wavefront6targetE1EEEvSL_,@function
_ZN7rocprim17ROCPRIM_400000_NS6detail17trampoline_kernelINS0_14default_configENS1_38merge_sort_block_merge_config_selectorIxNS0_10empty_typeEEEZZNS1_27merge_sort_block_merge_implIS3_N6thrust23THRUST_200600_302600_NS6detail15normal_iteratorINS9_10device_ptrIxEEEEPS5_jNS1_19radix_merge_compareILb0ELb1ExNS0_19identity_decomposerEEEEE10hipError_tT0_T1_T2_jT3_P12ihipStream_tbPNSt15iterator_traitsISK_E10value_typeEPNSQ_ISL_E10value_typeEPSM_NS1_7vsmem_tEENKUlT_SK_SL_SM_E_clIPxSE_SF_SF_EESJ_SZ_SK_SL_SM_EUlSZ_E0_NS1_11comp_targetILNS1_3genE9ELNS1_11target_archE1100ELNS1_3gpuE3ELNS1_3repE0EEENS1_38merge_mergepath_config_static_selectorELNS0_4arch9wavefront6targetE1EEEvSL_: ; @_ZN7rocprim17ROCPRIM_400000_NS6detail17trampoline_kernelINS0_14default_configENS1_38merge_sort_block_merge_config_selectorIxNS0_10empty_typeEEEZZNS1_27merge_sort_block_merge_implIS3_N6thrust23THRUST_200600_302600_NS6detail15normal_iteratorINS9_10device_ptrIxEEEEPS5_jNS1_19radix_merge_compareILb0ELb1ExNS0_19identity_decomposerEEEEE10hipError_tT0_T1_T2_jT3_P12ihipStream_tbPNSt15iterator_traitsISK_E10value_typeEPNSQ_ISL_E10value_typeEPSM_NS1_7vsmem_tEENKUlT_SK_SL_SM_E_clIPxSE_SF_SF_EESJ_SZ_SK_SL_SM_EUlSZ_E0_NS1_11comp_targetILNS1_3genE9ELNS1_11target_archE1100ELNS1_3gpuE3ELNS1_3repE0EEENS1_38merge_mergepath_config_static_selectorELNS0_4arch9wavefront6targetE1EEEvSL_
; %bb.0:
	.section	.rodata,"a",@progbits
	.p2align	6, 0x0
	.amdhsa_kernel _ZN7rocprim17ROCPRIM_400000_NS6detail17trampoline_kernelINS0_14default_configENS1_38merge_sort_block_merge_config_selectorIxNS0_10empty_typeEEEZZNS1_27merge_sort_block_merge_implIS3_N6thrust23THRUST_200600_302600_NS6detail15normal_iteratorINS9_10device_ptrIxEEEEPS5_jNS1_19radix_merge_compareILb0ELb1ExNS0_19identity_decomposerEEEEE10hipError_tT0_T1_T2_jT3_P12ihipStream_tbPNSt15iterator_traitsISK_E10value_typeEPNSQ_ISL_E10value_typeEPSM_NS1_7vsmem_tEENKUlT_SK_SL_SM_E_clIPxSE_SF_SF_EESJ_SZ_SK_SL_SM_EUlSZ_E0_NS1_11comp_targetILNS1_3genE9ELNS1_11target_archE1100ELNS1_3gpuE3ELNS1_3repE0EEENS1_38merge_mergepath_config_static_selectorELNS0_4arch9wavefront6targetE1EEEvSL_
		.amdhsa_group_segment_fixed_size 0
		.amdhsa_private_segment_fixed_size 0
		.amdhsa_kernarg_size 72
		.amdhsa_user_sgpr_count 6
		.amdhsa_user_sgpr_private_segment_buffer 1
		.amdhsa_user_sgpr_dispatch_ptr 0
		.amdhsa_user_sgpr_queue_ptr 0
		.amdhsa_user_sgpr_kernarg_segment_ptr 1
		.amdhsa_user_sgpr_dispatch_id 0
		.amdhsa_user_sgpr_flat_scratch_init 0
		.amdhsa_user_sgpr_kernarg_preload_length 0
		.amdhsa_user_sgpr_kernarg_preload_offset 0
		.amdhsa_user_sgpr_private_segment_size 0
		.amdhsa_uses_dynamic_stack 0
		.amdhsa_system_sgpr_private_segment_wavefront_offset 0
		.amdhsa_system_sgpr_workgroup_id_x 1
		.amdhsa_system_sgpr_workgroup_id_y 0
		.amdhsa_system_sgpr_workgroup_id_z 0
		.amdhsa_system_sgpr_workgroup_info 0
		.amdhsa_system_vgpr_workitem_id 0
		.amdhsa_next_free_vgpr 1
		.amdhsa_next_free_sgpr 0
		.amdhsa_accum_offset 4
		.amdhsa_reserve_vcc 0
		.amdhsa_reserve_flat_scratch 0
		.amdhsa_float_round_mode_32 0
		.amdhsa_float_round_mode_16_64 0
		.amdhsa_float_denorm_mode_32 3
		.amdhsa_float_denorm_mode_16_64 3
		.amdhsa_dx10_clamp 1
		.amdhsa_ieee_mode 1
		.amdhsa_fp16_overflow 0
		.amdhsa_tg_split 0
		.amdhsa_exception_fp_ieee_invalid_op 0
		.amdhsa_exception_fp_denorm_src 0
		.amdhsa_exception_fp_ieee_div_zero 0
		.amdhsa_exception_fp_ieee_overflow 0
		.amdhsa_exception_fp_ieee_underflow 0
		.amdhsa_exception_fp_ieee_inexact 0
		.amdhsa_exception_int_div_zero 0
	.end_amdhsa_kernel
	.section	.text._ZN7rocprim17ROCPRIM_400000_NS6detail17trampoline_kernelINS0_14default_configENS1_38merge_sort_block_merge_config_selectorIxNS0_10empty_typeEEEZZNS1_27merge_sort_block_merge_implIS3_N6thrust23THRUST_200600_302600_NS6detail15normal_iteratorINS9_10device_ptrIxEEEEPS5_jNS1_19radix_merge_compareILb0ELb1ExNS0_19identity_decomposerEEEEE10hipError_tT0_T1_T2_jT3_P12ihipStream_tbPNSt15iterator_traitsISK_E10value_typeEPNSQ_ISL_E10value_typeEPSM_NS1_7vsmem_tEENKUlT_SK_SL_SM_E_clIPxSE_SF_SF_EESJ_SZ_SK_SL_SM_EUlSZ_E0_NS1_11comp_targetILNS1_3genE9ELNS1_11target_archE1100ELNS1_3gpuE3ELNS1_3repE0EEENS1_38merge_mergepath_config_static_selectorELNS0_4arch9wavefront6targetE1EEEvSL_,"axG",@progbits,_ZN7rocprim17ROCPRIM_400000_NS6detail17trampoline_kernelINS0_14default_configENS1_38merge_sort_block_merge_config_selectorIxNS0_10empty_typeEEEZZNS1_27merge_sort_block_merge_implIS3_N6thrust23THRUST_200600_302600_NS6detail15normal_iteratorINS9_10device_ptrIxEEEEPS5_jNS1_19radix_merge_compareILb0ELb1ExNS0_19identity_decomposerEEEEE10hipError_tT0_T1_T2_jT3_P12ihipStream_tbPNSt15iterator_traitsISK_E10value_typeEPNSQ_ISL_E10value_typeEPSM_NS1_7vsmem_tEENKUlT_SK_SL_SM_E_clIPxSE_SF_SF_EESJ_SZ_SK_SL_SM_EUlSZ_E0_NS1_11comp_targetILNS1_3genE9ELNS1_11target_archE1100ELNS1_3gpuE3ELNS1_3repE0EEENS1_38merge_mergepath_config_static_selectorELNS0_4arch9wavefront6targetE1EEEvSL_,comdat
.Lfunc_end1481:
	.size	_ZN7rocprim17ROCPRIM_400000_NS6detail17trampoline_kernelINS0_14default_configENS1_38merge_sort_block_merge_config_selectorIxNS0_10empty_typeEEEZZNS1_27merge_sort_block_merge_implIS3_N6thrust23THRUST_200600_302600_NS6detail15normal_iteratorINS9_10device_ptrIxEEEEPS5_jNS1_19radix_merge_compareILb0ELb1ExNS0_19identity_decomposerEEEEE10hipError_tT0_T1_T2_jT3_P12ihipStream_tbPNSt15iterator_traitsISK_E10value_typeEPNSQ_ISL_E10value_typeEPSM_NS1_7vsmem_tEENKUlT_SK_SL_SM_E_clIPxSE_SF_SF_EESJ_SZ_SK_SL_SM_EUlSZ_E0_NS1_11comp_targetILNS1_3genE9ELNS1_11target_archE1100ELNS1_3gpuE3ELNS1_3repE0EEENS1_38merge_mergepath_config_static_selectorELNS0_4arch9wavefront6targetE1EEEvSL_, .Lfunc_end1481-_ZN7rocprim17ROCPRIM_400000_NS6detail17trampoline_kernelINS0_14default_configENS1_38merge_sort_block_merge_config_selectorIxNS0_10empty_typeEEEZZNS1_27merge_sort_block_merge_implIS3_N6thrust23THRUST_200600_302600_NS6detail15normal_iteratorINS9_10device_ptrIxEEEEPS5_jNS1_19radix_merge_compareILb0ELb1ExNS0_19identity_decomposerEEEEE10hipError_tT0_T1_T2_jT3_P12ihipStream_tbPNSt15iterator_traitsISK_E10value_typeEPNSQ_ISL_E10value_typeEPSM_NS1_7vsmem_tEENKUlT_SK_SL_SM_E_clIPxSE_SF_SF_EESJ_SZ_SK_SL_SM_EUlSZ_E0_NS1_11comp_targetILNS1_3genE9ELNS1_11target_archE1100ELNS1_3gpuE3ELNS1_3repE0EEENS1_38merge_mergepath_config_static_selectorELNS0_4arch9wavefront6targetE1EEEvSL_
                                        ; -- End function
	.section	.AMDGPU.csdata,"",@progbits
; Kernel info:
; codeLenInByte = 0
; NumSgprs: 4
; NumVgprs: 0
; NumAgprs: 0
; TotalNumVgprs: 0
; ScratchSize: 0
; MemoryBound: 0
; FloatMode: 240
; IeeeMode: 1
; LDSByteSize: 0 bytes/workgroup (compile time only)
; SGPRBlocks: 0
; VGPRBlocks: 0
; NumSGPRsForWavesPerEU: 4
; NumVGPRsForWavesPerEU: 1
; AccumOffset: 4
; Occupancy: 8
; WaveLimiterHint : 0
; COMPUTE_PGM_RSRC2:SCRATCH_EN: 0
; COMPUTE_PGM_RSRC2:USER_SGPR: 6
; COMPUTE_PGM_RSRC2:TRAP_HANDLER: 0
; COMPUTE_PGM_RSRC2:TGID_X_EN: 1
; COMPUTE_PGM_RSRC2:TGID_Y_EN: 0
; COMPUTE_PGM_RSRC2:TGID_Z_EN: 0
; COMPUTE_PGM_RSRC2:TIDIG_COMP_CNT: 0
; COMPUTE_PGM_RSRC3_GFX90A:ACCUM_OFFSET: 0
; COMPUTE_PGM_RSRC3_GFX90A:TG_SPLIT: 0
	.section	.text._ZN7rocprim17ROCPRIM_400000_NS6detail17trampoline_kernelINS0_14default_configENS1_38merge_sort_block_merge_config_selectorIxNS0_10empty_typeEEEZZNS1_27merge_sort_block_merge_implIS3_N6thrust23THRUST_200600_302600_NS6detail15normal_iteratorINS9_10device_ptrIxEEEEPS5_jNS1_19radix_merge_compareILb0ELb1ExNS0_19identity_decomposerEEEEE10hipError_tT0_T1_T2_jT3_P12ihipStream_tbPNSt15iterator_traitsISK_E10value_typeEPNSQ_ISL_E10value_typeEPSM_NS1_7vsmem_tEENKUlT_SK_SL_SM_E_clIPxSE_SF_SF_EESJ_SZ_SK_SL_SM_EUlSZ_E0_NS1_11comp_targetILNS1_3genE8ELNS1_11target_archE1030ELNS1_3gpuE2ELNS1_3repE0EEENS1_38merge_mergepath_config_static_selectorELNS0_4arch9wavefront6targetE1EEEvSL_,"axG",@progbits,_ZN7rocprim17ROCPRIM_400000_NS6detail17trampoline_kernelINS0_14default_configENS1_38merge_sort_block_merge_config_selectorIxNS0_10empty_typeEEEZZNS1_27merge_sort_block_merge_implIS3_N6thrust23THRUST_200600_302600_NS6detail15normal_iteratorINS9_10device_ptrIxEEEEPS5_jNS1_19radix_merge_compareILb0ELb1ExNS0_19identity_decomposerEEEEE10hipError_tT0_T1_T2_jT3_P12ihipStream_tbPNSt15iterator_traitsISK_E10value_typeEPNSQ_ISL_E10value_typeEPSM_NS1_7vsmem_tEENKUlT_SK_SL_SM_E_clIPxSE_SF_SF_EESJ_SZ_SK_SL_SM_EUlSZ_E0_NS1_11comp_targetILNS1_3genE8ELNS1_11target_archE1030ELNS1_3gpuE2ELNS1_3repE0EEENS1_38merge_mergepath_config_static_selectorELNS0_4arch9wavefront6targetE1EEEvSL_,comdat
	.protected	_ZN7rocprim17ROCPRIM_400000_NS6detail17trampoline_kernelINS0_14default_configENS1_38merge_sort_block_merge_config_selectorIxNS0_10empty_typeEEEZZNS1_27merge_sort_block_merge_implIS3_N6thrust23THRUST_200600_302600_NS6detail15normal_iteratorINS9_10device_ptrIxEEEEPS5_jNS1_19radix_merge_compareILb0ELb1ExNS0_19identity_decomposerEEEEE10hipError_tT0_T1_T2_jT3_P12ihipStream_tbPNSt15iterator_traitsISK_E10value_typeEPNSQ_ISL_E10value_typeEPSM_NS1_7vsmem_tEENKUlT_SK_SL_SM_E_clIPxSE_SF_SF_EESJ_SZ_SK_SL_SM_EUlSZ_E0_NS1_11comp_targetILNS1_3genE8ELNS1_11target_archE1030ELNS1_3gpuE2ELNS1_3repE0EEENS1_38merge_mergepath_config_static_selectorELNS0_4arch9wavefront6targetE1EEEvSL_ ; -- Begin function _ZN7rocprim17ROCPRIM_400000_NS6detail17trampoline_kernelINS0_14default_configENS1_38merge_sort_block_merge_config_selectorIxNS0_10empty_typeEEEZZNS1_27merge_sort_block_merge_implIS3_N6thrust23THRUST_200600_302600_NS6detail15normal_iteratorINS9_10device_ptrIxEEEEPS5_jNS1_19radix_merge_compareILb0ELb1ExNS0_19identity_decomposerEEEEE10hipError_tT0_T1_T2_jT3_P12ihipStream_tbPNSt15iterator_traitsISK_E10value_typeEPNSQ_ISL_E10value_typeEPSM_NS1_7vsmem_tEENKUlT_SK_SL_SM_E_clIPxSE_SF_SF_EESJ_SZ_SK_SL_SM_EUlSZ_E0_NS1_11comp_targetILNS1_3genE8ELNS1_11target_archE1030ELNS1_3gpuE2ELNS1_3repE0EEENS1_38merge_mergepath_config_static_selectorELNS0_4arch9wavefront6targetE1EEEvSL_
	.globl	_ZN7rocprim17ROCPRIM_400000_NS6detail17trampoline_kernelINS0_14default_configENS1_38merge_sort_block_merge_config_selectorIxNS0_10empty_typeEEEZZNS1_27merge_sort_block_merge_implIS3_N6thrust23THRUST_200600_302600_NS6detail15normal_iteratorINS9_10device_ptrIxEEEEPS5_jNS1_19radix_merge_compareILb0ELb1ExNS0_19identity_decomposerEEEEE10hipError_tT0_T1_T2_jT3_P12ihipStream_tbPNSt15iterator_traitsISK_E10value_typeEPNSQ_ISL_E10value_typeEPSM_NS1_7vsmem_tEENKUlT_SK_SL_SM_E_clIPxSE_SF_SF_EESJ_SZ_SK_SL_SM_EUlSZ_E0_NS1_11comp_targetILNS1_3genE8ELNS1_11target_archE1030ELNS1_3gpuE2ELNS1_3repE0EEENS1_38merge_mergepath_config_static_selectorELNS0_4arch9wavefront6targetE1EEEvSL_
	.p2align	8
	.type	_ZN7rocprim17ROCPRIM_400000_NS6detail17trampoline_kernelINS0_14default_configENS1_38merge_sort_block_merge_config_selectorIxNS0_10empty_typeEEEZZNS1_27merge_sort_block_merge_implIS3_N6thrust23THRUST_200600_302600_NS6detail15normal_iteratorINS9_10device_ptrIxEEEEPS5_jNS1_19radix_merge_compareILb0ELb1ExNS0_19identity_decomposerEEEEE10hipError_tT0_T1_T2_jT3_P12ihipStream_tbPNSt15iterator_traitsISK_E10value_typeEPNSQ_ISL_E10value_typeEPSM_NS1_7vsmem_tEENKUlT_SK_SL_SM_E_clIPxSE_SF_SF_EESJ_SZ_SK_SL_SM_EUlSZ_E0_NS1_11comp_targetILNS1_3genE8ELNS1_11target_archE1030ELNS1_3gpuE2ELNS1_3repE0EEENS1_38merge_mergepath_config_static_selectorELNS0_4arch9wavefront6targetE1EEEvSL_,@function
_ZN7rocprim17ROCPRIM_400000_NS6detail17trampoline_kernelINS0_14default_configENS1_38merge_sort_block_merge_config_selectorIxNS0_10empty_typeEEEZZNS1_27merge_sort_block_merge_implIS3_N6thrust23THRUST_200600_302600_NS6detail15normal_iteratorINS9_10device_ptrIxEEEEPS5_jNS1_19radix_merge_compareILb0ELb1ExNS0_19identity_decomposerEEEEE10hipError_tT0_T1_T2_jT3_P12ihipStream_tbPNSt15iterator_traitsISK_E10value_typeEPNSQ_ISL_E10value_typeEPSM_NS1_7vsmem_tEENKUlT_SK_SL_SM_E_clIPxSE_SF_SF_EESJ_SZ_SK_SL_SM_EUlSZ_E0_NS1_11comp_targetILNS1_3genE8ELNS1_11target_archE1030ELNS1_3gpuE2ELNS1_3repE0EEENS1_38merge_mergepath_config_static_selectorELNS0_4arch9wavefront6targetE1EEEvSL_: ; @_ZN7rocprim17ROCPRIM_400000_NS6detail17trampoline_kernelINS0_14default_configENS1_38merge_sort_block_merge_config_selectorIxNS0_10empty_typeEEEZZNS1_27merge_sort_block_merge_implIS3_N6thrust23THRUST_200600_302600_NS6detail15normal_iteratorINS9_10device_ptrIxEEEEPS5_jNS1_19radix_merge_compareILb0ELb1ExNS0_19identity_decomposerEEEEE10hipError_tT0_T1_T2_jT3_P12ihipStream_tbPNSt15iterator_traitsISK_E10value_typeEPNSQ_ISL_E10value_typeEPSM_NS1_7vsmem_tEENKUlT_SK_SL_SM_E_clIPxSE_SF_SF_EESJ_SZ_SK_SL_SM_EUlSZ_E0_NS1_11comp_targetILNS1_3genE8ELNS1_11target_archE1030ELNS1_3gpuE2ELNS1_3repE0EEENS1_38merge_mergepath_config_static_selectorELNS0_4arch9wavefront6targetE1EEEvSL_
; %bb.0:
	.section	.rodata,"a",@progbits
	.p2align	6, 0x0
	.amdhsa_kernel _ZN7rocprim17ROCPRIM_400000_NS6detail17trampoline_kernelINS0_14default_configENS1_38merge_sort_block_merge_config_selectorIxNS0_10empty_typeEEEZZNS1_27merge_sort_block_merge_implIS3_N6thrust23THRUST_200600_302600_NS6detail15normal_iteratorINS9_10device_ptrIxEEEEPS5_jNS1_19radix_merge_compareILb0ELb1ExNS0_19identity_decomposerEEEEE10hipError_tT0_T1_T2_jT3_P12ihipStream_tbPNSt15iterator_traitsISK_E10value_typeEPNSQ_ISL_E10value_typeEPSM_NS1_7vsmem_tEENKUlT_SK_SL_SM_E_clIPxSE_SF_SF_EESJ_SZ_SK_SL_SM_EUlSZ_E0_NS1_11comp_targetILNS1_3genE8ELNS1_11target_archE1030ELNS1_3gpuE2ELNS1_3repE0EEENS1_38merge_mergepath_config_static_selectorELNS0_4arch9wavefront6targetE1EEEvSL_
		.amdhsa_group_segment_fixed_size 0
		.amdhsa_private_segment_fixed_size 0
		.amdhsa_kernarg_size 72
		.amdhsa_user_sgpr_count 6
		.amdhsa_user_sgpr_private_segment_buffer 1
		.amdhsa_user_sgpr_dispatch_ptr 0
		.amdhsa_user_sgpr_queue_ptr 0
		.amdhsa_user_sgpr_kernarg_segment_ptr 1
		.amdhsa_user_sgpr_dispatch_id 0
		.amdhsa_user_sgpr_flat_scratch_init 0
		.amdhsa_user_sgpr_kernarg_preload_length 0
		.amdhsa_user_sgpr_kernarg_preload_offset 0
		.amdhsa_user_sgpr_private_segment_size 0
		.amdhsa_uses_dynamic_stack 0
		.amdhsa_system_sgpr_private_segment_wavefront_offset 0
		.amdhsa_system_sgpr_workgroup_id_x 1
		.amdhsa_system_sgpr_workgroup_id_y 0
		.amdhsa_system_sgpr_workgroup_id_z 0
		.amdhsa_system_sgpr_workgroup_info 0
		.amdhsa_system_vgpr_workitem_id 0
		.amdhsa_next_free_vgpr 1
		.amdhsa_next_free_sgpr 0
		.amdhsa_accum_offset 4
		.amdhsa_reserve_vcc 0
		.amdhsa_reserve_flat_scratch 0
		.amdhsa_float_round_mode_32 0
		.amdhsa_float_round_mode_16_64 0
		.amdhsa_float_denorm_mode_32 3
		.amdhsa_float_denorm_mode_16_64 3
		.amdhsa_dx10_clamp 1
		.amdhsa_ieee_mode 1
		.amdhsa_fp16_overflow 0
		.amdhsa_tg_split 0
		.amdhsa_exception_fp_ieee_invalid_op 0
		.amdhsa_exception_fp_denorm_src 0
		.amdhsa_exception_fp_ieee_div_zero 0
		.amdhsa_exception_fp_ieee_overflow 0
		.amdhsa_exception_fp_ieee_underflow 0
		.amdhsa_exception_fp_ieee_inexact 0
		.amdhsa_exception_int_div_zero 0
	.end_amdhsa_kernel
	.section	.text._ZN7rocprim17ROCPRIM_400000_NS6detail17trampoline_kernelINS0_14default_configENS1_38merge_sort_block_merge_config_selectorIxNS0_10empty_typeEEEZZNS1_27merge_sort_block_merge_implIS3_N6thrust23THRUST_200600_302600_NS6detail15normal_iteratorINS9_10device_ptrIxEEEEPS5_jNS1_19radix_merge_compareILb0ELb1ExNS0_19identity_decomposerEEEEE10hipError_tT0_T1_T2_jT3_P12ihipStream_tbPNSt15iterator_traitsISK_E10value_typeEPNSQ_ISL_E10value_typeEPSM_NS1_7vsmem_tEENKUlT_SK_SL_SM_E_clIPxSE_SF_SF_EESJ_SZ_SK_SL_SM_EUlSZ_E0_NS1_11comp_targetILNS1_3genE8ELNS1_11target_archE1030ELNS1_3gpuE2ELNS1_3repE0EEENS1_38merge_mergepath_config_static_selectorELNS0_4arch9wavefront6targetE1EEEvSL_,"axG",@progbits,_ZN7rocprim17ROCPRIM_400000_NS6detail17trampoline_kernelINS0_14default_configENS1_38merge_sort_block_merge_config_selectorIxNS0_10empty_typeEEEZZNS1_27merge_sort_block_merge_implIS3_N6thrust23THRUST_200600_302600_NS6detail15normal_iteratorINS9_10device_ptrIxEEEEPS5_jNS1_19radix_merge_compareILb0ELb1ExNS0_19identity_decomposerEEEEE10hipError_tT0_T1_T2_jT3_P12ihipStream_tbPNSt15iterator_traitsISK_E10value_typeEPNSQ_ISL_E10value_typeEPSM_NS1_7vsmem_tEENKUlT_SK_SL_SM_E_clIPxSE_SF_SF_EESJ_SZ_SK_SL_SM_EUlSZ_E0_NS1_11comp_targetILNS1_3genE8ELNS1_11target_archE1030ELNS1_3gpuE2ELNS1_3repE0EEENS1_38merge_mergepath_config_static_selectorELNS0_4arch9wavefront6targetE1EEEvSL_,comdat
.Lfunc_end1482:
	.size	_ZN7rocprim17ROCPRIM_400000_NS6detail17trampoline_kernelINS0_14default_configENS1_38merge_sort_block_merge_config_selectorIxNS0_10empty_typeEEEZZNS1_27merge_sort_block_merge_implIS3_N6thrust23THRUST_200600_302600_NS6detail15normal_iteratorINS9_10device_ptrIxEEEEPS5_jNS1_19radix_merge_compareILb0ELb1ExNS0_19identity_decomposerEEEEE10hipError_tT0_T1_T2_jT3_P12ihipStream_tbPNSt15iterator_traitsISK_E10value_typeEPNSQ_ISL_E10value_typeEPSM_NS1_7vsmem_tEENKUlT_SK_SL_SM_E_clIPxSE_SF_SF_EESJ_SZ_SK_SL_SM_EUlSZ_E0_NS1_11comp_targetILNS1_3genE8ELNS1_11target_archE1030ELNS1_3gpuE2ELNS1_3repE0EEENS1_38merge_mergepath_config_static_selectorELNS0_4arch9wavefront6targetE1EEEvSL_, .Lfunc_end1482-_ZN7rocprim17ROCPRIM_400000_NS6detail17trampoline_kernelINS0_14default_configENS1_38merge_sort_block_merge_config_selectorIxNS0_10empty_typeEEEZZNS1_27merge_sort_block_merge_implIS3_N6thrust23THRUST_200600_302600_NS6detail15normal_iteratorINS9_10device_ptrIxEEEEPS5_jNS1_19radix_merge_compareILb0ELb1ExNS0_19identity_decomposerEEEEE10hipError_tT0_T1_T2_jT3_P12ihipStream_tbPNSt15iterator_traitsISK_E10value_typeEPNSQ_ISL_E10value_typeEPSM_NS1_7vsmem_tEENKUlT_SK_SL_SM_E_clIPxSE_SF_SF_EESJ_SZ_SK_SL_SM_EUlSZ_E0_NS1_11comp_targetILNS1_3genE8ELNS1_11target_archE1030ELNS1_3gpuE2ELNS1_3repE0EEENS1_38merge_mergepath_config_static_selectorELNS0_4arch9wavefront6targetE1EEEvSL_
                                        ; -- End function
	.section	.AMDGPU.csdata,"",@progbits
; Kernel info:
; codeLenInByte = 0
; NumSgprs: 4
; NumVgprs: 0
; NumAgprs: 0
; TotalNumVgprs: 0
; ScratchSize: 0
; MemoryBound: 0
; FloatMode: 240
; IeeeMode: 1
; LDSByteSize: 0 bytes/workgroup (compile time only)
; SGPRBlocks: 0
; VGPRBlocks: 0
; NumSGPRsForWavesPerEU: 4
; NumVGPRsForWavesPerEU: 1
; AccumOffset: 4
; Occupancy: 8
; WaveLimiterHint : 0
; COMPUTE_PGM_RSRC2:SCRATCH_EN: 0
; COMPUTE_PGM_RSRC2:USER_SGPR: 6
; COMPUTE_PGM_RSRC2:TRAP_HANDLER: 0
; COMPUTE_PGM_RSRC2:TGID_X_EN: 1
; COMPUTE_PGM_RSRC2:TGID_Y_EN: 0
; COMPUTE_PGM_RSRC2:TGID_Z_EN: 0
; COMPUTE_PGM_RSRC2:TIDIG_COMP_CNT: 0
; COMPUTE_PGM_RSRC3_GFX90A:ACCUM_OFFSET: 0
; COMPUTE_PGM_RSRC3_GFX90A:TG_SPLIT: 0
	.section	.text._ZN7rocprim17ROCPRIM_400000_NS6detail17trampoline_kernelINS0_14default_configENS1_38merge_sort_block_merge_config_selectorIxNS0_10empty_typeEEEZZNS1_27merge_sort_block_merge_implIS3_N6thrust23THRUST_200600_302600_NS6detail15normal_iteratorINS9_10device_ptrIxEEEEPS5_jNS1_19radix_merge_compareILb0ELb1ExNS0_19identity_decomposerEEEEE10hipError_tT0_T1_T2_jT3_P12ihipStream_tbPNSt15iterator_traitsISK_E10value_typeEPNSQ_ISL_E10value_typeEPSM_NS1_7vsmem_tEENKUlT_SK_SL_SM_E_clIPxSE_SF_SF_EESJ_SZ_SK_SL_SM_EUlSZ_E1_NS1_11comp_targetILNS1_3genE0ELNS1_11target_archE4294967295ELNS1_3gpuE0ELNS1_3repE0EEENS1_36merge_oddeven_config_static_selectorELNS0_4arch9wavefront6targetE1EEEvSL_,"axG",@progbits,_ZN7rocprim17ROCPRIM_400000_NS6detail17trampoline_kernelINS0_14default_configENS1_38merge_sort_block_merge_config_selectorIxNS0_10empty_typeEEEZZNS1_27merge_sort_block_merge_implIS3_N6thrust23THRUST_200600_302600_NS6detail15normal_iteratorINS9_10device_ptrIxEEEEPS5_jNS1_19radix_merge_compareILb0ELb1ExNS0_19identity_decomposerEEEEE10hipError_tT0_T1_T2_jT3_P12ihipStream_tbPNSt15iterator_traitsISK_E10value_typeEPNSQ_ISL_E10value_typeEPSM_NS1_7vsmem_tEENKUlT_SK_SL_SM_E_clIPxSE_SF_SF_EESJ_SZ_SK_SL_SM_EUlSZ_E1_NS1_11comp_targetILNS1_3genE0ELNS1_11target_archE4294967295ELNS1_3gpuE0ELNS1_3repE0EEENS1_36merge_oddeven_config_static_selectorELNS0_4arch9wavefront6targetE1EEEvSL_,comdat
	.protected	_ZN7rocprim17ROCPRIM_400000_NS6detail17trampoline_kernelINS0_14default_configENS1_38merge_sort_block_merge_config_selectorIxNS0_10empty_typeEEEZZNS1_27merge_sort_block_merge_implIS3_N6thrust23THRUST_200600_302600_NS6detail15normal_iteratorINS9_10device_ptrIxEEEEPS5_jNS1_19radix_merge_compareILb0ELb1ExNS0_19identity_decomposerEEEEE10hipError_tT0_T1_T2_jT3_P12ihipStream_tbPNSt15iterator_traitsISK_E10value_typeEPNSQ_ISL_E10value_typeEPSM_NS1_7vsmem_tEENKUlT_SK_SL_SM_E_clIPxSE_SF_SF_EESJ_SZ_SK_SL_SM_EUlSZ_E1_NS1_11comp_targetILNS1_3genE0ELNS1_11target_archE4294967295ELNS1_3gpuE0ELNS1_3repE0EEENS1_36merge_oddeven_config_static_selectorELNS0_4arch9wavefront6targetE1EEEvSL_ ; -- Begin function _ZN7rocprim17ROCPRIM_400000_NS6detail17trampoline_kernelINS0_14default_configENS1_38merge_sort_block_merge_config_selectorIxNS0_10empty_typeEEEZZNS1_27merge_sort_block_merge_implIS3_N6thrust23THRUST_200600_302600_NS6detail15normal_iteratorINS9_10device_ptrIxEEEEPS5_jNS1_19radix_merge_compareILb0ELb1ExNS0_19identity_decomposerEEEEE10hipError_tT0_T1_T2_jT3_P12ihipStream_tbPNSt15iterator_traitsISK_E10value_typeEPNSQ_ISL_E10value_typeEPSM_NS1_7vsmem_tEENKUlT_SK_SL_SM_E_clIPxSE_SF_SF_EESJ_SZ_SK_SL_SM_EUlSZ_E1_NS1_11comp_targetILNS1_3genE0ELNS1_11target_archE4294967295ELNS1_3gpuE0ELNS1_3repE0EEENS1_36merge_oddeven_config_static_selectorELNS0_4arch9wavefront6targetE1EEEvSL_
	.globl	_ZN7rocprim17ROCPRIM_400000_NS6detail17trampoline_kernelINS0_14default_configENS1_38merge_sort_block_merge_config_selectorIxNS0_10empty_typeEEEZZNS1_27merge_sort_block_merge_implIS3_N6thrust23THRUST_200600_302600_NS6detail15normal_iteratorINS9_10device_ptrIxEEEEPS5_jNS1_19radix_merge_compareILb0ELb1ExNS0_19identity_decomposerEEEEE10hipError_tT0_T1_T2_jT3_P12ihipStream_tbPNSt15iterator_traitsISK_E10value_typeEPNSQ_ISL_E10value_typeEPSM_NS1_7vsmem_tEENKUlT_SK_SL_SM_E_clIPxSE_SF_SF_EESJ_SZ_SK_SL_SM_EUlSZ_E1_NS1_11comp_targetILNS1_3genE0ELNS1_11target_archE4294967295ELNS1_3gpuE0ELNS1_3repE0EEENS1_36merge_oddeven_config_static_selectorELNS0_4arch9wavefront6targetE1EEEvSL_
	.p2align	8
	.type	_ZN7rocprim17ROCPRIM_400000_NS6detail17trampoline_kernelINS0_14default_configENS1_38merge_sort_block_merge_config_selectorIxNS0_10empty_typeEEEZZNS1_27merge_sort_block_merge_implIS3_N6thrust23THRUST_200600_302600_NS6detail15normal_iteratorINS9_10device_ptrIxEEEEPS5_jNS1_19radix_merge_compareILb0ELb1ExNS0_19identity_decomposerEEEEE10hipError_tT0_T1_T2_jT3_P12ihipStream_tbPNSt15iterator_traitsISK_E10value_typeEPNSQ_ISL_E10value_typeEPSM_NS1_7vsmem_tEENKUlT_SK_SL_SM_E_clIPxSE_SF_SF_EESJ_SZ_SK_SL_SM_EUlSZ_E1_NS1_11comp_targetILNS1_3genE0ELNS1_11target_archE4294967295ELNS1_3gpuE0ELNS1_3repE0EEENS1_36merge_oddeven_config_static_selectorELNS0_4arch9wavefront6targetE1EEEvSL_,@function
_ZN7rocprim17ROCPRIM_400000_NS6detail17trampoline_kernelINS0_14default_configENS1_38merge_sort_block_merge_config_selectorIxNS0_10empty_typeEEEZZNS1_27merge_sort_block_merge_implIS3_N6thrust23THRUST_200600_302600_NS6detail15normal_iteratorINS9_10device_ptrIxEEEEPS5_jNS1_19radix_merge_compareILb0ELb1ExNS0_19identity_decomposerEEEEE10hipError_tT0_T1_T2_jT3_P12ihipStream_tbPNSt15iterator_traitsISK_E10value_typeEPNSQ_ISL_E10value_typeEPSM_NS1_7vsmem_tEENKUlT_SK_SL_SM_E_clIPxSE_SF_SF_EESJ_SZ_SK_SL_SM_EUlSZ_E1_NS1_11comp_targetILNS1_3genE0ELNS1_11target_archE4294967295ELNS1_3gpuE0ELNS1_3repE0EEENS1_36merge_oddeven_config_static_selectorELNS0_4arch9wavefront6targetE1EEEvSL_: ; @_ZN7rocprim17ROCPRIM_400000_NS6detail17trampoline_kernelINS0_14default_configENS1_38merge_sort_block_merge_config_selectorIxNS0_10empty_typeEEEZZNS1_27merge_sort_block_merge_implIS3_N6thrust23THRUST_200600_302600_NS6detail15normal_iteratorINS9_10device_ptrIxEEEEPS5_jNS1_19radix_merge_compareILb0ELb1ExNS0_19identity_decomposerEEEEE10hipError_tT0_T1_T2_jT3_P12ihipStream_tbPNSt15iterator_traitsISK_E10value_typeEPNSQ_ISL_E10value_typeEPSM_NS1_7vsmem_tEENKUlT_SK_SL_SM_E_clIPxSE_SF_SF_EESJ_SZ_SK_SL_SM_EUlSZ_E1_NS1_11comp_targetILNS1_3genE0ELNS1_11target_archE4294967295ELNS1_3gpuE0ELNS1_3repE0EEENS1_36merge_oddeven_config_static_selectorELNS0_4arch9wavefront6targetE1EEEvSL_
; %bb.0:
	.section	.rodata,"a",@progbits
	.p2align	6, 0x0
	.amdhsa_kernel _ZN7rocprim17ROCPRIM_400000_NS6detail17trampoline_kernelINS0_14default_configENS1_38merge_sort_block_merge_config_selectorIxNS0_10empty_typeEEEZZNS1_27merge_sort_block_merge_implIS3_N6thrust23THRUST_200600_302600_NS6detail15normal_iteratorINS9_10device_ptrIxEEEEPS5_jNS1_19radix_merge_compareILb0ELb1ExNS0_19identity_decomposerEEEEE10hipError_tT0_T1_T2_jT3_P12ihipStream_tbPNSt15iterator_traitsISK_E10value_typeEPNSQ_ISL_E10value_typeEPSM_NS1_7vsmem_tEENKUlT_SK_SL_SM_E_clIPxSE_SF_SF_EESJ_SZ_SK_SL_SM_EUlSZ_E1_NS1_11comp_targetILNS1_3genE0ELNS1_11target_archE4294967295ELNS1_3gpuE0ELNS1_3repE0EEENS1_36merge_oddeven_config_static_selectorELNS0_4arch9wavefront6targetE1EEEvSL_
		.amdhsa_group_segment_fixed_size 0
		.amdhsa_private_segment_fixed_size 0
		.amdhsa_kernarg_size 48
		.amdhsa_user_sgpr_count 6
		.amdhsa_user_sgpr_private_segment_buffer 1
		.amdhsa_user_sgpr_dispatch_ptr 0
		.amdhsa_user_sgpr_queue_ptr 0
		.amdhsa_user_sgpr_kernarg_segment_ptr 1
		.amdhsa_user_sgpr_dispatch_id 0
		.amdhsa_user_sgpr_flat_scratch_init 0
		.amdhsa_user_sgpr_kernarg_preload_length 0
		.amdhsa_user_sgpr_kernarg_preload_offset 0
		.amdhsa_user_sgpr_private_segment_size 0
		.amdhsa_uses_dynamic_stack 0
		.amdhsa_system_sgpr_private_segment_wavefront_offset 0
		.amdhsa_system_sgpr_workgroup_id_x 1
		.amdhsa_system_sgpr_workgroup_id_y 0
		.amdhsa_system_sgpr_workgroup_id_z 0
		.amdhsa_system_sgpr_workgroup_info 0
		.amdhsa_system_vgpr_workitem_id 0
		.amdhsa_next_free_vgpr 1
		.amdhsa_next_free_sgpr 0
		.amdhsa_accum_offset 4
		.amdhsa_reserve_vcc 0
		.amdhsa_reserve_flat_scratch 0
		.amdhsa_float_round_mode_32 0
		.amdhsa_float_round_mode_16_64 0
		.amdhsa_float_denorm_mode_32 3
		.amdhsa_float_denorm_mode_16_64 3
		.amdhsa_dx10_clamp 1
		.amdhsa_ieee_mode 1
		.amdhsa_fp16_overflow 0
		.amdhsa_tg_split 0
		.amdhsa_exception_fp_ieee_invalid_op 0
		.amdhsa_exception_fp_denorm_src 0
		.amdhsa_exception_fp_ieee_div_zero 0
		.amdhsa_exception_fp_ieee_overflow 0
		.amdhsa_exception_fp_ieee_underflow 0
		.amdhsa_exception_fp_ieee_inexact 0
		.amdhsa_exception_int_div_zero 0
	.end_amdhsa_kernel
	.section	.text._ZN7rocprim17ROCPRIM_400000_NS6detail17trampoline_kernelINS0_14default_configENS1_38merge_sort_block_merge_config_selectorIxNS0_10empty_typeEEEZZNS1_27merge_sort_block_merge_implIS3_N6thrust23THRUST_200600_302600_NS6detail15normal_iteratorINS9_10device_ptrIxEEEEPS5_jNS1_19radix_merge_compareILb0ELb1ExNS0_19identity_decomposerEEEEE10hipError_tT0_T1_T2_jT3_P12ihipStream_tbPNSt15iterator_traitsISK_E10value_typeEPNSQ_ISL_E10value_typeEPSM_NS1_7vsmem_tEENKUlT_SK_SL_SM_E_clIPxSE_SF_SF_EESJ_SZ_SK_SL_SM_EUlSZ_E1_NS1_11comp_targetILNS1_3genE0ELNS1_11target_archE4294967295ELNS1_3gpuE0ELNS1_3repE0EEENS1_36merge_oddeven_config_static_selectorELNS0_4arch9wavefront6targetE1EEEvSL_,"axG",@progbits,_ZN7rocprim17ROCPRIM_400000_NS6detail17trampoline_kernelINS0_14default_configENS1_38merge_sort_block_merge_config_selectorIxNS0_10empty_typeEEEZZNS1_27merge_sort_block_merge_implIS3_N6thrust23THRUST_200600_302600_NS6detail15normal_iteratorINS9_10device_ptrIxEEEEPS5_jNS1_19radix_merge_compareILb0ELb1ExNS0_19identity_decomposerEEEEE10hipError_tT0_T1_T2_jT3_P12ihipStream_tbPNSt15iterator_traitsISK_E10value_typeEPNSQ_ISL_E10value_typeEPSM_NS1_7vsmem_tEENKUlT_SK_SL_SM_E_clIPxSE_SF_SF_EESJ_SZ_SK_SL_SM_EUlSZ_E1_NS1_11comp_targetILNS1_3genE0ELNS1_11target_archE4294967295ELNS1_3gpuE0ELNS1_3repE0EEENS1_36merge_oddeven_config_static_selectorELNS0_4arch9wavefront6targetE1EEEvSL_,comdat
.Lfunc_end1483:
	.size	_ZN7rocprim17ROCPRIM_400000_NS6detail17trampoline_kernelINS0_14default_configENS1_38merge_sort_block_merge_config_selectorIxNS0_10empty_typeEEEZZNS1_27merge_sort_block_merge_implIS3_N6thrust23THRUST_200600_302600_NS6detail15normal_iteratorINS9_10device_ptrIxEEEEPS5_jNS1_19radix_merge_compareILb0ELb1ExNS0_19identity_decomposerEEEEE10hipError_tT0_T1_T2_jT3_P12ihipStream_tbPNSt15iterator_traitsISK_E10value_typeEPNSQ_ISL_E10value_typeEPSM_NS1_7vsmem_tEENKUlT_SK_SL_SM_E_clIPxSE_SF_SF_EESJ_SZ_SK_SL_SM_EUlSZ_E1_NS1_11comp_targetILNS1_3genE0ELNS1_11target_archE4294967295ELNS1_3gpuE0ELNS1_3repE0EEENS1_36merge_oddeven_config_static_selectorELNS0_4arch9wavefront6targetE1EEEvSL_, .Lfunc_end1483-_ZN7rocprim17ROCPRIM_400000_NS6detail17trampoline_kernelINS0_14default_configENS1_38merge_sort_block_merge_config_selectorIxNS0_10empty_typeEEEZZNS1_27merge_sort_block_merge_implIS3_N6thrust23THRUST_200600_302600_NS6detail15normal_iteratorINS9_10device_ptrIxEEEEPS5_jNS1_19radix_merge_compareILb0ELb1ExNS0_19identity_decomposerEEEEE10hipError_tT0_T1_T2_jT3_P12ihipStream_tbPNSt15iterator_traitsISK_E10value_typeEPNSQ_ISL_E10value_typeEPSM_NS1_7vsmem_tEENKUlT_SK_SL_SM_E_clIPxSE_SF_SF_EESJ_SZ_SK_SL_SM_EUlSZ_E1_NS1_11comp_targetILNS1_3genE0ELNS1_11target_archE4294967295ELNS1_3gpuE0ELNS1_3repE0EEENS1_36merge_oddeven_config_static_selectorELNS0_4arch9wavefront6targetE1EEEvSL_
                                        ; -- End function
	.section	.AMDGPU.csdata,"",@progbits
; Kernel info:
; codeLenInByte = 0
; NumSgprs: 4
; NumVgprs: 0
; NumAgprs: 0
; TotalNumVgprs: 0
; ScratchSize: 0
; MemoryBound: 0
; FloatMode: 240
; IeeeMode: 1
; LDSByteSize: 0 bytes/workgroup (compile time only)
; SGPRBlocks: 0
; VGPRBlocks: 0
; NumSGPRsForWavesPerEU: 4
; NumVGPRsForWavesPerEU: 1
; AccumOffset: 4
; Occupancy: 8
; WaveLimiterHint : 0
; COMPUTE_PGM_RSRC2:SCRATCH_EN: 0
; COMPUTE_PGM_RSRC2:USER_SGPR: 6
; COMPUTE_PGM_RSRC2:TRAP_HANDLER: 0
; COMPUTE_PGM_RSRC2:TGID_X_EN: 1
; COMPUTE_PGM_RSRC2:TGID_Y_EN: 0
; COMPUTE_PGM_RSRC2:TGID_Z_EN: 0
; COMPUTE_PGM_RSRC2:TIDIG_COMP_CNT: 0
; COMPUTE_PGM_RSRC3_GFX90A:ACCUM_OFFSET: 0
; COMPUTE_PGM_RSRC3_GFX90A:TG_SPLIT: 0
	.section	.text._ZN7rocprim17ROCPRIM_400000_NS6detail17trampoline_kernelINS0_14default_configENS1_38merge_sort_block_merge_config_selectorIxNS0_10empty_typeEEEZZNS1_27merge_sort_block_merge_implIS3_N6thrust23THRUST_200600_302600_NS6detail15normal_iteratorINS9_10device_ptrIxEEEEPS5_jNS1_19radix_merge_compareILb0ELb1ExNS0_19identity_decomposerEEEEE10hipError_tT0_T1_T2_jT3_P12ihipStream_tbPNSt15iterator_traitsISK_E10value_typeEPNSQ_ISL_E10value_typeEPSM_NS1_7vsmem_tEENKUlT_SK_SL_SM_E_clIPxSE_SF_SF_EESJ_SZ_SK_SL_SM_EUlSZ_E1_NS1_11comp_targetILNS1_3genE10ELNS1_11target_archE1201ELNS1_3gpuE5ELNS1_3repE0EEENS1_36merge_oddeven_config_static_selectorELNS0_4arch9wavefront6targetE1EEEvSL_,"axG",@progbits,_ZN7rocprim17ROCPRIM_400000_NS6detail17trampoline_kernelINS0_14default_configENS1_38merge_sort_block_merge_config_selectorIxNS0_10empty_typeEEEZZNS1_27merge_sort_block_merge_implIS3_N6thrust23THRUST_200600_302600_NS6detail15normal_iteratorINS9_10device_ptrIxEEEEPS5_jNS1_19radix_merge_compareILb0ELb1ExNS0_19identity_decomposerEEEEE10hipError_tT0_T1_T2_jT3_P12ihipStream_tbPNSt15iterator_traitsISK_E10value_typeEPNSQ_ISL_E10value_typeEPSM_NS1_7vsmem_tEENKUlT_SK_SL_SM_E_clIPxSE_SF_SF_EESJ_SZ_SK_SL_SM_EUlSZ_E1_NS1_11comp_targetILNS1_3genE10ELNS1_11target_archE1201ELNS1_3gpuE5ELNS1_3repE0EEENS1_36merge_oddeven_config_static_selectorELNS0_4arch9wavefront6targetE1EEEvSL_,comdat
	.protected	_ZN7rocprim17ROCPRIM_400000_NS6detail17trampoline_kernelINS0_14default_configENS1_38merge_sort_block_merge_config_selectorIxNS0_10empty_typeEEEZZNS1_27merge_sort_block_merge_implIS3_N6thrust23THRUST_200600_302600_NS6detail15normal_iteratorINS9_10device_ptrIxEEEEPS5_jNS1_19radix_merge_compareILb0ELb1ExNS0_19identity_decomposerEEEEE10hipError_tT0_T1_T2_jT3_P12ihipStream_tbPNSt15iterator_traitsISK_E10value_typeEPNSQ_ISL_E10value_typeEPSM_NS1_7vsmem_tEENKUlT_SK_SL_SM_E_clIPxSE_SF_SF_EESJ_SZ_SK_SL_SM_EUlSZ_E1_NS1_11comp_targetILNS1_3genE10ELNS1_11target_archE1201ELNS1_3gpuE5ELNS1_3repE0EEENS1_36merge_oddeven_config_static_selectorELNS0_4arch9wavefront6targetE1EEEvSL_ ; -- Begin function _ZN7rocprim17ROCPRIM_400000_NS6detail17trampoline_kernelINS0_14default_configENS1_38merge_sort_block_merge_config_selectorIxNS0_10empty_typeEEEZZNS1_27merge_sort_block_merge_implIS3_N6thrust23THRUST_200600_302600_NS6detail15normal_iteratorINS9_10device_ptrIxEEEEPS5_jNS1_19radix_merge_compareILb0ELb1ExNS0_19identity_decomposerEEEEE10hipError_tT0_T1_T2_jT3_P12ihipStream_tbPNSt15iterator_traitsISK_E10value_typeEPNSQ_ISL_E10value_typeEPSM_NS1_7vsmem_tEENKUlT_SK_SL_SM_E_clIPxSE_SF_SF_EESJ_SZ_SK_SL_SM_EUlSZ_E1_NS1_11comp_targetILNS1_3genE10ELNS1_11target_archE1201ELNS1_3gpuE5ELNS1_3repE0EEENS1_36merge_oddeven_config_static_selectorELNS0_4arch9wavefront6targetE1EEEvSL_
	.globl	_ZN7rocprim17ROCPRIM_400000_NS6detail17trampoline_kernelINS0_14default_configENS1_38merge_sort_block_merge_config_selectorIxNS0_10empty_typeEEEZZNS1_27merge_sort_block_merge_implIS3_N6thrust23THRUST_200600_302600_NS6detail15normal_iteratorINS9_10device_ptrIxEEEEPS5_jNS1_19radix_merge_compareILb0ELb1ExNS0_19identity_decomposerEEEEE10hipError_tT0_T1_T2_jT3_P12ihipStream_tbPNSt15iterator_traitsISK_E10value_typeEPNSQ_ISL_E10value_typeEPSM_NS1_7vsmem_tEENKUlT_SK_SL_SM_E_clIPxSE_SF_SF_EESJ_SZ_SK_SL_SM_EUlSZ_E1_NS1_11comp_targetILNS1_3genE10ELNS1_11target_archE1201ELNS1_3gpuE5ELNS1_3repE0EEENS1_36merge_oddeven_config_static_selectorELNS0_4arch9wavefront6targetE1EEEvSL_
	.p2align	8
	.type	_ZN7rocprim17ROCPRIM_400000_NS6detail17trampoline_kernelINS0_14default_configENS1_38merge_sort_block_merge_config_selectorIxNS0_10empty_typeEEEZZNS1_27merge_sort_block_merge_implIS3_N6thrust23THRUST_200600_302600_NS6detail15normal_iteratorINS9_10device_ptrIxEEEEPS5_jNS1_19radix_merge_compareILb0ELb1ExNS0_19identity_decomposerEEEEE10hipError_tT0_T1_T2_jT3_P12ihipStream_tbPNSt15iterator_traitsISK_E10value_typeEPNSQ_ISL_E10value_typeEPSM_NS1_7vsmem_tEENKUlT_SK_SL_SM_E_clIPxSE_SF_SF_EESJ_SZ_SK_SL_SM_EUlSZ_E1_NS1_11comp_targetILNS1_3genE10ELNS1_11target_archE1201ELNS1_3gpuE5ELNS1_3repE0EEENS1_36merge_oddeven_config_static_selectorELNS0_4arch9wavefront6targetE1EEEvSL_,@function
_ZN7rocprim17ROCPRIM_400000_NS6detail17trampoline_kernelINS0_14default_configENS1_38merge_sort_block_merge_config_selectorIxNS0_10empty_typeEEEZZNS1_27merge_sort_block_merge_implIS3_N6thrust23THRUST_200600_302600_NS6detail15normal_iteratorINS9_10device_ptrIxEEEEPS5_jNS1_19radix_merge_compareILb0ELb1ExNS0_19identity_decomposerEEEEE10hipError_tT0_T1_T2_jT3_P12ihipStream_tbPNSt15iterator_traitsISK_E10value_typeEPNSQ_ISL_E10value_typeEPSM_NS1_7vsmem_tEENKUlT_SK_SL_SM_E_clIPxSE_SF_SF_EESJ_SZ_SK_SL_SM_EUlSZ_E1_NS1_11comp_targetILNS1_3genE10ELNS1_11target_archE1201ELNS1_3gpuE5ELNS1_3repE0EEENS1_36merge_oddeven_config_static_selectorELNS0_4arch9wavefront6targetE1EEEvSL_: ; @_ZN7rocprim17ROCPRIM_400000_NS6detail17trampoline_kernelINS0_14default_configENS1_38merge_sort_block_merge_config_selectorIxNS0_10empty_typeEEEZZNS1_27merge_sort_block_merge_implIS3_N6thrust23THRUST_200600_302600_NS6detail15normal_iteratorINS9_10device_ptrIxEEEEPS5_jNS1_19radix_merge_compareILb0ELb1ExNS0_19identity_decomposerEEEEE10hipError_tT0_T1_T2_jT3_P12ihipStream_tbPNSt15iterator_traitsISK_E10value_typeEPNSQ_ISL_E10value_typeEPSM_NS1_7vsmem_tEENKUlT_SK_SL_SM_E_clIPxSE_SF_SF_EESJ_SZ_SK_SL_SM_EUlSZ_E1_NS1_11comp_targetILNS1_3genE10ELNS1_11target_archE1201ELNS1_3gpuE5ELNS1_3repE0EEENS1_36merge_oddeven_config_static_selectorELNS0_4arch9wavefront6targetE1EEEvSL_
; %bb.0:
	.section	.rodata,"a",@progbits
	.p2align	6, 0x0
	.amdhsa_kernel _ZN7rocprim17ROCPRIM_400000_NS6detail17trampoline_kernelINS0_14default_configENS1_38merge_sort_block_merge_config_selectorIxNS0_10empty_typeEEEZZNS1_27merge_sort_block_merge_implIS3_N6thrust23THRUST_200600_302600_NS6detail15normal_iteratorINS9_10device_ptrIxEEEEPS5_jNS1_19radix_merge_compareILb0ELb1ExNS0_19identity_decomposerEEEEE10hipError_tT0_T1_T2_jT3_P12ihipStream_tbPNSt15iterator_traitsISK_E10value_typeEPNSQ_ISL_E10value_typeEPSM_NS1_7vsmem_tEENKUlT_SK_SL_SM_E_clIPxSE_SF_SF_EESJ_SZ_SK_SL_SM_EUlSZ_E1_NS1_11comp_targetILNS1_3genE10ELNS1_11target_archE1201ELNS1_3gpuE5ELNS1_3repE0EEENS1_36merge_oddeven_config_static_selectorELNS0_4arch9wavefront6targetE1EEEvSL_
		.amdhsa_group_segment_fixed_size 0
		.amdhsa_private_segment_fixed_size 0
		.amdhsa_kernarg_size 48
		.amdhsa_user_sgpr_count 6
		.amdhsa_user_sgpr_private_segment_buffer 1
		.amdhsa_user_sgpr_dispatch_ptr 0
		.amdhsa_user_sgpr_queue_ptr 0
		.amdhsa_user_sgpr_kernarg_segment_ptr 1
		.amdhsa_user_sgpr_dispatch_id 0
		.amdhsa_user_sgpr_flat_scratch_init 0
		.amdhsa_user_sgpr_kernarg_preload_length 0
		.amdhsa_user_sgpr_kernarg_preload_offset 0
		.amdhsa_user_sgpr_private_segment_size 0
		.amdhsa_uses_dynamic_stack 0
		.amdhsa_system_sgpr_private_segment_wavefront_offset 0
		.amdhsa_system_sgpr_workgroup_id_x 1
		.amdhsa_system_sgpr_workgroup_id_y 0
		.amdhsa_system_sgpr_workgroup_id_z 0
		.amdhsa_system_sgpr_workgroup_info 0
		.amdhsa_system_vgpr_workitem_id 0
		.amdhsa_next_free_vgpr 1
		.amdhsa_next_free_sgpr 0
		.amdhsa_accum_offset 4
		.amdhsa_reserve_vcc 0
		.amdhsa_reserve_flat_scratch 0
		.amdhsa_float_round_mode_32 0
		.amdhsa_float_round_mode_16_64 0
		.amdhsa_float_denorm_mode_32 3
		.amdhsa_float_denorm_mode_16_64 3
		.amdhsa_dx10_clamp 1
		.amdhsa_ieee_mode 1
		.amdhsa_fp16_overflow 0
		.amdhsa_tg_split 0
		.amdhsa_exception_fp_ieee_invalid_op 0
		.amdhsa_exception_fp_denorm_src 0
		.amdhsa_exception_fp_ieee_div_zero 0
		.amdhsa_exception_fp_ieee_overflow 0
		.amdhsa_exception_fp_ieee_underflow 0
		.amdhsa_exception_fp_ieee_inexact 0
		.amdhsa_exception_int_div_zero 0
	.end_amdhsa_kernel
	.section	.text._ZN7rocprim17ROCPRIM_400000_NS6detail17trampoline_kernelINS0_14default_configENS1_38merge_sort_block_merge_config_selectorIxNS0_10empty_typeEEEZZNS1_27merge_sort_block_merge_implIS3_N6thrust23THRUST_200600_302600_NS6detail15normal_iteratorINS9_10device_ptrIxEEEEPS5_jNS1_19radix_merge_compareILb0ELb1ExNS0_19identity_decomposerEEEEE10hipError_tT0_T1_T2_jT3_P12ihipStream_tbPNSt15iterator_traitsISK_E10value_typeEPNSQ_ISL_E10value_typeEPSM_NS1_7vsmem_tEENKUlT_SK_SL_SM_E_clIPxSE_SF_SF_EESJ_SZ_SK_SL_SM_EUlSZ_E1_NS1_11comp_targetILNS1_3genE10ELNS1_11target_archE1201ELNS1_3gpuE5ELNS1_3repE0EEENS1_36merge_oddeven_config_static_selectorELNS0_4arch9wavefront6targetE1EEEvSL_,"axG",@progbits,_ZN7rocprim17ROCPRIM_400000_NS6detail17trampoline_kernelINS0_14default_configENS1_38merge_sort_block_merge_config_selectorIxNS0_10empty_typeEEEZZNS1_27merge_sort_block_merge_implIS3_N6thrust23THRUST_200600_302600_NS6detail15normal_iteratorINS9_10device_ptrIxEEEEPS5_jNS1_19radix_merge_compareILb0ELb1ExNS0_19identity_decomposerEEEEE10hipError_tT0_T1_T2_jT3_P12ihipStream_tbPNSt15iterator_traitsISK_E10value_typeEPNSQ_ISL_E10value_typeEPSM_NS1_7vsmem_tEENKUlT_SK_SL_SM_E_clIPxSE_SF_SF_EESJ_SZ_SK_SL_SM_EUlSZ_E1_NS1_11comp_targetILNS1_3genE10ELNS1_11target_archE1201ELNS1_3gpuE5ELNS1_3repE0EEENS1_36merge_oddeven_config_static_selectorELNS0_4arch9wavefront6targetE1EEEvSL_,comdat
.Lfunc_end1484:
	.size	_ZN7rocprim17ROCPRIM_400000_NS6detail17trampoline_kernelINS0_14default_configENS1_38merge_sort_block_merge_config_selectorIxNS0_10empty_typeEEEZZNS1_27merge_sort_block_merge_implIS3_N6thrust23THRUST_200600_302600_NS6detail15normal_iteratorINS9_10device_ptrIxEEEEPS5_jNS1_19radix_merge_compareILb0ELb1ExNS0_19identity_decomposerEEEEE10hipError_tT0_T1_T2_jT3_P12ihipStream_tbPNSt15iterator_traitsISK_E10value_typeEPNSQ_ISL_E10value_typeEPSM_NS1_7vsmem_tEENKUlT_SK_SL_SM_E_clIPxSE_SF_SF_EESJ_SZ_SK_SL_SM_EUlSZ_E1_NS1_11comp_targetILNS1_3genE10ELNS1_11target_archE1201ELNS1_3gpuE5ELNS1_3repE0EEENS1_36merge_oddeven_config_static_selectorELNS0_4arch9wavefront6targetE1EEEvSL_, .Lfunc_end1484-_ZN7rocprim17ROCPRIM_400000_NS6detail17trampoline_kernelINS0_14default_configENS1_38merge_sort_block_merge_config_selectorIxNS0_10empty_typeEEEZZNS1_27merge_sort_block_merge_implIS3_N6thrust23THRUST_200600_302600_NS6detail15normal_iteratorINS9_10device_ptrIxEEEEPS5_jNS1_19radix_merge_compareILb0ELb1ExNS0_19identity_decomposerEEEEE10hipError_tT0_T1_T2_jT3_P12ihipStream_tbPNSt15iterator_traitsISK_E10value_typeEPNSQ_ISL_E10value_typeEPSM_NS1_7vsmem_tEENKUlT_SK_SL_SM_E_clIPxSE_SF_SF_EESJ_SZ_SK_SL_SM_EUlSZ_E1_NS1_11comp_targetILNS1_3genE10ELNS1_11target_archE1201ELNS1_3gpuE5ELNS1_3repE0EEENS1_36merge_oddeven_config_static_selectorELNS0_4arch9wavefront6targetE1EEEvSL_
                                        ; -- End function
	.section	.AMDGPU.csdata,"",@progbits
; Kernel info:
; codeLenInByte = 0
; NumSgprs: 4
; NumVgprs: 0
; NumAgprs: 0
; TotalNumVgprs: 0
; ScratchSize: 0
; MemoryBound: 0
; FloatMode: 240
; IeeeMode: 1
; LDSByteSize: 0 bytes/workgroup (compile time only)
; SGPRBlocks: 0
; VGPRBlocks: 0
; NumSGPRsForWavesPerEU: 4
; NumVGPRsForWavesPerEU: 1
; AccumOffset: 4
; Occupancy: 8
; WaveLimiterHint : 0
; COMPUTE_PGM_RSRC2:SCRATCH_EN: 0
; COMPUTE_PGM_RSRC2:USER_SGPR: 6
; COMPUTE_PGM_RSRC2:TRAP_HANDLER: 0
; COMPUTE_PGM_RSRC2:TGID_X_EN: 1
; COMPUTE_PGM_RSRC2:TGID_Y_EN: 0
; COMPUTE_PGM_RSRC2:TGID_Z_EN: 0
; COMPUTE_PGM_RSRC2:TIDIG_COMP_CNT: 0
; COMPUTE_PGM_RSRC3_GFX90A:ACCUM_OFFSET: 0
; COMPUTE_PGM_RSRC3_GFX90A:TG_SPLIT: 0
	.section	.text._ZN7rocprim17ROCPRIM_400000_NS6detail17trampoline_kernelINS0_14default_configENS1_38merge_sort_block_merge_config_selectorIxNS0_10empty_typeEEEZZNS1_27merge_sort_block_merge_implIS3_N6thrust23THRUST_200600_302600_NS6detail15normal_iteratorINS9_10device_ptrIxEEEEPS5_jNS1_19radix_merge_compareILb0ELb1ExNS0_19identity_decomposerEEEEE10hipError_tT0_T1_T2_jT3_P12ihipStream_tbPNSt15iterator_traitsISK_E10value_typeEPNSQ_ISL_E10value_typeEPSM_NS1_7vsmem_tEENKUlT_SK_SL_SM_E_clIPxSE_SF_SF_EESJ_SZ_SK_SL_SM_EUlSZ_E1_NS1_11comp_targetILNS1_3genE5ELNS1_11target_archE942ELNS1_3gpuE9ELNS1_3repE0EEENS1_36merge_oddeven_config_static_selectorELNS0_4arch9wavefront6targetE1EEEvSL_,"axG",@progbits,_ZN7rocprim17ROCPRIM_400000_NS6detail17trampoline_kernelINS0_14default_configENS1_38merge_sort_block_merge_config_selectorIxNS0_10empty_typeEEEZZNS1_27merge_sort_block_merge_implIS3_N6thrust23THRUST_200600_302600_NS6detail15normal_iteratorINS9_10device_ptrIxEEEEPS5_jNS1_19radix_merge_compareILb0ELb1ExNS0_19identity_decomposerEEEEE10hipError_tT0_T1_T2_jT3_P12ihipStream_tbPNSt15iterator_traitsISK_E10value_typeEPNSQ_ISL_E10value_typeEPSM_NS1_7vsmem_tEENKUlT_SK_SL_SM_E_clIPxSE_SF_SF_EESJ_SZ_SK_SL_SM_EUlSZ_E1_NS1_11comp_targetILNS1_3genE5ELNS1_11target_archE942ELNS1_3gpuE9ELNS1_3repE0EEENS1_36merge_oddeven_config_static_selectorELNS0_4arch9wavefront6targetE1EEEvSL_,comdat
	.protected	_ZN7rocprim17ROCPRIM_400000_NS6detail17trampoline_kernelINS0_14default_configENS1_38merge_sort_block_merge_config_selectorIxNS0_10empty_typeEEEZZNS1_27merge_sort_block_merge_implIS3_N6thrust23THRUST_200600_302600_NS6detail15normal_iteratorINS9_10device_ptrIxEEEEPS5_jNS1_19radix_merge_compareILb0ELb1ExNS0_19identity_decomposerEEEEE10hipError_tT0_T1_T2_jT3_P12ihipStream_tbPNSt15iterator_traitsISK_E10value_typeEPNSQ_ISL_E10value_typeEPSM_NS1_7vsmem_tEENKUlT_SK_SL_SM_E_clIPxSE_SF_SF_EESJ_SZ_SK_SL_SM_EUlSZ_E1_NS1_11comp_targetILNS1_3genE5ELNS1_11target_archE942ELNS1_3gpuE9ELNS1_3repE0EEENS1_36merge_oddeven_config_static_selectorELNS0_4arch9wavefront6targetE1EEEvSL_ ; -- Begin function _ZN7rocprim17ROCPRIM_400000_NS6detail17trampoline_kernelINS0_14default_configENS1_38merge_sort_block_merge_config_selectorIxNS0_10empty_typeEEEZZNS1_27merge_sort_block_merge_implIS3_N6thrust23THRUST_200600_302600_NS6detail15normal_iteratorINS9_10device_ptrIxEEEEPS5_jNS1_19radix_merge_compareILb0ELb1ExNS0_19identity_decomposerEEEEE10hipError_tT0_T1_T2_jT3_P12ihipStream_tbPNSt15iterator_traitsISK_E10value_typeEPNSQ_ISL_E10value_typeEPSM_NS1_7vsmem_tEENKUlT_SK_SL_SM_E_clIPxSE_SF_SF_EESJ_SZ_SK_SL_SM_EUlSZ_E1_NS1_11comp_targetILNS1_3genE5ELNS1_11target_archE942ELNS1_3gpuE9ELNS1_3repE0EEENS1_36merge_oddeven_config_static_selectorELNS0_4arch9wavefront6targetE1EEEvSL_
	.globl	_ZN7rocprim17ROCPRIM_400000_NS6detail17trampoline_kernelINS0_14default_configENS1_38merge_sort_block_merge_config_selectorIxNS0_10empty_typeEEEZZNS1_27merge_sort_block_merge_implIS3_N6thrust23THRUST_200600_302600_NS6detail15normal_iteratorINS9_10device_ptrIxEEEEPS5_jNS1_19radix_merge_compareILb0ELb1ExNS0_19identity_decomposerEEEEE10hipError_tT0_T1_T2_jT3_P12ihipStream_tbPNSt15iterator_traitsISK_E10value_typeEPNSQ_ISL_E10value_typeEPSM_NS1_7vsmem_tEENKUlT_SK_SL_SM_E_clIPxSE_SF_SF_EESJ_SZ_SK_SL_SM_EUlSZ_E1_NS1_11comp_targetILNS1_3genE5ELNS1_11target_archE942ELNS1_3gpuE9ELNS1_3repE0EEENS1_36merge_oddeven_config_static_selectorELNS0_4arch9wavefront6targetE1EEEvSL_
	.p2align	8
	.type	_ZN7rocprim17ROCPRIM_400000_NS6detail17trampoline_kernelINS0_14default_configENS1_38merge_sort_block_merge_config_selectorIxNS0_10empty_typeEEEZZNS1_27merge_sort_block_merge_implIS3_N6thrust23THRUST_200600_302600_NS6detail15normal_iteratorINS9_10device_ptrIxEEEEPS5_jNS1_19radix_merge_compareILb0ELb1ExNS0_19identity_decomposerEEEEE10hipError_tT0_T1_T2_jT3_P12ihipStream_tbPNSt15iterator_traitsISK_E10value_typeEPNSQ_ISL_E10value_typeEPSM_NS1_7vsmem_tEENKUlT_SK_SL_SM_E_clIPxSE_SF_SF_EESJ_SZ_SK_SL_SM_EUlSZ_E1_NS1_11comp_targetILNS1_3genE5ELNS1_11target_archE942ELNS1_3gpuE9ELNS1_3repE0EEENS1_36merge_oddeven_config_static_selectorELNS0_4arch9wavefront6targetE1EEEvSL_,@function
_ZN7rocprim17ROCPRIM_400000_NS6detail17trampoline_kernelINS0_14default_configENS1_38merge_sort_block_merge_config_selectorIxNS0_10empty_typeEEEZZNS1_27merge_sort_block_merge_implIS3_N6thrust23THRUST_200600_302600_NS6detail15normal_iteratorINS9_10device_ptrIxEEEEPS5_jNS1_19radix_merge_compareILb0ELb1ExNS0_19identity_decomposerEEEEE10hipError_tT0_T1_T2_jT3_P12ihipStream_tbPNSt15iterator_traitsISK_E10value_typeEPNSQ_ISL_E10value_typeEPSM_NS1_7vsmem_tEENKUlT_SK_SL_SM_E_clIPxSE_SF_SF_EESJ_SZ_SK_SL_SM_EUlSZ_E1_NS1_11comp_targetILNS1_3genE5ELNS1_11target_archE942ELNS1_3gpuE9ELNS1_3repE0EEENS1_36merge_oddeven_config_static_selectorELNS0_4arch9wavefront6targetE1EEEvSL_: ; @_ZN7rocprim17ROCPRIM_400000_NS6detail17trampoline_kernelINS0_14default_configENS1_38merge_sort_block_merge_config_selectorIxNS0_10empty_typeEEEZZNS1_27merge_sort_block_merge_implIS3_N6thrust23THRUST_200600_302600_NS6detail15normal_iteratorINS9_10device_ptrIxEEEEPS5_jNS1_19radix_merge_compareILb0ELb1ExNS0_19identity_decomposerEEEEE10hipError_tT0_T1_T2_jT3_P12ihipStream_tbPNSt15iterator_traitsISK_E10value_typeEPNSQ_ISL_E10value_typeEPSM_NS1_7vsmem_tEENKUlT_SK_SL_SM_E_clIPxSE_SF_SF_EESJ_SZ_SK_SL_SM_EUlSZ_E1_NS1_11comp_targetILNS1_3genE5ELNS1_11target_archE942ELNS1_3gpuE9ELNS1_3repE0EEENS1_36merge_oddeven_config_static_selectorELNS0_4arch9wavefront6targetE1EEEvSL_
; %bb.0:
	.section	.rodata,"a",@progbits
	.p2align	6, 0x0
	.amdhsa_kernel _ZN7rocprim17ROCPRIM_400000_NS6detail17trampoline_kernelINS0_14default_configENS1_38merge_sort_block_merge_config_selectorIxNS0_10empty_typeEEEZZNS1_27merge_sort_block_merge_implIS3_N6thrust23THRUST_200600_302600_NS6detail15normal_iteratorINS9_10device_ptrIxEEEEPS5_jNS1_19radix_merge_compareILb0ELb1ExNS0_19identity_decomposerEEEEE10hipError_tT0_T1_T2_jT3_P12ihipStream_tbPNSt15iterator_traitsISK_E10value_typeEPNSQ_ISL_E10value_typeEPSM_NS1_7vsmem_tEENKUlT_SK_SL_SM_E_clIPxSE_SF_SF_EESJ_SZ_SK_SL_SM_EUlSZ_E1_NS1_11comp_targetILNS1_3genE5ELNS1_11target_archE942ELNS1_3gpuE9ELNS1_3repE0EEENS1_36merge_oddeven_config_static_selectorELNS0_4arch9wavefront6targetE1EEEvSL_
		.amdhsa_group_segment_fixed_size 0
		.amdhsa_private_segment_fixed_size 0
		.amdhsa_kernarg_size 48
		.amdhsa_user_sgpr_count 6
		.amdhsa_user_sgpr_private_segment_buffer 1
		.amdhsa_user_sgpr_dispatch_ptr 0
		.amdhsa_user_sgpr_queue_ptr 0
		.amdhsa_user_sgpr_kernarg_segment_ptr 1
		.amdhsa_user_sgpr_dispatch_id 0
		.amdhsa_user_sgpr_flat_scratch_init 0
		.amdhsa_user_sgpr_kernarg_preload_length 0
		.amdhsa_user_sgpr_kernarg_preload_offset 0
		.amdhsa_user_sgpr_private_segment_size 0
		.amdhsa_uses_dynamic_stack 0
		.amdhsa_system_sgpr_private_segment_wavefront_offset 0
		.amdhsa_system_sgpr_workgroup_id_x 1
		.amdhsa_system_sgpr_workgroup_id_y 0
		.amdhsa_system_sgpr_workgroup_id_z 0
		.amdhsa_system_sgpr_workgroup_info 0
		.amdhsa_system_vgpr_workitem_id 0
		.amdhsa_next_free_vgpr 1
		.amdhsa_next_free_sgpr 0
		.amdhsa_accum_offset 4
		.amdhsa_reserve_vcc 0
		.amdhsa_reserve_flat_scratch 0
		.amdhsa_float_round_mode_32 0
		.amdhsa_float_round_mode_16_64 0
		.amdhsa_float_denorm_mode_32 3
		.amdhsa_float_denorm_mode_16_64 3
		.amdhsa_dx10_clamp 1
		.amdhsa_ieee_mode 1
		.amdhsa_fp16_overflow 0
		.amdhsa_tg_split 0
		.amdhsa_exception_fp_ieee_invalid_op 0
		.amdhsa_exception_fp_denorm_src 0
		.amdhsa_exception_fp_ieee_div_zero 0
		.amdhsa_exception_fp_ieee_overflow 0
		.amdhsa_exception_fp_ieee_underflow 0
		.amdhsa_exception_fp_ieee_inexact 0
		.amdhsa_exception_int_div_zero 0
	.end_amdhsa_kernel
	.section	.text._ZN7rocprim17ROCPRIM_400000_NS6detail17trampoline_kernelINS0_14default_configENS1_38merge_sort_block_merge_config_selectorIxNS0_10empty_typeEEEZZNS1_27merge_sort_block_merge_implIS3_N6thrust23THRUST_200600_302600_NS6detail15normal_iteratorINS9_10device_ptrIxEEEEPS5_jNS1_19radix_merge_compareILb0ELb1ExNS0_19identity_decomposerEEEEE10hipError_tT0_T1_T2_jT3_P12ihipStream_tbPNSt15iterator_traitsISK_E10value_typeEPNSQ_ISL_E10value_typeEPSM_NS1_7vsmem_tEENKUlT_SK_SL_SM_E_clIPxSE_SF_SF_EESJ_SZ_SK_SL_SM_EUlSZ_E1_NS1_11comp_targetILNS1_3genE5ELNS1_11target_archE942ELNS1_3gpuE9ELNS1_3repE0EEENS1_36merge_oddeven_config_static_selectorELNS0_4arch9wavefront6targetE1EEEvSL_,"axG",@progbits,_ZN7rocprim17ROCPRIM_400000_NS6detail17trampoline_kernelINS0_14default_configENS1_38merge_sort_block_merge_config_selectorIxNS0_10empty_typeEEEZZNS1_27merge_sort_block_merge_implIS3_N6thrust23THRUST_200600_302600_NS6detail15normal_iteratorINS9_10device_ptrIxEEEEPS5_jNS1_19radix_merge_compareILb0ELb1ExNS0_19identity_decomposerEEEEE10hipError_tT0_T1_T2_jT3_P12ihipStream_tbPNSt15iterator_traitsISK_E10value_typeEPNSQ_ISL_E10value_typeEPSM_NS1_7vsmem_tEENKUlT_SK_SL_SM_E_clIPxSE_SF_SF_EESJ_SZ_SK_SL_SM_EUlSZ_E1_NS1_11comp_targetILNS1_3genE5ELNS1_11target_archE942ELNS1_3gpuE9ELNS1_3repE0EEENS1_36merge_oddeven_config_static_selectorELNS0_4arch9wavefront6targetE1EEEvSL_,comdat
.Lfunc_end1485:
	.size	_ZN7rocprim17ROCPRIM_400000_NS6detail17trampoline_kernelINS0_14default_configENS1_38merge_sort_block_merge_config_selectorIxNS0_10empty_typeEEEZZNS1_27merge_sort_block_merge_implIS3_N6thrust23THRUST_200600_302600_NS6detail15normal_iteratorINS9_10device_ptrIxEEEEPS5_jNS1_19radix_merge_compareILb0ELb1ExNS0_19identity_decomposerEEEEE10hipError_tT0_T1_T2_jT3_P12ihipStream_tbPNSt15iterator_traitsISK_E10value_typeEPNSQ_ISL_E10value_typeEPSM_NS1_7vsmem_tEENKUlT_SK_SL_SM_E_clIPxSE_SF_SF_EESJ_SZ_SK_SL_SM_EUlSZ_E1_NS1_11comp_targetILNS1_3genE5ELNS1_11target_archE942ELNS1_3gpuE9ELNS1_3repE0EEENS1_36merge_oddeven_config_static_selectorELNS0_4arch9wavefront6targetE1EEEvSL_, .Lfunc_end1485-_ZN7rocprim17ROCPRIM_400000_NS6detail17trampoline_kernelINS0_14default_configENS1_38merge_sort_block_merge_config_selectorIxNS0_10empty_typeEEEZZNS1_27merge_sort_block_merge_implIS3_N6thrust23THRUST_200600_302600_NS6detail15normal_iteratorINS9_10device_ptrIxEEEEPS5_jNS1_19radix_merge_compareILb0ELb1ExNS0_19identity_decomposerEEEEE10hipError_tT0_T1_T2_jT3_P12ihipStream_tbPNSt15iterator_traitsISK_E10value_typeEPNSQ_ISL_E10value_typeEPSM_NS1_7vsmem_tEENKUlT_SK_SL_SM_E_clIPxSE_SF_SF_EESJ_SZ_SK_SL_SM_EUlSZ_E1_NS1_11comp_targetILNS1_3genE5ELNS1_11target_archE942ELNS1_3gpuE9ELNS1_3repE0EEENS1_36merge_oddeven_config_static_selectorELNS0_4arch9wavefront6targetE1EEEvSL_
                                        ; -- End function
	.section	.AMDGPU.csdata,"",@progbits
; Kernel info:
; codeLenInByte = 0
; NumSgprs: 4
; NumVgprs: 0
; NumAgprs: 0
; TotalNumVgprs: 0
; ScratchSize: 0
; MemoryBound: 0
; FloatMode: 240
; IeeeMode: 1
; LDSByteSize: 0 bytes/workgroup (compile time only)
; SGPRBlocks: 0
; VGPRBlocks: 0
; NumSGPRsForWavesPerEU: 4
; NumVGPRsForWavesPerEU: 1
; AccumOffset: 4
; Occupancy: 8
; WaveLimiterHint : 0
; COMPUTE_PGM_RSRC2:SCRATCH_EN: 0
; COMPUTE_PGM_RSRC2:USER_SGPR: 6
; COMPUTE_PGM_RSRC2:TRAP_HANDLER: 0
; COMPUTE_PGM_RSRC2:TGID_X_EN: 1
; COMPUTE_PGM_RSRC2:TGID_Y_EN: 0
; COMPUTE_PGM_RSRC2:TGID_Z_EN: 0
; COMPUTE_PGM_RSRC2:TIDIG_COMP_CNT: 0
; COMPUTE_PGM_RSRC3_GFX90A:ACCUM_OFFSET: 0
; COMPUTE_PGM_RSRC3_GFX90A:TG_SPLIT: 0
	.section	.text._ZN7rocprim17ROCPRIM_400000_NS6detail17trampoline_kernelINS0_14default_configENS1_38merge_sort_block_merge_config_selectorIxNS0_10empty_typeEEEZZNS1_27merge_sort_block_merge_implIS3_N6thrust23THRUST_200600_302600_NS6detail15normal_iteratorINS9_10device_ptrIxEEEEPS5_jNS1_19radix_merge_compareILb0ELb1ExNS0_19identity_decomposerEEEEE10hipError_tT0_T1_T2_jT3_P12ihipStream_tbPNSt15iterator_traitsISK_E10value_typeEPNSQ_ISL_E10value_typeEPSM_NS1_7vsmem_tEENKUlT_SK_SL_SM_E_clIPxSE_SF_SF_EESJ_SZ_SK_SL_SM_EUlSZ_E1_NS1_11comp_targetILNS1_3genE4ELNS1_11target_archE910ELNS1_3gpuE8ELNS1_3repE0EEENS1_36merge_oddeven_config_static_selectorELNS0_4arch9wavefront6targetE1EEEvSL_,"axG",@progbits,_ZN7rocprim17ROCPRIM_400000_NS6detail17trampoline_kernelINS0_14default_configENS1_38merge_sort_block_merge_config_selectorIxNS0_10empty_typeEEEZZNS1_27merge_sort_block_merge_implIS3_N6thrust23THRUST_200600_302600_NS6detail15normal_iteratorINS9_10device_ptrIxEEEEPS5_jNS1_19radix_merge_compareILb0ELb1ExNS0_19identity_decomposerEEEEE10hipError_tT0_T1_T2_jT3_P12ihipStream_tbPNSt15iterator_traitsISK_E10value_typeEPNSQ_ISL_E10value_typeEPSM_NS1_7vsmem_tEENKUlT_SK_SL_SM_E_clIPxSE_SF_SF_EESJ_SZ_SK_SL_SM_EUlSZ_E1_NS1_11comp_targetILNS1_3genE4ELNS1_11target_archE910ELNS1_3gpuE8ELNS1_3repE0EEENS1_36merge_oddeven_config_static_selectorELNS0_4arch9wavefront6targetE1EEEvSL_,comdat
	.protected	_ZN7rocprim17ROCPRIM_400000_NS6detail17trampoline_kernelINS0_14default_configENS1_38merge_sort_block_merge_config_selectorIxNS0_10empty_typeEEEZZNS1_27merge_sort_block_merge_implIS3_N6thrust23THRUST_200600_302600_NS6detail15normal_iteratorINS9_10device_ptrIxEEEEPS5_jNS1_19radix_merge_compareILb0ELb1ExNS0_19identity_decomposerEEEEE10hipError_tT0_T1_T2_jT3_P12ihipStream_tbPNSt15iterator_traitsISK_E10value_typeEPNSQ_ISL_E10value_typeEPSM_NS1_7vsmem_tEENKUlT_SK_SL_SM_E_clIPxSE_SF_SF_EESJ_SZ_SK_SL_SM_EUlSZ_E1_NS1_11comp_targetILNS1_3genE4ELNS1_11target_archE910ELNS1_3gpuE8ELNS1_3repE0EEENS1_36merge_oddeven_config_static_selectorELNS0_4arch9wavefront6targetE1EEEvSL_ ; -- Begin function _ZN7rocprim17ROCPRIM_400000_NS6detail17trampoline_kernelINS0_14default_configENS1_38merge_sort_block_merge_config_selectorIxNS0_10empty_typeEEEZZNS1_27merge_sort_block_merge_implIS3_N6thrust23THRUST_200600_302600_NS6detail15normal_iteratorINS9_10device_ptrIxEEEEPS5_jNS1_19radix_merge_compareILb0ELb1ExNS0_19identity_decomposerEEEEE10hipError_tT0_T1_T2_jT3_P12ihipStream_tbPNSt15iterator_traitsISK_E10value_typeEPNSQ_ISL_E10value_typeEPSM_NS1_7vsmem_tEENKUlT_SK_SL_SM_E_clIPxSE_SF_SF_EESJ_SZ_SK_SL_SM_EUlSZ_E1_NS1_11comp_targetILNS1_3genE4ELNS1_11target_archE910ELNS1_3gpuE8ELNS1_3repE0EEENS1_36merge_oddeven_config_static_selectorELNS0_4arch9wavefront6targetE1EEEvSL_
	.globl	_ZN7rocprim17ROCPRIM_400000_NS6detail17trampoline_kernelINS0_14default_configENS1_38merge_sort_block_merge_config_selectorIxNS0_10empty_typeEEEZZNS1_27merge_sort_block_merge_implIS3_N6thrust23THRUST_200600_302600_NS6detail15normal_iteratorINS9_10device_ptrIxEEEEPS5_jNS1_19radix_merge_compareILb0ELb1ExNS0_19identity_decomposerEEEEE10hipError_tT0_T1_T2_jT3_P12ihipStream_tbPNSt15iterator_traitsISK_E10value_typeEPNSQ_ISL_E10value_typeEPSM_NS1_7vsmem_tEENKUlT_SK_SL_SM_E_clIPxSE_SF_SF_EESJ_SZ_SK_SL_SM_EUlSZ_E1_NS1_11comp_targetILNS1_3genE4ELNS1_11target_archE910ELNS1_3gpuE8ELNS1_3repE0EEENS1_36merge_oddeven_config_static_selectorELNS0_4arch9wavefront6targetE1EEEvSL_
	.p2align	8
	.type	_ZN7rocprim17ROCPRIM_400000_NS6detail17trampoline_kernelINS0_14default_configENS1_38merge_sort_block_merge_config_selectorIxNS0_10empty_typeEEEZZNS1_27merge_sort_block_merge_implIS3_N6thrust23THRUST_200600_302600_NS6detail15normal_iteratorINS9_10device_ptrIxEEEEPS5_jNS1_19radix_merge_compareILb0ELb1ExNS0_19identity_decomposerEEEEE10hipError_tT0_T1_T2_jT3_P12ihipStream_tbPNSt15iterator_traitsISK_E10value_typeEPNSQ_ISL_E10value_typeEPSM_NS1_7vsmem_tEENKUlT_SK_SL_SM_E_clIPxSE_SF_SF_EESJ_SZ_SK_SL_SM_EUlSZ_E1_NS1_11comp_targetILNS1_3genE4ELNS1_11target_archE910ELNS1_3gpuE8ELNS1_3repE0EEENS1_36merge_oddeven_config_static_selectorELNS0_4arch9wavefront6targetE1EEEvSL_,@function
_ZN7rocprim17ROCPRIM_400000_NS6detail17trampoline_kernelINS0_14default_configENS1_38merge_sort_block_merge_config_selectorIxNS0_10empty_typeEEEZZNS1_27merge_sort_block_merge_implIS3_N6thrust23THRUST_200600_302600_NS6detail15normal_iteratorINS9_10device_ptrIxEEEEPS5_jNS1_19radix_merge_compareILb0ELb1ExNS0_19identity_decomposerEEEEE10hipError_tT0_T1_T2_jT3_P12ihipStream_tbPNSt15iterator_traitsISK_E10value_typeEPNSQ_ISL_E10value_typeEPSM_NS1_7vsmem_tEENKUlT_SK_SL_SM_E_clIPxSE_SF_SF_EESJ_SZ_SK_SL_SM_EUlSZ_E1_NS1_11comp_targetILNS1_3genE4ELNS1_11target_archE910ELNS1_3gpuE8ELNS1_3repE0EEENS1_36merge_oddeven_config_static_selectorELNS0_4arch9wavefront6targetE1EEEvSL_: ; @_ZN7rocprim17ROCPRIM_400000_NS6detail17trampoline_kernelINS0_14default_configENS1_38merge_sort_block_merge_config_selectorIxNS0_10empty_typeEEEZZNS1_27merge_sort_block_merge_implIS3_N6thrust23THRUST_200600_302600_NS6detail15normal_iteratorINS9_10device_ptrIxEEEEPS5_jNS1_19radix_merge_compareILb0ELb1ExNS0_19identity_decomposerEEEEE10hipError_tT0_T1_T2_jT3_P12ihipStream_tbPNSt15iterator_traitsISK_E10value_typeEPNSQ_ISL_E10value_typeEPSM_NS1_7vsmem_tEENKUlT_SK_SL_SM_E_clIPxSE_SF_SF_EESJ_SZ_SK_SL_SM_EUlSZ_E1_NS1_11comp_targetILNS1_3genE4ELNS1_11target_archE910ELNS1_3gpuE8ELNS1_3repE0EEENS1_36merge_oddeven_config_static_selectorELNS0_4arch9wavefront6targetE1EEEvSL_
; %bb.0:
	s_load_dword s18, s[4:5], 0x20
	s_waitcnt lgkmcnt(0)
	s_lshr_b32 s0, s18, 8
	s_cmp_lg_u32 s6, s0
	s_cselect_b64 s[14:15], -1, 0
	s_cmp_eq_u32 s6, s0
	s_cselect_b64 s[12:13], -1, 0
	s_lshl_b32 s16, s6, 8
	s_sub_i32 s0, s18, s16
	v_cmp_gt_u32_e64 s[2:3], s0, v0
	s_or_b64 s[0:1], s[14:15], s[2:3]
	s_and_saveexec_b64 s[8:9], s[0:1]
	s_cbranch_execz .LBB1486_20
; %bb.1:
	s_load_dwordx4 s[8:11], s[4:5], 0x0
	s_load_dword s19, s[4:5], 0x24
	s_mov_b32 s17, 0
	s_lshl_b64 s[0:1], s[16:17], 3
	v_lshlrev_b32_e32 v1, 3, v0
	s_waitcnt lgkmcnt(0)
	s_add_u32 s0, s8, s0
	s_addc_u32 s1, s9, s1
	global_load_dwordx2 v[2:3], v1, s[0:1]
	s_lshr_b32 s0, s19, 8
	s_sub_i32 s1, 0, s0
	s_and_b32 s1, s6, s1
	s_and_b32 s0, s1, s0
	s_lshl_b32 s20, s1, 8
	s_sub_i32 s17, 0, s19
	s_cmp_eq_u32 s0, 0
	s_cselect_b64 s[0:1], -1, 0
	s_and_b64 s[6:7], s[0:1], exec
	s_cselect_b32 s17, s19, s17
	s_add_i32 s17, s17, s20
	s_cmp_lt_u32 s17, s18
	v_add_u32_e32 v0, s16, v0
	s_cbranch_scc1 .LBB1486_3
; %bb.2:
	v_cmp_gt_u32_e32 vcc, s18, v0
	s_or_b64 s[6:7], vcc, s[14:15]
	s_and_b64 s[6:7], s[6:7], exec
	s_cbranch_execz .LBB1486_4
	s_branch .LBB1486_18
.LBB1486_3:
	s_mov_b64 s[6:7], 0
.LBB1486_4:
	s_load_dwordx2 s[4:5], s[4:5], 0x28
	s_min_u32 s14, s17, s18
	s_min_u32 s16, s20, s14
	s_add_i32 s20, s20, s14
	s_add_i32 s15, s14, s19
	v_subrev_u32_e32 v0, s20, v0
	s_min_u32 s15, s15, s18
	v_add_u32_e32 v6, s16, v0
	s_and_b64 vcc, exec, s[12:13]
	s_cbranch_vccz .LBB1486_12
; %bb.5:
                                        ; implicit-def: $vgpr0
	s_and_saveexec_b64 s[12:13], s[2:3]
	s_cbranch_execz .LBB1486_11
; %bb.6:
	s_cmp_ge_u32 s17, s15
	v_mov_b32_e32 v7, s14
	s_cbranch_scc1 .LBB1486_10
; %bb.7:
	s_waitcnt vmcnt(0) lgkmcnt(0)
	v_and_b32_e32 v1, s5, v3
	v_and_b32_e32 v0, s4, v2
	s_mov_b64 s[2:3], 0
	v_mov_b32_e32 v8, s15
	v_mov_b32_e32 v7, s14
	;; [unrolled: 1-line block ×4, first 2 shown]
.LBB1486_8:                             ; =>This Inner Loop Header: Depth=1
	v_add_u32_e32 v4, v7, v8
	v_lshrrev_b32_e32 v4, 1, v4
	v_lshlrev_b64 v[10:11], 3, v[4:5]
	v_add_co_u32_e32 v10, vcc, s8, v10
	v_addc_co_u32_e32 v11, vcc, v9, v11, vcc
	global_load_dwordx2 v[10:11], v[10:11], off
	v_add_u32_e32 v12, 1, v4
	s_waitcnt vmcnt(0)
	v_and_b32_e32 v11, s5, v11
	v_and_b32_e32 v10, s4, v10
	v_cmp_gt_i64_e32 vcc, v[0:1], v[10:11]
	v_cndmask_b32_e64 v13, 0, 1, vcc
	v_cmp_le_i64_e32 vcc, v[10:11], v[0:1]
	v_cndmask_b32_e64 v10, 0, 1, vcc
	v_cndmask_b32_e64 v10, v10, v13, s[0:1]
	v_and_b32_e32 v10, 1, v10
	v_cmp_eq_u32_e32 vcc, 1, v10
	v_cndmask_b32_e32 v8, v4, v8, vcc
	v_cndmask_b32_e32 v7, v7, v12, vcc
	v_cmp_ge_u32_e32 vcc, v7, v8
	s_or_b64 s[2:3], vcc, s[2:3]
	s_andn2_b64 exec, exec, s[2:3]
	s_cbranch_execnz .LBB1486_8
; %bb.9:
	s_or_b64 exec, exec, s[2:3]
.LBB1486_10:
	v_add_u32_e32 v0, v7, v6
	s_or_b64 s[6:7], s[6:7], exec
.LBB1486_11:
	s_or_b64 exec, exec, s[12:13]
	s_branch .LBB1486_18
.LBB1486_12:
                                        ; implicit-def: $vgpr0
	s_cbranch_execz .LBB1486_18
; %bb.13:
	s_cmp_ge_u32 s17, s15
	v_mov_b32_e32 v7, s14
	s_cbranch_scc1 .LBB1486_17
; %bb.14:
	s_waitcnt vmcnt(0) lgkmcnt(0)
	v_and_b32_e32 v1, s5, v3
	v_and_b32_e32 v0, s4, v2
	s_mov_b64 s[2:3], 0
	v_mov_b32_e32 v8, s15
	v_mov_b32_e32 v7, s14
	;; [unrolled: 1-line block ×4, first 2 shown]
.LBB1486_15:                            ; =>This Inner Loop Header: Depth=1
	v_add_u32_e32 v4, v7, v8
	v_lshrrev_b32_e32 v4, 1, v4
	v_lshlrev_b64 v[10:11], 3, v[4:5]
	v_add_co_u32_e32 v10, vcc, s8, v10
	v_addc_co_u32_e32 v11, vcc, v9, v11, vcc
	global_load_dwordx2 v[10:11], v[10:11], off
	v_add_u32_e32 v12, 1, v4
	s_waitcnt vmcnt(0)
	v_and_b32_e32 v11, s5, v11
	v_and_b32_e32 v10, s4, v10
	v_cmp_gt_i64_e32 vcc, v[0:1], v[10:11]
	v_cndmask_b32_e64 v13, 0, 1, vcc
	v_cmp_le_i64_e32 vcc, v[10:11], v[0:1]
	v_cndmask_b32_e64 v10, 0, 1, vcc
	v_cndmask_b32_e64 v10, v10, v13, s[0:1]
	v_and_b32_e32 v10, 1, v10
	v_cmp_eq_u32_e32 vcc, 1, v10
	v_cndmask_b32_e32 v8, v4, v8, vcc
	v_cndmask_b32_e32 v7, v7, v12, vcc
	v_cmp_ge_u32_e32 vcc, v7, v8
	s_or_b64 s[2:3], vcc, s[2:3]
	s_andn2_b64 exec, exec, s[2:3]
	s_cbranch_execnz .LBB1486_15
; %bb.16:
	s_or_b64 exec, exec, s[2:3]
.LBB1486_17:
	v_add_u32_e32 v0, v7, v6
	s_mov_b64 s[6:7], -1
.LBB1486_18:
	s_and_b64 exec, exec, s[6:7]
	s_cbranch_execz .LBB1486_20
; %bb.19:
	v_mov_b32_e32 v1, 0
	v_lshlrev_b64 v[0:1], 3, v[0:1]
	v_mov_b32_e32 v4, s11
	v_add_co_u32_e32 v0, vcc, s10, v0
	v_addc_co_u32_e32 v1, vcc, v4, v1, vcc
	s_waitcnt vmcnt(0)
	global_store_dwordx2 v[0:1], v[2:3], off
.LBB1486_20:
	s_endpgm
	.section	.rodata,"a",@progbits
	.p2align	6, 0x0
	.amdhsa_kernel _ZN7rocprim17ROCPRIM_400000_NS6detail17trampoline_kernelINS0_14default_configENS1_38merge_sort_block_merge_config_selectorIxNS0_10empty_typeEEEZZNS1_27merge_sort_block_merge_implIS3_N6thrust23THRUST_200600_302600_NS6detail15normal_iteratorINS9_10device_ptrIxEEEEPS5_jNS1_19radix_merge_compareILb0ELb1ExNS0_19identity_decomposerEEEEE10hipError_tT0_T1_T2_jT3_P12ihipStream_tbPNSt15iterator_traitsISK_E10value_typeEPNSQ_ISL_E10value_typeEPSM_NS1_7vsmem_tEENKUlT_SK_SL_SM_E_clIPxSE_SF_SF_EESJ_SZ_SK_SL_SM_EUlSZ_E1_NS1_11comp_targetILNS1_3genE4ELNS1_11target_archE910ELNS1_3gpuE8ELNS1_3repE0EEENS1_36merge_oddeven_config_static_selectorELNS0_4arch9wavefront6targetE1EEEvSL_
		.amdhsa_group_segment_fixed_size 0
		.amdhsa_private_segment_fixed_size 0
		.amdhsa_kernarg_size 48
		.amdhsa_user_sgpr_count 6
		.amdhsa_user_sgpr_private_segment_buffer 1
		.amdhsa_user_sgpr_dispatch_ptr 0
		.amdhsa_user_sgpr_queue_ptr 0
		.amdhsa_user_sgpr_kernarg_segment_ptr 1
		.amdhsa_user_sgpr_dispatch_id 0
		.amdhsa_user_sgpr_flat_scratch_init 0
		.amdhsa_user_sgpr_kernarg_preload_length 0
		.amdhsa_user_sgpr_kernarg_preload_offset 0
		.amdhsa_user_sgpr_private_segment_size 0
		.amdhsa_uses_dynamic_stack 0
		.amdhsa_system_sgpr_private_segment_wavefront_offset 0
		.amdhsa_system_sgpr_workgroup_id_x 1
		.amdhsa_system_sgpr_workgroup_id_y 0
		.amdhsa_system_sgpr_workgroup_id_z 0
		.amdhsa_system_sgpr_workgroup_info 0
		.amdhsa_system_vgpr_workitem_id 0
		.amdhsa_next_free_vgpr 14
		.amdhsa_next_free_sgpr 21
		.amdhsa_accum_offset 16
		.amdhsa_reserve_vcc 1
		.amdhsa_reserve_flat_scratch 0
		.amdhsa_float_round_mode_32 0
		.amdhsa_float_round_mode_16_64 0
		.amdhsa_float_denorm_mode_32 3
		.amdhsa_float_denorm_mode_16_64 3
		.amdhsa_dx10_clamp 1
		.amdhsa_ieee_mode 1
		.amdhsa_fp16_overflow 0
		.amdhsa_tg_split 0
		.amdhsa_exception_fp_ieee_invalid_op 0
		.amdhsa_exception_fp_denorm_src 0
		.amdhsa_exception_fp_ieee_div_zero 0
		.amdhsa_exception_fp_ieee_overflow 0
		.amdhsa_exception_fp_ieee_underflow 0
		.amdhsa_exception_fp_ieee_inexact 0
		.amdhsa_exception_int_div_zero 0
	.end_amdhsa_kernel
	.section	.text._ZN7rocprim17ROCPRIM_400000_NS6detail17trampoline_kernelINS0_14default_configENS1_38merge_sort_block_merge_config_selectorIxNS0_10empty_typeEEEZZNS1_27merge_sort_block_merge_implIS3_N6thrust23THRUST_200600_302600_NS6detail15normal_iteratorINS9_10device_ptrIxEEEEPS5_jNS1_19radix_merge_compareILb0ELb1ExNS0_19identity_decomposerEEEEE10hipError_tT0_T1_T2_jT3_P12ihipStream_tbPNSt15iterator_traitsISK_E10value_typeEPNSQ_ISL_E10value_typeEPSM_NS1_7vsmem_tEENKUlT_SK_SL_SM_E_clIPxSE_SF_SF_EESJ_SZ_SK_SL_SM_EUlSZ_E1_NS1_11comp_targetILNS1_3genE4ELNS1_11target_archE910ELNS1_3gpuE8ELNS1_3repE0EEENS1_36merge_oddeven_config_static_selectorELNS0_4arch9wavefront6targetE1EEEvSL_,"axG",@progbits,_ZN7rocprim17ROCPRIM_400000_NS6detail17trampoline_kernelINS0_14default_configENS1_38merge_sort_block_merge_config_selectorIxNS0_10empty_typeEEEZZNS1_27merge_sort_block_merge_implIS3_N6thrust23THRUST_200600_302600_NS6detail15normal_iteratorINS9_10device_ptrIxEEEEPS5_jNS1_19radix_merge_compareILb0ELb1ExNS0_19identity_decomposerEEEEE10hipError_tT0_T1_T2_jT3_P12ihipStream_tbPNSt15iterator_traitsISK_E10value_typeEPNSQ_ISL_E10value_typeEPSM_NS1_7vsmem_tEENKUlT_SK_SL_SM_E_clIPxSE_SF_SF_EESJ_SZ_SK_SL_SM_EUlSZ_E1_NS1_11comp_targetILNS1_3genE4ELNS1_11target_archE910ELNS1_3gpuE8ELNS1_3repE0EEENS1_36merge_oddeven_config_static_selectorELNS0_4arch9wavefront6targetE1EEEvSL_,comdat
.Lfunc_end1486:
	.size	_ZN7rocprim17ROCPRIM_400000_NS6detail17trampoline_kernelINS0_14default_configENS1_38merge_sort_block_merge_config_selectorIxNS0_10empty_typeEEEZZNS1_27merge_sort_block_merge_implIS3_N6thrust23THRUST_200600_302600_NS6detail15normal_iteratorINS9_10device_ptrIxEEEEPS5_jNS1_19radix_merge_compareILb0ELb1ExNS0_19identity_decomposerEEEEE10hipError_tT0_T1_T2_jT3_P12ihipStream_tbPNSt15iterator_traitsISK_E10value_typeEPNSQ_ISL_E10value_typeEPSM_NS1_7vsmem_tEENKUlT_SK_SL_SM_E_clIPxSE_SF_SF_EESJ_SZ_SK_SL_SM_EUlSZ_E1_NS1_11comp_targetILNS1_3genE4ELNS1_11target_archE910ELNS1_3gpuE8ELNS1_3repE0EEENS1_36merge_oddeven_config_static_selectorELNS0_4arch9wavefront6targetE1EEEvSL_, .Lfunc_end1486-_ZN7rocprim17ROCPRIM_400000_NS6detail17trampoline_kernelINS0_14default_configENS1_38merge_sort_block_merge_config_selectorIxNS0_10empty_typeEEEZZNS1_27merge_sort_block_merge_implIS3_N6thrust23THRUST_200600_302600_NS6detail15normal_iteratorINS9_10device_ptrIxEEEEPS5_jNS1_19radix_merge_compareILb0ELb1ExNS0_19identity_decomposerEEEEE10hipError_tT0_T1_T2_jT3_P12ihipStream_tbPNSt15iterator_traitsISK_E10value_typeEPNSQ_ISL_E10value_typeEPSM_NS1_7vsmem_tEENKUlT_SK_SL_SM_E_clIPxSE_SF_SF_EESJ_SZ_SK_SL_SM_EUlSZ_E1_NS1_11comp_targetILNS1_3genE4ELNS1_11target_archE910ELNS1_3gpuE8ELNS1_3repE0EEENS1_36merge_oddeven_config_static_selectorELNS0_4arch9wavefront6targetE1EEEvSL_
                                        ; -- End function
	.section	.AMDGPU.csdata,"",@progbits
; Kernel info:
; codeLenInByte = 636
; NumSgprs: 25
; NumVgprs: 14
; NumAgprs: 0
; TotalNumVgprs: 14
; ScratchSize: 0
; MemoryBound: 0
; FloatMode: 240
; IeeeMode: 1
; LDSByteSize: 0 bytes/workgroup (compile time only)
; SGPRBlocks: 3
; VGPRBlocks: 1
; NumSGPRsForWavesPerEU: 25
; NumVGPRsForWavesPerEU: 14
; AccumOffset: 16
; Occupancy: 8
; WaveLimiterHint : 0
; COMPUTE_PGM_RSRC2:SCRATCH_EN: 0
; COMPUTE_PGM_RSRC2:USER_SGPR: 6
; COMPUTE_PGM_RSRC2:TRAP_HANDLER: 0
; COMPUTE_PGM_RSRC2:TGID_X_EN: 1
; COMPUTE_PGM_RSRC2:TGID_Y_EN: 0
; COMPUTE_PGM_RSRC2:TGID_Z_EN: 0
; COMPUTE_PGM_RSRC2:TIDIG_COMP_CNT: 0
; COMPUTE_PGM_RSRC3_GFX90A:ACCUM_OFFSET: 3
; COMPUTE_PGM_RSRC3_GFX90A:TG_SPLIT: 0
	.section	.text._ZN7rocprim17ROCPRIM_400000_NS6detail17trampoline_kernelINS0_14default_configENS1_38merge_sort_block_merge_config_selectorIxNS0_10empty_typeEEEZZNS1_27merge_sort_block_merge_implIS3_N6thrust23THRUST_200600_302600_NS6detail15normal_iteratorINS9_10device_ptrIxEEEEPS5_jNS1_19radix_merge_compareILb0ELb1ExNS0_19identity_decomposerEEEEE10hipError_tT0_T1_T2_jT3_P12ihipStream_tbPNSt15iterator_traitsISK_E10value_typeEPNSQ_ISL_E10value_typeEPSM_NS1_7vsmem_tEENKUlT_SK_SL_SM_E_clIPxSE_SF_SF_EESJ_SZ_SK_SL_SM_EUlSZ_E1_NS1_11comp_targetILNS1_3genE3ELNS1_11target_archE908ELNS1_3gpuE7ELNS1_3repE0EEENS1_36merge_oddeven_config_static_selectorELNS0_4arch9wavefront6targetE1EEEvSL_,"axG",@progbits,_ZN7rocprim17ROCPRIM_400000_NS6detail17trampoline_kernelINS0_14default_configENS1_38merge_sort_block_merge_config_selectorIxNS0_10empty_typeEEEZZNS1_27merge_sort_block_merge_implIS3_N6thrust23THRUST_200600_302600_NS6detail15normal_iteratorINS9_10device_ptrIxEEEEPS5_jNS1_19radix_merge_compareILb0ELb1ExNS0_19identity_decomposerEEEEE10hipError_tT0_T1_T2_jT3_P12ihipStream_tbPNSt15iterator_traitsISK_E10value_typeEPNSQ_ISL_E10value_typeEPSM_NS1_7vsmem_tEENKUlT_SK_SL_SM_E_clIPxSE_SF_SF_EESJ_SZ_SK_SL_SM_EUlSZ_E1_NS1_11comp_targetILNS1_3genE3ELNS1_11target_archE908ELNS1_3gpuE7ELNS1_3repE0EEENS1_36merge_oddeven_config_static_selectorELNS0_4arch9wavefront6targetE1EEEvSL_,comdat
	.protected	_ZN7rocprim17ROCPRIM_400000_NS6detail17trampoline_kernelINS0_14default_configENS1_38merge_sort_block_merge_config_selectorIxNS0_10empty_typeEEEZZNS1_27merge_sort_block_merge_implIS3_N6thrust23THRUST_200600_302600_NS6detail15normal_iteratorINS9_10device_ptrIxEEEEPS5_jNS1_19radix_merge_compareILb0ELb1ExNS0_19identity_decomposerEEEEE10hipError_tT0_T1_T2_jT3_P12ihipStream_tbPNSt15iterator_traitsISK_E10value_typeEPNSQ_ISL_E10value_typeEPSM_NS1_7vsmem_tEENKUlT_SK_SL_SM_E_clIPxSE_SF_SF_EESJ_SZ_SK_SL_SM_EUlSZ_E1_NS1_11comp_targetILNS1_3genE3ELNS1_11target_archE908ELNS1_3gpuE7ELNS1_3repE0EEENS1_36merge_oddeven_config_static_selectorELNS0_4arch9wavefront6targetE1EEEvSL_ ; -- Begin function _ZN7rocprim17ROCPRIM_400000_NS6detail17trampoline_kernelINS0_14default_configENS1_38merge_sort_block_merge_config_selectorIxNS0_10empty_typeEEEZZNS1_27merge_sort_block_merge_implIS3_N6thrust23THRUST_200600_302600_NS6detail15normal_iteratorINS9_10device_ptrIxEEEEPS5_jNS1_19radix_merge_compareILb0ELb1ExNS0_19identity_decomposerEEEEE10hipError_tT0_T1_T2_jT3_P12ihipStream_tbPNSt15iterator_traitsISK_E10value_typeEPNSQ_ISL_E10value_typeEPSM_NS1_7vsmem_tEENKUlT_SK_SL_SM_E_clIPxSE_SF_SF_EESJ_SZ_SK_SL_SM_EUlSZ_E1_NS1_11comp_targetILNS1_3genE3ELNS1_11target_archE908ELNS1_3gpuE7ELNS1_3repE0EEENS1_36merge_oddeven_config_static_selectorELNS0_4arch9wavefront6targetE1EEEvSL_
	.globl	_ZN7rocprim17ROCPRIM_400000_NS6detail17trampoline_kernelINS0_14default_configENS1_38merge_sort_block_merge_config_selectorIxNS0_10empty_typeEEEZZNS1_27merge_sort_block_merge_implIS3_N6thrust23THRUST_200600_302600_NS6detail15normal_iteratorINS9_10device_ptrIxEEEEPS5_jNS1_19radix_merge_compareILb0ELb1ExNS0_19identity_decomposerEEEEE10hipError_tT0_T1_T2_jT3_P12ihipStream_tbPNSt15iterator_traitsISK_E10value_typeEPNSQ_ISL_E10value_typeEPSM_NS1_7vsmem_tEENKUlT_SK_SL_SM_E_clIPxSE_SF_SF_EESJ_SZ_SK_SL_SM_EUlSZ_E1_NS1_11comp_targetILNS1_3genE3ELNS1_11target_archE908ELNS1_3gpuE7ELNS1_3repE0EEENS1_36merge_oddeven_config_static_selectorELNS0_4arch9wavefront6targetE1EEEvSL_
	.p2align	8
	.type	_ZN7rocprim17ROCPRIM_400000_NS6detail17trampoline_kernelINS0_14default_configENS1_38merge_sort_block_merge_config_selectorIxNS0_10empty_typeEEEZZNS1_27merge_sort_block_merge_implIS3_N6thrust23THRUST_200600_302600_NS6detail15normal_iteratorINS9_10device_ptrIxEEEEPS5_jNS1_19radix_merge_compareILb0ELb1ExNS0_19identity_decomposerEEEEE10hipError_tT0_T1_T2_jT3_P12ihipStream_tbPNSt15iterator_traitsISK_E10value_typeEPNSQ_ISL_E10value_typeEPSM_NS1_7vsmem_tEENKUlT_SK_SL_SM_E_clIPxSE_SF_SF_EESJ_SZ_SK_SL_SM_EUlSZ_E1_NS1_11comp_targetILNS1_3genE3ELNS1_11target_archE908ELNS1_3gpuE7ELNS1_3repE0EEENS1_36merge_oddeven_config_static_selectorELNS0_4arch9wavefront6targetE1EEEvSL_,@function
_ZN7rocprim17ROCPRIM_400000_NS6detail17trampoline_kernelINS0_14default_configENS1_38merge_sort_block_merge_config_selectorIxNS0_10empty_typeEEEZZNS1_27merge_sort_block_merge_implIS3_N6thrust23THRUST_200600_302600_NS6detail15normal_iteratorINS9_10device_ptrIxEEEEPS5_jNS1_19radix_merge_compareILb0ELb1ExNS0_19identity_decomposerEEEEE10hipError_tT0_T1_T2_jT3_P12ihipStream_tbPNSt15iterator_traitsISK_E10value_typeEPNSQ_ISL_E10value_typeEPSM_NS1_7vsmem_tEENKUlT_SK_SL_SM_E_clIPxSE_SF_SF_EESJ_SZ_SK_SL_SM_EUlSZ_E1_NS1_11comp_targetILNS1_3genE3ELNS1_11target_archE908ELNS1_3gpuE7ELNS1_3repE0EEENS1_36merge_oddeven_config_static_selectorELNS0_4arch9wavefront6targetE1EEEvSL_: ; @_ZN7rocprim17ROCPRIM_400000_NS6detail17trampoline_kernelINS0_14default_configENS1_38merge_sort_block_merge_config_selectorIxNS0_10empty_typeEEEZZNS1_27merge_sort_block_merge_implIS3_N6thrust23THRUST_200600_302600_NS6detail15normal_iteratorINS9_10device_ptrIxEEEEPS5_jNS1_19radix_merge_compareILb0ELb1ExNS0_19identity_decomposerEEEEE10hipError_tT0_T1_T2_jT3_P12ihipStream_tbPNSt15iterator_traitsISK_E10value_typeEPNSQ_ISL_E10value_typeEPSM_NS1_7vsmem_tEENKUlT_SK_SL_SM_E_clIPxSE_SF_SF_EESJ_SZ_SK_SL_SM_EUlSZ_E1_NS1_11comp_targetILNS1_3genE3ELNS1_11target_archE908ELNS1_3gpuE7ELNS1_3repE0EEENS1_36merge_oddeven_config_static_selectorELNS0_4arch9wavefront6targetE1EEEvSL_
; %bb.0:
	.section	.rodata,"a",@progbits
	.p2align	6, 0x0
	.amdhsa_kernel _ZN7rocprim17ROCPRIM_400000_NS6detail17trampoline_kernelINS0_14default_configENS1_38merge_sort_block_merge_config_selectorIxNS0_10empty_typeEEEZZNS1_27merge_sort_block_merge_implIS3_N6thrust23THRUST_200600_302600_NS6detail15normal_iteratorINS9_10device_ptrIxEEEEPS5_jNS1_19radix_merge_compareILb0ELb1ExNS0_19identity_decomposerEEEEE10hipError_tT0_T1_T2_jT3_P12ihipStream_tbPNSt15iterator_traitsISK_E10value_typeEPNSQ_ISL_E10value_typeEPSM_NS1_7vsmem_tEENKUlT_SK_SL_SM_E_clIPxSE_SF_SF_EESJ_SZ_SK_SL_SM_EUlSZ_E1_NS1_11comp_targetILNS1_3genE3ELNS1_11target_archE908ELNS1_3gpuE7ELNS1_3repE0EEENS1_36merge_oddeven_config_static_selectorELNS0_4arch9wavefront6targetE1EEEvSL_
		.amdhsa_group_segment_fixed_size 0
		.amdhsa_private_segment_fixed_size 0
		.amdhsa_kernarg_size 48
		.amdhsa_user_sgpr_count 6
		.amdhsa_user_sgpr_private_segment_buffer 1
		.amdhsa_user_sgpr_dispatch_ptr 0
		.amdhsa_user_sgpr_queue_ptr 0
		.amdhsa_user_sgpr_kernarg_segment_ptr 1
		.amdhsa_user_sgpr_dispatch_id 0
		.amdhsa_user_sgpr_flat_scratch_init 0
		.amdhsa_user_sgpr_kernarg_preload_length 0
		.amdhsa_user_sgpr_kernarg_preload_offset 0
		.amdhsa_user_sgpr_private_segment_size 0
		.amdhsa_uses_dynamic_stack 0
		.amdhsa_system_sgpr_private_segment_wavefront_offset 0
		.amdhsa_system_sgpr_workgroup_id_x 1
		.amdhsa_system_sgpr_workgroup_id_y 0
		.amdhsa_system_sgpr_workgroup_id_z 0
		.amdhsa_system_sgpr_workgroup_info 0
		.amdhsa_system_vgpr_workitem_id 0
		.amdhsa_next_free_vgpr 1
		.amdhsa_next_free_sgpr 0
		.amdhsa_accum_offset 4
		.amdhsa_reserve_vcc 0
		.amdhsa_reserve_flat_scratch 0
		.amdhsa_float_round_mode_32 0
		.amdhsa_float_round_mode_16_64 0
		.amdhsa_float_denorm_mode_32 3
		.amdhsa_float_denorm_mode_16_64 3
		.amdhsa_dx10_clamp 1
		.amdhsa_ieee_mode 1
		.amdhsa_fp16_overflow 0
		.amdhsa_tg_split 0
		.amdhsa_exception_fp_ieee_invalid_op 0
		.amdhsa_exception_fp_denorm_src 0
		.amdhsa_exception_fp_ieee_div_zero 0
		.amdhsa_exception_fp_ieee_overflow 0
		.amdhsa_exception_fp_ieee_underflow 0
		.amdhsa_exception_fp_ieee_inexact 0
		.amdhsa_exception_int_div_zero 0
	.end_amdhsa_kernel
	.section	.text._ZN7rocprim17ROCPRIM_400000_NS6detail17trampoline_kernelINS0_14default_configENS1_38merge_sort_block_merge_config_selectorIxNS0_10empty_typeEEEZZNS1_27merge_sort_block_merge_implIS3_N6thrust23THRUST_200600_302600_NS6detail15normal_iteratorINS9_10device_ptrIxEEEEPS5_jNS1_19radix_merge_compareILb0ELb1ExNS0_19identity_decomposerEEEEE10hipError_tT0_T1_T2_jT3_P12ihipStream_tbPNSt15iterator_traitsISK_E10value_typeEPNSQ_ISL_E10value_typeEPSM_NS1_7vsmem_tEENKUlT_SK_SL_SM_E_clIPxSE_SF_SF_EESJ_SZ_SK_SL_SM_EUlSZ_E1_NS1_11comp_targetILNS1_3genE3ELNS1_11target_archE908ELNS1_3gpuE7ELNS1_3repE0EEENS1_36merge_oddeven_config_static_selectorELNS0_4arch9wavefront6targetE1EEEvSL_,"axG",@progbits,_ZN7rocprim17ROCPRIM_400000_NS6detail17trampoline_kernelINS0_14default_configENS1_38merge_sort_block_merge_config_selectorIxNS0_10empty_typeEEEZZNS1_27merge_sort_block_merge_implIS3_N6thrust23THRUST_200600_302600_NS6detail15normal_iteratorINS9_10device_ptrIxEEEEPS5_jNS1_19radix_merge_compareILb0ELb1ExNS0_19identity_decomposerEEEEE10hipError_tT0_T1_T2_jT3_P12ihipStream_tbPNSt15iterator_traitsISK_E10value_typeEPNSQ_ISL_E10value_typeEPSM_NS1_7vsmem_tEENKUlT_SK_SL_SM_E_clIPxSE_SF_SF_EESJ_SZ_SK_SL_SM_EUlSZ_E1_NS1_11comp_targetILNS1_3genE3ELNS1_11target_archE908ELNS1_3gpuE7ELNS1_3repE0EEENS1_36merge_oddeven_config_static_selectorELNS0_4arch9wavefront6targetE1EEEvSL_,comdat
.Lfunc_end1487:
	.size	_ZN7rocprim17ROCPRIM_400000_NS6detail17trampoline_kernelINS0_14default_configENS1_38merge_sort_block_merge_config_selectorIxNS0_10empty_typeEEEZZNS1_27merge_sort_block_merge_implIS3_N6thrust23THRUST_200600_302600_NS6detail15normal_iteratorINS9_10device_ptrIxEEEEPS5_jNS1_19radix_merge_compareILb0ELb1ExNS0_19identity_decomposerEEEEE10hipError_tT0_T1_T2_jT3_P12ihipStream_tbPNSt15iterator_traitsISK_E10value_typeEPNSQ_ISL_E10value_typeEPSM_NS1_7vsmem_tEENKUlT_SK_SL_SM_E_clIPxSE_SF_SF_EESJ_SZ_SK_SL_SM_EUlSZ_E1_NS1_11comp_targetILNS1_3genE3ELNS1_11target_archE908ELNS1_3gpuE7ELNS1_3repE0EEENS1_36merge_oddeven_config_static_selectorELNS0_4arch9wavefront6targetE1EEEvSL_, .Lfunc_end1487-_ZN7rocprim17ROCPRIM_400000_NS6detail17trampoline_kernelINS0_14default_configENS1_38merge_sort_block_merge_config_selectorIxNS0_10empty_typeEEEZZNS1_27merge_sort_block_merge_implIS3_N6thrust23THRUST_200600_302600_NS6detail15normal_iteratorINS9_10device_ptrIxEEEEPS5_jNS1_19radix_merge_compareILb0ELb1ExNS0_19identity_decomposerEEEEE10hipError_tT0_T1_T2_jT3_P12ihipStream_tbPNSt15iterator_traitsISK_E10value_typeEPNSQ_ISL_E10value_typeEPSM_NS1_7vsmem_tEENKUlT_SK_SL_SM_E_clIPxSE_SF_SF_EESJ_SZ_SK_SL_SM_EUlSZ_E1_NS1_11comp_targetILNS1_3genE3ELNS1_11target_archE908ELNS1_3gpuE7ELNS1_3repE0EEENS1_36merge_oddeven_config_static_selectorELNS0_4arch9wavefront6targetE1EEEvSL_
                                        ; -- End function
	.section	.AMDGPU.csdata,"",@progbits
; Kernel info:
; codeLenInByte = 0
; NumSgprs: 4
; NumVgprs: 0
; NumAgprs: 0
; TotalNumVgprs: 0
; ScratchSize: 0
; MemoryBound: 0
; FloatMode: 240
; IeeeMode: 1
; LDSByteSize: 0 bytes/workgroup (compile time only)
; SGPRBlocks: 0
; VGPRBlocks: 0
; NumSGPRsForWavesPerEU: 4
; NumVGPRsForWavesPerEU: 1
; AccumOffset: 4
; Occupancy: 8
; WaveLimiterHint : 0
; COMPUTE_PGM_RSRC2:SCRATCH_EN: 0
; COMPUTE_PGM_RSRC2:USER_SGPR: 6
; COMPUTE_PGM_RSRC2:TRAP_HANDLER: 0
; COMPUTE_PGM_RSRC2:TGID_X_EN: 1
; COMPUTE_PGM_RSRC2:TGID_Y_EN: 0
; COMPUTE_PGM_RSRC2:TGID_Z_EN: 0
; COMPUTE_PGM_RSRC2:TIDIG_COMP_CNT: 0
; COMPUTE_PGM_RSRC3_GFX90A:ACCUM_OFFSET: 0
; COMPUTE_PGM_RSRC3_GFX90A:TG_SPLIT: 0
	.section	.text._ZN7rocprim17ROCPRIM_400000_NS6detail17trampoline_kernelINS0_14default_configENS1_38merge_sort_block_merge_config_selectorIxNS0_10empty_typeEEEZZNS1_27merge_sort_block_merge_implIS3_N6thrust23THRUST_200600_302600_NS6detail15normal_iteratorINS9_10device_ptrIxEEEEPS5_jNS1_19radix_merge_compareILb0ELb1ExNS0_19identity_decomposerEEEEE10hipError_tT0_T1_T2_jT3_P12ihipStream_tbPNSt15iterator_traitsISK_E10value_typeEPNSQ_ISL_E10value_typeEPSM_NS1_7vsmem_tEENKUlT_SK_SL_SM_E_clIPxSE_SF_SF_EESJ_SZ_SK_SL_SM_EUlSZ_E1_NS1_11comp_targetILNS1_3genE2ELNS1_11target_archE906ELNS1_3gpuE6ELNS1_3repE0EEENS1_36merge_oddeven_config_static_selectorELNS0_4arch9wavefront6targetE1EEEvSL_,"axG",@progbits,_ZN7rocprim17ROCPRIM_400000_NS6detail17trampoline_kernelINS0_14default_configENS1_38merge_sort_block_merge_config_selectorIxNS0_10empty_typeEEEZZNS1_27merge_sort_block_merge_implIS3_N6thrust23THRUST_200600_302600_NS6detail15normal_iteratorINS9_10device_ptrIxEEEEPS5_jNS1_19radix_merge_compareILb0ELb1ExNS0_19identity_decomposerEEEEE10hipError_tT0_T1_T2_jT3_P12ihipStream_tbPNSt15iterator_traitsISK_E10value_typeEPNSQ_ISL_E10value_typeEPSM_NS1_7vsmem_tEENKUlT_SK_SL_SM_E_clIPxSE_SF_SF_EESJ_SZ_SK_SL_SM_EUlSZ_E1_NS1_11comp_targetILNS1_3genE2ELNS1_11target_archE906ELNS1_3gpuE6ELNS1_3repE0EEENS1_36merge_oddeven_config_static_selectorELNS0_4arch9wavefront6targetE1EEEvSL_,comdat
	.protected	_ZN7rocprim17ROCPRIM_400000_NS6detail17trampoline_kernelINS0_14default_configENS1_38merge_sort_block_merge_config_selectorIxNS0_10empty_typeEEEZZNS1_27merge_sort_block_merge_implIS3_N6thrust23THRUST_200600_302600_NS6detail15normal_iteratorINS9_10device_ptrIxEEEEPS5_jNS1_19radix_merge_compareILb0ELb1ExNS0_19identity_decomposerEEEEE10hipError_tT0_T1_T2_jT3_P12ihipStream_tbPNSt15iterator_traitsISK_E10value_typeEPNSQ_ISL_E10value_typeEPSM_NS1_7vsmem_tEENKUlT_SK_SL_SM_E_clIPxSE_SF_SF_EESJ_SZ_SK_SL_SM_EUlSZ_E1_NS1_11comp_targetILNS1_3genE2ELNS1_11target_archE906ELNS1_3gpuE6ELNS1_3repE0EEENS1_36merge_oddeven_config_static_selectorELNS0_4arch9wavefront6targetE1EEEvSL_ ; -- Begin function _ZN7rocprim17ROCPRIM_400000_NS6detail17trampoline_kernelINS0_14default_configENS1_38merge_sort_block_merge_config_selectorIxNS0_10empty_typeEEEZZNS1_27merge_sort_block_merge_implIS3_N6thrust23THRUST_200600_302600_NS6detail15normal_iteratorINS9_10device_ptrIxEEEEPS5_jNS1_19radix_merge_compareILb0ELb1ExNS0_19identity_decomposerEEEEE10hipError_tT0_T1_T2_jT3_P12ihipStream_tbPNSt15iterator_traitsISK_E10value_typeEPNSQ_ISL_E10value_typeEPSM_NS1_7vsmem_tEENKUlT_SK_SL_SM_E_clIPxSE_SF_SF_EESJ_SZ_SK_SL_SM_EUlSZ_E1_NS1_11comp_targetILNS1_3genE2ELNS1_11target_archE906ELNS1_3gpuE6ELNS1_3repE0EEENS1_36merge_oddeven_config_static_selectorELNS0_4arch9wavefront6targetE1EEEvSL_
	.globl	_ZN7rocprim17ROCPRIM_400000_NS6detail17trampoline_kernelINS0_14default_configENS1_38merge_sort_block_merge_config_selectorIxNS0_10empty_typeEEEZZNS1_27merge_sort_block_merge_implIS3_N6thrust23THRUST_200600_302600_NS6detail15normal_iteratorINS9_10device_ptrIxEEEEPS5_jNS1_19radix_merge_compareILb0ELb1ExNS0_19identity_decomposerEEEEE10hipError_tT0_T1_T2_jT3_P12ihipStream_tbPNSt15iterator_traitsISK_E10value_typeEPNSQ_ISL_E10value_typeEPSM_NS1_7vsmem_tEENKUlT_SK_SL_SM_E_clIPxSE_SF_SF_EESJ_SZ_SK_SL_SM_EUlSZ_E1_NS1_11comp_targetILNS1_3genE2ELNS1_11target_archE906ELNS1_3gpuE6ELNS1_3repE0EEENS1_36merge_oddeven_config_static_selectorELNS0_4arch9wavefront6targetE1EEEvSL_
	.p2align	8
	.type	_ZN7rocprim17ROCPRIM_400000_NS6detail17trampoline_kernelINS0_14default_configENS1_38merge_sort_block_merge_config_selectorIxNS0_10empty_typeEEEZZNS1_27merge_sort_block_merge_implIS3_N6thrust23THRUST_200600_302600_NS6detail15normal_iteratorINS9_10device_ptrIxEEEEPS5_jNS1_19radix_merge_compareILb0ELb1ExNS0_19identity_decomposerEEEEE10hipError_tT0_T1_T2_jT3_P12ihipStream_tbPNSt15iterator_traitsISK_E10value_typeEPNSQ_ISL_E10value_typeEPSM_NS1_7vsmem_tEENKUlT_SK_SL_SM_E_clIPxSE_SF_SF_EESJ_SZ_SK_SL_SM_EUlSZ_E1_NS1_11comp_targetILNS1_3genE2ELNS1_11target_archE906ELNS1_3gpuE6ELNS1_3repE0EEENS1_36merge_oddeven_config_static_selectorELNS0_4arch9wavefront6targetE1EEEvSL_,@function
_ZN7rocprim17ROCPRIM_400000_NS6detail17trampoline_kernelINS0_14default_configENS1_38merge_sort_block_merge_config_selectorIxNS0_10empty_typeEEEZZNS1_27merge_sort_block_merge_implIS3_N6thrust23THRUST_200600_302600_NS6detail15normal_iteratorINS9_10device_ptrIxEEEEPS5_jNS1_19radix_merge_compareILb0ELb1ExNS0_19identity_decomposerEEEEE10hipError_tT0_T1_T2_jT3_P12ihipStream_tbPNSt15iterator_traitsISK_E10value_typeEPNSQ_ISL_E10value_typeEPSM_NS1_7vsmem_tEENKUlT_SK_SL_SM_E_clIPxSE_SF_SF_EESJ_SZ_SK_SL_SM_EUlSZ_E1_NS1_11comp_targetILNS1_3genE2ELNS1_11target_archE906ELNS1_3gpuE6ELNS1_3repE0EEENS1_36merge_oddeven_config_static_selectorELNS0_4arch9wavefront6targetE1EEEvSL_: ; @_ZN7rocprim17ROCPRIM_400000_NS6detail17trampoline_kernelINS0_14default_configENS1_38merge_sort_block_merge_config_selectorIxNS0_10empty_typeEEEZZNS1_27merge_sort_block_merge_implIS3_N6thrust23THRUST_200600_302600_NS6detail15normal_iteratorINS9_10device_ptrIxEEEEPS5_jNS1_19radix_merge_compareILb0ELb1ExNS0_19identity_decomposerEEEEE10hipError_tT0_T1_T2_jT3_P12ihipStream_tbPNSt15iterator_traitsISK_E10value_typeEPNSQ_ISL_E10value_typeEPSM_NS1_7vsmem_tEENKUlT_SK_SL_SM_E_clIPxSE_SF_SF_EESJ_SZ_SK_SL_SM_EUlSZ_E1_NS1_11comp_targetILNS1_3genE2ELNS1_11target_archE906ELNS1_3gpuE6ELNS1_3repE0EEENS1_36merge_oddeven_config_static_selectorELNS0_4arch9wavefront6targetE1EEEvSL_
; %bb.0:
	.section	.rodata,"a",@progbits
	.p2align	6, 0x0
	.amdhsa_kernel _ZN7rocprim17ROCPRIM_400000_NS6detail17trampoline_kernelINS0_14default_configENS1_38merge_sort_block_merge_config_selectorIxNS0_10empty_typeEEEZZNS1_27merge_sort_block_merge_implIS3_N6thrust23THRUST_200600_302600_NS6detail15normal_iteratorINS9_10device_ptrIxEEEEPS5_jNS1_19radix_merge_compareILb0ELb1ExNS0_19identity_decomposerEEEEE10hipError_tT0_T1_T2_jT3_P12ihipStream_tbPNSt15iterator_traitsISK_E10value_typeEPNSQ_ISL_E10value_typeEPSM_NS1_7vsmem_tEENKUlT_SK_SL_SM_E_clIPxSE_SF_SF_EESJ_SZ_SK_SL_SM_EUlSZ_E1_NS1_11comp_targetILNS1_3genE2ELNS1_11target_archE906ELNS1_3gpuE6ELNS1_3repE0EEENS1_36merge_oddeven_config_static_selectorELNS0_4arch9wavefront6targetE1EEEvSL_
		.amdhsa_group_segment_fixed_size 0
		.amdhsa_private_segment_fixed_size 0
		.amdhsa_kernarg_size 48
		.amdhsa_user_sgpr_count 6
		.amdhsa_user_sgpr_private_segment_buffer 1
		.amdhsa_user_sgpr_dispatch_ptr 0
		.amdhsa_user_sgpr_queue_ptr 0
		.amdhsa_user_sgpr_kernarg_segment_ptr 1
		.amdhsa_user_sgpr_dispatch_id 0
		.amdhsa_user_sgpr_flat_scratch_init 0
		.amdhsa_user_sgpr_kernarg_preload_length 0
		.amdhsa_user_sgpr_kernarg_preload_offset 0
		.amdhsa_user_sgpr_private_segment_size 0
		.amdhsa_uses_dynamic_stack 0
		.amdhsa_system_sgpr_private_segment_wavefront_offset 0
		.amdhsa_system_sgpr_workgroup_id_x 1
		.amdhsa_system_sgpr_workgroup_id_y 0
		.amdhsa_system_sgpr_workgroup_id_z 0
		.amdhsa_system_sgpr_workgroup_info 0
		.amdhsa_system_vgpr_workitem_id 0
		.amdhsa_next_free_vgpr 1
		.amdhsa_next_free_sgpr 0
		.amdhsa_accum_offset 4
		.amdhsa_reserve_vcc 0
		.amdhsa_reserve_flat_scratch 0
		.amdhsa_float_round_mode_32 0
		.amdhsa_float_round_mode_16_64 0
		.amdhsa_float_denorm_mode_32 3
		.amdhsa_float_denorm_mode_16_64 3
		.amdhsa_dx10_clamp 1
		.amdhsa_ieee_mode 1
		.amdhsa_fp16_overflow 0
		.amdhsa_tg_split 0
		.amdhsa_exception_fp_ieee_invalid_op 0
		.amdhsa_exception_fp_denorm_src 0
		.amdhsa_exception_fp_ieee_div_zero 0
		.amdhsa_exception_fp_ieee_overflow 0
		.amdhsa_exception_fp_ieee_underflow 0
		.amdhsa_exception_fp_ieee_inexact 0
		.amdhsa_exception_int_div_zero 0
	.end_amdhsa_kernel
	.section	.text._ZN7rocprim17ROCPRIM_400000_NS6detail17trampoline_kernelINS0_14default_configENS1_38merge_sort_block_merge_config_selectorIxNS0_10empty_typeEEEZZNS1_27merge_sort_block_merge_implIS3_N6thrust23THRUST_200600_302600_NS6detail15normal_iteratorINS9_10device_ptrIxEEEEPS5_jNS1_19radix_merge_compareILb0ELb1ExNS0_19identity_decomposerEEEEE10hipError_tT0_T1_T2_jT3_P12ihipStream_tbPNSt15iterator_traitsISK_E10value_typeEPNSQ_ISL_E10value_typeEPSM_NS1_7vsmem_tEENKUlT_SK_SL_SM_E_clIPxSE_SF_SF_EESJ_SZ_SK_SL_SM_EUlSZ_E1_NS1_11comp_targetILNS1_3genE2ELNS1_11target_archE906ELNS1_3gpuE6ELNS1_3repE0EEENS1_36merge_oddeven_config_static_selectorELNS0_4arch9wavefront6targetE1EEEvSL_,"axG",@progbits,_ZN7rocprim17ROCPRIM_400000_NS6detail17trampoline_kernelINS0_14default_configENS1_38merge_sort_block_merge_config_selectorIxNS0_10empty_typeEEEZZNS1_27merge_sort_block_merge_implIS3_N6thrust23THRUST_200600_302600_NS6detail15normal_iteratorINS9_10device_ptrIxEEEEPS5_jNS1_19radix_merge_compareILb0ELb1ExNS0_19identity_decomposerEEEEE10hipError_tT0_T1_T2_jT3_P12ihipStream_tbPNSt15iterator_traitsISK_E10value_typeEPNSQ_ISL_E10value_typeEPSM_NS1_7vsmem_tEENKUlT_SK_SL_SM_E_clIPxSE_SF_SF_EESJ_SZ_SK_SL_SM_EUlSZ_E1_NS1_11comp_targetILNS1_3genE2ELNS1_11target_archE906ELNS1_3gpuE6ELNS1_3repE0EEENS1_36merge_oddeven_config_static_selectorELNS0_4arch9wavefront6targetE1EEEvSL_,comdat
.Lfunc_end1488:
	.size	_ZN7rocprim17ROCPRIM_400000_NS6detail17trampoline_kernelINS0_14default_configENS1_38merge_sort_block_merge_config_selectorIxNS0_10empty_typeEEEZZNS1_27merge_sort_block_merge_implIS3_N6thrust23THRUST_200600_302600_NS6detail15normal_iteratorINS9_10device_ptrIxEEEEPS5_jNS1_19radix_merge_compareILb0ELb1ExNS0_19identity_decomposerEEEEE10hipError_tT0_T1_T2_jT3_P12ihipStream_tbPNSt15iterator_traitsISK_E10value_typeEPNSQ_ISL_E10value_typeEPSM_NS1_7vsmem_tEENKUlT_SK_SL_SM_E_clIPxSE_SF_SF_EESJ_SZ_SK_SL_SM_EUlSZ_E1_NS1_11comp_targetILNS1_3genE2ELNS1_11target_archE906ELNS1_3gpuE6ELNS1_3repE0EEENS1_36merge_oddeven_config_static_selectorELNS0_4arch9wavefront6targetE1EEEvSL_, .Lfunc_end1488-_ZN7rocprim17ROCPRIM_400000_NS6detail17trampoline_kernelINS0_14default_configENS1_38merge_sort_block_merge_config_selectorIxNS0_10empty_typeEEEZZNS1_27merge_sort_block_merge_implIS3_N6thrust23THRUST_200600_302600_NS6detail15normal_iteratorINS9_10device_ptrIxEEEEPS5_jNS1_19radix_merge_compareILb0ELb1ExNS0_19identity_decomposerEEEEE10hipError_tT0_T1_T2_jT3_P12ihipStream_tbPNSt15iterator_traitsISK_E10value_typeEPNSQ_ISL_E10value_typeEPSM_NS1_7vsmem_tEENKUlT_SK_SL_SM_E_clIPxSE_SF_SF_EESJ_SZ_SK_SL_SM_EUlSZ_E1_NS1_11comp_targetILNS1_3genE2ELNS1_11target_archE906ELNS1_3gpuE6ELNS1_3repE0EEENS1_36merge_oddeven_config_static_selectorELNS0_4arch9wavefront6targetE1EEEvSL_
                                        ; -- End function
	.section	.AMDGPU.csdata,"",@progbits
; Kernel info:
; codeLenInByte = 0
; NumSgprs: 4
; NumVgprs: 0
; NumAgprs: 0
; TotalNumVgprs: 0
; ScratchSize: 0
; MemoryBound: 0
; FloatMode: 240
; IeeeMode: 1
; LDSByteSize: 0 bytes/workgroup (compile time only)
; SGPRBlocks: 0
; VGPRBlocks: 0
; NumSGPRsForWavesPerEU: 4
; NumVGPRsForWavesPerEU: 1
; AccumOffset: 4
; Occupancy: 8
; WaveLimiterHint : 0
; COMPUTE_PGM_RSRC2:SCRATCH_EN: 0
; COMPUTE_PGM_RSRC2:USER_SGPR: 6
; COMPUTE_PGM_RSRC2:TRAP_HANDLER: 0
; COMPUTE_PGM_RSRC2:TGID_X_EN: 1
; COMPUTE_PGM_RSRC2:TGID_Y_EN: 0
; COMPUTE_PGM_RSRC2:TGID_Z_EN: 0
; COMPUTE_PGM_RSRC2:TIDIG_COMP_CNT: 0
; COMPUTE_PGM_RSRC3_GFX90A:ACCUM_OFFSET: 0
; COMPUTE_PGM_RSRC3_GFX90A:TG_SPLIT: 0
	.section	.text._ZN7rocprim17ROCPRIM_400000_NS6detail17trampoline_kernelINS0_14default_configENS1_38merge_sort_block_merge_config_selectorIxNS0_10empty_typeEEEZZNS1_27merge_sort_block_merge_implIS3_N6thrust23THRUST_200600_302600_NS6detail15normal_iteratorINS9_10device_ptrIxEEEEPS5_jNS1_19radix_merge_compareILb0ELb1ExNS0_19identity_decomposerEEEEE10hipError_tT0_T1_T2_jT3_P12ihipStream_tbPNSt15iterator_traitsISK_E10value_typeEPNSQ_ISL_E10value_typeEPSM_NS1_7vsmem_tEENKUlT_SK_SL_SM_E_clIPxSE_SF_SF_EESJ_SZ_SK_SL_SM_EUlSZ_E1_NS1_11comp_targetILNS1_3genE9ELNS1_11target_archE1100ELNS1_3gpuE3ELNS1_3repE0EEENS1_36merge_oddeven_config_static_selectorELNS0_4arch9wavefront6targetE1EEEvSL_,"axG",@progbits,_ZN7rocprim17ROCPRIM_400000_NS6detail17trampoline_kernelINS0_14default_configENS1_38merge_sort_block_merge_config_selectorIxNS0_10empty_typeEEEZZNS1_27merge_sort_block_merge_implIS3_N6thrust23THRUST_200600_302600_NS6detail15normal_iteratorINS9_10device_ptrIxEEEEPS5_jNS1_19radix_merge_compareILb0ELb1ExNS0_19identity_decomposerEEEEE10hipError_tT0_T1_T2_jT3_P12ihipStream_tbPNSt15iterator_traitsISK_E10value_typeEPNSQ_ISL_E10value_typeEPSM_NS1_7vsmem_tEENKUlT_SK_SL_SM_E_clIPxSE_SF_SF_EESJ_SZ_SK_SL_SM_EUlSZ_E1_NS1_11comp_targetILNS1_3genE9ELNS1_11target_archE1100ELNS1_3gpuE3ELNS1_3repE0EEENS1_36merge_oddeven_config_static_selectorELNS0_4arch9wavefront6targetE1EEEvSL_,comdat
	.protected	_ZN7rocprim17ROCPRIM_400000_NS6detail17trampoline_kernelINS0_14default_configENS1_38merge_sort_block_merge_config_selectorIxNS0_10empty_typeEEEZZNS1_27merge_sort_block_merge_implIS3_N6thrust23THRUST_200600_302600_NS6detail15normal_iteratorINS9_10device_ptrIxEEEEPS5_jNS1_19radix_merge_compareILb0ELb1ExNS0_19identity_decomposerEEEEE10hipError_tT0_T1_T2_jT3_P12ihipStream_tbPNSt15iterator_traitsISK_E10value_typeEPNSQ_ISL_E10value_typeEPSM_NS1_7vsmem_tEENKUlT_SK_SL_SM_E_clIPxSE_SF_SF_EESJ_SZ_SK_SL_SM_EUlSZ_E1_NS1_11comp_targetILNS1_3genE9ELNS1_11target_archE1100ELNS1_3gpuE3ELNS1_3repE0EEENS1_36merge_oddeven_config_static_selectorELNS0_4arch9wavefront6targetE1EEEvSL_ ; -- Begin function _ZN7rocprim17ROCPRIM_400000_NS6detail17trampoline_kernelINS0_14default_configENS1_38merge_sort_block_merge_config_selectorIxNS0_10empty_typeEEEZZNS1_27merge_sort_block_merge_implIS3_N6thrust23THRUST_200600_302600_NS6detail15normal_iteratorINS9_10device_ptrIxEEEEPS5_jNS1_19radix_merge_compareILb0ELb1ExNS0_19identity_decomposerEEEEE10hipError_tT0_T1_T2_jT3_P12ihipStream_tbPNSt15iterator_traitsISK_E10value_typeEPNSQ_ISL_E10value_typeEPSM_NS1_7vsmem_tEENKUlT_SK_SL_SM_E_clIPxSE_SF_SF_EESJ_SZ_SK_SL_SM_EUlSZ_E1_NS1_11comp_targetILNS1_3genE9ELNS1_11target_archE1100ELNS1_3gpuE3ELNS1_3repE0EEENS1_36merge_oddeven_config_static_selectorELNS0_4arch9wavefront6targetE1EEEvSL_
	.globl	_ZN7rocprim17ROCPRIM_400000_NS6detail17trampoline_kernelINS0_14default_configENS1_38merge_sort_block_merge_config_selectorIxNS0_10empty_typeEEEZZNS1_27merge_sort_block_merge_implIS3_N6thrust23THRUST_200600_302600_NS6detail15normal_iteratorINS9_10device_ptrIxEEEEPS5_jNS1_19radix_merge_compareILb0ELb1ExNS0_19identity_decomposerEEEEE10hipError_tT0_T1_T2_jT3_P12ihipStream_tbPNSt15iterator_traitsISK_E10value_typeEPNSQ_ISL_E10value_typeEPSM_NS1_7vsmem_tEENKUlT_SK_SL_SM_E_clIPxSE_SF_SF_EESJ_SZ_SK_SL_SM_EUlSZ_E1_NS1_11comp_targetILNS1_3genE9ELNS1_11target_archE1100ELNS1_3gpuE3ELNS1_3repE0EEENS1_36merge_oddeven_config_static_selectorELNS0_4arch9wavefront6targetE1EEEvSL_
	.p2align	8
	.type	_ZN7rocprim17ROCPRIM_400000_NS6detail17trampoline_kernelINS0_14default_configENS1_38merge_sort_block_merge_config_selectorIxNS0_10empty_typeEEEZZNS1_27merge_sort_block_merge_implIS3_N6thrust23THRUST_200600_302600_NS6detail15normal_iteratorINS9_10device_ptrIxEEEEPS5_jNS1_19radix_merge_compareILb0ELb1ExNS0_19identity_decomposerEEEEE10hipError_tT0_T1_T2_jT3_P12ihipStream_tbPNSt15iterator_traitsISK_E10value_typeEPNSQ_ISL_E10value_typeEPSM_NS1_7vsmem_tEENKUlT_SK_SL_SM_E_clIPxSE_SF_SF_EESJ_SZ_SK_SL_SM_EUlSZ_E1_NS1_11comp_targetILNS1_3genE9ELNS1_11target_archE1100ELNS1_3gpuE3ELNS1_3repE0EEENS1_36merge_oddeven_config_static_selectorELNS0_4arch9wavefront6targetE1EEEvSL_,@function
_ZN7rocprim17ROCPRIM_400000_NS6detail17trampoline_kernelINS0_14default_configENS1_38merge_sort_block_merge_config_selectorIxNS0_10empty_typeEEEZZNS1_27merge_sort_block_merge_implIS3_N6thrust23THRUST_200600_302600_NS6detail15normal_iteratorINS9_10device_ptrIxEEEEPS5_jNS1_19radix_merge_compareILb0ELb1ExNS0_19identity_decomposerEEEEE10hipError_tT0_T1_T2_jT3_P12ihipStream_tbPNSt15iterator_traitsISK_E10value_typeEPNSQ_ISL_E10value_typeEPSM_NS1_7vsmem_tEENKUlT_SK_SL_SM_E_clIPxSE_SF_SF_EESJ_SZ_SK_SL_SM_EUlSZ_E1_NS1_11comp_targetILNS1_3genE9ELNS1_11target_archE1100ELNS1_3gpuE3ELNS1_3repE0EEENS1_36merge_oddeven_config_static_selectorELNS0_4arch9wavefront6targetE1EEEvSL_: ; @_ZN7rocprim17ROCPRIM_400000_NS6detail17trampoline_kernelINS0_14default_configENS1_38merge_sort_block_merge_config_selectorIxNS0_10empty_typeEEEZZNS1_27merge_sort_block_merge_implIS3_N6thrust23THRUST_200600_302600_NS6detail15normal_iteratorINS9_10device_ptrIxEEEEPS5_jNS1_19radix_merge_compareILb0ELb1ExNS0_19identity_decomposerEEEEE10hipError_tT0_T1_T2_jT3_P12ihipStream_tbPNSt15iterator_traitsISK_E10value_typeEPNSQ_ISL_E10value_typeEPSM_NS1_7vsmem_tEENKUlT_SK_SL_SM_E_clIPxSE_SF_SF_EESJ_SZ_SK_SL_SM_EUlSZ_E1_NS1_11comp_targetILNS1_3genE9ELNS1_11target_archE1100ELNS1_3gpuE3ELNS1_3repE0EEENS1_36merge_oddeven_config_static_selectorELNS0_4arch9wavefront6targetE1EEEvSL_
; %bb.0:
	.section	.rodata,"a",@progbits
	.p2align	6, 0x0
	.amdhsa_kernel _ZN7rocprim17ROCPRIM_400000_NS6detail17trampoline_kernelINS0_14default_configENS1_38merge_sort_block_merge_config_selectorIxNS0_10empty_typeEEEZZNS1_27merge_sort_block_merge_implIS3_N6thrust23THRUST_200600_302600_NS6detail15normal_iteratorINS9_10device_ptrIxEEEEPS5_jNS1_19radix_merge_compareILb0ELb1ExNS0_19identity_decomposerEEEEE10hipError_tT0_T1_T2_jT3_P12ihipStream_tbPNSt15iterator_traitsISK_E10value_typeEPNSQ_ISL_E10value_typeEPSM_NS1_7vsmem_tEENKUlT_SK_SL_SM_E_clIPxSE_SF_SF_EESJ_SZ_SK_SL_SM_EUlSZ_E1_NS1_11comp_targetILNS1_3genE9ELNS1_11target_archE1100ELNS1_3gpuE3ELNS1_3repE0EEENS1_36merge_oddeven_config_static_selectorELNS0_4arch9wavefront6targetE1EEEvSL_
		.amdhsa_group_segment_fixed_size 0
		.amdhsa_private_segment_fixed_size 0
		.amdhsa_kernarg_size 48
		.amdhsa_user_sgpr_count 6
		.amdhsa_user_sgpr_private_segment_buffer 1
		.amdhsa_user_sgpr_dispatch_ptr 0
		.amdhsa_user_sgpr_queue_ptr 0
		.amdhsa_user_sgpr_kernarg_segment_ptr 1
		.amdhsa_user_sgpr_dispatch_id 0
		.amdhsa_user_sgpr_flat_scratch_init 0
		.amdhsa_user_sgpr_kernarg_preload_length 0
		.amdhsa_user_sgpr_kernarg_preload_offset 0
		.amdhsa_user_sgpr_private_segment_size 0
		.amdhsa_uses_dynamic_stack 0
		.amdhsa_system_sgpr_private_segment_wavefront_offset 0
		.amdhsa_system_sgpr_workgroup_id_x 1
		.amdhsa_system_sgpr_workgroup_id_y 0
		.amdhsa_system_sgpr_workgroup_id_z 0
		.amdhsa_system_sgpr_workgroup_info 0
		.amdhsa_system_vgpr_workitem_id 0
		.amdhsa_next_free_vgpr 1
		.amdhsa_next_free_sgpr 0
		.amdhsa_accum_offset 4
		.amdhsa_reserve_vcc 0
		.amdhsa_reserve_flat_scratch 0
		.amdhsa_float_round_mode_32 0
		.amdhsa_float_round_mode_16_64 0
		.amdhsa_float_denorm_mode_32 3
		.amdhsa_float_denorm_mode_16_64 3
		.amdhsa_dx10_clamp 1
		.amdhsa_ieee_mode 1
		.amdhsa_fp16_overflow 0
		.amdhsa_tg_split 0
		.amdhsa_exception_fp_ieee_invalid_op 0
		.amdhsa_exception_fp_denorm_src 0
		.amdhsa_exception_fp_ieee_div_zero 0
		.amdhsa_exception_fp_ieee_overflow 0
		.amdhsa_exception_fp_ieee_underflow 0
		.amdhsa_exception_fp_ieee_inexact 0
		.amdhsa_exception_int_div_zero 0
	.end_amdhsa_kernel
	.section	.text._ZN7rocprim17ROCPRIM_400000_NS6detail17trampoline_kernelINS0_14default_configENS1_38merge_sort_block_merge_config_selectorIxNS0_10empty_typeEEEZZNS1_27merge_sort_block_merge_implIS3_N6thrust23THRUST_200600_302600_NS6detail15normal_iteratorINS9_10device_ptrIxEEEEPS5_jNS1_19radix_merge_compareILb0ELb1ExNS0_19identity_decomposerEEEEE10hipError_tT0_T1_T2_jT3_P12ihipStream_tbPNSt15iterator_traitsISK_E10value_typeEPNSQ_ISL_E10value_typeEPSM_NS1_7vsmem_tEENKUlT_SK_SL_SM_E_clIPxSE_SF_SF_EESJ_SZ_SK_SL_SM_EUlSZ_E1_NS1_11comp_targetILNS1_3genE9ELNS1_11target_archE1100ELNS1_3gpuE3ELNS1_3repE0EEENS1_36merge_oddeven_config_static_selectorELNS0_4arch9wavefront6targetE1EEEvSL_,"axG",@progbits,_ZN7rocprim17ROCPRIM_400000_NS6detail17trampoline_kernelINS0_14default_configENS1_38merge_sort_block_merge_config_selectorIxNS0_10empty_typeEEEZZNS1_27merge_sort_block_merge_implIS3_N6thrust23THRUST_200600_302600_NS6detail15normal_iteratorINS9_10device_ptrIxEEEEPS5_jNS1_19radix_merge_compareILb0ELb1ExNS0_19identity_decomposerEEEEE10hipError_tT0_T1_T2_jT3_P12ihipStream_tbPNSt15iterator_traitsISK_E10value_typeEPNSQ_ISL_E10value_typeEPSM_NS1_7vsmem_tEENKUlT_SK_SL_SM_E_clIPxSE_SF_SF_EESJ_SZ_SK_SL_SM_EUlSZ_E1_NS1_11comp_targetILNS1_3genE9ELNS1_11target_archE1100ELNS1_3gpuE3ELNS1_3repE0EEENS1_36merge_oddeven_config_static_selectorELNS0_4arch9wavefront6targetE1EEEvSL_,comdat
.Lfunc_end1489:
	.size	_ZN7rocprim17ROCPRIM_400000_NS6detail17trampoline_kernelINS0_14default_configENS1_38merge_sort_block_merge_config_selectorIxNS0_10empty_typeEEEZZNS1_27merge_sort_block_merge_implIS3_N6thrust23THRUST_200600_302600_NS6detail15normal_iteratorINS9_10device_ptrIxEEEEPS5_jNS1_19radix_merge_compareILb0ELb1ExNS0_19identity_decomposerEEEEE10hipError_tT0_T1_T2_jT3_P12ihipStream_tbPNSt15iterator_traitsISK_E10value_typeEPNSQ_ISL_E10value_typeEPSM_NS1_7vsmem_tEENKUlT_SK_SL_SM_E_clIPxSE_SF_SF_EESJ_SZ_SK_SL_SM_EUlSZ_E1_NS1_11comp_targetILNS1_3genE9ELNS1_11target_archE1100ELNS1_3gpuE3ELNS1_3repE0EEENS1_36merge_oddeven_config_static_selectorELNS0_4arch9wavefront6targetE1EEEvSL_, .Lfunc_end1489-_ZN7rocprim17ROCPRIM_400000_NS6detail17trampoline_kernelINS0_14default_configENS1_38merge_sort_block_merge_config_selectorIxNS0_10empty_typeEEEZZNS1_27merge_sort_block_merge_implIS3_N6thrust23THRUST_200600_302600_NS6detail15normal_iteratorINS9_10device_ptrIxEEEEPS5_jNS1_19radix_merge_compareILb0ELb1ExNS0_19identity_decomposerEEEEE10hipError_tT0_T1_T2_jT3_P12ihipStream_tbPNSt15iterator_traitsISK_E10value_typeEPNSQ_ISL_E10value_typeEPSM_NS1_7vsmem_tEENKUlT_SK_SL_SM_E_clIPxSE_SF_SF_EESJ_SZ_SK_SL_SM_EUlSZ_E1_NS1_11comp_targetILNS1_3genE9ELNS1_11target_archE1100ELNS1_3gpuE3ELNS1_3repE0EEENS1_36merge_oddeven_config_static_selectorELNS0_4arch9wavefront6targetE1EEEvSL_
                                        ; -- End function
	.section	.AMDGPU.csdata,"",@progbits
; Kernel info:
; codeLenInByte = 0
; NumSgprs: 4
; NumVgprs: 0
; NumAgprs: 0
; TotalNumVgprs: 0
; ScratchSize: 0
; MemoryBound: 0
; FloatMode: 240
; IeeeMode: 1
; LDSByteSize: 0 bytes/workgroup (compile time only)
; SGPRBlocks: 0
; VGPRBlocks: 0
; NumSGPRsForWavesPerEU: 4
; NumVGPRsForWavesPerEU: 1
; AccumOffset: 4
; Occupancy: 8
; WaveLimiterHint : 0
; COMPUTE_PGM_RSRC2:SCRATCH_EN: 0
; COMPUTE_PGM_RSRC2:USER_SGPR: 6
; COMPUTE_PGM_RSRC2:TRAP_HANDLER: 0
; COMPUTE_PGM_RSRC2:TGID_X_EN: 1
; COMPUTE_PGM_RSRC2:TGID_Y_EN: 0
; COMPUTE_PGM_RSRC2:TGID_Z_EN: 0
; COMPUTE_PGM_RSRC2:TIDIG_COMP_CNT: 0
; COMPUTE_PGM_RSRC3_GFX90A:ACCUM_OFFSET: 0
; COMPUTE_PGM_RSRC3_GFX90A:TG_SPLIT: 0
	.section	.text._ZN7rocprim17ROCPRIM_400000_NS6detail17trampoline_kernelINS0_14default_configENS1_38merge_sort_block_merge_config_selectorIxNS0_10empty_typeEEEZZNS1_27merge_sort_block_merge_implIS3_N6thrust23THRUST_200600_302600_NS6detail15normal_iteratorINS9_10device_ptrIxEEEEPS5_jNS1_19radix_merge_compareILb0ELb1ExNS0_19identity_decomposerEEEEE10hipError_tT0_T1_T2_jT3_P12ihipStream_tbPNSt15iterator_traitsISK_E10value_typeEPNSQ_ISL_E10value_typeEPSM_NS1_7vsmem_tEENKUlT_SK_SL_SM_E_clIPxSE_SF_SF_EESJ_SZ_SK_SL_SM_EUlSZ_E1_NS1_11comp_targetILNS1_3genE8ELNS1_11target_archE1030ELNS1_3gpuE2ELNS1_3repE0EEENS1_36merge_oddeven_config_static_selectorELNS0_4arch9wavefront6targetE1EEEvSL_,"axG",@progbits,_ZN7rocprim17ROCPRIM_400000_NS6detail17trampoline_kernelINS0_14default_configENS1_38merge_sort_block_merge_config_selectorIxNS0_10empty_typeEEEZZNS1_27merge_sort_block_merge_implIS3_N6thrust23THRUST_200600_302600_NS6detail15normal_iteratorINS9_10device_ptrIxEEEEPS5_jNS1_19radix_merge_compareILb0ELb1ExNS0_19identity_decomposerEEEEE10hipError_tT0_T1_T2_jT3_P12ihipStream_tbPNSt15iterator_traitsISK_E10value_typeEPNSQ_ISL_E10value_typeEPSM_NS1_7vsmem_tEENKUlT_SK_SL_SM_E_clIPxSE_SF_SF_EESJ_SZ_SK_SL_SM_EUlSZ_E1_NS1_11comp_targetILNS1_3genE8ELNS1_11target_archE1030ELNS1_3gpuE2ELNS1_3repE0EEENS1_36merge_oddeven_config_static_selectorELNS0_4arch9wavefront6targetE1EEEvSL_,comdat
	.protected	_ZN7rocprim17ROCPRIM_400000_NS6detail17trampoline_kernelINS0_14default_configENS1_38merge_sort_block_merge_config_selectorIxNS0_10empty_typeEEEZZNS1_27merge_sort_block_merge_implIS3_N6thrust23THRUST_200600_302600_NS6detail15normal_iteratorINS9_10device_ptrIxEEEEPS5_jNS1_19radix_merge_compareILb0ELb1ExNS0_19identity_decomposerEEEEE10hipError_tT0_T1_T2_jT3_P12ihipStream_tbPNSt15iterator_traitsISK_E10value_typeEPNSQ_ISL_E10value_typeEPSM_NS1_7vsmem_tEENKUlT_SK_SL_SM_E_clIPxSE_SF_SF_EESJ_SZ_SK_SL_SM_EUlSZ_E1_NS1_11comp_targetILNS1_3genE8ELNS1_11target_archE1030ELNS1_3gpuE2ELNS1_3repE0EEENS1_36merge_oddeven_config_static_selectorELNS0_4arch9wavefront6targetE1EEEvSL_ ; -- Begin function _ZN7rocprim17ROCPRIM_400000_NS6detail17trampoline_kernelINS0_14default_configENS1_38merge_sort_block_merge_config_selectorIxNS0_10empty_typeEEEZZNS1_27merge_sort_block_merge_implIS3_N6thrust23THRUST_200600_302600_NS6detail15normal_iteratorINS9_10device_ptrIxEEEEPS5_jNS1_19radix_merge_compareILb0ELb1ExNS0_19identity_decomposerEEEEE10hipError_tT0_T1_T2_jT3_P12ihipStream_tbPNSt15iterator_traitsISK_E10value_typeEPNSQ_ISL_E10value_typeEPSM_NS1_7vsmem_tEENKUlT_SK_SL_SM_E_clIPxSE_SF_SF_EESJ_SZ_SK_SL_SM_EUlSZ_E1_NS1_11comp_targetILNS1_3genE8ELNS1_11target_archE1030ELNS1_3gpuE2ELNS1_3repE0EEENS1_36merge_oddeven_config_static_selectorELNS0_4arch9wavefront6targetE1EEEvSL_
	.globl	_ZN7rocprim17ROCPRIM_400000_NS6detail17trampoline_kernelINS0_14default_configENS1_38merge_sort_block_merge_config_selectorIxNS0_10empty_typeEEEZZNS1_27merge_sort_block_merge_implIS3_N6thrust23THRUST_200600_302600_NS6detail15normal_iteratorINS9_10device_ptrIxEEEEPS5_jNS1_19radix_merge_compareILb0ELb1ExNS0_19identity_decomposerEEEEE10hipError_tT0_T1_T2_jT3_P12ihipStream_tbPNSt15iterator_traitsISK_E10value_typeEPNSQ_ISL_E10value_typeEPSM_NS1_7vsmem_tEENKUlT_SK_SL_SM_E_clIPxSE_SF_SF_EESJ_SZ_SK_SL_SM_EUlSZ_E1_NS1_11comp_targetILNS1_3genE8ELNS1_11target_archE1030ELNS1_3gpuE2ELNS1_3repE0EEENS1_36merge_oddeven_config_static_selectorELNS0_4arch9wavefront6targetE1EEEvSL_
	.p2align	8
	.type	_ZN7rocprim17ROCPRIM_400000_NS6detail17trampoline_kernelINS0_14default_configENS1_38merge_sort_block_merge_config_selectorIxNS0_10empty_typeEEEZZNS1_27merge_sort_block_merge_implIS3_N6thrust23THRUST_200600_302600_NS6detail15normal_iteratorINS9_10device_ptrIxEEEEPS5_jNS1_19radix_merge_compareILb0ELb1ExNS0_19identity_decomposerEEEEE10hipError_tT0_T1_T2_jT3_P12ihipStream_tbPNSt15iterator_traitsISK_E10value_typeEPNSQ_ISL_E10value_typeEPSM_NS1_7vsmem_tEENKUlT_SK_SL_SM_E_clIPxSE_SF_SF_EESJ_SZ_SK_SL_SM_EUlSZ_E1_NS1_11comp_targetILNS1_3genE8ELNS1_11target_archE1030ELNS1_3gpuE2ELNS1_3repE0EEENS1_36merge_oddeven_config_static_selectorELNS0_4arch9wavefront6targetE1EEEvSL_,@function
_ZN7rocprim17ROCPRIM_400000_NS6detail17trampoline_kernelINS0_14default_configENS1_38merge_sort_block_merge_config_selectorIxNS0_10empty_typeEEEZZNS1_27merge_sort_block_merge_implIS3_N6thrust23THRUST_200600_302600_NS6detail15normal_iteratorINS9_10device_ptrIxEEEEPS5_jNS1_19radix_merge_compareILb0ELb1ExNS0_19identity_decomposerEEEEE10hipError_tT0_T1_T2_jT3_P12ihipStream_tbPNSt15iterator_traitsISK_E10value_typeEPNSQ_ISL_E10value_typeEPSM_NS1_7vsmem_tEENKUlT_SK_SL_SM_E_clIPxSE_SF_SF_EESJ_SZ_SK_SL_SM_EUlSZ_E1_NS1_11comp_targetILNS1_3genE8ELNS1_11target_archE1030ELNS1_3gpuE2ELNS1_3repE0EEENS1_36merge_oddeven_config_static_selectorELNS0_4arch9wavefront6targetE1EEEvSL_: ; @_ZN7rocprim17ROCPRIM_400000_NS6detail17trampoline_kernelINS0_14default_configENS1_38merge_sort_block_merge_config_selectorIxNS0_10empty_typeEEEZZNS1_27merge_sort_block_merge_implIS3_N6thrust23THRUST_200600_302600_NS6detail15normal_iteratorINS9_10device_ptrIxEEEEPS5_jNS1_19radix_merge_compareILb0ELb1ExNS0_19identity_decomposerEEEEE10hipError_tT0_T1_T2_jT3_P12ihipStream_tbPNSt15iterator_traitsISK_E10value_typeEPNSQ_ISL_E10value_typeEPSM_NS1_7vsmem_tEENKUlT_SK_SL_SM_E_clIPxSE_SF_SF_EESJ_SZ_SK_SL_SM_EUlSZ_E1_NS1_11comp_targetILNS1_3genE8ELNS1_11target_archE1030ELNS1_3gpuE2ELNS1_3repE0EEENS1_36merge_oddeven_config_static_selectorELNS0_4arch9wavefront6targetE1EEEvSL_
; %bb.0:
	.section	.rodata,"a",@progbits
	.p2align	6, 0x0
	.amdhsa_kernel _ZN7rocprim17ROCPRIM_400000_NS6detail17trampoline_kernelINS0_14default_configENS1_38merge_sort_block_merge_config_selectorIxNS0_10empty_typeEEEZZNS1_27merge_sort_block_merge_implIS3_N6thrust23THRUST_200600_302600_NS6detail15normal_iteratorINS9_10device_ptrIxEEEEPS5_jNS1_19radix_merge_compareILb0ELb1ExNS0_19identity_decomposerEEEEE10hipError_tT0_T1_T2_jT3_P12ihipStream_tbPNSt15iterator_traitsISK_E10value_typeEPNSQ_ISL_E10value_typeEPSM_NS1_7vsmem_tEENKUlT_SK_SL_SM_E_clIPxSE_SF_SF_EESJ_SZ_SK_SL_SM_EUlSZ_E1_NS1_11comp_targetILNS1_3genE8ELNS1_11target_archE1030ELNS1_3gpuE2ELNS1_3repE0EEENS1_36merge_oddeven_config_static_selectorELNS0_4arch9wavefront6targetE1EEEvSL_
		.amdhsa_group_segment_fixed_size 0
		.amdhsa_private_segment_fixed_size 0
		.amdhsa_kernarg_size 48
		.amdhsa_user_sgpr_count 6
		.amdhsa_user_sgpr_private_segment_buffer 1
		.amdhsa_user_sgpr_dispatch_ptr 0
		.amdhsa_user_sgpr_queue_ptr 0
		.amdhsa_user_sgpr_kernarg_segment_ptr 1
		.amdhsa_user_sgpr_dispatch_id 0
		.amdhsa_user_sgpr_flat_scratch_init 0
		.amdhsa_user_sgpr_kernarg_preload_length 0
		.amdhsa_user_sgpr_kernarg_preload_offset 0
		.amdhsa_user_sgpr_private_segment_size 0
		.amdhsa_uses_dynamic_stack 0
		.amdhsa_system_sgpr_private_segment_wavefront_offset 0
		.amdhsa_system_sgpr_workgroup_id_x 1
		.amdhsa_system_sgpr_workgroup_id_y 0
		.amdhsa_system_sgpr_workgroup_id_z 0
		.amdhsa_system_sgpr_workgroup_info 0
		.amdhsa_system_vgpr_workitem_id 0
		.amdhsa_next_free_vgpr 1
		.amdhsa_next_free_sgpr 0
		.amdhsa_accum_offset 4
		.amdhsa_reserve_vcc 0
		.amdhsa_reserve_flat_scratch 0
		.amdhsa_float_round_mode_32 0
		.amdhsa_float_round_mode_16_64 0
		.amdhsa_float_denorm_mode_32 3
		.amdhsa_float_denorm_mode_16_64 3
		.amdhsa_dx10_clamp 1
		.amdhsa_ieee_mode 1
		.amdhsa_fp16_overflow 0
		.amdhsa_tg_split 0
		.amdhsa_exception_fp_ieee_invalid_op 0
		.amdhsa_exception_fp_denorm_src 0
		.amdhsa_exception_fp_ieee_div_zero 0
		.amdhsa_exception_fp_ieee_overflow 0
		.amdhsa_exception_fp_ieee_underflow 0
		.amdhsa_exception_fp_ieee_inexact 0
		.amdhsa_exception_int_div_zero 0
	.end_amdhsa_kernel
	.section	.text._ZN7rocprim17ROCPRIM_400000_NS6detail17trampoline_kernelINS0_14default_configENS1_38merge_sort_block_merge_config_selectorIxNS0_10empty_typeEEEZZNS1_27merge_sort_block_merge_implIS3_N6thrust23THRUST_200600_302600_NS6detail15normal_iteratorINS9_10device_ptrIxEEEEPS5_jNS1_19radix_merge_compareILb0ELb1ExNS0_19identity_decomposerEEEEE10hipError_tT0_T1_T2_jT3_P12ihipStream_tbPNSt15iterator_traitsISK_E10value_typeEPNSQ_ISL_E10value_typeEPSM_NS1_7vsmem_tEENKUlT_SK_SL_SM_E_clIPxSE_SF_SF_EESJ_SZ_SK_SL_SM_EUlSZ_E1_NS1_11comp_targetILNS1_3genE8ELNS1_11target_archE1030ELNS1_3gpuE2ELNS1_3repE0EEENS1_36merge_oddeven_config_static_selectorELNS0_4arch9wavefront6targetE1EEEvSL_,"axG",@progbits,_ZN7rocprim17ROCPRIM_400000_NS6detail17trampoline_kernelINS0_14default_configENS1_38merge_sort_block_merge_config_selectorIxNS0_10empty_typeEEEZZNS1_27merge_sort_block_merge_implIS3_N6thrust23THRUST_200600_302600_NS6detail15normal_iteratorINS9_10device_ptrIxEEEEPS5_jNS1_19radix_merge_compareILb0ELb1ExNS0_19identity_decomposerEEEEE10hipError_tT0_T1_T2_jT3_P12ihipStream_tbPNSt15iterator_traitsISK_E10value_typeEPNSQ_ISL_E10value_typeEPSM_NS1_7vsmem_tEENKUlT_SK_SL_SM_E_clIPxSE_SF_SF_EESJ_SZ_SK_SL_SM_EUlSZ_E1_NS1_11comp_targetILNS1_3genE8ELNS1_11target_archE1030ELNS1_3gpuE2ELNS1_3repE0EEENS1_36merge_oddeven_config_static_selectorELNS0_4arch9wavefront6targetE1EEEvSL_,comdat
.Lfunc_end1490:
	.size	_ZN7rocprim17ROCPRIM_400000_NS6detail17trampoline_kernelINS0_14default_configENS1_38merge_sort_block_merge_config_selectorIxNS0_10empty_typeEEEZZNS1_27merge_sort_block_merge_implIS3_N6thrust23THRUST_200600_302600_NS6detail15normal_iteratorINS9_10device_ptrIxEEEEPS5_jNS1_19radix_merge_compareILb0ELb1ExNS0_19identity_decomposerEEEEE10hipError_tT0_T1_T2_jT3_P12ihipStream_tbPNSt15iterator_traitsISK_E10value_typeEPNSQ_ISL_E10value_typeEPSM_NS1_7vsmem_tEENKUlT_SK_SL_SM_E_clIPxSE_SF_SF_EESJ_SZ_SK_SL_SM_EUlSZ_E1_NS1_11comp_targetILNS1_3genE8ELNS1_11target_archE1030ELNS1_3gpuE2ELNS1_3repE0EEENS1_36merge_oddeven_config_static_selectorELNS0_4arch9wavefront6targetE1EEEvSL_, .Lfunc_end1490-_ZN7rocprim17ROCPRIM_400000_NS6detail17trampoline_kernelINS0_14default_configENS1_38merge_sort_block_merge_config_selectorIxNS0_10empty_typeEEEZZNS1_27merge_sort_block_merge_implIS3_N6thrust23THRUST_200600_302600_NS6detail15normal_iteratorINS9_10device_ptrIxEEEEPS5_jNS1_19radix_merge_compareILb0ELb1ExNS0_19identity_decomposerEEEEE10hipError_tT0_T1_T2_jT3_P12ihipStream_tbPNSt15iterator_traitsISK_E10value_typeEPNSQ_ISL_E10value_typeEPSM_NS1_7vsmem_tEENKUlT_SK_SL_SM_E_clIPxSE_SF_SF_EESJ_SZ_SK_SL_SM_EUlSZ_E1_NS1_11comp_targetILNS1_3genE8ELNS1_11target_archE1030ELNS1_3gpuE2ELNS1_3repE0EEENS1_36merge_oddeven_config_static_selectorELNS0_4arch9wavefront6targetE1EEEvSL_
                                        ; -- End function
	.section	.AMDGPU.csdata,"",@progbits
; Kernel info:
; codeLenInByte = 0
; NumSgprs: 4
; NumVgprs: 0
; NumAgprs: 0
; TotalNumVgprs: 0
; ScratchSize: 0
; MemoryBound: 0
; FloatMode: 240
; IeeeMode: 1
; LDSByteSize: 0 bytes/workgroup (compile time only)
; SGPRBlocks: 0
; VGPRBlocks: 0
; NumSGPRsForWavesPerEU: 4
; NumVGPRsForWavesPerEU: 1
; AccumOffset: 4
; Occupancy: 8
; WaveLimiterHint : 0
; COMPUTE_PGM_RSRC2:SCRATCH_EN: 0
; COMPUTE_PGM_RSRC2:USER_SGPR: 6
; COMPUTE_PGM_RSRC2:TRAP_HANDLER: 0
; COMPUTE_PGM_RSRC2:TGID_X_EN: 1
; COMPUTE_PGM_RSRC2:TGID_Y_EN: 0
; COMPUTE_PGM_RSRC2:TGID_Z_EN: 0
; COMPUTE_PGM_RSRC2:TIDIG_COMP_CNT: 0
; COMPUTE_PGM_RSRC3_GFX90A:ACCUM_OFFSET: 0
; COMPUTE_PGM_RSRC3_GFX90A:TG_SPLIT: 0
	.section	.text._ZN7rocprim17ROCPRIM_400000_NS6detail17trampoline_kernelINS0_14default_configENS1_38merge_sort_block_merge_config_selectorIxNS0_10empty_typeEEEZZNS1_27merge_sort_block_merge_implIS3_N6thrust23THRUST_200600_302600_NS6detail15normal_iteratorINS9_10device_ptrIxEEEEPS5_jNS1_19radix_merge_compareILb0ELb1ExNS0_19identity_decomposerEEEEE10hipError_tT0_T1_T2_jT3_P12ihipStream_tbPNSt15iterator_traitsISK_E10value_typeEPNSQ_ISL_E10value_typeEPSM_NS1_7vsmem_tEENKUlT_SK_SL_SM_E_clISE_PxSF_SF_EESJ_SZ_SK_SL_SM_EUlSZ_E_NS1_11comp_targetILNS1_3genE0ELNS1_11target_archE4294967295ELNS1_3gpuE0ELNS1_3repE0EEENS1_48merge_mergepath_partition_config_static_selectorELNS0_4arch9wavefront6targetE1EEEvSL_,"axG",@progbits,_ZN7rocprim17ROCPRIM_400000_NS6detail17trampoline_kernelINS0_14default_configENS1_38merge_sort_block_merge_config_selectorIxNS0_10empty_typeEEEZZNS1_27merge_sort_block_merge_implIS3_N6thrust23THRUST_200600_302600_NS6detail15normal_iteratorINS9_10device_ptrIxEEEEPS5_jNS1_19radix_merge_compareILb0ELb1ExNS0_19identity_decomposerEEEEE10hipError_tT0_T1_T2_jT3_P12ihipStream_tbPNSt15iterator_traitsISK_E10value_typeEPNSQ_ISL_E10value_typeEPSM_NS1_7vsmem_tEENKUlT_SK_SL_SM_E_clISE_PxSF_SF_EESJ_SZ_SK_SL_SM_EUlSZ_E_NS1_11comp_targetILNS1_3genE0ELNS1_11target_archE4294967295ELNS1_3gpuE0ELNS1_3repE0EEENS1_48merge_mergepath_partition_config_static_selectorELNS0_4arch9wavefront6targetE1EEEvSL_,comdat
	.protected	_ZN7rocprim17ROCPRIM_400000_NS6detail17trampoline_kernelINS0_14default_configENS1_38merge_sort_block_merge_config_selectorIxNS0_10empty_typeEEEZZNS1_27merge_sort_block_merge_implIS3_N6thrust23THRUST_200600_302600_NS6detail15normal_iteratorINS9_10device_ptrIxEEEEPS5_jNS1_19radix_merge_compareILb0ELb1ExNS0_19identity_decomposerEEEEE10hipError_tT0_T1_T2_jT3_P12ihipStream_tbPNSt15iterator_traitsISK_E10value_typeEPNSQ_ISL_E10value_typeEPSM_NS1_7vsmem_tEENKUlT_SK_SL_SM_E_clISE_PxSF_SF_EESJ_SZ_SK_SL_SM_EUlSZ_E_NS1_11comp_targetILNS1_3genE0ELNS1_11target_archE4294967295ELNS1_3gpuE0ELNS1_3repE0EEENS1_48merge_mergepath_partition_config_static_selectorELNS0_4arch9wavefront6targetE1EEEvSL_ ; -- Begin function _ZN7rocprim17ROCPRIM_400000_NS6detail17trampoline_kernelINS0_14default_configENS1_38merge_sort_block_merge_config_selectorIxNS0_10empty_typeEEEZZNS1_27merge_sort_block_merge_implIS3_N6thrust23THRUST_200600_302600_NS6detail15normal_iteratorINS9_10device_ptrIxEEEEPS5_jNS1_19radix_merge_compareILb0ELb1ExNS0_19identity_decomposerEEEEE10hipError_tT0_T1_T2_jT3_P12ihipStream_tbPNSt15iterator_traitsISK_E10value_typeEPNSQ_ISL_E10value_typeEPSM_NS1_7vsmem_tEENKUlT_SK_SL_SM_E_clISE_PxSF_SF_EESJ_SZ_SK_SL_SM_EUlSZ_E_NS1_11comp_targetILNS1_3genE0ELNS1_11target_archE4294967295ELNS1_3gpuE0ELNS1_3repE0EEENS1_48merge_mergepath_partition_config_static_selectorELNS0_4arch9wavefront6targetE1EEEvSL_
	.globl	_ZN7rocprim17ROCPRIM_400000_NS6detail17trampoline_kernelINS0_14default_configENS1_38merge_sort_block_merge_config_selectorIxNS0_10empty_typeEEEZZNS1_27merge_sort_block_merge_implIS3_N6thrust23THRUST_200600_302600_NS6detail15normal_iteratorINS9_10device_ptrIxEEEEPS5_jNS1_19radix_merge_compareILb0ELb1ExNS0_19identity_decomposerEEEEE10hipError_tT0_T1_T2_jT3_P12ihipStream_tbPNSt15iterator_traitsISK_E10value_typeEPNSQ_ISL_E10value_typeEPSM_NS1_7vsmem_tEENKUlT_SK_SL_SM_E_clISE_PxSF_SF_EESJ_SZ_SK_SL_SM_EUlSZ_E_NS1_11comp_targetILNS1_3genE0ELNS1_11target_archE4294967295ELNS1_3gpuE0ELNS1_3repE0EEENS1_48merge_mergepath_partition_config_static_selectorELNS0_4arch9wavefront6targetE1EEEvSL_
	.p2align	8
	.type	_ZN7rocprim17ROCPRIM_400000_NS6detail17trampoline_kernelINS0_14default_configENS1_38merge_sort_block_merge_config_selectorIxNS0_10empty_typeEEEZZNS1_27merge_sort_block_merge_implIS3_N6thrust23THRUST_200600_302600_NS6detail15normal_iteratorINS9_10device_ptrIxEEEEPS5_jNS1_19radix_merge_compareILb0ELb1ExNS0_19identity_decomposerEEEEE10hipError_tT0_T1_T2_jT3_P12ihipStream_tbPNSt15iterator_traitsISK_E10value_typeEPNSQ_ISL_E10value_typeEPSM_NS1_7vsmem_tEENKUlT_SK_SL_SM_E_clISE_PxSF_SF_EESJ_SZ_SK_SL_SM_EUlSZ_E_NS1_11comp_targetILNS1_3genE0ELNS1_11target_archE4294967295ELNS1_3gpuE0ELNS1_3repE0EEENS1_48merge_mergepath_partition_config_static_selectorELNS0_4arch9wavefront6targetE1EEEvSL_,@function
_ZN7rocprim17ROCPRIM_400000_NS6detail17trampoline_kernelINS0_14default_configENS1_38merge_sort_block_merge_config_selectorIxNS0_10empty_typeEEEZZNS1_27merge_sort_block_merge_implIS3_N6thrust23THRUST_200600_302600_NS6detail15normal_iteratorINS9_10device_ptrIxEEEEPS5_jNS1_19radix_merge_compareILb0ELb1ExNS0_19identity_decomposerEEEEE10hipError_tT0_T1_T2_jT3_P12ihipStream_tbPNSt15iterator_traitsISK_E10value_typeEPNSQ_ISL_E10value_typeEPSM_NS1_7vsmem_tEENKUlT_SK_SL_SM_E_clISE_PxSF_SF_EESJ_SZ_SK_SL_SM_EUlSZ_E_NS1_11comp_targetILNS1_3genE0ELNS1_11target_archE4294967295ELNS1_3gpuE0ELNS1_3repE0EEENS1_48merge_mergepath_partition_config_static_selectorELNS0_4arch9wavefront6targetE1EEEvSL_: ; @_ZN7rocprim17ROCPRIM_400000_NS6detail17trampoline_kernelINS0_14default_configENS1_38merge_sort_block_merge_config_selectorIxNS0_10empty_typeEEEZZNS1_27merge_sort_block_merge_implIS3_N6thrust23THRUST_200600_302600_NS6detail15normal_iteratorINS9_10device_ptrIxEEEEPS5_jNS1_19radix_merge_compareILb0ELb1ExNS0_19identity_decomposerEEEEE10hipError_tT0_T1_T2_jT3_P12ihipStream_tbPNSt15iterator_traitsISK_E10value_typeEPNSQ_ISL_E10value_typeEPSM_NS1_7vsmem_tEENKUlT_SK_SL_SM_E_clISE_PxSF_SF_EESJ_SZ_SK_SL_SM_EUlSZ_E_NS1_11comp_targetILNS1_3genE0ELNS1_11target_archE4294967295ELNS1_3gpuE0ELNS1_3repE0EEENS1_48merge_mergepath_partition_config_static_selectorELNS0_4arch9wavefront6targetE1EEEvSL_
; %bb.0:
	.section	.rodata,"a",@progbits
	.p2align	6, 0x0
	.amdhsa_kernel _ZN7rocprim17ROCPRIM_400000_NS6detail17trampoline_kernelINS0_14default_configENS1_38merge_sort_block_merge_config_selectorIxNS0_10empty_typeEEEZZNS1_27merge_sort_block_merge_implIS3_N6thrust23THRUST_200600_302600_NS6detail15normal_iteratorINS9_10device_ptrIxEEEEPS5_jNS1_19radix_merge_compareILb0ELb1ExNS0_19identity_decomposerEEEEE10hipError_tT0_T1_T2_jT3_P12ihipStream_tbPNSt15iterator_traitsISK_E10value_typeEPNSQ_ISL_E10value_typeEPSM_NS1_7vsmem_tEENKUlT_SK_SL_SM_E_clISE_PxSF_SF_EESJ_SZ_SK_SL_SM_EUlSZ_E_NS1_11comp_targetILNS1_3genE0ELNS1_11target_archE4294967295ELNS1_3gpuE0ELNS1_3repE0EEENS1_48merge_mergepath_partition_config_static_selectorELNS0_4arch9wavefront6targetE1EEEvSL_
		.amdhsa_group_segment_fixed_size 0
		.amdhsa_private_segment_fixed_size 0
		.amdhsa_kernarg_size 40
		.amdhsa_user_sgpr_count 6
		.amdhsa_user_sgpr_private_segment_buffer 1
		.amdhsa_user_sgpr_dispatch_ptr 0
		.amdhsa_user_sgpr_queue_ptr 0
		.amdhsa_user_sgpr_kernarg_segment_ptr 1
		.amdhsa_user_sgpr_dispatch_id 0
		.amdhsa_user_sgpr_flat_scratch_init 0
		.amdhsa_user_sgpr_kernarg_preload_length 0
		.amdhsa_user_sgpr_kernarg_preload_offset 0
		.amdhsa_user_sgpr_private_segment_size 0
		.amdhsa_uses_dynamic_stack 0
		.amdhsa_system_sgpr_private_segment_wavefront_offset 0
		.amdhsa_system_sgpr_workgroup_id_x 1
		.amdhsa_system_sgpr_workgroup_id_y 0
		.amdhsa_system_sgpr_workgroup_id_z 0
		.amdhsa_system_sgpr_workgroup_info 0
		.amdhsa_system_vgpr_workitem_id 0
		.amdhsa_next_free_vgpr 1
		.amdhsa_next_free_sgpr 0
		.amdhsa_accum_offset 4
		.amdhsa_reserve_vcc 0
		.amdhsa_reserve_flat_scratch 0
		.amdhsa_float_round_mode_32 0
		.amdhsa_float_round_mode_16_64 0
		.amdhsa_float_denorm_mode_32 3
		.amdhsa_float_denorm_mode_16_64 3
		.amdhsa_dx10_clamp 1
		.amdhsa_ieee_mode 1
		.amdhsa_fp16_overflow 0
		.amdhsa_tg_split 0
		.amdhsa_exception_fp_ieee_invalid_op 0
		.amdhsa_exception_fp_denorm_src 0
		.amdhsa_exception_fp_ieee_div_zero 0
		.amdhsa_exception_fp_ieee_overflow 0
		.amdhsa_exception_fp_ieee_underflow 0
		.amdhsa_exception_fp_ieee_inexact 0
		.amdhsa_exception_int_div_zero 0
	.end_amdhsa_kernel
	.section	.text._ZN7rocprim17ROCPRIM_400000_NS6detail17trampoline_kernelINS0_14default_configENS1_38merge_sort_block_merge_config_selectorIxNS0_10empty_typeEEEZZNS1_27merge_sort_block_merge_implIS3_N6thrust23THRUST_200600_302600_NS6detail15normal_iteratorINS9_10device_ptrIxEEEEPS5_jNS1_19radix_merge_compareILb0ELb1ExNS0_19identity_decomposerEEEEE10hipError_tT0_T1_T2_jT3_P12ihipStream_tbPNSt15iterator_traitsISK_E10value_typeEPNSQ_ISL_E10value_typeEPSM_NS1_7vsmem_tEENKUlT_SK_SL_SM_E_clISE_PxSF_SF_EESJ_SZ_SK_SL_SM_EUlSZ_E_NS1_11comp_targetILNS1_3genE0ELNS1_11target_archE4294967295ELNS1_3gpuE0ELNS1_3repE0EEENS1_48merge_mergepath_partition_config_static_selectorELNS0_4arch9wavefront6targetE1EEEvSL_,"axG",@progbits,_ZN7rocprim17ROCPRIM_400000_NS6detail17trampoline_kernelINS0_14default_configENS1_38merge_sort_block_merge_config_selectorIxNS0_10empty_typeEEEZZNS1_27merge_sort_block_merge_implIS3_N6thrust23THRUST_200600_302600_NS6detail15normal_iteratorINS9_10device_ptrIxEEEEPS5_jNS1_19radix_merge_compareILb0ELb1ExNS0_19identity_decomposerEEEEE10hipError_tT0_T1_T2_jT3_P12ihipStream_tbPNSt15iterator_traitsISK_E10value_typeEPNSQ_ISL_E10value_typeEPSM_NS1_7vsmem_tEENKUlT_SK_SL_SM_E_clISE_PxSF_SF_EESJ_SZ_SK_SL_SM_EUlSZ_E_NS1_11comp_targetILNS1_3genE0ELNS1_11target_archE4294967295ELNS1_3gpuE0ELNS1_3repE0EEENS1_48merge_mergepath_partition_config_static_selectorELNS0_4arch9wavefront6targetE1EEEvSL_,comdat
.Lfunc_end1491:
	.size	_ZN7rocprim17ROCPRIM_400000_NS6detail17trampoline_kernelINS0_14default_configENS1_38merge_sort_block_merge_config_selectorIxNS0_10empty_typeEEEZZNS1_27merge_sort_block_merge_implIS3_N6thrust23THRUST_200600_302600_NS6detail15normal_iteratorINS9_10device_ptrIxEEEEPS5_jNS1_19radix_merge_compareILb0ELb1ExNS0_19identity_decomposerEEEEE10hipError_tT0_T1_T2_jT3_P12ihipStream_tbPNSt15iterator_traitsISK_E10value_typeEPNSQ_ISL_E10value_typeEPSM_NS1_7vsmem_tEENKUlT_SK_SL_SM_E_clISE_PxSF_SF_EESJ_SZ_SK_SL_SM_EUlSZ_E_NS1_11comp_targetILNS1_3genE0ELNS1_11target_archE4294967295ELNS1_3gpuE0ELNS1_3repE0EEENS1_48merge_mergepath_partition_config_static_selectorELNS0_4arch9wavefront6targetE1EEEvSL_, .Lfunc_end1491-_ZN7rocprim17ROCPRIM_400000_NS6detail17trampoline_kernelINS0_14default_configENS1_38merge_sort_block_merge_config_selectorIxNS0_10empty_typeEEEZZNS1_27merge_sort_block_merge_implIS3_N6thrust23THRUST_200600_302600_NS6detail15normal_iteratorINS9_10device_ptrIxEEEEPS5_jNS1_19radix_merge_compareILb0ELb1ExNS0_19identity_decomposerEEEEE10hipError_tT0_T1_T2_jT3_P12ihipStream_tbPNSt15iterator_traitsISK_E10value_typeEPNSQ_ISL_E10value_typeEPSM_NS1_7vsmem_tEENKUlT_SK_SL_SM_E_clISE_PxSF_SF_EESJ_SZ_SK_SL_SM_EUlSZ_E_NS1_11comp_targetILNS1_3genE0ELNS1_11target_archE4294967295ELNS1_3gpuE0ELNS1_3repE0EEENS1_48merge_mergepath_partition_config_static_selectorELNS0_4arch9wavefront6targetE1EEEvSL_
                                        ; -- End function
	.section	.AMDGPU.csdata,"",@progbits
; Kernel info:
; codeLenInByte = 0
; NumSgprs: 4
; NumVgprs: 0
; NumAgprs: 0
; TotalNumVgprs: 0
; ScratchSize: 0
; MemoryBound: 0
; FloatMode: 240
; IeeeMode: 1
; LDSByteSize: 0 bytes/workgroup (compile time only)
; SGPRBlocks: 0
; VGPRBlocks: 0
; NumSGPRsForWavesPerEU: 4
; NumVGPRsForWavesPerEU: 1
; AccumOffset: 4
; Occupancy: 8
; WaveLimiterHint : 0
; COMPUTE_PGM_RSRC2:SCRATCH_EN: 0
; COMPUTE_PGM_RSRC2:USER_SGPR: 6
; COMPUTE_PGM_RSRC2:TRAP_HANDLER: 0
; COMPUTE_PGM_RSRC2:TGID_X_EN: 1
; COMPUTE_PGM_RSRC2:TGID_Y_EN: 0
; COMPUTE_PGM_RSRC2:TGID_Z_EN: 0
; COMPUTE_PGM_RSRC2:TIDIG_COMP_CNT: 0
; COMPUTE_PGM_RSRC3_GFX90A:ACCUM_OFFSET: 0
; COMPUTE_PGM_RSRC3_GFX90A:TG_SPLIT: 0
	.section	.text._ZN7rocprim17ROCPRIM_400000_NS6detail17trampoline_kernelINS0_14default_configENS1_38merge_sort_block_merge_config_selectorIxNS0_10empty_typeEEEZZNS1_27merge_sort_block_merge_implIS3_N6thrust23THRUST_200600_302600_NS6detail15normal_iteratorINS9_10device_ptrIxEEEEPS5_jNS1_19radix_merge_compareILb0ELb1ExNS0_19identity_decomposerEEEEE10hipError_tT0_T1_T2_jT3_P12ihipStream_tbPNSt15iterator_traitsISK_E10value_typeEPNSQ_ISL_E10value_typeEPSM_NS1_7vsmem_tEENKUlT_SK_SL_SM_E_clISE_PxSF_SF_EESJ_SZ_SK_SL_SM_EUlSZ_E_NS1_11comp_targetILNS1_3genE10ELNS1_11target_archE1201ELNS1_3gpuE5ELNS1_3repE0EEENS1_48merge_mergepath_partition_config_static_selectorELNS0_4arch9wavefront6targetE1EEEvSL_,"axG",@progbits,_ZN7rocprim17ROCPRIM_400000_NS6detail17trampoline_kernelINS0_14default_configENS1_38merge_sort_block_merge_config_selectorIxNS0_10empty_typeEEEZZNS1_27merge_sort_block_merge_implIS3_N6thrust23THRUST_200600_302600_NS6detail15normal_iteratorINS9_10device_ptrIxEEEEPS5_jNS1_19radix_merge_compareILb0ELb1ExNS0_19identity_decomposerEEEEE10hipError_tT0_T1_T2_jT3_P12ihipStream_tbPNSt15iterator_traitsISK_E10value_typeEPNSQ_ISL_E10value_typeEPSM_NS1_7vsmem_tEENKUlT_SK_SL_SM_E_clISE_PxSF_SF_EESJ_SZ_SK_SL_SM_EUlSZ_E_NS1_11comp_targetILNS1_3genE10ELNS1_11target_archE1201ELNS1_3gpuE5ELNS1_3repE0EEENS1_48merge_mergepath_partition_config_static_selectorELNS0_4arch9wavefront6targetE1EEEvSL_,comdat
	.protected	_ZN7rocprim17ROCPRIM_400000_NS6detail17trampoline_kernelINS0_14default_configENS1_38merge_sort_block_merge_config_selectorIxNS0_10empty_typeEEEZZNS1_27merge_sort_block_merge_implIS3_N6thrust23THRUST_200600_302600_NS6detail15normal_iteratorINS9_10device_ptrIxEEEEPS5_jNS1_19radix_merge_compareILb0ELb1ExNS0_19identity_decomposerEEEEE10hipError_tT0_T1_T2_jT3_P12ihipStream_tbPNSt15iterator_traitsISK_E10value_typeEPNSQ_ISL_E10value_typeEPSM_NS1_7vsmem_tEENKUlT_SK_SL_SM_E_clISE_PxSF_SF_EESJ_SZ_SK_SL_SM_EUlSZ_E_NS1_11comp_targetILNS1_3genE10ELNS1_11target_archE1201ELNS1_3gpuE5ELNS1_3repE0EEENS1_48merge_mergepath_partition_config_static_selectorELNS0_4arch9wavefront6targetE1EEEvSL_ ; -- Begin function _ZN7rocprim17ROCPRIM_400000_NS6detail17trampoline_kernelINS0_14default_configENS1_38merge_sort_block_merge_config_selectorIxNS0_10empty_typeEEEZZNS1_27merge_sort_block_merge_implIS3_N6thrust23THRUST_200600_302600_NS6detail15normal_iteratorINS9_10device_ptrIxEEEEPS5_jNS1_19radix_merge_compareILb0ELb1ExNS0_19identity_decomposerEEEEE10hipError_tT0_T1_T2_jT3_P12ihipStream_tbPNSt15iterator_traitsISK_E10value_typeEPNSQ_ISL_E10value_typeEPSM_NS1_7vsmem_tEENKUlT_SK_SL_SM_E_clISE_PxSF_SF_EESJ_SZ_SK_SL_SM_EUlSZ_E_NS1_11comp_targetILNS1_3genE10ELNS1_11target_archE1201ELNS1_3gpuE5ELNS1_3repE0EEENS1_48merge_mergepath_partition_config_static_selectorELNS0_4arch9wavefront6targetE1EEEvSL_
	.globl	_ZN7rocprim17ROCPRIM_400000_NS6detail17trampoline_kernelINS0_14default_configENS1_38merge_sort_block_merge_config_selectorIxNS0_10empty_typeEEEZZNS1_27merge_sort_block_merge_implIS3_N6thrust23THRUST_200600_302600_NS6detail15normal_iteratorINS9_10device_ptrIxEEEEPS5_jNS1_19radix_merge_compareILb0ELb1ExNS0_19identity_decomposerEEEEE10hipError_tT0_T1_T2_jT3_P12ihipStream_tbPNSt15iterator_traitsISK_E10value_typeEPNSQ_ISL_E10value_typeEPSM_NS1_7vsmem_tEENKUlT_SK_SL_SM_E_clISE_PxSF_SF_EESJ_SZ_SK_SL_SM_EUlSZ_E_NS1_11comp_targetILNS1_3genE10ELNS1_11target_archE1201ELNS1_3gpuE5ELNS1_3repE0EEENS1_48merge_mergepath_partition_config_static_selectorELNS0_4arch9wavefront6targetE1EEEvSL_
	.p2align	8
	.type	_ZN7rocprim17ROCPRIM_400000_NS6detail17trampoline_kernelINS0_14default_configENS1_38merge_sort_block_merge_config_selectorIxNS0_10empty_typeEEEZZNS1_27merge_sort_block_merge_implIS3_N6thrust23THRUST_200600_302600_NS6detail15normal_iteratorINS9_10device_ptrIxEEEEPS5_jNS1_19radix_merge_compareILb0ELb1ExNS0_19identity_decomposerEEEEE10hipError_tT0_T1_T2_jT3_P12ihipStream_tbPNSt15iterator_traitsISK_E10value_typeEPNSQ_ISL_E10value_typeEPSM_NS1_7vsmem_tEENKUlT_SK_SL_SM_E_clISE_PxSF_SF_EESJ_SZ_SK_SL_SM_EUlSZ_E_NS1_11comp_targetILNS1_3genE10ELNS1_11target_archE1201ELNS1_3gpuE5ELNS1_3repE0EEENS1_48merge_mergepath_partition_config_static_selectorELNS0_4arch9wavefront6targetE1EEEvSL_,@function
_ZN7rocprim17ROCPRIM_400000_NS6detail17trampoline_kernelINS0_14default_configENS1_38merge_sort_block_merge_config_selectorIxNS0_10empty_typeEEEZZNS1_27merge_sort_block_merge_implIS3_N6thrust23THRUST_200600_302600_NS6detail15normal_iteratorINS9_10device_ptrIxEEEEPS5_jNS1_19radix_merge_compareILb0ELb1ExNS0_19identity_decomposerEEEEE10hipError_tT0_T1_T2_jT3_P12ihipStream_tbPNSt15iterator_traitsISK_E10value_typeEPNSQ_ISL_E10value_typeEPSM_NS1_7vsmem_tEENKUlT_SK_SL_SM_E_clISE_PxSF_SF_EESJ_SZ_SK_SL_SM_EUlSZ_E_NS1_11comp_targetILNS1_3genE10ELNS1_11target_archE1201ELNS1_3gpuE5ELNS1_3repE0EEENS1_48merge_mergepath_partition_config_static_selectorELNS0_4arch9wavefront6targetE1EEEvSL_: ; @_ZN7rocprim17ROCPRIM_400000_NS6detail17trampoline_kernelINS0_14default_configENS1_38merge_sort_block_merge_config_selectorIxNS0_10empty_typeEEEZZNS1_27merge_sort_block_merge_implIS3_N6thrust23THRUST_200600_302600_NS6detail15normal_iteratorINS9_10device_ptrIxEEEEPS5_jNS1_19radix_merge_compareILb0ELb1ExNS0_19identity_decomposerEEEEE10hipError_tT0_T1_T2_jT3_P12ihipStream_tbPNSt15iterator_traitsISK_E10value_typeEPNSQ_ISL_E10value_typeEPSM_NS1_7vsmem_tEENKUlT_SK_SL_SM_E_clISE_PxSF_SF_EESJ_SZ_SK_SL_SM_EUlSZ_E_NS1_11comp_targetILNS1_3genE10ELNS1_11target_archE1201ELNS1_3gpuE5ELNS1_3repE0EEENS1_48merge_mergepath_partition_config_static_selectorELNS0_4arch9wavefront6targetE1EEEvSL_
; %bb.0:
	.section	.rodata,"a",@progbits
	.p2align	6, 0x0
	.amdhsa_kernel _ZN7rocprim17ROCPRIM_400000_NS6detail17trampoline_kernelINS0_14default_configENS1_38merge_sort_block_merge_config_selectorIxNS0_10empty_typeEEEZZNS1_27merge_sort_block_merge_implIS3_N6thrust23THRUST_200600_302600_NS6detail15normal_iteratorINS9_10device_ptrIxEEEEPS5_jNS1_19radix_merge_compareILb0ELb1ExNS0_19identity_decomposerEEEEE10hipError_tT0_T1_T2_jT3_P12ihipStream_tbPNSt15iterator_traitsISK_E10value_typeEPNSQ_ISL_E10value_typeEPSM_NS1_7vsmem_tEENKUlT_SK_SL_SM_E_clISE_PxSF_SF_EESJ_SZ_SK_SL_SM_EUlSZ_E_NS1_11comp_targetILNS1_3genE10ELNS1_11target_archE1201ELNS1_3gpuE5ELNS1_3repE0EEENS1_48merge_mergepath_partition_config_static_selectorELNS0_4arch9wavefront6targetE1EEEvSL_
		.amdhsa_group_segment_fixed_size 0
		.amdhsa_private_segment_fixed_size 0
		.amdhsa_kernarg_size 40
		.amdhsa_user_sgpr_count 6
		.amdhsa_user_sgpr_private_segment_buffer 1
		.amdhsa_user_sgpr_dispatch_ptr 0
		.amdhsa_user_sgpr_queue_ptr 0
		.amdhsa_user_sgpr_kernarg_segment_ptr 1
		.amdhsa_user_sgpr_dispatch_id 0
		.amdhsa_user_sgpr_flat_scratch_init 0
		.amdhsa_user_sgpr_kernarg_preload_length 0
		.amdhsa_user_sgpr_kernarg_preload_offset 0
		.amdhsa_user_sgpr_private_segment_size 0
		.amdhsa_uses_dynamic_stack 0
		.amdhsa_system_sgpr_private_segment_wavefront_offset 0
		.amdhsa_system_sgpr_workgroup_id_x 1
		.amdhsa_system_sgpr_workgroup_id_y 0
		.amdhsa_system_sgpr_workgroup_id_z 0
		.amdhsa_system_sgpr_workgroup_info 0
		.amdhsa_system_vgpr_workitem_id 0
		.amdhsa_next_free_vgpr 1
		.amdhsa_next_free_sgpr 0
		.amdhsa_accum_offset 4
		.amdhsa_reserve_vcc 0
		.amdhsa_reserve_flat_scratch 0
		.amdhsa_float_round_mode_32 0
		.amdhsa_float_round_mode_16_64 0
		.amdhsa_float_denorm_mode_32 3
		.amdhsa_float_denorm_mode_16_64 3
		.amdhsa_dx10_clamp 1
		.amdhsa_ieee_mode 1
		.amdhsa_fp16_overflow 0
		.amdhsa_tg_split 0
		.amdhsa_exception_fp_ieee_invalid_op 0
		.amdhsa_exception_fp_denorm_src 0
		.amdhsa_exception_fp_ieee_div_zero 0
		.amdhsa_exception_fp_ieee_overflow 0
		.amdhsa_exception_fp_ieee_underflow 0
		.amdhsa_exception_fp_ieee_inexact 0
		.amdhsa_exception_int_div_zero 0
	.end_amdhsa_kernel
	.section	.text._ZN7rocprim17ROCPRIM_400000_NS6detail17trampoline_kernelINS0_14default_configENS1_38merge_sort_block_merge_config_selectorIxNS0_10empty_typeEEEZZNS1_27merge_sort_block_merge_implIS3_N6thrust23THRUST_200600_302600_NS6detail15normal_iteratorINS9_10device_ptrIxEEEEPS5_jNS1_19radix_merge_compareILb0ELb1ExNS0_19identity_decomposerEEEEE10hipError_tT0_T1_T2_jT3_P12ihipStream_tbPNSt15iterator_traitsISK_E10value_typeEPNSQ_ISL_E10value_typeEPSM_NS1_7vsmem_tEENKUlT_SK_SL_SM_E_clISE_PxSF_SF_EESJ_SZ_SK_SL_SM_EUlSZ_E_NS1_11comp_targetILNS1_3genE10ELNS1_11target_archE1201ELNS1_3gpuE5ELNS1_3repE0EEENS1_48merge_mergepath_partition_config_static_selectorELNS0_4arch9wavefront6targetE1EEEvSL_,"axG",@progbits,_ZN7rocprim17ROCPRIM_400000_NS6detail17trampoline_kernelINS0_14default_configENS1_38merge_sort_block_merge_config_selectorIxNS0_10empty_typeEEEZZNS1_27merge_sort_block_merge_implIS3_N6thrust23THRUST_200600_302600_NS6detail15normal_iteratorINS9_10device_ptrIxEEEEPS5_jNS1_19radix_merge_compareILb0ELb1ExNS0_19identity_decomposerEEEEE10hipError_tT0_T1_T2_jT3_P12ihipStream_tbPNSt15iterator_traitsISK_E10value_typeEPNSQ_ISL_E10value_typeEPSM_NS1_7vsmem_tEENKUlT_SK_SL_SM_E_clISE_PxSF_SF_EESJ_SZ_SK_SL_SM_EUlSZ_E_NS1_11comp_targetILNS1_3genE10ELNS1_11target_archE1201ELNS1_3gpuE5ELNS1_3repE0EEENS1_48merge_mergepath_partition_config_static_selectorELNS0_4arch9wavefront6targetE1EEEvSL_,comdat
.Lfunc_end1492:
	.size	_ZN7rocprim17ROCPRIM_400000_NS6detail17trampoline_kernelINS0_14default_configENS1_38merge_sort_block_merge_config_selectorIxNS0_10empty_typeEEEZZNS1_27merge_sort_block_merge_implIS3_N6thrust23THRUST_200600_302600_NS6detail15normal_iteratorINS9_10device_ptrIxEEEEPS5_jNS1_19radix_merge_compareILb0ELb1ExNS0_19identity_decomposerEEEEE10hipError_tT0_T1_T2_jT3_P12ihipStream_tbPNSt15iterator_traitsISK_E10value_typeEPNSQ_ISL_E10value_typeEPSM_NS1_7vsmem_tEENKUlT_SK_SL_SM_E_clISE_PxSF_SF_EESJ_SZ_SK_SL_SM_EUlSZ_E_NS1_11comp_targetILNS1_3genE10ELNS1_11target_archE1201ELNS1_3gpuE5ELNS1_3repE0EEENS1_48merge_mergepath_partition_config_static_selectorELNS0_4arch9wavefront6targetE1EEEvSL_, .Lfunc_end1492-_ZN7rocprim17ROCPRIM_400000_NS6detail17trampoline_kernelINS0_14default_configENS1_38merge_sort_block_merge_config_selectorIxNS0_10empty_typeEEEZZNS1_27merge_sort_block_merge_implIS3_N6thrust23THRUST_200600_302600_NS6detail15normal_iteratorINS9_10device_ptrIxEEEEPS5_jNS1_19radix_merge_compareILb0ELb1ExNS0_19identity_decomposerEEEEE10hipError_tT0_T1_T2_jT3_P12ihipStream_tbPNSt15iterator_traitsISK_E10value_typeEPNSQ_ISL_E10value_typeEPSM_NS1_7vsmem_tEENKUlT_SK_SL_SM_E_clISE_PxSF_SF_EESJ_SZ_SK_SL_SM_EUlSZ_E_NS1_11comp_targetILNS1_3genE10ELNS1_11target_archE1201ELNS1_3gpuE5ELNS1_3repE0EEENS1_48merge_mergepath_partition_config_static_selectorELNS0_4arch9wavefront6targetE1EEEvSL_
                                        ; -- End function
	.section	.AMDGPU.csdata,"",@progbits
; Kernel info:
; codeLenInByte = 0
; NumSgprs: 4
; NumVgprs: 0
; NumAgprs: 0
; TotalNumVgprs: 0
; ScratchSize: 0
; MemoryBound: 0
; FloatMode: 240
; IeeeMode: 1
; LDSByteSize: 0 bytes/workgroup (compile time only)
; SGPRBlocks: 0
; VGPRBlocks: 0
; NumSGPRsForWavesPerEU: 4
; NumVGPRsForWavesPerEU: 1
; AccumOffset: 4
; Occupancy: 8
; WaveLimiterHint : 0
; COMPUTE_PGM_RSRC2:SCRATCH_EN: 0
; COMPUTE_PGM_RSRC2:USER_SGPR: 6
; COMPUTE_PGM_RSRC2:TRAP_HANDLER: 0
; COMPUTE_PGM_RSRC2:TGID_X_EN: 1
; COMPUTE_PGM_RSRC2:TGID_Y_EN: 0
; COMPUTE_PGM_RSRC2:TGID_Z_EN: 0
; COMPUTE_PGM_RSRC2:TIDIG_COMP_CNT: 0
; COMPUTE_PGM_RSRC3_GFX90A:ACCUM_OFFSET: 0
; COMPUTE_PGM_RSRC3_GFX90A:TG_SPLIT: 0
	.section	.text._ZN7rocprim17ROCPRIM_400000_NS6detail17trampoline_kernelINS0_14default_configENS1_38merge_sort_block_merge_config_selectorIxNS0_10empty_typeEEEZZNS1_27merge_sort_block_merge_implIS3_N6thrust23THRUST_200600_302600_NS6detail15normal_iteratorINS9_10device_ptrIxEEEEPS5_jNS1_19radix_merge_compareILb0ELb1ExNS0_19identity_decomposerEEEEE10hipError_tT0_T1_T2_jT3_P12ihipStream_tbPNSt15iterator_traitsISK_E10value_typeEPNSQ_ISL_E10value_typeEPSM_NS1_7vsmem_tEENKUlT_SK_SL_SM_E_clISE_PxSF_SF_EESJ_SZ_SK_SL_SM_EUlSZ_E_NS1_11comp_targetILNS1_3genE5ELNS1_11target_archE942ELNS1_3gpuE9ELNS1_3repE0EEENS1_48merge_mergepath_partition_config_static_selectorELNS0_4arch9wavefront6targetE1EEEvSL_,"axG",@progbits,_ZN7rocprim17ROCPRIM_400000_NS6detail17trampoline_kernelINS0_14default_configENS1_38merge_sort_block_merge_config_selectorIxNS0_10empty_typeEEEZZNS1_27merge_sort_block_merge_implIS3_N6thrust23THRUST_200600_302600_NS6detail15normal_iteratorINS9_10device_ptrIxEEEEPS5_jNS1_19radix_merge_compareILb0ELb1ExNS0_19identity_decomposerEEEEE10hipError_tT0_T1_T2_jT3_P12ihipStream_tbPNSt15iterator_traitsISK_E10value_typeEPNSQ_ISL_E10value_typeEPSM_NS1_7vsmem_tEENKUlT_SK_SL_SM_E_clISE_PxSF_SF_EESJ_SZ_SK_SL_SM_EUlSZ_E_NS1_11comp_targetILNS1_3genE5ELNS1_11target_archE942ELNS1_3gpuE9ELNS1_3repE0EEENS1_48merge_mergepath_partition_config_static_selectorELNS0_4arch9wavefront6targetE1EEEvSL_,comdat
	.protected	_ZN7rocprim17ROCPRIM_400000_NS6detail17trampoline_kernelINS0_14default_configENS1_38merge_sort_block_merge_config_selectorIxNS0_10empty_typeEEEZZNS1_27merge_sort_block_merge_implIS3_N6thrust23THRUST_200600_302600_NS6detail15normal_iteratorINS9_10device_ptrIxEEEEPS5_jNS1_19radix_merge_compareILb0ELb1ExNS0_19identity_decomposerEEEEE10hipError_tT0_T1_T2_jT3_P12ihipStream_tbPNSt15iterator_traitsISK_E10value_typeEPNSQ_ISL_E10value_typeEPSM_NS1_7vsmem_tEENKUlT_SK_SL_SM_E_clISE_PxSF_SF_EESJ_SZ_SK_SL_SM_EUlSZ_E_NS1_11comp_targetILNS1_3genE5ELNS1_11target_archE942ELNS1_3gpuE9ELNS1_3repE0EEENS1_48merge_mergepath_partition_config_static_selectorELNS0_4arch9wavefront6targetE1EEEvSL_ ; -- Begin function _ZN7rocprim17ROCPRIM_400000_NS6detail17trampoline_kernelINS0_14default_configENS1_38merge_sort_block_merge_config_selectorIxNS0_10empty_typeEEEZZNS1_27merge_sort_block_merge_implIS3_N6thrust23THRUST_200600_302600_NS6detail15normal_iteratorINS9_10device_ptrIxEEEEPS5_jNS1_19radix_merge_compareILb0ELb1ExNS0_19identity_decomposerEEEEE10hipError_tT0_T1_T2_jT3_P12ihipStream_tbPNSt15iterator_traitsISK_E10value_typeEPNSQ_ISL_E10value_typeEPSM_NS1_7vsmem_tEENKUlT_SK_SL_SM_E_clISE_PxSF_SF_EESJ_SZ_SK_SL_SM_EUlSZ_E_NS1_11comp_targetILNS1_3genE5ELNS1_11target_archE942ELNS1_3gpuE9ELNS1_3repE0EEENS1_48merge_mergepath_partition_config_static_selectorELNS0_4arch9wavefront6targetE1EEEvSL_
	.globl	_ZN7rocprim17ROCPRIM_400000_NS6detail17trampoline_kernelINS0_14default_configENS1_38merge_sort_block_merge_config_selectorIxNS0_10empty_typeEEEZZNS1_27merge_sort_block_merge_implIS3_N6thrust23THRUST_200600_302600_NS6detail15normal_iteratorINS9_10device_ptrIxEEEEPS5_jNS1_19radix_merge_compareILb0ELb1ExNS0_19identity_decomposerEEEEE10hipError_tT0_T1_T2_jT3_P12ihipStream_tbPNSt15iterator_traitsISK_E10value_typeEPNSQ_ISL_E10value_typeEPSM_NS1_7vsmem_tEENKUlT_SK_SL_SM_E_clISE_PxSF_SF_EESJ_SZ_SK_SL_SM_EUlSZ_E_NS1_11comp_targetILNS1_3genE5ELNS1_11target_archE942ELNS1_3gpuE9ELNS1_3repE0EEENS1_48merge_mergepath_partition_config_static_selectorELNS0_4arch9wavefront6targetE1EEEvSL_
	.p2align	8
	.type	_ZN7rocprim17ROCPRIM_400000_NS6detail17trampoline_kernelINS0_14default_configENS1_38merge_sort_block_merge_config_selectorIxNS0_10empty_typeEEEZZNS1_27merge_sort_block_merge_implIS3_N6thrust23THRUST_200600_302600_NS6detail15normal_iteratorINS9_10device_ptrIxEEEEPS5_jNS1_19radix_merge_compareILb0ELb1ExNS0_19identity_decomposerEEEEE10hipError_tT0_T1_T2_jT3_P12ihipStream_tbPNSt15iterator_traitsISK_E10value_typeEPNSQ_ISL_E10value_typeEPSM_NS1_7vsmem_tEENKUlT_SK_SL_SM_E_clISE_PxSF_SF_EESJ_SZ_SK_SL_SM_EUlSZ_E_NS1_11comp_targetILNS1_3genE5ELNS1_11target_archE942ELNS1_3gpuE9ELNS1_3repE0EEENS1_48merge_mergepath_partition_config_static_selectorELNS0_4arch9wavefront6targetE1EEEvSL_,@function
_ZN7rocprim17ROCPRIM_400000_NS6detail17trampoline_kernelINS0_14default_configENS1_38merge_sort_block_merge_config_selectorIxNS0_10empty_typeEEEZZNS1_27merge_sort_block_merge_implIS3_N6thrust23THRUST_200600_302600_NS6detail15normal_iteratorINS9_10device_ptrIxEEEEPS5_jNS1_19radix_merge_compareILb0ELb1ExNS0_19identity_decomposerEEEEE10hipError_tT0_T1_T2_jT3_P12ihipStream_tbPNSt15iterator_traitsISK_E10value_typeEPNSQ_ISL_E10value_typeEPSM_NS1_7vsmem_tEENKUlT_SK_SL_SM_E_clISE_PxSF_SF_EESJ_SZ_SK_SL_SM_EUlSZ_E_NS1_11comp_targetILNS1_3genE5ELNS1_11target_archE942ELNS1_3gpuE9ELNS1_3repE0EEENS1_48merge_mergepath_partition_config_static_selectorELNS0_4arch9wavefront6targetE1EEEvSL_: ; @_ZN7rocprim17ROCPRIM_400000_NS6detail17trampoline_kernelINS0_14default_configENS1_38merge_sort_block_merge_config_selectorIxNS0_10empty_typeEEEZZNS1_27merge_sort_block_merge_implIS3_N6thrust23THRUST_200600_302600_NS6detail15normal_iteratorINS9_10device_ptrIxEEEEPS5_jNS1_19radix_merge_compareILb0ELb1ExNS0_19identity_decomposerEEEEE10hipError_tT0_T1_T2_jT3_P12ihipStream_tbPNSt15iterator_traitsISK_E10value_typeEPNSQ_ISL_E10value_typeEPSM_NS1_7vsmem_tEENKUlT_SK_SL_SM_E_clISE_PxSF_SF_EESJ_SZ_SK_SL_SM_EUlSZ_E_NS1_11comp_targetILNS1_3genE5ELNS1_11target_archE942ELNS1_3gpuE9ELNS1_3repE0EEENS1_48merge_mergepath_partition_config_static_selectorELNS0_4arch9wavefront6targetE1EEEvSL_
; %bb.0:
	.section	.rodata,"a",@progbits
	.p2align	6, 0x0
	.amdhsa_kernel _ZN7rocprim17ROCPRIM_400000_NS6detail17trampoline_kernelINS0_14default_configENS1_38merge_sort_block_merge_config_selectorIxNS0_10empty_typeEEEZZNS1_27merge_sort_block_merge_implIS3_N6thrust23THRUST_200600_302600_NS6detail15normal_iteratorINS9_10device_ptrIxEEEEPS5_jNS1_19radix_merge_compareILb0ELb1ExNS0_19identity_decomposerEEEEE10hipError_tT0_T1_T2_jT3_P12ihipStream_tbPNSt15iterator_traitsISK_E10value_typeEPNSQ_ISL_E10value_typeEPSM_NS1_7vsmem_tEENKUlT_SK_SL_SM_E_clISE_PxSF_SF_EESJ_SZ_SK_SL_SM_EUlSZ_E_NS1_11comp_targetILNS1_3genE5ELNS1_11target_archE942ELNS1_3gpuE9ELNS1_3repE0EEENS1_48merge_mergepath_partition_config_static_selectorELNS0_4arch9wavefront6targetE1EEEvSL_
		.amdhsa_group_segment_fixed_size 0
		.amdhsa_private_segment_fixed_size 0
		.amdhsa_kernarg_size 40
		.amdhsa_user_sgpr_count 6
		.amdhsa_user_sgpr_private_segment_buffer 1
		.amdhsa_user_sgpr_dispatch_ptr 0
		.amdhsa_user_sgpr_queue_ptr 0
		.amdhsa_user_sgpr_kernarg_segment_ptr 1
		.amdhsa_user_sgpr_dispatch_id 0
		.amdhsa_user_sgpr_flat_scratch_init 0
		.amdhsa_user_sgpr_kernarg_preload_length 0
		.amdhsa_user_sgpr_kernarg_preload_offset 0
		.amdhsa_user_sgpr_private_segment_size 0
		.amdhsa_uses_dynamic_stack 0
		.amdhsa_system_sgpr_private_segment_wavefront_offset 0
		.amdhsa_system_sgpr_workgroup_id_x 1
		.amdhsa_system_sgpr_workgroup_id_y 0
		.amdhsa_system_sgpr_workgroup_id_z 0
		.amdhsa_system_sgpr_workgroup_info 0
		.amdhsa_system_vgpr_workitem_id 0
		.amdhsa_next_free_vgpr 1
		.amdhsa_next_free_sgpr 0
		.amdhsa_accum_offset 4
		.amdhsa_reserve_vcc 0
		.amdhsa_reserve_flat_scratch 0
		.amdhsa_float_round_mode_32 0
		.amdhsa_float_round_mode_16_64 0
		.amdhsa_float_denorm_mode_32 3
		.amdhsa_float_denorm_mode_16_64 3
		.amdhsa_dx10_clamp 1
		.amdhsa_ieee_mode 1
		.amdhsa_fp16_overflow 0
		.amdhsa_tg_split 0
		.amdhsa_exception_fp_ieee_invalid_op 0
		.amdhsa_exception_fp_denorm_src 0
		.amdhsa_exception_fp_ieee_div_zero 0
		.amdhsa_exception_fp_ieee_overflow 0
		.amdhsa_exception_fp_ieee_underflow 0
		.amdhsa_exception_fp_ieee_inexact 0
		.amdhsa_exception_int_div_zero 0
	.end_amdhsa_kernel
	.section	.text._ZN7rocprim17ROCPRIM_400000_NS6detail17trampoline_kernelINS0_14default_configENS1_38merge_sort_block_merge_config_selectorIxNS0_10empty_typeEEEZZNS1_27merge_sort_block_merge_implIS3_N6thrust23THRUST_200600_302600_NS6detail15normal_iteratorINS9_10device_ptrIxEEEEPS5_jNS1_19radix_merge_compareILb0ELb1ExNS0_19identity_decomposerEEEEE10hipError_tT0_T1_T2_jT3_P12ihipStream_tbPNSt15iterator_traitsISK_E10value_typeEPNSQ_ISL_E10value_typeEPSM_NS1_7vsmem_tEENKUlT_SK_SL_SM_E_clISE_PxSF_SF_EESJ_SZ_SK_SL_SM_EUlSZ_E_NS1_11comp_targetILNS1_3genE5ELNS1_11target_archE942ELNS1_3gpuE9ELNS1_3repE0EEENS1_48merge_mergepath_partition_config_static_selectorELNS0_4arch9wavefront6targetE1EEEvSL_,"axG",@progbits,_ZN7rocprim17ROCPRIM_400000_NS6detail17trampoline_kernelINS0_14default_configENS1_38merge_sort_block_merge_config_selectorIxNS0_10empty_typeEEEZZNS1_27merge_sort_block_merge_implIS3_N6thrust23THRUST_200600_302600_NS6detail15normal_iteratorINS9_10device_ptrIxEEEEPS5_jNS1_19radix_merge_compareILb0ELb1ExNS0_19identity_decomposerEEEEE10hipError_tT0_T1_T2_jT3_P12ihipStream_tbPNSt15iterator_traitsISK_E10value_typeEPNSQ_ISL_E10value_typeEPSM_NS1_7vsmem_tEENKUlT_SK_SL_SM_E_clISE_PxSF_SF_EESJ_SZ_SK_SL_SM_EUlSZ_E_NS1_11comp_targetILNS1_3genE5ELNS1_11target_archE942ELNS1_3gpuE9ELNS1_3repE0EEENS1_48merge_mergepath_partition_config_static_selectorELNS0_4arch9wavefront6targetE1EEEvSL_,comdat
.Lfunc_end1493:
	.size	_ZN7rocprim17ROCPRIM_400000_NS6detail17trampoline_kernelINS0_14default_configENS1_38merge_sort_block_merge_config_selectorIxNS0_10empty_typeEEEZZNS1_27merge_sort_block_merge_implIS3_N6thrust23THRUST_200600_302600_NS6detail15normal_iteratorINS9_10device_ptrIxEEEEPS5_jNS1_19radix_merge_compareILb0ELb1ExNS0_19identity_decomposerEEEEE10hipError_tT0_T1_T2_jT3_P12ihipStream_tbPNSt15iterator_traitsISK_E10value_typeEPNSQ_ISL_E10value_typeEPSM_NS1_7vsmem_tEENKUlT_SK_SL_SM_E_clISE_PxSF_SF_EESJ_SZ_SK_SL_SM_EUlSZ_E_NS1_11comp_targetILNS1_3genE5ELNS1_11target_archE942ELNS1_3gpuE9ELNS1_3repE0EEENS1_48merge_mergepath_partition_config_static_selectorELNS0_4arch9wavefront6targetE1EEEvSL_, .Lfunc_end1493-_ZN7rocprim17ROCPRIM_400000_NS6detail17trampoline_kernelINS0_14default_configENS1_38merge_sort_block_merge_config_selectorIxNS0_10empty_typeEEEZZNS1_27merge_sort_block_merge_implIS3_N6thrust23THRUST_200600_302600_NS6detail15normal_iteratorINS9_10device_ptrIxEEEEPS5_jNS1_19radix_merge_compareILb0ELb1ExNS0_19identity_decomposerEEEEE10hipError_tT0_T1_T2_jT3_P12ihipStream_tbPNSt15iterator_traitsISK_E10value_typeEPNSQ_ISL_E10value_typeEPSM_NS1_7vsmem_tEENKUlT_SK_SL_SM_E_clISE_PxSF_SF_EESJ_SZ_SK_SL_SM_EUlSZ_E_NS1_11comp_targetILNS1_3genE5ELNS1_11target_archE942ELNS1_3gpuE9ELNS1_3repE0EEENS1_48merge_mergepath_partition_config_static_selectorELNS0_4arch9wavefront6targetE1EEEvSL_
                                        ; -- End function
	.section	.AMDGPU.csdata,"",@progbits
; Kernel info:
; codeLenInByte = 0
; NumSgprs: 4
; NumVgprs: 0
; NumAgprs: 0
; TotalNumVgprs: 0
; ScratchSize: 0
; MemoryBound: 0
; FloatMode: 240
; IeeeMode: 1
; LDSByteSize: 0 bytes/workgroup (compile time only)
; SGPRBlocks: 0
; VGPRBlocks: 0
; NumSGPRsForWavesPerEU: 4
; NumVGPRsForWavesPerEU: 1
; AccumOffset: 4
; Occupancy: 8
; WaveLimiterHint : 0
; COMPUTE_PGM_RSRC2:SCRATCH_EN: 0
; COMPUTE_PGM_RSRC2:USER_SGPR: 6
; COMPUTE_PGM_RSRC2:TRAP_HANDLER: 0
; COMPUTE_PGM_RSRC2:TGID_X_EN: 1
; COMPUTE_PGM_RSRC2:TGID_Y_EN: 0
; COMPUTE_PGM_RSRC2:TGID_Z_EN: 0
; COMPUTE_PGM_RSRC2:TIDIG_COMP_CNT: 0
; COMPUTE_PGM_RSRC3_GFX90A:ACCUM_OFFSET: 0
; COMPUTE_PGM_RSRC3_GFX90A:TG_SPLIT: 0
	.section	.text._ZN7rocprim17ROCPRIM_400000_NS6detail17trampoline_kernelINS0_14default_configENS1_38merge_sort_block_merge_config_selectorIxNS0_10empty_typeEEEZZNS1_27merge_sort_block_merge_implIS3_N6thrust23THRUST_200600_302600_NS6detail15normal_iteratorINS9_10device_ptrIxEEEEPS5_jNS1_19radix_merge_compareILb0ELb1ExNS0_19identity_decomposerEEEEE10hipError_tT0_T1_T2_jT3_P12ihipStream_tbPNSt15iterator_traitsISK_E10value_typeEPNSQ_ISL_E10value_typeEPSM_NS1_7vsmem_tEENKUlT_SK_SL_SM_E_clISE_PxSF_SF_EESJ_SZ_SK_SL_SM_EUlSZ_E_NS1_11comp_targetILNS1_3genE4ELNS1_11target_archE910ELNS1_3gpuE8ELNS1_3repE0EEENS1_48merge_mergepath_partition_config_static_selectorELNS0_4arch9wavefront6targetE1EEEvSL_,"axG",@progbits,_ZN7rocprim17ROCPRIM_400000_NS6detail17trampoline_kernelINS0_14default_configENS1_38merge_sort_block_merge_config_selectorIxNS0_10empty_typeEEEZZNS1_27merge_sort_block_merge_implIS3_N6thrust23THRUST_200600_302600_NS6detail15normal_iteratorINS9_10device_ptrIxEEEEPS5_jNS1_19radix_merge_compareILb0ELb1ExNS0_19identity_decomposerEEEEE10hipError_tT0_T1_T2_jT3_P12ihipStream_tbPNSt15iterator_traitsISK_E10value_typeEPNSQ_ISL_E10value_typeEPSM_NS1_7vsmem_tEENKUlT_SK_SL_SM_E_clISE_PxSF_SF_EESJ_SZ_SK_SL_SM_EUlSZ_E_NS1_11comp_targetILNS1_3genE4ELNS1_11target_archE910ELNS1_3gpuE8ELNS1_3repE0EEENS1_48merge_mergepath_partition_config_static_selectorELNS0_4arch9wavefront6targetE1EEEvSL_,comdat
	.protected	_ZN7rocprim17ROCPRIM_400000_NS6detail17trampoline_kernelINS0_14default_configENS1_38merge_sort_block_merge_config_selectorIxNS0_10empty_typeEEEZZNS1_27merge_sort_block_merge_implIS3_N6thrust23THRUST_200600_302600_NS6detail15normal_iteratorINS9_10device_ptrIxEEEEPS5_jNS1_19radix_merge_compareILb0ELb1ExNS0_19identity_decomposerEEEEE10hipError_tT0_T1_T2_jT3_P12ihipStream_tbPNSt15iterator_traitsISK_E10value_typeEPNSQ_ISL_E10value_typeEPSM_NS1_7vsmem_tEENKUlT_SK_SL_SM_E_clISE_PxSF_SF_EESJ_SZ_SK_SL_SM_EUlSZ_E_NS1_11comp_targetILNS1_3genE4ELNS1_11target_archE910ELNS1_3gpuE8ELNS1_3repE0EEENS1_48merge_mergepath_partition_config_static_selectorELNS0_4arch9wavefront6targetE1EEEvSL_ ; -- Begin function _ZN7rocprim17ROCPRIM_400000_NS6detail17trampoline_kernelINS0_14default_configENS1_38merge_sort_block_merge_config_selectorIxNS0_10empty_typeEEEZZNS1_27merge_sort_block_merge_implIS3_N6thrust23THRUST_200600_302600_NS6detail15normal_iteratorINS9_10device_ptrIxEEEEPS5_jNS1_19radix_merge_compareILb0ELb1ExNS0_19identity_decomposerEEEEE10hipError_tT0_T1_T2_jT3_P12ihipStream_tbPNSt15iterator_traitsISK_E10value_typeEPNSQ_ISL_E10value_typeEPSM_NS1_7vsmem_tEENKUlT_SK_SL_SM_E_clISE_PxSF_SF_EESJ_SZ_SK_SL_SM_EUlSZ_E_NS1_11comp_targetILNS1_3genE4ELNS1_11target_archE910ELNS1_3gpuE8ELNS1_3repE0EEENS1_48merge_mergepath_partition_config_static_selectorELNS0_4arch9wavefront6targetE1EEEvSL_
	.globl	_ZN7rocprim17ROCPRIM_400000_NS6detail17trampoline_kernelINS0_14default_configENS1_38merge_sort_block_merge_config_selectorIxNS0_10empty_typeEEEZZNS1_27merge_sort_block_merge_implIS3_N6thrust23THRUST_200600_302600_NS6detail15normal_iteratorINS9_10device_ptrIxEEEEPS5_jNS1_19radix_merge_compareILb0ELb1ExNS0_19identity_decomposerEEEEE10hipError_tT0_T1_T2_jT3_P12ihipStream_tbPNSt15iterator_traitsISK_E10value_typeEPNSQ_ISL_E10value_typeEPSM_NS1_7vsmem_tEENKUlT_SK_SL_SM_E_clISE_PxSF_SF_EESJ_SZ_SK_SL_SM_EUlSZ_E_NS1_11comp_targetILNS1_3genE4ELNS1_11target_archE910ELNS1_3gpuE8ELNS1_3repE0EEENS1_48merge_mergepath_partition_config_static_selectorELNS0_4arch9wavefront6targetE1EEEvSL_
	.p2align	8
	.type	_ZN7rocprim17ROCPRIM_400000_NS6detail17trampoline_kernelINS0_14default_configENS1_38merge_sort_block_merge_config_selectorIxNS0_10empty_typeEEEZZNS1_27merge_sort_block_merge_implIS3_N6thrust23THRUST_200600_302600_NS6detail15normal_iteratorINS9_10device_ptrIxEEEEPS5_jNS1_19radix_merge_compareILb0ELb1ExNS0_19identity_decomposerEEEEE10hipError_tT0_T1_T2_jT3_P12ihipStream_tbPNSt15iterator_traitsISK_E10value_typeEPNSQ_ISL_E10value_typeEPSM_NS1_7vsmem_tEENKUlT_SK_SL_SM_E_clISE_PxSF_SF_EESJ_SZ_SK_SL_SM_EUlSZ_E_NS1_11comp_targetILNS1_3genE4ELNS1_11target_archE910ELNS1_3gpuE8ELNS1_3repE0EEENS1_48merge_mergepath_partition_config_static_selectorELNS0_4arch9wavefront6targetE1EEEvSL_,@function
_ZN7rocprim17ROCPRIM_400000_NS6detail17trampoline_kernelINS0_14default_configENS1_38merge_sort_block_merge_config_selectorIxNS0_10empty_typeEEEZZNS1_27merge_sort_block_merge_implIS3_N6thrust23THRUST_200600_302600_NS6detail15normal_iteratorINS9_10device_ptrIxEEEEPS5_jNS1_19radix_merge_compareILb0ELb1ExNS0_19identity_decomposerEEEEE10hipError_tT0_T1_T2_jT3_P12ihipStream_tbPNSt15iterator_traitsISK_E10value_typeEPNSQ_ISL_E10value_typeEPSM_NS1_7vsmem_tEENKUlT_SK_SL_SM_E_clISE_PxSF_SF_EESJ_SZ_SK_SL_SM_EUlSZ_E_NS1_11comp_targetILNS1_3genE4ELNS1_11target_archE910ELNS1_3gpuE8ELNS1_3repE0EEENS1_48merge_mergepath_partition_config_static_selectorELNS0_4arch9wavefront6targetE1EEEvSL_: ; @_ZN7rocprim17ROCPRIM_400000_NS6detail17trampoline_kernelINS0_14default_configENS1_38merge_sort_block_merge_config_selectorIxNS0_10empty_typeEEEZZNS1_27merge_sort_block_merge_implIS3_N6thrust23THRUST_200600_302600_NS6detail15normal_iteratorINS9_10device_ptrIxEEEEPS5_jNS1_19radix_merge_compareILb0ELb1ExNS0_19identity_decomposerEEEEE10hipError_tT0_T1_T2_jT3_P12ihipStream_tbPNSt15iterator_traitsISK_E10value_typeEPNSQ_ISL_E10value_typeEPSM_NS1_7vsmem_tEENKUlT_SK_SL_SM_E_clISE_PxSF_SF_EESJ_SZ_SK_SL_SM_EUlSZ_E_NS1_11comp_targetILNS1_3genE4ELNS1_11target_archE910ELNS1_3gpuE8ELNS1_3repE0EEENS1_48merge_mergepath_partition_config_static_selectorELNS0_4arch9wavefront6targetE1EEEvSL_
; %bb.0:
	s_load_dword s0, s[4:5], 0x0
	v_lshl_or_b32 v0, s6, 7, v0
	s_waitcnt lgkmcnt(0)
	v_cmp_gt_u32_e32 vcc, s0, v0
	s_and_saveexec_b64 s[0:1], vcc
	s_cbranch_execz .LBB1494_6
; %bb.1:
	s_load_dwordx2 s[6:7], s[4:5], 0x4
	s_load_dwordx4 s[0:3], s[4:5], 0x18
	s_waitcnt lgkmcnt(0)
	s_lshr_b32 s8, s6, 9
	s_and_b32 s8, s8, 0x7ffffe
	s_add_i32 s9, s8, -1
	s_sub_i32 s8, 0, s8
	v_and_b32_e32 v1, s8, v0
	v_lshlrev_b32_e32 v1, 10, v1
	v_min_u32_e32 v2, s7, v1
	v_add_u32_e32 v1, s6, v1
	v_min_u32_e32 v4, s7, v1
	v_add_u32_e32 v1, s6, v4
	v_and_b32_e32 v3, s9, v0
	v_min_u32_e32 v1, s7, v1
	v_sub_u32_e32 v5, v1, v2
	v_lshlrev_b32_e32 v3, 10, v3
	v_min_u32_e32 v6, v5, v3
	v_sub_u32_e32 v3, v4, v2
	v_sub_u32_e32 v1, v1, v4
	v_sub_u32_e64 v1, v6, v1 clamp
	v_min_u32_e32 v7, v6, v3
	v_cmp_lt_u32_e32 vcc, v1, v7
	s_and_saveexec_b64 s[6:7], vcc
	s_cbranch_execz .LBB1494_5
; %bb.2:
	s_load_dwordx2 s[4:5], s[4:5], 0x10
	v_mov_b32_e32 v5, 0
	v_mov_b32_e32 v3, v5
	v_lshlrev_b64 v[8:9], 3, v[2:3]
	v_lshlrev_b64 v[10:11], 3, v[4:5]
	s_waitcnt lgkmcnt(0)
	v_mov_b32_e32 v12, s5
	v_add_co_u32_e32 v3, vcc, s4, v8
	v_addc_co_u32_e32 v8, vcc, v12, v9, vcc
	v_add_co_u32_e32 v9, vcc, s4, v10
	v_addc_co_u32_e32 v10, vcc, v12, v11, vcc
	s_mov_b64 s[4:5], 0
.LBB1494_3:                             ; =>This Inner Loop Header: Depth=1
	v_add_u32_e32 v4, v7, v1
	v_lshrrev_b32_e32 v4, 1, v4
	v_lshlrev_b64 v[14:15], 3, v[4:5]
	v_mov_b32_e32 v13, v5
	v_xad_u32 v12, v4, -1, v6
	v_add_co_u32_e32 v14, vcc, v3, v14
	v_addc_co_u32_e32 v15, vcc, v8, v15, vcc
	v_lshlrev_b64 v[12:13], 3, v[12:13]
	v_add_co_u32_e32 v12, vcc, v9, v12
	v_addc_co_u32_e32 v13, vcc, v10, v13, vcc
	flat_load_dwordx2 v[14:15], v[14:15]
	v_add_u32_e32 v11, 1, v4
	flat_load_dwordx2 v[12:13], v[12:13]
	s_waitcnt vmcnt(0) lgkmcnt(0)
	v_and_b32_e32 v15, s1, v15
	v_and_b32_e32 v14, s0, v14
	;; [unrolled: 1-line block ×4, first 2 shown]
	v_cmp_gt_i64_e32 vcc, v[14:15], v[12:13]
	v_cndmask_b32_e32 v7, v7, v4, vcc
	v_cndmask_b32_e32 v1, v11, v1, vcc
	v_cmp_ge_u32_e32 vcc, v1, v7
	s_or_b64 s[4:5], vcc, s[4:5]
	s_andn2_b64 exec, exec, s[4:5]
	s_cbranch_execnz .LBB1494_3
; %bb.4:
	s_or_b64 exec, exec, s[4:5]
.LBB1494_5:
	s_or_b64 exec, exec, s[6:7]
	v_add_u32_e32 v2, v1, v2
	v_mov_b32_e32 v1, 0
	v_lshlrev_b64 v[0:1], 2, v[0:1]
	v_mov_b32_e32 v3, s3
	v_add_co_u32_e32 v0, vcc, s2, v0
	v_addc_co_u32_e32 v1, vcc, v3, v1, vcc
	global_store_dword v[0:1], v2, off
.LBB1494_6:
	s_endpgm
	.section	.rodata,"a",@progbits
	.p2align	6, 0x0
	.amdhsa_kernel _ZN7rocprim17ROCPRIM_400000_NS6detail17trampoline_kernelINS0_14default_configENS1_38merge_sort_block_merge_config_selectorIxNS0_10empty_typeEEEZZNS1_27merge_sort_block_merge_implIS3_N6thrust23THRUST_200600_302600_NS6detail15normal_iteratorINS9_10device_ptrIxEEEEPS5_jNS1_19radix_merge_compareILb0ELb1ExNS0_19identity_decomposerEEEEE10hipError_tT0_T1_T2_jT3_P12ihipStream_tbPNSt15iterator_traitsISK_E10value_typeEPNSQ_ISL_E10value_typeEPSM_NS1_7vsmem_tEENKUlT_SK_SL_SM_E_clISE_PxSF_SF_EESJ_SZ_SK_SL_SM_EUlSZ_E_NS1_11comp_targetILNS1_3genE4ELNS1_11target_archE910ELNS1_3gpuE8ELNS1_3repE0EEENS1_48merge_mergepath_partition_config_static_selectorELNS0_4arch9wavefront6targetE1EEEvSL_
		.amdhsa_group_segment_fixed_size 0
		.amdhsa_private_segment_fixed_size 0
		.amdhsa_kernarg_size 40
		.amdhsa_user_sgpr_count 6
		.amdhsa_user_sgpr_private_segment_buffer 1
		.amdhsa_user_sgpr_dispatch_ptr 0
		.amdhsa_user_sgpr_queue_ptr 0
		.amdhsa_user_sgpr_kernarg_segment_ptr 1
		.amdhsa_user_sgpr_dispatch_id 0
		.amdhsa_user_sgpr_flat_scratch_init 0
		.amdhsa_user_sgpr_kernarg_preload_length 0
		.amdhsa_user_sgpr_kernarg_preload_offset 0
		.amdhsa_user_sgpr_private_segment_size 0
		.amdhsa_uses_dynamic_stack 0
		.amdhsa_system_sgpr_private_segment_wavefront_offset 0
		.amdhsa_system_sgpr_workgroup_id_x 1
		.amdhsa_system_sgpr_workgroup_id_y 0
		.amdhsa_system_sgpr_workgroup_id_z 0
		.amdhsa_system_sgpr_workgroup_info 0
		.amdhsa_system_vgpr_workitem_id 0
		.amdhsa_next_free_vgpr 16
		.amdhsa_next_free_sgpr 10
		.amdhsa_accum_offset 16
		.amdhsa_reserve_vcc 1
		.amdhsa_reserve_flat_scratch 0
		.amdhsa_float_round_mode_32 0
		.amdhsa_float_round_mode_16_64 0
		.amdhsa_float_denorm_mode_32 3
		.amdhsa_float_denorm_mode_16_64 3
		.amdhsa_dx10_clamp 1
		.amdhsa_ieee_mode 1
		.amdhsa_fp16_overflow 0
		.amdhsa_tg_split 0
		.amdhsa_exception_fp_ieee_invalid_op 0
		.amdhsa_exception_fp_denorm_src 0
		.amdhsa_exception_fp_ieee_div_zero 0
		.amdhsa_exception_fp_ieee_overflow 0
		.amdhsa_exception_fp_ieee_underflow 0
		.amdhsa_exception_fp_ieee_inexact 0
		.amdhsa_exception_int_div_zero 0
	.end_amdhsa_kernel
	.section	.text._ZN7rocprim17ROCPRIM_400000_NS6detail17trampoline_kernelINS0_14default_configENS1_38merge_sort_block_merge_config_selectorIxNS0_10empty_typeEEEZZNS1_27merge_sort_block_merge_implIS3_N6thrust23THRUST_200600_302600_NS6detail15normal_iteratorINS9_10device_ptrIxEEEEPS5_jNS1_19radix_merge_compareILb0ELb1ExNS0_19identity_decomposerEEEEE10hipError_tT0_T1_T2_jT3_P12ihipStream_tbPNSt15iterator_traitsISK_E10value_typeEPNSQ_ISL_E10value_typeEPSM_NS1_7vsmem_tEENKUlT_SK_SL_SM_E_clISE_PxSF_SF_EESJ_SZ_SK_SL_SM_EUlSZ_E_NS1_11comp_targetILNS1_3genE4ELNS1_11target_archE910ELNS1_3gpuE8ELNS1_3repE0EEENS1_48merge_mergepath_partition_config_static_selectorELNS0_4arch9wavefront6targetE1EEEvSL_,"axG",@progbits,_ZN7rocprim17ROCPRIM_400000_NS6detail17trampoline_kernelINS0_14default_configENS1_38merge_sort_block_merge_config_selectorIxNS0_10empty_typeEEEZZNS1_27merge_sort_block_merge_implIS3_N6thrust23THRUST_200600_302600_NS6detail15normal_iteratorINS9_10device_ptrIxEEEEPS5_jNS1_19radix_merge_compareILb0ELb1ExNS0_19identity_decomposerEEEEE10hipError_tT0_T1_T2_jT3_P12ihipStream_tbPNSt15iterator_traitsISK_E10value_typeEPNSQ_ISL_E10value_typeEPSM_NS1_7vsmem_tEENKUlT_SK_SL_SM_E_clISE_PxSF_SF_EESJ_SZ_SK_SL_SM_EUlSZ_E_NS1_11comp_targetILNS1_3genE4ELNS1_11target_archE910ELNS1_3gpuE8ELNS1_3repE0EEENS1_48merge_mergepath_partition_config_static_selectorELNS0_4arch9wavefront6targetE1EEEvSL_,comdat
.Lfunc_end1494:
	.size	_ZN7rocprim17ROCPRIM_400000_NS6detail17trampoline_kernelINS0_14default_configENS1_38merge_sort_block_merge_config_selectorIxNS0_10empty_typeEEEZZNS1_27merge_sort_block_merge_implIS3_N6thrust23THRUST_200600_302600_NS6detail15normal_iteratorINS9_10device_ptrIxEEEEPS5_jNS1_19radix_merge_compareILb0ELb1ExNS0_19identity_decomposerEEEEE10hipError_tT0_T1_T2_jT3_P12ihipStream_tbPNSt15iterator_traitsISK_E10value_typeEPNSQ_ISL_E10value_typeEPSM_NS1_7vsmem_tEENKUlT_SK_SL_SM_E_clISE_PxSF_SF_EESJ_SZ_SK_SL_SM_EUlSZ_E_NS1_11comp_targetILNS1_3genE4ELNS1_11target_archE910ELNS1_3gpuE8ELNS1_3repE0EEENS1_48merge_mergepath_partition_config_static_selectorELNS0_4arch9wavefront6targetE1EEEvSL_, .Lfunc_end1494-_ZN7rocprim17ROCPRIM_400000_NS6detail17trampoline_kernelINS0_14default_configENS1_38merge_sort_block_merge_config_selectorIxNS0_10empty_typeEEEZZNS1_27merge_sort_block_merge_implIS3_N6thrust23THRUST_200600_302600_NS6detail15normal_iteratorINS9_10device_ptrIxEEEEPS5_jNS1_19radix_merge_compareILb0ELb1ExNS0_19identity_decomposerEEEEE10hipError_tT0_T1_T2_jT3_P12ihipStream_tbPNSt15iterator_traitsISK_E10value_typeEPNSQ_ISL_E10value_typeEPSM_NS1_7vsmem_tEENKUlT_SK_SL_SM_E_clISE_PxSF_SF_EESJ_SZ_SK_SL_SM_EUlSZ_E_NS1_11comp_targetILNS1_3genE4ELNS1_11target_archE910ELNS1_3gpuE8ELNS1_3repE0EEENS1_48merge_mergepath_partition_config_static_selectorELNS0_4arch9wavefront6targetE1EEEvSL_
                                        ; -- End function
	.section	.AMDGPU.csdata,"",@progbits
; Kernel info:
; codeLenInByte = 376
; NumSgprs: 14
; NumVgprs: 16
; NumAgprs: 0
; TotalNumVgprs: 16
; ScratchSize: 0
; MemoryBound: 0
; FloatMode: 240
; IeeeMode: 1
; LDSByteSize: 0 bytes/workgroup (compile time only)
; SGPRBlocks: 1
; VGPRBlocks: 1
; NumSGPRsForWavesPerEU: 14
; NumVGPRsForWavesPerEU: 16
; AccumOffset: 16
; Occupancy: 8
; WaveLimiterHint : 0
; COMPUTE_PGM_RSRC2:SCRATCH_EN: 0
; COMPUTE_PGM_RSRC2:USER_SGPR: 6
; COMPUTE_PGM_RSRC2:TRAP_HANDLER: 0
; COMPUTE_PGM_RSRC2:TGID_X_EN: 1
; COMPUTE_PGM_RSRC2:TGID_Y_EN: 0
; COMPUTE_PGM_RSRC2:TGID_Z_EN: 0
; COMPUTE_PGM_RSRC2:TIDIG_COMP_CNT: 0
; COMPUTE_PGM_RSRC3_GFX90A:ACCUM_OFFSET: 3
; COMPUTE_PGM_RSRC3_GFX90A:TG_SPLIT: 0
	.section	.text._ZN7rocprim17ROCPRIM_400000_NS6detail17trampoline_kernelINS0_14default_configENS1_38merge_sort_block_merge_config_selectorIxNS0_10empty_typeEEEZZNS1_27merge_sort_block_merge_implIS3_N6thrust23THRUST_200600_302600_NS6detail15normal_iteratorINS9_10device_ptrIxEEEEPS5_jNS1_19radix_merge_compareILb0ELb1ExNS0_19identity_decomposerEEEEE10hipError_tT0_T1_T2_jT3_P12ihipStream_tbPNSt15iterator_traitsISK_E10value_typeEPNSQ_ISL_E10value_typeEPSM_NS1_7vsmem_tEENKUlT_SK_SL_SM_E_clISE_PxSF_SF_EESJ_SZ_SK_SL_SM_EUlSZ_E_NS1_11comp_targetILNS1_3genE3ELNS1_11target_archE908ELNS1_3gpuE7ELNS1_3repE0EEENS1_48merge_mergepath_partition_config_static_selectorELNS0_4arch9wavefront6targetE1EEEvSL_,"axG",@progbits,_ZN7rocprim17ROCPRIM_400000_NS6detail17trampoline_kernelINS0_14default_configENS1_38merge_sort_block_merge_config_selectorIxNS0_10empty_typeEEEZZNS1_27merge_sort_block_merge_implIS3_N6thrust23THRUST_200600_302600_NS6detail15normal_iteratorINS9_10device_ptrIxEEEEPS5_jNS1_19radix_merge_compareILb0ELb1ExNS0_19identity_decomposerEEEEE10hipError_tT0_T1_T2_jT3_P12ihipStream_tbPNSt15iterator_traitsISK_E10value_typeEPNSQ_ISL_E10value_typeEPSM_NS1_7vsmem_tEENKUlT_SK_SL_SM_E_clISE_PxSF_SF_EESJ_SZ_SK_SL_SM_EUlSZ_E_NS1_11comp_targetILNS1_3genE3ELNS1_11target_archE908ELNS1_3gpuE7ELNS1_3repE0EEENS1_48merge_mergepath_partition_config_static_selectorELNS0_4arch9wavefront6targetE1EEEvSL_,comdat
	.protected	_ZN7rocprim17ROCPRIM_400000_NS6detail17trampoline_kernelINS0_14default_configENS1_38merge_sort_block_merge_config_selectorIxNS0_10empty_typeEEEZZNS1_27merge_sort_block_merge_implIS3_N6thrust23THRUST_200600_302600_NS6detail15normal_iteratorINS9_10device_ptrIxEEEEPS5_jNS1_19radix_merge_compareILb0ELb1ExNS0_19identity_decomposerEEEEE10hipError_tT0_T1_T2_jT3_P12ihipStream_tbPNSt15iterator_traitsISK_E10value_typeEPNSQ_ISL_E10value_typeEPSM_NS1_7vsmem_tEENKUlT_SK_SL_SM_E_clISE_PxSF_SF_EESJ_SZ_SK_SL_SM_EUlSZ_E_NS1_11comp_targetILNS1_3genE3ELNS1_11target_archE908ELNS1_3gpuE7ELNS1_3repE0EEENS1_48merge_mergepath_partition_config_static_selectorELNS0_4arch9wavefront6targetE1EEEvSL_ ; -- Begin function _ZN7rocprim17ROCPRIM_400000_NS6detail17trampoline_kernelINS0_14default_configENS1_38merge_sort_block_merge_config_selectorIxNS0_10empty_typeEEEZZNS1_27merge_sort_block_merge_implIS3_N6thrust23THRUST_200600_302600_NS6detail15normal_iteratorINS9_10device_ptrIxEEEEPS5_jNS1_19radix_merge_compareILb0ELb1ExNS0_19identity_decomposerEEEEE10hipError_tT0_T1_T2_jT3_P12ihipStream_tbPNSt15iterator_traitsISK_E10value_typeEPNSQ_ISL_E10value_typeEPSM_NS1_7vsmem_tEENKUlT_SK_SL_SM_E_clISE_PxSF_SF_EESJ_SZ_SK_SL_SM_EUlSZ_E_NS1_11comp_targetILNS1_3genE3ELNS1_11target_archE908ELNS1_3gpuE7ELNS1_3repE0EEENS1_48merge_mergepath_partition_config_static_selectorELNS0_4arch9wavefront6targetE1EEEvSL_
	.globl	_ZN7rocprim17ROCPRIM_400000_NS6detail17trampoline_kernelINS0_14default_configENS1_38merge_sort_block_merge_config_selectorIxNS0_10empty_typeEEEZZNS1_27merge_sort_block_merge_implIS3_N6thrust23THRUST_200600_302600_NS6detail15normal_iteratorINS9_10device_ptrIxEEEEPS5_jNS1_19radix_merge_compareILb0ELb1ExNS0_19identity_decomposerEEEEE10hipError_tT0_T1_T2_jT3_P12ihipStream_tbPNSt15iterator_traitsISK_E10value_typeEPNSQ_ISL_E10value_typeEPSM_NS1_7vsmem_tEENKUlT_SK_SL_SM_E_clISE_PxSF_SF_EESJ_SZ_SK_SL_SM_EUlSZ_E_NS1_11comp_targetILNS1_3genE3ELNS1_11target_archE908ELNS1_3gpuE7ELNS1_3repE0EEENS1_48merge_mergepath_partition_config_static_selectorELNS0_4arch9wavefront6targetE1EEEvSL_
	.p2align	8
	.type	_ZN7rocprim17ROCPRIM_400000_NS6detail17trampoline_kernelINS0_14default_configENS1_38merge_sort_block_merge_config_selectorIxNS0_10empty_typeEEEZZNS1_27merge_sort_block_merge_implIS3_N6thrust23THRUST_200600_302600_NS6detail15normal_iteratorINS9_10device_ptrIxEEEEPS5_jNS1_19radix_merge_compareILb0ELb1ExNS0_19identity_decomposerEEEEE10hipError_tT0_T1_T2_jT3_P12ihipStream_tbPNSt15iterator_traitsISK_E10value_typeEPNSQ_ISL_E10value_typeEPSM_NS1_7vsmem_tEENKUlT_SK_SL_SM_E_clISE_PxSF_SF_EESJ_SZ_SK_SL_SM_EUlSZ_E_NS1_11comp_targetILNS1_3genE3ELNS1_11target_archE908ELNS1_3gpuE7ELNS1_3repE0EEENS1_48merge_mergepath_partition_config_static_selectorELNS0_4arch9wavefront6targetE1EEEvSL_,@function
_ZN7rocprim17ROCPRIM_400000_NS6detail17trampoline_kernelINS0_14default_configENS1_38merge_sort_block_merge_config_selectorIxNS0_10empty_typeEEEZZNS1_27merge_sort_block_merge_implIS3_N6thrust23THRUST_200600_302600_NS6detail15normal_iteratorINS9_10device_ptrIxEEEEPS5_jNS1_19radix_merge_compareILb0ELb1ExNS0_19identity_decomposerEEEEE10hipError_tT0_T1_T2_jT3_P12ihipStream_tbPNSt15iterator_traitsISK_E10value_typeEPNSQ_ISL_E10value_typeEPSM_NS1_7vsmem_tEENKUlT_SK_SL_SM_E_clISE_PxSF_SF_EESJ_SZ_SK_SL_SM_EUlSZ_E_NS1_11comp_targetILNS1_3genE3ELNS1_11target_archE908ELNS1_3gpuE7ELNS1_3repE0EEENS1_48merge_mergepath_partition_config_static_selectorELNS0_4arch9wavefront6targetE1EEEvSL_: ; @_ZN7rocprim17ROCPRIM_400000_NS6detail17trampoline_kernelINS0_14default_configENS1_38merge_sort_block_merge_config_selectorIxNS0_10empty_typeEEEZZNS1_27merge_sort_block_merge_implIS3_N6thrust23THRUST_200600_302600_NS6detail15normal_iteratorINS9_10device_ptrIxEEEEPS5_jNS1_19radix_merge_compareILb0ELb1ExNS0_19identity_decomposerEEEEE10hipError_tT0_T1_T2_jT3_P12ihipStream_tbPNSt15iterator_traitsISK_E10value_typeEPNSQ_ISL_E10value_typeEPSM_NS1_7vsmem_tEENKUlT_SK_SL_SM_E_clISE_PxSF_SF_EESJ_SZ_SK_SL_SM_EUlSZ_E_NS1_11comp_targetILNS1_3genE3ELNS1_11target_archE908ELNS1_3gpuE7ELNS1_3repE0EEENS1_48merge_mergepath_partition_config_static_selectorELNS0_4arch9wavefront6targetE1EEEvSL_
; %bb.0:
	.section	.rodata,"a",@progbits
	.p2align	6, 0x0
	.amdhsa_kernel _ZN7rocprim17ROCPRIM_400000_NS6detail17trampoline_kernelINS0_14default_configENS1_38merge_sort_block_merge_config_selectorIxNS0_10empty_typeEEEZZNS1_27merge_sort_block_merge_implIS3_N6thrust23THRUST_200600_302600_NS6detail15normal_iteratorINS9_10device_ptrIxEEEEPS5_jNS1_19radix_merge_compareILb0ELb1ExNS0_19identity_decomposerEEEEE10hipError_tT0_T1_T2_jT3_P12ihipStream_tbPNSt15iterator_traitsISK_E10value_typeEPNSQ_ISL_E10value_typeEPSM_NS1_7vsmem_tEENKUlT_SK_SL_SM_E_clISE_PxSF_SF_EESJ_SZ_SK_SL_SM_EUlSZ_E_NS1_11comp_targetILNS1_3genE3ELNS1_11target_archE908ELNS1_3gpuE7ELNS1_3repE0EEENS1_48merge_mergepath_partition_config_static_selectorELNS0_4arch9wavefront6targetE1EEEvSL_
		.amdhsa_group_segment_fixed_size 0
		.amdhsa_private_segment_fixed_size 0
		.amdhsa_kernarg_size 40
		.amdhsa_user_sgpr_count 6
		.amdhsa_user_sgpr_private_segment_buffer 1
		.amdhsa_user_sgpr_dispatch_ptr 0
		.amdhsa_user_sgpr_queue_ptr 0
		.amdhsa_user_sgpr_kernarg_segment_ptr 1
		.amdhsa_user_sgpr_dispatch_id 0
		.amdhsa_user_sgpr_flat_scratch_init 0
		.amdhsa_user_sgpr_kernarg_preload_length 0
		.amdhsa_user_sgpr_kernarg_preload_offset 0
		.amdhsa_user_sgpr_private_segment_size 0
		.amdhsa_uses_dynamic_stack 0
		.amdhsa_system_sgpr_private_segment_wavefront_offset 0
		.amdhsa_system_sgpr_workgroup_id_x 1
		.amdhsa_system_sgpr_workgroup_id_y 0
		.amdhsa_system_sgpr_workgroup_id_z 0
		.amdhsa_system_sgpr_workgroup_info 0
		.amdhsa_system_vgpr_workitem_id 0
		.amdhsa_next_free_vgpr 1
		.amdhsa_next_free_sgpr 0
		.amdhsa_accum_offset 4
		.amdhsa_reserve_vcc 0
		.amdhsa_reserve_flat_scratch 0
		.amdhsa_float_round_mode_32 0
		.amdhsa_float_round_mode_16_64 0
		.amdhsa_float_denorm_mode_32 3
		.amdhsa_float_denorm_mode_16_64 3
		.amdhsa_dx10_clamp 1
		.amdhsa_ieee_mode 1
		.amdhsa_fp16_overflow 0
		.amdhsa_tg_split 0
		.amdhsa_exception_fp_ieee_invalid_op 0
		.amdhsa_exception_fp_denorm_src 0
		.amdhsa_exception_fp_ieee_div_zero 0
		.amdhsa_exception_fp_ieee_overflow 0
		.amdhsa_exception_fp_ieee_underflow 0
		.amdhsa_exception_fp_ieee_inexact 0
		.amdhsa_exception_int_div_zero 0
	.end_amdhsa_kernel
	.section	.text._ZN7rocprim17ROCPRIM_400000_NS6detail17trampoline_kernelINS0_14default_configENS1_38merge_sort_block_merge_config_selectorIxNS0_10empty_typeEEEZZNS1_27merge_sort_block_merge_implIS3_N6thrust23THRUST_200600_302600_NS6detail15normal_iteratorINS9_10device_ptrIxEEEEPS5_jNS1_19radix_merge_compareILb0ELb1ExNS0_19identity_decomposerEEEEE10hipError_tT0_T1_T2_jT3_P12ihipStream_tbPNSt15iterator_traitsISK_E10value_typeEPNSQ_ISL_E10value_typeEPSM_NS1_7vsmem_tEENKUlT_SK_SL_SM_E_clISE_PxSF_SF_EESJ_SZ_SK_SL_SM_EUlSZ_E_NS1_11comp_targetILNS1_3genE3ELNS1_11target_archE908ELNS1_3gpuE7ELNS1_3repE0EEENS1_48merge_mergepath_partition_config_static_selectorELNS0_4arch9wavefront6targetE1EEEvSL_,"axG",@progbits,_ZN7rocprim17ROCPRIM_400000_NS6detail17trampoline_kernelINS0_14default_configENS1_38merge_sort_block_merge_config_selectorIxNS0_10empty_typeEEEZZNS1_27merge_sort_block_merge_implIS3_N6thrust23THRUST_200600_302600_NS6detail15normal_iteratorINS9_10device_ptrIxEEEEPS5_jNS1_19radix_merge_compareILb0ELb1ExNS0_19identity_decomposerEEEEE10hipError_tT0_T1_T2_jT3_P12ihipStream_tbPNSt15iterator_traitsISK_E10value_typeEPNSQ_ISL_E10value_typeEPSM_NS1_7vsmem_tEENKUlT_SK_SL_SM_E_clISE_PxSF_SF_EESJ_SZ_SK_SL_SM_EUlSZ_E_NS1_11comp_targetILNS1_3genE3ELNS1_11target_archE908ELNS1_3gpuE7ELNS1_3repE0EEENS1_48merge_mergepath_partition_config_static_selectorELNS0_4arch9wavefront6targetE1EEEvSL_,comdat
.Lfunc_end1495:
	.size	_ZN7rocprim17ROCPRIM_400000_NS6detail17trampoline_kernelINS0_14default_configENS1_38merge_sort_block_merge_config_selectorIxNS0_10empty_typeEEEZZNS1_27merge_sort_block_merge_implIS3_N6thrust23THRUST_200600_302600_NS6detail15normal_iteratorINS9_10device_ptrIxEEEEPS5_jNS1_19radix_merge_compareILb0ELb1ExNS0_19identity_decomposerEEEEE10hipError_tT0_T1_T2_jT3_P12ihipStream_tbPNSt15iterator_traitsISK_E10value_typeEPNSQ_ISL_E10value_typeEPSM_NS1_7vsmem_tEENKUlT_SK_SL_SM_E_clISE_PxSF_SF_EESJ_SZ_SK_SL_SM_EUlSZ_E_NS1_11comp_targetILNS1_3genE3ELNS1_11target_archE908ELNS1_3gpuE7ELNS1_3repE0EEENS1_48merge_mergepath_partition_config_static_selectorELNS0_4arch9wavefront6targetE1EEEvSL_, .Lfunc_end1495-_ZN7rocprim17ROCPRIM_400000_NS6detail17trampoline_kernelINS0_14default_configENS1_38merge_sort_block_merge_config_selectorIxNS0_10empty_typeEEEZZNS1_27merge_sort_block_merge_implIS3_N6thrust23THRUST_200600_302600_NS6detail15normal_iteratorINS9_10device_ptrIxEEEEPS5_jNS1_19radix_merge_compareILb0ELb1ExNS0_19identity_decomposerEEEEE10hipError_tT0_T1_T2_jT3_P12ihipStream_tbPNSt15iterator_traitsISK_E10value_typeEPNSQ_ISL_E10value_typeEPSM_NS1_7vsmem_tEENKUlT_SK_SL_SM_E_clISE_PxSF_SF_EESJ_SZ_SK_SL_SM_EUlSZ_E_NS1_11comp_targetILNS1_3genE3ELNS1_11target_archE908ELNS1_3gpuE7ELNS1_3repE0EEENS1_48merge_mergepath_partition_config_static_selectorELNS0_4arch9wavefront6targetE1EEEvSL_
                                        ; -- End function
	.section	.AMDGPU.csdata,"",@progbits
; Kernel info:
; codeLenInByte = 0
; NumSgprs: 4
; NumVgprs: 0
; NumAgprs: 0
; TotalNumVgprs: 0
; ScratchSize: 0
; MemoryBound: 0
; FloatMode: 240
; IeeeMode: 1
; LDSByteSize: 0 bytes/workgroup (compile time only)
; SGPRBlocks: 0
; VGPRBlocks: 0
; NumSGPRsForWavesPerEU: 4
; NumVGPRsForWavesPerEU: 1
; AccumOffset: 4
; Occupancy: 8
; WaveLimiterHint : 0
; COMPUTE_PGM_RSRC2:SCRATCH_EN: 0
; COMPUTE_PGM_RSRC2:USER_SGPR: 6
; COMPUTE_PGM_RSRC2:TRAP_HANDLER: 0
; COMPUTE_PGM_RSRC2:TGID_X_EN: 1
; COMPUTE_PGM_RSRC2:TGID_Y_EN: 0
; COMPUTE_PGM_RSRC2:TGID_Z_EN: 0
; COMPUTE_PGM_RSRC2:TIDIG_COMP_CNT: 0
; COMPUTE_PGM_RSRC3_GFX90A:ACCUM_OFFSET: 0
; COMPUTE_PGM_RSRC3_GFX90A:TG_SPLIT: 0
	.section	.text._ZN7rocprim17ROCPRIM_400000_NS6detail17trampoline_kernelINS0_14default_configENS1_38merge_sort_block_merge_config_selectorIxNS0_10empty_typeEEEZZNS1_27merge_sort_block_merge_implIS3_N6thrust23THRUST_200600_302600_NS6detail15normal_iteratorINS9_10device_ptrIxEEEEPS5_jNS1_19radix_merge_compareILb0ELb1ExNS0_19identity_decomposerEEEEE10hipError_tT0_T1_T2_jT3_P12ihipStream_tbPNSt15iterator_traitsISK_E10value_typeEPNSQ_ISL_E10value_typeEPSM_NS1_7vsmem_tEENKUlT_SK_SL_SM_E_clISE_PxSF_SF_EESJ_SZ_SK_SL_SM_EUlSZ_E_NS1_11comp_targetILNS1_3genE2ELNS1_11target_archE906ELNS1_3gpuE6ELNS1_3repE0EEENS1_48merge_mergepath_partition_config_static_selectorELNS0_4arch9wavefront6targetE1EEEvSL_,"axG",@progbits,_ZN7rocprim17ROCPRIM_400000_NS6detail17trampoline_kernelINS0_14default_configENS1_38merge_sort_block_merge_config_selectorIxNS0_10empty_typeEEEZZNS1_27merge_sort_block_merge_implIS3_N6thrust23THRUST_200600_302600_NS6detail15normal_iteratorINS9_10device_ptrIxEEEEPS5_jNS1_19radix_merge_compareILb0ELb1ExNS0_19identity_decomposerEEEEE10hipError_tT0_T1_T2_jT3_P12ihipStream_tbPNSt15iterator_traitsISK_E10value_typeEPNSQ_ISL_E10value_typeEPSM_NS1_7vsmem_tEENKUlT_SK_SL_SM_E_clISE_PxSF_SF_EESJ_SZ_SK_SL_SM_EUlSZ_E_NS1_11comp_targetILNS1_3genE2ELNS1_11target_archE906ELNS1_3gpuE6ELNS1_3repE0EEENS1_48merge_mergepath_partition_config_static_selectorELNS0_4arch9wavefront6targetE1EEEvSL_,comdat
	.protected	_ZN7rocprim17ROCPRIM_400000_NS6detail17trampoline_kernelINS0_14default_configENS1_38merge_sort_block_merge_config_selectorIxNS0_10empty_typeEEEZZNS1_27merge_sort_block_merge_implIS3_N6thrust23THRUST_200600_302600_NS6detail15normal_iteratorINS9_10device_ptrIxEEEEPS5_jNS1_19radix_merge_compareILb0ELb1ExNS0_19identity_decomposerEEEEE10hipError_tT0_T1_T2_jT3_P12ihipStream_tbPNSt15iterator_traitsISK_E10value_typeEPNSQ_ISL_E10value_typeEPSM_NS1_7vsmem_tEENKUlT_SK_SL_SM_E_clISE_PxSF_SF_EESJ_SZ_SK_SL_SM_EUlSZ_E_NS1_11comp_targetILNS1_3genE2ELNS1_11target_archE906ELNS1_3gpuE6ELNS1_3repE0EEENS1_48merge_mergepath_partition_config_static_selectorELNS0_4arch9wavefront6targetE1EEEvSL_ ; -- Begin function _ZN7rocprim17ROCPRIM_400000_NS6detail17trampoline_kernelINS0_14default_configENS1_38merge_sort_block_merge_config_selectorIxNS0_10empty_typeEEEZZNS1_27merge_sort_block_merge_implIS3_N6thrust23THRUST_200600_302600_NS6detail15normal_iteratorINS9_10device_ptrIxEEEEPS5_jNS1_19radix_merge_compareILb0ELb1ExNS0_19identity_decomposerEEEEE10hipError_tT0_T1_T2_jT3_P12ihipStream_tbPNSt15iterator_traitsISK_E10value_typeEPNSQ_ISL_E10value_typeEPSM_NS1_7vsmem_tEENKUlT_SK_SL_SM_E_clISE_PxSF_SF_EESJ_SZ_SK_SL_SM_EUlSZ_E_NS1_11comp_targetILNS1_3genE2ELNS1_11target_archE906ELNS1_3gpuE6ELNS1_3repE0EEENS1_48merge_mergepath_partition_config_static_selectorELNS0_4arch9wavefront6targetE1EEEvSL_
	.globl	_ZN7rocprim17ROCPRIM_400000_NS6detail17trampoline_kernelINS0_14default_configENS1_38merge_sort_block_merge_config_selectorIxNS0_10empty_typeEEEZZNS1_27merge_sort_block_merge_implIS3_N6thrust23THRUST_200600_302600_NS6detail15normal_iteratorINS9_10device_ptrIxEEEEPS5_jNS1_19radix_merge_compareILb0ELb1ExNS0_19identity_decomposerEEEEE10hipError_tT0_T1_T2_jT3_P12ihipStream_tbPNSt15iterator_traitsISK_E10value_typeEPNSQ_ISL_E10value_typeEPSM_NS1_7vsmem_tEENKUlT_SK_SL_SM_E_clISE_PxSF_SF_EESJ_SZ_SK_SL_SM_EUlSZ_E_NS1_11comp_targetILNS1_3genE2ELNS1_11target_archE906ELNS1_3gpuE6ELNS1_3repE0EEENS1_48merge_mergepath_partition_config_static_selectorELNS0_4arch9wavefront6targetE1EEEvSL_
	.p2align	8
	.type	_ZN7rocprim17ROCPRIM_400000_NS6detail17trampoline_kernelINS0_14default_configENS1_38merge_sort_block_merge_config_selectorIxNS0_10empty_typeEEEZZNS1_27merge_sort_block_merge_implIS3_N6thrust23THRUST_200600_302600_NS6detail15normal_iteratorINS9_10device_ptrIxEEEEPS5_jNS1_19radix_merge_compareILb0ELb1ExNS0_19identity_decomposerEEEEE10hipError_tT0_T1_T2_jT3_P12ihipStream_tbPNSt15iterator_traitsISK_E10value_typeEPNSQ_ISL_E10value_typeEPSM_NS1_7vsmem_tEENKUlT_SK_SL_SM_E_clISE_PxSF_SF_EESJ_SZ_SK_SL_SM_EUlSZ_E_NS1_11comp_targetILNS1_3genE2ELNS1_11target_archE906ELNS1_3gpuE6ELNS1_3repE0EEENS1_48merge_mergepath_partition_config_static_selectorELNS0_4arch9wavefront6targetE1EEEvSL_,@function
_ZN7rocprim17ROCPRIM_400000_NS6detail17trampoline_kernelINS0_14default_configENS1_38merge_sort_block_merge_config_selectorIxNS0_10empty_typeEEEZZNS1_27merge_sort_block_merge_implIS3_N6thrust23THRUST_200600_302600_NS6detail15normal_iteratorINS9_10device_ptrIxEEEEPS5_jNS1_19radix_merge_compareILb0ELb1ExNS0_19identity_decomposerEEEEE10hipError_tT0_T1_T2_jT3_P12ihipStream_tbPNSt15iterator_traitsISK_E10value_typeEPNSQ_ISL_E10value_typeEPSM_NS1_7vsmem_tEENKUlT_SK_SL_SM_E_clISE_PxSF_SF_EESJ_SZ_SK_SL_SM_EUlSZ_E_NS1_11comp_targetILNS1_3genE2ELNS1_11target_archE906ELNS1_3gpuE6ELNS1_3repE0EEENS1_48merge_mergepath_partition_config_static_selectorELNS0_4arch9wavefront6targetE1EEEvSL_: ; @_ZN7rocprim17ROCPRIM_400000_NS6detail17trampoline_kernelINS0_14default_configENS1_38merge_sort_block_merge_config_selectorIxNS0_10empty_typeEEEZZNS1_27merge_sort_block_merge_implIS3_N6thrust23THRUST_200600_302600_NS6detail15normal_iteratorINS9_10device_ptrIxEEEEPS5_jNS1_19radix_merge_compareILb0ELb1ExNS0_19identity_decomposerEEEEE10hipError_tT0_T1_T2_jT3_P12ihipStream_tbPNSt15iterator_traitsISK_E10value_typeEPNSQ_ISL_E10value_typeEPSM_NS1_7vsmem_tEENKUlT_SK_SL_SM_E_clISE_PxSF_SF_EESJ_SZ_SK_SL_SM_EUlSZ_E_NS1_11comp_targetILNS1_3genE2ELNS1_11target_archE906ELNS1_3gpuE6ELNS1_3repE0EEENS1_48merge_mergepath_partition_config_static_selectorELNS0_4arch9wavefront6targetE1EEEvSL_
; %bb.0:
	.section	.rodata,"a",@progbits
	.p2align	6, 0x0
	.amdhsa_kernel _ZN7rocprim17ROCPRIM_400000_NS6detail17trampoline_kernelINS0_14default_configENS1_38merge_sort_block_merge_config_selectorIxNS0_10empty_typeEEEZZNS1_27merge_sort_block_merge_implIS3_N6thrust23THRUST_200600_302600_NS6detail15normal_iteratorINS9_10device_ptrIxEEEEPS5_jNS1_19radix_merge_compareILb0ELb1ExNS0_19identity_decomposerEEEEE10hipError_tT0_T1_T2_jT3_P12ihipStream_tbPNSt15iterator_traitsISK_E10value_typeEPNSQ_ISL_E10value_typeEPSM_NS1_7vsmem_tEENKUlT_SK_SL_SM_E_clISE_PxSF_SF_EESJ_SZ_SK_SL_SM_EUlSZ_E_NS1_11comp_targetILNS1_3genE2ELNS1_11target_archE906ELNS1_3gpuE6ELNS1_3repE0EEENS1_48merge_mergepath_partition_config_static_selectorELNS0_4arch9wavefront6targetE1EEEvSL_
		.amdhsa_group_segment_fixed_size 0
		.amdhsa_private_segment_fixed_size 0
		.amdhsa_kernarg_size 40
		.amdhsa_user_sgpr_count 6
		.amdhsa_user_sgpr_private_segment_buffer 1
		.amdhsa_user_sgpr_dispatch_ptr 0
		.amdhsa_user_sgpr_queue_ptr 0
		.amdhsa_user_sgpr_kernarg_segment_ptr 1
		.amdhsa_user_sgpr_dispatch_id 0
		.amdhsa_user_sgpr_flat_scratch_init 0
		.amdhsa_user_sgpr_kernarg_preload_length 0
		.amdhsa_user_sgpr_kernarg_preload_offset 0
		.amdhsa_user_sgpr_private_segment_size 0
		.amdhsa_uses_dynamic_stack 0
		.amdhsa_system_sgpr_private_segment_wavefront_offset 0
		.amdhsa_system_sgpr_workgroup_id_x 1
		.amdhsa_system_sgpr_workgroup_id_y 0
		.amdhsa_system_sgpr_workgroup_id_z 0
		.amdhsa_system_sgpr_workgroup_info 0
		.amdhsa_system_vgpr_workitem_id 0
		.amdhsa_next_free_vgpr 1
		.amdhsa_next_free_sgpr 0
		.amdhsa_accum_offset 4
		.amdhsa_reserve_vcc 0
		.amdhsa_reserve_flat_scratch 0
		.amdhsa_float_round_mode_32 0
		.amdhsa_float_round_mode_16_64 0
		.amdhsa_float_denorm_mode_32 3
		.amdhsa_float_denorm_mode_16_64 3
		.amdhsa_dx10_clamp 1
		.amdhsa_ieee_mode 1
		.amdhsa_fp16_overflow 0
		.amdhsa_tg_split 0
		.amdhsa_exception_fp_ieee_invalid_op 0
		.amdhsa_exception_fp_denorm_src 0
		.amdhsa_exception_fp_ieee_div_zero 0
		.amdhsa_exception_fp_ieee_overflow 0
		.amdhsa_exception_fp_ieee_underflow 0
		.amdhsa_exception_fp_ieee_inexact 0
		.amdhsa_exception_int_div_zero 0
	.end_amdhsa_kernel
	.section	.text._ZN7rocprim17ROCPRIM_400000_NS6detail17trampoline_kernelINS0_14default_configENS1_38merge_sort_block_merge_config_selectorIxNS0_10empty_typeEEEZZNS1_27merge_sort_block_merge_implIS3_N6thrust23THRUST_200600_302600_NS6detail15normal_iteratorINS9_10device_ptrIxEEEEPS5_jNS1_19radix_merge_compareILb0ELb1ExNS0_19identity_decomposerEEEEE10hipError_tT0_T1_T2_jT3_P12ihipStream_tbPNSt15iterator_traitsISK_E10value_typeEPNSQ_ISL_E10value_typeEPSM_NS1_7vsmem_tEENKUlT_SK_SL_SM_E_clISE_PxSF_SF_EESJ_SZ_SK_SL_SM_EUlSZ_E_NS1_11comp_targetILNS1_3genE2ELNS1_11target_archE906ELNS1_3gpuE6ELNS1_3repE0EEENS1_48merge_mergepath_partition_config_static_selectorELNS0_4arch9wavefront6targetE1EEEvSL_,"axG",@progbits,_ZN7rocprim17ROCPRIM_400000_NS6detail17trampoline_kernelINS0_14default_configENS1_38merge_sort_block_merge_config_selectorIxNS0_10empty_typeEEEZZNS1_27merge_sort_block_merge_implIS3_N6thrust23THRUST_200600_302600_NS6detail15normal_iteratorINS9_10device_ptrIxEEEEPS5_jNS1_19radix_merge_compareILb0ELb1ExNS0_19identity_decomposerEEEEE10hipError_tT0_T1_T2_jT3_P12ihipStream_tbPNSt15iterator_traitsISK_E10value_typeEPNSQ_ISL_E10value_typeEPSM_NS1_7vsmem_tEENKUlT_SK_SL_SM_E_clISE_PxSF_SF_EESJ_SZ_SK_SL_SM_EUlSZ_E_NS1_11comp_targetILNS1_3genE2ELNS1_11target_archE906ELNS1_3gpuE6ELNS1_3repE0EEENS1_48merge_mergepath_partition_config_static_selectorELNS0_4arch9wavefront6targetE1EEEvSL_,comdat
.Lfunc_end1496:
	.size	_ZN7rocprim17ROCPRIM_400000_NS6detail17trampoline_kernelINS0_14default_configENS1_38merge_sort_block_merge_config_selectorIxNS0_10empty_typeEEEZZNS1_27merge_sort_block_merge_implIS3_N6thrust23THRUST_200600_302600_NS6detail15normal_iteratorINS9_10device_ptrIxEEEEPS5_jNS1_19radix_merge_compareILb0ELb1ExNS0_19identity_decomposerEEEEE10hipError_tT0_T1_T2_jT3_P12ihipStream_tbPNSt15iterator_traitsISK_E10value_typeEPNSQ_ISL_E10value_typeEPSM_NS1_7vsmem_tEENKUlT_SK_SL_SM_E_clISE_PxSF_SF_EESJ_SZ_SK_SL_SM_EUlSZ_E_NS1_11comp_targetILNS1_3genE2ELNS1_11target_archE906ELNS1_3gpuE6ELNS1_3repE0EEENS1_48merge_mergepath_partition_config_static_selectorELNS0_4arch9wavefront6targetE1EEEvSL_, .Lfunc_end1496-_ZN7rocprim17ROCPRIM_400000_NS6detail17trampoline_kernelINS0_14default_configENS1_38merge_sort_block_merge_config_selectorIxNS0_10empty_typeEEEZZNS1_27merge_sort_block_merge_implIS3_N6thrust23THRUST_200600_302600_NS6detail15normal_iteratorINS9_10device_ptrIxEEEEPS5_jNS1_19radix_merge_compareILb0ELb1ExNS0_19identity_decomposerEEEEE10hipError_tT0_T1_T2_jT3_P12ihipStream_tbPNSt15iterator_traitsISK_E10value_typeEPNSQ_ISL_E10value_typeEPSM_NS1_7vsmem_tEENKUlT_SK_SL_SM_E_clISE_PxSF_SF_EESJ_SZ_SK_SL_SM_EUlSZ_E_NS1_11comp_targetILNS1_3genE2ELNS1_11target_archE906ELNS1_3gpuE6ELNS1_3repE0EEENS1_48merge_mergepath_partition_config_static_selectorELNS0_4arch9wavefront6targetE1EEEvSL_
                                        ; -- End function
	.section	.AMDGPU.csdata,"",@progbits
; Kernel info:
; codeLenInByte = 0
; NumSgprs: 4
; NumVgprs: 0
; NumAgprs: 0
; TotalNumVgprs: 0
; ScratchSize: 0
; MemoryBound: 0
; FloatMode: 240
; IeeeMode: 1
; LDSByteSize: 0 bytes/workgroup (compile time only)
; SGPRBlocks: 0
; VGPRBlocks: 0
; NumSGPRsForWavesPerEU: 4
; NumVGPRsForWavesPerEU: 1
; AccumOffset: 4
; Occupancy: 8
; WaveLimiterHint : 0
; COMPUTE_PGM_RSRC2:SCRATCH_EN: 0
; COMPUTE_PGM_RSRC2:USER_SGPR: 6
; COMPUTE_PGM_RSRC2:TRAP_HANDLER: 0
; COMPUTE_PGM_RSRC2:TGID_X_EN: 1
; COMPUTE_PGM_RSRC2:TGID_Y_EN: 0
; COMPUTE_PGM_RSRC2:TGID_Z_EN: 0
; COMPUTE_PGM_RSRC2:TIDIG_COMP_CNT: 0
; COMPUTE_PGM_RSRC3_GFX90A:ACCUM_OFFSET: 0
; COMPUTE_PGM_RSRC3_GFX90A:TG_SPLIT: 0
	.section	.text._ZN7rocprim17ROCPRIM_400000_NS6detail17trampoline_kernelINS0_14default_configENS1_38merge_sort_block_merge_config_selectorIxNS0_10empty_typeEEEZZNS1_27merge_sort_block_merge_implIS3_N6thrust23THRUST_200600_302600_NS6detail15normal_iteratorINS9_10device_ptrIxEEEEPS5_jNS1_19radix_merge_compareILb0ELb1ExNS0_19identity_decomposerEEEEE10hipError_tT0_T1_T2_jT3_P12ihipStream_tbPNSt15iterator_traitsISK_E10value_typeEPNSQ_ISL_E10value_typeEPSM_NS1_7vsmem_tEENKUlT_SK_SL_SM_E_clISE_PxSF_SF_EESJ_SZ_SK_SL_SM_EUlSZ_E_NS1_11comp_targetILNS1_3genE9ELNS1_11target_archE1100ELNS1_3gpuE3ELNS1_3repE0EEENS1_48merge_mergepath_partition_config_static_selectorELNS0_4arch9wavefront6targetE1EEEvSL_,"axG",@progbits,_ZN7rocprim17ROCPRIM_400000_NS6detail17trampoline_kernelINS0_14default_configENS1_38merge_sort_block_merge_config_selectorIxNS0_10empty_typeEEEZZNS1_27merge_sort_block_merge_implIS3_N6thrust23THRUST_200600_302600_NS6detail15normal_iteratorINS9_10device_ptrIxEEEEPS5_jNS1_19radix_merge_compareILb0ELb1ExNS0_19identity_decomposerEEEEE10hipError_tT0_T1_T2_jT3_P12ihipStream_tbPNSt15iterator_traitsISK_E10value_typeEPNSQ_ISL_E10value_typeEPSM_NS1_7vsmem_tEENKUlT_SK_SL_SM_E_clISE_PxSF_SF_EESJ_SZ_SK_SL_SM_EUlSZ_E_NS1_11comp_targetILNS1_3genE9ELNS1_11target_archE1100ELNS1_3gpuE3ELNS1_3repE0EEENS1_48merge_mergepath_partition_config_static_selectorELNS0_4arch9wavefront6targetE1EEEvSL_,comdat
	.protected	_ZN7rocprim17ROCPRIM_400000_NS6detail17trampoline_kernelINS0_14default_configENS1_38merge_sort_block_merge_config_selectorIxNS0_10empty_typeEEEZZNS1_27merge_sort_block_merge_implIS3_N6thrust23THRUST_200600_302600_NS6detail15normal_iteratorINS9_10device_ptrIxEEEEPS5_jNS1_19radix_merge_compareILb0ELb1ExNS0_19identity_decomposerEEEEE10hipError_tT0_T1_T2_jT3_P12ihipStream_tbPNSt15iterator_traitsISK_E10value_typeEPNSQ_ISL_E10value_typeEPSM_NS1_7vsmem_tEENKUlT_SK_SL_SM_E_clISE_PxSF_SF_EESJ_SZ_SK_SL_SM_EUlSZ_E_NS1_11comp_targetILNS1_3genE9ELNS1_11target_archE1100ELNS1_3gpuE3ELNS1_3repE0EEENS1_48merge_mergepath_partition_config_static_selectorELNS0_4arch9wavefront6targetE1EEEvSL_ ; -- Begin function _ZN7rocprim17ROCPRIM_400000_NS6detail17trampoline_kernelINS0_14default_configENS1_38merge_sort_block_merge_config_selectorIxNS0_10empty_typeEEEZZNS1_27merge_sort_block_merge_implIS3_N6thrust23THRUST_200600_302600_NS6detail15normal_iteratorINS9_10device_ptrIxEEEEPS5_jNS1_19radix_merge_compareILb0ELb1ExNS0_19identity_decomposerEEEEE10hipError_tT0_T1_T2_jT3_P12ihipStream_tbPNSt15iterator_traitsISK_E10value_typeEPNSQ_ISL_E10value_typeEPSM_NS1_7vsmem_tEENKUlT_SK_SL_SM_E_clISE_PxSF_SF_EESJ_SZ_SK_SL_SM_EUlSZ_E_NS1_11comp_targetILNS1_3genE9ELNS1_11target_archE1100ELNS1_3gpuE3ELNS1_3repE0EEENS1_48merge_mergepath_partition_config_static_selectorELNS0_4arch9wavefront6targetE1EEEvSL_
	.globl	_ZN7rocprim17ROCPRIM_400000_NS6detail17trampoline_kernelINS0_14default_configENS1_38merge_sort_block_merge_config_selectorIxNS0_10empty_typeEEEZZNS1_27merge_sort_block_merge_implIS3_N6thrust23THRUST_200600_302600_NS6detail15normal_iteratorINS9_10device_ptrIxEEEEPS5_jNS1_19radix_merge_compareILb0ELb1ExNS0_19identity_decomposerEEEEE10hipError_tT0_T1_T2_jT3_P12ihipStream_tbPNSt15iterator_traitsISK_E10value_typeEPNSQ_ISL_E10value_typeEPSM_NS1_7vsmem_tEENKUlT_SK_SL_SM_E_clISE_PxSF_SF_EESJ_SZ_SK_SL_SM_EUlSZ_E_NS1_11comp_targetILNS1_3genE9ELNS1_11target_archE1100ELNS1_3gpuE3ELNS1_3repE0EEENS1_48merge_mergepath_partition_config_static_selectorELNS0_4arch9wavefront6targetE1EEEvSL_
	.p2align	8
	.type	_ZN7rocprim17ROCPRIM_400000_NS6detail17trampoline_kernelINS0_14default_configENS1_38merge_sort_block_merge_config_selectorIxNS0_10empty_typeEEEZZNS1_27merge_sort_block_merge_implIS3_N6thrust23THRUST_200600_302600_NS6detail15normal_iteratorINS9_10device_ptrIxEEEEPS5_jNS1_19radix_merge_compareILb0ELb1ExNS0_19identity_decomposerEEEEE10hipError_tT0_T1_T2_jT3_P12ihipStream_tbPNSt15iterator_traitsISK_E10value_typeEPNSQ_ISL_E10value_typeEPSM_NS1_7vsmem_tEENKUlT_SK_SL_SM_E_clISE_PxSF_SF_EESJ_SZ_SK_SL_SM_EUlSZ_E_NS1_11comp_targetILNS1_3genE9ELNS1_11target_archE1100ELNS1_3gpuE3ELNS1_3repE0EEENS1_48merge_mergepath_partition_config_static_selectorELNS0_4arch9wavefront6targetE1EEEvSL_,@function
_ZN7rocprim17ROCPRIM_400000_NS6detail17trampoline_kernelINS0_14default_configENS1_38merge_sort_block_merge_config_selectorIxNS0_10empty_typeEEEZZNS1_27merge_sort_block_merge_implIS3_N6thrust23THRUST_200600_302600_NS6detail15normal_iteratorINS9_10device_ptrIxEEEEPS5_jNS1_19radix_merge_compareILb0ELb1ExNS0_19identity_decomposerEEEEE10hipError_tT0_T1_T2_jT3_P12ihipStream_tbPNSt15iterator_traitsISK_E10value_typeEPNSQ_ISL_E10value_typeEPSM_NS1_7vsmem_tEENKUlT_SK_SL_SM_E_clISE_PxSF_SF_EESJ_SZ_SK_SL_SM_EUlSZ_E_NS1_11comp_targetILNS1_3genE9ELNS1_11target_archE1100ELNS1_3gpuE3ELNS1_3repE0EEENS1_48merge_mergepath_partition_config_static_selectorELNS0_4arch9wavefront6targetE1EEEvSL_: ; @_ZN7rocprim17ROCPRIM_400000_NS6detail17trampoline_kernelINS0_14default_configENS1_38merge_sort_block_merge_config_selectorIxNS0_10empty_typeEEEZZNS1_27merge_sort_block_merge_implIS3_N6thrust23THRUST_200600_302600_NS6detail15normal_iteratorINS9_10device_ptrIxEEEEPS5_jNS1_19radix_merge_compareILb0ELb1ExNS0_19identity_decomposerEEEEE10hipError_tT0_T1_T2_jT3_P12ihipStream_tbPNSt15iterator_traitsISK_E10value_typeEPNSQ_ISL_E10value_typeEPSM_NS1_7vsmem_tEENKUlT_SK_SL_SM_E_clISE_PxSF_SF_EESJ_SZ_SK_SL_SM_EUlSZ_E_NS1_11comp_targetILNS1_3genE9ELNS1_11target_archE1100ELNS1_3gpuE3ELNS1_3repE0EEENS1_48merge_mergepath_partition_config_static_selectorELNS0_4arch9wavefront6targetE1EEEvSL_
; %bb.0:
	.section	.rodata,"a",@progbits
	.p2align	6, 0x0
	.amdhsa_kernel _ZN7rocprim17ROCPRIM_400000_NS6detail17trampoline_kernelINS0_14default_configENS1_38merge_sort_block_merge_config_selectorIxNS0_10empty_typeEEEZZNS1_27merge_sort_block_merge_implIS3_N6thrust23THRUST_200600_302600_NS6detail15normal_iteratorINS9_10device_ptrIxEEEEPS5_jNS1_19radix_merge_compareILb0ELb1ExNS0_19identity_decomposerEEEEE10hipError_tT0_T1_T2_jT3_P12ihipStream_tbPNSt15iterator_traitsISK_E10value_typeEPNSQ_ISL_E10value_typeEPSM_NS1_7vsmem_tEENKUlT_SK_SL_SM_E_clISE_PxSF_SF_EESJ_SZ_SK_SL_SM_EUlSZ_E_NS1_11comp_targetILNS1_3genE9ELNS1_11target_archE1100ELNS1_3gpuE3ELNS1_3repE0EEENS1_48merge_mergepath_partition_config_static_selectorELNS0_4arch9wavefront6targetE1EEEvSL_
		.amdhsa_group_segment_fixed_size 0
		.amdhsa_private_segment_fixed_size 0
		.amdhsa_kernarg_size 40
		.amdhsa_user_sgpr_count 6
		.amdhsa_user_sgpr_private_segment_buffer 1
		.amdhsa_user_sgpr_dispatch_ptr 0
		.amdhsa_user_sgpr_queue_ptr 0
		.amdhsa_user_sgpr_kernarg_segment_ptr 1
		.amdhsa_user_sgpr_dispatch_id 0
		.amdhsa_user_sgpr_flat_scratch_init 0
		.amdhsa_user_sgpr_kernarg_preload_length 0
		.amdhsa_user_sgpr_kernarg_preload_offset 0
		.amdhsa_user_sgpr_private_segment_size 0
		.amdhsa_uses_dynamic_stack 0
		.amdhsa_system_sgpr_private_segment_wavefront_offset 0
		.amdhsa_system_sgpr_workgroup_id_x 1
		.amdhsa_system_sgpr_workgroup_id_y 0
		.amdhsa_system_sgpr_workgroup_id_z 0
		.amdhsa_system_sgpr_workgroup_info 0
		.amdhsa_system_vgpr_workitem_id 0
		.amdhsa_next_free_vgpr 1
		.amdhsa_next_free_sgpr 0
		.amdhsa_accum_offset 4
		.amdhsa_reserve_vcc 0
		.amdhsa_reserve_flat_scratch 0
		.amdhsa_float_round_mode_32 0
		.amdhsa_float_round_mode_16_64 0
		.amdhsa_float_denorm_mode_32 3
		.amdhsa_float_denorm_mode_16_64 3
		.amdhsa_dx10_clamp 1
		.amdhsa_ieee_mode 1
		.amdhsa_fp16_overflow 0
		.amdhsa_tg_split 0
		.amdhsa_exception_fp_ieee_invalid_op 0
		.amdhsa_exception_fp_denorm_src 0
		.amdhsa_exception_fp_ieee_div_zero 0
		.amdhsa_exception_fp_ieee_overflow 0
		.amdhsa_exception_fp_ieee_underflow 0
		.amdhsa_exception_fp_ieee_inexact 0
		.amdhsa_exception_int_div_zero 0
	.end_amdhsa_kernel
	.section	.text._ZN7rocprim17ROCPRIM_400000_NS6detail17trampoline_kernelINS0_14default_configENS1_38merge_sort_block_merge_config_selectorIxNS0_10empty_typeEEEZZNS1_27merge_sort_block_merge_implIS3_N6thrust23THRUST_200600_302600_NS6detail15normal_iteratorINS9_10device_ptrIxEEEEPS5_jNS1_19radix_merge_compareILb0ELb1ExNS0_19identity_decomposerEEEEE10hipError_tT0_T1_T2_jT3_P12ihipStream_tbPNSt15iterator_traitsISK_E10value_typeEPNSQ_ISL_E10value_typeEPSM_NS1_7vsmem_tEENKUlT_SK_SL_SM_E_clISE_PxSF_SF_EESJ_SZ_SK_SL_SM_EUlSZ_E_NS1_11comp_targetILNS1_3genE9ELNS1_11target_archE1100ELNS1_3gpuE3ELNS1_3repE0EEENS1_48merge_mergepath_partition_config_static_selectorELNS0_4arch9wavefront6targetE1EEEvSL_,"axG",@progbits,_ZN7rocprim17ROCPRIM_400000_NS6detail17trampoline_kernelINS0_14default_configENS1_38merge_sort_block_merge_config_selectorIxNS0_10empty_typeEEEZZNS1_27merge_sort_block_merge_implIS3_N6thrust23THRUST_200600_302600_NS6detail15normal_iteratorINS9_10device_ptrIxEEEEPS5_jNS1_19radix_merge_compareILb0ELb1ExNS0_19identity_decomposerEEEEE10hipError_tT0_T1_T2_jT3_P12ihipStream_tbPNSt15iterator_traitsISK_E10value_typeEPNSQ_ISL_E10value_typeEPSM_NS1_7vsmem_tEENKUlT_SK_SL_SM_E_clISE_PxSF_SF_EESJ_SZ_SK_SL_SM_EUlSZ_E_NS1_11comp_targetILNS1_3genE9ELNS1_11target_archE1100ELNS1_3gpuE3ELNS1_3repE0EEENS1_48merge_mergepath_partition_config_static_selectorELNS0_4arch9wavefront6targetE1EEEvSL_,comdat
.Lfunc_end1497:
	.size	_ZN7rocprim17ROCPRIM_400000_NS6detail17trampoline_kernelINS0_14default_configENS1_38merge_sort_block_merge_config_selectorIxNS0_10empty_typeEEEZZNS1_27merge_sort_block_merge_implIS3_N6thrust23THRUST_200600_302600_NS6detail15normal_iteratorINS9_10device_ptrIxEEEEPS5_jNS1_19radix_merge_compareILb0ELb1ExNS0_19identity_decomposerEEEEE10hipError_tT0_T1_T2_jT3_P12ihipStream_tbPNSt15iterator_traitsISK_E10value_typeEPNSQ_ISL_E10value_typeEPSM_NS1_7vsmem_tEENKUlT_SK_SL_SM_E_clISE_PxSF_SF_EESJ_SZ_SK_SL_SM_EUlSZ_E_NS1_11comp_targetILNS1_3genE9ELNS1_11target_archE1100ELNS1_3gpuE3ELNS1_3repE0EEENS1_48merge_mergepath_partition_config_static_selectorELNS0_4arch9wavefront6targetE1EEEvSL_, .Lfunc_end1497-_ZN7rocprim17ROCPRIM_400000_NS6detail17trampoline_kernelINS0_14default_configENS1_38merge_sort_block_merge_config_selectorIxNS0_10empty_typeEEEZZNS1_27merge_sort_block_merge_implIS3_N6thrust23THRUST_200600_302600_NS6detail15normal_iteratorINS9_10device_ptrIxEEEEPS5_jNS1_19radix_merge_compareILb0ELb1ExNS0_19identity_decomposerEEEEE10hipError_tT0_T1_T2_jT3_P12ihipStream_tbPNSt15iterator_traitsISK_E10value_typeEPNSQ_ISL_E10value_typeEPSM_NS1_7vsmem_tEENKUlT_SK_SL_SM_E_clISE_PxSF_SF_EESJ_SZ_SK_SL_SM_EUlSZ_E_NS1_11comp_targetILNS1_3genE9ELNS1_11target_archE1100ELNS1_3gpuE3ELNS1_3repE0EEENS1_48merge_mergepath_partition_config_static_selectorELNS0_4arch9wavefront6targetE1EEEvSL_
                                        ; -- End function
	.section	.AMDGPU.csdata,"",@progbits
; Kernel info:
; codeLenInByte = 0
; NumSgprs: 4
; NumVgprs: 0
; NumAgprs: 0
; TotalNumVgprs: 0
; ScratchSize: 0
; MemoryBound: 0
; FloatMode: 240
; IeeeMode: 1
; LDSByteSize: 0 bytes/workgroup (compile time only)
; SGPRBlocks: 0
; VGPRBlocks: 0
; NumSGPRsForWavesPerEU: 4
; NumVGPRsForWavesPerEU: 1
; AccumOffset: 4
; Occupancy: 8
; WaveLimiterHint : 0
; COMPUTE_PGM_RSRC2:SCRATCH_EN: 0
; COMPUTE_PGM_RSRC2:USER_SGPR: 6
; COMPUTE_PGM_RSRC2:TRAP_HANDLER: 0
; COMPUTE_PGM_RSRC2:TGID_X_EN: 1
; COMPUTE_PGM_RSRC2:TGID_Y_EN: 0
; COMPUTE_PGM_RSRC2:TGID_Z_EN: 0
; COMPUTE_PGM_RSRC2:TIDIG_COMP_CNT: 0
; COMPUTE_PGM_RSRC3_GFX90A:ACCUM_OFFSET: 0
; COMPUTE_PGM_RSRC3_GFX90A:TG_SPLIT: 0
	.section	.text._ZN7rocprim17ROCPRIM_400000_NS6detail17trampoline_kernelINS0_14default_configENS1_38merge_sort_block_merge_config_selectorIxNS0_10empty_typeEEEZZNS1_27merge_sort_block_merge_implIS3_N6thrust23THRUST_200600_302600_NS6detail15normal_iteratorINS9_10device_ptrIxEEEEPS5_jNS1_19radix_merge_compareILb0ELb1ExNS0_19identity_decomposerEEEEE10hipError_tT0_T1_T2_jT3_P12ihipStream_tbPNSt15iterator_traitsISK_E10value_typeEPNSQ_ISL_E10value_typeEPSM_NS1_7vsmem_tEENKUlT_SK_SL_SM_E_clISE_PxSF_SF_EESJ_SZ_SK_SL_SM_EUlSZ_E_NS1_11comp_targetILNS1_3genE8ELNS1_11target_archE1030ELNS1_3gpuE2ELNS1_3repE0EEENS1_48merge_mergepath_partition_config_static_selectorELNS0_4arch9wavefront6targetE1EEEvSL_,"axG",@progbits,_ZN7rocprim17ROCPRIM_400000_NS6detail17trampoline_kernelINS0_14default_configENS1_38merge_sort_block_merge_config_selectorIxNS0_10empty_typeEEEZZNS1_27merge_sort_block_merge_implIS3_N6thrust23THRUST_200600_302600_NS6detail15normal_iteratorINS9_10device_ptrIxEEEEPS5_jNS1_19radix_merge_compareILb0ELb1ExNS0_19identity_decomposerEEEEE10hipError_tT0_T1_T2_jT3_P12ihipStream_tbPNSt15iterator_traitsISK_E10value_typeEPNSQ_ISL_E10value_typeEPSM_NS1_7vsmem_tEENKUlT_SK_SL_SM_E_clISE_PxSF_SF_EESJ_SZ_SK_SL_SM_EUlSZ_E_NS1_11comp_targetILNS1_3genE8ELNS1_11target_archE1030ELNS1_3gpuE2ELNS1_3repE0EEENS1_48merge_mergepath_partition_config_static_selectorELNS0_4arch9wavefront6targetE1EEEvSL_,comdat
	.protected	_ZN7rocprim17ROCPRIM_400000_NS6detail17trampoline_kernelINS0_14default_configENS1_38merge_sort_block_merge_config_selectorIxNS0_10empty_typeEEEZZNS1_27merge_sort_block_merge_implIS3_N6thrust23THRUST_200600_302600_NS6detail15normal_iteratorINS9_10device_ptrIxEEEEPS5_jNS1_19radix_merge_compareILb0ELb1ExNS0_19identity_decomposerEEEEE10hipError_tT0_T1_T2_jT3_P12ihipStream_tbPNSt15iterator_traitsISK_E10value_typeEPNSQ_ISL_E10value_typeEPSM_NS1_7vsmem_tEENKUlT_SK_SL_SM_E_clISE_PxSF_SF_EESJ_SZ_SK_SL_SM_EUlSZ_E_NS1_11comp_targetILNS1_3genE8ELNS1_11target_archE1030ELNS1_3gpuE2ELNS1_3repE0EEENS1_48merge_mergepath_partition_config_static_selectorELNS0_4arch9wavefront6targetE1EEEvSL_ ; -- Begin function _ZN7rocprim17ROCPRIM_400000_NS6detail17trampoline_kernelINS0_14default_configENS1_38merge_sort_block_merge_config_selectorIxNS0_10empty_typeEEEZZNS1_27merge_sort_block_merge_implIS3_N6thrust23THRUST_200600_302600_NS6detail15normal_iteratorINS9_10device_ptrIxEEEEPS5_jNS1_19radix_merge_compareILb0ELb1ExNS0_19identity_decomposerEEEEE10hipError_tT0_T1_T2_jT3_P12ihipStream_tbPNSt15iterator_traitsISK_E10value_typeEPNSQ_ISL_E10value_typeEPSM_NS1_7vsmem_tEENKUlT_SK_SL_SM_E_clISE_PxSF_SF_EESJ_SZ_SK_SL_SM_EUlSZ_E_NS1_11comp_targetILNS1_3genE8ELNS1_11target_archE1030ELNS1_3gpuE2ELNS1_3repE0EEENS1_48merge_mergepath_partition_config_static_selectorELNS0_4arch9wavefront6targetE1EEEvSL_
	.globl	_ZN7rocprim17ROCPRIM_400000_NS6detail17trampoline_kernelINS0_14default_configENS1_38merge_sort_block_merge_config_selectorIxNS0_10empty_typeEEEZZNS1_27merge_sort_block_merge_implIS3_N6thrust23THRUST_200600_302600_NS6detail15normal_iteratorINS9_10device_ptrIxEEEEPS5_jNS1_19radix_merge_compareILb0ELb1ExNS0_19identity_decomposerEEEEE10hipError_tT0_T1_T2_jT3_P12ihipStream_tbPNSt15iterator_traitsISK_E10value_typeEPNSQ_ISL_E10value_typeEPSM_NS1_7vsmem_tEENKUlT_SK_SL_SM_E_clISE_PxSF_SF_EESJ_SZ_SK_SL_SM_EUlSZ_E_NS1_11comp_targetILNS1_3genE8ELNS1_11target_archE1030ELNS1_3gpuE2ELNS1_3repE0EEENS1_48merge_mergepath_partition_config_static_selectorELNS0_4arch9wavefront6targetE1EEEvSL_
	.p2align	8
	.type	_ZN7rocprim17ROCPRIM_400000_NS6detail17trampoline_kernelINS0_14default_configENS1_38merge_sort_block_merge_config_selectorIxNS0_10empty_typeEEEZZNS1_27merge_sort_block_merge_implIS3_N6thrust23THRUST_200600_302600_NS6detail15normal_iteratorINS9_10device_ptrIxEEEEPS5_jNS1_19radix_merge_compareILb0ELb1ExNS0_19identity_decomposerEEEEE10hipError_tT0_T1_T2_jT3_P12ihipStream_tbPNSt15iterator_traitsISK_E10value_typeEPNSQ_ISL_E10value_typeEPSM_NS1_7vsmem_tEENKUlT_SK_SL_SM_E_clISE_PxSF_SF_EESJ_SZ_SK_SL_SM_EUlSZ_E_NS1_11comp_targetILNS1_3genE8ELNS1_11target_archE1030ELNS1_3gpuE2ELNS1_3repE0EEENS1_48merge_mergepath_partition_config_static_selectorELNS0_4arch9wavefront6targetE1EEEvSL_,@function
_ZN7rocprim17ROCPRIM_400000_NS6detail17trampoline_kernelINS0_14default_configENS1_38merge_sort_block_merge_config_selectorIxNS0_10empty_typeEEEZZNS1_27merge_sort_block_merge_implIS3_N6thrust23THRUST_200600_302600_NS6detail15normal_iteratorINS9_10device_ptrIxEEEEPS5_jNS1_19radix_merge_compareILb0ELb1ExNS0_19identity_decomposerEEEEE10hipError_tT0_T1_T2_jT3_P12ihipStream_tbPNSt15iterator_traitsISK_E10value_typeEPNSQ_ISL_E10value_typeEPSM_NS1_7vsmem_tEENKUlT_SK_SL_SM_E_clISE_PxSF_SF_EESJ_SZ_SK_SL_SM_EUlSZ_E_NS1_11comp_targetILNS1_3genE8ELNS1_11target_archE1030ELNS1_3gpuE2ELNS1_3repE0EEENS1_48merge_mergepath_partition_config_static_selectorELNS0_4arch9wavefront6targetE1EEEvSL_: ; @_ZN7rocprim17ROCPRIM_400000_NS6detail17trampoline_kernelINS0_14default_configENS1_38merge_sort_block_merge_config_selectorIxNS0_10empty_typeEEEZZNS1_27merge_sort_block_merge_implIS3_N6thrust23THRUST_200600_302600_NS6detail15normal_iteratorINS9_10device_ptrIxEEEEPS5_jNS1_19radix_merge_compareILb0ELb1ExNS0_19identity_decomposerEEEEE10hipError_tT0_T1_T2_jT3_P12ihipStream_tbPNSt15iterator_traitsISK_E10value_typeEPNSQ_ISL_E10value_typeEPSM_NS1_7vsmem_tEENKUlT_SK_SL_SM_E_clISE_PxSF_SF_EESJ_SZ_SK_SL_SM_EUlSZ_E_NS1_11comp_targetILNS1_3genE8ELNS1_11target_archE1030ELNS1_3gpuE2ELNS1_3repE0EEENS1_48merge_mergepath_partition_config_static_selectorELNS0_4arch9wavefront6targetE1EEEvSL_
; %bb.0:
	.section	.rodata,"a",@progbits
	.p2align	6, 0x0
	.amdhsa_kernel _ZN7rocprim17ROCPRIM_400000_NS6detail17trampoline_kernelINS0_14default_configENS1_38merge_sort_block_merge_config_selectorIxNS0_10empty_typeEEEZZNS1_27merge_sort_block_merge_implIS3_N6thrust23THRUST_200600_302600_NS6detail15normal_iteratorINS9_10device_ptrIxEEEEPS5_jNS1_19radix_merge_compareILb0ELb1ExNS0_19identity_decomposerEEEEE10hipError_tT0_T1_T2_jT3_P12ihipStream_tbPNSt15iterator_traitsISK_E10value_typeEPNSQ_ISL_E10value_typeEPSM_NS1_7vsmem_tEENKUlT_SK_SL_SM_E_clISE_PxSF_SF_EESJ_SZ_SK_SL_SM_EUlSZ_E_NS1_11comp_targetILNS1_3genE8ELNS1_11target_archE1030ELNS1_3gpuE2ELNS1_3repE0EEENS1_48merge_mergepath_partition_config_static_selectorELNS0_4arch9wavefront6targetE1EEEvSL_
		.amdhsa_group_segment_fixed_size 0
		.amdhsa_private_segment_fixed_size 0
		.amdhsa_kernarg_size 40
		.amdhsa_user_sgpr_count 6
		.amdhsa_user_sgpr_private_segment_buffer 1
		.amdhsa_user_sgpr_dispatch_ptr 0
		.amdhsa_user_sgpr_queue_ptr 0
		.amdhsa_user_sgpr_kernarg_segment_ptr 1
		.amdhsa_user_sgpr_dispatch_id 0
		.amdhsa_user_sgpr_flat_scratch_init 0
		.amdhsa_user_sgpr_kernarg_preload_length 0
		.amdhsa_user_sgpr_kernarg_preload_offset 0
		.amdhsa_user_sgpr_private_segment_size 0
		.amdhsa_uses_dynamic_stack 0
		.amdhsa_system_sgpr_private_segment_wavefront_offset 0
		.amdhsa_system_sgpr_workgroup_id_x 1
		.amdhsa_system_sgpr_workgroup_id_y 0
		.amdhsa_system_sgpr_workgroup_id_z 0
		.amdhsa_system_sgpr_workgroup_info 0
		.amdhsa_system_vgpr_workitem_id 0
		.amdhsa_next_free_vgpr 1
		.amdhsa_next_free_sgpr 0
		.amdhsa_accum_offset 4
		.amdhsa_reserve_vcc 0
		.amdhsa_reserve_flat_scratch 0
		.amdhsa_float_round_mode_32 0
		.amdhsa_float_round_mode_16_64 0
		.amdhsa_float_denorm_mode_32 3
		.amdhsa_float_denorm_mode_16_64 3
		.amdhsa_dx10_clamp 1
		.amdhsa_ieee_mode 1
		.amdhsa_fp16_overflow 0
		.amdhsa_tg_split 0
		.amdhsa_exception_fp_ieee_invalid_op 0
		.amdhsa_exception_fp_denorm_src 0
		.amdhsa_exception_fp_ieee_div_zero 0
		.amdhsa_exception_fp_ieee_overflow 0
		.amdhsa_exception_fp_ieee_underflow 0
		.amdhsa_exception_fp_ieee_inexact 0
		.amdhsa_exception_int_div_zero 0
	.end_amdhsa_kernel
	.section	.text._ZN7rocprim17ROCPRIM_400000_NS6detail17trampoline_kernelINS0_14default_configENS1_38merge_sort_block_merge_config_selectorIxNS0_10empty_typeEEEZZNS1_27merge_sort_block_merge_implIS3_N6thrust23THRUST_200600_302600_NS6detail15normal_iteratorINS9_10device_ptrIxEEEEPS5_jNS1_19radix_merge_compareILb0ELb1ExNS0_19identity_decomposerEEEEE10hipError_tT0_T1_T2_jT3_P12ihipStream_tbPNSt15iterator_traitsISK_E10value_typeEPNSQ_ISL_E10value_typeEPSM_NS1_7vsmem_tEENKUlT_SK_SL_SM_E_clISE_PxSF_SF_EESJ_SZ_SK_SL_SM_EUlSZ_E_NS1_11comp_targetILNS1_3genE8ELNS1_11target_archE1030ELNS1_3gpuE2ELNS1_3repE0EEENS1_48merge_mergepath_partition_config_static_selectorELNS0_4arch9wavefront6targetE1EEEvSL_,"axG",@progbits,_ZN7rocprim17ROCPRIM_400000_NS6detail17trampoline_kernelINS0_14default_configENS1_38merge_sort_block_merge_config_selectorIxNS0_10empty_typeEEEZZNS1_27merge_sort_block_merge_implIS3_N6thrust23THRUST_200600_302600_NS6detail15normal_iteratorINS9_10device_ptrIxEEEEPS5_jNS1_19radix_merge_compareILb0ELb1ExNS0_19identity_decomposerEEEEE10hipError_tT0_T1_T2_jT3_P12ihipStream_tbPNSt15iterator_traitsISK_E10value_typeEPNSQ_ISL_E10value_typeEPSM_NS1_7vsmem_tEENKUlT_SK_SL_SM_E_clISE_PxSF_SF_EESJ_SZ_SK_SL_SM_EUlSZ_E_NS1_11comp_targetILNS1_3genE8ELNS1_11target_archE1030ELNS1_3gpuE2ELNS1_3repE0EEENS1_48merge_mergepath_partition_config_static_selectorELNS0_4arch9wavefront6targetE1EEEvSL_,comdat
.Lfunc_end1498:
	.size	_ZN7rocprim17ROCPRIM_400000_NS6detail17trampoline_kernelINS0_14default_configENS1_38merge_sort_block_merge_config_selectorIxNS0_10empty_typeEEEZZNS1_27merge_sort_block_merge_implIS3_N6thrust23THRUST_200600_302600_NS6detail15normal_iteratorINS9_10device_ptrIxEEEEPS5_jNS1_19radix_merge_compareILb0ELb1ExNS0_19identity_decomposerEEEEE10hipError_tT0_T1_T2_jT3_P12ihipStream_tbPNSt15iterator_traitsISK_E10value_typeEPNSQ_ISL_E10value_typeEPSM_NS1_7vsmem_tEENKUlT_SK_SL_SM_E_clISE_PxSF_SF_EESJ_SZ_SK_SL_SM_EUlSZ_E_NS1_11comp_targetILNS1_3genE8ELNS1_11target_archE1030ELNS1_3gpuE2ELNS1_3repE0EEENS1_48merge_mergepath_partition_config_static_selectorELNS0_4arch9wavefront6targetE1EEEvSL_, .Lfunc_end1498-_ZN7rocprim17ROCPRIM_400000_NS6detail17trampoline_kernelINS0_14default_configENS1_38merge_sort_block_merge_config_selectorIxNS0_10empty_typeEEEZZNS1_27merge_sort_block_merge_implIS3_N6thrust23THRUST_200600_302600_NS6detail15normal_iteratorINS9_10device_ptrIxEEEEPS5_jNS1_19radix_merge_compareILb0ELb1ExNS0_19identity_decomposerEEEEE10hipError_tT0_T1_T2_jT3_P12ihipStream_tbPNSt15iterator_traitsISK_E10value_typeEPNSQ_ISL_E10value_typeEPSM_NS1_7vsmem_tEENKUlT_SK_SL_SM_E_clISE_PxSF_SF_EESJ_SZ_SK_SL_SM_EUlSZ_E_NS1_11comp_targetILNS1_3genE8ELNS1_11target_archE1030ELNS1_3gpuE2ELNS1_3repE0EEENS1_48merge_mergepath_partition_config_static_selectorELNS0_4arch9wavefront6targetE1EEEvSL_
                                        ; -- End function
	.section	.AMDGPU.csdata,"",@progbits
; Kernel info:
; codeLenInByte = 0
; NumSgprs: 4
; NumVgprs: 0
; NumAgprs: 0
; TotalNumVgprs: 0
; ScratchSize: 0
; MemoryBound: 0
; FloatMode: 240
; IeeeMode: 1
; LDSByteSize: 0 bytes/workgroup (compile time only)
; SGPRBlocks: 0
; VGPRBlocks: 0
; NumSGPRsForWavesPerEU: 4
; NumVGPRsForWavesPerEU: 1
; AccumOffset: 4
; Occupancy: 8
; WaveLimiterHint : 0
; COMPUTE_PGM_RSRC2:SCRATCH_EN: 0
; COMPUTE_PGM_RSRC2:USER_SGPR: 6
; COMPUTE_PGM_RSRC2:TRAP_HANDLER: 0
; COMPUTE_PGM_RSRC2:TGID_X_EN: 1
; COMPUTE_PGM_RSRC2:TGID_Y_EN: 0
; COMPUTE_PGM_RSRC2:TGID_Z_EN: 0
; COMPUTE_PGM_RSRC2:TIDIG_COMP_CNT: 0
; COMPUTE_PGM_RSRC3_GFX90A:ACCUM_OFFSET: 0
; COMPUTE_PGM_RSRC3_GFX90A:TG_SPLIT: 0
	.section	.text._ZN7rocprim17ROCPRIM_400000_NS6detail17trampoline_kernelINS0_14default_configENS1_38merge_sort_block_merge_config_selectorIxNS0_10empty_typeEEEZZNS1_27merge_sort_block_merge_implIS3_N6thrust23THRUST_200600_302600_NS6detail15normal_iteratorINS9_10device_ptrIxEEEEPS5_jNS1_19radix_merge_compareILb0ELb1ExNS0_19identity_decomposerEEEEE10hipError_tT0_T1_T2_jT3_P12ihipStream_tbPNSt15iterator_traitsISK_E10value_typeEPNSQ_ISL_E10value_typeEPSM_NS1_7vsmem_tEENKUlT_SK_SL_SM_E_clISE_PxSF_SF_EESJ_SZ_SK_SL_SM_EUlSZ_E0_NS1_11comp_targetILNS1_3genE0ELNS1_11target_archE4294967295ELNS1_3gpuE0ELNS1_3repE0EEENS1_38merge_mergepath_config_static_selectorELNS0_4arch9wavefront6targetE1EEEvSL_,"axG",@progbits,_ZN7rocprim17ROCPRIM_400000_NS6detail17trampoline_kernelINS0_14default_configENS1_38merge_sort_block_merge_config_selectorIxNS0_10empty_typeEEEZZNS1_27merge_sort_block_merge_implIS3_N6thrust23THRUST_200600_302600_NS6detail15normal_iteratorINS9_10device_ptrIxEEEEPS5_jNS1_19radix_merge_compareILb0ELb1ExNS0_19identity_decomposerEEEEE10hipError_tT0_T1_T2_jT3_P12ihipStream_tbPNSt15iterator_traitsISK_E10value_typeEPNSQ_ISL_E10value_typeEPSM_NS1_7vsmem_tEENKUlT_SK_SL_SM_E_clISE_PxSF_SF_EESJ_SZ_SK_SL_SM_EUlSZ_E0_NS1_11comp_targetILNS1_3genE0ELNS1_11target_archE4294967295ELNS1_3gpuE0ELNS1_3repE0EEENS1_38merge_mergepath_config_static_selectorELNS0_4arch9wavefront6targetE1EEEvSL_,comdat
	.protected	_ZN7rocprim17ROCPRIM_400000_NS6detail17trampoline_kernelINS0_14default_configENS1_38merge_sort_block_merge_config_selectorIxNS0_10empty_typeEEEZZNS1_27merge_sort_block_merge_implIS3_N6thrust23THRUST_200600_302600_NS6detail15normal_iteratorINS9_10device_ptrIxEEEEPS5_jNS1_19radix_merge_compareILb0ELb1ExNS0_19identity_decomposerEEEEE10hipError_tT0_T1_T2_jT3_P12ihipStream_tbPNSt15iterator_traitsISK_E10value_typeEPNSQ_ISL_E10value_typeEPSM_NS1_7vsmem_tEENKUlT_SK_SL_SM_E_clISE_PxSF_SF_EESJ_SZ_SK_SL_SM_EUlSZ_E0_NS1_11comp_targetILNS1_3genE0ELNS1_11target_archE4294967295ELNS1_3gpuE0ELNS1_3repE0EEENS1_38merge_mergepath_config_static_selectorELNS0_4arch9wavefront6targetE1EEEvSL_ ; -- Begin function _ZN7rocprim17ROCPRIM_400000_NS6detail17trampoline_kernelINS0_14default_configENS1_38merge_sort_block_merge_config_selectorIxNS0_10empty_typeEEEZZNS1_27merge_sort_block_merge_implIS3_N6thrust23THRUST_200600_302600_NS6detail15normal_iteratorINS9_10device_ptrIxEEEEPS5_jNS1_19radix_merge_compareILb0ELb1ExNS0_19identity_decomposerEEEEE10hipError_tT0_T1_T2_jT3_P12ihipStream_tbPNSt15iterator_traitsISK_E10value_typeEPNSQ_ISL_E10value_typeEPSM_NS1_7vsmem_tEENKUlT_SK_SL_SM_E_clISE_PxSF_SF_EESJ_SZ_SK_SL_SM_EUlSZ_E0_NS1_11comp_targetILNS1_3genE0ELNS1_11target_archE4294967295ELNS1_3gpuE0ELNS1_3repE0EEENS1_38merge_mergepath_config_static_selectorELNS0_4arch9wavefront6targetE1EEEvSL_
	.globl	_ZN7rocprim17ROCPRIM_400000_NS6detail17trampoline_kernelINS0_14default_configENS1_38merge_sort_block_merge_config_selectorIxNS0_10empty_typeEEEZZNS1_27merge_sort_block_merge_implIS3_N6thrust23THRUST_200600_302600_NS6detail15normal_iteratorINS9_10device_ptrIxEEEEPS5_jNS1_19radix_merge_compareILb0ELb1ExNS0_19identity_decomposerEEEEE10hipError_tT0_T1_T2_jT3_P12ihipStream_tbPNSt15iterator_traitsISK_E10value_typeEPNSQ_ISL_E10value_typeEPSM_NS1_7vsmem_tEENKUlT_SK_SL_SM_E_clISE_PxSF_SF_EESJ_SZ_SK_SL_SM_EUlSZ_E0_NS1_11comp_targetILNS1_3genE0ELNS1_11target_archE4294967295ELNS1_3gpuE0ELNS1_3repE0EEENS1_38merge_mergepath_config_static_selectorELNS0_4arch9wavefront6targetE1EEEvSL_
	.p2align	8
	.type	_ZN7rocprim17ROCPRIM_400000_NS6detail17trampoline_kernelINS0_14default_configENS1_38merge_sort_block_merge_config_selectorIxNS0_10empty_typeEEEZZNS1_27merge_sort_block_merge_implIS3_N6thrust23THRUST_200600_302600_NS6detail15normal_iteratorINS9_10device_ptrIxEEEEPS5_jNS1_19radix_merge_compareILb0ELb1ExNS0_19identity_decomposerEEEEE10hipError_tT0_T1_T2_jT3_P12ihipStream_tbPNSt15iterator_traitsISK_E10value_typeEPNSQ_ISL_E10value_typeEPSM_NS1_7vsmem_tEENKUlT_SK_SL_SM_E_clISE_PxSF_SF_EESJ_SZ_SK_SL_SM_EUlSZ_E0_NS1_11comp_targetILNS1_3genE0ELNS1_11target_archE4294967295ELNS1_3gpuE0ELNS1_3repE0EEENS1_38merge_mergepath_config_static_selectorELNS0_4arch9wavefront6targetE1EEEvSL_,@function
_ZN7rocprim17ROCPRIM_400000_NS6detail17trampoline_kernelINS0_14default_configENS1_38merge_sort_block_merge_config_selectorIxNS0_10empty_typeEEEZZNS1_27merge_sort_block_merge_implIS3_N6thrust23THRUST_200600_302600_NS6detail15normal_iteratorINS9_10device_ptrIxEEEEPS5_jNS1_19radix_merge_compareILb0ELb1ExNS0_19identity_decomposerEEEEE10hipError_tT0_T1_T2_jT3_P12ihipStream_tbPNSt15iterator_traitsISK_E10value_typeEPNSQ_ISL_E10value_typeEPSM_NS1_7vsmem_tEENKUlT_SK_SL_SM_E_clISE_PxSF_SF_EESJ_SZ_SK_SL_SM_EUlSZ_E0_NS1_11comp_targetILNS1_3genE0ELNS1_11target_archE4294967295ELNS1_3gpuE0ELNS1_3repE0EEENS1_38merge_mergepath_config_static_selectorELNS0_4arch9wavefront6targetE1EEEvSL_: ; @_ZN7rocprim17ROCPRIM_400000_NS6detail17trampoline_kernelINS0_14default_configENS1_38merge_sort_block_merge_config_selectorIxNS0_10empty_typeEEEZZNS1_27merge_sort_block_merge_implIS3_N6thrust23THRUST_200600_302600_NS6detail15normal_iteratorINS9_10device_ptrIxEEEEPS5_jNS1_19radix_merge_compareILb0ELb1ExNS0_19identity_decomposerEEEEE10hipError_tT0_T1_T2_jT3_P12ihipStream_tbPNSt15iterator_traitsISK_E10value_typeEPNSQ_ISL_E10value_typeEPSM_NS1_7vsmem_tEENKUlT_SK_SL_SM_E_clISE_PxSF_SF_EESJ_SZ_SK_SL_SM_EUlSZ_E0_NS1_11comp_targetILNS1_3genE0ELNS1_11target_archE4294967295ELNS1_3gpuE0ELNS1_3repE0EEENS1_38merge_mergepath_config_static_selectorELNS0_4arch9wavefront6targetE1EEEvSL_
; %bb.0:
	.section	.rodata,"a",@progbits
	.p2align	6, 0x0
	.amdhsa_kernel _ZN7rocprim17ROCPRIM_400000_NS6detail17trampoline_kernelINS0_14default_configENS1_38merge_sort_block_merge_config_selectorIxNS0_10empty_typeEEEZZNS1_27merge_sort_block_merge_implIS3_N6thrust23THRUST_200600_302600_NS6detail15normal_iteratorINS9_10device_ptrIxEEEEPS5_jNS1_19radix_merge_compareILb0ELb1ExNS0_19identity_decomposerEEEEE10hipError_tT0_T1_T2_jT3_P12ihipStream_tbPNSt15iterator_traitsISK_E10value_typeEPNSQ_ISL_E10value_typeEPSM_NS1_7vsmem_tEENKUlT_SK_SL_SM_E_clISE_PxSF_SF_EESJ_SZ_SK_SL_SM_EUlSZ_E0_NS1_11comp_targetILNS1_3genE0ELNS1_11target_archE4294967295ELNS1_3gpuE0ELNS1_3repE0EEENS1_38merge_mergepath_config_static_selectorELNS0_4arch9wavefront6targetE1EEEvSL_
		.amdhsa_group_segment_fixed_size 0
		.amdhsa_private_segment_fixed_size 0
		.amdhsa_kernarg_size 72
		.amdhsa_user_sgpr_count 6
		.amdhsa_user_sgpr_private_segment_buffer 1
		.amdhsa_user_sgpr_dispatch_ptr 0
		.amdhsa_user_sgpr_queue_ptr 0
		.amdhsa_user_sgpr_kernarg_segment_ptr 1
		.amdhsa_user_sgpr_dispatch_id 0
		.amdhsa_user_sgpr_flat_scratch_init 0
		.amdhsa_user_sgpr_kernarg_preload_length 0
		.amdhsa_user_sgpr_kernarg_preload_offset 0
		.amdhsa_user_sgpr_private_segment_size 0
		.amdhsa_uses_dynamic_stack 0
		.amdhsa_system_sgpr_private_segment_wavefront_offset 0
		.amdhsa_system_sgpr_workgroup_id_x 1
		.amdhsa_system_sgpr_workgroup_id_y 0
		.amdhsa_system_sgpr_workgroup_id_z 0
		.amdhsa_system_sgpr_workgroup_info 0
		.amdhsa_system_vgpr_workitem_id 0
		.amdhsa_next_free_vgpr 1
		.amdhsa_next_free_sgpr 0
		.amdhsa_accum_offset 4
		.amdhsa_reserve_vcc 0
		.amdhsa_reserve_flat_scratch 0
		.amdhsa_float_round_mode_32 0
		.amdhsa_float_round_mode_16_64 0
		.amdhsa_float_denorm_mode_32 3
		.amdhsa_float_denorm_mode_16_64 3
		.amdhsa_dx10_clamp 1
		.amdhsa_ieee_mode 1
		.amdhsa_fp16_overflow 0
		.amdhsa_tg_split 0
		.amdhsa_exception_fp_ieee_invalid_op 0
		.amdhsa_exception_fp_denorm_src 0
		.amdhsa_exception_fp_ieee_div_zero 0
		.amdhsa_exception_fp_ieee_overflow 0
		.amdhsa_exception_fp_ieee_underflow 0
		.amdhsa_exception_fp_ieee_inexact 0
		.amdhsa_exception_int_div_zero 0
	.end_amdhsa_kernel
	.section	.text._ZN7rocprim17ROCPRIM_400000_NS6detail17trampoline_kernelINS0_14default_configENS1_38merge_sort_block_merge_config_selectorIxNS0_10empty_typeEEEZZNS1_27merge_sort_block_merge_implIS3_N6thrust23THRUST_200600_302600_NS6detail15normal_iteratorINS9_10device_ptrIxEEEEPS5_jNS1_19radix_merge_compareILb0ELb1ExNS0_19identity_decomposerEEEEE10hipError_tT0_T1_T2_jT3_P12ihipStream_tbPNSt15iterator_traitsISK_E10value_typeEPNSQ_ISL_E10value_typeEPSM_NS1_7vsmem_tEENKUlT_SK_SL_SM_E_clISE_PxSF_SF_EESJ_SZ_SK_SL_SM_EUlSZ_E0_NS1_11comp_targetILNS1_3genE0ELNS1_11target_archE4294967295ELNS1_3gpuE0ELNS1_3repE0EEENS1_38merge_mergepath_config_static_selectorELNS0_4arch9wavefront6targetE1EEEvSL_,"axG",@progbits,_ZN7rocprim17ROCPRIM_400000_NS6detail17trampoline_kernelINS0_14default_configENS1_38merge_sort_block_merge_config_selectorIxNS0_10empty_typeEEEZZNS1_27merge_sort_block_merge_implIS3_N6thrust23THRUST_200600_302600_NS6detail15normal_iteratorINS9_10device_ptrIxEEEEPS5_jNS1_19radix_merge_compareILb0ELb1ExNS0_19identity_decomposerEEEEE10hipError_tT0_T1_T2_jT3_P12ihipStream_tbPNSt15iterator_traitsISK_E10value_typeEPNSQ_ISL_E10value_typeEPSM_NS1_7vsmem_tEENKUlT_SK_SL_SM_E_clISE_PxSF_SF_EESJ_SZ_SK_SL_SM_EUlSZ_E0_NS1_11comp_targetILNS1_3genE0ELNS1_11target_archE4294967295ELNS1_3gpuE0ELNS1_3repE0EEENS1_38merge_mergepath_config_static_selectorELNS0_4arch9wavefront6targetE1EEEvSL_,comdat
.Lfunc_end1499:
	.size	_ZN7rocprim17ROCPRIM_400000_NS6detail17trampoline_kernelINS0_14default_configENS1_38merge_sort_block_merge_config_selectorIxNS0_10empty_typeEEEZZNS1_27merge_sort_block_merge_implIS3_N6thrust23THRUST_200600_302600_NS6detail15normal_iteratorINS9_10device_ptrIxEEEEPS5_jNS1_19radix_merge_compareILb0ELb1ExNS0_19identity_decomposerEEEEE10hipError_tT0_T1_T2_jT3_P12ihipStream_tbPNSt15iterator_traitsISK_E10value_typeEPNSQ_ISL_E10value_typeEPSM_NS1_7vsmem_tEENKUlT_SK_SL_SM_E_clISE_PxSF_SF_EESJ_SZ_SK_SL_SM_EUlSZ_E0_NS1_11comp_targetILNS1_3genE0ELNS1_11target_archE4294967295ELNS1_3gpuE0ELNS1_3repE0EEENS1_38merge_mergepath_config_static_selectorELNS0_4arch9wavefront6targetE1EEEvSL_, .Lfunc_end1499-_ZN7rocprim17ROCPRIM_400000_NS6detail17trampoline_kernelINS0_14default_configENS1_38merge_sort_block_merge_config_selectorIxNS0_10empty_typeEEEZZNS1_27merge_sort_block_merge_implIS3_N6thrust23THRUST_200600_302600_NS6detail15normal_iteratorINS9_10device_ptrIxEEEEPS5_jNS1_19radix_merge_compareILb0ELb1ExNS0_19identity_decomposerEEEEE10hipError_tT0_T1_T2_jT3_P12ihipStream_tbPNSt15iterator_traitsISK_E10value_typeEPNSQ_ISL_E10value_typeEPSM_NS1_7vsmem_tEENKUlT_SK_SL_SM_E_clISE_PxSF_SF_EESJ_SZ_SK_SL_SM_EUlSZ_E0_NS1_11comp_targetILNS1_3genE0ELNS1_11target_archE4294967295ELNS1_3gpuE0ELNS1_3repE0EEENS1_38merge_mergepath_config_static_selectorELNS0_4arch9wavefront6targetE1EEEvSL_
                                        ; -- End function
	.section	.AMDGPU.csdata,"",@progbits
; Kernel info:
; codeLenInByte = 0
; NumSgprs: 4
; NumVgprs: 0
; NumAgprs: 0
; TotalNumVgprs: 0
; ScratchSize: 0
; MemoryBound: 0
; FloatMode: 240
; IeeeMode: 1
; LDSByteSize: 0 bytes/workgroup (compile time only)
; SGPRBlocks: 0
; VGPRBlocks: 0
; NumSGPRsForWavesPerEU: 4
; NumVGPRsForWavesPerEU: 1
; AccumOffset: 4
; Occupancy: 8
; WaveLimiterHint : 0
; COMPUTE_PGM_RSRC2:SCRATCH_EN: 0
; COMPUTE_PGM_RSRC2:USER_SGPR: 6
; COMPUTE_PGM_RSRC2:TRAP_HANDLER: 0
; COMPUTE_PGM_RSRC2:TGID_X_EN: 1
; COMPUTE_PGM_RSRC2:TGID_Y_EN: 0
; COMPUTE_PGM_RSRC2:TGID_Z_EN: 0
; COMPUTE_PGM_RSRC2:TIDIG_COMP_CNT: 0
; COMPUTE_PGM_RSRC3_GFX90A:ACCUM_OFFSET: 0
; COMPUTE_PGM_RSRC3_GFX90A:TG_SPLIT: 0
	.section	.text._ZN7rocprim17ROCPRIM_400000_NS6detail17trampoline_kernelINS0_14default_configENS1_38merge_sort_block_merge_config_selectorIxNS0_10empty_typeEEEZZNS1_27merge_sort_block_merge_implIS3_N6thrust23THRUST_200600_302600_NS6detail15normal_iteratorINS9_10device_ptrIxEEEEPS5_jNS1_19radix_merge_compareILb0ELb1ExNS0_19identity_decomposerEEEEE10hipError_tT0_T1_T2_jT3_P12ihipStream_tbPNSt15iterator_traitsISK_E10value_typeEPNSQ_ISL_E10value_typeEPSM_NS1_7vsmem_tEENKUlT_SK_SL_SM_E_clISE_PxSF_SF_EESJ_SZ_SK_SL_SM_EUlSZ_E0_NS1_11comp_targetILNS1_3genE10ELNS1_11target_archE1201ELNS1_3gpuE5ELNS1_3repE0EEENS1_38merge_mergepath_config_static_selectorELNS0_4arch9wavefront6targetE1EEEvSL_,"axG",@progbits,_ZN7rocprim17ROCPRIM_400000_NS6detail17trampoline_kernelINS0_14default_configENS1_38merge_sort_block_merge_config_selectorIxNS0_10empty_typeEEEZZNS1_27merge_sort_block_merge_implIS3_N6thrust23THRUST_200600_302600_NS6detail15normal_iteratorINS9_10device_ptrIxEEEEPS5_jNS1_19radix_merge_compareILb0ELb1ExNS0_19identity_decomposerEEEEE10hipError_tT0_T1_T2_jT3_P12ihipStream_tbPNSt15iterator_traitsISK_E10value_typeEPNSQ_ISL_E10value_typeEPSM_NS1_7vsmem_tEENKUlT_SK_SL_SM_E_clISE_PxSF_SF_EESJ_SZ_SK_SL_SM_EUlSZ_E0_NS1_11comp_targetILNS1_3genE10ELNS1_11target_archE1201ELNS1_3gpuE5ELNS1_3repE0EEENS1_38merge_mergepath_config_static_selectorELNS0_4arch9wavefront6targetE1EEEvSL_,comdat
	.protected	_ZN7rocprim17ROCPRIM_400000_NS6detail17trampoline_kernelINS0_14default_configENS1_38merge_sort_block_merge_config_selectorIxNS0_10empty_typeEEEZZNS1_27merge_sort_block_merge_implIS3_N6thrust23THRUST_200600_302600_NS6detail15normal_iteratorINS9_10device_ptrIxEEEEPS5_jNS1_19radix_merge_compareILb0ELb1ExNS0_19identity_decomposerEEEEE10hipError_tT0_T1_T2_jT3_P12ihipStream_tbPNSt15iterator_traitsISK_E10value_typeEPNSQ_ISL_E10value_typeEPSM_NS1_7vsmem_tEENKUlT_SK_SL_SM_E_clISE_PxSF_SF_EESJ_SZ_SK_SL_SM_EUlSZ_E0_NS1_11comp_targetILNS1_3genE10ELNS1_11target_archE1201ELNS1_3gpuE5ELNS1_3repE0EEENS1_38merge_mergepath_config_static_selectorELNS0_4arch9wavefront6targetE1EEEvSL_ ; -- Begin function _ZN7rocprim17ROCPRIM_400000_NS6detail17trampoline_kernelINS0_14default_configENS1_38merge_sort_block_merge_config_selectorIxNS0_10empty_typeEEEZZNS1_27merge_sort_block_merge_implIS3_N6thrust23THRUST_200600_302600_NS6detail15normal_iteratorINS9_10device_ptrIxEEEEPS5_jNS1_19radix_merge_compareILb0ELb1ExNS0_19identity_decomposerEEEEE10hipError_tT0_T1_T2_jT3_P12ihipStream_tbPNSt15iterator_traitsISK_E10value_typeEPNSQ_ISL_E10value_typeEPSM_NS1_7vsmem_tEENKUlT_SK_SL_SM_E_clISE_PxSF_SF_EESJ_SZ_SK_SL_SM_EUlSZ_E0_NS1_11comp_targetILNS1_3genE10ELNS1_11target_archE1201ELNS1_3gpuE5ELNS1_3repE0EEENS1_38merge_mergepath_config_static_selectorELNS0_4arch9wavefront6targetE1EEEvSL_
	.globl	_ZN7rocprim17ROCPRIM_400000_NS6detail17trampoline_kernelINS0_14default_configENS1_38merge_sort_block_merge_config_selectorIxNS0_10empty_typeEEEZZNS1_27merge_sort_block_merge_implIS3_N6thrust23THRUST_200600_302600_NS6detail15normal_iteratorINS9_10device_ptrIxEEEEPS5_jNS1_19radix_merge_compareILb0ELb1ExNS0_19identity_decomposerEEEEE10hipError_tT0_T1_T2_jT3_P12ihipStream_tbPNSt15iterator_traitsISK_E10value_typeEPNSQ_ISL_E10value_typeEPSM_NS1_7vsmem_tEENKUlT_SK_SL_SM_E_clISE_PxSF_SF_EESJ_SZ_SK_SL_SM_EUlSZ_E0_NS1_11comp_targetILNS1_3genE10ELNS1_11target_archE1201ELNS1_3gpuE5ELNS1_3repE0EEENS1_38merge_mergepath_config_static_selectorELNS0_4arch9wavefront6targetE1EEEvSL_
	.p2align	8
	.type	_ZN7rocprim17ROCPRIM_400000_NS6detail17trampoline_kernelINS0_14default_configENS1_38merge_sort_block_merge_config_selectorIxNS0_10empty_typeEEEZZNS1_27merge_sort_block_merge_implIS3_N6thrust23THRUST_200600_302600_NS6detail15normal_iteratorINS9_10device_ptrIxEEEEPS5_jNS1_19radix_merge_compareILb0ELb1ExNS0_19identity_decomposerEEEEE10hipError_tT0_T1_T2_jT3_P12ihipStream_tbPNSt15iterator_traitsISK_E10value_typeEPNSQ_ISL_E10value_typeEPSM_NS1_7vsmem_tEENKUlT_SK_SL_SM_E_clISE_PxSF_SF_EESJ_SZ_SK_SL_SM_EUlSZ_E0_NS1_11comp_targetILNS1_3genE10ELNS1_11target_archE1201ELNS1_3gpuE5ELNS1_3repE0EEENS1_38merge_mergepath_config_static_selectorELNS0_4arch9wavefront6targetE1EEEvSL_,@function
_ZN7rocprim17ROCPRIM_400000_NS6detail17trampoline_kernelINS0_14default_configENS1_38merge_sort_block_merge_config_selectorIxNS0_10empty_typeEEEZZNS1_27merge_sort_block_merge_implIS3_N6thrust23THRUST_200600_302600_NS6detail15normal_iteratorINS9_10device_ptrIxEEEEPS5_jNS1_19radix_merge_compareILb0ELb1ExNS0_19identity_decomposerEEEEE10hipError_tT0_T1_T2_jT3_P12ihipStream_tbPNSt15iterator_traitsISK_E10value_typeEPNSQ_ISL_E10value_typeEPSM_NS1_7vsmem_tEENKUlT_SK_SL_SM_E_clISE_PxSF_SF_EESJ_SZ_SK_SL_SM_EUlSZ_E0_NS1_11comp_targetILNS1_3genE10ELNS1_11target_archE1201ELNS1_3gpuE5ELNS1_3repE0EEENS1_38merge_mergepath_config_static_selectorELNS0_4arch9wavefront6targetE1EEEvSL_: ; @_ZN7rocprim17ROCPRIM_400000_NS6detail17trampoline_kernelINS0_14default_configENS1_38merge_sort_block_merge_config_selectorIxNS0_10empty_typeEEEZZNS1_27merge_sort_block_merge_implIS3_N6thrust23THRUST_200600_302600_NS6detail15normal_iteratorINS9_10device_ptrIxEEEEPS5_jNS1_19radix_merge_compareILb0ELb1ExNS0_19identity_decomposerEEEEE10hipError_tT0_T1_T2_jT3_P12ihipStream_tbPNSt15iterator_traitsISK_E10value_typeEPNSQ_ISL_E10value_typeEPSM_NS1_7vsmem_tEENKUlT_SK_SL_SM_E_clISE_PxSF_SF_EESJ_SZ_SK_SL_SM_EUlSZ_E0_NS1_11comp_targetILNS1_3genE10ELNS1_11target_archE1201ELNS1_3gpuE5ELNS1_3repE0EEENS1_38merge_mergepath_config_static_selectorELNS0_4arch9wavefront6targetE1EEEvSL_
; %bb.0:
	.section	.rodata,"a",@progbits
	.p2align	6, 0x0
	.amdhsa_kernel _ZN7rocprim17ROCPRIM_400000_NS6detail17trampoline_kernelINS0_14default_configENS1_38merge_sort_block_merge_config_selectorIxNS0_10empty_typeEEEZZNS1_27merge_sort_block_merge_implIS3_N6thrust23THRUST_200600_302600_NS6detail15normal_iteratorINS9_10device_ptrIxEEEEPS5_jNS1_19radix_merge_compareILb0ELb1ExNS0_19identity_decomposerEEEEE10hipError_tT0_T1_T2_jT3_P12ihipStream_tbPNSt15iterator_traitsISK_E10value_typeEPNSQ_ISL_E10value_typeEPSM_NS1_7vsmem_tEENKUlT_SK_SL_SM_E_clISE_PxSF_SF_EESJ_SZ_SK_SL_SM_EUlSZ_E0_NS1_11comp_targetILNS1_3genE10ELNS1_11target_archE1201ELNS1_3gpuE5ELNS1_3repE0EEENS1_38merge_mergepath_config_static_selectorELNS0_4arch9wavefront6targetE1EEEvSL_
		.amdhsa_group_segment_fixed_size 0
		.amdhsa_private_segment_fixed_size 0
		.amdhsa_kernarg_size 72
		.amdhsa_user_sgpr_count 6
		.amdhsa_user_sgpr_private_segment_buffer 1
		.amdhsa_user_sgpr_dispatch_ptr 0
		.amdhsa_user_sgpr_queue_ptr 0
		.amdhsa_user_sgpr_kernarg_segment_ptr 1
		.amdhsa_user_sgpr_dispatch_id 0
		.amdhsa_user_sgpr_flat_scratch_init 0
		.amdhsa_user_sgpr_kernarg_preload_length 0
		.amdhsa_user_sgpr_kernarg_preload_offset 0
		.amdhsa_user_sgpr_private_segment_size 0
		.amdhsa_uses_dynamic_stack 0
		.amdhsa_system_sgpr_private_segment_wavefront_offset 0
		.amdhsa_system_sgpr_workgroup_id_x 1
		.amdhsa_system_sgpr_workgroup_id_y 0
		.amdhsa_system_sgpr_workgroup_id_z 0
		.amdhsa_system_sgpr_workgroup_info 0
		.amdhsa_system_vgpr_workitem_id 0
		.amdhsa_next_free_vgpr 1
		.amdhsa_next_free_sgpr 0
		.amdhsa_accum_offset 4
		.amdhsa_reserve_vcc 0
		.amdhsa_reserve_flat_scratch 0
		.amdhsa_float_round_mode_32 0
		.amdhsa_float_round_mode_16_64 0
		.amdhsa_float_denorm_mode_32 3
		.amdhsa_float_denorm_mode_16_64 3
		.amdhsa_dx10_clamp 1
		.amdhsa_ieee_mode 1
		.amdhsa_fp16_overflow 0
		.amdhsa_tg_split 0
		.amdhsa_exception_fp_ieee_invalid_op 0
		.amdhsa_exception_fp_denorm_src 0
		.amdhsa_exception_fp_ieee_div_zero 0
		.amdhsa_exception_fp_ieee_overflow 0
		.amdhsa_exception_fp_ieee_underflow 0
		.amdhsa_exception_fp_ieee_inexact 0
		.amdhsa_exception_int_div_zero 0
	.end_amdhsa_kernel
	.section	.text._ZN7rocprim17ROCPRIM_400000_NS6detail17trampoline_kernelINS0_14default_configENS1_38merge_sort_block_merge_config_selectorIxNS0_10empty_typeEEEZZNS1_27merge_sort_block_merge_implIS3_N6thrust23THRUST_200600_302600_NS6detail15normal_iteratorINS9_10device_ptrIxEEEEPS5_jNS1_19radix_merge_compareILb0ELb1ExNS0_19identity_decomposerEEEEE10hipError_tT0_T1_T2_jT3_P12ihipStream_tbPNSt15iterator_traitsISK_E10value_typeEPNSQ_ISL_E10value_typeEPSM_NS1_7vsmem_tEENKUlT_SK_SL_SM_E_clISE_PxSF_SF_EESJ_SZ_SK_SL_SM_EUlSZ_E0_NS1_11comp_targetILNS1_3genE10ELNS1_11target_archE1201ELNS1_3gpuE5ELNS1_3repE0EEENS1_38merge_mergepath_config_static_selectorELNS0_4arch9wavefront6targetE1EEEvSL_,"axG",@progbits,_ZN7rocprim17ROCPRIM_400000_NS6detail17trampoline_kernelINS0_14default_configENS1_38merge_sort_block_merge_config_selectorIxNS0_10empty_typeEEEZZNS1_27merge_sort_block_merge_implIS3_N6thrust23THRUST_200600_302600_NS6detail15normal_iteratorINS9_10device_ptrIxEEEEPS5_jNS1_19radix_merge_compareILb0ELb1ExNS0_19identity_decomposerEEEEE10hipError_tT0_T1_T2_jT3_P12ihipStream_tbPNSt15iterator_traitsISK_E10value_typeEPNSQ_ISL_E10value_typeEPSM_NS1_7vsmem_tEENKUlT_SK_SL_SM_E_clISE_PxSF_SF_EESJ_SZ_SK_SL_SM_EUlSZ_E0_NS1_11comp_targetILNS1_3genE10ELNS1_11target_archE1201ELNS1_3gpuE5ELNS1_3repE0EEENS1_38merge_mergepath_config_static_selectorELNS0_4arch9wavefront6targetE1EEEvSL_,comdat
.Lfunc_end1500:
	.size	_ZN7rocprim17ROCPRIM_400000_NS6detail17trampoline_kernelINS0_14default_configENS1_38merge_sort_block_merge_config_selectorIxNS0_10empty_typeEEEZZNS1_27merge_sort_block_merge_implIS3_N6thrust23THRUST_200600_302600_NS6detail15normal_iteratorINS9_10device_ptrIxEEEEPS5_jNS1_19radix_merge_compareILb0ELb1ExNS0_19identity_decomposerEEEEE10hipError_tT0_T1_T2_jT3_P12ihipStream_tbPNSt15iterator_traitsISK_E10value_typeEPNSQ_ISL_E10value_typeEPSM_NS1_7vsmem_tEENKUlT_SK_SL_SM_E_clISE_PxSF_SF_EESJ_SZ_SK_SL_SM_EUlSZ_E0_NS1_11comp_targetILNS1_3genE10ELNS1_11target_archE1201ELNS1_3gpuE5ELNS1_3repE0EEENS1_38merge_mergepath_config_static_selectorELNS0_4arch9wavefront6targetE1EEEvSL_, .Lfunc_end1500-_ZN7rocprim17ROCPRIM_400000_NS6detail17trampoline_kernelINS0_14default_configENS1_38merge_sort_block_merge_config_selectorIxNS0_10empty_typeEEEZZNS1_27merge_sort_block_merge_implIS3_N6thrust23THRUST_200600_302600_NS6detail15normal_iteratorINS9_10device_ptrIxEEEEPS5_jNS1_19radix_merge_compareILb0ELb1ExNS0_19identity_decomposerEEEEE10hipError_tT0_T1_T2_jT3_P12ihipStream_tbPNSt15iterator_traitsISK_E10value_typeEPNSQ_ISL_E10value_typeEPSM_NS1_7vsmem_tEENKUlT_SK_SL_SM_E_clISE_PxSF_SF_EESJ_SZ_SK_SL_SM_EUlSZ_E0_NS1_11comp_targetILNS1_3genE10ELNS1_11target_archE1201ELNS1_3gpuE5ELNS1_3repE0EEENS1_38merge_mergepath_config_static_selectorELNS0_4arch9wavefront6targetE1EEEvSL_
                                        ; -- End function
	.section	.AMDGPU.csdata,"",@progbits
; Kernel info:
; codeLenInByte = 0
; NumSgprs: 4
; NumVgprs: 0
; NumAgprs: 0
; TotalNumVgprs: 0
; ScratchSize: 0
; MemoryBound: 0
; FloatMode: 240
; IeeeMode: 1
; LDSByteSize: 0 bytes/workgroup (compile time only)
; SGPRBlocks: 0
; VGPRBlocks: 0
; NumSGPRsForWavesPerEU: 4
; NumVGPRsForWavesPerEU: 1
; AccumOffset: 4
; Occupancy: 8
; WaveLimiterHint : 0
; COMPUTE_PGM_RSRC2:SCRATCH_EN: 0
; COMPUTE_PGM_RSRC2:USER_SGPR: 6
; COMPUTE_PGM_RSRC2:TRAP_HANDLER: 0
; COMPUTE_PGM_RSRC2:TGID_X_EN: 1
; COMPUTE_PGM_RSRC2:TGID_Y_EN: 0
; COMPUTE_PGM_RSRC2:TGID_Z_EN: 0
; COMPUTE_PGM_RSRC2:TIDIG_COMP_CNT: 0
; COMPUTE_PGM_RSRC3_GFX90A:ACCUM_OFFSET: 0
; COMPUTE_PGM_RSRC3_GFX90A:TG_SPLIT: 0
	.section	.text._ZN7rocprim17ROCPRIM_400000_NS6detail17trampoline_kernelINS0_14default_configENS1_38merge_sort_block_merge_config_selectorIxNS0_10empty_typeEEEZZNS1_27merge_sort_block_merge_implIS3_N6thrust23THRUST_200600_302600_NS6detail15normal_iteratorINS9_10device_ptrIxEEEEPS5_jNS1_19radix_merge_compareILb0ELb1ExNS0_19identity_decomposerEEEEE10hipError_tT0_T1_T2_jT3_P12ihipStream_tbPNSt15iterator_traitsISK_E10value_typeEPNSQ_ISL_E10value_typeEPSM_NS1_7vsmem_tEENKUlT_SK_SL_SM_E_clISE_PxSF_SF_EESJ_SZ_SK_SL_SM_EUlSZ_E0_NS1_11comp_targetILNS1_3genE5ELNS1_11target_archE942ELNS1_3gpuE9ELNS1_3repE0EEENS1_38merge_mergepath_config_static_selectorELNS0_4arch9wavefront6targetE1EEEvSL_,"axG",@progbits,_ZN7rocprim17ROCPRIM_400000_NS6detail17trampoline_kernelINS0_14default_configENS1_38merge_sort_block_merge_config_selectorIxNS0_10empty_typeEEEZZNS1_27merge_sort_block_merge_implIS3_N6thrust23THRUST_200600_302600_NS6detail15normal_iteratorINS9_10device_ptrIxEEEEPS5_jNS1_19radix_merge_compareILb0ELb1ExNS0_19identity_decomposerEEEEE10hipError_tT0_T1_T2_jT3_P12ihipStream_tbPNSt15iterator_traitsISK_E10value_typeEPNSQ_ISL_E10value_typeEPSM_NS1_7vsmem_tEENKUlT_SK_SL_SM_E_clISE_PxSF_SF_EESJ_SZ_SK_SL_SM_EUlSZ_E0_NS1_11comp_targetILNS1_3genE5ELNS1_11target_archE942ELNS1_3gpuE9ELNS1_3repE0EEENS1_38merge_mergepath_config_static_selectorELNS0_4arch9wavefront6targetE1EEEvSL_,comdat
	.protected	_ZN7rocprim17ROCPRIM_400000_NS6detail17trampoline_kernelINS0_14default_configENS1_38merge_sort_block_merge_config_selectorIxNS0_10empty_typeEEEZZNS1_27merge_sort_block_merge_implIS3_N6thrust23THRUST_200600_302600_NS6detail15normal_iteratorINS9_10device_ptrIxEEEEPS5_jNS1_19radix_merge_compareILb0ELb1ExNS0_19identity_decomposerEEEEE10hipError_tT0_T1_T2_jT3_P12ihipStream_tbPNSt15iterator_traitsISK_E10value_typeEPNSQ_ISL_E10value_typeEPSM_NS1_7vsmem_tEENKUlT_SK_SL_SM_E_clISE_PxSF_SF_EESJ_SZ_SK_SL_SM_EUlSZ_E0_NS1_11comp_targetILNS1_3genE5ELNS1_11target_archE942ELNS1_3gpuE9ELNS1_3repE0EEENS1_38merge_mergepath_config_static_selectorELNS0_4arch9wavefront6targetE1EEEvSL_ ; -- Begin function _ZN7rocprim17ROCPRIM_400000_NS6detail17trampoline_kernelINS0_14default_configENS1_38merge_sort_block_merge_config_selectorIxNS0_10empty_typeEEEZZNS1_27merge_sort_block_merge_implIS3_N6thrust23THRUST_200600_302600_NS6detail15normal_iteratorINS9_10device_ptrIxEEEEPS5_jNS1_19radix_merge_compareILb0ELb1ExNS0_19identity_decomposerEEEEE10hipError_tT0_T1_T2_jT3_P12ihipStream_tbPNSt15iterator_traitsISK_E10value_typeEPNSQ_ISL_E10value_typeEPSM_NS1_7vsmem_tEENKUlT_SK_SL_SM_E_clISE_PxSF_SF_EESJ_SZ_SK_SL_SM_EUlSZ_E0_NS1_11comp_targetILNS1_3genE5ELNS1_11target_archE942ELNS1_3gpuE9ELNS1_3repE0EEENS1_38merge_mergepath_config_static_selectorELNS0_4arch9wavefront6targetE1EEEvSL_
	.globl	_ZN7rocprim17ROCPRIM_400000_NS6detail17trampoline_kernelINS0_14default_configENS1_38merge_sort_block_merge_config_selectorIxNS0_10empty_typeEEEZZNS1_27merge_sort_block_merge_implIS3_N6thrust23THRUST_200600_302600_NS6detail15normal_iteratorINS9_10device_ptrIxEEEEPS5_jNS1_19radix_merge_compareILb0ELb1ExNS0_19identity_decomposerEEEEE10hipError_tT0_T1_T2_jT3_P12ihipStream_tbPNSt15iterator_traitsISK_E10value_typeEPNSQ_ISL_E10value_typeEPSM_NS1_7vsmem_tEENKUlT_SK_SL_SM_E_clISE_PxSF_SF_EESJ_SZ_SK_SL_SM_EUlSZ_E0_NS1_11comp_targetILNS1_3genE5ELNS1_11target_archE942ELNS1_3gpuE9ELNS1_3repE0EEENS1_38merge_mergepath_config_static_selectorELNS0_4arch9wavefront6targetE1EEEvSL_
	.p2align	8
	.type	_ZN7rocprim17ROCPRIM_400000_NS6detail17trampoline_kernelINS0_14default_configENS1_38merge_sort_block_merge_config_selectorIxNS0_10empty_typeEEEZZNS1_27merge_sort_block_merge_implIS3_N6thrust23THRUST_200600_302600_NS6detail15normal_iteratorINS9_10device_ptrIxEEEEPS5_jNS1_19radix_merge_compareILb0ELb1ExNS0_19identity_decomposerEEEEE10hipError_tT0_T1_T2_jT3_P12ihipStream_tbPNSt15iterator_traitsISK_E10value_typeEPNSQ_ISL_E10value_typeEPSM_NS1_7vsmem_tEENKUlT_SK_SL_SM_E_clISE_PxSF_SF_EESJ_SZ_SK_SL_SM_EUlSZ_E0_NS1_11comp_targetILNS1_3genE5ELNS1_11target_archE942ELNS1_3gpuE9ELNS1_3repE0EEENS1_38merge_mergepath_config_static_selectorELNS0_4arch9wavefront6targetE1EEEvSL_,@function
_ZN7rocprim17ROCPRIM_400000_NS6detail17trampoline_kernelINS0_14default_configENS1_38merge_sort_block_merge_config_selectorIxNS0_10empty_typeEEEZZNS1_27merge_sort_block_merge_implIS3_N6thrust23THRUST_200600_302600_NS6detail15normal_iteratorINS9_10device_ptrIxEEEEPS5_jNS1_19radix_merge_compareILb0ELb1ExNS0_19identity_decomposerEEEEE10hipError_tT0_T1_T2_jT3_P12ihipStream_tbPNSt15iterator_traitsISK_E10value_typeEPNSQ_ISL_E10value_typeEPSM_NS1_7vsmem_tEENKUlT_SK_SL_SM_E_clISE_PxSF_SF_EESJ_SZ_SK_SL_SM_EUlSZ_E0_NS1_11comp_targetILNS1_3genE5ELNS1_11target_archE942ELNS1_3gpuE9ELNS1_3repE0EEENS1_38merge_mergepath_config_static_selectorELNS0_4arch9wavefront6targetE1EEEvSL_: ; @_ZN7rocprim17ROCPRIM_400000_NS6detail17trampoline_kernelINS0_14default_configENS1_38merge_sort_block_merge_config_selectorIxNS0_10empty_typeEEEZZNS1_27merge_sort_block_merge_implIS3_N6thrust23THRUST_200600_302600_NS6detail15normal_iteratorINS9_10device_ptrIxEEEEPS5_jNS1_19radix_merge_compareILb0ELb1ExNS0_19identity_decomposerEEEEE10hipError_tT0_T1_T2_jT3_P12ihipStream_tbPNSt15iterator_traitsISK_E10value_typeEPNSQ_ISL_E10value_typeEPSM_NS1_7vsmem_tEENKUlT_SK_SL_SM_E_clISE_PxSF_SF_EESJ_SZ_SK_SL_SM_EUlSZ_E0_NS1_11comp_targetILNS1_3genE5ELNS1_11target_archE942ELNS1_3gpuE9ELNS1_3repE0EEENS1_38merge_mergepath_config_static_selectorELNS0_4arch9wavefront6targetE1EEEvSL_
; %bb.0:
	.section	.rodata,"a",@progbits
	.p2align	6, 0x0
	.amdhsa_kernel _ZN7rocprim17ROCPRIM_400000_NS6detail17trampoline_kernelINS0_14default_configENS1_38merge_sort_block_merge_config_selectorIxNS0_10empty_typeEEEZZNS1_27merge_sort_block_merge_implIS3_N6thrust23THRUST_200600_302600_NS6detail15normal_iteratorINS9_10device_ptrIxEEEEPS5_jNS1_19radix_merge_compareILb0ELb1ExNS0_19identity_decomposerEEEEE10hipError_tT0_T1_T2_jT3_P12ihipStream_tbPNSt15iterator_traitsISK_E10value_typeEPNSQ_ISL_E10value_typeEPSM_NS1_7vsmem_tEENKUlT_SK_SL_SM_E_clISE_PxSF_SF_EESJ_SZ_SK_SL_SM_EUlSZ_E0_NS1_11comp_targetILNS1_3genE5ELNS1_11target_archE942ELNS1_3gpuE9ELNS1_3repE0EEENS1_38merge_mergepath_config_static_selectorELNS0_4arch9wavefront6targetE1EEEvSL_
		.amdhsa_group_segment_fixed_size 0
		.amdhsa_private_segment_fixed_size 0
		.amdhsa_kernarg_size 72
		.amdhsa_user_sgpr_count 6
		.amdhsa_user_sgpr_private_segment_buffer 1
		.amdhsa_user_sgpr_dispatch_ptr 0
		.amdhsa_user_sgpr_queue_ptr 0
		.amdhsa_user_sgpr_kernarg_segment_ptr 1
		.amdhsa_user_sgpr_dispatch_id 0
		.amdhsa_user_sgpr_flat_scratch_init 0
		.amdhsa_user_sgpr_kernarg_preload_length 0
		.amdhsa_user_sgpr_kernarg_preload_offset 0
		.amdhsa_user_sgpr_private_segment_size 0
		.amdhsa_uses_dynamic_stack 0
		.amdhsa_system_sgpr_private_segment_wavefront_offset 0
		.amdhsa_system_sgpr_workgroup_id_x 1
		.amdhsa_system_sgpr_workgroup_id_y 0
		.amdhsa_system_sgpr_workgroup_id_z 0
		.amdhsa_system_sgpr_workgroup_info 0
		.amdhsa_system_vgpr_workitem_id 0
		.amdhsa_next_free_vgpr 1
		.amdhsa_next_free_sgpr 0
		.amdhsa_accum_offset 4
		.amdhsa_reserve_vcc 0
		.amdhsa_reserve_flat_scratch 0
		.amdhsa_float_round_mode_32 0
		.amdhsa_float_round_mode_16_64 0
		.amdhsa_float_denorm_mode_32 3
		.amdhsa_float_denorm_mode_16_64 3
		.amdhsa_dx10_clamp 1
		.amdhsa_ieee_mode 1
		.amdhsa_fp16_overflow 0
		.amdhsa_tg_split 0
		.amdhsa_exception_fp_ieee_invalid_op 0
		.amdhsa_exception_fp_denorm_src 0
		.amdhsa_exception_fp_ieee_div_zero 0
		.amdhsa_exception_fp_ieee_overflow 0
		.amdhsa_exception_fp_ieee_underflow 0
		.amdhsa_exception_fp_ieee_inexact 0
		.amdhsa_exception_int_div_zero 0
	.end_amdhsa_kernel
	.section	.text._ZN7rocprim17ROCPRIM_400000_NS6detail17trampoline_kernelINS0_14default_configENS1_38merge_sort_block_merge_config_selectorIxNS0_10empty_typeEEEZZNS1_27merge_sort_block_merge_implIS3_N6thrust23THRUST_200600_302600_NS6detail15normal_iteratorINS9_10device_ptrIxEEEEPS5_jNS1_19radix_merge_compareILb0ELb1ExNS0_19identity_decomposerEEEEE10hipError_tT0_T1_T2_jT3_P12ihipStream_tbPNSt15iterator_traitsISK_E10value_typeEPNSQ_ISL_E10value_typeEPSM_NS1_7vsmem_tEENKUlT_SK_SL_SM_E_clISE_PxSF_SF_EESJ_SZ_SK_SL_SM_EUlSZ_E0_NS1_11comp_targetILNS1_3genE5ELNS1_11target_archE942ELNS1_3gpuE9ELNS1_3repE0EEENS1_38merge_mergepath_config_static_selectorELNS0_4arch9wavefront6targetE1EEEvSL_,"axG",@progbits,_ZN7rocprim17ROCPRIM_400000_NS6detail17trampoline_kernelINS0_14default_configENS1_38merge_sort_block_merge_config_selectorIxNS0_10empty_typeEEEZZNS1_27merge_sort_block_merge_implIS3_N6thrust23THRUST_200600_302600_NS6detail15normal_iteratorINS9_10device_ptrIxEEEEPS5_jNS1_19radix_merge_compareILb0ELb1ExNS0_19identity_decomposerEEEEE10hipError_tT0_T1_T2_jT3_P12ihipStream_tbPNSt15iterator_traitsISK_E10value_typeEPNSQ_ISL_E10value_typeEPSM_NS1_7vsmem_tEENKUlT_SK_SL_SM_E_clISE_PxSF_SF_EESJ_SZ_SK_SL_SM_EUlSZ_E0_NS1_11comp_targetILNS1_3genE5ELNS1_11target_archE942ELNS1_3gpuE9ELNS1_3repE0EEENS1_38merge_mergepath_config_static_selectorELNS0_4arch9wavefront6targetE1EEEvSL_,comdat
.Lfunc_end1501:
	.size	_ZN7rocprim17ROCPRIM_400000_NS6detail17trampoline_kernelINS0_14default_configENS1_38merge_sort_block_merge_config_selectorIxNS0_10empty_typeEEEZZNS1_27merge_sort_block_merge_implIS3_N6thrust23THRUST_200600_302600_NS6detail15normal_iteratorINS9_10device_ptrIxEEEEPS5_jNS1_19radix_merge_compareILb0ELb1ExNS0_19identity_decomposerEEEEE10hipError_tT0_T1_T2_jT3_P12ihipStream_tbPNSt15iterator_traitsISK_E10value_typeEPNSQ_ISL_E10value_typeEPSM_NS1_7vsmem_tEENKUlT_SK_SL_SM_E_clISE_PxSF_SF_EESJ_SZ_SK_SL_SM_EUlSZ_E0_NS1_11comp_targetILNS1_3genE5ELNS1_11target_archE942ELNS1_3gpuE9ELNS1_3repE0EEENS1_38merge_mergepath_config_static_selectorELNS0_4arch9wavefront6targetE1EEEvSL_, .Lfunc_end1501-_ZN7rocprim17ROCPRIM_400000_NS6detail17trampoline_kernelINS0_14default_configENS1_38merge_sort_block_merge_config_selectorIxNS0_10empty_typeEEEZZNS1_27merge_sort_block_merge_implIS3_N6thrust23THRUST_200600_302600_NS6detail15normal_iteratorINS9_10device_ptrIxEEEEPS5_jNS1_19radix_merge_compareILb0ELb1ExNS0_19identity_decomposerEEEEE10hipError_tT0_T1_T2_jT3_P12ihipStream_tbPNSt15iterator_traitsISK_E10value_typeEPNSQ_ISL_E10value_typeEPSM_NS1_7vsmem_tEENKUlT_SK_SL_SM_E_clISE_PxSF_SF_EESJ_SZ_SK_SL_SM_EUlSZ_E0_NS1_11comp_targetILNS1_3genE5ELNS1_11target_archE942ELNS1_3gpuE9ELNS1_3repE0EEENS1_38merge_mergepath_config_static_selectorELNS0_4arch9wavefront6targetE1EEEvSL_
                                        ; -- End function
	.section	.AMDGPU.csdata,"",@progbits
; Kernel info:
; codeLenInByte = 0
; NumSgprs: 4
; NumVgprs: 0
; NumAgprs: 0
; TotalNumVgprs: 0
; ScratchSize: 0
; MemoryBound: 0
; FloatMode: 240
; IeeeMode: 1
; LDSByteSize: 0 bytes/workgroup (compile time only)
; SGPRBlocks: 0
; VGPRBlocks: 0
; NumSGPRsForWavesPerEU: 4
; NumVGPRsForWavesPerEU: 1
; AccumOffset: 4
; Occupancy: 8
; WaveLimiterHint : 0
; COMPUTE_PGM_RSRC2:SCRATCH_EN: 0
; COMPUTE_PGM_RSRC2:USER_SGPR: 6
; COMPUTE_PGM_RSRC2:TRAP_HANDLER: 0
; COMPUTE_PGM_RSRC2:TGID_X_EN: 1
; COMPUTE_PGM_RSRC2:TGID_Y_EN: 0
; COMPUTE_PGM_RSRC2:TGID_Z_EN: 0
; COMPUTE_PGM_RSRC2:TIDIG_COMP_CNT: 0
; COMPUTE_PGM_RSRC3_GFX90A:ACCUM_OFFSET: 0
; COMPUTE_PGM_RSRC3_GFX90A:TG_SPLIT: 0
	.section	.text._ZN7rocprim17ROCPRIM_400000_NS6detail17trampoline_kernelINS0_14default_configENS1_38merge_sort_block_merge_config_selectorIxNS0_10empty_typeEEEZZNS1_27merge_sort_block_merge_implIS3_N6thrust23THRUST_200600_302600_NS6detail15normal_iteratorINS9_10device_ptrIxEEEEPS5_jNS1_19radix_merge_compareILb0ELb1ExNS0_19identity_decomposerEEEEE10hipError_tT0_T1_T2_jT3_P12ihipStream_tbPNSt15iterator_traitsISK_E10value_typeEPNSQ_ISL_E10value_typeEPSM_NS1_7vsmem_tEENKUlT_SK_SL_SM_E_clISE_PxSF_SF_EESJ_SZ_SK_SL_SM_EUlSZ_E0_NS1_11comp_targetILNS1_3genE4ELNS1_11target_archE910ELNS1_3gpuE8ELNS1_3repE0EEENS1_38merge_mergepath_config_static_selectorELNS0_4arch9wavefront6targetE1EEEvSL_,"axG",@progbits,_ZN7rocprim17ROCPRIM_400000_NS6detail17trampoline_kernelINS0_14default_configENS1_38merge_sort_block_merge_config_selectorIxNS0_10empty_typeEEEZZNS1_27merge_sort_block_merge_implIS3_N6thrust23THRUST_200600_302600_NS6detail15normal_iteratorINS9_10device_ptrIxEEEEPS5_jNS1_19radix_merge_compareILb0ELb1ExNS0_19identity_decomposerEEEEE10hipError_tT0_T1_T2_jT3_P12ihipStream_tbPNSt15iterator_traitsISK_E10value_typeEPNSQ_ISL_E10value_typeEPSM_NS1_7vsmem_tEENKUlT_SK_SL_SM_E_clISE_PxSF_SF_EESJ_SZ_SK_SL_SM_EUlSZ_E0_NS1_11comp_targetILNS1_3genE4ELNS1_11target_archE910ELNS1_3gpuE8ELNS1_3repE0EEENS1_38merge_mergepath_config_static_selectorELNS0_4arch9wavefront6targetE1EEEvSL_,comdat
	.protected	_ZN7rocprim17ROCPRIM_400000_NS6detail17trampoline_kernelINS0_14default_configENS1_38merge_sort_block_merge_config_selectorIxNS0_10empty_typeEEEZZNS1_27merge_sort_block_merge_implIS3_N6thrust23THRUST_200600_302600_NS6detail15normal_iteratorINS9_10device_ptrIxEEEEPS5_jNS1_19radix_merge_compareILb0ELb1ExNS0_19identity_decomposerEEEEE10hipError_tT0_T1_T2_jT3_P12ihipStream_tbPNSt15iterator_traitsISK_E10value_typeEPNSQ_ISL_E10value_typeEPSM_NS1_7vsmem_tEENKUlT_SK_SL_SM_E_clISE_PxSF_SF_EESJ_SZ_SK_SL_SM_EUlSZ_E0_NS1_11comp_targetILNS1_3genE4ELNS1_11target_archE910ELNS1_3gpuE8ELNS1_3repE0EEENS1_38merge_mergepath_config_static_selectorELNS0_4arch9wavefront6targetE1EEEvSL_ ; -- Begin function _ZN7rocprim17ROCPRIM_400000_NS6detail17trampoline_kernelINS0_14default_configENS1_38merge_sort_block_merge_config_selectorIxNS0_10empty_typeEEEZZNS1_27merge_sort_block_merge_implIS3_N6thrust23THRUST_200600_302600_NS6detail15normal_iteratorINS9_10device_ptrIxEEEEPS5_jNS1_19radix_merge_compareILb0ELb1ExNS0_19identity_decomposerEEEEE10hipError_tT0_T1_T2_jT3_P12ihipStream_tbPNSt15iterator_traitsISK_E10value_typeEPNSQ_ISL_E10value_typeEPSM_NS1_7vsmem_tEENKUlT_SK_SL_SM_E_clISE_PxSF_SF_EESJ_SZ_SK_SL_SM_EUlSZ_E0_NS1_11comp_targetILNS1_3genE4ELNS1_11target_archE910ELNS1_3gpuE8ELNS1_3repE0EEENS1_38merge_mergepath_config_static_selectorELNS0_4arch9wavefront6targetE1EEEvSL_
	.globl	_ZN7rocprim17ROCPRIM_400000_NS6detail17trampoline_kernelINS0_14default_configENS1_38merge_sort_block_merge_config_selectorIxNS0_10empty_typeEEEZZNS1_27merge_sort_block_merge_implIS3_N6thrust23THRUST_200600_302600_NS6detail15normal_iteratorINS9_10device_ptrIxEEEEPS5_jNS1_19radix_merge_compareILb0ELb1ExNS0_19identity_decomposerEEEEE10hipError_tT0_T1_T2_jT3_P12ihipStream_tbPNSt15iterator_traitsISK_E10value_typeEPNSQ_ISL_E10value_typeEPSM_NS1_7vsmem_tEENKUlT_SK_SL_SM_E_clISE_PxSF_SF_EESJ_SZ_SK_SL_SM_EUlSZ_E0_NS1_11comp_targetILNS1_3genE4ELNS1_11target_archE910ELNS1_3gpuE8ELNS1_3repE0EEENS1_38merge_mergepath_config_static_selectorELNS0_4arch9wavefront6targetE1EEEvSL_
	.p2align	8
	.type	_ZN7rocprim17ROCPRIM_400000_NS6detail17trampoline_kernelINS0_14default_configENS1_38merge_sort_block_merge_config_selectorIxNS0_10empty_typeEEEZZNS1_27merge_sort_block_merge_implIS3_N6thrust23THRUST_200600_302600_NS6detail15normal_iteratorINS9_10device_ptrIxEEEEPS5_jNS1_19radix_merge_compareILb0ELb1ExNS0_19identity_decomposerEEEEE10hipError_tT0_T1_T2_jT3_P12ihipStream_tbPNSt15iterator_traitsISK_E10value_typeEPNSQ_ISL_E10value_typeEPSM_NS1_7vsmem_tEENKUlT_SK_SL_SM_E_clISE_PxSF_SF_EESJ_SZ_SK_SL_SM_EUlSZ_E0_NS1_11comp_targetILNS1_3genE4ELNS1_11target_archE910ELNS1_3gpuE8ELNS1_3repE0EEENS1_38merge_mergepath_config_static_selectorELNS0_4arch9wavefront6targetE1EEEvSL_,@function
_ZN7rocprim17ROCPRIM_400000_NS6detail17trampoline_kernelINS0_14default_configENS1_38merge_sort_block_merge_config_selectorIxNS0_10empty_typeEEEZZNS1_27merge_sort_block_merge_implIS3_N6thrust23THRUST_200600_302600_NS6detail15normal_iteratorINS9_10device_ptrIxEEEEPS5_jNS1_19radix_merge_compareILb0ELb1ExNS0_19identity_decomposerEEEEE10hipError_tT0_T1_T2_jT3_P12ihipStream_tbPNSt15iterator_traitsISK_E10value_typeEPNSQ_ISL_E10value_typeEPSM_NS1_7vsmem_tEENKUlT_SK_SL_SM_E_clISE_PxSF_SF_EESJ_SZ_SK_SL_SM_EUlSZ_E0_NS1_11comp_targetILNS1_3genE4ELNS1_11target_archE910ELNS1_3gpuE8ELNS1_3repE0EEENS1_38merge_mergepath_config_static_selectorELNS0_4arch9wavefront6targetE1EEEvSL_: ; @_ZN7rocprim17ROCPRIM_400000_NS6detail17trampoline_kernelINS0_14default_configENS1_38merge_sort_block_merge_config_selectorIxNS0_10empty_typeEEEZZNS1_27merge_sort_block_merge_implIS3_N6thrust23THRUST_200600_302600_NS6detail15normal_iteratorINS9_10device_ptrIxEEEEPS5_jNS1_19radix_merge_compareILb0ELb1ExNS0_19identity_decomposerEEEEE10hipError_tT0_T1_T2_jT3_P12ihipStream_tbPNSt15iterator_traitsISK_E10value_typeEPNSQ_ISL_E10value_typeEPSM_NS1_7vsmem_tEENKUlT_SK_SL_SM_E_clISE_PxSF_SF_EESJ_SZ_SK_SL_SM_EUlSZ_E0_NS1_11comp_targetILNS1_3genE4ELNS1_11target_archE910ELNS1_3gpuE8ELNS1_3repE0EEENS1_38merge_mergepath_config_static_selectorELNS0_4arch9wavefront6targetE1EEEvSL_
; %bb.0:
	s_load_dwordx2 s[14:15], s[4:5], 0x48
	s_load_dword s3, s[4:5], 0x30
	s_add_u32 s0, s4, 0x48
	s_addc_u32 s1, s5, 0
	s_waitcnt lgkmcnt(0)
	s_mul_i32 s2, s15, s8
	s_add_i32 s2, s2, s7
	s_mul_i32 s2, s2, s14
	s_add_i32 s2, s2, s6
	s_cmp_ge_u32 s2, s3
	s_cbranch_scc1 .LBB1502_31
; %bb.1:
	s_load_dwordx2 s[8:9], s[4:5], 0x28
	s_load_dwordx2 s[10:11], s[4:5], 0x40
	;; [unrolled: 1-line block ×3, first 2 shown]
	s_mov_b32 s3, 0
	v_mov_b32_e32 v7, 0
	s_waitcnt lgkmcnt(0)
	s_lshr_b32 s7, s8, 10
	s_cmp_lg_u32 s2, s7
	s_cselect_b64 s[12:13], -1, 0
	s_lshl_b64 s[16:17], s[2:3], 2
	s_add_u32 s10, s10, s16
	s_addc_u32 s11, s11, s17
	s_load_dwordx2 s[16:17], s[10:11], 0x0
	s_lshr_b32 s10, s9, 9
	s_and_b32 s10, s10, 0x7ffffe
	s_sub_i32 s11, 0, s10
	s_and_b32 s15, s2, s11
	s_lshl_b32 s21, s15, 10
	s_lshl_b32 s10, s2, 10
	;; [unrolled: 1-line block ×3, first 2 shown]
	s_sub_i32 s20, s10, s21
	s_add_i32 s15, s15, s9
	s_add_i32 s22, s15, s20
	s_waitcnt lgkmcnt(0)
	s_sub_i32 s20, s22, s16
	s_sub_i32 s22, s22, s17
	;; [unrolled: 1-line block ×3, first 2 shown]
	s_min_u32 s20, s8, s20
	s_addk_i32 s22, 0x400
	s_or_b32 s11, s2, s11
	s_min_u32 s21, s8, s15
	s_add_i32 s15, s15, s9
	s_cmp_eq_u32 s11, -1
	s_cselect_b32 s9, s15, s22
	s_cselect_b32 s11, s21, s17
	s_min_u32 s15, s9, s8
	s_mov_b32 s17, s3
	s_sub_i32 s9, s11, s16
	s_sub_i32 s11, s15, s20
	s_lshl_b64 s[16:17], s[16:17], 3
	s_add_u32 s15, s18, s16
	s_mov_b32 s21, s3
	s_addc_u32 s16, s19, s17
	s_lshl_b64 s[20:21], s[20:21], 3
	s_add_u32 s17, s18, s20
	s_addc_u32 s18, s19, s21
	s_cmp_lt_u32 s6, s14
	s_cselect_b32 s3, 12, 18
	global_load_dword v1, v7, s[0:1] offset:14
	s_add_u32 s0, s0, s3
	s_addc_u32 s1, s1, 0
	global_load_ushort v2, v7, s[0:1]
	s_cmp_eq_u32 s2, s7
	s_waitcnt vmcnt(1)
	v_lshrrev_b32_e32 v3, 16, v1
	v_and_b32_e32 v1, 0xffff, v1
	v_mul_lo_u32 v1, v1, v3
	s_waitcnt vmcnt(0)
	v_mul_lo_u32 v15, v1, v2
	v_add_u32_e32 v12, v15, v0
	v_lshlrev_b32_e32 v1, 3, v0
	v_add_u32_e32 v10, v12, v15
	s_cbranch_scc1 .LBB1502_3
; %bb.2:
	v_subrev_u32_e32 v6, s9, v0
	v_lshlrev_b64 v[2:3], 3, v[6:7]
	v_mov_b32_e32 v4, s18
	v_add_co_u32_e32 v2, vcc, s17, v2
	v_addc_co_u32_e32 v3, vcc, v4, v3, vcc
	v_mov_b32_e32 v4, s16
	v_add_co_u32_e32 v5, vcc, s15, v1
	v_addc_co_u32_e32 v4, vcc, 0, v4, vcc
	v_cmp_gt_u32_e32 vcc, s9, v0
	v_subrev_u32_e32 v6, s9, v12
	v_cndmask_b32_e32 v3, v3, v4, vcc
	v_cndmask_b32_e32 v2, v2, v5, vcc
	v_lshlrev_b64 v[4:5], 3, v[6:7]
	v_mov_b32_e32 v6, s18
	v_add_co_u32_e32 v8, vcc, s17, v4
	v_mov_b32_e32 v13, v7
	v_addc_co_u32_e32 v6, vcc, v6, v5, vcc
	v_lshlrev_b64 v[4:5], 3, v[12:13]
	v_mov_b32_e32 v9, s16
	v_add_co_u32_e32 v4, vcc, s15, v4
	v_addc_co_u32_e32 v5, vcc, v9, v5, vcc
	v_cmp_gt_u32_e32 vcc, s9, v12
	v_cndmask_b32_e32 v5, v6, v5, vcc
	v_subrev_u32_e32 v6, s9, v10
	v_cndmask_b32_e32 v4, v8, v4, vcc
	v_lshlrev_b64 v[8:9], 3, v[6:7]
	v_mov_b32_e32 v6, s18
	v_add_co_u32_e32 v8, vcc, s17, v8
	v_mov_b32_e32 v11, v7
	v_addc_co_u32_e32 v9, vcc, v6, v9, vcc
	v_lshlrev_b64 v[6:7], 3, v[10:11]
	v_mov_b32_e32 v11, s16
	v_add_co_u32_e32 v6, vcc, s15, v6
	v_addc_co_u32_e32 v7, vcc, v11, v7, vcc
	v_cmp_gt_u32_e32 vcc, s9, v10
	v_cndmask_b32_e32 v7, v9, v7, vcc
	v_cndmask_b32_e32 v6, v8, v6, vcc
	global_load_dwordx2 v[2:3], v[2:3], off
	v_add_u32_e32 v14, v10, v15
	global_load_dwordx2 v[4:5], v[4:5], off
	s_add_i32 s14, s11, s9
	global_load_dwordx2 v[6:7], v[6:7], off
	s_mov_b64 s[0:1], -1
	s_cbranch_execz .LBB1502_4
	s_branch .LBB1502_9
.LBB1502_3:
	s_mov_b64 s[0:1], 0
                                        ; implicit-def: $vgpr14
                                        ; implicit-def: $vgpr2_vgpr3_vgpr4_vgpr5_vgpr6_vgpr7_vgpr8_vgpr9
                                        ; implicit-def: $sgpr14
.LBB1502_4:
	s_add_i32 s14, s11, s9
	v_cmp_gt_u32_e32 vcc, s14, v0
                                        ; implicit-def: $vgpr2_vgpr3_vgpr4_vgpr5_vgpr6_vgpr7_vgpr8_vgpr9
	s_and_saveexec_b64 s[0:1], vcc
	s_cbranch_execnz .LBB1502_32
; %bb.5:
	s_or_b64 exec, exec, s[0:1]
	v_cmp_gt_u32_e32 vcc, s14, v12
	s_and_saveexec_b64 s[2:3], vcc
	s_cbranch_execnz .LBB1502_33
.LBB1502_6:
	s_or_b64 exec, exec, s[2:3]
	v_cmp_gt_u32_e32 vcc, s14, v10
	s_and_saveexec_b64 s[0:1], vcc
	s_cbranch_execz .LBB1502_8
.LBB1502_7:
	v_mov_b32_e32 v11, 0
	s_waitcnt vmcnt(0)
	v_lshlrev_b64 v[6:7], 3, v[10:11]
	v_mov_b32_e32 v12, s16
	v_add_co_u32_e32 v13, vcc, s15, v6
	v_addc_co_u32_e32 v12, vcc, v12, v7, vcc
	v_subrev_u32_e32 v6, s9, v10
	v_mov_b32_e32 v7, v11
	v_lshlrev_b64 v[6:7], 3, v[6:7]
	v_mov_b32_e32 v11, s18
	v_add_co_u32_e32 v6, vcc, s17, v6
	v_addc_co_u32_e32 v7, vcc, v11, v7, vcc
	v_cmp_gt_u32_e32 vcc, s9, v10
	v_cndmask_b32_e32 v7, v7, v12, vcc
	v_cndmask_b32_e32 v6, v6, v13, vcc
	global_load_dwordx2 v[6:7], v[6:7], off
.LBB1502_8:
	s_or_b64 exec, exec, s[0:1]
	v_add_u32_e32 v14, v10, v15
	v_cmp_gt_u32_e64 s[0:1], s14, v14
.LBB1502_9:
	s_load_dwordx2 s[6:7], s[4:5], 0x38
	v_mov_b32_e32 v11, s14
	s_and_saveexec_b64 s[2:3], s[0:1]
	s_cbranch_execz .LBB1502_11
; %bb.10:
	v_subrev_u32_e32 v8, s9, v14
	v_mov_b32_e32 v9, 0
	v_lshlrev_b64 v[10:11], 3, v[8:9]
	v_mov_b32_e32 v8, s18
	v_add_co_u32_e32 v10, vcc, s17, v10
	v_mov_b32_e32 v15, v9
	v_addc_co_u32_e32 v11, vcc, v8, v11, vcc
	v_lshlrev_b64 v[8:9], 3, v[14:15]
	v_mov_b32_e32 v12, s16
	v_add_co_u32_e32 v8, vcc, s15, v8
	v_addc_co_u32_e32 v9, vcc, v12, v9, vcc
	v_cmp_gt_u32_e32 vcc, s9, v14
	v_cndmask_b32_e32 v9, v11, v9, vcc
	v_cndmask_b32_e32 v8, v10, v8, vcc
	global_load_dwordx2 v[8:9], v[8:9], off
	v_mov_b32_e32 v11, s14
.LBB1502_11:
	s_or_b64 exec, exec, s[2:3]
	s_load_dwordx2 s[14:15], s[4:5], 0x10
	v_lshlrev_b32_e32 v10, 2, v0
	v_min_u32_e32 v13, v11, v10
	v_sub_u32_e64 v12, v13, s11 clamp
	v_min_u32_e32 v14, s9, v13
	v_cmp_lt_u32_e32 vcc, v12, v14
	s_waitcnt vmcnt(0)
	ds_write2st64_b64 v1, v[2:3], v[4:5] offset1:4
	ds_write2st64_b64 v1, v[6:7], v[8:9] offset0:8 offset1:12
	s_waitcnt lgkmcnt(0)
	s_barrier
	s_and_saveexec_b64 s[0:1], vcc
	s_cbranch_execz .LBB1502_15
; %bb.12:
	v_lshlrev_b32_e32 v15, 3, v13
	v_lshl_add_u32 v15, s9, 3, v15
	s_mov_b64 s[2:3], 0
.LBB1502_13:                            ; =>This Inner Loop Header: Depth=1
	v_add_u32_e32 v16, v14, v12
	v_lshrrev_b32_e32 v20, 1, v16
	v_not_b32_e32 v18, v20
	v_lshlrev_b32_e32 v16, 3, v20
	v_lshl_add_u32 v18, v18, 3, v15
	ds_read_b64 v[16:17], v16
	ds_read_b64 v[18:19], v18
	v_add_u32_e32 v21, 1, v20
	s_waitcnt lgkmcnt(1)
	v_and_b32_e32 v17, s7, v17
	v_and_b32_e32 v16, s6, v16
	s_waitcnt lgkmcnt(0)
	v_and_b32_e32 v19, s7, v19
	v_and_b32_e32 v18, s6, v18
	v_cmp_gt_i64_e32 vcc, v[16:17], v[18:19]
	v_cndmask_b32_e32 v14, v14, v20, vcc
	v_cndmask_b32_e32 v12, v21, v12, vcc
	v_cmp_ge_u32_e32 vcc, v12, v14
	s_or_b64 s[2:3], vcc, s[2:3]
	s_andn2_b64 exec, exec, s[2:3]
	s_cbranch_execnz .LBB1502_13
; %bb.14:
	s_or_b64 exec, exec, s[2:3]
.LBB1502_15:
	s_or_b64 exec, exec, s[0:1]
	v_sub_u32_e32 v13, v13, v12
	v_add_u32_e32 v13, s9, v13
	v_cmp_ge_u32_e32 vcc, s9, v12
	v_cmp_le_u32_e64 s[0:1], v13, v11
	s_or_b64 s[0:1], vcc, s[0:1]
	s_and_saveexec_b64 s[16:17], s[0:1]
	s_cbranch_execz .LBB1502_21
; %bb.16:
	v_cmp_gt_u32_e32 vcc, s9, v12
                                        ; implicit-def: $vgpr2_vgpr3
	s_and_saveexec_b64 s[0:1], vcc
	s_cbranch_execz .LBB1502_18
; %bb.17:
	v_lshlrev_b32_e32 v2, 3, v12
	ds_read_b64 v[2:3], v2
.LBB1502_18:
	s_or_b64 exec, exec, s[0:1]
	v_cmp_ge_u32_e64 s[0:1], v13, v11
	v_cmp_lt_u32_e64 s[2:3], v13, v11
                                        ; implicit-def: $vgpr4_vgpr5
	s_and_saveexec_b64 s[4:5], s[2:3]
	s_cbranch_execz .LBB1502_20
; %bb.19:
	v_lshlrev_b32_e32 v4, 3, v13
	ds_read_b64 v[4:5], v4
.LBB1502_20:
	s_or_b64 exec, exec, s[4:5]
	s_waitcnt lgkmcnt(0)
	v_and_b32_e32 v7, s7, v5
	v_and_b32_e32 v6, s6, v4
	;; [unrolled: 1-line block ×4, first 2 shown]
	v_cmp_le_i64_e64 s[2:3], v[8:9], v[6:7]
	s_and_b64 s[2:3], vcc, s[2:3]
	s_or_b64 vcc, s[0:1], s[2:3]
	v_mov_b32_e32 v14, s9
	v_cndmask_b32_e32 v6, v13, v12, vcc
	v_cndmask_b32_e32 v7, v11, v14, vcc
	v_add_u32_e32 v8, 1, v6
	v_add_u32_e32 v6, -1, v7
	v_min_u32_e32 v6, v8, v6
	v_lshlrev_b32_e32 v6, 3, v6
	ds_read_b64 v[6:7], v6
	v_cndmask_b32_e32 v13, v8, v13, vcc
	v_cndmask_b32_e32 v12, v12, v8, vcc
	v_cmp_gt_u32_e64 s[2:3], s9, v12
	v_cmp_ge_u32_e64 s[0:1], v13, v11
	s_waitcnt lgkmcnt(0)
	v_cndmask_b32_e32 v15, v7, v5, vcc
	v_cndmask_b32_e32 v16, v6, v4, vcc
	;; [unrolled: 1-line block ×4, first 2 shown]
	v_and_b32_e32 v7, s7, v15
	v_and_b32_e32 v6, s6, v16
	;; [unrolled: 1-line block ×4, first 2 shown]
	v_cmp_le_i64_e64 s[4:5], v[8:9], v[6:7]
	s_and_b64 s[2:3], s[2:3], s[4:5]
	s_or_b64 s[0:1], s[0:1], s[2:3]
	v_cndmask_b32_e64 v6, v13, v12, s[0:1]
	v_cndmask_b32_e64 v7, v11, v14, s[0:1]
	v_add_u32_e32 v8, 1, v6
	v_add_u32_e32 v6, -1, v7
	v_min_u32_e32 v6, v8, v6
	v_lshlrev_b32_e32 v6, 3, v6
	ds_read_b64 v[6:7], v6
	v_cndmask_b32_e32 v3, v5, v3, vcc
	v_cndmask_b32_e32 v2, v4, v2, vcc
	v_cndmask_b32_e64 v12, v12, v8, s[0:1]
	v_cndmask_b32_e64 v13, v8, v13, s[0:1]
	s_waitcnt lgkmcnt(0)
	v_cndmask_b32_e64 v19, v7, v15, s[0:1]
	v_cndmask_b32_e64 v20, v6, v16, s[0:1]
	;; [unrolled: 1-line block ×4, first 2 shown]
	v_and_b32_e32 v5, s7, v19
	v_and_b32_e32 v4, s6, v20
	;; [unrolled: 1-line block ×4, first 2 shown]
	v_cmp_gt_u32_e64 s[2:3], s9, v12
	v_cmp_le_i64_e64 s[4:5], v[6:7], v[4:5]
	v_cmp_ge_u32_e32 vcc, v13, v11
	s_and_b64 s[2:3], s[2:3], s[4:5]
	s_or_b64 vcc, vcc, s[2:3]
	v_cndmask_b32_e32 v4, v13, v12, vcc
	v_cndmask_b32_e32 v5, v11, v14, vcc
	v_add_u32_e32 v14, 1, v4
	v_add_u32_e32 v4, -1, v5
	v_min_u32_e32 v4, v14, v4
	v_lshlrev_b32_e32 v4, 3, v4
	ds_read_b64 v[8:9], v4
	v_cndmask_b32_e64 v5, v15, v17, s[0:1]
	v_cndmask_b32_e64 v4, v16, v18, s[0:1]
	v_cndmask_b32_e32 v7, v19, v21, vcc
	v_cndmask_b32_e32 v6, v20, v22, vcc
	s_waitcnt lgkmcnt(0)
	v_cndmask_b32_e32 v15, v9, v19, vcc
	v_cndmask_b32_e32 v16, v8, v20, vcc
	;; [unrolled: 1-line block ×6, first 2 shown]
	v_cmp_ge_u32_e32 vcc, v8, v11
	v_cmp_gt_u32_e64 s[0:1], s9, v9
	v_and_b32_e32 v9, s7, v15
	v_and_b32_e32 v8, s6, v16
	;; [unrolled: 1-line block ×4, first 2 shown]
	v_cmp_le_i64_e64 s[2:3], v[12:13], v[8:9]
	s_and_b64 s[0:1], s[0:1], s[2:3]
	s_or_b64 vcc, vcc, s[0:1]
	v_cndmask_b32_e32 v9, v15, v17, vcc
	v_cndmask_b32_e32 v8, v16, v18, vcc
.LBB1502_21:
	s_or_b64 exec, exec, s[16:17]
	v_and_b32_e32 v11, 0xf8, v0
	v_lshl_add_u32 v10, v10, 3, v11
	s_barrier
	s_barrier
	ds_write2_b64 v10, v[2:3], v[4:5] offset1:1
	ds_write2_b64 v10, v[6:7], v[8:9] offset0:2 offset1:3
	v_lshrrev_b32_e32 v2, 2, v0
	v_and_b32_e32 v2, 56, v2
	v_or_b32_e32 v12, 0x100, v0
	v_add_u32_e32 v13, v1, v2
	v_lshrrev_b32_e32 v2, 2, v12
	v_and_b32_e32 v2, 0x78, v2
	v_or_b32_e32 v11, 0x200, v0
	s_mov_b32 s11, 0
	v_add_u32_e32 v6, v1, v2
	v_lshrrev_b32_e32 v2, 2, v11
	s_lshl_b64 s[0:1], s[10:11], 3
	v_and_b32_e32 v2, 0xb8, v2
	v_or_b32_e32 v10, 0x300, v0
	s_add_u32 s0, s14, s0
	v_add_u32_e32 v7, v1, v2
	v_lshrrev_b32_e32 v2, 2, v10
	s_addc_u32 s1, s15, s1
	v_and_b32_e32 v2, 0xf8, v2
	v_add_u32_e32 v14, v1, v2
	v_mov_b32_e32 v3, s1
	v_add_co_u32_e32 v2, vcc, s0, v1
	v_addc_co_u32_e32 v3, vcc, 0, v3, vcc
	s_and_b64 vcc, exec, s[12:13]
	s_waitcnt lgkmcnt(0)
	s_cbranch_vccz .LBB1502_23
; %bb.22:
	s_barrier
	ds_read_b64 v[8:9], v13
	ds_read_b64 v[16:17], v6 offset:2048
	ds_read_b64 v[18:19], v7 offset:4096
	ds_read_b64 v[4:5], v14 offset:6144
	s_waitcnt lgkmcnt(3)
	global_store_dwordx2 v[2:3], v[8:9], off
	s_waitcnt lgkmcnt(2)
	global_store_dwordx2 v[2:3], v[16:17], off offset:2048
	v_add_co_u32_e32 v8, vcc, 0x1000, v2
	v_addc_co_u32_e32 v9, vcc, 0, v3, vcc
	s_waitcnt lgkmcnt(1)
	global_store_dwordx2 v[8:9], v[18:19], off
	s_mov_b64 s[0:1], -1
	s_cbranch_execz .LBB1502_24
	s_branch .LBB1502_29
.LBB1502_23:
	s_mov_b64 s[0:1], 0
                                        ; implicit-def: $vgpr4_vgpr5
.LBB1502_24:
	s_barrier
	s_waitcnt lgkmcnt(0)
	ds_read_b64 v[8:9], v6 offset:2048
	ds_read_b64 v[6:7], v7 offset:4096
	;; [unrolled: 1-line block ×3, first 2 shown]
	s_sub_i32 s2, s8, s10
	v_cmp_gt_u32_e32 vcc, s2, v0
	s_and_saveexec_b64 s[0:1], vcc
	s_cbranch_execnz .LBB1502_34
; %bb.25:
	s_or_b64 exec, exec, s[0:1]
	v_cmp_gt_u32_e32 vcc, s2, v12
	s_and_saveexec_b64 s[0:1], vcc
	s_cbranch_execnz .LBB1502_35
.LBB1502_26:
	s_or_b64 exec, exec, s[0:1]
	v_cmp_gt_u32_e32 vcc, s2, v11
	s_and_saveexec_b64 s[0:1], vcc
	s_cbranch_execz .LBB1502_28
.LBB1502_27:
	v_add_co_u32_e32 v0, vcc, 0x1000, v2
	v_addc_co_u32_e32 v1, vcc, 0, v3, vcc
	s_waitcnt lgkmcnt(1)
	global_store_dwordx2 v[0:1], v[6:7], off
.LBB1502_28:
	s_or_b64 exec, exec, s[0:1]
	v_cmp_gt_u32_e64 s[0:1], s2, v10
.LBB1502_29:
	s_and_saveexec_b64 s[2:3], s[0:1]
	s_cbranch_execz .LBB1502_31
; %bb.30:
	v_add_co_u32_e32 v0, vcc, 0x1000, v2
	v_addc_co_u32_e32 v1, vcc, 0, v3, vcc
	s_waitcnt lgkmcnt(0)
	global_store_dwordx2 v[0:1], v[4:5], off offset:2048
.LBB1502_31:
	s_endpgm
.LBB1502_32:
	s_waitcnt vmcnt(2)
	v_mov_b32_e32 v2, s16
	s_waitcnt vmcnt(1)
	v_add_co_u32_e32 v4, vcc, s15, v1
	v_mov_b32_e32 v3, 0
	v_addc_co_u32_e32 v5, vcc, 0, v2, vcc
	v_subrev_u32_e32 v2, s9, v0
	v_lshlrev_b64 v[2:3], 3, v[2:3]
	s_waitcnt vmcnt(0)
	v_mov_b32_e32 v6, s18
	v_add_co_u32_e32 v2, vcc, s17, v2
	v_addc_co_u32_e32 v3, vcc, v6, v3, vcc
	v_cmp_gt_u32_e32 vcc, s9, v0
	v_cndmask_b32_e32 v3, v3, v5, vcc
	v_cndmask_b32_e32 v2, v2, v4, vcc
	global_load_dwordx2 v[2:3], v[2:3], off
	s_or_b64 exec, exec, s[0:1]
	v_cmp_gt_u32_e32 vcc, s14, v12
	s_and_saveexec_b64 s[2:3], vcc
	s_cbranch_execz .LBB1502_6
.LBB1502_33:
	v_mov_b32_e32 v13, 0
	s_waitcnt vmcnt(1)
	v_lshlrev_b64 v[4:5], 3, v[12:13]
	v_mov_b32_e32 v11, s16
	v_add_co_u32_e32 v14, vcc, s15, v4
	v_addc_co_u32_e32 v11, vcc, v11, v5, vcc
	v_cmp_gt_u32_e32 vcc, s9, v12
	v_subrev_u32_e32 v12, s9, v12
	v_lshlrev_b64 v[4:5], 3, v[12:13]
	v_mov_b32_e32 v12, s18
	v_add_co_u32_e64 v4, s[0:1], s17, v4
	v_addc_co_u32_e64 v5, s[0:1], v12, v5, s[0:1]
	v_cndmask_b32_e32 v5, v5, v11, vcc
	v_cndmask_b32_e32 v4, v4, v14, vcc
	global_load_dwordx2 v[4:5], v[4:5], off
	s_or_b64 exec, exec, s[2:3]
	v_cmp_gt_u32_e32 vcc, s14, v10
	s_and_saveexec_b64 s[0:1], vcc
	s_cbranch_execnz .LBB1502_7
	s_branch .LBB1502_8
.LBB1502_34:
	ds_read_b64 v[0:1], v13
	s_waitcnt lgkmcnt(0)
	global_store_dwordx2 v[2:3], v[0:1], off
	s_or_b64 exec, exec, s[0:1]
	v_cmp_gt_u32_e32 vcc, s2, v12
	s_and_saveexec_b64 s[0:1], vcc
	s_cbranch_execz .LBB1502_26
.LBB1502_35:
	s_waitcnt lgkmcnt(2)
	global_store_dwordx2 v[2:3], v[8:9], off offset:2048
	s_or_b64 exec, exec, s[0:1]
	v_cmp_gt_u32_e32 vcc, s2, v11
	s_and_saveexec_b64 s[0:1], vcc
	s_cbranch_execnz .LBB1502_27
	s_branch .LBB1502_28
	.section	.rodata,"a",@progbits
	.p2align	6, 0x0
	.amdhsa_kernel _ZN7rocprim17ROCPRIM_400000_NS6detail17trampoline_kernelINS0_14default_configENS1_38merge_sort_block_merge_config_selectorIxNS0_10empty_typeEEEZZNS1_27merge_sort_block_merge_implIS3_N6thrust23THRUST_200600_302600_NS6detail15normal_iteratorINS9_10device_ptrIxEEEEPS5_jNS1_19radix_merge_compareILb0ELb1ExNS0_19identity_decomposerEEEEE10hipError_tT0_T1_T2_jT3_P12ihipStream_tbPNSt15iterator_traitsISK_E10value_typeEPNSQ_ISL_E10value_typeEPSM_NS1_7vsmem_tEENKUlT_SK_SL_SM_E_clISE_PxSF_SF_EESJ_SZ_SK_SL_SM_EUlSZ_E0_NS1_11comp_targetILNS1_3genE4ELNS1_11target_archE910ELNS1_3gpuE8ELNS1_3repE0EEENS1_38merge_mergepath_config_static_selectorELNS0_4arch9wavefront6targetE1EEEvSL_
		.amdhsa_group_segment_fixed_size 8448
		.amdhsa_private_segment_fixed_size 0
		.amdhsa_kernarg_size 328
		.amdhsa_user_sgpr_count 6
		.amdhsa_user_sgpr_private_segment_buffer 1
		.amdhsa_user_sgpr_dispatch_ptr 0
		.amdhsa_user_sgpr_queue_ptr 0
		.amdhsa_user_sgpr_kernarg_segment_ptr 1
		.amdhsa_user_sgpr_dispatch_id 0
		.amdhsa_user_sgpr_flat_scratch_init 0
		.amdhsa_user_sgpr_kernarg_preload_length 0
		.amdhsa_user_sgpr_kernarg_preload_offset 0
		.amdhsa_user_sgpr_private_segment_size 0
		.amdhsa_uses_dynamic_stack 0
		.amdhsa_system_sgpr_private_segment_wavefront_offset 0
		.amdhsa_system_sgpr_workgroup_id_x 1
		.amdhsa_system_sgpr_workgroup_id_y 1
		.amdhsa_system_sgpr_workgroup_id_z 1
		.amdhsa_system_sgpr_workgroup_info 0
		.amdhsa_system_vgpr_workitem_id 0
		.amdhsa_next_free_vgpr 23
		.amdhsa_next_free_sgpr 23
		.amdhsa_accum_offset 24
		.amdhsa_reserve_vcc 1
		.amdhsa_reserve_flat_scratch 0
		.amdhsa_float_round_mode_32 0
		.amdhsa_float_round_mode_16_64 0
		.amdhsa_float_denorm_mode_32 3
		.amdhsa_float_denorm_mode_16_64 3
		.amdhsa_dx10_clamp 1
		.amdhsa_ieee_mode 1
		.amdhsa_fp16_overflow 0
		.amdhsa_tg_split 0
		.amdhsa_exception_fp_ieee_invalid_op 0
		.amdhsa_exception_fp_denorm_src 0
		.amdhsa_exception_fp_ieee_div_zero 0
		.amdhsa_exception_fp_ieee_overflow 0
		.amdhsa_exception_fp_ieee_underflow 0
		.amdhsa_exception_fp_ieee_inexact 0
		.amdhsa_exception_int_div_zero 0
	.end_amdhsa_kernel
	.section	.text._ZN7rocprim17ROCPRIM_400000_NS6detail17trampoline_kernelINS0_14default_configENS1_38merge_sort_block_merge_config_selectorIxNS0_10empty_typeEEEZZNS1_27merge_sort_block_merge_implIS3_N6thrust23THRUST_200600_302600_NS6detail15normal_iteratorINS9_10device_ptrIxEEEEPS5_jNS1_19radix_merge_compareILb0ELb1ExNS0_19identity_decomposerEEEEE10hipError_tT0_T1_T2_jT3_P12ihipStream_tbPNSt15iterator_traitsISK_E10value_typeEPNSQ_ISL_E10value_typeEPSM_NS1_7vsmem_tEENKUlT_SK_SL_SM_E_clISE_PxSF_SF_EESJ_SZ_SK_SL_SM_EUlSZ_E0_NS1_11comp_targetILNS1_3genE4ELNS1_11target_archE910ELNS1_3gpuE8ELNS1_3repE0EEENS1_38merge_mergepath_config_static_selectorELNS0_4arch9wavefront6targetE1EEEvSL_,"axG",@progbits,_ZN7rocprim17ROCPRIM_400000_NS6detail17trampoline_kernelINS0_14default_configENS1_38merge_sort_block_merge_config_selectorIxNS0_10empty_typeEEEZZNS1_27merge_sort_block_merge_implIS3_N6thrust23THRUST_200600_302600_NS6detail15normal_iteratorINS9_10device_ptrIxEEEEPS5_jNS1_19radix_merge_compareILb0ELb1ExNS0_19identity_decomposerEEEEE10hipError_tT0_T1_T2_jT3_P12ihipStream_tbPNSt15iterator_traitsISK_E10value_typeEPNSQ_ISL_E10value_typeEPSM_NS1_7vsmem_tEENKUlT_SK_SL_SM_E_clISE_PxSF_SF_EESJ_SZ_SK_SL_SM_EUlSZ_E0_NS1_11comp_targetILNS1_3genE4ELNS1_11target_archE910ELNS1_3gpuE8ELNS1_3repE0EEENS1_38merge_mergepath_config_static_selectorELNS0_4arch9wavefront6targetE1EEEvSL_,comdat
.Lfunc_end1502:
	.size	_ZN7rocprim17ROCPRIM_400000_NS6detail17trampoline_kernelINS0_14default_configENS1_38merge_sort_block_merge_config_selectorIxNS0_10empty_typeEEEZZNS1_27merge_sort_block_merge_implIS3_N6thrust23THRUST_200600_302600_NS6detail15normal_iteratorINS9_10device_ptrIxEEEEPS5_jNS1_19radix_merge_compareILb0ELb1ExNS0_19identity_decomposerEEEEE10hipError_tT0_T1_T2_jT3_P12ihipStream_tbPNSt15iterator_traitsISK_E10value_typeEPNSQ_ISL_E10value_typeEPSM_NS1_7vsmem_tEENKUlT_SK_SL_SM_E_clISE_PxSF_SF_EESJ_SZ_SK_SL_SM_EUlSZ_E0_NS1_11comp_targetILNS1_3genE4ELNS1_11target_archE910ELNS1_3gpuE8ELNS1_3repE0EEENS1_38merge_mergepath_config_static_selectorELNS0_4arch9wavefront6targetE1EEEvSL_, .Lfunc_end1502-_ZN7rocprim17ROCPRIM_400000_NS6detail17trampoline_kernelINS0_14default_configENS1_38merge_sort_block_merge_config_selectorIxNS0_10empty_typeEEEZZNS1_27merge_sort_block_merge_implIS3_N6thrust23THRUST_200600_302600_NS6detail15normal_iteratorINS9_10device_ptrIxEEEEPS5_jNS1_19radix_merge_compareILb0ELb1ExNS0_19identity_decomposerEEEEE10hipError_tT0_T1_T2_jT3_P12ihipStream_tbPNSt15iterator_traitsISK_E10value_typeEPNSQ_ISL_E10value_typeEPSM_NS1_7vsmem_tEENKUlT_SK_SL_SM_E_clISE_PxSF_SF_EESJ_SZ_SK_SL_SM_EUlSZ_E0_NS1_11comp_targetILNS1_3genE4ELNS1_11target_archE910ELNS1_3gpuE8ELNS1_3repE0EEENS1_38merge_mergepath_config_static_selectorELNS0_4arch9wavefront6targetE1EEEvSL_
                                        ; -- End function
	.section	.AMDGPU.csdata,"",@progbits
; Kernel info:
; codeLenInByte = 2196
; NumSgprs: 27
; NumVgprs: 23
; NumAgprs: 0
; TotalNumVgprs: 23
; ScratchSize: 0
; MemoryBound: 0
; FloatMode: 240
; IeeeMode: 1
; LDSByteSize: 8448 bytes/workgroup (compile time only)
; SGPRBlocks: 3
; VGPRBlocks: 2
; NumSGPRsForWavesPerEU: 27
; NumVGPRsForWavesPerEU: 23
; AccumOffset: 24
; Occupancy: 7
; WaveLimiterHint : 1
; COMPUTE_PGM_RSRC2:SCRATCH_EN: 0
; COMPUTE_PGM_RSRC2:USER_SGPR: 6
; COMPUTE_PGM_RSRC2:TRAP_HANDLER: 0
; COMPUTE_PGM_RSRC2:TGID_X_EN: 1
; COMPUTE_PGM_RSRC2:TGID_Y_EN: 1
; COMPUTE_PGM_RSRC2:TGID_Z_EN: 1
; COMPUTE_PGM_RSRC2:TIDIG_COMP_CNT: 0
; COMPUTE_PGM_RSRC3_GFX90A:ACCUM_OFFSET: 5
; COMPUTE_PGM_RSRC3_GFX90A:TG_SPLIT: 0
	.section	.text._ZN7rocprim17ROCPRIM_400000_NS6detail17trampoline_kernelINS0_14default_configENS1_38merge_sort_block_merge_config_selectorIxNS0_10empty_typeEEEZZNS1_27merge_sort_block_merge_implIS3_N6thrust23THRUST_200600_302600_NS6detail15normal_iteratorINS9_10device_ptrIxEEEEPS5_jNS1_19radix_merge_compareILb0ELb1ExNS0_19identity_decomposerEEEEE10hipError_tT0_T1_T2_jT3_P12ihipStream_tbPNSt15iterator_traitsISK_E10value_typeEPNSQ_ISL_E10value_typeEPSM_NS1_7vsmem_tEENKUlT_SK_SL_SM_E_clISE_PxSF_SF_EESJ_SZ_SK_SL_SM_EUlSZ_E0_NS1_11comp_targetILNS1_3genE3ELNS1_11target_archE908ELNS1_3gpuE7ELNS1_3repE0EEENS1_38merge_mergepath_config_static_selectorELNS0_4arch9wavefront6targetE1EEEvSL_,"axG",@progbits,_ZN7rocprim17ROCPRIM_400000_NS6detail17trampoline_kernelINS0_14default_configENS1_38merge_sort_block_merge_config_selectorIxNS0_10empty_typeEEEZZNS1_27merge_sort_block_merge_implIS3_N6thrust23THRUST_200600_302600_NS6detail15normal_iteratorINS9_10device_ptrIxEEEEPS5_jNS1_19radix_merge_compareILb0ELb1ExNS0_19identity_decomposerEEEEE10hipError_tT0_T1_T2_jT3_P12ihipStream_tbPNSt15iterator_traitsISK_E10value_typeEPNSQ_ISL_E10value_typeEPSM_NS1_7vsmem_tEENKUlT_SK_SL_SM_E_clISE_PxSF_SF_EESJ_SZ_SK_SL_SM_EUlSZ_E0_NS1_11comp_targetILNS1_3genE3ELNS1_11target_archE908ELNS1_3gpuE7ELNS1_3repE0EEENS1_38merge_mergepath_config_static_selectorELNS0_4arch9wavefront6targetE1EEEvSL_,comdat
	.protected	_ZN7rocprim17ROCPRIM_400000_NS6detail17trampoline_kernelINS0_14default_configENS1_38merge_sort_block_merge_config_selectorIxNS0_10empty_typeEEEZZNS1_27merge_sort_block_merge_implIS3_N6thrust23THRUST_200600_302600_NS6detail15normal_iteratorINS9_10device_ptrIxEEEEPS5_jNS1_19radix_merge_compareILb0ELb1ExNS0_19identity_decomposerEEEEE10hipError_tT0_T1_T2_jT3_P12ihipStream_tbPNSt15iterator_traitsISK_E10value_typeEPNSQ_ISL_E10value_typeEPSM_NS1_7vsmem_tEENKUlT_SK_SL_SM_E_clISE_PxSF_SF_EESJ_SZ_SK_SL_SM_EUlSZ_E0_NS1_11comp_targetILNS1_3genE3ELNS1_11target_archE908ELNS1_3gpuE7ELNS1_3repE0EEENS1_38merge_mergepath_config_static_selectorELNS0_4arch9wavefront6targetE1EEEvSL_ ; -- Begin function _ZN7rocprim17ROCPRIM_400000_NS6detail17trampoline_kernelINS0_14default_configENS1_38merge_sort_block_merge_config_selectorIxNS0_10empty_typeEEEZZNS1_27merge_sort_block_merge_implIS3_N6thrust23THRUST_200600_302600_NS6detail15normal_iteratorINS9_10device_ptrIxEEEEPS5_jNS1_19radix_merge_compareILb0ELb1ExNS0_19identity_decomposerEEEEE10hipError_tT0_T1_T2_jT3_P12ihipStream_tbPNSt15iterator_traitsISK_E10value_typeEPNSQ_ISL_E10value_typeEPSM_NS1_7vsmem_tEENKUlT_SK_SL_SM_E_clISE_PxSF_SF_EESJ_SZ_SK_SL_SM_EUlSZ_E0_NS1_11comp_targetILNS1_3genE3ELNS1_11target_archE908ELNS1_3gpuE7ELNS1_3repE0EEENS1_38merge_mergepath_config_static_selectorELNS0_4arch9wavefront6targetE1EEEvSL_
	.globl	_ZN7rocprim17ROCPRIM_400000_NS6detail17trampoline_kernelINS0_14default_configENS1_38merge_sort_block_merge_config_selectorIxNS0_10empty_typeEEEZZNS1_27merge_sort_block_merge_implIS3_N6thrust23THRUST_200600_302600_NS6detail15normal_iteratorINS9_10device_ptrIxEEEEPS5_jNS1_19radix_merge_compareILb0ELb1ExNS0_19identity_decomposerEEEEE10hipError_tT0_T1_T2_jT3_P12ihipStream_tbPNSt15iterator_traitsISK_E10value_typeEPNSQ_ISL_E10value_typeEPSM_NS1_7vsmem_tEENKUlT_SK_SL_SM_E_clISE_PxSF_SF_EESJ_SZ_SK_SL_SM_EUlSZ_E0_NS1_11comp_targetILNS1_3genE3ELNS1_11target_archE908ELNS1_3gpuE7ELNS1_3repE0EEENS1_38merge_mergepath_config_static_selectorELNS0_4arch9wavefront6targetE1EEEvSL_
	.p2align	8
	.type	_ZN7rocprim17ROCPRIM_400000_NS6detail17trampoline_kernelINS0_14default_configENS1_38merge_sort_block_merge_config_selectorIxNS0_10empty_typeEEEZZNS1_27merge_sort_block_merge_implIS3_N6thrust23THRUST_200600_302600_NS6detail15normal_iteratorINS9_10device_ptrIxEEEEPS5_jNS1_19radix_merge_compareILb0ELb1ExNS0_19identity_decomposerEEEEE10hipError_tT0_T1_T2_jT3_P12ihipStream_tbPNSt15iterator_traitsISK_E10value_typeEPNSQ_ISL_E10value_typeEPSM_NS1_7vsmem_tEENKUlT_SK_SL_SM_E_clISE_PxSF_SF_EESJ_SZ_SK_SL_SM_EUlSZ_E0_NS1_11comp_targetILNS1_3genE3ELNS1_11target_archE908ELNS1_3gpuE7ELNS1_3repE0EEENS1_38merge_mergepath_config_static_selectorELNS0_4arch9wavefront6targetE1EEEvSL_,@function
_ZN7rocprim17ROCPRIM_400000_NS6detail17trampoline_kernelINS0_14default_configENS1_38merge_sort_block_merge_config_selectorIxNS0_10empty_typeEEEZZNS1_27merge_sort_block_merge_implIS3_N6thrust23THRUST_200600_302600_NS6detail15normal_iteratorINS9_10device_ptrIxEEEEPS5_jNS1_19radix_merge_compareILb0ELb1ExNS0_19identity_decomposerEEEEE10hipError_tT0_T1_T2_jT3_P12ihipStream_tbPNSt15iterator_traitsISK_E10value_typeEPNSQ_ISL_E10value_typeEPSM_NS1_7vsmem_tEENKUlT_SK_SL_SM_E_clISE_PxSF_SF_EESJ_SZ_SK_SL_SM_EUlSZ_E0_NS1_11comp_targetILNS1_3genE3ELNS1_11target_archE908ELNS1_3gpuE7ELNS1_3repE0EEENS1_38merge_mergepath_config_static_selectorELNS0_4arch9wavefront6targetE1EEEvSL_: ; @_ZN7rocprim17ROCPRIM_400000_NS6detail17trampoline_kernelINS0_14default_configENS1_38merge_sort_block_merge_config_selectorIxNS0_10empty_typeEEEZZNS1_27merge_sort_block_merge_implIS3_N6thrust23THRUST_200600_302600_NS6detail15normal_iteratorINS9_10device_ptrIxEEEEPS5_jNS1_19radix_merge_compareILb0ELb1ExNS0_19identity_decomposerEEEEE10hipError_tT0_T1_T2_jT3_P12ihipStream_tbPNSt15iterator_traitsISK_E10value_typeEPNSQ_ISL_E10value_typeEPSM_NS1_7vsmem_tEENKUlT_SK_SL_SM_E_clISE_PxSF_SF_EESJ_SZ_SK_SL_SM_EUlSZ_E0_NS1_11comp_targetILNS1_3genE3ELNS1_11target_archE908ELNS1_3gpuE7ELNS1_3repE0EEENS1_38merge_mergepath_config_static_selectorELNS0_4arch9wavefront6targetE1EEEvSL_
; %bb.0:
	.section	.rodata,"a",@progbits
	.p2align	6, 0x0
	.amdhsa_kernel _ZN7rocprim17ROCPRIM_400000_NS6detail17trampoline_kernelINS0_14default_configENS1_38merge_sort_block_merge_config_selectorIxNS0_10empty_typeEEEZZNS1_27merge_sort_block_merge_implIS3_N6thrust23THRUST_200600_302600_NS6detail15normal_iteratorINS9_10device_ptrIxEEEEPS5_jNS1_19radix_merge_compareILb0ELb1ExNS0_19identity_decomposerEEEEE10hipError_tT0_T1_T2_jT3_P12ihipStream_tbPNSt15iterator_traitsISK_E10value_typeEPNSQ_ISL_E10value_typeEPSM_NS1_7vsmem_tEENKUlT_SK_SL_SM_E_clISE_PxSF_SF_EESJ_SZ_SK_SL_SM_EUlSZ_E0_NS1_11comp_targetILNS1_3genE3ELNS1_11target_archE908ELNS1_3gpuE7ELNS1_3repE0EEENS1_38merge_mergepath_config_static_selectorELNS0_4arch9wavefront6targetE1EEEvSL_
		.amdhsa_group_segment_fixed_size 0
		.amdhsa_private_segment_fixed_size 0
		.amdhsa_kernarg_size 72
		.amdhsa_user_sgpr_count 6
		.amdhsa_user_sgpr_private_segment_buffer 1
		.amdhsa_user_sgpr_dispatch_ptr 0
		.amdhsa_user_sgpr_queue_ptr 0
		.amdhsa_user_sgpr_kernarg_segment_ptr 1
		.amdhsa_user_sgpr_dispatch_id 0
		.amdhsa_user_sgpr_flat_scratch_init 0
		.amdhsa_user_sgpr_kernarg_preload_length 0
		.amdhsa_user_sgpr_kernarg_preload_offset 0
		.amdhsa_user_sgpr_private_segment_size 0
		.amdhsa_uses_dynamic_stack 0
		.amdhsa_system_sgpr_private_segment_wavefront_offset 0
		.amdhsa_system_sgpr_workgroup_id_x 1
		.amdhsa_system_sgpr_workgroup_id_y 0
		.amdhsa_system_sgpr_workgroup_id_z 0
		.amdhsa_system_sgpr_workgroup_info 0
		.amdhsa_system_vgpr_workitem_id 0
		.amdhsa_next_free_vgpr 1
		.amdhsa_next_free_sgpr 0
		.amdhsa_accum_offset 4
		.amdhsa_reserve_vcc 0
		.amdhsa_reserve_flat_scratch 0
		.amdhsa_float_round_mode_32 0
		.amdhsa_float_round_mode_16_64 0
		.amdhsa_float_denorm_mode_32 3
		.amdhsa_float_denorm_mode_16_64 3
		.amdhsa_dx10_clamp 1
		.amdhsa_ieee_mode 1
		.amdhsa_fp16_overflow 0
		.amdhsa_tg_split 0
		.amdhsa_exception_fp_ieee_invalid_op 0
		.amdhsa_exception_fp_denorm_src 0
		.amdhsa_exception_fp_ieee_div_zero 0
		.amdhsa_exception_fp_ieee_overflow 0
		.amdhsa_exception_fp_ieee_underflow 0
		.amdhsa_exception_fp_ieee_inexact 0
		.amdhsa_exception_int_div_zero 0
	.end_amdhsa_kernel
	.section	.text._ZN7rocprim17ROCPRIM_400000_NS6detail17trampoline_kernelINS0_14default_configENS1_38merge_sort_block_merge_config_selectorIxNS0_10empty_typeEEEZZNS1_27merge_sort_block_merge_implIS3_N6thrust23THRUST_200600_302600_NS6detail15normal_iteratorINS9_10device_ptrIxEEEEPS5_jNS1_19radix_merge_compareILb0ELb1ExNS0_19identity_decomposerEEEEE10hipError_tT0_T1_T2_jT3_P12ihipStream_tbPNSt15iterator_traitsISK_E10value_typeEPNSQ_ISL_E10value_typeEPSM_NS1_7vsmem_tEENKUlT_SK_SL_SM_E_clISE_PxSF_SF_EESJ_SZ_SK_SL_SM_EUlSZ_E0_NS1_11comp_targetILNS1_3genE3ELNS1_11target_archE908ELNS1_3gpuE7ELNS1_3repE0EEENS1_38merge_mergepath_config_static_selectorELNS0_4arch9wavefront6targetE1EEEvSL_,"axG",@progbits,_ZN7rocprim17ROCPRIM_400000_NS6detail17trampoline_kernelINS0_14default_configENS1_38merge_sort_block_merge_config_selectorIxNS0_10empty_typeEEEZZNS1_27merge_sort_block_merge_implIS3_N6thrust23THRUST_200600_302600_NS6detail15normal_iteratorINS9_10device_ptrIxEEEEPS5_jNS1_19radix_merge_compareILb0ELb1ExNS0_19identity_decomposerEEEEE10hipError_tT0_T1_T2_jT3_P12ihipStream_tbPNSt15iterator_traitsISK_E10value_typeEPNSQ_ISL_E10value_typeEPSM_NS1_7vsmem_tEENKUlT_SK_SL_SM_E_clISE_PxSF_SF_EESJ_SZ_SK_SL_SM_EUlSZ_E0_NS1_11comp_targetILNS1_3genE3ELNS1_11target_archE908ELNS1_3gpuE7ELNS1_3repE0EEENS1_38merge_mergepath_config_static_selectorELNS0_4arch9wavefront6targetE1EEEvSL_,comdat
.Lfunc_end1503:
	.size	_ZN7rocprim17ROCPRIM_400000_NS6detail17trampoline_kernelINS0_14default_configENS1_38merge_sort_block_merge_config_selectorIxNS0_10empty_typeEEEZZNS1_27merge_sort_block_merge_implIS3_N6thrust23THRUST_200600_302600_NS6detail15normal_iteratorINS9_10device_ptrIxEEEEPS5_jNS1_19radix_merge_compareILb0ELb1ExNS0_19identity_decomposerEEEEE10hipError_tT0_T1_T2_jT3_P12ihipStream_tbPNSt15iterator_traitsISK_E10value_typeEPNSQ_ISL_E10value_typeEPSM_NS1_7vsmem_tEENKUlT_SK_SL_SM_E_clISE_PxSF_SF_EESJ_SZ_SK_SL_SM_EUlSZ_E0_NS1_11comp_targetILNS1_3genE3ELNS1_11target_archE908ELNS1_3gpuE7ELNS1_3repE0EEENS1_38merge_mergepath_config_static_selectorELNS0_4arch9wavefront6targetE1EEEvSL_, .Lfunc_end1503-_ZN7rocprim17ROCPRIM_400000_NS6detail17trampoline_kernelINS0_14default_configENS1_38merge_sort_block_merge_config_selectorIxNS0_10empty_typeEEEZZNS1_27merge_sort_block_merge_implIS3_N6thrust23THRUST_200600_302600_NS6detail15normal_iteratorINS9_10device_ptrIxEEEEPS5_jNS1_19radix_merge_compareILb0ELb1ExNS0_19identity_decomposerEEEEE10hipError_tT0_T1_T2_jT3_P12ihipStream_tbPNSt15iterator_traitsISK_E10value_typeEPNSQ_ISL_E10value_typeEPSM_NS1_7vsmem_tEENKUlT_SK_SL_SM_E_clISE_PxSF_SF_EESJ_SZ_SK_SL_SM_EUlSZ_E0_NS1_11comp_targetILNS1_3genE3ELNS1_11target_archE908ELNS1_3gpuE7ELNS1_3repE0EEENS1_38merge_mergepath_config_static_selectorELNS0_4arch9wavefront6targetE1EEEvSL_
                                        ; -- End function
	.section	.AMDGPU.csdata,"",@progbits
; Kernel info:
; codeLenInByte = 0
; NumSgprs: 4
; NumVgprs: 0
; NumAgprs: 0
; TotalNumVgprs: 0
; ScratchSize: 0
; MemoryBound: 0
; FloatMode: 240
; IeeeMode: 1
; LDSByteSize: 0 bytes/workgroup (compile time only)
; SGPRBlocks: 0
; VGPRBlocks: 0
; NumSGPRsForWavesPerEU: 4
; NumVGPRsForWavesPerEU: 1
; AccumOffset: 4
; Occupancy: 8
; WaveLimiterHint : 0
; COMPUTE_PGM_RSRC2:SCRATCH_EN: 0
; COMPUTE_PGM_RSRC2:USER_SGPR: 6
; COMPUTE_PGM_RSRC2:TRAP_HANDLER: 0
; COMPUTE_PGM_RSRC2:TGID_X_EN: 1
; COMPUTE_PGM_RSRC2:TGID_Y_EN: 0
; COMPUTE_PGM_RSRC2:TGID_Z_EN: 0
; COMPUTE_PGM_RSRC2:TIDIG_COMP_CNT: 0
; COMPUTE_PGM_RSRC3_GFX90A:ACCUM_OFFSET: 0
; COMPUTE_PGM_RSRC3_GFX90A:TG_SPLIT: 0
	.section	.text._ZN7rocprim17ROCPRIM_400000_NS6detail17trampoline_kernelINS0_14default_configENS1_38merge_sort_block_merge_config_selectorIxNS0_10empty_typeEEEZZNS1_27merge_sort_block_merge_implIS3_N6thrust23THRUST_200600_302600_NS6detail15normal_iteratorINS9_10device_ptrIxEEEEPS5_jNS1_19radix_merge_compareILb0ELb1ExNS0_19identity_decomposerEEEEE10hipError_tT0_T1_T2_jT3_P12ihipStream_tbPNSt15iterator_traitsISK_E10value_typeEPNSQ_ISL_E10value_typeEPSM_NS1_7vsmem_tEENKUlT_SK_SL_SM_E_clISE_PxSF_SF_EESJ_SZ_SK_SL_SM_EUlSZ_E0_NS1_11comp_targetILNS1_3genE2ELNS1_11target_archE906ELNS1_3gpuE6ELNS1_3repE0EEENS1_38merge_mergepath_config_static_selectorELNS0_4arch9wavefront6targetE1EEEvSL_,"axG",@progbits,_ZN7rocprim17ROCPRIM_400000_NS6detail17trampoline_kernelINS0_14default_configENS1_38merge_sort_block_merge_config_selectorIxNS0_10empty_typeEEEZZNS1_27merge_sort_block_merge_implIS3_N6thrust23THRUST_200600_302600_NS6detail15normal_iteratorINS9_10device_ptrIxEEEEPS5_jNS1_19radix_merge_compareILb0ELb1ExNS0_19identity_decomposerEEEEE10hipError_tT0_T1_T2_jT3_P12ihipStream_tbPNSt15iterator_traitsISK_E10value_typeEPNSQ_ISL_E10value_typeEPSM_NS1_7vsmem_tEENKUlT_SK_SL_SM_E_clISE_PxSF_SF_EESJ_SZ_SK_SL_SM_EUlSZ_E0_NS1_11comp_targetILNS1_3genE2ELNS1_11target_archE906ELNS1_3gpuE6ELNS1_3repE0EEENS1_38merge_mergepath_config_static_selectorELNS0_4arch9wavefront6targetE1EEEvSL_,comdat
	.protected	_ZN7rocprim17ROCPRIM_400000_NS6detail17trampoline_kernelINS0_14default_configENS1_38merge_sort_block_merge_config_selectorIxNS0_10empty_typeEEEZZNS1_27merge_sort_block_merge_implIS3_N6thrust23THRUST_200600_302600_NS6detail15normal_iteratorINS9_10device_ptrIxEEEEPS5_jNS1_19radix_merge_compareILb0ELb1ExNS0_19identity_decomposerEEEEE10hipError_tT0_T1_T2_jT3_P12ihipStream_tbPNSt15iterator_traitsISK_E10value_typeEPNSQ_ISL_E10value_typeEPSM_NS1_7vsmem_tEENKUlT_SK_SL_SM_E_clISE_PxSF_SF_EESJ_SZ_SK_SL_SM_EUlSZ_E0_NS1_11comp_targetILNS1_3genE2ELNS1_11target_archE906ELNS1_3gpuE6ELNS1_3repE0EEENS1_38merge_mergepath_config_static_selectorELNS0_4arch9wavefront6targetE1EEEvSL_ ; -- Begin function _ZN7rocprim17ROCPRIM_400000_NS6detail17trampoline_kernelINS0_14default_configENS1_38merge_sort_block_merge_config_selectorIxNS0_10empty_typeEEEZZNS1_27merge_sort_block_merge_implIS3_N6thrust23THRUST_200600_302600_NS6detail15normal_iteratorINS9_10device_ptrIxEEEEPS5_jNS1_19radix_merge_compareILb0ELb1ExNS0_19identity_decomposerEEEEE10hipError_tT0_T1_T2_jT3_P12ihipStream_tbPNSt15iterator_traitsISK_E10value_typeEPNSQ_ISL_E10value_typeEPSM_NS1_7vsmem_tEENKUlT_SK_SL_SM_E_clISE_PxSF_SF_EESJ_SZ_SK_SL_SM_EUlSZ_E0_NS1_11comp_targetILNS1_3genE2ELNS1_11target_archE906ELNS1_3gpuE6ELNS1_3repE0EEENS1_38merge_mergepath_config_static_selectorELNS0_4arch9wavefront6targetE1EEEvSL_
	.globl	_ZN7rocprim17ROCPRIM_400000_NS6detail17trampoline_kernelINS0_14default_configENS1_38merge_sort_block_merge_config_selectorIxNS0_10empty_typeEEEZZNS1_27merge_sort_block_merge_implIS3_N6thrust23THRUST_200600_302600_NS6detail15normal_iteratorINS9_10device_ptrIxEEEEPS5_jNS1_19radix_merge_compareILb0ELb1ExNS0_19identity_decomposerEEEEE10hipError_tT0_T1_T2_jT3_P12ihipStream_tbPNSt15iterator_traitsISK_E10value_typeEPNSQ_ISL_E10value_typeEPSM_NS1_7vsmem_tEENKUlT_SK_SL_SM_E_clISE_PxSF_SF_EESJ_SZ_SK_SL_SM_EUlSZ_E0_NS1_11comp_targetILNS1_3genE2ELNS1_11target_archE906ELNS1_3gpuE6ELNS1_3repE0EEENS1_38merge_mergepath_config_static_selectorELNS0_4arch9wavefront6targetE1EEEvSL_
	.p2align	8
	.type	_ZN7rocprim17ROCPRIM_400000_NS6detail17trampoline_kernelINS0_14default_configENS1_38merge_sort_block_merge_config_selectorIxNS0_10empty_typeEEEZZNS1_27merge_sort_block_merge_implIS3_N6thrust23THRUST_200600_302600_NS6detail15normal_iteratorINS9_10device_ptrIxEEEEPS5_jNS1_19radix_merge_compareILb0ELb1ExNS0_19identity_decomposerEEEEE10hipError_tT0_T1_T2_jT3_P12ihipStream_tbPNSt15iterator_traitsISK_E10value_typeEPNSQ_ISL_E10value_typeEPSM_NS1_7vsmem_tEENKUlT_SK_SL_SM_E_clISE_PxSF_SF_EESJ_SZ_SK_SL_SM_EUlSZ_E0_NS1_11comp_targetILNS1_3genE2ELNS1_11target_archE906ELNS1_3gpuE6ELNS1_3repE0EEENS1_38merge_mergepath_config_static_selectorELNS0_4arch9wavefront6targetE1EEEvSL_,@function
_ZN7rocprim17ROCPRIM_400000_NS6detail17trampoline_kernelINS0_14default_configENS1_38merge_sort_block_merge_config_selectorIxNS0_10empty_typeEEEZZNS1_27merge_sort_block_merge_implIS3_N6thrust23THRUST_200600_302600_NS6detail15normal_iteratorINS9_10device_ptrIxEEEEPS5_jNS1_19radix_merge_compareILb0ELb1ExNS0_19identity_decomposerEEEEE10hipError_tT0_T1_T2_jT3_P12ihipStream_tbPNSt15iterator_traitsISK_E10value_typeEPNSQ_ISL_E10value_typeEPSM_NS1_7vsmem_tEENKUlT_SK_SL_SM_E_clISE_PxSF_SF_EESJ_SZ_SK_SL_SM_EUlSZ_E0_NS1_11comp_targetILNS1_3genE2ELNS1_11target_archE906ELNS1_3gpuE6ELNS1_3repE0EEENS1_38merge_mergepath_config_static_selectorELNS0_4arch9wavefront6targetE1EEEvSL_: ; @_ZN7rocprim17ROCPRIM_400000_NS6detail17trampoline_kernelINS0_14default_configENS1_38merge_sort_block_merge_config_selectorIxNS0_10empty_typeEEEZZNS1_27merge_sort_block_merge_implIS3_N6thrust23THRUST_200600_302600_NS6detail15normal_iteratorINS9_10device_ptrIxEEEEPS5_jNS1_19radix_merge_compareILb0ELb1ExNS0_19identity_decomposerEEEEE10hipError_tT0_T1_T2_jT3_P12ihipStream_tbPNSt15iterator_traitsISK_E10value_typeEPNSQ_ISL_E10value_typeEPSM_NS1_7vsmem_tEENKUlT_SK_SL_SM_E_clISE_PxSF_SF_EESJ_SZ_SK_SL_SM_EUlSZ_E0_NS1_11comp_targetILNS1_3genE2ELNS1_11target_archE906ELNS1_3gpuE6ELNS1_3repE0EEENS1_38merge_mergepath_config_static_selectorELNS0_4arch9wavefront6targetE1EEEvSL_
; %bb.0:
	.section	.rodata,"a",@progbits
	.p2align	6, 0x0
	.amdhsa_kernel _ZN7rocprim17ROCPRIM_400000_NS6detail17trampoline_kernelINS0_14default_configENS1_38merge_sort_block_merge_config_selectorIxNS0_10empty_typeEEEZZNS1_27merge_sort_block_merge_implIS3_N6thrust23THRUST_200600_302600_NS6detail15normal_iteratorINS9_10device_ptrIxEEEEPS5_jNS1_19radix_merge_compareILb0ELb1ExNS0_19identity_decomposerEEEEE10hipError_tT0_T1_T2_jT3_P12ihipStream_tbPNSt15iterator_traitsISK_E10value_typeEPNSQ_ISL_E10value_typeEPSM_NS1_7vsmem_tEENKUlT_SK_SL_SM_E_clISE_PxSF_SF_EESJ_SZ_SK_SL_SM_EUlSZ_E0_NS1_11comp_targetILNS1_3genE2ELNS1_11target_archE906ELNS1_3gpuE6ELNS1_3repE0EEENS1_38merge_mergepath_config_static_selectorELNS0_4arch9wavefront6targetE1EEEvSL_
		.amdhsa_group_segment_fixed_size 0
		.amdhsa_private_segment_fixed_size 0
		.amdhsa_kernarg_size 72
		.amdhsa_user_sgpr_count 6
		.amdhsa_user_sgpr_private_segment_buffer 1
		.amdhsa_user_sgpr_dispatch_ptr 0
		.amdhsa_user_sgpr_queue_ptr 0
		.amdhsa_user_sgpr_kernarg_segment_ptr 1
		.amdhsa_user_sgpr_dispatch_id 0
		.amdhsa_user_sgpr_flat_scratch_init 0
		.amdhsa_user_sgpr_kernarg_preload_length 0
		.amdhsa_user_sgpr_kernarg_preload_offset 0
		.amdhsa_user_sgpr_private_segment_size 0
		.amdhsa_uses_dynamic_stack 0
		.amdhsa_system_sgpr_private_segment_wavefront_offset 0
		.amdhsa_system_sgpr_workgroup_id_x 1
		.amdhsa_system_sgpr_workgroup_id_y 0
		.amdhsa_system_sgpr_workgroup_id_z 0
		.amdhsa_system_sgpr_workgroup_info 0
		.amdhsa_system_vgpr_workitem_id 0
		.amdhsa_next_free_vgpr 1
		.amdhsa_next_free_sgpr 0
		.amdhsa_accum_offset 4
		.amdhsa_reserve_vcc 0
		.amdhsa_reserve_flat_scratch 0
		.amdhsa_float_round_mode_32 0
		.amdhsa_float_round_mode_16_64 0
		.amdhsa_float_denorm_mode_32 3
		.amdhsa_float_denorm_mode_16_64 3
		.amdhsa_dx10_clamp 1
		.amdhsa_ieee_mode 1
		.amdhsa_fp16_overflow 0
		.amdhsa_tg_split 0
		.amdhsa_exception_fp_ieee_invalid_op 0
		.amdhsa_exception_fp_denorm_src 0
		.amdhsa_exception_fp_ieee_div_zero 0
		.amdhsa_exception_fp_ieee_overflow 0
		.amdhsa_exception_fp_ieee_underflow 0
		.amdhsa_exception_fp_ieee_inexact 0
		.amdhsa_exception_int_div_zero 0
	.end_amdhsa_kernel
	.section	.text._ZN7rocprim17ROCPRIM_400000_NS6detail17trampoline_kernelINS0_14default_configENS1_38merge_sort_block_merge_config_selectorIxNS0_10empty_typeEEEZZNS1_27merge_sort_block_merge_implIS3_N6thrust23THRUST_200600_302600_NS6detail15normal_iteratorINS9_10device_ptrIxEEEEPS5_jNS1_19radix_merge_compareILb0ELb1ExNS0_19identity_decomposerEEEEE10hipError_tT0_T1_T2_jT3_P12ihipStream_tbPNSt15iterator_traitsISK_E10value_typeEPNSQ_ISL_E10value_typeEPSM_NS1_7vsmem_tEENKUlT_SK_SL_SM_E_clISE_PxSF_SF_EESJ_SZ_SK_SL_SM_EUlSZ_E0_NS1_11comp_targetILNS1_3genE2ELNS1_11target_archE906ELNS1_3gpuE6ELNS1_3repE0EEENS1_38merge_mergepath_config_static_selectorELNS0_4arch9wavefront6targetE1EEEvSL_,"axG",@progbits,_ZN7rocprim17ROCPRIM_400000_NS6detail17trampoline_kernelINS0_14default_configENS1_38merge_sort_block_merge_config_selectorIxNS0_10empty_typeEEEZZNS1_27merge_sort_block_merge_implIS3_N6thrust23THRUST_200600_302600_NS6detail15normal_iteratorINS9_10device_ptrIxEEEEPS5_jNS1_19radix_merge_compareILb0ELb1ExNS0_19identity_decomposerEEEEE10hipError_tT0_T1_T2_jT3_P12ihipStream_tbPNSt15iterator_traitsISK_E10value_typeEPNSQ_ISL_E10value_typeEPSM_NS1_7vsmem_tEENKUlT_SK_SL_SM_E_clISE_PxSF_SF_EESJ_SZ_SK_SL_SM_EUlSZ_E0_NS1_11comp_targetILNS1_3genE2ELNS1_11target_archE906ELNS1_3gpuE6ELNS1_3repE0EEENS1_38merge_mergepath_config_static_selectorELNS0_4arch9wavefront6targetE1EEEvSL_,comdat
.Lfunc_end1504:
	.size	_ZN7rocprim17ROCPRIM_400000_NS6detail17trampoline_kernelINS0_14default_configENS1_38merge_sort_block_merge_config_selectorIxNS0_10empty_typeEEEZZNS1_27merge_sort_block_merge_implIS3_N6thrust23THRUST_200600_302600_NS6detail15normal_iteratorINS9_10device_ptrIxEEEEPS5_jNS1_19radix_merge_compareILb0ELb1ExNS0_19identity_decomposerEEEEE10hipError_tT0_T1_T2_jT3_P12ihipStream_tbPNSt15iterator_traitsISK_E10value_typeEPNSQ_ISL_E10value_typeEPSM_NS1_7vsmem_tEENKUlT_SK_SL_SM_E_clISE_PxSF_SF_EESJ_SZ_SK_SL_SM_EUlSZ_E0_NS1_11comp_targetILNS1_3genE2ELNS1_11target_archE906ELNS1_3gpuE6ELNS1_3repE0EEENS1_38merge_mergepath_config_static_selectorELNS0_4arch9wavefront6targetE1EEEvSL_, .Lfunc_end1504-_ZN7rocprim17ROCPRIM_400000_NS6detail17trampoline_kernelINS0_14default_configENS1_38merge_sort_block_merge_config_selectorIxNS0_10empty_typeEEEZZNS1_27merge_sort_block_merge_implIS3_N6thrust23THRUST_200600_302600_NS6detail15normal_iteratorINS9_10device_ptrIxEEEEPS5_jNS1_19radix_merge_compareILb0ELb1ExNS0_19identity_decomposerEEEEE10hipError_tT0_T1_T2_jT3_P12ihipStream_tbPNSt15iterator_traitsISK_E10value_typeEPNSQ_ISL_E10value_typeEPSM_NS1_7vsmem_tEENKUlT_SK_SL_SM_E_clISE_PxSF_SF_EESJ_SZ_SK_SL_SM_EUlSZ_E0_NS1_11comp_targetILNS1_3genE2ELNS1_11target_archE906ELNS1_3gpuE6ELNS1_3repE0EEENS1_38merge_mergepath_config_static_selectorELNS0_4arch9wavefront6targetE1EEEvSL_
                                        ; -- End function
	.section	.AMDGPU.csdata,"",@progbits
; Kernel info:
; codeLenInByte = 0
; NumSgprs: 4
; NumVgprs: 0
; NumAgprs: 0
; TotalNumVgprs: 0
; ScratchSize: 0
; MemoryBound: 0
; FloatMode: 240
; IeeeMode: 1
; LDSByteSize: 0 bytes/workgroup (compile time only)
; SGPRBlocks: 0
; VGPRBlocks: 0
; NumSGPRsForWavesPerEU: 4
; NumVGPRsForWavesPerEU: 1
; AccumOffset: 4
; Occupancy: 8
; WaveLimiterHint : 0
; COMPUTE_PGM_RSRC2:SCRATCH_EN: 0
; COMPUTE_PGM_RSRC2:USER_SGPR: 6
; COMPUTE_PGM_RSRC2:TRAP_HANDLER: 0
; COMPUTE_PGM_RSRC2:TGID_X_EN: 1
; COMPUTE_PGM_RSRC2:TGID_Y_EN: 0
; COMPUTE_PGM_RSRC2:TGID_Z_EN: 0
; COMPUTE_PGM_RSRC2:TIDIG_COMP_CNT: 0
; COMPUTE_PGM_RSRC3_GFX90A:ACCUM_OFFSET: 0
; COMPUTE_PGM_RSRC3_GFX90A:TG_SPLIT: 0
	.section	.text._ZN7rocprim17ROCPRIM_400000_NS6detail17trampoline_kernelINS0_14default_configENS1_38merge_sort_block_merge_config_selectorIxNS0_10empty_typeEEEZZNS1_27merge_sort_block_merge_implIS3_N6thrust23THRUST_200600_302600_NS6detail15normal_iteratorINS9_10device_ptrIxEEEEPS5_jNS1_19radix_merge_compareILb0ELb1ExNS0_19identity_decomposerEEEEE10hipError_tT0_T1_T2_jT3_P12ihipStream_tbPNSt15iterator_traitsISK_E10value_typeEPNSQ_ISL_E10value_typeEPSM_NS1_7vsmem_tEENKUlT_SK_SL_SM_E_clISE_PxSF_SF_EESJ_SZ_SK_SL_SM_EUlSZ_E0_NS1_11comp_targetILNS1_3genE9ELNS1_11target_archE1100ELNS1_3gpuE3ELNS1_3repE0EEENS1_38merge_mergepath_config_static_selectorELNS0_4arch9wavefront6targetE1EEEvSL_,"axG",@progbits,_ZN7rocprim17ROCPRIM_400000_NS6detail17trampoline_kernelINS0_14default_configENS1_38merge_sort_block_merge_config_selectorIxNS0_10empty_typeEEEZZNS1_27merge_sort_block_merge_implIS3_N6thrust23THRUST_200600_302600_NS6detail15normal_iteratorINS9_10device_ptrIxEEEEPS5_jNS1_19radix_merge_compareILb0ELb1ExNS0_19identity_decomposerEEEEE10hipError_tT0_T1_T2_jT3_P12ihipStream_tbPNSt15iterator_traitsISK_E10value_typeEPNSQ_ISL_E10value_typeEPSM_NS1_7vsmem_tEENKUlT_SK_SL_SM_E_clISE_PxSF_SF_EESJ_SZ_SK_SL_SM_EUlSZ_E0_NS1_11comp_targetILNS1_3genE9ELNS1_11target_archE1100ELNS1_3gpuE3ELNS1_3repE0EEENS1_38merge_mergepath_config_static_selectorELNS0_4arch9wavefront6targetE1EEEvSL_,comdat
	.protected	_ZN7rocprim17ROCPRIM_400000_NS6detail17trampoline_kernelINS0_14default_configENS1_38merge_sort_block_merge_config_selectorIxNS0_10empty_typeEEEZZNS1_27merge_sort_block_merge_implIS3_N6thrust23THRUST_200600_302600_NS6detail15normal_iteratorINS9_10device_ptrIxEEEEPS5_jNS1_19radix_merge_compareILb0ELb1ExNS0_19identity_decomposerEEEEE10hipError_tT0_T1_T2_jT3_P12ihipStream_tbPNSt15iterator_traitsISK_E10value_typeEPNSQ_ISL_E10value_typeEPSM_NS1_7vsmem_tEENKUlT_SK_SL_SM_E_clISE_PxSF_SF_EESJ_SZ_SK_SL_SM_EUlSZ_E0_NS1_11comp_targetILNS1_3genE9ELNS1_11target_archE1100ELNS1_3gpuE3ELNS1_3repE0EEENS1_38merge_mergepath_config_static_selectorELNS0_4arch9wavefront6targetE1EEEvSL_ ; -- Begin function _ZN7rocprim17ROCPRIM_400000_NS6detail17trampoline_kernelINS0_14default_configENS1_38merge_sort_block_merge_config_selectorIxNS0_10empty_typeEEEZZNS1_27merge_sort_block_merge_implIS3_N6thrust23THRUST_200600_302600_NS6detail15normal_iteratorINS9_10device_ptrIxEEEEPS5_jNS1_19radix_merge_compareILb0ELb1ExNS0_19identity_decomposerEEEEE10hipError_tT0_T1_T2_jT3_P12ihipStream_tbPNSt15iterator_traitsISK_E10value_typeEPNSQ_ISL_E10value_typeEPSM_NS1_7vsmem_tEENKUlT_SK_SL_SM_E_clISE_PxSF_SF_EESJ_SZ_SK_SL_SM_EUlSZ_E0_NS1_11comp_targetILNS1_3genE9ELNS1_11target_archE1100ELNS1_3gpuE3ELNS1_3repE0EEENS1_38merge_mergepath_config_static_selectorELNS0_4arch9wavefront6targetE1EEEvSL_
	.globl	_ZN7rocprim17ROCPRIM_400000_NS6detail17trampoline_kernelINS0_14default_configENS1_38merge_sort_block_merge_config_selectorIxNS0_10empty_typeEEEZZNS1_27merge_sort_block_merge_implIS3_N6thrust23THRUST_200600_302600_NS6detail15normal_iteratorINS9_10device_ptrIxEEEEPS5_jNS1_19radix_merge_compareILb0ELb1ExNS0_19identity_decomposerEEEEE10hipError_tT0_T1_T2_jT3_P12ihipStream_tbPNSt15iterator_traitsISK_E10value_typeEPNSQ_ISL_E10value_typeEPSM_NS1_7vsmem_tEENKUlT_SK_SL_SM_E_clISE_PxSF_SF_EESJ_SZ_SK_SL_SM_EUlSZ_E0_NS1_11comp_targetILNS1_3genE9ELNS1_11target_archE1100ELNS1_3gpuE3ELNS1_3repE0EEENS1_38merge_mergepath_config_static_selectorELNS0_4arch9wavefront6targetE1EEEvSL_
	.p2align	8
	.type	_ZN7rocprim17ROCPRIM_400000_NS6detail17trampoline_kernelINS0_14default_configENS1_38merge_sort_block_merge_config_selectorIxNS0_10empty_typeEEEZZNS1_27merge_sort_block_merge_implIS3_N6thrust23THRUST_200600_302600_NS6detail15normal_iteratorINS9_10device_ptrIxEEEEPS5_jNS1_19radix_merge_compareILb0ELb1ExNS0_19identity_decomposerEEEEE10hipError_tT0_T1_T2_jT3_P12ihipStream_tbPNSt15iterator_traitsISK_E10value_typeEPNSQ_ISL_E10value_typeEPSM_NS1_7vsmem_tEENKUlT_SK_SL_SM_E_clISE_PxSF_SF_EESJ_SZ_SK_SL_SM_EUlSZ_E0_NS1_11comp_targetILNS1_3genE9ELNS1_11target_archE1100ELNS1_3gpuE3ELNS1_3repE0EEENS1_38merge_mergepath_config_static_selectorELNS0_4arch9wavefront6targetE1EEEvSL_,@function
_ZN7rocprim17ROCPRIM_400000_NS6detail17trampoline_kernelINS0_14default_configENS1_38merge_sort_block_merge_config_selectorIxNS0_10empty_typeEEEZZNS1_27merge_sort_block_merge_implIS3_N6thrust23THRUST_200600_302600_NS6detail15normal_iteratorINS9_10device_ptrIxEEEEPS5_jNS1_19radix_merge_compareILb0ELb1ExNS0_19identity_decomposerEEEEE10hipError_tT0_T1_T2_jT3_P12ihipStream_tbPNSt15iterator_traitsISK_E10value_typeEPNSQ_ISL_E10value_typeEPSM_NS1_7vsmem_tEENKUlT_SK_SL_SM_E_clISE_PxSF_SF_EESJ_SZ_SK_SL_SM_EUlSZ_E0_NS1_11comp_targetILNS1_3genE9ELNS1_11target_archE1100ELNS1_3gpuE3ELNS1_3repE0EEENS1_38merge_mergepath_config_static_selectorELNS0_4arch9wavefront6targetE1EEEvSL_: ; @_ZN7rocprim17ROCPRIM_400000_NS6detail17trampoline_kernelINS0_14default_configENS1_38merge_sort_block_merge_config_selectorIxNS0_10empty_typeEEEZZNS1_27merge_sort_block_merge_implIS3_N6thrust23THRUST_200600_302600_NS6detail15normal_iteratorINS9_10device_ptrIxEEEEPS5_jNS1_19radix_merge_compareILb0ELb1ExNS0_19identity_decomposerEEEEE10hipError_tT0_T1_T2_jT3_P12ihipStream_tbPNSt15iterator_traitsISK_E10value_typeEPNSQ_ISL_E10value_typeEPSM_NS1_7vsmem_tEENKUlT_SK_SL_SM_E_clISE_PxSF_SF_EESJ_SZ_SK_SL_SM_EUlSZ_E0_NS1_11comp_targetILNS1_3genE9ELNS1_11target_archE1100ELNS1_3gpuE3ELNS1_3repE0EEENS1_38merge_mergepath_config_static_selectorELNS0_4arch9wavefront6targetE1EEEvSL_
; %bb.0:
	.section	.rodata,"a",@progbits
	.p2align	6, 0x0
	.amdhsa_kernel _ZN7rocprim17ROCPRIM_400000_NS6detail17trampoline_kernelINS0_14default_configENS1_38merge_sort_block_merge_config_selectorIxNS0_10empty_typeEEEZZNS1_27merge_sort_block_merge_implIS3_N6thrust23THRUST_200600_302600_NS6detail15normal_iteratorINS9_10device_ptrIxEEEEPS5_jNS1_19radix_merge_compareILb0ELb1ExNS0_19identity_decomposerEEEEE10hipError_tT0_T1_T2_jT3_P12ihipStream_tbPNSt15iterator_traitsISK_E10value_typeEPNSQ_ISL_E10value_typeEPSM_NS1_7vsmem_tEENKUlT_SK_SL_SM_E_clISE_PxSF_SF_EESJ_SZ_SK_SL_SM_EUlSZ_E0_NS1_11comp_targetILNS1_3genE9ELNS1_11target_archE1100ELNS1_3gpuE3ELNS1_3repE0EEENS1_38merge_mergepath_config_static_selectorELNS0_4arch9wavefront6targetE1EEEvSL_
		.amdhsa_group_segment_fixed_size 0
		.amdhsa_private_segment_fixed_size 0
		.amdhsa_kernarg_size 72
		.amdhsa_user_sgpr_count 6
		.amdhsa_user_sgpr_private_segment_buffer 1
		.amdhsa_user_sgpr_dispatch_ptr 0
		.amdhsa_user_sgpr_queue_ptr 0
		.amdhsa_user_sgpr_kernarg_segment_ptr 1
		.amdhsa_user_sgpr_dispatch_id 0
		.amdhsa_user_sgpr_flat_scratch_init 0
		.amdhsa_user_sgpr_kernarg_preload_length 0
		.amdhsa_user_sgpr_kernarg_preload_offset 0
		.amdhsa_user_sgpr_private_segment_size 0
		.amdhsa_uses_dynamic_stack 0
		.amdhsa_system_sgpr_private_segment_wavefront_offset 0
		.amdhsa_system_sgpr_workgroup_id_x 1
		.amdhsa_system_sgpr_workgroup_id_y 0
		.amdhsa_system_sgpr_workgroup_id_z 0
		.amdhsa_system_sgpr_workgroup_info 0
		.amdhsa_system_vgpr_workitem_id 0
		.amdhsa_next_free_vgpr 1
		.amdhsa_next_free_sgpr 0
		.amdhsa_accum_offset 4
		.amdhsa_reserve_vcc 0
		.amdhsa_reserve_flat_scratch 0
		.amdhsa_float_round_mode_32 0
		.amdhsa_float_round_mode_16_64 0
		.amdhsa_float_denorm_mode_32 3
		.amdhsa_float_denorm_mode_16_64 3
		.amdhsa_dx10_clamp 1
		.amdhsa_ieee_mode 1
		.amdhsa_fp16_overflow 0
		.amdhsa_tg_split 0
		.amdhsa_exception_fp_ieee_invalid_op 0
		.amdhsa_exception_fp_denorm_src 0
		.amdhsa_exception_fp_ieee_div_zero 0
		.amdhsa_exception_fp_ieee_overflow 0
		.amdhsa_exception_fp_ieee_underflow 0
		.amdhsa_exception_fp_ieee_inexact 0
		.amdhsa_exception_int_div_zero 0
	.end_amdhsa_kernel
	.section	.text._ZN7rocprim17ROCPRIM_400000_NS6detail17trampoline_kernelINS0_14default_configENS1_38merge_sort_block_merge_config_selectorIxNS0_10empty_typeEEEZZNS1_27merge_sort_block_merge_implIS3_N6thrust23THRUST_200600_302600_NS6detail15normal_iteratorINS9_10device_ptrIxEEEEPS5_jNS1_19radix_merge_compareILb0ELb1ExNS0_19identity_decomposerEEEEE10hipError_tT0_T1_T2_jT3_P12ihipStream_tbPNSt15iterator_traitsISK_E10value_typeEPNSQ_ISL_E10value_typeEPSM_NS1_7vsmem_tEENKUlT_SK_SL_SM_E_clISE_PxSF_SF_EESJ_SZ_SK_SL_SM_EUlSZ_E0_NS1_11comp_targetILNS1_3genE9ELNS1_11target_archE1100ELNS1_3gpuE3ELNS1_3repE0EEENS1_38merge_mergepath_config_static_selectorELNS0_4arch9wavefront6targetE1EEEvSL_,"axG",@progbits,_ZN7rocprim17ROCPRIM_400000_NS6detail17trampoline_kernelINS0_14default_configENS1_38merge_sort_block_merge_config_selectorIxNS0_10empty_typeEEEZZNS1_27merge_sort_block_merge_implIS3_N6thrust23THRUST_200600_302600_NS6detail15normal_iteratorINS9_10device_ptrIxEEEEPS5_jNS1_19radix_merge_compareILb0ELb1ExNS0_19identity_decomposerEEEEE10hipError_tT0_T1_T2_jT3_P12ihipStream_tbPNSt15iterator_traitsISK_E10value_typeEPNSQ_ISL_E10value_typeEPSM_NS1_7vsmem_tEENKUlT_SK_SL_SM_E_clISE_PxSF_SF_EESJ_SZ_SK_SL_SM_EUlSZ_E0_NS1_11comp_targetILNS1_3genE9ELNS1_11target_archE1100ELNS1_3gpuE3ELNS1_3repE0EEENS1_38merge_mergepath_config_static_selectorELNS0_4arch9wavefront6targetE1EEEvSL_,comdat
.Lfunc_end1505:
	.size	_ZN7rocprim17ROCPRIM_400000_NS6detail17trampoline_kernelINS0_14default_configENS1_38merge_sort_block_merge_config_selectorIxNS0_10empty_typeEEEZZNS1_27merge_sort_block_merge_implIS3_N6thrust23THRUST_200600_302600_NS6detail15normal_iteratorINS9_10device_ptrIxEEEEPS5_jNS1_19radix_merge_compareILb0ELb1ExNS0_19identity_decomposerEEEEE10hipError_tT0_T1_T2_jT3_P12ihipStream_tbPNSt15iterator_traitsISK_E10value_typeEPNSQ_ISL_E10value_typeEPSM_NS1_7vsmem_tEENKUlT_SK_SL_SM_E_clISE_PxSF_SF_EESJ_SZ_SK_SL_SM_EUlSZ_E0_NS1_11comp_targetILNS1_3genE9ELNS1_11target_archE1100ELNS1_3gpuE3ELNS1_3repE0EEENS1_38merge_mergepath_config_static_selectorELNS0_4arch9wavefront6targetE1EEEvSL_, .Lfunc_end1505-_ZN7rocprim17ROCPRIM_400000_NS6detail17trampoline_kernelINS0_14default_configENS1_38merge_sort_block_merge_config_selectorIxNS0_10empty_typeEEEZZNS1_27merge_sort_block_merge_implIS3_N6thrust23THRUST_200600_302600_NS6detail15normal_iteratorINS9_10device_ptrIxEEEEPS5_jNS1_19radix_merge_compareILb0ELb1ExNS0_19identity_decomposerEEEEE10hipError_tT0_T1_T2_jT3_P12ihipStream_tbPNSt15iterator_traitsISK_E10value_typeEPNSQ_ISL_E10value_typeEPSM_NS1_7vsmem_tEENKUlT_SK_SL_SM_E_clISE_PxSF_SF_EESJ_SZ_SK_SL_SM_EUlSZ_E0_NS1_11comp_targetILNS1_3genE9ELNS1_11target_archE1100ELNS1_3gpuE3ELNS1_3repE0EEENS1_38merge_mergepath_config_static_selectorELNS0_4arch9wavefront6targetE1EEEvSL_
                                        ; -- End function
	.section	.AMDGPU.csdata,"",@progbits
; Kernel info:
; codeLenInByte = 0
; NumSgprs: 4
; NumVgprs: 0
; NumAgprs: 0
; TotalNumVgprs: 0
; ScratchSize: 0
; MemoryBound: 0
; FloatMode: 240
; IeeeMode: 1
; LDSByteSize: 0 bytes/workgroup (compile time only)
; SGPRBlocks: 0
; VGPRBlocks: 0
; NumSGPRsForWavesPerEU: 4
; NumVGPRsForWavesPerEU: 1
; AccumOffset: 4
; Occupancy: 8
; WaveLimiterHint : 0
; COMPUTE_PGM_RSRC2:SCRATCH_EN: 0
; COMPUTE_PGM_RSRC2:USER_SGPR: 6
; COMPUTE_PGM_RSRC2:TRAP_HANDLER: 0
; COMPUTE_PGM_RSRC2:TGID_X_EN: 1
; COMPUTE_PGM_RSRC2:TGID_Y_EN: 0
; COMPUTE_PGM_RSRC2:TGID_Z_EN: 0
; COMPUTE_PGM_RSRC2:TIDIG_COMP_CNT: 0
; COMPUTE_PGM_RSRC3_GFX90A:ACCUM_OFFSET: 0
; COMPUTE_PGM_RSRC3_GFX90A:TG_SPLIT: 0
	.section	.text._ZN7rocprim17ROCPRIM_400000_NS6detail17trampoline_kernelINS0_14default_configENS1_38merge_sort_block_merge_config_selectorIxNS0_10empty_typeEEEZZNS1_27merge_sort_block_merge_implIS3_N6thrust23THRUST_200600_302600_NS6detail15normal_iteratorINS9_10device_ptrIxEEEEPS5_jNS1_19radix_merge_compareILb0ELb1ExNS0_19identity_decomposerEEEEE10hipError_tT0_T1_T2_jT3_P12ihipStream_tbPNSt15iterator_traitsISK_E10value_typeEPNSQ_ISL_E10value_typeEPSM_NS1_7vsmem_tEENKUlT_SK_SL_SM_E_clISE_PxSF_SF_EESJ_SZ_SK_SL_SM_EUlSZ_E0_NS1_11comp_targetILNS1_3genE8ELNS1_11target_archE1030ELNS1_3gpuE2ELNS1_3repE0EEENS1_38merge_mergepath_config_static_selectorELNS0_4arch9wavefront6targetE1EEEvSL_,"axG",@progbits,_ZN7rocprim17ROCPRIM_400000_NS6detail17trampoline_kernelINS0_14default_configENS1_38merge_sort_block_merge_config_selectorIxNS0_10empty_typeEEEZZNS1_27merge_sort_block_merge_implIS3_N6thrust23THRUST_200600_302600_NS6detail15normal_iteratorINS9_10device_ptrIxEEEEPS5_jNS1_19radix_merge_compareILb0ELb1ExNS0_19identity_decomposerEEEEE10hipError_tT0_T1_T2_jT3_P12ihipStream_tbPNSt15iterator_traitsISK_E10value_typeEPNSQ_ISL_E10value_typeEPSM_NS1_7vsmem_tEENKUlT_SK_SL_SM_E_clISE_PxSF_SF_EESJ_SZ_SK_SL_SM_EUlSZ_E0_NS1_11comp_targetILNS1_3genE8ELNS1_11target_archE1030ELNS1_3gpuE2ELNS1_3repE0EEENS1_38merge_mergepath_config_static_selectorELNS0_4arch9wavefront6targetE1EEEvSL_,comdat
	.protected	_ZN7rocprim17ROCPRIM_400000_NS6detail17trampoline_kernelINS0_14default_configENS1_38merge_sort_block_merge_config_selectorIxNS0_10empty_typeEEEZZNS1_27merge_sort_block_merge_implIS3_N6thrust23THRUST_200600_302600_NS6detail15normal_iteratorINS9_10device_ptrIxEEEEPS5_jNS1_19radix_merge_compareILb0ELb1ExNS0_19identity_decomposerEEEEE10hipError_tT0_T1_T2_jT3_P12ihipStream_tbPNSt15iterator_traitsISK_E10value_typeEPNSQ_ISL_E10value_typeEPSM_NS1_7vsmem_tEENKUlT_SK_SL_SM_E_clISE_PxSF_SF_EESJ_SZ_SK_SL_SM_EUlSZ_E0_NS1_11comp_targetILNS1_3genE8ELNS1_11target_archE1030ELNS1_3gpuE2ELNS1_3repE0EEENS1_38merge_mergepath_config_static_selectorELNS0_4arch9wavefront6targetE1EEEvSL_ ; -- Begin function _ZN7rocprim17ROCPRIM_400000_NS6detail17trampoline_kernelINS0_14default_configENS1_38merge_sort_block_merge_config_selectorIxNS0_10empty_typeEEEZZNS1_27merge_sort_block_merge_implIS3_N6thrust23THRUST_200600_302600_NS6detail15normal_iteratorINS9_10device_ptrIxEEEEPS5_jNS1_19radix_merge_compareILb0ELb1ExNS0_19identity_decomposerEEEEE10hipError_tT0_T1_T2_jT3_P12ihipStream_tbPNSt15iterator_traitsISK_E10value_typeEPNSQ_ISL_E10value_typeEPSM_NS1_7vsmem_tEENKUlT_SK_SL_SM_E_clISE_PxSF_SF_EESJ_SZ_SK_SL_SM_EUlSZ_E0_NS1_11comp_targetILNS1_3genE8ELNS1_11target_archE1030ELNS1_3gpuE2ELNS1_3repE0EEENS1_38merge_mergepath_config_static_selectorELNS0_4arch9wavefront6targetE1EEEvSL_
	.globl	_ZN7rocprim17ROCPRIM_400000_NS6detail17trampoline_kernelINS0_14default_configENS1_38merge_sort_block_merge_config_selectorIxNS0_10empty_typeEEEZZNS1_27merge_sort_block_merge_implIS3_N6thrust23THRUST_200600_302600_NS6detail15normal_iteratorINS9_10device_ptrIxEEEEPS5_jNS1_19radix_merge_compareILb0ELb1ExNS0_19identity_decomposerEEEEE10hipError_tT0_T1_T2_jT3_P12ihipStream_tbPNSt15iterator_traitsISK_E10value_typeEPNSQ_ISL_E10value_typeEPSM_NS1_7vsmem_tEENKUlT_SK_SL_SM_E_clISE_PxSF_SF_EESJ_SZ_SK_SL_SM_EUlSZ_E0_NS1_11comp_targetILNS1_3genE8ELNS1_11target_archE1030ELNS1_3gpuE2ELNS1_3repE0EEENS1_38merge_mergepath_config_static_selectorELNS0_4arch9wavefront6targetE1EEEvSL_
	.p2align	8
	.type	_ZN7rocprim17ROCPRIM_400000_NS6detail17trampoline_kernelINS0_14default_configENS1_38merge_sort_block_merge_config_selectorIxNS0_10empty_typeEEEZZNS1_27merge_sort_block_merge_implIS3_N6thrust23THRUST_200600_302600_NS6detail15normal_iteratorINS9_10device_ptrIxEEEEPS5_jNS1_19radix_merge_compareILb0ELb1ExNS0_19identity_decomposerEEEEE10hipError_tT0_T1_T2_jT3_P12ihipStream_tbPNSt15iterator_traitsISK_E10value_typeEPNSQ_ISL_E10value_typeEPSM_NS1_7vsmem_tEENKUlT_SK_SL_SM_E_clISE_PxSF_SF_EESJ_SZ_SK_SL_SM_EUlSZ_E0_NS1_11comp_targetILNS1_3genE8ELNS1_11target_archE1030ELNS1_3gpuE2ELNS1_3repE0EEENS1_38merge_mergepath_config_static_selectorELNS0_4arch9wavefront6targetE1EEEvSL_,@function
_ZN7rocprim17ROCPRIM_400000_NS6detail17trampoline_kernelINS0_14default_configENS1_38merge_sort_block_merge_config_selectorIxNS0_10empty_typeEEEZZNS1_27merge_sort_block_merge_implIS3_N6thrust23THRUST_200600_302600_NS6detail15normal_iteratorINS9_10device_ptrIxEEEEPS5_jNS1_19radix_merge_compareILb0ELb1ExNS0_19identity_decomposerEEEEE10hipError_tT0_T1_T2_jT3_P12ihipStream_tbPNSt15iterator_traitsISK_E10value_typeEPNSQ_ISL_E10value_typeEPSM_NS1_7vsmem_tEENKUlT_SK_SL_SM_E_clISE_PxSF_SF_EESJ_SZ_SK_SL_SM_EUlSZ_E0_NS1_11comp_targetILNS1_3genE8ELNS1_11target_archE1030ELNS1_3gpuE2ELNS1_3repE0EEENS1_38merge_mergepath_config_static_selectorELNS0_4arch9wavefront6targetE1EEEvSL_: ; @_ZN7rocprim17ROCPRIM_400000_NS6detail17trampoline_kernelINS0_14default_configENS1_38merge_sort_block_merge_config_selectorIxNS0_10empty_typeEEEZZNS1_27merge_sort_block_merge_implIS3_N6thrust23THRUST_200600_302600_NS6detail15normal_iteratorINS9_10device_ptrIxEEEEPS5_jNS1_19radix_merge_compareILb0ELb1ExNS0_19identity_decomposerEEEEE10hipError_tT0_T1_T2_jT3_P12ihipStream_tbPNSt15iterator_traitsISK_E10value_typeEPNSQ_ISL_E10value_typeEPSM_NS1_7vsmem_tEENKUlT_SK_SL_SM_E_clISE_PxSF_SF_EESJ_SZ_SK_SL_SM_EUlSZ_E0_NS1_11comp_targetILNS1_3genE8ELNS1_11target_archE1030ELNS1_3gpuE2ELNS1_3repE0EEENS1_38merge_mergepath_config_static_selectorELNS0_4arch9wavefront6targetE1EEEvSL_
; %bb.0:
	.section	.rodata,"a",@progbits
	.p2align	6, 0x0
	.amdhsa_kernel _ZN7rocprim17ROCPRIM_400000_NS6detail17trampoline_kernelINS0_14default_configENS1_38merge_sort_block_merge_config_selectorIxNS0_10empty_typeEEEZZNS1_27merge_sort_block_merge_implIS3_N6thrust23THRUST_200600_302600_NS6detail15normal_iteratorINS9_10device_ptrIxEEEEPS5_jNS1_19radix_merge_compareILb0ELb1ExNS0_19identity_decomposerEEEEE10hipError_tT0_T1_T2_jT3_P12ihipStream_tbPNSt15iterator_traitsISK_E10value_typeEPNSQ_ISL_E10value_typeEPSM_NS1_7vsmem_tEENKUlT_SK_SL_SM_E_clISE_PxSF_SF_EESJ_SZ_SK_SL_SM_EUlSZ_E0_NS1_11comp_targetILNS1_3genE8ELNS1_11target_archE1030ELNS1_3gpuE2ELNS1_3repE0EEENS1_38merge_mergepath_config_static_selectorELNS0_4arch9wavefront6targetE1EEEvSL_
		.amdhsa_group_segment_fixed_size 0
		.amdhsa_private_segment_fixed_size 0
		.amdhsa_kernarg_size 72
		.amdhsa_user_sgpr_count 6
		.amdhsa_user_sgpr_private_segment_buffer 1
		.amdhsa_user_sgpr_dispatch_ptr 0
		.amdhsa_user_sgpr_queue_ptr 0
		.amdhsa_user_sgpr_kernarg_segment_ptr 1
		.amdhsa_user_sgpr_dispatch_id 0
		.amdhsa_user_sgpr_flat_scratch_init 0
		.amdhsa_user_sgpr_kernarg_preload_length 0
		.amdhsa_user_sgpr_kernarg_preload_offset 0
		.amdhsa_user_sgpr_private_segment_size 0
		.amdhsa_uses_dynamic_stack 0
		.amdhsa_system_sgpr_private_segment_wavefront_offset 0
		.amdhsa_system_sgpr_workgroup_id_x 1
		.amdhsa_system_sgpr_workgroup_id_y 0
		.amdhsa_system_sgpr_workgroup_id_z 0
		.amdhsa_system_sgpr_workgroup_info 0
		.amdhsa_system_vgpr_workitem_id 0
		.amdhsa_next_free_vgpr 1
		.amdhsa_next_free_sgpr 0
		.amdhsa_accum_offset 4
		.amdhsa_reserve_vcc 0
		.amdhsa_reserve_flat_scratch 0
		.amdhsa_float_round_mode_32 0
		.amdhsa_float_round_mode_16_64 0
		.amdhsa_float_denorm_mode_32 3
		.amdhsa_float_denorm_mode_16_64 3
		.amdhsa_dx10_clamp 1
		.amdhsa_ieee_mode 1
		.amdhsa_fp16_overflow 0
		.amdhsa_tg_split 0
		.amdhsa_exception_fp_ieee_invalid_op 0
		.amdhsa_exception_fp_denorm_src 0
		.amdhsa_exception_fp_ieee_div_zero 0
		.amdhsa_exception_fp_ieee_overflow 0
		.amdhsa_exception_fp_ieee_underflow 0
		.amdhsa_exception_fp_ieee_inexact 0
		.amdhsa_exception_int_div_zero 0
	.end_amdhsa_kernel
	.section	.text._ZN7rocprim17ROCPRIM_400000_NS6detail17trampoline_kernelINS0_14default_configENS1_38merge_sort_block_merge_config_selectorIxNS0_10empty_typeEEEZZNS1_27merge_sort_block_merge_implIS3_N6thrust23THRUST_200600_302600_NS6detail15normal_iteratorINS9_10device_ptrIxEEEEPS5_jNS1_19radix_merge_compareILb0ELb1ExNS0_19identity_decomposerEEEEE10hipError_tT0_T1_T2_jT3_P12ihipStream_tbPNSt15iterator_traitsISK_E10value_typeEPNSQ_ISL_E10value_typeEPSM_NS1_7vsmem_tEENKUlT_SK_SL_SM_E_clISE_PxSF_SF_EESJ_SZ_SK_SL_SM_EUlSZ_E0_NS1_11comp_targetILNS1_3genE8ELNS1_11target_archE1030ELNS1_3gpuE2ELNS1_3repE0EEENS1_38merge_mergepath_config_static_selectorELNS0_4arch9wavefront6targetE1EEEvSL_,"axG",@progbits,_ZN7rocprim17ROCPRIM_400000_NS6detail17trampoline_kernelINS0_14default_configENS1_38merge_sort_block_merge_config_selectorIxNS0_10empty_typeEEEZZNS1_27merge_sort_block_merge_implIS3_N6thrust23THRUST_200600_302600_NS6detail15normal_iteratorINS9_10device_ptrIxEEEEPS5_jNS1_19radix_merge_compareILb0ELb1ExNS0_19identity_decomposerEEEEE10hipError_tT0_T1_T2_jT3_P12ihipStream_tbPNSt15iterator_traitsISK_E10value_typeEPNSQ_ISL_E10value_typeEPSM_NS1_7vsmem_tEENKUlT_SK_SL_SM_E_clISE_PxSF_SF_EESJ_SZ_SK_SL_SM_EUlSZ_E0_NS1_11comp_targetILNS1_3genE8ELNS1_11target_archE1030ELNS1_3gpuE2ELNS1_3repE0EEENS1_38merge_mergepath_config_static_selectorELNS0_4arch9wavefront6targetE1EEEvSL_,comdat
.Lfunc_end1506:
	.size	_ZN7rocprim17ROCPRIM_400000_NS6detail17trampoline_kernelINS0_14default_configENS1_38merge_sort_block_merge_config_selectorIxNS0_10empty_typeEEEZZNS1_27merge_sort_block_merge_implIS3_N6thrust23THRUST_200600_302600_NS6detail15normal_iteratorINS9_10device_ptrIxEEEEPS5_jNS1_19radix_merge_compareILb0ELb1ExNS0_19identity_decomposerEEEEE10hipError_tT0_T1_T2_jT3_P12ihipStream_tbPNSt15iterator_traitsISK_E10value_typeEPNSQ_ISL_E10value_typeEPSM_NS1_7vsmem_tEENKUlT_SK_SL_SM_E_clISE_PxSF_SF_EESJ_SZ_SK_SL_SM_EUlSZ_E0_NS1_11comp_targetILNS1_3genE8ELNS1_11target_archE1030ELNS1_3gpuE2ELNS1_3repE0EEENS1_38merge_mergepath_config_static_selectorELNS0_4arch9wavefront6targetE1EEEvSL_, .Lfunc_end1506-_ZN7rocprim17ROCPRIM_400000_NS6detail17trampoline_kernelINS0_14default_configENS1_38merge_sort_block_merge_config_selectorIxNS0_10empty_typeEEEZZNS1_27merge_sort_block_merge_implIS3_N6thrust23THRUST_200600_302600_NS6detail15normal_iteratorINS9_10device_ptrIxEEEEPS5_jNS1_19radix_merge_compareILb0ELb1ExNS0_19identity_decomposerEEEEE10hipError_tT0_T1_T2_jT3_P12ihipStream_tbPNSt15iterator_traitsISK_E10value_typeEPNSQ_ISL_E10value_typeEPSM_NS1_7vsmem_tEENKUlT_SK_SL_SM_E_clISE_PxSF_SF_EESJ_SZ_SK_SL_SM_EUlSZ_E0_NS1_11comp_targetILNS1_3genE8ELNS1_11target_archE1030ELNS1_3gpuE2ELNS1_3repE0EEENS1_38merge_mergepath_config_static_selectorELNS0_4arch9wavefront6targetE1EEEvSL_
                                        ; -- End function
	.section	.AMDGPU.csdata,"",@progbits
; Kernel info:
; codeLenInByte = 0
; NumSgprs: 4
; NumVgprs: 0
; NumAgprs: 0
; TotalNumVgprs: 0
; ScratchSize: 0
; MemoryBound: 0
; FloatMode: 240
; IeeeMode: 1
; LDSByteSize: 0 bytes/workgroup (compile time only)
; SGPRBlocks: 0
; VGPRBlocks: 0
; NumSGPRsForWavesPerEU: 4
; NumVGPRsForWavesPerEU: 1
; AccumOffset: 4
; Occupancy: 8
; WaveLimiterHint : 0
; COMPUTE_PGM_RSRC2:SCRATCH_EN: 0
; COMPUTE_PGM_RSRC2:USER_SGPR: 6
; COMPUTE_PGM_RSRC2:TRAP_HANDLER: 0
; COMPUTE_PGM_RSRC2:TGID_X_EN: 1
; COMPUTE_PGM_RSRC2:TGID_Y_EN: 0
; COMPUTE_PGM_RSRC2:TGID_Z_EN: 0
; COMPUTE_PGM_RSRC2:TIDIG_COMP_CNT: 0
; COMPUTE_PGM_RSRC3_GFX90A:ACCUM_OFFSET: 0
; COMPUTE_PGM_RSRC3_GFX90A:TG_SPLIT: 0
	.section	.text._ZN7rocprim17ROCPRIM_400000_NS6detail17trampoline_kernelINS0_14default_configENS1_38merge_sort_block_merge_config_selectorIxNS0_10empty_typeEEEZZNS1_27merge_sort_block_merge_implIS3_N6thrust23THRUST_200600_302600_NS6detail15normal_iteratorINS9_10device_ptrIxEEEEPS5_jNS1_19radix_merge_compareILb0ELb1ExNS0_19identity_decomposerEEEEE10hipError_tT0_T1_T2_jT3_P12ihipStream_tbPNSt15iterator_traitsISK_E10value_typeEPNSQ_ISL_E10value_typeEPSM_NS1_7vsmem_tEENKUlT_SK_SL_SM_E_clISE_PxSF_SF_EESJ_SZ_SK_SL_SM_EUlSZ_E1_NS1_11comp_targetILNS1_3genE0ELNS1_11target_archE4294967295ELNS1_3gpuE0ELNS1_3repE0EEENS1_36merge_oddeven_config_static_selectorELNS0_4arch9wavefront6targetE1EEEvSL_,"axG",@progbits,_ZN7rocprim17ROCPRIM_400000_NS6detail17trampoline_kernelINS0_14default_configENS1_38merge_sort_block_merge_config_selectorIxNS0_10empty_typeEEEZZNS1_27merge_sort_block_merge_implIS3_N6thrust23THRUST_200600_302600_NS6detail15normal_iteratorINS9_10device_ptrIxEEEEPS5_jNS1_19radix_merge_compareILb0ELb1ExNS0_19identity_decomposerEEEEE10hipError_tT0_T1_T2_jT3_P12ihipStream_tbPNSt15iterator_traitsISK_E10value_typeEPNSQ_ISL_E10value_typeEPSM_NS1_7vsmem_tEENKUlT_SK_SL_SM_E_clISE_PxSF_SF_EESJ_SZ_SK_SL_SM_EUlSZ_E1_NS1_11comp_targetILNS1_3genE0ELNS1_11target_archE4294967295ELNS1_3gpuE0ELNS1_3repE0EEENS1_36merge_oddeven_config_static_selectorELNS0_4arch9wavefront6targetE1EEEvSL_,comdat
	.protected	_ZN7rocprim17ROCPRIM_400000_NS6detail17trampoline_kernelINS0_14default_configENS1_38merge_sort_block_merge_config_selectorIxNS0_10empty_typeEEEZZNS1_27merge_sort_block_merge_implIS3_N6thrust23THRUST_200600_302600_NS6detail15normal_iteratorINS9_10device_ptrIxEEEEPS5_jNS1_19radix_merge_compareILb0ELb1ExNS0_19identity_decomposerEEEEE10hipError_tT0_T1_T2_jT3_P12ihipStream_tbPNSt15iterator_traitsISK_E10value_typeEPNSQ_ISL_E10value_typeEPSM_NS1_7vsmem_tEENKUlT_SK_SL_SM_E_clISE_PxSF_SF_EESJ_SZ_SK_SL_SM_EUlSZ_E1_NS1_11comp_targetILNS1_3genE0ELNS1_11target_archE4294967295ELNS1_3gpuE0ELNS1_3repE0EEENS1_36merge_oddeven_config_static_selectorELNS0_4arch9wavefront6targetE1EEEvSL_ ; -- Begin function _ZN7rocprim17ROCPRIM_400000_NS6detail17trampoline_kernelINS0_14default_configENS1_38merge_sort_block_merge_config_selectorIxNS0_10empty_typeEEEZZNS1_27merge_sort_block_merge_implIS3_N6thrust23THRUST_200600_302600_NS6detail15normal_iteratorINS9_10device_ptrIxEEEEPS5_jNS1_19radix_merge_compareILb0ELb1ExNS0_19identity_decomposerEEEEE10hipError_tT0_T1_T2_jT3_P12ihipStream_tbPNSt15iterator_traitsISK_E10value_typeEPNSQ_ISL_E10value_typeEPSM_NS1_7vsmem_tEENKUlT_SK_SL_SM_E_clISE_PxSF_SF_EESJ_SZ_SK_SL_SM_EUlSZ_E1_NS1_11comp_targetILNS1_3genE0ELNS1_11target_archE4294967295ELNS1_3gpuE0ELNS1_3repE0EEENS1_36merge_oddeven_config_static_selectorELNS0_4arch9wavefront6targetE1EEEvSL_
	.globl	_ZN7rocprim17ROCPRIM_400000_NS6detail17trampoline_kernelINS0_14default_configENS1_38merge_sort_block_merge_config_selectorIxNS0_10empty_typeEEEZZNS1_27merge_sort_block_merge_implIS3_N6thrust23THRUST_200600_302600_NS6detail15normal_iteratorINS9_10device_ptrIxEEEEPS5_jNS1_19radix_merge_compareILb0ELb1ExNS0_19identity_decomposerEEEEE10hipError_tT0_T1_T2_jT3_P12ihipStream_tbPNSt15iterator_traitsISK_E10value_typeEPNSQ_ISL_E10value_typeEPSM_NS1_7vsmem_tEENKUlT_SK_SL_SM_E_clISE_PxSF_SF_EESJ_SZ_SK_SL_SM_EUlSZ_E1_NS1_11comp_targetILNS1_3genE0ELNS1_11target_archE4294967295ELNS1_3gpuE0ELNS1_3repE0EEENS1_36merge_oddeven_config_static_selectorELNS0_4arch9wavefront6targetE1EEEvSL_
	.p2align	8
	.type	_ZN7rocprim17ROCPRIM_400000_NS6detail17trampoline_kernelINS0_14default_configENS1_38merge_sort_block_merge_config_selectorIxNS0_10empty_typeEEEZZNS1_27merge_sort_block_merge_implIS3_N6thrust23THRUST_200600_302600_NS6detail15normal_iteratorINS9_10device_ptrIxEEEEPS5_jNS1_19radix_merge_compareILb0ELb1ExNS0_19identity_decomposerEEEEE10hipError_tT0_T1_T2_jT3_P12ihipStream_tbPNSt15iterator_traitsISK_E10value_typeEPNSQ_ISL_E10value_typeEPSM_NS1_7vsmem_tEENKUlT_SK_SL_SM_E_clISE_PxSF_SF_EESJ_SZ_SK_SL_SM_EUlSZ_E1_NS1_11comp_targetILNS1_3genE0ELNS1_11target_archE4294967295ELNS1_3gpuE0ELNS1_3repE0EEENS1_36merge_oddeven_config_static_selectorELNS0_4arch9wavefront6targetE1EEEvSL_,@function
_ZN7rocprim17ROCPRIM_400000_NS6detail17trampoline_kernelINS0_14default_configENS1_38merge_sort_block_merge_config_selectorIxNS0_10empty_typeEEEZZNS1_27merge_sort_block_merge_implIS3_N6thrust23THRUST_200600_302600_NS6detail15normal_iteratorINS9_10device_ptrIxEEEEPS5_jNS1_19radix_merge_compareILb0ELb1ExNS0_19identity_decomposerEEEEE10hipError_tT0_T1_T2_jT3_P12ihipStream_tbPNSt15iterator_traitsISK_E10value_typeEPNSQ_ISL_E10value_typeEPSM_NS1_7vsmem_tEENKUlT_SK_SL_SM_E_clISE_PxSF_SF_EESJ_SZ_SK_SL_SM_EUlSZ_E1_NS1_11comp_targetILNS1_3genE0ELNS1_11target_archE4294967295ELNS1_3gpuE0ELNS1_3repE0EEENS1_36merge_oddeven_config_static_selectorELNS0_4arch9wavefront6targetE1EEEvSL_: ; @_ZN7rocprim17ROCPRIM_400000_NS6detail17trampoline_kernelINS0_14default_configENS1_38merge_sort_block_merge_config_selectorIxNS0_10empty_typeEEEZZNS1_27merge_sort_block_merge_implIS3_N6thrust23THRUST_200600_302600_NS6detail15normal_iteratorINS9_10device_ptrIxEEEEPS5_jNS1_19radix_merge_compareILb0ELb1ExNS0_19identity_decomposerEEEEE10hipError_tT0_T1_T2_jT3_P12ihipStream_tbPNSt15iterator_traitsISK_E10value_typeEPNSQ_ISL_E10value_typeEPSM_NS1_7vsmem_tEENKUlT_SK_SL_SM_E_clISE_PxSF_SF_EESJ_SZ_SK_SL_SM_EUlSZ_E1_NS1_11comp_targetILNS1_3genE0ELNS1_11target_archE4294967295ELNS1_3gpuE0ELNS1_3repE0EEENS1_36merge_oddeven_config_static_selectorELNS0_4arch9wavefront6targetE1EEEvSL_
; %bb.0:
	.section	.rodata,"a",@progbits
	.p2align	6, 0x0
	.amdhsa_kernel _ZN7rocprim17ROCPRIM_400000_NS6detail17trampoline_kernelINS0_14default_configENS1_38merge_sort_block_merge_config_selectorIxNS0_10empty_typeEEEZZNS1_27merge_sort_block_merge_implIS3_N6thrust23THRUST_200600_302600_NS6detail15normal_iteratorINS9_10device_ptrIxEEEEPS5_jNS1_19radix_merge_compareILb0ELb1ExNS0_19identity_decomposerEEEEE10hipError_tT0_T1_T2_jT3_P12ihipStream_tbPNSt15iterator_traitsISK_E10value_typeEPNSQ_ISL_E10value_typeEPSM_NS1_7vsmem_tEENKUlT_SK_SL_SM_E_clISE_PxSF_SF_EESJ_SZ_SK_SL_SM_EUlSZ_E1_NS1_11comp_targetILNS1_3genE0ELNS1_11target_archE4294967295ELNS1_3gpuE0ELNS1_3repE0EEENS1_36merge_oddeven_config_static_selectorELNS0_4arch9wavefront6targetE1EEEvSL_
		.amdhsa_group_segment_fixed_size 0
		.amdhsa_private_segment_fixed_size 0
		.amdhsa_kernarg_size 48
		.amdhsa_user_sgpr_count 6
		.amdhsa_user_sgpr_private_segment_buffer 1
		.amdhsa_user_sgpr_dispatch_ptr 0
		.amdhsa_user_sgpr_queue_ptr 0
		.amdhsa_user_sgpr_kernarg_segment_ptr 1
		.amdhsa_user_sgpr_dispatch_id 0
		.amdhsa_user_sgpr_flat_scratch_init 0
		.amdhsa_user_sgpr_kernarg_preload_length 0
		.amdhsa_user_sgpr_kernarg_preload_offset 0
		.amdhsa_user_sgpr_private_segment_size 0
		.amdhsa_uses_dynamic_stack 0
		.amdhsa_system_sgpr_private_segment_wavefront_offset 0
		.amdhsa_system_sgpr_workgroup_id_x 1
		.amdhsa_system_sgpr_workgroup_id_y 0
		.amdhsa_system_sgpr_workgroup_id_z 0
		.amdhsa_system_sgpr_workgroup_info 0
		.amdhsa_system_vgpr_workitem_id 0
		.amdhsa_next_free_vgpr 1
		.amdhsa_next_free_sgpr 0
		.amdhsa_accum_offset 4
		.amdhsa_reserve_vcc 0
		.amdhsa_reserve_flat_scratch 0
		.amdhsa_float_round_mode_32 0
		.amdhsa_float_round_mode_16_64 0
		.amdhsa_float_denorm_mode_32 3
		.amdhsa_float_denorm_mode_16_64 3
		.amdhsa_dx10_clamp 1
		.amdhsa_ieee_mode 1
		.amdhsa_fp16_overflow 0
		.amdhsa_tg_split 0
		.amdhsa_exception_fp_ieee_invalid_op 0
		.amdhsa_exception_fp_denorm_src 0
		.amdhsa_exception_fp_ieee_div_zero 0
		.amdhsa_exception_fp_ieee_overflow 0
		.amdhsa_exception_fp_ieee_underflow 0
		.amdhsa_exception_fp_ieee_inexact 0
		.amdhsa_exception_int_div_zero 0
	.end_amdhsa_kernel
	.section	.text._ZN7rocprim17ROCPRIM_400000_NS6detail17trampoline_kernelINS0_14default_configENS1_38merge_sort_block_merge_config_selectorIxNS0_10empty_typeEEEZZNS1_27merge_sort_block_merge_implIS3_N6thrust23THRUST_200600_302600_NS6detail15normal_iteratorINS9_10device_ptrIxEEEEPS5_jNS1_19radix_merge_compareILb0ELb1ExNS0_19identity_decomposerEEEEE10hipError_tT0_T1_T2_jT3_P12ihipStream_tbPNSt15iterator_traitsISK_E10value_typeEPNSQ_ISL_E10value_typeEPSM_NS1_7vsmem_tEENKUlT_SK_SL_SM_E_clISE_PxSF_SF_EESJ_SZ_SK_SL_SM_EUlSZ_E1_NS1_11comp_targetILNS1_3genE0ELNS1_11target_archE4294967295ELNS1_3gpuE0ELNS1_3repE0EEENS1_36merge_oddeven_config_static_selectorELNS0_4arch9wavefront6targetE1EEEvSL_,"axG",@progbits,_ZN7rocprim17ROCPRIM_400000_NS6detail17trampoline_kernelINS0_14default_configENS1_38merge_sort_block_merge_config_selectorIxNS0_10empty_typeEEEZZNS1_27merge_sort_block_merge_implIS3_N6thrust23THRUST_200600_302600_NS6detail15normal_iteratorINS9_10device_ptrIxEEEEPS5_jNS1_19radix_merge_compareILb0ELb1ExNS0_19identity_decomposerEEEEE10hipError_tT0_T1_T2_jT3_P12ihipStream_tbPNSt15iterator_traitsISK_E10value_typeEPNSQ_ISL_E10value_typeEPSM_NS1_7vsmem_tEENKUlT_SK_SL_SM_E_clISE_PxSF_SF_EESJ_SZ_SK_SL_SM_EUlSZ_E1_NS1_11comp_targetILNS1_3genE0ELNS1_11target_archE4294967295ELNS1_3gpuE0ELNS1_3repE0EEENS1_36merge_oddeven_config_static_selectorELNS0_4arch9wavefront6targetE1EEEvSL_,comdat
.Lfunc_end1507:
	.size	_ZN7rocprim17ROCPRIM_400000_NS6detail17trampoline_kernelINS0_14default_configENS1_38merge_sort_block_merge_config_selectorIxNS0_10empty_typeEEEZZNS1_27merge_sort_block_merge_implIS3_N6thrust23THRUST_200600_302600_NS6detail15normal_iteratorINS9_10device_ptrIxEEEEPS5_jNS1_19radix_merge_compareILb0ELb1ExNS0_19identity_decomposerEEEEE10hipError_tT0_T1_T2_jT3_P12ihipStream_tbPNSt15iterator_traitsISK_E10value_typeEPNSQ_ISL_E10value_typeEPSM_NS1_7vsmem_tEENKUlT_SK_SL_SM_E_clISE_PxSF_SF_EESJ_SZ_SK_SL_SM_EUlSZ_E1_NS1_11comp_targetILNS1_3genE0ELNS1_11target_archE4294967295ELNS1_3gpuE0ELNS1_3repE0EEENS1_36merge_oddeven_config_static_selectorELNS0_4arch9wavefront6targetE1EEEvSL_, .Lfunc_end1507-_ZN7rocprim17ROCPRIM_400000_NS6detail17trampoline_kernelINS0_14default_configENS1_38merge_sort_block_merge_config_selectorIxNS0_10empty_typeEEEZZNS1_27merge_sort_block_merge_implIS3_N6thrust23THRUST_200600_302600_NS6detail15normal_iteratorINS9_10device_ptrIxEEEEPS5_jNS1_19radix_merge_compareILb0ELb1ExNS0_19identity_decomposerEEEEE10hipError_tT0_T1_T2_jT3_P12ihipStream_tbPNSt15iterator_traitsISK_E10value_typeEPNSQ_ISL_E10value_typeEPSM_NS1_7vsmem_tEENKUlT_SK_SL_SM_E_clISE_PxSF_SF_EESJ_SZ_SK_SL_SM_EUlSZ_E1_NS1_11comp_targetILNS1_3genE0ELNS1_11target_archE4294967295ELNS1_3gpuE0ELNS1_3repE0EEENS1_36merge_oddeven_config_static_selectorELNS0_4arch9wavefront6targetE1EEEvSL_
                                        ; -- End function
	.section	.AMDGPU.csdata,"",@progbits
; Kernel info:
; codeLenInByte = 0
; NumSgprs: 4
; NumVgprs: 0
; NumAgprs: 0
; TotalNumVgprs: 0
; ScratchSize: 0
; MemoryBound: 0
; FloatMode: 240
; IeeeMode: 1
; LDSByteSize: 0 bytes/workgroup (compile time only)
; SGPRBlocks: 0
; VGPRBlocks: 0
; NumSGPRsForWavesPerEU: 4
; NumVGPRsForWavesPerEU: 1
; AccumOffset: 4
; Occupancy: 8
; WaveLimiterHint : 0
; COMPUTE_PGM_RSRC2:SCRATCH_EN: 0
; COMPUTE_PGM_RSRC2:USER_SGPR: 6
; COMPUTE_PGM_RSRC2:TRAP_HANDLER: 0
; COMPUTE_PGM_RSRC2:TGID_X_EN: 1
; COMPUTE_PGM_RSRC2:TGID_Y_EN: 0
; COMPUTE_PGM_RSRC2:TGID_Z_EN: 0
; COMPUTE_PGM_RSRC2:TIDIG_COMP_CNT: 0
; COMPUTE_PGM_RSRC3_GFX90A:ACCUM_OFFSET: 0
; COMPUTE_PGM_RSRC3_GFX90A:TG_SPLIT: 0
	.section	.text._ZN7rocprim17ROCPRIM_400000_NS6detail17trampoline_kernelINS0_14default_configENS1_38merge_sort_block_merge_config_selectorIxNS0_10empty_typeEEEZZNS1_27merge_sort_block_merge_implIS3_N6thrust23THRUST_200600_302600_NS6detail15normal_iteratorINS9_10device_ptrIxEEEEPS5_jNS1_19radix_merge_compareILb0ELb1ExNS0_19identity_decomposerEEEEE10hipError_tT0_T1_T2_jT3_P12ihipStream_tbPNSt15iterator_traitsISK_E10value_typeEPNSQ_ISL_E10value_typeEPSM_NS1_7vsmem_tEENKUlT_SK_SL_SM_E_clISE_PxSF_SF_EESJ_SZ_SK_SL_SM_EUlSZ_E1_NS1_11comp_targetILNS1_3genE10ELNS1_11target_archE1201ELNS1_3gpuE5ELNS1_3repE0EEENS1_36merge_oddeven_config_static_selectorELNS0_4arch9wavefront6targetE1EEEvSL_,"axG",@progbits,_ZN7rocprim17ROCPRIM_400000_NS6detail17trampoline_kernelINS0_14default_configENS1_38merge_sort_block_merge_config_selectorIxNS0_10empty_typeEEEZZNS1_27merge_sort_block_merge_implIS3_N6thrust23THRUST_200600_302600_NS6detail15normal_iteratorINS9_10device_ptrIxEEEEPS5_jNS1_19radix_merge_compareILb0ELb1ExNS0_19identity_decomposerEEEEE10hipError_tT0_T1_T2_jT3_P12ihipStream_tbPNSt15iterator_traitsISK_E10value_typeEPNSQ_ISL_E10value_typeEPSM_NS1_7vsmem_tEENKUlT_SK_SL_SM_E_clISE_PxSF_SF_EESJ_SZ_SK_SL_SM_EUlSZ_E1_NS1_11comp_targetILNS1_3genE10ELNS1_11target_archE1201ELNS1_3gpuE5ELNS1_3repE0EEENS1_36merge_oddeven_config_static_selectorELNS0_4arch9wavefront6targetE1EEEvSL_,comdat
	.protected	_ZN7rocprim17ROCPRIM_400000_NS6detail17trampoline_kernelINS0_14default_configENS1_38merge_sort_block_merge_config_selectorIxNS0_10empty_typeEEEZZNS1_27merge_sort_block_merge_implIS3_N6thrust23THRUST_200600_302600_NS6detail15normal_iteratorINS9_10device_ptrIxEEEEPS5_jNS1_19radix_merge_compareILb0ELb1ExNS0_19identity_decomposerEEEEE10hipError_tT0_T1_T2_jT3_P12ihipStream_tbPNSt15iterator_traitsISK_E10value_typeEPNSQ_ISL_E10value_typeEPSM_NS1_7vsmem_tEENKUlT_SK_SL_SM_E_clISE_PxSF_SF_EESJ_SZ_SK_SL_SM_EUlSZ_E1_NS1_11comp_targetILNS1_3genE10ELNS1_11target_archE1201ELNS1_3gpuE5ELNS1_3repE0EEENS1_36merge_oddeven_config_static_selectorELNS0_4arch9wavefront6targetE1EEEvSL_ ; -- Begin function _ZN7rocprim17ROCPRIM_400000_NS6detail17trampoline_kernelINS0_14default_configENS1_38merge_sort_block_merge_config_selectorIxNS0_10empty_typeEEEZZNS1_27merge_sort_block_merge_implIS3_N6thrust23THRUST_200600_302600_NS6detail15normal_iteratorINS9_10device_ptrIxEEEEPS5_jNS1_19radix_merge_compareILb0ELb1ExNS0_19identity_decomposerEEEEE10hipError_tT0_T1_T2_jT3_P12ihipStream_tbPNSt15iterator_traitsISK_E10value_typeEPNSQ_ISL_E10value_typeEPSM_NS1_7vsmem_tEENKUlT_SK_SL_SM_E_clISE_PxSF_SF_EESJ_SZ_SK_SL_SM_EUlSZ_E1_NS1_11comp_targetILNS1_3genE10ELNS1_11target_archE1201ELNS1_3gpuE5ELNS1_3repE0EEENS1_36merge_oddeven_config_static_selectorELNS0_4arch9wavefront6targetE1EEEvSL_
	.globl	_ZN7rocprim17ROCPRIM_400000_NS6detail17trampoline_kernelINS0_14default_configENS1_38merge_sort_block_merge_config_selectorIxNS0_10empty_typeEEEZZNS1_27merge_sort_block_merge_implIS3_N6thrust23THRUST_200600_302600_NS6detail15normal_iteratorINS9_10device_ptrIxEEEEPS5_jNS1_19radix_merge_compareILb0ELb1ExNS0_19identity_decomposerEEEEE10hipError_tT0_T1_T2_jT3_P12ihipStream_tbPNSt15iterator_traitsISK_E10value_typeEPNSQ_ISL_E10value_typeEPSM_NS1_7vsmem_tEENKUlT_SK_SL_SM_E_clISE_PxSF_SF_EESJ_SZ_SK_SL_SM_EUlSZ_E1_NS1_11comp_targetILNS1_3genE10ELNS1_11target_archE1201ELNS1_3gpuE5ELNS1_3repE0EEENS1_36merge_oddeven_config_static_selectorELNS0_4arch9wavefront6targetE1EEEvSL_
	.p2align	8
	.type	_ZN7rocprim17ROCPRIM_400000_NS6detail17trampoline_kernelINS0_14default_configENS1_38merge_sort_block_merge_config_selectorIxNS0_10empty_typeEEEZZNS1_27merge_sort_block_merge_implIS3_N6thrust23THRUST_200600_302600_NS6detail15normal_iteratorINS9_10device_ptrIxEEEEPS5_jNS1_19radix_merge_compareILb0ELb1ExNS0_19identity_decomposerEEEEE10hipError_tT0_T1_T2_jT3_P12ihipStream_tbPNSt15iterator_traitsISK_E10value_typeEPNSQ_ISL_E10value_typeEPSM_NS1_7vsmem_tEENKUlT_SK_SL_SM_E_clISE_PxSF_SF_EESJ_SZ_SK_SL_SM_EUlSZ_E1_NS1_11comp_targetILNS1_3genE10ELNS1_11target_archE1201ELNS1_3gpuE5ELNS1_3repE0EEENS1_36merge_oddeven_config_static_selectorELNS0_4arch9wavefront6targetE1EEEvSL_,@function
_ZN7rocprim17ROCPRIM_400000_NS6detail17trampoline_kernelINS0_14default_configENS1_38merge_sort_block_merge_config_selectorIxNS0_10empty_typeEEEZZNS1_27merge_sort_block_merge_implIS3_N6thrust23THRUST_200600_302600_NS6detail15normal_iteratorINS9_10device_ptrIxEEEEPS5_jNS1_19radix_merge_compareILb0ELb1ExNS0_19identity_decomposerEEEEE10hipError_tT0_T1_T2_jT3_P12ihipStream_tbPNSt15iterator_traitsISK_E10value_typeEPNSQ_ISL_E10value_typeEPSM_NS1_7vsmem_tEENKUlT_SK_SL_SM_E_clISE_PxSF_SF_EESJ_SZ_SK_SL_SM_EUlSZ_E1_NS1_11comp_targetILNS1_3genE10ELNS1_11target_archE1201ELNS1_3gpuE5ELNS1_3repE0EEENS1_36merge_oddeven_config_static_selectorELNS0_4arch9wavefront6targetE1EEEvSL_: ; @_ZN7rocprim17ROCPRIM_400000_NS6detail17trampoline_kernelINS0_14default_configENS1_38merge_sort_block_merge_config_selectorIxNS0_10empty_typeEEEZZNS1_27merge_sort_block_merge_implIS3_N6thrust23THRUST_200600_302600_NS6detail15normal_iteratorINS9_10device_ptrIxEEEEPS5_jNS1_19radix_merge_compareILb0ELb1ExNS0_19identity_decomposerEEEEE10hipError_tT0_T1_T2_jT3_P12ihipStream_tbPNSt15iterator_traitsISK_E10value_typeEPNSQ_ISL_E10value_typeEPSM_NS1_7vsmem_tEENKUlT_SK_SL_SM_E_clISE_PxSF_SF_EESJ_SZ_SK_SL_SM_EUlSZ_E1_NS1_11comp_targetILNS1_3genE10ELNS1_11target_archE1201ELNS1_3gpuE5ELNS1_3repE0EEENS1_36merge_oddeven_config_static_selectorELNS0_4arch9wavefront6targetE1EEEvSL_
; %bb.0:
	.section	.rodata,"a",@progbits
	.p2align	6, 0x0
	.amdhsa_kernel _ZN7rocprim17ROCPRIM_400000_NS6detail17trampoline_kernelINS0_14default_configENS1_38merge_sort_block_merge_config_selectorIxNS0_10empty_typeEEEZZNS1_27merge_sort_block_merge_implIS3_N6thrust23THRUST_200600_302600_NS6detail15normal_iteratorINS9_10device_ptrIxEEEEPS5_jNS1_19radix_merge_compareILb0ELb1ExNS0_19identity_decomposerEEEEE10hipError_tT0_T1_T2_jT3_P12ihipStream_tbPNSt15iterator_traitsISK_E10value_typeEPNSQ_ISL_E10value_typeEPSM_NS1_7vsmem_tEENKUlT_SK_SL_SM_E_clISE_PxSF_SF_EESJ_SZ_SK_SL_SM_EUlSZ_E1_NS1_11comp_targetILNS1_3genE10ELNS1_11target_archE1201ELNS1_3gpuE5ELNS1_3repE0EEENS1_36merge_oddeven_config_static_selectorELNS0_4arch9wavefront6targetE1EEEvSL_
		.amdhsa_group_segment_fixed_size 0
		.amdhsa_private_segment_fixed_size 0
		.amdhsa_kernarg_size 48
		.amdhsa_user_sgpr_count 6
		.amdhsa_user_sgpr_private_segment_buffer 1
		.amdhsa_user_sgpr_dispatch_ptr 0
		.amdhsa_user_sgpr_queue_ptr 0
		.amdhsa_user_sgpr_kernarg_segment_ptr 1
		.amdhsa_user_sgpr_dispatch_id 0
		.amdhsa_user_sgpr_flat_scratch_init 0
		.amdhsa_user_sgpr_kernarg_preload_length 0
		.amdhsa_user_sgpr_kernarg_preload_offset 0
		.amdhsa_user_sgpr_private_segment_size 0
		.amdhsa_uses_dynamic_stack 0
		.amdhsa_system_sgpr_private_segment_wavefront_offset 0
		.amdhsa_system_sgpr_workgroup_id_x 1
		.amdhsa_system_sgpr_workgroup_id_y 0
		.amdhsa_system_sgpr_workgroup_id_z 0
		.amdhsa_system_sgpr_workgroup_info 0
		.amdhsa_system_vgpr_workitem_id 0
		.amdhsa_next_free_vgpr 1
		.amdhsa_next_free_sgpr 0
		.amdhsa_accum_offset 4
		.amdhsa_reserve_vcc 0
		.amdhsa_reserve_flat_scratch 0
		.amdhsa_float_round_mode_32 0
		.amdhsa_float_round_mode_16_64 0
		.amdhsa_float_denorm_mode_32 3
		.amdhsa_float_denorm_mode_16_64 3
		.amdhsa_dx10_clamp 1
		.amdhsa_ieee_mode 1
		.amdhsa_fp16_overflow 0
		.amdhsa_tg_split 0
		.amdhsa_exception_fp_ieee_invalid_op 0
		.amdhsa_exception_fp_denorm_src 0
		.amdhsa_exception_fp_ieee_div_zero 0
		.amdhsa_exception_fp_ieee_overflow 0
		.amdhsa_exception_fp_ieee_underflow 0
		.amdhsa_exception_fp_ieee_inexact 0
		.amdhsa_exception_int_div_zero 0
	.end_amdhsa_kernel
	.section	.text._ZN7rocprim17ROCPRIM_400000_NS6detail17trampoline_kernelINS0_14default_configENS1_38merge_sort_block_merge_config_selectorIxNS0_10empty_typeEEEZZNS1_27merge_sort_block_merge_implIS3_N6thrust23THRUST_200600_302600_NS6detail15normal_iteratorINS9_10device_ptrIxEEEEPS5_jNS1_19radix_merge_compareILb0ELb1ExNS0_19identity_decomposerEEEEE10hipError_tT0_T1_T2_jT3_P12ihipStream_tbPNSt15iterator_traitsISK_E10value_typeEPNSQ_ISL_E10value_typeEPSM_NS1_7vsmem_tEENKUlT_SK_SL_SM_E_clISE_PxSF_SF_EESJ_SZ_SK_SL_SM_EUlSZ_E1_NS1_11comp_targetILNS1_3genE10ELNS1_11target_archE1201ELNS1_3gpuE5ELNS1_3repE0EEENS1_36merge_oddeven_config_static_selectorELNS0_4arch9wavefront6targetE1EEEvSL_,"axG",@progbits,_ZN7rocprim17ROCPRIM_400000_NS6detail17trampoline_kernelINS0_14default_configENS1_38merge_sort_block_merge_config_selectorIxNS0_10empty_typeEEEZZNS1_27merge_sort_block_merge_implIS3_N6thrust23THRUST_200600_302600_NS6detail15normal_iteratorINS9_10device_ptrIxEEEEPS5_jNS1_19radix_merge_compareILb0ELb1ExNS0_19identity_decomposerEEEEE10hipError_tT0_T1_T2_jT3_P12ihipStream_tbPNSt15iterator_traitsISK_E10value_typeEPNSQ_ISL_E10value_typeEPSM_NS1_7vsmem_tEENKUlT_SK_SL_SM_E_clISE_PxSF_SF_EESJ_SZ_SK_SL_SM_EUlSZ_E1_NS1_11comp_targetILNS1_3genE10ELNS1_11target_archE1201ELNS1_3gpuE5ELNS1_3repE0EEENS1_36merge_oddeven_config_static_selectorELNS0_4arch9wavefront6targetE1EEEvSL_,comdat
.Lfunc_end1508:
	.size	_ZN7rocprim17ROCPRIM_400000_NS6detail17trampoline_kernelINS0_14default_configENS1_38merge_sort_block_merge_config_selectorIxNS0_10empty_typeEEEZZNS1_27merge_sort_block_merge_implIS3_N6thrust23THRUST_200600_302600_NS6detail15normal_iteratorINS9_10device_ptrIxEEEEPS5_jNS1_19radix_merge_compareILb0ELb1ExNS0_19identity_decomposerEEEEE10hipError_tT0_T1_T2_jT3_P12ihipStream_tbPNSt15iterator_traitsISK_E10value_typeEPNSQ_ISL_E10value_typeEPSM_NS1_7vsmem_tEENKUlT_SK_SL_SM_E_clISE_PxSF_SF_EESJ_SZ_SK_SL_SM_EUlSZ_E1_NS1_11comp_targetILNS1_3genE10ELNS1_11target_archE1201ELNS1_3gpuE5ELNS1_3repE0EEENS1_36merge_oddeven_config_static_selectorELNS0_4arch9wavefront6targetE1EEEvSL_, .Lfunc_end1508-_ZN7rocprim17ROCPRIM_400000_NS6detail17trampoline_kernelINS0_14default_configENS1_38merge_sort_block_merge_config_selectorIxNS0_10empty_typeEEEZZNS1_27merge_sort_block_merge_implIS3_N6thrust23THRUST_200600_302600_NS6detail15normal_iteratorINS9_10device_ptrIxEEEEPS5_jNS1_19radix_merge_compareILb0ELb1ExNS0_19identity_decomposerEEEEE10hipError_tT0_T1_T2_jT3_P12ihipStream_tbPNSt15iterator_traitsISK_E10value_typeEPNSQ_ISL_E10value_typeEPSM_NS1_7vsmem_tEENKUlT_SK_SL_SM_E_clISE_PxSF_SF_EESJ_SZ_SK_SL_SM_EUlSZ_E1_NS1_11comp_targetILNS1_3genE10ELNS1_11target_archE1201ELNS1_3gpuE5ELNS1_3repE0EEENS1_36merge_oddeven_config_static_selectorELNS0_4arch9wavefront6targetE1EEEvSL_
                                        ; -- End function
	.section	.AMDGPU.csdata,"",@progbits
; Kernel info:
; codeLenInByte = 0
; NumSgprs: 4
; NumVgprs: 0
; NumAgprs: 0
; TotalNumVgprs: 0
; ScratchSize: 0
; MemoryBound: 0
; FloatMode: 240
; IeeeMode: 1
; LDSByteSize: 0 bytes/workgroup (compile time only)
; SGPRBlocks: 0
; VGPRBlocks: 0
; NumSGPRsForWavesPerEU: 4
; NumVGPRsForWavesPerEU: 1
; AccumOffset: 4
; Occupancy: 8
; WaveLimiterHint : 0
; COMPUTE_PGM_RSRC2:SCRATCH_EN: 0
; COMPUTE_PGM_RSRC2:USER_SGPR: 6
; COMPUTE_PGM_RSRC2:TRAP_HANDLER: 0
; COMPUTE_PGM_RSRC2:TGID_X_EN: 1
; COMPUTE_PGM_RSRC2:TGID_Y_EN: 0
; COMPUTE_PGM_RSRC2:TGID_Z_EN: 0
; COMPUTE_PGM_RSRC2:TIDIG_COMP_CNT: 0
; COMPUTE_PGM_RSRC3_GFX90A:ACCUM_OFFSET: 0
; COMPUTE_PGM_RSRC3_GFX90A:TG_SPLIT: 0
	.section	.text._ZN7rocprim17ROCPRIM_400000_NS6detail17trampoline_kernelINS0_14default_configENS1_38merge_sort_block_merge_config_selectorIxNS0_10empty_typeEEEZZNS1_27merge_sort_block_merge_implIS3_N6thrust23THRUST_200600_302600_NS6detail15normal_iteratorINS9_10device_ptrIxEEEEPS5_jNS1_19radix_merge_compareILb0ELb1ExNS0_19identity_decomposerEEEEE10hipError_tT0_T1_T2_jT3_P12ihipStream_tbPNSt15iterator_traitsISK_E10value_typeEPNSQ_ISL_E10value_typeEPSM_NS1_7vsmem_tEENKUlT_SK_SL_SM_E_clISE_PxSF_SF_EESJ_SZ_SK_SL_SM_EUlSZ_E1_NS1_11comp_targetILNS1_3genE5ELNS1_11target_archE942ELNS1_3gpuE9ELNS1_3repE0EEENS1_36merge_oddeven_config_static_selectorELNS0_4arch9wavefront6targetE1EEEvSL_,"axG",@progbits,_ZN7rocprim17ROCPRIM_400000_NS6detail17trampoline_kernelINS0_14default_configENS1_38merge_sort_block_merge_config_selectorIxNS0_10empty_typeEEEZZNS1_27merge_sort_block_merge_implIS3_N6thrust23THRUST_200600_302600_NS6detail15normal_iteratorINS9_10device_ptrIxEEEEPS5_jNS1_19radix_merge_compareILb0ELb1ExNS0_19identity_decomposerEEEEE10hipError_tT0_T1_T2_jT3_P12ihipStream_tbPNSt15iterator_traitsISK_E10value_typeEPNSQ_ISL_E10value_typeEPSM_NS1_7vsmem_tEENKUlT_SK_SL_SM_E_clISE_PxSF_SF_EESJ_SZ_SK_SL_SM_EUlSZ_E1_NS1_11comp_targetILNS1_3genE5ELNS1_11target_archE942ELNS1_3gpuE9ELNS1_3repE0EEENS1_36merge_oddeven_config_static_selectorELNS0_4arch9wavefront6targetE1EEEvSL_,comdat
	.protected	_ZN7rocprim17ROCPRIM_400000_NS6detail17trampoline_kernelINS0_14default_configENS1_38merge_sort_block_merge_config_selectorIxNS0_10empty_typeEEEZZNS1_27merge_sort_block_merge_implIS3_N6thrust23THRUST_200600_302600_NS6detail15normal_iteratorINS9_10device_ptrIxEEEEPS5_jNS1_19radix_merge_compareILb0ELb1ExNS0_19identity_decomposerEEEEE10hipError_tT0_T1_T2_jT3_P12ihipStream_tbPNSt15iterator_traitsISK_E10value_typeEPNSQ_ISL_E10value_typeEPSM_NS1_7vsmem_tEENKUlT_SK_SL_SM_E_clISE_PxSF_SF_EESJ_SZ_SK_SL_SM_EUlSZ_E1_NS1_11comp_targetILNS1_3genE5ELNS1_11target_archE942ELNS1_3gpuE9ELNS1_3repE0EEENS1_36merge_oddeven_config_static_selectorELNS0_4arch9wavefront6targetE1EEEvSL_ ; -- Begin function _ZN7rocprim17ROCPRIM_400000_NS6detail17trampoline_kernelINS0_14default_configENS1_38merge_sort_block_merge_config_selectorIxNS0_10empty_typeEEEZZNS1_27merge_sort_block_merge_implIS3_N6thrust23THRUST_200600_302600_NS6detail15normal_iteratorINS9_10device_ptrIxEEEEPS5_jNS1_19radix_merge_compareILb0ELb1ExNS0_19identity_decomposerEEEEE10hipError_tT0_T1_T2_jT3_P12ihipStream_tbPNSt15iterator_traitsISK_E10value_typeEPNSQ_ISL_E10value_typeEPSM_NS1_7vsmem_tEENKUlT_SK_SL_SM_E_clISE_PxSF_SF_EESJ_SZ_SK_SL_SM_EUlSZ_E1_NS1_11comp_targetILNS1_3genE5ELNS1_11target_archE942ELNS1_3gpuE9ELNS1_3repE0EEENS1_36merge_oddeven_config_static_selectorELNS0_4arch9wavefront6targetE1EEEvSL_
	.globl	_ZN7rocprim17ROCPRIM_400000_NS6detail17trampoline_kernelINS0_14default_configENS1_38merge_sort_block_merge_config_selectorIxNS0_10empty_typeEEEZZNS1_27merge_sort_block_merge_implIS3_N6thrust23THRUST_200600_302600_NS6detail15normal_iteratorINS9_10device_ptrIxEEEEPS5_jNS1_19radix_merge_compareILb0ELb1ExNS0_19identity_decomposerEEEEE10hipError_tT0_T1_T2_jT3_P12ihipStream_tbPNSt15iterator_traitsISK_E10value_typeEPNSQ_ISL_E10value_typeEPSM_NS1_7vsmem_tEENKUlT_SK_SL_SM_E_clISE_PxSF_SF_EESJ_SZ_SK_SL_SM_EUlSZ_E1_NS1_11comp_targetILNS1_3genE5ELNS1_11target_archE942ELNS1_3gpuE9ELNS1_3repE0EEENS1_36merge_oddeven_config_static_selectorELNS0_4arch9wavefront6targetE1EEEvSL_
	.p2align	8
	.type	_ZN7rocprim17ROCPRIM_400000_NS6detail17trampoline_kernelINS0_14default_configENS1_38merge_sort_block_merge_config_selectorIxNS0_10empty_typeEEEZZNS1_27merge_sort_block_merge_implIS3_N6thrust23THRUST_200600_302600_NS6detail15normal_iteratorINS9_10device_ptrIxEEEEPS5_jNS1_19radix_merge_compareILb0ELb1ExNS0_19identity_decomposerEEEEE10hipError_tT0_T1_T2_jT3_P12ihipStream_tbPNSt15iterator_traitsISK_E10value_typeEPNSQ_ISL_E10value_typeEPSM_NS1_7vsmem_tEENKUlT_SK_SL_SM_E_clISE_PxSF_SF_EESJ_SZ_SK_SL_SM_EUlSZ_E1_NS1_11comp_targetILNS1_3genE5ELNS1_11target_archE942ELNS1_3gpuE9ELNS1_3repE0EEENS1_36merge_oddeven_config_static_selectorELNS0_4arch9wavefront6targetE1EEEvSL_,@function
_ZN7rocprim17ROCPRIM_400000_NS6detail17trampoline_kernelINS0_14default_configENS1_38merge_sort_block_merge_config_selectorIxNS0_10empty_typeEEEZZNS1_27merge_sort_block_merge_implIS3_N6thrust23THRUST_200600_302600_NS6detail15normal_iteratorINS9_10device_ptrIxEEEEPS5_jNS1_19radix_merge_compareILb0ELb1ExNS0_19identity_decomposerEEEEE10hipError_tT0_T1_T2_jT3_P12ihipStream_tbPNSt15iterator_traitsISK_E10value_typeEPNSQ_ISL_E10value_typeEPSM_NS1_7vsmem_tEENKUlT_SK_SL_SM_E_clISE_PxSF_SF_EESJ_SZ_SK_SL_SM_EUlSZ_E1_NS1_11comp_targetILNS1_3genE5ELNS1_11target_archE942ELNS1_3gpuE9ELNS1_3repE0EEENS1_36merge_oddeven_config_static_selectorELNS0_4arch9wavefront6targetE1EEEvSL_: ; @_ZN7rocprim17ROCPRIM_400000_NS6detail17trampoline_kernelINS0_14default_configENS1_38merge_sort_block_merge_config_selectorIxNS0_10empty_typeEEEZZNS1_27merge_sort_block_merge_implIS3_N6thrust23THRUST_200600_302600_NS6detail15normal_iteratorINS9_10device_ptrIxEEEEPS5_jNS1_19radix_merge_compareILb0ELb1ExNS0_19identity_decomposerEEEEE10hipError_tT0_T1_T2_jT3_P12ihipStream_tbPNSt15iterator_traitsISK_E10value_typeEPNSQ_ISL_E10value_typeEPSM_NS1_7vsmem_tEENKUlT_SK_SL_SM_E_clISE_PxSF_SF_EESJ_SZ_SK_SL_SM_EUlSZ_E1_NS1_11comp_targetILNS1_3genE5ELNS1_11target_archE942ELNS1_3gpuE9ELNS1_3repE0EEENS1_36merge_oddeven_config_static_selectorELNS0_4arch9wavefront6targetE1EEEvSL_
; %bb.0:
	.section	.rodata,"a",@progbits
	.p2align	6, 0x0
	.amdhsa_kernel _ZN7rocprim17ROCPRIM_400000_NS6detail17trampoline_kernelINS0_14default_configENS1_38merge_sort_block_merge_config_selectorIxNS0_10empty_typeEEEZZNS1_27merge_sort_block_merge_implIS3_N6thrust23THRUST_200600_302600_NS6detail15normal_iteratorINS9_10device_ptrIxEEEEPS5_jNS1_19radix_merge_compareILb0ELb1ExNS0_19identity_decomposerEEEEE10hipError_tT0_T1_T2_jT3_P12ihipStream_tbPNSt15iterator_traitsISK_E10value_typeEPNSQ_ISL_E10value_typeEPSM_NS1_7vsmem_tEENKUlT_SK_SL_SM_E_clISE_PxSF_SF_EESJ_SZ_SK_SL_SM_EUlSZ_E1_NS1_11comp_targetILNS1_3genE5ELNS1_11target_archE942ELNS1_3gpuE9ELNS1_3repE0EEENS1_36merge_oddeven_config_static_selectorELNS0_4arch9wavefront6targetE1EEEvSL_
		.amdhsa_group_segment_fixed_size 0
		.amdhsa_private_segment_fixed_size 0
		.amdhsa_kernarg_size 48
		.amdhsa_user_sgpr_count 6
		.amdhsa_user_sgpr_private_segment_buffer 1
		.amdhsa_user_sgpr_dispatch_ptr 0
		.amdhsa_user_sgpr_queue_ptr 0
		.amdhsa_user_sgpr_kernarg_segment_ptr 1
		.amdhsa_user_sgpr_dispatch_id 0
		.amdhsa_user_sgpr_flat_scratch_init 0
		.amdhsa_user_sgpr_kernarg_preload_length 0
		.amdhsa_user_sgpr_kernarg_preload_offset 0
		.amdhsa_user_sgpr_private_segment_size 0
		.amdhsa_uses_dynamic_stack 0
		.amdhsa_system_sgpr_private_segment_wavefront_offset 0
		.amdhsa_system_sgpr_workgroup_id_x 1
		.amdhsa_system_sgpr_workgroup_id_y 0
		.amdhsa_system_sgpr_workgroup_id_z 0
		.amdhsa_system_sgpr_workgroup_info 0
		.amdhsa_system_vgpr_workitem_id 0
		.amdhsa_next_free_vgpr 1
		.amdhsa_next_free_sgpr 0
		.amdhsa_accum_offset 4
		.amdhsa_reserve_vcc 0
		.amdhsa_reserve_flat_scratch 0
		.amdhsa_float_round_mode_32 0
		.amdhsa_float_round_mode_16_64 0
		.amdhsa_float_denorm_mode_32 3
		.amdhsa_float_denorm_mode_16_64 3
		.amdhsa_dx10_clamp 1
		.amdhsa_ieee_mode 1
		.amdhsa_fp16_overflow 0
		.amdhsa_tg_split 0
		.amdhsa_exception_fp_ieee_invalid_op 0
		.amdhsa_exception_fp_denorm_src 0
		.amdhsa_exception_fp_ieee_div_zero 0
		.amdhsa_exception_fp_ieee_overflow 0
		.amdhsa_exception_fp_ieee_underflow 0
		.amdhsa_exception_fp_ieee_inexact 0
		.amdhsa_exception_int_div_zero 0
	.end_amdhsa_kernel
	.section	.text._ZN7rocprim17ROCPRIM_400000_NS6detail17trampoline_kernelINS0_14default_configENS1_38merge_sort_block_merge_config_selectorIxNS0_10empty_typeEEEZZNS1_27merge_sort_block_merge_implIS3_N6thrust23THRUST_200600_302600_NS6detail15normal_iteratorINS9_10device_ptrIxEEEEPS5_jNS1_19radix_merge_compareILb0ELb1ExNS0_19identity_decomposerEEEEE10hipError_tT0_T1_T2_jT3_P12ihipStream_tbPNSt15iterator_traitsISK_E10value_typeEPNSQ_ISL_E10value_typeEPSM_NS1_7vsmem_tEENKUlT_SK_SL_SM_E_clISE_PxSF_SF_EESJ_SZ_SK_SL_SM_EUlSZ_E1_NS1_11comp_targetILNS1_3genE5ELNS1_11target_archE942ELNS1_3gpuE9ELNS1_3repE0EEENS1_36merge_oddeven_config_static_selectorELNS0_4arch9wavefront6targetE1EEEvSL_,"axG",@progbits,_ZN7rocprim17ROCPRIM_400000_NS6detail17trampoline_kernelINS0_14default_configENS1_38merge_sort_block_merge_config_selectorIxNS0_10empty_typeEEEZZNS1_27merge_sort_block_merge_implIS3_N6thrust23THRUST_200600_302600_NS6detail15normal_iteratorINS9_10device_ptrIxEEEEPS5_jNS1_19radix_merge_compareILb0ELb1ExNS0_19identity_decomposerEEEEE10hipError_tT0_T1_T2_jT3_P12ihipStream_tbPNSt15iterator_traitsISK_E10value_typeEPNSQ_ISL_E10value_typeEPSM_NS1_7vsmem_tEENKUlT_SK_SL_SM_E_clISE_PxSF_SF_EESJ_SZ_SK_SL_SM_EUlSZ_E1_NS1_11comp_targetILNS1_3genE5ELNS1_11target_archE942ELNS1_3gpuE9ELNS1_3repE0EEENS1_36merge_oddeven_config_static_selectorELNS0_4arch9wavefront6targetE1EEEvSL_,comdat
.Lfunc_end1509:
	.size	_ZN7rocprim17ROCPRIM_400000_NS6detail17trampoline_kernelINS0_14default_configENS1_38merge_sort_block_merge_config_selectorIxNS0_10empty_typeEEEZZNS1_27merge_sort_block_merge_implIS3_N6thrust23THRUST_200600_302600_NS6detail15normal_iteratorINS9_10device_ptrIxEEEEPS5_jNS1_19radix_merge_compareILb0ELb1ExNS0_19identity_decomposerEEEEE10hipError_tT0_T1_T2_jT3_P12ihipStream_tbPNSt15iterator_traitsISK_E10value_typeEPNSQ_ISL_E10value_typeEPSM_NS1_7vsmem_tEENKUlT_SK_SL_SM_E_clISE_PxSF_SF_EESJ_SZ_SK_SL_SM_EUlSZ_E1_NS1_11comp_targetILNS1_3genE5ELNS1_11target_archE942ELNS1_3gpuE9ELNS1_3repE0EEENS1_36merge_oddeven_config_static_selectorELNS0_4arch9wavefront6targetE1EEEvSL_, .Lfunc_end1509-_ZN7rocprim17ROCPRIM_400000_NS6detail17trampoline_kernelINS0_14default_configENS1_38merge_sort_block_merge_config_selectorIxNS0_10empty_typeEEEZZNS1_27merge_sort_block_merge_implIS3_N6thrust23THRUST_200600_302600_NS6detail15normal_iteratorINS9_10device_ptrIxEEEEPS5_jNS1_19radix_merge_compareILb0ELb1ExNS0_19identity_decomposerEEEEE10hipError_tT0_T1_T2_jT3_P12ihipStream_tbPNSt15iterator_traitsISK_E10value_typeEPNSQ_ISL_E10value_typeEPSM_NS1_7vsmem_tEENKUlT_SK_SL_SM_E_clISE_PxSF_SF_EESJ_SZ_SK_SL_SM_EUlSZ_E1_NS1_11comp_targetILNS1_3genE5ELNS1_11target_archE942ELNS1_3gpuE9ELNS1_3repE0EEENS1_36merge_oddeven_config_static_selectorELNS0_4arch9wavefront6targetE1EEEvSL_
                                        ; -- End function
	.section	.AMDGPU.csdata,"",@progbits
; Kernel info:
; codeLenInByte = 0
; NumSgprs: 4
; NumVgprs: 0
; NumAgprs: 0
; TotalNumVgprs: 0
; ScratchSize: 0
; MemoryBound: 0
; FloatMode: 240
; IeeeMode: 1
; LDSByteSize: 0 bytes/workgroup (compile time only)
; SGPRBlocks: 0
; VGPRBlocks: 0
; NumSGPRsForWavesPerEU: 4
; NumVGPRsForWavesPerEU: 1
; AccumOffset: 4
; Occupancy: 8
; WaveLimiterHint : 0
; COMPUTE_PGM_RSRC2:SCRATCH_EN: 0
; COMPUTE_PGM_RSRC2:USER_SGPR: 6
; COMPUTE_PGM_RSRC2:TRAP_HANDLER: 0
; COMPUTE_PGM_RSRC2:TGID_X_EN: 1
; COMPUTE_PGM_RSRC2:TGID_Y_EN: 0
; COMPUTE_PGM_RSRC2:TGID_Z_EN: 0
; COMPUTE_PGM_RSRC2:TIDIG_COMP_CNT: 0
; COMPUTE_PGM_RSRC3_GFX90A:ACCUM_OFFSET: 0
; COMPUTE_PGM_RSRC3_GFX90A:TG_SPLIT: 0
	.section	.text._ZN7rocprim17ROCPRIM_400000_NS6detail17trampoline_kernelINS0_14default_configENS1_38merge_sort_block_merge_config_selectorIxNS0_10empty_typeEEEZZNS1_27merge_sort_block_merge_implIS3_N6thrust23THRUST_200600_302600_NS6detail15normal_iteratorINS9_10device_ptrIxEEEEPS5_jNS1_19radix_merge_compareILb0ELb1ExNS0_19identity_decomposerEEEEE10hipError_tT0_T1_T2_jT3_P12ihipStream_tbPNSt15iterator_traitsISK_E10value_typeEPNSQ_ISL_E10value_typeEPSM_NS1_7vsmem_tEENKUlT_SK_SL_SM_E_clISE_PxSF_SF_EESJ_SZ_SK_SL_SM_EUlSZ_E1_NS1_11comp_targetILNS1_3genE4ELNS1_11target_archE910ELNS1_3gpuE8ELNS1_3repE0EEENS1_36merge_oddeven_config_static_selectorELNS0_4arch9wavefront6targetE1EEEvSL_,"axG",@progbits,_ZN7rocprim17ROCPRIM_400000_NS6detail17trampoline_kernelINS0_14default_configENS1_38merge_sort_block_merge_config_selectorIxNS0_10empty_typeEEEZZNS1_27merge_sort_block_merge_implIS3_N6thrust23THRUST_200600_302600_NS6detail15normal_iteratorINS9_10device_ptrIxEEEEPS5_jNS1_19radix_merge_compareILb0ELb1ExNS0_19identity_decomposerEEEEE10hipError_tT0_T1_T2_jT3_P12ihipStream_tbPNSt15iterator_traitsISK_E10value_typeEPNSQ_ISL_E10value_typeEPSM_NS1_7vsmem_tEENKUlT_SK_SL_SM_E_clISE_PxSF_SF_EESJ_SZ_SK_SL_SM_EUlSZ_E1_NS1_11comp_targetILNS1_3genE4ELNS1_11target_archE910ELNS1_3gpuE8ELNS1_3repE0EEENS1_36merge_oddeven_config_static_selectorELNS0_4arch9wavefront6targetE1EEEvSL_,comdat
	.protected	_ZN7rocprim17ROCPRIM_400000_NS6detail17trampoline_kernelINS0_14default_configENS1_38merge_sort_block_merge_config_selectorIxNS0_10empty_typeEEEZZNS1_27merge_sort_block_merge_implIS3_N6thrust23THRUST_200600_302600_NS6detail15normal_iteratorINS9_10device_ptrIxEEEEPS5_jNS1_19radix_merge_compareILb0ELb1ExNS0_19identity_decomposerEEEEE10hipError_tT0_T1_T2_jT3_P12ihipStream_tbPNSt15iterator_traitsISK_E10value_typeEPNSQ_ISL_E10value_typeEPSM_NS1_7vsmem_tEENKUlT_SK_SL_SM_E_clISE_PxSF_SF_EESJ_SZ_SK_SL_SM_EUlSZ_E1_NS1_11comp_targetILNS1_3genE4ELNS1_11target_archE910ELNS1_3gpuE8ELNS1_3repE0EEENS1_36merge_oddeven_config_static_selectorELNS0_4arch9wavefront6targetE1EEEvSL_ ; -- Begin function _ZN7rocprim17ROCPRIM_400000_NS6detail17trampoline_kernelINS0_14default_configENS1_38merge_sort_block_merge_config_selectorIxNS0_10empty_typeEEEZZNS1_27merge_sort_block_merge_implIS3_N6thrust23THRUST_200600_302600_NS6detail15normal_iteratorINS9_10device_ptrIxEEEEPS5_jNS1_19radix_merge_compareILb0ELb1ExNS0_19identity_decomposerEEEEE10hipError_tT0_T1_T2_jT3_P12ihipStream_tbPNSt15iterator_traitsISK_E10value_typeEPNSQ_ISL_E10value_typeEPSM_NS1_7vsmem_tEENKUlT_SK_SL_SM_E_clISE_PxSF_SF_EESJ_SZ_SK_SL_SM_EUlSZ_E1_NS1_11comp_targetILNS1_3genE4ELNS1_11target_archE910ELNS1_3gpuE8ELNS1_3repE0EEENS1_36merge_oddeven_config_static_selectorELNS0_4arch9wavefront6targetE1EEEvSL_
	.globl	_ZN7rocprim17ROCPRIM_400000_NS6detail17trampoline_kernelINS0_14default_configENS1_38merge_sort_block_merge_config_selectorIxNS0_10empty_typeEEEZZNS1_27merge_sort_block_merge_implIS3_N6thrust23THRUST_200600_302600_NS6detail15normal_iteratorINS9_10device_ptrIxEEEEPS5_jNS1_19radix_merge_compareILb0ELb1ExNS0_19identity_decomposerEEEEE10hipError_tT0_T1_T2_jT3_P12ihipStream_tbPNSt15iterator_traitsISK_E10value_typeEPNSQ_ISL_E10value_typeEPSM_NS1_7vsmem_tEENKUlT_SK_SL_SM_E_clISE_PxSF_SF_EESJ_SZ_SK_SL_SM_EUlSZ_E1_NS1_11comp_targetILNS1_3genE4ELNS1_11target_archE910ELNS1_3gpuE8ELNS1_3repE0EEENS1_36merge_oddeven_config_static_selectorELNS0_4arch9wavefront6targetE1EEEvSL_
	.p2align	8
	.type	_ZN7rocprim17ROCPRIM_400000_NS6detail17trampoline_kernelINS0_14default_configENS1_38merge_sort_block_merge_config_selectorIxNS0_10empty_typeEEEZZNS1_27merge_sort_block_merge_implIS3_N6thrust23THRUST_200600_302600_NS6detail15normal_iteratorINS9_10device_ptrIxEEEEPS5_jNS1_19radix_merge_compareILb0ELb1ExNS0_19identity_decomposerEEEEE10hipError_tT0_T1_T2_jT3_P12ihipStream_tbPNSt15iterator_traitsISK_E10value_typeEPNSQ_ISL_E10value_typeEPSM_NS1_7vsmem_tEENKUlT_SK_SL_SM_E_clISE_PxSF_SF_EESJ_SZ_SK_SL_SM_EUlSZ_E1_NS1_11comp_targetILNS1_3genE4ELNS1_11target_archE910ELNS1_3gpuE8ELNS1_3repE0EEENS1_36merge_oddeven_config_static_selectorELNS0_4arch9wavefront6targetE1EEEvSL_,@function
_ZN7rocprim17ROCPRIM_400000_NS6detail17trampoline_kernelINS0_14default_configENS1_38merge_sort_block_merge_config_selectorIxNS0_10empty_typeEEEZZNS1_27merge_sort_block_merge_implIS3_N6thrust23THRUST_200600_302600_NS6detail15normal_iteratorINS9_10device_ptrIxEEEEPS5_jNS1_19radix_merge_compareILb0ELb1ExNS0_19identity_decomposerEEEEE10hipError_tT0_T1_T2_jT3_P12ihipStream_tbPNSt15iterator_traitsISK_E10value_typeEPNSQ_ISL_E10value_typeEPSM_NS1_7vsmem_tEENKUlT_SK_SL_SM_E_clISE_PxSF_SF_EESJ_SZ_SK_SL_SM_EUlSZ_E1_NS1_11comp_targetILNS1_3genE4ELNS1_11target_archE910ELNS1_3gpuE8ELNS1_3repE0EEENS1_36merge_oddeven_config_static_selectorELNS0_4arch9wavefront6targetE1EEEvSL_: ; @_ZN7rocprim17ROCPRIM_400000_NS6detail17trampoline_kernelINS0_14default_configENS1_38merge_sort_block_merge_config_selectorIxNS0_10empty_typeEEEZZNS1_27merge_sort_block_merge_implIS3_N6thrust23THRUST_200600_302600_NS6detail15normal_iteratorINS9_10device_ptrIxEEEEPS5_jNS1_19radix_merge_compareILb0ELb1ExNS0_19identity_decomposerEEEEE10hipError_tT0_T1_T2_jT3_P12ihipStream_tbPNSt15iterator_traitsISK_E10value_typeEPNSQ_ISL_E10value_typeEPSM_NS1_7vsmem_tEENKUlT_SK_SL_SM_E_clISE_PxSF_SF_EESJ_SZ_SK_SL_SM_EUlSZ_E1_NS1_11comp_targetILNS1_3genE4ELNS1_11target_archE910ELNS1_3gpuE8ELNS1_3repE0EEENS1_36merge_oddeven_config_static_selectorELNS0_4arch9wavefront6targetE1EEEvSL_
; %bb.0:
	s_load_dword s18, s[4:5], 0x20
	s_waitcnt lgkmcnt(0)
	s_lshr_b32 s0, s18, 8
	s_cmp_lg_u32 s6, s0
	s_cselect_b64 s[14:15], -1, 0
	s_cmp_eq_u32 s6, s0
	s_cselect_b64 s[12:13], -1, 0
	s_lshl_b32 s16, s6, 8
	s_sub_i32 s0, s18, s16
	v_cmp_gt_u32_e64 s[2:3], s0, v0
	s_or_b64 s[0:1], s[14:15], s[2:3]
	s_and_saveexec_b64 s[8:9], s[0:1]
	s_cbranch_execz .LBB1510_20
; %bb.1:
	s_load_dwordx4 s[8:11], s[4:5], 0x0
	s_load_dword s19, s[4:5], 0x24
	s_mov_b32 s17, 0
	s_lshl_b64 s[0:1], s[16:17], 3
	v_lshlrev_b32_e32 v1, 3, v0
	s_waitcnt lgkmcnt(0)
	s_add_u32 s0, s8, s0
	s_addc_u32 s1, s9, s1
	global_load_dwordx2 v[2:3], v1, s[0:1]
	s_lshr_b32 s0, s19, 8
	s_sub_i32 s1, 0, s0
	s_and_b32 s1, s6, s1
	s_and_b32 s0, s1, s0
	s_lshl_b32 s20, s1, 8
	s_sub_i32 s17, 0, s19
	s_cmp_eq_u32 s0, 0
	s_cselect_b64 s[0:1], -1, 0
	s_and_b64 s[6:7], s[0:1], exec
	s_cselect_b32 s17, s19, s17
	s_add_i32 s17, s17, s20
	s_cmp_lt_u32 s17, s18
	v_add_u32_e32 v0, s16, v0
	s_cbranch_scc1 .LBB1510_3
; %bb.2:
	v_cmp_gt_u32_e32 vcc, s18, v0
	s_or_b64 s[6:7], vcc, s[14:15]
	s_and_b64 s[6:7], s[6:7], exec
	s_cbranch_execz .LBB1510_4
	s_branch .LBB1510_18
.LBB1510_3:
	s_mov_b64 s[6:7], 0
.LBB1510_4:
	s_load_dwordx2 s[4:5], s[4:5], 0x28
	s_min_u32 s14, s17, s18
	s_min_u32 s16, s20, s14
	s_add_i32 s20, s20, s14
	s_add_i32 s15, s14, s19
	v_subrev_u32_e32 v0, s20, v0
	s_min_u32 s15, s15, s18
	v_add_u32_e32 v6, s16, v0
	s_and_b64 vcc, exec, s[12:13]
	s_cbranch_vccz .LBB1510_12
; %bb.5:
                                        ; implicit-def: $vgpr0
	s_and_saveexec_b64 s[12:13], s[2:3]
	s_cbranch_execz .LBB1510_11
; %bb.6:
	s_cmp_ge_u32 s17, s15
	v_mov_b32_e32 v7, s14
	s_cbranch_scc1 .LBB1510_10
; %bb.7:
	s_waitcnt vmcnt(0) lgkmcnt(0)
	v_and_b32_e32 v1, s5, v3
	v_and_b32_e32 v0, s4, v2
	s_mov_b64 s[2:3], 0
	v_mov_b32_e32 v8, s15
	v_mov_b32_e32 v7, s14
	;; [unrolled: 1-line block ×4, first 2 shown]
.LBB1510_8:                             ; =>This Inner Loop Header: Depth=1
	v_add_u32_e32 v4, v7, v8
	v_lshrrev_b32_e32 v4, 1, v4
	v_lshlrev_b64 v[10:11], 3, v[4:5]
	v_add_co_u32_e32 v10, vcc, s8, v10
	v_addc_co_u32_e32 v11, vcc, v9, v11, vcc
	global_load_dwordx2 v[10:11], v[10:11], off
	v_add_u32_e32 v12, 1, v4
	s_waitcnt vmcnt(0)
	v_and_b32_e32 v11, s5, v11
	v_and_b32_e32 v10, s4, v10
	v_cmp_gt_i64_e32 vcc, v[0:1], v[10:11]
	v_cndmask_b32_e64 v13, 0, 1, vcc
	v_cmp_le_i64_e32 vcc, v[10:11], v[0:1]
	v_cndmask_b32_e64 v10, 0, 1, vcc
	v_cndmask_b32_e64 v10, v10, v13, s[0:1]
	v_and_b32_e32 v10, 1, v10
	v_cmp_eq_u32_e32 vcc, 1, v10
	v_cndmask_b32_e32 v8, v4, v8, vcc
	v_cndmask_b32_e32 v7, v7, v12, vcc
	v_cmp_ge_u32_e32 vcc, v7, v8
	s_or_b64 s[2:3], vcc, s[2:3]
	s_andn2_b64 exec, exec, s[2:3]
	s_cbranch_execnz .LBB1510_8
; %bb.9:
	s_or_b64 exec, exec, s[2:3]
.LBB1510_10:
	v_add_u32_e32 v0, v7, v6
	s_or_b64 s[6:7], s[6:7], exec
.LBB1510_11:
	s_or_b64 exec, exec, s[12:13]
	s_branch .LBB1510_18
.LBB1510_12:
                                        ; implicit-def: $vgpr0
	s_cbranch_execz .LBB1510_18
; %bb.13:
	s_cmp_ge_u32 s17, s15
	v_mov_b32_e32 v7, s14
	s_cbranch_scc1 .LBB1510_17
; %bb.14:
	s_waitcnt vmcnt(0) lgkmcnt(0)
	v_and_b32_e32 v1, s5, v3
	v_and_b32_e32 v0, s4, v2
	s_mov_b64 s[2:3], 0
	v_mov_b32_e32 v8, s15
	v_mov_b32_e32 v7, s14
	;; [unrolled: 1-line block ×4, first 2 shown]
.LBB1510_15:                            ; =>This Inner Loop Header: Depth=1
	v_add_u32_e32 v4, v7, v8
	v_lshrrev_b32_e32 v4, 1, v4
	v_lshlrev_b64 v[10:11], 3, v[4:5]
	v_add_co_u32_e32 v10, vcc, s8, v10
	v_addc_co_u32_e32 v11, vcc, v9, v11, vcc
	global_load_dwordx2 v[10:11], v[10:11], off
	v_add_u32_e32 v12, 1, v4
	s_waitcnt vmcnt(0)
	v_and_b32_e32 v11, s5, v11
	v_and_b32_e32 v10, s4, v10
	v_cmp_gt_i64_e32 vcc, v[0:1], v[10:11]
	v_cndmask_b32_e64 v13, 0, 1, vcc
	v_cmp_le_i64_e32 vcc, v[10:11], v[0:1]
	v_cndmask_b32_e64 v10, 0, 1, vcc
	v_cndmask_b32_e64 v10, v10, v13, s[0:1]
	v_and_b32_e32 v10, 1, v10
	v_cmp_eq_u32_e32 vcc, 1, v10
	v_cndmask_b32_e32 v8, v4, v8, vcc
	v_cndmask_b32_e32 v7, v7, v12, vcc
	v_cmp_ge_u32_e32 vcc, v7, v8
	s_or_b64 s[2:3], vcc, s[2:3]
	s_andn2_b64 exec, exec, s[2:3]
	s_cbranch_execnz .LBB1510_15
; %bb.16:
	s_or_b64 exec, exec, s[2:3]
.LBB1510_17:
	v_add_u32_e32 v0, v7, v6
	s_mov_b64 s[6:7], -1
.LBB1510_18:
	s_and_b64 exec, exec, s[6:7]
	s_cbranch_execz .LBB1510_20
; %bb.19:
	v_mov_b32_e32 v1, 0
	v_lshlrev_b64 v[0:1], 3, v[0:1]
	v_mov_b32_e32 v4, s11
	v_add_co_u32_e32 v0, vcc, s10, v0
	v_addc_co_u32_e32 v1, vcc, v4, v1, vcc
	s_waitcnt vmcnt(0)
	global_store_dwordx2 v[0:1], v[2:3], off
.LBB1510_20:
	s_endpgm
	.section	.rodata,"a",@progbits
	.p2align	6, 0x0
	.amdhsa_kernel _ZN7rocprim17ROCPRIM_400000_NS6detail17trampoline_kernelINS0_14default_configENS1_38merge_sort_block_merge_config_selectorIxNS0_10empty_typeEEEZZNS1_27merge_sort_block_merge_implIS3_N6thrust23THRUST_200600_302600_NS6detail15normal_iteratorINS9_10device_ptrIxEEEEPS5_jNS1_19radix_merge_compareILb0ELb1ExNS0_19identity_decomposerEEEEE10hipError_tT0_T1_T2_jT3_P12ihipStream_tbPNSt15iterator_traitsISK_E10value_typeEPNSQ_ISL_E10value_typeEPSM_NS1_7vsmem_tEENKUlT_SK_SL_SM_E_clISE_PxSF_SF_EESJ_SZ_SK_SL_SM_EUlSZ_E1_NS1_11comp_targetILNS1_3genE4ELNS1_11target_archE910ELNS1_3gpuE8ELNS1_3repE0EEENS1_36merge_oddeven_config_static_selectorELNS0_4arch9wavefront6targetE1EEEvSL_
		.amdhsa_group_segment_fixed_size 0
		.amdhsa_private_segment_fixed_size 0
		.amdhsa_kernarg_size 48
		.amdhsa_user_sgpr_count 6
		.amdhsa_user_sgpr_private_segment_buffer 1
		.amdhsa_user_sgpr_dispatch_ptr 0
		.amdhsa_user_sgpr_queue_ptr 0
		.amdhsa_user_sgpr_kernarg_segment_ptr 1
		.amdhsa_user_sgpr_dispatch_id 0
		.amdhsa_user_sgpr_flat_scratch_init 0
		.amdhsa_user_sgpr_kernarg_preload_length 0
		.amdhsa_user_sgpr_kernarg_preload_offset 0
		.amdhsa_user_sgpr_private_segment_size 0
		.amdhsa_uses_dynamic_stack 0
		.amdhsa_system_sgpr_private_segment_wavefront_offset 0
		.amdhsa_system_sgpr_workgroup_id_x 1
		.amdhsa_system_sgpr_workgroup_id_y 0
		.amdhsa_system_sgpr_workgroup_id_z 0
		.amdhsa_system_sgpr_workgroup_info 0
		.amdhsa_system_vgpr_workitem_id 0
		.amdhsa_next_free_vgpr 14
		.amdhsa_next_free_sgpr 21
		.amdhsa_accum_offset 16
		.amdhsa_reserve_vcc 1
		.amdhsa_reserve_flat_scratch 0
		.amdhsa_float_round_mode_32 0
		.amdhsa_float_round_mode_16_64 0
		.amdhsa_float_denorm_mode_32 3
		.amdhsa_float_denorm_mode_16_64 3
		.amdhsa_dx10_clamp 1
		.amdhsa_ieee_mode 1
		.amdhsa_fp16_overflow 0
		.amdhsa_tg_split 0
		.amdhsa_exception_fp_ieee_invalid_op 0
		.amdhsa_exception_fp_denorm_src 0
		.amdhsa_exception_fp_ieee_div_zero 0
		.amdhsa_exception_fp_ieee_overflow 0
		.amdhsa_exception_fp_ieee_underflow 0
		.amdhsa_exception_fp_ieee_inexact 0
		.amdhsa_exception_int_div_zero 0
	.end_amdhsa_kernel
	.section	.text._ZN7rocprim17ROCPRIM_400000_NS6detail17trampoline_kernelINS0_14default_configENS1_38merge_sort_block_merge_config_selectorIxNS0_10empty_typeEEEZZNS1_27merge_sort_block_merge_implIS3_N6thrust23THRUST_200600_302600_NS6detail15normal_iteratorINS9_10device_ptrIxEEEEPS5_jNS1_19radix_merge_compareILb0ELb1ExNS0_19identity_decomposerEEEEE10hipError_tT0_T1_T2_jT3_P12ihipStream_tbPNSt15iterator_traitsISK_E10value_typeEPNSQ_ISL_E10value_typeEPSM_NS1_7vsmem_tEENKUlT_SK_SL_SM_E_clISE_PxSF_SF_EESJ_SZ_SK_SL_SM_EUlSZ_E1_NS1_11comp_targetILNS1_3genE4ELNS1_11target_archE910ELNS1_3gpuE8ELNS1_3repE0EEENS1_36merge_oddeven_config_static_selectorELNS0_4arch9wavefront6targetE1EEEvSL_,"axG",@progbits,_ZN7rocprim17ROCPRIM_400000_NS6detail17trampoline_kernelINS0_14default_configENS1_38merge_sort_block_merge_config_selectorIxNS0_10empty_typeEEEZZNS1_27merge_sort_block_merge_implIS3_N6thrust23THRUST_200600_302600_NS6detail15normal_iteratorINS9_10device_ptrIxEEEEPS5_jNS1_19radix_merge_compareILb0ELb1ExNS0_19identity_decomposerEEEEE10hipError_tT0_T1_T2_jT3_P12ihipStream_tbPNSt15iterator_traitsISK_E10value_typeEPNSQ_ISL_E10value_typeEPSM_NS1_7vsmem_tEENKUlT_SK_SL_SM_E_clISE_PxSF_SF_EESJ_SZ_SK_SL_SM_EUlSZ_E1_NS1_11comp_targetILNS1_3genE4ELNS1_11target_archE910ELNS1_3gpuE8ELNS1_3repE0EEENS1_36merge_oddeven_config_static_selectorELNS0_4arch9wavefront6targetE1EEEvSL_,comdat
.Lfunc_end1510:
	.size	_ZN7rocprim17ROCPRIM_400000_NS6detail17trampoline_kernelINS0_14default_configENS1_38merge_sort_block_merge_config_selectorIxNS0_10empty_typeEEEZZNS1_27merge_sort_block_merge_implIS3_N6thrust23THRUST_200600_302600_NS6detail15normal_iteratorINS9_10device_ptrIxEEEEPS5_jNS1_19radix_merge_compareILb0ELb1ExNS0_19identity_decomposerEEEEE10hipError_tT0_T1_T2_jT3_P12ihipStream_tbPNSt15iterator_traitsISK_E10value_typeEPNSQ_ISL_E10value_typeEPSM_NS1_7vsmem_tEENKUlT_SK_SL_SM_E_clISE_PxSF_SF_EESJ_SZ_SK_SL_SM_EUlSZ_E1_NS1_11comp_targetILNS1_3genE4ELNS1_11target_archE910ELNS1_3gpuE8ELNS1_3repE0EEENS1_36merge_oddeven_config_static_selectorELNS0_4arch9wavefront6targetE1EEEvSL_, .Lfunc_end1510-_ZN7rocprim17ROCPRIM_400000_NS6detail17trampoline_kernelINS0_14default_configENS1_38merge_sort_block_merge_config_selectorIxNS0_10empty_typeEEEZZNS1_27merge_sort_block_merge_implIS3_N6thrust23THRUST_200600_302600_NS6detail15normal_iteratorINS9_10device_ptrIxEEEEPS5_jNS1_19radix_merge_compareILb0ELb1ExNS0_19identity_decomposerEEEEE10hipError_tT0_T1_T2_jT3_P12ihipStream_tbPNSt15iterator_traitsISK_E10value_typeEPNSQ_ISL_E10value_typeEPSM_NS1_7vsmem_tEENKUlT_SK_SL_SM_E_clISE_PxSF_SF_EESJ_SZ_SK_SL_SM_EUlSZ_E1_NS1_11comp_targetILNS1_3genE4ELNS1_11target_archE910ELNS1_3gpuE8ELNS1_3repE0EEENS1_36merge_oddeven_config_static_selectorELNS0_4arch9wavefront6targetE1EEEvSL_
                                        ; -- End function
	.section	.AMDGPU.csdata,"",@progbits
; Kernel info:
; codeLenInByte = 636
; NumSgprs: 25
; NumVgprs: 14
; NumAgprs: 0
; TotalNumVgprs: 14
; ScratchSize: 0
; MemoryBound: 0
; FloatMode: 240
; IeeeMode: 1
; LDSByteSize: 0 bytes/workgroup (compile time only)
; SGPRBlocks: 3
; VGPRBlocks: 1
; NumSGPRsForWavesPerEU: 25
; NumVGPRsForWavesPerEU: 14
; AccumOffset: 16
; Occupancy: 8
; WaveLimiterHint : 0
; COMPUTE_PGM_RSRC2:SCRATCH_EN: 0
; COMPUTE_PGM_RSRC2:USER_SGPR: 6
; COMPUTE_PGM_RSRC2:TRAP_HANDLER: 0
; COMPUTE_PGM_RSRC2:TGID_X_EN: 1
; COMPUTE_PGM_RSRC2:TGID_Y_EN: 0
; COMPUTE_PGM_RSRC2:TGID_Z_EN: 0
; COMPUTE_PGM_RSRC2:TIDIG_COMP_CNT: 0
; COMPUTE_PGM_RSRC3_GFX90A:ACCUM_OFFSET: 3
; COMPUTE_PGM_RSRC3_GFX90A:TG_SPLIT: 0
	.section	.text._ZN7rocprim17ROCPRIM_400000_NS6detail17trampoline_kernelINS0_14default_configENS1_38merge_sort_block_merge_config_selectorIxNS0_10empty_typeEEEZZNS1_27merge_sort_block_merge_implIS3_N6thrust23THRUST_200600_302600_NS6detail15normal_iteratorINS9_10device_ptrIxEEEEPS5_jNS1_19radix_merge_compareILb0ELb1ExNS0_19identity_decomposerEEEEE10hipError_tT0_T1_T2_jT3_P12ihipStream_tbPNSt15iterator_traitsISK_E10value_typeEPNSQ_ISL_E10value_typeEPSM_NS1_7vsmem_tEENKUlT_SK_SL_SM_E_clISE_PxSF_SF_EESJ_SZ_SK_SL_SM_EUlSZ_E1_NS1_11comp_targetILNS1_3genE3ELNS1_11target_archE908ELNS1_3gpuE7ELNS1_3repE0EEENS1_36merge_oddeven_config_static_selectorELNS0_4arch9wavefront6targetE1EEEvSL_,"axG",@progbits,_ZN7rocprim17ROCPRIM_400000_NS6detail17trampoline_kernelINS0_14default_configENS1_38merge_sort_block_merge_config_selectorIxNS0_10empty_typeEEEZZNS1_27merge_sort_block_merge_implIS3_N6thrust23THRUST_200600_302600_NS6detail15normal_iteratorINS9_10device_ptrIxEEEEPS5_jNS1_19radix_merge_compareILb0ELb1ExNS0_19identity_decomposerEEEEE10hipError_tT0_T1_T2_jT3_P12ihipStream_tbPNSt15iterator_traitsISK_E10value_typeEPNSQ_ISL_E10value_typeEPSM_NS1_7vsmem_tEENKUlT_SK_SL_SM_E_clISE_PxSF_SF_EESJ_SZ_SK_SL_SM_EUlSZ_E1_NS1_11comp_targetILNS1_3genE3ELNS1_11target_archE908ELNS1_3gpuE7ELNS1_3repE0EEENS1_36merge_oddeven_config_static_selectorELNS0_4arch9wavefront6targetE1EEEvSL_,comdat
	.protected	_ZN7rocprim17ROCPRIM_400000_NS6detail17trampoline_kernelINS0_14default_configENS1_38merge_sort_block_merge_config_selectorIxNS0_10empty_typeEEEZZNS1_27merge_sort_block_merge_implIS3_N6thrust23THRUST_200600_302600_NS6detail15normal_iteratorINS9_10device_ptrIxEEEEPS5_jNS1_19radix_merge_compareILb0ELb1ExNS0_19identity_decomposerEEEEE10hipError_tT0_T1_T2_jT3_P12ihipStream_tbPNSt15iterator_traitsISK_E10value_typeEPNSQ_ISL_E10value_typeEPSM_NS1_7vsmem_tEENKUlT_SK_SL_SM_E_clISE_PxSF_SF_EESJ_SZ_SK_SL_SM_EUlSZ_E1_NS1_11comp_targetILNS1_3genE3ELNS1_11target_archE908ELNS1_3gpuE7ELNS1_3repE0EEENS1_36merge_oddeven_config_static_selectorELNS0_4arch9wavefront6targetE1EEEvSL_ ; -- Begin function _ZN7rocprim17ROCPRIM_400000_NS6detail17trampoline_kernelINS0_14default_configENS1_38merge_sort_block_merge_config_selectorIxNS0_10empty_typeEEEZZNS1_27merge_sort_block_merge_implIS3_N6thrust23THRUST_200600_302600_NS6detail15normal_iteratorINS9_10device_ptrIxEEEEPS5_jNS1_19radix_merge_compareILb0ELb1ExNS0_19identity_decomposerEEEEE10hipError_tT0_T1_T2_jT3_P12ihipStream_tbPNSt15iterator_traitsISK_E10value_typeEPNSQ_ISL_E10value_typeEPSM_NS1_7vsmem_tEENKUlT_SK_SL_SM_E_clISE_PxSF_SF_EESJ_SZ_SK_SL_SM_EUlSZ_E1_NS1_11comp_targetILNS1_3genE3ELNS1_11target_archE908ELNS1_3gpuE7ELNS1_3repE0EEENS1_36merge_oddeven_config_static_selectorELNS0_4arch9wavefront6targetE1EEEvSL_
	.globl	_ZN7rocprim17ROCPRIM_400000_NS6detail17trampoline_kernelINS0_14default_configENS1_38merge_sort_block_merge_config_selectorIxNS0_10empty_typeEEEZZNS1_27merge_sort_block_merge_implIS3_N6thrust23THRUST_200600_302600_NS6detail15normal_iteratorINS9_10device_ptrIxEEEEPS5_jNS1_19radix_merge_compareILb0ELb1ExNS0_19identity_decomposerEEEEE10hipError_tT0_T1_T2_jT3_P12ihipStream_tbPNSt15iterator_traitsISK_E10value_typeEPNSQ_ISL_E10value_typeEPSM_NS1_7vsmem_tEENKUlT_SK_SL_SM_E_clISE_PxSF_SF_EESJ_SZ_SK_SL_SM_EUlSZ_E1_NS1_11comp_targetILNS1_3genE3ELNS1_11target_archE908ELNS1_3gpuE7ELNS1_3repE0EEENS1_36merge_oddeven_config_static_selectorELNS0_4arch9wavefront6targetE1EEEvSL_
	.p2align	8
	.type	_ZN7rocprim17ROCPRIM_400000_NS6detail17trampoline_kernelINS0_14default_configENS1_38merge_sort_block_merge_config_selectorIxNS0_10empty_typeEEEZZNS1_27merge_sort_block_merge_implIS3_N6thrust23THRUST_200600_302600_NS6detail15normal_iteratorINS9_10device_ptrIxEEEEPS5_jNS1_19radix_merge_compareILb0ELb1ExNS0_19identity_decomposerEEEEE10hipError_tT0_T1_T2_jT3_P12ihipStream_tbPNSt15iterator_traitsISK_E10value_typeEPNSQ_ISL_E10value_typeEPSM_NS1_7vsmem_tEENKUlT_SK_SL_SM_E_clISE_PxSF_SF_EESJ_SZ_SK_SL_SM_EUlSZ_E1_NS1_11comp_targetILNS1_3genE3ELNS1_11target_archE908ELNS1_3gpuE7ELNS1_3repE0EEENS1_36merge_oddeven_config_static_selectorELNS0_4arch9wavefront6targetE1EEEvSL_,@function
_ZN7rocprim17ROCPRIM_400000_NS6detail17trampoline_kernelINS0_14default_configENS1_38merge_sort_block_merge_config_selectorIxNS0_10empty_typeEEEZZNS1_27merge_sort_block_merge_implIS3_N6thrust23THRUST_200600_302600_NS6detail15normal_iteratorINS9_10device_ptrIxEEEEPS5_jNS1_19radix_merge_compareILb0ELb1ExNS0_19identity_decomposerEEEEE10hipError_tT0_T1_T2_jT3_P12ihipStream_tbPNSt15iterator_traitsISK_E10value_typeEPNSQ_ISL_E10value_typeEPSM_NS1_7vsmem_tEENKUlT_SK_SL_SM_E_clISE_PxSF_SF_EESJ_SZ_SK_SL_SM_EUlSZ_E1_NS1_11comp_targetILNS1_3genE3ELNS1_11target_archE908ELNS1_3gpuE7ELNS1_3repE0EEENS1_36merge_oddeven_config_static_selectorELNS0_4arch9wavefront6targetE1EEEvSL_: ; @_ZN7rocprim17ROCPRIM_400000_NS6detail17trampoline_kernelINS0_14default_configENS1_38merge_sort_block_merge_config_selectorIxNS0_10empty_typeEEEZZNS1_27merge_sort_block_merge_implIS3_N6thrust23THRUST_200600_302600_NS6detail15normal_iteratorINS9_10device_ptrIxEEEEPS5_jNS1_19radix_merge_compareILb0ELb1ExNS0_19identity_decomposerEEEEE10hipError_tT0_T1_T2_jT3_P12ihipStream_tbPNSt15iterator_traitsISK_E10value_typeEPNSQ_ISL_E10value_typeEPSM_NS1_7vsmem_tEENKUlT_SK_SL_SM_E_clISE_PxSF_SF_EESJ_SZ_SK_SL_SM_EUlSZ_E1_NS1_11comp_targetILNS1_3genE3ELNS1_11target_archE908ELNS1_3gpuE7ELNS1_3repE0EEENS1_36merge_oddeven_config_static_selectorELNS0_4arch9wavefront6targetE1EEEvSL_
; %bb.0:
	.section	.rodata,"a",@progbits
	.p2align	6, 0x0
	.amdhsa_kernel _ZN7rocprim17ROCPRIM_400000_NS6detail17trampoline_kernelINS0_14default_configENS1_38merge_sort_block_merge_config_selectorIxNS0_10empty_typeEEEZZNS1_27merge_sort_block_merge_implIS3_N6thrust23THRUST_200600_302600_NS6detail15normal_iteratorINS9_10device_ptrIxEEEEPS5_jNS1_19radix_merge_compareILb0ELb1ExNS0_19identity_decomposerEEEEE10hipError_tT0_T1_T2_jT3_P12ihipStream_tbPNSt15iterator_traitsISK_E10value_typeEPNSQ_ISL_E10value_typeEPSM_NS1_7vsmem_tEENKUlT_SK_SL_SM_E_clISE_PxSF_SF_EESJ_SZ_SK_SL_SM_EUlSZ_E1_NS1_11comp_targetILNS1_3genE3ELNS1_11target_archE908ELNS1_3gpuE7ELNS1_3repE0EEENS1_36merge_oddeven_config_static_selectorELNS0_4arch9wavefront6targetE1EEEvSL_
		.amdhsa_group_segment_fixed_size 0
		.amdhsa_private_segment_fixed_size 0
		.amdhsa_kernarg_size 48
		.amdhsa_user_sgpr_count 6
		.amdhsa_user_sgpr_private_segment_buffer 1
		.amdhsa_user_sgpr_dispatch_ptr 0
		.amdhsa_user_sgpr_queue_ptr 0
		.amdhsa_user_sgpr_kernarg_segment_ptr 1
		.amdhsa_user_sgpr_dispatch_id 0
		.amdhsa_user_sgpr_flat_scratch_init 0
		.amdhsa_user_sgpr_kernarg_preload_length 0
		.amdhsa_user_sgpr_kernarg_preload_offset 0
		.amdhsa_user_sgpr_private_segment_size 0
		.amdhsa_uses_dynamic_stack 0
		.amdhsa_system_sgpr_private_segment_wavefront_offset 0
		.amdhsa_system_sgpr_workgroup_id_x 1
		.amdhsa_system_sgpr_workgroup_id_y 0
		.amdhsa_system_sgpr_workgroup_id_z 0
		.amdhsa_system_sgpr_workgroup_info 0
		.amdhsa_system_vgpr_workitem_id 0
		.amdhsa_next_free_vgpr 1
		.amdhsa_next_free_sgpr 0
		.amdhsa_accum_offset 4
		.amdhsa_reserve_vcc 0
		.amdhsa_reserve_flat_scratch 0
		.amdhsa_float_round_mode_32 0
		.amdhsa_float_round_mode_16_64 0
		.amdhsa_float_denorm_mode_32 3
		.amdhsa_float_denorm_mode_16_64 3
		.amdhsa_dx10_clamp 1
		.amdhsa_ieee_mode 1
		.amdhsa_fp16_overflow 0
		.amdhsa_tg_split 0
		.amdhsa_exception_fp_ieee_invalid_op 0
		.amdhsa_exception_fp_denorm_src 0
		.amdhsa_exception_fp_ieee_div_zero 0
		.amdhsa_exception_fp_ieee_overflow 0
		.amdhsa_exception_fp_ieee_underflow 0
		.amdhsa_exception_fp_ieee_inexact 0
		.amdhsa_exception_int_div_zero 0
	.end_amdhsa_kernel
	.section	.text._ZN7rocprim17ROCPRIM_400000_NS6detail17trampoline_kernelINS0_14default_configENS1_38merge_sort_block_merge_config_selectorIxNS0_10empty_typeEEEZZNS1_27merge_sort_block_merge_implIS3_N6thrust23THRUST_200600_302600_NS6detail15normal_iteratorINS9_10device_ptrIxEEEEPS5_jNS1_19radix_merge_compareILb0ELb1ExNS0_19identity_decomposerEEEEE10hipError_tT0_T1_T2_jT3_P12ihipStream_tbPNSt15iterator_traitsISK_E10value_typeEPNSQ_ISL_E10value_typeEPSM_NS1_7vsmem_tEENKUlT_SK_SL_SM_E_clISE_PxSF_SF_EESJ_SZ_SK_SL_SM_EUlSZ_E1_NS1_11comp_targetILNS1_3genE3ELNS1_11target_archE908ELNS1_3gpuE7ELNS1_3repE0EEENS1_36merge_oddeven_config_static_selectorELNS0_4arch9wavefront6targetE1EEEvSL_,"axG",@progbits,_ZN7rocprim17ROCPRIM_400000_NS6detail17trampoline_kernelINS0_14default_configENS1_38merge_sort_block_merge_config_selectorIxNS0_10empty_typeEEEZZNS1_27merge_sort_block_merge_implIS3_N6thrust23THRUST_200600_302600_NS6detail15normal_iteratorINS9_10device_ptrIxEEEEPS5_jNS1_19radix_merge_compareILb0ELb1ExNS0_19identity_decomposerEEEEE10hipError_tT0_T1_T2_jT3_P12ihipStream_tbPNSt15iterator_traitsISK_E10value_typeEPNSQ_ISL_E10value_typeEPSM_NS1_7vsmem_tEENKUlT_SK_SL_SM_E_clISE_PxSF_SF_EESJ_SZ_SK_SL_SM_EUlSZ_E1_NS1_11comp_targetILNS1_3genE3ELNS1_11target_archE908ELNS1_3gpuE7ELNS1_3repE0EEENS1_36merge_oddeven_config_static_selectorELNS0_4arch9wavefront6targetE1EEEvSL_,comdat
.Lfunc_end1511:
	.size	_ZN7rocprim17ROCPRIM_400000_NS6detail17trampoline_kernelINS0_14default_configENS1_38merge_sort_block_merge_config_selectorIxNS0_10empty_typeEEEZZNS1_27merge_sort_block_merge_implIS3_N6thrust23THRUST_200600_302600_NS6detail15normal_iteratorINS9_10device_ptrIxEEEEPS5_jNS1_19radix_merge_compareILb0ELb1ExNS0_19identity_decomposerEEEEE10hipError_tT0_T1_T2_jT3_P12ihipStream_tbPNSt15iterator_traitsISK_E10value_typeEPNSQ_ISL_E10value_typeEPSM_NS1_7vsmem_tEENKUlT_SK_SL_SM_E_clISE_PxSF_SF_EESJ_SZ_SK_SL_SM_EUlSZ_E1_NS1_11comp_targetILNS1_3genE3ELNS1_11target_archE908ELNS1_3gpuE7ELNS1_3repE0EEENS1_36merge_oddeven_config_static_selectorELNS0_4arch9wavefront6targetE1EEEvSL_, .Lfunc_end1511-_ZN7rocprim17ROCPRIM_400000_NS6detail17trampoline_kernelINS0_14default_configENS1_38merge_sort_block_merge_config_selectorIxNS0_10empty_typeEEEZZNS1_27merge_sort_block_merge_implIS3_N6thrust23THRUST_200600_302600_NS6detail15normal_iteratorINS9_10device_ptrIxEEEEPS5_jNS1_19radix_merge_compareILb0ELb1ExNS0_19identity_decomposerEEEEE10hipError_tT0_T1_T2_jT3_P12ihipStream_tbPNSt15iterator_traitsISK_E10value_typeEPNSQ_ISL_E10value_typeEPSM_NS1_7vsmem_tEENKUlT_SK_SL_SM_E_clISE_PxSF_SF_EESJ_SZ_SK_SL_SM_EUlSZ_E1_NS1_11comp_targetILNS1_3genE3ELNS1_11target_archE908ELNS1_3gpuE7ELNS1_3repE0EEENS1_36merge_oddeven_config_static_selectorELNS0_4arch9wavefront6targetE1EEEvSL_
                                        ; -- End function
	.section	.AMDGPU.csdata,"",@progbits
; Kernel info:
; codeLenInByte = 0
; NumSgprs: 4
; NumVgprs: 0
; NumAgprs: 0
; TotalNumVgprs: 0
; ScratchSize: 0
; MemoryBound: 0
; FloatMode: 240
; IeeeMode: 1
; LDSByteSize: 0 bytes/workgroup (compile time only)
; SGPRBlocks: 0
; VGPRBlocks: 0
; NumSGPRsForWavesPerEU: 4
; NumVGPRsForWavesPerEU: 1
; AccumOffset: 4
; Occupancy: 8
; WaveLimiterHint : 0
; COMPUTE_PGM_RSRC2:SCRATCH_EN: 0
; COMPUTE_PGM_RSRC2:USER_SGPR: 6
; COMPUTE_PGM_RSRC2:TRAP_HANDLER: 0
; COMPUTE_PGM_RSRC2:TGID_X_EN: 1
; COMPUTE_PGM_RSRC2:TGID_Y_EN: 0
; COMPUTE_PGM_RSRC2:TGID_Z_EN: 0
; COMPUTE_PGM_RSRC2:TIDIG_COMP_CNT: 0
; COMPUTE_PGM_RSRC3_GFX90A:ACCUM_OFFSET: 0
; COMPUTE_PGM_RSRC3_GFX90A:TG_SPLIT: 0
	.section	.text._ZN7rocprim17ROCPRIM_400000_NS6detail17trampoline_kernelINS0_14default_configENS1_38merge_sort_block_merge_config_selectorIxNS0_10empty_typeEEEZZNS1_27merge_sort_block_merge_implIS3_N6thrust23THRUST_200600_302600_NS6detail15normal_iteratorINS9_10device_ptrIxEEEEPS5_jNS1_19radix_merge_compareILb0ELb1ExNS0_19identity_decomposerEEEEE10hipError_tT0_T1_T2_jT3_P12ihipStream_tbPNSt15iterator_traitsISK_E10value_typeEPNSQ_ISL_E10value_typeEPSM_NS1_7vsmem_tEENKUlT_SK_SL_SM_E_clISE_PxSF_SF_EESJ_SZ_SK_SL_SM_EUlSZ_E1_NS1_11comp_targetILNS1_3genE2ELNS1_11target_archE906ELNS1_3gpuE6ELNS1_3repE0EEENS1_36merge_oddeven_config_static_selectorELNS0_4arch9wavefront6targetE1EEEvSL_,"axG",@progbits,_ZN7rocprim17ROCPRIM_400000_NS6detail17trampoline_kernelINS0_14default_configENS1_38merge_sort_block_merge_config_selectorIxNS0_10empty_typeEEEZZNS1_27merge_sort_block_merge_implIS3_N6thrust23THRUST_200600_302600_NS6detail15normal_iteratorINS9_10device_ptrIxEEEEPS5_jNS1_19radix_merge_compareILb0ELb1ExNS0_19identity_decomposerEEEEE10hipError_tT0_T1_T2_jT3_P12ihipStream_tbPNSt15iterator_traitsISK_E10value_typeEPNSQ_ISL_E10value_typeEPSM_NS1_7vsmem_tEENKUlT_SK_SL_SM_E_clISE_PxSF_SF_EESJ_SZ_SK_SL_SM_EUlSZ_E1_NS1_11comp_targetILNS1_3genE2ELNS1_11target_archE906ELNS1_3gpuE6ELNS1_3repE0EEENS1_36merge_oddeven_config_static_selectorELNS0_4arch9wavefront6targetE1EEEvSL_,comdat
	.protected	_ZN7rocprim17ROCPRIM_400000_NS6detail17trampoline_kernelINS0_14default_configENS1_38merge_sort_block_merge_config_selectorIxNS0_10empty_typeEEEZZNS1_27merge_sort_block_merge_implIS3_N6thrust23THRUST_200600_302600_NS6detail15normal_iteratorINS9_10device_ptrIxEEEEPS5_jNS1_19radix_merge_compareILb0ELb1ExNS0_19identity_decomposerEEEEE10hipError_tT0_T1_T2_jT3_P12ihipStream_tbPNSt15iterator_traitsISK_E10value_typeEPNSQ_ISL_E10value_typeEPSM_NS1_7vsmem_tEENKUlT_SK_SL_SM_E_clISE_PxSF_SF_EESJ_SZ_SK_SL_SM_EUlSZ_E1_NS1_11comp_targetILNS1_3genE2ELNS1_11target_archE906ELNS1_3gpuE6ELNS1_3repE0EEENS1_36merge_oddeven_config_static_selectorELNS0_4arch9wavefront6targetE1EEEvSL_ ; -- Begin function _ZN7rocprim17ROCPRIM_400000_NS6detail17trampoline_kernelINS0_14default_configENS1_38merge_sort_block_merge_config_selectorIxNS0_10empty_typeEEEZZNS1_27merge_sort_block_merge_implIS3_N6thrust23THRUST_200600_302600_NS6detail15normal_iteratorINS9_10device_ptrIxEEEEPS5_jNS1_19radix_merge_compareILb0ELb1ExNS0_19identity_decomposerEEEEE10hipError_tT0_T1_T2_jT3_P12ihipStream_tbPNSt15iterator_traitsISK_E10value_typeEPNSQ_ISL_E10value_typeEPSM_NS1_7vsmem_tEENKUlT_SK_SL_SM_E_clISE_PxSF_SF_EESJ_SZ_SK_SL_SM_EUlSZ_E1_NS1_11comp_targetILNS1_3genE2ELNS1_11target_archE906ELNS1_3gpuE6ELNS1_3repE0EEENS1_36merge_oddeven_config_static_selectorELNS0_4arch9wavefront6targetE1EEEvSL_
	.globl	_ZN7rocprim17ROCPRIM_400000_NS6detail17trampoline_kernelINS0_14default_configENS1_38merge_sort_block_merge_config_selectorIxNS0_10empty_typeEEEZZNS1_27merge_sort_block_merge_implIS3_N6thrust23THRUST_200600_302600_NS6detail15normal_iteratorINS9_10device_ptrIxEEEEPS5_jNS1_19radix_merge_compareILb0ELb1ExNS0_19identity_decomposerEEEEE10hipError_tT0_T1_T2_jT3_P12ihipStream_tbPNSt15iterator_traitsISK_E10value_typeEPNSQ_ISL_E10value_typeEPSM_NS1_7vsmem_tEENKUlT_SK_SL_SM_E_clISE_PxSF_SF_EESJ_SZ_SK_SL_SM_EUlSZ_E1_NS1_11comp_targetILNS1_3genE2ELNS1_11target_archE906ELNS1_3gpuE6ELNS1_3repE0EEENS1_36merge_oddeven_config_static_selectorELNS0_4arch9wavefront6targetE1EEEvSL_
	.p2align	8
	.type	_ZN7rocprim17ROCPRIM_400000_NS6detail17trampoline_kernelINS0_14default_configENS1_38merge_sort_block_merge_config_selectorIxNS0_10empty_typeEEEZZNS1_27merge_sort_block_merge_implIS3_N6thrust23THRUST_200600_302600_NS6detail15normal_iteratorINS9_10device_ptrIxEEEEPS5_jNS1_19radix_merge_compareILb0ELb1ExNS0_19identity_decomposerEEEEE10hipError_tT0_T1_T2_jT3_P12ihipStream_tbPNSt15iterator_traitsISK_E10value_typeEPNSQ_ISL_E10value_typeEPSM_NS1_7vsmem_tEENKUlT_SK_SL_SM_E_clISE_PxSF_SF_EESJ_SZ_SK_SL_SM_EUlSZ_E1_NS1_11comp_targetILNS1_3genE2ELNS1_11target_archE906ELNS1_3gpuE6ELNS1_3repE0EEENS1_36merge_oddeven_config_static_selectorELNS0_4arch9wavefront6targetE1EEEvSL_,@function
_ZN7rocprim17ROCPRIM_400000_NS6detail17trampoline_kernelINS0_14default_configENS1_38merge_sort_block_merge_config_selectorIxNS0_10empty_typeEEEZZNS1_27merge_sort_block_merge_implIS3_N6thrust23THRUST_200600_302600_NS6detail15normal_iteratorINS9_10device_ptrIxEEEEPS5_jNS1_19radix_merge_compareILb0ELb1ExNS0_19identity_decomposerEEEEE10hipError_tT0_T1_T2_jT3_P12ihipStream_tbPNSt15iterator_traitsISK_E10value_typeEPNSQ_ISL_E10value_typeEPSM_NS1_7vsmem_tEENKUlT_SK_SL_SM_E_clISE_PxSF_SF_EESJ_SZ_SK_SL_SM_EUlSZ_E1_NS1_11comp_targetILNS1_3genE2ELNS1_11target_archE906ELNS1_3gpuE6ELNS1_3repE0EEENS1_36merge_oddeven_config_static_selectorELNS0_4arch9wavefront6targetE1EEEvSL_: ; @_ZN7rocprim17ROCPRIM_400000_NS6detail17trampoline_kernelINS0_14default_configENS1_38merge_sort_block_merge_config_selectorIxNS0_10empty_typeEEEZZNS1_27merge_sort_block_merge_implIS3_N6thrust23THRUST_200600_302600_NS6detail15normal_iteratorINS9_10device_ptrIxEEEEPS5_jNS1_19radix_merge_compareILb0ELb1ExNS0_19identity_decomposerEEEEE10hipError_tT0_T1_T2_jT3_P12ihipStream_tbPNSt15iterator_traitsISK_E10value_typeEPNSQ_ISL_E10value_typeEPSM_NS1_7vsmem_tEENKUlT_SK_SL_SM_E_clISE_PxSF_SF_EESJ_SZ_SK_SL_SM_EUlSZ_E1_NS1_11comp_targetILNS1_3genE2ELNS1_11target_archE906ELNS1_3gpuE6ELNS1_3repE0EEENS1_36merge_oddeven_config_static_selectorELNS0_4arch9wavefront6targetE1EEEvSL_
; %bb.0:
	.section	.rodata,"a",@progbits
	.p2align	6, 0x0
	.amdhsa_kernel _ZN7rocprim17ROCPRIM_400000_NS6detail17trampoline_kernelINS0_14default_configENS1_38merge_sort_block_merge_config_selectorIxNS0_10empty_typeEEEZZNS1_27merge_sort_block_merge_implIS3_N6thrust23THRUST_200600_302600_NS6detail15normal_iteratorINS9_10device_ptrIxEEEEPS5_jNS1_19radix_merge_compareILb0ELb1ExNS0_19identity_decomposerEEEEE10hipError_tT0_T1_T2_jT3_P12ihipStream_tbPNSt15iterator_traitsISK_E10value_typeEPNSQ_ISL_E10value_typeEPSM_NS1_7vsmem_tEENKUlT_SK_SL_SM_E_clISE_PxSF_SF_EESJ_SZ_SK_SL_SM_EUlSZ_E1_NS1_11comp_targetILNS1_3genE2ELNS1_11target_archE906ELNS1_3gpuE6ELNS1_3repE0EEENS1_36merge_oddeven_config_static_selectorELNS0_4arch9wavefront6targetE1EEEvSL_
		.amdhsa_group_segment_fixed_size 0
		.amdhsa_private_segment_fixed_size 0
		.amdhsa_kernarg_size 48
		.amdhsa_user_sgpr_count 6
		.amdhsa_user_sgpr_private_segment_buffer 1
		.amdhsa_user_sgpr_dispatch_ptr 0
		.amdhsa_user_sgpr_queue_ptr 0
		.amdhsa_user_sgpr_kernarg_segment_ptr 1
		.amdhsa_user_sgpr_dispatch_id 0
		.amdhsa_user_sgpr_flat_scratch_init 0
		.amdhsa_user_sgpr_kernarg_preload_length 0
		.amdhsa_user_sgpr_kernarg_preload_offset 0
		.amdhsa_user_sgpr_private_segment_size 0
		.amdhsa_uses_dynamic_stack 0
		.amdhsa_system_sgpr_private_segment_wavefront_offset 0
		.amdhsa_system_sgpr_workgroup_id_x 1
		.amdhsa_system_sgpr_workgroup_id_y 0
		.amdhsa_system_sgpr_workgroup_id_z 0
		.amdhsa_system_sgpr_workgroup_info 0
		.amdhsa_system_vgpr_workitem_id 0
		.amdhsa_next_free_vgpr 1
		.amdhsa_next_free_sgpr 0
		.amdhsa_accum_offset 4
		.amdhsa_reserve_vcc 0
		.amdhsa_reserve_flat_scratch 0
		.amdhsa_float_round_mode_32 0
		.amdhsa_float_round_mode_16_64 0
		.amdhsa_float_denorm_mode_32 3
		.amdhsa_float_denorm_mode_16_64 3
		.amdhsa_dx10_clamp 1
		.amdhsa_ieee_mode 1
		.amdhsa_fp16_overflow 0
		.amdhsa_tg_split 0
		.amdhsa_exception_fp_ieee_invalid_op 0
		.amdhsa_exception_fp_denorm_src 0
		.amdhsa_exception_fp_ieee_div_zero 0
		.amdhsa_exception_fp_ieee_overflow 0
		.amdhsa_exception_fp_ieee_underflow 0
		.amdhsa_exception_fp_ieee_inexact 0
		.amdhsa_exception_int_div_zero 0
	.end_amdhsa_kernel
	.section	.text._ZN7rocprim17ROCPRIM_400000_NS6detail17trampoline_kernelINS0_14default_configENS1_38merge_sort_block_merge_config_selectorIxNS0_10empty_typeEEEZZNS1_27merge_sort_block_merge_implIS3_N6thrust23THRUST_200600_302600_NS6detail15normal_iteratorINS9_10device_ptrIxEEEEPS5_jNS1_19radix_merge_compareILb0ELb1ExNS0_19identity_decomposerEEEEE10hipError_tT0_T1_T2_jT3_P12ihipStream_tbPNSt15iterator_traitsISK_E10value_typeEPNSQ_ISL_E10value_typeEPSM_NS1_7vsmem_tEENKUlT_SK_SL_SM_E_clISE_PxSF_SF_EESJ_SZ_SK_SL_SM_EUlSZ_E1_NS1_11comp_targetILNS1_3genE2ELNS1_11target_archE906ELNS1_3gpuE6ELNS1_3repE0EEENS1_36merge_oddeven_config_static_selectorELNS0_4arch9wavefront6targetE1EEEvSL_,"axG",@progbits,_ZN7rocprim17ROCPRIM_400000_NS6detail17trampoline_kernelINS0_14default_configENS1_38merge_sort_block_merge_config_selectorIxNS0_10empty_typeEEEZZNS1_27merge_sort_block_merge_implIS3_N6thrust23THRUST_200600_302600_NS6detail15normal_iteratorINS9_10device_ptrIxEEEEPS5_jNS1_19radix_merge_compareILb0ELb1ExNS0_19identity_decomposerEEEEE10hipError_tT0_T1_T2_jT3_P12ihipStream_tbPNSt15iterator_traitsISK_E10value_typeEPNSQ_ISL_E10value_typeEPSM_NS1_7vsmem_tEENKUlT_SK_SL_SM_E_clISE_PxSF_SF_EESJ_SZ_SK_SL_SM_EUlSZ_E1_NS1_11comp_targetILNS1_3genE2ELNS1_11target_archE906ELNS1_3gpuE6ELNS1_3repE0EEENS1_36merge_oddeven_config_static_selectorELNS0_4arch9wavefront6targetE1EEEvSL_,comdat
.Lfunc_end1512:
	.size	_ZN7rocprim17ROCPRIM_400000_NS6detail17trampoline_kernelINS0_14default_configENS1_38merge_sort_block_merge_config_selectorIxNS0_10empty_typeEEEZZNS1_27merge_sort_block_merge_implIS3_N6thrust23THRUST_200600_302600_NS6detail15normal_iteratorINS9_10device_ptrIxEEEEPS5_jNS1_19radix_merge_compareILb0ELb1ExNS0_19identity_decomposerEEEEE10hipError_tT0_T1_T2_jT3_P12ihipStream_tbPNSt15iterator_traitsISK_E10value_typeEPNSQ_ISL_E10value_typeEPSM_NS1_7vsmem_tEENKUlT_SK_SL_SM_E_clISE_PxSF_SF_EESJ_SZ_SK_SL_SM_EUlSZ_E1_NS1_11comp_targetILNS1_3genE2ELNS1_11target_archE906ELNS1_3gpuE6ELNS1_3repE0EEENS1_36merge_oddeven_config_static_selectorELNS0_4arch9wavefront6targetE1EEEvSL_, .Lfunc_end1512-_ZN7rocprim17ROCPRIM_400000_NS6detail17trampoline_kernelINS0_14default_configENS1_38merge_sort_block_merge_config_selectorIxNS0_10empty_typeEEEZZNS1_27merge_sort_block_merge_implIS3_N6thrust23THRUST_200600_302600_NS6detail15normal_iteratorINS9_10device_ptrIxEEEEPS5_jNS1_19radix_merge_compareILb0ELb1ExNS0_19identity_decomposerEEEEE10hipError_tT0_T1_T2_jT3_P12ihipStream_tbPNSt15iterator_traitsISK_E10value_typeEPNSQ_ISL_E10value_typeEPSM_NS1_7vsmem_tEENKUlT_SK_SL_SM_E_clISE_PxSF_SF_EESJ_SZ_SK_SL_SM_EUlSZ_E1_NS1_11comp_targetILNS1_3genE2ELNS1_11target_archE906ELNS1_3gpuE6ELNS1_3repE0EEENS1_36merge_oddeven_config_static_selectorELNS0_4arch9wavefront6targetE1EEEvSL_
                                        ; -- End function
	.section	.AMDGPU.csdata,"",@progbits
; Kernel info:
; codeLenInByte = 0
; NumSgprs: 4
; NumVgprs: 0
; NumAgprs: 0
; TotalNumVgprs: 0
; ScratchSize: 0
; MemoryBound: 0
; FloatMode: 240
; IeeeMode: 1
; LDSByteSize: 0 bytes/workgroup (compile time only)
; SGPRBlocks: 0
; VGPRBlocks: 0
; NumSGPRsForWavesPerEU: 4
; NumVGPRsForWavesPerEU: 1
; AccumOffset: 4
; Occupancy: 8
; WaveLimiterHint : 0
; COMPUTE_PGM_RSRC2:SCRATCH_EN: 0
; COMPUTE_PGM_RSRC2:USER_SGPR: 6
; COMPUTE_PGM_RSRC2:TRAP_HANDLER: 0
; COMPUTE_PGM_RSRC2:TGID_X_EN: 1
; COMPUTE_PGM_RSRC2:TGID_Y_EN: 0
; COMPUTE_PGM_RSRC2:TGID_Z_EN: 0
; COMPUTE_PGM_RSRC2:TIDIG_COMP_CNT: 0
; COMPUTE_PGM_RSRC3_GFX90A:ACCUM_OFFSET: 0
; COMPUTE_PGM_RSRC3_GFX90A:TG_SPLIT: 0
	.section	.text._ZN7rocprim17ROCPRIM_400000_NS6detail17trampoline_kernelINS0_14default_configENS1_38merge_sort_block_merge_config_selectorIxNS0_10empty_typeEEEZZNS1_27merge_sort_block_merge_implIS3_N6thrust23THRUST_200600_302600_NS6detail15normal_iteratorINS9_10device_ptrIxEEEEPS5_jNS1_19radix_merge_compareILb0ELb1ExNS0_19identity_decomposerEEEEE10hipError_tT0_T1_T2_jT3_P12ihipStream_tbPNSt15iterator_traitsISK_E10value_typeEPNSQ_ISL_E10value_typeEPSM_NS1_7vsmem_tEENKUlT_SK_SL_SM_E_clISE_PxSF_SF_EESJ_SZ_SK_SL_SM_EUlSZ_E1_NS1_11comp_targetILNS1_3genE9ELNS1_11target_archE1100ELNS1_3gpuE3ELNS1_3repE0EEENS1_36merge_oddeven_config_static_selectorELNS0_4arch9wavefront6targetE1EEEvSL_,"axG",@progbits,_ZN7rocprim17ROCPRIM_400000_NS6detail17trampoline_kernelINS0_14default_configENS1_38merge_sort_block_merge_config_selectorIxNS0_10empty_typeEEEZZNS1_27merge_sort_block_merge_implIS3_N6thrust23THRUST_200600_302600_NS6detail15normal_iteratorINS9_10device_ptrIxEEEEPS5_jNS1_19radix_merge_compareILb0ELb1ExNS0_19identity_decomposerEEEEE10hipError_tT0_T1_T2_jT3_P12ihipStream_tbPNSt15iterator_traitsISK_E10value_typeEPNSQ_ISL_E10value_typeEPSM_NS1_7vsmem_tEENKUlT_SK_SL_SM_E_clISE_PxSF_SF_EESJ_SZ_SK_SL_SM_EUlSZ_E1_NS1_11comp_targetILNS1_3genE9ELNS1_11target_archE1100ELNS1_3gpuE3ELNS1_3repE0EEENS1_36merge_oddeven_config_static_selectorELNS0_4arch9wavefront6targetE1EEEvSL_,comdat
	.protected	_ZN7rocprim17ROCPRIM_400000_NS6detail17trampoline_kernelINS0_14default_configENS1_38merge_sort_block_merge_config_selectorIxNS0_10empty_typeEEEZZNS1_27merge_sort_block_merge_implIS3_N6thrust23THRUST_200600_302600_NS6detail15normal_iteratorINS9_10device_ptrIxEEEEPS5_jNS1_19radix_merge_compareILb0ELb1ExNS0_19identity_decomposerEEEEE10hipError_tT0_T1_T2_jT3_P12ihipStream_tbPNSt15iterator_traitsISK_E10value_typeEPNSQ_ISL_E10value_typeEPSM_NS1_7vsmem_tEENKUlT_SK_SL_SM_E_clISE_PxSF_SF_EESJ_SZ_SK_SL_SM_EUlSZ_E1_NS1_11comp_targetILNS1_3genE9ELNS1_11target_archE1100ELNS1_3gpuE3ELNS1_3repE0EEENS1_36merge_oddeven_config_static_selectorELNS0_4arch9wavefront6targetE1EEEvSL_ ; -- Begin function _ZN7rocprim17ROCPRIM_400000_NS6detail17trampoline_kernelINS0_14default_configENS1_38merge_sort_block_merge_config_selectorIxNS0_10empty_typeEEEZZNS1_27merge_sort_block_merge_implIS3_N6thrust23THRUST_200600_302600_NS6detail15normal_iteratorINS9_10device_ptrIxEEEEPS5_jNS1_19radix_merge_compareILb0ELb1ExNS0_19identity_decomposerEEEEE10hipError_tT0_T1_T2_jT3_P12ihipStream_tbPNSt15iterator_traitsISK_E10value_typeEPNSQ_ISL_E10value_typeEPSM_NS1_7vsmem_tEENKUlT_SK_SL_SM_E_clISE_PxSF_SF_EESJ_SZ_SK_SL_SM_EUlSZ_E1_NS1_11comp_targetILNS1_3genE9ELNS1_11target_archE1100ELNS1_3gpuE3ELNS1_3repE0EEENS1_36merge_oddeven_config_static_selectorELNS0_4arch9wavefront6targetE1EEEvSL_
	.globl	_ZN7rocprim17ROCPRIM_400000_NS6detail17trampoline_kernelINS0_14default_configENS1_38merge_sort_block_merge_config_selectorIxNS0_10empty_typeEEEZZNS1_27merge_sort_block_merge_implIS3_N6thrust23THRUST_200600_302600_NS6detail15normal_iteratorINS9_10device_ptrIxEEEEPS5_jNS1_19radix_merge_compareILb0ELb1ExNS0_19identity_decomposerEEEEE10hipError_tT0_T1_T2_jT3_P12ihipStream_tbPNSt15iterator_traitsISK_E10value_typeEPNSQ_ISL_E10value_typeEPSM_NS1_7vsmem_tEENKUlT_SK_SL_SM_E_clISE_PxSF_SF_EESJ_SZ_SK_SL_SM_EUlSZ_E1_NS1_11comp_targetILNS1_3genE9ELNS1_11target_archE1100ELNS1_3gpuE3ELNS1_3repE0EEENS1_36merge_oddeven_config_static_selectorELNS0_4arch9wavefront6targetE1EEEvSL_
	.p2align	8
	.type	_ZN7rocprim17ROCPRIM_400000_NS6detail17trampoline_kernelINS0_14default_configENS1_38merge_sort_block_merge_config_selectorIxNS0_10empty_typeEEEZZNS1_27merge_sort_block_merge_implIS3_N6thrust23THRUST_200600_302600_NS6detail15normal_iteratorINS9_10device_ptrIxEEEEPS5_jNS1_19radix_merge_compareILb0ELb1ExNS0_19identity_decomposerEEEEE10hipError_tT0_T1_T2_jT3_P12ihipStream_tbPNSt15iterator_traitsISK_E10value_typeEPNSQ_ISL_E10value_typeEPSM_NS1_7vsmem_tEENKUlT_SK_SL_SM_E_clISE_PxSF_SF_EESJ_SZ_SK_SL_SM_EUlSZ_E1_NS1_11comp_targetILNS1_3genE9ELNS1_11target_archE1100ELNS1_3gpuE3ELNS1_3repE0EEENS1_36merge_oddeven_config_static_selectorELNS0_4arch9wavefront6targetE1EEEvSL_,@function
_ZN7rocprim17ROCPRIM_400000_NS6detail17trampoline_kernelINS0_14default_configENS1_38merge_sort_block_merge_config_selectorIxNS0_10empty_typeEEEZZNS1_27merge_sort_block_merge_implIS3_N6thrust23THRUST_200600_302600_NS6detail15normal_iteratorINS9_10device_ptrIxEEEEPS5_jNS1_19radix_merge_compareILb0ELb1ExNS0_19identity_decomposerEEEEE10hipError_tT0_T1_T2_jT3_P12ihipStream_tbPNSt15iterator_traitsISK_E10value_typeEPNSQ_ISL_E10value_typeEPSM_NS1_7vsmem_tEENKUlT_SK_SL_SM_E_clISE_PxSF_SF_EESJ_SZ_SK_SL_SM_EUlSZ_E1_NS1_11comp_targetILNS1_3genE9ELNS1_11target_archE1100ELNS1_3gpuE3ELNS1_3repE0EEENS1_36merge_oddeven_config_static_selectorELNS0_4arch9wavefront6targetE1EEEvSL_: ; @_ZN7rocprim17ROCPRIM_400000_NS6detail17trampoline_kernelINS0_14default_configENS1_38merge_sort_block_merge_config_selectorIxNS0_10empty_typeEEEZZNS1_27merge_sort_block_merge_implIS3_N6thrust23THRUST_200600_302600_NS6detail15normal_iteratorINS9_10device_ptrIxEEEEPS5_jNS1_19radix_merge_compareILb0ELb1ExNS0_19identity_decomposerEEEEE10hipError_tT0_T1_T2_jT3_P12ihipStream_tbPNSt15iterator_traitsISK_E10value_typeEPNSQ_ISL_E10value_typeEPSM_NS1_7vsmem_tEENKUlT_SK_SL_SM_E_clISE_PxSF_SF_EESJ_SZ_SK_SL_SM_EUlSZ_E1_NS1_11comp_targetILNS1_3genE9ELNS1_11target_archE1100ELNS1_3gpuE3ELNS1_3repE0EEENS1_36merge_oddeven_config_static_selectorELNS0_4arch9wavefront6targetE1EEEvSL_
; %bb.0:
	.section	.rodata,"a",@progbits
	.p2align	6, 0x0
	.amdhsa_kernel _ZN7rocprim17ROCPRIM_400000_NS6detail17trampoline_kernelINS0_14default_configENS1_38merge_sort_block_merge_config_selectorIxNS0_10empty_typeEEEZZNS1_27merge_sort_block_merge_implIS3_N6thrust23THRUST_200600_302600_NS6detail15normal_iteratorINS9_10device_ptrIxEEEEPS5_jNS1_19radix_merge_compareILb0ELb1ExNS0_19identity_decomposerEEEEE10hipError_tT0_T1_T2_jT3_P12ihipStream_tbPNSt15iterator_traitsISK_E10value_typeEPNSQ_ISL_E10value_typeEPSM_NS1_7vsmem_tEENKUlT_SK_SL_SM_E_clISE_PxSF_SF_EESJ_SZ_SK_SL_SM_EUlSZ_E1_NS1_11comp_targetILNS1_3genE9ELNS1_11target_archE1100ELNS1_3gpuE3ELNS1_3repE0EEENS1_36merge_oddeven_config_static_selectorELNS0_4arch9wavefront6targetE1EEEvSL_
		.amdhsa_group_segment_fixed_size 0
		.amdhsa_private_segment_fixed_size 0
		.amdhsa_kernarg_size 48
		.amdhsa_user_sgpr_count 6
		.amdhsa_user_sgpr_private_segment_buffer 1
		.amdhsa_user_sgpr_dispatch_ptr 0
		.amdhsa_user_sgpr_queue_ptr 0
		.amdhsa_user_sgpr_kernarg_segment_ptr 1
		.amdhsa_user_sgpr_dispatch_id 0
		.amdhsa_user_sgpr_flat_scratch_init 0
		.amdhsa_user_sgpr_kernarg_preload_length 0
		.amdhsa_user_sgpr_kernarg_preload_offset 0
		.amdhsa_user_sgpr_private_segment_size 0
		.amdhsa_uses_dynamic_stack 0
		.amdhsa_system_sgpr_private_segment_wavefront_offset 0
		.amdhsa_system_sgpr_workgroup_id_x 1
		.amdhsa_system_sgpr_workgroup_id_y 0
		.amdhsa_system_sgpr_workgroup_id_z 0
		.amdhsa_system_sgpr_workgroup_info 0
		.amdhsa_system_vgpr_workitem_id 0
		.amdhsa_next_free_vgpr 1
		.amdhsa_next_free_sgpr 0
		.amdhsa_accum_offset 4
		.amdhsa_reserve_vcc 0
		.amdhsa_reserve_flat_scratch 0
		.amdhsa_float_round_mode_32 0
		.amdhsa_float_round_mode_16_64 0
		.amdhsa_float_denorm_mode_32 3
		.amdhsa_float_denorm_mode_16_64 3
		.amdhsa_dx10_clamp 1
		.amdhsa_ieee_mode 1
		.amdhsa_fp16_overflow 0
		.amdhsa_tg_split 0
		.amdhsa_exception_fp_ieee_invalid_op 0
		.amdhsa_exception_fp_denorm_src 0
		.amdhsa_exception_fp_ieee_div_zero 0
		.amdhsa_exception_fp_ieee_overflow 0
		.amdhsa_exception_fp_ieee_underflow 0
		.amdhsa_exception_fp_ieee_inexact 0
		.amdhsa_exception_int_div_zero 0
	.end_amdhsa_kernel
	.section	.text._ZN7rocprim17ROCPRIM_400000_NS6detail17trampoline_kernelINS0_14default_configENS1_38merge_sort_block_merge_config_selectorIxNS0_10empty_typeEEEZZNS1_27merge_sort_block_merge_implIS3_N6thrust23THRUST_200600_302600_NS6detail15normal_iteratorINS9_10device_ptrIxEEEEPS5_jNS1_19radix_merge_compareILb0ELb1ExNS0_19identity_decomposerEEEEE10hipError_tT0_T1_T2_jT3_P12ihipStream_tbPNSt15iterator_traitsISK_E10value_typeEPNSQ_ISL_E10value_typeEPSM_NS1_7vsmem_tEENKUlT_SK_SL_SM_E_clISE_PxSF_SF_EESJ_SZ_SK_SL_SM_EUlSZ_E1_NS1_11comp_targetILNS1_3genE9ELNS1_11target_archE1100ELNS1_3gpuE3ELNS1_3repE0EEENS1_36merge_oddeven_config_static_selectorELNS0_4arch9wavefront6targetE1EEEvSL_,"axG",@progbits,_ZN7rocprim17ROCPRIM_400000_NS6detail17trampoline_kernelINS0_14default_configENS1_38merge_sort_block_merge_config_selectorIxNS0_10empty_typeEEEZZNS1_27merge_sort_block_merge_implIS3_N6thrust23THRUST_200600_302600_NS6detail15normal_iteratorINS9_10device_ptrIxEEEEPS5_jNS1_19radix_merge_compareILb0ELb1ExNS0_19identity_decomposerEEEEE10hipError_tT0_T1_T2_jT3_P12ihipStream_tbPNSt15iterator_traitsISK_E10value_typeEPNSQ_ISL_E10value_typeEPSM_NS1_7vsmem_tEENKUlT_SK_SL_SM_E_clISE_PxSF_SF_EESJ_SZ_SK_SL_SM_EUlSZ_E1_NS1_11comp_targetILNS1_3genE9ELNS1_11target_archE1100ELNS1_3gpuE3ELNS1_3repE0EEENS1_36merge_oddeven_config_static_selectorELNS0_4arch9wavefront6targetE1EEEvSL_,comdat
.Lfunc_end1513:
	.size	_ZN7rocprim17ROCPRIM_400000_NS6detail17trampoline_kernelINS0_14default_configENS1_38merge_sort_block_merge_config_selectorIxNS0_10empty_typeEEEZZNS1_27merge_sort_block_merge_implIS3_N6thrust23THRUST_200600_302600_NS6detail15normal_iteratorINS9_10device_ptrIxEEEEPS5_jNS1_19radix_merge_compareILb0ELb1ExNS0_19identity_decomposerEEEEE10hipError_tT0_T1_T2_jT3_P12ihipStream_tbPNSt15iterator_traitsISK_E10value_typeEPNSQ_ISL_E10value_typeEPSM_NS1_7vsmem_tEENKUlT_SK_SL_SM_E_clISE_PxSF_SF_EESJ_SZ_SK_SL_SM_EUlSZ_E1_NS1_11comp_targetILNS1_3genE9ELNS1_11target_archE1100ELNS1_3gpuE3ELNS1_3repE0EEENS1_36merge_oddeven_config_static_selectorELNS0_4arch9wavefront6targetE1EEEvSL_, .Lfunc_end1513-_ZN7rocprim17ROCPRIM_400000_NS6detail17trampoline_kernelINS0_14default_configENS1_38merge_sort_block_merge_config_selectorIxNS0_10empty_typeEEEZZNS1_27merge_sort_block_merge_implIS3_N6thrust23THRUST_200600_302600_NS6detail15normal_iteratorINS9_10device_ptrIxEEEEPS5_jNS1_19radix_merge_compareILb0ELb1ExNS0_19identity_decomposerEEEEE10hipError_tT0_T1_T2_jT3_P12ihipStream_tbPNSt15iterator_traitsISK_E10value_typeEPNSQ_ISL_E10value_typeEPSM_NS1_7vsmem_tEENKUlT_SK_SL_SM_E_clISE_PxSF_SF_EESJ_SZ_SK_SL_SM_EUlSZ_E1_NS1_11comp_targetILNS1_3genE9ELNS1_11target_archE1100ELNS1_3gpuE3ELNS1_3repE0EEENS1_36merge_oddeven_config_static_selectorELNS0_4arch9wavefront6targetE1EEEvSL_
                                        ; -- End function
	.section	.AMDGPU.csdata,"",@progbits
; Kernel info:
; codeLenInByte = 0
; NumSgprs: 4
; NumVgprs: 0
; NumAgprs: 0
; TotalNumVgprs: 0
; ScratchSize: 0
; MemoryBound: 0
; FloatMode: 240
; IeeeMode: 1
; LDSByteSize: 0 bytes/workgroup (compile time only)
; SGPRBlocks: 0
; VGPRBlocks: 0
; NumSGPRsForWavesPerEU: 4
; NumVGPRsForWavesPerEU: 1
; AccumOffset: 4
; Occupancy: 8
; WaveLimiterHint : 0
; COMPUTE_PGM_RSRC2:SCRATCH_EN: 0
; COMPUTE_PGM_RSRC2:USER_SGPR: 6
; COMPUTE_PGM_RSRC2:TRAP_HANDLER: 0
; COMPUTE_PGM_RSRC2:TGID_X_EN: 1
; COMPUTE_PGM_RSRC2:TGID_Y_EN: 0
; COMPUTE_PGM_RSRC2:TGID_Z_EN: 0
; COMPUTE_PGM_RSRC2:TIDIG_COMP_CNT: 0
; COMPUTE_PGM_RSRC3_GFX90A:ACCUM_OFFSET: 0
; COMPUTE_PGM_RSRC3_GFX90A:TG_SPLIT: 0
	.section	.text._ZN7rocprim17ROCPRIM_400000_NS6detail17trampoline_kernelINS0_14default_configENS1_38merge_sort_block_merge_config_selectorIxNS0_10empty_typeEEEZZNS1_27merge_sort_block_merge_implIS3_N6thrust23THRUST_200600_302600_NS6detail15normal_iteratorINS9_10device_ptrIxEEEEPS5_jNS1_19radix_merge_compareILb0ELb1ExNS0_19identity_decomposerEEEEE10hipError_tT0_T1_T2_jT3_P12ihipStream_tbPNSt15iterator_traitsISK_E10value_typeEPNSQ_ISL_E10value_typeEPSM_NS1_7vsmem_tEENKUlT_SK_SL_SM_E_clISE_PxSF_SF_EESJ_SZ_SK_SL_SM_EUlSZ_E1_NS1_11comp_targetILNS1_3genE8ELNS1_11target_archE1030ELNS1_3gpuE2ELNS1_3repE0EEENS1_36merge_oddeven_config_static_selectorELNS0_4arch9wavefront6targetE1EEEvSL_,"axG",@progbits,_ZN7rocprim17ROCPRIM_400000_NS6detail17trampoline_kernelINS0_14default_configENS1_38merge_sort_block_merge_config_selectorIxNS0_10empty_typeEEEZZNS1_27merge_sort_block_merge_implIS3_N6thrust23THRUST_200600_302600_NS6detail15normal_iteratorINS9_10device_ptrIxEEEEPS5_jNS1_19radix_merge_compareILb0ELb1ExNS0_19identity_decomposerEEEEE10hipError_tT0_T1_T2_jT3_P12ihipStream_tbPNSt15iterator_traitsISK_E10value_typeEPNSQ_ISL_E10value_typeEPSM_NS1_7vsmem_tEENKUlT_SK_SL_SM_E_clISE_PxSF_SF_EESJ_SZ_SK_SL_SM_EUlSZ_E1_NS1_11comp_targetILNS1_3genE8ELNS1_11target_archE1030ELNS1_3gpuE2ELNS1_3repE0EEENS1_36merge_oddeven_config_static_selectorELNS0_4arch9wavefront6targetE1EEEvSL_,comdat
	.protected	_ZN7rocprim17ROCPRIM_400000_NS6detail17trampoline_kernelINS0_14default_configENS1_38merge_sort_block_merge_config_selectorIxNS0_10empty_typeEEEZZNS1_27merge_sort_block_merge_implIS3_N6thrust23THRUST_200600_302600_NS6detail15normal_iteratorINS9_10device_ptrIxEEEEPS5_jNS1_19radix_merge_compareILb0ELb1ExNS0_19identity_decomposerEEEEE10hipError_tT0_T1_T2_jT3_P12ihipStream_tbPNSt15iterator_traitsISK_E10value_typeEPNSQ_ISL_E10value_typeEPSM_NS1_7vsmem_tEENKUlT_SK_SL_SM_E_clISE_PxSF_SF_EESJ_SZ_SK_SL_SM_EUlSZ_E1_NS1_11comp_targetILNS1_3genE8ELNS1_11target_archE1030ELNS1_3gpuE2ELNS1_3repE0EEENS1_36merge_oddeven_config_static_selectorELNS0_4arch9wavefront6targetE1EEEvSL_ ; -- Begin function _ZN7rocprim17ROCPRIM_400000_NS6detail17trampoline_kernelINS0_14default_configENS1_38merge_sort_block_merge_config_selectorIxNS0_10empty_typeEEEZZNS1_27merge_sort_block_merge_implIS3_N6thrust23THRUST_200600_302600_NS6detail15normal_iteratorINS9_10device_ptrIxEEEEPS5_jNS1_19radix_merge_compareILb0ELb1ExNS0_19identity_decomposerEEEEE10hipError_tT0_T1_T2_jT3_P12ihipStream_tbPNSt15iterator_traitsISK_E10value_typeEPNSQ_ISL_E10value_typeEPSM_NS1_7vsmem_tEENKUlT_SK_SL_SM_E_clISE_PxSF_SF_EESJ_SZ_SK_SL_SM_EUlSZ_E1_NS1_11comp_targetILNS1_3genE8ELNS1_11target_archE1030ELNS1_3gpuE2ELNS1_3repE0EEENS1_36merge_oddeven_config_static_selectorELNS0_4arch9wavefront6targetE1EEEvSL_
	.globl	_ZN7rocprim17ROCPRIM_400000_NS6detail17trampoline_kernelINS0_14default_configENS1_38merge_sort_block_merge_config_selectorIxNS0_10empty_typeEEEZZNS1_27merge_sort_block_merge_implIS3_N6thrust23THRUST_200600_302600_NS6detail15normal_iteratorINS9_10device_ptrIxEEEEPS5_jNS1_19radix_merge_compareILb0ELb1ExNS0_19identity_decomposerEEEEE10hipError_tT0_T1_T2_jT3_P12ihipStream_tbPNSt15iterator_traitsISK_E10value_typeEPNSQ_ISL_E10value_typeEPSM_NS1_7vsmem_tEENKUlT_SK_SL_SM_E_clISE_PxSF_SF_EESJ_SZ_SK_SL_SM_EUlSZ_E1_NS1_11comp_targetILNS1_3genE8ELNS1_11target_archE1030ELNS1_3gpuE2ELNS1_3repE0EEENS1_36merge_oddeven_config_static_selectorELNS0_4arch9wavefront6targetE1EEEvSL_
	.p2align	8
	.type	_ZN7rocprim17ROCPRIM_400000_NS6detail17trampoline_kernelINS0_14default_configENS1_38merge_sort_block_merge_config_selectorIxNS0_10empty_typeEEEZZNS1_27merge_sort_block_merge_implIS3_N6thrust23THRUST_200600_302600_NS6detail15normal_iteratorINS9_10device_ptrIxEEEEPS5_jNS1_19radix_merge_compareILb0ELb1ExNS0_19identity_decomposerEEEEE10hipError_tT0_T1_T2_jT3_P12ihipStream_tbPNSt15iterator_traitsISK_E10value_typeEPNSQ_ISL_E10value_typeEPSM_NS1_7vsmem_tEENKUlT_SK_SL_SM_E_clISE_PxSF_SF_EESJ_SZ_SK_SL_SM_EUlSZ_E1_NS1_11comp_targetILNS1_3genE8ELNS1_11target_archE1030ELNS1_3gpuE2ELNS1_3repE0EEENS1_36merge_oddeven_config_static_selectorELNS0_4arch9wavefront6targetE1EEEvSL_,@function
_ZN7rocprim17ROCPRIM_400000_NS6detail17trampoline_kernelINS0_14default_configENS1_38merge_sort_block_merge_config_selectorIxNS0_10empty_typeEEEZZNS1_27merge_sort_block_merge_implIS3_N6thrust23THRUST_200600_302600_NS6detail15normal_iteratorINS9_10device_ptrIxEEEEPS5_jNS1_19radix_merge_compareILb0ELb1ExNS0_19identity_decomposerEEEEE10hipError_tT0_T1_T2_jT3_P12ihipStream_tbPNSt15iterator_traitsISK_E10value_typeEPNSQ_ISL_E10value_typeEPSM_NS1_7vsmem_tEENKUlT_SK_SL_SM_E_clISE_PxSF_SF_EESJ_SZ_SK_SL_SM_EUlSZ_E1_NS1_11comp_targetILNS1_3genE8ELNS1_11target_archE1030ELNS1_3gpuE2ELNS1_3repE0EEENS1_36merge_oddeven_config_static_selectorELNS0_4arch9wavefront6targetE1EEEvSL_: ; @_ZN7rocprim17ROCPRIM_400000_NS6detail17trampoline_kernelINS0_14default_configENS1_38merge_sort_block_merge_config_selectorIxNS0_10empty_typeEEEZZNS1_27merge_sort_block_merge_implIS3_N6thrust23THRUST_200600_302600_NS6detail15normal_iteratorINS9_10device_ptrIxEEEEPS5_jNS1_19radix_merge_compareILb0ELb1ExNS0_19identity_decomposerEEEEE10hipError_tT0_T1_T2_jT3_P12ihipStream_tbPNSt15iterator_traitsISK_E10value_typeEPNSQ_ISL_E10value_typeEPSM_NS1_7vsmem_tEENKUlT_SK_SL_SM_E_clISE_PxSF_SF_EESJ_SZ_SK_SL_SM_EUlSZ_E1_NS1_11comp_targetILNS1_3genE8ELNS1_11target_archE1030ELNS1_3gpuE2ELNS1_3repE0EEENS1_36merge_oddeven_config_static_selectorELNS0_4arch9wavefront6targetE1EEEvSL_
; %bb.0:
	.section	.rodata,"a",@progbits
	.p2align	6, 0x0
	.amdhsa_kernel _ZN7rocprim17ROCPRIM_400000_NS6detail17trampoline_kernelINS0_14default_configENS1_38merge_sort_block_merge_config_selectorIxNS0_10empty_typeEEEZZNS1_27merge_sort_block_merge_implIS3_N6thrust23THRUST_200600_302600_NS6detail15normal_iteratorINS9_10device_ptrIxEEEEPS5_jNS1_19radix_merge_compareILb0ELb1ExNS0_19identity_decomposerEEEEE10hipError_tT0_T1_T2_jT3_P12ihipStream_tbPNSt15iterator_traitsISK_E10value_typeEPNSQ_ISL_E10value_typeEPSM_NS1_7vsmem_tEENKUlT_SK_SL_SM_E_clISE_PxSF_SF_EESJ_SZ_SK_SL_SM_EUlSZ_E1_NS1_11comp_targetILNS1_3genE8ELNS1_11target_archE1030ELNS1_3gpuE2ELNS1_3repE0EEENS1_36merge_oddeven_config_static_selectorELNS0_4arch9wavefront6targetE1EEEvSL_
		.amdhsa_group_segment_fixed_size 0
		.amdhsa_private_segment_fixed_size 0
		.amdhsa_kernarg_size 48
		.amdhsa_user_sgpr_count 6
		.amdhsa_user_sgpr_private_segment_buffer 1
		.amdhsa_user_sgpr_dispatch_ptr 0
		.amdhsa_user_sgpr_queue_ptr 0
		.amdhsa_user_sgpr_kernarg_segment_ptr 1
		.amdhsa_user_sgpr_dispatch_id 0
		.amdhsa_user_sgpr_flat_scratch_init 0
		.amdhsa_user_sgpr_kernarg_preload_length 0
		.amdhsa_user_sgpr_kernarg_preload_offset 0
		.amdhsa_user_sgpr_private_segment_size 0
		.amdhsa_uses_dynamic_stack 0
		.amdhsa_system_sgpr_private_segment_wavefront_offset 0
		.amdhsa_system_sgpr_workgroup_id_x 1
		.amdhsa_system_sgpr_workgroup_id_y 0
		.amdhsa_system_sgpr_workgroup_id_z 0
		.amdhsa_system_sgpr_workgroup_info 0
		.amdhsa_system_vgpr_workitem_id 0
		.amdhsa_next_free_vgpr 1
		.amdhsa_next_free_sgpr 0
		.amdhsa_accum_offset 4
		.amdhsa_reserve_vcc 0
		.amdhsa_reserve_flat_scratch 0
		.amdhsa_float_round_mode_32 0
		.amdhsa_float_round_mode_16_64 0
		.amdhsa_float_denorm_mode_32 3
		.amdhsa_float_denorm_mode_16_64 3
		.amdhsa_dx10_clamp 1
		.amdhsa_ieee_mode 1
		.amdhsa_fp16_overflow 0
		.amdhsa_tg_split 0
		.amdhsa_exception_fp_ieee_invalid_op 0
		.amdhsa_exception_fp_denorm_src 0
		.amdhsa_exception_fp_ieee_div_zero 0
		.amdhsa_exception_fp_ieee_overflow 0
		.amdhsa_exception_fp_ieee_underflow 0
		.amdhsa_exception_fp_ieee_inexact 0
		.amdhsa_exception_int_div_zero 0
	.end_amdhsa_kernel
	.section	.text._ZN7rocprim17ROCPRIM_400000_NS6detail17trampoline_kernelINS0_14default_configENS1_38merge_sort_block_merge_config_selectorIxNS0_10empty_typeEEEZZNS1_27merge_sort_block_merge_implIS3_N6thrust23THRUST_200600_302600_NS6detail15normal_iteratorINS9_10device_ptrIxEEEEPS5_jNS1_19radix_merge_compareILb0ELb1ExNS0_19identity_decomposerEEEEE10hipError_tT0_T1_T2_jT3_P12ihipStream_tbPNSt15iterator_traitsISK_E10value_typeEPNSQ_ISL_E10value_typeEPSM_NS1_7vsmem_tEENKUlT_SK_SL_SM_E_clISE_PxSF_SF_EESJ_SZ_SK_SL_SM_EUlSZ_E1_NS1_11comp_targetILNS1_3genE8ELNS1_11target_archE1030ELNS1_3gpuE2ELNS1_3repE0EEENS1_36merge_oddeven_config_static_selectorELNS0_4arch9wavefront6targetE1EEEvSL_,"axG",@progbits,_ZN7rocprim17ROCPRIM_400000_NS6detail17trampoline_kernelINS0_14default_configENS1_38merge_sort_block_merge_config_selectorIxNS0_10empty_typeEEEZZNS1_27merge_sort_block_merge_implIS3_N6thrust23THRUST_200600_302600_NS6detail15normal_iteratorINS9_10device_ptrIxEEEEPS5_jNS1_19radix_merge_compareILb0ELb1ExNS0_19identity_decomposerEEEEE10hipError_tT0_T1_T2_jT3_P12ihipStream_tbPNSt15iterator_traitsISK_E10value_typeEPNSQ_ISL_E10value_typeEPSM_NS1_7vsmem_tEENKUlT_SK_SL_SM_E_clISE_PxSF_SF_EESJ_SZ_SK_SL_SM_EUlSZ_E1_NS1_11comp_targetILNS1_3genE8ELNS1_11target_archE1030ELNS1_3gpuE2ELNS1_3repE0EEENS1_36merge_oddeven_config_static_selectorELNS0_4arch9wavefront6targetE1EEEvSL_,comdat
.Lfunc_end1514:
	.size	_ZN7rocprim17ROCPRIM_400000_NS6detail17trampoline_kernelINS0_14default_configENS1_38merge_sort_block_merge_config_selectorIxNS0_10empty_typeEEEZZNS1_27merge_sort_block_merge_implIS3_N6thrust23THRUST_200600_302600_NS6detail15normal_iteratorINS9_10device_ptrIxEEEEPS5_jNS1_19radix_merge_compareILb0ELb1ExNS0_19identity_decomposerEEEEE10hipError_tT0_T1_T2_jT3_P12ihipStream_tbPNSt15iterator_traitsISK_E10value_typeEPNSQ_ISL_E10value_typeEPSM_NS1_7vsmem_tEENKUlT_SK_SL_SM_E_clISE_PxSF_SF_EESJ_SZ_SK_SL_SM_EUlSZ_E1_NS1_11comp_targetILNS1_3genE8ELNS1_11target_archE1030ELNS1_3gpuE2ELNS1_3repE0EEENS1_36merge_oddeven_config_static_selectorELNS0_4arch9wavefront6targetE1EEEvSL_, .Lfunc_end1514-_ZN7rocprim17ROCPRIM_400000_NS6detail17trampoline_kernelINS0_14default_configENS1_38merge_sort_block_merge_config_selectorIxNS0_10empty_typeEEEZZNS1_27merge_sort_block_merge_implIS3_N6thrust23THRUST_200600_302600_NS6detail15normal_iteratorINS9_10device_ptrIxEEEEPS5_jNS1_19radix_merge_compareILb0ELb1ExNS0_19identity_decomposerEEEEE10hipError_tT0_T1_T2_jT3_P12ihipStream_tbPNSt15iterator_traitsISK_E10value_typeEPNSQ_ISL_E10value_typeEPSM_NS1_7vsmem_tEENKUlT_SK_SL_SM_E_clISE_PxSF_SF_EESJ_SZ_SK_SL_SM_EUlSZ_E1_NS1_11comp_targetILNS1_3genE8ELNS1_11target_archE1030ELNS1_3gpuE2ELNS1_3repE0EEENS1_36merge_oddeven_config_static_selectorELNS0_4arch9wavefront6targetE1EEEvSL_
                                        ; -- End function
	.section	.AMDGPU.csdata,"",@progbits
; Kernel info:
; codeLenInByte = 0
; NumSgprs: 4
; NumVgprs: 0
; NumAgprs: 0
; TotalNumVgprs: 0
; ScratchSize: 0
; MemoryBound: 0
; FloatMode: 240
; IeeeMode: 1
; LDSByteSize: 0 bytes/workgroup (compile time only)
; SGPRBlocks: 0
; VGPRBlocks: 0
; NumSGPRsForWavesPerEU: 4
; NumVGPRsForWavesPerEU: 1
; AccumOffset: 4
; Occupancy: 8
; WaveLimiterHint : 0
; COMPUTE_PGM_RSRC2:SCRATCH_EN: 0
; COMPUTE_PGM_RSRC2:USER_SGPR: 6
; COMPUTE_PGM_RSRC2:TRAP_HANDLER: 0
; COMPUTE_PGM_RSRC2:TGID_X_EN: 1
; COMPUTE_PGM_RSRC2:TGID_Y_EN: 0
; COMPUTE_PGM_RSRC2:TGID_Z_EN: 0
; COMPUTE_PGM_RSRC2:TIDIG_COMP_CNT: 0
; COMPUTE_PGM_RSRC3_GFX90A:ACCUM_OFFSET: 0
; COMPUTE_PGM_RSRC3_GFX90A:TG_SPLIT: 0
	.section	.text._ZN7rocprim17ROCPRIM_400000_NS6detail17trampoline_kernelINS0_14default_configENS1_35radix_sort_onesweep_config_selectorIxNS0_10empty_typeEEEZNS1_34radix_sort_onesweep_global_offsetsIS3_Lb0EN6thrust23THRUST_200600_302600_NS6detail15normal_iteratorINS9_10device_ptrIxEEEEPS5_jNS0_19identity_decomposerEEE10hipError_tT1_T2_PT3_SK_jT4_jjP12ihipStream_tbEUlT_E_NS1_11comp_targetILNS1_3genE0ELNS1_11target_archE4294967295ELNS1_3gpuE0ELNS1_3repE0EEENS1_52radix_sort_onesweep_histogram_config_static_selectorELNS0_4arch9wavefront6targetE1EEEvSI_,"axG",@progbits,_ZN7rocprim17ROCPRIM_400000_NS6detail17trampoline_kernelINS0_14default_configENS1_35radix_sort_onesweep_config_selectorIxNS0_10empty_typeEEEZNS1_34radix_sort_onesweep_global_offsetsIS3_Lb0EN6thrust23THRUST_200600_302600_NS6detail15normal_iteratorINS9_10device_ptrIxEEEEPS5_jNS0_19identity_decomposerEEE10hipError_tT1_T2_PT3_SK_jT4_jjP12ihipStream_tbEUlT_E_NS1_11comp_targetILNS1_3genE0ELNS1_11target_archE4294967295ELNS1_3gpuE0ELNS1_3repE0EEENS1_52radix_sort_onesweep_histogram_config_static_selectorELNS0_4arch9wavefront6targetE1EEEvSI_,comdat
	.protected	_ZN7rocprim17ROCPRIM_400000_NS6detail17trampoline_kernelINS0_14default_configENS1_35radix_sort_onesweep_config_selectorIxNS0_10empty_typeEEEZNS1_34radix_sort_onesweep_global_offsetsIS3_Lb0EN6thrust23THRUST_200600_302600_NS6detail15normal_iteratorINS9_10device_ptrIxEEEEPS5_jNS0_19identity_decomposerEEE10hipError_tT1_T2_PT3_SK_jT4_jjP12ihipStream_tbEUlT_E_NS1_11comp_targetILNS1_3genE0ELNS1_11target_archE4294967295ELNS1_3gpuE0ELNS1_3repE0EEENS1_52radix_sort_onesweep_histogram_config_static_selectorELNS0_4arch9wavefront6targetE1EEEvSI_ ; -- Begin function _ZN7rocprim17ROCPRIM_400000_NS6detail17trampoline_kernelINS0_14default_configENS1_35radix_sort_onesweep_config_selectorIxNS0_10empty_typeEEEZNS1_34radix_sort_onesweep_global_offsetsIS3_Lb0EN6thrust23THRUST_200600_302600_NS6detail15normal_iteratorINS9_10device_ptrIxEEEEPS5_jNS0_19identity_decomposerEEE10hipError_tT1_T2_PT3_SK_jT4_jjP12ihipStream_tbEUlT_E_NS1_11comp_targetILNS1_3genE0ELNS1_11target_archE4294967295ELNS1_3gpuE0ELNS1_3repE0EEENS1_52radix_sort_onesweep_histogram_config_static_selectorELNS0_4arch9wavefront6targetE1EEEvSI_
	.globl	_ZN7rocprim17ROCPRIM_400000_NS6detail17trampoline_kernelINS0_14default_configENS1_35radix_sort_onesweep_config_selectorIxNS0_10empty_typeEEEZNS1_34radix_sort_onesweep_global_offsetsIS3_Lb0EN6thrust23THRUST_200600_302600_NS6detail15normal_iteratorINS9_10device_ptrIxEEEEPS5_jNS0_19identity_decomposerEEE10hipError_tT1_T2_PT3_SK_jT4_jjP12ihipStream_tbEUlT_E_NS1_11comp_targetILNS1_3genE0ELNS1_11target_archE4294967295ELNS1_3gpuE0ELNS1_3repE0EEENS1_52radix_sort_onesweep_histogram_config_static_selectorELNS0_4arch9wavefront6targetE1EEEvSI_
	.p2align	8
	.type	_ZN7rocprim17ROCPRIM_400000_NS6detail17trampoline_kernelINS0_14default_configENS1_35radix_sort_onesweep_config_selectorIxNS0_10empty_typeEEEZNS1_34radix_sort_onesweep_global_offsetsIS3_Lb0EN6thrust23THRUST_200600_302600_NS6detail15normal_iteratorINS9_10device_ptrIxEEEEPS5_jNS0_19identity_decomposerEEE10hipError_tT1_T2_PT3_SK_jT4_jjP12ihipStream_tbEUlT_E_NS1_11comp_targetILNS1_3genE0ELNS1_11target_archE4294967295ELNS1_3gpuE0ELNS1_3repE0EEENS1_52radix_sort_onesweep_histogram_config_static_selectorELNS0_4arch9wavefront6targetE1EEEvSI_,@function
_ZN7rocprim17ROCPRIM_400000_NS6detail17trampoline_kernelINS0_14default_configENS1_35radix_sort_onesweep_config_selectorIxNS0_10empty_typeEEEZNS1_34radix_sort_onesweep_global_offsetsIS3_Lb0EN6thrust23THRUST_200600_302600_NS6detail15normal_iteratorINS9_10device_ptrIxEEEEPS5_jNS0_19identity_decomposerEEE10hipError_tT1_T2_PT3_SK_jT4_jjP12ihipStream_tbEUlT_E_NS1_11comp_targetILNS1_3genE0ELNS1_11target_archE4294967295ELNS1_3gpuE0ELNS1_3repE0EEENS1_52radix_sort_onesweep_histogram_config_static_selectorELNS0_4arch9wavefront6targetE1EEEvSI_: ; @_ZN7rocprim17ROCPRIM_400000_NS6detail17trampoline_kernelINS0_14default_configENS1_35radix_sort_onesweep_config_selectorIxNS0_10empty_typeEEEZNS1_34radix_sort_onesweep_global_offsetsIS3_Lb0EN6thrust23THRUST_200600_302600_NS6detail15normal_iteratorINS9_10device_ptrIxEEEEPS5_jNS0_19identity_decomposerEEE10hipError_tT1_T2_PT3_SK_jT4_jjP12ihipStream_tbEUlT_E_NS1_11comp_targetILNS1_3genE0ELNS1_11target_archE4294967295ELNS1_3gpuE0ELNS1_3repE0EEENS1_52radix_sort_onesweep_histogram_config_static_selectorELNS0_4arch9wavefront6targetE1EEEvSI_
; %bb.0:
	.section	.rodata,"a",@progbits
	.p2align	6, 0x0
	.amdhsa_kernel _ZN7rocprim17ROCPRIM_400000_NS6detail17trampoline_kernelINS0_14default_configENS1_35radix_sort_onesweep_config_selectorIxNS0_10empty_typeEEEZNS1_34radix_sort_onesweep_global_offsetsIS3_Lb0EN6thrust23THRUST_200600_302600_NS6detail15normal_iteratorINS9_10device_ptrIxEEEEPS5_jNS0_19identity_decomposerEEE10hipError_tT1_T2_PT3_SK_jT4_jjP12ihipStream_tbEUlT_E_NS1_11comp_targetILNS1_3genE0ELNS1_11target_archE4294967295ELNS1_3gpuE0ELNS1_3repE0EEENS1_52radix_sort_onesweep_histogram_config_static_selectorELNS0_4arch9wavefront6targetE1EEEvSI_
		.amdhsa_group_segment_fixed_size 0
		.amdhsa_private_segment_fixed_size 0
		.amdhsa_kernarg_size 40
		.amdhsa_user_sgpr_count 6
		.amdhsa_user_sgpr_private_segment_buffer 1
		.amdhsa_user_sgpr_dispatch_ptr 0
		.amdhsa_user_sgpr_queue_ptr 0
		.amdhsa_user_sgpr_kernarg_segment_ptr 1
		.amdhsa_user_sgpr_dispatch_id 0
		.amdhsa_user_sgpr_flat_scratch_init 0
		.amdhsa_user_sgpr_kernarg_preload_length 0
		.amdhsa_user_sgpr_kernarg_preload_offset 0
		.amdhsa_user_sgpr_private_segment_size 0
		.amdhsa_uses_dynamic_stack 0
		.amdhsa_system_sgpr_private_segment_wavefront_offset 0
		.amdhsa_system_sgpr_workgroup_id_x 1
		.amdhsa_system_sgpr_workgroup_id_y 0
		.amdhsa_system_sgpr_workgroup_id_z 0
		.amdhsa_system_sgpr_workgroup_info 0
		.amdhsa_system_vgpr_workitem_id 0
		.amdhsa_next_free_vgpr 1
		.amdhsa_next_free_sgpr 0
		.amdhsa_accum_offset 4
		.amdhsa_reserve_vcc 0
		.amdhsa_reserve_flat_scratch 0
		.amdhsa_float_round_mode_32 0
		.amdhsa_float_round_mode_16_64 0
		.amdhsa_float_denorm_mode_32 3
		.amdhsa_float_denorm_mode_16_64 3
		.amdhsa_dx10_clamp 1
		.amdhsa_ieee_mode 1
		.amdhsa_fp16_overflow 0
		.amdhsa_tg_split 0
		.amdhsa_exception_fp_ieee_invalid_op 0
		.amdhsa_exception_fp_denorm_src 0
		.amdhsa_exception_fp_ieee_div_zero 0
		.amdhsa_exception_fp_ieee_overflow 0
		.amdhsa_exception_fp_ieee_underflow 0
		.amdhsa_exception_fp_ieee_inexact 0
		.amdhsa_exception_int_div_zero 0
	.end_amdhsa_kernel
	.section	.text._ZN7rocprim17ROCPRIM_400000_NS6detail17trampoline_kernelINS0_14default_configENS1_35radix_sort_onesweep_config_selectorIxNS0_10empty_typeEEEZNS1_34radix_sort_onesweep_global_offsetsIS3_Lb0EN6thrust23THRUST_200600_302600_NS6detail15normal_iteratorINS9_10device_ptrIxEEEEPS5_jNS0_19identity_decomposerEEE10hipError_tT1_T2_PT3_SK_jT4_jjP12ihipStream_tbEUlT_E_NS1_11comp_targetILNS1_3genE0ELNS1_11target_archE4294967295ELNS1_3gpuE0ELNS1_3repE0EEENS1_52radix_sort_onesweep_histogram_config_static_selectorELNS0_4arch9wavefront6targetE1EEEvSI_,"axG",@progbits,_ZN7rocprim17ROCPRIM_400000_NS6detail17trampoline_kernelINS0_14default_configENS1_35radix_sort_onesweep_config_selectorIxNS0_10empty_typeEEEZNS1_34radix_sort_onesweep_global_offsetsIS3_Lb0EN6thrust23THRUST_200600_302600_NS6detail15normal_iteratorINS9_10device_ptrIxEEEEPS5_jNS0_19identity_decomposerEEE10hipError_tT1_T2_PT3_SK_jT4_jjP12ihipStream_tbEUlT_E_NS1_11comp_targetILNS1_3genE0ELNS1_11target_archE4294967295ELNS1_3gpuE0ELNS1_3repE0EEENS1_52radix_sort_onesweep_histogram_config_static_selectorELNS0_4arch9wavefront6targetE1EEEvSI_,comdat
.Lfunc_end1515:
	.size	_ZN7rocprim17ROCPRIM_400000_NS6detail17trampoline_kernelINS0_14default_configENS1_35radix_sort_onesweep_config_selectorIxNS0_10empty_typeEEEZNS1_34radix_sort_onesweep_global_offsetsIS3_Lb0EN6thrust23THRUST_200600_302600_NS6detail15normal_iteratorINS9_10device_ptrIxEEEEPS5_jNS0_19identity_decomposerEEE10hipError_tT1_T2_PT3_SK_jT4_jjP12ihipStream_tbEUlT_E_NS1_11comp_targetILNS1_3genE0ELNS1_11target_archE4294967295ELNS1_3gpuE0ELNS1_3repE0EEENS1_52radix_sort_onesweep_histogram_config_static_selectorELNS0_4arch9wavefront6targetE1EEEvSI_, .Lfunc_end1515-_ZN7rocprim17ROCPRIM_400000_NS6detail17trampoline_kernelINS0_14default_configENS1_35radix_sort_onesweep_config_selectorIxNS0_10empty_typeEEEZNS1_34radix_sort_onesweep_global_offsetsIS3_Lb0EN6thrust23THRUST_200600_302600_NS6detail15normal_iteratorINS9_10device_ptrIxEEEEPS5_jNS0_19identity_decomposerEEE10hipError_tT1_T2_PT3_SK_jT4_jjP12ihipStream_tbEUlT_E_NS1_11comp_targetILNS1_3genE0ELNS1_11target_archE4294967295ELNS1_3gpuE0ELNS1_3repE0EEENS1_52radix_sort_onesweep_histogram_config_static_selectorELNS0_4arch9wavefront6targetE1EEEvSI_
                                        ; -- End function
	.section	.AMDGPU.csdata,"",@progbits
; Kernel info:
; codeLenInByte = 0
; NumSgprs: 4
; NumVgprs: 0
; NumAgprs: 0
; TotalNumVgprs: 0
; ScratchSize: 0
; MemoryBound: 0
; FloatMode: 240
; IeeeMode: 1
; LDSByteSize: 0 bytes/workgroup (compile time only)
; SGPRBlocks: 0
; VGPRBlocks: 0
; NumSGPRsForWavesPerEU: 4
; NumVGPRsForWavesPerEU: 1
; AccumOffset: 4
; Occupancy: 8
; WaveLimiterHint : 0
; COMPUTE_PGM_RSRC2:SCRATCH_EN: 0
; COMPUTE_PGM_RSRC2:USER_SGPR: 6
; COMPUTE_PGM_RSRC2:TRAP_HANDLER: 0
; COMPUTE_PGM_RSRC2:TGID_X_EN: 1
; COMPUTE_PGM_RSRC2:TGID_Y_EN: 0
; COMPUTE_PGM_RSRC2:TGID_Z_EN: 0
; COMPUTE_PGM_RSRC2:TIDIG_COMP_CNT: 0
; COMPUTE_PGM_RSRC3_GFX90A:ACCUM_OFFSET: 0
; COMPUTE_PGM_RSRC3_GFX90A:TG_SPLIT: 0
	.section	.text._ZN7rocprim17ROCPRIM_400000_NS6detail17trampoline_kernelINS0_14default_configENS1_35radix_sort_onesweep_config_selectorIxNS0_10empty_typeEEEZNS1_34radix_sort_onesweep_global_offsetsIS3_Lb0EN6thrust23THRUST_200600_302600_NS6detail15normal_iteratorINS9_10device_ptrIxEEEEPS5_jNS0_19identity_decomposerEEE10hipError_tT1_T2_PT3_SK_jT4_jjP12ihipStream_tbEUlT_E_NS1_11comp_targetILNS1_3genE6ELNS1_11target_archE950ELNS1_3gpuE13ELNS1_3repE0EEENS1_52radix_sort_onesweep_histogram_config_static_selectorELNS0_4arch9wavefront6targetE1EEEvSI_,"axG",@progbits,_ZN7rocprim17ROCPRIM_400000_NS6detail17trampoline_kernelINS0_14default_configENS1_35radix_sort_onesweep_config_selectorIxNS0_10empty_typeEEEZNS1_34radix_sort_onesweep_global_offsetsIS3_Lb0EN6thrust23THRUST_200600_302600_NS6detail15normal_iteratorINS9_10device_ptrIxEEEEPS5_jNS0_19identity_decomposerEEE10hipError_tT1_T2_PT3_SK_jT4_jjP12ihipStream_tbEUlT_E_NS1_11comp_targetILNS1_3genE6ELNS1_11target_archE950ELNS1_3gpuE13ELNS1_3repE0EEENS1_52radix_sort_onesweep_histogram_config_static_selectorELNS0_4arch9wavefront6targetE1EEEvSI_,comdat
	.protected	_ZN7rocprim17ROCPRIM_400000_NS6detail17trampoline_kernelINS0_14default_configENS1_35radix_sort_onesweep_config_selectorIxNS0_10empty_typeEEEZNS1_34radix_sort_onesweep_global_offsetsIS3_Lb0EN6thrust23THRUST_200600_302600_NS6detail15normal_iteratorINS9_10device_ptrIxEEEEPS5_jNS0_19identity_decomposerEEE10hipError_tT1_T2_PT3_SK_jT4_jjP12ihipStream_tbEUlT_E_NS1_11comp_targetILNS1_3genE6ELNS1_11target_archE950ELNS1_3gpuE13ELNS1_3repE0EEENS1_52radix_sort_onesweep_histogram_config_static_selectorELNS0_4arch9wavefront6targetE1EEEvSI_ ; -- Begin function _ZN7rocprim17ROCPRIM_400000_NS6detail17trampoline_kernelINS0_14default_configENS1_35radix_sort_onesweep_config_selectorIxNS0_10empty_typeEEEZNS1_34radix_sort_onesweep_global_offsetsIS3_Lb0EN6thrust23THRUST_200600_302600_NS6detail15normal_iteratorINS9_10device_ptrIxEEEEPS5_jNS0_19identity_decomposerEEE10hipError_tT1_T2_PT3_SK_jT4_jjP12ihipStream_tbEUlT_E_NS1_11comp_targetILNS1_3genE6ELNS1_11target_archE950ELNS1_3gpuE13ELNS1_3repE0EEENS1_52radix_sort_onesweep_histogram_config_static_selectorELNS0_4arch9wavefront6targetE1EEEvSI_
	.globl	_ZN7rocprim17ROCPRIM_400000_NS6detail17trampoline_kernelINS0_14default_configENS1_35radix_sort_onesweep_config_selectorIxNS0_10empty_typeEEEZNS1_34radix_sort_onesweep_global_offsetsIS3_Lb0EN6thrust23THRUST_200600_302600_NS6detail15normal_iteratorINS9_10device_ptrIxEEEEPS5_jNS0_19identity_decomposerEEE10hipError_tT1_T2_PT3_SK_jT4_jjP12ihipStream_tbEUlT_E_NS1_11comp_targetILNS1_3genE6ELNS1_11target_archE950ELNS1_3gpuE13ELNS1_3repE0EEENS1_52radix_sort_onesweep_histogram_config_static_selectorELNS0_4arch9wavefront6targetE1EEEvSI_
	.p2align	8
	.type	_ZN7rocprim17ROCPRIM_400000_NS6detail17trampoline_kernelINS0_14default_configENS1_35radix_sort_onesweep_config_selectorIxNS0_10empty_typeEEEZNS1_34radix_sort_onesweep_global_offsetsIS3_Lb0EN6thrust23THRUST_200600_302600_NS6detail15normal_iteratorINS9_10device_ptrIxEEEEPS5_jNS0_19identity_decomposerEEE10hipError_tT1_T2_PT3_SK_jT4_jjP12ihipStream_tbEUlT_E_NS1_11comp_targetILNS1_3genE6ELNS1_11target_archE950ELNS1_3gpuE13ELNS1_3repE0EEENS1_52radix_sort_onesweep_histogram_config_static_selectorELNS0_4arch9wavefront6targetE1EEEvSI_,@function
_ZN7rocprim17ROCPRIM_400000_NS6detail17trampoline_kernelINS0_14default_configENS1_35radix_sort_onesweep_config_selectorIxNS0_10empty_typeEEEZNS1_34radix_sort_onesweep_global_offsetsIS3_Lb0EN6thrust23THRUST_200600_302600_NS6detail15normal_iteratorINS9_10device_ptrIxEEEEPS5_jNS0_19identity_decomposerEEE10hipError_tT1_T2_PT3_SK_jT4_jjP12ihipStream_tbEUlT_E_NS1_11comp_targetILNS1_3genE6ELNS1_11target_archE950ELNS1_3gpuE13ELNS1_3repE0EEENS1_52radix_sort_onesweep_histogram_config_static_selectorELNS0_4arch9wavefront6targetE1EEEvSI_: ; @_ZN7rocprim17ROCPRIM_400000_NS6detail17trampoline_kernelINS0_14default_configENS1_35radix_sort_onesweep_config_selectorIxNS0_10empty_typeEEEZNS1_34radix_sort_onesweep_global_offsetsIS3_Lb0EN6thrust23THRUST_200600_302600_NS6detail15normal_iteratorINS9_10device_ptrIxEEEEPS5_jNS0_19identity_decomposerEEE10hipError_tT1_T2_PT3_SK_jT4_jjP12ihipStream_tbEUlT_E_NS1_11comp_targetILNS1_3genE6ELNS1_11target_archE950ELNS1_3gpuE13ELNS1_3repE0EEENS1_52radix_sort_onesweep_histogram_config_static_selectorELNS0_4arch9wavefront6targetE1EEEvSI_
; %bb.0:
	.section	.rodata,"a",@progbits
	.p2align	6, 0x0
	.amdhsa_kernel _ZN7rocprim17ROCPRIM_400000_NS6detail17trampoline_kernelINS0_14default_configENS1_35radix_sort_onesweep_config_selectorIxNS0_10empty_typeEEEZNS1_34radix_sort_onesweep_global_offsetsIS3_Lb0EN6thrust23THRUST_200600_302600_NS6detail15normal_iteratorINS9_10device_ptrIxEEEEPS5_jNS0_19identity_decomposerEEE10hipError_tT1_T2_PT3_SK_jT4_jjP12ihipStream_tbEUlT_E_NS1_11comp_targetILNS1_3genE6ELNS1_11target_archE950ELNS1_3gpuE13ELNS1_3repE0EEENS1_52radix_sort_onesweep_histogram_config_static_selectorELNS0_4arch9wavefront6targetE1EEEvSI_
		.amdhsa_group_segment_fixed_size 0
		.amdhsa_private_segment_fixed_size 0
		.amdhsa_kernarg_size 40
		.amdhsa_user_sgpr_count 6
		.amdhsa_user_sgpr_private_segment_buffer 1
		.amdhsa_user_sgpr_dispatch_ptr 0
		.amdhsa_user_sgpr_queue_ptr 0
		.amdhsa_user_sgpr_kernarg_segment_ptr 1
		.amdhsa_user_sgpr_dispatch_id 0
		.amdhsa_user_sgpr_flat_scratch_init 0
		.amdhsa_user_sgpr_kernarg_preload_length 0
		.amdhsa_user_sgpr_kernarg_preload_offset 0
		.amdhsa_user_sgpr_private_segment_size 0
		.amdhsa_uses_dynamic_stack 0
		.amdhsa_system_sgpr_private_segment_wavefront_offset 0
		.amdhsa_system_sgpr_workgroup_id_x 1
		.amdhsa_system_sgpr_workgroup_id_y 0
		.amdhsa_system_sgpr_workgroup_id_z 0
		.amdhsa_system_sgpr_workgroup_info 0
		.amdhsa_system_vgpr_workitem_id 0
		.amdhsa_next_free_vgpr 1
		.amdhsa_next_free_sgpr 0
		.amdhsa_accum_offset 4
		.amdhsa_reserve_vcc 0
		.amdhsa_reserve_flat_scratch 0
		.amdhsa_float_round_mode_32 0
		.amdhsa_float_round_mode_16_64 0
		.amdhsa_float_denorm_mode_32 3
		.amdhsa_float_denorm_mode_16_64 3
		.amdhsa_dx10_clamp 1
		.amdhsa_ieee_mode 1
		.amdhsa_fp16_overflow 0
		.amdhsa_tg_split 0
		.amdhsa_exception_fp_ieee_invalid_op 0
		.amdhsa_exception_fp_denorm_src 0
		.amdhsa_exception_fp_ieee_div_zero 0
		.amdhsa_exception_fp_ieee_overflow 0
		.amdhsa_exception_fp_ieee_underflow 0
		.amdhsa_exception_fp_ieee_inexact 0
		.amdhsa_exception_int_div_zero 0
	.end_amdhsa_kernel
	.section	.text._ZN7rocprim17ROCPRIM_400000_NS6detail17trampoline_kernelINS0_14default_configENS1_35radix_sort_onesweep_config_selectorIxNS0_10empty_typeEEEZNS1_34radix_sort_onesweep_global_offsetsIS3_Lb0EN6thrust23THRUST_200600_302600_NS6detail15normal_iteratorINS9_10device_ptrIxEEEEPS5_jNS0_19identity_decomposerEEE10hipError_tT1_T2_PT3_SK_jT4_jjP12ihipStream_tbEUlT_E_NS1_11comp_targetILNS1_3genE6ELNS1_11target_archE950ELNS1_3gpuE13ELNS1_3repE0EEENS1_52radix_sort_onesweep_histogram_config_static_selectorELNS0_4arch9wavefront6targetE1EEEvSI_,"axG",@progbits,_ZN7rocprim17ROCPRIM_400000_NS6detail17trampoline_kernelINS0_14default_configENS1_35radix_sort_onesweep_config_selectorIxNS0_10empty_typeEEEZNS1_34radix_sort_onesweep_global_offsetsIS3_Lb0EN6thrust23THRUST_200600_302600_NS6detail15normal_iteratorINS9_10device_ptrIxEEEEPS5_jNS0_19identity_decomposerEEE10hipError_tT1_T2_PT3_SK_jT4_jjP12ihipStream_tbEUlT_E_NS1_11comp_targetILNS1_3genE6ELNS1_11target_archE950ELNS1_3gpuE13ELNS1_3repE0EEENS1_52radix_sort_onesweep_histogram_config_static_selectorELNS0_4arch9wavefront6targetE1EEEvSI_,comdat
.Lfunc_end1516:
	.size	_ZN7rocprim17ROCPRIM_400000_NS6detail17trampoline_kernelINS0_14default_configENS1_35radix_sort_onesweep_config_selectorIxNS0_10empty_typeEEEZNS1_34radix_sort_onesweep_global_offsetsIS3_Lb0EN6thrust23THRUST_200600_302600_NS6detail15normal_iteratorINS9_10device_ptrIxEEEEPS5_jNS0_19identity_decomposerEEE10hipError_tT1_T2_PT3_SK_jT4_jjP12ihipStream_tbEUlT_E_NS1_11comp_targetILNS1_3genE6ELNS1_11target_archE950ELNS1_3gpuE13ELNS1_3repE0EEENS1_52radix_sort_onesweep_histogram_config_static_selectorELNS0_4arch9wavefront6targetE1EEEvSI_, .Lfunc_end1516-_ZN7rocprim17ROCPRIM_400000_NS6detail17trampoline_kernelINS0_14default_configENS1_35radix_sort_onesweep_config_selectorIxNS0_10empty_typeEEEZNS1_34radix_sort_onesweep_global_offsetsIS3_Lb0EN6thrust23THRUST_200600_302600_NS6detail15normal_iteratorINS9_10device_ptrIxEEEEPS5_jNS0_19identity_decomposerEEE10hipError_tT1_T2_PT3_SK_jT4_jjP12ihipStream_tbEUlT_E_NS1_11comp_targetILNS1_3genE6ELNS1_11target_archE950ELNS1_3gpuE13ELNS1_3repE0EEENS1_52radix_sort_onesweep_histogram_config_static_selectorELNS0_4arch9wavefront6targetE1EEEvSI_
                                        ; -- End function
	.section	.AMDGPU.csdata,"",@progbits
; Kernel info:
; codeLenInByte = 0
; NumSgprs: 4
; NumVgprs: 0
; NumAgprs: 0
; TotalNumVgprs: 0
; ScratchSize: 0
; MemoryBound: 0
; FloatMode: 240
; IeeeMode: 1
; LDSByteSize: 0 bytes/workgroup (compile time only)
; SGPRBlocks: 0
; VGPRBlocks: 0
; NumSGPRsForWavesPerEU: 4
; NumVGPRsForWavesPerEU: 1
; AccumOffset: 4
; Occupancy: 8
; WaveLimiterHint : 0
; COMPUTE_PGM_RSRC2:SCRATCH_EN: 0
; COMPUTE_PGM_RSRC2:USER_SGPR: 6
; COMPUTE_PGM_RSRC2:TRAP_HANDLER: 0
; COMPUTE_PGM_RSRC2:TGID_X_EN: 1
; COMPUTE_PGM_RSRC2:TGID_Y_EN: 0
; COMPUTE_PGM_RSRC2:TGID_Z_EN: 0
; COMPUTE_PGM_RSRC2:TIDIG_COMP_CNT: 0
; COMPUTE_PGM_RSRC3_GFX90A:ACCUM_OFFSET: 0
; COMPUTE_PGM_RSRC3_GFX90A:TG_SPLIT: 0
	.section	.text._ZN7rocprim17ROCPRIM_400000_NS6detail17trampoline_kernelINS0_14default_configENS1_35radix_sort_onesweep_config_selectorIxNS0_10empty_typeEEEZNS1_34radix_sort_onesweep_global_offsetsIS3_Lb0EN6thrust23THRUST_200600_302600_NS6detail15normal_iteratorINS9_10device_ptrIxEEEEPS5_jNS0_19identity_decomposerEEE10hipError_tT1_T2_PT3_SK_jT4_jjP12ihipStream_tbEUlT_E_NS1_11comp_targetILNS1_3genE5ELNS1_11target_archE942ELNS1_3gpuE9ELNS1_3repE0EEENS1_52radix_sort_onesweep_histogram_config_static_selectorELNS0_4arch9wavefront6targetE1EEEvSI_,"axG",@progbits,_ZN7rocprim17ROCPRIM_400000_NS6detail17trampoline_kernelINS0_14default_configENS1_35radix_sort_onesweep_config_selectorIxNS0_10empty_typeEEEZNS1_34radix_sort_onesweep_global_offsetsIS3_Lb0EN6thrust23THRUST_200600_302600_NS6detail15normal_iteratorINS9_10device_ptrIxEEEEPS5_jNS0_19identity_decomposerEEE10hipError_tT1_T2_PT3_SK_jT4_jjP12ihipStream_tbEUlT_E_NS1_11comp_targetILNS1_3genE5ELNS1_11target_archE942ELNS1_3gpuE9ELNS1_3repE0EEENS1_52radix_sort_onesweep_histogram_config_static_selectorELNS0_4arch9wavefront6targetE1EEEvSI_,comdat
	.protected	_ZN7rocprim17ROCPRIM_400000_NS6detail17trampoline_kernelINS0_14default_configENS1_35radix_sort_onesweep_config_selectorIxNS0_10empty_typeEEEZNS1_34radix_sort_onesweep_global_offsetsIS3_Lb0EN6thrust23THRUST_200600_302600_NS6detail15normal_iteratorINS9_10device_ptrIxEEEEPS5_jNS0_19identity_decomposerEEE10hipError_tT1_T2_PT3_SK_jT4_jjP12ihipStream_tbEUlT_E_NS1_11comp_targetILNS1_3genE5ELNS1_11target_archE942ELNS1_3gpuE9ELNS1_3repE0EEENS1_52radix_sort_onesweep_histogram_config_static_selectorELNS0_4arch9wavefront6targetE1EEEvSI_ ; -- Begin function _ZN7rocprim17ROCPRIM_400000_NS6detail17trampoline_kernelINS0_14default_configENS1_35radix_sort_onesweep_config_selectorIxNS0_10empty_typeEEEZNS1_34radix_sort_onesweep_global_offsetsIS3_Lb0EN6thrust23THRUST_200600_302600_NS6detail15normal_iteratorINS9_10device_ptrIxEEEEPS5_jNS0_19identity_decomposerEEE10hipError_tT1_T2_PT3_SK_jT4_jjP12ihipStream_tbEUlT_E_NS1_11comp_targetILNS1_3genE5ELNS1_11target_archE942ELNS1_3gpuE9ELNS1_3repE0EEENS1_52radix_sort_onesweep_histogram_config_static_selectorELNS0_4arch9wavefront6targetE1EEEvSI_
	.globl	_ZN7rocprim17ROCPRIM_400000_NS6detail17trampoline_kernelINS0_14default_configENS1_35radix_sort_onesweep_config_selectorIxNS0_10empty_typeEEEZNS1_34radix_sort_onesweep_global_offsetsIS3_Lb0EN6thrust23THRUST_200600_302600_NS6detail15normal_iteratorINS9_10device_ptrIxEEEEPS5_jNS0_19identity_decomposerEEE10hipError_tT1_T2_PT3_SK_jT4_jjP12ihipStream_tbEUlT_E_NS1_11comp_targetILNS1_3genE5ELNS1_11target_archE942ELNS1_3gpuE9ELNS1_3repE0EEENS1_52radix_sort_onesweep_histogram_config_static_selectorELNS0_4arch9wavefront6targetE1EEEvSI_
	.p2align	8
	.type	_ZN7rocprim17ROCPRIM_400000_NS6detail17trampoline_kernelINS0_14default_configENS1_35radix_sort_onesweep_config_selectorIxNS0_10empty_typeEEEZNS1_34radix_sort_onesweep_global_offsetsIS3_Lb0EN6thrust23THRUST_200600_302600_NS6detail15normal_iteratorINS9_10device_ptrIxEEEEPS5_jNS0_19identity_decomposerEEE10hipError_tT1_T2_PT3_SK_jT4_jjP12ihipStream_tbEUlT_E_NS1_11comp_targetILNS1_3genE5ELNS1_11target_archE942ELNS1_3gpuE9ELNS1_3repE0EEENS1_52radix_sort_onesweep_histogram_config_static_selectorELNS0_4arch9wavefront6targetE1EEEvSI_,@function
_ZN7rocprim17ROCPRIM_400000_NS6detail17trampoline_kernelINS0_14default_configENS1_35radix_sort_onesweep_config_selectorIxNS0_10empty_typeEEEZNS1_34radix_sort_onesweep_global_offsetsIS3_Lb0EN6thrust23THRUST_200600_302600_NS6detail15normal_iteratorINS9_10device_ptrIxEEEEPS5_jNS0_19identity_decomposerEEE10hipError_tT1_T2_PT3_SK_jT4_jjP12ihipStream_tbEUlT_E_NS1_11comp_targetILNS1_3genE5ELNS1_11target_archE942ELNS1_3gpuE9ELNS1_3repE0EEENS1_52radix_sort_onesweep_histogram_config_static_selectorELNS0_4arch9wavefront6targetE1EEEvSI_: ; @_ZN7rocprim17ROCPRIM_400000_NS6detail17trampoline_kernelINS0_14default_configENS1_35radix_sort_onesweep_config_selectorIxNS0_10empty_typeEEEZNS1_34radix_sort_onesweep_global_offsetsIS3_Lb0EN6thrust23THRUST_200600_302600_NS6detail15normal_iteratorINS9_10device_ptrIxEEEEPS5_jNS0_19identity_decomposerEEE10hipError_tT1_T2_PT3_SK_jT4_jjP12ihipStream_tbEUlT_E_NS1_11comp_targetILNS1_3genE5ELNS1_11target_archE942ELNS1_3gpuE9ELNS1_3repE0EEENS1_52radix_sort_onesweep_histogram_config_static_selectorELNS0_4arch9wavefront6targetE1EEEvSI_
; %bb.0:
	.section	.rodata,"a",@progbits
	.p2align	6, 0x0
	.amdhsa_kernel _ZN7rocprim17ROCPRIM_400000_NS6detail17trampoline_kernelINS0_14default_configENS1_35radix_sort_onesweep_config_selectorIxNS0_10empty_typeEEEZNS1_34radix_sort_onesweep_global_offsetsIS3_Lb0EN6thrust23THRUST_200600_302600_NS6detail15normal_iteratorINS9_10device_ptrIxEEEEPS5_jNS0_19identity_decomposerEEE10hipError_tT1_T2_PT3_SK_jT4_jjP12ihipStream_tbEUlT_E_NS1_11comp_targetILNS1_3genE5ELNS1_11target_archE942ELNS1_3gpuE9ELNS1_3repE0EEENS1_52radix_sort_onesweep_histogram_config_static_selectorELNS0_4arch9wavefront6targetE1EEEvSI_
		.amdhsa_group_segment_fixed_size 0
		.amdhsa_private_segment_fixed_size 0
		.amdhsa_kernarg_size 40
		.amdhsa_user_sgpr_count 6
		.amdhsa_user_sgpr_private_segment_buffer 1
		.amdhsa_user_sgpr_dispatch_ptr 0
		.amdhsa_user_sgpr_queue_ptr 0
		.amdhsa_user_sgpr_kernarg_segment_ptr 1
		.amdhsa_user_sgpr_dispatch_id 0
		.amdhsa_user_sgpr_flat_scratch_init 0
		.amdhsa_user_sgpr_kernarg_preload_length 0
		.amdhsa_user_sgpr_kernarg_preload_offset 0
		.amdhsa_user_sgpr_private_segment_size 0
		.amdhsa_uses_dynamic_stack 0
		.amdhsa_system_sgpr_private_segment_wavefront_offset 0
		.amdhsa_system_sgpr_workgroup_id_x 1
		.amdhsa_system_sgpr_workgroup_id_y 0
		.amdhsa_system_sgpr_workgroup_id_z 0
		.amdhsa_system_sgpr_workgroup_info 0
		.amdhsa_system_vgpr_workitem_id 0
		.amdhsa_next_free_vgpr 1
		.amdhsa_next_free_sgpr 0
		.amdhsa_accum_offset 4
		.amdhsa_reserve_vcc 0
		.amdhsa_reserve_flat_scratch 0
		.amdhsa_float_round_mode_32 0
		.amdhsa_float_round_mode_16_64 0
		.amdhsa_float_denorm_mode_32 3
		.amdhsa_float_denorm_mode_16_64 3
		.amdhsa_dx10_clamp 1
		.amdhsa_ieee_mode 1
		.amdhsa_fp16_overflow 0
		.amdhsa_tg_split 0
		.amdhsa_exception_fp_ieee_invalid_op 0
		.amdhsa_exception_fp_denorm_src 0
		.amdhsa_exception_fp_ieee_div_zero 0
		.amdhsa_exception_fp_ieee_overflow 0
		.amdhsa_exception_fp_ieee_underflow 0
		.amdhsa_exception_fp_ieee_inexact 0
		.amdhsa_exception_int_div_zero 0
	.end_amdhsa_kernel
	.section	.text._ZN7rocprim17ROCPRIM_400000_NS6detail17trampoline_kernelINS0_14default_configENS1_35radix_sort_onesweep_config_selectorIxNS0_10empty_typeEEEZNS1_34radix_sort_onesweep_global_offsetsIS3_Lb0EN6thrust23THRUST_200600_302600_NS6detail15normal_iteratorINS9_10device_ptrIxEEEEPS5_jNS0_19identity_decomposerEEE10hipError_tT1_T2_PT3_SK_jT4_jjP12ihipStream_tbEUlT_E_NS1_11comp_targetILNS1_3genE5ELNS1_11target_archE942ELNS1_3gpuE9ELNS1_3repE0EEENS1_52radix_sort_onesweep_histogram_config_static_selectorELNS0_4arch9wavefront6targetE1EEEvSI_,"axG",@progbits,_ZN7rocprim17ROCPRIM_400000_NS6detail17trampoline_kernelINS0_14default_configENS1_35radix_sort_onesweep_config_selectorIxNS0_10empty_typeEEEZNS1_34radix_sort_onesweep_global_offsetsIS3_Lb0EN6thrust23THRUST_200600_302600_NS6detail15normal_iteratorINS9_10device_ptrIxEEEEPS5_jNS0_19identity_decomposerEEE10hipError_tT1_T2_PT3_SK_jT4_jjP12ihipStream_tbEUlT_E_NS1_11comp_targetILNS1_3genE5ELNS1_11target_archE942ELNS1_3gpuE9ELNS1_3repE0EEENS1_52radix_sort_onesweep_histogram_config_static_selectorELNS0_4arch9wavefront6targetE1EEEvSI_,comdat
.Lfunc_end1517:
	.size	_ZN7rocprim17ROCPRIM_400000_NS6detail17trampoline_kernelINS0_14default_configENS1_35radix_sort_onesweep_config_selectorIxNS0_10empty_typeEEEZNS1_34radix_sort_onesweep_global_offsetsIS3_Lb0EN6thrust23THRUST_200600_302600_NS6detail15normal_iteratorINS9_10device_ptrIxEEEEPS5_jNS0_19identity_decomposerEEE10hipError_tT1_T2_PT3_SK_jT4_jjP12ihipStream_tbEUlT_E_NS1_11comp_targetILNS1_3genE5ELNS1_11target_archE942ELNS1_3gpuE9ELNS1_3repE0EEENS1_52radix_sort_onesweep_histogram_config_static_selectorELNS0_4arch9wavefront6targetE1EEEvSI_, .Lfunc_end1517-_ZN7rocprim17ROCPRIM_400000_NS6detail17trampoline_kernelINS0_14default_configENS1_35radix_sort_onesweep_config_selectorIxNS0_10empty_typeEEEZNS1_34radix_sort_onesweep_global_offsetsIS3_Lb0EN6thrust23THRUST_200600_302600_NS6detail15normal_iteratorINS9_10device_ptrIxEEEEPS5_jNS0_19identity_decomposerEEE10hipError_tT1_T2_PT3_SK_jT4_jjP12ihipStream_tbEUlT_E_NS1_11comp_targetILNS1_3genE5ELNS1_11target_archE942ELNS1_3gpuE9ELNS1_3repE0EEENS1_52radix_sort_onesweep_histogram_config_static_selectorELNS0_4arch9wavefront6targetE1EEEvSI_
                                        ; -- End function
	.section	.AMDGPU.csdata,"",@progbits
; Kernel info:
; codeLenInByte = 0
; NumSgprs: 4
; NumVgprs: 0
; NumAgprs: 0
; TotalNumVgprs: 0
; ScratchSize: 0
; MemoryBound: 0
; FloatMode: 240
; IeeeMode: 1
; LDSByteSize: 0 bytes/workgroup (compile time only)
; SGPRBlocks: 0
; VGPRBlocks: 0
; NumSGPRsForWavesPerEU: 4
; NumVGPRsForWavesPerEU: 1
; AccumOffset: 4
; Occupancy: 8
; WaveLimiterHint : 0
; COMPUTE_PGM_RSRC2:SCRATCH_EN: 0
; COMPUTE_PGM_RSRC2:USER_SGPR: 6
; COMPUTE_PGM_RSRC2:TRAP_HANDLER: 0
; COMPUTE_PGM_RSRC2:TGID_X_EN: 1
; COMPUTE_PGM_RSRC2:TGID_Y_EN: 0
; COMPUTE_PGM_RSRC2:TGID_Z_EN: 0
; COMPUTE_PGM_RSRC2:TIDIG_COMP_CNT: 0
; COMPUTE_PGM_RSRC3_GFX90A:ACCUM_OFFSET: 0
; COMPUTE_PGM_RSRC3_GFX90A:TG_SPLIT: 0
	.section	.text._ZN7rocprim17ROCPRIM_400000_NS6detail17trampoline_kernelINS0_14default_configENS1_35radix_sort_onesweep_config_selectorIxNS0_10empty_typeEEEZNS1_34radix_sort_onesweep_global_offsetsIS3_Lb0EN6thrust23THRUST_200600_302600_NS6detail15normal_iteratorINS9_10device_ptrIxEEEEPS5_jNS0_19identity_decomposerEEE10hipError_tT1_T2_PT3_SK_jT4_jjP12ihipStream_tbEUlT_E_NS1_11comp_targetILNS1_3genE2ELNS1_11target_archE906ELNS1_3gpuE6ELNS1_3repE0EEENS1_52radix_sort_onesweep_histogram_config_static_selectorELNS0_4arch9wavefront6targetE1EEEvSI_,"axG",@progbits,_ZN7rocprim17ROCPRIM_400000_NS6detail17trampoline_kernelINS0_14default_configENS1_35radix_sort_onesweep_config_selectorIxNS0_10empty_typeEEEZNS1_34radix_sort_onesweep_global_offsetsIS3_Lb0EN6thrust23THRUST_200600_302600_NS6detail15normal_iteratorINS9_10device_ptrIxEEEEPS5_jNS0_19identity_decomposerEEE10hipError_tT1_T2_PT3_SK_jT4_jjP12ihipStream_tbEUlT_E_NS1_11comp_targetILNS1_3genE2ELNS1_11target_archE906ELNS1_3gpuE6ELNS1_3repE0EEENS1_52radix_sort_onesweep_histogram_config_static_selectorELNS0_4arch9wavefront6targetE1EEEvSI_,comdat
	.protected	_ZN7rocprim17ROCPRIM_400000_NS6detail17trampoline_kernelINS0_14default_configENS1_35radix_sort_onesweep_config_selectorIxNS0_10empty_typeEEEZNS1_34radix_sort_onesweep_global_offsetsIS3_Lb0EN6thrust23THRUST_200600_302600_NS6detail15normal_iteratorINS9_10device_ptrIxEEEEPS5_jNS0_19identity_decomposerEEE10hipError_tT1_T2_PT3_SK_jT4_jjP12ihipStream_tbEUlT_E_NS1_11comp_targetILNS1_3genE2ELNS1_11target_archE906ELNS1_3gpuE6ELNS1_3repE0EEENS1_52radix_sort_onesweep_histogram_config_static_selectorELNS0_4arch9wavefront6targetE1EEEvSI_ ; -- Begin function _ZN7rocprim17ROCPRIM_400000_NS6detail17trampoline_kernelINS0_14default_configENS1_35radix_sort_onesweep_config_selectorIxNS0_10empty_typeEEEZNS1_34radix_sort_onesweep_global_offsetsIS3_Lb0EN6thrust23THRUST_200600_302600_NS6detail15normal_iteratorINS9_10device_ptrIxEEEEPS5_jNS0_19identity_decomposerEEE10hipError_tT1_T2_PT3_SK_jT4_jjP12ihipStream_tbEUlT_E_NS1_11comp_targetILNS1_3genE2ELNS1_11target_archE906ELNS1_3gpuE6ELNS1_3repE0EEENS1_52radix_sort_onesweep_histogram_config_static_selectorELNS0_4arch9wavefront6targetE1EEEvSI_
	.globl	_ZN7rocprim17ROCPRIM_400000_NS6detail17trampoline_kernelINS0_14default_configENS1_35radix_sort_onesweep_config_selectorIxNS0_10empty_typeEEEZNS1_34radix_sort_onesweep_global_offsetsIS3_Lb0EN6thrust23THRUST_200600_302600_NS6detail15normal_iteratorINS9_10device_ptrIxEEEEPS5_jNS0_19identity_decomposerEEE10hipError_tT1_T2_PT3_SK_jT4_jjP12ihipStream_tbEUlT_E_NS1_11comp_targetILNS1_3genE2ELNS1_11target_archE906ELNS1_3gpuE6ELNS1_3repE0EEENS1_52radix_sort_onesweep_histogram_config_static_selectorELNS0_4arch9wavefront6targetE1EEEvSI_
	.p2align	8
	.type	_ZN7rocprim17ROCPRIM_400000_NS6detail17trampoline_kernelINS0_14default_configENS1_35radix_sort_onesweep_config_selectorIxNS0_10empty_typeEEEZNS1_34radix_sort_onesweep_global_offsetsIS3_Lb0EN6thrust23THRUST_200600_302600_NS6detail15normal_iteratorINS9_10device_ptrIxEEEEPS5_jNS0_19identity_decomposerEEE10hipError_tT1_T2_PT3_SK_jT4_jjP12ihipStream_tbEUlT_E_NS1_11comp_targetILNS1_3genE2ELNS1_11target_archE906ELNS1_3gpuE6ELNS1_3repE0EEENS1_52radix_sort_onesweep_histogram_config_static_selectorELNS0_4arch9wavefront6targetE1EEEvSI_,@function
_ZN7rocprim17ROCPRIM_400000_NS6detail17trampoline_kernelINS0_14default_configENS1_35radix_sort_onesweep_config_selectorIxNS0_10empty_typeEEEZNS1_34radix_sort_onesweep_global_offsetsIS3_Lb0EN6thrust23THRUST_200600_302600_NS6detail15normal_iteratorINS9_10device_ptrIxEEEEPS5_jNS0_19identity_decomposerEEE10hipError_tT1_T2_PT3_SK_jT4_jjP12ihipStream_tbEUlT_E_NS1_11comp_targetILNS1_3genE2ELNS1_11target_archE906ELNS1_3gpuE6ELNS1_3repE0EEENS1_52radix_sort_onesweep_histogram_config_static_selectorELNS0_4arch9wavefront6targetE1EEEvSI_: ; @_ZN7rocprim17ROCPRIM_400000_NS6detail17trampoline_kernelINS0_14default_configENS1_35radix_sort_onesweep_config_selectorIxNS0_10empty_typeEEEZNS1_34radix_sort_onesweep_global_offsetsIS3_Lb0EN6thrust23THRUST_200600_302600_NS6detail15normal_iteratorINS9_10device_ptrIxEEEEPS5_jNS0_19identity_decomposerEEE10hipError_tT1_T2_PT3_SK_jT4_jjP12ihipStream_tbEUlT_E_NS1_11comp_targetILNS1_3genE2ELNS1_11target_archE906ELNS1_3gpuE6ELNS1_3repE0EEENS1_52radix_sort_onesweep_histogram_config_static_selectorELNS0_4arch9wavefront6targetE1EEEvSI_
; %bb.0:
	.section	.rodata,"a",@progbits
	.p2align	6, 0x0
	.amdhsa_kernel _ZN7rocprim17ROCPRIM_400000_NS6detail17trampoline_kernelINS0_14default_configENS1_35radix_sort_onesweep_config_selectorIxNS0_10empty_typeEEEZNS1_34radix_sort_onesweep_global_offsetsIS3_Lb0EN6thrust23THRUST_200600_302600_NS6detail15normal_iteratorINS9_10device_ptrIxEEEEPS5_jNS0_19identity_decomposerEEE10hipError_tT1_T2_PT3_SK_jT4_jjP12ihipStream_tbEUlT_E_NS1_11comp_targetILNS1_3genE2ELNS1_11target_archE906ELNS1_3gpuE6ELNS1_3repE0EEENS1_52radix_sort_onesweep_histogram_config_static_selectorELNS0_4arch9wavefront6targetE1EEEvSI_
		.amdhsa_group_segment_fixed_size 0
		.amdhsa_private_segment_fixed_size 0
		.amdhsa_kernarg_size 40
		.amdhsa_user_sgpr_count 6
		.amdhsa_user_sgpr_private_segment_buffer 1
		.amdhsa_user_sgpr_dispatch_ptr 0
		.amdhsa_user_sgpr_queue_ptr 0
		.amdhsa_user_sgpr_kernarg_segment_ptr 1
		.amdhsa_user_sgpr_dispatch_id 0
		.amdhsa_user_sgpr_flat_scratch_init 0
		.amdhsa_user_sgpr_kernarg_preload_length 0
		.amdhsa_user_sgpr_kernarg_preload_offset 0
		.amdhsa_user_sgpr_private_segment_size 0
		.amdhsa_uses_dynamic_stack 0
		.amdhsa_system_sgpr_private_segment_wavefront_offset 0
		.amdhsa_system_sgpr_workgroup_id_x 1
		.amdhsa_system_sgpr_workgroup_id_y 0
		.amdhsa_system_sgpr_workgroup_id_z 0
		.amdhsa_system_sgpr_workgroup_info 0
		.amdhsa_system_vgpr_workitem_id 0
		.amdhsa_next_free_vgpr 1
		.amdhsa_next_free_sgpr 0
		.amdhsa_accum_offset 4
		.amdhsa_reserve_vcc 0
		.amdhsa_reserve_flat_scratch 0
		.amdhsa_float_round_mode_32 0
		.amdhsa_float_round_mode_16_64 0
		.amdhsa_float_denorm_mode_32 3
		.amdhsa_float_denorm_mode_16_64 3
		.amdhsa_dx10_clamp 1
		.amdhsa_ieee_mode 1
		.amdhsa_fp16_overflow 0
		.amdhsa_tg_split 0
		.amdhsa_exception_fp_ieee_invalid_op 0
		.amdhsa_exception_fp_denorm_src 0
		.amdhsa_exception_fp_ieee_div_zero 0
		.amdhsa_exception_fp_ieee_overflow 0
		.amdhsa_exception_fp_ieee_underflow 0
		.amdhsa_exception_fp_ieee_inexact 0
		.amdhsa_exception_int_div_zero 0
	.end_amdhsa_kernel
	.section	.text._ZN7rocprim17ROCPRIM_400000_NS6detail17trampoline_kernelINS0_14default_configENS1_35radix_sort_onesweep_config_selectorIxNS0_10empty_typeEEEZNS1_34radix_sort_onesweep_global_offsetsIS3_Lb0EN6thrust23THRUST_200600_302600_NS6detail15normal_iteratorINS9_10device_ptrIxEEEEPS5_jNS0_19identity_decomposerEEE10hipError_tT1_T2_PT3_SK_jT4_jjP12ihipStream_tbEUlT_E_NS1_11comp_targetILNS1_3genE2ELNS1_11target_archE906ELNS1_3gpuE6ELNS1_3repE0EEENS1_52radix_sort_onesweep_histogram_config_static_selectorELNS0_4arch9wavefront6targetE1EEEvSI_,"axG",@progbits,_ZN7rocprim17ROCPRIM_400000_NS6detail17trampoline_kernelINS0_14default_configENS1_35radix_sort_onesweep_config_selectorIxNS0_10empty_typeEEEZNS1_34radix_sort_onesweep_global_offsetsIS3_Lb0EN6thrust23THRUST_200600_302600_NS6detail15normal_iteratorINS9_10device_ptrIxEEEEPS5_jNS0_19identity_decomposerEEE10hipError_tT1_T2_PT3_SK_jT4_jjP12ihipStream_tbEUlT_E_NS1_11comp_targetILNS1_3genE2ELNS1_11target_archE906ELNS1_3gpuE6ELNS1_3repE0EEENS1_52radix_sort_onesweep_histogram_config_static_selectorELNS0_4arch9wavefront6targetE1EEEvSI_,comdat
.Lfunc_end1518:
	.size	_ZN7rocprim17ROCPRIM_400000_NS6detail17trampoline_kernelINS0_14default_configENS1_35radix_sort_onesweep_config_selectorIxNS0_10empty_typeEEEZNS1_34radix_sort_onesweep_global_offsetsIS3_Lb0EN6thrust23THRUST_200600_302600_NS6detail15normal_iteratorINS9_10device_ptrIxEEEEPS5_jNS0_19identity_decomposerEEE10hipError_tT1_T2_PT3_SK_jT4_jjP12ihipStream_tbEUlT_E_NS1_11comp_targetILNS1_3genE2ELNS1_11target_archE906ELNS1_3gpuE6ELNS1_3repE0EEENS1_52radix_sort_onesweep_histogram_config_static_selectorELNS0_4arch9wavefront6targetE1EEEvSI_, .Lfunc_end1518-_ZN7rocprim17ROCPRIM_400000_NS6detail17trampoline_kernelINS0_14default_configENS1_35radix_sort_onesweep_config_selectorIxNS0_10empty_typeEEEZNS1_34radix_sort_onesweep_global_offsetsIS3_Lb0EN6thrust23THRUST_200600_302600_NS6detail15normal_iteratorINS9_10device_ptrIxEEEEPS5_jNS0_19identity_decomposerEEE10hipError_tT1_T2_PT3_SK_jT4_jjP12ihipStream_tbEUlT_E_NS1_11comp_targetILNS1_3genE2ELNS1_11target_archE906ELNS1_3gpuE6ELNS1_3repE0EEENS1_52radix_sort_onesweep_histogram_config_static_selectorELNS0_4arch9wavefront6targetE1EEEvSI_
                                        ; -- End function
	.section	.AMDGPU.csdata,"",@progbits
; Kernel info:
; codeLenInByte = 0
; NumSgprs: 4
; NumVgprs: 0
; NumAgprs: 0
; TotalNumVgprs: 0
; ScratchSize: 0
; MemoryBound: 0
; FloatMode: 240
; IeeeMode: 1
; LDSByteSize: 0 bytes/workgroup (compile time only)
; SGPRBlocks: 0
; VGPRBlocks: 0
; NumSGPRsForWavesPerEU: 4
; NumVGPRsForWavesPerEU: 1
; AccumOffset: 4
; Occupancy: 8
; WaveLimiterHint : 0
; COMPUTE_PGM_RSRC2:SCRATCH_EN: 0
; COMPUTE_PGM_RSRC2:USER_SGPR: 6
; COMPUTE_PGM_RSRC2:TRAP_HANDLER: 0
; COMPUTE_PGM_RSRC2:TGID_X_EN: 1
; COMPUTE_PGM_RSRC2:TGID_Y_EN: 0
; COMPUTE_PGM_RSRC2:TGID_Z_EN: 0
; COMPUTE_PGM_RSRC2:TIDIG_COMP_CNT: 0
; COMPUTE_PGM_RSRC3_GFX90A:ACCUM_OFFSET: 0
; COMPUTE_PGM_RSRC3_GFX90A:TG_SPLIT: 0
	.section	.text._ZN7rocprim17ROCPRIM_400000_NS6detail17trampoline_kernelINS0_14default_configENS1_35radix_sort_onesweep_config_selectorIxNS0_10empty_typeEEEZNS1_34radix_sort_onesweep_global_offsetsIS3_Lb0EN6thrust23THRUST_200600_302600_NS6detail15normal_iteratorINS9_10device_ptrIxEEEEPS5_jNS0_19identity_decomposerEEE10hipError_tT1_T2_PT3_SK_jT4_jjP12ihipStream_tbEUlT_E_NS1_11comp_targetILNS1_3genE4ELNS1_11target_archE910ELNS1_3gpuE8ELNS1_3repE0EEENS1_52radix_sort_onesweep_histogram_config_static_selectorELNS0_4arch9wavefront6targetE1EEEvSI_,"axG",@progbits,_ZN7rocprim17ROCPRIM_400000_NS6detail17trampoline_kernelINS0_14default_configENS1_35radix_sort_onesweep_config_selectorIxNS0_10empty_typeEEEZNS1_34radix_sort_onesweep_global_offsetsIS3_Lb0EN6thrust23THRUST_200600_302600_NS6detail15normal_iteratorINS9_10device_ptrIxEEEEPS5_jNS0_19identity_decomposerEEE10hipError_tT1_T2_PT3_SK_jT4_jjP12ihipStream_tbEUlT_E_NS1_11comp_targetILNS1_3genE4ELNS1_11target_archE910ELNS1_3gpuE8ELNS1_3repE0EEENS1_52radix_sort_onesweep_histogram_config_static_selectorELNS0_4arch9wavefront6targetE1EEEvSI_,comdat
	.protected	_ZN7rocprim17ROCPRIM_400000_NS6detail17trampoline_kernelINS0_14default_configENS1_35radix_sort_onesweep_config_selectorIxNS0_10empty_typeEEEZNS1_34radix_sort_onesweep_global_offsetsIS3_Lb0EN6thrust23THRUST_200600_302600_NS6detail15normal_iteratorINS9_10device_ptrIxEEEEPS5_jNS0_19identity_decomposerEEE10hipError_tT1_T2_PT3_SK_jT4_jjP12ihipStream_tbEUlT_E_NS1_11comp_targetILNS1_3genE4ELNS1_11target_archE910ELNS1_3gpuE8ELNS1_3repE0EEENS1_52radix_sort_onesweep_histogram_config_static_selectorELNS0_4arch9wavefront6targetE1EEEvSI_ ; -- Begin function _ZN7rocprim17ROCPRIM_400000_NS6detail17trampoline_kernelINS0_14default_configENS1_35radix_sort_onesweep_config_selectorIxNS0_10empty_typeEEEZNS1_34radix_sort_onesweep_global_offsetsIS3_Lb0EN6thrust23THRUST_200600_302600_NS6detail15normal_iteratorINS9_10device_ptrIxEEEEPS5_jNS0_19identity_decomposerEEE10hipError_tT1_T2_PT3_SK_jT4_jjP12ihipStream_tbEUlT_E_NS1_11comp_targetILNS1_3genE4ELNS1_11target_archE910ELNS1_3gpuE8ELNS1_3repE0EEENS1_52radix_sort_onesweep_histogram_config_static_selectorELNS0_4arch9wavefront6targetE1EEEvSI_
	.globl	_ZN7rocprim17ROCPRIM_400000_NS6detail17trampoline_kernelINS0_14default_configENS1_35radix_sort_onesweep_config_selectorIxNS0_10empty_typeEEEZNS1_34radix_sort_onesweep_global_offsetsIS3_Lb0EN6thrust23THRUST_200600_302600_NS6detail15normal_iteratorINS9_10device_ptrIxEEEEPS5_jNS0_19identity_decomposerEEE10hipError_tT1_T2_PT3_SK_jT4_jjP12ihipStream_tbEUlT_E_NS1_11comp_targetILNS1_3genE4ELNS1_11target_archE910ELNS1_3gpuE8ELNS1_3repE0EEENS1_52radix_sort_onesweep_histogram_config_static_selectorELNS0_4arch9wavefront6targetE1EEEvSI_
	.p2align	8
	.type	_ZN7rocprim17ROCPRIM_400000_NS6detail17trampoline_kernelINS0_14default_configENS1_35radix_sort_onesweep_config_selectorIxNS0_10empty_typeEEEZNS1_34radix_sort_onesweep_global_offsetsIS3_Lb0EN6thrust23THRUST_200600_302600_NS6detail15normal_iteratorINS9_10device_ptrIxEEEEPS5_jNS0_19identity_decomposerEEE10hipError_tT1_T2_PT3_SK_jT4_jjP12ihipStream_tbEUlT_E_NS1_11comp_targetILNS1_3genE4ELNS1_11target_archE910ELNS1_3gpuE8ELNS1_3repE0EEENS1_52radix_sort_onesweep_histogram_config_static_selectorELNS0_4arch9wavefront6targetE1EEEvSI_,@function
_ZN7rocprim17ROCPRIM_400000_NS6detail17trampoline_kernelINS0_14default_configENS1_35radix_sort_onesweep_config_selectorIxNS0_10empty_typeEEEZNS1_34radix_sort_onesweep_global_offsetsIS3_Lb0EN6thrust23THRUST_200600_302600_NS6detail15normal_iteratorINS9_10device_ptrIxEEEEPS5_jNS0_19identity_decomposerEEE10hipError_tT1_T2_PT3_SK_jT4_jjP12ihipStream_tbEUlT_E_NS1_11comp_targetILNS1_3genE4ELNS1_11target_archE910ELNS1_3gpuE8ELNS1_3repE0EEENS1_52radix_sort_onesweep_histogram_config_static_selectorELNS0_4arch9wavefront6targetE1EEEvSI_: ; @_ZN7rocprim17ROCPRIM_400000_NS6detail17trampoline_kernelINS0_14default_configENS1_35radix_sort_onesweep_config_selectorIxNS0_10empty_typeEEEZNS1_34radix_sort_onesweep_global_offsetsIS3_Lb0EN6thrust23THRUST_200600_302600_NS6detail15normal_iteratorINS9_10device_ptrIxEEEEPS5_jNS0_19identity_decomposerEEE10hipError_tT1_T2_PT3_SK_jT4_jjP12ihipStream_tbEUlT_E_NS1_11comp_targetILNS1_3genE4ELNS1_11target_archE910ELNS1_3gpuE8ELNS1_3repE0EEENS1_52radix_sort_onesweep_histogram_config_static_selectorELNS0_4arch9wavefront6targetE1EEEvSI_
; %bb.0:
	s_load_dword s7, s[4:5], 0x14
	s_load_dwordx4 s[8:11], s[4:5], 0x0
	s_load_dwordx2 s[2:3], s[4:5], 0x1c
	s_lshl_b32 s12, s6, 13
	s_mov_b64 s[0:1], -1
	s_waitcnt lgkmcnt(0)
	s_cmp_ge_u32 s6, s7
	s_cbranch_scc0 .LBB1519_319
; %bb.1:
	s_load_dword s4, s[4:5], 0x10
	s_lshl_b32 s5, s7, 13
	s_mov_b32 s13, 0
	s_lshl_b64 s[0:1], s[12:13], 3
                                        ; implicit-def: $vgpr16_vgpr17
	s_waitcnt lgkmcnt(0)
	s_sub_i32 s13, s4, s5
	s_add_u32 s0, s8, s0
	s_addc_u32 s1, s9, s1
	v_cmp_gt_u32_e32 vcc, s13, v0
	s_and_saveexec_b64 s[4:5], vcc
	s_cbranch_execz .LBB1519_3
; %bb.2:
	v_lshlrev_b32_e32 v1, 3, v0
	global_load_dwordx2 v[16:17], v1, s[0:1]
.LBB1519_3:
	s_or_b64 exec, exec, s[4:5]
	v_or_b32_e32 v24, 0x400, v0
	v_cmp_gt_u32_e32 vcc, s13, v24
                                        ; implicit-def: $vgpr14_vgpr15
	s_and_saveexec_b64 s[4:5], vcc
	s_cbranch_execz .LBB1519_5
; %bb.4:
	v_lshlrev_b32_e32 v1, 3, v24
	global_load_dwordx2 v[14:15], v1, s[0:1]
.LBB1519_5:
	s_or_b64 exec, exec, s[4:5]
	v_or_b32_e32 v23, 0x800, v0
	v_cmp_gt_u32_e32 vcc, s13, v23
                                        ; implicit-def: $vgpr12_vgpr13
	s_and_saveexec_b64 s[4:5], vcc
	s_cbranch_execz .LBB1519_7
; %bb.6:
	v_lshlrev_b32_e32 v1, 3, v23
	global_load_dwordx2 v[12:13], v1, s[0:1]
.LBB1519_7:
	s_or_b64 exec, exec, s[4:5]
	v_or_b32_e32 v22, 0xc00, v0
	v_cmp_gt_u32_e32 vcc, s13, v22
                                        ; implicit-def: $vgpr10_vgpr11
	s_and_saveexec_b64 s[4:5], vcc
	s_cbranch_execz .LBB1519_9
; %bb.8:
	v_lshlrev_b32_e32 v1, 3, v22
	global_load_dwordx2 v[10:11], v1, s[0:1]
.LBB1519_9:
	s_or_b64 exec, exec, s[4:5]
	v_or_b32_e32 v21, 0x1000, v0
	v_cmp_gt_u32_e32 vcc, s13, v21
                                        ; implicit-def: $vgpr8_vgpr9
	s_and_saveexec_b64 s[4:5], vcc
	s_cbranch_execz .LBB1519_11
; %bb.10:
	v_lshlrev_b32_e32 v1, 3, v21
	global_load_dwordx2 v[8:9], v1, s[0:1]
.LBB1519_11:
	s_or_b64 exec, exec, s[4:5]
	v_or_b32_e32 v20, 0x1400, v0
	v_cmp_gt_u32_e32 vcc, s13, v20
                                        ; implicit-def: $vgpr6_vgpr7
	s_and_saveexec_b64 s[4:5], vcc
	s_cbranch_execz .LBB1519_13
; %bb.12:
	v_lshlrev_b32_e32 v1, 3, v20
	global_load_dwordx2 v[6:7], v1, s[0:1]
.LBB1519_13:
	s_or_b64 exec, exec, s[4:5]
	v_or_b32_e32 v19, 0x1800, v0
	v_cmp_gt_u32_e32 vcc, s13, v19
                                        ; implicit-def: $vgpr4_vgpr5
	s_and_saveexec_b64 s[4:5], vcc
	s_cbranch_execz .LBB1519_15
; %bb.14:
	v_lshlrev_b32_e32 v1, 3, v19
	global_load_dwordx2 v[4:5], v1, s[0:1]
.LBB1519_15:
	s_or_b64 exec, exec, s[4:5]
	v_or_b32_e32 v18, 0x1c00, v0
	v_cmp_gt_u32_e32 vcc, s13, v18
                                        ; implicit-def: $vgpr2_vgpr3
	s_and_saveexec_b64 s[4:5], vcc
	s_cbranch_execz .LBB1519_17
; %bb.16:
	v_lshlrev_b32_e32 v1, 3, v18
	global_load_dwordx2 v[2:3], v1, s[0:1]
.LBB1519_17:
	s_or_b64 exec, exec, s[4:5]
	s_cmp_le_u32 s3, s2
	s_cselect_b64 s[4:5], -1, 0
	v_cmp_le_u32_e32 vcc, s13, v0
	s_and_b64 s[0:1], s[4:5], exec
	v_lshlrev_b32_e32 v25, 2, v0
	v_mov_b32_e32 v26, 0
	s_cselect_b32 s18, 8, 10
	s_or_b64 s[0:1], s[4:5], vcc
	v_and_b32_e32 v1, 3, v0
	ds_write2st64_b32 v25, v26, v26 offset1:16
	ds_write2st64_b32 v25, v26, v26 offset0:32 offset1:48
	ds_write2st64_b32 v25, v26, v26 offset0:64 offset1:80
	;; [unrolled: 1-line block ×3, first 2 shown]
	s_waitcnt vmcnt(0)
	v_xor_b32_e32 v17, 0x80000000, v17
	s_xor_b64 s[6:7], s[0:1], -1
	v_mov_b32_e32 v25, s18
	s_waitcnt lgkmcnt(0)
	s_barrier
	s_and_saveexec_b64 s[0:1], s[6:7]
	s_cbranch_execz .LBB1519_19
; %bb.18:
	s_sub_i32 s6, s3, s2
	s_min_u32 s6, s6, 8
	v_lshrrev_b64 v[26:27], s2, v[16:17]
	v_bfe_u32 v25, v26, 0, s6
	v_lshlrev_b32_e32 v26, 2, v1
	v_lshl_or_b32 v25, v25, 4, v26
	v_mov_b32_e32 v26, 1
	ds_add_u32 v25, v26
	v_mov_b32_e32 v25, 0
.LBB1519_19:
	s_or_b64 exec, exec, s[0:1]
	v_cmp_gt_i32_e64 s[0:1], 10, v25
	s_mov_b64 s[14:15], -1
	s_and_saveexec_b64 s[6:7], s[0:1]
; %bb.20:
	v_cmp_eq_u32_e64 s[0:1], 0, v25
	s_orn2_b64 s[14:15], s[0:1], exec
; %bb.21:
	s_or_b64 exec, exec, s[6:7]
	s_and_saveexec_b64 s[6:7], s[14:15]
	s_cbranch_execz .LBB1519_54
; %bb.22:
	s_add_i32 s14, s2, 8
	s_cmp_le_u32 s3, s14
	s_cselect_b64 s[0:1], -1, 0
	s_and_b64 s[16:17], s[0:1], exec
	s_cselect_b32 s15, 8, 10
	s_or_b64 s[0:1], s[0:1], vcc
	s_xor_b64 s[16:17], s[0:1], -1
	v_mov_b32_e32 v25, s15
	s_and_saveexec_b64 s[0:1], s[16:17]
	s_cbranch_execz .LBB1519_24
; %bb.23:
	s_sub_i32 s15, s3, s14
	s_min_u32 s15, s15, 8
	v_lshrrev_b64 v[26:27], s14, v[16:17]
	v_bfe_u32 v25, v26, 0, s15
	v_lshlrev_b32_e32 v26, 2, v1
	v_lshl_or_b32 v25, v25, 4, v26
	v_mov_b32_e32 v26, 1
	ds_add_u32 v25, v26 offset:4096
	v_mov_b32_e32 v25, 0
.LBB1519_24:
	s_or_b64 exec, exec, s[0:1]
	v_cmp_gt_i32_e64 s[0:1], 10, v25
	s_mov_b64 s[14:15], -1
	s_and_saveexec_b64 s[16:17], s[0:1]
; %bb.25:
	v_cmp_eq_u32_e64 s[0:1], 0, v25
	s_orn2_b64 s[14:15], s[0:1], exec
; %bb.26:
	s_or_b64 exec, exec, s[16:17]
	s_and_b64 exec, exec, s[14:15]
	s_cbranch_execz .LBB1519_54
; %bb.27:
	s_add_i32 s14, s2, 16
	s_cmp_le_u32 s3, s14
	s_cselect_b64 s[0:1], -1, 0
	s_and_b64 s[16:17], s[0:1], exec
	s_cselect_b32 s15, 8, 10
	s_or_b64 s[0:1], s[0:1], vcc
	s_xor_b64 s[16:17], s[0:1], -1
	v_mov_b32_e32 v25, s15
	s_and_saveexec_b64 s[0:1], s[16:17]
	s_cbranch_execz .LBB1519_29
; %bb.28:
	s_sub_i32 s15, s3, s14
	s_min_u32 s15, s15, 8
	v_lshrrev_b64 v[26:27], s14, v[16:17]
	v_bfe_u32 v25, v26, 0, s15
	v_lshlrev_b32_e32 v26, 2, v1
	v_lshl_or_b32 v25, v25, 4, v26
	v_mov_b32_e32 v26, 1
	ds_add_u32 v25, v26 offset:8192
	v_mov_b32_e32 v25, 0
.LBB1519_29:
	s_or_b64 exec, exec, s[0:1]
	v_cmp_gt_i32_e64 s[0:1], 10, v25
	s_mov_b64 s[14:15], -1
	s_and_saveexec_b64 s[16:17], s[0:1]
; %bb.30:
	v_cmp_eq_u32_e64 s[0:1], 0, v25
	s_orn2_b64 s[14:15], s[0:1], exec
; %bb.31:
	s_or_b64 exec, exec, s[16:17]
	s_and_b64 exec, exec, s[14:15]
	;; [unrolled: 33-line block ×6, first 2 shown]
	s_cbranch_execz .LBB1519_54
; %bb.52:
	s_add_i32 s0, s2, 56
	s_cmp_gt_u32 s3, s0
	s_cselect_b64 s[14:15], -1, 0
	s_xor_b64 s[16:17], vcc, -1
	s_and_b64 s[14:15], s[14:15], s[16:17]
	s_and_b64 exec, exec, s[14:15]
	s_cbranch_execz .LBB1519_54
; %bb.53:
	s_sub_i32 s1, s3, s0
	s_min_u32 s1, s1, 8
	v_lshrrev_b64 v[16:17], s0, v[16:17]
	v_bfe_u32 v16, v16, 0, s1
	v_lshlrev_b32_e32 v17, 2, v1
	v_lshl_or_b32 v16, v16, 4, v17
	v_mov_b32_e32 v17, 1
	ds_add_u32 v16, v17 offset:28672
.LBB1519_54:
	s_or_b64 exec, exec, s[6:7]
	v_cmp_le_u32_e32 vcc, s13, v24
	s_or_b64 s[0:1], s[4:5], vcc
	v_xor_b32_e32 v15, 0x80000000, v15
	s_xor_b64 s[6:7], s[0:1], -1
	v_mov_b32_e32 v16, s18
	s_and_saveexec_b64 s[0:1], s[6:7]
	s_cbranch_execz .LBB1519_56
; %bb.55:
	s_sub_i32 s6, s3, s2
	s_min_u32 s6, s6, 8
	v_lshrrev_b64 v[16:17], s2, v[14:15]
	v_bfe_u32 v16, v16, 0, s6
	v_lshlrev_b32_e32 v17, 2, v1
	v_lshl_or_b32 v16, v16, 4, v17
	v_mov_b32_e32 v17, 1
	ds_add_u32 v16, v17
	v_mov_b32_e32 v16, 0
.LBB1519_56:
	s_or_b64 exec, exec, s[0:1]
	v_cmp_gt_i32_e64 s[0:1], 10, v16
	s_mov_b64 s[14:15], -1
	s_and_saveexec_b64 s[6:7], s[0:1]
; %bb.57:
	v_cmp_eq_u32_e64 s[0:1], 0, v16
	s_orn2_b64 s[14:15], s[0:1], exec
; %bb.58:
	s_or_b64 exec, exec, s[6:7]
	s_and_saveexec_b64 s[6:7], s[14:15]
	s_cbranch_execz .LBB1519_91
; %bb.59:
	s_add_i32 s14, s2, 8
	s_cmp_le_u32 s3, s14
	s_cselect_b64 s[0:1], -1, 0
	s_and_b64 s[16:17], s[0:1], exec
	s_cselect_b32 s15, 8, 10
	s_or_b64 s[0:1], s[0:1], vcc
	s_xor_b64 s[16:17], s[0:1], -1
	v_mov_b32_e32 v16, s15
	s_and_saveexec_b64 s[0:1], s[16:17]
	s_cbranch_execz .LBB1519_61
; %bb.60:
	s_sub_i32 s15, s3, s14
	s_min_u32 s15, s15, 8
	v_lshrrev_b64 v[16:17], s14, v[14:15]
	v_bfe_u32 v16, v16, 0, s15
	v_lshlrev_b32_e32 v17, 2, v1
	v_lshl_or_b32 v16, v16, 4, v17
	v_mov_b32_e32 v17, 1
	ds_add_u32 v16, v17 offset:4096
	v_mov_b32_e32 v16, 0
.LBB1519_61:
	s_or_b64 exec, exec, s[0:1]
	v_cmp_gt_i32_e64 s[0:1], 10, v16
	s_mov_b64 s[14:15], -1
	s_and_saveexec_b64 s[16:17], s[0:1]
; %bb.62:
	v_cmp_eq_u32_e64 s[0:1], 0, v16
	s_orn2_b64 s[14:15], s[0:1], exec
; %bb.63:
	s_or_b64 exec, exec, s[16:17]
	s_and_b64 exec, exec, s[14:15]
	s_cbranch_execz .LBB1519_91
; %bb.64:
	s_add_i32 s14, s2, 16
	s_cmp_le_u32 s3, s14
	s_cselect_b64 s[0:1], -1, 0
	s_and_b64 s[16:17], s[0:1], exec
	s_cselect_b32 s15, 8, 10
	s_or_b64 s[0:1], s[0:1], vcc
	s_xor_b64 s[16:17], s[0:1], -1
	v_mov_b32_e32 v16, s15
	s_and_saveexec_b64 s[0:1], s[16:17]
	s_cbranch_execz .LBB1519_66
; %bb.65:
	s_sub_i32 s15, s3, s14
	s_min_u32 s15, s15, 8
	v_lshrrev_b64 v[16:17], s14, v[14:15]
	v_bfe_u32 v16, v16, 0, s15
	v_lshlrev_b32_e32 v17, 2, v1
	v_lshl_or_b32 v16, v16, 4, v17
	v_mov_b32_e32 v17, 1
	ds_add_u32 v16, v17 offset:8192
	v_mov_b32_e32 v16, 0
.LBB1519_66:
	s_or_b64 exec, exec, s[0:1]
	v_cmp_gt_i32_e64 s[0:1], 10, v16
	s_mov_b64 s[14:15], -1
	s_and_saveexec_b64 s[16:17], s[0:1]
; %bb.67:
	v_cmp_eq_u32_e64 s[0:1], 0, v16
	s_orn2_b64 s[14:15], s[0:1], exec
; %bb.68:
	s_or_b64 exec, exec, s[16:17]
	s_and_b64 exec, exec, s[14:15]
	;; [unrolled: 33-line block ×6, first 2 shown]
	s_cbranch_execz .LBB1519_91
; %bb.89:
	s_add_i32 s0, s2, 56
	s_cmp_gt_u32 s3, s0
	s_cselect_b64 s[14:15], -1, 0
	s_xor_b64 s[16:17], vcc, -1
	s_and_b64 s[14:15], s[14:15], s[16:17]
	s_and_b64 exec, exec, s[14:15]
	s_cbranch_execz .LBB1519_91
; %bb.90:
	s_sub_i32 s1, s3, s0
	s_min_u32 s1, s1, 8
	v_lshrrev_b64 v[14:15], s0, v[14:15]
	v_bfe_u32 v14, v14, 0, s1
	v_lshlrev_b32_e32 v15, 2, v1
	v_lshl_or_b32 v14, v14, 4, v15
	v_mov_b32_e32 v15, 1
	ds_add_u32 v14, v15 offset:28672
.LBB1519_91:
	s_or_b64 exec, exec, s[6:7]
	v_cmp_le_u32_e32 vcc, s13, v23
	s_or_b64 s[0:1], s[4:5], vcc
	v_xor_b32_e32 v13, 0x80000000, v13
	s_xor_b64 s[6:7], s[0:1], -1
	v_mov_b32_e32 v14, s18
	s_and_saveexec_b64 s[0:1], s[6:7]
	s_cbranch_execz .LBB1519_93
; %bb.92:
	s_sub_i32 s6, s3, s2
	s_min_u32 s6, s6, 8
	v_lshrrev_b64 v[14:15], s2, v[12:13]
	v_bfe_u32 v14, v14, 0, s6
	v_lshlrev_b32_e32 v15, 2, v1
	v_lshl_or_b32 v14, v14, 4, v15
	v_mov_b32_e32 v15, 1
	ds_add_u32 v14, v15
	v_mov_b32_e32 v14, 0
.LBB1519_93:
	s_or_b64 exec, exec, s[0:1]
	v_cmp_gt_i32_e64 s[0:1], 10, v14
	s_mov_b64 s[14:15], -1
	s_and_saveexec_b64 s[6:7], s[0:1]
; %bb.94:
	v_cmp_eq_u32_e64 s[0:1], 0, v14
	s_orn2_b64 s[14:15], s[0:1], exec
; %bb.95:
	s_or_b64 exec, exec, s[6:7]
	s_and_saveexec_b64 s[6:7], s[14:15]
	s_cbranch_execz .LBB1519_128
; %bb.96:
	s_add_i32 s14, s2, 8
	s_cmp_le_u32 s3, s14
	s_cselect_b64 s[0:1], -1, 0
	s_and_b64 s[16:17], s[0:1], exec
	s_cselect_b32 s15, 8, 10
	s_or_b64 s[0:1], s[0:1], vcc
	s_xor_b64 s[16:17], s[0:1], -1
	v_mov_b32_e32 v14, s15
	s_and_saveexec_b64 s[0:1], s[16:17]
	s_cbranch_execz .LBB1519_98
; %bb.97:
	s_sub_i32 s15, s3, s14
	s_min_u32 s15, s15, 8
	v_lshrrev_b64 v[14:15], s14, v[12:13]
	v_bfe_u32 v14, v14, 0, s15
	v_lshlrev_b32_e32 v15, 2, v1
	v_lshl_or_b32 v14, v14, 4, v15
	v_mov_b32_e32 v15, 1
	ds_add_u32 v14, v15 offset:4096
	v_mov_b32_e32 v14, 0
.LBB1519_98:
	s_or_b64 exec, exec, s[0:1]
	v_cmp_gt_i32_e64 s[0:1], 10, v14
	s_mov_b64 s[14:15], -1
	s_and_saveexec_b64 s[16:17], s[0:1]
; %bb.99:
	v_cmp_eq_u32_e64 s[0:1], 0, v14
	s_orn2_b64 s[14:15], s[0:1], exec
; %bb.100:
	s_or_b64 exec, exec, s[16:17]
	s_and_b64 exec, exec, s[14:15]
	s_cbranch_execz .LBB1519_128
; %bb.101:
	s_add_i32 s14, s2, 16
	s_cmp_le_u32 s3, s14
	s_cselect_b64 s[0:1], -1, 0
	s_and_b64 s[16:17], s[0:1], exec
	s_cselect_b32 s15, 8, 10
	s_or_b64 s[0:1], s[0:1], vcc
	s_xor_b64 s[16:17], s[0:1], -1
	v_mov_b32_e32 v14, s15
	s_and_saveexec_b64 s[0:1], s[16:17]
	s_cbranch_execz .LBB1519_103
; %bb.102:
	s_sub_i32 s15, s3, s14
	s_min_u32 s15, s15, 8
	v_lshrrev_b64 v[14:15], s14, v[12:13]
	v_bfe_u32 v14, v14, 0, s15
	v_lshlrev_b32_e32 v15, 2, v1
	v_lshl_or_b32 v14, v14, 4, v15
	v_mov_b32_e32 v15, 1
	ds_add_u32 v14, v15 offset:8192
	v_mov_b32_e32 v14, 0
.LBB1519_103:
	s_or_b64 exec, exec, s[0:1]
	v_cmp_gt_i32_e64 s[0:1], 10, v14
	s_mov_b64 s[14:15], -1
	s_and_saveexec_b64 s[16:17], s[0:1]
; %bb.104:
	v_cmp_eq_u32_e64 s[0:1], 0, v14
	s_orn2_b64 s[14:15], s[0:1], exec
; %bb.105:
	s_or_b64 exec, exec, s[16:17]
	s_and_b64 exec, exec, s[14:15]
	;; [unrolled: 33-line block ×6, first 2 shown]
	s_cbranch_execz .LBB1519_128
; %bb.126:
	s_add_i32 s0, s2, 56
	s_cmp_gt_u32 s3, s0
	s_cselect_b64 s[14:15], -1, 0
	s_xor_b64 s[16:17], vcc, -1
	s_and_b64 s[14:15], s[14:15], s[16:17]
	s_and_b64 exec, exec, s[14:15]
	s_cbranch_execz .LBB1519_128
; %bb.127:
	s_sub_i32 s1, s3, s0
	s_min_u32 s1, s1, 8
	v_lshrrev_b64 v[12:13], s0, v[12:13]
	v_bfe_u32 v12, v12, 0, s1
	v_lshlrev_b32_e32 v13, 2, v1
	v_lshl_or_b32 v12, v12, 4, v13
	v_mov_b32_e32 v13, 1
	ds_add_u32 v12, v13 offset:28672
.LBB1519_128:
	s_or_b64 exec, exec, s[6:7]
	v_cmp_le_u32_e32 vcc, s13, v22
	s_or_b64 s[0:1], s[4:5], vcc
	v_xor_b32_e32 v11, 0x80000000, v11
	s_xor_b64 s[6:7], s[0:1], -1
	v_mov_b32_e32 v12, s18
	s_and_saveexec_b64 s[0:1], s[6:7]
	s_cbranch_execz .LBB1519_130
; %bb.129:
	s_sub_i32 s6, s3, s2
	s_min_u32 s6, s6, 8
	v_lshrrev_b64 v[12:13], s2, v[10:11]
	v_bfe_u32 v12, v12, 0, s6
	v_lshlrev_b32_e32 v13, 2, v1
	v_lshl_or_b32 v12, v12, 4, v13
	v_mov_b32_e32 v13, 1
	ds_add_u32 v12, v13
	v_mov_b32_e32 v12, 0
.LBB1519_130:
	s_or_b64 exec, exec, s[0:1]
	v_cmp_gt_i32_e64 s[0:1], 10, v12
	s_mov_b64 s[14:15], -1
	s_and_saveexec_b64 s[6:7], s[0:1]
; %bb.131:
	v_cmp_eq_u32_e64 s[0:1], 0, v12
	s_orn2_b64 s[14:15], s[0:1], exec
; %bb.132:
	s_or_b64 exec, exec, s[6:7]
	s_and_saveexec_b64 s[6:7], s[14:15]
	s_cbranch_execz .LBB1519_165
; %bb.133:
	s_add_i32 s14, s2, 8
	s_cmp_le_u32 s3, s14
	s_cselect_b64 s[0:1], -1, 0
	s_and_b64 s[16:17], s[0:1], exec
	s_cselect_b32 s15, 8, 10
	s_or_b64 s[0:1], s[0:1], vcc
	s_xor_b64 s[16:17], s[0:1], -1
	v_mov_b32_e32 v12, s15
	s_and_saveexec_b64 s[0:1], s[16:17]
	s_cbranch_execz .LBB1519_135
; %bb.134:
	s_sub_i32 s15, s3, s14
	s_min_u32 s15, s15, 8
	v_lshrrev_b64 v[12:13], s14, v[10:11]
	v_bfe_u32 v12, v12, 0, s15
	v_lshlrev_b32_e32 v13, 2, v1
	v_lshl_or_b32 v12, v12, 4, v13
	v_mov_b32_e32 v13, 1
	ds_add_u32 v12, v13 offset:4096
	v_mov_b32_e32 v12, 0
.LBB1519_135:
	s_or_b64 exec, exec, s[0:1]
	v_cmp_gt_i32_e64 s[0:1], 10, v12
	s_mov_b64 s[14:15], -1
	s_and_saveexec_b64 s[16:17], s[0:1]
; %bb.136:
	v_cmp_eq_u32_e64 s[0:1], 0, v12
	s_orn2_b64 s[14:15], s[0:1], exec
; %bb.137:
	s_or_b64 exec, exec, s[16:17]
	s_and_b64 exec, exec, s[14:15]
	s_cbranch_execz .LBB1519_165
; %bb.138:
	s_add_i32 s14, s2, 16
	s_cmp_le_u32 s3, s14
	s_cselect_b64 s[0:1], -1, 0
	s_and_b64 s[16:17], s[0:1], exec
	s_cselect_b32 s15, 8, 10
	s_or_b64 s[0:1], s[0:1], vcc
	s_xor_b64 s[16:17], s[0:1], -1
	v_mov_b32_e32 v12, s15
	s_and_saveexec_b64 s[0:1], s[16:17]
	s_cbranch_execz .LBB1519_140
; %bb.139:
	s_sub_i32 s15, s3, s14
	s_min_u32 s15, s15, 8
	v_lshrrev_b64 v[12:13], s14, v[10:11]
	v_bfe_u32 v12, v12, 0, s15
	v_lshlrev_b32_e32 v13, 2, v1
	v_lshl_or_b32 v12, v12, 4, v13
	v_mov_b32_e32 v13, 1
	ds_add_u32 v12, v13 offset:8192
	v_mov_b32_e32 v12, 0
.LBB1519_140:
	s_or_b64 exec, exec, s[0:1]
	v_cmp_gt_i32_e64 s[0:1], 10, v12
	s_mov_b64 s[14:15], -1
	s_and_saveexec_b64 s[16:17], s[0:1]
; %bb.141:
	v_cmp_eq_u32_e64 s[0:1], 0, v12
	s_orn2_b64 s[14:15], s[0:1], exec
; %bb.142:
	s_or_b64 exec, exec, s[16:17]
	s_and_b64 exec, exec, s[14:15]
	;; [unrolled: 33-line block ×6, first 2 shown]
	s_cbranch_execz .LBB1519_165
; %bb.163:
	s_add_i32 s0, s2, 56
	s_cmp_gt_u32 s3, s0
	s_cselect_b64 s[14:15], -1, 0
	s_xor_b64 s[16:17], vcc, -1
	s_and_b64 s[14:15], s[14:15], s[16:17]
	s_and_b64 exec, exec, s[14:15]
	s_cbranch_execz .LBB1519_165
; %bb.164:
	s_sub_i32 s1, s3, s0
	s_min_u32 s1, s1, 8
	v_lshrrev_b64 v[10:11], s0, v[10:11]
	v_bfe_u32 v10, v10, 0, s1
	v_lshlrev_b32_e32 v11, 2, v1
	v_lshl_or_b32 v10, v10, 4, v11
	v_mov_b32_e32 v11, 1
	ds_add_u32 v10, v11 offset:28672
.LBB1519_165:
	s_or_b64 exec, exec, s[6:7]
	v_cmp_le_u32_e32 vcc, s13, v21
	s_or_b64 s[0:1], s[4:5], vcc
	v_xor_b32_e32 v9, 0x80000000, v9
	s_xor_b64 s[6:7], s[0:1], -1
	v_mov_b32_e32 v10, s18
	s_and_saveexec_b64 s[0:1], s[6:7]
	s_cbranch_execz .LBB1519_167
; %bb.166:
	s_sub_i32 s6, s3, s2
	s_min_u32 s6, s6, 8
	v_lshrrev_b64 v[10:11], s2, v[8:9]
	v_bfe_u32 v10, v10, 0, s6
	v_lshlrev_b32_e32 v11, 2, v1
	v_lshl_or_b32 v10, v10, 4, v11
	v_mov_b32_e32 v11, 1
	ds_add_u32 v10, v11
	v_mov_b32_e32 v10, 0
.LBB1519_167:
	s_or_b64 exec, exec, s[0:1]
	v_cmp_gt_i32_e64 s[0:1], 10, v10
	s_mov_b64 s[14:15], -1
	s_and_saveexec_b64 s[6:7], s[0:1]
; %bb.168:
	v_cmp_eq_u32_e64 s[0:1], 0, v10
	s_orn2_b64 s[14:15], s[0:1], exec
; %bb.169:
	s_or_b64 exec, exec, s[6:7]
	s_and_saveexec_b64 s[6:7], s[14:15]
	s_cbranch_execz .LBB1519_202
; %bb.170:
	s_add_i32 s14, s2, 8
	s_cmp_le_u32 s3, s14
	s_cselect_b64 s[0:1], -1, 0
	s_and_b64 s[16:17], s[0:1], exec
	s_cselect_b32 s15, 8, 10
	s_or_b64 s[0:1], s[0:1], vcc
	s_xor_b64 s[16:17], s[0:1], -1
	v_mov_b32_e32 v10, s15
	s_and_saveexec_b64 s[0:1], s[16:17]
	s_cbranch_execz .LBB1519_172
; %bb.171:
	s_sub_i32 s15, s3, s14
	s_min_u32 s15, s15, 8
	v_lshrrev_b64 v[10:11], s14, v[8:9]
	v_bfe_u32 v10, v10, 0, s15
	v_lshlrev_b32_e32 v11, 2, v1
	v_lshl_or_b32 v10, v10, 4, v11
	v_mov_b32_e32 v11, 1
	ds_add_u32 v10, v11 offset:4096
	v_mov_b32_e32 v10, 0
.LBB1519_172:
	s_or_b64 exec, exec, s[0:1]
	v_cmp_gt_i32_e64 s[0:1], 10, v10
	s_mov_b64 s[14:15], -1
	s_and_saveexec_b64 s[16:17], s[0:1]
; %bb.173:
	v_cmp_eq_u32_e64 s[0:1], 0, v10
	s_orn2_b64 s[14:15], s[0:1], exec
; %bb.174:
	s_or_b64 exec, exec, s[16:17]
	s_and_b64 exec, exec, s[14:15]
	s_cbranch_execz .LBB1519_202
; %bb.175:
	s_add_i32 s14, s2, 16
	s_cmp_le_u32 s3, s14
	s_cselect_b64 s[0:1], -1, 0
	s_and_b64 s[16:17], s[0:1], exec
	s_cselect_b32 s15, 8, 10
	s_or_b64 s[0:1], s[0:1], vcc
	s_xor_b64 s[16:17], s[0:1], -1
	v_mov_b32_e32 v10, s15
	s_and_saveexec_b64 s[0:1], s[16:17]
	s_cbranch_execz .LBB1519_177
; %bb.176:
	s_sub_i32 s15, s3, s14
	s_min_u32 s15, s15, 8
	v_lshrrev_b64 v[10:11], s14, v[8:9]
	v_bfe_u32 v10, v10, 0, s15
	v_lshlrev_b32_e32 v11, 2, v1
	v_lshl_or_b32 v10, v10, 4, v11
	v_mov_b32_e32 v11, 1
	ds_add_u32 v10, v11 offset:8192
	v_mov_b32_e32 v10, 0
.LBB1519_177:
	s_or_b64 exec, exec, s[0:1]
	v_cmp_gt_i32_e64 s[0:1], 10, v10
	s_mov_b64 s[14:15], -1
	s_and_saveexec_b64 s[16:17], s[0:1]
; %bb.178:
	v_cmp_eq_u32_e64 s[0:1], 0, v10
	s_orn2_b64 s[14:15], s[0:1], exec
; %bb.179:
	s_or_b64 exec, exec, s[16:17]
	s_and_b64 exec, exec, s[14:15]
	;; [unrolled: 33-line block ×6, first 2 shown]
	s_cbranch_execz .LBB1519_202
; %bb.200:
	s_add_i32 s0, s2, 56
	s_cmp_gt_u32 s3, s0
	s_cselect_b64 s[14:15], -1, 0
	s_xor_b64 s[16:17], vcc, -1
	s_and_b64 s[14:15], s[14:15], s[16:17]
	s_and_b64 exec, exec, s[14:15]
	s_cbranch_execz .LBB1519_202
; %bb.201:
	s_sub_i32 s1, s3, s0
	s_min_u32 s1, s1, 8
	v_lshrrev_b64 v[8:9], s0, v[8:9]
	v_bfe_u32 v8, v8, 0, s1
	v_lshlrev_b32_e32 v9, 2, v1
	v_lshl_or_b32 v8, v8, 4, v9
	v_mov_b32_e32 v9, 1
	ds_add_u32 v8, v9 offset:28672
.LBB1519_202:
	s_or_b64 exec, exec, s[6:7]
	v_cmp_le_u32_e32 vcc, s13, v20
	s_or_b64 s[0:1], s[4:5], vcc
	v_xor_b32_e32 v7, 0x80000000, v7
	s_xor_b64 s[6:7], s[0:1], -1
	v_mov_b32_e32 v8, s18
	s_and_saveexec_b64 s[0:1], s[6:7]
	s_cbranch_execz .LBB1519_204
; %bb.203:
	s_sub_i32 s6, s3, s2
	s_min_u32 s6, s6, 8
	v_lshrrev_b64 v[8:9], s2, v[6:7]
	v_bfe_u32 v8, v8, 0, s6
	v_lshlrev_b32_e32 v9, 2, v1
	v_lshl_or_b32 v8, v8, 4, v9
	v_mov_b32_e32 v9, 1
	ds_add_u32 v8, v9
	v_mov_b32_e32 v8, 0
.LBB1519_204:
	s_or_b64 exec, exec, s[0:1]
	v_cmp_gt_i32_e64 s[0:1], 10, v8
	s_mov_b64 s[14:15], -1
	s_and_saveexec_b64 s[6:7], s[0:1]
; %bb.205:
	v_cmp_eq_u32_e64 s[0:1], 0, v8
	s_orn2_b64 s[14:15], s[0:1], exec
; %bb.206:
	s_or_b64 exec, exec, s[6:7]
	s_and_saveexec_b64 s[6:7], s[14:15]
	s_cbranch_execz .LBB1519_239
; %bb.207:
	s_add_i32 s14, s2, 8
	s_cmp_le_u32 s3, s14
	s_cselect_b64 s[0:1], -1, 0
	s_and_b64 s[16:17], s[0:1], exec
	s_cselect_b32 s15, 8, 10
	s_or_b64 s[0:1], s[0:1], vcc
	s_xor_b64 s[16:17], s[0:1], -1
	v_mov_b32_e32 v8, s15
	s_and_saveexec_b64 s[0:1], s[16:17]
	s_cbranch_execz .LBB1519_209
; %bb.208:
	s_sub_i32 s15, s3, s14
	s_min_u32 s15, s15, 8
	v_lshrrev_b64 v[8:9], s14, v[6:7]
	v_bfe_u32 v8, v8, 0, s15
	v_lshlrev_b32_e32 v9, 2, v1
	v_lshl_or_b32 v8, v8, 4, v9
	v_mov_b32_e32 v9, 1
	ds_add_u32 v8, v9 offset:4096
	v_mov_b32_e32 v8, 0
.LBB1519_209:
	s_or_b64 exec, exec, s[0:1]
	v_cmp_gt_i32_e64 s[0:1], 10, v8
	s_mov_b64 s[14:15], -1
	s_and_saveexec_b64 s[16:17], s[0:1]
; %bb.210:
	v_cmp_eq_u32_e64 s[0:1], 0, v8
	s_orn2_b64 s[14:15], s[0:1], exec
; %bb.211:
	s_or_b64 exec, exec, s[16:17]
	s_and_b64 exec, exec, s[14:15]
	s_cbranch_execz .LBB1519_239
; %bb.212:
	s_add_i32 s14, s2, 16
	s_cmp_le_u32 s3, s14
	s_cselect_b64 s[0:1], -1, 0
	s_and_b64 s[16:17], s[0:1], exec
	s_cselect_b32 s15, 8, 10
	s_or_b64 s[0:1], s[0:1], vcc
	s_xor_b64 s[16:17], s[0:1], -1
	v_mov_b32_e32 v8, s15
	s_and_saveexec_b64 s[0:1], s[16:17]
	s_cbranch_execz .LBB1519_214
; %bb.213:
	s_sub_i32 s15, s3, s14
	s_min_u32 s15, s15, 8
	v_lshrrev_b64 v[8:9], s14, v[6:7]
	v_bfe_u32 v8, v8, 0, s15
	v_lshlrev_b32_e32 v9, 2, v1
	v_lshl_or_b32 v8, v8, 4, v9
	v_mov_b32_e32 v9, 1
	ds_add_u32 v8, v9 offset:8192
	v_mov_b32_e32 v8, 0
.LBB1519_214:
	s_or_b64 exec, exec, s[0:1]
	v_cmp_gt_i32_e64 s[0:1], 10, v8
	s_mov_b64 s[14:15], -1
	s_and_saveexec_b64 s[16:17], s[0:1]
; %bb.215:
	v_cmp_eq_u32_e64 s[0:1], 0, v8
	s_orn2_b64 s[14:15], s[0:1], exec
; %bb.216:
	s_or_b64 exec, exec, s[16:17]
	s_and_b64 exec, exec, s[14:15]
	;; [unrolled: 33-line block ×6, first 2 shown]
	s_cbranch_execz .LBB1519_239
; %bb.237:
	s_add_i32 s0, s2, 56
	s_cmp_gt_u32 s3, s0
	s_cselect_b64 s[14:15], -1, 0
	s_xor_b64 s[16:17], vcc, -1
	s_and_b64 s[14:15], s[14:15], s[16:17]
	s_and_b64 exec, exec, s[14:15]
	s_cbranch_execz .LBB1519_239
; %bb.238:
	s_sub_i32 s1, s3, s0
	s_min_u32 s1, s1, 8
	v_lshrrev_b64 v[6:7], s0, v[6:7]
	v_bfe_u32 v6, v6, 0, s1
	v_lshlrev_b32_e32 v7, 2, v1
	v_lshl_or_b32 v6, v6, 4, v7
	v_mov_b32_e32 v7, 1
	ds_add_u32 v6, v7 offset:28672
.LBB1519_239:
	s_or_b64 exec, exec, s[6:7]
	v_cmp_le_u32_e32 vcc, s13, v19
	s_or_b64 s[0:1], s[4:5], vcc
	v_xor_b32_e32 v5, 0x80000000, v5
	s_xor_b64 s[6:7], s[0:1], -1
	v_mov_b32_e32 v6, s18
	s_and_saveexec_b64 s[0:1], s[6:7]
	s_cbranch_execz .LBB1519_241
; %bb.240:
	s_sub_i32 s6, s3, s2
	s_min_u32 s6, s6, 8
	v_lshrrev_b64 v[6:7], s2, v[4:5]
	v_bfe_u32 v6, v6, 0, s6
	v_lshlrev_b32_e32 v7, 2, v1
	v_lshl_or_b32 v6, v6, 4, v7
	v_mov_b32_e32 v7, 1
	ds_add_u32 v6, v7
	v_mov_b32_e32 v6, 0
.LBB1519_241:
	s_or_b64 exec, exec, s[0:1]
	v_cmp_gt_i32_e64 s[0:1], 10, v6
	s_mov_b64 s[14:15], -1
	s_and_saveexec_b64 s[6:7], s[0:1]
; %bb.242:
	v_cmp_eq_u32_e64 s[0:1], 0, v6
	s_orn2_b64 s[14:15], s[0:1], exec
; %bb.243:
	s_or_b64 exec, exec, s[6:7]
	s_and_saveexec_b64 s[6:7], s[14:15]
	s_cbranch_execz .LBB1519_276
; %bb.244:
	s_add_i32 s14, s2, 8
	s_cmp_le_u32 s3, s14
	s_cselect_b64 s[0:1], -1, 0
	s_and_b64 s[16:17], s[0:1], exec
	s_cselect_b32 s15, 8, 10
	s_or_b64 s[0:1], s[0:1], vcc
	s_xor_b64 s[16:17], s[0:1], -1
	v_mov_b32_e32 v6, s15
	s_and_saveexec_b64 s[0:1], s[16:17]
	s_cbranch_execz .LBB1519_246
; %bb.245:
	s_sub_i32 s15, s3, s14
	s_min_u32 s15, s15, 8
	v_lshrrev_b64 v[6:7], s14, v[4:5]
	v_bfe_u32 v6, v6, 0, s15
	v_lshlrev_b32_e32 v7, 2, v1
	v_lshl_or_b32 v6, v6, 4, v7
	v_mov_b32_e32 v7, 1
	ds_add_u32 v6, v7 offset:4096
	v_mov_b32_e32 v6, 0
.LBB1519_246:
	s_or_b64 exec, exec, s[0:1]
	v_cmp_gt_i32_e64 s[0:1], 10, v6
	s_mov_b64 s[14:15], -1
	s_and_saveexec_b64 s[16:17], s[0:1]
; %bb.247:
	v_cmp_eq_u32_e64 s[0:1], 0, v6
	s_orn2_b64 s[14:15], s[0:1], exec
; %bb.248:
	s_or_b64 exec, exec, s[16:17]
	s_and_b64 exec, exec, s[14:15]
	s_cbranch_execz .LBB1519_276
; %bb.249:
	s_add_i32 s14, s2, 16
	s_cmp_le_u32 s3, s14
	s_cselect_b64 s[0:1], -1, 0
	s_and_b64 s[16:17], s[0:1], exec
	s_cselect_b32 s15, 8, 10
	s_or_b64 s[0:1], s[0:1], vcc
	s_xor_b64 s[16:17], s[0:1], -1
	v_mov_b32_e32 v6, s15
	s_and_saveexec_b64 s[0:1], s[16:17]
	s_cbranch_execz .LBB1519_251
; %bb.250:
	s_sub_i32 s15, s3, s14
	s_min_u32 s15, s15, 8
	v_lshrrev_b64 v[6:7], s14, v[4:5]
	v_bfe_u32 v6, v6, 0, s15
	v_lshlrev_b32_e32 v7, 2, v1
	v_lshl_or_b32 v6, v6, 4, v7
	v_mov_b32_e32 v7, 1
	ds_add_u32 v6, v7 offset:8192
	v_mov_b32_e32 v6, 0
.LBB1519_251:
	s_or_b64 exec, exec, s[0:1]
	v_cmp_gt_i32_e64 s[0:1], 10, v6
	s_mov_b64 s[14:15], -1
	s_and_saveexec_b64 s[16:17], s[0:1]
; %bb.252:
	v_cmp_eq_u32_e64 s[0:1], 0, v6
	s_orn2_b64 s[14:15], s[0:1], exec
; %bb.253:
	s_or_b64 exec, exec, s[16:17]
	s_and_b64 exec, exec, s[14:15]
	;; [unrolled: 33-line block ×6, first 2 shown]
	s_cbranch_execz .LBB1519_276
; %bb.274:
	s_add_i32 s0, s2, 56
	s_cmp_gt_u32 s3, s0
	s_cselect_b64 s[14:15], -1, 0
	s_xor_b64 s[16:17], vcc, -1
	s_and_b64 s[14:15], s[14:15], s[16:17]
	s_and_b64 exec, exec, s[14:15]
	s_cbranch_execz .LBB1519_276
; %bb.275:
	s_sub_i32 s1, s3, s0
	s_min_u32 s1, s1, 8
	v_lshrrev_b64 v[4:5], s0, v[4:5]
	v_bfe_u32 v4, v4, 0, s1
	v_lshlrev_b32_e32 v5, 2, v1
	v_lshl_or_b32 v4, v4, 4, v5
	v_mov_b32_e32 v5, 1
	ds_add_u32 v4, v5 offset:28672
.LBB1519_276:
	s_or_b64 exec, exec, s[6:7]
	v_cmp_le_u32_e32 vcc, s13, v18
	s_or_b64 s[0:1], s[4:5], vcc
	v_xor_b32_e32 v3, 0x80000000, v3
	s_xor_b64 s[4:5], s[0:1], -1
	v_mov_b32_e32 v4, s18
	s_and_saveexec_b64 s[0:1], s[4:5]
	s_cbranch_execz .LBB1519_278
; %bb.277:
	s_sub_i32 s4, s3, s2
	s_min_u32 s4, s4, 8
	v_lshrrev_b64 v[4:5], s2, v[2:3]
	v_bfe_u32 v4, v4, 0, s4
	v_lshlrev_b32_e32 v5, 2, v1
	v_lshl_or_b32 v4, v4, 4, v5
	v_mov_b32_e32 v5, 1
	ds_add_u32 v4, v5
	v_mov_b32_e32 v4, 0
.LBB1519_278:
	s_or_b64 exec, exec, s[0:1]
	v_cmp_gt_i32_e64 s[0:1], 10, v4
	s_mov_b64 s[6:7], -1
	s_and_saveexec_b64 s[4:5], s[0:1]
; %bb.279:
	v_cmp_eq_u32_e64 s[0:1], 0, v4
	s_orn2_b64 s[6:7], s[0:1], exec
; %bb.280:
	s_or_b64 exec, exec, s[4:5]
	s_and_saveexec_b64 s[4:5], s[6:7]
	s_cbranch_execz .LBB1519_313
; %bb.281:
	s_add_i32 s6, s2, 8
	s_cmp_le_u32 s3, s6
	s_cselect_b64 s[0:1], -1, 0
	s_and_b64 s[14:15], s[0:1], exec
	s_cselect_b32 s7, 8, 10
	s_or_b64 s[0:1], s[0:1], vcc
	s_xor_b64 s[14:15], s[0:1], -1
	v_mov_b32_e32 v4, s7
	s_and_saveexec_b64 s[0:1], s[14:15]
	s_cbranch_execz .LBB1519_283
; %bb.282:
	s_sub_i32 s7, s3, s6
	s_min_u32 s7, s7, 8
	v_lshrrev_b64 v[4:5], s6, v[2:3]
	v_bfe_u32 v4, v4, 0, s7
	v_lshlrev_b32_e32 v5, 2, v1
	v_lshl_or_b32 v4, v4, 4, v5
	v_mov_b32_e32 v5, 1
	ds_add_u32 v4, v5 offset:4096
	v_mov_b32_e32 v4, 0
.LBB1519_283:
	s_or_b64 exec, exec, s[0:1]
	v_cmp_gt_i32_e64 s[0:1], 10, v4
	s_mov_b64 s[6:7], -1
	s_and_saveexec_b64 s[14:15], s[0:1]
; %bb.284:
	v_cmp_eq_u32_e64 s[0:1], 0, v4
	s_orn2_b64 s[6:7], s[0:1], exec
; %bb.285:
	s_or_b64 exec, exec, s[14:15]
	s_and_b64 exec, exec, s[6:7]
	s_cbranch_execz .LBB1519_313
; %bb.286:
	s_add_i32 s6, s2, 16
	s_cmp_le_u32 s3, s6
	s_cselect_b64 s[0:1], -1, 0
	s_and_b64 s[14:15], s[0:1], exec
	s_cselect_b32 s7, 8, 10
	s_or_b64 s[0:1], s[0:1], vcc
	s_xor_b64 s[14:15], s[0:1], -1
	v_mov_b32_e32 v4, s7
	s_and_saveexec_b64 s[0:1], s[14:15]
	s_cbranch_execz .LBB1519_288
; %bb.287:
	s_sub_i32 s7, s3, s6
	s_min_u32 s7, s7, 8
	v_lshrrev_b64 v[4:5], s6, v[2:3]
	v_bfe_u32 v4, v4, 0, s7
	v_lshlrev_b32_e32 v5, 2, v1
	v_lshl_or_b32 v4, v4, 4, v5
	v_mov_b32_e32 v5, 1
	ds_add_u32 v4, v5 offset:8192
	v_mov_b32_e32 v4, 0
.LBB1519_288:
	s_or_b64 exec, exec, s[0:1]
	v_cmp_gt_i32_e64 s[0:1], 10, v4
	s_mov_b64 s[6:7], -1
	s_and_saveexec_b64 s[14:15], s[0:1]
; %bb.289:
	v_cmp_eq_u32_e64 s[0:1], 0, v4
	s_orn2_b64 s[6:7], s[0:1], exec
; %bb.290:
	s_or_b64 exec, exec, s[14:15]
	s_and_b64 exec, exec, s[6:7]
	;; [unrolled: 33-line block ×6, first 2 shown]
	s_cbranch_execz .LBB1519_313
; %bb.311:
	s_add_i32 s0, s2, 56
	s_cmp_gt_u32 s3, s0
	s_cselect_b64 s[6:7], -1, 0
	s_xor_b64 s[14:15], vcc, -1
	s_and_b64 s[6:7], s[6:7], s[14:15]
	s_and_b64 exec, exec, s[6:7]
	s_cbranch_execz .LBB1519_313
; %bb.312:
	s_sub_i32 s1, s3, s0
	s_min_u32 s1, s1, 8
	v_lshrrev_b64 v[2:3], s0, v[2:3]
	v_bfe_u32 v2, v2, 0, s1
	v_lshlrev_b32_e32 v1, 2, v1
	v_lshl_or_b32 v1, v2, 4, v1
	v_mov_b32_e32 v2, 1
	ds_add_u32 v1, v2 offset:28672
.LBB1519_313:
	s_or_b64 exec, exec, s[4:5]
	s_cmp_gt_u32 s3, s2
	s_waitcnt lgkmcnt(0)
	s_barrier
	s_cbranch_scc0 .LBB1519_318
; %bb.314:
	s_movk_i32 s0, 0x100
	v_cmp_gt_u32_e32 vcc, s0, v0
	v_lshlrev_b32_e32 v1, 4, v0
	v_mov_b32_e32 v3, 0
	v_mov_b32_e32 v2, v0
	s_mov_b32 s6, s2
	s_branch .LBB1519_316
.LBB1519_315:                           ;   in Loop: Header=BB1519_316 Depth=1
	s_or_b64 exec, exec, s[4:5]
	s_add_i32 s6, s6, 8
	v_add_u32_e32 v2, 0x100, v2
	s_cmp_lt_u32 s6, s3
	v_add_u32_e32 v1, 0x1000, v1
	s_cbranch_scc0 .LBB1519_318
.LBB1519_316:                           ; =>This Inner Loop Header: Depth=1
	s_and_saveexec_b64 s[4:5], vcc
	s_cbranch_execz .LBB1519_315
; %bb.317:                              ;   in Loop: Header=BB1519_316 Depth=1
	ds_read2_b32 v[4:5], v1 offset1:1
	ds_read2_b32 v[6:7], v1 offset0:2 offset1:3
	v_lshlrev_b64 v[8:9], 2, v[2:3]
	v_mov_b32_e32 v10, s11
	s_waitcnt lgkmcnt(1)
	v_add_u32_e32 v4, v5, v4
	s_waitcnt lgkmcnt(0)
	v_add3_u32 v6, v4, v6, v7
	v_add_co_u32_e64 v4, s[0:1], s10, v8
	v_addc_co_u32_e64 v5, s[0:1], v10, v9, s[0:1]
	global_atomic_add v[4:5], v6, off
	s_branch .LBB1519_315
.LBB1519_318:
	s_mov_b64 s[0:1], 0
.LBB1519_319:
	s_and_b64 vcc, exec, s[0:1]
	s_cbranch_vccz .LBB1519_411
; %bb.320:
	s_cmp_eq_u32 s2, 0
	s_cselect_b64 s[0:1], -1, 0
	s_cmp_eq_u32 s3, 64
	s_mov_b32 s13, 0
	s_cselect_b64 s[4:5], -1, 0
	s_and_b64 s[4:5], s[0:1], s[4:5]
	s_lshl_b64 s[0:1], s[12:13], 3
	s_add_u32 s0, s8, s0
	s_addc_u32 s1, s9, s1
	v_lshlrev_b32_e32 v1, 3, v0
	v_mov_b32_e32 v2, s1
	v_add_co_u32_e32 v8, vcc, s0, v1
	v_addc_co_u32_e32 v9, vcc, 0, v2, vcc
	s_movk_i32 s6, 0x2000
	v_add_co_u32_e32 v2, vcc, s6, v8
	v_addc_co_u32_e32 v3, vcc, 0, v9, vcc
	s_movk_i32 s6, 0x4000
	;; [unrolled: 3-line block ×3, first 2 shown]
	v_add_co_u32_e32 v6, vcc, s6, v8
	v_addc_co_u32_e32 v7, vcc, 0, v9, vcc
	global_load_dwordx2 v[16:17], v1, s[0:1]
	global_load_dwordx2 v[14:15], v[2:3], off
	global_load_dwordx2 v[12:13], v[4:5], off
	;; [unrolled: 1-line block ×3, first 2 shown]
	s_mov_b32 s0, 0x8000
	v_add_co_u32_e32 v18, vcc, s0, v8
	v_addc_co_u32_e32 v19, vcc, 0, v9, vcc
	s_mov_b32 s0, 0xa000
	v_add_co_u32_e32 v20, vcc, s0, v8
	v_addc_co_u32_e32 v21, vcc, 0, v9, vcc
	v_add_co_u32_e32 v22, vcc, 0xc000, v8
	v_addc_co_u32_e32 v23, vcc, 0, v9, vcc
	v_add_co_u32_e32 v24, vcc, 0xe000, v8
	v_addc_co_u32_e32 v25, vcc, 0, v9, vcc
	global_load_dwordx2 v[8:9], v[18:19], off
	global_load_dwordx2 v[6:7], v[20:21], off
	;; [unrolled: 1-line block ×4, first 2 shown]
	s_mov_b64 s[0:1], -1
	s_and_b64 vcc, exec, s[4:5]
	v_lshlrev_b32_e32 v1, 2, v0
	s_cbranch_vccnz .LBB1519_408
; %bb.321:
	s_cmp_gt_u32 s3, s2
	s_cselect_b64 s[0:1], -1, 0
	v_mov_b32_e32 v18, 0
	s_and_b64 vcc, exec, s[0:1]
	ds_write2st64_b32 v1, v18, v18 offset1:16
	ds_write2st64_b32 v1, v18, v18 offset0:32 offset1:48
	ds_write2st64_b32 v1, v18, v18 offset0:64 offset1:80
	;; [unrolled: 1-line block ×3, first 2 shown]
	s_waitcnt lgkmcnt(0)
	s_barrier
	s_cbranch_vccz .LBB1519_402
; %bb.322:
	s_sub_i32 s4, s3, s2
	s_min_u32 s4, s4, 8
	s_waitcnt vmcnt(7)
	v_xor_b32_e32 v21, 0x80000000, v17
	v_mov_b32_e32 v20, v16
	s_lshl_b32 s4, -1, s4
	v_and_b32_e32 v24, 3, v0
	s_not_b32 s12, s4
	v_lshrrev_b64 v[22:23], s2, v[20:21]
	v_and_b32_e32 v22, s12, v22
	v_lshlrev_b32_e32 v25, 2, v24
	v_lshl_or_b32 v22, v22, 4, v25
	v_mov_b32_e32 v23, 1
	ds_add_u32 v22, v23
	s_add_i32 s13, s2, 8
	s_cmp_le_u32 s3, s13
	s_waitcnt vmcnt(6)
	v_xor_b32_e32 v19, 0x80000000, v15
	v_mov_b32_e32 v18, v14
	s_cselect_b64 s[4:5], -1, 0
	s_and_b64 vcc, exec, s[4:5]
	v_lshrrev_b64 v[22:23], s2, v[18:19]
	s_cbranch_vccz .LBB1519_324
; %bb.323:
	v_and_b32_e32 v23, s12, v22
	v_lshl_or_b32 v23, v23, 2, v24
	s_mov_b64 s[6:7], -1
	s_cbranch_execz .LBB1519_325
	s_branch .LBB1519_340
.LBB1519_324:
	s_mov_b64 s[6:7], 0
                                        ; implicit-def: $vgpr23
.LBB1519_325:
	s_sub_i32 s8, s3, s13
	s_min_u32 s8, s8, 8
	s_lshl_b32 s8, -1, s8
	s_not_b32 s15, s8
	v_lshrrev_b64 v[26:27], s13, v[20:21]
	v_and_b32_e32 v23, s15, v26
	v_lshl_or_b32 v26, v23, 4, v25
	v_mov_b32_e32 v23, 1
	ds_add_u32 v26, v23 offset:4096
	s_add_i32 s14, s2, 16
	s_cmp_gt_u32 s3, s14
	s_cselect_b64 s[8:9], -1, 0
	s_cmp_le_u32 s3, s14
	s_cbranch_scc1 .LBB1519_332
; %bb.326:
	s_sub_i32 s16, s3, s14
	s_min_u32 s16, s16, 8
	v_lshrrev_b64 v[26:27], s14, v[20:21]
	v_bfe_u32 v26, v26, 0, s16
	v_lshl_or_b32 v26, v26, 4, v25
	ds_add_u32 v26, v23 offset:8192
	s_add_i32 s16, s2, 24
	s_cmp_le_u32 s3, s16
	s_cbranch_scc1 .LBB1519_332
; %bb.327:
	s_sub_i32 s17, s3, s16
	s_min_u32 s17, s17, 8
	v_lshrrev_b64 v[26:27], s16, v[20:21]
	v_bfe_u32 v26, v26, 0, s17
	v_lshl_or_b32 v27, v26, 4, v25
	v_mov_b32_e32 v26, 1
	ds_add_u32 v27, v26 offset:12288
	s_add_i32 s16, s2, 32
	s_cmp_le_u32 s3, s16
	s_cbranch_scc1 .LBB1519_332
; %bb.328:
	s_sub_i32 s17, s3, s16
	s_min_u32 s17, s17, 8
	v_lshrrev_b64 v[28:29], s16, v[20:21]
	v_bfe_u32 v27, v28, 0, s17
	v_lshl_or_b32 v27, v27, 4, v25
	ds_add_u32 v27, v26 offset:16384
	s_add_i32 s16, s2, 40
	s_cmp_le_u32 s3, s16
	s_cbranch_scc1 .LBB1519_332
; %bb.329:
	s_sub_i32 s17, s3, s16
	s_min_u32 s17, s17, 8
	v_lshrrev_b64 v[26:27], s16, v[20:21]
	v_bfe_u32 v26, v26, 0, s17
	v_lshl_or_b32 v27, v26, 4, v25
	v_mov_b32_e32 v26, 1
	ds_add_u32 v27, v26 offset:20480
	s_add_i32 s16, s2, 48
	s_cmp_le_u32 s3, s16
	s_cbranch_scc1 .LBB1519_332
; %bb.330:
	s_sub_i32 s17, s3, s16
	s_min_u32 s17, s17, 8
	v_lshrrev_b64 v[28:29], s16, v[20:21]
	v_bfe_u32 v27, v28, 0, s17
	v_lshl_or_b32 v27, v27, 4, v25
	ds_add_u32 v27, v26 offset:24576
	s_add_i32 s16, s2, 56
	s_cmp_le_u32 s3, s16
	s_cbranch_scc1 .LBB1519_332
; %bb.331:
	s_sub_i32 s17, s3, s16
	s_min_u32 s17, s17, 8
	v_lshrrev_b64 v[20:21], s16, v[20:21]
	v_bfe_u32 v20, v20, 0, s17
	v_lshl_or_b32 v20, v20, 4, v25
	v_mov_b32_e32 v21, 1
	ds_add_u32 v20, v21 offset:28672
.LBB1519_332:
	v_and_b32_e32 v20, s12, v22
	v_lshl_or_b32 v20, v20, 4, v25
	ds_add_u32 v20, v23
	v_lshrrev_b64 v[20:21], s13, v[18:19]
	v_and_b32_e32 v20, s15, v20
	v_lshl_or_b32 v20, v20, 4, v25
	ds_add_u32 v20, v23 offset:4096
	s_andn2_b64 vcc, exec, s[8:9]
	s_cbranch_vccnz .LBB1519_339
; %bb.333:
	s_sub_i32 s8, s3, s14
	s_min_u32 s8, s8, 8
	v_lshrrev_b64 v[20:21], s14, v[18:19]
	v_bfe_u32 v20, v20, 0, s8
	v_lshl_or_b32 v21, v20, 4, v25
	v_mov_b32_e32 v20, 1
	ds_add_u32 v21, v20 offset:8192
	s_add_i32 s8, s2, 24
	s_cmp_gt_u32 s3, s8
	s_cbranch_scc0 .LBB1519_339
; %bb.334:
	s_sub_i32 s9, s3, s8
	s_min_u32 s9, s9, 8
	v_lshrrev_b64 v[22:23], s8, v[18:19]
	v_bfe_u32 v21, v22, 0, s9
	v_lshl_or_b32 v21, v21, 4, v25
	ds_add_u32 v21, v20 offset:12288
	s_add_i32 s8, s2, 32
	s_cmp_gt_u32 s3, s8
	s_cbranch_scc0 .LBB1519_339
; %bb.335:
	s_sub_i32 s9, s3, s8
	s_min_u32 s9, s9, 8
	v_lshrrev_b64 v[20:21], s8, v[18:19]
	v_bfe_u32 v20, v20, 0, s9
	v_lshl_or_b32 v21, v20, 4, v25
	v_mov_b32_e32 v20, 1
	ds_add_u32 v21, v20 offset:16384
	s_add_i32 s8, s2, 40
	s_cmp_gt_u32 s3, s8
	s_cbranch_scc0 .LBB1519_339
; %bb.336:
	s_sub_i32 s9, s3, s8
	s_min_u32 s9, s9, 8
	v_lshrrev_b64 v[22:23], s8, v[18:19]
	v_bfe_u32 v21, v22, 0, s9
	v_lshl_or_b32 v21, v21, 4, v25
	ds_add_u32 v21, v20 offset:20480
	s_add_i32 s8, s2, 48
	s_cmp_gt_u32 s3, s8
	s_cbranch_scc0 .LBB1519_339
; %bb.337:
	s_sub_i32 s9, s3, s8
	s_min_u32 s9, s9, 8
	v_lshrrev_b64 v[20:21], s8, v[18:19]
	v_bfe_u32 v20, v20, 0, s9
	v_lshl_or_b32 v20, v20, 4, v25
	v_mov_b32_e32 v21, 1
	ds_add_u32 v20, v21 offset:24576
	s_add_i32 s8, s2, 56
	s_cmp_gt_u32 s3, s8
	s_cbranch_scc0 .LBB1519_339
; %bb.338:
	s_sub_i32 s6, s3, s8
	s_min_u32 s6, s6, 8
	v_lshrrev_b64 v[18:19], s8, v[18:19]
	v_bfe_u32 v18, v18, 0, s6
	v_lshl_or_b32 v18, v18, 2, v24
	v_add_u32_e32 v23, 0x1c00, v18
	s_mov_b64 s[6:7], -1
	s_branch .LBB1519_340
.LBB1519_339:
                                        ; implicit-def: $vgpr23
.LBB1519_340:
	s_and_b64 vcc, exec, s[6:7]
	s_cbranch_vccz .LBB1519_342
; %bb.341:
	v_lshlrev_b32_e32 v18, 2, v23
	v_mov_b32_e32 v19, 1
	ds_add_u32 v18, v19
.LBB1519_342:
	s_waitcnt vmcnt(5)
	v_xor_b32_e32 v21, 0x80000000, v13
	v_mov_b32_e32 v20, v12
	v_lshrrev_b64 v[22:23], s2, v[20:21]
	v_and_b32_e32 v22, s12, v22
	v_lshl_or_b32 v22, v22, 4, v25
	v_mov_b32_e32 v23, 1
	ds_add_u32 v22, v23
	s_waitcnt vmcnt(4)
	v_xor_b32_e32 v19, 0x80000000, v11
	v_mov_b32_e32 v18, v10
	s_and_b64 vcc, exec, s[4:5]
	v_lshrrev_b64 v[22:23], s2, v[18:19]
	s_cbranch_vccz .LBB1519_344
; %bb.343:
	v_and_b32_e32 v23, s12, v22
	v_lshl_or_b32 v23, v23, 2, v24
	s_mov_b64 s[6:7], -1
	s_cbranch_execz .LBB1519_345
	s_branch .LBB1519_360
.LBB1519_344:
	s_mov_b64 s[6:7], 0
                                        ; implicit-def: $vgpr23
.LBB1519_345:
	s_sub_i32 s8, s3, s13
	s_min_u32 s8, s8, 8
	s_lshl_b32 s8, -1, s8
	s_not_b32 s15, s8
	v_lshrrev_b64 v[26:27], s13, v[20:21]
	v_and_b32_e32 v23, s15, v26
	v_lshl_or_b32 v26, v23, 4, v25
	v_mov_b32_e32 v23, 1
	ds_add_u32 v26, v23 offset:4096
	s_add_i32 s14, s2, 16
	s_cmp_gt_u32 s3, s14
	s_cselect_b64 s[8:9], -1, 0
	s_cmp_le_u32 s3, s14
	s_cbranch_scc1 .LBB1519_352
; %bb.346:
	s_sub_i32 s16, s3, s14
	s_min_u32 s16, s16, 8
	v_lshrrev_b64 v[26:27], s14, v[20:21]
	v_bfe_u32 v26, v26, 0, s16
	v_lshl_or_b32 v26, v26, 4, v25
	ds_add_u32 v26, v23 offset:8192
	s_add_i32 s16, s2, 24
	s_cmp_le_u32 s3, s16
	s_cbranch_scc1 .LBB1519_352
; %bb.347:
	s_sub_i32 s17, s3, s16
	s_min_u32 s17, s17, 8
	v_lshrrev_b64 v[26:27], s16, v[20:21]
	v_bfe_u32 v26, v26, 0, s17
	v_lshl_or_b32 v27, v26, 4, v25
	v_mov_b32_e32 v26, 1
	ds_add_u32 v27, v26 offset:12288
	s_add_i32 s16, s2, 32
	s_cmp_le_u32 s3, s16
	s_cbranch_scc1 .LBB1519_352
; %bb.348:
	s_sub_i32 s17, s3, s16
	s_min_u32 s17, s17, 8
	v_lshrrev_b64 v[28:29], s16, v[20:21]
	v_bfe_u32 v27, v28, 0, s17
	v_lshl_or_b32 v27, v27, 4, v25
	ds_add_u32 v27, v26 offset:16384
	s_add_i32 s16, s2, 40
	s_cmp_le_u32 s3, s16
	s_cbranch_scc1 .LBB1519_352
; %bb.349:
	s_sub_i32 s17, s3, s16
	s_min_u32 s17, s17, 8
	v_lshrrev_b64 v[26:27], s16, v[20:21]
	v_bfe_u32 v26, v26, 0, s17
	v_lshl_or_b32 v27, v26, 4, v25
	v_mov_b32_e32 v26, 1
	ds_add_u32 v27, v26 offset:20480
	s_add_i32 s16, s2, 48
	s_cmp_le_u32 s3, s16
	s_cbranch_scc1 .LBB1519_352
; %bb.350:
	s_sub_i32 s17, s3, s16
	s_min_u32 s17, s17, 8
	v_lshrrev_b64 v[28:29], s16, v[20:21]
	v_bfe_u32 v27, v28, 0, s17
	v_lshl_or_b32 v27, v27, 4, v25
	ds_add_u32 v27, v26 offset:24576
	s_add_i32 s16, s2, 56
	s_cmp_le_u32 s3, s16
	s_cbranch_scc1 .LBB1519_352
; %bb.351:
	s_sub_i32 s17, s3, s16
	s_min_u32 s17, s17, 8
	v_lshrrev_b64 v[20:21], s16, v[20:21]
	v_bfe_u32 v20, v20, 0, s17
	v_lshl_or_b32 v20, v20, 4, v25
	v_mov_b32_e32 v21, 1
	ds_add_u32 v20, v21 offset:28672
.LBB1519_352:
	v_and_b32_e32 v20, s12, v22
	v_lshl_or_b32 v20, v20, 4, v25
	ds_add_u32 v20, v23
	v_lshrrev_b64 v[20:21], s13, v[18:19]
	v_and_b32_e32 v20, s15, v20
	v_lshl_or_b32 v20, v20, 4, v25
	ds_add_u32 v20, v23 offset:4096
	s_andn2_b64 vcc, exec, s[8:9]
	s_cbranch_vccnz .LBB1519_359
; %bb.353:
	s_sub_i32 s8, s3, s14
	s_min_u32 s8, s8, 8
	v_lshrrev_b64 v[20:21], s14, v[18:19]
	v_bfe_u32 v20, v20, 0, s8
	v_lshl_or_b32 v21, v20, 4, v25
	v_mov_b32_e32 v20, 1
	ds_add_u32 v21, v20 offset:8192
	s_add_i32 s8, s2, 24
	s_cmp_gt_u32 s3, s8
	s_cbranch_scc0 .LBB1519_359
; %bb.354:
	s_sub_i32 s9, s3, s8
	s_min_u32 s9, s9, 8
	v_lshrrev_b64 v[22:23], s8, v[18:19]
	v_bfe_u32 v21, v22, 0, s9
	v_lshl_or_b32 v21, v21, 4, v25
	ds_add_u32 v21, v20 offset:12288
	s_add_i32 s8, s2, 32
	s_cmp_gt_u32 s3, s8
	s_cbranch_scc0 .LBB1519_359
; %bb.355:
	s_sub_i32 s9, s3, s8
	s_min_u32 s9, s9, 8
	v_lshrrev_b64 v[20:21], s8, v[18:19]
	v_bfe_u32 v20, v20, 0, s9
	v_lshl_or_b32 v21, v20, 4, v25
	v_mov_b32_e32 v20, 1
	ds_add_u32 v21, v20 offset:16384
	s_add_i32 s8, s2, 40
	s_cmp_gt_u32 s3, s8
	s_cbranch_scc0 .LBB1519_359
; %bb.356:
	s_sub_i32 s9, s3, s8
	s_min_u32 s9, s9, 8
	v_lshrrev_b64 v[22:23], s8, v[18:19]
	v_bfe_u32 v21, v22, 0, s9
	v_lshl_or_b32 v21, v21, 4, v25
	ds_add_u32 v21, v20 offset:20480
	s_add_i32 s8, s2, 48
	s_cmp_gt_u32 s3, s8
	s_cbranch_scc0 .LBB1519_359
; %bb.357:
	s_sub_i32 s9, s3, s8
	s_min_u32 s9, s9, 8
	v_lshrrev_b64 v[20:21], s8, v[18:19]
	v_bfe_u32 v20, v20, 0, s9
	v_lshl_or_b32 v20, v20, 4, v25
	v_mov_b32_e32 v21, 1
	ds_add_u32 v20, v21 offset:24576
	s_add_i32 s8, s2, 56
	s_cmp_gt_u32 s3, s8
	s_cbranch_scc0 .LBB1519_359
; %bb.358:
	s_sub_i32 s6, s3, s8
	s_min_u32 s6, s6, 8
	v_lshrrev_b64 v[18:19], s8, v[18:19]
	v_bfe_u32 v18, v18, 0, s6
	v_lshl_or_b32 v18, v18, 2, v24
	v_add_u32_e32 v23, 0x1c00, v18
	s_mov_b64 s[6:7], -1
	s_branch .LBB1519_360
.LBB1519_359:
                                        ; implicit-def: $vgpr23
.LBB1519_360:
	s_and_b64 vcc, exec, s[6:7]
	s_cbranch_vccz .LBB1519_362
; %bb.361:
	v_lshlrev_b32_e32 v18, 2, v23
	v_mov_b32_e32 v19, 1
	ds_add_u32 v18, v19
.LBB1519_362:
	s_waitcnt vmcnt(3)
	v_xor_b32_e32 v21, 0x80000000, v9
	v_mov_b32_e32 v20, v8
	v_lshrrev_b64 v[22:23], s2, v[20:21]
	v_and_b32_e32 v22, s12, v22
	v_lshl_or_b32 v22, v22, 4, v25
	v_mov_b32_e32 v23, 1
	ds_add_u32 v22, v23
	s_waitcnt vmcnt(2)
	v_xor_b32_e32 v19, 0x80000000, v7
	v_mov_b32_e32 v18, v6
	s_and_b64 vcc, exec, s[4:5]
	v_lshrrev_b64 v[22:23], s2, v[18:19]
	s_cbranch_vccz .LBB1519_364
; %bb.363:
	v_and_b32_e32 v23, s12, v22
	v_lshl_or_b32 v23, v23, 2, v24
	s_mov_b64 s[6:7], -1
	s_cbranch_execz .LBB1519_365
	s_branch .LBB1519_380
.LBB1519_364:
	s_mov_b64 s[6:7], 0
                                        ; implicit-def: $vgpr23
.LBB1519_365:
	s_sub_i32 s8, s3, s13
	s_min_u32 s8, s8, 8
	s_lshl_b32 s8, -1, s8
	s_not_b32 s15, s8
	v_lshrrev_b64 v[26:27], s13, v[20:21]
	v_and_b32_e32 v23, s15, v26
	v_lshl_or_b32 v26, v23, 4, v25
	v_mov_b32_e32 v23, 1
	ds_add_u32 v26, v23 offset:4096
	s_add_i32 s14, s2, 16
	s_cmp_gt_u32 s3, s14
	s_cselect_b64 s[8:9], -1, 0
	s_cmp_le_u32 s3, s14
	s_cbranch_scc1 .LBB1519_372
; %bb.366:
	s_sub_i32 s16, s3, s14
	s_min_u32 s16, s16, 8
	v_lshrrev_b64 v[26:27], s14, v[20:21]
	v_bfe_u32 v26, v26, 0, s16
	v_lshl_or_b32 v26, v26, 4, v25
	ds_add_u32 v26, v23 offset:8192
	s_add_i32 s16, s2, 24
	s_cmp_le_u32 s3, s16
	s_cbranch_scc1 .LBB1519_372
; %bb.367:
	s_sub_i32 s17, s3, s16
	s_min_u32 s17, s17, 8
	v_lshrrev_b64 v[26:27], s16, v[20:21]
	v_bfe_u32 v26, v26, 0, s17
	v_lshl_or_b32 v27, v26, 4, v25
	v_mov_b32_e32 v26, 1
	ds_add_u32 v27, v26 offset:12288
	s_add_i32 s16, s2, 32
	s_cmp_le_u32 s3, s16
	s_cbranch_scc1 .LBB1519_372
; %bb.368:
	s_sub_i32 s17, s3, s16
	s_min_u32 s17, s17, 8
	v_lshrrev_b64 v[28:29], s16, v[20:21]
	v_bfe_u32 v27, v28, 0, s17
	v_lshl_or_b32 v27, v27, 4, v25
	ds_add_u32 v27, v26 offset:16384
	s_add_i32 s16, s2, 40
	s_cmp_le_u32 s3, s16
	s_cbranch_scc1 .LBB1519_372
; %bb.369:
	s_sub_i32 s17, s3, s16
	s_min_u32 s17, s17, 8
	v_lshrrev_b64 v[26:27], s16, v[20:21]
	v_bfe_u32 v26, v26, 0, s17
	v_lshl_or_b32 v27, v26, 4, v25
	v_mov_b32_e32 v26, 1
	ds_add_u32 v27, v26 offset:20480
	s_add_i32 s16, s2, 48
	s_cmp_le_u32 s3, s16
	s_cbranch_scc1 .LBB1519_372
; %bb.370:
	s_sub_i32 s17, s3, s16
	s_min_u32 s17, s17, 8
	v_lshrrev_b64 v[28:29], s16, v[20:21]
	v_bfe_u32 v27, v28, 0, s17
	v_lshl_or_b32 v27, v27, 4, v25
	ds_add_u32 v27, v26 offset:24576
	s_add_i32 s16, s2, 56
	s_cmp_le_u32 s3, s16
	s_cbranch_scc1 .LBB1519_372
; %bb.371:
	s_sub_i32 s17, s3, s16
	s_min_u32 s17, s17, 8
	v_lshrrev_b64 v[20:21], s16, v[20:21]
	v_bfe_u32 v20, v20, 0, s17
	v_lshl_or_b32 v20, v20, 4, v25
	v_mov_b32_e32 v21, 1
	ds_add_u32 v20, v21 offset:28672
.LBB1519_372:
	v_and_b32_e32 v20, s12, v22
	v_lshl_or_b32 v20, v20, 4, v25
	ds_add_u32 v20, v23
	v_lshrrev_b64 v[20:21], s13, v[18:19]
	v_and_b32_e32 v20, s15, v20
	v_lshl_or_b32 v20, v20, 4, v25
	ds_add_u32 v20, v23 offset:4096
	s_andn2_b64 vcc, exec, s[8:9]
	s_cbranch_vccnz .LBB1519_379
; %bb.373:
	s_sub_i32 s8, s3, s14
	s_min_u32 s8, s8, 8
	v_lshrrev_b64 v[20:21], s14, v[18:19]
	v_bfe_u32 v20, v20, 0, s8
	v_lshl_or_b32 v21, v20, 4, v25
	v_mov_b32_e32 v20, 1
	ds_add_u32 v21, v20 offset:8192
	s_add_i32 s8, s2, 24
	s_cmp_gt_u32 s3, s8
	s_cbranch_scc0 .LBB1519_379
; %bb.374:
	s_sub_i32 s9, s3, s8
	s_min_u32 s9, s9, 8
	v_lshrrev_b64 v[22:23], s8, v[18:19]
	v_bfe_u32 v21, v22, 0, s9
	v_lshl_or_b32 v21, v21, 4, v25
	ds_add_u32 v21, v20 offset:12288
	s_add_i32 s8, s2, 32
	s_cmp_gt_u32 s3, s8
	s_cbranch_scc0 .LBB1519_379
; %bb.375:
	s_sub_i32 s9, s3, s8
	s_min_u32 s9, s9, 8
	v_lshrrev_b64 v[20:21], s8, v[18:19]
	v_bfe_u32 v20, v20, 0, s9
	v_lshl_or_b32 v21, v20, 4, v25
	v_mov_b32_e32 v20, 1
	ds_add_u32 v21, v20 offset:16384
	s_add_i32 s8, s2, 40
	s_cmp_gt_u32 s3, s8
	s_cbranch_scc0 .LBB1519_379
; %bb.376:
	s_sub_i32 s9, s3, s8
	s_min_u32 s9, s9, 8
	v_lshrrev_b64 v[22:23], s8, v[18:19]
	v_bfe_u32 v21, v22, 0, s9
	v_lshl_or_b32 v21, v21, 4, v25
	ds_add_u32 v21, v20 offset:20480
	s_add_i32 s8, s2, 48
	s_cmp_gt_u32 s3, s8
	s_cbranch_scc0 .LBB1519_379
; %bb.377:
	s_sub_i32 s9, s3, s8
	s_min_u32 s9, s9, 8
	v_lshrrev_b64 v[20:21], s8, v[18:19]
	v_bfe_u32 v20, v20, 0, s9
	v_lshl_or_b32 v20, v20, 4, v25
	v_mov_b32_e32 v21, 1
	ds_add_u32 v20, v21 offset:24576
	s_add_i32 s8, s2, 56
	s_cmp_gt_u32 s3, s8
	s_cbranch_scc0 .LBB1519_379
; %bb.378:
	s_sub_i32 s6, s3, s8
	s_min_u32 s6, s6, 8
	v_lshrrev_b64 v[18:19], s8, v[18:19]
	v_bfe_u32 v18, v18, 0, s6
	v_lshl_or_b32 v18, v18, 2, v24
	v_add_u32_e32 v23, 0x1c00, v18
	s_mov_b64 s[6:7], -1
	s_branch .LBB1519_380
.LBB1519_379:
                                        ; implicit-def: $vgpr23
.LBB1519_380:
	s_and_b64 vcc, exec, s[6:7]
	s_cbranch_vccz .LBB1519_382
; %bb.381:
	v_lshlrev_b32_e32 v18, 2, v23
	v_mov_b32_e32 v19, 1
	ds_add_u32 v18, v19
.LBB1519_382:
	s_waitcnt vmcnt(1)
	v_xor_b32_e32 v21, 0x80000000, v5
	v_mov_b32_e32 v20, v4
	v_lshrrev_b64 v[22:23], s2, v[20:21]
	v_and_b32_e32 v22, s12, v22
	v_lshl_or_b32 v22, v22, 4, v25
	v_mov_b32_e32 v23, 1
	ds_add_u32 v22, v23
	s_waitcnt vmcnt(0)
	v_xor_b32_e32 v19, 0x80000000, v3
	v_mov_b32_e32 v18, v2
	s_and_b64 vcc, exec, s[4:5]
	v_lshrrev_b64 v[22:23], s2, v[18:19]
	s_cbranch_vccz .LBB1519_384
; %bb.383:
	v_and_b32_e32 v23, s12, v22
	v_lshl_or_b32 v23, v23, 2, v24
	s_mov_b64 s[4:5], -1
	s_cbranch_execz .LBB1519_385
	s_branch .LBB1519_400
.LBB1519_384:
	s_mov_b64 s[4:5], 0
                                        ; implicit-def: $vgpr23
.LBB1519_385:
	s_sub_i32 s6, s3, s13
	s_min_u32 s6, s6, 8
	s_lshl_b32 s6, -1, s6
	s_not_b32 s9, s6
	v_lshrrev_b64 v[26:27], s13, v[20:21]
	v_and_b32_e32 v23, s9, v26
	v_lshl_or_b32 v26, v23, 4, v25
	v_mov_b32_e32 v23, 1
	ds_add_u32 v26, v23 offset:4096
	s_add_i32 s8, s2, 16
	s_cmp_gt_u32 s3, s8
	s_cselect_b64 s[6:7], -1, 0
	s_cmp_le_u32 s3, s8
	s_cbranch_scc1 .LBB1519_392
; %bb.386:
	s_sub_i32 s14, s3, s8
	s_min_u32 s14, s14, 8
	v_lshrrev_b64 v[26:27], s8, v[20:21]
	v_bfe_u32 v26, v26, 0, s14
	v_lshl_or_b32 v26, v26, 4, v25
	ds_add_u32 v26, v23 offset:8192
	s_add_i32 s14, s2, 24
	s_cmp_le_u32 s3, s14
	s_cbranch_scc1 .LBB1519_392
; %bb.387:
	s_sub_i32 s15, s3, s14
	s_min_u32 s15, s15, 8
	v_lshrrev_b64 v[26:27], s14, v[20:21]
	v_bfe_u32 v26, v26, 0, s15
	v_lshl_or_b32 v27, v26, 4, v25
	v_mov_b32_e32 v26, 1
	ds_add_u32 v27, v26 offset:12288
	s_add_i32 s14, s2, 32
	s_cmp_le_u32 s3, s14
	s_cbranch_scc1 .LBB1519_392
; %bb.388:
	s_sub_i32 s15, s3, s14
	s_min_u32 s15, s15, 8
	v_lshrrev_b64 v[28:29], s14, v[20:21]
	v_bfe_u32 v27, v28, 0, s15
	v_lshl_or_b32 v27, v27, 4, v25
	ds_add_u32 v27, v26 offset:16384
	s_add_i32 s14, s2, 40
	s_cmp_le_u32 s3, s14
	s_cbranch_scc1 .LBB1519_392
; %bb.389:
	s_sub_i32 s15, s3, s14
	s_min_u32 s15, s15, 8
	v_lshrrev_b64 v[26:27], s14, v[20:21]
	v_bfe_u32 v26, v26, 0, s15
	v_lshl_or_b32 v27, v26, 4, v25
	v_mov_b32_e32 v26, 1
	ds_add_u32 v27, v26 offset:20480
	s_add_i32 s14, s2, 48
	s_cmp_le_u32 s3, s14
	s_cbranch_scc1 .LBB1519_392
; %bb.390:
	s_sub_i32 s15, s3, s14
	s_min_u32 s15, s15, 8
	v_lshrrev_b64 v[28:29], s14, v[20:21]
	v_bfe_u32 v27, v28, 0, s15
	v_lshl_or_b32 v27, v27, 4, v25
	ds_add_u32 v27, v26 offset:24576
	s_add_i32 s14, s2, 56
	s_cmp_le_u32 s3, s14
	s_cbranch_scc1 .LBB1519_392
; %bb.391:
	s_sub_i32 s15, s3, s14
	s_min_u32 s15, s15, 8
	v_lshrrev_b64 v[20:21], s14, v[20:21]
	v_bfe_u32 v20, v20, 0, s15
	v_lshl_or_b32 v20, v20, 4, v25
	v_mov_b32_e32 v21, 1
	ds_add_u32 v20, v21 offset:28672
.LBB1519_392:
	v_and_b32_e32 v20, s12, v22
	v_lshl_or_b32 v20, v20, 4, v25
	ds_add_u32 v20, v23
	v_lshrrev_b64 v[20:21], s13, v[18:19]
	v_and_b32_e32 v20, s9, v20
	v_lshl_or_b32 v20, v20, 4, v25
	ds_add_u32 v20, v23 offset:4096
	s_andn2_b64 vcc, exec, s[6:7]
	s_cbranch_vccnz .LBB1519_399
; %bb.393:
	s_sub_i32 s6, s3, s8
	s_min_u32 s6, s6, 8
	v_lshrrev_b64 v[20:21], s8, v[18:19]
	v_bfe_u32 v20, v20, 0, s6
	v_lshl_or_b32 v21, v20, 4, v25
	v_mov_b32_e32 v20, 1
	ds_add_u32 v21, v20 offset:8192
	s_add_i32 s6, s2, 24
	s_cmp_gt_u32 s3, s6
	s_cbranch_scc0 .LBB1519_399
; %bb.394:
	s_sub_i32 s7, s3, s6
	s_min_u32 s7, s7, 8
	v_lshrrev_b64 v[22:23], s6, v[18:19]
	v_bfe_u32 v21, v22, 0, s7
	v_lshl_or_b32 v21, v21, 4, v25
	ds_add_u32 v21, v20 offset:12288
	s_add_i32 s6, s2, 32
	s_cmp_gt_u32 s3, s6
	s_cbranch_scc0 .LBB1519_399
; %bb.395:
	s_sub_i32 s7, s3, s6
	s_min_u32 s7, s7, 8
	v_lshrrev_b64 v[20:21], s6, v[18:19]
	v_bfe_u32 v20, v20, 0, s7
	v_lshl_or_b32 v21, v20, 4, v25
	v_mov_b32_e32 v20, 1
	ds_add_u32 v21, v20 offset:16384
	s_add_i32 s6, s2, 40
	s_cmp_gt_u32 s3, s6
	s_cbranch_scc0 .LBB1519_399
; %bb.396:
	s_sub_i32 s7, s3, s6
	s_min_u32 s7, s7, 8
	v_lshrrev_b64 v[22:23], s6, v[18:19]
	v_bfe_u32 v21, v22, 0, s7
	v_lshl_or_b32 v21, v21, 4, v25
	ds_add_u32 v21, v20 offset:20480
	s_add_i32 s6, s2, 48
	s_cmp_gt_u32 s3, s6
	s_cbranch_scc0 .LBB1519_399
; %bb.397:
	s_sub_i32 s7, s3, s6
	s_min_u32 s7, s7, 8
	v_lshrrev_b64 v[20:21], s6, v[18:19]
	v_bfe_u32 v20, v20, 0, s7
	v_lshl_or_b32 v20, v20, 4, v25
	v_mov_b32_e32 v21, 1
	ds_add_u32 v20, v21 offset:24576
	s_add_i32 s6, s2, 56
	s_cmp_gt_u32 s3, s6
	s_cbranch_scc0 .LBB1519_399
; %bb.398:
	s_sub_i32 s4, s3, s6
	s_min_u32 s4, s4, 8
	v_lshrrev_b64 v[18:19], s6, v[18:19]
	v_bfe_u32 v18, v18, 0, s4
	v_lshl_or_b32 v18, v18, 2, v24
	v_add_u32_e32 v23, 0x1c00, v18
	s_mov_b64 s[4:5], -1
	s_branch .LBB1519_400
.LBB1519_399:
                                        ; implicit-def: $vgpr23
.LBB1519_400:
	s_and_b64 vcc, exec, s[4:5]
	s_cbranch_vccz .LBB1519_402
; %bb.401:
	v_lshlrev_b32_e32 v18, 2, v23
	v_mov_b32_e32 v19, 1
	ds_add_u32 v18, v19
.LBB1519_402:
	s_and_b64 vcc, exec, s[0:1]
	s_waitcnt lgkmcnt(0)
	s_barrier
	s_cbranch_vccz .LBB1519_407
; %bb.403:
	s_movk_i32 s0, 0x100
	v_cmp_gt_u32_e32 vcc, s0, v0
	v_lshlrev_b32_e32 v20, 4, v0
	v_mov_b32_e32 v19, 0
	v_mov_b32_e32 v18, v0
	s_branch .LBB1519_405
.LBB1519_404:                           ;   in Loop: Header=BB1519_405 Depth=1
	s_or_b64 exec, exec, s[4:5]
	s_add_i32 s2, s2, 8
	v_add_u32_e32 v18, 0x100, v18
	s_cmp_ge_u32 s2, s3
	v_add_u32_e32 v20, 0x1000, v20
	s_cbranch_scc1 .LBB1519_407
.LBB1519_405:                           ; =>This Inner Loop Header: Depth=1
	s_and_saveexec_b64 s[4:5], vcc
	s_cbranch_execz .LBB1519_404
; %bb.406:                              ;   in Loop: Header=BB1519_405 Depth=1
	ds_read2_b32 v[22:23], v20 offset1:1
	ds_read2_b32 v[24:25], v20 offset0:2 offset1:3
	v_lshlrev_b64 v[26:27], 2, v[18:19]
	v_mov_b32_e32 v21, s11
	s_waitcnt lgkmcnt(1)
	v_add_u32_e32 v22, v23, v22
	s_waitcnt lgkmcnt(0)
	v_add3_u32 v24, v22, v24, v25
	v_add_co_u32_e64 v22, s[0:1], s10, v26
	v_addc_co_u32_e64 v23, s[0:1], v21, v27, s[0:1]
	global_atomic_add v[22:23], v24, off
	s_branch .LBB1519_404
.LBB1519_407:
	s_mov_b64 s[0:1], 0
.LBB1519_408:
	s_and_b64 vcc, exec, s[0:1]
	s_cbranch_vccz .LBB1519_411
; %bb.409:
	v_mov_b32_e32 v18, 0
	ds_write2st64_b32 v1, v18, v18 offset1:16
	ds_write2st64_b32 v1, v18, v18 offset0:32 offset1:48
	ds_write2st64_b32 v1, v18, v18 offset0:64 offset1:80
	;; [unrolled: 1-line block ×3, first 2 shown]
	v_and_b32_e32 v19, 3, v0
	s_waitcnt vmcnt(7)
	v_lshlrev_b32_e32 v18, 2, v16
	s_movk_i32 s0, 0x3fc
	v_and_or_b32 v18, v18, s0, v19
	v_lshlrev_b32_e32 v20, 2, v18
	v_mov_b32_e32 v18, 1
	s_waitcnt lgkmcnt(0)
	s_barrier
	ds_add_u32 v20, v18
	v_bfe_u32 v20, v16, 8, 8
	v_lshl_or_b32 v20, v20, 2, v19
	v_lshlrev_b32_e32 v20, 2, v20
	ds_add_u32 v20, v18 offset:4096
	v_bfe_u32 v20, v16, 16, 8
	v_lshl_or_b32 v20, v20, 2, v19
	v_lshlrev_b32_e32 v20, 2, v20
	ds_add_u32 v20, v18 offset:8192
	v_lshrrev_b32_e32 v20, 24, v16
	v_lshl_or_b32 v20, v20, 2, v19
	v_alignbit_b32 v16, v17, v16, 30
	v_lshlrev_b32_e32 v20, 2, v20
	v_and_or_b32 v16, v16, s0, v19
	ds_add_u32 v20, v18 offset:12288
	v_lshlrev_b32_e32 v16, 2, v16
	ds_add_u32 v16, v18 offset:16384
	v_bfe_u32 v16, v17, 8, 8
	v_lshl_or_b32 v16, v16, 2, v19
	v_lshlrev_b32_e32 v16, 2, v16
	ds_add_u32 v16, v18 offset:20480
	v_bfe_u32 v16, v17, 16, 8
	v_lshl_or_b32 v16, v16, 2, v19
	v_lshlrev_b32_e32 v16, 2, v16
	ds_add_u32 v16, v18 offset:24576
	v_lshrrev_b32_e32 v16, 24, v17
	v_or_b32_e32 v17, 0x1c00, v19
	v_lshl_or_b32 v16, v16, 2, v17
	v_xor_b32_e32 v16, 0x200, v16
	v_lshlrev_b32_e32 v16, 2, v16
	ds_add_u32 v16, v18
	s_waitcnt vmcnt(6)
	v_lshlrev_b32_e32 v16, 2, v14
	v_and_or_b32 v16, v16, s0, v19
	v_lshlrev_b32_e32 v16, 2, v16
	ds_add_u32 v16, v18
	v_bfe_u32 v16, v14, 8, 8
	v_lshl_or_b32 v16, v16, 2, v19
	v_lshlrev_b32_e32 v16, 2, v16
	ds_add_u32 v16, v18 offset:4096
	v_bfe_u32 v16, v14, 16, 8
	v_lshl_or_b32 v16, v16, 2, v19
	v_lshlrev_b32_e32 v16, 2, v16
	ds_add_u32 v16, v18 offset:8192
	v_lshrrev_b32_e32 v16, 24, v14
	v_lshl_or_b32 v16, v16, 2, v19
	v_alignbit_b32 v14, v15, v14, 30
	v_lshlrev_b32_e32 v16, 2, v16
	v_and_or_b32 v14, v14, s0, v19
	ds_add_u32 v16, v18 offset:12288
	v_lshlrev_b32_e32 v14, 2, v14
	ds_add_u32 v14, v18 offset:16384
	v_bfe_u32 v14, v15, 8, 8
	v_lshl_or_b32 v14, v14, 2, v19
	v_lshlrev_b32_e32 v14, 2, v14
	ds_add_u32 v14, v18 offset:20480
	v_bfe_u32 v14, v15, 16, 8
	v_lshl_or_b32 v14, v14, 2, v19
	v_lshlrev_b32_e32 v14, 2, v14
	ds_add_u32 v14, v18 offset:24576
	v_lshrrev_b32_e32 v14, 24, v15
	v_lshl_or_b32 v14, v14, 2, v17
	v_xor_b32_e32 v14, 0x200, v14
	v_lshlrev_b32_e32 v14, 2, v14
	ds_add_u32 v14, v18
	s_waitcnt vmcnt(5)
	v_lshlrev_b32_e32 v14, 2, v12
	v_and_or_b32 v14, v14, s0, v19
	v_lshlrev_b32_e32 v14, 2, v14
	ds_add_u32 v14, v18
	v_bfe_u32 v14, v12, 8, 8
	v_lshl_or_b32 v14, v14, 2, v19
	v_lshlrev_b32_e32 v14, 2, v14
	ds_add_u32 v14, v18 offset:4096
	v_bfe_u32 v14, v12, 16, 8
	v_lshl_or_b32 v14, v14, 2, v19
	v_lshlrev_b32_e32 v14, 2, v14
	ds_add_u32 v14, v18 offset:8192
	v_lshrrev_b32_e32 v14, 24, v12
	v_lshl_or_b32 v14, v14, 2, v19
	v_alignbit_b32 v12, v13, v12, 30
	v_lshlrev_b32_e32 v14, 2, v14
	v_and_or_b32 v12, v12, s0, v19
	ds_add_u32 v14, v18 offset:12288
	v_lshlrev_b32_e32 v12, 2, v12
	ds_add_u32 v12, v18 offset:16384
	v_bfe_u32 v12, v13, 8, 8
	v_lshl_or_b32 v12, v12, 2, v19
	v_lshlrev_b32_e32 v12, 2, v12
	ds_add_u32 v12, v18 offset:20480
	v_bfe_u32 v12, v13, 16, 8
	v_lshl_or_b32 v12, v12, 2, v19
	v_lshlrev_b32_e32 v12, 2, v12
	ds_add_u32 v12, v18 offset:24576
	v_lshrrev_b32_e32 v12, 24, v13
	v_lshl_or_b32 v12, v12, 2, v17
	v_xor_b32_e32 v12, 0x200, v12
	v_lshlrev_b32_e32 v12, 2, v12
	ds_add_u32 v12, v18
	s_waitcnt vmcnt(4)
	v_lshlrev_b32_e32 v12, 2, v10
	v_and_or_b32 v12, v12, s0, v19
	v_lshlrev_b32_e32 v12, 2, v12
	ds_add_u32 v12, v18
	v_bfe_u32 v12, v10, 8, 8
	v_lshl_or_b32 v12, v12, 2, v19
	v_lshlrev_b32_e32 v12, 2, v12
	ds_add_u32 v12, v18 offset:4096
	v_bfe_u32 v12, v10, 16, 8
	v_lshl_or_b32 v12, v12, 2, v19
	v_lshlrev_b32_e32 v12, 2, v12
	ds_add_u32 v12, v18 offset:8192
	v_lshrrev_b32_e32 v12, 24, v10
	v_lshl_or_b32 v12, v12, 2, v19
	v_alignbit_b32 v10, v11, v10, 30
	v_lshlrev_b32_e32 v12, 2, v12
	v_and_or_b32 v10, v10, s0, v19
	ds_add_u32 v12, v18 offset:12288
	v_lshlrev_b32_e32 v10, 2, v10
	ds_add_u32 v10, v18 offset:16384
	v_bfe_u32 v10, v11, 8, 8
	v_lshl_or_b32 v10, v10, 2, v19
	v_lshlrev_b32_e32 v10, 2, v10
	ds_add_u32 v10, v18 offset:20480
	v_bfe_u32 v10, v11, 16, 8
	v_lshl_or_b32 v10, v10, 2, v19
	v_lshlrev_b32_e32 v10, 2, v10
	ds_add_u32 v10, v18 offset:24576
	v_lshrrev_b32_e32 v10, 24, v11
	v_lshl_or_b32 v10, v10, 2, v17
	v_xor_b32_e32 v10, 0x200, v10
	v_lshlrev_b32_e32 v10, 2, v10
	ds_add_u32 v10, v18
	s_waitcnt vmcnt(3)
	v_lshlrev_b32_e32 v10, 2, v8
	v_and_or_b32 v10, v10, s0, v19
	v_lshlrev_b32_e32 v10, 2, v10
	ds_add_u32 v10, v18
	v_bfe_u32 v10, v8, 8, 8
	v_lshl_or_b32 v10, v10, 2, v19
	v_lshlrev_b32_e32 v10, 2, v10
	ds_add_u32 v10, v18 offset:4096
	v_bfe_u32 v10, v8, 16, 8
	v_lshl_or_b32 v10, v10, 2, v19
	v_lshlrev_b32_e32 v10, 2, v10
	ds_add_u32 v10, v18 offset:8192
	v_lshrrev_b32_e32 v10, 24, v8
	v_lshl_or_b32 v10, v10, 2, v19
	v_alignbit_b32 v8, v9, v8, 30
	v_lshlrev_b32_e32 v10, 2, v10
	v_and_or_b32 v8, v8, s0, v19
	ds_add_u32 v10, v18 offset:12288
	v_lshlrev_b32_e32 v8, 2, v8
	ds_add_u32 v8, v18 offset:16384
	v_bfe_u32 v8, v9, 8, 8
	v_lshl_or_b32 v8, v8, 2, v19
	v_lshlrev_b32_e32 v8, 2, v8
	ds_add_u32 v8, v18 offset:20480
	v_bfe_u32 v8, v9, 16, 8
	v_lshl_or_b32 v8, v8, 2, v19
	v_lshlrev_b32_e32 v8, 2, v8
	ds_add_u32 v8, v18 offset:24576
	v_lshrrev_b32_e32 v8, 24, v9
	v_lshl_or_b32 v8, v8, 2, v17
	v_xor_b32_e32 v8, 0x200, v8
	v_lshlrev_b32_e32 v8, 2, v8
	ds_add_u32 v8, v18
	s_waitcnt vmcnt(2)
	v_lshlrev_b32_e32 v8, 2, v6
	v_and_or_b32 v8, v8, s0, v19
	v_lshlrev_b32_e32 v8, 2, v8
	ds_add_u32 v8, v18
	v_bfe_u32 v8, v6, 8, 8
	v_lshl_or_b32 v8, v8, 2, v19
	v_lshlrev_b32_e32 v8, 2, v8
	ds_add_u32 v8, v18 offset:4096
	v_bfe_u32 v8, v6, 16, 8
	v_lshl_or_b32 v8, v8, 2, v19
	v_lshlrev_b32_e32 v8, 2, v8
	ds_add_u32 v8, v18 offset:8192
	v_lshrrev_b32_e32 v8, 24, v6
	v_lshl_or_b32 v8, v8, 2, v19
	v_alignbit_b32 v6, v7, v6, 30
	v_lshlrev_b32_e32 v8, 2, v8
	v_and_or_b32 v6, v6, s0, v19
	ds_add_u32 v8, v18 offset:12288
	v_lshlrev_b32_e32 v6, 2, v6
	ds_add_u32 v6, v18 offset:16384
	v_bfe_u32 v6, v7, 8, 8
	v_lshl_or_b32 v6, v6, 2, v19
	v_lshlrev_b32_e32 v6, 2, v6
	ds_add_u32 v6, v18 offset:20480
	v_bfe_u32 v6, v7, 16, 8
	v_lshl_or_b32 v6, v6, 2, v19
	v_lshlrev_b32_e32 v6, 2, v6
	ds_add_u32 v6, v18 offset:24576
	v_lshrrev_b32_e32 v6, 24, v7
	v_lshl_or_b32 v6, v6, 2, v17
	v_xor_b32_e32 v6, 0x200, v6
	v_lshlrev_b32_e32 v6, 2, v6
	ds_add_u32 v6, v18
	s_waitcnt vmcnt(1)
	v_lshlrev_b32_e32 v6, 2, v4
	v_and_or_b32 v6, v6, s0, v19
	v_lshlrev_b32_e32 v6, 2, v6
	ds_add_u32 v6, v18
	v_bfe_u32 v6, v4, 8, 8
	v_lshl_or_b32 v6, v6, 2, v19
	v_lshlrev_b32_e32 v6, 2, v6
	ds_add_u32 v6, v18 offset:4096
	v_bfe_u32 v6, v4, 16, 8
	v_lshl_or_b32 v6, v6, 2, v19
	v_lshlrev_b32_e32 v6, 2, v6
	ds_add_u32 v6, v18 offset:8192
	v_lshrrev_b32_e32 v6, 24, v4
	v_lshl_or_b32 v6, v6, 2, v19
	v_alignbit_b32 v4, v5, v4, 30
	v_lshlrev_b32_e32 v6, 2, v6
	v_and_or_b32 v4, v4, s0, v19
	ds_add_u32 v6, v18 offset:12288
	v_lshlrev_b32_e32 v4, 2, v4
	ds_add_u32 v4, v18 offset:16384
	v_bfe_u32 v4, v5, 8, 8
	v_lshl_or_b32 v4, v4, 2, v19
	v_lshlrev_b32_e32 v4, 2, v4
	ds_add_u32 v4, v18 offset:20480
	v_bfe_u32 v4, v5, 16, 8
	v_lshl_or_b32 v4, v4, 2, v19
	v_lshlrev_b32_e32 v4, 2, v4
	ds_add_u32 v4, v18 offset:24576
	v_lshrrev_b32_e32 v4, 24, v5
	v_lshl_or_b32 v4, v4, 2, v17
	v_xor_b32_e32 v4, 0x200, v4
	v_lshlrev_b32_e32 v4, 2, v4
	ds_add_u32 v4, v18
	s_waitcnt vmcnt(0)
	v_lshlrev_b32_e32 v4, 2, v2
	v_and_or_b32 v4, v4, s0, v19
	v_lshlrev_b32_e32 v4, 2, v4
	ds_add_u32 v4, v18
	v_bfe_u32 v4, v2, 8, 8
	v_lshl_or_b32 v4, v4, 2, v19
	v_lshlrev_b32_e32 v4, 2, v4
	ds_add_u32 v4, v18 offset:4096
	v_bfe_u32 v4, v2, 16, 8
	v_lshl_or_b32 v4, v4, 2, v19
	v_lshlrev_b32_e32 v4, 2, v4
	ds_add_u32 v4, v18 offset:8192
	v_lshrrev_b32_e32 v4, 24, v2
	v_lshl_or_b32 v4, v4, 2, v19
	v_alignbit_b32 v2, v3, v2, 30
	v_lshlrev_b32_e32 v4, 2, v4
	v_and_or_b32 v2, v2, s0, v19
	ds_add_u32 v4, v18 offset:12288
	v_lshlrev_b32_e32 v2, 2, v2
	ds_add_u32 v2, v18 offset:16384
	v_bfe_u32 v2, v3, 8, 8
	v_lshl_or_b32 v2, v2, 2, v19
	v_lshlrev_b32_e32 v2, 2, v2
	ds_add_u32 v2, v18 offset:20480
	v_bfe_u32 v2, v3, 16, 8
	v_lshl_or_b32 v2, v2, 2, v19
	v_lshlrev_b32_e32 v2, 2, v2
	ds_add_u32 v2, v18 offset:24576
	v_lshrrev_b32_e32 v2, 24, v3
	v_lshl_or_b32 v2, v2, 2, v17
	v_xor_b32_e32 v2, 0x200, v2
	v_lshlrev_b32_e32 v2, 2, v2
	ds_add_u32 v2, v18
	s_movk_i32 s0, 0x100
	v_cmp_gt_u32_e32 vcc, s0, v0
	s_waitcnt lgkmcnt(0)
	s_barrier
	s_and_saveexec_b64 s[0:1], vcc
	s_cbranch_execz .LBB1519_411
; %bb.410:
	v_lshlrev_b32_e32 v0, 4, v0
	ds_read2_b32 v[2:3], v0 offset1:1
	ds_read2_b32 v[4:5], v0 offset0:2 offset1:3
	v_add_u32_e32 v6, 0x1000, v0
	v_add_u32_e32 v7, 0x1008, v0
	;; [unrolled: 1-line block ×3, first 2 shown]
	s_waitcnt lgkmcnt(1)
	v_add_u32_e32 v2, v3, v2
	s_waitcnt lgkmcnt(0)
	v_add3_u32 v2, v2, v4, v5
	global_atomic_add v1, v2, s[10:11]
	ds_read2_b32 v[2:3], v6 offset1:1
	ds_read2_b32 v[4:5], v7 offset1:1
	v_add_u32_e32 v6, 0x2000, v0
	v_add_u32_e32 v7, 0x2008, v0
	s_waitcnt lgkmcnt(1)
	v_add_u32_e32 v2, v3, v2
	s_waitcnt lgkmcnt(0)
	v_add3_u32 v2, v2, v4, v5
	global_atomic_add v1, v2, s[10:11] offset:1024
	ds_read2_b32 v[2:3], v6 offset1:1
	ds_read2_b32 v[4:5], v7 offset1:1
	v_add_u32_e32 v6, 0x3000, v0
	v_add_u32_e32 v7, 0x3008, v0
	s_waitcnt lgkmcnt(1)
	v_add_u32_e32 v2, v3, v2
	s_waitcnt lgkmcnt(0)
	v_add3_u32 v2, v2, v4, v5
	global_atomic_add v1, v2, s[10:11] offset:2048
	ds_read2_b32 v[2:3], v6 offset1:1
	ds_read2_b32 v[4:5], v7 offset1:1
	v_or_b32_e32 v6, 0x4000, v0
	v_or_b32_e32 v7, 0x4008, v0
	s_waitcnt lgkmcnt(1)
	v_add_u32_e32 v2, v3, v2
	s_waitcnt lgkmcnt(0)
	v_add3_u32 v2, v2, v4, v5
	global_atomic_add v1, v2, s[10:11] offset:3072
	ds_read2_b32 v[2:3], v6 offset1:1
	ds_read2_b32 v[4:5], v7 offset1:1
	v_or_b32_e32 v6, 0x1000, v1
	v_add_u32_e32 v7, 0x5000, v0
	s_waitcnt lgkmcnt(1)
	v_add_u32_e32 v2, v3, v2
	s_waitcnt lgkmcnt(0)
	v_add3_u32 v2, v2, v4, v5
	global_atomic_add v6, v2, s[10:11]
	ds_read2_b32 v[2:3], v7 offset1:1
	ds_read2_b32 v[4:5], v8 offset1:1
	v_or_b32_e32 v6, 0x1400, v1
	v_add_u32_e32 v7, 0x6000, v0
	v_add_u32_e32 v8, 0x6008, v0
	s_waitcnt lgkmcnt(1)
	v_add_u32_e32 v2, v3, v2
	s_waitcnt lgkmcnt(0)
	v_add3_u32 v2, v2, v4, v5
	global_atomic_add v6, v2, s[10:11]
	ds_read2_b32 v[2:3], v7 offset1:1
	ds_read2_b32 v[4:5], v8 offset1:1
	v_or_b32_e32 v6, 0x1800, v1
	v_add_u32_e32 v7, 0x7000, v0
	v_add_u32_e32 v0, 0x7008, v0
	s_waitcnt lgkmcnt(1)
	v_add_u32_e32 v2, v3, v2
	s_waitcnt lgkmcnt(0)
	v_add3_u32 v2, v2, v4, v5
	global_atomic_add v6, v2, s[10:11]
	ds_read2_b32 v[2:3], v7 offset1:1
	ds_read2_b32 v[4:5], v0 offset1:1
	v_or_b32_e32 v1, 0x1c00, v1
	s_waitcnt lgkmcnt(1)
	v_add_u32_e32 v0, v3, v2
	s_waitcnt lgkmcnt(0)
	v_add3_u32 v0, v0, v4, v5
	global_atomic_add v1, v0, s[10:11]
.LBB1519_411:
	s_endpgm
	.section	.rodata,"a",@progbits
	.p2align	6, 0x0
	.amdhsa_kernel _ZN7rocprim17ROCPRIM_400000_NS6detail17trampoline_kernelINS0_14default_configENS1_35radix_sort_onesweep_config_selectorIxNS0_10empty_typeEEEZNS1_34radix_sort_onesweep_global_offsetsIS3_Lb0EN6thrust23THRUST_200600_302600_NS6detail15normal_iteratorINS9_10device_ptrIxEEEEPS5_jNS0_19identity_decomposerEEE10hipError_tT1_T2_PT3_SK_jT4_jjP12ihipStream_tbEUlT_E_NS1_11comp_targetILNS1_3genE4ELNS1_11target_archE910ELNS1_3gpuE8ELNS1_3repE0EEENS1_52radix_sort_onesweep_histogram_config_static_selectorELNS0_4arch9wavefront6targetE1EEEvSI_
		.amdhsa_group_segment_fixed_size 32768
		.amdhsa_private_segment_fixed_size 0
		.amdhsa_kernarg_size 40
		.amdhsa_user_sgpr_count 6
		.amdhsa_user_sgpr_private_segment_buffer 1
		.amdhsa_user_sgpr_dispatch_ptr 0
		.amdhsa_user_sgpr_queue_ptr 0
		.amdhsa_user_sgpr_kernarg_segment_ptr 1
		.amdhsa_user_sgpr_dispatch_id 0
		.amdhsa_user_sgpr_flat_scratch_init 0
		.amdhsa_user_sgpr_kernarg_preload_length 0
		.amdhsa_user_sgpr_kernarg_preload_offset 0
		.amdhsa_user_sgpr_private_segment_size 0
		.amdhsa_uses_dynamic_stack 0
		.amdhsa_system_sgpr_private_segment_wavefront_offset 0
		.amdhsa_system_sgpr_workgroup_id_x 1
		.amdhsa_system_sgpr_workgroup_id_y 0
		.amdhsa_system_sgpr_workgroup_id_z 0
		.amdhsa_system_sgpr_workgroup_info 0
		.amdhsa_system_vgpr_workitem_id 0
		.amdhsa_next_free_vgpr 30
		.amdhsa_next_free_sgpr 19
		.amdhsa_accum_offset 32
		.amdhsa_reserve_vcc 1
		.amdhsa_reserve_flat_scratch 0
		.amdhsa_float_round_mode_32 0
		.amdhsa_float_round_mode_16_64 0
		.amdhsa_float_denorm_mode_32 3
		.amdhsa_float_denorm_mode_16_64 3
		.amdhsa_dx10_clamp 1
		.amdhsa_ieee_mode 1
		.amdhsa_fp16_overflow 0
		.amdhsa_tg_split 0
		.amdhsa_exception_fp_ieee_invalid_op 0
		.amdhsa_exception_fp_denorm_src 0
		.amdhsa_exception_fp_ieee_div_zero 0
		.amdhsa_exception_fp_ieee_overflow 0
		.amdhsa_exception_fp_ieee_underflow 0
		.amdhsa_exception_fp_ieee_inexact 0
		.amdhsa_exception_int_div_zero 0
	.end_amdhsa_kernel
	.section	.text._ZN7rocprim17ROCPRIM_400000_NS6detail17trampoline_kernelINS0_14default_configENS1_35radix_sort_onesweep_config_selectorIxNS0_10empty_typeEEEZNS1_34radix_sort_onesweep_global_offsetsIS3_Lb0EN6thrust23THRUST_200600_302600_NS6detail15normal_iteratorINS9_10device_ptrIxEEEEPS5_jNS0_19identity_decomposerEEE10hipError_tT1_T2_PT3_SK_jT4_jjP12ihipStream_tbEUlT_E_NS1_11comp_targetILNS1_3genE4ELNS1_11target_archE910ELNS1_3gpuE8ELNS1_3repE0EEENS1_52radix_sort_onesweep_histogram_config_static_selectorELNS0_4arch9wavefront6targetE1EEEvSI_,"axG",@progbits,_ZN7rocprim17ROCPRIM_400000_NS6detail17trampoline_kernelINS0_14default_configENS1_35radix_sort_onesweep_config_selectorIxNS0_10empty_typeEEEZNS1_34radix_sort_onesweep_global_offsetsIS3_Lb0EN6thrust23THRUST_200600_302600_NS6detail15normal_iteratorINS9_10device_ptrIxEEEEPS5_jNS0_19identity_decomposerEEE10hipError_tT1_T2_PT3_SK_jT4_jjP12ihipStream_tbEUlT_E_NS1_11comp_targetILNS1_3genE4ELNS1_11target_archE910ELNS1_3gpuE8ELNS1_3repE0EEENS1_52radix_sort_onesweep_histogram_config_static_selectorELNS0_4arch9wavefront6targetE1EEEvSI_,comdat
.Lfunc_end1519:
	.size	_ZN7rocprim17ROCPRIM_400000_NS6detail17trampoline_kernelINS0_14default_configENS1_35radix_sort_onesweep_config_selectorIxNS0_10empty_typeEEEZNS1_34radix_sort_onesweep_global_offsetsIS3_Lb0EN6thrust23THRUST_200600_302600_NS6detail15normal_iteratorINS9_10device_ptrIxEEEEPS5_jNS0_19identity_decomposerEEE10hipError_tT1_T2_PT3_SK_jT4_jjP12ihipStream_tbEUlT_E_NS1_11comp_targetILNS1_3genE4ELNS1_11target_archE910ELNS1_3gpuE8ELNS1_3repE0EEENS1_52radix_sort_onesweep_histogram_config_static_selectorELNS0_4arch9wavefront6targetE1EEEvSI_, .Lfunc_end1519-_ZN7rocprim17ROCPRIM_400000_NS6detail17trampoline_kernelINS0_14default_configENS1_35radix_sort_onesweep_config_selectorIxNS0_10empty_typeEEEZNS1_34radix_sort_onesweep_global_offsetsIS3_Lb0EN6thrust23THRUST_200600_302600_NS6detail15normal_iteratorINS9_10device_ptrIxEEEEPS5_jNS0_19identity_decomposerEEE10hipError_tT1_T2_PT3_SK_jT4_jjP12ihipStream_tbEUlT_E_NS1_11comp_targetILNS1_3genE4ELNS1_11target_archE910ELNS1_3gpuE8ELNS1_3repE0EEENS1_52radix_sort_onesweep_histogram_config_static_selectorELNS0_4arch9wavefront6targetE1EEEvSI_
                                        ; -- End function
	.section	.AMDGPU.csdata,"",@progbits
; Kernel info:
; codeLenInByte = 15220
; NumSgprs: 23
; NumVgprs: 30
; NumAgprs: 0
; TotalNumVgprs: 30
; ScratchSize: 0
; MemoryBound: 0
; FloatMode: 240
; IeeeMode: 1
; LDSByteSize: 32768 bytes/workgroup (compile time only)
; SGPRBlocks: 2
; VGPRBlocks: 3
; NumSGPRsForWavesPerEU: 23
; NumVGPRsForWavesPerEU: 30
; AccumOffset: 32
; Occupancy: 8
; WaveLimiterHint : 1
; COMPUTE_PGM_RSRC2:SCRATCH_EN: 0
; COMPUTE_PGM_RSRC2:USER_SGPR: 6
; COMPUTE_PGM_RSRC2:TRAP_HANDLER: 0
; COMPUTE_PGM_RSRC2:TGID_X_EN: 1
; COMPUTE_PGM_RSRC2:TGID_Y_EN: 0
; COMPUTE_PGM_RSRC2:TGID_Z_EN: 0
; COMPUTE_PGM_RSRC2:TIDIG_COMP_CNT: 0
; COMPUTE_PGM_RSRC3_GFX90A:ACCUM_OFFSET: 7
; COMPUTE_PGM_RSRC3_GFX90A:TG_SPLIT: 0
	.section	.text._ZN7rocprim17ROCPRIM_400000_NS6detail17trampoline_kernelINS0_14default_configENS1_35radix_sort_onesweep_config_selectorIxNS0_10empty_typeEEEZNS1_34radix_sort_onesweep_global_offsetsIS3_Lb0EN6thrust23THRUST_200600_302600_NS6detail15normal_iteratorINS9_10device_ptrIxEEEEPS5_jNS0_19identity_decomposerEEE10hipError_tT1_T2_PT3_SK_jT4_jjP12ihipStream_tbEUlT_E_NS1_11comp_targetILNS1_3genE3ELNS1_11target_archE908ELNS1_3gpuE7ELNS1_3repE0EEENS1_52radix_sort_onesweep_histogram_config_static_selectorELNS0_4arch9wavefront6targetE1EEEvSI_,"axG",@progbits,_ZN7rocprim17ROCPRIM_400000_NS6detail17trampoline_kernelINS0_14default_configENS1_35radix_sort_onesweep_config_selectorIxNS0_10empty_typeEEEZNS1_34radix_sort_onesweep_global_offsetsIS3_Lb0EN6thrust23THRUST_200600_302600_NS6detail15normal_iteratorINS9_10device_ptrIxEEEEPS5_jNS0_19identity_decomposerEEE10hipError_tT1_T2_PT3_SK_jT4_jjP12ihipStream_tbEUlT_E_NS1_11comp_targetILNS1_3genE3ELNS1_11target_archE908ELNS1_3gpuE7ELNS1_3repE0EEENS1_52radix_sort_onesweep_histogram_config_static_selectorELNS0_4arch9wavefront6targetE1EEEvSI_,comdat
	.protected	_ZN7rocprim17ROCPRIM_400000_NS6detail17trampoline_kernelINS0_14default_configENS1_35radix_sort_onesweep_config_selectorIxNS0_10empty_typeEEEZNS1_34radix_sort_onesweep_global_offsetsIS3_Lb0EN6thrust23THRUST_200600_302600_NS6detail15normal_iteratorINS9_10device_ptrIxEEEEPS5_jNS0_19identity_decomposerEEE10hipError_tT1_T2_PT3_SK_jT4_jjP12ihipStream_tbEUlT_E_NS1_11comp_targetILNS1_3genE3ELNS1_11target_archE908ELNS1_3gpuE7ELNS1_3repE0EEENS1_52radix_sort_onesweep_histogram_config_static_selectorELNS0_4arch9wavefront6targetE1EEEvSI_ ; -- Begin function _ZN7rocprim17ROCPRIM_400000_NS6detail17trampoline_kernelINS0_14default_configENS1_35radix_sort_onesweep_config_selectorIxNS0_10empty_typeEEEZNS1_34radix_sort_onesweep_global_offsetsIS3_Lb0EN6thrust23THRUST_200600_302600_NS6detail15normal_iteratorINS9_10device_ptrIxEEEEPS5_jNS0_19identity_decomposerEEE10hipError_tT1_T2_PT3_SK_jT4_jjP12ihipStream_tbEUlT_E_NS1_11comp_targetILNS1_3genE3ELNS1_11target_archE908ELNS1_3gpuE7ELNS1_3repE0EEENS1_52radix_sort_onesweep_histogram_config_static_selectorELNS0_4arch9wavefront6targetE1EEEvSI_
	.globl	_ZN7rocprim17ROCPRIM_400000_NS6detail17trampoline_kernelINS0_14default_configENS1_35radix_sort_onesweep_config_selectorIxNS0_10empty_typeEEEZNS1_34radix_sort_onesweep_global_offsetsIS3_Lb0EN6thrust23THRUST_200600_302600_NS6detail15normal_iteratorINS9_10device_ptrIxEEEEPS5_jNS0_19identity_decomposerEEE10hipError_tT1_T2_PT3_SK_jT4_jjP12ihipStream_tbEUlT_E_NS1_11comp_targetILNS1_3genE3ELNS1_11target_archE908ELNS1_3gpuE7ELNS1_3repE0EEENS1_52radix_sort_onesweep_histogram_config_static_selectorELNS0_4arch9wavefront6targetE1EEEvSI_
	.p2align	8
	.type	_ZN7rocprim17ROCPRIM_400000_NS6detail17trampoline_kernelINS0_14default_configENS1_35radix_sort_onesweep_config_selectorIxNS0_10empty_typeEEEZNS1_34radix_sort_onesweep_global_offsetsIS3_Lb0EN6thrust23THRUST_200600_302600_NS6detail15normal_iteratorINS9_10device_ptrIxEEEEPS5_jNS0_19identity_decomposerEEE10hipError_tT1_T2_PT3_SK_jT4_jjP12ihipStream_tbEUlT_E_NS1_11comp_targetILNS1_3genE3ELNS1_11target_archE908ELNS1_3gpuE7ELNS1_3repE0EEENS1_52radix_sort_onesweep_histogram_config_static_selectorELNS0_4arch9wavefront6targetE1EEEvSI_,@function
_ZN7rocprim17ROCPRIM_400000_NS6detail17trampoline_kernelINS0_14default_configENS1_35radix_sort_onesweep_config_selectorIxNS0_10empty_typeEEEZNS1_34radix_sort_onesweep_global_offsetsIS3_Lb0EN6thrust23THRUST_200600_302600_NS6detail15normal_iteratorINS9_10device_ptrIxEEEEPS5_jNS0_19identity_decomposerEEE10hipError_tT1_T2_PT3_SK_jT4_jjP12ihipStream_tbEUlT_E_NS1_11comp_targetILNS1_3genE3ELNS1_11target_archE908ELNS1_3gpuE7ELNS1_3repE0EEENS1_52radix_sort_onesweep_histogram_config_static_selectorELNS0_4arch9wavefront6targetE1EEEvSI_: ; @_ZN7rocprim17ROCPRIM_400000_NS6detail17trampoline_kernelINS0_14default_configENS1_35radix_sort_onesweep_config_selectorIxNS0_10empty_typeEEEZNS1_34radix_sort_onesweep_global_offsetsIS3_Lb0EN6thrust23THRUST_200600_302600_NS6detail15normal_iteratorINS9_10device_ptrIxEEEEPS5_jNS0_19identity_decomposerEEE10hipError_tT1_T2_PT3_SK_jT4_jjP12ihipStream_tbEUlT_E_NS1_11comp_targetILNS1_3genE3ELNS1_11target_archE908ELNS1_3gpuE7ELNS1_3repE0EEENS1_52radix_sort_onesweep_histogram_config_static_selectorELNS0_4arch9wavefront6targetE1EEEvSI_
; %bb.0:
	.section	.rodata,"a",@progbits
	.p2align	6, 0x0
	.amdhsa_kernel _ZN7rocprim17ROCPRIM_400000_NS6detail17trampoline_kernelINS0_14default_configENS1_35radix_sort_onesweep_config_selectorIxNS0_10empty_typeEEEZNS1_34radix_sort_onesweep_global_offsetsIS3_Lb0EN6thrust23THRUST_200600_302600_NS6detail15normal_iteratorINS9_10device_ptrIxEEEEPS5_jNS0_19identity_decomposerEEE10hipError_tT1_T2_PT3_SK_jT4_jjP12ihipStream_tbEUlT_E_NS1_11comp_targetILNS1_3genE3ELNS1_11target_archE908ELNS1_3gpuE7ELNS1_3repE0EEENS1_52radix_sort_onesweep_histogram_config_static_selectorELNS0_4arch9wavefront6targetE1EEEvSI_
		.amdhsa_group_segment_fixed_size 0
		.amdhsa_private_segment_fixed_size 0
		.amdhsa_kernarg_size 40
		.amdhsa_user_sgpr_count 6
		.amdhsa_user_sgpr_private_segment_buffer 1
		.amdhsa_user_sgpr_dispatch_ptr 0
		.amdhsa_user_sgpr_queue_ptr 0
		.amdhsa_user_sgpr_kernarg_segment_ptr 1
		.amdhsa_user_sgpr_dispatch_id 0
		.amdhsa_user_sgpr_flat_scratch_init 0
		.amdhsa_user_sgpr_kernarg_preload_length 0
		.amdhsa_user_sgpr_kernarg_preload_offset 0
		.amdhsa_user_sgpr_private_segment_size 0
		.amdhsa_uses_dynamic_stack 0
		.amdhsa_system_sgpr_private_segment_wavefront_offset 0
		.amdhsa_system_sgpr_workgroup_id_x 1
		.amdhsa_system_sgpr_workgroup_id_y 0
		.amdhsa_system_sgpr_workgroup_id_z 0
		.amdhsa_system_sgpr_workgroup_info 0
		.amdhsa_system_vgpr_workitem_id 0
		.amdhsa_next_free_vgpr 1
		.amdhsa_next_free_sgpr 0
		.amdhsa_accum_offset 4
		.amdhsa_reserve_vcc 0
		.amdhsa_reserve_flat_scratch 0
		.amdhsa_float_round_mode_32 0
		.amdhsa_float_round_mode_16_64 0
		.amdhsa_float_denorm_mode_32 3
		.amdhsa_float_denorm_mode_16_64 3
		.amdhsa_dx10_clamp 1
		.amdhsa_ieee_mode 1
		.amdhsa_fp16_overflow 0
		.amdhsa_tg_split 0
		.amdhsa_exception_fp_ieee_invalid_op 0
		.amdhsa_exception_fp_denorm_src 0
		.amdhsa_exception_fp_ieee_div_zero 0
		.amdhsa_exception_fp_ieee_overflow 0
		.amdhsa_exception_fp_ieee_underflow 0
		.amdhsa_exception_fp_ieee_inexact 0
		.amdhsa_exception_int_div_zero 0
	.end_amdhsa_kernel
	.section	.text._ZN7rocprim17ROCPRIM_400000_NS6detail17trampoline_kernelINS0_14default_configENS1_35radix_sort_onesweep_config_selectorIxNS0_10empty_typeEEEZNS1_34radix_sort_onesweep_global_offsetsIS3_Lb0EN6thrust23THRUST_200600_302600_NS6detail15normal_iteratorINS9_10device_ptrIxEEEEPS5_jNS0_19identity_decomposerEEE10hipError_tT1_T2_PT3_SK_jT4_jjP12ihipStream_tbEUlT_E_NS1_11comp_targetILNS1_3genE3ELNS1_11target_archE908ELNS1_3gpuE7ELNS1_3repE0EEENS1_52radix_sort_onesweep_histogram_config_static_selectorELNS0_4arch9wavefront6targetE1EEEvSI_,"axG",@progbits,_ZN7rocprim17ROCPRIM_400000_NS6detail17trampoline_kernelINS0_14default_configENS1_35radix_sort_onesweep_config_selectorIxNS0_10empty_typeEEEZNS1_34radix_sort_onesweep_global_offsetsIS3_Lb0EN6thrust23THRUST_200600_302600_NS6detail15normal_iteratorINS9_10device_ptrIxEEEEPS5_jNS0_19identity_decomposerEEE10hipError_tT1_T2_PT3_SK_jT4_jjP12ihipStream_tbEUlT_E_NS1_11comp_targetILNS1_3genE3ELNS1_11target_archE908ELNS1_3gpuE7ELNS1_3repE0EEENS1_52radix_sort_onesweep_histogram_config_static_selectorELNS0_4arch9wavefront6targetE1EEEvSI_,comdat
.Lfunc_end1520:
	.size	_ZN7rocprim17ROCPRIM_400000_NS6detail17trampoline_kernelINS0_14default_configENS1_35radix_sort_onesweep_config_selectorIxNS0_10empty_typeEEEZNS1_34radix_sort_onesweep_global_offsetsIS3_Lb0EN6thrust23THRUST_200600_302600_NS6detail15normal_iteratorINS9_10device_ptrIxEEEEPS5_jNS0_19identity_decomposerEEE10hipError_tT1_T2_PT3_SK_jT4_jjP12ihipStream_tbEUlT_E_NS1_11comp_targetILNS1_3genE3ELNS1_11target_archE908ELNS1_3gpuE7ELNS1_3repE0EEENS1_52radix_sort_onesweep_histogram_config_static_selectorELNS0_4arch9wavefront6targetE1EEEvSI_, .Lfunc_end1520-_ZN7rocprim17ROCPRIM_400000_NS6detail17trampoline_kernelINS0_14default_configENS1_35radix_sort_onesweep_config_selectorIxNS0_10empty_typeEEEZNS1_34radix_sort_onesweep_global_offsetsIS3_Lb0EN6thrust23THRUST_200600_302600_NS6detail15normal_iteratorINS9_10device_ptrIxEEEEPS5_jNS0_19identity_decomposerEEE10hipError_tT1_T2_PT3_SK_jT4_jjP12ihipStream_tbEUlT_E_NS1_11comp_targetILNS1_3genE3ELNS1_11target_archE908ELNS1_3gpuE7ELNS1_3repE0EEENS1_52radix_sort_onesweep_histogram_config_static_selectorELNS0_4arch9wavefront6targetE1EEEvSI_
                                        ; -- End function
	.section	.AMDGPU.csdata,"",@progbits
; Kernel info:
; codeLenInByte = 0
; NumSgprs: 4
; NumVgprs: 0
; NumAgprs: 0
; TotalNumVgprs: 0
; ScratchSize: 0
; MemoryBound: 0
; FloatMode: 240
; IeeeMode: 1
; LDSByteSize: 0 bytes/workgroup (compile time only)
; SGPRBlocks: 0
; VGPRBlocks: 0
; NumSGPRsForWavesPerEU: 4
; NumVGPRsForWavesPerEU: 1
; AccumOffset: 4
; Occupancy: 8
; WaveLimiterHint : 0
; COMPUTE_PGM_RSRC2:SCRATCH_EN: 0
; COMPUTE_PGM_RSRC2:USER_SGPR: 6
; COMPUTE_PGM_RSRC2:TRAP_HANDLER: 0
; COMPUTE_PGM_RSRC2:TGID_X_EN: 1
; COMPUTE_PGM_RSRC2:TGID_Y_EN: 0
; COMPUTE_PGM_RSRC2:TGID_Z_EN: 0
; COMPUTE_PGM_RSRC2:TIDIG_COMP_CNT: 0
; COMPUTE_PGM_RSRC3_GFX90A:ACCUM_OFFSET: 0
; COMPUTE_PGM_RSRC3_GFX90A:TG_SPLIT: 0
	.section	.text._ZN7rocprim17ROCPRIM_400000_NS6detail17trampoline_kernelINS0_14default_configENS1_35radix_sort_onesweep_config_selectorIxNS0_10empty_typeEEEZNS1_34radix_sort_onesweep_global_offsetsIS3_Lb0EN6thrust23THRUST_200600_302600_NS6detail15normal_iteratorINS9_10device_ptrIxEEEEPS5_jNS0_19identity_decomposerEEE10hipError_tT1_T2_PT3_SK_jT4_jjP12ihipStream_tbEUlT_E_NS1_11comp_targetILNS1_3genE10ELNS1_11target_archE1201ELNS1_3gpuE5ELNS1_3repE0EEENS1_52radix_sort_onesweep_histogram_config_static_selectorELNS0_4arch9wavefront6targetE1EEEvSI_,"axG",@progbits,_ZN7rocprim17ROCPRIM_400000_NS6detail17trampoline_kernelINS0_14default_configENS1_35radix_sort_onesweep_config_selectorIxNS0_10empty_typeEEEZNS1_34radix_sort_onesweep_global_offsetsIS3_Lb0EN6thrust23THRUST_200600_302600_NS6detail15normal_iteratorINS9_10device_ptrIxEEEEPS5_jNS0_19identity_decomposerEEE10hipError_tT1_T2_PT3_SK_jT4_jjP12ihipStream_tbEUlT_E_NS1_11comp_targetILNS1_3genE10ELNS1_11target_archE1201ELNS1_3gpuE5ELNS1_3repE0EEENS1_52radix_sort_onesweep_histogram_config_static_selectorELNS0_4arch9wavefront6targetE1EEEvSI_,comdat
	.protected	_ZN7rocprim17ROCPRIM_400000_NS6detail17trampoline_kernelINS0_14default_configENS1_35radix_sort_onesweep_config_selectorIxNS0_10empty_typeEEEZNS1_34radix_sort_onesweep_global_offsetsIS3_Lb0EN6thrust23THRUST_200600_302600_NS6detail15normal_iteratorINS9_10device_ptrIxEEEEPS5_jNS0_19identity_decomposerEEE10hipError_tT1_T2_PT3_SK_jT4_jjP12ihipStream_tbEUlT_E_NS1_11comp_targetILNS1_3genE10ELNS1_11target_archE1201ELNS1_3gpuE5ELNS1_3repE0EEENS1_52radix_sort_onesweep_histogram_config_static_selectorELNS0_4arch9wavefront6targetE1EEEvSI_ ; -- Begin function _ZN7rocprim17ROCPRIM_400000_NS6detail17trampoline_kernelINS0_14default_configENS1_35radix_sort_onesweep_config_selectorIxNS0_10empty_typeEEEZNS1_34radix_sort_onesweep_global_offsetsIS3_Lb0EN6thrust23THRUST_200600_302600_NS6detail15normal_iteratorINS9_10device_ptrIxEEEEPS5_jNS0_19identity_decomposerEEE10hipError_tT1_T2_PT3_SK_jT4_jjP12ihipStream_tbEUlT_E_NS1_11comp_targetILNS1_3genE10ELNS1_11target_archE1201ELNS1_3gpuE5ELNS1_3repE0EEENS1_52radix_sort_onesweep_histogram_config_static_selectorELNS0_4arch9wavefront6targetE1EEEvSI_
	.globl	_ZN7rocprim17ROCPRIM_400000_NS6detail17trampoline_kernelINS0_14default_configENS1_35radix_sort_onesweep_config_selectorIxNS0_10empty_typeEEEZNS1_34radix_sort_onesweep_global_offsetsIS3_Lb0EN6thrust23THRUST_200600_302600_NS6detail15normal_iteratorINS9_10device_ptrIxEEEEPS5_jNS0_19identity_decomposerEEE10hipError_tT1_T2_PT3_SK_jT4_jjP12ihipStream_tbEUlT_E_NS1_11comp_targetILNS1_3genE10ELNS1_11target_archE1201ELNS1_3gpuE5ELNS1_3repE0EEENS1_52radix_sort_onesweep_histogram_config_static_selectorELNS0_4arch9wavefront6targetE1EEEvSI_
	.p2align	8
	.type	_ZN7rocprim17ROCPRIM_400000_NS6detail17trampoline_kernelINS0_14default_configENS1_35radix_sort_onesweep_config_selectorIxNS0_10empty_typeEEEZNS1_34radix_sort_onesweep_global_offsetsIS3_Lb0EN6thrust23THRUST_200600_302600_NS6detail15normal_iteratorINS9_10device_ptrIxEEEEPS5_jNS0_19identity_decomposerEEE10hipError_tT1_T2_PT3_SK_jT4_jjP12ihipStream_tbEUlT_E_NS1_11comp_targetILNS1_3genE10ELNS1_11target_archE1201ELNS1_3gpuE5ELNS1_3repE0EEENS1_52radix_sort_onesweep_histogram_config_static_selectorELNS0_4arch9wavefront6targetE1EEEvSI_,@function
_ZN7rocprim17ROCPRIM_400000_NS6detail17trampoline_kernelINS0_14default_configENS1_35radix_sort_onesweep_config_selectorIxNS0_10empty_typeEEEZNS1_34radix_sort_onesweep_global_offsetsIS3_Lb0EN6thrust23THRUST_200600_302600_NS6detail15normal_iteratorINS9_10device_ptrIxEEEEPS5_jNS0_19identity_decomposerEEE10hipError_tT1_T2_PT3_SK_jT4_jjP12ihipStream_tbEUlT_E_NS1_11comp_targetILNS1_3genE10ELNS1_11target_archE1201ELNS1_3gpuE5ELNS1_3repE0EEENS1_52radix_sort_onesweep_histogram_config_static_selectorELNS0_4arch9wavefront6targetE1EEEvSI_: ; @_ZN7rocprim17ROCPRIM_400000_NS6detail17trampoline_kernelINS0_14default_configENS1_35radix_sort_onesweep_config_selectorIxNS0_10empty_typeEEEZNS1_34radix_sort_onesweep_global_offsetsIS3_Lb0EN6thrust23THRUST_200600_302600_NS6detail15normal_iteratorINS9_10device_ptrIxEEEEPS5_jNS0_19identity_decomposerEEE10hipError_tT1_T2_PT3_SK_jT4_jjP12ihipStream_tbEUlT_E_NS1_11comp_targetILNS1_3genE10ELNS1_11target_archE1201ELNS1_3gpuE5ELNS1_3repE0EEENS1_52radix_sort_onesweep_histogram_config_static_selectorELNS0_4arch9wavefront6targetE1EEEvSI_
; %bb.0:
	.section	.rodata,"a",@progbits
	.p2align	6, 0x0
	.amdhsa_kernel _ZN7rocprim17ROCPRIM_400000_NS6detail17trampoline_kernelINS0_14default_configENS1_35radix_sort_onesweep_config_selectorIxNS0_10empty_typeEEEZNS1_34radix_sort_onesweep_global_offsetsIS3_Lb0EN6thrust23THRUST_200600_302600_NS6detail15normal_iteratorINS9_10device_ptrIxEEEEPS5_jNS0_19identity_decomposerEEE10hipError_tT1_T2_PT3_SK_jT4_jjP12ihipStream_tbEUlT_E_NS1_11comp_targetILNS1_3genE10ELNS1_11target_archE1201ELNS1_3gpuE5ELNS1_3repE0EEENS1_52radix_sort_onesweep_histogram_config_static_selectorELNS0_4arch9wavefront6targetE1EEEvSI_
		.amdhsa_group_segment_fixed_size 0
		.amdhsa_private_segment_fixed_size 0
		.amdhsa_kernarg_size 40
		.amdhsa_user_sgpr_count 6
		.amdhsa_user_sgpr_private_segment_buffer 1
		.amdhsa_user_sgpr_dispatch_ptr 0
		.amdhsa_user_sgpr_queue_ptr 0
		.amdhsa_user_sgpr_kernarg_segment_ptr 1
		.amdhsa_user_sgpr_dispatch_id 0
		.amdhsa_user_sgpr_flat_scratch_init 0
		.amdhsa_user_sgpr_kernarg_preload_length 0
		.amdhsa_user_sgpr_kernarg_preload_offset 0
		.amdhsa_user_sgpr_private_segment_size 0
		.amdhsa_uses_dynamic_stack 0
		.amdhsa_system_sgpr_private_segment_wavefront_offset 0
		.amdhsa_system_sgpr_workgroup_id_x 1
		.amdhsa_system_sgpr_workgroup_id_y 0
		.amdhsa_system_sgpr_workgroup_id_z 0
		.amdhsa_system_sgpr_workgroup_info 0
		.amdhsa_system_vgpr_workitem_id 0
		.amdhsa_next_free_vgpr 1
		.amdhsa_next_free_sgpr 0
		.amdhsa_accum_offset 4
		.amdhsa_reserve_vcc 0
		.amdhsa_reserve_flat_scratch 0
		.amdhsa_float_round_mode_32 0
		.amdhsa_float_round_mode_16_64 0
		.amdhsa_float_denorm_mode_32 3
		.amdhsa_float_denorm_mode_16_64 3
		.amdhsa_dx10_clamp 1
		.amdhsa_ieee_mode 1
		.amdhsa_fp16_overflow 0
		.amdhsa_tg_split 0
		.amdhsa_exception_fp_ieee_invalid_op 0
		.amdhsa_exception_fp_denorm_src 0
		.amdhsa_exception_fp_ieee_div_zero 0
		.amdhsa_exception_fp_ieee_overflow 0
		.amdhsa_exception_fp_ieee_underflow 0
		.amdhsa_exception_fp_ieee_inexact 0
		.amdhsa_exception_int_div_zero 0
	.end_amdhsa_kernel
	.section	.text._ZN7rocprim17ROCPRIM_400000_NS6detail17trampoline_kernelINS0_14default_configENS1_35radix_sort_onesweep_config_selectorIxNS0_10empty_typeEEEZNS1_34radix_sort_onesweep_global_offsetsIS3_Lb0EN6thrust23THRUST_200600_302600_NS6detail15normal_iteratorINS9_10device_ptrIxEEEEPS5_jNS0_19identity_decomposerEEE10hipError_tT1_T2_PT3_SK_jT4_jjP12ihipStream_tbEUlT_E_NS1_11comp_targetILNS1_3genE10ELNS1_11target_archE1201ELNS1_3gpuE5ELNS1_3repE0EEENS1_52radix_sort_onesweep_histogram_config_static_selectorELNS0_4arch9wavefront6targetE1EEEvSI_,"axG",@progbits,_ZN7rocprim17ROCPRIM_400000_NS6detail17trampoline_kernelINS0_14default_configENS1_35radix_sort_onesweep_config_selectorIxNS0_10empty_typeEEEZNS1_34radix_sort_onesweep_global_offsetsIS3_Lb0EN6thrust23THRUST_200600_302600_NS6detail15normal_iteratorINS9_10device_ptrIxEEEEPS5_jNS0_19identity_decomposerEEE10hipError_tT1_T2_PT3_SK_jT4_jjP12ihipStream_tbEUlT_E_NS1_11comp_targetILNS1_3genE10ELNS1_11target_archE1201ELNS1_3gpuE5ELNS1_3repE0EEENS1_52radix_sort_onesweep_histogram_config_static_selectorELNS0_4arch9wavefront6targetE1EEEvSI_,comdat
.Lfunc_end1521:
	.size	_ZN7rocprim17ROCPRIM_400000_NS6detail17trampoline_kernelINS0_14default_configENS1_35radix_sort_onesweep_config_selectorIxNS0_10empty_typeEEEZNS1_34radix_sort_onesweep_global_offsetsIS3_Lb0EN6thrust23THRUST_200600_302600_NS6detail15normal_iteratorINS9_10device_ptrIxEEEEPS5_jNS0_19identity_decomposerEEE10hipError_tT1_T2_PT3_SK_jT4_jjP12ihipStream_tbEUlT_E_NS1_11comp_targetILNS1_3genE10ELNS1_11target_archE1201ELNS1_3gpuE5ELNS1_3repE0EEENS1_52radix_sort_onesweep_histogram_config_static_selectorELNS0_4arch9wavefront6targetE1EEEvSI_, .Lfunc_end1521-_ZN7rocprim17ROCPRIM_400000_NS6detail17trampoline_kernelINS0_14default_configENS1_35radix_sort_onesweep_config_selectorIxNS0_10empty_typeEEEZNS1_34radix_sort_onesweep_global_offsetsIS3_Lb0EN6thrust23THRUST_200600_302600_NS6detail15normal_iteratorINS9_10device_ptrIxEEEEPS5_jNS0_19identity_decomposerEEE10hipError_tT1_T2_PT3_SK_jT4_jjP12ihipStream_tbEUlT_E_NS1_11comp_targetILNS1_3genE10ELNS1_11target_archE1201ELNS1_3gpuE5ELNS1_3repE0EEENS1_52radix_sort_onesweep_histogram_config_static_selectorELNS0_4arch9wavefront6targetE1EEEvSI_
                                        ; -- End function
	.section	.AMDGPU.csdata,"",@progbits
; Kernel info:
; codeLenInByte = 0
; NumSgprs: 4
; NumVgprs: 0
; NumAgprs: 0
; TotalNumVgprs: 0
; ScratchSize: 0
; MemoryBound: 0
; FloatMode: 240
; IeeeMode: 1
; LDSByteSize: 0 bytes/workgroup (compile time only)
; SGPRBlocks: 0
; VGPRBlocks: 0
; NumSGPRsForWavesPerEU: 4
; NumVGPRsForWavesPerEU: 1
; AccumOffset: 4
; Occupancy: 8
; WaveLimiterHint : 0
; COMPUTE_PGM_RSRC2:SCRATCH_EN: 0
; COMPUTE_PGM_RSRC2:USER_SGPR: 6
; COMPUTE_PGM_RSRC2:TRAP_HANDLER: 0
; COMPUTE_PGM_RSRC2:TGID_X_EN: 1
; COMPUTE_PGM_RSRC2:TGID_Y_EN: 0
; COMPUTE_PGM_RSRC2:TGID_Z_EN: 0
; COMPUTE_PGM_RSRC2:TIDIG_COMP_CNT: 0
; COMPUTE_PGM_RSRC3_GFX90A:ACCUM_OFFSET: 0
; COMPUTE_PGM_RSRC3_GFX90A:TG_SPLIT: 0
	.section	.text._ZN7rocprim17ROCPRIM_400000_NS6detail17trampoline_kernelINS0_14default_configENS1_35radix_sort_onesweep_config_selectorIxNS0_10empty_typeEEEZNS1_34radix_sort_onesweep_global_offsetsIS3_Lb0EN6thrust23THRUST_200600_302600_NS6detail15normal_iteratorINS9_10device_ptrIxEEEEPS5_jNS0_19identity_decomposerEEE10hipError_tT1_T2_PT3_SK_jT4_jjP12ihipStream_tbEUlT_E_NS1_11comp_targetILNS1_3genE9ELNS1_11target_archE1100ELNS1_3gpuE3ELNS1_3repE0EEENS1_52radix_sort_onesweep_histogram_config_static_selectorELNS0_4arch9wavefront6targetE1EEEvSI_,"axG",@progbits,_ZN7rocprim17ROCPRIM_400000_NS6detail17trampoline_kernelINS0_14default_configENS1_35radix_sort_onesweep_config_selectorIxNS0_10empty_typeEEEZNS1_34radix_sort_onesweep_global_offsetsIS3_Lb0EN6thrust23THRUST_200600_302600_NS6detail15normal_iteratorINS9_10device_ptrIxEEEEPS5_jNS0_19identity_decomposerEEE10hipError_tT1_T2_PT3_SK_jT4_jjP12ihipStream_tbEUlT_E_NS1_11comp_targetILNS1_3genE9ELNS1_11target_archE1100ELNS1_3gpuE3ELNS1_3repE0EEENS1_52radix_sort_onesweep_histogram_config_static_selectorELNS0_4arch9wavefront6targetE1EEEvSI_,comdat
	.protected	_ZN7rocprim17ROCPRIM_400000_NS6detail17trampoline_kernelINS0_14default_configENS1_35radix_sort_onesweep_config_selectorIxNS0_10empty_typeEEEZNS1_34radix_sort_onesweep_global_offsetsIS3_Lb0EN6thrust23THRUST_200600_302600_NS6detail15normal_iteratorINS9_10device_ptrIxEEEEPS5_jNS0_19identity_decomposerEEE10hipError_tT1_T2_PT3_SK_jT4_jjP12ihipStream_tbEUlT_E_NS1_11comp_targetILNS1_3genE9ELNS1_11target_archE1100ELNS1_3gpuE3ELNS1_3repE0EEENS1_52radix_sort_onesweep_histogram_config_static_selectorELNS0_4arch9wavefront6targetE1EEEvSI_ ; -- Begin function _ZN7rocprim17ROCPRIM_400000_NS6detail17trampoline_kernelINS0_14default_configENS1_35radix_sort_onesweep_config_selectorIxNS0_10empty_typeEEEZNS1_34radix_sort_onesweep_global_offsetsIS3_Lb0EN6thrust23THRUST_200600_302600_NS6detail15normal_iteratorINS9_10device_ptrIxEEEEPS5_jNS0_19identity_decomposerEEE10hipError_tT1_T2_PT3_SK_jT4_jjP12ihipStream_tbEUlT_E_NS1_11comp_targetILNS1_3genE9ELNS1_11target_archE1100ELNS1_3gpuE3ELNS1_3repE0EEENS1_52radix_sort_onesweep_histogram_config_static_selectorELNS0_4arch9wavefront6targetE1EEEvSI_
	.globl	_ZN7rocprim17ROCPRIM_400000_NS6detail17trampoline_kernelINS0_14default_configENS1_35radix_sort_onesweep_config_selectorIxNS0_10empty_typeEEEZNS1_34radix_sort_onesweep_global_offsetsIS3_Lb0EN6thrust23THRUST_200600_302600_NS6detail15normal_iteratorINS9_10device_ptrIxEEEEPS5_jNS0_19identity_decomposerEEE10hipError_tT1_T2_PT3_SK_jT4_jjP12ihipStream_tbEUlT_E_NS1_11comp_targetILNS1_3genE9ELNS1_11target_archE1100ELNS1_3gpuE3ELNS1_3repE0EEENS1_52radix_sort_onesweep_histogram_config_static_selectorELNS0_4arch9wavefront6targetE1EEEvSI_
	.p2align	8
	.type	_ZN7rocprim17ROCPRIM_400000_NS6detail17trampoline_kernelINS0_14default_configENS1_35radix_sort_onesweep_config_selectorIxNS0_10empty_typeEEEZNS1_34radix_sort_onesweep_global_offsetsIS3_Lb0EN6thrust23THRUST_200600_302600_NS6detail15normal_iteratorINS9_10device_ptrIxEEEEPS5_jNS0_19identity_decomposerEEE10hipError_tT1_T2_PT3_SK_jT4_jjP12ihipStream_tbEUlT_E_NS1_11comp_targetILNS1_3genE9ELNS1_11target_archE1100ELNS1_3gpuE3ELNS1_3repE0EEENS1_52radix_sort_onesweep_histogram_config_static_selectorELNS0_4arch9wavefront6targetE1EEEvSI_,@function
_ZN7rocprim17ROCPRIM_400000_NS6detail17trampoline_kernelINS0_14default_configENS1_35radix_sort_onesweep_config_selectorIxNS0_10empty_typeEEEZNS1_34radix_sort_onesweep_global_offsetsIS3_Lb0EN6thrust23THRUST_200600_302600_NS6detail15normal_iteratorINS9_10device_ptrIxEEEEPS5_jNS0_19identity_decomposerEEE10hipError_tT1_T2_PT3_SK_jT4_jjP12ihipStream_tbEUlT_E_NS1_11comp_targetILNS1_3genE9ELNS1_11target_archE1100ELNS1_3gpuE3ELNS1_3repE0EEENS1_52radix_sort_onesweep_histogram_config_static_selectorELNS0_4arch9wavefront6targetE1EEEvSI_: ; @_ZN7rocprim17ROCPRIM_400000_NS6detail17trampoline_kernelINS0_14default_configENS1_35radix_sort_onesweep_config_selectorIxNS0_10empty_typeEEEZNS1_34radix_sort_onesweep_global_offsetsIS3_Lb0EN6thrust23THRUST_200600_302600_NS6detail15normal_iteratorINS9_10device_ptrIxEEEEPS5_jNS0_19identity_decomposerEEE10hipError_tT1_T2_PT3_SK_jT4_jjP12ihipStream_tbEUlT_E_NS1_11comp_targetILNS1_3genE9ELNS1_11target_archE1100ELNS1_3gpuE3ELNS1_3repE0EEENS1_52radix_sort_onesweep_histogram_config_static_selectorELNS0_4arch9wavefront6targetE1EEEvSI_
; %bb.0:
	.section	.rodata,"a",@progbits
	.p2align	6, 0x0
	.amdhsa_kernel _ZN7rocprim17ROCPRIM_400000_NS6detail17trampoline_kernelINS0_14default_configENS1_35radix_sort_onesweep_config_selectorIxNS0_10empty_typeEEEZNS1_34radix_sort_onesweep_global_offsetsIS3_Lb0EN6thrust23THRUST_200600_302600_NS6detail15normal_iteratorINS9_10device_ptrIxEEEEPS5_jNS0_19identity_decomposerEEE10hipError_tT1_T2_PT3_SK_jT4_jjP12ihipStream_tbEUlT_E_NS1_11comp_targetILNS1_3genE9ELNS1_11target_archE1100ELNS1_3gpuE3ELNS1_3repE0EEENS1_52radix_sort_onesweep_histogram_config_static_selectorELNS0_4arch9wavefront6targetE1EEEvSI_
		.amdhsa_group_segment_fixed_size 0
		.amdhsa_private_segment_fixed_size 0
		.amdhsa_kernarg_size 40
		.amdhsa_user_sgpr_count 6
		.amdhsa_user_sgpr_private_segment_buffer 1
		.amdhsa_user_sgpr_dispatch_ptr 0
		.amdhsa_user_sgpr_queue_ptr 0
		.amdhsa_user_sgpr_kernarg_segment_ptr 1
		.amdhsa_user_sgpr_dispatch_id 0
		.amdhsa_user_sgpr_flat_scratch_init 0
		.amdhsa_user_sgpr_kernarg_preload_length 0
		.amdhsa_user_sgpr_kernarg_preload_offset 0
		.amdhsa_user_sgpr_private_segment_size 0
		.amdhsa_uses_dynamic_stack 0
		.amdhsa_system_sgpr_private_segment_wavefront_offset 0
		.amdhsa_system_sgpr_workgroup_id_x 1
		.amdhsa_system_sgpr_workgroup_id_y 0
		.amdhsa_system_sgpr_workgroup_id_z 0
		.amdhsa_system_sgpr_workgroup_info 0
		.amdhsa_system_vgpr_workitem_id 0
		.amdhsa_next_free_vgpr 1
		.amdhsa_next_free_sgpr 0
		.amdhsa_accum_offset 4
		.amdhsa_reserve_vcc 0
		.amdhsa_reserve_flat_scratch 0
		.amdhsa_float_round_mode_32 0
		.amdhsa_float_round_mode_16_64 0
		.amdhsa_float_denorm_mode_32 3
		.amdhsa_float_denorm_mode_16_64 3
		.amdhsa_dx10_clamp 1
		.amdhsa_ieee_mode 1
		.amdhsa_fp16_overflow 0
		.amdhsa_tg_split 0
		.amdhsa_exception_fp_ieee_invalid_op 0
		.amdhsa_exception_fp_denorm_src 0
		.amdhsa_exception_fp_ieee_div_zero 0
		.amdhsa_exception_fp_ieee_overflow 0
		.amdhsa_exception_fp_ieee_underflow 0
		.amdhsa_exception_fp_ieee_inexact 0
		.amdhsa_exception_int_div_zero 0
	.end_amdhsa_kernel
	.section	.text._ZN7rocprim17ROCPRIM_400000_NS6detail17trampoline_kernelINS0_14default_configENS1_35radix_sort_onesweep_config_selectorIxNS0_10empty_typeEEEZNS1_34radix_sort_onesweep_global_offsetsIS3_Lb0EN6thrust23THRUST_200600_302600_NS6detail15normal_iteratorINS9_10device_ptrIxEEEEPS5_jNS0_19identity_decomposerEEE10hipError_tT1_T2_PT3_SK_jT4_jjP12ihipStream_tbEUlT_E_NS1_11comp_targetILNS1_3genE9ELNS1_11target_archE1100ELNS1_3gpuE3ELNS1_3repE0EEENS1_52radix_sort_onesweep_histogram_config_static_selectorELNS0_4arch9wavefront6targetE1EEEvSI_,"axG",@progbits,_ZN7rocprim17ROCPRIM_400000_NS6detail17trampoline_kernelINS0_14default_configENS1_35radix_sort_onesweep_config_selectorIxNS0_10empty_typeEEEZNS1_34radix_sort_onesweep_global_offsetsIS3_Lb0EN6thrust23THRUST_200600_302600_NS6detail15normal_iteratorINS9_10device_ptrIxEEEEPS5_jNS0_19identity_decomposerEEE10hipError_tT1_T2_PT3_SK_jT4_jjP12ihipStream_tbEUlT_E_NS1_11comp_targetILNS1_3genE9ELNS1_11target_archE1100ELNS1_3gpuE3ELNS1_3repE0EEENS1_52radix_sort_onesweep_histogram_config_static_selectorELNS0_4arch9wavefront6targetE1EEEvSI_,comdat
.Lfunc_end1522:
	.size	_ZN7rocprim17ROCPRIM_400000_NS6detail17trampoline_kernelINS0_14default_configENS1_35radix_sort_onesweep_config_selectorIxNS0_10empty_typeEEEZNS1_34radix_sort_onesweep_global_offsetsIS3_Lb0EN6thrust23THRUST_200600_302600_NS6detail15normal_iteratorINS9_10device_ptrIxEEEEPS5_jNS0_19identity_decomposerEEE10hipError_tT1_T2_PT3_SK_jT4_jjP12ihipStream_tbEUlT_E_NS1_11comp_targetILNS1_3genE9ELNS1_11target_archE1100ELNS1_3gpuE3ELNS1_3repE0EEENS1_52radix_sort_onesweep_histogram_config_static_selectorELNS0_4arch9wavefront6targetE1EEEvSI_, .Lfunc_end1522-_ZN7rocprim17ROCPRIM_400000_NS6detail17trampoline_kernelINS0_14default_configENS1_35radix_sort_onesweep_config_selectorIxNS0_10empty_typeEEEZNS1_34radix_sort_onesweep_global_offsetsIS3_Lb0EN6thrust23THRUST_200600_302600_NS6detail15normal_iteratorINS9_10device_ptrIxEEEEPS5_jNS0_19identity_decomposerEEE10hipError_tT1_T2_PT3_SK_jT4_jjP12ihipStream_tbEUlT_E_NS1_11comp_targetILNS1_3genE9ELNS1_11target_archE1100ELNS1_3gpuE3ELNS1_3repE0EEENS1_52radix_sort_onesweep_histogram_config_static_selectorELNS0_4arch9wavefront6targetE1EEEvSI_
                                        ; -- End function
	.section	.AMDGPU.csdata,"",@progbits
; Kernel info:
; codeLenInByte = 0
; NumSgprs: 4
; NumVgprs: 0
; NumAgprs: 0
; TotalNumVgprs: 0
; ScratchSize: 0
; MemoryBound: 0
; FloatMode: 240
; IeeeMode: 1
; LDSByteSize: 0 bytes/workgroup (compile time only)
; SGPRBlocks: 0
; VGPRBlocks: 0
; NumSGPRsForWavesPerEU: 4
; NumVGPRsForWavesPerEU: 1
; AccumOffset: 4
; Occupancy: 8
; WaveLimiterHint : 0
; COMPUTE_PGM_RSRC2:SCRATCH_EN: 0
; COMPUTE_PGM_RSRC2:USER_SGPR: 6
; COMPUTE_PGM_RSRC2:TRAP_HANDLER: 0
; COMPUTE_PGM_RSRC2:TGID_X_EN: 1
; COMPUTE_PGM_RSRC2:TGID_Y_EN: 0
; COMPUTE_PGM_RSRC2:TGID_Z_EN: 0
; COMPUTE_PGM_RSRC2:TIDIG_COMP_CNT: 0
; COMPUTE_PGM_RSRC3_GFX90A:ACCUM_OFFSET: 0
; COMPUTE_PGM_RSRC3_GFX90A:TG_SPLIT: 0
	.section	.text._ZN7rocprim17ROCPRIM_400000_NS6detail17trampoline_kernelINS0_14default_configENS1_35radix_sort_onesweep_config_selectorIxNS0_10empty_typeEEEZNS1_34radix_sort_onesweep_global_offsetsIS3_Lb0EN6thrust23THRUST_200600_302600_NS6detail15normal_iteratorINS9_10device_ptrIxEEEEPS5_jNS0_19identity_decomposerEEE10hipError_tT1_T2_PT3_SK_jT4_jjP12ihipStream_tbEUlT_E_NS1_11comp_targetILNS1_3genE8ELNS1_11target_archE1030ELNS1_3gpuE2ELNS1_3repE0EEENS1_52radix_sort_onesweep_histogram_config_static_selectorELNS0_4arch9wavefront6targetE1EEEvSI_,"axG",@progbits,_ZN7rocprim17ROCPRIM_400000_NS6detail17trampoline_kernelINS0_14default_configENS1_35radix_sort_onesweep_config_selectorIxNS0_10empty_typeEEEZNS1_34radix_sort_onesweep_global_offsetsIS3_Lb0EN6thrust23THRUST_200600_302600_NS6detail15normal_iteratorINS9_10device_ptrIxEEEEPS5_jNS0_19identity_decomposerEEE10hipError_tT1_T2_PT3_SK_jT4_jjP12ihipStream_tbEUlT_E_NS1_11comp_targetILNS1_3genE8ELNS1_11target_archE1030ELNS1_3gpuE2ELNS1_3repE0EEENS1_52radix_sort_onesweep_histogram_config_static_selectorELNS0_4arch9wavefront6targetE1EEEvSI_,comdat
	.protected	_ZN7rocprim17ROCPRIM_400000_NS6detail17trampoline_kernelINS0_14default_configENS1_35radix_sort_onesweep_config_selectorIxNS0_10empty_typeEEEZNS1_34radix_sort_onesweep_global_offsetsIS3_Lb0EN6thrust23THRUST_200600_302600_NS6detail15normal_iteratorINS9_10device_ptrIxEEEEPS5_jNS0_19identity_decomposerEEE10hipError_tT1_T2_PT3_SK_jT4_jjP12ihipStream_tbEUlT_E_NS1_11comp_targetILNS1_3genE8ELNS1_11target_archE1030ELNS1_3gpuE2ELNS1_3repE0EEENS1_52radix_sort_onesweep_histogram_config_static_selectorELNS0_4arch9wavefront6targetE1EEEvSI_ ; -- Begin function _ZN7rocprim17ROCPRIM_400000_NS6detail17trampoline_kernelINS0_14default_configENS1_35radix_sort_onesweep_config_selectorIxNS0_10empty_typeEEEZNS1_34radix_sort_onesweep_global_offsetsIS3_Lb0EN6thrust23THRUST_200600_302600_NS6detail15normal_iteratorINS9_10device_ptrIxEEEEPS5_jNS0_19identity_decomposerEEE10hipError_tT1_T2_PT3_SK_jT4_jjP12ihipStream_tbEUlT_E_NS1_11comp_targetILNS1_3genE8ELNS1_11target_archE1030ELNS1_3gpuE2ELNS1_3repE0EEENS1_52radix_sort_onesweep_histogram_config_static_selectorELNS0_4arch9wavefront6targetE1EEEvSI_
	.globl	_ZN7rocprim17ROCPRIM_400000_NS6detail17trampoline_kernelINS0_14default_configENS1_35radix_sort_onesweep_config_selectorIxNS0_10empty_typeEEEZNS1_34radix_sort_onesweep_global_offsetsIS3_Lb0EN6thrust23THRUST_200600_302600_NS6detail15normal_iteratorINS9_10device_ptrIxEEEEPS5_jNS0_19identity_decomposerEEE10hipError_tT1_T2_PT3_SK_jT4_jjP12ihipStream_tbEUlT_E_NS1_11comp_targetILNS1_3genE8ELNS1_11target_archE1030ELNS1_3gpuE2ELNS1_3repE0EEENS1_52radix_sort_onesweep_histogram_config_static_selectorELNS0_4arch9wavefront6targetE1EEEvSI_
	.p2align	8
	.type	_ZN7rocprim17ROCPRIM_400000_NS6detail17trampoline_kernelINS0_14default_configENS1_35radix_sort_onesweep_config_selectorIxNS0_10empty_typeEEEZNS1_34radix_sort_onesweep_global_offsetsIS3_Lb0EN6thrust23THRUST_200600_302600_NS6detail15normal_iteratorINS9_10device_ptrIxEEEEPS5_jNS0_19identity_decomposerEEE10hipError_tT1_T2_PT3_SK_jT4_jjP12ihipStream_tbEUlT_E_NS1_11comp_targetILNS1_3genE8ELNS1_11target_archE1030ELNS1_3gpuE2ELNS1_3repE0EEENS1_52radix_sort_onesweep_histogram_config_static_selectorELNS0_4arch9wavefront6targetE1EEEvSI_,@function
_ZN7rocprim17ROCPRIM_400000_NS6detail17trampoline_kernelINS0_14default_configENS1_35radix_sort_onesweep_config_selectorIxNS0_10empty_typeEEEZNS1_34radix_sort_onesweep_global_offsetsIS3_Lb0EN6thrust23THRUST_200600_302600_NS6detail15normal_iteratorINS9_10device_ptrIxEEEEPS5_jNS0_19identity_decomposerEEE10hipError_tT1_T2_PT3_SK_jT4_jjP12ihipStream_tbEUlT_E_NS1_11comp_targetILNS1_3genE8ELNS1_11target_archE1030ELNS1_3gpuE2ELNS1_3repE0EEENS1_52radix_sort_onesweep_histogram_config_static_selectorELNS0_4arch9wavefront6targetE1EEEvSI_: ; @_ZN7rocprim17ROCPRIM_400000_NS6detail17trampoline_kernelINS0_14default_configENS1_35radix_sort_onesweep_config_selectorIxNS0_10empty_typeEEEZNS1_34radix_sort_onesweep_global_offsetsIS3_Lb0EN6thrust23THRUST_200600_302600_NS6detail15normal_iteratorINS9_10device_ptrIxEEEEPS5_jNS0_19identity_decomposerEEE10hipError_tT1_T2_PT3_SK_jT4_jjP12ihipStream_tbEUlT_E_NS1_11comp_targetILNS1_3genE8ELNS1_11target_archE1030ELNS1_3gpuE2ELNS1_3repE0EEENS1_52radix_sort_onesweep_histogram_config_static_selectorELNS0_4arch9wavefront6targetE1EEEvSI_
; %bb.0:
	.section	.rodata,"a",@progbits
	.p2align	6, 0x0
	.amdhsa_kernel _ZN7rocprim17ROCPRIM_400000_NS6detail17trampoline_kernelINS0_14default_configENS1_35radix_sort_onesweep_config_selectorIxNS0_10empty_typeEEEZNS1_34radix_sort_onesweep_global_offsetsIS3_Lb0EN6thrust23THRUST_200600_302600_NS6detail15normal_iteratorINS9_10device_ptrIxEEEEPS5_jNS0_19identity_decomposerEEE10hipError_tT1_T2_PT3_SK_jT4_jjP12ihipStream_tbEUlT_E_NS1_11comp_targetILNS1_3genE8ELNS1_11target_archE1030ELNS1_3gpuE2ELNS1_3repE0EEENS1_52radix_sort_onesweep_histogram_config_static_selectorELNS0_4arch9wavefront6targetE1EEEvSI_
		.amdhsa_group_segment_fixed_size 0
		.amdhsa_private_segment_fixed_size 0
		.amdhsa_kernarg_size 40
		.amdhsa_user_sgpr_count 6
		.amdhsa_user_sgpr_private_segment_buffer 1
		.amdhsa_user_sgpr_dispatch_ptr 0
		.amdhsa_user_sgpr_queue_ptr 0
		.amdhsa_user_sgpr_kernarg_segment_ptr 1
		.amdhsa_user_sgpr_dispatch_id 0
		.amdhsa_user_sgpr_flat_scratch_init 0
		.amdhsa_user_sgpr_kernarg_preload_length 0
		.amdhsa_user_sgpr_kernarg_preload_offset 0
		.amdhsa_user_sgpr_private_segment_size 0
		.amdhsa_uses_dynamic_stack 0
		.amdhsa_system_sgpr_private_segment_wavefront_offset 0
		.amdhsa_system_sgpr_workgroup_id_x 1
		.amdhsa_system_sgpr_workgroup_id_y 0
		.amdhsa_system_sgpr_workgroup_id_z 0
		.amdhsa_system_sgpr_workgroup_info 0
		.amdhsa_system_vgpr_workitem_id 0
		.amdhsa_next_free_vgpr 1
		.amdhsa_next_free_sgpr 0
		.amdhsa_accum_offset 4
		.amdhsa_reserve_vcc 0
		.amdhsa_reserve_flat_scratch 0
		.amdhsa_float_round_mode_32 0
		.amdhsa_float_round_mode_16_64 0
		.amdhsa_float_denorm_mode_32 3
		.amdhsa_float_denorm_mode_16_64 3
		.amdhsa_dx10_clamp 1
		.amdhsa_ieee_mode 1
		.amdhsa_fp16_overflow 0
		.amdhsa_tg_split 0
		.amdhsa_exception_fp_ieee_invalid_op 0
		.amdhsa_exception_fp_denorm_src 0
		.amdhsa_exception_fp_ieee_div_zero 0
		.amdhsa_exception_fp_ieee_overflow 0
		.amdhsa_exception_fp_ieee_underflow 0
		.amdhsa_exception_fp_ieee_inexact 0
		.amdhsa_exception_int_div_zero 0
	.end_amdhsa_kernel
	.section	.text._ZN7rocprim17ROCPRIM_400000_NS6detail17trampoline_kernelINS0_14default_configENS1_35radix_sort_onesweep_config_selectorIxNS0_10empty_typeEEEZNS1_34radix_sort_onesweep_global_offsetsIS3_Lb0EN6thrust23THRUST_200600_302600_NS6detail15normal_iteratorINS9_10device_ptrIxEEEEPS5_jNS0_19identity_decomposerEEE10hipError_tT1_T2_PT3_SK_jT4_jjP12ihipStream_tbEUlT_E_NS1_11comp_targetILNS1_3genE8ELNS1_11target_archE1030ELNS1_3gpuE2ELNS1_3repE0EEENS1_52radix_sort_onesweep_histogram_config_static_selectorELNS0_4arch9wavefront6targetE1EEEvSI_,"axG",@progbits,_ZN7rocprim17ROCPRIM_400000_NS6detail17trampoline_kernelINS0_14default_configENS1_35radix_sort_onesweep_config_selectorIxNS0_10empty_typeEEEZNS1_34radix_sort_onesweep_global_offsetsIS3_Lb0EN6thrust23THRUST_200600_302600_NS6detail15normal_iteratorINS9_10device_ptrIxEEEEPS5_jNS0_19identity_decomposerEEE10hipError_tT1_T2_PT3_SK_jT4_jjP12ihipStream_tbEUlT_E_NS1_11comp_targetILNS1_3genE8ELNS1_11target_archE1030ELNS1_3gpuE2ELNS1_3repE0EEENS1_52radix_sort_onesweep_histogram_config_static_selectorELNS0_4arch9wavefront6targetE1EEEvSI_,comdat
.Lfunc_end1523:
	.size	_ZN7rocprim17ROCPRIM_400000_NS6detail17trampoline_kernelINS0_14default_configENS1_35radix_sort_onesweep_config_selectorIxNS0_10empty_typeEEEZNS1_34radix_sort_onesweep_global_offsetsIS3_Lb0EN6thrust23THRUST_200600_302600_NS6detail15normal_iteratorINS9_10device_ptrIxEEEEPS5_jNS0_19identity_decomposerEEE10hipError_tT1_T2_PT3_SK_jT4_jjP12ihipStream_tbEUlT_E_NS1_11comp_targetILNS1_3genE8ELNS1_11target_archE1030ELNS1_3gpuE2ELNS1_3repE0EEENS1_52radix_sort_onesweep_histogram_config_static_selectorELNS0_4arch9wavefront6targetE1EEEvSI_, .Lfunc_end1523-_ZN7rocprim17ROCPRIM_400000_NS6detail17trampoline_kernelINS0_14default_configENS1_35radix_sort_onesweep_config_selectorIxNS0_10empty_typeEEEZNS1_34radix_sort_onesweep_global_offsetsIS3_Lb0EN6thrust23THRUST_200600_302600_NS6detail15normal_iteratorINS9_10device_ptrIxEEEEPS5_jNS0_19identity_decomposerEEE10hipError_tT1_T2_PT3_SK_jT4_jjP12ihipStream_tbEUlT_E_NS1_11comp_targetILNS1_3genE8ELNS1_11target_archE1030ELNS1_3gpuE2ELNS1_3repE0EEENS1_52radix_sort_onesweep_histogram_config_static_selectorELNS0_4arch9wavefront6targetE1EEEvSI_
                                        ; -- End function
	.section	.AMDGPU.csdata,"",@progbits
; Kernel info:
; codeLenInByte = 0
; NumSgprs: 4
; NumVgprs: 0
; NumAgprs: 0
; TotalNumVgprs: 0
; ScratchSize: 0
; MemoryBound: 0
; FloatMode: 240
; IeeeMode: 1
; LDSByteSize: 0 bytes/workgroup (compile time only)
; SGPRBlocks: 0
; VGPRBlocks: 0
; NumSGPRsForWavesPerEU: 4
; NumVGPRsForWavesPerEU: 1
; AccumOffset: 4
; Occupancy: 8
; WaveLimiterHint : 0
; COMPUTE_PGM_RSRC2:SCRATCH_EN: 0
; COMPUTE_PGM_RSRC2:USER_SGPR: 6
; COMPUTE_PGM_RSRC2:TRAP_HANDLER: 0
; COMPUTE_PGM_RSRC2:TGID_X_EN: 1
; COMPUTE_PGM_RSRC2:TGID_Y_EN: 0
; COMPUTE_PGM_RSRC2:TGID_Z_EN: 0
; COMPUTE_PGM_RSRC2:TIDIG_COMP_CNT: 0
; COMPUTE_PGM_RSRC3_GFX90A:ACCUM_OFFSET: 0
; COMPUTE_PGM_RSRC3_GFX90A:TG_SPLIT: 0
	.section	.text._ZN7rocprim17ROCPRIM_400000_NS6detail17trampoline_kernelINS0_14default_configENS1_35radix_sort_onesweep_config_selectorIxNS0_10empty_typeEEEZNS1_34radix_sort_onesweep_global_offsetsIS3_Lb0EN6thrust23THRUST_200600_302600_NS6detail15normal_iteratorINS9_10device_ptrIxEEEEPS5_jNS0_19identity_decomposerEEE10hipError_tT1_T2_PT3_SK_jT4_jjP12ihipStream_tbEUlT_E0_NS1_11comp_targetILNS1_3genE0ELNS1_11target_archE4294967295ELNS1_3gpuE0ELNS1_3repE0EEENS1_52radix_sort_onesweep_histogram_config_static_selectorELNS0_4arch9wavefront6targetE1EEEvSI_,"axG",@progbits,_ZN7rocprim17ROCPRIM_400000_NS6detail17trampoline_kernelINS0_14default_configENS1_35radix_sort_onesweep_config_selectorIxNS0_10empty_typeEEEZNS1_34radix_sort_onesweep_global_offsetsIS3_Lb0EN6thrust23THRUST_200600_302600_NS6detail15normal_iteratorINS9_10device_ptrIxEEEEPS5_jNS0_19identity_decomposerEEE10hipError_tT1_T2_PT3_SK_jT4_jjP12ihipStream_tbEUlT_E0_NS1_11comp_targetILNS1_3genE0ELNS1_11target_archE4294967295ELNS1_3gpuE0ELNS1_3repE0EEENS1_52radix_sort_onesweep_histogram_config_static_selectorELNS0_4arch9wavefront6targetE1EEEvSI_,comdat
	.protected	_ZN7rocprim17ROCPRIM_400000_NS6detail17trampoline_kernelINS0_14default_configENS1_35radix_sort_onesweep_config_selectorIxNS0_10empty_typeEEEZNS1_34radix_sort_onesweep_global_offsetsIS3_Lb0EN6thrust23THRUST_200600_302600_NS6detail15normal_iteratorINS9_10device_ptrIxEEEEPS5_jNS0_19identity_decomposerEEE10hipError_tT1_T2_PT3_SK_jT4_jjP12ihipStream_tbEUlT_E0_NS1_11comp_targetILNS1_3genE0ELNS1_11target_archE4294967295ELNS1_3gpuE0ELNS1_3repE0EEENS1_52radix_sort_onesweep_histogram_config_static_selectorELNS0_4arch9wavefront6targetE1EEEvSI_ ; -- Begin function _ZN7rocprim17ROCPRIM_400000_NS6detail17trampoline_kernelINS0_14default_configENS1_35radix_sort_onesweep_config_selectorIxNS0_10empty_typeEEEZNS1_34radix_sort_onesweep_global_offsetsIS3_Lb0EN6thrust23THRUST_200600_302600_NS6detail15normal_iteratorINS9_10device_ptrIxEEEEPS5_jNS0_19identity_decomposerEEE10hipError_tT1_T2_PT3_SK_jT4_jjP12ihipStream_tbEUlT_E0_NS1_11comp_targetILNS1_3genE0ELNS1_11target_archE4294967295ELNS1_3gpuE0ELNS1_3repE0EEENS1_52radix_sort_onesweep_histogram_config_static_selectorELNS0_4arch9wavefront6targetE1EEEvSI_
	.globl	_ZN7rocprim17ROCPRIM_400000_NS6detail17trampoline_kernelINS0_14default_configENS1_35radix_sort_onesweep_config_selectorIxNS0_10empty_typeEEEZNS1_34radix_sort_onesweep_global_offsetsIS3_Lb0EN6thrust23THRUST_200600_302600_NS6detail15normal_iteratorINS9_10device_ptrIxEEEEPS5_jNS0_19identity_decomposerEEE10hipError_tT1_T2_PT3_SK_jT4_jjP12ihipStream_tbEUlT_E0_NS1_11comp_targetILNS1_3genE0ELNS1_11target_archE4294967295ELNS1_3gpuE0ELNS1_3repE0EEENS1_52radix_sort_onesweep_histogram_config_static_selectorELNS0_4arch9wavefront6targetE1EEEvSI_
	.p2align	8
	.type	_ZN7rocprim17ROCPRIM_400000_NS6detail17trampoline_kernelINS0_14default_configENS1_35radix_sort_onesweep_config_selectorIxNS0_10empty_typeEEEZNS1_34radix_sort_onesweep_global_offsetsIS3_Lb0EN6thrust23THRUST_200600_302600_NS6detail15normal_iteratorINS9_10device_ptrIxEEEEPS5_jNS0_19identity_decomposerEEE10hipError_tT1_T2_PT3_SK_jT4_jjP12ihipStream_tbEUlT_E0_NS1_11comp_targetILNS1_3genE0ELNS1_11target_archE4294967295ELNS1_3gpuE0ELNS1_3repE0EEENS1_52radix_sort_onesweep_histogram_config_static_selectorELNS0_4arch9wavefront6targetE1EEEvSI_,@function
_ZN7rocprim17ROCPRIM_400000_NS6detail17trampoline_kernelINS0_14default_configENS1_35radix_sort_onesweep_config_selectorIxNS0_10empty_typeEEEZNS1_34radix_sort_onesweep_global_offsetsIS3_Lb0EN6thrust23THRUST_200600_302600_NS6detail15normal_iteratorINS9_10device_ptrIxEEEEPS5_jNS0_19identity_decomposerEEE10hipError_tT1_T2_PT3_SK_jT4_jjP12ihipStream_tbEUlT_E0_NS1_11comp_targetILNS1_3genE0ELNS1_11target_archE4294967295ELNS1_3gpuE0ELNS1_3repE0EEENS1_52radix_sort_onesweep_histogram_config_static_selectorELNS0_4arch9wavefront6targetE1EEEvSI_: ; @_ZN7rocprim17ROCPRIM_400000_NS6detail17trampoline_kernelINS0_14default_configENS1_35radix_sort_onesweep_config_selectorIxNS0_10empty_typeEEEZNS1_34radix_sort_onesweep_global_offsetsIS3_Lb0EN6thrust23THRUST_200600_302600_NS6detail15normal_iteratorINS9_10device_ptrIxEEEEPS5_jNS0_19identity_decomposerEEE10hipError_tT1_T2_PT3_SK_jT4_jjP12ihipStream_tbEUlT_E0_NS1_11comp_targetILNS1_3genE0ELNS1_11target_archE4294967295ELNS1_3gpuE0ELNS1_3repE0EEENS1_52radix_sort_onesweep_histogram_config_static_selectorELNS0_4arch9wavefront6targetE1EEEvSI_
; %bb.0:
	.section	.rodata,"a",@progbits
	.p2align	6, 0x0
	.amdhsa_kernel _ZN7rocprim17ROCPRIM_400000_NS6detail17trampoline_kernelINS0_14default_configENS1_35radix_sort_onesweep_config_selectorIxNS0_10empty_typeEEEZNS1_34radix_sort_onesweep_global_offsetsIS3_Lb0EN6thrust23THRUST_200600_302600_NS6detail15normal_iteratorINS9_10device_ptrIxEEEEPS5_jNS0_19identity_decomposerEEE10hipError_tT1_T2_PT3_SK_jT4_jjP12ihipStream_tbEUlT_E0_NS1_11comp_targetILNS1_3genE0ELNS1_11target_archE4294967295ELNS1_3gpuE0ELNS1_3repE0EEENS1_52radix_sort_onesweep_histogram_config_static_selectorELNS0_4arch9wavefront6targetE1EEEvSI_
		.amdhsa_group_segment_fixed_size 0
		.amdhsa_private_segment_fixed_size 0
		.amdhsa_kernarg_size 8
		.amdhsa_user_sgpr_count 6
		.amdhsa_user_sgpr_private_segment_buffer 1
		.amdhsa_user_sgpr_dispatch_ptr 0
		.amdhsa_user_sgpr_queue_ptr 0
		.amdhsa_user_sgpr_kernarg_segment_ptr 1
		.amdhsa_user_sgpr_dispatch_id 0
		.amdhsa_user_sgpr_flat_scratch_init 0
		.amdhsa_user_sgpr_kernarg_preload_length 0
		.amdhsa_user_sgpr_kernarg_preload_offset 0
		.amdhsa_user_sgpr_private_segment_size 0
		.amdhsa_uses_dynamic_stack 0
		.amdhsa_system_sgpr_private_segment_wavefront_offset 0
		.amdhsa_system_sgpr_workgroup_id_x 1
		.amdhsa_system_sgpr_workgroup_id_y 0
		.amdhsa_system_sgpr_workgroup_id_z 0
		.amdhsa_system_sgpr_workgroup_info 0
		.amdhsa_system_vgpr_workitem_id 0
		.amdhsa_next_free_vgpr 1
		.amdhsa_next_free_sgpr 0
		.amdhsa_accum_offset 4
		.amdhsa_reserve_vcc 0
		.amdhsa_reserve_flat_scratch 0
		.amdhsa_float_round_mode_32 0
		.amdhsa_float_round_mode_16_64 0
		.amdhsa_float_denorm_mode_32 3
		.amdhsa_float_denorm_mode_16_64 3
		.amdhsa_dx10_clamp 1
		.amdhsa_ieee_mode 1
		.amdhsa_fp16_overflow 0
		.amdhsa_tg_split 0
		.amdhsa_exception_fp_ieee_invalid_op 0
		.amdhsa_exception_fp_denorm_src 0
		.amdhsa_exception_fp_ieee_div_zero 0
		.amdhsa_exception_fp_ieee_overflow 0
		.amdhsa_exception_fp_ieee_underflow 0
		.amdhsa_exception_fp_ieee_inexact 0
		.amdhsa_exception_int_div_zero 0
	.end_amdhsa_kernel
	.section	.text._ZN7rocprim17ROCPRIM_400000_NS6detail17trampoline_kernelINS0_14default_configENS1_35radix_sort_onesweep_config_selectorIxNS0_10empty_typeEEEZNS1_34radix_sort_onesweep_global_offsetsIS3_Lb0EN6thrust23THRUST_200600_302600_NS6detail15normal_iteratorINS9_10device_ptrIxEEEEPS5_jNS0_19identity_decomposerEEE10hipError_tT1_T2_PT3_SK_jT4_jjP12ihipStream_tbEUlT_E0_NS1_11comp_targetILNS1_3genE0ELNS1_11target_archE4294967295ELNS1_3gpuE0ELNS1_3repE0EEENS1_52radix_sort_onesweep_histogram_config_static_selectorELNS0_4arch9wavefront6targetE1EEEvSI_,"axG",@progbits,_ZN7rocprim17ROCPRIM_400000_NS6detail17trampoline_kernelINS0_14default_configENS1_35radix_sort_onesweep_config_selectorIxNS0_10empty_typeEEEZNS1_34radix_sort_onesweep_global_offsetsIS3_Lb0EN6thrust23THRUST_200600_302600_NS6detail15normal_iteratorINS9_10device_ptrIxEEEEPS5_jNS0_19identity_decomposerEEE10hipError_tT1_T2_PT3_SK_jT4_jjP12ihipStream_tbEUlT_E0_NS1_11comp_targetILNS1_3genE0ELNS1_11target_archE4294967295ELNS1_3gpuE0ELNS1_3repE0EEENS1_52radix_sort_onesweep_histogram_config_static_selectorELNS0_4arch9wavefront6targetE1EEEvSI_,comdat
.Lfunc_end1524:
	.size	_ZN7rocprim17ROCPRIM_400000_NS6detail17trampoline_kernelINS0_14default_configENS1_35radix_sort_onesweep_config_selectorIxNS0_10empty_typeEEEZNS1_34radix_sort_onesweep_global_offsetsIS3_Lb0EN6thrust23THRUST_200600_302600_NS6detail15normal_iteratorINS9_10device_ptrIxEEEEPS5_jNS0_19identity_decomposerEEE10hipError_tT1_T2_PT3_SK_jT4_jjP12ihipStream_tbEUlT_E0_NS1_11comp_targetILNS1_3genE0ELNS1_11target_archE4294967295ELNS1_3gpuE0ELNS1_3repE0EEENS1_52radix_sort_onesweep_histogram_config_static_selectorELNS0_4arch9wavefront6targetE1EEEvSI_, .Lfunc_end1524-_ZN7rocprim17ROCPRIM_400000_NS6detail17trampoline_kernelINS0_14default_configENS1_35radix_sort_onesweep_config_selectorIxNS0_10empty_typeEEEZNS1_34radix_sort_onesweep_global_offsetsIS3_Lb0EN6thrust23THRUST_200600_302600_NS6detail15normal_iteratorINS9_10device_ptrIxEEEEPS5_jNS0_19identity_decomposerEEE10hipError_tT1_T2_PT3_SK_jT4_jjP12ihipStream_tbEUlT_E0_NS1_11comp_targetILNS1_3genE0ELNS1_11target_archE4294967295ELNS1_3gpuE0ELNS1_3repE0EEENS1_52radix_sort_onesweep_histogram_config_static_selectorELNS0_4arch9wavefront6targetE1EEEvSI_
                                        ; -- End function
	.section	.AMDGPU.csdata,"",@progbits
; Kernel info:
; codeLenInByte = 0
; NumSgprs: 4
; NumVgprs: 0
; NumAgprs: 0
; TotalNumVgprs: 0
; ScratchSize: 0
; MemoryBound: 0
; FloatMode: 240
; IeeeMode: 1
; LDSByteSize: 0 bytes/workgroup (compile time only)
; SGPRBlocks: 0
; VGPRBlocks: 0
; NumSGPRsForWavesPerEU: 4
; NumVGPRsForWavesPerEU: 1
; AccumOffset: 4
; Occupancy: 8
; WaveLimiterHint : 0
; COMPUTE_PGM_RSRC2:SCRATCH_EN: 0
; COMPUTE_PGM_RSRC2:USER_SGPR: 6
; COMPUTE_PGM_RSRC2:TRAP_HANDLER: 0
; COMPUTE_PGM_RSRC2:TGID_X_EN: 1
; COMPUTE_PGM_RSRC2:TGID_Y_EN: 0
; COMPUTE_PGM_RSRC2:TGID_Z_EN: 0
; COMPUTE_PGM_RSRC2:TIDIG_COMP_CNT: 0
; COMPUTE_PGM_RSRC3_GFX90A:ACCUM_OFFSET: 0
; COMPUTE_PGM_RSRC3_GFX90A:TG_SPLIT: 0
	.section	.text._ZN7rocprim17ROCPRIM_400000_NS6detail17trampoline_kernelINS0_14default_configENS1_35radix_sort_onesweep_config_selectorIxNS0_10empty_typeEEEZNS1_34radix_sort_onesweep_global_offsetsIS3_Lb0EN6thrust23THRUST_200600_302600_NS6detail15normal_iteratorINS9_10device_ptrIxEEEEPS5_jNS0_19identity_decomposerEEE10hipError_tT1_T2_PT3_SK_jT4_jjP12ihipStream_tbEUlT_E0_NS1_11comp_targetILNS1_3genE6ELNS1_11target_archE950ELNS1_3gpuE13ELNS1_3repE0EEENS1_52radix_sort_onesweep_histogram_config_static_selectorELNS0_4arch9wavefront6targetE1EEEvSI_,"axG",@progbits,_ZN7rocprim17ROCPRIM_400000_NS6detail17trampoline_kernelINS0_14default_configENS1_35radix_sort_onesweep_config_selectorIxNS0_10empty_typeEEEZNS1_34radix_sort_onesweep_global_offsetsIS3_Lb0EN6thrust23THRUST_200600_302600_NS6detail15normal_iteratorINS9_10device_ptrIxEEEEPS5_jNS0_19identity_decomposerEEE10hipError_tT1_T2_PT3_SK_jT4_jjP12ihipStream_tbEUlT_E0_NS1_11comp_targetILNS1_3genE6ELNS1_11target_archE950ELNS1_3gpuE13ELNS1_3repE0EEENS1_52radix_sort_onesweep_histogram_config_static_selectorELNS0_4arch9wavefront6targetE1EEEvSI_,comdat
	.protected	_ZN7rocprim17ROCPRIM_400000_NS6detail17trampoline_kernelINS0_14default_configENS1_35radix_sort_onesweep_config_selectorIxNS0_10empty_typeEEEZNS1_34radix_sort_onesweep_global_offsetsIS3_Lb0EN6thrust23THRUST_200600_302600_NS6detail15normal_iteratorINS9_10device_ptrIxEEEEPS5_jNS0_19identity_decomposerEEE10hipError_tT1_T2_PT3_SK_jT4_jjP12ihipStream_tbEUlT_E0_NS1_11comp_targetILNS1_3genE6ELNS1_11target_archE950ELNS1_3gpuE13ELNS1_3repE0EEENS1_52radix_sort_onesweep_histogram_config_static_selectorELNS0_4arch9wavefront6targetE1EEEvSI_ ; -- Begin function _ZN7rocprim17ROCPRIM_400000_NS6detail17trampoline_kernelINS0_14default_configENS1_35radix_sort_onesweep_config_selectorIxNS0_10empty_typeEEEZNS1_34radix_sort_onesweep_global_offsetsIS3_Lb0EN6thrust23THRUST_200600_302600_NS6detail15normal_iteratorINS9_10device_ptrIxEEEEPS5_jNS0_19identity_decomposerEEE10hipError_tT1_T2_PT3_SK_jT4_jjP12ihipStream_tbEUlT_E0_NS1_11comp_targetILNS1_3genE6ELNS1_11target_archE950ELNS1_3gpuE13ELNS1_3repE0EEENS1_52radix_sort_onesweep_histogram_config_static_selectorELNS0_4arch9wavefront6targetE1EEEvSI_
	.globl	_ZN7rocprim17ROCPRIM_400000_NS6detail17trampoline_kernelINS0_14default_configENS1_35radix_sort_onesweep_config_selectorIxNS0_10empty_typeEEEZNS1_34radix_sort_onesweep_global_offsetsIS3_Lb0EN6thrust23THRUST_200600_302600_NS6detail15normal_iteratorINS9_10device_ptrIxEEEEPS5_jNS0_19identity_decomposerEEE10hipError_tT1_T2_PT3_SK_jT4_jjP12ihipStream_tbEUlT_E0_NS1_11comp_targetILNS1_3genE6ELNS1_11target_archE950ELNS1_3gpuE13ELNS1_3repE0EEENS1_52radix_sort_onesweep_histogram_config_static_selectorELNS0_4arch9wavefront6targetE1EEEvSI_
	.p2align	8
	.type	_ZN7rocprim17ROCPRIM_400000_NS6detail17trampoline_kernelINS0_14default_configENS1_35radix_sort_onesweep_config_selectorIxNS0_10empty_typeEEEZNS1_34radix_sort_onesweep_global_offsetsIS3_Lb0EN6thrust23THRUST_200600_302600_NS6detail15normal_iteratorINS9_10device_ptrIxEEEEPS5_jNS0_19identity_decomposerEEE10hipError_tT1_T2_PT3_SK_jT4_jjP12ihipStream_tbEUlT_E0_NS1_11comp_targetILNS1_3genE6ELNS1_11target_archE950ELNS1_3gpuE13ELNS1_3repE0EEENS1_52radix_sort_onesweep_histogram_config_static_selectorELNS0_4arch9wavefront6targetE1EEEvSI_,@function
_ZN7rocprim17ROCPRIM_400000_NS6detail17trampoline_kernelINS0_14default_configENS1_35radix_sort_onesweep_config_selectorIxNS0_10empty_typeEEEZNS1_34radix_sort_onesweep_global_offsetsIS3_Lb0EN6thrust23THRUST_200600_302600_NS6detail15normal_iteratorINS9_10device_ptrIxEEEEPS5_jNS0_19identity_decomposerEEE10hipError_tT1_T2_PT3_SK_jT4_jjP12ihipStream_tbEUlT_E0_NS1_11comp_targetILNS1_3genE6ELNS1_11target_archE950ELNS1_3gpuE13ELNS1_3repE0EEENS1_52radix_sort_onesweep_histogram_config_static_selectorELNS0_4arch9wavefront6targetE1EEEvSI_: ; @_ZN7rocprim17ROCPRIM_400000_NS6detail17trampoline_kernelINS0_14default_configENS1_35radix_sort_onesweep_config_selectorIxNS0_10empty_typeEEEZNS1_34radix_sort_onesweep_global_offsetsIS3_Lb0EN6thrust23THRUST_200600_302600_NS6detail15normal_iteratorINS9_10device_ptrIxEEEEPS5_jNS0_19identity_decomposerEEE10hipError_tT1_T2_PT3_SK_jT4_jjP12ihipStream_tbEUlT_E0_NS1_11comp_targetILNS1_3genE6ELNS1_11target_archE950ELNS1_3gpuE13ELNS1_3repE0EEENS1_52radix_sort_onesweep_histogram_config_static_selectorELNS0_4arch9wavefront6targetE1EEEvSI_
; %bb.0:
	.section	.rodata,"a",@progbits
	.p2align	6, 0x0
	.amdhsa_kernel _ZN7rocprim17ROCPRIM_400000_NS6detail17trampoline_kernelINS0_14default_configENS1_35radix_sort_onesweep_config_selectorIxNS0_10empty_typeEEEZNS1_34radix_sort_onesweep_global_offsetsIS3_Lb0EN6thrust23THRUST_200600_302600_NS6detail15normal_iteratorINS9_10device_ptrIxEEEEPS5_jNS0_19identity_decomposerEEE10hipError_tT1_T2_PT3_SK_jT4_jjP12ihipStream_tbEUlT_E0_NS1_11comp_targetILNS1_3genE6ELNS1_11target_archE950ELNS1_3gpuE13ELNS1_3repE0EEENS1_52radix_sort_onesweep_histogram_config_static_selectorELNS0_4arch9wavefront6targetE1EEEvSI_
		.amdhsa_group_segment_fixed_size 0
		.amdhsa_private_segment_fixed_size 0
		.amdhsa_kernarg_size 8
		.amdhsa_user_sgpr_count 6
		.amdhsa_user_sgpr_private_segment_buffer 1
		.amdhsa_user_sgpr_dispatch_ptr 0
		.amdhsa_user_sgpr_queue_ptr 0
		.amdhsa_user_sgpr_kernarg_segment_ptr 1
		.amdhsa_user_sgpr_dispatch_id 0
		.amdhsa_user_sgpr_flat_scratch_init 0
		.amdhsa_user_sgpr_kernarg_preload_length 0
		.amdhsa_user_sgpr_kernarg_preload_offset 0
		.amdhsa_user_sgpr_private_segment_size 0
		.amdhsa_uses_dynamic_stack 0
		.amdhsa_system_sgpr_private_segment_wavefront_offset 0
		.amdhsa_system_sgpr_workgroup_id_x 1
		.amdhsa_system_sgpr_workgroup_id_y 0
		.amdhsa_system_sgpr_workgroup_id_z 0
		.amdhsa_system_sgpr_workgroup_info 0
		.amdhsa_system_vgpr_workitem_id 0
		.amdhsa_next_free_vgpr 1
		.amdhsa_next_free_sgpr 0
		.amdhsa_accum_offset 4
		.amdhsa_reserve_vcc 0
		.amdhsa_reserve_flat_scratch 0
		.amdhsa_float_round_mode_32 0
		.amdhsa_float_round_mode_16_64 0
		.amdhsa_float_denorm_mode_32 3
		.amdhsa_float_denorm_mode_16_64 3
		.amdhsa_dx10_clamp 1
		.amdhsa_ieee_mode 1
		.amdhsa_fp16_overflow 0
		.amdhsa_tg_split 0
		.amdhsa_exception_fp_ieee_invalid_op 0
		.amdhsa_exception_fp_denorm_src 0
		.amdhsa_exception_fp_ieee_div_zero 0
		.amdhsa_exception_fp_ieee_overflow 0
		.amdhsa_exception_fp_ieee_underflow 0
		.amdhsa_exception_fp_ieee_inexact 0
		.amdhsa_exception_int_div_zero 0
	.end_amdhsa_kernel
	.section	.text._ZN7rocprim17ROCPRIM_400000_NS6detail17trampoline_kernelINS0_14default_configENS1_35radix_sort_onesweep_config_selectorIxNS0_10empty_typeEEEZNS1_34radix_sort_onesweep_global_offsetsIS3_Lb0EN6thrust23THRUST_200600_302600_NS6detail15normal_iteratorINS9_10device_ptrIxEEEEPS5_jNS0_19identity_decomposerEEE10hipError_tT1_T2_PT3_SK_jT4_jjP12ihipStream_tbEUlT_E0_NS1_11comp_targetILNS1_3genE6ELNS1_11target_archE950ELNS1_3gpuE13ELNS1_3repE0EEENS1_52radix_sort_onesweep_histogram_config_static_selectorELNS0_4arch9wavefront6targetE1EEEvSI_,"axG",@progbits,_ZN7rocprim17ROCPRIM_400000_NS6detail17trampoline_kernelINS0_14default_configENS1_35radix_sort_onesweep_config_selectorIxNS0_10empty_typeEEEZNS1_34radix_sort_onesweep_global_offsetsIS3_Lb0EN6thrust23THRUST_200600_302600_NS6detail15normal_iteratorINS9_10device_ptrIxEEEEPS5_jNS0_19identity_decomposerEEE10hipError_tT1_T2_PT3_SK_jT4_jjP12ihipStream_tbEUlT_E0_NS1_11comp_targetILNS1_3genE6ELNS1_11target_archE950ELNS1_3gpuE13ELNS1_3repE0EEENS1_52radix_sort_onesweep_histogram_config_static_selectorELNS0_4arch9wavefront6targetE1EEEvSI_,comdat
.Lfunc_end1525:
	.size	_ZN7rocprim17ROCPRIM_400000_NS6detail17trampoline_kernelINS0_14default_configENS1_35radix_sort_onesweep_config_selectorIxNS0_10empty_typeEEEZNS1_34radix_sort_onesweep_global_offsetsIS3_Lb0EN6thrust23THRUST_200600_302600_NS6detail15normal_iteratorINS9_10device_ptrIxEEEEPS5_jNS0_19identity_decomposerEEE10hipError_tT1_T2_PT3_SK_jT4_jjP12ihipStream_tbEUlT_E0_NS1_11comp_targetILNS1_3genE6ELNS1_11target_archE950ELNS1_3gpuE13ELNS1_3repE0EEENS1_52radix_sort_onesweep_histogram_config_static_selectorELNS0_4arch9wavefront6targetE1EEEvSI_, .Lfunc_end1525-_ZN7rocprim17ROCPRIM_400000_NS6detail17trampoline_kernelINS0_14default_configENS1_35radix_sort_onesweep_config_selectorIxNS0_10empty_typeEEEZNS1_34radix_sort_onesweep_global_offsetsIS3_Lb0EN6thrust23THRUST_200600_302600_NS6detail15normal_iteratorINS9_10device_ptrIxEEEEPS5_jNS0_19identity_decomposerEEE10hipError_tT1_T2_PT3_SK_jT4_jjP12ihipStream_tbEUlT_E0_NS1_11comp_targetILNS1_3genE6ELNS1_11target_archE950ELNS1_3gpuE13ELNS1_3repE0EEENS1_52radix_sort_onesweep_histogram_config_static_selectorELNS0_4arch9wavefront6targetE1EEEvSI_
                                        ; -- End function
	.section	.AMDGPU.csdata,"",@progbits
; Kernel info:
; codeLenInByte = 0
; NumSgprs: 4
; NumVgprs: 0
; NumAgprs: 0
; TotalNumVgprs: 0
; ScratchSize: 0
; MemoryBound: 0
; FloatMode: 240
; IeeeMode: 1
; LDSByteSize: 0 bytes/workgroup (compile time only)
; SGPRBlocks: 0
; VGPRBlocks: 0
; NumSGPRsForWavesPerEU: 4
; NumVGPRsForWavesPerEU: 1
; AccumOffset: 4
; Occupancy: 8
; WaveLimiterHint : 0
; COMPUTE_PGM_RSRC2:SCRATCH_EN: 0
; COMPUTE_PGM_RSRC2:USER_SGPR: 6
; COMPUTE_PGM_RSRC2:TRAP_HANDLER: 0
; COMPUTE_PGM_RSRC2:TGID_X_EN: 1
; COMPUTE_PGM_RSRC2:TGID_Y_EN: 0
; COMPUTE_PGM_RSRC2:TGID_Z_EN: 0
; COMPUTE_PGM_RSRC2:TIDIG_COMP_CNT: 0
; COMPUTE_PGM_RSRC3_GFX90A:ACCUM_OFFSET: 0
; COMPUTE_PGM_RSRC3_GFX90A:TG_SPLIT: 0
	.section	.text._ZN7rocprim17ROCPRIM_400000_NS6detail17trampoline_kernelINS0_14default_configENS1_35radix_sort_onesweep_config_selectorIxNS0_10empty_typeEEEZNS1_34radix_sort_onesweep_global_offsetsIS3_Lb0EN6thrust23THRUST_200600_302600_NS6detail15normal_iteratorINS9_10device_ptrIxEEEEPS5_jNS0_19identity_decomposerEEE10hipError_tT1_T2_PT3_SK_jT4_jjP12ihipStream_tbEUlT_E0_NS1_11comp_targetILNS1_3genE5ELNS1_11target_archE942ELNS1_3gpuE9ELNS1_3repE0EEENS1_52radix_sort_onesweep_histogram_config_static_selectorELNS0_4arch9wavefront6targetE1EEEvSI_,"axG",@progbits,_ZN7rocprim17ROCPRIM_400000_NS6detail17trampoline_kernelINS0_14default_configENS1_35radix_sort_onesweep_config_selectorIxNS0_10empty_typeEEEZNS1_34radix_sort_onesweep_global_offsetsIS3_Lb0EN6thrust23THRUST_200600_302600_NS6detail15normal_iteratorINS9_10device_ptrIxEEEEPS5_jNS0_19identity_decomposerEEE10hipError_tT1_T2_PT3_SK_jT4_jjP12ihipStream_tbEUlT_E0_NS1_11comp_targetILNS1_3genE5ELNS1_11target_archE942ELNS1_3gpuE9ELNS1_3repE0EEENS1_52radix_sort_onesweep_histogram_config_static_selectorELNS0_4arch9wavefront6targetE1EEEvSI_,comdat
	.protected	_ZN7rocprim17ROCPRIM_400000_NS6detail17trampoline_kernelINS0_14default_configENS1_35radix_sort_onesweep_config_selectorIxNS0_10empty_typeEEEZNS1_34radix_sort_onesweep_global_offsetsIS3_Lb0EN6thrust23THRUST_200600_302600_NS6detail15normal_iteratorINS9_10device_ptrIxEEEEPS5_jNS0_19identity_decomposerEEE10hipError_tT1_T2_PT3_SK_jT4_jjP12ihipStream_tbEUlT_E0_NS1_11comp_targetILNS1_3genE5ELNS1_11target_archE942ELNS1_3gpuE9ELNS1_3repE0EEENS1_52radix_sort_onesweep_histogram_config_static_selectorELNS0_4arch9wavefront6targetE1EEEvSI_ ; -- Begin function _ZN7rocprim17ROCPRIM_400000_NS6detail17trampoline_kernelINS0_14default_configENS1_35radix_sort_onesweep_config_selectorIxNS0_10empty_typeEEEZNS1_34radix_sort_onesweep_global_offsetsIS3_Lb0EN6thrust23THRUST_200600_302600_NS6detail15normal_iteratorINS9_10device_ptrIxEEEEPS5_jNS0_19identity_decomposerEEE10hipError_tT1_T2_PT3_SK_jT4_jjP12ihipStream_tbEUlT_E0_NS1_11comp_targetILNS1_3genE5ELNS1_11target_archE942ELNS1_3gpuE9ELNS1_3repE0EEENS1_52radix_sort_onesweep_histogram_config_static_selectorELNS0_4arch9wavefront6targetE1EEEvSI_
	.globl	_ZN7rocprim17ROCPRIM_400000_NS6detail17trampoline_kernelINS0_14default_configENS1_35radix_sort_onesweep_config_selectorIxNS0_10empty_typeEEEZNS1_34radix_sort_onesweep_global_offsetsIS3_Lb0EN6thrust23THRUST_200600_302600_NS6detail15normal_iteratorINS9_10device_ptrIxEEEEPS5_jNS0_19identity_decomposerEEE10hipError_tT1_T2_PT3_SK_jT4_jjP12ihipStream_tbEUlT_E0_NS1_11comp_targetILNS1_3genE5ELNS1_11target_archE942ELNS1_3gpuE9ELNS1_3repE0EEENS1_52radix_sort_onesweep_histogram_config_static_selectorELNS0_4arch9wavefront6targetE1EEEvSI_
	.p2align	8
	.type	_ZN7rocprim17ROCPRIM_400000_NS6detail17trampoline_kernelINS0_14default_configENS1_35radix_sort_onesweep_config_selectorIxNS0_10empty_typeEEEZNS1_34radix_sort_onesweep_global_offsetsIS3_Lb0EN6thrust23THRUST_200600_302600_NS6detail15normal_iteratorINS9_10device_ptrIxEEEEPS5_jNS0_19identity_decomposerEEE10hipError_tT1_T2_PT3_SK_jT4_jjP12ihipStream_tbEUlT_E0_NS1_11comp_targetILNS1_3genE5ELNS1_11target_archE942ELNS1_3gpuE9ELNS1_3repE0EEENS1_52radix_sort_onesweep_histogram_config_static_selectorELNS0_4arch9wavefront6targetE1EEEvSI_,@function
_ZN7rocprim17ROCPRIM_400000_NS6detail17trampoline_kernelINS0_14default_configENS1_35radix_sort_onesweep_config_selectorIxNS0_10empty_typeEEEZNS1_34radix_sort_onesweep_global_offsetsIS3_Lb0EN6thrust23THRUST_200600_302600_NS6detail15normal_iteratorINS9_10device_ptrIxEEEEPS5_jNS0_19identity_decomposerEEE10hipError_tT1_T2_PT3_SK_jT4_jjP12ihipStream_tbEUlT_E0_NS1_11comp_targetILNS1_3genE5ELNS1_11target_archE942ELNS1_3gpuE9ELNS1_3repE0EEENS1_52radix_sort_onesweep_histogram_config_static_selectorELNS0_4arch9wavefront6targetE1EEEvSI_: ; @_ZN7rocprim17ROCPRIM_400000_NS6detail17trampoline_kernelINS0_14default_configENS1_35radix_sort_onesweep_config_selectorIxNS0_10empty_typeEEEZNS1_34radix_sort_onesweep_global_offsetsIS3_Lb0EN6thrust23THRUST_200600_302600_NS6detail15normal_iteratorINS9_10device_ptrIxEEEEPS5_jNS0_19identity_decomposerEEE10hipError_tT1_T2_PT3_SK_jT4_jjP12ihipStream_tbEUlT_E0_NS1_11comp_targetILNS1_3genE5ELNS1_11target_archE942ELNS1_3gpuE9ELNS1_3repE0EEENS1_52radix_sort_onesweep_histogram_config_static_selectorELNS0_4arch9wavefront6targetE1EEEvSI_
; %bb.0:
	.section	.rodata,"a",@progbits
	.p2align	6, 0x0
	.amdhsa_kernel _ZN7rocprim17ROCPRIM_400000_NS6detail17trampoline_kernelINS0_14default_configENS1_35radix_sort_onesweep_config_selectorIxNS0_10empty_typeEEEZNS1_34radix_sort_onesweep_global_offsetsIS3_Lb0EN6thrust23THRUST_200600_302600_NS6detail15normal_iteratorINS9_10device_ptrIxEEEEPS5_jNS0_19identity_decomposerEEE10hipError_tT1_T2_PT3_SK_jT4_jjP12ihipStream_tbEUlT_E0_NS1_11comp_targetILNS1_3genE5ELNS1_11target_archE942ELNS1_3gpuE9ELNS1_3repE0EEENS1_52radix_sort_onesweep_histogram_config_static_selectorELNS0_4arch9wavefront6targetE1EEEvSI_
		.amdhsa_group_segment_fixed_size 0
		.amdhsa_private_segment_fixed_size 0
		.amdhsa_kernarg_size 8
		.amdhsa_user_sgpr_count 6
		.amdhsa_user_sgpr_private_segment_buffer 1
		.amdhsa_user_sgpr_dispatch_ptr 0
		.amdhsa_user_sgpr_queue_ptr 0
		.amdhsa_user_sgpr_kernarg_segment_ptr 1
		.amdhsa_user_sgpr_dispatch_id 0
		.amdhsa_user_sgpr_flat_scratch_init 0
		.amdhsa_user_sgpr_kernarg_preload_length 0
		.amdhsa_user_sgpr_kernarg_preload_offset 0
		.amdhsa_user_sgpr_private_segment_size 0
		.amdhsa_uses_dynamic_stack 0
		.amdhsa_system_sgpr_private_segment_wavefront_offset 0
		.amdhsa_system_sgpr_workgroup_id_x 1
		.amdhsa_system_sgpr_workgroup_id_y 0
		.amdhsa_system_sgpr_workgroup_id_z 0
		.amdhsa_system_sgpr_workgroup_info 0
		.amdhsa_system_vgpr_workitem_id 0
		.amdhsa_next_free_vgpr 1
		.amdhsa_next_free_sgpr 0
		.amdhsa_accum_offset 4
		.amdhsa_reserve_vcc 0
		.amdhsa_reserve_flat_scratch 0
		.amdhsa_float_round_mode_32 0
		.amdhsa_float_round_mode_16_64 0
		.amdhsa_float_denorm_mode_32 3
		.amdhsa_float_denorm_mode_16_64 3
		.amdhsa_dx10_clamp 1
		.amdhsa_ieee_mode 1
		.amdhsa_fp16_overflow 0
		.amdhsa_tg_split 0
		.amdhsa_exception_fp_ieee_invalid_op 0
		.amdhsa_exception_fp_denorm_src 0
		.amdhsa_exception_fp_ieee_div_zero 0
		.amdhsa_exception_fp_ieee_overflow 0
		.amdhsa_exception_fp_ieee_underflow 0
		.amdhsa_exception_fp_ieee_inexact 0
		.amdhsa_exception_int_div_zero 0
	.end_amdhsa_kernel
	.section	.text._ZN7rocprim17ROCPRIM_400000_NS6detail17trampoline_kernelINS0_14default_configENS1_35radix_sort_onesweep_config_selectorIxNS0_10empty_typeEEEZNS1_34radix_sort_onesweep_global_offsetsIS3_Lb0EN6thrust23THRUST_200600_302600_NS6detail15normal_iteratorINS9_10device_ptrIxEEEEPS5_jNS0_19identity_decomposerEEE10hipError_tT1_T2_PT3_SK_jT4_jjP12ihipStream_tbEUlT_E0_NS1_11comp_targetILNS1_3genE5ELNS1_11target_archE942ELNS1_3gpuE9ELNS1_3repE0EEENS1_52radix_sort_onesweep_histogram_config_static_selectorELNS0_4arch9wavefront6targetE1EEEvSI_,"axG",@progbits,_ZN7rocprim17ROCPRIM_400000_NS6detail17trampoline_kernelINS0_14default_configENS1_35radix_sort_onesweep_config_selectorIxNS0_10empty_typeEEEZNS1_34radix_sort_onesweep_global_offsetsIS3_Lb0EN6thrust23THRUST_200600_302600_NS6detail15normal_iteratorINS9_10device_ptrIxEEEEPS5_jNS0_19identity_decomposerEEE10hipError_tT1_T2_PT3_SK_jT4_jjP12ihipStream_tbEUlT_E0_NS1_11comp_targetILNS1_3genE5ELNS1_11target_archE942ELNS1_3gpuE9ELNS1_3repE0EEENS1_52radix_sort_onesweep_histogram_config_static_selectorELNS0_4arch9wavefront6targetE1EEEvSI_,comdat
.Lfunc_end1526:
	.size	_ZN7rocprim17ROCPRIM_400000_NS6detail17trampoline_kernelINS0_14default_configENS1_35radix_sort_onesweep_config_selectorIxNS0_10empty_typeEEEZNS1_34radix_sort_onesweep_global_offsetsIS3_Lb0EN6thrust23THRUST_200600_302600_NS6detail15normal_iteratorINS9_10device_ptrIxEEEEPS5_jNS0_19identity_decomposerEEE10hipError_tT1_T2_PT3_SK_jT4_jjP12ihipStream_tbEUlT_E0_NS1_11comp_targetILNS1_3genE5ELNS1_11target_archE942ELNS1_3gpuE9ELNS1_3repE0EEENS1_52radix_sort_onesweep_histogram_config_static_selectorELNS0_4arch9wavefront6targetE1EEEvSI_, .Lfunc_end1526-_ZN7rocprim17ROCPRIM_400000_NS6detail17trampoline_kernelINS0_14default_configENS1_35radix_sort_onesweep_config_selectorIxNS0_10empty_typeEEEZNS1_34radix_sort_onesweep_global_offsetsIS3_Lb0EN6thrust23THRUST_200600_302600_NS6detail15normal_iteratorINS9_10device_ptrIxEEEEPS5_jNS0_19identity_decomposerEEE10hipError_tT1_T2_PT3_SK_jT4_jjP12ihipStream_tbEUlT_E0_NS1_11comp_targetILNS1_3genE5ELNS1_11target_archE942ELNS1_3gpuE9ELNS1_3repE0EEENS1_52radix_sort_onesweep_histogram_config_static_selectorELNS0_4arch9wavefront6targetE1EEEvSI_
                                        ; -- End function
	.section	.AMDGPU.csdata,"",@progbits
; Kernel info:
; codeLenInByte = 0
; NumSgprs: 4
; NumVgprs: 0
; NumAgprs: 0
; TotalNumVgprs: 0
; ScratchSize: 0
; MemoryBound: 0
; FloatMode: 240
; IeeeMode: 1
; LDSByteSize: 0 bytes/workgroup (compile time only)
; SGPRBlocks: 0
; VGPRBlocks: 0
; NumSGPRsForWavesPerEU: 4
; NumVGPRsForWavesPerEU: 1
; AccumOffset: 4
; Occupancy: 8
; WaveLimiterHint : 0
; COMPUTE_PGM_RSRC2:SCRATCH_EN: 0
; COMPUTE_PGM_RSRC2:USER_SGPR: 6
; COMPUTE_PGM_RSRC2:TRAP_HANDLER: 0
; COMPUTE_PGM_RSRC2:TGID_X_EN: 1
; COMPUTE_PGM_RSRC2:TGID_Y_EN: 0
; COMPUTE_PGM_RSRC2:TGID_Z_EN: 0
; COMPUTE_PGM_RSRC2:TIDIG_COMP_CNT: 0
; COMPUTE_PGM_RSRC3_GFX90A:ACCUM_OFFSET: 0
; COMPUTE_PGM_RSRC3_GFX90A:TG_SPLIT: 0
	.section	.text._ZN7rocprim17ROCPRIM_400000_NS6detail17trampoline_kernelINS0_14default_configENS1_35radix_sort_onesweep_config_selectorIxNS0_10empty_typeEEEZNS1_34radix_sort_onesweep_global_offsetsIS3_Lb0EN6thrust23THRUST_200600_302600_NS6detail15normal_iteratorINS9_10device_ptrIxEEEEPS5_jNS0_19identity_decomposerEEE10hipError_tT1_T2_PT3_SK_jT4_jjP12ihipStream_tbEUlT_E0_NS1_11comp_targetILNS1_3genE2ELNS1_11target_archE906ELNS1_3gpuE6ELNS1_3repE0EEENS1_52radix_sort_onesweep_histogram_config_static_selectorELNS0_4arch9wavefront6targetE1EEEvSI_,"axG",@progbits,_ZN7rocprim17ROCPRIM_400000_NS6detail17trampoline_kernelINS0_14default_configENS1_35radix_sort_onesweep_config_selectorIxNS0_10empty_typeEEEZNS1_34radix_sort_onesweep_global_offsetsIS3_Lb0EN6thrust23THRUST_200600_302600_NS6detail15normal_iteratorINS9_10device_ptrIxEEEEPS5_jNS0_19identity_decomposerEEE10hipError_tT1_T2_PT3_SK_jT4_jjP12ihipStream_tbEUlT_E0_NS1_11comp_targetILNS1_3genE2ELNS1_11target_archE906ELNS1_3gpuE6ELNS1_3repE0EEENS1_52radix_sort_onesweep_histogram_config_static_selectorELNS0_4arch9wavefront6targetE1EEEvSI_,comdat
	.protected	_ZN7rocprim17ROCPRIM_400000_NS6detail17trampoline_kernelINS0_14default_configENS1_35radix_sort_onesweep_config_selectorIxNS0_10empty_typeEEEZNS1_34radix_sort_onesweep_global_offsetsIS3_Lb0EN6thrust23THRUST_200600_302600_NS6detail15normal_iteratorINS9_10device_ptrIxEEEEPS5_jNS0_19identity_decomposerEEE10hipError_tT1_T2_PT3_SK_jT4_jjP12ihipStream_tbEUlT_E0_NS1_11comp_targetILNS1_3genE2ELNS1_11target_archE906ELNS1_3gpuE6ELNS1_3repE0EEENS1_52radix_sort_onesweep_histogram_config_static_selectorELNS0_4arch9wavefront6targetE1EEEvSI_ ; -- Begin function _ZN7rocprim17ROCPRIM_400000_NS6detail17trampoline_kernelINS0_14default_configENS1_35radix_sort_onesweep_config_selectorIxNS0_10empty_typeEEEZNS1_34radix_sort_onesweep_global_offsetsIS3_Lb0EN6thrust23THRUST_200600_302600_NS6detail15normal_iteratorINS9_10device_ptrIxEEEEPS5_jNS0_19identity_decomposerEEE10hipError_tT1_T2_PT3_SK_jT4_jjP12ihipStream_tbEUlT_E0_NS1_11comp_targetILNS1_3genE2ELNS1_11target_archE906ELNS1_3gpuE6ELNS1_3repE0EEENS1_52radix_sort_onesweep_histogram_config_static_selectorELNS0_4arch9wavefront6targetE1EEEvSI_
	.globl	_ZN7rocprim17ROCPRIM_400000_NS6detail17trampoline_kernelINS0_14default_configENS1_35radix_sort_onesweep_config_selectorIxNS0_10empty_typeEEEZNS1_34radix_sort_onesweep_global_offsetsIS3_Lb0EN6thrust23THRUST_200600_302600_NS6detail15normal_iteratorINS9_10device_ptrIxEEEEPS5_jNS0_19identity_decomposerEEE10hipError_tT1_T2_PT3_SK_jT4_jjP12ihipStream_tbEUlT_E0_NS1_11comp_targetILNS1_3genE2ELNS1_11target_archE906ELNS1_3gpuE6ELNS1_3repE0EEENS1_52radix_sort_onesweep_histogram_config_static_selectorELNS0_4arch9wavefront6targetE1EEEvSI_
	.p2align	8
	.type	_ZN7rocprim17ROCPRIM_400000_NS6detail17trampoline_kernelINS0_14default_configENS1_35radix_sort_onesweep_config_selectorIxNS0_10empty_typeEEEZNS1_34radix_sort_onesweep_global_offsetsIS3_Lb0EN6thrust23THRUST_200600_302600_NS6detail15normal_iteratorINS9_10device_ptrIxEEEEPS5_jNS0_19identity_decomposerEEE10hipError_tT1_T2_PT3_SK_jT4_jjP12ihipStream_tbEUlT_E0_NS1_11comp_targetILNS1_3genE2ELNS1_11target_archE906ELNS1_3gpuE6ELNS1_3repE0EEENS1_52radix_sort_onesweep_histogram_config_static_selectorELNS0_4arch9wavefront6targetE1EEEvSI_,@function
_ZN7rocprim17ROCPRIM_400000_NS6detail17trampoline_kernelINS0_14default_configENS1_35radix_sort_onesweep_config_selectorIxNS0_10empty_typeEEEZNS1_34radix_sort_onesweep_global_offsetsIS3_Lb0EN6thrust23THRUST_200600_302600_NS6detail15normal_iteratorINS9_10device_ptrIxEEEEPS5_jNS0_19identity_decomposerEEE10hipError_tT1_T2_PT3_SK_jT4_jjP12ihipStream_tbEUlT_E0_NS1_11comp_targetILNS1_3genE2ELNS1_11target_archE906ELNS1_3gpuE6ELNS1_3repE0EEENS1_52radix_sort_onesweep_histogram_config_static_selectorELNS0_4arch9wavefront6targetE1EEEvSI_: ; @_ZN7rocprim17ROCPRIM_400000_NS6detail17trampoline_kernelINS0_14default_configENS1_35radix_sort_onesweep_config_selectorIxNS0_10empty_typeEEEZNS1_34radix_sort_onesweep_global_offsetsIS3_Lb0EN6thrust23THRUST_200600_302600_NS6detail15normal_iteratorINS9_10device_ptrIxEEEEPS5_jNS0_19identity_decomposerEEE10hipError_tT1_T2_PT3_SK_jT4_jjP12ihipStream_tbEUlT_E0_NS1_11comp_targetILNS1_3genE2ELNS1_11target_archE906ELNS1_3gpuE6ELNS1_3repE0EEENS1_52radix_sort_onesweep_histogram_config_static_selectorELNS0_4arch9wavefront6targetE1EEEvSI_
; %bb.0:
	.section	.rodata,"a",@progbits
	.p2align	6, 0x0
	.amdhsa_kernel _ZN7rocprim17ROCPRIM_400000_NS6detail17trampoline_kernelINS0_14default_configENS1_35radix_sort_onesweep_config_selectorIxNS0_10empty_typeEEEZNS1_34radix_sort_onesweep_global_offsetsIS3_Lb0EN6thrust23THRUST_200600_302600_NS6detail15normal_iteratorINS9_10device_ptrIxEEEEPS5_jNS0_19identity_decomposerEEE10hipError_tT1_T2_PT3_SK_jT4_jjP12ihipStream_tbEUlT_E0_NS1_11comp_targetILNS1_3genE2ELNS1_11target_archE906ELNS1_3gpuE6ELNS1_3repE0EEENS1_52radix_sort_onesweep_histogram_config_static_selectorELNS0_4arch9wavefront6targetE1EEEvSI_
		.amdhsa_group_segment_fixed_size 0
		.amdhsa_private_segment_fixed_size 0
		.amdhsa_kernarg_size 8
		.amdhsa_user_sgpr_count 6
		.amdhsa_user_sgpr_private_segment_buffer 1
		.amdhsa_user_sgpr_dispatch_ptr 0
		.amdhsa_user_sgpr_queue_ptr 0
		.amdhsa_user_sgpr_kernarg_segment_ptr 1
		.amdhsa_user_sgpr_dispatch_id 0
		.amdhsa_user_sgpr_flat_scratch_init 0
		.amdhsa_user_sgpr_kernarg_preload_length 0
		.amdhsa_user_sgpr_kernarg_preload_offset 0
		.amdhsa_user_sgpr_private_segment_size 0
		.amdhsa_uses_dynamic_stack 0
		.amdhsa_system_sgpr_private_segment_wavefront_offset 0
		.amdhsa_system_sgpr_workgroup_id_x 1
		.amdhsa_system_sgpr_workgroup_id_y 0
		.amdhsa_system_sgpr_workgroup_id_z 0
		.amdhsa_system_sgpr_workgroup_info 0
		.amdhsa_system_vgpr_workitem_id 0
		.amdhsa_next_free_vgpr 1
		.amdhsa_next_free_sgpr 0
		.amdhsa_accum_offset 4
		.amdhsa_reserve_vcc 0
		.amdhsa_reserve_flat_scratch 0
		.amdhsa_float_round_mode_32 0
		.amdhsa_float_round_mode_16_64 0
		.amdhsa_float_denorm_mode_32 3
		.amdhsa_float_denorm_mode_16_64 3
		.amdhsa_dx10_clamp 1
		.amdhsa_ieee_mode 1
		.amdhsa_fp16_overflow 0
		.amdhsa_tg_split 0
		.amdhsa_exception_fp_ieee_invalid_op 0
		.amdhsa_exception_fp_denorm_src 0
		.amdhsa_exception_fp_ieee_div_zero 0
		.amdhsa_exception_fp_ieee_overflow 0
		.amdhsa_exception_fp_ieee_underflow 0
		.amdhsa_exception_fp_ieee_inexact 0
		.amdhsa_exception_int_div_zero 0
	.end_amdhsa_kernel
	.section	.text._ZN7rocprim17ROCPRIM_400000_NS6detail17trampoline_kernelINS0_14default_configENS1_35radix_sort_onesweep_config_selectorIxNS0_10empty_typeEEEZNS1_34radix_sort_onesweep_global_offsetsIS3_Lb0EN6thrust23THRUST_200600_302600_NS6detail15normal_iteratorINS9_10device_ptrIxEEEEPS5_jNS0_19identity_decomposerEEE10hipError_tT1_T2_PT3_SK_jT4_jjP12ihipStream_tbEUlT_E0_NS1_11comp_targetILNS1_3genE2ELNS1_11target_archE906ELNS1_3gpuE6ELNS1_3repE0EEENS1_52radix_sort_onesweep_histogram_config_static_selectorELNS0_4arch9wavefront6targetE1EEEvSI_,"axG",@progbits,_ZN7rocprim17ROCPRIM_400000_NS6detail17trampoline_kernelINS0_14default_configENS1_35radix_sort_onesweep_config_selectorIxNS0_10empty_typeEEEZNS1_34radix_sort_onesweep_global_offsetsIS3_Lb0EN6thrust23THRUST_200600_302600_NS6detail15normal_iteratorINS9_10device_ptrIxEEEEPS5_jNS0_19identity_decomposerEEE10hipError_tT1_T2_PT3_SK_jT4_jjP12ihipStream_tbEUlT_E0_NS1_11comp_targetILNS1_3genE2ELNS1_11target_archE906ELNS1_3gpuE6ELNS1_3repE0EEENS1_52radix_sort_onesweep_histogram_config_static_selectorELNS0_4arch9wavefront6targetE1EEEvSI_,comdat
.Lfunc_end1527:
	.size	_ZN7rocprim17ROCPRIM_400000_NS6detail17trampoline_kernelINS0_14default_configENS1_35radix_sort_onesweep_config_selectorIxNS0_10empty_typeEEEZNS1_34radix_sort_onesweep_global_offsetsIS3_Lb0EN6thrust23THRUST_200600_302600_NS6detail15normal_iteratorINS9_10device_ptrIxEEEEPS5_jNS0_19identity_decomposerEEE10hipError_tT1_T2_PT3_SK_jT4_jjP12ihipStream_tbEUlT_E0_NS1_11comp_targetILNS1_3genE2ELNS1_11target_archE906ELNS1_3gpuE6ELNS1_3repE0EEENS1_52radix_sort_onesweep_histogram_config_static_selectorELNS0_4arch9wavefront6targetE1EEEvSI_, .Lfunc_end1527-_ZN7rocprim17ROCPRIM_400000_NS6detail17trampoline_kernelINS0_14default_configENS1_35radix_sort_onesweep_config_selectorIxNS0_10empty_typeEEEZNS1_34radix_sort_onesweep_global_offsetsIS3_Lb0EN6thrust23THRUST_200600_302600_NS6detail15normal_iteratorINS9_10device_ptrIxEEEEPS5_jNS0_19identity_decomposerEEE10hipError_tT1_T2_PT3_SK_jT4_jjP12ihipStream_tbEUlT_E0_NS1_11comp_targetILNS1_3genE2ELNS1_11target_archE906ELNS1_3gpuE6ELNS1_3repE0EEENS1_52radix_sort_onesweep_histogram_config_static_selectorELNS0_4arch9wavefront6targetE1EEEvSI_
                                        ; -- End function
	.section	.AMDGPU.csdata,"",@progbits
; Kernel info:
; codeLenInByte = 0
; NumSgprs: 4
; NumVgprs: 0
; NumAgprs: 0
; TotalNumVgprs: 0
; ScratchSize: 0
; MemoryBound: 0
; FloatMode: 240
; IeeeMode: 1
; LDSByteSize: 0 bytes/workgroup (compile time only)
; SGPRBlocks: 0
; VGPRBlocks: 0
; NumSGPRsForWavesPerEU: 4
; NumVGPRsForWavesPerEU: 1
; AccumOffset: 4
; Occupancy: 8
; WaveLimiterHint : 0
; COMPUTE_PGM_RSRC2:SCRATCH_EN: 0
; COMPUTE_PGM_RSRC2:USER_SGPR: 6
; COMPUTE_PGM_RSRC2:TRAP_HANDLER: 0
; COMPUTE_PGM_RSRC2:TGID_X_EN: 1
; COMPUTE_PGM_RSRC2:TGID_Y_EN: 0
; COMPUTE_PGM_RSRC2:TGID_Z_EN: 0
; COMPUTE_PGM_RSRC2:TIDIG_COMP_CNT: 0
; COMPUTE_PGM_RSRC3_GFX90A:ACCUM_OFFSET: 0
; COMPUTE_PGM_RSRC3_GFX90A:TG_SPLIT: 0
	.section	.text._ZN7rocprim17ROCPRIM_400000_NS6detail17trampoline_kernelINS0_14default_configENS1_35radix_sort_onesweep_config_selectorIxNS0_10empty_typeEEEZNS1_34radix_sort_onesweep_global_offsetsIS3_Lb0EN6thrust23THRUST_200600_302600_NS6detail15normal_iteratorINS9_10device_ptrIxEEEEPS5_jNS0_19identity_decomposerEEE10hipError_tT1_T2_PT3_SK_jT4_jjP12ihipStream_tbEUlT_E0_NS1_11comp_targetILNS1_3genE4ELNS1_11target_archE910ELNS1_3gpuE8ELNS1_3repE0EEENS1_52radix_sort_onesweep_histogram_config_static_selectorELNS0_4arch9wavefront6targetE1EEEvSI_,"axG",@progbits,_ZN7rocprim17ROCPRIM_400000_NS6detail17trampoline_kernelINS0_14default_configENS1_35radix_sort_onesweep_config_selectorIxNS0_10empty_typeEEEZNS1_34radix_sort_onesweep_global_offsetsIS3_Lb0EN6thrust23THRUST_200600_302600_NS6detail15normal_iteratorINS9_10device_ptrIxEEEEPS5_jNS0_19identity_decomposerEEE10hipError_tT1_T2_PT3_SK_jT4_jjP12ihipStream_tbEUlT_E0_NS1_11comp_targetILNS1_3genE4ELNS1_11target_archE910ELNS1_3gpuE8ELNS1_3repE0EEENS1_52radix_sort_onesweep_histogram_config_static_selectorELNS0_4arch9wavefront6targetE1EEEvSI_,comdat
	.protected	_ZN7rocprim17ROCPRIM_400000_NS6detail17trampoline_kernelINS0_14default_configENS1_35radix_sort_onesweep_config_selectorIxNS0_10empty_typeEEEZNS1_34radix_sort_onesweep_global_offsetsIS3_Lb0EN6thrust23THRUST_200600_302600_NS6detail15normal_iteratorINS9_10device_ptrIxEEEEPS5_jNS0_19identity_decomposerEEE10hipError_tT1_T2_PT3_SK_jT4_jjP12ihipStream_tbEUlT_E0_NS1_11comp_targetILNS1_3genE4ELNS1_11target_archE910ELNS1_3gpuE8ELNS1_3repE0EEENS1_52radix_sort_onesweep_histogram_config_static_selectorELNS0_4arch9wavefront6targetE1EEEvSI_ ; -- Begin function _ZN7rocprim17ROCPRIM_400000_NS6detail17trampoline_kernelINS0_14default_configENS1_35radix_sort_onesweep_config_selectorIxNS0_10empty_typeEEEZNS1_34radix_sort_onesweep_global_offsetsIS3_Lb0EN6thrust23THRUST_200600_302600_NS6detail15normal_iteratorINS9_10device_ptrIxEEEEPS5_jNS0_19identity_decomposerEEE10hipError_tT1_T2_PT3_SK_jT4_jjP12ihipStream_tbEUlT_E0_NS1_11comp_targetILNS1_3genE4ELNS1_11target_archE910ELNS1_3gpuE8ELNS1_3repE0EEENS1_52radix_sort_onesweep_histogram_config_static_selectorELNS0_4arch9wavefront6targetE1EEEvSI_
	.globl	_ZN7rocprim17ROCPRIM_400000_NS6detail17trampoline_kernelINS0_14default_configENS1_35radix_sort_onesweep_config_selectorIxNS0_10empty_typeEEEZNS1_34radix_sort_onesweep_global_offsetsIS3_Lb0EN6thrust23THRUST_200600_302600_NS6detail15normal_iteratorINS9_10device_ptrIxEEEEPS5_jNS0_19identity_decomposerEEE10hipError_tT1_T2_PT3_SK_jT4_jjP12ihipStream_tbEUlT_E0_NS1_11comp_targetILNS1_3genE4ELNS1_11target_archE910ELNS1_3gpuE8ELNS1_3repE0EEENS1_52radix_sort_onesweep_histogram_config_static_selectorELNS0_4arch9wavefront6targetE1EEEvSI_
	.p2align	8
	.type	_ZN7rocprim17ROCPRIM_400000_NS6detail17trampoline_kernelINS0_14default_configENS1_35radix_sort_onesweep_config_selectorIxNS0_10empty_typeEEEZNS1_34radix_sort_onesweep_global_offsetsIS3_Lb0EN6thrust23THRUST_200600_302600_NS6detail15normal_iteratorINS9_10device_ptrIxEEEEPS5_jNS0_19identity_decomposerEEE10hipError_tT1_T2_PT3_SK_jT4_jjP12ihipStream_tbEUlT_E0_NS1_11comp_targetILNS1_3genE4ELNS1_11target_archE910ELNS1_3gpuE8ELNS1_3repE0EEENS1_52radix_sort_onesweep_histogram_config_static_selectorELNS0_4arch9wavefront6targetE1EEEvSI_,@function
_ZN7rocprim17ROCPRIM_400000_NS6detail17trampoline_kernelINS0_14default_configENS1_35radix_sort_onesweep_config_selectorIxNS0_10empty_typeEEEZNS1_34radix_sort_onesweep_global_offsetsIS3_Lb0EN6thrust23THRUST_200600_302600_NS6detail15normal_iteratorINS9_10device_ptrIxEEEEPS5_jNS0_19identity_decomposerEEE10hipError_tT1_T2_PT3_SK_jT4_jjP12ihipStream_tbEUlT_E0_NS1_11comp_targetILNS1_3genE4ELNS1_11target_archE910ELNS1_3gpuE8ELNS1_3repE0EEENS1_52radix_sort_onesweep_histogram_config_static_selectorELNS0_4arch9wavefront6targetE1EEEvSI_: ; @_ZN7rocprim17ROCPRIM_400000_NS6detail17trampoline_kernelINS0_14default_configENS1_35radix_sort_onesweep_config_selectorIxNS0_10empty_typeEEEZNS1_34radix_sort_onesweep_global_offsetsIS3_Lb0EN6thrust23THRUST_200600_302600_NS6detail15normal_iteratorINS9_10device_ptrIxEEEEPS5_jNS0_19identity_decomposerEEE10hipError_tT1_T2_PT3_SK_jT4_jjP12ihipStream_tbEUlT_E0_NS1_11comp_targetILNS1_3genE4ELNS1_11target_archE910ELNS1_3gpuE8ELNS1_3repE0EEENS1_52radix_sort_onesweep_histogram_config_static_selectorELNS0_4arch9wavefront6targetE1EEEvSI_
; %bb.0:
	s_load_dwordx2 s[0:1], s[4:5], 0x0
	s_lshl_b32 s2, s6, 8
	s_mov_b32 s3, 0
	s_lshl_b64 s[2:3], s[2:3], 2
	v_lshlrev_b32_e32 v1, 2, v0
	s_waitcnt lgkmcnt(0)
	s_add_u32 s10, s0, s2
	s_movk_i32 s0, 0x100
	s_addc_u32 s11, s1, s3
	v_cmp_gt_u32_e32 vcc, s0, v0
                                        ; implicit-def: $vgpr3
	s_and_saveexec_b64 s[0:1], vcc
	s_cbranch_execz .LBB1528_2
; %bb.1:
	global_load_dword v3, v1, s[10:11]
.LBB1528_2:
	s_or_b64 exec, exec, s[0:1]
	v_mbcnt_lo_u32_b32 v2, -1, 0
	v_mbcnt_hi_u32_b32 v2, -1, v2
	v_and_b32_e32 v4, 15, v2
	s_waitcnt vmcnt(0)
	v_mov_b32_dpp v5, v3 row_shr:1 row_mask:0xf bank_mask:0xf
	v_cmp_eq_u32_e64 s[0:1], 0, v4
	v_cndmask_b32_e64 v5, v5, 0, s[0:1]
	v_add_u32_e32 v3, v5, v3
	v_cmp_lt_u32_e64 s[2:3], 1, v4
	v_cmp_lt_u32_e64 s[4:5], 3, v4
	v_mov_b32_dpp v5, v3 row_shr:2 row_mask:0xf bank_mask:0xf
	v_cndmask_b32_e64 v5, 0, v5, s[2:3]
	v_add_u32_e32 v3, v3, v5
	v_cmp_lt_u32_e64 s[6:7], 7, v4
	v_cmp_lt_u32_e64 s[8:9], 31, v2
	v_mov_b32_dpp v5, v3 row_shr:4 row_mask:0xf bank_mask:0xf
	v_cndmask_b32_e64 v5, 0, v5, s[4:5]
	v_add_u32_e32 v3, v3, v5
	s_nop 1
	v_mov_b32_dpp v5, v3 row_shr:8 row_mask:0xf bank_mask:0xf
	v_cndmask_b32_e64 v4, 0, v5, s[6:7]
	v_add_u32_e32 v3, v3, v4
	v_bfe_i32 v5, v2, 4, 1
	s_nop 0
	v_mov_b32_dpp v4, v3 row_bcast:15 row_mask:0xf bank_mask:0xf
	v_and_b32_e32 v4, v5, v4
	v_add_u32_e32 v3, v3, v4
	v_and_b32_e32 v5, 63, v0
	s_nop 0
	v_mov_b32_dpp v4, v3 row_bcast:31 row_mask:0xf bank_mask:0xf
	v_cndmask_b32_e64 v4, 0, v4, s[8:9]
	v_add_u32_e32 v3, v3, v4
	v_lshrrev_b32_e32 v4, 6, v0
	v_cmp_eq_u32_e64 s[8:9], 63, v5
	s_and_saveexec_b64 s[12:13], s[8:9]
	s_cbranch_execz .LBB1528_4
; %bb.3:
	v_lshlrev_b32_e32 v5, 2, v4
	ds_write_b32 v5, v3
.LBB1528_4:
	s_or_b64 exec, exec, s[12:13]
	v_cmp_gt_u32_e64 s[8:9], 16, v0
	s_waitcnt lgkmcnt(0)
	s_barrier
	s_and_saveexec_b64 s[12:13], s[8:9]
	s_cbranch_execz .LBB1528_6
; %bb.5:
	ds_read_b32 v5, v1
	s_waitcnt lgkmcnt(0)
	s_nop 0
	v_mov_b32_dpp v6, v5 row_shr:1 row_mask:0xf bank_mask:0xf
	v_cndmask_b32_e64 v6, v6, 0, s[0:1]
	v_add_u32_e32 v5, v6, v5
	s_nop 1
	v_mov_b32_dpp v6, v5 row_shr:2 row_mask:0xf bank_mask:0xf
	v_cndmask_b32_e64 v6, 0, v6, s[2:3]
	v_add_u32_e32 v5, v5, v6
	;; [unrolled: 4-line block ×4, first 2 shown]
	ds_write_b32 v1, v5
.LBB1528_6:
	s_or_b64 exec, exec, s[12:13]
	v_cmp_lt_u32_e64 s[0:1], 63, v0
	v_mov_b32_e32 v0, 0
	s_waitcnt lgkmcnt(0)
	s_barrier
	s_and_saveexec_b64 s[2:3], s[0:1]
	s_cbranch_execz .LBB1528_8
; %bb.7:
	v_lshl_add_u32 v0, v4, 2, -4
	ds_read_b32 v0, v0
.LBB1528_8:
	s_or_b64 exec, exec, s[2:3]
	v_add_u32_e32 v4, -1, v2
	v_and_b32_e32 v5, 64, v2
	v_cmp_lt_i32_e64 s[0:1], v4, v5
	v_cndmask_b32_e64 v4, v4, v2, s[0:1]
	s_waitcnt lgkmcnt(0)
	v_add_u32_e32 v3, v0, v3
	v_lshlrev_b32_e32 v4, 2, v4
	ds_bpermute_b32 v3, v4, v3
	s_and_saveexec_b64 s[0:1], vcc
	s_cbranch_execz .LBB1528_10
; %bb.9:
	v_cmp_eq_u32_e32 vcc, 0, v2
	s_waitcnt lgkmcnt(0)
	v_cndmask_b32_e32 v0, v3, v0, vcc
	global_store_dword v1, v0, s[10:11]
.LBB1528_10:
	s_endpgm
	.section	.rodata,"a",@progbits
	.p2align	6, 0x0
	.amdhsa_kernel _ZN7rocprim17ROCPRIM_400000_NS6detail17trampoline_kernelINS0_14default_configENS1_35radix_sort_onesweep_config_selectorIxNS0_10empty_typeEEEZNS1_34radix_sort_onesweep_global_offsetsIS3_Lb0EN6thrust23THRUST_200600_302600_NS6detail15normal_iteratorINS9_10device_ptrIxEEEEPS5_jNS0_19identity_decomposerEEE10hipError_tT1_T2_PT3_SK_jT4_jjP12ihipStream_tbEUlT_E0_NS1_11comp_targetILNS1_3genE4ELNS1_11target_archE910ELNS1_3gpuE8ELNS1_3repE0EEENS1_52radix_sort_onesweep_histogram_config_static_selectorELNS0_4arch9wavefront6targetE1EEEvSI_
		.amdhsa_group_segment_fixed_size 64
		.amdhsa_private_segment_fixed_size 0
		.amdhsa_kernarg_size 8
		.amdhsa_user_sgpr_count 6
		.amdhsa_user_sgpr_private_segment_buffer 1
		.amdhsa_user_sgpr_dispatch_ptr 0
		.amdhsa_user_sgpr_queue_ptr 0
		.amdhsa_user_sgpr_kernarg_segment_ptr 1
		.amdhsa_user_sgpr_dispatch_id 0
		.amdhsa_user_sgpr_flat_scratch_init 0
		.amdhsa_user_sgpr_kernarg_preload_length 0
		.amdhsa_user_sgpr_kernarg_preload_offset 0
		.amdhsa_user_sgpr_private_segment_size 0
		.amdhsa_uses_dynamic_stack 0
		.amdhsa_system_sgpr_private_segment_wavefront_offset 0
		.amdhsa_system_sgpr_workgroup_id_x 1
		.amdhsa_system_sgpr_workgroup_id_y 0
		.amdhsa_system_sgpr_workgroup_id_z 0
		.amdhsa_system_sgpr_workgroup_info 0
		.amdhsa_system_vgpr_workitem_id 0
		.amdhsa_next_free_vgpr 7
		.amdhsa_next_free_sgpr 14
		.amdhsa_accum_offset 8
		.amdhsa_reserve_vcc 1
		.amdhsa_reserve_flat_scratch 0
		.amdhsa_float_round_mode_32 0
		.amdhsa_float_round_mode_16_64 0
		.amdhsa_float_denorm_mode_32 3
		.amdhsa_float_denorm_mode_16_64 3
		.amdhsa_dx10_clamp 1
		.amdhsa_ieee_mode 1
		.amdhsa_fp16_overflow 0
		.amdhsa_tg_split 0
		.amdhsa_exception_fp_ieee_invalid_op 0
		.amdhsa_exception_fp_denorm_src 0
		.amdhsa_exception_fp_ieee_div_zero 0
		.amdhsa_exception_fp_ieee_overflow 0
		.amdhsa_exception_fp_ieee_underflow 0
		.amdhsa_exception_fp_ieee_inexact 0
		.amdhsa_exception_int_div_zero 0
	.end_amdhsa_kernel
	.section	.text._ZN7rocprim17ROCPRIM_400000_NS6detail17trampoline_kernelINS0_14default_configENS1_35radix_sort_onesweep_config_selectorIxNS0_10empty_typeEEEZNS1_34radix_sort_onesweep_global_offsetsIS3_Lb0EN6thrust23THRUST_200600_302600_NS6detail15normal_iteratorINS9_10device_ptrIxEEEEPS5_jNS0_19identity_decomposerEEE10hipError_tT1_T2_PT3_SK_jT4_jjP12ihipStream_tbEUlT_E0_NS1_11comp_targetILNS1_3genE4ELNS1_11target_archE910ELNS1_3gpuE8ELNS1_3repE0EEENS1_52radix_sort_onesweep_histogram_config_static_selectorELNS0_4arch9wavefront6targetE1EEEvSI_,"axG",@progbits,_ZN7rocprim17ROCPRIM_400000_NS6detail17trampoline_kernelINS0_14default_configENS1_35radix_sort_onesweep_config_selectorIxNS0_10empty_typeEEEZNS1_34radix_sort_onesweep_global_offsetsIS3_Lb0EN6thrust23THRUST_200600_302600_NS6detail15normal_iteratorINS9_10device_ptrIxEEEEPS5_jNS0_19identity_decomposerEEE10hipError_tT1_T2_PT3_SK_jT4_jjP12ihipStream_tbEUlT_E0_NS1_11comp_targetILNS1_3genE4ELNS1_11target_archE910ELNS1_3gpuE8ELNS1_3repE0EEENS1_52radix_sort_onesweep_histogram_config_static_selectorELNS0_4arch9wavefront6targetE1EEEvSI_,comdat
.Lfunc_end1528:
	.size	_ZN7rocprim17ROCPRIM_400000_NS6detail17trampoline_kernelINS0_14default_configENS1_35radix_sort_onesweep_config_selectorIxNS0_10empty_typeEEEZNS1_34radix_sort_onesweep_global_offsetsIS3_Lb0EN6thrust23THRUST_200600_302600_NS6detail15normal_iteratorINS9_10device_ptrIxEEEEPS5_jNS0_19identity_decomposerEEE10hipError_tT1_T2_PT3_SK_jT4_jjP12ihipStream_tbEUlT_E0_NS1_11comp_targetILNS1_3genE4ELNS1_11target_archE910ELNS1_3gpuE8ELNS1_3repE0EEENS1_52radix_sort_onesweep_histogram_config_static_selectorELNS0_4arch9wavefront6targetE1EEEvSI_, .Lfunc_end1528-_ZN7rocprim17ROCPRIM_400000_NS6detail17trampoline_kernelINS0_14default_configENS1_35radix_sort_onesweep_config_selectorIxNS0_10empty_typeEEEZNS1_34radix_sort_onesweep_global_offsetsIS3_Lb0EN6thrust23THRUST_200600_302600_NS6detail15normal_iteratorINS9_10device_ptrIxEEEEPS5_jNS0_19identity_decomposerEEE10hipError_tT1_T2_PT3_SK_jT4_jjP12ihipStream_tbEUlT_E0_NS1_11comp_targetILNS1_3genE4ELNS1_11target_archE910ELNS1_3gpuE8ELNS1_3repE0EEENS1_52radix_sort_onesweep_histogram_config_static_selectorELNS0_4arch9wavefront6targetE1EEEvSI_
                                        ; -- End function
	.section	.AMDGPU.csdata,"",@progbits
; Kernel info:
; codeLenInByte = 572
; NumSgprs: 18
; NumVgprs: 7
; NumAgprs: 0
; TotalNumVgprs: 7
; ScratchSize: 0
; MemoryBound: 0
; FloatMode: 240
; IeeeMode: 1
; LDSByteSize: 64 bytes/workgroup (compile time only)
; SGPRBlocks: 2
; VGPRBlocks: 0
; NumSGPRsForWavesPerEU: 18
; NumVGPRsForWavesPerEU: 7
; AccumOffset: 8
; Occupancy: 8
; WaveLimiterHint : 0
; COMPUTE_PGM_RSRC2:SCRATCH_EN: 0
; COMPUTE_PGM_RSRC2:USER_SGPR: 6
; COMPUTE_PGM_RSRC2:TRAP_HANDLER: 0
; COMPUTE_PGM_RSRC2:TGID_X_EN: 1
; COMPUTE_PGM_RSRC2:TGID_Y_EN: 0
; COMPUTE_PGM_RSRC2:TGID_Z_EN: 0
; COMPUTE_PGM_RSRC2:TIDIG_COMP_CNT: 0
; COMPUTE_PGM_RSRC3_GFX90A:ACCUM_OFFSET: 1
; COMPUTE_PGM_RSRC3_GFX90A:TG_SPLIT: 0
	.section	.text._ZN7rocprim17ROCPRIM_400000_NS6detail17trampoline_kernelINS0_14default_configENS1_35radix_sort_onesweep_config_selectorIxNS0_10empty_typeEEEZNS1_34radix_sort_onesweep_global_offsetsIS3_Lb0EN6thrust23THRUST_200600_302600_NS6detail15normal_iteratorINS9_10device_ptrIxEEEEPS5_jNS0_19identity_decomposerEEE10hipError_tT1_T2_PT3_SK_jT4_jjP12ihipStream_tbEUlT_E0_NS1_11comp_targetILNS1_3genE3ELNS1_11target_archE908ELNS1_3gpuE7ELNS1_3repE0EEENS1_52radix_sort_onesweep_histogram_config_static_selectorELNS0_4arch9wavefront6targetE1EEEvSI_,"axG",@progbits,_ZN7rocprim17ROCPRIM_400000_NS6detail17trampoline_kernelINS0_14default_configENS1_35radix_sort_onesweep_config_selectorIxNS0_10empty_typeEEEZNS1_34radix_sort_onesweep_global_offsetsIS3_Lb0EN6thrust23THRUST_200600_302600_NS6detail15normal_iteratorINS9_10device_ptrIxEEEEPS5_jNS0_19identity_decomposerEEE10hipError_tT1_T2_PT3_SK_jT4_jjP12ihipStream_tbEUlT_E0_NS1_11comp_targetILNS1_3genE3ELNS1_11target_archE908ELNS1_3gpuE7ELNS1_3repE0EEENS1_52radix_sort_onesweep_histogram_config_static_selectorELNS0_4arch9wavefront6targetE1EEEvSI_,comdat
	.protected	_ZN7rocprim17ROCPRIM_400000_NS6detail17trampoline_kernelINS0_14default_configENS1_35radix_sort_onesweep_config_selectorIxNS0_10empty_typeEEEZNS1_34radix_sort_onesweep_global_offsetsIS3_Lb0EN6thrust23THRUST_200600_302600_NS6detail15normal_iteratorINS9_10device_ptrIxEEEEPS5_jNS0_19identity_decomposerEEE10hipError_tT1_T2_PT3_SK_jT4_jjP12ihipStream_tbEUlT_E0_NS1_11comp_targetILNS1_3genE3ELNS1_11target_archE908ELNS1_3gpuE7ELNS1_3repE0EEENS1_52radix_sort_onesweep_histogram_config_static_selectorELNS0_4arch9wavefront6targetE1EEEvSI_ ; -- Begin function _ZN7rocprim17ROCPRIM_400000_NS6detail17trampoline_kernelINS0_14default_configENS1_35radix_sort_onesweep_config_selectorIxNS0_10empty_typeEEEZNS1_34radix_sort_onesweep_global_offsetsIS3_Lb0EN6thrust23THRUST_200600_302600_NS6detail15normal_iteratorINS9_10device_ptrIxEEEEPS5_jNS0_19identity_decomposerEEE10hipError_tT1_T2_PT3_SK_jT4_jjP12ihipStream_tbEUlT_E0_NS1_11comp_targetILNS1_3genE3ELNS1_11target_archE908ELNS1_3gpuE7ELNS1_3repE0EEENS1_52radix_sort_onesweep_histogram_config_static_selectorELNS0_4arch9wavefront6targetE1EEEvSI_
	.globl	_ZN7rocprim17ROCPRIM_400000_NS6detail17trampoline_kernelINS0_14default_configENS1_35radix_sort_onesweep_config_selectorIxNS0_10empty_typeEEEZNS1_34radix_sort_onesweep_global_offsetsIS3_Lb0EN6thrust23THRUST_200600_302600_NS6detail15normal_iteratorINS9_10device_ptrIxEEEEPS5_jNS0_19identity_decomposerEEE10hipError_tT1_T2_PT3_SK_jT4_jjP12ihipStream_tbEUlT_E0_NS1_11comp_targetILNS1_3genE3ELNS1_11target_archE908ELNS1_3gpuE7ELNS1_3repE0EEENS1_52radix_sort_onesweep_histogram_config_static_selectorELNS0_4arch9wavefront6targetE1EEEvSI_
	.p2align	8
	.type	_ZN7rocprim17ROCPRIM_400000_NS6detail17trampoline_kernelINS0_14default_configENS1_35radix_sort_onesweep_config_selectorIxNS0_10empty_typeEEEZNS1_34radix_sort_onesweep_global_offsetsIS3_Lb0EN6thrust23THRUST_200600_302600_NS6detail15normal_iteratorINS9_10device_ptrIxEEEEPS5_jNS0_19identity_decomposerEEE10hipError_tT1_T2_PT3_SK_jT4_jjP12ihipStream_tbEUlT_E0_NS1_11comp_targetILNS1_3genE3ELNS1_11target_archE908ELNS1_3gpuE7ELNS1_3repE0EEENS1_52radix_sort_onesweep_histogram_config_static_selectorELNS0_4arch9wavefront6targetE1EEEvSI_,@function
_ZN7rocprim17ROCPRIM_400000_NS6detail17trampoline_kernelINS0_14default_configENS1_35radix_sort_onesweep_config_selectorIxNS0_10empty_typeEEEZNS1_34radix_sort_onesweep_global_offsetsIS3_Lb0EN6thrust23THRUST_200600_302600_NS6detail15normal_iteratorINS9_10device_ptrIxEEEEPS5_jNS0_19identity_decomposerEEE10hipError_tT1_T2_PT3_SK_jT4_jjP12ihipStream_tbEUlT_E0_NS1_11comp_targetILNS1_3genE3ELNS1_11target_archE908ELNS1_3gpuE7ELNS1_3repE0EEENS1_52radix_sort_onesweep_histogram_config_static_selectorELNS0_4arch9wavefront6targetE1EEEvSI_: ; @_ZN7rocprim17ROCPRIM_400000_NS6detail17trampoline_kernelINS0_14default_configENS1_35radix_sort_onesweep_config_selectorIxNS0_10empty_typeEEEZNS1_34radix_sort_onesweep_global_offsetsIS3_Lb0EN6thrust23THRUST_200600_302600_NS6detail15normal_iteratorINS9_10device_ptrIxEEEEPS5_jNS0_19identity_decomposerEEE10hipError_tT1_T2_PT3_SK_jT4_jjP12ihipStream_tbEUlT_E0_NS1_11comp_targetILNS1_3genE3ELNS1_11target_archE908ELNS1_3gpuE7ELNS1_3repE0EEENS1_52radix_sort_onesweep_histogram_config_static_selectorELNS0_4arch9wavefront6targetE1EEEvSI_
; %bb.0:
	.section	.rodata,"a",@progbits
	.p2align	6, 0x0
	.amdhsa_kernel _ZN7rocprim17ROCPRIM_400000_NS6detail17trampoline_kernelINS0_14default_configENS1_35radix_sort_onesweep_config_selectorIxNS0_10empty_typeEEEZNS1_34radix_sort_onesweep_global_offsetsIS3_Lb0EN6thrust23THRUST_200600_302600_NS6detail15normal_iteratorINS9_10device_ptrIxEEEEPS5_jNS0_19identity_decomposerEEE10hipError_tT1_T2_PT3_SK_jT4_jjP12ihipStream_tbEUlT_E0_NS1_11comp_targetILNS1_3genE3ELNS1_11target_archE908ELNS1_3gpuE7ELNS1_3repE0EEENS1_52radix_sort_onesweep_histogram_config_static_selectorELNS0_4arch9wavefront6targetE1EEEvSI_
		.amdhsa_group_segment_fixed_size 0
		.amdhsa_private_segment_fixed_size 0
		.amdhsa_kernarg_size 8
		.amdhsa_user_sgpr_count 6
		.amdhsa_user_sgpr_private_segment_buffer 1
		.amdhsa_user_sgpr_dispatch_ptr 0
		.amdhsa_user_sgpr_queue_ptr 0
		.amdhsa_user_sgpr_kernarg_segment_ptr 1
		.amdhsa_user_sgpr_dispatch_id 0
		.amdhsa_user_sgpr_flat_scratch_init 0
		.amdhsa_user_sgpr_kernarg_preload_length 0
		.amdhsa_user_sgpr_kernarg_preload_offset 0
		.amdhsa_user_sgpr_private_segment_size 0
		.amdhsa_uses_dynamic_stack 0
		.amdhsa_system_sgpr_private_segment_wavefront_offset 0
		.amdhsa_system_sgpr_workgroup_id_x 1
		.amdhsa_system_sgpr_workgroup_id_y 0
		.amdhsa_system_sgpr_workgroup_id_z 0
		.amdhsa_system_sgpr_workgroup_info 0
		.amdhsa_system_vgpr_workitem_id 0
		.amdhsa_next_free_vgpr 1
		.amdhsa_next_free_sgpr 0
		.amdhsa_accum_offset 4
		.amdhsa_reserve_vcc 0
		.amdhsa_reserve_flat_scratch 0
		.amdhsa_float_round_mode_32 0
		.amdhsa_float_round_mode_16_64 0
		.amdhsa_float_denorm_mode_32 3
		.amdhsa_float_denorm_mode_16_64 3
		.amdhsa_dx10_clamp 1
		.amdhsa_ieee_mode 1
		.amdhsa_fp16_overflow 0
		.amdhsa_tg_split 0
		.amdhsa_exception_fp_ieee_invalid_op 0
		.amdhsa_exception_fp_denorm_src 0
		.amdhsa_exception_fp_ieee_div_zero 0
		.amdhsa_exception_fp_ieee_overflow 0
		.amdhsa_exception_fp_ieee_underflow 0
		.amdhsa_exception_fp_ieee_inexact 0
		.amdhsa_exception_int_div_zero 0
	.end_amdhsa_kernel
	.section	.text._ZN7rocprim17ROCPRIM_400000_NS6detail17trampoline_kernelINS0_14default_configENS1_35radix_sort_onesweep_config_selectorIxNS0_10empty_typeEEEZNS1_34radix_sort_onesweep_global_offsetsIS3_Lb0EN6thrust23THRUST_200600_302600_NS6detail15normal_iteratorINS9_10device_ptrIxEEEEPS5_jNS0_19identity_decomposerEEE10hipError_tT1_T2_PT3_SK_jT4_jjP12ihipStream_tbEUlT_E0_NS1_11comp_targetILNS1_3genE3ELNS1_11target_archE908ELNS1_3gpuE7ELNS1_3repE0EEENS1_52radix_sort_onesweep_histogram_config_static_selectorELNS0_4arch9wavefront6targetE1EEEvSI_,"axG",@progbits,_ZN7rocprim17ROCPRIM_400000_NS6detail17trampoline_kernelINS0_14default_configENS1_35radix_sort_onesweep_config_selectorIxNS0_10empty_typeEEEZNS1_34radix_sort_onesweep_global_offsetsIS3_Lb0EN6thrust23THRUST_200600_302600_NS6detail15normal_iteratorINS9_10device_ptrIxEEEEPS5_jNS0_19identity_decomposerEEE10hipError_tT1_T2_PT3_SK_jT4_jjP12ihipStream_tbEUlT_E0_NS1_11comp_targetILNS1_3genE3ELNS1_11target_archE908ELNS1_3gpuE7ELNS1_3repE0EEENS1_52radix_sort_onesweep_histogram_config_static_selectorELNS0_4arch9wavefront6targetE1EEEvSI_,comdat
.Lfunc_end1529:
	.size	_ZN7rocprim17ROCPRIM_400000_NS6detail17trampoline_kernelINS0_14default_configENS1_35radix_sort_onesweep_config_selectorIxNS0_10empty_typeEEEZNS1_34radix_sort_onesweep_global_offsetsIS3_Lb0EN6thrust23THRUST_200600_302600_NS6detail15normal_iteratorINS9_10device_ptrIxEEEEPS5_jNS0_19identity_decomposerEEE10hipError_tT1_T2_PT3_SK_jT4_jjP12ihipStream_tbEUlT_E0_NS1_11comp_targetILNS1_3genE3ELNS1_11target_archE908ELNS1_3gpuE7ELNS1_3repE0EEENS1_52radix_sort_onesweep_histogram_config_static_selectorELNS0_4arch9wavefront6targetE1EEEvSI_, .Lfunc_end1529-_ZN7rocprim17ROCPRIM_400000_NS6detail17trampoline_kernelINS0_14default_configENS1_35radix_sort_onesweep_config_selectorIxNS0_10empty_typeEEEZNS1_34radix_sort_onesweep_global_offsetsIS3_Lb0EN6thrust23THRUST_200600_302600_NS6detail15normal_iteratorINS9_10device_ptrIxEEEEPS5_jNS0_19identity_decomposerEEE10hipError_tT1_T2_PT3_SK_jT4_jjP12ihipStream_tbEUlT_E0_NS1_11comp_targetILNS1_3genE3ELNS1_11target_archE908ELNS1_3gpuE7ELNS1_3repE0EEENS1_52radix_sort_onesweep_histogram_config_static_selectorELNS0_4arch9wavefront6targetE1EEEvSI_
                                        ; -- End function
	.section	.AMDGPU.csdata,"",@progbits
; Kernel info:
; codeLenInByte = 0
; NumSgprs: 4
; NumVgprs: 0
; NumAgprs: 0
; TotalNumVgprs: 0
; ScratchSize: 0
; MemoryBound: 0
; FloatMode: 240
; IeeeMode: 1
; LDSByteSize: 0 bytes/workgroup (compile time only)
; SGPRBlocks: 0
; VGPRBlocks: 0
; NumSGPRsForWavesPerEU: 4
; NumVGPRsForWavesPerEU: 1
; AccumOffset: 4
; Occupancy: 8
; WaveLimiterHint : 0
; COMPUTE_PGM_RSRC2:SCRATCH_EN: 0
; COMPUTE_PGM_RSRC2:USER_SGPR: 6
; COMPUTE_PGM_RSRC2:TRAP_HANDLER: 0
; COMPUTE_PGM_RSRC2:TGID_X_EN: 1
; COMPUTE_PGM_RSRC2:TGID_Y_EN: 0
; COMPUTE_PGM_RSRC2:TGID_Z_EN: 0
; COMPUTE_PGM_RSRC2:TIDIG_COMP_CNT: 0
; COMPUTE_PGM_RSRC3_GFX90A:ACCUM_OFFSET: 0
; COMPUTE_PGM_RSRC3_GFX90A:TG_SPLIT: 0
	.section	.text._ZN7rocprim17ROCPRIM_400000_NS6detail17trampoline_kernelINS0_14default_configENS1_35radix_sort_onesweep_config_selectorIxNS0_10empty_typeEEEZNS1_34radix_sort_onesweep_global_offsetsIS3_Lb0EN6thrust23THRUST_200600_302600_NS6detail15normal_iteratorINS9_10device_ptrIxEEEEPS5_jNS0_19identity_decomposerEEE10hipError_tT1_T2_PT3_SK_jT4_jjP12ihipStream_tbEUlT_E0_NS1_11comp_targetILNS1_3genE10ELNS1_11target_archE1201ELNS1_3gpuE5ELNS1_3repE0EEENS1_52radix_sort_onesweep_histogram_config_static_selectorELNS0_4arch9wavefront6targetE1EEEvSI_,"axG",@progbits,_ZN7rocprim17ROCPRIM_400000_NS6detail17trampoline_kernelINS0_14default_configENS1_35radix_sort_onesweep_config_selectorIxNS0_10empty_typeEEEZNS1_34radix_sort_onesweep_global_offsetsIS3_Lb0EN6thrust23THRUST_200600_302600_NS6detail15normal_iteratorINS9_10device_ptrIxEEEEPS5_jNS0_19identity_decomposerEEE10hipError_tT1_T2_PT3_SK_jT4_jjP12ihipStream_tbEUlT_E0_NS1_11comp_targetILNS1_3genE10ELNS1_11target_archE1201ELNS1_3gpuE5ELNS1_3repE0EEENS1_52radix_sort_onesweep_histogram_config_static_selectorELNS0_4arch9wavefront6targetE1EEEvSI_,comdat
	.protected	_ZN7rocprim17ROCPRIM_400000_NS6detail17trampoline_kernelINS0_14default_configENS1_35radix_sort_onesweep_config_selectorIxNS0_10empty_typeEEEZNS1_34radix_sort_onesweep_global_offsetsIS3_Lb0EN6thrust23THRUST_200600_302600_NS6detail15normal_iteratorINS9_10device_ptrIxEEEEPS5_jNS0_19identity_decomposerEEE10hipError_tT1_T2_PT3_SK_jT4_jjP12ihipStream_tbEUlT_E0_NS1_11comp_targetILNS1_3genE10ELNS1_11target_archE1201ELNS1_3gpuE5ELNS1_3repE0EEENS1_52radix_sort_onesweep_histogram_config_static_selectorELNS0_4arch9wavefront6targetE1EEEvSI_ ; -- Begin function _ZN7rocprim17ROCPRIM_400000_NS6detail17trampoline_kernelINS0_14default_configENS1_35radix_sort_onesweep_config_selectorIxNS0_10empty_typeEEEZNS1_34radix_sort_onesweep_global_offsetsIS3_Lb0EN6thrust23THRUST_200600_302600_NS6detail15normal_iteratorINS9_10device_ptrIxEEEEPS5_jNS0_19identity_decomposerEEE10hipError_tT1_T2_PT3_SK_jT4_jjP12ihipStream_tbEUlT_E0_NS1_11comp_targetILNS1_3genE10ELNS1_11target_archE1201ELNS1_3gpuE5ELNS1_3repE0EEENS1_52radix_sort_onesweep_histogram_config_static_selectorELNS0_4arch9wavefront6targetE1EEEvSI_
	.globl	_ZN7rocprim17ROCPRIM_400000_NS6detail17trampoline_kernelINS0_14default_configENS1_35radix_sort_onesweep_config_selectorIxNS0_10empty_typeEEEZNS1_34radix_sort_onesweep_global_offsetsIS3_Lb0EN6thrust23THRUST_200600_302600_NS6detail15normal_iteratorINS9_10device_ptrIxEEEEPS5_jNS0_19identity_decomposerEEE10hipError_tT1_T2_PT3_SK_jT4_jjP12ihipStream_tbEUlT_E0_NS1_11comp_targetILNS1_3genE10ELNS1_11target_archE1201ELNS1_3gpuE5ELNS1_3repE0EEENS1_52radix_sort_onesweep_histogram_config_static_selectorELNS0_4arch9wavefront6targetE1EEEvSI_
	.p2align	8
	.type	_ZN7rocprim17ROCPRIM_400000_NS6detail17trampoline_kernelINS0_14default_configENS1_35radix_sort_onesweep_config_selectorIxNS0_10empty_typeEEEZNS1_34radix_sort_onesweep_global_offsetsIS3_Lb0EN6thrust23THRUST_200600_302600_NS6detail15normal_iteratorINS9_10device_ptrIxEEEEPS5_jNS0_19identity_decomposerEEE10hipError_tT1_T2_PT3_SK_jT4_jjP12ihipStream_tbEUlT_E0_NS1_11comp_targetILNS1_3genE10ELNS1_11target_archE1201ELNS1_3gpuE5ELNS1_3repE0EEENS1_52radix_sort_onesweep_histogram_config_static_selectorELNS0_4arch9wavefront6targetE1EEEvSI_,@function
_ZN7rocprim17ROCPRIM_400000_NS6detail17trampoline_kernelINS0_14default_configENS1_35radix_sort_onesweep_config_selectorIxNS0_10empty_typeEEEZNS1_34radix_sort_onesweep_global_offsetsIS3_Lb0EN6thrust23THRUST_200600_302600_NS6detail15normal_iteratorINS9_10device_ptrIxEEEEPS5_jNS0_19identity_decomposerEEE10hipError_tT1_T2_PT3_SK_jT4_jjP12ihipStream_tbEUlT_E0_NS1_11comp_targetILNS1_3genE10ELNS1_11target_archE1201ELNS1_3gpuE5ELNS1_3repE0EEENS1_52radix_sort_onesweep_histogram_config_static_selectorELNS0_4arch9wavefront6targetE1EEEvSI_: ; @_ZN7rocprim17ROCPRIM_400000_NS6detail17trampoline_kernelINS0_14default_configENS1_35radix_sort_onesweep_config_selectorIxNS0_10empty_typeEEEZNS1_34radix_sort_onesweep_global_offsetsIS3_Lb0EN6thrust23THRUST_200600_302600_NS6detail15normal_iteratorINS9_10device_ptrIxEEEEPS5_jNS0_19identity_decomposerEEE10hipError_tT1_T2_PT3_SK_jT4_jjP12ihipStream_tbEUlT_E0_NS1_11comp_targetILNS1_3genE10ELNS1_11target_archE1201ELNS1_3gpuE5ELNS1_3repE0EEENS1_52radix_sort_onesweep_histogram_config_static_selectorELNS0_4arch9wavefront6targetE1EEEvSI_
; %bb.0:
	.section	.rodata,"a",@progbits
	.p2align	6, 0x0
	.amdhsa_kernel _ZN7rocprim17ROCPRIM_400000_NS6detail17trampoline_kernelINS0_14default_configENS1_35radix_sort_onesweep_config_selectorIxNS0_10empty_typeEEEZNS1_34radix_sort_onesweep_global_offsetsIS3_Lb0EN6thrust23THRUST_200600_302600_NS6detail15normal_iteratorINS9_10device_ptrIxEEEEPS5_jNS0_19identity_decomposerEEE10hipError_tT1_T2_PT3_SK_jT4_jjP12ihipStream_tbEUlT_E0_NS1_11comp_targetILNS1_3genE10ELNS1_11target_archE1201ELNS1_3gpuE5ELNS1_3repE0EEENS1_52radix_sort_onesweep_histogram_config_static_selectorELNS0_4arch9wavefront6targetE1EEEvSI_
		.amdhsa_group_segment_fixed_size 0
		.amdhsa_private_segment_fixed_size 0
		.amdhsa_kernarg_size 8
		.amdhsa_user_sgpr_count 6
		.amdhsa_user_sgpr_private_segment_buffer 1
		.amdhsa_user_sgpr_dispatch_ptr 0
		.amdhsa_user_sgpr_queue_ptr 0
		.amdhsa_user_sgpr_kernarg_segment_ptr 1
		.amdhsa_user_sgpr_dispatch_id 0
		.amdhsa_user_sgpr_flat_scratch_init 0
		.amdhsa_user_sgpr_kernarg_preload_length 0
		.amdhsa_user_sgpr_kernarg_preload_offset 0
		.amdhsa_user_sgpr_private_segment_size 0
		.amdhsa_uses_dynamic_stack 0
		.amdhsa_system_sgpr_private_segment_wavefront_offset 0
		.amdhsa_system_sgpr_workgroup_id_x 1
		.amdhsa_system_sgpr_workgroup_id_y 0
		.amdhsa_system_sgpr_workgroup_id_z 0
		.amdhsa_system_sgpr_workgroup_info 0
		.amdhsa_system_vgpr_workitem_id 0
		.amdhsa_next_free_vgpr 1
		.amdhsa_next_free_sgpr 0
		.amdhsa_accum_offset 4
		.amdhsa_reserve_vcc 0
		.amdhsa_reserve_flat_scratch 0
		.amdhsa_float_round_mode_32 0
		.amdhsa_float_round_mode_16_64 0
		.amdhsa_float_denorm_mode_32 3
		.amdhsa_float_denorm_mode_16_64 3
		.amdhsa_dx10_clamp 1
		.amdhsa_ieee_mode 1
		.amdhsa_fp16_overflow 0
		.amdhsa_tg_split 0
		.amdhsa_exception_fp_ieee_invalid_op 0
		.amdhsa_exception_fp_denorm_src 0
		.amdhsa_exception_fp_ieee_div_zero 0
		.amdhsa_exception_fp_ieee_overflow 0
		.amdhsa_exception_fp_ieee_underflow 0
		.amdhsa_exception_fp_ieee_inexact 0
		.amdhsa_exception_int_div_zero 0
	.end_amdhsa_kernel
	.section	.text._ZN7rocprim17ROCPRIM_400000_NS6detail17trampoline_kernelINS0_14default_configENS1_35radix_sort_onesweep_config_selectorIxNS0_10empty_typeEEEZNS1_34radix_sort_onesweep_global_offsetsIS3_Lb0EN6thrust23THRUST_200600_302600_NS6detail15normal_iteratorINS9_10device_ptrIxEEEEPS5_jNS0_19identity_decomposerEEE10hipError_tT1_T2_PT3_SK_jT4_jjP12ihipStream_tbEUlT_E0_NS1_11comp_targetILNS1_3genE10ELNS1_11target_archE1201ELNS1_3gpuE5ELNS1_3repE0EEENS1_52radix_sort_onesweep_histogram_config_static_selectorELNS0_4arch9wavefront6targetE1EEEvSI_,"axG",@progbits,_ZN7rocprim17ROCPRIM_400000_NS6detail17trampoline_kernelINS0_14default_configENS1_35radix_sort_onesweep_config_selectorIxNS0_10empty_typeEEEZNS1_34radix_sort_onesweep_global_offsetsIS3_Lb0EN6thrust23THRUST_200600_302600_NS6detail15normal_iteratorINS9_10device_ptrIxEEEEPS5_jNS0_19identity_decomposerEEE10hipError_tT1_T2_PT3_SK_jT4_jjP12ihipStream_tbEUlT_E0_NS1_11comp_targetILNS1_3genE10ELNS1_11target_archE1201ELNS1_3gpuE5ELNS1_3repE0EEENS1_52radix_sort_onesweep_histogram_config_static_selectorELNS0_4arch9wavefront6targetE1EEEvSI_,comdat
.Lfunc_end1530:
	.size	_ZN7rocprim17ROCPRIM_400000_NS6detail17trampoline_kernelINS0_14default_configENS1_35radix_sort_onesweep_config_selectorIxNS0_10empty_typeEEEZNS1_34radix_sort_onesweep_global_offsetsIS3_Lb0EN6thrust23THRUST_200600_302600_NS6detail15normal_iteratorINS9_10device_ptrIxEEEEPS5_jNS0_19identity_decomposerEEE10hipError_tT1_T2_PT3_SK_jT4_jjP12ihipStream_tbEUlT_E0_NS1_11comp_targetILNS1_3genE10ELNS1_11target_archE1201ELNS1_3gpuE5ELNS1_3repE0EEENS1_52radix_sort_onesweep_histogram_config_static_selectorELNS0_4arch9wavefront6targetE1EEEvSI_, .Lfunc_end1530-_ZN7rocprim17ROCPRIM_400000_NS6detail17trampoline_kernelINS0_14default_configENS1_35radix_sort_onesweep_config_selectorIxNS0_10empty_typeEEEZNS1_34radix_sort_onesweep_global_offsetsIS3_Lb0EN6thrust23THRUST_200600_302600_NS6detail15normal_iteratorINS9_10device_ptrIxEEEEPS5_jNS0_19identity_decomposerEEE10hipError_tT1_T2_PT3_SK_jT4_jjP12ihipStream_tbEUlT_E0_NS1_11comp_targetILNS1_3genE10ELNS1_11target_archE1201ELNS1_3gpuE5ELNS1_3repE0EEENS1_52radix_sort_onesweep_histogram_config_static_selectorELNS0_4arch9wavefront6targetE1EEEvSI_
                                        ; -- End function
	.section	.AMDGPU.csdata,"",@progbits
; Kernel info:
; codeLenInByte = 0
; NumSgprs: 4
; NumVgprs: 0
; NumAgprs: 0
; TotalNumVgprs: 0
; ScratchSize: 0
; MemoryBound: 0
; FloatMode: 240
; IeeeMode: 1
; LDSByteSize: 0 bytes/workgroup (compile time only)
; SGPRBlocks: 0
; VGPRBlocks: 0
; NumSGPRsForWavesPerEU: 4
; NumVGPRsForWavesPerEU: 1
; AccumOffset: 4
; Occupancy: 8
; WaveLimiterHint : 0
; COMPUTE_PGM_RSRC2:SCRATCH_EN: 0
; COMPUTE_PGM_RSRC2:USER_SGPR: 6
; COMPUTE_PGM_RSRC2:TRAP_HANDLER: 0
; COMPUTE_PGM_RSRC2:TGID_X_EN: 1
; COMPUTE_PGM_RSRC2:TGID_Y_EN: 0
; COMPUTE_PGM_RSRC2:TGID_Z_EN: 0
; COMPUTE_PGM_RSRC2:TIDIG_COMP_CNT: 0
; COMPUTE_PGM_RSRC3_GFX90A:ACCUM_OFFSET: 0
; COMPUTE_PGM_RSRC3_GFX90A:TG_SPLIT: 0
	.section	.text._ZN7rocprim17ROCPRIM_400000_NS6detail17trampoline_kernelINS0_14default_configENS1_35radix_sort_onesweep_config_selectorIxNS0_10empty_typeEEEZNS1_34radix_sort_onesweep_global_offsetsIS3_Lb0EN6thrust23THRUST_200600_302600_NS6detail15normal_iteratorINS9_10device_ptrIxEEEEPS5_jNS0_19identity_decomposerEEE10hipError_tT1_T2_PT3_SK_jT4_jjP12ihipStream_tbEUlT_E0_NS1_11comp_targetILNS1_3genE9ELNS1_11target_archE1100ELNS1_3gpuE3ELNS1_3repE0EEENS1_52radix_sort_onesweep_histogram_config_static_selectorELNS0_4arch9wavefront6targetE1EEEvSI_,"axG",@progbits,_ZN7rocprim17ROCPRIM_400000_NS6detail17trampoline_kernelINS0_14default_configENS1_35radix_sort_onesweep_config_selectorIxNS0_10empty_typeEEEZNS1_34radix_sort_onesweep_global_offsetsIS3_Lb0EN6thrust23THRUST_200600_302600_NS6detail15normal_iteratorINS9_10device_ptrIxEEEEPS5_jNS0_19identity_decomposerEEE10hipError_tT1_T2_PT3_SK_jT4_jjP12ihipStream_tbEUlT_E0_NS1_11comp_targetILNS1_3genE9ELNS1_11target_archE1100ELNS1_3gpuE3ELNS1_3repE0EEENS1_52radix_sort_onesweep_histogram_config_static_selectorELNS0_4arch9wavefront6targetE1EEEvSI_,comdat
	.protected	_ZN7rocprim17ROCPRIM_400000_NS6detail17trampoline_kernelINS0_14default_configENS1_35radix_sort_onesweep_config_selectorIxNS0_10empty_typeEEEZNS1_34radix_sort_onesweep_global_offsetsIS3_Lb0EN6thrust23THRUST_200600_302600_NS6detail15normal_iteratorINS9_10device_ptrIxEEEEPS5_jNS0_19identity_decomposerEEE10hipError_tT1_T2_PT3_SK_jT4_jjP12ihipStream_tbEUlT_E0_NS1_11comp_targetILNS1_3genE9ELNS1_11target_archE1100ELNS1_3gpuE3ELNS1_3repE0EEENS1_52radix_sort_onesweep_histogram_config_static_selectorELNS0_4arch9wavefront6targetE1EEEvSI_ ; -- Begin function _ZN7rocprim17ROCPRIM_400000_NS6detail17trampoline_kernelINS0_14default_configENS1_35radix_sort_onesweep_config_selectorIxNS0_10empty_typeEEEZNS1_34radix_sort_onesweep_global_offsetsIS3_Lb0EN6thrust23THRUST_200600_302600_NS6detail15normal_iteratorINS9_10device_ptrIxEEEEPS5_jNS0_19identity_decomposerEEE10hipError_tT1_T2_PT3_SK_jT4_jjP12ihipStream_tbEUlT_E0_NS1_11comp_targetILNS1_3genE9ELNS1_11target_archE1100ELNS1_3gpuE3ELNS1_3repE0EEENS1_52radix_sort_onesweep_histogram_config_static_selectorELNS0_4arch9wavefront6targetE1EEEvSI_
	.globl	_ZN7rocprim17ROCPRIM_400000_NS6detail17trampoline_kernelINS0_14default_configENS1_35radix_sort_onesweep_config_selectorIxNS0_10empty_typeEEEZNS1_34radix_sort_onesweep_global_offsetsIS3_Lb0EN6thrust23THRUST_200600_302600_NS6detail15normal_iteratorINS9_10device_ptrIxEEEEPS5_jNS0_19identity_decomposerEEE10hipError_tT1_T2_PT3_SK_jT4_jjP12ihipStream_tbEUlT_E0_NS1_11comp_targetILNS1_3genE9ELNS1_11target_archE1100ELNS1_3gpuE3ELNS1_3repE0EEENS1_52radix_sort_onesweep_histogram_config_static_selectorELNS0_4arch9wavefront6targetE1EEEvSI_
	.p2align	8
	.type	_ZN7rocprim17ROCPRIM_400000_NS6detail17trampoline_kernelINS0_14default_configENS1_35radix_sort_onesweep_config_selectorIxNS0_10empty_typeEEEZNS1_34radix_sort_onesweep_global_offsetsIS3_Lb0EN6thrust23THRUST_200600_302600_NS6detail15normal_iteratorINS9_10device_ptrIxEEEEPS5_jNS0_19identity_decomposerEEE10hipError_tT1_T2_PT3_SK_jT4_jjP12ihipStream_tbEUlT_E0_NS1_11comp_targetILNS1_3genE9ELNS1_11target_archE1100ELNS1_3gpuE3ELNS1_3repE0EEENS1_52radix_sort_onesweep_histogram_config_static_selectorELNS0_4arch9wavefront6targetE1EEEvSI_,@function
_ZN7rocprim17ROCPRIM_400000_NS6detail17trampoline_kernelINS0_14default_configENS1_35radix_sort_onesweep_config_selectorIxNS0_10empty_typeEEEZNS1_34radix_sort_onesweep_global_offsetsIS3_Lb0EN6thrust23THRUST_200600_302600_NS6detail15normal_iteratorINS9_10device_ptrIxEEEEPS5_jNS0_19identity_decomposerEEE10hipError_tT1_T2_PT3_SK_jT4_jjP12ihipStream_tbEUlT_E0_NS1_11comp_targetILNS1_3genE9ELNS1_11target_archE1100ELNS1_3gpuE3ELNS1_3repE0EEENS1_52radix_sort_onesweep_histogram_config_static_selectorELNS0_4arch9wavefront6targetE1EEEvSI_: ; @_ZN7rocprim17ROCPRIM_400000_NS6detail17trampoline_kernelINS0_14default_configENS1_35radix_sort_onesweep_config_selectorIxNS0_10empty_typeEEEZNS1_34radix_sort_onesweep_global_offsetsIS3_Lb0EN6thrust23THRUST_200600_302600_NS6detail15normal_iteratorINS9_10device_ptrIxEEEEPS5_jNS0_19identity_decomposerEEE10hipError_tT1_T2_PT3_SK_jT4_jjP12ihipStream_tbEUlT_E0_NS1_11comp_targetILNS1_3genE9ELNS1_11target_archE1100ELNS1_3gpuE3ELNS1_3repE0EEENS1_52radix_sort_onesweep_histogram_config_static_selectorELNS0_4arch9wavefront6targetE1EEEvSI_
; %bb.0:
	.section	.rodata,"a",@progbits
	.p2align	6, 0x0
	.amdhsa_kernel _ZN7rocprim17ROCPRIM_400000_NS6detail17trampoline_kernelINS0_14default_configENS1_35radix_sort_onesweep_config_selectorIxNS0_10empty_typeEEEZNS1_34radix_sort_onesweep_global_offsetsIS3_Lb0EN6thrust23THRUST_200600_302600_NS6detail15normal_iteratorINS9_10device_ptrIxEEEEPS5_jNS0_19identity_decomposerEEE10hipError_tT1_T2_PT3_SK_jT4_jjP12ihipStream_tbEUlT_E0_NS1_11comp_targetILNS1_3genE9ELNS1_11target_archE1100ELNS1_3gpuE3ELNS1_3repE0EEENS1_52radix_sort_onesweep_histogram_config_static_selectorELNS0_4arch9wavefront6targetE1EEEvSI_
		.amdhsa_group_segment_fixed_size 0
		.amdhsa_private_segment_fixed_size 0
		.amdhsa_kernarg_size 8
		.amdhsa_user_sgpr_count 6
		.amdhsa_user_sgpr_private_segment_buffer 1
		.amdhsa_user_sgpr_dispatch_ptr 0
		.amdhsa_user_sgpr_queue_ptr 0
		.amdhsa_user_sgpr_kernarg_segment_ptr 1
		.amdhsa_user_sgpr_dispatch_id 0
		.amdhsa_user_sgpr_flat_scratch_init 0
		.amdhsa_user_sgpr_kernarg_preload_length 0
		.amdhsa_user_sgpr_kernarg_preload_offset 0
		.amdhsa_user_sgpr_private_segment_size 0
		.amdhsa_uses_dynamic_stack 0
		.amdhsa_system_sgpr_private_segment_wavefront_offset 0
		.amdhsa_system_sgpr_workgroup_id_x 1
		.amdhsa_system_sgpr_workgroup_id_y 0
		.amdhsa_system_sgpr_workgroup_id_z 0
		.amdhsa_system_sgpr_workgroup_info 0
		.amdhsa_system_vgpr_workitem_id 0
		.amdhsa_next_free_vgpr 1
		.amdhsa_next_free_sgpr 0
		.amdhsa_accum_offset 4
		.amdhsa_reserve_vcc 0
		.amdhsa_reserve_flat_scratch 0
		.amdhsa_float_round_mode_32 0
		.amdhsa_float_round_mode_16_64 0
		.amdhsa_float_denorm_mode_32 3
		.amdhsa_float_denorm_mode_16_64 3
		.amdhsa_dx10_clamp 1
		.amdhsa_ieee_mode 1
		.amdhsa_fp16_overflow 0
		.amdhsa_tg_split 0
		.amdhsa_exception_fp_ieee_invalid_op 0
		.amdhsa_exception_fp_denorm_src 0
		.amdhsa_exception_fp_ieee_div_zero 0
		.amdhsa_exception_fp_ieee_overflow 0
		.amdhsa_exception_fp_ieee_underflow 0
		.amdhsa_exception_fp_ieee_inexact 0
		.amdhsa_exception_int_div_zero 0
	.end_amdhsa_kernel
	.section	.text._ZN7rocprim17ROCPRIM_400000_NS6detail17trampoline_kernelINS0_14default_configENS1_35radix_sort_onesweep_config_selectorIxNS0_10empty_typeEEEZNS1_34radix_sort_onesweep_global_offsetsIS3_Lb0EN6thrust23THRUST_200600_302600_NS6detail15normal_iteratorINS9_10device_ptrIxEEEEPS5_jNS0_19identity_decomposerEEE10hipError_tT1_T2_PT3_SK_jT4_jjP12ihipStream_tbEUlT_E0_NS1_11comp_targetILNS1_3genE9ELNS1_11target_archE1100ELNS1_3gpuE3ELNS1_3repE0EEENS1_52radix_sort_onesweep_histogram_config_static_selectorELNS0_4arch9wavefront6targetE1EEEvSI_,"axG",@progbits,_ZN7rocprim17ROCPRIM_400000_NS6detail17trampoline_kernelINS0_14default_configENS1_35radix_sort_onesweep_config_selectorIxNS0_10empty_typeEEEZNS1_34radix_sort_onesweep_global_offsetsIS3_Lb0EN6thrust23THRUST_200600_302600_NS6detail15normal_iteratorINS9_10device_ptrIxEEEEPS5_jNS0_19identity_decomposerEEE10hipError_tT1_T2_PT3_SK_jT4_jjP12ihipStream_tbEUlT_E0_NS1_11comp_targetILNS1_3genE9ELNS1_11target_archE1100ELNS1_3gpuE3ELNS1_3repE0EEENS1_52radix_sort_onesweep_histogram_config_static_selectorELNS0_4arch9wavefront6targetE1EEEvSI_,comdat
.Lfunc_end1531:
	.size	_ZN7rocprim17ROCPRIM_400000_NS6detail17trampoline_kernelINS0_14default_configENS1_35radix_sort_onesweep_config_selectorIxNS0_10empty_typeEEEZNS1_34radix_sort_onesweep_global_offsetsIS3_Lb0EN6thrust23THRUST_200600_302600_NS6detail15normal_iteratorINS9_10device_ptrIxEEEEPS5_jNS0_19identity_decomposerEEE10hipError_tT1_T2_PT3_SK_jT4_jjP12ihipStream_tbEUlT_E0_NS1_11comp_targetILNS1_3genE9ELNS1_11target_archE1100ELNS1_3gpuE3ELNS1_3repE0EEENS1_52radix_sort_onesweep_histogram_config_static_selectorELNS0_4arch9wavefront6targetE1EEEvSI_, .Lfunc_end1531-_ZN7rocprim17ROCPRIM_400000_NS6detail17trampoline_kernelINS0_14default_configENS1_35radix_sort_onesweep_config_selectorIxNS0_10empty_typeEEEZNS1_34radix_sort_onesweep_global_offsetsIS3_Lb0EN6thrust23THRUST_200600_302600_NS6detail15normal_iteratorINS9_10device_ptrIxEEEEPS5_jNS0_19identity_decomposerEEE10hipError_tT1_T2_PT3_SK_jT4_jjP12ihipStream_tbEUlT_E0_NS1_11comp_targetILNS1_3genE9ELNS1_11target_archE1100ELNS1_3gpuE3ELNS1_3repE0EEENS1_52radix_sort_onesweep_histogram_config_static_selectorELNS0_4arch9wavefront6targetE1EEEvSI_
                                        ; -- End function
	.section	.AMDGPU.csdata,"",@progbits
; Kernel info:
; codeLenInByte = 0
; NumSgprs: 4
; NumVgprs: 0
; NumAgprs: 0
; TotalNumVgprs: 0
; ScratchSize: 0
; MemoryBound: 0
; FloatMode: 240
; IeeeMode: 1
; LDSByteSize: 0 bytes/workgroup (compile time only)
; SGPRBlocks: 0
; VGPRBlocks: 0
; NumSGPRsForWavesPerEU: 4
; NumVGPRsForWavesPerEU: 1
; AccumOffset: 4
; Occupancy: 8
; WaveLimiterHint : 0
; COMPUTE_PGM_RSRC2:SCRATCH_EN: 0
; COMPUTE_PGM_RSRC2:USER_SGPR: 6
; COMPUTE_PGM_RSRC2:TRAP_HANDLER: 0
; COMPUTE_PGM_RSRC2:TGID_X_EN: 1
; COMPUTE_PGM_RSRC2:TGID_Y_EN: 0
; COMPUTE_PGM_RSRC2:TGID_Z_EN: 0
; COMPUTE_PGM_RSRC2:TIDIG_COMP_CNT: 0
; COMPUTE_PGM_RSRC3_GFX90A:ACCUM_OFFSET: 0
; COMPUTE_PGM_RSRC3_GFX90A:TG_SPLIT: 0
	.section	.text._ZN7rocprim17ROCPRIM_400000_NS6detail17trampoline_kernelINS0_14default_configENS1_35radix_sort_onesweep_config_selectorIxNS0_10empty_typeEEEZNS1_34radix_sort_onesweep_global_offsetsIS3_Lb0EN6thrust23THRUST_200600_302600_NS6detail15normal_iteratorINS9_10device_ptrIxEEEEPS5_jNS0_19identity_decomposerEEE10hipError_tT1_T2_PT3_SK_jT4_jjP12ihipStream_tbEUlT_E0_NS1_11comp_targetILNS1_3genE8ELNS1_11target_archE1030ELNS1_3gpuE2ELNS1_3repE0EEENS1_52radix_sort_onesweep_histogram_config_static_selectorELNS0_4arch9wavefront6targetE1EEEvSI_,"axG",@progbits,_ZN7rocprim17ROCPRIM_400000_NS6detail17trampoline_kernelINS0_14default_configENS1_35radix_sort_onesweep_config_selectorIxNS0_10empty_typeEEEZNS1_34radix_sort_onesweep_global_offsetsIS3_Lb0EN6thrust23THRUST_200600_302600_NS6detail15normal_iteratorINS9_10device_ptrIxEEEEPS5_jNS0_19identity_decomposerEEE10hipError_tT1_T2_PT3_SK_jT4_jjP12ihipStream_tbEUlT_E0_NS1_11comp_targetILNS1_3genE8ELNS1_11target_archE1030ELNS1_3gpuE2ELNS1_3repE0EEENS1_52radix_sort_onesweep_histogram_config_static_selectorELNS0_4arch9wavefront6targetE1EEEvSI_,comdat
	.protected	_ZN7rocprim17ROCPRIM_400000_NS6detail17trampoline_kernelINS0_14default_configENS1_35radix_sort_onesweep_config_selectorIxNS0_10empty_typeEEEZNS1_34radix_sort_onesweep_global_offsetsIS3_Lb0EN6thrust23THRUST_200600_302600_NS6detail15normal_iteratorINS9_10device_ptrIxEEEEPS5_jNS0_19identity_decomposerEEE10hipError_tT1_T2_PT3_SK_jT4_jjP12ihipStream_tbEUlT_E0_NS1_11comp_targetILNS1_3genE8ELNS1_11target_archE1030ELNS1_3gpuE2ELNS1_3repE0EEENS1_52radix_sort_onesweep_histogram_config_static_selectorELNS0_4arch9wavefront6targetE1EEEvSI_ ; -- Begin function _ZN7rocprim17ROCPRIM_400000_NS6detail17trampoline_kernelINS0_14default_configENS1_35radix_sort_onesweep_config_selectorIxNS0_10empty_typeEEEZNS1_34radix_sort_onesweep_global_offsetsIS3_Lb0EN6thrust23THRUST_200600_302600_NS6detail15normal_iteratorINS9_10device_ptrIxEEEEPS5_jNS0_19identity_decomposerEEE10hipError_tT1_T2_PT3_SK_jT4_jjP12ihipStream_tbEUlT_E0_NS1_11comp_targetILNS1_3genE8ELNS1_11target_archE1030ELNS1_3gpuE2ELNS1_3repE0EEENS1_52radix_sort_onesweep_histogram_config_static_selectorELNS0_4arch9wavefront6targetE1EEEvSI_
	.globl	_ZN7rocprim17ROCPRIM_400000_NS6detail17trampoline_kernelINS0_14default_configENS1_35radix_sort_onesweep_config_selectorIxNS0_10empty_typeEEEZNS1_34radix_sort_onesweep_global_offsetsIS3_Lb0EN6thrust23THRUST_200600_302600_NS6detail15normal_iteratorINS9_10device_ptrIxEEEEPS5_jNS0_19identity_decomposerEEE10hipError_tT1_T2_PT3_SK_jT4_jjP12ihipStream_tbEUlT_E0_NS1_11comp_targetILNS1_3genE8ELNS1_11target_archE1030ELNS1_3gpuE2ELNS1_3repE0EEENS1_52radix_sort_onesweep_histogram_config_static_selectorELNS0_4arch9wavefront6targetE1EEEvSI_
	.p2align	8
	.type	_ZN7rocprim17ROCPRIM_400000_NS6detail17trampoline_kernelINS0_14default_configENS1_35radix_sort_onesweep_config_selectorIxNS0_10empty_typeEEEZNS1_34radix_sort_onesweep_global_offsetsIS3_Lb0EN6thrust23THRUST_200600_302600_NS6detail15normal_iteratorINS9_10device_ptrIxEEEEPS5_jNS0_19identity_decomposerEEE10hipError_tT1_T2_PT3_SK_jT4_jjP12ihipStream_tbEUlT_E0_NS1_11comp_targetILNS1_3genE8ELNS1_11target_archE1030ELNS1_3gpuE2ELNS1_3repE0EEENS1_52radix_sort_onesweep_histogram_config_static_selectorELNS0_4arch9wavefront6targetE1EEEvSI_,@function
_ZN7rocprim17ROCPRIM_400000_NS6detail17trampoline_kernelINS0_14default_configENS1_35radix_sort_onesweep_config_selectorIxNS0_10empty_typeEEEZNS1_34radix_sort_onesweep_global_offsetsIS3_Lb0EN6thrust23THRUST_200600_302600_NS6detail15normal_iteratorINS9_10device_ptrIxEEEEPS5_jNS0_19identity_decomposerEEE10hipError_tT1_T2_PT3_SK_jT4_jjP12ihipStream_tbEUlT_E0_NS1_11comp_targetILNS1_3genE8ELNS1_11target_archE1030ELNS1_3gpuE2ELNS1_3repE0EEENS1_52radix_sort_onesweep_histogram_config_static_selectorELNS0_4arch9wavefront6targetE1EEEvSI_: ; @_ZN7rocprim17ROCPRIM_400000_NS6detail17trampoline_kernelINS0_14default_configENS1_35radix_sort_onesweep_config_selectorIxNS0_10empty_typeEEEZNS1_34radix_sort_onesweep_global_offsetsIS3_Lb0EN6thrust23THRUST_200600_302600_NS6detail15normal_iteratorINS9_10device_ptrIxEEEEPS5_jNS0_19identity_decomposerEEE10hipError_tT1_T2_PT3_SK_jT4_jjP12ihipStream_tbEUlT_E0_NS1_11comp_targetILNS1_3genE8ELNS1_11target_archE1030ELNS1_3gpuE2ELNS1_3repE0EEENS1_52radix_sort_onesweep_histogram_config_static_selectorELNS0_4arch9wavefront6targetE1EEEvSI_
; %bb.0:
	.section	.rodata,"a",@progbits
	.p2align	6, 0x0
	.amdhsa_kernel _ZN7rocprim17ROCPRIM_400000_NS6detail17trampoline_kernelINS0_14default_configENS1_35radix_sort_onesweep_config_selectorIxNS0_10empty_typeEEEZNS1_34radix_sort_onesweep_global_offsetsIS3_Lb0EN6thrust23THRUST_200600_302600_NS6detail15normal_iteratorINS9_10device_ptrIxEEEEPS5_jNS0_19identity_decomposerEEE10hipError_tT1_T2_PT3_SK_jT4_jjP12ihipStream_tbEUlT_E0_NS1_11comp_targetILNS1_3genE8ELNS1_11target_archE1030ELNS1_3gpuE2ELNS1_3repE0EEENS1_52radix_sort_onesweep_histogram_config_static_selectorELNS0_4arch9wavefront6targetE1EEEvSI_
		.amdhsa_group_segment_fixed_size 0
		.amdhsa_private_segment_fixed_size 0
		.amdhsa_kernarg_size 8
		.amdhsa_user_sgpr_count 6
		.amdhsa_user_sgpr_private_segment_buffer 1
		.amdhsa_user_sgpr_dispatch_ptr 0
		.amdhsa_user_sgpr_queue_ptr 0
		.amdhsa_user_sgpr_kernarg_segment_ptr 1
		.amdhsa_user_sgpr_dispatch_id 0
		.amdhsa_user_sgpr_flat_scratch_init 0
		.amdhsa_user_sgpr_kernarg_preload_length 0
		.amdhsa_user_sgpr_kernarg_preload_offset 0
		.amdhsa_user_sgpr_private_segment_size 0
		.amdhsa_uses_dynamic_stack 0
		.amdhsa_system_sgpr_private_segment_wavefront_offset 0
		.amdhsa_system_sgpr_workgroup_id_x 1
		.amdhsa_system_sgpr_workgroup_id_y 0
		.amdhsa_system_sgpr_workgroup_id_z 0
		.amdhsa_system_sgpr_workgroup_info 0
		.amdhsa_system_vgpr_workitem_id 0
		.amdhsa_next_free_vgpr 1
		.amdhsa_next_free_sgpr 0
		.amdhsa_accum_offset 4
		.amdhsa_reserve_vcc 0
		.amdhsa_reserve_flat_scratch 0
		.amdhsa_float_round_mode_32 0
		.amdhsa_float_round_mode_16_64 0
		.amdhsa_float_denorm_mode_32 3
		.amdhsa_float_denorm_mode_16_64 3
		.amdhsa_dx10_clamp 1
		.amdhsa_ieee_mode 1
		.amdhsa_fp16_overflow 0
		.amdhsa_tg_split 0
		.amdhsa_exception_fp_ieee_invalid_op 0
		.amdhsa_exception_fp_denorm_src 0
		.amdhsa_exception_fp_ieee_div_zero 0
		.amdhsa_exception_fp_ieee_overflow 0
		.amdhsa_exception_fp_ieee_underflow 0
		.amdhsa_exception_fp_ieee_inexact 0
		.amdhsa_exception_int_div_zero 0
	.end_amdhsa_kernel
	.section	.text._ZN7rocprim17ROCPRIM_400000_NS6detail17trampoline_kernelINS0_14default_configENS1_35radix_sort_onesweep_config_selectorIxNS0_10empty_typeEEEZNS1_34radix_sort_onesweep_global_offsetsIS3_Lb0EN6thrust23THRUST_200600_302600_NS6detail15normal_iteratorINS9_10device_ptrIxEEEEPS5_jNS0_19identity_decomposerEEE10hipError_tT1_T2_PT3_SK_jT4_jjP12ihipStream_tbEUlT_E0_NS1_11comp_targetILNS1_3genE8ELNS1_11target_archE1030ELNS1_3gpuE2ELNS1_3repE0EEENS1_52radix_sort_onesweep_histogram_config_static_selectorELNS0_4arch9wavefront6targetE1EEEvSI_,"axG",@progbits,_ZN7rocprim17ROCPRIM_400000_NS6detail17trampoline_kernelINS0_14default_configENS1_35radix_sort_onesweep_config_selectorIxNS0_10empty_typeEEEZNS1_34radix_sort_onesweep_global_offsetsIS3_Lb0EN6thrust23THRUST_200600_302600_NS6detail15normal_iteratorINS9_10device_ptrIxEEEEPS5_jNS0_19identity_decomposerEEE10hipError_tT1_T2_PT3_SK_jT4_jjP12ihipStream_tbEUlT_E0_NS1_11comp_targetILNS1_3genE8ELNS1_11target_archE1030ELNS1_3gpuE2ELNS1_3repE0EEENS1_52radix_sort_onesweep_histogram_config_static_selectorELNS0_4arch9wavefront6targetE1EEEvSI_,comdat
.Lfunc_end1532:
	.size	_ZN7rocprim17ROCPRIM_400000_NS6detail17trampoline_kernelINS0_14default_configENS1_35radix_sort_onesweep_config_selectorIxNS0_10empty_typeEEEZNS1_34radix_sort_onesweep_global_offsetsIS3_Lb0EN6thrust23THRUST_200600_302600_NS6detail15normal_iteratorINS9_10device_ptrIxEEEEPS5_jNS0_19identity_decomposerEEE10hipError_tT1_T2_PT3_SK_jT4_jjP12ihipStream_tbEUlT_E0_NS1_11comp_targetILNS1_3genE8ELNS1_11target_archE1030ELNS1_3gpuE2ELNS1_3repE0EEENS1_52radix_sort_onesweep_histogram_config_static_selectorELNS0_4arch9wavefront6targetE1EEEvSI_, .Lfunc_end1532-_ZN7rocprim17ROCPRIM_400000_NS6detail17trampoline_kernelINS0_14default_configENS1_35radix_sort_onesweep_config_selectorIxNS0_10empty_typeEEEZNS1_34radix_sort_onesweep_global_offsetsIS3_Lb0EN6thrust23THRUST_200600_302600_NS6detail15normal_iteratorINS9_10device_ptrIxEEEEPS5_jNS0_19identity_decomposerEEE10hipError_tT1_T2_PT3_SK_jT4_jjP12ihipStream_tbEUlT_E0_NS1_11comp_targetILNS1_3genE8ELNS1_11target_archE1030ELNS1_3gpuE2ELNS1_3repE0EEENS1_52radix_sort_onesweep_histogram_config_static_selectorELNS0_4arch9wavefront6targetE1EEEvSI_
                                        ; -- End function
	.section	.AMDGPU.csdata,"",@progbits
; Kernel info:
; codeLenInByte = 0
; NumSgprs: 4
; NumVgprs: 0
; NumAgprs: 0
; TotalNumVgprs: 0
; ScratchSize: 0
; MemoryBound: 0
; FloatMode: 240
; IeeeMode: 1
; LDSByteSize: 0 bytes/workgroup (compile time only)
; SGPRBlocks: 0
; VGPRBlocks: 0
; NumSGPRsForWavesPerEU: 4
; NumVGPRsForWavesPerEU: 1
; AccumOffset: 4
; Occupancy: 8
; WaveLimiterHint : 0
; COMPUTE_PGM_RSRC2:SCRATCH_EN: 0
; COMPUTE_PGM_RSRC2:USER_SGPR: 6
; COMPUTE_PGM_RSRC2:TRAP_HANDLER: 0
; COMPUTE_PGM_RSRC2:TGID_X_EN: 1
; COMPUTE_PGM_RSRC2:TGID_Y_EN: 0
; COMPUTE_PGM_RSRC2:TGID_Z_EN: 0
; COMPUTE_PGM_RSRC2:TIDIG_COMP_CNT: 0
; COMPUTE_PGM_RSRC3_GFX90A:ACCUM_OFFSET: 0
; COMPUTE_PGM_RSRC3_GFX90A:TG_SPLIT: 0
	.section	.text._ZN7rocprim17ROCPRIM_400000_NS6detail17trampoline_kernelINS0_14default_configENS1_25transform_config_selectorIxLb0EEEZNS1_14transform_implILb0ES3_S5_N6thrust23THRUST_200600_302600_NS6detail15normal_iteratorINS8_10device_ptrIxEEEEPxNS0_8identityIxEEEE10hipError_tT2_T3_mT4_P12ihipStream_tbEUlT_E_NS1_11comp_targetILNS1_3genE0ELNS1_11target_archE4294967295ELNS1_3gpuE0ELNS1_3repE0EEENS1_30default_config_static_selectorELNS0_4arch9wavefront6targetE1EEEvT1_,"axG",@progbits,_ZN7rocprim17ROCPRIM_400000_NS6detail17trampoline_kernelINS0_14default_configENS1_25transform_config_selectorIxLb0EEEZNS1_14transform_implILb0ES3_S5_N6thrust23THRUST_200600_302600_NS6detail15normal_iteratorINS8_10device_ptrIxEEEEPxNS0_8identityIxEEEE10hipError_tT2_T3_mT4_P12ihipStream_tbEUlT_E_NS1_11comp_targetILNS1_3genE0ELNS1_11target_archE4294967295ELNS1_3gpuE0ELNS1_3repE0EEENS1_30default_config_static_selectorELNS0_4arch9wavefront6targetE1EEEvT1_,comdat
	.protected	_ZN7rocprim17ROCPRIM_400000_NS6detail17trampoline_kernelINS0_14default_configENS1_25transform_config_selectorIxLb0EEEZNS1_14transform_implILb0ES3_S5_N6thrust23THRUST_200600_302600_NS6detail15normal_iteratorINS8_10device_ptrIxEEEEPxNS0_8identityIxEEEE10hipError_tT2_T3_mT4_P12ihipStream_tbEUlT_E_NS1_11comp_targetILNS1_3genE0ELNS1_11target_archE4294967295ELNS1_3gpuE0ELNS1_3repE0EEENS1_30default_config_static_selectorELNS0_4arch9wavefront6targetE1EEEvT1_ ; -- Begin function _ZN7rocprim17ROCPRIM_400000_NS6detail17trampoline_kernelINS0_14default_configENS1_25transform_config_selectorIxLb0EEEZNS1_14transform_implILb0ES3_S5_N6thrust23THRUST_200600_302600_NS6detail15normal_iteratorINS8_10device_ptrIxEEEEPxNS0_8identityIxEEEE10hipError_tT2_T3_mT4_P12ihipStream_tbEUlT_E_NS1_11comp_targetILNS1_3genE0ELNS1_11target_archE4294967295ELNS1_3gpuE0ELNS1_3repE0EEENS1_30default_config_static_selectorELNS0_4arch9wavefront6targetE1EEEvT1_
	.globl	_ZN7rocprim17ROCPRIM_400000_NS6detail17trampoline_kernelINS0_14default_configENS1_25transform_config_selectorIxLb0EEEZNS1_14transform_implILb0ES3_S5_N6thrust23THRUST_200600_302600_NS6detail15normal_iteratorINS8_10device_ptrIxEEEEPxNS0_8identityIxEEEE10hipError_tT2_T3_mT4_P12ihipStream_tbEUlT_E_NS1_11comp_targetILNS1_3genE0ELNS1_11target_archE4294967295ELNS1_3gpuE0ELNS1_3repE0EEENS1_30default_config_static_selectorELNS0_4arch9wavefront6targetE1EEEvT1_
	.p2align	8
	.type	_ZN7rocprim17ROCPRIM_400000_NS6detail17trampoline_kernelINS0_14default_configENS1_25transform_config_selectorIxLb0EEEZNS1_14transform_implILb0ES3_S5_N6thrust23THRUST_200600_302600_NS6detail15normal_iteratorINS8_10device_ptrIxEEEEPxNS0_8identityIxEEEE10hipError_tT2_T3_mT4_P12ihipStream_tbEUlT_E_NS1_11comp_targetILNS1_3genE0ELNS1_11target_archE4294967295ELNS1_3gpuE0ELNS1_3repE0EEENS1_30default_config_static_selectorELNS0_4arch9wavefront6targetE1EEEvT1_,@function
_ZN7rocprim17ROCPRIM_400000_NS6detail17trampoline_kernelINS0_14default_configENS1_25transform_config_selectorIxLb0EEEZNS1_14transform_implILb0ES3_S5_N6thrust23THRUST_200600_302600_NS6detail15normal_iteratorINS8_10device_ptrIxEEEEPxNS0_8identityIxEEEE10hipError_tT2_T3_mT4_P12ihipStream_tbEUlT_E_NS1_11comp_targetILNS1_3genE0ELNS1_11target_archE4294967295ELNS1_3gpuE0ELNS1_3repE0EEENS1_30default_config_static_selectorELNS0_4arch9wavefront6targetE1EEEvT1_: ; @_ZN7rocprim17ROCPRIM_400000_NS6detail17trampoline_kernelINS0_14default_configENS1_25transform_config_selectorIxLb0EEEZNS1_14transform_implILb0ES3_S5_N6thrust23THRUST_200600_302600_NS6detail15normal_iteratorINS8_10device_ptrIxEEEEPxNS0_8identityIxEEEE10hipError_tT2_T3_mT4_P12ihipStream_tbEUlT_E_NS1_11comp_targetILNS1_3genE0ELNS1_11target_archE4294967295ELNS1_3gpuE0ELNS1_3repE0EEENS1_30default_config_static_selectorELNS0_4arch9wavefront6targetE1EEEvT1_
; %bb.0:
	.section	.rodata,"a",@progbits
	.p2align	6, 0x0
	.amdhsa_kernel _ZN7rocprim17ROCPRIM_400000_NS6detail17trampoline_kernelINS0_14default_configENS1_25transform_config_selectorIxLb0EEEZNS1_14transform_implILb0ES3_S5_N6thrust23THRUST_200600_302600_NS6detail15normal_iteratorINS8_10device_ptrIxEEEEPxNS0_8identityIxEEEE10hipError_tT2_T3_mT4_P12ihipStream_tbEUlT_E_NS1_11comp_targetILNS1_3genE0ELNS1_11target_archE4294967295ELNS1_3gpuE0ELNS1_3repE0EEENS1_30default_config_static_selectorELNS0_4arch9wavefront6targetE1EEEvT1_
		.amdhsa_group_segment_fixed_size 0
		.amdhsa_private_segment_fixed_size 0
		.amdhsa_kernarg_size 40
		.amdhsa_user_sgpr_count 6
		.amdhsa_user_sgpr_private_segment_buffer 1
		.amdhsa_user_sgpr_dispatch_ptr 0
		.amdhsa_user_sgpr_queue_ptr 0
		.amdhsa_user_sgpr_kernarg_segment_ptr 1
		.amdhsa_user_sgpr_dispatch_id 0
		.amdhsa_user_sgpr_flat_scratch_init 0
		.amdhsa_user_sgpr_kernarg_preload_length 0
		.amdhsa_user_sgpr_kernarg_preload_offset 0
		.amdhsa_user_sgpr_private_segment_size 0
		.amdhsa_uses_dynamic_stack 0
		.amdhsa_system_sgpr_private_segment_wavefront_offset 0
		.amdhsa_system_sgpr_workgroup_id_x 1
		.amdhsa_system_sgpr_workgroup_id_y 0
		.amdhsa_system_sgpr_workgroup_id_z 0
		.amdhsa_system_sgpr_workgroup_info 0
		.amdhsa_system_vgpr_workitem_id 0
		.amdhsa_next_free_vgpr 1
		.amdhsa_next_free_sgpr 0
		.amdhsa_accum_offset 4
		.amdhsa_reserve_vcc 0
		.amdhsa_reserve_flat_scratch 0
		.amdhsa_float_round_mode_32 0
		.amdhsa_float_round_mode_16_64 0
		.amdhsa_float_denorm_mode_32 3
		.amdhsa_float_denorm_mode_16_64 3
		.amdhsa_dx10_clamp 1
		.amdhsa_ieee_mode 1
		.amdhsa_fp16_overflow 0
		.amdhsa_tg_split 0
		.amdhsa_exception_fp_ieee_invalid_op 0
		.amdhsa_exception_fp_denorm_src 0
		.amdhsa_exception_fp_ieee_div_zero 0
		.amdhsa_exception_fp_ieee_overflow 0
		.amdhsa_exception_fp_ieee_underflow 0
		.amdhsa_exception_fp_ieee_inexact 0
		.amdhsa_exception_int_div_zero 0
	.end_amdhsa_kernel
	.section	.text._ZN7rocprim17ROCPRIM_400000_NS6detail17trampoline_kernelINS0_14default_configENS1_25transform_config_selectorIxLb0EEEZNS1_14transform_implILb0ES3_S5_N6thrust23THRUST_200600_302600_NS6detail15normal_iteratorINS8_10device_ptrIxEEEEPxNS0_8identityIxEEEE10hipError_tT2_T3_mT4_P12ihipStream_tbEUlT_E_NS1_11comp_targetILNS1_3genE0ELNS1_11target_archE4294967295ELNS1_3gpuE0ELNS1_3repE0EEENS1_30default_config_static_selectorELNS0_4arch9wavefront6targetE1EEEvT1_,"axG",@progbits,_ZN7rocprim17ROCPRIM_400000_NS6detail17trampoline_kernelINS0_14default_configENS1_25transform_config_selectorIxLb0EEEZNS1_14transform_implILb0ES3_S5_N6thrust23THRUST_200600_302600_NS6detail15normal_iteratorINS8_10device_ptrIxEEEEPxNS0_8identityIxEEEE10hipError_tT2_T3_mT4_P12ihipStream_tbEUlT_E_NS1_11comp_targetILNS1_3genE0ELNS1_11target_archE4294967295ELNS1_3gpuE0ELNS1_3repE0EEENS1_30default_config_static_selectorELNS0_4arch9wavefront6targetE1EEEvT1_,comdat
.Lfunc_end1533:
	.size	_ZN7rocprim17ROCPRIM_400000_NS6detail17trampoline_kernelINS0_14default_configENS1_25transform_config_selectorIxLb0EEEZNS1_14transform_implILb0ES3_S5_N6thrust23THRUST_200600_302600_NS6detail15normal_iteratorINS8_10device_ptrIxEEEEPxNS0_8identityIxEEEE10hipError_tT2_T3_mT4_P12ihipStream_tbEUlT_E_NS1_11comp_targetILNS1_3genE0ELNS1_11target_archE4294967295ELNS1_3gpuE0ELNS1_3repE0EEENS1_30default_config_static_selectorELNS0_4arch9wavefront6targetE1EEEvT1_, .Lfunc_end1533-_ZN7rocprim17ROCPRIM_400000_NS6detail17trampoline_kernelINS0_14default_configENS1_25transform_config_selectorIxLb0EEEZNS1_14transform_implILb0ES3_S5_N6thrust23THRUST_200600_302600_NS6detail15normal_iteratorINS8_10device_ptrIxEEEEPxNS0_8identityIxEEEE10hipError_tT2_T3_mT4_P12ihipStream_tbEUlT_E_NS1_11comp_targetILNS1_3genE0ELNS1_11target_archE4294967295ELNS1_3gpuE0ELNS1_3repE0EEENS1_30default_config_static_selectorELNS0_4arch9wavefront6targetE1EEEvT1_
                                        ; -- End function
	.section	.AMDGPU.csdata,"",@progbits
; Kernel info:
; codeLenInByte = 0
; NumSgprs: 4
; NumVgprs: 0
; NumAgprs: 0
; TotalNumVgprs: 0
; ScratchSize: 0
; MemoryBound: 0
; FloatMode: 240
; IeeeMode: 1
; LDSByteSize: 0 bytes/workgroup (compile time only)
; SGPRBlocks: 0
; VGPRBlocks: 0
; NumSGPRsForWavesPerEU: 4
; NumVGPRsForWavesPerEU: 1
; AccumOffset: 4
; Occupancy: 8
; WaveLimiterHint : 0
; COMPUTE_PGM_RSRC2:SCRATCH_EN: 0
; COMPUTE_PGM_RSRC2:USER_SGPR: 6
; COMPUTE_PGM_RSRC2:TRAP_HANDLER: 0
; COMPUTE_PGM_RSRC2:TGID_X_EN: 1
; COMPUTE_PGM_RSRC2:TGID_Y_EN: 0
; COMPUTE_PGM_RSRC2:TGID_Z_EN: 0
; COMPUTE_PGM_RSRC2:TIDIG_COMP_CNT: 0
; COMPUTE_PGM_RSRC3_GFX90A:ACCUM_OFFSET: 0
; COMPUTE_PGM_RSRC3_GFX90A:TG_SPLIT: 0
	.section	.text._ZN7rocprim17ROCPRIM_400000_NS6detail17trampoline_kernelINS0_14default_configENS1_25transform_config_selectorIxLb0EEEZNS1_14transform_implILb0ES3_S5_N6thrust23THRUST_200600_302600_NS6detail15normal_iteratorINS8_10device_ptrIxEEEEPxNS0_8identityIxEEEE10hipError_tT2_T3_mT4_P12ihipStream_tbEUlT_E_NS1_11comp_targetILNS1_3genE5ELNS1_11target_archE942ELNS1_3gpuE9ELNS1_3repE0EEENS1_30default_config_static_selectorELNS0_4arch9wavefront6targetE1EEEvT1_,"axG",@progbits,_ZN7rocprim17ROCPRIM_400000_NS6detail17trampoline_kernelINS0_14default_configENS1_25transform_config_selectorIxLb0EEEZNS1_14transform_implILb0ES3_S5_N6thrust23THRUST_200600_302600_NS6detail15normal_iteratorINS8_10device_ptrIxEEEEPxNS0_8identityIxEEEE10hipError_tT2_T3_mT4_P12ihipStream_tbEUlT_E_NS1_11comp_targetILNS1_3genE5ELNS1_11target_archE942ELNS1_3gpuE9ELNS1_3repE0EEENS1_30default_config_static_selectorELNS0_4arch9wavefront6targetE1EEEvT1_,comdat
	.protected	_ZN7rocprim17ROCPRIM_400000_NS6detail17trampoline_kernelINS0_14default_configENS1_25transform_config_selectorIxLb0EEEZNS1_14transform_implILb0ES3_S5_N6thrust23THRUST_200600_302600_NS6detail15normal_iteratorINS8_10device_ptrIxEEEEPxNS0_8identityIxEEEE10hipError_tT2_T3_mT4_P12ihipStream_tbEUlT_E_NS1_11comp_targetILNS1_3genE5ELNS1_11target_archE942ELNS1_3gpuE9ELNS1_3repE0EEENS1_30default_config_static_selectorELNS0_4arch9wavefront6targetE1EEEvT1_ ; -- Begin function _ZN7rocprim17ROCPRIM_400000_NS6detail17trampoline_kernelINS0_14default_configENS1_25transform_config_selectorIxLb0EEEZNS1_14transform_implILb0ES3_S5_N6thrust23THRUST_200600_302600_NS6detail15normal_iteratorINS8_10device_ptrIxEEEEPxNS0_8identityIxEEEE10hipError_tT2_T3_mT4_P12ihipStream_tbEUlT_E_NS1_11comp_targetILNS1_3genE5ELNS1_11target_archE942ELNS1_3gpuE9ELNS1_3repE0EEENS1_30default_config_static_selectorELNS0_4arch9wavefront6targetE1EEEvT1_
	.globl	_ZN7rocprim17ROCPRIM_400000_NS6detail17trampoline_kernelINS0_14default_configENS1_25transform_config_selectorIxLb0EEEZNS1_14transform_implILb0ES3_S5_N6thrust23THRUST_200600_302600_NS6detail15normal_iteratorINS8_10device_ptrIxEEEEPxNS0_8identityIxEEEE10hipError_tT2_T3_mT4_P12ihipStream_tbEUlT_E_NS1_11comp_targetILNS1_3genE5ELNS1_11target_archE942ELNS1_3gpuE9ELNS1_3repE0EEENS1_30default_config_static_selectorELNS0_4arch9wavefront6targetE1EEEvT1_
	.p2align	8
	.type	_ZN7rocprim17ROCPRIM_400000_NS6detail17trampoline_kernelINS0_14default_configENS1_25transform_config_selectorIxLb0EEEZNS1_14transform_implILb0ES3_S5_N6thrust23THRUST_200600_302600_NS6detail15normal_iteratorINS8_10device_ptrIxEEEEPxNS0_8identityIxEEEE10hipError_tT2_T3_mT4_P12ihipStream_tbEUlT_E_NS1_11comp_targetILNS1_3genE5ELNS1_11target_archE942ELNS1_3gpuE9ELNS1_3repE0EEENS1_30default_config_static_selectorELNS0_4arch9wavefront6targetE1EEEvT1_,@function
_ZN7rocprim17ROCPRIM_400000_NS6detail17trampoline_kernelINS0_14default_configENS1_25transform_config_selectorIxLb0EEEZNS1_14transform_implILb0ES3_S5_N6thrust23THRUST_200600_302600_NS6detail15normal_iteratorINS8_10device_ptrIxEEEEPxNS0_8identityIxEEEE10hipError_tT2_T3_mT4_P12ihipStream_tbEUlT_E_NS1_11comp_targetILNS1_3genE5ELNS1_11target_archE942ELNS1_3gpuE9ELNS1_3repE0EEENS1_30default_config_static_selectorELNS0_4arch9wavefront6targetE1EEEvT1_: ; @_ZN7rocprim17ROCPRIM_400000_NS6detail17trampoline_kernelINS0_14default_configENS1_25transform_config_selectorIxLb0EEEZNS1_14transform_implILb0ES3_S5_N6thrust23THRUST_200600_302600_NS6detail15normal_iteratorINS8_10device_ptrIxEEEEPxNS0_8identityIxEEEE10hipError_tT2_T3_mT4_P12ihipStream_tbEUlT_E_NS1_11comp_targetILNS1_3genE5ELNS1_11target_archE942ELNS1_3gpuE9ELNS1_3repE0EEENS1_30default_config_static_selectorELNS0_4arch9wavefront6targetE1EEEvT1_
; %bb.0:
	.section	.rodata,"a",@progbits
	.p2align	6, 0x0
	.amdhsa_kernel _ZN7rocprim17ROCPRIM_400000_NS6detail17trampoline_kernelINS0_14default_configENS1_25transform_config_selectorIxLb0EEEZNS1_14transform_implILb0ES3_S5_N6thrust23THRUST_200600_302600_NS6detail15normal_iteratorINS8_10device_ptrIxEEEEPxNS0_8identityIxEEEE10hipError_tT2_T3_mT4_P12ihipStream_tbEUlT_E_NS1_11comp_targetILNS1_3genE5ELNS1_11target_archE942ELNS1_3gpuE9ELNS1_3repE0EEENS1_30default_config_static_selectorELNS0_4arch9wavefront6targetE1EEEvT1_
		.amdhsa_group_segment_fixed_size 0
		.amdhsa_private_segment_fixed_size 0
		.amdhsa_kernarg_size 40
		.amdhsa_user_sgpr_count 6
		.amdhsa_user_sgpr_private_segment_buffer 1
		.amdhsa_user_sgpr_dispatch_ptr 0
		.amdhsa_user_sgpr_queue_ptr 0
		.amdhsa_user_sgpr_kernarg_segment_ptr 1
		.amdhsa_user_sgpr_dispatch_id 0
		.amdhsa_user_sgpr_flat_scratch_init 0
		.amdhsa_user_sgpr_kernarg_preload_length 0
		.amdhsa_user_sgpr_kernarg_preload_offset 0
		.amdhsa_user_sgpr_private_segment_size 0
		.amdhsa_uses_dynamic_stack 0
		.amdhsa_system_sgpr_private_segment_wavefront_offset 0
		.amdhsa_system_sgpr_workgroup_id_x 1
		.amdhsa_system_sgpr_workgroup_id_y 0
		.amdhsa_system_sgpr_workgroup_id_z 0
		.amdhsa_system_sgpr_workgroup_info 0
		.amdhsa_system_vgpr_workitem_id 0
		.amdhsa_next_free_vgpr 1
		.amdhsa_next_free_sgpr 0
		.amdhsa_accum_offset 4
		.amdhsa_reserve_vcc 0
		.amdhsa_reserve_flat_scratch 0
		.amdhsa_float_round_mode_32 0
		.amdhsa_float_round_mode_16_64 0
		.amdhsa_float_denorm_mode_32 3
		.amdhsa_float_denorm_mode_16_64 3
		.amdhsa_dx10_clamp 1
		.amdhsa_ieee_mode 1
		.amdhsa_fp16_overflow 0
		.amdhsa_tg_split 0
		.amdhsa_exception_fp_ieee_invalid_op 0
		.amdhsa_exception_fp_denorm_src 0
		.amdhsa_exception_fp_ieee_div_zero 0
		.amdhsa_exception_fp_ieee_overflow 0
		.amdhsa_exception_fp_ieee_underflow 0
		.amdhsa_exception_fp_ieee_inexact 0
		.amdhsa_exception_int_div_zero 0
	.end_amdhsa_kernel
	.section	.text._ZN7rocprim17ROCPRIM_400000_NS6detail17trampoline_kernelINS0_14default_configENS1_25transform_config_selectorIxLb0EEEZNS1_14transform_implILb0ES3_S5_N6thrust23THRUST_200600_302600_NS6detail15normal_iteratorINS8_10device_ptrIxEEEEPxNS0_8identityIxEEEE10hipError_tT2_T3_mT4_P12ihipStream_tbEUlT_E_NS1_11comp_targetILNS1_3genE5ELNS1_11target_archE942ELNS1_3gpuE9ELNS1_3repE0EEENS1_30default_config_static_selectorELNS0_4arch9wavefront6targetE1EEEvT1_,"axG",@progbits,_ZN7rocprim17ROCPRIM_400000_NS6detail17trampoline_kernelINS0_14default_configENS1_25transform_config_selectorIxLb0EEEZNS1_14transform_implILb0ES3_S5_N6thrust23THRUST_200600_302600_NS6detail15normal_iteratorINS8_10device_ptrIxEEEEPxNS0_8identityIxEEEE10hipError_tT2_T3_mT4_P12ihipStream_tbEUlT_E_NS1_11comp_targetILNS1_3genE5ELNS1_11target_archE942ELNS1_3gpuE9ELNS1_3repE0EEENS1_30default_config_static_selectorELNS0_4arch9wavefront6targetE1EEEvT1_,comdat
.Lfunc_end1534:
	.size	_ZN7rocprim17ROCPRIM_400000_NS6detail17trampoline_kernelINS0_14default_configENS1_25transform_config_selectorIxLb0EEEZNS1_14transform_implILb0ES3_S5_N6thrust23THRUST_200600_302600_NS6detail15normal_iteratorINS8_10device_ptrIxEEEEPxNS0_8identityIxEEEE10hipError_tT2_T3_mT4_P12ihipStream_tbEUlT_E_NS1_11comp_targetILNS1_3genE5ELNS1_11target_archE942ELNS1_3gpuE9ELNS1_3repE0EEENS1_30default_config_static_selectorELNS0_4arch9wavefront6targetE1EEEvT1_, .Lfunc_end1534-_ZN7rocprim17ROCPRIM_400000_NS6detail17trampoline_kernelINS0_14default_configENS1_25transform_config_selectorIxLb0EEEZNS1_14transform_implILb0ES3_S5_N6thrust23THRUST_200600_302600_NS6detail15normal_iteratorINS8_10device_ptrIxEEEEPxNS0_8identityIxEEEE10hipError_tT2_T3_mT4_P12ihipStream_tbEUlT_E_NS1_11comp_targetILNS1_3genE5ELNS1_11target_archE942ELNS1_3gpuE9ELNS1_3repE0EEENS1_30default_config_static_selectorELNS0_4arch9wavefront6targetE1EEEvT1_
                                        ; -- End function
	.section	.AMDGPU.csdata,"",@progbits
; Kernel info:
; codeLenInByte = 0
; NumSgprs: 4
; NumVgprs: 0
; NumAgprs: 0
; TotalNumVgprs: 0
; ScratchSize: 0
; MemoryBound: 0
; FloatMode: 240
; IeeeMode: 1
; LDSByteSize: 0 bytes/workgroup (compile time only)
; SGPRBlocks: 0
; VGPRBlocks: 0
; NumSGPRsForWavesPerEU: 4
; NumVGPRsForWavesPerEU: 1
; AccumOffset: 4
; Occupancy: 8
; WaveLimiterHint : 0
; COMPUTE_PGM_RSRC2:SCRATCH_EN: 0
; COMPUTE_PGM_RSRC2:USER_SGPR: 6
; COMPUTE_PGM_RSRC2:TRAP_HANDLER: 0
; COMPUTE_PGM_RSRC2:TGID_X_EN: 1
; COMPUTE_PGM_RSRC2:TGID_Y_EN: 0
; COMPUTE_PGM_RSRC2:TGID_Z_EN: 0
; COMPUTE_PGM_RSRC2:TIDIG_COMP_CNT: 0
; COMPUTE_PGM_RSRC3_GFX90A:ACCUM_OFFSET: 0
; COMPUTE_PGM_RSRC3_GFX90A:TG_SPLIT: 0
	.section	.text._ZN7rocprim17ROCPRIM_400000_NS6detail17trampoline_kernelINS0_14default_configENS1_25transform_config_selectorIxLb0EEEZNS1_14transform_implILb0ES3_S5_N6thrust23THRUST_200600_302600_NS6detail15normal_iteratorINS8_10device_ptrIxEEEEPxNS0_8identityIxEEEE10hipError_tT2_T3_mT4_P12ihipStream_tbEUlT_E_NS1_11comp_targetILNS1_3genE4ELNS1_11target_archE910ELNS1_3gpuE8ELNS1_3repE0EEENS1_30default_config_static_selectorELNS0_4arch9wavefront6targetE1EEEvT1_,"axG",@progbits,_ZN7rocprim17ROCPRIM_400000_NS6detail17trampoline_kernelINS0_14default_configENS1_25transform_config_selectorIxLb0EEEZNS1_14transform_implILb0ES3_S5_N6thrust23THRUST_200600_302600_NS6detail15normal_iteratorINS8_10device_ptrIxEEEEPxNS0_8identityIxEEEE10hipError_tT2_T3_mT4_P12ihipStream_tbEUlT_E_NS1_11comp_targetILNS1_3genE4ELNS1_11target_archE910ELNS1_3gpuE8ELNS1_3repE0EEENS1_30default_config_static_selectorELNS0_4arch9wavefront6targetE1EEEvT1_,comdat
	.protected	_ZN7rocprim17ROCPRIM_400000_NS6detail17trampoline_kernelINS0_14default_configENS1_25transform_config_selectorIxLb0EEEZNS1_14transform_implILb0ES3_S5_N6thrust23THRUST_200600_302600_NS6detail15normal_iteratorINS8_10device_ptrIxEEEEPxNS0_8identityIxEEEE10hipError_tT2_T3_mT4_P12ihipStream_tbEUlT_E_NS1_11comp_targetILNS1_3genE4ELNS1_11target_archE910ELNS1_3gpuE8ELNS1_3repE0EEENS1_30default_config_static_selectorELNS0_4arch9wavefront6targetE1EEEvT1_ ; -- Begin function _ZN7rocprim17ROCPRIM_400000_NS6detail17trampoline_kernelINS0_14default_configENS1_25transform_config_selectorIxLb0EEEZNS1_14transform_implILb0ES3_S5_N6thrust23THRUST_200600_302600_NS6detail15normal_iteratorINS8_10device_ptrIxEEEEPxNS0_8identityIxEEEE10hipError_tT2_T3_mT4_P12ihipStream_tbEUlT_E_NS1_11comp_targetILNS1_3genE4ELNS1_11target_archE910ELNS1_3gpuE8ELNS1_3repE0EEENS1_30default_config_static_selectorELNS0_4arch9wavefront6targetE1EEEvT1_
	.globl	_ZN7rocprim17ROCPRIM_400000_NS6detail17trampoline_kernelINS0_14default_configENS1_25transform_config_selectorIxLb0EEEZNS1_14transform_implILb0ES3_S5_N6thrust23THRUST_200600_302600_NS6detail15normal_iteratorINS8_10device_ptrIxEEEEPxNS0_8identityIxEEEE10hipError_tT2_T3_mT4_P12ihipStream_tbEUlT_E_NS1_11comp_targetILNS1_3genE4ELNS1_11target_archE910ELNS1_3gpuE8ELNS1_3repE0EEENS1_30default_config_static_selectorELNS0_4arch9wavefront6targetE1EEEvT1_
	.p2align	8
	.type	_ZN7rocprim17ROCPRIM_400000_NS6detail17trampoline_kernelINS0_14default_configENS1_25transform_config_selectorIxLb0EEEZNS1_14transform_implILb0ES3_S5_N6thrust23THRUST_200600_302600_NS6detail15normal_iteratorINS8_10device_ptrIxEEEEPxNS0_8identityIxEEEE10hipError_tT2_T3_mT4_P12ihipStream_tbEUlT_E_NS1_11comp_targetILNS1_3genE4ELNS1_11target_archE910ELNS1_3gpuE8ELNS1_3repE0EEENS1_30default_config_static_selectorELNS0_4arch9wavefront6targetE1EEEvT1_,@function
_ZN7rocprim17ROCPRIM_400000_NS6detail17trampoline_kernelINS0_14default_configENS1_25transform_config_selectorIxLb0EEEZNS1_14transform_implILb0ES3_S5_N6thrust23THRUST_200600_302600_NS6detail15normal_iteratorINS8_10device_ptrIxEEEEPxNS0_8identityIxEEEE10hipError_tT2_T3_mT4_P12ihipStream_tbEUlT_E_NS1_11comp_targetILNS1_3genE4ELNS1_11target_archE910ELNS1_3gpuE8ELNS1_3repE0EEENS1_30default_config_static_selectorELNS0_4arch9wavefront6targetE1EEEvT1_: ; @_ZN7rocprim17ROCPRIM_400000_NS6detail17trampoline_kernelINS0_14default_configENS1_25transform_config_selectorIxLb0EEEZNS1_14transform_implILb0ES3_S5_N6thrust23THRUST_200600_302600_NS6detail15normal_iteratorINS8_10device_ptrIxEEEEPxNS0_8identityIxEEEE10hipError_tT2_T3_mT4_P12ihipStream_tbEUlT_E_NS1_11comp_targetILNS1_3genE4ELNS1_11target_archE910ELNS1_3gpuE8ELNS1_3repE0EEENS1_30default_config_static_selectorELNS0_4arch9wavefront6targetE1EEEvT1_
; %bb.0:
	s_load_dwordx8 s[8:15], s[4:5], 0x0
	s_load_dword s2, s[4:5], 0x28
	v_lshlrev_b32_e32 v8, 3, v0
	s_waitcnt lgkmcnt(0)
	s_lshl_b64 s[0:1], s[10:11], 3
	s_add_u32 s3, s8, s0
	s_addc_u32 s4, s9, s1
	s_add_u32 s10, s14, s0
	s_addc_u32 s11, s15, s1
	s_lshl_b32 s0, s6, 9
	s_mov_b32 s1, 0
	s_add_i32 s2, s2, -1
	s_lshl_b64 s[8:9], s[0:1], 3
	s_add_u32 s13, s3, s8
	s_addc_u32 s14, s4, s9
	s_cmp_lg_u32 s6, s2
	s_cbranch_scc0 .LBB1535_2
; %bb.1:
	v_mov_b32_e32 v1, s14
	v_add_co_u32_e32 v2, vcc, s13, v8
	v_addc_co_u32_e32 v3, vcc, 0, v1, vcc
	flat_load_dwordx2 v[10:11], v[2:3]
	flat_load_dwordx2 v[4:5], v[2:3] offset:2048
	s_add_u32 s4, s10, s8
	s_addc_u32 s5, s11, s9
	v_mov_b32_e32 v1, s5
	v_add_co_u32_e32 v6, vcc, s4, v8
	v_addc_co_u32_e32 v7, vcc, 0, v1, vcc
	s_waitcnt vmcnt(0) lgkmcnt(0)
	global_store_dwordx2 v8, v[10:11], s[4:5]
	s_mov_b64 s[4:5], -1
	s_cbranch_execz .LBB1535_3
	s_branch .LBB1535_14
.LBB1535_2:
	s_mov_b64 s[4:5], 0
                                        ; implicit-def: $vgpr4_vgpr5
                                        ; implicit-def: $vgpr6_vgpr7
.LBB1535_3:
	s_sub_i32 s6, s12, s0
	v_cmp_gt_u32_e32 vcc, s6, v0
                                        ; implicit-def: $vgpr2_vgpr3_vgpr4_vgpr5
	s_and_saveexec_b64 s[2:3], vcc
	s_cbranch_execz .LBB1535_5
; %bb.4:
	v_mov_b32_e32 v1, s14
	v_add_co_u32_e64 v2, s[0:1], s13, v8
	v_addc_co_u32_e64 v3, s[0:1], 0, v1, s[0:1]
	flat_load_dwordx2 v[2:3], v[2:3]
.LBB1535_5:
	s_or_b64 exec, exec, s[2:3]
	v_or_b32_e32 v1, 0x100, v0
	v_cmp_gt_u32_e64 s[0:1], s6, v1
	v_cmp_le_u32_e64 s[2:3], s6, v1
	s_and_saveexec_b64 s[6:7], s[2:3]
	s_xor_b64 s[2:3], exec, s[6:7]
; %bb.6:
	v_mov_b32_e32 v1, 0
                                        ; implicit-def: $vgpr8
; %bb.7:
	s_andn2_saveexec_b64 s[6:7], s[2:3]
	s_cbranch_execz .LBB1535_9
; %bb.8:
	v_mov_b32_e32 v1, s14
	v_add_co_u32_e64 v4, s[2:3], s13, v8
	v_addc_co_u32_e64 v5, s[2:3], 0, v1, s[2:3]
	flat_load_dwordx2 v[4:5], v[4:5] offset:2048
	v_mov_b32_e32 v1, 0
.LBB1535_9:
	s_or_b64 exec, exec, s[6:7]
	s_add_u32 s2, s10, s8
	s_addc_u32 s3, s11, s9
	v_lshlrev_b64 v[0:1], 3, v[0:1]
	v_mov_b32_e32 v7, s3
	v_add_co_u32_e64 v6, s[2:3], s2, v0
	v_addc_co_u32_e64 v7, s[2:3], v7, v1, s[2:3]
	s_and_saveexec_b64 s[2:3], vcc
	s_cbranch_execz .LBB1535_11
; %bb.10:
	s_waitcnt vmcnt(0) lgkmcnt(0)
	global_store_dwordx2 v[6:7], v[2:3], off
.LBB1535_11:
	s_or_b64 exec, exec, s[2:3]
	s_and_saveexec_b64 s[2:3], s[0:1]
; %bb.12:
	s_or_b64 s[4:5], s[4:5], exec
; %bb.13:
	s_or_b64 exec, exec, s[2:3]
.LBB1535_14:
	s_and_saveexec_b64 s[0:1], s[4:5]
	s_cbranch_execnz .LBB1535_16
; %bb.15:
	s_endpgm
.LBB1535_16:
	s_waitcnt vmcnt(0) lgkmcnt(0)
	global_store_dwordx2 v[6:7], v[4:5], off offset:2048
	s_endpgm
	.section	.rodata,"a",@progbits
	.p2align	6, 0x0
	.amdhsa_kernel _ZN7rocprim17ROCPRIM_400000_NS6detail17trampoline_kernelINS0_14default_configENS1_25transform_config_selectorIxLb0EEEZNS1_14transform_implILb0ES3_S5_N6thrust23THRUST_200600_302600_NS6detail15normal_iteratorINS8_10device_ptrIxEEEEPxNS0_8identityIxEEEE10hipError_tT2_T3_mT4_P12ihipStream_tbEUlT_E_NS1_11comp_targetILNS1_3genE4ELNS1_11target_archE910ELNS1_3gpuE8ELNS1_3repE0EEENS1_30default_config_static_selectorELNS0_4arch9wavefront6targetE1EEEvT1_
		.amdhsa_group_segment_fixed_size 0
		.amdhsa_private_segment_fixed_size 0
		.amdhsa_kernarg_size 296
		.amdhsa_user_sgpr_count 6
		.amdhsa_user_sgpr_private_segment_buffer 1
		.amdhsa_user_sgpr_dispatch_ptr 0
		.amdhsa_user_sgpr_queue_ptr 0
		.amdhsa_user_sgpr_kernarg_segment_ptr 1
		.amdhsa_user_sgpr_dispatch_id 0
		.amdhsa_user_sgpr_flat_scratch_init 0
		.amdhsa_user_sgpr_kernarg_preload_length 0
		.amdhsa_user_sgpr_kernarg_preload_offset 0
		.amdhsa_user_sgpr_private_segment_size 0
		.amdhsa_uses_dynamic_stack 0
		.amdhsa_system_sgpr_private_segment_wavefront_offset 0
		.amdhsa_system_sgpr_workgroup_id_x 1
		.amdhsa_system_sgpr_workgroup_id_y 0
		.amdhsa_system_sgpr_workgroup_id_z 0
		.amdhsa_system_sgpr_workgroup_info 0
		.amdhsa_system_vgpr_workitem_id 0
		.amdhsa_next_free_vgpr 12
		.amdhsa_next_free_sgpr 16
		.amdhsa_accum_offset 12
		.amdhsa_reserve_vcc 1
		.amdhsa_reserve_flat_scratch 0
		.amdhsa_float_round_mode_32 0
		.amdhsa_float_round_mode_16_64 0
		.amdhsa_float_denorm_mode_32 3
		.amdhsa_float_denorm_mode_16_64 3
		.amdhsa_dx10_clamp 1
		.amdhsa_ieee_mode 1
		.amdhsa_fp16_overflow 0
		.amdhsa_tg_split 0
		.amdhsa_exception_fp_ieee_invalid_op 0
		.amdhsa_exception_fp_denorm_src 0
		.amdhsa_exception_fp_ieee_div_zero 0
		.amdhsa_exception_fp_ieee_overflow 0
		.amdhsa_exception_fp_ieee_underflow 0
		.amdhsa_exception_fp_ieee_inexact 0
		.amdhsa_exception_int_div_zero 0
	.end_amdhsa_kernel
	.section	.text._ZN7rocprim17ROCPRIM_400000_NS6detail17trampoline_kernelINS0_14default_configENS1_25transform_config_selectorIxLb0EEEZNS1_14transform_implILb0ES3_S5_N6thrust23THRUST_200600_302600_NS6detail15normal_iteratorINS8_10device_ptrIxEEEEPxNS0_8identityIxEEEE10hipError_tT2_T3_mT4_P12ihipStream_tbEUlT_E_NS1_11comp_targetILNS1_3genE4ELNS1_11target_archE910ELNS1_3gpuE8ELNS1_3repE0EEENS1_30default_config_static_selectorELNS0_4arch9wavefront6targetE1EEEvT1_,"axG",@progbits,_ZN7rocprim17ROCPRIM_400000_NS6detail17trampoline_kernelINS0_14default_configENS1_25transform_config_selectorIxLb0EEEZNS1_14transform_implILb0ES3_S5_N6thrust23THRUST_200600_302600_NS6detail15normal_iteratorINS8_10device_ptrIxEEEEPxNS0_8identityIxEEEE10hipError_tT2_T3_mT4_P12ihipStream_tbEUlT_E_NS1_11comp_targetILNS1_3genE4ELNS1_11target_archE910ELNS1_3gpuE8ELNS1_3repE0EEENS1_30default_config_static_selectorELNS0_4arch9wavefront6targetE1EEEvT1_,comdat
.Lfunc_end1535:
	.size	_ZN7rocprim17ROCPRIM_400000_NS6detail17trampoline_kernelINS0_14default_configENS1_25transform_config_selectorIxLb0EEEZNS1_14transform_implILb0ES3_S5_N6thrust23THRUST_200600_302600_NS6detail15normal_iteratorINS8_10device_ptrIxEEEEPxNS0_8identityIxEEEE10hipError_tT2_T3_mT4_P12ihipStream_tbEUlT_E_NS1_11comp_targetILNS1_3genE4ELNS1_11target_archE910ELNS1_3gpuE8ELNS1_3repE0EEENS1_30default_config_static_selectorELNS0_4arch9wavefront6targetE1EEEvT1_, .Lfunc_end1535-_ZN7rocprim17ROCPRIM_400000_NS6detail17trampoline_kernelINS0_14default_configENS1_25transform_config_selectorIxLb0EEEZNS1_14transform_implILb0ES3_S5_N6thrust23THRUST_200600_302600_NS6detail15normal_iteratorINS8_10device_ptrIxEEEEPxNS0_8identityIxEEEE10hipError_tT2_T3_mT4_P12ihipStream_tbEUlT_E_NS1_11comp_targetILNS1_3genE4ELNS1_11target_archE910ELNS1_3gpuE8ELNS1_3repE0EEENS1_30default_config_static_selectorELNS0_4arch9wavefront6targetE1EEEvT1_
                                        ; -- End function
	.section	.AMDGPU.csdata,"",@progbits
; Kernel info:
; codeLenInByte = 380
; NumSgprs: 20
; NumVgprs: 12
; NumAgprs: 0
; TotalNumVgprs: 12
; ScratchSize: 0
; MemoryBound: 0
; FloatMode: 240
; IeeeMode: 1
; LDSByteSize: 0 bytes/workgroup (compile time only)
; SGPRBlocks: 2
; VGPRBlocks: 1
; NumSGPRsForWavesPerEU: 20
; NumVGPRsForWavesPerEU: 12
; AccumOffset: 12
; Occupancy: 8
; WaveLimiterHint : 1
; COMPUTE_PGM_RSRC2:SCRATCH_EN: 0
; COMPUTE_PGM_RSRC2:USER_SGPR: 6
; COMPUTE_PGM_RSRC2:TRAP_HANDLER: 0
; COMPUTE_PGM_RSRC2:TGID_X_EN: 1
; COMPUTE_PGM_RSRC2:TGID_Y_EN: 0
; COMPUTE_PGM_RSRC2:TGID_Z_EN: 0
; COMPUTE_PGM_RSRC2:TIDIG_COMP_CNT: 0
; COMPUTE_PGM_RSRC3_GFX90A:ACCUM_OFFSET: 2
; COMPUTE_PGM_RSRC3_GFX90A:TG_SPLIT: 0
	.section	.text._ZN7rocprim17ROCPRIM_400000_NS6detail17trampoline_kernelINS0_14default_configENS1_25transform_config_selectorIxLb0EEEZNS1_14transform_implILb0ES3_S5_N6thrust23THRUST_200600_302600_NS6detail15normal_iteratorINS8_10device_ptrIxEEEEPxNS0_8identityIxEEEE10hipError_tT2_T3_mT4_P12ihipStream_tbEUlT_E_NS1_11comp_targetILNS1_3genE3ELNS1_11target_archE908ELNS1_3gpuE7ELNS1_3repE0EEENS1_30default_config_static_selectorELNS0_4arch9wavefront6targetE1EEEvT1_,"axG",@progbits,_ZN7rocprim17ROCPRIM_400000_NS6detail17trampoline_kernelINS0_14default_configENS1_25transform_config_selectorIxLb0EEEZNS1_14transform_implILb0ES3_S5_N6thrust23THRUST_200600_302600_NS6detail15normal_iteratorINS8_10device_ptrIxEEEEPxNS0_8identityIxEEEE10hipError_tT2_T3_mT4_P12ihipStream_tbEUlT_E_NS1_11comp_targetILNS1_3genE3ELNS1_11target_archE908ELNS1_3gpuE7ELNS1_3repE0EEENS1_30default_config_static_selectorELNS0_4arch9wavefront6targetE1EEEvT1_,comdat
	.protected	_ZN7rocprim17ROCPRIM_400000_NS6detail17trampoline_kernelINS0_14default_configENS1_25transform_config_selectorIxLb0EEEZNS1_14transform_implILb0ES3_S5_N6thrust23THRUST_200600_302600_NS6detail15normal_iteratorINS8_10device_ptrIxEEEEPxNS0_8identityIxEEEE10hipError_tT2_T3_mT4_P12ihipStream_tbEUlT_E_NS1_11comp_targetILNS1_3genE3ELNS1_11target_archE908ELNS1_3gpuE7ELNS1_3repE0EEENS1_30default_config_static_selectorELNS0_4arch9wavefront6targetE1EEEvT1_ ; -- Begin function _ZN7rocprim17ROCPRIM_400000_NS6detail17trampoline_kernelINS0_14default_configENS1_25transform_config_selectorIxLb0EEEZNS1_14transform_implILb0ES3_S5_N6thrust23THRUST_200600_302600_NS6detail15normal_iteratorINS8_10device_ptrIxEEEEPxNS0_8identityIxEEEE10hipError_tT2_T3_mT4_P12ihipStream_tbEUlT_E_NS1_11comp_targetILNS1_3genE3ELNS1_11target_archE908ELNS1_3gpuE7ELNS1_3repE0EEENS1_30default_config_static_selectorELNS0_4arch9wavefront6targetE1EEEvT1_
	.globl	_ZN7rocprim17ROCPRIM_400000_NS6detail17trampoline_kernelINS0_14default_configENS1_25transform_config_selectorIxLb0EEEZNS1_14transform_implILb0ES3_S5_N6thrust23THRUST_200600_302600_NS6detail15normal_iteratorINS8_10device_ptrIxEEEEPxNS0_8identityIxEEEE10hipError_tT2_T3_mT4_P12ihipStream_tbEUlT_E_NS1_11comp_targetILNS1_3genE3ELNS1_11target_archE908ELNS1_3gpuE7ELNS1_3repE0EEENS1_30default_config_static_selectorELNS0_4arch9wavefront6targetE1EEEvT1_
	.p2align	8
	.type	_ZN7rocprim17ROCPRIM_400000_NS6detail17trampoline_kernelINS0_14default_configENS1_25transform_config_selectorIxLb0EEEZNS1_14transform_implILb0ES3_S5_N6thrust23THRUST_200600_302600_NS6detail15normal_iteratorINS8_10device_ptrIxEEEEPxNS0_8identityIxEEEE10hipError_tT2_T3_mT4_P12ihipStream_tbEUlT_E_NS1_11comp_targetILNS1_3genE3ELNS1_11target_archE908ELNS1_3gpuE7ELNS1_3repE0EEENS1_30default_config_static_selectorELNS0_4arch9wavefront6targetE1EEEvT1_,@function
_ZN7rocprim17ROCPRIM_400000_NS6detail17trampoline_kernelINS0_14default_configENS1_25transform_config_selectorIxLb0EEEZNS1_14transform_implILb0ES3_S5_N6thrust23THRUST_200600_302600_NS6detail15normal_iteratorINS8_10device_ptrIxEEEEPxNS0_8identityIxEEEE10hipError_tT2_T3_mT4_P12ihipStream_tbEUlT_E_NS1_11comp_targetILNS1_3genE3ELNS1_11target_archE908ELNS1_3gpuE7ELNS1_3repE0EEENS1_30default_config_static_selectorELNS0_4arch9wavefront6targetE1EEEvT1_: ; @_ZN7rocprim17ROCPRIM_400000_NS6detail17trampoline_kernelINS0_14default_configENS1_25transform_config_selectorIxLb0EEEZNS1_14transform_implILb0ES3_S5_N6thrust23THRUST_200600_302600_NS6detail15normal_iteratorINS8_10device_ptrIxEEEEPxNS0_8identityIxEEEE10hipError_tT2_T3_mT4_P12ihipStream_tbEUlT_E_NS1_11comp_targetILNS1_3genE3ELNS1_11target_archE908ELNS1_3gpuE7ELNS1_3repE0EEENS1_30default_config_static_selectorELNS0_4arch9wavefront6targetE1EEEvT1_
; %bb.0:
	.section	.rodata,"a",@progbits
	.p2align	6, 0x0
	.amdhsa_kernel _ZN7rocprim17ROCPRIM_400000_NS6detail17trampoline_kernelINS0_14default_configENS1_25transform_config_selectorIxLb0EEEZNS1_14transform_implILb0ES3_S5_N6thrust23THRUST_200600_302600_NS6detail15normal_iteratorINS8_10device_ptrIxEEEEPxNS0_8identityIxEEEE10hipError_tT2_T3_mT4_P12ihipStream_tbEUlT_E_NS1_11comp_targetILNS1_3genE3ELNS1_11target_archE908ELNS1_3gpuE7ELNS1_3repE0EEENS1_30default_config_static_selectorELNS0_4arch9wavefront6targetE1EEEvT1_
		.amdhsa_group_segment_fixed_size 0
		.amdhsa_private_segment_fixed_size 0
		.amdhsa_kernarg_size 40
		.amdhsa_user_sgpr_count 6
		.amdhsa_user_sgpr_private_segment_buffer 1
		.amdhsa_user_sgpr_dispatch_ptr 0
		.amdhsa_user_sgpr_queue_ptr 0
		.amdhsa_user_sgpr_kernarg_segment_ptr 1
		.amdhsa_user_sgpr_dispatch_id 0
		.amdhsa_user_sgpr_flat_scratch_init 0
		.amdhsa_user_sgpr_kernarg_preload_length 0
		.amdhsa_user_sgpr_kernarg_preload_offset 0
		.amdhsa_user_sgpr_private_segment_size 0
		.amdhsa_uses_dynamic_stack 0
		.amdhsa_system_sgpr_private_segment_wavefront_offset 0
		.amdhsa_system_sgpr_workgroup_id_x 1
		.amdhsa_system_sgpr_workgroup_id_y 0
		.amdhsa_system_sgpr_workgroup_id_z 0
		.amdhsa_system_sgpr_workgroup_info 0
		.amdhsa_system_vgpr_workitem_id 0
		.amdhsa_next_free_vgpr 1
		.amdhsa_next_free_sgpr 0
		.amdhsa_accum_offset 4
		.amdhsa_reserve_vcc 0
		.amdhsa_reserve_flat_scratch 0
		.amdhsa_float_round_mode_32 0
		.amdhsa_float_round_mode_16_64 0
		.amdhsa_float_denorm_mode_32 3
		.amdhsa_float_denorm_mode_16_64 3
		.amdhsa_dx10_clamp 1
		.amdhsa_ieee_mode 1
		.amdhsa_fp16_overflow 0
		.amdhsa_tg_split 0
		.amdhsa_exception_fp_ieee_invalid_op 0
		.amdhsa_exception_fp_denorm_src 0
		.amdhsa_exception_fp_ieee_div_zero 0
		.amdhsa_exception_fp_ieee_overflow 0
		.amdhsa_exception_fp_ieee_underflow 0
		.amdhsa_exception_fp_ieee_inexact 0
		.amdhsa_exception_int_div_zero 0
	.end_amdhsa_kernel
	.section	.text._ZN7rocprim17ROCPRIM_400000_NS6detail17trampoline_kernelINS0_14default_configENS1_25transform_config_selectorIxLb0EEEZNS1_14transform_implILb0ES3_S5_N6thrust23THRUST_200600_302600_NS6detail15normal_iteratorINS8_10device_ptrIxEEEEPxNS0_8identityIxEEEE10hipError_tT2_T3_mT4_P12ihipStream_tbEUlT_E_NS1_11comp_targetILNS1_3genE3ELNS1_11target_archE908ELNS1_3gpuE7ELNS1_3repE0EEENS1_30default_config_static_selectorELNS0_4arch9wavefront6targetE1EEEvT1_,"axG",@progbits,_ZN7rocprim17ROCPRIM_400000_NS6detail17trampoline_kernelINS0_14default_configENS1_25transform_config_selectorIxLb0EEEZNS1_14transform_implILb0ES3_S5_N6thrust23THRUST_200600_302600_NS6detail15normal_iteratorINS8_10device_ptrIxEEEEPxNS0_8identityIxEEEE10hipError_tT2_T3_mT4_P12ihipStream_tbEUlT_E_NS1_11comp_targetILNS1_3genE3ELNS1_11target_archE908ELNS1_3gpuE7ELNS1_3repE0EEENS1_30default_config_static_selectorELNS0_4arch9wavefront6targetE1EEEvT1_,comdat
.Lfunc_end1536:
	.size	_ZN7rocprim17ROCPRIM_400000_NS6detail17trampoline_kernelINS0_14default_configENS1_25transform_config_selectorIxLb0EEEZNS1_14transform_implILb0ES3_S5_N6thrust23THRUST_200600_302600_NS6detail15normal_iteratorINS8_10device_ptrIxEEEEPxNS0_8identityIxEEEE10hipError_tT2_T3_mT4_P12ihipStream_tbEUlT_E_NS1_11comp_targetILNS1_3genE3ELNS1_11target_archE908ELNS1_3gpuE7ELNS1_3repE0EEENS1_30default_config_static_selectorELNS0_4arch9wavefront6targetE1EEEvT1_, .Lfunc_end1536-_ZN7rocprim17ROCPRIM_400000_NS6detail17trampoline_kernelINS0_14default_configENS1_25transform_config_selectorIxLb0EEEZNS1_14transform_implILb0ES3_S5_N6thrust23THRUST_200600_302600_NS6detail15normal_iteratorINS8_10device_ptrIxEEEEPxNS0_8identityIxEEEE10hipError_tT2_T3_mT4_P12ihipStream_tbEUlT_E_NS1_11comp_targetILNS1_3genE3ELNS1_11target_archE908ELNS1_3gpuE7ELNS1_3repE0EEENS1_30default_config_static_selectorELNS0_4arch9wavefront6targetE1EEEvT1_
                                        ; -- End function
	.section	.AMDGPU.csdata,"",@progbits
; Kernel info:
; codeLenInByte = 0
; NumSgprs: 4
; NumVgprs: 0
; NumAgprs: 0
; TotalNumVgprs: 0
; ScratchSize: 0
; MemoryBound: 0
; FloatMode: 240
; IeeeMode: 1
; LDSByteSize: 0 bytes/workgroup (compile time only)
; SGPRBlocks: 0
; VGPRBlocks: 0
; NumSGPRsForWavesPerEU: 4
; NumVGPRsForWavesPerEU: 1
; AccumOffset: 4
; Occupancy: 8
; WaveLimiterHint : 0
; COMPUTE_PGM_RSRC2:SCRATCH_EN: 0
; COMPUTE_PGM_RSRC2:USER_SGPR: 6
; COMPUTE_PGM_RSRC2:TRAP_HANDLER: 0
; COMPUTE_PGM_RSRC2:TGID_X_EN: 1
; COMPUTE_PGM_RSRC2:TGID_Y_EN: 0
; COMPUTE_PGM_RSRC2:TGID_Z_EN: 0
; COMPUTE_PGM_RSRC2:TIDIG_COMP_CNT: 0
; COMPUTE_PGM_RSRC3_GFX90A:ACCUM_OFFSET: 0
; COMPUTE_PGM_RSRC3_GFX90A:TG_SPLIT: 0
	.section	.text._ZN7rocprim17ROCPRIM_400000_NS6detail17trampoline_kernelINS0_14default_configENS1_25transform_config_selectorIxLb0EEEZNS1_14transform_implILb0ES3_S5_N6thrust23THRUST_200600_302600_NS6detail15normal_iteratorINS8_10device_ptrIxEEEEPxNS0_8identityIxEEEE10hipError_tT2_T3_mT4_P12ihipStream_tbEUlT_E_NS1_11comp_targetILNS1_3genE2ELNS1_11target_archE906ELNS1_3gpuE6ELNS1_3repE0EEENS1_30default_config_static_selectorELNS0_4arch9wavefront6targetE1EEEvT1_,"axG",@progbits,_ZN7rocprim17ROCPRIM_400000_NS6detail17trampoline_kernelINS0_14default_configENS1_25transform_config_selectorIxLb0EEEZNS1_14transform_implILb0ES3_S5_N6thrust23THRUST_200600_302600_NS6detail15normal_iteratorINS8_10device_ptrIxEEEEPxNS0_8identityIxEEEE10hipError_tT2_T3_mT4_P12ihipStream_tbEUlT_E_NS1_11comp_targetILNS1_3genE2ELNS1_11target_archE906ELNS1_3gpuE6ELNS1_3repE0EEENS1_30default_config_static_selectorELNS0_4arch9wavefront6targetE1EEEvT1_,comdat
	.protected	_ZN7rocprim17ROCPRIM_400000_NS6detail17trampoline_kernelINS0_14default_configENS1_25transform_config_selectorIxLb0EEEZNS1_14transform_implILb0ES3_S5_N6thrust23THRUST_200600_302600_NS6detail15normal_iteratorINS8_10device_ptrIxEEEEPxNS0_8identityIxEEEE10hipError_tT2_T3_mT4_P12ihipStream_tbEUlT_E_NS1_11comp_targetILNS1_3genE2ELNS1_11target_archE906ELNS1_3gpuE6ELNS1_3repE0EEENS1_30default_config_static_selectorELNS0_4arch9wavefront6targetE1EEEvT1_ ; -- Begin function _ZN7rocprim17ROCPRIM_400000_NS6detail17trampoline_kernelINS0_14default_configENS1_25transform_config_selectorIxLb0EEEZNS1_14transform_implILb0ES3_S5_N6thrust23THRUST_200600_302600_NS6detail15normal_iteratorINS8_10device_ptrIxEEEEPxNS0_8identityIxEEEE10hipError_tT2_T3_mT4_P12ihipStream_tbEUlT_E_NS1_11comp_targetILNS1_3genE2ELNS1_11target_archE906ELNS1_3gpuE6ELNS1_3repE0EEENS1_30default_config_static_selectorELNS0_4arch9wavefront6targetE1EEEvT1_
	.globl	_ZN7rocprim17ROCPRIM_400000_NS6detail17trampoline_kernelINS0_14default_configENS1_25transform_config_selectorIxLb0EEEZNS1_14transform_implILb0ES3_S5_N6thrust23THRUST_200600_302600_NS6detail15normal_iteratorINS8_10device_ptrIxEEEEPxNS0_8identityIxEEEE10hipError_tT2_T3_mT4_P12ihipStream_tbEUlT_E_NS1_11comp_targetILNS1_3genE2ELNS1_11target_archE906ELNS1_3gpuE6ELNS1_3repE0EEENS1_30default_config_static_selectorELNS0_4arch9wavefront6targetE1EEEvT1_
	.p2align	8
	.type	_ZN7rocprim17ROCPRIM_400000_NS6detail17trampoline_kernelINS0_14default_configENS1_25transform_config_selectorIxLb0EEEZNS1_14transform_implILb0ES3_S5_N6thrust23THRUST_200600_302600_NS6detail15normal_iteratorINS8_10device_ptrIxEEEEPxNS0_8identityIxEEEE10hipError_tT2_T3_mT4_P12ihipStream_tbEUlT_E_NS1_11comp_targetILNS1_3genE2ELNS1_11target_archE906ELNS1_3gpuE6ELNS1_3repE0EEENS1_30default_config_static_selectorELNS0_4arch9wavefront6targetE1EEEvT1_,@function
_ZN7rocprim17ROCPRIM_400000_NS6detail17trampoline_kernelINS0_14default_configENS1_25transform_config_selectorIxLb0EEEZNS1_14transform_implILb0ES3_S5_N6thrust23THRUST_200600_302600_NS6detail15normal_iteratorINS8_10device_ptrIxEEEEPxNS0_8identityIxEEEE10hipError_tT2_T3_mT4_P12ihipStream_tbEUlT_E_NS1_11comp_targetILNS1_3genE2ELNS1_11target_archE906ELNS1_3gpuE6ELNS1_3repE0EEENS1_30default_config_static_selectorELNS0_4arch9wavefront6targetE1EEEvT1_: ; @_ZN7rocprim17ROCPRIM_400000_NS6detail17trampoline_kernelINS0_14default_configENS1_25transform_config_selectorIxLb0EEEZNS1_14transform_implILb0ES3_S5_N6thrust23THRUST_200600_302600_NS6detail15normal_iteratorINS8_10device_ptrIxEEEEPxNS0_8identityIxEEEE10hipError_tT2_T3_mT4_P12ihipStream_tbEUlT_E_NS1_11comp_targetILNS1_3genE2ELNS1_11target_archE906ELNS1_3gpuE6ELNS1_3repE0EEENS1_30default_config_static_selectorELNS0_4arch9wavefront6targetE1EEEvT1_
; %bb.0:
	.section	.rodata,"a",@progbits
	.p2align	6, 0x0
	.amdhsa_kernel _ZN7rocprim17ROCPRIM_400000_NS6detail17trampoline_kernelINS0_14default_configENS1_25transform_config_selectorIxLb0EEEZNS1_14transform_implILb0ES3_S5_N6thrust23THRUST_200600_302600_NS6detail15normal_iteratorINS8_10device_ptrIxEEEEPxNS0_8identityIxEEEE10hipError_tT2_T3_mT4_P12ihipStream_tbEUlT_E_NS1_11comp_targetILNS1_3genE2ELNS1_11target_archE906ELNS1_3gpuE6ELNS1_3repE0EEENS1_30default_config_static_selectorELNS0_4arch9wavefront6targetE1EEEvT1_
		.amdhsa_group_segment_fixed_size 0
		.amdhsa_private_segment_fixed_size 0
		.amdhsa_kernarg_size 40
		.amdhsa_user_sgpr_count 6
		.amdhsa_user_sgpr_private_segment_buffer 1
		.amdhsa_user_sgpr_dispatch_ptr 0
		.amdhsa_user_sgpr_queue_ptr 0
		.amdhsa_user_sgpr_kernarg_segment_ptr 1
		.amdhsa_user_sgpr_dispatch_id 0
		.amdhsa_user_sgpr_flat_scratch_init 0
		.amdhsa_user_sgpr_kernarg_preload_length 0
		.amdhsa_user_sgpr_kernarg_preload_offset 0
		.amdhsa_user_sgpr_private_segment_size 0
		.amdhsa_uses_dynamic_stack 0
		.amdhsa_system_sgpr_private_segment_wavefront_offset 0
		.amdhsa_system_sgpr_workgroup_id_x 1
		.amdhsa_system_sgpr_workgroup_id_y 0
		.amdhsa_system_sgpr_workgroup_id_z 0
		.amdhsa_system_sgpr_workgroup_info 0
		.amdhsa_system_vgpr_workitem_id 0
		.amdhsa_next_free_vgpr 1
		.amdhsa_next_free_sgpr 0
		.amdhsa_accum_offset 4
		.amdhsa_reserve_vcc 0
		.amdhsa_reserve_flat_scratch 0
		.amdhsa_float_round_mode_32 0
		.amdhsa_float_round_mode_16_64 0
		.amdhsa_float_denorm_mode_32 3
		.amdhsa_float_denorm_mode_16_64 3
		.amdhsa_dx10_clamp 1
		.amdhsa_ieee_mode 1
		.amdhsa_fp16_overflow 0
		.amdhsa_tg_split 0
		.amdhsa_exception_fp_ieee_invalid_op 0
		.amdhsa_exception_fp_denorm_src 0
		.amdhsa_exception_fp_ieee_div_zero 0
		.amdhsa_exception_fp_ieee_overflow 0
		.amdhsa_exception_fp_ieee_underflow 0
		.amdhsa_exception_fp_ieee_inexact 0
		.amdhsa_exception_int_div_zero 0
	.end_amdhsa_kernel
	.section	.text._ZN7rocprim17ROCPRIM_400000_NS6detail17trampoline_kernelINS0_14default_configENS1_25transform_config_selectorIxLb0EEEZNS1_14transform_implILb0ES3_S5_N6thrust23THRUST_200600_302600_NS6detail15normal_iteratorINS8_10device_ptrIxEEEEPxNS0_8identityIxEEEE10hipError_tT2_T3_mT4_P12ihipStream_tbEUlT_E_NS1_11comp_targetILNS1_3genE2ELNS1_11target_archE906ELNS1_3gpuE6ELNS1_3repE0EEENS1_30default_config_static_selectorELNS0_4arch9wavefront6targetE1EEEvT1_,"axG",@progbits,_ZN7rocprim17ROCPRIM_400000_NS6detail17trampoline_kernelINS0_14default_configENS1_25transform_config_selectorIxLb0EEEZNS1_14transform_implILb0ES3_S5_N6thrust23THRUST_200600_302600_NS6detail15normal_iteratorINS8_10device_ptrIxEEEEPxNS0_8identityIxEEEE10hipError_tT2_T3_mT4_P12ihipStream_tbEUlT_E_NS1_11comp_targetILNS1_3genE2ELNS1_11target_archE906ELNS1_3gpuE6ELNS1_3repE0EEENS1_30default_config_static_selectorELNS0_4arch9wavefront6targetE1EEEvT1_,comdat
.Lfunc_end1537:
	.size	_ZN7rocprim17ROCPRIM_400000_NS6detail17trampoline_kernelINS0_14default_configENS1_25transform_config_selectorIxLb0EEEZNS1_14transform_implILb0ES3_S5_N6thrust23THRUST_200600_302600_NS6detail15normal_iteratorINS8_10device_ptrIxEEEEPxNS0_8identityIxEEEE10hipError_tT2_T3_mT4_P12ihipStream_tbEUlT_E_NS1_11comp_targetILNS1_3genE2ELNS1_11target_archE906ELNS1_3gpuE6ELNS1_3repE0EEENS1_30default_config_static_selectorELNS0_4arch9wavefront6targetE1EEEvT1_, .Lfunc_end1537-_ZN7rocprim17ROCPRIM_400000_NS6detail17trampoline_kernelINS0_14default_configENS1_25transform_config_selectorIxLb0EEEZNS1_14transform_implILb0ES3_S5_N6thrust23THRUST_200600_302600_NS6detail15normal_iteratorINS8_10device_ptrIxEEEEPxNS0_8identityIxEEEE10hipError_tT2_T3_mT4_P12ihipStream_tbEUlT_E_NS1_11comp_targetILNS1_3genE2ELNS1_11target_archE906ELNS1_3gpuE6ELNS1_3repE0EEENS1_30default_config_static_selectorELNS0_4arch9wavefront6targetE1EEEvT1_
                                        ; -- End function
	.section	.AMDGPU.csdata,"",@progbits
; Kernel info:
; codeLenInByte = 0
; NumSgprs: 4
; NumVgprs: 0
; NumAgprs: 0
; TotalNumVgprs: 0
; ScratchSize: 0
; MemoryBound: 0
; FloatMode: 240
; IeeeMode: 1
; LDSByteSize: 0 bytes/workgroup (compile time only)
; SGPRBlocks: 0
; VGPRBlocks: 0
; NumSGPRsForWavesPerEU: 4
; NumVGPRsForWavesPerEU: 1
; AccumOffset: 4
; Occupancy: 8
; WaveLimiterHint : 0
; COMPUTE_PGM_RSRC2:SCRATCH_EN: 0
; COMPUTE_PGM_RSRC2:USER_SGPR: 6
; COMPUTE_PGM_RSRC2:TRAP_HANDLER: 0
; COMPUTE_PGM_RSRC2:TGID_X_EN: 1
; COMPUTE_PGM_RSRC2:TGID_Y_EN: 0
; COMPUTE_PGM_RSRC2:TGID_Z_EN: 0
; COMPUTE_PGM_RSRC2:TIDIG_COMP_CNT: 0
; COMPUTE_PGM_RSRC3_GFX90A:ACCUM_OFFSET: 0
; COMPUTE_PGM_RSRC3_GFX90A:TG_SPLIT: 0
	.section	.text._ZN7rocprim17ROCPRIM_400000_NS6detail17trampoline_kernelINS0_14default_configENS1_25transform_config_selectorIxLb0EEEZNS1_14transform_implILb0ES3_S5_N6thrust23THRUST_200600_302600_NS6detail15normal_iteratorINS8_10device_ptrIxEEEEPxNS0_8identityIxEEEE10hipError_tT2_T3_mT4_P12ihipStream_tbEUlT_E_NS1_11comp_targetILNS1_3genE10ELNS1_11target_archE1201ELNS1_3gpuE5ELNS1_3repE0EEENS1_30default_config_static_selectorELNS0_4arch9wavefront6targetE1EEEvT1_,"axG",@progbits,_ZN7rocprim17ROCPRIM_400000_NS6detail17trampoline_kernelINS0_14default_configENS1_25transform_config_selectorIxLb0EEEZNS1_14transform_implILb0ES3_S5_N6thrust23THRUST_200600_302600_NS6detail15normal_iteratorINS8_10device_ptrIxEEEEPxNS0_8identityIxEEEE10hipError_tT2_T3_mT4_P12ihipStream_tbEUlT_E_NS1_11comp_targetILNS1_3genE10ELNS1_11target_archE1201ELNS1_3gpuE5ELNS1_3repE0EEENS1_30default_config_static_selectorELNS0_4arch9wavefront6targetE1EEEvT1_,comdat
	.protected	_ZN7rocprim17ROCPRIM_400000_NS6detail17trampoline_kernelINS0_14default_configENS1_25transform_config_selectorIxLb0EEEZNS1_14transform_implILb0ES3_S5_N6thrust23THRUST_200600_302600_NS6detail15normal_iteratorINS8_10device_ptrIxEEEEPxNS0_8identityIxEEEE10hipError_tT2_T3_mT4_P12ihipStream_tbEUlT_E_NS1_11comp_targetILNS1_3genE10ELNS1_11target_archE1201ELNS1_3gpuE5ELNS1_3repE0EEENS1_30default_config_static_selectorELNS0_4arch9wavefront6targetE1EEEvT1_ ; -- Begin function _ZN7rocprim17ROCPRIM_400000_NS6detail17trampoline_kernelINS0_14default_configENS1_25transform_config_selectorIxLb0EEEZNS1_14transform_implILb0ES3_S5_N6thrust23THRUST_200600_302600_NS6detail15normal_iteratorINS8_10device_ptrIxEEEEPxNS0_8identityIxEEEE10hipError_tT2_T3_mT4_P12ihipStream_tbEUlT_E_NS1_11comp_targetILNS1_3genE10ELNS1_11target_archE1201ELNS1_3gpuE5ELNS1_3repE0EEENS1_30default_config_static_selectorELNS0_4arch9wavefront6targetE1EEEvT1_
	.globl	_ZN7rocprim17ROCPRIM_400000_NS6detail17trampoline_kernelINS0_14default_configENS1_25transform_config_selectorIxLb0EEEZNS1_14transform_implILb0ES3_S5_N6thrust23THRUST_200600_302600_NS6detail15normal_iteratorINS8_10device_ptrIxEEEEPxNS0_8identityIxEEEE10hipError_tT2_T3_mT4_P12ihipStream_tbEUlT_E_NS1_11comp_targetILNS1_3genE10ELNS1_11target_archE1201ELNS1_3gpuE5ELNS1_3repE0EEENS1_30default_config_static_selectorELNS0_4arch9wavefront6targetE1EEEvT1_
	.p2align	8
	.type	_ZN7rocprim17ROCPRIM_400000_NS6detail17trampoline_kernelINS0_14default_configENS1_25transform_config_selectorIxLb0EEEZNS1_14transform_implILb0ES3_S5_N6thrust23THRUST_200600_302600_NS6detail15normal_iteratorINS8_10device_ptrIxEEEEPxNS0_8identityIxEEEE10hipError_tT2_T3_mT4_P12ihipStream_tbEUlT_E_NS1_11comp_targetILNS1_3genE10ELNS1_11target_archE1201ELNS1_3gpuE5ELNS1_3repE0EEENS1_30default_config_static_selectorELNS0_4arch9wavefront6targetE1EEEvT1_,@function
_ZN7rocprim17ROCPRIM_400000_NS6detail17trampoline_kernelINS0_14default_configENS1_25transform_config_selectorIxLb0EEEZNS1_14transform_implILb0ES3_S5_N6thrust23THRUST_200600_302600_NS6detail15normal_iteratorINS8_10device_ptrIxEEEEPxNS0_8identityIxEEEE10hipError_tT2_T3_mT4_P12ihipStream_tbEUlT_E_NS1_11comp_targetILNS1_3genE10ELNS1_11target_archE1201ELNS1_3gpuE5ELNS1_3repE0EEENS1_30default_config_static_selectorELNS0_4arch9wavefront6targetE1EEEvT1_: ; @_ZN7rocprim17ROCPRIM_400000_NS6detail17trampoline_kernelINS0_14default_configENS1_25transform_config_selectorIxLb0EEEZNS1_14transform_implILb0ES3_S5_N6thrust23THRUST_200600_302600_NS6detail15normal_iteratorINS8_10device_ptrIxEEEEPxNS0_8identityIxEEEE10hipError_tT2_T3_mT4_P12ihipStream_tbEUlT_E_NS1_11comp_targetILNS1_3genE10ELNS1_11target_archE1201ELNS1_3gpuE5ELNS1_3repE0EEENS1_30default_config_static_selectorELNS0_4arch9wavefront6targetE1EEEvT1_
; %bb.0:
	.section	.rodata,"a",@progbits
	.p2align	6, 0x0
	.amdhsa_kernel _ZN7rocprim17ROCPRIM_400000_NS6detail17trampoline_kernelINS0_14default_configENS1_25transform_config_selectorIxLb0EEEZNS1_14transform_implILb0ES3_S5_N6thrust23THRUST_200600_302600_NS6detail15normal_iteratorINS8_10device_ptrIxEEEEPxNS0_8identityIxEEEE10hipError_tT2_T3_mT4_P12ihipStream_tbEUlT_E_NS1_11comp_targetILNS1_3genE10ELNS1_11target_archE1201ELNS1_3gpuE5ELNS1_3repE0EEENS1_30default_config_static_selectorELNS0_4arch9wavefront6targetE1EEEvT1_
		.amdhsa_group_segment_fixed_size 0
		.amdhsa_private_segment_fixed_size 0
		.amdhsa_kernarg_size 40
		.amdhsa_user_sgpr_count 6
		.amdhsa_user_sgpr_private_segment_buffer 1
		.amdhsa_user_sgpr_dispatch_ptr 0
		.amdhsa_user_sgpr_queue_ptr 0
		.amdhsa_user_sgpr_kernarg_segment_ptr 1
		.amdhsa_user_sgpr_dispatch_id 0
		.amdhsa_user_sgpr_flat_scratch_init 0
		.amdhsa_user_sgpr_kernarg_preload_length 0
		.amdhsa_user_sgpr_kernarg_preload_offset 0
		.amdhsa_user_sgpr_private_segment_size 0
		.amdhsa_uses_dynamic_stack 0
		.amdhsa_system_sgpr_private_segment_wavefront_offset 0
		.amdhsa_system_sgpr_workgroup_id_x 1
		.amdhsa_system_sgpr_workgroup_id_y 0
		.amdhsa_system_sgpr_workgroup_id_z 0
		.amdhsa_system_sgpr_workgroup_info 0
		.amdhsa_system_vgpr_workitem_id 0
		.amdhsa_next_free_vgpr 1
		.amdhsa_next_free_sgpr 0
		.amdhsa_accum_offset 4
		.amdhsa_reserve_vcc 0
		.amdhsa_reserve_flat_scratch 0
		.amdhsa_float_round_mode_32 0
		.amdhsa_float_round_mode_16_64 0
		.amdhsa_float_denorm_mode_32 3
		.amdhsa_float_denorm_mode_16_64 3
		.amdhsa_dx10_clamp 1
		.amdhsa_ieee_mode 1
		.amdhsa_fp16_overflow 0
		.amdhsa_tg_split 0
		.amdhsa_exception_fp_ieee_invalid_op 0
		.amdhsa_exception_fp_denorm_src 0
		.amdhsa_exception_fp_ieee_div_zero 0
		.amdhsa_exception_fp_ieee_overflow 0
		.amdhsa_exception_fp_ieee_underflow 0
		.amdhsa_exception_fp_ieee_inexact 0
		.amdhsa_exception_int_div_zero 0
	.end_amdhsa_kernel
	.section	.text._ZN7rocprim17ROCPRIM_400000_NS6detail17trampoline_kernelINS0_14default_configENS1_25transform_config_selectorIxLb0EEEZNS1_14transform_implILb0ES3_S5_N6thrust23THRUST_200600_302600_NS6detail15normal_iteratorINS8_10device_ptrIxEEEEPxNS0_8identityIxEEEE10hipError_tT2_T3_mT4_P12ihipStream_tbEUlT_E_NS1_11comp_targetILNS1_3genE10ELNS1_11target_archE1201ELNS1_3gpuE5ELNS1_3repE0EEENS1_30default_config_static_selectorELNS0_4arch9wavefront6targetE1EEEvT1_,"axG",@progbits,_ZN7rocprim17ROCPRIM_400000_NS6detail17trampoline_kernelINS0_14default_configENS1_25transform_config_selectorIxLb0EEEZNS1_14transform_implILb0ES3_S5_N6thrust23THRUST_200600_302600_NS6detail15normal_iteratorINS8_10device_ptrIxEEEEPxNS0_8identityIxEEEE10hipError_tT2_T3_mT4_P12ihipStream_tbEUlT_E_NS1_11comp_targetILNS1_3genE10ELNS1_11target_archE1201ELNS1_3gpuE5ELNS1_3repE0EEENS1_30default_config_static_selectorELNS0_4arch9wavefront6targetE1EEEvT1_,comdat
.Lfunc_end1538:
	.size	_ZN7rocprim17ROCPRIM_400000_NS6detail17trampoline_kernelINS0_14default_configENS1_25transform_config_selectorIxLb0EEEZNS1_14transform_implILb0ES3_S5_N6thrust23THRUST_200600_302600_NS6detail15normal_iteratorINS8_10device_ptrIxEEEEPxNS0_8identityIxEEEE10hipError_tT2_T3_mT4_P12ihipStream_tbEUlT_E_NS1_11comp_targetILNS1_3genE10ELNS1_11target_archE1201ELNS1_3gpuE5ELNS1_3repE0EEENS1_30default_config_static_selectorELNS0_4arch9wavefront6targetE1EEEvT1_, .Lfunc_end1538-_ZN7rocprim17ROCPRIM_400000_NS6detail17trampoline_kernelINS0_14default_configENS1_25transform_config_selectorIxLb0EEEZNS1_14transform_implILb0ES3_S5_N6thrust23THRUST_200600_302600_NS6detail15normal_iteratorINS8_10device_ptrIxEEEEPxNS0_8identityIxEEEE10hipError_tT2_T3_mT4_P12ihipStream_tbEUlT_E_NS1_11comp_targetILNS1_3genE10ELNS1_11target_archE1201ELNS1_3gpuE5ELNS1_3repE0EEENS1_30default_config_static_selectorELNS0_4arch9wavefront6targetE1EEEvT1_
                                        ; -- End function
	.section	.AMDGPU.csdata,"",@progbits
; Kernel info:
; codeLenInByte = 0
; NumSgprs: 4
; NumVgprs: 0
; NumAgprs: 0
; TotalNumVgprs: 0
; ScratchSize: 0
; MemoryBound: 0
; FloatMode: 240
; IeeeMode: 1
; LDSByteSize: 0 bytes/workgroup (compile time only)
; SGPRBlocks: 0
; VGPRBlocks: 0
; NumSGPRsForWavesPerEU: 4
; NumVGPRsForWavesPerEU: 1
; AccumOffset: 4
; Occupancy: 8
; WaveLimiterHint : 0
; COMPUTE_PGM_RSRC2:SCRATCH_EN: 0
; COMPUTE_PGM_RSRC2:USER_SGPR: 6
; COMPUTE_PGM_RSRC2:TRAP_HANDLER: 0
; COMPUTE_PGM_RSRC2:TGID_X_EN: 1
; COMPUTE_PGM_RSRC2:TGID_Y_EN: 0
; COMPUTE_PGM_RSRC2:TGID_Z_EN: 0
; COMPUTE_PGM_RSRC2:TIDIG_COMP_CNT: 0
; COMPUTE_PGM_RSRC3_GFX90A:ACCUM_OFFSET: 0
; COMPUTE_PGM_RSRC3_GFX90A:TG_SPLIT: 0
	.section	.text._ZN7rocprim17ROCPRIM_400000_NS6detail17trampoline_kernelINS0_14default_configENS1_25transform_config_selectorIxLb0EEEZNS1_14transform_implILb0ES3_S5_N6thrust23THRUST_200600_302600_NS6detail15normal_iteratorINS8_10device_ptrIxEEEEPxNS0_8identityIxEEEE10hipError_tT2_T3_mT4_P12ihipStream_tbEUlT_E_NS1_11comp_targetILNS1_3genE10ELNS1_11target_archE1200ELNS1_3gpuE4ELNS1_3repE0EEENS1_30default_config_static_selectorELNS0_4arch9wavefront6targetE1EEEvT1_,"axG",@progbits,_ZN7rocprim17ROCPRIM_400000_NS6detail17trampoline_kernelINS0_14default_configENS1_25transform_config_selectorIxLb0EEEZNS1_14transform_implILb0ES3_S5_N6thrust23THRUST_200600_302600_NS6detail15normal_iteratorINS8_10device_ptrIxEEEEPxNS0_8identityIxEEEE10hipError_tT2_T3_mT4_P12ihipStream_tbEUlT_E_NS1_11comp_targetILNS1_3genE10ELNS1_11target_archE1200ELNS1_3gpuE4ELNS1_3repE0EEENS1_30default_config_static_selectorELNS0_4arch9wavefront6targetE1EEEvT1_,comdat
	.protected	_ZN7rocprim17ROCPRIM_400000_NS6detail17trampoline_kernelINS0_14default_configENS1_25transform_config_selectorIxLb0EEEZNS1_14transform_implILb0ES3_S5_N6thrust23THRUST_200600_302600_NS6detail15normal_iteratorINS8_10device_ptrIxEEEEPxNS0_8identityIxEEEE10hipError_tT2_T3_mT4_P12ihipStream_tbEUlT_E_NS1_11comp_targetILNS1_3genE10ELNS1_11target_archE1200ELNS1_3gpuE4ELNS1_3repE0EEENS1_30default_config_static_selectorELNS0_4arch9wavefront6targetE1EEEvT1_ ; -- Begin function _ZN7rocprim17ROCPRIM_400000_NS6detail17trampoline_kernelINS0_14default_configENS1_25transform_config_selectorIxLb0EEEZNS1_14transform_implILb0ES3_S5_N6thrust23THRUST_200600_302600_NS6detail15normal_iteratorINS8_10device_ptrIxEEEEPxNS0_8identityIxEEEE10hipError_tT2_T3_mT4_P12ihipStream_tbEUlT_E_NS1_11comp_targetILNS1_3genE10ELNS1_11target_archE1200ELNS1_3gpuE4ELNS1_3repE0EEENS1_30default_config_static_selectorELNS0_4arch9wavefront6targetE1EEEvT1_
	.globl	_ZN7rocprim17ROCPRIM_400000_NS6detail17trampoline_kernelINS0_14default_configENS1_25transform_config_selectorIxLb0EEEZNS1_14transform_implILb0ES3_S5_N6thrust23THRUST_200600_302600_NS6detail15normal_iteratorINS8_10device_ptrIxEEEEPxNS0_8identityIxEEEE10hipError_tT2_T3_mT4_P12ihipStream_tbEUlT_E_NS1_11comp_targetILNS1_3genE10ELNS1_11target_archE1200ELNS1_3gpuE4ELNS1_3repE0EEENS1_30default_config_static_selectorELNS0_4arch9wavefront6targetE1EEEvT1_
	.p2align	8
	.type	_ZN7rocprim17ROCPRIM_400000_NS6detail17trampoline_kernelINS0_14default_configENS1_25transform_config_selectorIxLb0EEEZNS1_14transform_implILb0ES3_S5_N6thrust23THRUST_200600_302600_NS6detail15normal_iteratorINS8_10device_ptrIxEEEEPxNS0_8identityIxEEEE10hipError_tT2_T3_mT4_P12ihipStream_tbEUlT_E_NS1_11comp_targetILNS1_3genE10ELNS1_11target_archE1200ELNS1_3gpuE4ELNS1_3repE0EEENS1_30default_config_static_selectorELNS0_4arch9wavefront6targetE1EEEvT1_,@function
_ZN7rocprim17ROCPRIM_400000_NS6detail17trampoline_kernelINS0_14default_configENS1_25transform_config_selectorIxLb0EEEZNS1_14transform_implILb0ES3_S5_N6thrust23THRUST_200600_302600_NS6detail15normal_iteratorINS8_10device_ptrIxEEEEPxNS0_8identityIxEEEE10hipError_tT2_T3_mT4_P12ihipStream_tbEUlT_E_NS1_11comp_targetILNS1_3genE10ELNS1_11target_archE1200ELNS1_3gpuE4ELNS1_3repE0EEENS1_30default_config_static_selectorELNS0_4arch9wavefront6targetE1EEEvT1_: ; @_ZN7rocprim17ROCPRIM_400000_NS6detail17trampoline_kernelINS0_14default_configENS1_25transform_config_selectorIxLb0EEEZNS1_14transform_implILb0ES3_S5_N6thrust23THRUST_200600_302600_NS6detail15normal_iteratorINS8_10device_ptrIxEEEEPxNS0_8identityIxEEEE10hipError_tT2_T3_mT4_P12ihipStream_tbEUlT_E_NS1_11comp_targetILNS1_3genE10ELNS1_11target_archE1200ELNS1_3gpuE4ELNS1_3repE0EEENS1_30default_config_static_selectorELNS0_4arch9wavefront6targetE1EEEvT1_
; %bb.0:
	.section	.rodata,"a",@progbits
	.p2align	6, 0x0
	.amdhsa_kernel _ZN7rocprim17ROCPRIM_400000_NS6detail17trampoline_kernelINS0_14default_configENS1_25transform_config_selectorIxLb0EEEZNS1_14transform_implILb0ES3_S5_N6thrust23THRUST_200600_302600_NS6detail15normal_iteratorINS8_10device_ptrIxEEEEPxNS0_8identityIxEEEE10hipError_tT2_T3_mT4_P12ihipStream_tbEUlT_E_NS1_11comp_targetILNS1_3genE10ELNS1_11target_archE1200ELNS1_3gpuE4ELNS1_3repE0EEENS1_30default_config_static_selectorELNS0_4arch9wavefront6targetE1EEEvT1_
		.amdhsa_group_segment_fixed_size 0
		.amdhsa_private_segment_fixed_size 0
		.amdhsa_kernarg_size 40
		.amdhsa_user_sgpr_count 6
		.amdhsa_user_sgpr_private_segment_buffer 1
		.amdhsa_user_sgpr_dispatch_ptr 0
		.amdhsa_user_sgpr_queue_ptr 0
		.amdhsa_user_sgpr_kernarg_segment_ptr 1
		.amdhsa_user_sgpr_dispatch_id 0
		.amdhsa_user_sgpr_flat_scratch_init 0
		.amdhsa_user_sgpr_kernarg_preload_length 0
		.amdhsa_user_sgpr_kernarg_preload_offset 0
		.amdhsa_user_sgpr_private_segment_size 0
		.amdhsa_uses_dynamic_stack 0
		.amdhsa_system_sgpr_private_segment_wavefront_offset 0
		.amdhsa_system_sgpr_workgroup_id_x 1
		.amdhsa_system_sgpr_workgroup_id_y 0
		.amdhsa_system_sgpr_workgroup_id_z 0
		.amdhsa_system_sgpr_workgroup_info 0
		.amdhsa_system_vgpr_workitem_id 0
		.amdhsa_next_free_vgpr 1
		.amdhsa_next_free_sgpr 0
		.amdhsa_accum_offset 4
		.amdhsa_reserve_vcc 0
		.amdhsa_reserve_flat_scratch 0
		.amdhsa_float_round_mode_32 0
		.amdhsa_float_round_mode_16_64 0
		.amdhsa_float_denorm_mode_32 3
		.amdhsa_float_denorm_mode_16_64 3
		.amdhsa_dx10_clamp 1
		.amdhsa_ieee_mode 1
		.amdhsa_fp16_overflow 0
		.amdhsa_tg_split 0
		.amdhsa_exception_fp_ieee_invalid_op 0
		.amdhsa_exception_fp_denorm_src 0
		.amdhsa_exception_fp_ieee_div_zero 0
		.amdhsa_exception_fp_ieee_overflow 0
		.amdhsa_exception_fp_ieee_underflow 0
		.amdhsa_exception_fp_ieee_inexact 0
		.amdhsa_exception_int_div_zero 0
	.end_amdhsa_kernel
	.section	.text._ZN7rocprim17ROCPRIM_400000_NS6detail17trampoline_kernelINS0_14default_configENS1_25transform_config_selectorIxLb0EEEZNS1_14transform_implILb0ES3_S5_N6thrust23THRUST_200600_302600_NS6detail15normal_iteratorINS8_10device_ptrIxEEEEPxNS0_8identityIxEEEE10hipError_tT2_T3_mT4_P12ihipStream_tbEUlT_E_NS1_11comp_targetILNS1_3genE10ELNS1_11target_archE1200ELNS1_3gpuE4ELNS1_3repE0EEENS1_30default_config_static_selectorELNS0_4arch9wavefront6targetE1EEEvT1_,"axG",@progbits,_ZN7rocprim17ROCPRIM_400000_NS6detail17trampoline_kernelINS0_14default_configENS1_25transform_config_selectorIxLb0EEEZNS1_14transform_implILb0ES3_S5_N6thrust23THRUST_200600_302600_NS6detail15normal_iteratorINS8_10device_ptrIxEEEEPxNS0_8identityIxEEEE10hipError_tT2_T3_mT4_P12ihipStream_tbEUlT_E_NS1_11comp_targetILNS1_3genE10ELNS1_11target_archE1200ELNS1_3gpuE4ELNS1_3repE0EEENS1_30default_config_static_selectorELNS0_4arch9wavefront6targetE1EEEvT1_,comdat
.Lfunc_end1539:
	.size	_ZN7rocprim17ROCPRIM_400000_NS6detail17trampoline_kernelINS0_14default_configENS1_25transform_config_selectorIxLb0EEEZNS1_14transform_implILb0ES3_S5_N6thrust23THRUST_200600_302600_NS6detail15normal_iteratorINS8_10device_ptrIxEEEEPxNS0_8identityIxEEEE10hipError_tT2_T3_mT4_P12ihipStream_tbEUlT_E_NS1_11comp_targetILNS1_3genE10ELNS1_11target_archE1200ELNS1_3gpuE4ELNS1_3repE0EEENS1_30default_config_static_selectorELNS0_4arch9wavefront6targetE1EEEvT1_, .Lfunc_end1539-_ZN7rocprim17ROCPRIM_400000_NS6detail17trampoline_kernelINS0_14default_configENS1_25transform_config_selectorIxLb0EEEZNS1_14transform_implILb0ES3_S5_N6thrust23THRUST_200600_302600_NS6detail15normal_iteratorINS8_10device_ptrIxEEEEPxNS0_8identityIxEEEE10hipError_tT2_T3_mT4_P12ihipStream_tbEUlT_E_NS1_11comp_targetILNS1_3genE10ELNS1_11target_archE1200ELNS1_3gpuE4ELNS1_3repE0EEENS1_30default_config_static_selectorELNS0_4arch9wavefront6targetE1EEEvT1_
                                        ; -- End function
	.section	.AMDGPU.csdata,"",@progbits
; Kernel info:
; codeLenInByte = 0
; NumSgprs: 4
; NumVgprs: 0
; NumAgprs: 0
; TotalNumVgprs: 0
; ScratchSize: 0
; MemoryBound: 0
; FloatMode: 240
; IeeeMode: 1
; LDSByteSize: 0 bytes/workgroup (compile time only)
; SGPRBlocks: 0
; VGPRBlocks: 0
; NumSGPRsForWavesPerEU: 4
; NumVGPRsForWavesPerEU: 1
; AccumOffset: 4
; Occupancy: 8
; WaveLimiterHint : 0
; COMPUTE_PGM_RSRC2:SCRATCH_EN: 0
; COMPUTE_PGM_RSRC2:USER_SGPR: 6
; COMPUTE_PGM_RSRC2:TRAP_HANDLER: 0
; COMPUTE_PGM_RSRC2:TGID_X_EN: 1
; COMPUTE_PGM_RSRC2:TGID_Y_EN: 0
; COMPUTE_PGM_RSRC2:TGID_Z_EN: 0
; COMPUTE_PGM_RSRC2:TIDIG_COMP_CNT: 0
; COMPUTE_PGM_RSRC3_GFX90A:ACCUM_OFFSET: 0
; COMPUTE_PGM_RSRC3_GFX90A:TG_SPLIT: 0
	.section	.text._ZN7rocprim17ROCPRIM_400000_NS6detail17trampoline_kernelINS0_14default_configENS1_25transform_config_selectorIxLb0EEEZNS1_14transform_implILb0ES3_S5_N6thrust23THRUST_200600_302600_NS6detail15normal_iteratorINS8_10device_ptrIxEEEEPxNS0_8identityIxEEEE10hipError_tT2_T3_mT4_P12ihipStream_tbEUlT_E_NS1_11comp_targetILNS1_3genE9ELNS1_11target_archE1100ELNS1_3gpuE3ELNS1_3repE0EEENS1_30default_config_static_selectorELNS0_4arch9wavefront6targetE1EEEvT1_,"axG",@progbits,_ZN7rocprim17ROCPRIM_400000_NS6detail17trampoline_kernelINS0_14default_configENS1_25transform_config_selectorIxLb0EEEZNS1_14transform_implILb0ES3_S5_N6thrust23THRUST_200600_302600_NS6detail15normal_iteratorINS8_10device_ptrIxEEEEPxNS0_8identityIxEEEE10hipError_tT2_T3_mT4_P12ihipStream_tbEUlT_E_NS1_11comp_targetILNS1_3genE9ELNS1_11target_archE1100ELNS1_3gpuE3ELNS1_3repE0EEENS1_30default_config_static_selectorELNS0_4arch9wavefront6targetE1EEEvT1_,comdat
	.protected	_ZN7rocprim17ROCPRIM_400000_NS6detail17trampoline_kernelINS0_14default_configENS1_25transform_config_selectorIxLb0EEEZNS1_14transform_implILb0ES3_S5_N6thrust23THRUST_200600_302600_NS6detail15normal_iteratorINS8_10device_ptrIxEEEEPxNS0_8identityIxEEEE10hipError_tT2_T3_mT4_P12ihipStream_tbEUlT_E_NS1_11comp_targetILNS1_3genE9ELNS1_11target_archE1100ELNS1_3gpuE3ELNS1_3repE0EEENS1_30default_config_static_selectorELNS0_4arch9wavefront6targetE1EEEvT1_ ; -- Begin function _ZN7rocprim17ROCPRIM_400000_NS6detail17trampoline_kernelINS0_14default_configENS1_25transform_config_selectorIxLb0EEEZNS1_14transform_implILb0ES3_S5_N6thrust23THRUST_200600_302600_NS6detail15normal_iteratorINS8_10device_ptrIxEEEEPxNS0_8identityIxEEEE10hipError_tT2_T3_mT4_P12ihipStream_tbEUlT_E_NS1_11comp_targetILNS1_3genE9ELNS1_11target_archE1100ELNS1_3gpuE3ELNS1_3repE0EEENS1_30default_config_static_selectorELNS0_4arch9wavefront6targetE1EEEvT1_
	.globl	_ZN7rocprim17ROCPRIM_400000_NS6detail17trampoline_kernelINS0_14default_configENS1_25transform_config_selectorIxLb0EEEZNS1_14transform_implILb0ES3_S5_N6thrust23THRUST_200600_302600_NS6detail15normal_iteratorINS8_10device_ptrIxEEEEPxNS0_8identityIxEEEE10hipError_tT2_T3_mT4_P12ihipStream_tbEUlT_E_NS1_11comp_targetILNS1_3genE9ELNS1_11target_archE1100ELNS1_3gpuE3ELNS1_3repE0EEENS1_30default_config_static_selectorELNS0_4arch9wavefront6targetE1EEEvT1_
	.p2align	8
	.type	_ZN7rocprim17ROCPRIM_400000_NS6detail17trampoline_kernelINS0_14default_configENS1_25transform_config_selectorIxLb0EEEZNS1_14transform_implILb0ES3_S5_N6thrust23THRUST_200600_302600_NS6detail15normal_iteratorINS8_10device_ptrIxEEEEPxNS0_8identityIxEEEE10hipError_tT2_T3_mT4_P12ihipStream_tbEUlT_E_NS1_11comp_targetILNS1_3genE9ELNS1_11target_archE1100ELNS1_3gpuE3ELNS1_3repE0EEENS1_30default_config_static_selectorELNS0_4arch9wavefront6targetE1EEEvT1_,@function
_ZN7rocprim17ROCPRIM_400000_NS6detail17trampoline_kernelINS0_14default_configENS1_25transform_config_selectorIxLb0EEEZNS1_14transform_implILb0ES3_S5_N6thrust23THRUST_200600_302600_NS6detail15normal_iteratorINS8_10device_ptrIxEEEEPxNS0_8identityIxEEEE10hipError_tT2_T3_mT4_P12ihipStream_tbEUlT_E_NS1_11comp_targetILNS1_3genE9ELNS1_11target_archE1100ELNS1_3gpuE3ELNS1_3repE0EEENS1_30default_config_static_selectorELNS0_4arch9wavefront6targetE1EEEvT1_: ; @_ZN7rocprim17ROCPRIM_400000_NS6detail17trampoline_kernelINS0_14default_configENS1_25transform_config_selectorIxLb0EEEZNS1_14transform_implILb0ES3_S5_N6thrust23THRUST_200600_302600_NS6detail15normal_iteratorINS8_10device_ptrIxEEEEPxNS0_8identityIxEEEE10hipError_tT2_T3_mT4_P12ihipStream_tbEUlT_E_NS1_11comp_targetILNS1_3genE9ELNS1_11target_archE1100ELNS1_3gpuE3ELNS1_3repE0EEENS1_30default_config_static_selectorELNS0_4arch9wavefront6targetE1EEEvT1_
; %bb.0:
	.section	.rodata,"a",@progbits
	.p2align	6, 0x0
	.amdhsa_kernel _ZN7rocprim17ROCPRIM_400000_NS6detail17trampoline_kernelINS0_14default_configENS1_25transform_config_selectorIxLb0EEEZNS1_14transform_implILb0ES3_S5_N6thrust23THRUST_200600_302600_NS6detail15normal_iteratorINS8_10device_ptrIxEEEEPxNS0_8identityIxEEEE10hipError_tT2_T3_mT4_P12ihipStream_tbEUlT_E_NS1_11comp_targetILNS1_3genE9ELNS1_11target_archE1100ELNS1_3gpuE3ELNS1_3repE0EEENS1_30default_config_static_selectorELNS0_4arch9wavefront6targetE1EEEvT1_
		.amdhsa_group_segment_fixed_size 0
		.amdhsa_private_segment_fixed_size 0
		.amdhsa_kernarg_size 40
		.amdhsa_user_sgpr_count 6
		.amdhsa_user_sgpr_private_segment_buffer 1
		.amdhsa_user_sgpr_dispatch_ptr 0
		.amdhsa_user_sgpr_queue_ptr 0
		.amdhsa_user_sgpr_kernarg_segment_ptr 1
		.amdhsa_user_sgpr_dispatch_id 0
		.amdhsa_user_sgpr_flat_scratch_init 0
		.amdhsa_user_sgpr_kernarg_preload_length 0
		.amdhsa_user_sgpr_kernarg_preload_offset 0
		.amdhsa_user_sgpr_private_segment_size 0
		.amdhsa_uses_dynamic_stack 0
		.amdhsa_system_sgpr_private_segment_wavefront_offset 0
		.amdhsa_system_sgpr_workgroup_id_x 1
		.amdhsa_system_sgpr_workgroup_id_y 0
		.amdhsa_system_sgpr_workgroup_id_z 0
		.amdhsa_system_sgpr_workgroup_info 0
		.amdhsa_system_vgpr_workitem_id 0
		.amdhsa_next_free_vgpr 1
		.amdhsa_next_free_sgpr 0
		.amdhsa_accum_offset 4
		.amdhsa_reserve_vcc 0
		.amdhsa_reserve_flat_scratch 0
		.amdhsa_float_round_mode_32 0
		.amdhsa_float_round_mode_16_64 0
		.amdhsa_float_denorm_mode_32 3
		.amdhsa_float_denorm_mode_16_64 3
		.amdhsa_dx10_clamp 1
		.amdhsa_ieee_mode 1
		.amdhsa_fp16_overflow 0
		.amdhsa_tg_split 0
		.amdhsa_exception_fp_ieee_invalid_op 0
		.amdhsa_exception_fp_denorm_src 0
		.amdhsa_exception_fp_ieee_div_zero 0
		.amdhsa_exception_fp_ieee_overflow 0
		.amdhsa_exception_fp_ieee_underflow 0
		.amdhsa_exception_fp_ieee_inexact 0
		.amdhsa_exception_int_div_zero 0
	.end_amdhsa_kernel
	.section	.text._ZN7rocprim17ROCPRIM_400000_NS6detail17trampoline_kernelINS0_14default_configENS1_25transform_config_selectorIxLb0EEEZNS1_14transform_implILb0ES3_S5_N6thrust23THRUST_200600_302600_NS6detail15normal_iteratorINS8_10device_ptrIxEEEEPxNS0_8identityIxEEEE10hipError_tT2_T3_mT4_P12ihipStream_tbEUlT_E_NS1_11comp_targetILNS1_3genE9ELNS1_11target_archE1100ELNS1_3gpuE3ELNS1_3repE0EEENS1_30default_config_static_selectorELNS0_4arch9wavefront6targetE1EEEvT1_,"axG",@progbits,_ZN7rocprim17ROCPRIM_400000_NS6detail17trampoline_kernelINS0_14default_configENS1_25transform_config_selectorIxLb0EEEZNS1_14transform_implILb0ES3_S5_N6thrust23THRUST_200600_302600_NS6detail15normal_iteratorINS8_10device_ptrIxEEEEPxNS0_8identityIxEEEE10hipError_tT2_T3_mT4_P12ihipStream_tbEUlT_E_NS1_11comp_targetILNS1_3genE9ELNS1_11target_archE1100ELNS1_3gpuE3ELNS1_3repE0EEENS1_30default_config_static_selectorELNS0_4arch9wavefront6targetE1EEEvT1_,comdat
.Lfunc_end1540:
	.size	_ZN7rocprim17ROCPRIM_400000_NS6detail17trampoline_kernelINS0_14default_configENS1_25transform_config_selectorIxLb0EEEZNS1_14transform_implILb0ES3_S5_N6thrust23THRUST_200600_302600_NS6detail15normal_iteratorINS8_10device_ptrIxEEEEPxNS0_8identityIxEEEE10hipError_tT2_T3_mT4_P12ihipStream_tbEUlT_E_NS1_11comp_targetILNS1_3genE9ELNS1_11target_archE1100ELNS1_3gpuE3ELNS1_3repE0EEENS1_30default_config_static_selectorELNS0_4arch9wavefront6targetE1EEEvT1_, .Lfunc_end1540-_ZN7rocprim17ROCPRIM_400000_NS6detail17trampoline_kernelINS0_14default_configENS1_25transform_config_selectorIxLb0EEEZNS1_14transform_implILb0ES3_S5_N6thrust23THRUST_200600_302600_NS6detail15normal_iteratorINS8_10device_ptrIxEEEEPxNS0_8identityIxEEEE10hipError_tT2_T3_mT4_P12ihipStream_tbEUlT_E_NS1_11comp_targetILNS1_3genE9ELNS1_11target_archE1100ELNS1_3gpuE3ELNS1_3repE0EEENS1_30default_config_static_selectorELNS0_4arch9wavefront6targetE1EEEvT1_
                                        ; -- End function
	.section	.AMDGPU.csdata,"",@progbits
; Kernel info:
; codeLenInByte = 0
; NumSgprs: 4
; NumVgprs: 0
; NumAgprs: 0
; TotalNumVgprs: 0
; ScratchSize: 0
; MemoryBound: 0
; FloatMode: 240
; IeeeMode: 1
; LDSByteSize: 0 bytes/workgroup (compile time only)
; SGPRBlocks: 0
; VGPRBlocks: 0
; NumSGPRsForWavesPerEU: 4
; NumVGPRsForWavesPerEU: 1
; AccumOffset: 4
; Occupancy: 8
; WaveLimiterHint : 0
; COMPUTE_PGM_RSRC2:SCRATCH_EN: 0
; COMPUTE_PGM_RSRC2:USER_SGPR: 6
; COMPUTE_PGM_RSRC2:TRAP_HANDLER: 0
; COMPUTE_PGM_RSRC2:TGID_X_EN: 1
; COMPUTE_PGM_RSRC2:TGID_Y_EN: 0
; COMPUTE_PGM_RSRC2:TGID_Z_EN: 0
; COMPUTE_PGM_RSRC2:TIDIG_COMP_CNT: 0
; COMPUTE_PGM_RSRC3_GFX90A:ACCUM_OFFSET: 0
; COMPUTE_PGM_RSRC3_GFX90A:TG_SPLIT: 0
	.section	.text._ZN7rocprim17ROCPRIM_400000_NS6detail17trampoline_kernelINS0_14default_configENS1_25transform_config_selectorIxLb0EEEZNS1_14transform_implILb0ES3_S5_N6thrust23THRUST_200600_302600_NS6detail15normal_iteratorINS8_10device_ptrIxEEEEPxNS0_8identityIxEEEE10hipError_tT2_T3_mT4_P12ihipStream_tbEUlT_E_NS1_11comp_targetILNS1_3genE8ELNS1_11target_archE1030ELNS1_3gpuE2ELNS1_3repE0EEENS1_30default_config_static_selectorELNS0_4arch9wavefront6targetE1EEEvT1_,"axG",@progbits,_ZN7rocprim17ROCPRIM_400000_NS6detail17trampoline_kernelINS0_14default_configENS1_25transform_config_selectorIxLb0EEEZNS1_14transform_implILb0ES3_S5_N6thrust23THRUST_200600_302600_NS6detail15normal_iteratorINS8_10device_ptrIxEEEEPxNS0_8identityIxEEEE10hipError_tT2_T3_mT4_P12ihipStream_tbEUlT_E_NS1_11comp_targetILNS1_3genE8ELNS1_11target_archE1030ELNS1_3gpuE2ELNS1_3repE0EEENS1_30default_config_static_selectorELNS0_4arch9wavefront6targetE1EEEvT1_,comdat
	.protected	_ZN7rocprim17ROCPRIM_400000_NS6detail17trampoline_kernelINS0_14default_configENS1_25transform_config_selectorIxLb0EEEZNS1_14transform_implILb0ES3_S5_N6thrust23THRUST_200600_302600_NS6detail15normal_iteratorINS8_10device_ptrIxEEEEPxNS0_8identityIxEEEE10hipError_tT2_T3_mT4_P12ihipStream_tbEUlT_E_NS1_11comp_targetILNS1_3genE8ELNS1_11target_archE1030ELNS1_3gpuE2ELNS1_3repE0EEENS1_30default_config_static_selectorELNS0_4arch9wavefront6targetE1EEEvT1_ ; -- Begin function _ZN7rocprim17ROCPRIM_400000_NS6detail17trampoline_kernelINS0_14default_configENS1_25transform_config_selectorIxLb0EEEZNS1_14transform_implILb0ES3_S5_N6thrust23THRUST_200600_302600_NS6detail15normal_iteratorINS8_10device_ptrIxEEEEPxNS0_8identityIxEEEE10hipError_tT2_T3_mT4_P12ihipStream_tbEUlT_E_NS1_11comp_targetILNS1_3genE8ELNS1_11target_archE1030ELNS1_3gpuE2ELNS1_3repE0EEENS1_30default_config_static_selectorELNS0_4arch9wavefront6targetE1EEEvT1_
	.globl	_ZN7rocprim17ROCPRIM_400000_NS6detail17trampoline_kernelINS0_14default_configENS1_25transform_config_selectorIxLb0EEEZNS1_14transform_implILb0ES3_S5_N6thrust23THRUST_200600_302600_NS6detail15normal_iteratorINS8_10device_ptrIxEEEEPxNS0_8identityIxEEEE10hipError_tT2_T3_mT4_P12ihipStream_tbEUlT_E_NS1_11comp_targetILNS1_3genE8ELNS1_11target_archE1030ELNS1_3gpuE2ELNS1_3repE0EEENS1_30default_config_static_selectorELNS0_4arch9wavefront6targetE1EEEvT1_
	.p2align	8
	.type	_ZN7rocprim17ROCPRIM_400000_NS6detail17trampoline_kernelINS0_14default_configENS1_25transform_config_selectorIxLb0EEEZNS1_14transform_implILb0ES3_S5_N6thrust23THRUST_200600_302600_NS6detail15normal_iteratorINS8_10device_ptrIxEEEEPxNS0_8identityIxEEEE10hipError_tT2_T3_mT4_P12ihipStream_tbEUlT_E_NS1_11comp_targetILNS1_3genE8ELNS1_11target_archE1030ELNS1_3gpuE2ELNS1_3repE0EEENS1_30default_config_static_selectorELNS0_4arch9wavefront6targetE1EEEvT1_,@function
_ZN7rocprim17ROCPRIM_400000_NS6detail17trampoline_kernelINS0_14default_configENS1_25transform_config_selectorIxLb0EEEZNS1_14transform_implILb0ES3_S5_N6thrust23THRUST_200600_302600_NS6detail15normal_iteratorINS8_10device_ptrIxEEEEPxNS0_8identityIxEEEE10hipError_tT2_T3_mT4_P12ihipStream_tbEUlT_E_NS1_11comp_targetILNS1_3genE8ELNS1_11target_archE1030ELNS1_3gpuE2ELNS1_3repE0EEENS1_30default_config_static_selectorELNS0_4arch9wavefront6targetE1EEEvT1_: ; @_ZN7rocprim17ROCPRIM_400000_NS6detail17trampoline_kernelINS0_14default_configENS1_25transform_config_selectorIxLb0EEEZNS1_14transform_implILb0ES3_S5_N6thrust23THRUST_200600_302600_NS6detail15normal_iteratorINS8_10device_ptrIxEEEEPxNS0_8identityIxEEEE10hipError_tT2_T3_mT4_P12ihipStream_tbEUlT_E_NS1_11comp_targetILNS1_3genE8ELNS1_11target_archE1030ELNS1_3gpuE2ELNS1_3repE0EEENS1_30default_config_static_selectorELNS0_4arch9wavefront6targetE1EEEvT1_
; %bb.0:
	.section	.rodata,"a",@progbits
	.p2align	6, 0x0
	.amdhsa_kernel _ZN7rocprim17ROCPRIM_400000_NS6detail17trampoline_kernelINS0_14default_configENS1_25transform_config_selectorIxLb0EEEZNS1_14transform_implILb0ES3_S5_N6thrust23THRUST_200600_302600_NS6detail15normal_iteratorINS8_10device_ptrIxEEEEPxNS0_8identityIxEEEE10hipError_tT2_T3_mT4_P12ihipStream_tbEUlT_E_NS1_11comp_targetILNS1_3genE8ELNS1_11target_archE1030ELNS1_3gpuE2ELNS1_3repE0EEENS1_30default_config_static_selectorELNS0_4arch9wavefront6targetE1EEEvT1_
		.amdhsa_group_segment_fixed_size 0
		.amdhsa_private_segment_fixed_size 0
		.amdhsa_kernarg_size 40
		.amdhsa_user_sgpr_count 6
		.amdhsa_user_sgpr_private_segment_buffer 1
		.amdhsa_user_sgpr_dispatch_ptr 0
		.amdhsa_user_sgpr_queue_ptr 0
		.amdhsa_user_sgpr_kernarg_segment_ptr 1
		.amdhsa_user_sgpr_dispatch_id 0
		.amdhsa_user_sgpr_flat_scratch_init 0
		.amdhsa_user_sgpr_kernarg_preload_length 0
		.amdhsa_user_sgpr_kernarg_preload_offset 0
		.amdhsa_user_sgpr_private_segment_size 0
		.amdhsa_uses_dynamic_stack 0
		.amdhsa_system_sgpr_private_segment_wavefront_offset 0
		.amdhsa_system_sgpr_workgroup_id_x 1
		.amdhsa_system_sgpr_workgroup_id_y 0
		.amdhsa_system_sgpr_workgroup_id_z 0
		.amdhsa_system_sgpr_workgroup_info 0
		.amdhsa_system_vgpr_workitem_id 0
		.amdhsa_next_free_vgpr 1
		.amdhsa_next_free_sgpr 0
		.amdhsa_accum_offset 4
		.amdhsa_reserve_vcc 0
		.amdhsa_reserve_flat_scratch 0
		.amdhsa_float_round_mode_32 0
		.amdhsa_float_round_mode_16_64 0
		.amdhsa_float_denorm_mode_32 3
		.amdhsa_float_denorm_mode_16_64 3
		.amdhsa_dx10_clamp 1
		.amdhsa_ieee_mode 1
		.amdhsa_fp16_overflow 0
		.amdhsa_tg_split 0
		.amdhsa_exception_fp_ieee_invalid_op 0
		.amdhsa_exception_fp_denorm_src 0
		.amdhsa_exception_fp_ieee_div_zero 0
		.amdhsa_exception_fp_ieee_overflow 0
		.amdhsa_exception_fp_ieee_underflow 0
		.amdhsa_exception_fp_ieee_inexact 0
		.amdhsa_exception_int_div_zero 0
	.end_amdhsa_kernel
	.section	.text._ZN7rocprim17ROCPRIM_400000_NS6detail17trampoline_kernelINS0_14default_configENS1_25transform_config_selectorIxLb0EEEZNS1_14transform_implILb0ES3_S5_N6thrust23THRUST_200600_302600_NS6detail15normal_iteratorINS8_10device_ptrIxEEEEPxNS0_8identityIxEEEE10hipError_tT2_T3_mT4_P12ihipStream_tbEUlT_E_NS1_11comp_targetILNS1_3genE8ELNS1_11target_archE1030ELNS1_3gpuE2ELNS1_3repE0EEENS1_30default_config_static_selectorELNS0_4arch9wavefront6targetE1EEEvT1_,"axG",@progbits,_ZN7rocprim17ROCPRIM_400000_NS6detail17trampoline_kernelINS0_14default_configENS1_25transform_config_selectorIxLb0EEEZNS1_14transform_implILb0ES3_S5_N6thrust23THRUST_200600_302600_NS6detail15normal_iteratorINS8_10device_ptrIxEEEEPxNS0_8identityIxEEEE10hipError_tT2_T3_mT4_P12ihipStream_tbEUlT_E_NS1_11comp_targetILNS1_3genE8ELNS1_11target_archE1030ELNS1_3gpuE2ELNS1_3repE0EEENS1_30default_config_static_selectorELNS0_4arch9wavefront6targetE1EEEvT1_,comdat
.Lfunc_end1541:
	.size	_ZN7rocprim17ROCPRIM_400000_NS6detail17trampoline_kernelINS0_14default_configENS1_25transform_config_selectorIxLb0EEEZNS1_14transform_implILb0ES3_S5_N6thrust23THRUST_200600_302600_NS6detail15normal_iteratorINS8_10device_ptrIxEEEEPxNS0_8identityIxEEEE10hipError_tT2_T3_mT4_P12ihipStream_tbEUlT_E_NS1_11comp_targetILNS1_3genE8ELNS1_11target_archE1030ELNS1_3gpuE2ELNS1_3repE0EEENS1_30default_config_static_selectorELNS0_4arch9wavefront6targetE1EEEvT1_, .Lfunc_end1541-_ZN7rocprim17ROCPRIM_400000_NS6detail17trampoline_kernelINS0_14default_configENS1_25transform_config_selectorIxLb0EEEZNS1_14transform_implILb0ES3_S5_N6thrust23THRUST_200600_302600_NS6detail15normal_iteratorINS8_10device_ptrIxEEEEPxNS0_8identityIxEEEE10hipError_tT2_T3_mT4_P12ihipStream_tbEUlT_E_NS1_11comp_targetILNS1_3genE8ELNS1_11target_archE1030ELNS1_3gpuE2ELNS1_3repE0EEENS1_30default_config_static_selectorELNS0_4arch9wavefront6targetE1EEEvT1_
                                        ; -- End function
	.section	.AMDGPU.csdata,"",@progbits
; Kernel info:
; codeLenInByte = 0
; NumSgprs: 4
; NumVgprs: 0
; NumAgprs: 0
; TotalNumVgprs: 0
; ScratchSize: 0
; MemoryBound: 0
; FloatMode: 240
; IeeeMode: 1
; LDSByteSize: 0 bytes/workgroup (compile time only)
; SGPRBlocks: 0
; VGPRBlocks: 0
; NumSGPRsForWavesPerEU: 4
; NumVGPRsForWavesPerEU: 1
; AccumOffset: 4
; Occupancy: 8
; WaveLimiterHint : 0
; COMPUTE_PGM_RSRC2:SCRATCH_EN: 0
; COMPUTE_PGM_RSRC2:USER_SGPR: 6
; COMPUTE_PGM_RSRC2:TRAP_HANDLER: 0
; COMPUTE_PGM_RSRC2:TGID_X_EN: 1
; COMPUTE_PGM_RSRC2:TGID_Y_EN: 0
; COMPUTE_PGM_RSRC2:TGID_Z_EN: 0
; COMPUTE_PGM_RSRC2:TIDIG_COMP_CNT: 0
; COMPUTE_PGM_RSRC3_GFX90A:ACCUM_OFFSET: 0
; COMPUTE_PGM_RSRC3_GFX90A:TG_SPLIT: 0
	.section	.text._ZN7rocprim17ROCPRIM_400000_NS6detail17trampoline_kernelINS0_14default_configENS1_35radix_sort_onesweep_config_selectorIxNS0_10empty_typeEEEZZNS1_29radix_sort_onesweep_iterationIS3_Lb0EN6thrust23THRUST_200600_302600_NS6detail15normal_iteratorINS9_10device_ptrIxEEEESE_PS5_SF_jNS0_19identity_decomposerENS1_16block_id_wrapperIjLb1EEEEE10hipError_tT1_PNSt15iterator_traitsISK_E10value_typeET2_T3_PNSL_ISQ_E10value_typeET4_T5_PSV_SW_PNS1_23onesweep_lookback_stateEbbT6_jjT7_P12ihipStream_tbENKUlT_T0_SK_SP_E_clISE_SE_SF_SF_EEDaS13_S14_SK_SP_EUlS13_E_NS1_11comp_targetILNS1_3genE0ELNS1_11target_archE4294967295ELNS1_3gpuE0ELNS1_3repE0EEENS1_47radix_sort_onesweep_sort_config_static_selectorELNS0_4arch9wavefront6targetE1EEEvSK_,"axG",@progbits,_ZN7rocprim17ROCPRIM_400000_NS6detail17trampoline_kernelINS0_14default_configENS1_35radix_sort_onesweep_config_selectorIxNS0_10empty_typeEEEZZNS1_29radix_sort_onesweep_iterationIS3_Lb0EN6thrust23THRUST_200600_302600_NS6detail15normal_iteratorINS9_10device_ptrIxEEEESE_PS5_SF_jNS0_19identity_decomposerENS1_16block_id_wrapperIjLb1EEEEE10hipError_tT1_PNSt15iterator_traitsISK_E10value_typeET2_T3_PNSL_ISQ_E10value_typeET4_T5_PSV_SW_PNS1_23onesweep_lookback_stateEbbT6_jjT7_P12ihipStream_tbENKUlT_T0_SK_SP_E_clISE_SE_SF_SF_EEDaS13_S14_SK_SP_EUlS13_E_NS1_11comp_targetILNS1_3genE0ELNS1_11target_archE4294967295ELNS1_3gpuE0ELNS1_3repE0EEENS1_47radix_sort_onesweep_sort_config_static_selectorELNS0_4arch9wavefront6targetE1EEEvSK_,comdat
	.protected	_ZN7rocprim17ROCPRIM_400000_NS6detail17trampoline_kernelINS0_14default_configENS1_35radix_sort_onesweep_config_selectorIxNS0_10empty_typeEEEZZNS1_29radix_sort_onesweep_iterationIS3_Lb0EN6thrust23THRUST_200600_302600_NS6detail15normal_iteratorINS9_10device_ptrIxEEEESE_PS5_SF_jNS0_19identity_decomposerENS1_16block_id_wrapperIjLb1EEEEE10hipError_tT1_PNSt15iterator_traitsISK_E10value_typeET2_T3_PNSL_ISQ_E10value_typeET4_T5_PSV_SW_PNS1_23onesweep_lookback_stateEbbT6_jjT7_P12ihipStream_tbENKUlT_T0_SK_SP_E_clISE_SE_SF_SF_EEDaS13_S14_SK_SP_EUlS13_E_NS1_11comp_targetILNS1_3genE0ELNS1_11target_archE4294967295ELNS1_3gpuE0ELNS1_3repE0EEENS1_47radix_sort_onesweep_sort_config_static_selectorELNS0_4arch9wavefront6targetE1EEEvSK_ ; -- Begin function _ZN7rocprim17ROCPRIM_400000_NS6detail17trampoline_kernelINS0_14default_configENS1_35radix_sort_onesweep_config_selectorIxNS0_10empty_typeEEEZZNS1_29radix_sort_onesweep_iterationIS3_Lb0EN6thrust23THRUST_200600_302600_NS6detail15normal_iteratorINS9_10device_ptrIxEEEESE_PS5_SF_jNS0_19identity_decomposerENS1_16block_id_wrapperIjLb1EEEEE10hipError_tT1_PNSt15iterator_traitsISK_E10value_typeET2_T3_PNSL_ISQ_E10value_typeET4_T5_PSV_SW_PNS1_23onesweep_lookback_stateEbbT6_jjT7_P12ihipStream_tbENKUlT_T0_SK_SP_E_clISE_SE_SF_SF_EEDaS13_S14_SK_SP_EUlS13_E_NS1_11comp_targetILNS1_3genE0ELNS1_11target_archE4294967295ELNS1_3gpuE0ELNS1_3repE0EEENS1_47radix_sort_onesweep_sort_config_static_selectorELNS0_4arch9wavefront6targetE1EEEvSK_
	.globl	_ZN7rocprim17ROCPRIM_400000_NS6detail17trampoline_kernelINS0_14default_configENS1_35radix_sort_onesweep_config_selectorIxNS0_10empty_typeEEEZZNS1_29radix_sort_onesweep_iterationIS3_Lb0EN6thrust23THRUST_200600_302600_NS6detail15normal_iteratorINS9_10device_ptrIxEEEESE_PS5_SF_jNS0_19identity_decomposerENS1_16block_id_wrapperIjLb1EEEEE10hipError_tT1_PNSt15iterator_traitsISK_E10value_typeET2_T3_PNSL_ISQ_E10value_typeET4_T5_PSV_SW_PNS1_23onesweep_lookback_stateEbbT6_jjT7_P12ihipStream_tbENKUlT_T0_SK_SP_E_clISE_SE_SF_SF_EEDaS13_S14_SK_SP_EUlS13_E_NS1_11comp_targetILNS1_3genE0ELNS1_11target_archE4294967295ELNS1_3gpuE0ELNS1_3repE0EEENS1_47radix_sort_onesweep_sort_config_static_selectorELNS0_4arch9wavefront6targetE1EEEvSK_
	.p2align	8
	.type	_ZN7rocprim17ROCPRIM_400000_NS6detail17trampoline_kernelINS0_14default_configENS1_35radix_sort_onesweep_config_selectorIxNS0_10empty_typeEEEZZNS1_29radix_sort_onesweep_iterationIS3_Lb0EN6thrust23THRUST_200600_302600_NS6detail15normal_iteratorINS9_10device_ptrIxEEEESE_PS5_SF_jNS0_19identity_decomposerENS1_16block_id_wrapperIjLb1EEEEE10hipError_tT1_PNSt15iterator_traitsISK_E10value_typeET2_T3_PNSL_ISQ_E10value_typeET4_T5_PSV_SW_PNS1_23onesweep_lookback_stateEbbT6_jjT7_P12ihipStream_tbENKUlT_T0_SK_SP_E_clISE_SE_SF_SF_EEDaS13_S14_SK_SP_EUlS13_E_NS1_11comp_targetILNS1_3genE0ELNS1_11target_archE4294967295ELNS1_3gpuE0ELNS1_3repE0EEENS1_47radix_sort_onesweep_sort_config_static_selectorELNS0_4arch9wavefront6targetE1EEEvSK_,@function
_ZN7rocprim17ROCPRIM_400000_NS6detail17trampoline_kernelINS0_14default_configENS1_35radix_sort_onesweep_config_selectorIxNS0_10empty_typeEEEZZNS1_29radix_sort_onesweep_iterationIS3_Lb0EN6thrust23THRUST_200600_302600_NS6detail15normal_iteratorINS9_10device_ptrIxEEEESE_PS5_SF_jNS0_19identity_decomposerENS1_16block_id_wrapperIjLb1EEEEE10hipError_tT1_PNSt15iterator_traitsISK_E10value_typeET2_T3_PNSL_ISQ_E10value_typeET4_T5_PSV_SW_PNS1_23onesweep_lookback_stateEbbT6_jjT7_P12ihipStream_tbENKUlT_T0_SK_SP_E_clISE_SE_SF_SF_EEDaS13_S14_SK_SP_EUlS13_E_NS1_11comp_targetILNS1_3genE0ELNS1_11target_archE4294967295ELNS1_3gpuE0ELNS1_3repE0EEENS1_47radix_sort_onesweep_sort_config_static_selectorELNS0_4arch9wavefront6targetE1EEEvSK_: ; @_ZN7rocprim17ROCPRIM_400000_NS6detail17trampoline_kernelINS0_14default_configENS1_35radix_sort_onesweep_config_selectorIxNS0_10empty_typeEEEZZNS1_29radix_sort_onesweep_iterationIS3_Lb0EN6thrust23THRUST_200600_302600_NS6detail15normal_iteratorINS9_10device_ptrIxEEEESE_PS5_SF_jNS0_19identity_decomposerENS1_16block_id_wrapperIjLb1EEEEE10hipError_tT1_PNSt15iterator_traitsISK_E10value_typeET2_T3_PNSL_ISQ_E10value_typeET4_T5_PSV_SW_PNS1_23onesweep_lookback_stateEbbT6_jjT7_P12ihipStream_tbENKUlT_T0_SK_SP_E_clISE_SE_SF_SF_EEDaS13_S14_SK_SP_EUlS13_E_NS1_11comp_targetILNS1_3genE0ELNS1_11target_archE4294967295ELNS1_3gpuE0ELNS1_3repE0EEENS1_47radix_sort_onesweep_sort_config_static_selectorELNS0_4arch9wavefront6targetE1EEEvSK_
; %bb.0:
	.section	.rodata,"a",@progbits
	.p2align	6, 0x0
	.amdhsa_kernel _ZN7rocprim17ROCPRIM_400000_NS6detail17trampoline_kernelINS0_14default_configENS1_35radix_sort_onesweep_config_selectorIxNS0_10empty_typeEEEZZNS1_29radix_sort_onesweep_iterationIS3_Lb0EN6thrust23THRUST_200600_302600_NS6detail15normal_iteratorINS9_10device_ptrIxEEEESE_PS5_SF_jNS0_19identity_decomposerENS1_16block_id_wrapperIjLb1EEEEE10hipError_tT1_PNSt15iterator_traitsISK_E10value_typeET2_T3_PNSL_ISQ_E10value_typeET4_T5_PSV_SW_PNS1_23onesweep_lookback_stateEbbT6_jjT7_P12ihipStream_tbENKUlT_T0_SK_SP_E_clISE_SE_SF_SF_EEDaS13_S14_SK_SP_EUlS13_E_NS1_11comp_targetILNS1_3genE0ELNS1_11target_archE4294967295ELNS1_3gpuE0ELNS1_3repE0EEENS1_47radix_sort_onesweep_sort_config_static_selectorELNS0_4arch9wavefront6targetE1EEEvSK_
		.amdhsa_group_segment_fixed_size 0
		.amdhsa_private_segment_fixed_size 0
		.amdhsa_kernarg_size 88
		.amdhsa_user_sgpr_count 6
		.amdhsa_user_sgpr_private_segment_buffer 1
		.amdhsa_user_sgpr_dispatch_ptr 0
		.amdhsa_user_sgpr_queue_ptr 0
		.amdhsa_user_sgpr_kernarg_segment_ptr 1
		.amdhsa_user_sgpr_dispatch_id 0
		.amdhsa_user_sgpr_flat_scratch_init 0
		.amdhsa_user_sgpr_kernarg_preload_length 0
		.amdhsa_user_sgpr_kernarg_preload_offset 0
		.amdhsa_user_sgpr_private_segment_size 0
		.amdhsa_uses_dynamic_stack 0
		.amdhsa_system_sgpr_private_segment_wavefront_offset 0
		.amdhsa_system_sgpr_workgroup_id_x 1
		.amdhsa_system_sgpr_workgroup_id_y 0
		.amdhsa_system_sgpr_workgroup_id_z 0
		.amdhsa_system_sgpr_workgroup_info 0
		.amdhsa_system_vgpr_workitem_id 0
		.amdhsa_next_free_vgpr 1
		.amdhsa_next_free_sgpr 0
		.amdhsa_accum_offset 4
		.amdhsa_reserve_vcc 0
		.amdhsa_reserve_flat_scratch 0
		.amdhsa_float_round_mode_32 0
		.amdhsa_float_round_mode_16_64 0
		.amdhsa_float_denorm_mode_32 3
		.amdhsa_float_denorm_mode_16_64 3
		.amdhsa_dx10_clamp 1
		.amdhsa_ieee_mode 1
		.amdhsa_fp16_overflow 0
		.amdhsa_tg_split 0
		.amdhsa_exception_fp_ieee_invalid_op 0
		.amdhsa_exception_fp_denorm_src 0
		.amdhsa_exception_fp_ieee_div_zero 0
		.amdhsa_exception_fp_ieee_overflow 0
		.amdhsa_exception_fp_ieee_underflow 0
		.amdhsa_exception_fp_ieee_inexact 0
		.amdhsa_exception_int_div_zero 0
	.end_amdhsa_kernel
	.section	.text._ZN7rocprim17ROCPRIM_400000_NS6detail17trampoline_kernelINS0_14default_configENS1_35radix_sort_onesweep_config_selectorIxNS0_10empty_typeEEEZZNS1_29radix_sort_onesweep_iterationIS3_Lb0EN6thrust23THRUST_200600_302600_NS6detail15normal_iteratorINS9_10device_ptrIxEEEESE_PS5_SF_jNS0_19identity_decomposerENS1_16block_id_wrapperIjLb1EEEEE10hipError_tT1_PNSt15iterator_traitsISK_E10value_typeET2_T3_PNSL_ISQ_E10value_typeET4_T5_PSV_SW_PNS1_23onesweep_lookback_stateEbbT6_jjT7_P12ihipStream_tbENKUlT_T0_SK_SP_E_clISE_SE_SF_SF_EEDaS13_S14_SK_SP_EUlS13_E_NS1_11comp_targetILNS1_3genE0ELNS1_11target_archE4294967295ELNS1_3gpuE0ELNS1_3repE0EEENS1_47radix_sort_onesweep_sort_config_static_selectorELNS0_4arch9wavefront6targetE1EEEvSK_,"axG",@progbits,_ZN7rocprim17ROCPRIM_400000_NS6detail17trampoline_kernelINS0_14default_configENS1_35radix_sort_onesweep_config_selectorIxNS0_10empty_typeEEEZZNS1_29radix_sort_onesweep_iterationIS3_Lb0EN6thrust23THRUST_200600_302600_NS6detail15normal_iteratorINS9_10device_ptrIxEEEESE_PS5_SF_jNS0_19identity_decomposerENS1_16block_id_wrapperIjLb1EEEEE10hipError_tT1_PNSt15iterator_traitsISK_E10value_typeET2_T3_PNSL_ISQ_E10value_typeET4_T5_PSV_SW_PNS1_23onesweep_lookback_stateEbbT6_jjT7_P12ihipStream_tbENKUlT_T0_SK_SP_E_clISE_SE_SF_SF_EEDaS13_S14_SK_SP_EUlS13_E_NS1_11comp_targetILNS1_3genE0ELNS1_11target_archE4294967295ELNS1_3gpuE0ELNS1_3repE0EEENS1_47radix_sort_onesweep_sort_config_static_selectorELNS0_4arch9wavefront6targetE1EEEvSK_,comdat
.Lfunc_end1542:
	.size	_ZN7rocprim17ROCPRIM_400000_NS6detail17trampoline_kernelINS0_14default_configENS1_35radix_sort_onesweep_config_selectorIxNS0_10empty_typeEEEZZNS1_29radix_sort_onesweep_iterationIS3_Lb0EN6thrust23THRUST_200600_302600_NS6detail15normal_iteratorINS9_10device_ptrIxEEEESE_PS5_SF_jNS0_19identity_decomposerENS1_16block_id_wrapperIjLb1EEEEE10hipError_tT1_PNSt15iterator_traitsISK_E10value_typeET2_T3_PNSL_ISQ_E10value_typeET4_T5_PSV_SW_PNS1_23onesweep_lookback_stateEbbT6_jjT7_P12ihipStream_tbENKUlT_T0_SK_SP_E_clISE_SE_SF_SF_EEDaS13_S14_SK_SP_EUlS13_E_NS1_11comp_targetILNS1_3genE0ELNS1_11target_archE4294967295ELNS1_3gpuE0ELNS1_3repE0EEENS1_47radix_sort_onesweep_sort_config_static_selectorELNS0_4arch9wavefront6targetE1EEEvSK_, .Lfunc_end1542-_ZN7rocprim17ROCPRIM_400000_NS6detail17trampoline_kernelINS0_14default_configENS1_35radix_sort_onesweep_config_selectorIxNS0_10empty_typeEEEZZNS1_29radix_sort_onesweep_iterationIS3_Lb0EN6thrust23THRUST_200600_302600_NS6detail15normal_iteratorINS9_10device_ptrIxEEEESE_PS5_SF_jNS0_19identity_decomposerENS1_16block_id_wrapperIjLb1EEEEE10hipError_tT1_PNSt15iterator_traitsISK_E10value_typeET2_T3_PNSL_ISQ_E10value_typeET4_T5_PSV_SW_PNS1_23onesweep_lookback_stateEbbT6_jjT7_P12ihipStream_tbENKUlT_T0_SK_SP_E_clISE_SE_SF_SF_EEDaS13_S14_SK_SP_EUlS13_E_NS1_11comp_targetILNS1_3genE0ELNS1_11target_archE4294967295ELNS1_3gpuE0ELNS1_3repE0EEENS1_47radix_sort_onesweep_sort_config_static_selectorELNS0_4arch9wavefront6targetE1EEEvSK_
                                        ; -- End function
	.section	.AMDGPU.csdata,"",@progbits
; Kernel info:
; codeLenInByte = 0
; NumSgprs: 4
; NumVgprs: 0
; NumAgprs: 0
; TotalNumVgprs: 0
; ScratchSize: 0
; MemoryBound: 0
; FloatMode: 240
; IeeeMode: 1
; LDSByteSize: 0 bytes/workgroup (compile time only)
; SGPRBlocks: 0
; VGPRBlocks: 0
; NumSGPRsForWavesPerEU: 4
; NumVGPRsForWavesPerEU: 1
; AccumOffset: 4
; Occupancy: 8
; WaveLimiterHint : 0
; COMPUTE_PGM_RSRC2:SCRATCH_EN: 0
; COMPUTE_PGM_RSRC2:USER_SGPR: 6
; COMPUTE_PGM_RSRC2:TRAP_HANDLER: 0
; COMPUTE_PGM_RSRC2:TGID_X_EN: 1
; COMPUTE_PGM_RSRC2:TGID_Y_EN: 0
; COMPUTE_PGM_RSRC2:TGID_Z_EN: 0
; COMPUTE_PGM_RSRC2:TIDIG_COMP_CNT: 0
; COMPUTE_PGM_RSRC3_GFX90A:ACCUM_OFFSET: 0
; COMPUTE_PGM_RSRC3_GFX90A:TG_SPLIT: 0
	.section	.text._ZN7rocprim17ROCPRIM_400000_NS6detail17trampoline_kernelINS0_14default_configENS1_35radix_sort_onesweep_config_selectorIxNS0_10empty_typeEEEZZNS1_29radix_sort_onesweep_iterationIS3_Lb0EN6thrust23THRUST_200600_302600_NS6detail15normal_iteratorINS9_10device_ptrIxEEEESE_PS5_SF_jNS0_19identity_decomposerENS1_16block_id_wrapperIjLb1EEEEE10hipError_tT1_PNSt15iterator_traitsISK_E10value_typeET2_T3_PNSL_ISQ_E10value_typeET4_T5_PSV_SW_PNS1_23onesweep_lookback_stateEbbT6_jjT7_P12ihipStream_tbENKUlT_T0_SK_SP_E_clISE_SE_SF_SF_EEDaS13_S14_SK_SP_EUlS13_E_NS1_11comp_targetILNS1_3genE6ELNS1_11target_archE950ELNS1_3gpuE13ELNS1_3repE0EEENS1_47radix_sort_onesweep_sort_config_static_selectorELNS0_4arch9wavefront6targetE1EEEvSK_,"axG",@progbits,_ZN7rocprim17ROCPRIM_400000_NS6detail17trampoline_kernelINS0_14default_configENS1_35radix_sort_onesweep_config_selectorIxNS0_10empty_typeEEEZZNS1_29radix_sort_onesweep_iterationIS3_Lb0EN6thrust23THRUST_200600_302600_NS6detail15normal_iteratorINS9_10device_ptrIxEEEESE_PS5_SF_jNS0_19identity_decomposerENS1_16block_id_wrapperIjLb1EEEEE10hipError_tT1_PNSt15iterator_traitsISK_E10value_typeET2_T3_PNSL_ISQ_E10value_typeET4_T5_PSV_SW_PNS1_23onesweep_lookback_stateEbbT6_jjT7_P12ihipStream_tbENKUlT_T0_SK_SP_E_clISE_SE_SF_SF_EEDaS13_S14_SK_SP_EUlS13_E_NS1_11comp_targetILNS1_3genE6ELNS1_11target_archE950ELNS1_3gpuE13ELNS1_3repE0EEENS1_47radix_sort_onesweep_sort_config_static_selectorELNS0_4arch9wavefront6targetE1EEEvSK_,comdat
	.protected	_ZN7rocprim17ROCPRIM_400000_NS6detail17trampoline_kernelINS0_14default_configENS1_35radix_sort_onesweep_config_selectorIxNS0_10empty_typeEEEZZNS1_29radix_sort_onesweep_iterationIS3_Lb0EN6thrust23THRUST_200600_302600_NS6detail15normal_iteratorINS9_10device_ptrIxEEEESE_PS5_SF_jNS0_19identity_decomposerENS1_16block_id_wrapperIjLb1EEEEE10hipError_tT1_PNSt15iterator_traitsISK_E10value_typeET2_T3_PNSL_ISQ_E10value_typeET4_T5_PSV_SW_PNS1_23onesweep_lookback_stateEbbT6_jjT7_P12ihipStream_tbENKUlT_T0_SK_SP_E_clISE_SE_SF_SF_EEDaS13_S14_SK_SP_EUlS13_E_NS1_11comp_targetILNS1_3genE6ELNS1_11target_archE950ELNS1_3gpuE13ELNS1_3repE0EEENS1_47radix_sort_onesweep_sort_config_static_selectorELNS0_4arch9wavefront6targetE1EEEvSK_ ; -- Begin function _ZN7rocprim17ROCPRIM_400000_NS6detail17trampoline_kernelINS0_14default_configENS1_35radix_sort_onesweep_config_selectorIxNS0_10empty_typeEEEZZNS1_29radix_sort_onesweep_iterationIS3_Lb0EN6thrust23THRUST_200600_302600_NS6detail15normal_iteratorINS9_10device_ptrIxEEEESE_PS5_SF_jNS0_19identity_decomposerENS1_16block_id_wrapperIjLb1EEEEE10hipError_tT1_PNSt15iterator_traitsISK_E10value_typeET2_T3_PNSL_ISQ_E10value_typeET4_T5_PSV_SW_PNS1_23onesweep_lookback_stateEbbT6_jjT7_P12ihipStream_tbENKUlT_T0_SK_SP_E_clISE_SE_SF_SF_EEDaS13_S14_SK_SP_EUlS13_E_NS1_11comp_targetILNS1_3genE6ELNS1_11target_archE950ELNS1_3gpuE13ELNS1_3repE0EEENS1_47radix_sort_onesweep_sort_config_static_selectorELNS0_4arch9wavefront6targetE1EEEvSK_
	.globl	_ZN7rocprim17ROCPRIM_400000_NS6detail17trampoline_kernelINS0_14default_configENS1_35radix_sort_onesweep_config_selectorIxNS0_10empty_typeEEEZZNS1_29radix_sort_onesweep_iterationIS3_Lb0EN6thrust23THRUST_200600_302600_NS6detail15normal_iteratorINS9_10device_ptrIxEEEESE_PS5_SF_jNS0_19identity_decomposerENS1_16block_id_wrapperIjLb1EEEEE10hipError_tT1_PNSt15iterator_traitsISK_E10value_typeET2_T3_PNSL_ISQ_E10value_typeET4_T5_PSV_SW_PNS1_23onesweep_lookback_stateEbbT6_jjT7_P12ihipStream_tbENKUlT_T0_SK_SP_E_clISE_SE_SF_SF_EEDaS13_S14_SK_SP_EUlS13_E_NS1_11comp_targetILNS1_3genE6ELNS1_11target_archE950ELNS1_3gpuE13ELNS1_3repE0EEENS1_47radix_sort_onesweep_sort_config_static_selectorELNS0_4arch9wavefront6targetE1EEEvSK_
	.p2align	8
	.type	_ZN7rocprim17ROCPRIM_400000_NS6detail17trampoline_kernelINS0_14default_configENS1_35radix_sort_onesweep_config_selectorIxNS0_10empty_typeEEEZZNS1_29radix_sort_onesweep_iterationIS3_Lb0EN6thrust23THRUST_200600_302600_NS6detail15normal_iteratorINS9_10device_ptrIxEEEESE_PS5_SF_jNS0_19identity_decomposerENS1_16block_id_wrapperIjLb1EEEEE10hipError_tT1_PNSt15iterator_traitsISK_E10value_typeET2_T3_PNSL_ISQ_E10value_typeET4_T5_PSV_SW_PNS1_23onesweep_lookback_stateEbbT6_jjT7_P12ihipStream_tbENKUlT_T0_SK_SP_E_clISE_SE_SF_SF_EEDaS13_S14_SK_SP_EUlS13_E_NS1_11comp_targetILNS1_3genE6ELNS1_11target_archE950ELNS1_3gpuE13ELNS1_3repE0EEENS1_47radix_sort_onesweep_sort_config_static_selectorELNS0_4arch9wavefront6targetE1EEEvSK_,@function
_ZN7rocprim17ROCPRIM_400000_NS6detail17trampoline_kernelINS0_14default_configENS1_35radix_sort_onesweep_config_selectorIxNS0_10empty_typeEEEZZNS1_29radix_sort_onesweep_iterationIS3_Lb0EN6thrust23THRUST_200600_302600_NS6detail15normal_iteratorINS9_10device_ptrIxEEEESE_PS5_SF_jNS0_19identity_decomposerENS1_16block_id_wrapperIjLb1EEEEE10hipError_tT1_PNSt15iterator_traitsISK_E10value_typeET2_T3_PNSL_ISQ_E10value_typeET4_T5_PSV_SW_PNS1_23onesweep_lookback_stateEbbT6_jjT7_P12ihipStream_tbENKUlT_T0_SK_SP_E_clISE_SE_SF_SF_EEDaS13_S14_SK_SP_EUlS13_E_NS1_11comp_targetILNS1_3genE6ELNS1_11target_archE950ELNS1_3gpuE13ELNS1_3repE0EEENS1_47radix_sort_onesweep_sort_config_static_selectorELNS0_4arch9wavefront6targetE1EEEvSK_: ; @_ZN7rocprim17ROCPRIM_400000_NS6detail17trampoline_kernelINS0_14default_configENS1_35radix_sort_onesweep_config_selectorIxNS0_10empty_typeEEEZZNS1_29radix_sort_onesweep_iterationIS3_Lb0EN6thrust23THRUST_200600_302600_NS6detail15normal_iteratorINS9_10device_ptrIxEEEESE_PS5_SF_jNS0_19identity_decomposerENS1_16block_id_wrapperIjLb1EEEEE10hipError_tT1_PNSt15iterator_traitsISK_E10value_typeET2_T3_PNSL_ISQ_E10value_typeET4_T5_PSV_SW_PNS1_23onesweep_lookback_stateEbbT6_jjT7_P12ihipStream_tbENKUlT_T0_SK_SP_E_clISE_SE_SF_SF_EEDaS13_S14_SK_SP_EUlS13_E_NS1_11comp_targetILNS1_3genE6ELNS1_11target_archE950ELNS1_3gpuE13ELNS1_3repE0EEENS1_47radix_sort_onesweep_sort_config_static_selectorELNS0_4arch9wavefront6targetE1EEEvSK_
; %bb.0:
	.section	.rodata,"a",@progbits
	.p2align	6, 0x0
	.amdhsa_kernel _ZN7rocprim17ROCPRIM_400000_NS6detail17trampoline_kernelINS0_14default_configENS1_35radix_sort_onesweep_config_selectorIxNS0_10empty_typeEEEZZNS1_29radix_sort_onesweep_iterationIS3_Lb0EN6thrust23THRUST_200600_302600_NS6detail15normal_iteratorINS9_10device_ptrIxEEEESE_PS5_SF_jNS0_19identity_decomposerENS1_16block_id_wrapperIjLb1EEEEE10hipError_tT1_PNSt15iterator_traitsISK_E10value_typeET2_T3_PNSL_ISQ_E10value_typeET4_T5_PSV_SW_PNS1_23onesweep_lookback_stateEbbT6_jjT7_P12ihipStream_tbENKUlT_T0_SK_SP_E_clISE_SE_SF_SF_EEDaS13_S14_SK_SP_EUlS13_E_NS1_11comp_targetILNS1_3genE6ELNS1_11target_archE950ELNS1_3gpuE13ELNS1_3repE0EEENS1_47radix_sort_onesweep_sort_config_static_selectorELNS0_4arch9wavefront6targetE1EEEvSK_
		.amdhsa_group_segment_fixed_size 0
		.amdhsa_private_segment_fixed_size 0
		.amdhsa_kernarg_size 88
		.amdhsa_user_sgpr_count 6
		.amdhsa_user_sgpr_private_segment_buffer 1
		.amdhsa_user_sgpr_dispatch_ptr 0
		.amdhsa_user_sgpr_queue_ptr 0
		.amdhsa_user_sgpr_kernarg_segment_ptr 1
		.amdhsa_user_sgpr_dispatch_id 0
		.amdhsa_user_sgpr_flat_scratch_init 0
		.amdhsa_user_sgpr_kernarg_preload_length 0
		.amdhsa_user_sgpr_kernarg_preload_offset 0
		.amdhsa_user_sgpr_private_segment_size 0
		.amdhsa_uses_dynamic_stack 0
		.amdhsa_system_sgpr_private_segment_wavefront_offset 0
		.amdhsa_system_sgpr_workgroup_id_x 1
		.amdhsa_system_sgpr_workgroup_id_y 0
		.amdhsa_system_sgpr_workgroup_id_z 0
		.amdhsa_system_sgpr_workgroup_info 0
		.amdhsa_system_vgpr_workitem_id 0
		.amdhsa_next_free_vgpr 1
		.amdhsa_next_free_sgpr 0
		.amdhsa_accum_offset 4
		.amdhsa_reserve_vcc 0
		.amdhsa_reserve_flat_scratch 0
		.amdhsa_float_round_mode_32 0
		.amdhsa_float_round_mode_16_64 0
		.amdhsa_float_denorm_mode_32 3
		.amdhsa_float_denorm_mode_16_64 3
		.amdhsa_dx10_clamp 1
		.amdhsa_ieee_mode 1
		.amdhsa_fp16_overflow 0
		.amdhsa_tg_split 0
		.amdhsa_exception_fp_ieee_invalid_op 0
		.amdhsa_exception_fp_denorm_src 0
		.amdhsa_exception_fp_ieee_div_zero 0
		.amdhsa_exception_fp_ieee_overflow 0
		.amdhsa_exception_fp_ieee_underflow 0
		.amdhsa_exception_fp_ieee_inexact 0
		.amdhsa_exception_int_div_zero 0
	.end_amdhsa_kernel
	.section	.text._ZN7rocprim17ROCPRIM_400000_NS6detail17trampoline_kernelINS0_14default_configENS1_35radix_sort_onesweep_config_selectorIxNS0_10empty_typeEEEZZNS1_29radix_sort_onesweep_iterationIS3_Lb0EN6thrust23THRUST_200600_302600_NS6detail15normal_iteratorINS9_10device_ptrIxEEEESE_PS5_SF_jNS0_19identity_decomposerENS1_16block_id_wrapperIjLb1EEEEE10hipError_tT1_PNSt15iterator_traitsISK_E10value_typeET2_T3_PNSL_ISQ_E10value_typeET4_T5_PSV_SW_PNS1_23onesweep_lookback_stateEbbT6_jjT7_P12ihipStream_tbENKUlT_T0_SK_SP_E_clISE_SE_SF_SF_EEDaS13_S14_SK_SP_EUlS13_E_NS1_11comp_targetILNS1_3genE6ELNS1_11target_archE950ELNS1_3gpuE13ELNS1_3repE0EEENS1_47radix_sort_onesweep_sort_config_static_selectorELNS0_4arch9wavefront6targetE1EEEvSK_,"axG",@progbits,_ZN7rocprim17ROCPRIM_400000_NS6detail17trampoline_kernelINS0_14default_configENS1_35radix_sort_onesweep_config_selectorIxNS0_10empty_typeEEEZZNS1_29radix_sort_onesweep_iterationIS3_Lb0EN6thrust23THRUST_200600_302600_NS6detail15normal_iteratorINS9_10device_ptrIxEEEESE_PS5_SF_jNS0_19identity_decomposerENS1_16block_id_wrapperIjLb1EEEEE10hipError_tT1_PNSt15iterator_traitsISK_E10value_typeET2_T3_PNSL_ISQ_E10value_typeET4_T5_PSV_SW_PNS1_23onesweep_lookback_stateEbbT6_jjT7_P12ihipStream_tbENKUlT_T0_SK_SP_E_clISE_SE_SF_SF_EEDaS13_S14_SK_SP_EUlS13_E_NS1_11comp_targetILNS1_3genE6ELNS1_11target_archE950ELNS1_3gpuE13ELNS1_3repE0EEENS1_47radix_sort_onesweep_sort_config_static_selectorELNS0_4arch9wavefront6targetE1EEEvSK_,comdat
.Lfunc_end1543:
	.size	_ZN7rocprim17ROCPRIM_400000_NS6detail17trampoline_kernelINS0_14default_configENS1_35radix_sort_onesweep_config_selectorIxNS0_10empty_typeEEEZZNS1_29radix_sort_onesweep_iterationIS3_Lb0EN6thrust23THRUST_200600_302600_NS6detail15normal_iteratorINS9_10device_ptrIxEEEESE_PS5_SF_jNS0_19identity_decomposerENS1_16block_id_wrapperIjLb1EEEEE10hipError_tT1_PNSt15iterator_traitsISK_E10value_typeET2_T3_PNSL_ISQ_E10value_typeET4_T5_PSV_SW_PNS1_23onesweep_lookback_stateEbbT6_jjT7_P12ihipStream_tbENKUlT_T0_SK_SP_E_clISE_SE_SF_SF_EEDaS13_S14_SK_SP_EUlS13_E_NS1_11comp_targetILNS1_3genE6ELNS1_11target_archE950ELNS1_3gpuE13ELNS1_3repE0EEENS1_47radix_sort_onesweep_sort_config_static_selectorELNS0_4arch9wavefront6targetE1EEEvSK_, .Lfunc_end1543-_ZN7rocprim17ROCPRIM_400000_NS6detail17trampoline_kernelINS0_14default_configENS1_35radix_sort_onesweep_config_selectorIxNS0_10empty_typeEEEZZNS1_29radix_sort_onesweep_iterationIS3_Lb0EN6thrust23THRUST_200600_302600_NS6detail15normal_iteratorINS9_10device_ptrIxEEEESE_PS5_SF_jNS0_19identity_decomposerENS1_16block_id_wrapperIjLb1EEEEE10hipError_tT1_PNSt15iterator_traitsISK_E10value_typeET2_T3_PNSL_ISQ_E10value_typeET4_T5_PSV_SW_PNS1_23onesweep_lookback_stateEbbT6_jjT7_P12ihipStream_tbENKUlT_T0_SK_SP_E_clISE_SE_SF_SF_EEDaS13_S14_SK_SP_EUlS13_E_NS1_11comp_targetILNS1_3genE6ELNS1_11target_archE950ELNS1_3gpuE13ELNS1_3repE0EEENS1_47radix_sort_onesweep_sort_config_static_selectorELNS0_4arch9wavefront6targetE1EEEvSK_
                                        ; -- End function
	.section	.AMDGPU.csdata,"",@progbits
; Kernel info:
; codeLenInByte = 0
; NumSgprs: 4
; NumVgprs: 0
; NumAgprs: 0
; TotalNumVgprs: 0
; ScratchSize: 0
; MemoryBound: 0
; FloatMode: 240
; IeeeMode: 1
; LDSByteSize: 0 bytes/workgroup (compile time only)
; SGPRBlocks: 0
; VGPRBlocks: 0
; NumSGPRsForWavesPerEU: 4
; NumVGPRsForWavesPerEU: 1
; AccumOffset: 4
; Occupancy: 8
; WaveLimiterHint : 0
; COMPUTE_PGM_RSRC2:SCRATCH_EN: 0
; COMPUTE_PGM_RSRC2:USER_SGPR: 6
; COMPUTE_PGM_RSRC2:TRAP_HANDLER: 0
; COMPUTE_PGM_RSRC2:TGID_X_EN: 1
; COMPUTE_PGM_RSRC2:TGID_Y_EN: 0
; COMPUTE_PGM_RSRC2:TGID_Z_EN: 0
; COMPUTE_PGM_RSRC2:TIDIG_COMP_CNT: 0
; COMPUTE_PGM_RSRC3_GFX90A:ACCUM_OFFSET: 0
; COMPUTE_PGM_RSRC3_GFX90A:TG_SPLIT: 0
	.section	.text._ZN7rocprim17ROCPRIM_400000_NS6detail17trampoline_kernelINS0_14default_configENS1_35radix_sort_onesweep_config_selectorIxNS0_10empty_typeEEEZZNS1_29radix_sort_onesweep_iterationIS3_Lb0EN6thrust23THRUST_200600_302600_NS6detail15normal_iteratorINS9_10device_ptrIxEEEESE_PS5_SF_jNS0_19identity_decomposerENS1_16block_id_wrapperIjLb1EEEEE10hipError_tT1_PNSt15iterator_traitsISK_E10value_typeET2_T3_PNSL_ISQ_E10value_typeET4_T5_PSV_SW_PNS1_23onesweep_lookback_stateEbbT6_jjT7_P12ihipStream_tbENKUlT_T0_SK_SP_E_clISE_SE_SF_SF_EEDaS13_S14_SK_SP_EUlS13_E_NS1_11comp_targetILNS1_3genE5ELNS1_11target_archE942ELNS1_3gpuE9ELNS1_3repE0EEENS1_47radix_sort_onesweep_sort_config_static_selectorELNS0_4arch9wavefront6targetE1EEEvSK_,"axG",@progbits,_ZN7rocprim17ROCPRIM_400000_NS6detail17trampoline_kernelINS0_14default_configENS1_35radix_sort_onesweep_config_selectorIxNS0_10empty_typeEEEZZNS1_29radix_sort_onesweep_iterationIS3_Lb0EN6thrust23THRUST_200600_302600_NS6detail15normal_iteratorINS9_10device_ptrIxEEEESE_PS5_SF_jNS0_19identity_decomposerENS1_16block_id_wrapperIjLb1EEEEE10hipError_tT1_PNSt15iterator_traitsISK_E10value_typeET2_T3_PNSL_ISQ_E10value_typeET4_T5_PSV_SW_PNS1_23onesweep_lookback_stateEbbT6_jjT7_P12ihipStream_tbENKUlT_T0_SK_SP_E_clISE_SE_SF_SF_EEDaS13_S14_SK_SP_EUlS13_E_NS1_11comp_targetILNS1_3genE5ELNS1_11target_archE942ELNS1_3gpuE9ELNS1_3repE0EEENS1_47radix_sort_onesweep_sort_config_static_selectorELNS0_4arch9wavefront6targetE1EEEvSK_,comdat
	.protected	_ZN7rocprim17ROCPRIM_400000_NS6detail17trampoline_kernelINS0_14default_configENS1_35radix_sort_onesweep_config_selectorIxNS0_10empty_typeEEEZZNS1_29radix_sort_onesweep_iterationIS3_Lb0EN6thrust23THRUST_200600_302600_NS6detail15normal_iteratorINS9_10device_ptrIxEEEESE_PS5_SF_jNS0_19identity_decomposerENS1_16block_id_wrapperIjLb1EEEEE10hipError_tT1_PNSt15iterator_traitsISK_E10value_typeET2_T3_PNSL_ISQ_E10value_typeET4_T5_PSV_SW_PNS1_23onesweep_lookback_stateEbbT6_jjT7_P12ihipStream_tbENKUlT_T0_SK_SP_E_clISE_SE_SF_SF_EEDaS13_S14_SK_SP_EUlS13_E_NS1_11comp_targetILNS1_3genE5ELNS1_11target_archE942ELNS1_3gpuE9ELNS1_3repE0EEENS1_47radix_sort_onesweep_sort_config_static_selectorELNS0_4arch9wavefront6targetE1EEEvSK_ ; -- Begin function _ZN7rocprim17ROCPRIM_400000_NS6detail17trampoline_kernelINS0_14default_configENS1_35radix_sort_onesweep_config_selectorIxNS0_10empty_typeEEEZZNS1_29radix_sort_onesweep_iterationIS3_Lb0EN6thrust23THRUST_200600_302600_NS6detail15normal_iteratorINS9_10device_ptrIxEEEESE_PS5_SF_jNS0_19identity_decomposerENS1_16block_id_wrapperIjLb1EEEEE10hipError_tT1_PNSt15iterator_traitsISK_E10value_typeET2_T3_PNSL_ISQ_E10value_typeET4_T5_PSV_SW_PNS1_23onesweep_lookback_stateEbbT6_jjT7_P12ihipStream_tbENKUlT_T0_SK_SP_E_clISE_SE_SF_SF_EEDaS13_S14_SK_SP_EUlS13_E_NS1_11comp_targetILNS1_3genE5ELNS1_11target_archE942ELNS1_3gpuE9ELNS1_3repE0EEENS1_47radix_sort_onesweep_sort_config_static_selectorELNS0_4arch9wavefront6targetE1EEEvSK_
	.globl	_ZN7rocprim17ROCPRIM_400000_NS6detail17trampoline_kernelINS0_14default_configENS1_35radix_sort_onesweep_config_selectorIxNS0_10empty_typeEEEZZNS1_29radix_sort_onesweep_iterationIS3_Lb0EN6thrust23THRUST_200600_302600_NS6detail15normal_iteratorINS9_10device_ptrIxEEEESE_PS5_SF_jNS0_19identity_decomposerENS1_16block_id_wrapperIjLb1EEEEE10hipError_tT1_PNSt15iterator_traitsISK_E10value_typeET2_T3_PNSL_ISQ_E10value_typeET4_T5_PSV_SW_PNS1_23onesweep_lookback_stateEbbT6_jjT7_P12ihipStream_tbENKUlT_T0_SK_SP_E_clISE_SE_SF_SF_EEDaS13_S14_SK_SP_EUlS13_E_NS1_11comp_targetILNS1_3genE5ELNS1_11target_archE942ELNS1_3gpuE9ELNS1_3repE0EEENS1_47radix_sort_onesweep_sort_config_static_selectorELNS0_4arch9wavefront6targetE1EEEvSK_
	.p2align	8
	.type	_ZN7rocprim17ROCPRIM_400000_NS6detail17trampoline_kernelINS0_14default_configENS1_35radix_sort_onesweep_config_selectorIxNS0_10empty_typeEEEZZNS1_29radix_sort_onesweep_iterationIS3_Lb0EN6thrust23THRUST_200600_302600_NS6detail15normal_iteratorINS9_10device_ptrIxEEEESE_PS5_SF_jNS0_19identity_decomposerENS1_16block_id_wrapperIjLb1EEEEE10hipError_tT1_PNSt15iterator_traitsISK_E10value_typeET2_T3_PNSL_ISQ_E10value_typeET4_T5_PSV_SW_PNS1_23onesweep_lookback_stateEbbT6_jjT7_P12ihipStream_tbENKUlT_T0_SK_SP_E_clISE_SE_SF_SF_EEDaS13_S14_SK_SP_EUlS13_E_NS1_11comp_targetILNS1_3genE5ELNS1_11target_archE942ELNS1_3gpuE9ELNS1_3repE0EEENS1_47radix_sort_onesweep_sort_config_static_selectorELNS0_4arch9wavefront6targetE1EEEvSK_,@function
_ZN7rocprim17ROCPRIM_400000_NS6detail17trampoline_kernelINS0_14default_configENS1_35radix_sort_onesweep_config_selectorIxNS0_10empty_typeEEEZZNS1_29radix_sort_onesweep_iterationIS3_Lb0EN6thrust23THRUST_200600_302600_NS6detail15normal_iteratorINS9_10device_ptrIxEEEESE_PS5_SF_jNS0_19identity_decomposerENS1_16block_id_wrapperIjLb1EEEEE10hipError_tT1_PNSt15iterator_traitsISK_E10value_typeET2_T3_PNSL_ISQ_E10value_typeET4_T5_PSV_SW_PNS1_23onesweep_lookback_stateEbbT6_jjT7_P12ihipStream_tbENKUlT_T0_SK_SP_E_clISE_SE_SF_SF_EEDaS13_S14_SK_SP_EUlS13_E_NS1_11comp_targetILNS1_3genE5ELNS1_11target_archE942ELNS1_3gpuE9ELNS1_3repE0EEENS1_47radix_sort_onesweep_sort_config_static_selectorELNS0_4arch9wavefront6targetE1EEEvSK_: ; @_ZN7rocprim17ROCPRIM_400000_NS6detail17trampoline_kernelINS0_14default_configENS1_35radix_sort_onesweep_config_selectorIxNS0_10empty_typeEEEZZNS1_29radix_sort_onesweep_iterationIS3_Lb0EN6thrust23THRUST_200600_302600_NS6detail15normal_iteratorINS9_10device_ptrIxEEEESE_PS5_SF_jNS0_19identity_decomposerENS1_16block_id_wrapperIjLb1EEEEE10hipError_tT1_PNSt15iterator_traitsISK_E10value_typeET2_T3_PNSL_ISQ_E10value_typeET4_T5_PSV_SW_PNS1_23onesweep_lookback_stateEbbT6_jjT7_P12ihipStream_tbENKUlT_T0_SK_SP_E_clISE_SE_SF_SF_EEDaS13_S14_SK_SP_EUlS13_E_NS1_11comp_targetILNS1_3genE5ELNS1_11target_archE942ELNS1_3gpuE9ELNS1_3repE0EEENS1_47radix_sort_onesweep_sort_config_static_selectorELNS0_4arch9wavefront6targetE1EEEvSK_
; %bb.0:
	.section	.rodata,"a",@progbits
	.p2align	6, 0x0
	.amdhsa_kernel _ZN7rocprim17ROCPRIM_400000_NS6detail17trampoline_kernelINS0_14default_configENS1_35radix_sort_onesweep_config_selectorIxNS0_10empty_typeEEEZZNS1_29radix_sort_onesweep_iterationIS3_Lb0EN6thrust23THRUST_200600_302600_NS6detail15normal_iteratorINS9_10device_ptrIxEEEESE_PS5_SF_jNS0_19identity_decomposerENS1_16block_id_wrapperIjLb1EEEEE10hipError_tT1_PNSt15iterator_traitsISK_E10value_typeET2_T3_PNSL_ISQ_E10value_typeET4_T5_PSV_SW_PNS1_23onesweep_lookback_stateEbbT6_jjT7_P12ihipStream_tbENKUlT_T0_SK_SP_E_clISE_SE_SF_SF_EEDaS13_S14_SK_SP_EUlS13_E_NS1_11comp_targetILNS1_3genE5ELNS1_11target_archE942ELNS1_3gpuE9ELNS1_3repE0EEENS1_47radix_sort_onesweep_sort_config_static_selectorELNS0_4arch9wavefront6targetE1EEEvSK_
		.amdhsa_group_segment_fixed_size 0
		.amdhsa_private_segment_fixed_size 0
		.amdhsa_kernarg_size 88
		.amdhsa_user_sgpr_count 6
		.amdhsa_user_sgpr_private_segment_buffer 1
		.amdhsa_user_sgpr_dispatch_ptr 0
		.amdhsa_user_sgpr_queue_ptr 0
		.amdhsa_user_sgpr_kernarg_segment_ptr 1
		.amdhsa_user_sgpr_dispatch_id 0
		.amdhsa_user_sgpr_flat_scratch_init 0
		.amdhsa_user_sgpr_kernarg_preload_length 0
		.amdhsa_user_sgpr_kernarg_preload_offset 0
		.amdhsa_user_sgpr_private_segment_size 0
		.amdhsa_uses_dynamic_stack 0
		.amdhsa_system_sgpr_private_segment_wavefront_offset 0
		.amdhsa_system_sgpr_workgroup_id_x 1
		.amdhsa_system_sgpr_workgroup_id_y 0
		.amdhsa_system_sgpr_workgroup_id_z 0
		.amdhsa_system_sgpr_workgroup_info 0
		.amdhsa_system_vgpr_workitem_id 0
		.amdhsa_next_free_vgpr 1
		.amdhsa_next_free_sgpr 0
		.amdhsa_accum_offset 4
		.amdhsa_reserve_vcc 0
		.amdhsa_reserve_flat_scratch 0
		.amdhsa_float_round_mode_32 0
		.amdhsa_float_round_mode_16_64 0
		.amdhsa_float_denorm_mode_32 3
		.amdhsa_float_denorm_mode_16_64 3
		.amdhsa_dx10_clamp 1
		.amdhsa_ieee_mode 1
		.amdhsa_fp16_overflow 0
		.amdhsa_tg_split 0
		.amdhsa_exception_fp_ieee_invalid_op 0
		.amdhsa_exception_fp_denorm_src 0
		.amdhsa_exception_fp_ieee_div_zero 0
		.amdhsa_exception_fp_ieee_overflow 0
		.amdhsa_exception_fp_ieee_underflow 0
		.amdhsa_exception_fp_ieee_inexact 0
		.amdhsa_exception_int_div_zero 0
	.end_amdhsa_kernel
	.section	.text._ZN7rocprim17ROCPRIM_400000_NS6detail17trampoline_kernelINS0_14default_configENS1_35radix_sort_onesweep_config_selectorIxNS0_10empty_typeEEEZZNS1_29radix_sort_onesweep_iterationIS3_Lb0EN6thrust23THRUST_200600_302600_NS6detail15normal_iteratorINS9_10device_ptrIxEEEESE_PS5_SF_jNS0_19identity_decomposerENS1_16block_id_wrapperIjLb1EEEEE10hipError_tT1_PNSt15iterator_traitsISK_E10value_typeET2_T3_PNSL_ISQ_E10value_typeET4_T5_PSV_SW_PNS1_23onesweep_lookback_stateEbbT6_jjT7_P12ihipStream_tbENKUlT_T0_SK_SP_E_clISE_SE_SF_SF_EEDaS13_S14_SK_SP_EUlS13_E_NS1_11comp_targetILNS1_3genE5ELNS1_11target_archE942ELNS1_3gpuE9ELNS1_3repE0EEENS1_47radix_sort_onesweep_sort_config_static_selectorELNS0_4arch9wavefront6targetE1EEEvSK_,"axG",@progbits,_ZN7rocprim17ROCPRIM_400000_NS6detail17trampoline_kernelINS0_14default_configENS1_35radix_sort_onesweep_config_selectorIxNS0_10empty_typeEEEZZNS1_29radix_sort_onesweep_iterationIS3_Lb0EN6thrust23THRUST_200600_302600_NS6detail15normal_iteratorINS9_10device_ptrIxEEEESE_PS5_SF_jNS0_19identity_decomposerENS1_16block_id_wrapperIjLb1EEEEE10hipError_tT1_PNSt15iterator_traitsISK_E10value_typeET2_T3_PNSL_ISQ_E10value_typeET4_T5_PSV_SW_PNS1_23onesweep_lookback_stateEbbT6_jjT7_P12ihipStream_tbENKUlT_T0_SK_SP_E_clISE_SE_SF_SF_EEDaS13_S14_SK_SP_EUlS13_E_NS1_11comp_targetILNS1_3genE5ELNS1_11target_archE942ELNS1_3gpuE9ELNS1_3repE0EEENS1_47radix_sort_onesweep_sort_config_static_selectorELNS0_4arch9wavefront6targetE1EEEvSK_,comdat
.Lfunc_end1544:
	.size	_ZN7rocprim17ROCPRIM_400000_NS6detail17trampoline_kernelINS0_14default_configENS1_35radix_sort_onesweep_config_selectorIxNS0_10empty_typeEEEZZNS1_29radix_sort_onesweep_iterationIS3_Lb0EN6thrust23THRUST_200600_302600_NS6detail15normal_iteratorINS9_10device_ptrIxEEEESE_PS5_SF_jNS0_19identity_decomposerENS1_16block_id_wrapperIjLb1EEEEE10hipError_tT1_PNSt15iterator_traitsISK_E10value_typeET2_T3_PNSL_ISQ_E10value_typeET4_T5_PSV_SW_PNS1_23onesweep_lookback_stateEbbT6_jjT7_P12ihipStream_tbENKUlT_T0_SK_SP_E_clISE_SE_SF_SF_EEDaS13_S14_SK_SP_EUlS13_E_NS1_11comp_targetILNS1_3genE5ELNS1_11target_archE942ELNS1_3gpuE9ELNS1_3repE0EEENS1_47radix_sort_onesweep_sort_config_static_selectorELNS0_4arch9wavefront6targetE1EEEvSK_, .Lfunc_end1544-_ZN7rocprim17ROCPRIM_400000_NS6detail17trampoline_kernelINS0_14default_configENS1_35radix_sort_onesweep_config_selectorIxNS0_10empty_typeEEEZZNS1_29radix_sort_onesweep_iterationIS3_Lb0EN6thrust23THRUST_200600_302600_NS6detail15normal_iteratorINS9_10device_ptrIxEEEESE_PS5_SF_jNS0_19identity_decomposerENS1_16block_id_wrapperIjLb1EEEEE10hipError_tT1_PNSt15iterator_traitsISK_E10value_typeET2_T3_PNSL_ISQ_E10value_typeET4_T5_PSV_SW_PNS1_23onesweep_lookback_stateEbbT6_jjT7_P12ihipStream_tbENKUlT_T0_SK_SP_E_clISE_SE_SF_SF_EEDaS13_S14_SK_SP_EUlS13_E_NS1_11comp_targetILNS1_3genE5ELNS1_11target_archE942ELNS1_3gpuE9ELNS1_3repE0EEENS1_47radix_sort_onesweep_sort_config_static_selectorELNS0_4arch9wavefront6targetE1EEEvSK_
                                        ; -- End function
	.section	.AMDGPU.csdata,"",@progbits
; Kernel info:
; codeLenInByte = 0
; NumSgprs: 4
; NumVgprs: 0
; NumAgprs: 0
; TotalNumVgprs: 0
; ScratchSize: 0
; MemoryBound: 0
; FloatMode: 240
; IeeeMode: 1
; LDSByteSize: 0 bytes/workgroup (compile time only)
; SGPRBlocks: 0
; VGPRBlocks: 0
; NumSGPRsForWavesPerEU: 4
; NumVGPRsForWavesPerEU: 1
; AccumOffset: 4
; Occupancy: 8
; WaveLimiterHint : 0
; COMPUTE_PGM_RSRC2:SCRATCH_EN: 0
; COMPUTE_PGM_RSRC2:USER_SGPR: 6
; COMPUTE_PGM_RSRC2:TRAP_HANDLER: 0
; COMPUTE_PGM_RSRC2:TGID_X_EN: 1
; COMPUTE_PGM_RSRC2:TGID_Y_EN: 0
; COMPUTE_PGM_RSRC2:TGID_Z_EN: 0
; COMPUTE_PGM_RSRC2:TIDIG_COMP_CNT: 0
; COMPUTE_PGM_RSRC3_GFX90A:ACCUM_OFFSET: 0
; COMPUTE_PGM_RSRC3_GFX90A:TG_SPLIT: 0
	.section	.text._ZN7rocprim17ROCPRIM_400000_NS6detail17trampoline_kernelINS0_14default_configENS1_35radix_sort_onesweep_config_selectorIxNS0_10empty_typeEEEZZNS1_29radix_sort_onesweep_iterationIS3_Lb0EN6thrust23THRUST_200600_302600_NS6detail15normal_iteratorINS9_10device_ptrIxEEEESE_PS5_SF_jNS0_19identity_decomposerENS1_16block_id_wrapperIjLb1EEEEE10hipError_tT1_PNSt15iterator_traitsISK_E10value_typeET2_T3_PNSL_ISQ_E10value_typeET4_T5_PSV_SW_PNS1_23onesweep_lookback_stateEbbT6_jjT7_P12ihipStream_tbENKUlT_T0_SK_SP_E_clISE_SE_SF_SF_EEDaS13_S14_SK_SP_EUlS13_E_NS1_11comp_targetILNS1_3genE2ELNS1_11target_archE906ELNS1_3gpuE6ELNS1_3repE0EEENS1_47radix_sort_onesweep_sort_config_static_selectorELNS0_4arch9wavefront6targetE1EEEvSK_,"axG",@progbits,_ZN7rocprim17ROCPRIM_400000_NS6detail17trampoline_kernelINS0_14default_configENS1_35radix_sort_onesweep_config_selectorIxNS0_10empty_typeEEEZZNS1_29radix_sort_onesweep_iterationIS3_Lb0EN6thrust23THRUST_200600_302600_NS6detail15normal_iteratorINS9_10device_ptrIxEEEESE_PS5_SF_jNS0_19identity_decomposerENS1_16block_id_wrapperIjLb1EEEEE10hipError_tT1_PNSt15iterator_traitsISK_E10value_typeET2_T3_PNSL_ISQ_E10value_typeET4_T5_PSV_SW_PNS1_23onesweep_lookback_stateEbbT6_jjT7_P12ihipStream_tbENKUlT_T0_SK_SP_E_clISE_SE_SF_SF_EEDaS13_S14_SK_SP_EUlS13_E_NS1_11comp_targetILNS1_3genE2ELNS1_11target_archE906ELNS1_3gpuE6ELNS1_3repE0EEENS1_47radix_sort_onesweep_sort_config_static_selectorELNS0_4arch9wavefront6targetE1EEEvSK_,comdat
	.protected	_ZN7rocprim17ROCPRIM_400000_NS6detail17trampoline_kernelINS0_14default_configENS1_35radix_sort_onesweep_config_selectorIxNS0_10empty_typeEEEZZNS1_29radix_sort_onesweep_iterationIS3_Lb0EN6thrust23THRUST_200600_302600_NS6detail15normal_iteratorINS9_10device_ptrIxEEEESE_PS5_SF_jNS0_19identity_decomposerENS1_16block_id_wrapperIjLb1EEEEE10hipError_tT1_PNSt15iterator_traitsISK_E10value_typeET2_T3_PNSL_ISQ_E10value_typeET4_T5_PSV_SW_PNS1_23onesweep_lookback_stateEbbT6_jjT7_P12ihipStream_tbENKUlT_T0_SK_SP_E_clISE_SE_SF_SF_EEDaS13_S14_SK_SP_EUlS13_E_NS1_11comp_targetILNS1_3genE2ELNS1_11target_archE906ELNS1_3gpuE6ELNS1_3repE0EEENS1_47radix_sort_onesweep_sort_config_static_selectorELNS0_4arch9wavefront6targetE1EEEvSK_ ; -- Begin function _ZN7rocprim17ROCPRIM_400000_NS6detail17trampoline_kernelINS0_14default_configENS1_35radix_sort_onesweep_config_selectorIxNS0_10empty_typeEEEZZNS1_29radix_sort_onesweep_iterationIS3_Lb0EN6thrust23THRUST_200600_302600_NS6detail15normal_iteratorINS9_10device_ptrIxEEEESE_PS5_SF_jNS0_19identity_decomposerENS1_16block_id_wrapperIjLb1EEEEE10hipError_tT1_PNSt15iterator_traitsISK_E10value_typeET2_T3_PNSL_ISQ_E10value_typeET4_T5_PSV_SW_PNS1_23onesweep_lookback_stateEbbT6_jjT7_P12ihipStream_tbENKUlT_T0_SK_SP_E_clISE_SE_SF_SF_EEDaS13_S14_SK_SP_EUlS13_E_NS1_11comp_targetILNS1_3genE2ELNS1_11target_archE906ELNS1_3gpuE6ELNS1_3repE0EEENS1_47radix_sort_onesweep_sort_config_static_selectorELNS0_4arch9wavefront6targetE1EEEvSK_
	.globl	_ZN7rocprim17ROCPRIM_400000_NS6detail17trampoline_kernelINS0_14default_configENS1_35radix_sort_onesweep_config_selectorIxNS0_10empty_typeEEEZZNS1_29radix_sort_onesweep_iterationIS3_Lb0EN6thrust23THRUST_200600_302600_NS6detail15normal_iteratorINS9_10device_ptrIxEEEESE_PS5_SF_jNS0_19identity_decomposerENS1_16block_id_wrapperIjLb1EEEEE10hipError_tT1_PNSt15iterator_traitsISK_E10value_typeET2_T3_PNSL_ISQ_E10value_typeET4_T5_PSV_SW_PNS1_23onesweep_lookback_stateEbbT6_jjT7_P12ihipStream_tbENKUlT_T0_SK_SP_E_clISE_SE_SF_SF_EEDaS13_S14_SK_SP_EUlS13_E_NS1_11comp_targetILNS1_3genE2ELNS1_11target_archE906ELNS1_3gpuE6ELNS1_3repE0EEENS1_47radix_sort_onesweep_sort_config_static_selectorELNS0_4arch9wavefront6targetE1EEEvSK_
	.p2align	8
	.type	_ZN7rocprim17ROCPRIM_400000_NS6detail17trampoline_kernelINS0_14default_configENS1_35radix_sort_onesweep_config_selectorIxNS0_10empty_typeEEEZZNS1_29radix_sort_onesweep_iterationIS3_Lb0EN6thrust23THRUST_200600_302600_NS6detail15normal_iteratorINS9_10device_ptrIxEEEESE_PS5_SF_jNS0_19identity_decomposerENS1_16block_id_wrapperIjLb1EEEEE10hipError_tT1_PNSt15iterator_traitsISK_E10value_typeET2_T3_PNSL_ISQ_E10value_typeET4_T5_PSV_SW_PNS1_23onesweep_lookback_stateEbbT6_jjT7_P12ihipStream_tbENKUlT_T0_SK_SP_E_clISE_SE_SF_SF_EEDaS13_S14_SK_SP_EUlS13_E_NS1_11comp_targetILNS1_3genE2ELNS1_11target_archE906ELNS1_3gpuE6ELNS1_3repE0EEENS1_47radix_sort_onesweep_sort_config_static_selectorELNS0_4arch9wavefront6targetE1EEEvSK_,@function
_ZN7rocprim17ROCPRIM_400000_NS6detail17trampoline_kernelINS0_14default_configENS1_35radix_sort_onesweep_config_selectorIxNS0_10empty_typeEEEZZNS1_29radix_sort_onesweep_iterationIS3_Lb0EN6thrust23THRUST_200600_302600_NS6detail15normal_iteratorINS9_10device_ptrIxEEEESE_PS5_SF_jNS0_19identity_decomposerENS1_16block_id_wrapperIjLb1EEEEE10hipError_tT1_PNSt15iterator_traitsISK_E10value_typeET2_T3_PNSL_ISQ_E10value_typeET4_T5_PSV_SW_PNS1_23onesweep_lookback_stateEbbT6_jjT7_P12ihipStream_tbENKUlT_T0_SK_SP_E_clISE_SE_SF_SF_EEDaS13_S14_SK_SP_EUlS13_E_NS1_11comp_targetILNS1_3genE2ELNS1_11target_archE906ELNS1_3gpuE6ELNS1_3repE0EEENS1_47radix_sort_onesweep_sort_config_static_selectorELNS0_4arch9wavefront6targetE1EEEvSK_: ; @_ZN7rocprim17ROCPRIM_400000_NS6detail17trampoline_kernelINS0_14default_configENS1_35radix_sort_onesweep_config_selectorIxNS0_10empty_typeEEEZZNS1_29radix_sort_onesweep_iterationIS3_Lb0EN6thrust23THRUST_200600_302600_NS6detail15normal_iteratorINS9_10device_ptrIxEEEESE_PS5_SF_jNS0_19identity_decomposerENS1_16block_id_wrapperIjLb1EEEEE10hipError_tT1_PNSt15iterator_traitsISK_E10value_typeET2_T3_PNSL_ISQ_E10value_typeET4_T5_PSV_SW_PNS1_23onesweep_lookback_stateEbbT6_jjT7_P12ihipStream_tbENKUlT_T0_SK_SP_E_clISE_SE_SF_SF_EEDaS13_S14_SK_SP_EUlS13_E_NS1_11comp_targetILNS1_3genE2ELNS1_11target_archE906ELNS1_3gpuE6ELNS1_3repE0EEENS1_47radix_sort_onesweep_sort_config_static_selectorELNS0_4arch9wavefront6targetE1EEEvSK_
; %bb.0:
	.section	.rodata,"a",@progbits
	.p2align	6, 0x0
	.amdhsa_kernel _ZN7rocprim17ROCPRIM_400000_NS6detail17trampoline_kernelINS0_14default_configENS1_35radix_sort_onesweep_config_selectorIxNS0_10empty_typeEEEZZNS1_29radix_sort_onesweep_iterationIS3_Lb0EN6thrust23THRUST_200600_302600_NS6detail15normal_iteratorINS9_10device_ptrIxEEEESE_PS5_SF_jNS0_19identity_decomposerENS1_16block_id_wrapperIjLb1EEEEE10hipError_tT1_PNSt15iterator_traitsISK_E10value_typeET2_T3_PNSL_ISQ_E10value_typeET4_T5_PSV_SW_PNS1_23onesweep_lookback_stateEbbT6_jjT7_P12ihipStream_tbENKUlT_T0_SK_SP_E_clISE_SE_SF_SF_EEDaS13_S14_SK_SP_EUlS13_E_NS1_11comp_targetILNS1_3genE2ELNS1_11target_archE906ELNS1_3gpuE6ELNS1_3repE0EEENS1_47radix_sort_onesweep_sort_config_static_selectorELNS0_4arch9wavefront6targetE1EEEvSK_
		.amdhsa_group_segment_fixed_size 0
		.amdhsa_private_segment_fixed_size 0
		.amdhsa_kernarg_size 88
		.amdhsa_user_sgpr_count 6
		.amdhsa_user_sgpr_private_segment_buffer 1
		.amdhsa_user_sgpr_dispatch_ptr 0
		.amdhsa_user_sgpr_queue_ptr 0
		.amdhsa_user_sgpr_kernarg_segment_ptr 1
		.amdhsa_user_sgpr_dispatch_id 0
		.amdhsa_user_sgpr_flat_scratch_init 0
		.amdhsa_user_sgpr_kernarg_preload_length 0
		.amdhsa_user_sgpr_kernarg_preload_offset 0
		.amdhsa_user_sgpr_private_segment_size 0
		.amdhsa_uses_dynamic_stack 0
		.amdhsa_system_sgpr_private_segment_wavefront_offset 0
		.amdhsa_system_sgpr_workgroup_id_x 1
		.amdhsa_system_sgpr_workgroup_id_y 0
		.amdhsa_system_sgpr_workgroup_id_z 0
		.amdhsa_system_sgpr_workgroup_info 0
		.amdhsa_system_vgpr_workitem_id 0
		.amdhsa_next_free_vgpr 1
		.amdhsa_next_free_sgpr 0
		.amdhsa_accum_offset 4
		.amdhsa_reserve_vcc 0
		.amdhsa_reserve_flat_scratch 0
		.amdhsa_float_round_mode_32 0
		.amdhsa_float_round_mode_16_64 0
		.amdhsa_float_denorm_mode_32 3
		.amdhsa_float_denorm_mode_16_64 3
		.amdhsa_dx10_clamp 1
		.amdhsa_ieee_mode 1
		.amdhsa_fp16_overflow 0
		.amdhsa_tg_split 0
		.amdhsa_exception_fp_ieee_invalid_op 0
		.amdhsa_exception_fp_denorm_src 0
		.amdhsa_exception_fp_ieee_div_zero 0
		.amdhsa_exception_fp_ieee_overflow 0
		.amdhsa_exception_fp_ieee_underflow 0
		.amdhsa_exception_fp_ieee_inexact 0
		.amdhsa_exception_int_div_zero 0
	.end_amdhsa_kernel
	.section	.text._ZN7rocprim17ROCPRIM_400000_NS6detail17trampoline_kernelINS0_14default_configENS1_35radix_sort_onesweep_config_selectorIxNS0_10empty_typeEEEZZNS1_29radix_sort_onesweep_iterationIS3_Lb0EN6thrust23THRUST_200600_302600_NS6detail15normal_iteratorINS9_10device_ptrIxEEEESE_PS5_SF_jNS0_19identity_decomposerENS1_16block_id_wrapperIjLb1EEEEE10hipError_tT1_PNSt15iterator_traitsISK_E10value_typeET2_T3_PNSL_ISQ_E10value_typeET4_T5_PSV_SW_PNS1_23onesweep_lookback_stateEbbT6_jjT7_P12ihipStream_tbENKUlT_T0_SK_SP_E_clISE_SE_SF_SF_EEDaS13_S14_SK_SP_EUlS13_E_NS1_11comp_targetILNS1_3genE2ELNS1_11target_archE906ELNS1_3gpuE6ELNS1_3repE0EEENS1_47radix_sort_onesweep_sort_config_static_selectorELNS0_4arch9wavefront6targetE1EEEvSK_,"axG",@progbits,_ZN7rocprim17ROCPRIM_400000_NS6detail17trampoline_kernelINS0_14default_configENS1_35radix_sort_onesweep_config_selectorIxNS0_10empty_typeEEEZZNS1_29radix_sort_onesweep_iterationIS3_Lb0EN6thrust23THRUST_200600_302600_NS6detail15normal_iteratorINS9_10device_ptrIxEEEESE_PS5_SF_jNS0_19identity_decomposerENS1_16block_id_wrapperIjLb1EEEEE10hipError_tT1_PNSt15iterator_traitsISK_E10value_typeET2_T3_PNSL_ISQ_E10value_typeET4_T5_PSV_SW_PNS1_23onesweep_lookback_stateEbbT6_jjT7_P12ihipStream_tbENKUlT_T0_SK_SP_E_clISE_SE_SF_SF_EEDaS13_S14_SK_SP_EUlS13_E_NS1_11comp_targetILNS1_3genE2ELNS1_11target_archE906ELNS1_3gpuE6ELNS1_3repE0EEENS1_47radix_sort_onesweep_sort_config_static_selectorELNS0_4arch9wavefront6targetE1EEEvSK_,comdat
.Lfunc_end1545:
	.size	_ZN7rocprim17ROCPRIM_400000_NS6detail17trampoline_kernelINS0_14default_configENS1_35radix_sort_onesweep_config_selectorIxNS0_10empty_typeEEEZZNS1_29radix_sort_onesweep_iterationIS3_Lb0EN6thrust23THRUST_200600_302600_NS6detail15normal_iteratorINS9_10device_ptrIxEEEESE_PS5_SF_jNS0_19identity_decomposerENS1_16block_id_wrapperIjLb1EEEEE10hipError_tT1_PNSt15iterator_traitsISK_E10value_typeET2_T3_PNSL_ISQ_E10value_typeET4_T5_PSV_SW_PNS1_23onesweep_lookback_stateEbbT6_jjT7_P12ihipStream_tbENKUlT_T0_SK_SP_E_clISE_SE_SF_SF_EEDaS13_S14_SK_SP_EUlS13_E_NS1_11comp_targetILNS1_3genE2ELNS1_11target_archE906ELNS1_3gpuE6ELNS1_3repE0EEENS1_47radix_sort_onesweep_sort_config_static_selectorELNS0_4arch9wavefront6targetE1EEEvSK_, .Lfunc_end1545-_ZN7rocprim17ROCPRIM_400000_NS6detail17trampoline_kernelINS0_14default_configENS1_35radix_sort_onesweep_config_selectorIxNS0_10empty_typeEEEZZNS1_29radix_sort_onesweep_iterationIS3_Lb0EN6thrust23THRUST_200600_302600_NS6detail15normal_iteratorINS9_10device_ptrIxEEEESE_PS5_SF_jNS0_19identity_decomposerENS1_16block_id_wrapperIjLb1EEEEE10hipError_tT1_PNSt15iterator_traitsISK_E10value_typeET2_T3_PNSL_ISQ_E10value_typeET4_T5_PSV_SW_PNS1_23onesweep_lookback_stateEbbT6_jjT7_P12ihipStream_tbENKUlT_T0_SK_SP_E_clISE_SE_SF_SF_EEDaS13_S14_SK_SP_EUlS13_E_NS1_11comp_targetILNS1_3genE2ELNS1_11target_archE906ELNS1_3gpuE6ELNS1_3repE0EEENS1_47radix_sort_onesweep_sort_config_static_selectorELNS0_4arch9wavefront6targetE1EEEvSK_
                                        ; -- End function
	.section	.AMDGPU.csdata,"",@progbits
; Kernel info:
; codeLenInByte = 0
; NumSgprs: 4
; NumVgprs: 0
; NumAgprs: 0
; TotalNumVgprs: 0
; ScratchSize: 0
; MemoryBound: 0
; FloatMode: 240
; IeeeMode: 1
; LDSByteSize: 0 bytes/workgroup (compile time only)
; SGPRBlocks: 0
; VGPRBlocks: 0
; NumSGPRsForWavesPerEU: 4
; NumVGPRsForWavesPerEU: 1
; AccumOffset: 4
; Occupancy: 8
; WaveLimiterHint : 0
; COMPUTE_PGM_RSRC2:SCRATCH_EN: 0
; COMPUTE_PGM_RSRC2:USER_SGPR: 6
; COMPUTE_PGM_RSRC2:TRAP_HANDLER: 0
; COMPUTE_PGM_RSRC2:TGID_X_EN: 1
; COMPUTE_PGM_RSRC2:TGID_Y_EN: 0
; COMPUTE_PGM_RSRC2:TGID_Z_EN: 0
; COMPUTE_PGM_RSRC2:TIDIG_COMP_CNT: 0
; COMPUTE_PGM_RSRC3_GFX90A:ACCUM_OFFSET: 0
; COMPUTE_PGM_RSRC3_GFX90A:TG_SPLIT: 0
	.section	.text._ZN7rocprim17ROCPRIM_400000_NS6detail17trampoline_kernelINS0_14default_configENS1_35radix_sort_onesweep_config_selectorIxNS0_10empty_typeEEEZZNS1_29radix_sort_onesweep_iterationIS3_Lb0EN6thrust23THRUST_200600_302600_NS6detail15normal_iteratorINS9_10device_ptrIxEEEESE_PS5_SF_jNS0_19identity_decomposerENS1_16block_id_wrapperIjLb1EEEEE10hipError_tT1_PNSt15iterator_traitsISK_E10value_typeET2_T3_PNSL_ISQ_E10value_typeET4_T5_PSV_SW_PNS1_23onesweep_lookback_stateEbbT6_jjT7_P12ihipStream_tbENKUlT_T0_SK_SP_E_clISE_SE_SF_SF_EEDaS13_S14_SK_SP_EUlS13_E_NS1_11comp_targetILNS1_3genE4ELNS1_11target_archE910ELNS1_3gpuE8ELNS1_3repE0EEENS1_47radix_sort_onesweep_sort_config_static_selectorELNS0_4arch9wavefront6targetE1EEEvSK_,"axG",@progbits,_ZN7rocprim17ROCPRIM_400000_NS6detail17trampoline_kernelINS0_14default_configENS1_35radix_sort_onesweep_config_selectorIxNS0_10empty_typeEEEZZNS1_29radix_sort_onesweep_iterationIS3_Lb0EN6thrust23THRUST_200600_302600_NS6detail15normal_iteratorINS9_10device_ptrIxEEEESE_PS5_SF_jNS0_19identity_decomposerENS1_16block_id_wrapperIjLb1EEEEE10hipError_tT1_PNSt15iterator_traitsISK_E10value_typeET2_T3_PNSL_ISQ_E10value_typeET4_T5_PSV_SW_PNS1_23onesweep_lookback_stateEbbT6_jjT7_P12ihipStream_tbENKUlT_T0_SK_SP_E_clISE_SE_SF_SF_EEDaS13_S14_SK_SP_EUlS13_E_NS1_11comp_targetILNS1_3genE4ELNS1_11target_archE910ELNS1_3gpuE8ELNS1_3repE0EEENS1_47radix_sort_onesweep_sort_config_static_selectorELNS0_4arch9wavefront6targetE1EEEvSK_,comdat
	.protected	_ZN7rocprim17ROCPRIM_400000_NS6detail17trampoline_kernelINS0_14default_configENS1_35radix_sort_onesweep_config_selectorIxNS0_10empty_typeEEEZZNS1_29radix_sort_onesweep_iterationIS3_Lb0EN6thrust23THRUST_200600_302600_NS6detail15normal_iteratorINS9_10device_ptrIxEEEESE_PS5_SF_jNS0_19identity_decomposerENS1_16block_id_wrapperIjLb1EEEEE10hipError_tT1_PNSt15iterator_traitsISK_E10value_typeET2_T3_PNSL_ISQ_E10value_typeET4_T5_PSV_SW_PNS1_23onesweep_lookback_stateEbbT6_jjT7_P12ihipStream_tbENKUlT_T0_SK_SP_E_clISE_SE_SF_SF_EEDaS13_S14_SK_SP_EUlS13_E_NS1_11comp_targetILNS1_3genE4ELNS1_11target_archE910ELNS1_3gpuE8ELNS1_3repE0EEENS1_47radix_sort_onesweep_sort_config_static_selectorELNS0_4arch9wavefront6targetE1EEEvSK_ ; -- Begin function _ZN7rocprim17ROCPRIM_400000_NS6detail17trampoline_kernelINS0_14default_configENS1_35radix_sort_onesweep_config_selectorIxNS0_10empty_typeEEEZZNS1_29radix_sort_onesweep_iterationIS3_Lb0EN6thrust23THRUST_200600_302600_NS6detail15normal_iteratorINS9_10device_ptrIxEEEESE_PS5_SF_jNS0_19identity_decomposerENS1_16block_id_wrapperIjLb1EEEEE10hipError_tT1_PNSt15iterator_traitsISK_E10value_typeET2_T3_PNSL_ISQ_E10value_typeET4_T5_PSV_SW_PNS1_23onesweep_lookback_stateEbbT6_jjT7_P12ihipStream_tbENKUlT_T0_SK_SP_E_clISE_SE_SF_SF_EEDaS13_S14_SK_SP_EUlS13_E_NS1_11comp_targetILNS1_3genE4ELNS1_11target_archE910ELNS1_3gpuE8ELNS1_3repE0EEENS1_47radix_sort_onesweep_sort_config_static_selectorELNS0_4arch9wavefront6targetE1EEEvSK_
	.globl	_ZN7rocprim17ROCPRIM_400000_NS6detail17trampoline_kernelINS0_14default_configENS1_35radix_sort_onesweep_config_selectorIxNS0_10empty_typeEEEZZNS1_29radix_sort_onesweep_iterationIS3_Lb0EN6thrust23THRUST_200600_302600_NS6detail15normal_iteratorINS9_10device_ptrIxEEEESE_PS5_SF_jNS0_19identity_decomposerENS1_16block_id_wrapperIjLb1EEEEE10hipError_tT1_PNSt15iterator_traitsISK_E10value_typeET2_T3_PNSL_ISQ_E10value_typeET4_T5_PSV_SW_PNS1_23onesweep_lookback_stateEbbT6_jjT7_P12ihipStream_tbENKUlT_T0_SK_SP_E_clISE_SE_SF_SF_EEDaS13_S14_SK_SP_EUlS13_E_NS1_11comp_targetILNS1_3genE4ELNS1_11target_archE910ELNS1_3gpuE8ELNS1_3repE0EEENS1_47radix_sort_onesweep_sort_config_static_selectorELNS0_4arch9wavefront6targetE1EEEvSK_
	.p2align	8
	.type	_ZN7rocprim17ROCPRIM_400000_NS6detail17trampoline_kernelINS0_14default_configENS1_35radix_sort_onesweep_config_selectorIxNS0_10empty_typeEEEZZNS1_29radix_sort_onesweep_iterationIS3_Lb0EN6thrust23THRUST_200600_302600_NS6detail15normal_iteratorINS9_10device_ptrIxEEEESE_PS5_SF_jNS0_19identity_decomposerENS1_16block_id_wrapperIjLb1EEEEE10hipError_tT1_PNSt15iterator_traitsISK_E10value_typeET2_T3_PNSL_ISQ_E10value_typeET4_T5_PSV_SW_PNS1_23onesweep_lookback_stateEbbT6_jjT7_P12ihipStream_tbENKUlT_T0_SK_SP_E_clISE_SE_SF_SF_EEDaS13_S14_SK_SP_EUlS13_E_NS1_11comp_targetILNS1_3genE4ELNS1_11target_archE910ELNS1_3gpuE8ELNS1_3repE0EEENS1_47radix_sort_onesweep_sort_config_static_selectorELNS0_4arch9wavefront6targetE1EEEvSK_,@function
_ZN7rocprim17ROCPRIM_400000_NS6detail17trampoline_kernelINS0_14default_configENS1_35radix_sort_onesweep_config_selectorIxNS0_10empty_typeEEEZZNS1_29radix_sort_onesweep_iterationIS3_Lb0EN6thrust23THRUST_200600_302600_NS6detail15normal_iteratorINS9_10device_ptrIxEEEESE_PS5_SF_jNS0_19identity_decomposerENS1_16block_id_wrapperIjLb1EEEEE10hipError_tT1_PNSt15iterator_traitsISK_E10value_typeET2_T3_PNSL_ISQ_E10value_typeET4_T5_PSV_SW_PNS1_23onesweep_lookback_stateEbbT6_jjT7_P12ihipStream_tbENKUlT_T0_SK_SP_E_clISE_SE_SF_SF_EEDaS13_S14_SK_SP_EUlS13_E_NS1_11comp_targetILNS1_3genE4ELNS1_11target_archE910ELNS1_3gpuE8ELNS1_3repE0EEENS1_47radix_sort_onesweep_sort_config_static_selectorELNS0_4arch9wavefront6targetE1EEEvSK_: ; @_ZN7rocprim17ROCPRIM_400000_NS6detail17trampoline_kernelINS0_14default_configENS1_35radix_sort_onesweep_config_selectorIxNS0_10empty_typeEEEZZNS1_29radix_sort_onesweep_iterationIS3_Lb0EN6thrust23THRUST_200600_302600_NS6detail15normal_iteratorINS9_10device_ptrIxEEEESE_PS5_SF_jNS0_19identity_decomposerENS1_16block_id_wrapperIjLb1EEEEE10hipError_tT1_PNSt15iterator_traitsISK_E10value_typeET2_T3_PNSL_ISQ_E10value_typeET4_T5_PSV_SW_PNS1_23onesweep_lookback_stateEbbT6_jjT7_P12ihipStream_tbENKUlT_T0_SK_SP_E_clISE_SE_SF_SF_EEDaS13_S14_SK_SP_EUlS13_E_NS1_11comp_targetILNS1_3genE4ELNS1_11target_archE910ELNS1_3gpuE8ELNS1_3repE0EEENS1_47radix_sort_onesweep_sort_config_static_selectorELNS0_4arch9wavefront6targetE1EEEvSK_
; %bb.0:
	s_load_dwordx4 s[16:19], s[4:5], 0x28
	s_load_dwordx2 s[14:15], s[4:5], 0x38
	s_load_dwordx4 s[20:23], s[4:5], 0x44
	v_and_b32_e32 v2, 0x3ff, v0
	v_cmp_eq_u32_e64 s[0:1], 0, v2
	s_and_saveexec_b64 s[2:3], s[0:1]
	s_cbranch_execz .LBB1546_4
; %bb.1:
	s_mov_b64 s[10:11], exec
	v_mbcnt_lo_u32_b32 v1, s10, 0
	v_mbcnt_hi_u32_b32 v1, s11, v1
	v_cmp_eq_u32_e32 vcc, 0, v1
                                        ; implicit-def: $vgpr3
	s_and_saveexec_b64 s[8:9], vcc
	s_cbranch_execz .LBB1546_3
; %bb.2:
	s_load_dwordx2 s[12:13], s[4:5], 0x50
	s_bcnt1_i32_b64 s7, s[10:11]
	v_mov_b32_e32 v3, 0
	v_mov_b32_e32 v4, s7
	s_waitcnt lgkmcnt(0)
	global_atomic_add v3, v3, v4, s[12:13] glc
.LBB1546_3:
	s_or_b64 exec, exec, s[8:9]
	s_waitcnt vmcnt(0)
	v_readfirstlane_b32 s7, v3
	v_add_u32_e32 v1, s7, v1
	v_mov_b32_e32 v3, 0
	ds_write_b32 v3, v1 offset:20544
.LBB1546_4:
	s_or_b64 exec, exec, s[2:3]
	v_mov_b32_e32 v1, 0
	s_load_dwordx4 s[24:27], s[4:5], 0x0
	s_load_dword s2, s[4:5], 0x20
	s_waitcnt lgkmcnt(0)
	s_barrier
	ds_read_b32 v1, v1 offset:20544
	v_lshlrev_b32_e32 v3, 3, v2
	s_waitcnt lgkmcnt(0)
	s_barrier
	v_cmp_le_u32_e32 vcc, s22, v1
	v_readfirstlane_b32 s28, v1
	v_mbcnt_lo_u32_b32 v1, -1, 0
	s_cbranch_vccz .LBB1546_63
; %bb.5:
	s_lshl_b32 s3, s22, 13
	s_sub_i32 s7, s2, s3
	s_lshl_b32 s2, s28, 13
	s_mov_b32 s3, 0
	s_lshl_b64 s[2:3], s[2:3], 3
	v_mbcnt_hi_u32_b32 v24, -1, v1
	s_add_u32 s8, s24, s2
	v_and_b32_e32 v4, 63, v24
	s_addc_u32 s9, s25, s3
	v_lshlrev_b32_e32 v6, 3, v4
	v_and_b32_e32 v5, 0x1e00, v3
	v_mov_b32_e32 v7, s9
	v_add_co_u32_e32 v6, vcc, s8, v6
	v_addc_co_u32_e32 v7, vcc, 0, v7, vcc
	v_lshlrev_b32_e32 v8, 3, v5
	s_mov_b32 s2, -1
	v_add_co_u32_e32 v20, vcc, v6, v8
	s_brev_b32 s3, -2
	v_addc_co_u32_e32 v21, vcc, 0, v7, vcc
	v_or_b32_e32 v18, v4, v5
	v_cmp_gt_u32_e32 vcc, s7, v18
	v_pk_mov_b32 v[4:5], s[2:3], s[2:3] op_sel:[0,1]
	s_and_saveexec_b64 s[8:9], vcc
	s_cbranch_execz .LBB1546_7
; %bb.6:
	global_load_dwordx2 v[4:5], v[20:21], off
.LBB1546_7:
	s_or_b64 exec, exec, s[8:9]
	v_or_b32_e32 v6, 64, v18
	v_cmp_gt_u32_e32 vcc, s7, v6
	v_pk_mov_b32 v[6:7], s[2:3], s[2:3] op_sel:[0,1]
	s_and_saveexec_b64 s[2:3], vcc
	s_cbranch_execz .LBB1546_9
; %bb.8:
	global_load_dwordx2 v[6:7], v[20:21], off offset:512
.LBB1546_9:
	s_or_b64 exec, exec, s[2:3]
	s_mov_b32 s2, -1
	v_or_b32_e32 v8, 0x80, v18
	s_brev_b32 s3, -2
	v_cmp_gt_u32_e32 vcc, s7, v8
	v_pk_mov_b32 v[8:9], s[2:3], s[2:3] op_sel:[0,1]
	s_and_saveexec_b64 s[8:9], vcc
	s_cbranch_execz .LBB1546_11
; %bb.10:
	global_load_dwordx2 v[8:9], v[20:21], off offset:1024
.LBB1546_11:
	s_or_b64 exec, exec, s[8:9]
	v_or_b32_e32 v10, 0xc0, v18
	v_cmp_gt_u32_e32 vcc, s7, v10
	v_pk_mov_b32 v[10:11], s[2:3], s[2:3] op_sel:[0,1]
	s_and_saveexec_b64 s[2:3], vcc
	s_cbranch_execz .LBB1546_13
; %bb.12:
	global_load_dwordx2 v[10:11], v[20:21], off offset:1536
.LBB1546_13:
	s_or_b64 exec, exec, s[2:3]
	s_mov_b32 s2, -1
	v_or_b32_e32 v12, 0x100, v18
	s_brev_b32 s3, -2
	v_cmp_gt_u32_e32 vcc, s7, v12
	v_pk_mov_b32 v[12:13], s[2:3], s[2:3] op_sel:[0,1]
	s_and_saveexec_b64 s[8:9], vcc
	s_cbranch_execz .LBB1546_15
; %bb.14:
	global_load_dwordx2 v[12:13], v[20:21], off offset:2048
.LBB1546_15:
	;; [unrolled: 20-line block ×3, first 2 shown]
	s_or_b64 exec, exec, s[8:9]
	v_or_b32_e32 v18, 0x1c0, v18
	v_cmp_gt_u32_e32 vcc, s7, v18
	v_pk_mov_b32 v[18:19], s[2:3], s[2:3] op_sel:[0,1]
	s_and_saveexec_b64 s[2:3], vcc
	s_cbranch_execz .LBB1546_21
; %bb.20:
	global_load_dwordx2 v[18:19], v[20:21], off offset:3584
.LBB1546_21:
	s_or_b64 exec, exec, s[2:3]
	s_load_dword s2, s[4:5], 0x64
	s_load_dword s29, s[4:5], 0x58
	s_add_u32 s3, s4, 0x58
	s_addc_u32 s8, s5, 0
	v_mov_b32_e32 v20, 0
	s_waitcnt lgkmcnt(0)
	s_lshr_b32 s9, s2, 16
	s_cmp_lt_u32 s6, s29
	s_cselect_b32 s2, 12, 18
	s_add_u32 s2, s3, s2
	s_addc_u32 s3, s8, 0
	global_load_ushort v26, v20, s[2:3]
	s_waitcnt vmcnt(1)
	v_xor_b32_e32 v5, 0x80000000, v5
	v_mul_u32_u24_e32 v22, 5, v2
	s_lshl_b32 s2, -1, s21
	v_lshlrev_b32_e32 v25, 2, v22
	v_lshrrev_b64 v[22:23], s20, v[4:5]
	s_not_b32 s30, s2
	v_and_b32_e32 v22, s30, v22
	v_and_b32_e32 v28, 1, v22
	v_bfe_u32 v21, v0, 10, 10
	v_bfe_u32 v27, v0, 20, 10
	v_add_co_u32_e32 v29, vcc, -1, v28
	v_mad_u32_u24 v23, v27, s9, v21
	v_lshlrev_b32_e32 v21, 30, v22
	v_addc_co_u32_e64 v30, s[2:3], 0, -1, vcc
	v_cmp_ne_u32_e32 vcc, 0, v28
	v_cmp_gt_i64_e64 s[2:3], 0, v[20:21]
	v_not_b32_e32 v28, v21
	v_lshlrev_b32_e32 v21, 29, v22
	v_xor_b32_e32 v30, vcc_hi, v30
	v_xor_b32_e32 v29, vcc_lo, v29
	v_ashrrev_i32_e32 v28, 31, v28
	v_cmp_gt_i64_e32 vcc, 0, v[20:21]
	v_not_b32_e32 v31, v21
	v_lshlrev_b32_e32 v21, 28, v22
	v_and_b32_e32 v30, exec_hi, v30
	v_and_b32_e32 v29, exec_lo, v29
	v_xor_b32_e32 v32, s3, v28
	v_xor_b32_e32 v28, s2, v28
	v_ashrrev_i32_e32 v31, 31, v31
	v_cmp_gt_i64_e64 s[2:3], 0, v[20:21]
	v_not_b32_e32 v33, v21
	v_lshlrev_b32_e32 v21, 27, v22
	v_and_b32_e32 v30, v30, v32
	v_and_b32_e32 v28, v29, v28
	v_xor_b32_e32 v29, vcc_hi, v31
	v_xor_b32_e32 v31, vcc_lo, v31
	v_ashrrev_i32_e32 v32, 31, v33
	v_cmp_gt_i64_e32 vcc, 0, v[20:21]
	v_not_b32_e32 v33, v21
	v_lshlrev_b32_e32 v21, 26, v22
	v_and_b32_e32 v29, v30, v29
	v_and_b32_e32 v28, v28, v31
	v_xor_b32_e32 v30, s3, v32
	v_xor_b32_e32 v31, s2, v32
	v_ashrrev_i32_e32 v32, 31, v33
	v_cmp_gt_i64_e64 s[2:3], 0, v[20:21]
	v_not_b32_e32 v33, v21
	v_lshlrev_b32_e32 v21, 25, v22
	v_and_b32_e32 v29, v29, v30
	v_and_b32_e32 v28, v28, v31
	v_xor_b32_e32 v30, vcc_hi, v32
	v_xor_b32_e32 v31, vcc_lo, v32
	v_ashrrev_i32_e32 v32, 31, v33
	v_not_b32_e32 v33, v21
	v_lshl_add_u32 v27, v22, 4, v22
	v_cmp_gt_i64_e32 vcc, 0, v[20:21]
	v_lshlrev_b32_e32 v21, 24, v22
	v_and_b32_e32 v22, v29, v30
	v_and_b32_e32 v28, v28, v31
	v_xor_b32_e32 v29, s3, v32
	v_ashrrev_i32_e32 v31, 31, v33
	v_xor_b32_e32 v30, s2, v32
	v_cmp_gt_i64_e64 s[2:3], 0, v[20:21]
	v_not_b32_e32 v21, v21
	v_and_b32_e32 v22, v22, v29
	v_xor_b32_e32 v29, vcc_hi, v31
	v_and_b32_e32 v28, v28, v30
	v_xor_b32_e32 v30, vcc_lo, v31
	v_and_b32_e32 v29, v22, v29
	v_ashrrev_i32_e32 v21, 31, v21
	v_and_b32_e32 v28, v28, v30
	ds_write2_b32 v25, v20, v20 offset0:16 offset1:17
	ds_write2_b32 v25, v20, v20 offset0:18 offset1:19
	ds_write_b32 v25, v20 offset:80
	s_waitcnt lgkmcnt(0)
	s_barrier
	s_waitcnt lgkmcnt(0)
	; wave barrier
	s_waitcnt vmcnt(0)
	v_mad_u64_u32 v[22:23], s[8:9], v23, v26, v[2:3]
	v_lshrrev_b32_e32 v37, 6, v22
	v_xor_b32_e32 v22, s3, v21
	v_xor_b32_e32 v21, s2, v21
	v_and_b32_e32 v23, v29, v22
	v_and_b32_e32 v22, v28, v21
	v_mbcnt_lo_u32_b32 v21, v22, 0
	v_mbcnt_hi_u32_b32 v26, v23, v21
	v_cmp_eq_u32_e32 vcc, 0, v26
	v_cmp_ne_u64_e64 s[2:3], 0, v[22:23]
	v_add_lshl_u32 v30, v37, v27, 2
	s_and_b64 s[8:9], s[2:3], vcc
	s_and_saveexec_b64 s[2:3], s[8:9]
	s_cbranch_execz .LBB1546_23
; %bb.22:
	v_bcnt_u32_b32 v21, v22, 0
	v_bcnt_u32_b32 v21, v23, v21
	ds_write_b32 v30, v21 offset:64
.LBB1546_23:
	s_or_b64 exec, exec, s[2:3]
	v_xor_b32_e32 v7, 0x80000000, v7
	v_lshrrev_b64 v[22:23], s20, v[6:7]
	v_and_b32_e32 v22, s30, v22
	v_lshl_add_u32 v21, v22, 4, v22
	v_add_lshl_u32 v31, v37, v21, 2
	v_and_b32_e32 v21, 1, v22
	v_add_co_u32_e32 v23, vcc, -1, v21
	v_addc_co_u32_e64 v28, s[2:3], 0, -1, vcc
	v_cmp_ne_u32_e32 vcc, 0, v21
	v_xor_b32_e32 v21, vcc_hi, v28
	v_and_b32_e32 v28, exec_hi, v21
	v_lshlrev_b32_e32 v21, 30, v22
	v_xor_b32_e32 v23, vcc_lo, v23
	v_cmp_gt_i64_e32 vcc, 0, v[20:21]
	v_not_b32_e32 v21, v21
	v_ashrrev_i32_e32 v21, 31, v21
	v_and_b32_e32 v23, exec_lo, v23
	v_xor_b32_e32 v29, vcc_hi, v21
	v_xor_b32_e32 v21, vcc_lo, v21
	v_and_b32_e32 v23, v23, v21
	v_lshlrev_b32_e32 v21, 29, v22
	v_cmp_gt_i64_e32 vcc, 0, v[20:21]
	v_not_b32_e32 v21, v21
	v_ashrrev_i32_e32 v21, 31, v21
	v_and_b32_e32 v28, v28, v29
	v_xor_b32_e32 v29, vcc_hi, v21
	v_xor_b32_e32 v21, vcc_lo, v21
	v_and_b32_e32 v23, v23, v21
	v_lshlrev_b32_e32 v21, 28, v22
	v_cmp_gt_i64_e32 vcc, 0, v[20:21]
	v_not_b32_e32 v21, v21
	v_ashrrev_i32_e32 v21, 31, v21
	v_and_b32_e32 v28, v28, v29
	;; [unrolled: 8-line block ×5, first 2 shown]
	v_xor_b32_e32 v29, vcc_hi, v21
	v_xor_b32_e32 v21, vcc_lo, v21
	v_and_b32_e32 v23, v23, v21
	v_lshlrev_b32_e32 v21, 24, v22
	v_cmp_gt_i64_e32 vcc, 0, v[20:21]
	v_not_b32_e32 v20, v21
	v_ashrrev_i32_e32 v20, 31, v20
	v_xor_b32_e32 v21, vcc_hi, v20
	v_xor_b32_e32 v20, vcc_lo, v20
	; wave barrier
	ds_read_b32 v27, v31 offset:64
	v_and_b32_e32 v28, v28, v29
	v_and_b32_e32 v20, v23, v20
	;; [unrolled: 1-line block ×3, first 2 shown]
	v_mbcnt_lo_u32_b32 v22, v20, 0
	v_mbcnt_hi_u32_b32 v28, v21, v22
	v_cmp_eq_u32_e32 vcc, 0, v28
	v_cmp_ne_u64_e64 s[2:3], 0, v[20:21]
	s_and_b64 s[8:9], s[2:3], vcc
	; wave barrier
	s_and_saveexec_b64 s[2:3], s[8:9]
	s_cbranch_execz .LBB1546_25
; %bb.24:
	v_bcnt_u32_b32 v20, v20, 0
	v_bcnt_u32_b32 v20, v21, v20
	s_waitcnt lgkmcnt(0)
	v_add_u32_e32 v20, v27, v20
	ds_write_b32 v31, v20 offset:64
.LBB1546_25:
	s_or_b64 exec, exec, s[2:3]
	v_xor_b32_e32 v9, 0x80000000, v9
	v_lshrrev_b64 v[20:21], s20, v[8:9]
	v_and_b32_e32 v22, s30, v20
	v_and_b32_e32 v21, 1, v22
	v_add_co_u32_e32 v23, vcc, -1, v21
	v_addc_co_u32_e64 v32, s[2:3], 0, -1, vcc
	v_cmp_ne_u32_e32 vcc, 0, v21
	v_lshl_add_u32 v20, v22, 4, v22
	v_xor_b32_e32 v21, vcc_hi, v32
	v_add_lshl_u32 v34, v37, v20, 2
	v_mov_b32_e32 v20, 0
	v_and_b32_e32 v32, exec_hi, v21
	v_lshlrev_b32_e32 v21, 30, v22
	v_xor_b32_e32 v23, vcc_lo, v23
	v_cmp_gt_i64_e32 vcc, 0, v[20:21]
	v_not_b32_e32 v21, v21
	v_ashrrev_i32_e32 v21, 31, v21
	v_and_b32_e32 v23, exec_lo, v23
	v_xor_b32_e32 v33, vcc_hi, v21
	v_xor_b32_e32 v21, vcc_lo, v21
	v_and_b32_e32 v23, v23, v21
	v_lshlrev_b32_e32 v21, 29, v22
	v_cmp_gt_i64_e32 vcc, 0, v[20:21]
	v_not_b32_e32 v21, v21
	v_ashrrev_i32_e32 v21, 31, v21
	v_and_b32_e32 v32, v32, v33
	v_xor_b32_e32 v33, vcc_hi, v21
	v_xor_b32_e32 v21, vcc_lo, v21
	v_and_b32_e32 v23, v23, v21
	v_lshlrev_b32_e32 v21, 28, v22
	v_cmp_gt_i64_e32 vcc, 0, v[20:21]
	v_not_b32_e32 v21, v21
	v_ashrrev_i32_e32 v21, 31, v21
	v_and_b32_e32 v32, v32, v33
	;; [unrolled: 8-line block ×5, first 2 shown]
	v_xor_b32_e32 v33, vcc_hi, v21
	v_xor_b32_e32 v21, vcc_lo, v21
	v_and_b32_e32 v32, v32, v33
	v_and_b32_e32 v33, v23, v21
	v_lshlrev_b32_e32 v21, 24, v22
	v_cmp_gt_i64_e32 vcc, 0, v[20:21]
	v_not_b32_e32 v21, v21
	v_ashrrev_i32_e32 v21, 31, v21
	v_xor_b32_e32 v22, vcc_hi, v21
	v_xor_b32_e32 v21, vcc_lo, v21
	; wave barrier
	ds_read_b32 v29, v34 offset:64
	v_and_b32_e32 v23, v32, v22
	v_and_b32_e32 v22, v33, v21
	v_mbcnt_lo_u32_b32 v21, v22, 0
	v_mbcnt_hi_u32_b32 v32, v23, v21
	v_cmp_eq_u32_e32 vcc, 0, v32
	v_cmp_ne_u64_e64 s[2:3], 0, v[22:23]
	s_and_b64 s[8:9], s[2:3], vcc
	; wave barrier
	s_and_saveexec_b64 s[2:3], s[8:9]
	s_cbranch_execz .LBB1546_27
; %bb.26:
	v_bcnt_u32_b32 v21, v22, 0
	v_bcnt_u32_b32 v21, v23, v21
	s_waitcnt lgkmcnt(0)
	v_add_u32_e32 v21, v29, v21
	ds_write_b32 v34, v21 offset:64
.LBB1546_27:
	s_or_b64 exec, exec, s[2:3]
	v_xor_b32_e32 v11, 0x80000000, v11
	v_lshrrev_b64 v[22:23], s20, v[10:11]
	v_and_b32_e32 v22, s30, v22
	v_lshl_add_u32 v21, v22, 4, v22
	v_add_lshl_u32 v38, v37, v21, 2
	v_and_b32_e32 v21, 1, v22
	v_add_co_u32_e32 v23, vcc, -1, v21
	v_addc_co_u32_e64 v35, s[2:3], 0, -1, vcc
	v_cmp_ne_u32_e32 vcc, 0, v21
	v_xor_b32_e32 v21, vcc_hi, v35
	v_and_b32_e32 v35, exec_hi, v21
	v_lshlrev_b32_e32 v21, 30, v22
	v_xor_b32_e32 v23, vcc_lo, v23
	v_cmp_gt_i64_e32 vcc, 0, v[20:21]
	v_not_b32_e32 v21, v21
	v_ashrrev_i32_e32 v21, 31, v21
	v_and_b32_e32 v23, exec_lo, v23
	v_xor_b32_e32 v36, vcc_hi, v21
	v_xor_b32_e32 v21, vcc_lo, v21
	v_and_b32_e32 v23, v23, v21
	v_lshlrev_b32_e32 v21, 29, v22
	v_cmp_gt_i64_e32 vcc, 0, v[20:21]
	v_not_b32_e32 v21, v21
	v_ashrrev_i32_e32 v21, 31, v21
	v_and_b32_e32 v35, v35, v36
	v_xor_b32_e32 v36, vcc_hi, v21
	v_xor_b32_e32 v21, vcc_lo, v21
	v_and_b32_e32 v23, v23, v21
	v_lshlrev_b32_e32 v21, 28, v22
	v_cmp_gt_i64_e32 vcc, 0, v[20:21]
	v_not_b32_e32 v21, v21
	v_ashrrev_i32_e32 v21, 31, v21
	v_and_b32_e32 v35, v35, v36
	;; [unrolled: 8-line block ×5, first 2 shown]
	v_xor_b32_e32 v36, vcc_hi, v21
	v_xor_b32_e32 v21, vcc_lo, v21
	v_and_b32_e32 v23, v23, v21
	v_lshlrev_b32_e32 v21, 24, v22
	v_cmp_gt_i64_e32 vcc, 0, v[20:21]
	v_not_b32_e32 v20, v21
	v_ashrrev_i32_e32 v20, 31, v20
	v_xor_b32_e32 v21, vcc_hi, v20
	v_xor_b32_e32 v20, vcc_lo, v20
	; wave barrier
	ds_read_b32 v33, v38 offset:64
	v_and_b32_e32 v35, v35, v36
	v_and_b32_e32 v20, v23, v20
	;; [unrolled: 1-line block ×3, first 2 shown]
	v_mbcnt_lo_u32_b32 v22, v20, 0
	v_mbcnt_hi_u32_b32 v35, v21, v22
	v_cmp_eq_u32_e32 vcc, 0, v35
	v_cmp_ne_u64_e64 s[2:3], 0, v[20:21]
	s_and_b64 s[8:9], s[2:3], vcc
	; wave barrier
	s_and_saveexec_b64 s[2:3], s[8:9]
	s_cbranch_execz .LBB1546_29
; %bb.28:
	v_bcnt_u32_b32 v20, v20, 0
	v_bcnt_u32_b32 v20, v21, v20
	s_waitcnt lgkmcnt(0)
	v_add_u32_e32 v20, v33, v20
	ds_write_b32 v38, v20 offset:64
.LBB1546_29:
	s_or_b64 exec, exec, s[2:3]
	v_xor_b32_e32 v13, 0x80000000, v13
	v_lshrrev_b64 v[20:21], s20, v[12:13]
	v_and_b32_e32 v22, s30, v20
	v_and_b32_e32 v21, 1, v22
	v_add_co_u32_e32 v23, vcc, -1, v21
	v_addc_co_u32_e64 v39, s[2:3], 0, -1, vcc
	v_cmp_ne_u32_e32 vcc, 0, v21
	v_lshl_add_u32 v20, v22, 4, v22
	v_xor_b32_e32 v21, vcc_hi, v39
	v_add_lshl_u32 v41, v37, v20, 2
	v_mov_b32_e32 v20, 0
	v_and_b32_e32 v39, exec_hi, v21
	v_lshlrev_b32_e32 v21, 30, v22
	v_xor_b32_e32 v23, vcc_lo, v23
	v_cmp_gt_i64_e32 vcc, 0, v[20:21]
	v_not_b32_e32 v21, v21
	v_ashrrev_i32_e32 v21, 31, v21
	v_and_b32_e32 v23, exec_lo, v23
	v_xor_b32_e32 v40, vcc_hi, v21
	v_xor_b32_e32 v21, vcc_lo, v21
	v_and_b32_e32 v23, v23, v21
	v_lshlrev_b32_e32 v21, 29, v22
	v_cmp_gt_i64_e32 vcc, 0, v[20:21]
	v_not_b32_e32 v21, v21
	v_ashrrev_i32_e32 v21, 31, v21
	v_and_b32_e32 v39, v39, v40
	v_xor_b32_e32 v40, vcc_hi, v21
	v_xor_b32_e32 v21, vcc_lo, v21
	v_and_b32_e32 v23, v23, v21
	v_lshlrev_b32_e32 v21, 28, v22
	v_cmp_gt_i64_e32 vcc, 0, v[20:21]
	v_not_b32_e32 v21, v21
	v_ashrrev_i32_e32 v21, 31, v21
	v_and_b32_e32 v39, v39, v40
	;; [unrolled: 8-line block ×5, first 2 shown]
	v_xor_b32_e32 v40, vcc_hi, v21
	v_xor_b32_e32 v21, vcc_lo, v21
	v_and_b32_e32 v39, v39, v40
	v_and_b32_e32 v40, v23, v21
	v_lshlrev_b32_e32 v21, 24, v22
	v_cmp_gt_i64_e32 vcc, 0, v[20:21]
	v_not_b32_e32 v21, v21
	v_ashrrev_i32_e32 v21, 31, v21
	v_xor_b32_e32 v22, vcc_hi, v21
	v_xor_b32_e32 v21, vcc_lo, v21
	; wave barrier
	ds_read_b32 v36, v41 offset:64
	v_and_b32_e32 v23, v39, v22
	v_and_b32_e32 v22, v40, v21
	v_mbcnt_lo_u32_b32 v21, v22, 0
	v_mbcnt_hi_u32_b32 v39, v23, v21
	v_cmp_eq_u32_e32 vcc, 0, v39
	v_cmp_ne_u64_e64 s[2:3], 0, v[22:23]
	s_and_b64 s[8:9], s[2:3], vcc
	; wave barrier
	s_and_saveexec_b64 s[2:3], s[8:9]
	s_cbranch_execz .LBB1546_31
; %bb.30:
	v_bcnt_u32_b32 v21, v22, 0
	v_bcnt_u32_b32 v21, v23, v21
	s_waitcnt lgkmcnt(0)
	v_add_u32_e32 v21, v36, v21
	ds_write_b32 v41, v21 offset:64
.LBB1546_31:
	s_or_b64 exec, exec, s[2:3]
	v_xor_b32_e32 v15, 0x80000000, v15
	v_lshrrev_b64 v[22:23], s20, v[14:15]
	v_and_b32_e32 v22, s30, v22
	v_lshl_add_u32 v21, v22, 4, v22
	v_add_lshl_u32 v44, v37, v21, 2
	v_and_b32_e32 v21, 1, v22
	v_add_co_u32_e32 v23, vcc, -1, v21
	v_addc_co_u32_e64 v42, s[2:3], 0, -1, vcc
	v_cmp_ne_u32_e32 vcc, 0, v21
	v_xor_b32_e32 v21, vcc_hi, v42
	v_and_b32_e32 v42, exec_hi, v21
	v_lshlrev_b32_e32 v21, 30, v22
	v_xor_b32_e32 v23, vcc_lo, v23
	v_cmp_gt_i64_e32 vcc, 0, v[20:21]
	v_not_b32_e32 v21, v21
	v_ashrrev_i32_e32 v21, 31, v21
	v_and_b32_e32 v23, exec_lo, v23
	v_xor_b32_e32 v43, vcc_hi, v21
	v_xor_b32_e32 v21, vcc_lo, v21
	v_and_b32_e32 v23, v23, v21
	v_lshlrev_b32_e32 v21, 29, v22
	v_cmp_gt_i64_e32 vcc, 0, v[20:21]
	v_not_b32_e32 v21, v21
	v_ashrrev_i32_e32 v21, 31, v21
	v_and_b32_e32 v42, v42, v43
	v_xor_b32_e32 v43, vcc_hi, v21
	v_xor_b32_e32 v21, vcc_lo, v21
	v_and_b32_e32 v23, v23, v21
	v_lshlrev_b32_e32 v21, 28, v22
	v_cmp_gt_i64_e32 vcc, 0, v[20:21]
	v_not_b32_e32 v21, v21
	v_ashrrev_i32_e32 v21, 31, v21
	v_and_b32_e32 v42, v42, v43
	;; [unrolled: 8-line block ×5, first 2 shown]
	v_xor_b32_e32 v43, vcc_hi, v21
	v_xor_b32_e32 v21, vcc_lo, v21
	v_and_b32_e32 v23, v23, v21
	v_lshlrev_b32_e32 v21, 24, v22
	v_cmp_gt_i64_e32 vcc, 0, v[20:21]
	v_not_b32_e32 v20, v21
	v_ashrrev_i32_e32 v20, 31, v20
	v_xor_b32_e32 v21, vcc_hi, v20
	v_xor_b32_e32 v20, vcc_lo, v20
	; wave barrier
	ds_read_b32 v40, v44 offset:64
	v_and_b32_e32 v42, v42, v43
	v_and_b32_e32 v20, v23, v20
	;; [unrolled: 1-line block ×3, first 2 shown]
	v_mbcnt_lo_u32_b32 v22, v20, 0
	v_mbcnt_hi_u32_b32 v42, v21, v22
	v_cmp_eq_u32_e32 vcc, 0, v42
	v_cmp_ne_u64_e64 s[2:3], 0, v[20:21]
	s_and_b64 s[8:9], s[2:3], vcc
	; wave barrier
	s_and_saveexec_b64 s[2:3], s[8:9]
	s_cbranch_execz .LBB1546_33
; %bb.32:
	v_bcnt_u32_b32 v20, v20, 0
	v_bcnt_u32_b32 v20, v21, v20
	s_waitcnt lgkmcnt(0)
	v_add_u32_e32 v20, v40, v20
	ds_write_b32 v44, v20 offset:64
.LBB1546_33:
	s_or_b64 exec, exec, s[2:3]
	v_xor_b32_e32 v17, 0x80000000, v17
	v_lshrrev_b64 v[20:21], s20, v[16:17]
	v_and_b32_e32 v22, s30, v20
	v_and_b32_e32 v21, 1, v22
	v_add_co_u32_e32 v23, vcc, -1, v21
	v_addc_co_u32_e64 v45, s[2:3], 0, -1, vcc
	v_cmp_ne_u32_e32 vcc, 0, v21
	v_lshl_add_u32 v20, v22, 4, v22
	v_xor_b32_e32 v21, vcc_hi, v45
	v_add_lshl_u32 v46, v37, v20, 2
	v_mov_b32_e32 v20, 0
	v_and_b32_e32 v45, exec_hi, v21
	v_lshlrev_b32_e32 v21, 30, v22
	v_xor_b32_e32 v23, vcc_lo, v23
	v_cmp_gt_i64_e32 vcc, 0, v[20:21]
	v_not_b32_e32 v21, v21
	v_ashrrev_i32_e32 v21, 31, v21
	v_and_b32_e32 v23, exec_lo, v23
	v_xor_b32_e32 v47, vcc_hi, v21
	v_xor_b32_e32 v21, vcc_lo, v21
	v_and_b32_e32 v23, v23, v21
	v_lshlrev_b32_e32 v21, 29, v22
	v_cmp_gt_i64_e32 vcc, 0, v[20:21]
	v_not_b32_e32 v21, v21
	v_ashrrev_i32_e32 v21, 31, v21
	v_and_b32_e32 v45, v45, v47
	v_xor_b32_e32 v47, vcc_hi, v21
	v_xor_b32_e32 v21, vcc_lo, v21
	v_and_b32_e32 v23, v23, v21
	v_lshlrev_b32_e32 v21, 28, v22
	v_cmp_gt_i64_e32 vcc, 0, v[20:21]
	v_not_b32_e32 v21, v21
	v_ashrrev_i32_e32 v21, 31, v21
	v_and_b32_e32 v45, v45, v47
	;; [unrolled: 8-line block ×5, first 2 shown]
	v_xor_b32_e32 v47, vcc_hi, v21
	v_xor_b32_e32 v21, vcc_lo, v21
	v_and_b32_e32 v45, v45, v47
	v_and_b32_e32 v47, v23, v21
	v_lshlrev_b32_e32 v21, 24, v22
	v_cmp_gt_i64_e32 vcc, 0, v[20:21]
	v_not_b32_e32 v21, v21
	v_ashrrev_i32_e32 v21, 31, v21
	v_xor_b32_e32 v22, vcc_hi, v21
	v_xor_b32_e32 v21, vcc_lo, v21
	; wave barrier
	ds_read_b32 v43, v46 offset:64
	v_and_b32_e32 v23, v45, v22
	v_and_b32_e32 v22, v47, v21
	v_mbcnt_lo_u32_b32 v21, v22, 0
	v_mbcnt_hi_u32_b32 v45, v23, v21
	v_cmp_eq_u32_e32 vcc, 0, v45
	v_cmp_ne_u64_e64 s[2:3], 0, v[22:23]
	s_and_b64 s[8:9], s[2:3], vcc
	; wave barrier
	s_and_saveexec_b64 s[2:3], s[8:9]
	s_cbranch_execz .LBB1546_35
; %bb.34:
	v_bcnt_u32_b32 v21, v22, 0
	v_bcnt_u32_b32 v21, v23, v21
	s_waitcnt lgkmcnt(0)
	v_add_u32_e32 v21, v43, v21
	ds_write_b32 v46, v21 offset:64
.LBB1546_35:
	s_or_b64 exec, exec, s[2:3]
	v_xor_b32_e32 v19, 0x80000000, v19
	v_lshrrev_b64 v[22:23], s20, v[18:19]
	v_and_b32_e32 v22, s30, v22
	v_lshl_add_u32 v21, v22, 4, v22
	v_add_lshl_u32 v48, v37, v21, 2
	v_and_b32_e32 v21, 1, v22
	v_add_co_u32_e32 v23, vcc, -1, v21
	v_addc_co_u32_e64 v47, s[2:3], 0, -1, vcc
	v_cmp_ne_u32_e32 vcc, 0, v21
	v_xor_b32_e32 v21, vcc_hi, v47
	v_and_b32_e32 v47, exec_hi, v21
	v_lshlrev_b32_e32 v21, 30, v22
	v_xor_b32_e32 v23, vcc_lo, v23
	v_cmp_gt_i64_e32 vcc, 0, v[20:21]
	v_not_b32_e32 v21, v21
	v_ashrrev_i32_e32 v21, 31, v21
	v_and_b32_e32 v23, exec_lo, v23
	v_xor_b32_e32 v50, vcc_hi, v21
	v_xor_b32_e32 v21, vcc_lo, v21
	v_and_b32_e32 v23, v23, v21
	v_lshlrev_b32_e32 v21, 29, v22
	v_cmp_gt_i64_e32 vcc, 0, v[20:21]
	v_not_b32_e32 v21, v21
	v_ashrrev_i32_e32 v21, 31, v21
	v_and_b32_e32 v47, v47, v50
	v_xor_b32_e32 v50, vcc_hi, v21
	v_xor_b32_e32 v21, vcc_lo, v21
	v_and_b32_e32 v23, v23, v21
	v_lshlrev_b32_e32 v21, 28, v22
	v_cmp_gt_i64_e32 vcc, 0, v[20:21]
	v_not_b32_e32 v21, v21
	v_ashrrev_i32_e32 v21, 31, v21
	v_and_b32_e32 v47, v47, v50
	;; [unrolled: 8-line block ×5, first 2 shown]
	v_xor_b32_e32 v50, vcc_hi, v21
	v_xor_b32_e32 v21, vcc_lo, v21
	v_and_b32_e32 v23, v23, v21
	v_lshlrev_b32_e32 v21, 24, v22
	v_cmp_gt_i64_e32 vcc, 0, v[20:21]
	v_not_b32_e32 v20, v21
	v_ashrrev_i32_e32 v20, 31, v20
	v_xor_b32_e32 v21, vcc_hi, v20
	v_xor_b32_e32 v20, vcc_lo, v20
	; wave barrier
	ds_read_b32 v37, v48 offset:64
	v_and_b32_e32 v47, v47, v50
	v_and_b32_e32 v20, v23, v20
	v_and_b32_e32 v21, v47, v21
	v_mbcnt_lo_u32_b32 v22, v20, 0
	v_mbcnt_hi_u32_b32 v47, v21, v22
	v_cmp_eq_u32_e32 vcc, 0, v47
	v_cmp_ne_u64_e64 s[2:3], 0, v[20:21]
	v_add_u32_e32 v49, 64, v25
	s_and_b64 s[8:9], s[2:3], vcc
	; wave barrier
	s_and_saveexec_b64 s[2:3], s[8:9]
	s_cbranch_execz .LBB1546_37
; %bb.36:
	v_bcnt_u32_b32 v20, v20, 0
	v_bcnt_u32_b32 v20, v21, v20
	s_waitcnt lgkmcnt(0)
	v_add_u32_e32 v20, v37, v20
	ds_write_b32 v48, v20 offset:64
.LBB1546_37:
	s_or_b64 exec, exec, s[2:3]
	; wave barrier
	s_waitcnt lgkmcnt(0)
	s_barrier
	ds_read2_b32 v[22:23], v25 offset0:16 offset1:17
	ds_read2_b32 v[20:21], v49 offset0:2 offset1:3
	ds_read_b32 v50, v49 offset:16
	v_cmp_lt_u32_e64 s[12:13], 31, v24
	s_waitcnt lgkmcnt(1)
	v_add3_u32 v51, v23, v22, v20
	s_waitcnt lgkmcnt(0)
	v_add3_u32 v50, v51, v21, v50
	v_and_b32_e32 v51, 15, v24
	v_cmp_eq_u32_e32 vcc, 0, v51
	v_mov_b32_dpp v52, v50 row_shr:1 row_mask:0xf bank_mask:0xf
	v_cndmask_b32_e64 v52, v52, 0, vcc
	v_add_u32_e32 v50, v52, v50
	v_cmp_lt_u32_e64 s[2:3], 1, v51
	v_cmp_lt_u32_e64 s[10:11], 3, v51
	v_mov_b32_dpp v52, v50 row_shr:2 row_mask:0xf bank_mask:0xf
	v_cndmask_b32_e64 v52, 0, v52, s[2:3]
	v_add_u32_e32 v50, v50, v52
	v_cmp_lt_u32_e64 s[8:9], 7, v51
	s_nop 0
	v_mov_b32_dpp v52, v50 row_shr:4 row_mask:0xf bank_mask:0xf
	v_cndmask_b32_e64 v52, 0, v52, s[10:11]
	v_add_u32_e32 v50, v50, v52
	s_nop 1
	v_mov_b32_dpp v52, v50 row_shr:8 row_mask:0xf bank_mask:0xf
	v_cndmask_b32_e64 v51, 0, v52, s[8:9]
	v_add_u32_e32 v50, v50, v51
	v_bfe_i32 v52, v24, 4, 1
	s_nop 0
	v_mov_b32_dpp v51, v50 row_bcast:15 row_mask:0xf bank_mask:0xf
	v_and_b32_e32 v51, v52, v51
	v_add_u32_e32 v50, v50, v51
	v_and_b32_e32 v52, 63, v2
	s_nop 0
	v_mov_b32_dpp v51, v50 row_bcast:31 row_mask:0xf bank_mask:0xf
	v_cndmask_b32_e64 v51, 0, v51, s[12:13]
	v_add_u32_e32 v50, v50, v51
	v_lshrrev_b32_e32 v51, 6, v2
	v_cmp_eq_u32_e64 s[12:13], 63, v52
	s_and_saveexec_b64 s[22:23], s[12:13]
	s_cbranch_execz .LBB1546_39
; %bb.38:
	v_lshlrev_b32_e32 v52, 2, v51
	ds_write_b32 v52, v50
.LBB1546_39:
	s_or_b64 exec, exec, s[22:23]
	v_cmp_gt_u32_e64 s[12:13], 16, v2
	s_waitcnt lgkmcnt(0)
	s_barrier
	s_and_saveexec_b64 s[22:23], s[12:13]
	s_cbranch_execz .LBB1546_41
; %bb.40:
	v_lshlrev_b32_e32 v52, 2, v2
	ds_read_b32 v53, v52
	s_waitcnt lgkmcnt(0)
	s_nop 0
	v_mov_b32_dpp v54, v53 row_shr:1 row_mask:0xf bank_mask:0xf
	v_cndmask_b32_e64 v54, v54, 0, vcc
	v_add_u32_e32 v53, v54, v53
	s_nop 1
	v_mov_b32_dpp v54, v53 row_shr:2 row_mask:0xf bank_mask:0xf
	v_cndmask_b32_e64 v54, 0, v54, s[2:3]
	v_add_u32_e32 v53, v53, v54
	s_nop 1
	v_mov_b32_dpp v54, v53 row_shr:4 row_mask:0xf bank_mask:0xf
	v_cndmask_b32_e64 v54, 0, v54, s[10:11]
	;; [unrolled: 4-line block ×3, first 2 shown]
	v_add_u32_e32 v53, v53, v54
	ds_write_b32 v52, v53
.LBB1546_41:
	s_or_b64 exec, exec, s[22:23]
	v_cmp_lt_u32_e32 vcc, 63, v2
	v_mov_b32_e32 v52, 0
	s_waitcnt lgkmcnt(0)
	s_barrier
	s_and_saveexec_b64 s[2:3], vcc
	s_cbranch_execz .LBB1546_43
; %bb.42:
	v_lshl_add_u32 v51, v51, 2, -4
	ds_read_b32 v52, v51
.LBB1546_43:
	s_or_b64 exec, exec, s[2:3]
	v_add_u32_e32 v51, -1, v24
	v_and_b32_e32 v53, 64, v24
	v_cmp_lt_i32_e32 vcc, v51, v53
	v_cndmask_b32_e32 v51, v51, v24, vcc
	s_waitcnt lgkmcnt(0)
	v_add_u32_e32 v50, v52, v50
	v_lshlrev_b32_e32 v51, 2, v51
	ds_bpermute_b32 v50, v51, v50
	v_cmp_eq_u32_e32 vcc, 0, v24
	s_movk_i32 s2, 0x100
	s_waitcnt lgkmcnt(0)
	v_cndmask_b32_e32 v24, v50, v52, vcc
	v_cndmask_b32_e64 v24, v24, 0, s[0:1]
	v_add_u32_e32 v22, v24, v22
	v_add_u32_e32 v23, v22, v23
	;; [unrolled: 1-line block ×4, first 2 shown]
	ds_write2_b32 v25, v24, v22 offset0:16 offset1:17
	ds_write2_b32 v49, v23, v20 offset0:2 offset1:3
	ds_write_b32 v49, v21 offset:16
	s_waitcnt lgkmcnt(0)
	s_barrier
	ds_read_b32 v50, v30 offset:64
	ds_read_b32 v49, v31 offset:64
	;; [unrolled: 1-line block ×8, first 2 shown]
	v_cmp_gt_u32_e32 vcc, s2, v2
                                        ; implicit-def: $vgpr30
                                        ; implicit-def: $vgpr31
	s_and_saveexec_b64 s[8:9], vcc
	s_cbranch_execz .LBB1546_47
; %bb.44:
	v_mul_u32_u24_e32 v20, 17, v2
	v_lshlrev_b32_e32 v21, 2, v20
	ds_read_b32 v30, v21 offset:64
	s_movk_i32 s2, 0xff
	v_cmp_ne_u32_e64 s[2:3], s2, v2
	v_mov_b32_e32 v20, 0x2000
	s_and_saveexec_b64 s[10:11], s[2:3]
	s_cbranch_execz .LBB1546_46
; %bb.45:
	ds_read_b32 v20, v21 offset:132
.LBB1546_46:
	s_or_b64 exec, exec, s[10:11]
	s_waitcnt lgkmcnt(0)
	v_sub_u32_e32 v31, v20, v30
.LBB1546_47:
	s_or_b64 exec, exec, s[8:9]
	s_waitcnt lgkmcnt(0)
	s_barrier
	s_and_saveexec_b64 s[8:9], vcc
	s_cbranch_execz .LBB1546_57
; %bb.48:
	v_lshl_or_b32 v20, s28, 8, v2
	v_mov_b32_e32 v21, 0
	v_lshlrev_b64 v[22:23], 2, v[20:21]
	v_mov_b32_e32 v51, s15
	v_add_co_u32_e64 v22, s[2:3], s14, v22
	v_addc_co_u32_e64 v23, s[2:3], v51, v23, s[2:3]
	v_or_b32_e32 v20, 2.0, v31
	s_mov_b64 s[10:11], 0
	s_brev_b32 s31, 1
	s_mov_b32 s33, s28
	v_mov_b32_e32 v52, 0
	global_store_dword v[22:23], v20, off
                                        ; implicit-def: $sgpr2_sgpr3
	s_branch .LBB1546_50
.LBB1546_49:                            ;   in Loop: Header=BB1546_50 Depth=1
	s_or_b64 exec, exec, s[12:13]
	v_and_b32_e32 v24, 0x3fffffff, v53
	v_add_u32_e32 v52, v24, v52
	v_cmp_eq_u32_e64 s[2:3], s31, v20
	s_and_b64 s[12:13], exec, s[2:3]
	s_or_b64 s[10:11], s[12:13], s[10:11]
	s_andn2_b64 exec, exec, s[10:11]
	s_cbranch_execz .LBB1546_56
.LBB1546_50:                            ; =>This Loop Header: Depth=1
                                        ;     Child Loop BB1546_53 Depth 2
	s_or_b64 s[2:3], s[2:3], exec
	s_cmp_eq_u32 s33, 0
	s_cbranch_scc1 .LBB1546_55
; %bb.51:                               ;   in Loop: Header=BB1546_50 Depth=1
	s_add_i32 s33, s33, -1
	v_lshl_or_b32 v20, s33, 8, v2
	v_lshlrev_b64 v[24:25], 2, v[20:21]
	v_add_co_u32_e64 v24, s[2:3], s14, v24
	v_addc_co_u32_e64 v25, s[2:3], v51, v25, s[2:3]
	global_load_dword v53, v[24:25], off glc
	s_waitcnt vmcnt(0)
	v_and_b32_e32 v20, -2.0, v53
	v_cmp_eq_u32_e64 s[2:3], 0, v20
	s_and_saveexec_b64 s[12:13], s[2:3]
	s_cbranch_execz .LBB1546_49
; %bb.52:                               ;   in Loop: Header=BB1546_50 Depth=1
	s_mov_b64 s[22:23], 0
.LBB1546_53:                            ;   Parent Loop BB1546_50 Depth=1
                                        ; =>  This Inner Loop Header: Depth=2
	global_load_dword v53, v[24:25], off glc
	s_waitcnt vmcnt(0)
	v_and_b32_e32 v20, -2.0, v53
	v_cmp_ne_u32_e64 s[2:3], 0, v20
	s_or_b64 s[22:23], s[2:3], s[22:23]
	s_andn2_b64 exec, exec, s[22:23]
	s_cbranch_execnz .LBB1546_53
; %bb.54:                               ;   in Loop: Header=BB1546_50 Depth=1
	s_or_b64 exec, exec, s[22:23]
	s_branch .LBB1546_49
.LBB1546_55:                            ;   in Loop: Header=BB1546_50 Depth=1
                                        ; implicit-def: $sgpr33
	s_and_b64 s[12:13], exec, s[2:3]
	s_or_b64 s[10:11], s[12:13], s[10:11]
	s_andn2_b64 exec, exec, s[10:11]
	s_cbranch_execnz .LBB1546_50
.LBB1546_56:
	s_or_b64 exec, exec, s[10:11]
	v_add_u32_e32 v20, v52, v31
	v_or_b32_e32 v20, 0x80000000, v20
	global_store_dword v[22:23], v20, off
	v_lshlrev_b32_e32 v20, 2, v2
	global_load_dword v21, v20, s[16:17]
	v_sub_u32_e32 v22, v52, v30
	s_waitcnt vmcnt(0)
	v_add_u32_e32 v21, v22, v21
	ds_write_b32 v20, v21
.LBB1546_57:
	s_or_b64 exec, exec, s[8:9]
	v_add_u32_e32 v22, v50, v26
	s_movk_i32 s10, 0x400
	v_add_u32_e32 v23, 0x400, v3
	v_add3_u32 v24, v47, v48, v37
	v_add3_u32 v25, v45, v46, v43
	;; [unrolled: 1-line block ×7, first 2 shown]
	s_mov_b32 s11, 0
	v_mov_b32_e32 v21, 0
	v_mov_b32_e32 v28, v2
	s_branch .LBB1546_59
.LBB1546_58:                            ;   in Loop: Header=BB1546_59 Depth=1
	s_or_b64 exec, exec, s[8:9]
	s_addk_i32 s11, 0xf800
	s_cmpk_eq_i32 s11, 0xe000
	v_add_u32_e32 v28, 0x800, v28
	s_barrier
	s_cbranch_scc1 .LBB1546_64
.LBB1546_59:                            ; =>This Inner Loop Header: Depth=1
	v_add_u32_e32 v20, s11, v22
	v_min_u32_e32 v20, 0x800, v20
	v_lshlrev_b32_e32 v20, 3, v20
	ds_write_b64 v20, v[4:5] offset:1024
	v_add_u32_e32 v20, s11, v27
	v_min_u32_e32 v20, 0x800, v20
	v_lshlrev_b32_e32 v20, 3, v20
	ds_write_b64 v20, v[6:7] offset:1024
	;; [unrolled: 4-line block ×7, first 2 shown]
	v_add_u32_e32 v20, s11, v24
	v_min_u32_e32 v20, 0x800, v20
	v_lshlrev_b32_e32 v20, 3, v20
	v_cmp_gt_u32_e64 s[2:3], s7, v28
	ds_write_b64 v20, v[18:19] offset:1024
	s_waitcnt lgkmcnt(0)
	s_barrier
	s_and_saveexec_b64 s[8:9], s[2:3]
	s_cbranch_execz .LBB1546_61
; %bb.60:                               ;   in Loop: Header=BB1546_59 Depth=1
	ds_read_b64 v[34:35], v3 offset:1024
	v_mov_b32_e32 v32, s27
	s_waitcnt lgkmcnt(0)
	v_lshrrev_b64 v[38:39], s20, v[34:35]
	v_and_b32_e32 v20, s30, v38
	v_lshlrev_b32_e32 v20, 2, v20
	ds_read_b32 v20, v20
	v_xor_b32_e32 v35, 0x80000000, v35
	s_waitcnt lgkmcnt(0)
	v_add_u32_e32 v20, v28, v20
	v_lshlrev_b64 v[38:39], 3, v[20:21]
	v_add_co_u32_e64 v38, s[2:3], s26, v38
	v_addc_co_u32_e64 v39, s[2:3], v32, v39, s[2:3]
	global_store_dwordx2 v[38:39], v[34:35], off
.LBB1546_61:                            ;   in Loop: Header=BB1546_59 Depth=1
	s_or_b64 exec, exec, s[8:9]
	v_add_u32_e32 v20, 0x400, v28
	v_cmp_gt_u32_e64 s[2:3], s7, v20
	s_and_saveexec_b64 s[8:9], s[2:3]
	s_cbranch_execz .LBB1546_58
; %bb.62:                               ;   in Loop: Header=BB1546_59 Depth=1
	ds_read_b64 v[34:35], v23 offset:8192
	v_mov_b32_e32 v32, s27
	s_waitcnt lgkmcnt(0)
	v_lshrrev_b64 v[38:39], s20, v[34:35]
	v_and_b32_e32 v20, s30, v38
	v_lshlrev_b32_e32 v20, 2, v20
	ds_read_b32 v20, v20
	v_xor_b32_e32 v35, 0x80000000, v35
	s_waitcnt lgkmcnt(0)
	v_add3_u32 v20, v28, v20, s10
	v_lshlrev_b64 v[38:39], 3, v[20:21]
	v_add_co_u32_e64 v38, s[2:3], s26, v38
	v_addc_co_u32_e64 v39, s[2:3], v32, v39, s[2:3]
	global_store_dwordx2 v[38:39], v[34:35], off
	s_branch .LBB1546_58
.LBB1546_63:
	s_mov_b64 s[10:11], 0
                                        ; implicit-def: $vgpr4
	s_cbranch_execnz .LBB1546_67
	s_branch .LBB1546_108
.LBB1546_64:
	s_add_i32 s29, s29, -1
	s_cmp_eq_u32 s29, s28
	s_cselect_b64 s[2:3], -1, 0
	s_and_b64 s[8:9], vcc, s[2:3]
	s_mov_b64 s[2:3], 0
	s_mov_b64 s[10:11], 0
                                        ; implicit-def: $vgpr4
	s_and_saveexec_b64 s[12:13], s[8:9]
	s_xor_b64 s[8:9], exec, s[12:13]
; %bb.65:
	s_mov_b64 s[10:11], exec
	v_add_u32_e32 v4, v30, v31
; %bb.66:
	s_or_b64 exec, exec, s[8:9]
	s_and_b64 vcc, exec, s[2:3]
	s_cbranch_vccz .LBB1546_108
.LBB1546_67:
	s_lshl_b32 s2, s28, 13
	s_mov_b32 s3, 0
	v_mbcnt_hi_u32_b32 v22, -1, v1
	s_lshl_b64 s[2:3], s[2:3], 3
	v_and_b32_e32 v1, 63, v22
	s_add_u32 s2, s24, s2
	v_lshlrev_b32_e32 v1, 3, v1
	v_add_co_u32_e32 v1, vcc, s2, v1
	s_load_dword s22, s[4:5], 0x58
	s_load_dword s2, s[4:5], 0x64
	s_addc_u32 s3, s25, s3
	v_mov_b32_e32 v4, s3
	v_lshlrev_b32_e32 v5, 6, v2
	v_addc_co_u32_e32 v4, vcc, 0, v4, vcc
	v_and_b32_e32 v5, 0xf000, v5
	s_add_u32 s3, s4, 0x58
	v_add_co_u32_e32 v20, vcc, v1, v5
	s_addc_u32 s4, s5, 0
	s_waitcnt lgkmcnt(0)
	s_lshr_b32 s5, s2, 16
	v_addc_co_u32_e32 v21, vcc, 0, v4, vcc
	s_cmp_lt_u32 s6, s22
	global_load_dwordx2 v[4:5], v[20:21], off
	s_cselect_b32 s2, 12, 18
	s_add_u32 s2, s3, s2
	v_mov_b32_e32 v18, 0
	s_addc_u32 s3, s4, 0
	global_load_ushort v19, v18, s[2:3]
	v_mul_u32_u24_e32 v6, 5, v2
	v_lshlrev_b32_e32 v23, 2, v6
	v_bfe_u32 v1, v0, 10, 10
	v_bfe_u32 v0, v0, 20, 10
	ds_write2_b32 v23, v18, v18 offset0:16 offset1:17
	ds_write2_b32 v23, v18, v18 offset0:18 offset1:19
	ds_write_b32 v23, v18 offset:80
	v_mad_u32_u24 v24, v0, s5, v1
	global_load_dwordx2 v[0:1], v[20:21], off offset:512
	global_load_dwordx2 v[6:7], v[20:21], off offset:1024
	;; [unrolled: 1-line block ×7, first 2 shown]
	s_lshl_b32 s2, -1, s21
	s_not_b32 s21, s2
	s_waitcnt lgkmcnt(0)
	s_barrier
	s_waitcnt lgkmcnt(0)
	; wave barrier
	s_waitcnt vmcnt(8)
	v_xor_b32_e32 v5, 0x80000000, v5
	v_lshrrev_b64 v[20:21], s20, v[4:5]
	v_and_b32_e32 v25, s21, v20
	s_waitcnt vmcnt(7)
	v_mad_u64_u32 v[20:21], s[2:3], v24, v19, v[2:3]
	v_and_b32_e32 v24, 1, v25
	v_lshrrev_b32_e32 v32, 6, v20
	v_add_co_u32_e32 v20, vcc, -1, v24
	v_lshlrev_b32_e32 v19, 30, v25
	v_addc_co_u32_e64 v27, s[2:3], 0, -1, vcc
	v_lshl_add_u32 v21, v25, 4, v25
	v_cmp_ne_u32_e32 vcc, 0, v24
	v_cmp_gt_i64_e64 s[2:3], 0, v[18:19]
	v_not_b32_e32 v24, v19
	v_lshlrev_b32_e32 v19, 29, v25
	v_add_lshl_u32 v26, v32, v21, 2
	v_xor_b32_e32 v21, vcc_hi, v27
	v_xor_b32_e32 v20, vcc_lo, v20
	v_ashrrev_i32_e32 v24, 31, v24
	v_cmp_gt_i64_e32 vcc, 0, v[18:19]
	v_not_b32_e32 v27, v19
	v_lshlrev_b32_e32 v19, 28, v25
	v_and_b32_e32 v21, exec_hi, v21
	v_and_b32_e32 v20, exec_lo, v20
	v_xor_b32_e32 v28, s3, v24
	v_xor_b32_e32 v24, s2, v24
	v_ashrrev_i32_e32 v27, 31, v27
	v_cmp_gt_i64_e64 s[2:3], 0, v[18:19]
	v_not_b32_e32 v29, v19
	v_lshlrev_b32_e32 v19, 27, v25
	v_and_b32_e32 v21, v21, v28
	v_and_b32_e32 v20, v20, v24
	v_xor_b32_e32 v24, vcc_hi, v27
	v_xor_b32_e32 v27, vcc_lo, v27
	v_ashrrev_i32_e32 v28, 31, v29
	v_cmp_gt_i64_e32 vcc, 0, v[18:19]
	v_not_b32_e32 v19, v19
	v_and_b32_e32 v21, v21, v24
	v_and_b32_e32 v20, v20, v27
	v_xor_b32_e32 v24, s3, v28
	v_xor_b32_e32 v27, s2, v28
	v_ashrrev_i32_e32 v19, 31, v19
	v_and_b32_e32 v21, v21, v24
	v_and_b32_e32 v20, v20, v27
	v_xor_b32_e32 v24, vcc_hi, v19
	v_xor_b32_e32 v19, vcc_lo, v19
	v_and_b32_e32 v20, v20, v19
	v_lshlrev_b32_e32 v19, 26, v25
	v_cmp_gt_i64_e32 vcc, 0, v[18:19]
	v_not_b32_e32 v19, v19
	v_ashrrev_i32_e32 v19, 31, v19
	v_and_b32_e32 v21, v21, v24
	v_xor_b32_e32 v24, vcc_hi, v19
	v_xor_b32_e32 v19, vcc_lo, v19
	v_and_b32_e32 v20, v20, v19
	v_lshlrev_b32_e32 v19, 25, v25
	v_cmp_gt_i64_e32 vcc, 0, v[18:19]
	v_not_b32_e32 v19, v19
	v_ashrrev_i32_e32 v19, 31, v19
	v_and_b32_e32 v21, v21, v24
	v_xor_b32_e32 v24, vcc_hi, v19
	v_xor_b32_e32 v19, vcc_lo, v19
	v_and_b32_e32 v20, v20, v19
	v_lshlrev_b32_e32 v19, 24, v25
	v_cmp_gt_i64_e32 vcc, 0, v[18:19]
	v_not_b32_e32 v19, v19
	v_ashrrev_i32_e32 v19, 31, v19
	v_and_b32_e32 v21, v21, v24
	v_xor_b32_e32 v24, vcc_hi, v19
	v_xor_b32_e32 v19, vcc_lo, v19
	v_and_b32_e32 v20, v20, v19
	v_and_b32_e32 v21, v21, v24
	v_mbcnt_lo_u32_b32 v19, v20, 0
	v_mbcnt_hi_u32_b32 v24, v21, v19
	v_cmp_eq_u32_e32 vcc, 0, v24
	v_cmp_ne_u64_e64 s[2:3], 0, v[20:21]
	s_and_b64 s[4:5], s[2:3], vcc
	s_and_saveexec_b64 s[2:3], s[4:5]
	s_cbranch_execz .LBB1546_69
; %bb.68:
	v_bcnt_u32_b32 v19, v20, 0
	v_bcnt_u32_b32 v19, v21, v19
	ds_write_b32 v26, v19 offset:64
.LBB1546_69:
	s_or_b64 exec, exec, s[2:3]
	s_waitcnt vmcnt(6)
	v_xor_b32_e32 v1, 0x80000000, v1
	v_lshrrev_b64 v[20:21], s20, v[0:1]
	v_and_b32_e32 v20, s21, v20
	v_lshl_add_u32 v19, v20, 4, v20
	v_add_lshl_u32 v29, v32, v19, 2
	v_and_b32_e32 v19, 1, v20
	v_add_co_u32_e32 v21, vcc, -1, v19
	v_addc_co_u32_e64 v27, s[2:3], 0, -1, vcc
	v_cmp_ne_u32_e32 vcc, 0, v19
	v_xor_b32_e32 v19, vcc_hi, v27
	v_and_b32_e32 v27, exec_hi, v19
	v_lshlrev_b32_e32 v19, 30, v20
	v_xor_b32_e32 v21, vcc_lo, v21
	v_cmp_gt_i64_e32 vcc, 0, v[18:19]
	v_not_b32_e32 v19, v19
	v_ashrrev_i32_e32 v19, 31, v19
	v_and_b32_e32 v21, exec_lo, v21
	v_xor_b32_e32 v28, vcc_hi, v19
	v_xor_b32_e32 v19, vcc_lo, v19
	v_and_b32_e32 v21, v21, v19
	v_lshlrev_b32_e32 v19, 29, v20
	v_cmp_gt_i64_e32 vcc, 0, v[18:19]
	v_not_b32_e32 v19, v19
	v_ashrrev_i32_e32 v19, 31, v19
	v_and_b32_e32 v27, v27, v28
	v_xor_b32_e32 v28, vcc_hi, v19
	v_xor_b32_e32 v19, vcc_lo, v19
	v_and_b32_e32 v21, v21, v19
	v_lshlrev_b32_e32 v19, 28, v20
	v_cmp_gt_i64_e32 vcc, 0, v[18:19]
	v_not_b32_e32 v19, v19
	v_ashrrev_i32_e32 v19, 31, v19
	v_and_b32_e32 v27, v27, v28
	;; [unrolled: 8-line block ×5, first 2 shown]
	v_xor_b32_e32 v28, vcc_hi, v19
	v_xor_b32_e32 v19, vcc_lo, v19
	v_and_b32_e32 v21, v21, v19
	v_lshlrev_b32_e32 v19, 24, v20
	v_cmp_gt_i64_e32 vcc, 0, v[18:19]
	v_not_b32_e32 v18, v19
	v_ashrrev_i32_e32 v18, 31, v18
	v_xor_b32_e32 v19, vcc_hi, v18
	v_xor_b32_e32 v18, vcc_lo, v18
	; wave barrier
	ds_read_b32 v25, v29 offset:64
	v_and_b32_e32 v27, v27, v28
	v_and_b32_e32 v18, v21, v18
	;; [unrolled: 1-line block ×3, first 2 shown]
	v_mbcnt_lo_u32_b32 v20, v18, 0
	v_mbcnt_hi_u32_b32 v27, v19, v20
	v_cmp_eq_u32_e32 vcc, 0, v27
	v_cmp_ne_u64_e64 s[2:3], 0, v[18:19]
	s_and_b64 s[4:5], s[2:3], vcc
	; wave barrier
	s_and_saveexec_b64 s[2:3], s[4:5]
	s_cbranch_execz .LBB1546_71
; %bb.70:
	v_bcnt_u32_b32 v18, v18, 0
	v_bcnt_u32_b32 v18, v19, v18
	s_waitcnt lgkmcnt(0)
	v_add_u32_e32 v18, v25, v18
	ds_write_b32 v29, v18 offset:64
.LBB1546_71:
	s_or_b64 exec, exec, s[2:3]
	s_waitcnt vmcnt(5)
	v_xor_b32_e32 v7, 0x80000000, v7
	v_lshrrev_b64 v[18:19], s20, v[6:7]
	v_and_b32_e32 v20, s21, v18
	v_and_b32_e32 v19, 1, v20
	v_add_co_u32_e32 v21, vcc, -1, v19
	v_addc_co_u32_e64 v30, s[2:3], 0, -1, vcc
	v_cmp_ne_u32_e32 vcc, 0, v19
	v_lshl_add_u32 v18, v20, 4, v20
	v_xor_b32_e32 v19, vcc_hi, v30
	v_add_lshl_u32 v33, v32, v18, 2
	v_mov_b32_e32 v18, 0
	v_and_b32_e32 v30, exec_hi, v19
	v_lshlrev_b32_e32 v19, 30, v20
	v_xor_b32_e32 v21, vcc_lo, v21
	v_cmp_gt_i64_e32 vcc, 0, v[18:19]
	v_not_b32_e32 v19, v19
	v_ashrrev_i32_e32 v19, 31, v19
	v_and_b32_e32 v21, exec_lo, v21
	v_xor_b32_e32 v31, vcc_hi, v19
	v_xor_b32_e32 v19, vcc_lo, v19
	v_and_b32_e32 v21, v21, v19
	v_lshlrev_b32_e32 v19, 29, v20
	v_cmp_gt_i64_e32 vcc, 0, v[18:19]
	v_not_b32_e32 v19, v19
	v_ashrrev_i32_e32 v19, 31, v19
	v_and_b32_e32 v30, v30, v31
	v_xor_b32_e32 v31, vcc_hi, v19
	v_xor_b32_e32 v19, vcc_lo, v19
	v_and_b32_e32 v21, v21, v19
	v_lshlrev_b32_e32 v19, 28, v20
	v_cmp_gt_i64_e32 vcc, 0, v[18:19]
	v_not_b32_e32 v19, v19
	v_ashrrev_i32_e32 v19, 31, v19
	v_and_b32_e32 v30, v30, v31
	;; [unrolled: 8-line block ×5, first 2 shown]
	v_xor_b32_e32 v31, vcc_hi, v19
	v_xor_b32_e32 v19, vcc_lo, v19
	v_and_b32_e32 v30, v30, v31
	v_and_b32_e32 v31, v21, v19
	v_lshlrev_b32_e32 v19, 24, v20
	v_cmp_gt_i64_e32 vcc, 0, v[18:19]
	v_not_b32_e32 v19, v19
	v_ashrrev_i32_e32 v19, 31, v19
	v_xor_b32_e32 v20, vcc_hi, v19
	v_xor_b32_e32 v19, vcc_lo, v19
	; wave barrier
	ds_read_b32 v28, v33 offset:64
	v_and_b32_e32 v21, v30, v20
	v_and_b32_e32 v20, v31, v19
	v_mbcnt_lo_u32_b32 v19, v20, 0
	v_mbcnt_hi_u32_b32 v30, v21, v19
	v_cmp_eq_u32_e32 vcc, 0, v30
	v_cmp_ne_u64_e64 s[2:3], 0, v[20:21]
	s_and_b64 s[4:5], s[2:3], vcc
	; wave barrier
	s_and_saveexec_b64 s[2:3], s[4:5]
	s_cbranch_execz .LBB1546_73
; %bb.72:
	v_bcnt_u32_b32 v19, v20, 0
	v_bcnt_u32_b32 v19, v21, v19
	s_waitcnt lgkmcnt(0)
	v_add_u32_e32 v19, v28, v19
	ds_write_b32 v33, v19 offset:64
.LBB1546_73:
	s_or_b64 exec, exec, s[2:3]
	s_waitcnt vmcnt(4)
	v_xor_b32_e32 v9, 0x80000000, v9
	v_lshrrev_b64 v[20:21], s20, v[8:9]
	v_and_b32_e32 v20, s21, v20
	v_lshl_add_u32 v19, v20, 4, v20
	v_add_lshl_u32 v36, v32, v19, 2
	v_and_b32_e32 v19, 1, v20
	v_add_co_u32_e32 v21, vcc, -1, v19
	v_addc_co_u32_e64 v34, s[2:3], 0, -1, vcc
	v_cmp_ne_u32_e32 vcc, 0, v19
	v_xor_b32_e32 v19, vcc_hi, v34
	v_and_b32_e32 v34, exec_hi, v19
	v_lshlrev_b32_e32 v19, 30, v20
	v_xor_b32_e32 v21, vcc_lo, v21
	v_cmp_gt_i64_e32 vcc, 0, v[18:19]
	v_not_b32_e32 v19, v19
	v_ashrrev_i32_e32 v19, 31, v19
	v_and_b32_e32 v21, exec_lo, v21
	v_xor_b32_e32 v35, vcc_hi, v19
	v_xor_b32_e32 v19, vcc_lo, v19
	v_and_b32_e32 v21, v21, v19
	v_lshlrev_b32_e32 v19, 29, v20
	v_cmp_gt_i64_e32 vcc, 0, v[18:19]
	v_not_b32_e32 v19, v19
	v_ashrrev_i32_e32 v19, 31, v19
	v_and_b32_e32 v34, v34, v35
	v_xor_b32_e32 v35, vcc_hi, v19
	v_xor_b32_e32 v19, vcc_lo, v19
	v_and_b32_e32 v21, v21, v19
	v_lshlrev_b32_e32 v19, 28, v20
	v_cmp_gt_i64_e32 vcc, 0, v[18:19]
	v_not_b32_e32 v19, v19
	v_ashrrev_i32_e32 v19, 31, v19
	v_and_b32_e32 v34, v34, v35
	;; [unrolled: 8-line block ×5, first 2 shown]
	v_xor_b32_e32 v35, vcc_hi, v19
	v_xor_b32_e32 v19, vcc_lo, v19
	v_and_b32_e32 v21, v21, v19
	v_lshlrev_b32_e32 v19, 24, v20
	v_cmp_gt_i64_e32 vcc, 0, v[18:19]
	v_not_b32_e32 v18, v19
	v_ashrrev_i32_e32 v18, 31, v18
	v_xor_b32_e32 v19, vcc_hi, v18
	v_xor_b32_e32 v18, vcc_lo, v18
	; wave barrier
	ds_read_b32 v31, v36 offset:64
	v_and_b32_e32 v34, v34, v35
	v_and_b32_e32 v18, v21, v18
	;; [unrolled: 1-line block ×3, first 2 shown]
	v_mbcnt_lo_u32_b32 v20, v18, 0
	v_mbcnt_hi_u32_b32 v34, v19, v20
	v_cmp_eq_u32_e32 vcc, 0, v34
	v_cmp_ne_u64_e64 s[2:3], 0, v[18:19]
	s_and_b64 s[4:5], s[2:3], vcc
	; wave barrier
	s_and_saveexec_b64 s[2:3], s[4:5]
	s_cbranch_execz .LBB1546_75
; %bb.74:
	v_bcnt_u32_b32 v18, v18, 0
	v_bcnt_u32_b32 v18, v19, v18
	s_waitcnt lgkmcnt(0)
	v_add_u32_e32 v18, v31, v18
	ds_write_b32 v36, v18 offset:64
.LBB1546_75:
	s_or_b64 exec, exec, s[2:3]
	s_waitcnt vmcnt(3)
	v_xor_b32_e32 v11, 0x80000000, v11
	v_lshrrev_b64 v[18:19], s20, v[10:11]
	v_and_b32_e32 v20, s21, v18
	v_and_b32_e32 v19, 1, v20
	v_add_co_u32_e32 v21, vcc, -1, v19
	v_addc_co_u32_e64 v37, s[2:3], 0, -1, vcc
	v_cmp_ne_u32_e32 vcc, 0, v19
	v_lshl_add_u32 v18, v20, 4, v20
	v_xor_b32_e32 v19, vcc_hi, v37
	v_add_lshl_u32 v39, v32, v18, 2
	v_mov_b32_e32 v18, 0
	v_and_b32_e32 v37, exec_hi, v19
	v_lshlrev_b32_e32 v19, 30, v20
	v_xor_b32_e32 v21, vcc_lo, v21
	v_cmp_gt_i64_e32 vcc, 0, v[18:19]
	v_not_b32_e32 v19, v19
	v_ashrrev_i32_e32 v19, 31, v19
	v_and_b32_e32 v21, exec_lo, v21
	v_xor_b32_e32 v38, vcc_hi, v19
	v_xor_b32_e32 v19, vcc_lo, v19
	v_and_b32_e32 v21, v21, v19
	v_lshlrev_b32_e32 v19, 29, v20
	v_cmp_gt_i64_e32 vcc, 0, v[18:19]
	v_not_b32_e32 v19, v19
	v_ashrrev_i32_e32 v19, 31, v19
	v_and_b32_e32 v37, v37, v38
	v_xor_b32_e32 v38, vcc_hi, v19
	v_xor_b32_e32 v19, vcc_lo, v19
	v_and_b32_e32 v21, v21, v19
	v_lshlrev_b32_e32 v19, 28, v20
	v_cmp_gt_i64_e32 vcc, 0, v[18:19]
	v_not_b32_e32 v19, v19
	v_ashrrev_i32_e32 v19, 31, v19
	v_and_b32_e32 v37, v37, v38
	v_xor_b32_e32 v38, vcc_hi, v19
	v_xor_b32_e32 v19, vcc_lo, v19
	v_and_b32_e32 v21, v21, v19
	v_lshlrev_b32_e32 v19, 27, v20
	v_cmp_gt_i64_e32 vcc, 0, v[18:19]
	v_not_b32_e32 v19, v19
	v_ashrrev_i32_e32 v19, 31, v19
	v_and_b32_e32 v37, v37, v38
	v_xor_b32_e32 v38, vcc_hi, v19
	v_xor_b32_e32 v19, vcc_lo, v19
	v_and_b32_e32 v21, v21, v19
	v_lshlrev_b32_e32 v19, 26, v20
	v_cmp_gt_i64_e32 vcc, 0, v[18:19]
	v_not_b32_e32 v19, v19
	v_ashrrev_i32_e32 v19, 31, v19
	v_and_b32_e32 v37, v37, v38
	v_xor_b32_e32 v38, vcc_hi, v19
	v_xor_b32_e32 v19, vcc_lo, v19
	v_and_b32_e32 v21, v21, v19
	v_lshlrev_b32_e32 v19, 25, v20
	v_cmp_gt_i64_e32 vcc, 0, v[18:19]
	v_not_b32_e32 v19, v19
	v_ashrrev_i32_e32 v19, 31, v19
	v_and_b32_e32 v37, v37, v38
	v_xor_b32_e32 v38, vcc_hi, v19
	v_xor_b32_e32 v19, vcc_lo, v19
	v_and_b32_e32 v37, v37, v38
	v_and_b32_e32 v38, v21, v19
	v_lshlrev_b32_e32 v19, 24, v20
	v_cmp_gt_i64_e32 vcc, 0, v[18:19]
	v_not_b32_e32 v19, v19
	v_ashrrev_i32_e32 v19, 31, v19
	v_xor_b32_e32 v20, vcc_hi, v19
	v_xor_b32_e32 v19, vcc_lo, v19
	; wave barrier
	ds_read_b32 v35, v39 offset:64
	v_and_b32_e32 v21, v37, v20
	v_and_b32_e32 v20, v38, v19
	v_mbcnt_lo_u32_b32 v19, v20, 0
	v_mbcnt_hi_u32_b32 v37, v21, v19
	v_cmp_eq_u32_e32 vcc, 0, v37
	v_cmp_ne_u64_e64 s[2:3], 0, v[20:21]
	s_and_b64 s[4:5], s[2:3], vcc
	; wave barrier
	s_and_saveexec_b64 s[2:3], s[4:5]
	s_cbranch_execz .LBB1546_77
; %bb.76:
	v_bcnt_u32_b32 v19, v20, 0
	v_bcnt_u32_b32 v19, v21, v19
	s_waitcnt lgkmcnt(0)
	v_add_u32_e32 v19, v35, v19
	ds_write_b32 v39, v19 offset:64
.LBB1546_77:
	s_or_b64 exec, exec, s[2:3]
	s_waitcnt vmcnt(2)
	v_xor_b32_e32 v13, 0x80000000, v13
	v_lshrrev_b64 v[20:21], s20, v[12:13]
	v_and_b32_e32 v20, s21, v20
	v_lshl_add_u32 v19, v20, 4, v20
	v_add_lshl_u32 v42, v32, v19, 2
	v_and_b32_e32 v19, 1, v20
	v_add_co_u32_e32 v21, vcc, -1, v19
	v_addc_co_u32_e64 v40, s[2:3], 0, -1, vcc
	v_cmp_ne_u32_e32 vcc, 0, v19
	v_xor_b32_e32 v19, vcc_hi, v40
	v_and_b32_e32 v40, exec_hi, v19
	v_lshlrev_b32_e32 v19, 30, v20
	v_xor_b32_e32 v21, vcc_lo, v21
	v_cmp_gt_i64_e32 vcc, 0, v[18:19]
	v_not_b32_e32 v19, v19
	v_ashrrev_i32_e32 v19, 31, v19
	v_and_b32_e32 v21, exec_lo, v21
	v_xor_b32_e32 v41, vcc_hi, v19
	v_xor_b32_e32 v19, vcc_lo, v19
	v_and_b32_e32 v21, v21, v19
	v_lshlrev_b32_e32 v19, 29, v20
	v_cmp_gt_i64_e32 vcc, 0, v[18:19]
	v_not_b32_e32 v19, v19
	v_ashrrev_i32_e32 v19, 31, v19
	v_and_b32_e32 v40, v40, v41
	v_xor_b32_e32 v41, vcc_hi, v19
	v_xor_b32_e32 v19, vcc_lo, v19
	v_and_b32_e32 v21, v21, v19
	v_lshlrev_b32_e32 v19, 28, v20
	v_cmp_gt_i64_e32 vcc, 0, v[18:19]
	v_not_b32_e32 v19, v19
	v_ashrrev_i32_e32 v19, 31, v19
	v_and_b32_e32 v40, v40, v41
	;; [unrolled: 8-line block ×5, first 2 shown]
	v_xor_b32_e32 v41, vcc_hi, v19
	v_xor_b32_e32 v19, vcc_lo, v19
	v_and_b32_e32 v21, v21, v19
	v_lshlrev_b32_e32 v19, 24, v20
	v_cmp_gt_i64_e32 vcc, 0, v[18:19]
	v_not_b32_e32 v18, v19
	v_ashrrev_i32_e32 v18, 31, v18
	v_xor_b32_e32 v19, vcc_hi, v18
	v_xor_b32_e32 v18, vcc_lo, v18
	; wave barrier
	ds_read_b32 v38, v42 offset:64
	v_and_b32_e32 v40, v40, v41
	v_and_b32_e32 v18, v21, v18
	;; [unrolled: 1-line block ×3, first 2 shown]
	v_mbcnt_lo_u32_b32 v20, v18, 0
	v_mbcnt_hi_u32_b32 v40, v19, v20
	v_cmp_eq_u32_e32 vcc, 0, v40
	v_cmp_ne_u64_e64 s[2:3], 0, v[18:19]
	s_and_b64 s[4:5], s[2:3], vcc
	; wave barrier
	s_and_saveexec_b64 s[2:3], s[4:5]
	s_cbranch_execz .LBB1546_79
; %bb.78:
	v_bcnt_u32_b32 v18, v18, 0
	v_bcnt_u32_b32 v18, v19, v18
	s_waitcnt lgkmcnt(0)
	v_add_u32_e32 v18, v38, v18
	ds_write_b32 v42, v18 offset:64
.LBB1546_79:
	s_or_b64 exec, exec, s[2:3]
	s_waitcnt vmcnt(1)
	v_xor_b32_e32 v15, 0x80000000, v15
	v_lshrrev_b64 v[18:19], s20, v[14:15]
	v_and_b32_e32 v20, s21, v18
	v_and_b32_e32 v19, 1, v20
	v_add_co_u32_e32 v21, vcc, -1, v19
	v_addc_co_u32_e64 v43, s[2:3], 0, -1, vcc
	v_cmp_ne_u32_e32 vcc, 0, v19
	v_lshl_add_u32 v18, v20, 4, v20
	v_xor_b32_e32 v19, vcc_hi, v43
	v_add_lshl_u32 v44, v32, v18, 2
	v_mov_b32_e32 v18, 0
	v_and_b32_e32 v43, exec_hi, v19
	v_lshlrev_b32_e32 v19, 30, v20
	v_xor_b32_e32 v21, vcc_lo, v21
	v_cmp_gt_i64_e32 vcc, 0, v[18:19]
	v_not_b32_e32 v19, v19
	v_ashrrev_i32_e32 v19, 31, v19
	v_and_b32_e32 v21, exec_lo, v21
	v_xor_b32_e32 v45, vcc_hi, v19
	v_xor_b32_e32 v19, vcc_lo, v19
	v_and_b32_e32 v21, v21, v19
	v_lshlrev_b32_e32 v19, 29, v20
	v_cmp_gt_i64_e32 vcc, 0, v[18:19]
	v_not_b32_e32 v19, v19
	v_ashrrev_i32_e32 v19, 31, v19
	v_and_b32_e32 v43, v43, v45
	v_xor_b32_e32 v45, vcc_hi, v19
	v_xor_b32_e32 v19, vcc_lo, v19
	v_and_b32_e32 v21, v21, v19
	v_lshlrev_b32_e32 v19, 28, v20
	v_cmp_gt_i64_e32 vcc, 0, v[18:19]
	v_not_b32_e32 v19, v19
	v_ashrrev_i32_e32 v19, 31, v19
	v_and_b32_e32 v43, v43, v45
	;; [unrolled: 8-line block ×5, first 2 shown]
	v_xor_b32_e32 v45, vcc_hi, v19
	v_xor_b32_e32 v19, vcc_lo, v19
	v_and_b32_e32 v43, v43, v45
	v_and_b32_e32 v45, v21, v19
	v_lshlrev_b32_e32 v19, 24, v20
	v_cmp_gt_i64_e32 vcc, 0, v[18:19]
	v_not_b32_e32 v19, v19
	v_ashrrev_i32_e32 v19, 31, v19
	v_xor_b32_e32 v20, vcc_hi, v19
	v_xor_b32_e32 v19, vcc_lo, v19
	; wave barrier
	ds_read_b32 v41, v44 offset:64
	v_and_b32_e32 v21, v43, v20
	v_and_b32_e32 v20, v45, v19
	v_mbcnt_lo_u32_b32 v19, v20, 0
	v_mbcnt_hi_u32_b32 v43, v21, v19
	v_cmp_eq_u32_e32 vcc, 0, v43
	v_cmp_ne_u64_e64 s[2:3], 0, v[20:21]
	s_and_b64 s[4:5], s[2:3], vcc
	; wave barrier
	s_and_saveexec_b64 s[2:3], s[4:5]
	s_cbranch_execz .LBB1546_81
; %bb.80:
	v_bcnt_u32_b32 v19, v20, 0
	v_bcnt_u32_b32 v19, v21, v19
	s_waitcnt lgkmcnt(0)
	v_add_u32_e32 v19, v41, v19
	ds_write_b32 v44, v19 offset:64
.LBB1546_81:
	s_or_b64 exec, exec, s[2:3]
	s_waitcnt vmcnt(0)
	v_xor_b32_e32 v17, 0x80000000, v17
	v_lshrrev_b64 v[20:21], s20, v[16:17]
	v_and_b32_e32 v20, s21, v20
	v_lshl_add_u32 v19, v20, 4, v20
	v_add_lshl_u32 v46, v32, v19, 2
	v_and_b32_e32 v19, 1, v20
	v_add_co_u32_e32 v21, vcc, -1, v19
	v_addc_co_u32_e64 v45, s[2:3], 0, -1, vcc
	v_cmp_ne_u32_e32 vcc, 0, v19
	v_xor_b32_e32 v19, vcc_hi, v45
	v_and_b32_e32 v45, exec_hi, v19
	v_lshlrev_b32_e32 v19, 30, v20
	v_xor_b32_e32 v21, vcc_lo, v21
	v_cmp_gt_i64_e32 vcc, 0, v[18:19]
	v_not_b32_e32 v19, v19
	v_ashrrev_i32_e32 v19, 31, v19
	v_and_b32_e32 v21, exec_lo, v21
	v_xor_b32_e32 v48, vcc_hi, v19
	v_xor_b32_e32 v19, vcc_lo, v19
	v_and_b32_e32 v21, v21, v19
	v_lshlrev_b32_e32 v19, 29, v20
	v_cmp_gt_i64_e32 vcc, 0, v[18:19]
	v_not_b32_e32 v19, v19
	v_ashrrev_i32_e32 v19, 31, v19
	v_and_b32_e32 v45, v45, v48
	v_xor_b32_e32 v48, vcc_hi, v19
	v_xor_b32_e32 v19, vcc_lo, v19
	v_and_b32_e32 v21, v21, v19
	v_lshlrev_b32_e32 v19, 28, v20
	v_cmp_gt_i64_e32 vcc, 0, v[18:19]
	v_not_b32_e32 v19, v19
	v_ashrrev_i32_e32 v19, 31, v19
	v_and_b32_e32 v45, v45, v48
	;; [unrolled: 8-line block ×5, first 2 shown]
	v_xor_b32_e32 v48, vcc_hi, v19
	v_xor_b32_e32 v19, vcc_lo, v19
	v_and_b32_e32 v21, v21, v19
	v_lshlrev_b32_e32 v19, 24, v20
	v_cmp_gt_i64_e32 vcc, 0, v[18:19]
	v_not_b32_e32 v18, v19
	v_ashrrev_i32_e32 v18, 31, v18
	v_xor_b32_e32 v19, vcc_hi, v18
	v_xor_b32_e32 v18, vcc_lo, v18
	; wave barrier
	ds_read_b32 v32, v46 offset:64
	v_and_b32_e32 v45, v45, v48
	v_and_b32_e32 v18, v21, v18
	;; [unrolled: 1-line block ×3, first 2 shown]
	v_mbcnt_lo_u32_b32 v20, v18, 0
	v_mbcnt_hi_u32_b32 v45, v19, v20
	v_cmp_eq_u32_e32 vcc, 0, v45
	v_cmp_ne_u64_e64 s[2:3], 0, v[18:19]
	v_add_u32_e32 v47, 64, v23
	s_and_b64 s[4:5], s[2:3], vcc
	; wave barrier
	s_and_saveexec_b64 s[2:3], s[4:5]
	s_cbranch_execz .LBB1546_83
; %bb.82:
	v_bcnt_u32_b32 v18, v18, 0
	v_bcnt_u32_b32 v18, v19, v18
	s_waitcnt lgkmcnt(0)
	v_add_u32_e32 v18, v32, v18
	ds_write_b32 v46, v18 offset:64
.LBB1546_83:
	s_or_b64 exec, exec, s[2:3]
	; wave barrier
	s_waitcnt lgkmcnt(0)
	s_barrier
	ds_read2_b32 v[20:21], v23 offset0:16 offset1:17
	ds_read2_b32 v[18:19], v47 offset0:2 offset1:3
	ds_read_b32 v48, v47 offset:16
	v_cmp_lt_u32_e64 s[8:9], 31, v22
	s_waitcnt lgkmcnt(1)
	v_add3_u32 v49, v21, v20, v18
	s_waitcnt lgkmcnt(0)
	v_add3_u32 v48, v49, v19, v48
	v_and_b32_e32 v49, 15, v22
	v_cmp_eq_u32_e32 vcc, 0, v49
	v_mov_b32_dpp v50, v48 row_shr:1 row_mask:0xf bank_mask:0xf
	v_cndmask_b32_e64 v50, v50, 0, vcc
	v_add_u32_e32 v48, v50, v48
	v_cmp_lt_u32_e64 s[2:3], 1, v49
	v_cmp_lt_u32_e64 s[4:5], 3, v49
	v_mov_b32_dpp v50, v48 row_shr:2 row_mask:0xf bank_mask:0xf
	v_cndmask_b32_e64 v50, 0, v50, s[2:3]
	v_add_u32_e32 v48, v48, v50
	v_cmp_lt_u32_e64 s[6:7], 7, v49
	s_nop 0
	v_mov_b32_dpp v50, v48 row_shr:4 row_mask:0xf bank_mask:0xf
	v_cndmask_b32_e64 v50, 0, v50, s[4:5]
	v_add_u32_e32 v48, v48, v50
	s_nop 1
	v_mov_b32_dpp v50, v48 row_shr:8 row_mask:0xf bank_mask:0xf
	v_cndmask_b32_e64 v49, 0, v50, s[6:7]
	v_add_u32_e32 v48, v48, v49
	v_bfe_i32 v50, v22, 4, 1
	s_nop 0
	v_mov_b32_dpp v49, v48 row_bcast:15 row_mask:0xf bank_mask:0xf
	v_and_b32_e32 v49, v50, v49
	v_add_u32_e32 v48, v48, v49
	v_and_b32_e32 v50, 63, v2
	s_nop 0
	v_mov_b32_dpp v49, v48 row_bcast:31 row_mask:0xf bank_mask:0xf
	v_cndmask_b32_e64 v49, 0, v49, s[8:9]
	v_add_u32_e32 v48, v48, v49
	v_lshrrev_b32_e32 v49, 6, v2
	v_cmp_eq_u32_e64 s[8:9], 63, v50
	s_and_saveexec_b64 s[12:13], s[8:9]
	s_cbranch_execz .LBB1546_85
; %bb.84:
	v_lshlrev_b32_e32 v50, 2, v49
	ds_write_b32 v50, v48
.LBB1546_85:
	s_or_b64 exec, exec, s[12:13]
	v_cmp_gt_u32_e64 s[8:9], 16, v2
	s_waitcnt lgkmcnt(0)
	s_barrier
	s_and_saveexec_b64 s[12:13], s[8:9]
	s_cbranch_execz .LBB1546_87
; %bb.86:
	v_lshlrev_b32_e32 v50, 2, v2
	ds_read_b32 v51, v50
	s_waitcnt lgkmcnt(0)
	s_nop 0
	v_mov_b32_dpp v52, v51 row_shr:1 row_mask:0xf bank_mask:0xf
	v_cndmask_b32_e64 v52, v52, 0, vcc
	v_add_u32_e32 v51, v52, v51
	s_nop 1
	v_mov_b32_dpp v52, v51 row_shr:2 row_mask:0xf bank_mask:0xf
	v_cndmask_b32_e64 v52, 0, v52, s[2:3]
	v_add_u32_e32 v51, v51, v52
	s_nop 1
	v_mov_b32_dpp v52, v51 row_shr:4 row_mask:0xf bank_mask:0xf
	v_cndmask_b32_e64 v52, 0, v52, s[4:5]
	;; [unrolled: 4-line block ×3, first 2 shown]
	v_add_u32_e32 v51, v51, v52
	ds_write_b32 v50, v51
.LBB1546_87:
	s_or_b64 exec, exec, s[12:13]
	v_cmp_lt_u32_e32 vcc, 63, v2
	v_mov_b32_e32 v50, 0
	s_waitcnt lgkmcnt(0)
	s_barrier
	s_and_saveexec_b64 s[2:3], vcc
	s_cbranch_execz .LBB1546_89
; %bb.88:
	v_lshl_add_u32 v49, v49, 2, -4
	ds_read_b32 v50, v49
.LBB1546_89:
	s_or_b64 exec, exec, s[2:3]
	v_add_u32_e32 v49, -1, v22
	v_and_b32_e32 v51, 64, v22
	v_cmp_lt_i32_e32 vcc, v49, v51
	v_cndmask_b32_e32 v49, v49, v22, vcc
	s_waitcnt lgkmcnt(0)
	v_add_u32_e32 v48, v50, v48
	v_lshlrev_b32_e32 v49, 2, v49
	ds_bpermute_b32 v48, v49, v48
	v_cmp_eq_u32_e32 vcc, 0, v22
	s_waitcnt lgkmcnt(0)
	v_cndmask_b32_e32 v22, v48, v50, vcc
	v_cndmask_b32_e64 v22, v22, 0, s[0:1]
	v_add_u32_e32 v20, v22, v20
	v_add_u32_e32 v21, v20, v21
	;; [unrolled: 1-line block ×4, first 2 shown]
	ds_write2_b32 v23, v22, v20 offset0:16 offset1:17
	ds_write2_b32 v47, v21, v18 offset0:2 offset1:3
	ds_write_b32 v47, v19 offset:16
	s_waitcnt lgkmcnt(0)
	s_barrier
	ds_read_b32 v48, v26 offset:64
	ds_read_b32 v47, v29 offset:64
	;; [unrolled: 1-line block ×8, first 2 shown]
	s_movk_i32 s0, 0x100
	v_cmp_gt_u32_e32 vcc, s0, v2
                                        ; implicit-def: $vgpr26
                                        ; implicit-def: $vgpr29
	s_and_saveexec_b64 s[2:3], vcc
	s_cbranch_execz .LBB1546_93
; %bb.90:
	v_mul_u32_u24_e32 v18, 17, v2
	v_lshlrev_b32_e32 v19, 2, v18
	ds_read_b32 v26, v19 offset:64
	s_movk_i32 s0, 0xff
	v_cmp_ne_u32_e64 s[0:1], s0, v2
	v_mov_b32_e32 v18, 0x2000
	s_and_saveexec_b64 s[4:5], s[0:1]
	s_cbranch_execz .LBB1546_92
; %bb.91:
	ds_read_b32 v18, v19 offset:132
.LBB1546_92:
	s_or_b64 exec, exec, s[4:5]
	s_waitcnt lgkmcnt(0)
	v_sub_u32_e32 v29, v18, v26
.LBB1546_93:
	s_or_b64 exec, exec, s[2:3]
	s_waitcnt lgkmcnt(0)
	s_barrier
	s_and_saveexec_b64 s[2:3], vcc
	s_cbranch_execz .LBB1546_103
; %bb.94:
	v_lshl_or_b32 v18, s28, 8, v2
	v_mov_b32_e32 v19, 0
	v_lshlrev_b64 v[20:21], 2, v[18:19]
	v_mov_b32_e32 v49, s15
	v_add_co_u32_e64 v20, s[0:1], s14, v20
	v_addc_co_u32_e64 v21, s[0:1], v49, v21, s[0:1]
	v_or_b32_e32 v18, 2.0, v29
	s_mov_b64 s[4:5], 0
	s_brev_b32 s12, 1
	s_mov_b32 s13, s28
	v_mov_b32_e32 v50, 0
	global_store_dword v[20:21], v18, off
                                        ; implicit-def: $sgpr0_sgpr1
	s_branch .LBB1546_97
.LBB1546_95:                            ;   in Loop: Header=BB1546_97 Depth=1
	s_or_b64 exec, exec, s[8:9]
.LBB1546_96:                            ;   in Loop: Header=BB1546_97 Depth=1
	s_or_b64 exec, exec, s[6:7]
	v_and_b32_e32 v22, 0x3fffffff, v51
	v_add_u32_e32 v50, v22, v50
	v_cmp_eq_u32_e64 s[0:1], s12, v18
	s_and_b64 s[6:7], exec, s[0:1]
	s_or_b64 s[4:5], s[6:7], s[4:5]
	s_andn2_b64 exec, exec, s[4:5]
	s_cbranch_execz .LBB1546_102
.LBB1546_97:                            ; =>This Loop Header: Depth=1
                                        ;     Child Loop BB1546_100 Depth 2
	s_or_b64 s[0:1], s[0:1], exec
	s_cmp_eq_u32 s13, 0
	s_cbranch_scc1 .LBB1546_101
; %bb.98:                               ;   in Loop: Header=BB1546_97 Depth=1
	s_add_i32 s13, s13, -1
	v_lshl_or_b32 v18, s13, 8, v2
	v_lshlrev_b64 v[22:23], 2, v[18:19]
	v_add_co_u32_e64 v22, s[0:1], s14, v22
	v_addc_co_u32_e64 v23, s[0:1], v49, v23, s[0:1]
	global_load_dword v51, v[22:23], off glc
	s_waitcnt vmcnt(0)
	v_and_b32_e32 v18, -2.0, v51
	v_cmp_eq_u32_e64 s[0:1], 0, v18
	s_and_saveexec_b64 s[6:7], s[0:1]
	s_cbranch_execz .LBB1546_96
; %bb.99:                               ;   in Loop: Header=BB1546_97 Depth=1
	s_mov_b64 s[8:9], 0
.LBB1546_100:                           ;   Parent Loop BB1546_97 Depth=1
                                        ; =>  This Inner Loop Header: Depth=2
	global_load_dword v51, v[22:23], off glc
	s_waitcnt vmcnt(0)
	v_and_b32_e32 v18, -2.0, v51
	v_cmp_ne_u32_e64 s[0:1], 0, v18
	s_or_b64 s[8:9], s[0:1], s[8:9]
	s_andn2_b64 exec, exec, s[8:9]
	s_cbranch_execnz .LBB1546_100
	s_branch .LBB1546_95
.LBB1546_101:                           ;   in Loop: Header=BB1546_97 Depth=1
                                        ; implicit-def: $sgpr13
	s_and_b64 s[6:7], exec, s[0:1]
	s_or_b64 s[4:5], s[6:7], s[4:5]
	s_andn2_b64 exec, exec, s[4:5]
	s_cbranch_execnz .LBB1546_97
.LBB1546_102:
	s_or_b64 exec, exec, s[4:5]
	v_add_u32_e32 v18, v50, v29
	v_or_b32_e32 v18, 0x80000000, v18
	global_store_dword v[20:21], v18, off
	v_lshlrev_b32_e32 v18, 2, v2
	global_load_dword v19, v18, s[16:17]
	v_sub_u32_e32 v20, v50, v26
	s_waitcnt vmcnt(0)
	v_add_u32_e32 v19, v20, v19
	ds_write_b32 v18, v19
.LBB1546_103:
	s_or_b64 exec, exec, s[2:3]
	v_add_u32_e32 v20, v48, v24
	s_movk_i32 s2, 0x400
	v_add_u32_e32 v21, 0x400, v3
	v_add3_u32 v22, v45, v46, v32
	v_add3_u32 v23, v43, v44, v41
	;; [unrolled: 1-line block ×7, first 2 shown]
	s_mov_b32 s3, 0
	v_mov_b32_e32 v27, s27
	v_mov_b32_e32 v19, 0
	;; [unrolled: 1-line block ×3, first 2 shown]
.LBB1546_104:                           ; =>This Inner Loop Header: Depth=1
	v_add_u32_e32 v18, s3, v20
	v_add_u32_e32 v34, s3, v28
	;; [unrolled: 1-line block ×8, first 2 shown]
	v_min_u32_e32 v18, 0x800, v18
	v_min_u32_e32 v34, 0x800, v34
	;; [unrolled: 1-line block ×8, first 2 shown]
	v_lshlrev_b32_e32 v18, 3, v18
	v_lshlrev_b32_e32 v34, 3, v34
	;; [unrolled: 1-line block ×8, first 2 shown]
	ds_write_b64 v18, v[4:5] offset:1024
	ds_write_b64 v33, v[0:1] offset:1024
	;; [unrolled: 1-line block ×8, first 2 shown]
	s_waitcnt lgkmcnt(0)
	s_barrier
	ds_read_b64 v[34:35], v3 offset:1024
	s_addk_i32 s3, 0xf800
	s_cmpk_lg_i32 s3, 0xe000
	s_waitcnt lgkmcnt(0)
	v_lshrrev_b64 v[36:37], s20, v[34:35]
	v_and_b32_e32 v18, s21, v36
	v_lshlrev_b32_e32 v18, 2, v18
	ds_read_b32 v18, v18
	ds_read_b64 v[36:37], v21 offset:8192
	v_xor_b32_e32 v35, 0x80000000, v35
	s_waitcnt lgkmcnt(1)
	v_add_u32_e32 v18, v30, v18
	s_waitcnt lgkmcnt(0)
	v_lshrrev_b64 v[38:39], s20, v[36:37]
	v_lshlrev_b64 v[40:41], 3, v[18:19]
	v_and_b32_e32 v18, s21, v38
	v_lshlrev_b32_e32 v18, 2, v18
	ds_read_b32 v18, v18
	v_add_co_u32_e64 v38, s[0:1], s26, v40
	v_addc_co_u32_e64 v39, s[0:1], v27, v41, s[0:1]
	s_waitcnt lgkmcnt(0)
	v_add3_u32 v18, v30, v18, s2
	global_store_dwordx2 v[38:39], v[34:35], off
	v_lshlrev_b64 v[34:35], 3, v[18:19]
	v_add_co_u32_e64 v34, s[0:1], s26, v34
	v_xor_b32_e32 v37, 0x80000000, v37
	v_add_u32_e32 v30, 0x800, v30
	v_addc_co_u32_e64 v35, s[0:1], v27, v35, s[0:1]
	global_store_dwordx2 v[34:35], v[36:37], off
	s_barrier
	s_cbranch_scc1 .LBB1546_104
; %bb.105:
	s_add_i32 s22, s22, -1
	s_cmp_eq_u32 s22, s28
	s_cselect_b64 s[0:1], -1, 0
	s_and_b64 s[2:3], vcc, s[0:1]
                                        ; implicit-def: $vgpr4
	s_and_saveexec_b64 s[0:1], s[2:3]
; %bb.106:
	v_add_u32_e32 v4, v26, v29
	s_or_b64 s[10:11], s[10:11], exec
; %bb.107:
	s_or_b64 exec, exec, s[0:1]
.LBB1546_108:
	s_and_saveexec_b64 s[0:1], s[10:11]
	s_cbranch_execnz .LBB1546_110
; %bb.109:
	s_endpgm
.LBB1546_110:
	v_lshlrev_b32_e32 v0, 2, v2
	ds_read_b32 v1, v0
	s_waitcnt lgkmcnt(0)
	v_add_u32_e32 v1, v1, v4
	global_store_dword v0, v1, s[18:19]
	s_endpgm
	.section	.rodata,"a",@progbits
	.p2align	6, 0x0
	.amdhsa_kernel _ZN7rocprim17ROCPRIM_400000_NS6detail17trampoline_kernelINS0_14default_configENS1_35radix_sort_onesweep_config_selectorIxNS0_10empty_typeEEEZZNS1_29radix_sort_onesweep_iterationIS3_Lb0EN6thrust23THRUST_200600_302600_NS6detail15normal_iteratorINS9_10device_ptrIxEEEESE_PS5_SF_jNS0_19identity_decomposerENS1_16block_id_wrapperIjLb1EEEEE10hipError_tT1_PNSt15iterator_traitsISK_E10value_typeET2_T3_PNSL_ISQ_E10value_typeET4_T5_PSV_SW_PNS1_23onesweep_lookback_stateEbbT6_jjT7_P12ihipStream_tbENKUlT_T0_SK_SP_E_clISE_SE_SF_SF_EEDaS13_S14_SK_SP_EUlS13_E_NS1_11comp_targetILNS1_3genE4ELNS1_11target_archE910ELNS1_3gpuE8ELNS1_3repE0EEENS1_47radix_sort_onesweep_sort_config_static_selectorELNS0_4arch9wavefront6targetE1EEEvSK_
		.amdhsa_group_segment_fixed_size 20552
		.amdhsa_private_segment_fixed_size 0
		.amdhsa_kernarg_size 344
		.amdhsa_user_sgpr_count 6
		.amdhsa_user_sgpr_private_segment_buffer 1
		.amdhsa_user_sgpr_dispatch_ptr 0
		.amdhsa_user_sgpr_queue_ptr 0
		.amdhsa_user_sgpr_kernarg_segment_ptr 1
		.amdhsa_user_sgpr_dispatch_id 0
		.amdhsa_user_sgpr_flat_scratch_init 0
		.amdhsa_user_sgpr_kernarg_preload_length 0
		.amdhsa_user_sgpr_kernarg_preload_offset 0
		.amdhsa_user_sgpr_private_segment_size 0
		.amdhsa_uses_dynamic_stack 0
		.amdhsa_system_sgpr_private_segment_wavefront_offset 0
		.amdhsa_system_sgpr_workgroup_id_x 1
		.amdhsa_system_sgpr_workgroup_id_y 0
		.amdhsa_system_sgpr_workgroup_id_z 0
		.amdhsa_system_sgpr_workgroup_info 0
		.amdhsa_system_vgpr_workitem_id 2
		.amdhsa_next_free_vgpr 55
		.amdhsa_next_free_sgpr 34
		.amdhsa_accum_offset 56
		.amdhsa_reserve_vcc 1
		.amdhsa_reserve_flat_scratch 0
		.amdhsa_float_round_mode_32 0
		.amdhsa_float_round_mode_16_64 0
		.amdhsa_float_denorm_mode_32 3
		.amdhsa_float_denorm_mode_16_64 3
		.amdhsa_dx10_clamp 1
		.amdhsa_ieee_mode 1
		.amdhsa_fp16_overflow 0
		.amdhsa_tg_split 0
		.amdhsa_exception_fp_ieee_invalid_op 0
		.amdhsa_exception_fp_denorm_src 0
		.amdhsa_exception_fp_ieee_div_zero 0
		.amdhsa_exception_fp_ieee_overflow 0
		.amdhsa_exception_fp_ieee_underflow 0
		.amdhsa_exception_fp_ieee_inexact 0
		.amdhsa_exception_int_div_zero 0
	.end_amdhsa_kernel
	.section	.text._ZN7rocprim17ROCPRIM_400000_NS6detail17trampoline_kernelINS0_14default_configENS1_35radix_sort_onesweep_config_selectorIxNS0_10empty_typeEEEZZNS1_29radix_sort_onesweep_iterationIS3_Lb0EN6thrust23THRUST_200600_302600_NS6detail15normal_iteratorINS9_10device_ptrIxEEEESE_PS5_SF_jNS0_19identity_decomposerENS1_16block_id_wrapperIjLb1EEEEE10hipError_tT1_PNSt15iterator_traitsISK_E10value_typeET2_T3_PNSL_ISQ_E10value_typeET4_T5_PSV_SW_PNS1_23onesweep_lookback_stateEbbT6_jjT7_P12ihipStream_tbENKUlT_T0_SK_SP_E_clISE_SE_SF_SF_EEDaS13_S14_SK_SP_EUlS13_E_NS1_11comp_targetILNS1_3genE4ELNS1_11target_archE910ELNS1_3gpuE8ELNS1_3repE0EEENS1_47radix_sort_onesweep_sort_config_static_selectorELNS0_4arch9wavefront6targetE1EEEvSK_,"axG",@progbits,_ZN7rocprim17ROCPRIM_400000_NS6detail17trampoline_kernelINS0_14default_configENS1_35radix_sort_onesweep_config_selectorIxNS0_10empty_typeEEEZZNS1_29radix_sort_onesweep_iterationIS3_Lb0EN6thrust23THRUST_200600_302600_NS6detail15normal_iteratorINS9_10device_ptrIxEEEESE_PS5_SF_jNS0_19identity_decomposerENS1_16block_id_wrapperIjLb1EEEEE10hipError_tT1_PNSt15iterator_traitsISK_E10value_typeET2_T3_PNSL_ISQ_E10value_typeET4_T5_PSV_SW_PNS1_23onesweep_lookback_stateEbbT6_jjT7_P12ihipStream_tbENKUlT_T0_SK_SP_E_clISE_SE_SF_SF_EEDaS13_S14_SK_SP_EUlS13_E_NS1_11comp_targetILNS1_3genE4ELNS1_11target_archE910ELNS1_3gpuE8ELNS1_3repE0EEENS1_47radix_sort_onesweep_sort_config_static_selectorELNS0_4arch9wavefront6targetE1EEEvSK_,comdat
.Lfunc_end1546:
	.size	_ZN7rocprim17ROCPRIM_400000_NS6detail17trampoline_kernelINS0_14default_configENS1_35radix_sort_onesweep_config_selectorIxNS0_10empty_typeEEEZZNS1_29radix_sort_onesweep_iterationIS3_Lb0EN6thrust23THRUST_200600_302600_NS6detail15normal_iteratorINS9_10device_ptrIxEEEESE_PS5_SF_jNS0_19identity_decomposerENS1_16block_id_wrapperIjLb1EEEEE10hipError_tT1_PNSt15iterator_traitsISK_E10value_typeET2_T3_PNSL_ISQ_E10value_typeET4_T5_PSV_SW_PNS1_23onesweep_lookback_stateEbbT6_jjT7_P12ihipStream_tbENKUlT_T0_SK_SP_E_clISE_SE_SF_SF_EEDaS13_S14_SK_SP_EUlS13_E_NS1_11comp_targetILNS1_3genE4ELNS1_11target_archE910ELNS1_3gpuE8ELNS1_3repE0EEENS1_47radix_sort_onesweep_sort_config_static_selectorELNS0_4arch9wavefront6targetE1EEEvSK_, .Lfunc_end1546-_ZN7rocprim17ROCPRIM_400000_NS6detail17trampoline_kernelINS0_14default_configENS1_35radix_sort_onesweep_config_selectorIxNS0_10empty_typeEEEZZNS1_29radix_sort_onesweep_iterationIS3_Lb0EN6thrust23THRUST_200600_302600_NS6detail15normal_iteratorINS9_10device_ptrIxEEEESE_PS5_SF_jNS0_19identity_decomposerENS1_16block_id_wrapperIjLb1EEEEE10hipError_tT1_PNSt15iterator_traitsISK_E10value_typeET2_T3_PNSL_ISQ_E10value_typeET4_T5_PSV_SW_PNS1_23onesweep_lookback_stateEbbT6_jjT7_P12ihipStream_tbENKUlT_T0_SK_SP_E_clISE_SE_SF_SF_EEDaS13_S14_SK_SP_EUlS13_E_NS1_11comp_targetILNS1_3genE4ELNS1_11target_archE910ELNS1_3gpuE8ELNS1_3repE0EEENS1_47radix_sort_onesweep_sort_config_static_selectorELNS0_4arch9wavefront6targetE1EEEvSK_
                                        ; -- End function
	.section	.AMDGPU.csdata,"",@progbits
; Kernel info:
; codeLenInByte = 10488
; NumSgprs: 38
; NumVgprs: 55
; NumAgprs: 0
; TotalNumVgprs: 55
; ScratchSize: 0
; MemoryBound: 0
; FloatMode: 240
; IeeeMode: 1
; LDSByteSize: 20552 bytes/workgroup (compile time only)
; SGPRBlocks: 4
; VGPRBlocks: 6
; NumSGPRsForWavesPerEU: 38
; NumVGPRsForWavesPerEU: 55
; AccumOffset: 56
; Occupancy: 8
; WaveLimiterHint : 1
; COMPUTE_PGM_RSRC2:SCRATCH_EN: 0
; COMPUTE_PGM_RSRC2:USER_SGPR: 6
; COMPUTE_PGM_RSRC2:TRAP_HANDLER: 0
; COMPUTE_PGM_RSRC2:TGID_X_EN: 1
; COMPUTE_PGM_RSRC2:TGID_Y_EN: 0
; COMPUTE_PGM_RSRC2:TGID_Z_EN: 0
; COMPUTE_PGM_RSRC2:TIDIG_COMP_CNT: 2
; COMPUTE_PGM_RSRC3_GFX90A:ACCUM_OFFSET: 13
; COMPUTE_PGM_RSRC3_GFX90A:TG_SPLIT: 0
	.section	.text._ZN7rocprim17ROCPRIM_400000_NS6detail17trampoline_kernelINS0_14default_configENS1_35radix_sort_onesweep_config_selectorIxNS0_10empty_typeEEEZZNS1_29radix_sort_onesweep_iterationIS3_Lb0EN6thrust23THRUST_200600_302600_NS6detail15normal_iteratorINS9_10device_ptrIxEEEESE_PS5_SF_jNS0_19identity_decomposerENS1_16block_id_wrapperIjLb1EEEEE10hipError_tT1_PNSt15iterator_traitsISK_E10value_typeET2_T3_PNSL_ISQ_E10value_typeET4_T5_PSV_SW_PNS1_23onesweep_lookback_stateEbbT6_jjT7_P12ihipStream_tbENKUlT_T0_SK_SP_E_clISE_SE_SF_SF_EEDaS13_S14_SK_SP_EUlS13_E_NS1_11comp_targetILNS1_3genE3ELNS1_11target_archE908ELNS1_3gpuE7ELNS1_3repE0EEENS1_47radix_sort_onesweep_sort_config_static_selectorELNS0_4arch9wavefront6targetE1EEEvSK_,"axG",@progbits,_ZN7rocprim17ROCPRIM_400000_NS6detail17trampoline_kernelINS0_14default_configENS1_35radix_sort_onesweep_config_selectorIxNS0_10empty_typeEEEZZNS1_29radix_sort_onesweep_iterationIS3_Lb0EN6thrust23THRUST_200600_302600_NS6detail15normal_iteratorINS9_10device_ptrIxEEEESE_PS5_SF_jNS0_19identity_decomposerENS1_16block_id_wrapperIjLb1EEEEE10hipError_tT1_PNSt15iterator_traitsISK_E10value_typeET2_T3_PNSL_ISQ_E10value_typeET4_T5_PSV_SW_PNS1_23onesweep_lookback_stateEbbT6_jjT7_P12ihipStream_tbENKUlT_T0_SK_SP_E_clISE_SE_SF_SF_EEDaS13_S14_SK_SP_EUlS13_E_NS1_11comp_targetILNS1_3genE3ELNS1_11target_archE908ELNS1_3gpuE7ELNS1_3repE0EEENS1_47radix_sort_onesweep_sort_config_static_selectorELNS0_4arch9wavefront6targetE1EEEvSK_,comdat
	.protected	_ZN7rocprim17ROCPRIM_400000_NS6detail17trampoline_kernelINS0_14default_configENS1_35radix_sort_onesweep_config_selectorIxNS0_10empty_typeEEEZZNS1_29radix_sort_onesweep_iterationIS3_Lb0EN6thrust23THRUST_200600_302600_NS6detail15normal_iteratorINS9_10device_ptrIxEEEESE_PS5_SF_jNS0_19identity_decomposerENS1_16block_id_wrapperIjLb1EEEEE10hipError_tT1_PNSt15iterator_traitsISK_E10value_typeET2_T3_PNSL_ISQ_E10value_typeET4_T5_PSV_SW_PNS1_23onesweep_lookback_stateEbbT6_jjT7_P12ihipStream_tbENKUlT_T0_SK_SP_E_clISE_SE_SF_SF_EEDaS13_S14_SK_SP_EUlS13_E_NS1_11comp_targetILNS1_3genE3ELNS1_11target_archE908ELNS1_3gpuE7ELNS1_3repE0EEENS1_47radix_sort_onesweep_sort_config_static_selectorELNS0_4arch9wavefront6targetE1EEEvSK_ ; -- Begin function _ZN7rocprim17ROCPRIM_400000_NS6detail17trampoline_kernelINS0_14default_configENS1_35radix_sort_onesweep_config_selectorIxNS0_10empty_typeEEEZZNS1_29radix_sort_onesweep_iterationIS3_Lb0EN6thrust23THRUST_200600_302600_NS6detail15normal_iteratorINS9_10device_ptrIxEEEESE_PS5_SF_jNS0_19identity_decomposerENS1_16block_id_wrapperIjLb1EEEEE10hipError_tT1_PNSt15iterator_traitsISK_E10value_typeET2_T3_PNSL_ISQ_E10value_typeET4_T5_PSV_SW_PNS1_23onesweep_lookback_stateEbbT6_jjT7_P12ihipStream_tbENKUlT_T0_SK_SP_E_clISE_SE_SF_SF_EEDaS13_S14_SK_SP_EUlS13_E_NS1_11comp_targetILNS1_3genE3ELNS1_11target_archE908ELNS1_3gpuE7ELNS1_3repE0EEENS1_47radix_sort_onesweep_sort_config_static_selectorELNS0_4arch9wavefront6targetE1EEEvSK_
	.globl	_ZN7rocprim17ROCPRIM_400000_NS6detail17trampoline_kernelINS0_14default_configENS1_35radix_sort_onesweep_config_selectorIxNS0_10empty_typeEEEZZNS1_29radix_sort_onesweep_iterationIS3_Lb0EN6thrust23THRUST_200600_302600_NS6detail15normal_iteratorINS9_10device_ptrIxEEEESE_PS5_SF_jNS0_19identity_decomposerENS1_16block_id_wrapperIjLb1EEEEE10hipError_tT1_PNSt15iterator_traitsISK_E10value_typeET2_T3_PNSL_ISQ_E10value_typeET4_T5_PSV_SW_PNS1_23onesweep_lookback_stateEbbT6_jjT7_P12ihipStream_tbENKUlT_T0_SK_SP_E_clISE_SE_SF_SF_EEDaS13_S14_SK_SP_EUlS13_E_NS1_11comp_targetILNS1_3genE3ELNS1_11target_archE908ELNS1_3gpuE7ELNS1_3repE0EEENS1_47radix_sort_onesweep_sort_config_static_selectorELNS0_4arch9wavefront6targetE1EEEvSK_
	.p2align	8
	.type	_ZN7rocprim17ROCPRIM_400000_NS6detail17trampoline_kernelINS0_14default_configENS1_35radix_sort_onesweep_config_selectorIxNS0_10empty_typeEEEZZNS1_29radix_sort_onesweep_iterationIS3_Lb0EN6thrust23THRUST_200600_302600_NS6detail15normal_iteratorINS9_10device_ptrIxEEEESE_PS5_SF_jNS0_19identity_decomposerENS1_16block_id_wrapperIjLb1EEEEE10hipError_tT1_PNSt15iterator_traitsISK_E10value_typeET2_T3_PNSL_ISQ_E10value_typeET4_T5_PSV_SW_PNS1_23onesweep_lookback_stateEbbT6_jjT7_P12ihipStream_tbENKUlT_T0_SK_SP_E_clISE_SE_SF_SF_EEDaS13_S14_SK_SP_EUlS13_E_NS1_11comp_targetILNS1_3genE3ELNS1_11target_archE908ELNS1_3gpuE7ELNS1_3repE0EEENS1_47radix_sort_onesweep_sort_config_static_selectorELNS0_4arch9wavefront6targetE1EEEvSK_,@function
_ZN7rocprim17ROCPRIM_400000_NS6detail17trampoline_kernelINS0_14default_configENS1_35radix_sort_onesweep_config_selectorIxNS0_10empty_typeEEEZZNS1_29radix_sort_onesweep_iterationIS3_Lb0EN6thrust23THRUST_200600_302600_NS6detail15normal_iteratorINS9_10device_ptrIxEEEESE_PS5_SF_jNS0_19identity_decomposerENS1_16block_id_wrapperIjLb1EEEEE10hipError_tT1_PNSt15iterator_traitsISK_E10value_typeET2_T3_PNSL_ISQ_E10value_typeET4_T5_PSV_SW_PNS1_23onesweep_lookback_stateEbbT6_jjT7_P12ihipStream_tbENKUlT_T0_SK_SP_E_clISE_SE_SF_SF_EEDaS13_S14_SK_SP_EUlS13_E_NS1_11comp_targetILNS1_3genE3ELNS1_11target_archE908ELNS1_3gpuE7ELNS1_3repE0EEENS1_47radix_sort_onesweep_sort_config_static_selectorELNS0_4arch9wavefront6targetE1EEEvSK_: ; @_ZN7rocprim17ROCPRIM_400000_NS6detail17trampoline_kernelINS0_14default_configENS1_35radix_sort_onesweep_config_selectorIxNS0_10empty_typeEEEZZNS1_29radix_sort_onesweep_iterationIS3_Lb0EN6thrust23THRUST_200600_302600_NS6detail15normal_iteratorINS9_10device_ptrIxEEEESE_PS5_SF_jNS0_19identity_decomposerENS1_16block_id_wrapperIjLb1EEEEE10hipError_tT1_PNSt15iterator_traitsISK_E10value_typeET2_T3_PNSL_ISQ_E10value_typeET4_T5_PSV_SW_PNS1_23onesweep_lookback_stateEbbT6_jjT7_P12ihipStream_tbENKUlT_T0_SK_SP_E_clISE_SE_SF_SF_EEDaS13_S14_SK_SP_EUlS13_E_NS1_11comp_targetILNS1_3genE3ELNS1_11target_archE908ELNS1_3gpuE7ELNS1_3repE0EEENS1_47radix_sort_onesweep_sort_config_static_selectorELNS0_4arch9wavefront6targetE1EEEvSK_
; %bb.0:
	.section	.rodata,"a",@progbits
	.p2align	6, 0x0
	.amdhsa_kernel _ZN7rocprim17ROCPRIM_400000_NS6detail17trampoline_kernelINS0_14default_configENS1_35radix_sort_onesweep_config_selectorIxNS0_10empty_typeEEEZZNS1_29radix_sort_onesweep_iterationIS3_Lb0EN6thrust23THRUST_200600_302600_NS6detail15normal_iteratorINS9_10device_ptrIxEEEESE_PS5_SF_jNS0_19identity_decomposerENS1_16block_id_wrapperIjLb1EEEEE10hipError_tT1_PNSt15iterator_traitsISK_E10value_typeET2_T3_PNSL_ISQ_E10value_typeET4_T5_PSV_SW_PNS1_23onesweep_lookback_stateEbbT6_jjT7_P12ihipStream_tbENKUlT_T0_SK_SP_E_clISE_SE_SF_SF_EEDaS13_S14_SK_SP_EUlS13_E_NS1_11comp_targetILNS1_3genE3ELNS1_11target_archE908ELNS1_3gpuE7ELNS1_3repE0EEENS1_47radix_sort_onesweep_sort_config_static_selectorELNS0_4arch9wavefront6targetE1EEEvSK_
		.amdhsa_group_segment_fixed_size 0
		.amdhsa_private_segment_fixed_size 0
		.amdhsa_kernarg_size 88
		.amdhsa_user_sgpr_count 6
		.amdhsa_user_sgpr_private_segment_buffer 1
		.amdhsa_user_sgpr_dispatch_ptr 0
		.amdhsa_user_sgpr_queue_ptr 0
		.amdhsa_user_sgpr_kernarg_segment_ptr 1
		.amdhsa_user_sgpr_dispatch_id 0
		.amdhsa_user_sgpr_flat_scratch_init 0
		.amdhsa_user_sgpr_kernarg_preload_length 0
		.amdhsa_user_sgpr_kernarg_preload_offset 0
		.amdhsa_user_sgpr_private_segment_size 0
		.amdhsa_uses_dynamic_stack 0
		.amdhsa_system_sgpr_private_segment_wavefront_offset 0
		.amdhsa_system_sgpr_workgroup_id_x 1
		.amdhsa_system_sgpr_workgroup_id_y 0
		.amdhsa_system_sgpr_workgroup_id_z 0
		.amdhsa_system_sgpr_workgroup_info 0
		.amdhsa_system_vgpr_workitem_id 0
		.amdhsa_next_free_vgpr 1
		.amdhsa_next_free_sgpr 0
		.amdhsa_accum_offset 4
		.amdhsa_reserve_vcc 0
		.amdhsa_reserve_flat_scratch 0
		.amdhsa_float_round_mode_32 0
		.amdhsa_float_round_mode_16_64 0
		.amdhsa_float_denorm_mode_32 3
		.amdhsa_float_denorm_mode_16_64 3
		.amdhsa_dx10_clamp 1
		.amdhsa_ieee_mode 1
		.amdhsa_fp16_overflow 0
		.amdhsa_tg_split 0
		.amdhsa_exception_fp_ieee_invalid_op 0
		.amdhsa_exception_fp_denorm_src 0
		.amdhsa_exception_fp_ieee_div_zero 0
		.amdhsa_exception_fp_ieee_overflow 0
		.amdhsa_exception_fp_ieee_underflow 0
		.amdhsa_exception_fp_ieee_inexact 0
		.amdhsa_exception_int_div_zero 0
	.end_amdhsa_kernel
	.section	.text._ZN7rocprim17ROCPRIM_400000_NS6detail17trampoline_kernelINS0_14default_configENS1_35radix_sort_onesweep_config_selectorIxNS0_10empty_typeEEEZZNS1_29radix_sort_onesweep_iterationIS3_Lb0EN6thrust23THRUST_200600_302600_NS6detail15normal_iteratorINS9_10device_ptrIxEEEESE_PS5_SF_jNS0_19identity_decomposerENS1_16block_id_wrapperIjLb1EEEEE10hipError_tT1_PNSt15iterator_traitsISK_E10value_typeET2_T3_PNSL_ISQ_E10value_typeET4_T5_PSV_SW_PNS1_23onesweep_lookback_stateEbbT6_jjT7_P12ihipStream_tbENKUlT_T0_SK_SP_E_clISE_SE_SF_SF_EEDaS13_S14_SK_SP_EUlS13_E_NS1_11comp_targetILNS1_3genE3ELNS1_11target_archE908ELNS1_3gpuE7ELNS1_3repE0EEENS1_47radix_sort_onesweep_sort_config_static_selectorELNS0_4arch9wavefront6targetE1EEEvSK_,"axG",@progbits,_ZN7rocprim17ROCPRIM_400000_NS6detail17trampoline_kernelINS0_14default_configENS1_35radix_sort_onesweep_config_selectorIxNS0_10empty_typeEEEZZNS1_29radix_sort_onesweep_iterationIS3_Lb0EN6thrust23THRUST_200600_302600_NS6detail15normal_iteratorINS9_10device_ptrIxEEEESE_PS5_SF_jNS0_19identity_decomposerENS1_16block_id_wrapperIjLb1EEEEE10hipError_tT1_PNSt15iterator_traitsISK_E10value_typeET2_T3_PNSL_ISQ_E10value_typeET4_T5_PSV_SW_PNS1_23onesweep_lookback_stateEbbT6_jjT7_P12ihipStream_tbENKUlT_T0_SK_SP_E_clISE_SE_SF_SF_EEDaS13_S14_SK_SP_EUlS13_E_NS1_11comp_targetILNS1_3genE3ELNS1_11target_archE908ELNS1_3gpuE7ELNS1_3repE0EEENS1_47radix_sort_onesweep_sort_config_static_selectorELNS0_4arch9wavefront6targetE1EEEvSK_,comdat
.Lfunc_end1547:
	.size	_ZN7rocprim17ROCPRIM_400000_NS6detail17trampoline_kernelINS0_14default_configENS1_35radix_sort_onesweep_config_selectorIxNS0_10empty_typeEEEZZNS1_29radix_sort_onesweep_iterationIS3_Lb0EN6thrust23THRUST_200600_302600_NS6detail15normal_iteratorINS9_10device_ptrIxEEEESE_PS5_SF_jNS0_19identity_decomposerENS1_16block_id_wrapperIjLb1EEEEE10hipError_tT1_PNSt15iterator_traitsISK_E10value_typeET2_T3_PNSL_ISQ_E10value_typeET4_T5_PSV_SW_PNS1_23onesweep_lookback_stateEbbT6_jjT7_P12ihipStream_tbENKUlT_T0_SK_SP_E_clISE_SE_SF_SF_EEDaS13_S14_SK_SP_EUlS13_E_NS1_11comp_targetILNS1_3genE3ELNS1_11target_archE908ELNS1_3gpuE7ELNS1_3repE0EEENS1_47radix_sort_onesweep_sort_config_static_selectorELNS0_4arch9wavefront6targetE1EEEvSK_, .Lfunc_end1547-_ZN7rocprim17ROCPRIM_400000_NS6detail17trampoline_kernelINS0_14default_configENS1_35radix_sort_onesweep_config_selectorIxNS0_10empty_typeEEEZZNS1_29radix_sort_onesweep_iterationIS3_Lb0EN6thrust23THRUST_200600_302600_NS6detail15normal_iteratorINS9_10device_ptrIxEEEESE_PS5_SF_jNS0_19identity_decomposerENS1_16block_id_wrapperIjLb1EEEEE10hipError_tT1_PNSt15iterator_traitsISK_E10value_typeET2_T3_PNSL_ISQ_E10value_typeET4_T5_PSV_SW_PNS1_23onesweep_lookback_stateEbbT6_jjT7_P12ihipStream_tbENKUlT_T0_SK_SP_E_clISE_SE_SF_SF_EEDaS13_S14_SK_SP_EUlS13_E_NS1_11comp_targetILNS1_3genE3ELNS1_11target_archE908ELNS1_3gpuE7ELNS1_3repE0EEENS1_47radix_sort_onesweep_sort_config_static_selectorELNS0_4arch9wavefront6targetE1EEEvSK_
                                        ; -- End function
	.section	.AMDGPU.csdata,"",@progbits
; Kernel info:
; codeLenInByte = 0
; NumSgprs: 4
; NumVgprs: 0
; NumAgprs: 0
; TotalNumVgprs: 0
; ScratchSize: 0
; MemoryBound: 0
; FloatMode: 240
; IeeeMode: 1
; LDSByteSize: 0 bytes/workgroup (compile time only)
; SGPRBlocks: 0
; VGPRBlocks: 0
; NumSGPRsForWavesPerEU: 4
; NumVGPRsForWavesPerEU: 1
; AccumOffset: 4
; Occupancy: 8
; WaveLimiterHint : 0
; COMPUTE_PGM_RSRC2:SCRATCH_EN: 0
; COMPUTE_PGM_RSRC2:USER_SGPR: 6
; COMPUTE_PGM_RSRC2:TRAP_HANDLER: 0
; COMPUTE_PGM_RSRC2:TGID_X_EN: 1
; COMPUTE_PGM_RSRC2:TGID_Y_EN: 0
; COMPUTE_PGM_RSRC2:TGID_Z_EN: 0
; COMPUTE_PGM_RSRC2:TIDIG_COMP_CNT: 0
; COMPUTE_PGM_RSRC3_GFX90A:ACCUM_OFFSET: 0
; COMPUTE_PGM_RSRC3_GFX90A:TG_SPLIT: 0
	.section	.text._ZN7rocprim17ROCPRIM_400000_NS6detail17trampoline_kernelINS0_14default_configENS1_35radix_sort_onesweep_config_selectorIxNS0_10empty_typeEEEZZNS1_29radix_sort_onesweep_iterationIS3_Lb0EN6thrust23THRUST_200600_302600_NS6detail15normal_iteratorINS9_10device_ptrIxEEEESE_PS5_SF_jNS0_19identity_decomposerENS1_16block_id_wrapperIjLb1EEEEE10hipError_tT1_PNSt15iterator_traitsISK_E10value_typeET2_T3_PNSL_ISQ_E10value_typeET4_T5_PSV_SW_PNS1_23onesweep_lookback_stateEbbT6_jjT7_P12ihipStream_tbENKUlT_T0_SK_SP_E_clISE_SE_SF_SF_EEDaS13_S14_SK_SP_EUlS13_E_NS1_11comp_targetILNS1_3genE10ELNS1_11target_archE1201ELNS1_3gpuE5ELNS1_3repE0EEENS1_47radix_sort_onesweep_sort_config_static_selectorELNS0_4arch9wavefront6targetE1EEEvSK_,"axG",@progbits,_ZN7rocprim17ROCPRIM_400000_NS6detail17trampoline_kernelINS0_14default_configENS1_35radix_sort_onesweep_config_selectorIxNS0_10empty_typeEEEZZNS1_29radix_sort_onesweep_iterationIS3_Lb0EN6thrust23THRUST_200600_302600_NS6detail15normal_iteratorINS9_10device_ptrIxEEEESE_PS5_SF_jNS0_19identity_decomposerENS1_16block_id_wrapperIjLb1EEEEE10hipError_tT1_PNSt15iterator_traitsISK_E10value_typeET2_T3_PNSL_ISQ_E10value_typeET4_T5_PSV_SW_PNS1_23onesweep_lookback_stateEbbT6_jjT7_P12ihipStream_tbENKUlT_T0_SK_SP_E_clISE_SE_SF_SF_EEDaS13_S14_SK_SP_EUlS13_E_NS1_11comp_targetILNS1_3genE10ELNS1_11target_archE1201ELNS1_3gpuE5ELNS1_3repE0EEENS1_47radix_sort_onesweep_sort_config_static_selectorELNS0_4arch9wavefront6targetE1EEEvSK_,comdat
	.protected	_ZN7rocprim17ROCPRIM_400000_NS6detail17trampoline_kernelINS0_14default_configENS1_35radix_sort_onesweep_config_selectorIxNS0_10empty_typeEEEZZNS1_29radix_sort_onesweep_iterationIS3_Lb0EN6thrust23THRUST_200600_302600_NS6detail15normal_iteratorINS9_10device_ptrIxEEEESE_PS5_SF_jNS0_19identity_decomposerENS1_16block_id_wrapperIjLb1EEEEE10hipError_tT1_PNSt15iterator_traitsISK_E10value_typeET2_T3_PNSL_ISQ_E10value_typeET4_T5_PSV_SW_PNS1_23onesweep_lookback_stateEbbT6_jjT7_P12ihipStream_tbENKUlT_T0_SK_SP_E_clISE_SE_SF_SF_EEDaS13_S14_SK_SP_EUlS13_E_NS1_11comp_targetILNS1_3genE10ELNS1_11target_archE1201ELNS1_3gpuE5ELNS1_3repE0EEENS1_47radix_sort_onesweep_sort_config_static_selectorELNS0_4arch9wavefront6targetE1EEEvSK_ ; -- Begin function _ZN7rocprim17ROCPRIM_400000_NS6detail17trampoline_kernelINS0_14default_configENS1_35radix_sort_onesweep_config_selectorIxNS0_10empty_typeEEEZZNS1_29radix_sort_onesweep_iterationIS3_Lb0EN6thrust23THRUST_200600_302600_NS6detail15normal_iteratorINS9_10device_ptrIxEEEESE_PS5_SF_jNS0_19identity_decomposerENS1_16block_id_wrapperIjLb1EEEEE10hipError_tT1_PNSt15iterator_traitsISK_E10value_typeET2_T3_PNSL_ISQ_E10value_typeET4_T5_PSV_SW_PNS1_23onesweep_lookback_stateEbbT6_jjT7_P12ihipStream_tbENKUlT_T0_SK_SP_E_clISE_SE_SF_SF_EEDaS13_S14_SK_SP_EUlS13_E_NS1_11comp_targetILNS1_3genE10ELNS1_11target_archE1201ELNS1_3gpuE5ELNS1_3repE0EEENS1_47radix_sort_onesweep_sort_config_static_selectorELNS0_4arch9wavefront6targetE1EEEvSK_
	.globl	_ZN7rocprim17ROCPRIM_400000_NS6detail17trampoline_kernelINS0_14default_configENS1_35radix_sort_onesweep_config_selectorIxNS0_10empty_typeEEEZZNS1_29radix_sort_onesweep_iterationIS3_Lb0EN6thrust23THRUST_200600_302600_NS6detail15normal_iteratorINS9_10device_ptrIxEEEESE_PS5_SF_jNS0_19identity_decomposerENS1_16block_id_wrapperIjLb1EEEEE10hipError_tT1_PNSt15iterator_traitsISK_E10value_typeET2_T3_PNSL_ISQ_E10value_typeET4_T5_PSV_SW_PNS1_23onesweep_lookback_stateEbbT6_jjT7_P12ihipStream_tbENKUlT_T0_SK_SP_E_clISE_SE_SF_SF_EEDaS13_S14_SK_SP_EUlS13_E_NS1_11comp_targetILNS1_3genE10ELNS1_11target_archE1201ELNS1_3gpuE5ELNS1_3repE0EEENS1_47radix_sort_onesweep_sort_config_static_selectorELNS0_4arch9wavefront6targetE1EEEvSK_
	.p2align	8
	.type	_ZN7rocprim17ROCPRIM_400000_NS6detail17trampoline_kernelINS0_14default_configENS1_35radix_sort_onesweep_config_selectorIxNS0_10empty_typeEEEZZNS1_29radix_sort_onesweep_iterationIS3_Lb0EN6thrust23THRUST_200600_302600_NS6detail15normal_iteratorINS9_10device_ptrIxEEEESE_PS5_SF_jNS0_19identity_decomposerENS1_16block_id_wrapperIjLb1EEEEE10hipError_tT1_PNSt15iterator_traitsISK_E10value_typeET2_T3_PNSL_ISQ_E10value_typeET4_T5_PSV_SW_PNS1_23onesweep_lookback_stateEbbT6_jjT7_P12ihipStream_tbENKUlT_T0_SK_SP_E_clISE_SE_SF_SF_EEDaS13_S14_SK_SP_EUlS13_E_NS1_11comp_targetILNS1_3genE10ELNS1_11target_archE1201ELNS1_3gpuE5ELNS1_3repE0EEENS1_47radix_sort_onesweep_sort_config_static_selectorELNS0_4arch9wavefront6targetE1EEEvSK_,@function
_ZN7rocprim17ROCPRIM_400000_NS6detail17trampoline_kernelINS0_14default_configENS1_35radix_sort_onesweep_config_selectorIxNS0_10empty_typeEEEZZNS1_29radix_sort_onesweep_iterationIS3_Lb0EN6thrust23THRUST_200600_302600_NS6detail15normal_iteratorINS9_10device_ptrIxEEEESE_PS5_SF_jNS0_19identity_decomposerENS1_16block_id_wrapperIjLb1EEEEE10hipError_tT1_PNSt15iterator_traitsISK_E10value_typeET2_T3_PNSL_ISQ_E10value_typeET4_T5_PSV_SW_PNS1_23onesweep_lookback_stateEbbT6_jjT7_P12ihipStream_tbENKUlT_T0_SK_SP_E_clISE_SE_SF_SF_EEDaS13_S14_SK_SP_EUlS13_E_NS1_11comp_targetILNS1_3genE10ELNS1_11target_archE1201ELNS1_3gpuE5ELNS1_3repE0EEENS1_47radix_sort_onesweep_sort_config_static_selectorELNS0_4arch9wavefront6targetE1EEEvSK_: ; @_ZN7rocprim17ROCPRIM_400000_NS6detail17trampoline_kernelINS0_14default_configENS1_35radix_sort_onesweep_config_selectorIxNS0_10empty_typeEEEZZNS1_29radix_sort_onesweep_iterationIS3_Lb0EN6thrust23THRUST_200600_302600_NS6detail15normal_iteratorINS9_10device_ptrIxEEEESE_PS5_SF_jNS0_19identity_decomposerENS1_16block_id_wrapperIjLb1EEEEE10hipError_tT1_PNSt15iterator_traitsISK_E10value_typeET2_T3_PNSL_ISQ_E10value_typeET4_T5_PSV_SW_PNS1_23onesweep_lookback_stateEbbT6_jjT7_P12ihipStream_tbENKUlT_T0_SK_SP_E_clISE_SE_SF_SF_EEDaS13_S14_SK_SP_EUlS13_E_NS1_11comp_targetILNS1_3genE10ELNS1_11target_archE1201ELNS1_3gpuE5ELNS1_3repE0EEENS1_47radix_sort_onesweep_sort_config_static_selectorELNS0_4arch9wavefront6targetE1EEEvSK_
; %bb.0:
	.section	.rodata,"a",@progbits
	.p2align	6, 0x0
	.amdhsa_kernel _ZN7rocprim17ROCPRIM_400000_NS6detail17trampoline_kernelINS0_14default_configENS1_35radix_sort_onesweep_config_selectorIxNS0_10empty_typeEEEZZNS1_29radix_sort_onesweep_iterationIS3_Lb0EN6thrust23THRUST_200600_302600_NS6detail15normal_iteratorINS9_10device_ptrIxEEEESE_PS5_SF_jNS0_19identity_decomposerENS1_16block_id_wrapperIjLb1EEEEE10hipError_tT1_PNSt15iterator_traitsISK_E10value_typeET2_T3_PNSL_ISQ_E10value_typeET4_T5_PSV_SW_PNS1_23onesweep_lookback_stateEbbT6_jjT7_P12ihipStream_tbENKUlT_T0_SK_SP_E_clISE_SE_SF_SF_EEDaS13_S14_SK_SP_EUlS13_E_NS1_11comp_targetILNS1_3genE10ELNS1_11target_archE1201ELNS1_3gpuE5ELNS1_3repE0EEENS1_47radix_sort_onesweep_sort_config_static_selectorELNS0_4arch9wavefront6targetE1EEEvSK_
		.amdhsa_group_segment_fixed_size 0
		.amdhsa_private_segment_fixed_size 0
		.amdhsa_kernarg_size 88
		.amdhsa_user_sgpr_count 6
		.amdhsa_user_sgpr_private_segment_buffer 1
		.amdhsa_user_sgpr_dispatch_ptr 0
		.amdhsa_user_sgpr_queue_ptr 0
		.amdhsa_user_sgpr_kernarg_segment_ptr 1
		.amdhsa_user_sgpr_dispatch_id 0
		.amdhsa_user_sgpr_flat_scratch_init 0
		.amdhsa_user_sgpr_kernarg_preload_length 0
		.amdhsa_user_sgpr_kernarg_preload_offset 0
		.amdhsa_user_sgpr_private_segment_size 0
		.amdhsa_uses_dynamic_stack 0
		.amdhsa_system_sgpr_private_segment_wavefront_offset 0
		.amdhsa_system_sgpr_workgroup_id_x 1
		.amdhsa_system_sgpr_workgroup_id_y 0
		.amdhsa_system_sgpr_workgroup_id_z 0
		.amdhsa_system_sgpr_workgroup_info 0
		.amdhsa_system_vgpr_workitem_id 0
		.amdhsa_next_free_vgpr 1
		.amdhsa_next_free_sgpr 0
		.amdhsa_accum_offset 4
		.amdhsa_reserve_vcc 0
		.amdhsa_reserve_flat_scratch 0
		.amdhsa_float_round_mode_32 0
		.amdhsa_float_round_mode_16_64 0
		.amdhsa_float_denorm_mode_32 3
		.amdhsa_float_denorm_mode_16_64 3
		.amdhsa_dx10_clamp 1
		.amdhsa_ieee_mode 1
		.amdhsa_fp16_overflow 0
		.amdhsa_tg_split 0
		.amdhsa_exception_fp_ieee_invalid_op 0
		.amdhsa_exception_fp_denorm_src 0
		.amdhsa_exception_fp_ieee_div_zero 0
		.amdhsa_exception_fp_ieee_overflow 0
		.amdhsa_exception_fp_ieee_underflow 0
		.amdhsa_exception_fp_ieee_inexact 0
		.amdhsa_exception_int_div_zero 0
	.end_amdhsa_kernel
	.section	.text._ZN7rocprim17ROCPRIM_400000_NS6detail17trampoline_kernelINS0_14default_configENS1_35radix_sort_onesweep_config_selectorIxNS0_10empty_typeEEEZZNS1_29radix_sort_onesweep_iterationIS3_Lb0EN6thrust23THRUST_200600_302600_NS6detail15normal_iteratorINS9_10device_ptrIxEEEESE_PS5_SF_jNS0_19identity_decomposerENS1_16block_id_wrapperIjLb1EEEEE10hipError_tT1_PNSt15iterator_traitsISK_E10value_typeET2_T3_PNSL_ISQ_E10value_typeET4_T5_PSV_SW_PNS1_23onesweep_lookback_stateEbbT6_jjT7_P12ihipStream_tbENKUlT_T0_SK_SP_E_clISE_SE_SF_SF_EEDaS13_S14_SK_SP_EUlS13_E_NS1_11comp_targetILNS1_3genE10ELNS1_11target_archE1201ELNS1_3gpuE5ELNS1_3repE0EEENS1_47radix_sort_onesweep_sort_config_static_selectorELNS0_4arch9wavefront6targetE1EEEvSK_,"axG",@progbits,_ZN7rocprim17ROCPRIM_400000_NS6detail17trampoline_kernelINS0_14default_configENS1_35radix_sort_onesweep_config_selectorIxNS0_10empty_typeEEEZZNS1_29radix_sort_onesweep_iterationIS3_Lb0EN6thrust23THRUST_200600_302600_NS6detail15normal_iteratorINS9_10device_ptrIxEEEESE_PS5_SF_jNS0_19identity_decomposerENS1_16block_id_wrapperIjLb1EEEEE10hipError_tT1_PNSt15iterator_traitsISK_E10value_typeET2_T3_PNSL_ISQ_E10value_typeET4_T5_PSV_SW_PNS1_23onesweep_lookback_stateEbbT6_jjT7_P12ihipStream_tbENKUlT_T0_SK_SP_E_clISE_SE_SF_SF_EEDaS13_S14_SK_SP_EUlS13_E_NS1_11comp_targetILNS1_3genE10ELNS1_11target_archE1201ELNS1_3gpuE5ELNS1_3repE0EEENS1_47radix_sort_onesweep_sort_config_static_selectorELNS0_4arch9wavefront6targetE1EEEvSK_,comdat
.Lfunc_end1548:
	.size	_ZN7rocprim17ROCPRIM_400000_NS6detail17trampoline_kernelINS0_14default_configENS1_35radix_sort_onesweep_config_selectorIxNS0_10empty_typeEEEZZNS1_29radix_sort_onesweep_iterationIS3_Lb0EN6thrust23THRUST_200600_302600_NS6detail15normal_iteratorINS9_10device_ptrIxEEEESE_PS5_SF_jNS0_19identity_decomposerENS1_16block_id_wrapperIjLb1EEEEE10hipError_tT1_PNSt15iterator_traitsISK_E10value_typeET2_T3_PNSL_ISQ_E10value_typeET4_T5_PSV_SW_PNS1_23onesweep_lookback_stateEbbT6_jjT7_P12ihipStream_tbENKUlT_T0_SK_SP_E_clISE_SE_SF_SF_EEDaS13_S14_SK_SP_EUlS13_E_NS1_11comp_targetILNS1_3genE10ELNS1_11target_archE1201ELNS1_3gpuE5ELNS1_3repE0EEENS1_47radix_sort_onesweep_sort_config_static_selectorELNS0_4arch9wavefront6targetE1EEEvSK_, .Lfunc_end1548-_ZN7rocprim17ROCPRIM_400000_NS6detail17trampoline_kernelINS0_14default_configENS1_35radix_sort_onesweep_config_selectorIxNS0_10empty_typeEEEZZNS1_29radix_sort_onesweep_iterationIS3_Lb0EN6thrust23THRUST_200600_302600_NS6detail15normal_iteratorINS9_10device_ptrIxEEEESE_PS5_SF_jNS0_19identity_decomposerENS1_16block_id_wrapperIjLb1EEEEE10hipError_tT1_PNSt15iterator_traitsISK_E10value_typeET2_T3_PNSL_ISQ_E10value_typeET4_T5_PSV_SW_PNS1_23onesweep_lookback_stateEbbT6_jjT7_P12ihipStream_tbENKUlT_T0_SK_SP_E_clISE_SE_SF_SF_EEDaS13_S14_SK_SP_EUlS13_E_NS1_11comp_targetILNS1_3genE10ELNS1_11target_archE1201ELNS1_3gpuE5ELNS1_3repE0EEENS1_47radix_sort_onesweep_sort_config_static_selectorELNS0_4arch9wavefront6targetE1EEEvSK_
                                        ; -- End function
	.section	.AMDGPU.csdata,"",@progbits
; Kernel info:
; codeLenInByte = 0
; NumSgprs: 4
; NumVgprs: 0
; NumAgprs: 0
; TotalNumVgprs: 0
; ScratchSize: 0
; MemoryBound: 0
; FloatMode: 240
; IeeeMode: 1
; LDSByteSize: 0 bytes/workgroup (compile time only)
; SGPRBlocks: 0
; VGPRBlocks: 0
; NumSGPRsForWavesPerEU: 4
; NumVGPRsForWavesPerEU: 1
; AccumOffset: 4
; Occupancy: 8
; WaveLimiterHint : 0
; COMPUTE_PGM_RSRC2:SCRATCH_EN: 0
; COMPUTE_PGM_RSRC2:USER_SGPR: 6
; COMPUTE_PGM_RSRC2:TRAP_HANDLER: 0
; COMPUTE_PGM_RSRC2:TGID_X_EN: 1
; COMPUTE_PGM_RSRC2:TGID_Y_EN: 0
; COMPUTE_PGM_RSRC2:TGID_Z_EN: 0
; COMPUTE_PGM_RSRC2:TIDIG_COMP_CNT: 0
; COMPUTE_PGM_RSRC3_GFX90A:ACCUM_OFFSET: 0
; COMPUTE_PGM_RSRC3_GFX90A:TG_SPLIT: 0
	.section	.text._ZN7rocprim17ROCPRIM_400000_NS6detail17trampoline_kernelINS0_14default_configENS1_35radix_sort_onesweep_config_selectorIxNS0_10empty_typeEEEZZNS1_29radix_sort_onesweep_iterationIS3_Lb0EN6thrust23THRUST_200600_302600_NS6detail15normal_iteratorINS9_10device_ptrIxEEEESE_PS5_SF_jNS0_19identity_decomposerENS1_16block_id_wrapperIjLb1EEEEE10hipError_tT1_PNSt15iterator_traitsISK_E10value_typeET2_T3_PNSL_ISQ_E10value_typeET4_T5_PSV_SW_PNS1_23onesweep_lookback_stateEbbT6_jjT7_P12ihipStream_tbENKUlT_T0_SK_SP_E_clISE_SE_SF_SF_EEDaS13_S14_SK_SP_EUlS13_E_NS1_11comp_targetILNS1_3genE9ELNS1_11target_archE1100ELNS1_3gpuE3ELNS1_3repE0EEENS1_47radix_sort_onesweep_sort_config_static_selectorELNS0_4arch9wavefront6targetE1EEEvSK_,"axG",@progbits,_ZN7rocprim17ROCPRIM_400000_NS6detail17trampoline_kernelINS0_14default_configENS1_35radix_sort_onesweep_config_selectorIxNS0_10empty_typeEEEZZNS1_29radix_sort_onesweep_iterationIS3_Lb0EN6thrust23THRUST_200600_302600_NS6detail15normal_iteratorINS9_10device_ptrIxEEEESE_PS5_SF_jNS0_19identity_decomposerENS1_16block_id_wrapperIjLb1EEEEE10hipError_tT1_PNSt15iterator_traitsISK_E10value_typeET2_T3_PNSL_ISQ_E10value_typeET4_T5_PSV_SW_PNS1_23onesweep_lookback_stateEbbT6_jjT7_P12ihipStream_tbENKUlT_T0_SK_SP_E_clISE_SE_SF_SF_EEDaS13_S14_SK_SP_EUlS13_E_NS1_11comp_targetILNS1_3genE9ELNS1_11target_archE1100ELNS1_3gpuE3ELNS1_3repE0EEENS1_47radix_sort_onesweep_sort_config_static_selectorELNS0_4arch9wavefront6targetE1EEEvSK_,comdat
	.protected	_ZN7rocprim17ROCPRIM_400000_NS6detail17trampoline_kernelINS0_14default_configENS1_35radix_sort_onesweep_config_selectorIxNS0_10empty_typeEEEZZNS1_29radix_sort_onesweep_iterationIS3_Lb0EN6thrust23THRUST_200600_302600_NS6detail15normal_iteratorINS9_10device_ptrIxEEEESE_PS5_SF_jNS0_19identity_decomposerENS1_16block_id_wrapperIjLb1EEEEE10hipError_tT1_PNSt15iterator_traitsISK_E10value_typeET2_T3_PNSL_ISQ_E10value_typeET4_T5_PSV_SW_PNS1_23onesweep_lookback_stateEbbT6_jjT7_P12ihipStream_tbENKUlT_T0_SK_SP_E_clISE_SE_SF_SF_EEDaS13_S14_SK_SP_EUlS13_E_NS1_11comp_targetILNS1_3genE9ELNS1_11target_archE1100ELNS1_3gpuE3ELNS1_3repE0EEENS1_47radix_sort_onesweep_sort_config_static_selectorELNS0_4arch9wavefront6targetE1EEEvSK_ ; -- Begin function _ZN7rocprim17ROCPRIM_400000_NS6detail17trampoline_kernelINS0_14default_configENS1_35radix_sort_onesweep_config_selectorIxNS0_10empty_typeEEEZZNS1_29radix_sort_onesweep_iterationIS3_Lb0EN6thrust23THRUST_200600_302600_NS6detail15normal_iteratorINS9_10device_ptrIxEEEESE_PS5_SF_jNS0_19identity_decomposerENS1_16block_id_wrapperIjLb1EEEEE10hipError_tT1_PNSt15iterator_traitsISK_E10value_typeET2_T3_PNSL_ISQ_E10value_typeET4_T5_PSV_SW_PNS1_23onesweep_lookback_stateEbbT6_jjT7_P12ihipStream_tbENKUlT_T0_SK_SP_E_clISE_SE_SF_SF_EEDaS13_S14_SK_SP_EUlS13_E_NS1_11comp_targetILNS1_3genE9ELNS1_11target_archE1100ELNS1_3gpuE3ELNS1_3repE0EEENS1_47radix_sort_onesweep_sort_config_static_selectorELNS0_4arch9wavefront6targetE1EEEvSK_
	.globl	_ZN7rocprim17ROCPRIM_400000_NS6detail17trampoline_kernelINS0_14default_configENS1_35radix_sort_onesweep_config_selectorIxNS0_10empty_typeEEEZZNS1_29radix_sort_onesweep_iterationIS3_Lb0EN6thrust23THRUST_200600_302600_NS6detail15normal_iteratorINS9_10device_ptrIxEEEESE_PS5_SF_jNS0_19identity_decomposerENS1_16block_id_wrapperIjLb1EEEEE10hipError_tT1_PNSt15iterator_traitsISK_E10value_typeET2_T3_PNSL_ISQ_E10value_typeET4_T5_PSV_SW_PNS1_23onesweep_lookback_stateEbbT6_jjT7_P12ihipStream_tbENKUlT_T0_SK_SP_E_clISE_SE_SF_SF_EEDaS13_S14_SK_SP_EUlS13_E_NS1_11comp_targetILNS1_3genE9ELNS1_11target_archE1100ELNS1_3gpuE3ELNS1_3repE0EEENS1_47radix_sort_onesweep_sort_config_static_selectorELNS0_4arch9wavefront6targetE1EEEvSK_
	.p2align	8
	.type	_ZN7rocprim17ROCPRIM_400000_NS6detail17trampoline_kernelINS0_14default_configENS1_35radix_sort_onesweep_config_selectorIxNS0_10empty_typeEEEZZNS1_29radix_sort_onesweep_iterationIS3_Lb0EN6thrust23THRUST_200600_302600_NS6detail15normal_iteratorINS9_10device_ptrIxEEEESE_PS5_SF_jNS0_19identity_decomposerENS1_16block_id_wrapperIjLb1EEEEE10hipError_tT1_PNSt15iterator_traitsISK_E10value_typeET2_T3_PNSL_ISQ_E10value_typeET4_T5_PSV_SW_PNS1_23onesweep_lookback_stateEbbT6_jjT7_P12ihipStream_tbENKUlT_T0_SK_SP_E_clISE_SE_SF_SF_EEDaS13_S14_SK_SP_EUlS13_E_NS1_11comp_targetILNS1_3genE9ELNS1_11target_archE1100ELNS1_3gpuE3ELNS1_3repE0EEENS1_47radix_sort_onesweep_sort_config_static_selectorELNS0_4arch9wavefront6targetE1EEEvSK_,@function
_ZN7rocprim17ROCPRIM_400000_NS6detail17trampoline_kernelINS0_14default_configENS1_35radix_sort_onesweep_config_selectorIxNS0_10empty_typeEEEZZNS1_29radix_sort_onesweep_iterationIS3_Lb0EN6thrust23THRUST_200600_302600_NS6detail15normal_iteratorINS9_10device_ptrIxEEEESE_PS5_SF_jNS0_19identity_decomposerENS1_16block_id_wrapperIjLb1EEEEE10hipError_tT1_PNSt15iterator_traitsISK_E10value_typeET2_T3_PNSL_ISQ_E10value_typeET4_T5_PSV_SW_PNS1_23onesweep_lookback_stateEbbT6_jjT7_P12ihipStream_tbENKUlT_T0_SK_SP_E_clISE_SE_SF_SF_EEDaS13_S14_SK_SP_EUlS13_E_NS1_11comp_targetILNS1_3genE9ELNS1_11target_archE1100ELNS1_3gpuE3ELNS1_3repE0EEENS1_47radix_sort_onesweep_sort_config_static_selectorELNS0_4arch9wavefront6targetE1EEEvSK_: ; @_ZN7rocprim17ROCPRIM_400000_NS6detail17trampoline_kernelINS0_14default_configENS1_35radix_sort_onesweep_config_selectorIxNS0_10empty_typeEEEZZNS1_29radix_sort_onesweep_iterationIS3_Lb0EN6thrust23THRUST_200600_302600_NS6detail15normal_iteratorINS9_10device_ptrIxEEEESE_PS5_SF_jNS0_19identity_decomposerENS1_16block_id_wrapperIjLb1EEEEE10hipError_tT1_PNSt15iterator_traitsISK_E10value_typeET2_T3_PNSL_ISQ_E10value_typeET4_T5_PSV_SW_PNS1_23onesweep_lookback_stateEbbT6_jjT7_P12ihipStream_tbENKUlT_T0_SK_SP_E_clISE_SE_SF_SF_EEDaS13_S14_SK_SP_EUlS13_E_NS1_11comp_targetILNS1_3genE9ELNS1_11target_archE1100ELNS1_3gpuE3ELNS1_3repE0EEENS1_47radix_sort_onesweep_sort_config_static_selectorELNS0_4arch9wavefront6targetE1EEEvSK_
; %bb.0:
	.section	.rodata,"a",@progbits
	.p2align	6, 0x0
	.amdhsa_kernel _ZN7rocprim17ROCPRIM_400000_NS6detail17trampoline_kernelINS0_14default_configENS1_35radix_sort_onesweep_config_selectorIxNS0_10empty_typeEEEZZNS1_29radix_sort_onesweep_iterationIS3_Lb0EN6thrust23THRUST_200600_302600_NS6detail15normal_iteratorINS9_10device_ptrIxEEEESE_PS5_SF_jNS0_19identity_decomposerENS1_16block_id_wrapperIjLb1EEEEE10hipError_tT1_PNSt15iterator_traitsISK_E10value_typeET2_T3_PNSL_ISQ_E10value_typeET4_T5_PSV_SW_PNS1_23onesweep_lookback_stateEbbT6_jjT7_P12ihipStream_tbENKUlT_T0_SK_SP_E_clISE_SE_SF_SF_EEDaS13_S14_SK_SP_EUlS13_E_NS1_11comp_targetILNS1_3genE9ELNS1_11target_archE1100ELNS1_3gpuE3ELNS1_3repE0EEENS1_47radix_sort_onesweep_sort_config_static_selectorELNS0_4arch9wavefront6targetE1EEEvSK_
		.amdhsa_group_segment_fixed_size 0
		.amdhsa_private_segment_fixed_size 0
		.amdhsa_kernarg_size 88
		.amdhsa_user_sgpr_count 6
		.amdhsa_user_sgpr_private_segment_buffer 1
		.amdhsa_user_sgpr_dispatch_ptr 0
		.amdhsa_user_sgpr_queue_ptr 0
		.amdhsa_user_sgpr_kernarg_segment_ptr 1
		.amdhsa_user_sgpr_dispatch_id 0
		.amdhsa_user_sgpr_flat_scratch_init 0
		.amdhsa_user_sgpr_kernarg_preload_length 0
		.amdhsa_user_sgpr_kernarg_preload_offset 0
		.amdhsa_user_sgpr_private_segment_size 0
		.amdhsa_uses_dynamic_stack 0
		.amdhsa_system_sgpr_private_segment_wavefront_offset 0
		.amdhsa_system_sgpr_workgroup_id_x 1
		.amdhsa_system_sgpr_workgroup_id_y 0
		.amdhsa_system_sgpr_workgroup_id_z 0
		.amdhsa_system_sgpr_workgroup_info 0
		.amdhsa_system_vgpr_workitem_id 0
		.amdhsa_next_free_vgpr 1
		.amdhsa_next_free_sgpr 0
		.amdhsa_accum_offset 4
		.amdhsa_reserve_vcc 0
		.amdhsa_reserve_flat_scratch 0
		.amdhsa_float_round_mode_32 0
		.amdhsa_float_round_mode_16_64 0
		.amdhsa_float_denorm_mode_32 3
		.amdhsa_float_denorm_mode_16_64 3
		.amdhsa_dx10_clamp 1
		.amdhsa_ieee_mode 1
		.amdhsa_fp16_overflow 0
		.amdhsa_tg_split 0
		.amdhsa_exception_fp_ieee_invalid_op 0
		.amdhsa_exception_fp_denorm_src 0
		.amdhsa_exception_fp_ieee_div_zero 0
		.amdhsa_exception_fp_ieee_overflow 0
		.amdhsa_exception_fp_ieee_underflow 0
		.amdhsa_exception_fp_ieee_inexact 0
		.amdhsa_exception_int_div_zero 0
	.end_amdhsa_kernel
	.section	.text._ZN7rocprim17ROCPRIM_400000_NS6detail17trampoline_kernelINS0_14default_configENS1_35radix_sort_onesweep_config_selectorIxNS0_10empty_typeEEEZZNS1_29radix_sort_onesweep_iterationIS3_Lb0EN6thrust23THRUST_200600_302600_NS6detail15normal_iteratorINS9_10device_ptrIxEEEESE_PS5_SF_jNS0_19identity_decomposerENS1_16block_id_wrapperIjLb1EEEEE10hipError_tT1_PNSt15iterator_traitsISK_E10value_typeET2_T3_PNSL_ISQ_E10value_typeET4_T5_PSV_SW_PNS1_23onesweep_lookback_stateEbbT6_jjT7_P12ihipStream_tbENKUlT_T0_SK_SP_E_clISE_SE_SF_SF_EEDaS13_S14_SK_SP_EUlS13_E_NS1_11comp_targetILNS1_3genE9ELNS1_11target_archE1100ELNS1_3gpuE3ELNS1_3repE0EEENS1_47radix_sort_onesweep_sort_config_static_selectorELNS0_4arch9wavefront6targetE1EEEvSK_,"axG",@progbits,_ZN7rocprim17ROCPRIM_400000_NS6detail17trampoline_kernelINS0_14default_configENS1_35radix_sort_onesweep_config_selectorIxNS0_10empty_typeEEEZZNS1_29radix_sort_onesweep_iterationIS3_Lb0EN6thrust23THRUST_200600_302600_NS6detail15normal_iteratorINS9_10device_ptrIxEEEESE_PS5_SF_jNS0_19identity_decomposerENS1_16block_id_wrapperIjLb1EEEEE10hipError_tT1_PNSt15iterator_traitsISK_E10value_typeET2_T3_PNSL_ISQ_E10value_typeET4_T5_PSV_SW_PNS1_23onesweep_lookback_stateEbbT6_jjT7_P12ihipStream_tbENKUlT_T0_SK_SP_E_clISE_SE_SF_SF_EEDaS13_S14_SK_SP_EUlS13_E_NS1_11comp_targetILNS1_3genE9ELNS1_11target_archE1100ELNS1_3gpuE3ELNS1_3repE0EEENS1_47radix_sort_onesweep_sort_config_static_selectorELNS0_4arch9wavefront6targetE1EEEvSK_,comdat
.Lfunc_end1549:
	.size	_ZN7rocprim17ROCPRIM_400000_NS6detail17trampoline_kernelINS0_14default_configENS1_35radix_sort_onesweep_config_selectorIxNS0_10empty_typeEEEZZNS1_29radix_sort_onesweep_iterationIS3_Lb0EN6thrust23THRUST_200600_302600_NS6detail15normal_iteratorINS9_10device_ptrIxEEEESE_PS5_SF_jNS0_19identity_decomposerENS1_16block_id_wrapperIjLb1EEEEE10hipError_tT1_PNSt15iterator_traitsISK_E10value_typeET2_T3_PNSL_ISQ_E10value_typeET4_T5_PSV_SW_PNS1_23onesweep_lookback_stateEbbT6_jjT7_P12ihipStream_tbENKUlT_T0_SK_SP_E_clISE_SE_SF_SF_EEDaS13_S14_SK_SP_EUlS13_E_NS1_11comp_targetILNS1_3genE9ELNS1_11target_archE1100ELNS1_3gpuE3ELNS1_3repE0EEENS1_47radix_sort_onesweep_sort_config_static_selectorELNS0_4arch9wavefront6targetE1EEEvSK_, .Lfunc_end1549-_ZN7rocprim17ROCPRIM_400000_NS6detail17trampoline_kernelINS0_14default_configENS1_35radix_sort_onesweep_config_selectorIxNS0_10empty_typeEEEZZNS1_29radix_sort_onesweep_iterationIS3_Lb0EN6thrust23THRUST_200600_302600_NS6detail15normal_iteratorINS9_10device_ptrIxEEEESE_PS5_SF_jNS0_19identity_decomposerENS1_16block_id_wrapperIjLb1EEEEE10hipError_tT1_PNSt15iterator_traitsISK_E10value_typeET2_T3_PNSL_ISQ_E10value_typeET4_T5_PSV_SW_PNS1_23onesweep_lookback_stateEbbT6_jjT7_P12ihipStream_tbENKUlT_T0_SK_SP_E_clISE_SE_SF_SF_EEDaS13_S14_SK_SP_EUlS13_E_NS1_11comp_targetILNS1_3genE9ELNS1_11target_archE1100ELNS1_3gpuE3ELNS1_3repE0EEENS1_47radix_sort_onesweep_sort_config_static_selectorELNS0_4arch9wavefront6targetE1EEEvSK_
                                        ; -- End function
	.section	.AMDGPU.csdata,"",@progbits
; Kernel info:
; codeLenInByte = 0
; NumSgprs: 4
; NumVgprs: 0
; NumAgprs: 0
; TotalNumVgprs: 0
; ScratchSize: 0
; MemoryBound: 0
; FloatMode: 240
; IeeeMode: 1
; LDSByteSize: 0 bytes/workgroup (compile time only)
; SGPRBlocks: 0
; VGPRBlocks: 0
; NumSGPRsForWavesPerEU: 4
; NumVGPRsForWavesPerEU: 1
; AccumOffset: 4
; Occupancy: 8
; WaveLimiterHint : 0
; COMPUTE_PGM_RSRC2:SCRATCH_EN: 0
; COMPUTE_PGM_RSRC2:USER_SGPR: 6
; COMPUTE_PGM_RSRC2:TRAP_HANDLER: 0
; COMPUTE_PGM_RSRC2:TGID_X_EN: 1
; COMPUTE_PGM_RSRC2:TGID_Y_EN: 0
; COMPUTE_PGM_RSRC2:TGID_Z_EN: 0
; COMPUTE_PGM_RSRC2:TIDIG_COMP_CNT: 0
; COMPUTE_PGM_RSRC3_GFX90A:ACCUM_OFFSET: 0
; COMPUTE_PGM_RSRC3_GFX90A:TG_SPLIT: 0
	.section	.text._ZN7rocprim17ROCPRIM_400000_NS6detail17trampoline_kernelINS0_14default_configENS1_35radix_sort_onesweep_config_selectorIxNS0_10empty_typeEEEZZNS1_29radix_sort_onesweep_iterationIS3_Lb0EN6thrust23THRUST_200600_302600_NS6detail15normal_iteratorINS9_10device_ptrIxEEEESE_PS5_SF_jNS0_19identity_decomposerENS1_16block_id_wrapperIjLb1EEEEE10hipError_tT1_PNSt15iterator_traitsISK_E10value_typeET2_T3_PNSL_ISQ_E10value_typeET4_T5_PSV_SW_PNS1_23onesweep_lookback_stateEbbT6_jjT7_P12ihipStream_tbENKUlT_T0_SK_SP_E_clISE_SE_SF_SF_EEDaS13_S14_SK_SP_EUlS13_E_NS1_11comp_targetILNS1_3genE8ELNS1_11target_archE1030ELNS1_3gpuE2ELNS1_3repE0EEENS1_47radix_sort_onesweep_sort_config_static_selectorELNS0_4arch9wavefront6targetE1EEEvSK_,"axG",@progbits,_ZN7rocprim17ROCPRIM_400000_NS6detail17trampoline_kernelINS0_14default_configENS1_35radix_sort_onesweep_config_selectorIxNS0_10empty_typeEEEZZNS1_29radix_sort_onesweep_iterationIS3_Lb0EN6thrust23THRUST_200600_302600_NS6detail15normal_iteratorINS9_10device_ptrIxEEEESE_PS5_SF_jNS0_19identity_decomposerENS1_16block_id_wrapperIjLb1EEEEE10hipError_tT1_PNSt15iterator_traitsISK_E10value_typeET2_T3_PNSL_ISQ_E10value_typeET4_T5_PSV_SW_PNS1_23onesweep_lookback_stateEbbT6_jjT7_P12ihipStream_tbENKUlT_T0_SK_SP_E_clISE_SE_SF_SF_EEDaS13_S14_SK_SP_EUlS13_E_NS1_11comp_targetILNS1_3genE8ELNS1_11target_archE1030ELNS1_3gpuE2ELNS1_3repE0EEENS1_47radix_sort_onesweep_sort_config_static_selectorELNS0_4arch9wavefront6targetE1EEEvSK_,comdat
	.protected	_ZN7rocprim17ROCPRIM_400000_NS6detail17trampoline_kernelINS0_14default_configENS1_35radix_sort_onesweep_config_selectorIxNS0_10empty_typeEEEZZNS1_29radix_sort_onesweep_iterationIS3_Lb0EN6thrust23THRUST_200600_302600_NS6detail15normal_iteratorINS9_10device_ptrIxEEEESE_PS5_SF_jNS0_19identity_decomposerENS1_16block_id_wrapperIjLb1EEEEE10hipError_tT1_PNSt15iterator_traitsISK_E10value_typeET2_T3_PNSL_ISQ_E10value_typeET4_T5_PSV_SW_PNS1_23onesweep_lookback_stateEbbT6_jjT7_P12ihipStream_tbENKUlT_T0_SK_SP_E_clISE_SE_SF_SF_EEDaS13_S14_SK_SP_EUlS13_E_NS1_11comp_targetILNS1_3genE8ELNS1_11target_archE1030ELNS1_3gpuE2ELNS1_3repE0EEENS1_47radix_sort_onesweep_sort_config_static_selectorELNS0_4arch9wavefront6targetE1EEEvSK_ ; -- Begin function _ZN7rocprim17ROCPRIM_400000_NS6detail17trampoline_kernelINS0_14default_configENS1_35radix_sort_onesweep_config_selectorIxNS0_10empty_typeEEEZZNS1_29radix_sort_onesweep_iterationIS3_Lb0EN6thrust23THRUST_200600_302600_NS6detail15normal_iteratorINS9_10device_ptrIxEEEESE_PS5_SF_jNS0_19identity_decomposerENS1_16block_id_wrapperIjLb1EEEEE10hipError_tT1_PNSt15iterator_traitsISK_E10value_typeET2_T3_PNSL_ISQ_E10value_typeET4_T5_PSV_SW_PNS1_23onesweep_lookback_stateEbbT6_jjT7_P12ihipStream_tbENKUlT_T0_SK_SP_E_clISE_SE_SF_SF_EEDaS13_S14_SK_SP_EUlS13_E_NS1_11comp_targetILNS1_3genE8ELNS1_11target_archE1030ELNS1_3gpuE2ELNS1_3repE0EEENS1_47radix_sort_onesweep_sort_config_static_selectorELNS0_4arch9wavefront6targetE1EEEvSK_
	.globl	_ZN7rocprim17ROCPRIM_400000_NS6detail17trampoline_kernelINS0_14default_configENS1_35radix_sort_onesweep_config_selectorIxNS0_10empty_typeEEEZZNS1_29radix_sort_onesweep_iterationIS3_Lb0EN6thrust23THRUST_200600_302600_NS6detail15normal_iteratorINS9_10device_ptrIxEEEESE_PS5_SF_jNS0_19identity_decomposerENS1_16block_id_wrapperIjLb1EEEEE10hipError_tT1_PNSt15iterator_traitsISK_E10value_typeET2_T3_PNSL_ISQ_E10value_typeET4_T5_PSV_SW_PNS1_23onesweep_lookback_stateEbbT6_jjT7_P12ihipStream_tbENKUlT_T0_SK_SP_E_clISE_SE_SF_SF_EEDaS13_S14_SK_SP_EUlS13_E_NS1_11comp_targetILNS1_3genE8ELNS1_11target_archE1030ELNS1_3gpuE2ELNS1_3repE0EEENS1_47radix_sort_onesweep_sort_config_static_selectorELNS0_4arch9wavefront6targetE1EEEvSK_
	.p2align	8
	.type	_ZN7rocprim17ROCPRIM_400000_NS6detail17trampoline_kernelINS0_14default_configENS1_35radix_sort_onesweep_config_selectorIxNS0_10empty_typeEEEZZNS1_29radix_sort_onesweep_iterationIS3_Lb0EN6thrust23THRUST_200600_302600_NS6detail15normal_iteratorINS9_10device_ptrIxEEEESE_PS5_SF_jNS0_19identity_decomposerENS1_16block_id_wrapperIjLb1EEEEE10hipError_tT1_PNSt15iterator_traitsISK_E10value_typeET2_T3_PNSL_ISQ_E10value_typeET4_T5_PSV_SW_PNS1_23onesweep_lookback_stateEbbT6_jjT7_P12ihipStream_tbENKUlT_T0_SK_SP_E_clISE_SE_SF_SF_EEDaS13_S14_SK_SP_EUlS13_E_NS1_11comp_targetILNS1_3genE8ELNS1_11target_archE1030ELNS1_3gpuE2ELNS1_3repE0EEENS1_47radix_sort_onesweep_sort_config_static_selectorELNS0_4arch9wavefront6targetE1EEEvSK_,@function
_ZN7rocprim17ROCPRIM_400000_NS6detail17trampoline_kernelINS0_14default_configENS1_35radix_sort_onesweep_config_selectorIxNS0_10empty_typeEEEZZNS1_29radix_sort_onesweep_iterationIS3_Lb0EN6thrust23THRUST_200600_302600_NS6detail15normal_iteratorINS9_10device_ptrIxEEEESE_PS5_SF_jNS0_19identity_decomposerENS1_16block_id_wrapperIjLb1EEEEE10hipError_tT1_PNSt15iterator_traitsISK_E10value_typeET2_T3_PNSL_ISQ_E10value_typeET4_T5_PSV_SW_PNS1_23onesweep_lookback_stateEbbT6_jjT7_P12ihipStream_tbENKUlT_T0_SK_SP_E_clISE_SE_SF_SF_EEDaS13_S14_SK_SP_EUlS13_E_NS1_11comp_targetILNS1_3genE8ELNS1_11target_archE1030ELNS1_3gpuE2ELNS1_3repE0EEENS1_47radix_sort_onesweep_sort_config_static_selectorELNS0_4arch9wavefront6targetE1EEEvSK_: ; @_ZN7rocprim17ROCPRIM_400000_NS6detail17trampoline_kernelINS0_14default_configENS1_35radix_sort_onesweep_config_selectorIxNS0_10empty_typeEEEZZNS1_29radix_sort_onesweep_iterationIS3_Lb0EN6thrust23THRUST_200600_302600_NS6detail15normal_iteratorINS9_10device_ptrIxEEEESE_PS5_SF_jNS0_19identity_decomposerENS1_16block_id_wrapperIjLb1EEEEE10hipError_tT1_PNSt15iterator_traitsISK_E10value_typeET2_T3_PNSL_ISQ_E10value_typeET4_T5_PSV_SW_PNS1_23onesweep_lookback_stateEbbT6_jjT7_P12ihipStream_tbENKUlT_T0_SK_SP_E_clISE_SE_SF_SF_EEDaS13_S14_SK_SP_EUlS13_E_NS1_11comp_targetILNS1_3genE8ELNS1_11target_archE1030ELNS1_3gpuE2ELNS1_3repE0EEENS1_47radix_sort_onesweep_sort_config_static_selectorELNS0_4arch9wavefront6targetE1EEEvSK_
; %bb.0:
	.section	.rodata,"a",@progbits
	.p2align	6, 0x0
	.amdhsa_kernel _ZN7rocprim17ROCPRIM_400000_NS6detail17trampoline_kernelINS0_14default_configENS1_35radix_sort_onesweep_config_selectorIxNS0_10empty_typeEEEZZNS1_29radix_sort_onesweep_iterationIS3_Lb0EN6thrust23THRUST_200600_302600_NS6detail15normal_iteratorINS9_10device_ptrIxEEEESE_PS5_SF_jNS0_19identity_decomposerENS1_16block_id_wrapperIjLb1EEEEE10hipError_tT1_PNSt15iterator_traitsISK_E10value_typeET2_T3_PNSL_ISQ_E10value_typeET4_T5_PSV_SW_PNS1_23onesweep_lookback_stateEbbT6_jjT7_P12ihipStream_tbENKUlT_T0_SK_SP_E_clISE_SE_SF_SF_EEDaS13_S14_SK_SP_EUlS13_E_NS1_11comp_targetILNS1_3genE8ELNS1_11target_archE1030ELNS1_3gpuE2ELNS1_3repE0EEENS1_47radix_sort_onesweep_sort_config_static_selectorELNS0_4arch9wavefront6targetE1EEEvSK_
		.amdhsa_group_segment_fixed_size 0
		.amdhsa_private_segment_fixed_size 0
		.amdhsa_kernarg_size 88
		.amdhsa_user_sgpr_count 6
		.amdhsa_user_sgpr_private_segment_buffer 1
		.amdhsa_user_sgpr_dispatch_ptr 0
		.amdhsa_user_sgpr_queue_ptr 0
		.amdhsa_user_sgpr_kernarg_segment_ptr 1
		.amdhsa_user_sgpr_dispatch_id 0
		.amdhsa_user_sgpr_flat_scratch_init 0
		.amdhsa_user_sgpr_kernarg_preload_length 0
		.amdhsa_user_sgpr_kernarg_preload_offset 0
		.amdhsa_user_sgpr_private_segment_size 0
		.amdhsa_uses_dynamic_stack 0
		.amdhsa_system_sgpr_private_segment_wavefront_offset 0
		.amdhsa_system_sgpr_workgroup_id_x 1
		.amdhsa_system_sgpr_workgroup_id_y 0
		.amdhsa_system_sgpr_workgroup_id_z 0
		.amdhsa_system_sgpr_workgroup_info 0
		.amdhsa_system_vgpr_workitem_id 0
		.amdhsa_next_free_vgpr 1
		.amdhsa_next_free_sgpr 0
		.amdhsa_accum_offset 4
		.amdhsa_reserve_vcc 0
		.amdhsa_reserve_flat_scratch 0
		.amdhsa_float_round_mode_32 0
		.amdhsa_float_round_mode_16_64 0
		.amdhsa_float_denorm_mode_32 3
		.amdhsa_float_denorm_mode_16_64 3
		.amdhsa_dx10_clamp 1
		.amdhsa_ieee_mode 1
		.amdhsa_fp16_overflow 0
		.amdhsa_tg_split 0
		.amdhsa_exception_fp_ieee_invalid_op 0
		.amdhsa_exception_fp_denorm_src 0
		.amdhsa_exception_fp_ieee_div_zero 0
		.amdhsa_exception_fp_ieee_overflow 0
		.amdhsa_exception_fp_ieee_underflow 0
		.amdhsa_exception_fp_ieee_inexact 0
		.amdhsa_exception_int_div_zero 0
	.end_amdhsa_kernel
	.section	.text._ZN7rocprim17ROCPRIM_400000_NS6detail17trampoline_kernelINS0_14default_configENS1_35radix_sort_onesweep_config_selectorIxNS0_10empty_typeEEEZZNS1_29radix_sort_onesweep_iterationIS3_Lb0EN6thrust23THRUST_200600_302600_NS6detail15normal_iteratorINS9_10device_ptrIxEEEESE_PS5_SF_jNS0_19identity_decomposerENS1_16block_id_wrapperIjLb1EEEEE10hipError_tT1_PNSt15iterator_traitsISK_E10value_typeET2_T3_PNSL_ISQ_E10value_typeET4_T5_PSV_SW_PNS1_23onesweep_lookback_stateEbbT6_jjT7_P12ihipStream_tbENKUlT_T0_SK_SP_E_clISE_SE_SF_SF_EEDaS13_S14_SK_SP_EUlS13_E_NS1_11comp_targetILNS1_3genE8ELNS1_11target_archE1030ELNS1_3gpuE2ELNS1_3repE0EEENS1_47radix_sort_onesweep_sort_config_static_selectorELNS0_4arch9wavefront6targetE1EEEvSK_,"axG",@progbits,_ZN7rocprim17ROCPRIM_400000_NS6detail17trampoline_kernelINS0_14default_configENS1_35radix_sort_onesweep_config_selectorIxNS0_10empty_typeEEEZZNS1_29radix_sort_onesweep_iterationIS3_Lb0EN6thrust23THRUST_200600_302600_NS6detail15normal_iteratorINS9_10device_ptrIxEEEESE_PS5_SF_jNS0_19identity_decomposerENS1_16block_id_wrapperIjLb1EEEEE10hipError_tT1_PNSt15iterator_traitsISK_E10value_typeET2_T3_PNSL_ISQ_E10value_typeET4_T5_PSV_SW_PNS1_23onesweep_lookback_stateEbbT6_jjT7_P12ihipStream_tbENKUlT_T0_SK_SP_E_clISE_SE_SF_SF_EEDaS13_S14_SK_SP_EUlS13_E_NS1_11comp_targetILNS1_3genE8ELNS1_11target_archE1030ELNS1_3gpuE2ELNS1_3repE0EEENS1_47radix_sort_onesweep_sort_config_static_selectorELNS0_4arch9wavefront6targetE1EEEvSK_,comdat
.Lfunc_end1550:
	.size	_ZN7rocprim17ROCPRIM_400000_NS6detail17trampoline_kernelINS0_14default_configENS1_35radix_sort_onesweep_config_selectorIxNS0_10empty_typeEEEZZNS1_29radix_sort_onesweep_iterationIS3_Lb0EN6thrust23THRUST_200600_302600_NS6detail15normal_iteratorINS9_10device_ptrIxEEEESE_PS5_SF_jNS0_19identity_decomposerENS1_16block_id_wrapperIjLb1EEEEE10hipError_tT1_PNSt15iterator_traitsISK_E10value_typeET2_T3_PNSL_ISQ_E10value_typeET4_T5_PSV_SW_PNS1_23onesweep_lookback_stateEbbT6_jjT7_P12ihipStream_tbENKUlT_T0_SK_SP_E_clISE_SE_SF_SF_EEDaS13_S14_SK_SP_EUlS13_E_NS1_11comp_targetILNS1_3genE8ELNS1_11target_archE1030ELNS1_3gpuE2ELNS1_3repE0EEENS1_47radix_sort_onesweep_sort_config_static_selectorELNS0_4arch9wavefront6targetE1EEEvSK_, .Lfunc_end1550-_ZN7rocprim17ROCPRIM_400000_NS6detail17trampoline_kernelINS0_14default_configENS1_35radix_sort_onesweep_config_selectorIxNS0_10empty_typeEEEZZNS1_29radix_sort_onesweep_iterationIS3_Lb0EN6thrust23THRUST_200600_302600_NS6detail15normal_iteratorINS9_10device_ptrIxEEEESE_PS5_SF_jNS0_19identity_decomposerENS1_16block_id_wrapperIjLb1EEEEE10hipError_tT1_PNSt15iterator_traitsISK_E10value_typeET2_T3_PNSL_ISQ_E10value_typeET4_T5_PSV_SW_PNS1_23onesweep_lookback_stateEbbT6_jjT7_P12ihipStream_tbENKUlT_T0_SK_SP_E_clISE_SE_SF_SF_EEDaS13_S14_SK_SP_EUlS13_E_NS1_11comp_targetILNS1_3genE8ELNS1_11target_archE1030ELNS1_3gpuE2ELNS1_3repE0EEENS1_47radix_sort_onesweep_sort_config_static_selectorELNS0_4arch9wavefront6targetE1EEEvSK_
                                        ; -- End function
	.section	.AMDGPU.csdata,"",@progbits
; Kernel info:
; codeLenInByte = 0
; NumSgprs: 4
; NumVgprs: 0
; NumAgprs: 0
; TotalNumVgprs: 0
; ScratchSize: 0
; MemoryBound: 0
; FloatMode: 240
; IeeeMode: 1
; LDSByteSize: 0 bytes/workgroup (compile time only)
; SGPRBlocks: 0
; VGPRBlocks: 0
; NumSGPRsForWavesPerEU: 4
; NumVGPRsForWavesPerEU: 1
; AccumOffset: 4
; Occupancy: 8
; WaveLimiterHint : 0
; COMPUTE_PGM_RSRC2:SCRATCH_EN: 0
; COMPUTE_PGM_RSRC2:USER_SGPR: 6
; COMPUTE_PGM_RSRC2:TRAP_HANDLER: 0
; COMPUTE_PGM_RSRC2:TGID_X_EN: 1
; COMPUTE_PGM_RSRC2:TGID_Y_EN: 0
; COMPUTE_PGM_RSRC2:TGID_Z_EN: 0
; COMPUTE_PGM_RSRC2:TIDIG_COMP_CNT: 0
; COMPUTE_PGM_RSRC3_GFX90A:ACCUM_OFFSET: 0
; COMPUTE_PGM_RSRC3_GFX90A:TG_SPLIT: 0
	.section	.text._ZN7rocprim17ROCPRIM_400000_NS6detail17trampoline_kernelINS0_14default_configENS1_35radix_sort_onesweep_config_selectorIxNS0_10empty_typeEEEZZNS1_29radix_sort_onesweep_iterationIS3_Lb0EN6thrust23THRUST_200600_302600_NS6detail15normal_iteratorINS9_10device_ptrIxEEEESE_PS5_SF_jNS0_19identity_decomposerENS1_16block_id_wrapperIjLb1EEEEE10hipError_tT1_PNSt15iterator_traitsISK_E10value_typeET2_T3_PNSL_ISQ_E10value_typeET4_T5_PSV_SW_PNS1_23onesweep_lookback_stateEbbT6_jjT7_P12ihipStream_tbENKUlT_T0_SK_SP_E_clISE_PxSF_SF_EEDaS13_S14_SK_SP_EUlS13_E_NS1_11comp_targetILNS1_3genE0ELNS1_11target_archE4294967295ELNS1_3gpuE0ELNS1_3repE0EEENS1_47radix_sort_onesweep_sort_config_static_selectorELNS0_4arch9wavefront6targetE1EEEvSK_,"axG",@progbits,_ZN7rocprim17ROCPRIM_400000_NS6detail17trampoline_kernelINS0_14default_configENS1_35radix_sort_onesweep_config_selectorIxNS0_10empty_typeEEEZZNS1_29radix_sort_onesweep_iterationIS3_Lb0EN6thrust23THRUST_200600_302600_NS6detail15normal_iteratorINS9_10device_ptrIxEEEESE_PS5_SF_jNS0_19identity_decomposerENS1_16block_id_wrapperIjLb1EEEEE10hipError_tT1_PNSt15iterator_traitsISK_E10value_typeET2_T3_PNSL_ISQ_E10value_typeET4_T5_PSV_SW_PNS1_23onesweep_lookback_stateEbbT6_jjT7_P12ihipStream_tbENKUlT_T0_SK_SP_E_clISE_PxSF_SF_EEDaS13_S14_SK_SP_EUlS13_E_NS1_11comp_targetILNS1_3genE0ELNS1_11target_archE4294967295ELNS1_3gpuE0ELNS1_3repE0EEENS1_47radix_sort_onesweep_sort_config_static_selectorELNS0_4arch9wavefront6targetE1EEEvSK_,comdat
	.protected	_ZN7rocprim17ROCPRIM_400000_NS6detail17trampoline_kernelINS0_14default_configENS1_35radix_sort_onesweep_config_selectorIxNS0_10empty_typeEEEZZNS1_29radix_sort_onesweep_iterationIS3_Lb0EN6thrust23THRUST_200600_302600_NS6detail15normal_iteratorINS9_10device_ptrIxEEEESE_PS5_SF_jNS0_19identity_decomposerENS1_16block_id_wrapperIjLb1EEEEE10hipError_tT1_PNSt15iterator_traitsISK_E10value_typeET2_T3_PNSL_ISQ_E10value_typeET4_T5_PSV_SW_PNS1_23onesweep_lookback_stateEbbT6_jjT7_P12ihipStream_tbENKUlT_T0_SK_SP_E_clISE_PxSF_SF_EEDaS13_S14_SK_SP_EUlS13_E_NS1_11comp_targetILNS1_3genE0ELNS1_11target_archE4294967295ELNS1_3gpuE0ELNS1_3repE0EEENS1_47radix_sort_onesweep_sort_config_static_selectorELNS0_4arch9wavefront6targetE1EEEvSK_ ; -- Begin function _ZN7rocprim17ROCPRIM_400000_NS6detail17trampoline_kernelINS0_14default_configENS1_35radix_sort_onesweep_config_selectorIxNS0_10empty_typeEEEZZNS1_29radix_sort_onesweep_iterationIS3_Lb0EN6thrust23THRUST_200600_302600_NS6detail15normal_iteratorINS9_10device_ptrIxEEEESE_PS5_SF_jNS0_19identity_decomposerENS1_16block_id_wrapperIjLb1EEEEE10hipError_tT1_PNSt15iterator_traitsISK_E10value_typeET2_T3_PNSL_ISQ_E10value_typeET4_T5_PSV_SW_PNS1_23onesweep_lookback_stateEbbT6_jjT7_P12ihipStream_tbENKUlT_T0_SK_SP_E_clISE_PxSF_SF_EEDaS13_S14_SK_SP_EUlS13_E_NS1_11comp_targetILNS1_3genE0ELNS1_11target_archE4294967295ELNS1_3gpuE0ELNS1_3repE0EEENS1_47radix_sort_onesweep_sort_config_static_selectorELNS0_4arch9wavefront6targetE1EEEvSK_
	.globl	_ZN7rocprim17ROCPRIM_400000_NS6detail17trampoline_kernelINS0_14default_configENS1_35radix_sort_onesweep_config_selectorIxNS0_10empty_typeEEEZZNS1_29radix_sort_onesweep_iterationIS3_Lb0EN6thrust23THRUST_200600_302600_NS6detail15normal_iteratorINS9_10device_ptrIxEEEESE_PS5_SF_jNS0_19identity_decomposerENS1_16block_id_wrapperIjLb1EEEEE10hipError_tT1_PNSt15iterator_traitsISK_E10value_typeET2_T3_PNSL_ISQ_E10value_typeET4_T5_PSV_SW_PNS1_23onesweep_lookback_stateEbbT6_jjT7_P12ihipStream_tbENKUlT_T0_SK_SP_E_clISE_PxSF_SF_EEDaS13_S14_SK_SP_EUlS13_E_NS1_11comp_targetILNS1_3genE0ELNS1_11target_archE4294967295ELNS1_3gpuE0ELNS1_3repE0EEENS1_47radix_sort_onesweep_sort_config_static_selectorELNS0_4arch9wavefront6targetE1EEEvSK_
	.p2align	8
	.type	_ZN7rocprim17ROCPRIM_400000_NS6detail17trampoline_kernelINS0_14default_configENS1_35radix_sort_onesweep_config_selectorIxNS0_10empty_typeEEEZZNS1_29radix_sort_onesweep_iterationIS3_Lb0EN6thrust23THRUST_200600_302600_NS6detail15normal_iteratorINS9_10device_ptrIxEEEESE_PS5_SF_jNS0_19identity_decomposerENS1_16block_id_wrapperIjLb1EEEEE10hipError_tT1_PNSt15iterator_traitsISK_E10value_typeET2_T3_PNSL_ISQ_E10value_typeET4_T5_PSV_SW_PNS1_23onesweep_lookback_stateEbbT6_jjT7_P12ihipStream_tbENKUlT_T0_SK_SP_E_clISE_PxSF_SF_EEDaS13_S14_SK_SP_EUlS13_E_NS1_11comp_targetILNS1_3genE0ELNS1_11target_archE4294967295ELNS1_3gpuE0ELNS1_3repE0EEENS1_47radix_sort_onesweep_sort_config_static_selectorELNS0_4arch9wavefront6targetE1EEEvSK_,@function
_ZN7rocprim17ROCPRIM_400000_NS6detail17trampoline_kernelINS0_14default_configENS1_35radix_sort_onesweep_config_selectorIxNS0_10empty_typeEEEZZNS1_29radix_sort_onesweep_iterationIS3_Lb0EN6thrust23THRUST_200600_302600_NS6detail15normal_iteratorINS9_10device_ptrIxEEEESE_PS5_SF_jNS0_19identity_decomposerENS1_16block_id_wrapperIjLb1EEEEE10hipError_tT1_PNSt15iterator_traitsISK_E10value_typeET2_T3_PNSL_ISQ_E10value_typeET4_T5_PSV_SW_PNS1_23onesweep_lookback_stateEbbT6_jjT7_P12ihipStream_tbENKUlT_T0_SK_SP_E_clISE_PxSF_SF_EEDaS13_S14_SK_SP_EUlS13_E_NS1_11comp_targetILNS1_3genE0ELNS1_11target_archE4294967295ELNS1_3gpuE0ELNS1_3repE0EEENS1_47radix_sort_onesweep_sort_config_static_selectorELNS0_4arch9wavefront6targetE1EEEvSK_: ; @_ZN7rocprim17ROCPRIM_400000_NS6detail17trampoline_kernelINS0_14default_configENS1_35radix_sort_onesweep_config_selectorIxNS0_10empty_typeEEEZZNS1_29radix_sort_onesweep_iterationIS3_Lb0EN6thrust23THRUST_200600_302600_NS6detail15normal_iteratorINS9_10device_ptrIxEEEESE_PS5_SF_jNS0_19identity_decomposerENS1_16block_id_wrapperIjLb1EEEEE10hipError_tT1_PNSt15iterator_traitsISK_E10value_typeET2_T3_PNSL_ISQ_E10value_typeET4_T5_PSV_SW_PNS1_23onesweep_lookback_stateEbbT6_jjT7_P12ihipStream_tbENKUlT_T0_SK_SP_E_clISE_PxSF_SF_EEDaS13_S14_SK_SP_EUlS13_E_NS1_11comp_targetILNS1_3genE0ELNS1_11target_archE4294967295ELNS1_3gpuE0ELNS1_3repE0EEENS1_47radix_sort_onesweep_sort_config_static_selectorELNS0_4arch9wavefront6targetE1EEEvSK_
; %bb.0:
	.section	.rodata,"a",@progbits
	.p2align	6, 0x0
	.amdhsa_kernel _ZN7rocprim17ROCPRIM_400000_NS6detail17trampoline_kernelINS0_14default_configENS1_35radix_sort_onesweep_config_selectorIxNS0_10empty_typeEEEZZNS1_29radix_sort_onesweep_iterationIS3_Lb0EN6thrust23THRUST_200600_302600_NS6detail15normal_iteratorINS9_10device_ptrIxEEEESE_PS5_SF_jNS0_19identity_decomposerENS1_16block_id_wrapperIjLb1EEEEE10hipError_tT1_PNSt15iterator_traitsISK_E10value_typeET2_T3_PNSL_ISQ_E10value_typeET4_T5_PSV_SW_PNS1_23onesweep_lookback_stateEbbT6_jjT7_P12ihipStream_tbENKUlT_T0_SK_SP_E_clISE_PxSF_SF_EEDaS13_S14_SK_SP_EUlS13_E_NS1_11comp_targetILNS1_3genE0ELNS1_11target_archE4294967295ELNS1_3gpuE0ELNS1_3repE0EEENS1_47radix_sort_onesweep_sort_config_static_selectorELNS0_4arch9wavefront6targetE1EEEvSK_
		.amdhsa_group_segment_fixed_size 0
		.amdhsa_private_segment_fixed_size 0
		.amdhsa_kernarg_size 88
		.amdhsa_user_sgpr_count 6
		.amdhsa_user_sgpr_private_segment_buffer 1
		.amdhsa_user_sgpr_dispatch_ptr 0
		.amdhsa_user_sgpr_queue_ptr 0
		.amdhsa_user_sgpr_kernarg_segment_ptr 1
		.amdhsa_user_sgpr_dispatch_id 0
		.amdhsa_user_sgpr_flat_scratch_init 0
		.amdhsa_user_sgpr_kernarg_preload_length 0
		.amdhsa_user_sgpr_kernarg_preload_offset 0
		.amdhsa_user_sgpr_private_segment_size 0
		.amdhsa_uses_dynamic_stack 0
		.amdhsa_system_sgpr_private_segment_wavefront_offset 0
		.amdhsa_system_sgpr_workgroup_id_x 1
		.amdhsa_system_sgpr_workgroup_id_y 0
		.amdhsa_system_sgpr_workgroup_id_z 0
		.amdhsa_system_sgpr_workgroup_info 0
		.amdhsa_system_vgpr_workitem_id 0
		.amdhsa_next_free_vgpr 1
		.amdhsa_next_free_sgpr 0
		.amdhsa_accum_offset 4
		.amdhsa_reserve_vcc 0
		.amdhsa_reserve_flat_scratch 0
		.amdhsa_float_round_mode_32 0
		.amdhsa_float_round_mode_16_64 0
		.amdhsa_float_denorm_mode_32 3
		.amdhsa_float_denorm_mode_16_64 3
		.amdhsa_dx10_clamp 1
		.amdhsa_ieee_mode 1
		.amdhsa_fp16_overflow 0
		.amdhsa_tg_split 0
		.amdhsa_exception_fp_ieee_invalid_op 0
		.amdhsa_exception_fp_denorm_src 0
		.amdhsa_exception_fp_ieee_div_zero 0
		.amdhsa_exception_fp_ieee_overflow 0
		.amdhsa_exception_fp_ieee_underflow 0
		.amdhsa_exception_fp_ieee_inexact 0
		.amdhsa_exception_int_div_zero 0
	.end_amdhsa_kernel
	.section	.text._ZN7rocprim17ROCPRIM_400000_NS6detail17trampoline_kernelINS0_14default_configENS1_35radix_sort_onesweep_config_selectorIxNS0_10empty_typeEEEZZNS1_29radix_sort_onesweep_iterationIS3_Lb0EN6thrust23THRUST_200600_302600_NS6detail15normal_iteratorINS9_10device_ptrIxEEEESE_PS5_SF_jNS0_19identity_decomposerENS1_16block_id_wrapperIjLb1EEEEE10hipError_tT1_PNSt15iterator_traitsISK_E10value_typeET2_T3_PNSL_ISQ_E10value_typeET4_T5_PSV_SW_PNS1_23onesweep_lookback_stateEbbT6_jjT7_P12ihipStream_tbENKUlT_T0_SK_SP_E_clISE_PxSF_SF_EEDaS13_S14_SK_SP_EUlS13_E_NS1_11comp_targetILNS1_3genE0ELNS1_11target_archE4294967295ELNS1_3gpuE0ELNS1_3repE0EEENS1_47radix_sort_onesweep_sort_config_static_selectorELNS0_4arch9wavefront6targetE1EEEvSK_,"axG",@progbits,_ZN7rocprim17ROCPRIM_400000_NS6detail17trampoline_kernelINS0_14default_configENS1_35radix_sort_onesweep_config_selectorIxNS0_10empty_typeEEEZZNS1_29radix_sort_onesweep_iterationIS3_Lb0EN6thrust23THRUST_200600_302600_NS6detail15normal_iteratorINS9_10device_ptrIxEEEESE_PS5_SF_jNS0_19identity_decomposerENS1_16block_id_wrapperIjLb1EEEEE10hipError_tT1_PNSt15iterator_traitsISK_E10value_typeET2_T3_PNSL_ISQ_E10value_typeET4_T5_PSV_SW_PNS1_23onesweep_lookback_stateEbbT6_jjT7_P12ihipStream_tbENKUlT_T0_SK_SP_E_clISE_PxSF_SF_EEDaS13_S14_SK_SP_EUlS13_E_NS1_11comp_targetILNS1_3genE0ELNS1_11target_archE4294967295ELNS1_3gpuE0ELNS1_3repE0EEENS1_47radix_sort_onesweep_sort_config_static_selectorELNS0_4arch9wavefront6targetE1EEEvSK_,comdat
.Lfunc_end1551:
	.size	_ZN7rocprim17ROCPRIM_400000_NS6detail17trampoline_kernelINS0_14default_configENS1_35radix_sort_onesweep_config_selectorIxNS0_10empty_typeEEEZZNS1_29radix_sort_onesweep_iterationIS3_Lb0EN6thrust23THRUST_200600_302600_NS6detail15normal_iteratorINS9_10device_ptrIxEEEESE_PS5_SF_jNS0_19identity_decomposerENS1_16block_id_wrapperIjLb1EEEEE10hipError_tT1_PNSt15iterator_traitsISK_E10value_typeET2_T3_PNSL_ISQ_E10value_typeET4_T5_PSV_SW_PNS1_23onesweep_lookback_stateEbbT6_jjT7_P12ihipStream_tbENKUlT_T0_SK_SP_E_clISE_PxSF_SF_EEDaS13_S14_SK_SP_EUlS13_E_NS1_11comp_targetILNS1_3genE0ELNS1_11target_archE4294967295ELNS1_3gpuE0ELNS1_3repE0EEENS1_47radix_sort_onesweep_sort_config_static_selectorELNS0_4arch9wavefront6targetE1EEEvSK_, .Lfunc_end1551-_ZN7rocprim17ROCPRIM_400000_NS6detail17trampoline_kernelINS0_14default_configENS1_35radix_sort_onesweep_config_selectorIxNS0_10empty_typeEEEZZNS1_29radix_sort_onesweep_iterationIS3_Lb0EN6thrust23THRUST_200600_302600_NS6detail15normal_iteratorINS9_10device_ptrIxEEEESE_PS5_SF_jNS0_19identity_decomposerENS1_16block_id_wrapperIjLb1EEEEE10hipError_tT1_PNSt15iterator_traitsISK_E10value_typeET2_T3_PNSL_ISQ_E10value_typeET4_T5_PSV_SW_PNS1_23onesweep_lookback_stateEbbT6_jjT7_P12ihipStream_tbENKUlT_T0_SK_SP_E_clISE_PxSF_SF_EEDaS13_S14_SK_SP_EUlS13_E_NS1_11comp_targetILNS1_3genE0ELNS1_11target_archE4294967295ELNS1_3gpuE0ELNS1_3repE0EEENS1_47radix_sort_onesweep_sort_config_static_selectorELNS0_4arch9wavefront6targetE1EEEvSK_
                                        ; -- End function
	.section	.AMDGPU.csdata,"",@progbits
; Kernel info:
; codeLenInByte = 0
; NumSgprs: 4
; NumVgprs: 0
; NumAgprs: 0
; TotalNumVgprs: 0
; ScratchSize: 0
; MemoryBound: 0
; FloatMode: 240
; IeeeMode: 1
; LDSByteSize: 0 bytes/workgroup (compile time only)
; SGPRBlocks: 0
; VGPRBlocks: 0
; NumSGPRsForWavesPerEU: 4
; NumVGPRsForWavesPerEU: 1
; AccumOffset: 4
; Occupancy: 8
; WaveLimiterHint : 0
; COMPUTE_PGM_RSRC2:SCRATCH_EN: 0
; COMPUTE_PGM_RSRC2:USER_SGPR: 6
; COMPUTE_PGM_RSRC2:TRAP_HANDLER: 0
; COMPUTE_PGM_RSRC2:TGID_X_EN: 1
; COMPUTE_PGM_RSRC2:TGID_Y_EN: 0
; COMPUTE_PGM_RSRC2:TGID_Z_EN: 0
; COMPUTE_PGM_RSRC2:TIDIG_COMP_CNT: 0
; COMPUTE_PGM_RSRC3_GFX90A:ACCUM_OFFSET: 0
; COMPUTE_PGM_RSRC3_GFX90A:TG_SPLIT: 0
	.section	.text._ZN7rocprim17ROCPRIM_400000_NS6detail17trampoline_kernelINS0_14default_configENS1_35radix_sort_onesweep_config_selectorIxNS0_10empty_typeEEEZZNS1_29radix_sort_onesweep_iterationIS3_Lb0EN6thrust23THRUST_200600_302600_NS6detail15normal_iteratorINS9_10device_ptrIxEEEESE_PS5_SF_jNS0_19identity_decomposerENS1_16block_id_wrapperIjLb1EEEEE10hipError_tT1_PNSt15iterator_traitsISK_E10value_typeET2_T3_PNSL_ISQ_E10value_typeET4_T5_PSV_SW_PNS1_23onesweep_lookback_stateEbbT6_jjT7_P12ihipStream_tbENKUlT_T0_SK_SP_E_clISE_PxSF_SF_EEDaS13_S14_SK_SP_EUlS13_E_NS1_11comp_targetILNS1_3genE6ELNS1_11target_archE950ELNS1_3gpuE13ELNS1_3repE0EEENS1_47radix_sort_onesweep_sort_config_static_selectorELNS0_4arch9wavefront6targetE1EEEvSK_,"axG",@progbits,_ZN7rocprim17ROCPRIM_400000_NS6detail17trampoline_kernelINS0_14default_configENS1_35radix_sort_onesweep_config_selectorIxNS0_10empty_typeEEEZZNS1_29radix_sort_onesweep_iterationIS3_Lb0EN6thrust23THRUST_200600_302600_NS6detail15normal_iteratorINS9_10device_ptrIxEEEESE_PS5_SF_jNS0_19identity_decomposerENS1_16block_id_wrapperIjLb1EEEEE10hipError_tT1_PNSt15iterator_traitsISK_E10value_typeET2_T3_PNSL_ISQ_E10value_typeET4_T5_PSV_SW_PNS1_23onesweep_lookback_stateEbbT6_jjT7_P12ihipStream_tbENKUlT_T0_SK_SP_E_clISE_PxSF_SF_EEDaS13_S14_SK_SP_EUlS13_E_NS1_11comp_targetILNS1_3genE6ELNS1_11target_archE950ELNS1_3gpuE13ELNS1_3repE0EEENS1_47radix_sort_onesweep_sort_config_static_selectorELNS0_4arch9wavefront6targetE1EEEvSK_,comdat
	.protected	_ZN7rocprim17ROCPRIM_400000_NS6detail17trampoline_kernelINS0_14default_configENS1_35radix_sort_onesweep_config_selectorIxNS0_10empty_typeEEEZZNS1_29radix_sort_onesweep_iterationIS3_Lb0EN6thrust23THRUST_200600_302600_NS6detail15normal_iteratorINS9_10device_ptrIxEEEESE_PS5_SF_jNS0_19identity_decomposerENS1_16block_id_wrapperIjLb1EEEEE10hipError_tT1_PNSt15iterator_traitsISK_E10value_typeET2_T3_PNSL_ISQ_E10value_typeET4_T5_PSV_SW_PNS1_23onesweep_lookback_stateEbbT6_jjT7_P12ihipStream_tbENKUlT_T0_SK_SP_E_clISE_PxSF_SF_EEDaS13_S14_SK_SP_EUlS13_E_NS1_11comp_targetILNS1_3genE6ELNS1_11target_archE950ELNS1_3gpuE13ELNS1_3repE0EEENS1_47radix_sort_onesweep_sort_config_static_selectorELNS0_4arch9wavefront6targetE1EEEvSK_ ; -- Begin function _ZN7rocprim17ROCPRIM_400000_NS6detail17trampoline_kernelINS0_14default_configENS1_35radix_sort_onesweep_config_selectorIxNS0_10empty_typeEEEZZNS1_29radix_sort_onesweep_iterationIS3_Lb0EN6thrust23THRUST_200600_302600_NS6detail15normal_iteratorINS9_10device_ptrIxEEEESE_PS5_SF_jNS0_19identity_decomposerENS1_16block_id_wrapperIjLb1EEEEE10hipError_tT1_PNSt15iterator_traitsISK_E10value_typeET2_T3_PNSL_ISQ_E10value_typeET4_T5_PSV_SW_PNS1_23onesweep_lookback_stateEbbT6_jjT7_P12ihipStream_tbENKUlT_T0_SK_SP_E_clISE_PxSF_SF_EEDaS13_S14_SK_SP_EUlS13_E_NS1_11comp_targetILNS1_3genE6ELNS1_11target_archE950ELNS1_3gpuE13ELNS1_3repE0EEENS1_47radix_sort_onesweep_sort_config_static_selectorELNS0_4arch9wavefront6targetE1EEEvSK_
	.globl	_ZN7rocprim17ROCPRIM_400000_NS6detail17trampoline_kernelINS0_14default_configENS1_35radix_sort_onesweep_config_selectorIxNS0_10empty_typeEEEZZNS1_29radix_sort_onesweep_iterationIS3_Lb0EN6thrust23THRUST_200600_302600_NS6detail15normal_iteratorINS9_10device_ptrIxEEEESE_PS5_SF_jNS0_19identity_decomposerENS1_16block_id_wrapperIjLb1EEEEE10hipError_tT1_PNSt15iterator_traitsISK_E10value_typeET2_T3_PNSL_ISQ_E10value_typeET4_T5_PSV_SW_PNS1_23onesweep_lookback_stateEbbT6_jjT7_P12ihipStream_tbENKUlT_T0_SK_SP_E_clISE_PxSF_SF_EEDaS13_S14_SK_SP_EUlS13_E_NS1_11comp_targetILNS1_3genE6ELNS1_11target_archE950ELNS1_3gpuE13ELNS1_3repE0EEENS1_47radix_sort_onesweep_sort_config_static_selectorELNS0_4arch9wavefront6targetE1EEEvSK_
	.p2align	8
	.type	_ZN7rocprim17ROCPRIM_400000_NS6detail17trampoline_kernelINS0_14default_configENS1_35radix_sort_onesweep_config_selectorIxNS0_10empty_typeEEEZZNS1_29radix_sort_onesweep_iterationIS3_Lb0EN6thrust23THRUST_200600_302600_NS6detail15normal_iteratorINS9_10device_ptrIxEEEESE_PS5_SF_jNS0_19identity_decomposerENS1_16block_id_wrapperIjLb1EEEEE10hipError_tT1_PNSt15iterator_traitsISK_E10value_typeET2_T3_PNSL_ISQ_E10value_typeET4_T5_PSV_SW_PNS1_23onesweep_lookback_stateEbbT6_jjT7_P12ihipStream_tbENKUlT_T0_SK_SP_E_clISE_PxSF_SF_EEDaS13_S14_SK_SP_EUlS13_E_NS1_11comp_targetILNS1_3genE6ELNS1_11target_archE950ELNS1_3gpuE13ELNS1_3repE0EEENS1_47radix_sort_onesweep_sort_config_static_selectorELNS0_4arch9wavefront6targetE1EEEvSK_,@function
_ZN7rocprim17ROCPRIM_400000_NS6detail17trampoline_kernelINS0_14default_configENS1_35radix_sort_onesweep_config_selectorIxNS0_10empty_typeEEEZZNS1_29radix_sort_onesweep_iterationIS3_Lb0EN6thrust23THRUST_200600_302600_NS6detail15normal_iteratorINS9_10device_ptrIxEEEESE_PS5_SF_jNS0_19identity_decomposerENS1_16block_id_wrapperIjLb1EEEEE10hipError_tT1_PNSt15iterator_traitsISK_E10value_typeET2_T3_PNSL_ISQ_E10value_typeET4_T5_PSV_SW_PNS1_23onesweep_lookback_stateEbbT6_jjT7_P12ihipStream_tbENKUlT_T0_SK_SP_E_clISE_PxSF_SF_EEDaS13_S14_SK_SP_EUlS13_E_NS1_11comp_targetILNS1_3genE6ELNS1_11target_archE950ELNS1_3gpuE13ELNS1_3repE0EEENS1_47radix_sort_onesweep_sort_config_static_selectorELNS0_4arch9wavefront6targetE1EEEvSK_: ; @_ZN7rocprim17ROCPRIM_400000_NS6detail17trampoline_kernelINS0_14default_configENS1_35radix_sort_onesweep_config_selectorIxNS0_10empty_typeEEEZZNS1_29radix_sort_onesweep_iterationIS3_Lb0EN6thrust23THRUST_200600_302600_NS6detail15normal_iteratorINS9_10device_ptrIxEEEESE_PS5_SF_jNS0_19identity_decomposerENS1_16block_id_wrapperIjLb1EEEEE10hipError_tT1_PNSt15iterator_traitsISK_E10value_typeET2_T3_PNSL_ISQ_E10value_typeET4_T5_PSV_SW_PNS1_23onesweep_lookback_stateEbbT6_jjT7_P12ihipStream_tbENKUlT_T0_SK_SP_E_clISE_PxSF_SF_EEDaS13_S14_SK_SP_EUlS13_E_NS1_11comp_targetILNS1_3genE6ELNS1_11target_archE950ELNS1_3gpuE13ELNS1_3repE0EEENS1_47radix_sort_onesweep_sort_config_static_selectorELNS0_4arch9wavefront6targetE1EEEvSK_
; %bb.0:
	.section	.rodata,"a",@progbits
	.p2align	6, 0x0
	.amdhsa_kernel _ZN7rocprim17ROCPRIM_400000_NS6detail17trampoline_kernelINS0_14default_configENS1_35radix_sort_onesweep_config_selectorIxNS0_10empty_typeEEEZZNS1_29radix_sort_onesweep_iterationIS3_Lb0EN6thrust23THRUST_200600_302600_NS6detail15normal_iteratorINS9_10device_ptrIxEEEESE_PS5_SF_jNS0_19identity_decomposerENS1_16block_id_wrapperIjLb1EEEEE10hipError_tT1_PNSt15iterator_traitsISK_E10value_typeET2_T3_PNSL_ISQ_E10value_typeET4_T5_PSV_SW_PNS1_23onesweep_lookback_stateEbbT6_jjT7_P12ihipStream_tbENKUlT_T0_SK_SP_E_clISE_PxSF_SF_EEDaS13_S14_SK_SP_EUlS13_E_NS1_11comp_targetILNS1_3genE6ELNS1_11target_archE950ELNS1_3gpuE13ELNS1_3repE0EEENS1_47radix_sort_onesweep_sort_config_static_selectorELNS0_4arch9wavefront6targetE1EEEvSK_
		.amdhsa_group_segment_fixed_size 0
		.amdhsa_private_segment_fixed_size 0
		.amdhsa_kernarg_size 88
		.amdhsa_user_sgpr_count 6
		.amdhsa_user_sgpr_private_segment_buffer 1
		.amdhsa_user_sgpr_dispatch_ptr 0
		.amdhsa_user_sgpr_queue_ptr 0
		.amdhsa_user_sgpr_kernarg_segment_ptr 1
		.amdhsa_user_sgpr_dispatch_id 0
		.amdhsa_user_sgpr_flat_scratch_init 0
		.amdhsa_user_sgpr_kernarg_preload_length 0
		.amdhsa_user_sgpr_kernarg_preload_offset 0
		.amdhsa_user_sgpr_private_segment_size 0
		.amdhsa_uses_dynamic_stack 0
		.amdhsa_system_sgpr_private_segment_wavefront_offset 0
		.amdhsa_system_sgpr_workgroup_id_x 1
		.amdhsa_system_sgpr_workgroup_id_y 0
		.amdhsa_system_sgpr_workgroup_id_z 0
		.amdhsa_system_sgpr_workgroup_info 0
		.amdhsa_system_vgpr_workitem_id 0
		.amdhsa_next_free_vgpr 1
		.amdhsa_next_free_sgpr 0
		.amdhsa_accum_offset 4
		.amdhsa_reserve_vcc 0
		.amdhsa_reserve_flat_scratch 0
		.amdhsa_float_round_mode_32 0
		.amdhsa_float_round_mode_16_64 0
		.amdhsa_float_denorm_mode_32 3
		.amdhsa_float_denorm_mode_16_64 3
		.amdhsa_dx10_clamp 1
		.amdhsa_ieee_mode 1
		.amdhsa_fp16_overflow 0
		.amdhsa_tg_split 0
		.amdhsa_exception_fp_ieee_invalid_op 0
		.amdhsa_exception_fp_denorm_src 0
		.amdhsa_exception_fp_ieee_div_zero 0
		.amdhsa_exception_fp_ieee_overflow 0
		.amdhsa_exception_fp_ieee_underflow 0
		.amdhsa_exception_fp_ieee_inexact 0
		.amdhsa_exception_int_div_zero 0
	.end_amdhsa_kernel
	.section	.text._ZN7rocprim17ROCPRIM_400000_NS6detail17trampoline_kernelINS0_14default_configENS1_35radix_sort_onesweep_config_selectorIxNS0_10empty_typeEEEZZNS1_29radix_sort_onesweep_iterationIS3_Lb0EN6thrust23THRUST_200600_302600_NS6detail15normal_iteratorINS9_10device_ptrIxEEEESE_PS5_SF_jNS0_19identity_decomposerENS1_16block_id_wrapperIjLb1EEEEE10hipError_tT1_PNSt15iterator_traitsISK_E10value_typeET2_T3_PNSL_ISQ_E10value_typeET4_T5_PSV_SW_PNS1_23onesweep_lookback_stateEbbT6_jjT7_P12ihipStream_tbENKUlT_T0_SK_SP_E_clISE_PxSF_SF_EEDaS13_S14_SK_SP_EUlS13_E_NS1_11comp_targetILNS1_3genE6ELNS1_11target_archE950ELNS1_3gpuE13ELNS1_3repE0EEENS1_47radix_sort_onesweep_sort_config_static_selectorELNS0_4arch9wavefront6targetE1EEEvSK_,"axG",@progbits,_ZN7rocprim17ROCPRIM_400000_NS6detail17trampoline_kernelINS0_14default_configENS1_35radix_sort_onesweep_config_selectorIxNS0_10empty_typeEEEZZNS1_29radix_sort_onesweep_iterationIS3_Lb0EN6thrust23THRUST_200600_302600_NS6detail15normal_iteratorINS9_10device_ptrIxEEEESE_PS5_SF_jNS0_19identity_decomposerENS1_16block_id_wrapperIjLb1EEEEE10hipError_tT1_PNSt15iterator_traitsISK_E10value_typeET2_T3_PNSL_ISQ_E10value_typeET4_T5_PSV_SW_PNS1_23onesweep_lookback_stateEbbT6_jjT7_P12ihipStream_tbENKUlT_T0_SK_SP_E_clISE_PxSF_SF_EEDaS13_S14_SK_SP_EUlS13_E_NS1_11comp_targetILNS1_3genE6ELNS1_11target_archE950ELNS1_3gpuE13ELNS1_3repE0EEENS1_47radix_sort_onesweep_sort_config_static_selectorELNS0_4arch9wavefront6targetE1EEEvSK_,comdat
.Lfunc_end1552:
	.size	_ZN7rocprim17ROCPRIM_400000_NS6detail17trampoline_kernelINS0_14default_configENS1_35radix_sort_onesweep_config_selectorIxNS0_10empty_typeEEEZZNS1_29radix_sort_onesweep_iterationIS3_Lb0EN6thrust23THRUST_200600_302600_NS6detail15normal_iteratorINS9_10device_ptrIxEEEESE_PS5_SF_jNS0_19identity_decomposerENS1_16block_id_wrapperIjLb1EEEEE10hipError_tT1_PNSt15iterator_traitsISK_E10value_typeET2_T3_PNSL_ISQ_E10value_typeET4_T5_PSV_SW_PNS1_23onesweep_lookback_stateEbbT6_jjT7_P12ihipStream_tbENKUlT_T0_SK_SP_E_clISE_PxSF_SF_EEDaS13_S14_SK_SP_EUlS13_E_NS1_11comp_targetILNS1_3genE6ELNS1_11target_archE950ELNS1_3gpuE13ELNS1_3repE0EEENS1_47radix_sort_onesweep_sort_config_static_selectorELNS0_4arch9wavefront6targetE1EEEvSK_, .Lfunc_end1552-_ZN7rocprim17ROCPRIM_400000_NS6detail17trampoline_kernelINS0_14default_configENS1_35radix_sort_onesweep_config_selectorIxNS0_10empty_typeEEEZZNS1_29radix_sort_onesweep_iterationIS3_Lb0EN6thrust23THRUST_200600_302600_NS6detail15normal_iteratorINS9_10device_ptrIxEEEESE_PS5_SF_jNS0_19identity_decomposerENS1_16block_id_wrapperIjLb1EEEEE10hipError_tT1_PNSt15iterator_traitsISK_E10value_typeET2_T3_PNSL_ISQ_E10value_typeET4_T5_PSV_SW_PNS1_23onesweep_lookback_stateEbbT6_jjT7_P12ihipStream_tbENKUlT_T0_SK_SP_E_clISE_PxSF_SF_EEDaS13_S14_SK_SP_EUlS13_E_NS1_11comp_targetILNS1_3genE6ELNS1_11target_archE950ELNS1_3gpuE13ELNS1_3repE0EEENS1_47radix_sort_onesweep_sort_config_static_selectorELNS0_4arch9wavefront6targetE1EEEvSK_
                                        ; -- End function
	.section	.AMDGPU.csdata,"",@progbits
; Kernel info:
; codeLenInByte = 0
; NumSgprs: 4
; NumVgprs: 0
; NumAgprs: 0
; TotalNumVgprs: 0
; ScratchSize: 0
; MemoryBound: 0
; FloatMode: 240
; IeeeMode: 1
; LDSByteSize: 0 bytes/workgroup (compile time only)
; SGPRBlocks: 0
; VGPRBlocks: 0
; NumSGPRsForWavesPerEU: 4
; NumVGPRsForWavesPerEU: 1
; AccumOffset: 4
; Occupancy: 8
; WaveLimiterHint : 0
; COMPUTE_PGM_RSRC2:SCRATCH_EN: 0
; COMPUTE_PGM_RSRC2:USER_SGPR: 6
; COMPUTE_PGM_RSRC2:TRAP_HANDLER: 0
; COMPUTE_PGM_RSRC2:TGID_X_EN: 1
; COMPUTE_PGM_RSRC2:TGID_Y_EN: 0
; COMPUTE_PGM_RSRC2:TGID_Z_EN: 0
; COMPUTE_PGM_RSRC2:TIDIG_COMP_CNT: 0
; COMPUTE_PGM_RSRC3_GFX90A:ACCUM_OFFSET: 0
; COMPUTE_PGM_RSRC3_GFX90A:TG_SPLIT: 0
	.section	.text._ZN7rocprim17ROCPRIM_400000_NS6detail17trampoline_kernelINS0_14default_configENS1_35radix_sort_onesweep_config_selectorIxNS0_10empty_typeEEEZZNS1_29radix_sort_onesweep_iterationIS3_Lb0EN6thrust23THRUST_200600_302600_NS6detail15normal_iteratorINS9_10device_ptrIxEEEESE_PS5_SF_jNS0_19identity_decomposerENS1_16block_id_wrapperIjLb1EEEEE10hipError_tT1_PNSt15iterator_traitsISK_E10value_typeET2_T3_PNSL_ISQ_E10value_typeET4_T5_PSV_SW_PNS1_23onesweep_lookback_stateEbbT6_jjT7_P12ihipStream_tbENKUlT_T0_SK_SP_E_clISE_PxSF_SF_EEDaS13_S14_SK_SP_EUlS13_E_NS1_11comp_targetILNS1_3genE5ELNS1_11target_archE942ELNS1_3gpuE9ELNS1_3repE0EEENS1_47radix_sort_onesweep_sort_config_static_selectorELNS0_4arch9wavefront6targetE1EEEvSK_,"axG",@progbits,_ZN7rocprim17ROCPRIM_400000_NS6detail17trampoline_kernelINS0_14default_configENS1_35radix_sort_onesweep_config_selectorIxNS0_10empty_typeEEEZZNS1_29radix_sort_onesweep_iterationIS3_Lb0EN6thrust23THRUST_200600_302600_NS6detail15normal_iteratorINS9_10device_ptrIxEEEESE_PS5_SF_jNS0_19identity_decomposerENS1_16block_id_wrapperIjLb1EEEEE10hipError_tT1_PNSt15iterator_traitsISK_E10value_typeET2_T3_PNSL_ISQ_E10value_typeET4_T5_PSV_SW_PNS1_23onesweep_lookback_stateEbbT6_jjT7_P12ihipStream_tbENKUlT_T0_SK_SP_E_clISE_PxSF_SF_EEDaS13_S14_SK_SP_EUlS13_E_NS1_11comp_targetILNS1_3genE5ELNS1_11target_archE942ELNS1_3gpuE9ELNS1_3repE0EEENS1_47radix_sort_onesweep_sort_config_static_selectorELNS0_4arch9wavefront6targetE1EEEvSK_,comdat
	.protected	_ZN7rocprim17ROCPRIM_400000_NS6detail17trampoline_kernelINS0_14default_configENS1_35radix_sort_onesweep_config_selectorIxNS0_10empty_typeEEEZZNS1_29radix_sort_onesweep_iterationIS3_Lb0EN6thrust23THRUST_200600_302600_NS6detail15normal_iteratorINS9_10device_ptrIxEEEESE_PS5_SF_jNS0_19identity_decomposerENS1_16block_id_wrapperIjLb1EEEEE10hipError_tT1_PNSt15iterator_traitsISK_E10value_typeET2_T3_PNSL_ISQ_E10value_typeET4_T5_PSV_SW_PNS1_23onesweep_lookback_stateEbbT6_jjT7_P12ihipStream_tbENKUlT_T0_SK_SP_E_clISE_PxSF_SF_EEDaS13_S14_SK_SP_EUlS13_E_NS1_11comp_targetILNS1_3genE5ELNS1_11target_archE942ELNS1_3gpuE9ELNS1_3repE0EEENS1_47radix_sort_onesweep_sort_config_static_selectorELNS0_4arch9wavefront6targetE1EEEvSK_ ; -- Begin function _ZN7rocprim17ROCPRIM_400000_NS6detail17trampoline_kernelINS0_14default_configENS1_35radix_sort_onesweep_config_selectorIxNS0_10empty_typeEEEZZNS1_29radix_sort_onesweep_iterationIS3_Lb0EN6thrust23THRUST_200600_302600_NS6detail15normal_iteratorINS9_10device_ptrIxEEEESE_PS5_SF_jNS0_19identity_decomposerENS1_16block_id_wrapperIjLb1EEEEE10hipError_tT1_PNSt15iterator_traitsISK_E10value_typeET2_T3_PNSL_ISQ_E10value_typeET4_T5_PSV_SW_PNS1_23onesweep_lookback_stateEbbT6_jjT7_P12ihipStream_tbENKUlT_T0_SK_SP_E_clISE_PxSF_SF_EEDaS13_S14_SK_SP_EUlS13_E_NS1_11comp_targetILNS1_3genE5ELNS1_11target_archE942ELNS1_3gpuE9ELNS1_3repE0EEENS1_47radix_sort_onesweep_sort_config_static_selectorELNS0_4arch9wavefront6targetE1EEEvSK_
	.globl	_ZN7rocprim17ROCPRIM_400000_NS6detail17trampoline_kernelINS0_14default_configENS1_35radix_sort_onesweep_config_selectorIxNS0_10empty_typeEEEZZNS1_29radix_sort_onesweep_iterationIS3_Lb0EN6thrust23THRUST_200600_302600_NS6detail15normal_iteratorINS9_10device_ptrIxEEEESE_PS5_SF_jNS0_19identity_decomposerENS1_16block_id_wrapperIjLb1EEEEE10hipError_tT1_PNSt15iterator_traitsISK_E10value_typeET2_T3_PNSL_ISQ_E10value_typeET4_T5_PSV_SW_PNS1_23onesweep_lookback_stateEbbT6_jjT7_P12ihipStream_tbENKUlT_T0_SK_SP_E_clISE_PxSF_SF_EEDaS13_S14_SK_SP_EUlS13_E_NS1_11comp_targetILNS1_3genE5ELNS1_11target_archE942ELNS1_3gpuE9ELNS1_3repE0EEENS1_47radix_sort_onesweep_sort_config_static_selectorELNS0_4arch9wavefront6targetE1EEEvSK_
	.p2align	8
	.type	_ZN7rocprim17ROCPRIM_400000_NS6detail17trampoline_kernelINS0_14default_configENS1_35radix_sort_onesweep_config_selectorIxNS0_10empty_typeEEEZZNS1_29radix_sort_onesweep_iterationIS3_Lb0EN6thrust23THRUST_200600_302600_NS6detail15normal_iteratorINS9_10device_ptrIxEEEESE_PS5_SF_jNS0_19identity_decomposerENS1_16block_id_wrapperIjLb1EEEEE10hipError_tT1_PNSt15iterator_traitsISK_E10value_typeET2_T3_PNSL_ISQ_E10value_typeET4_T5_PSV_SW_PNS1_23onesweep_lookback_stateEbbT6_jjT7_P12ihipStream_tbENKUlT_T0_SK_SP_E_clISE_PxSF_SF_EEDaS13_S14_SK_SP_EUlS13_E_NS1_11comp_targetILNS1_3genE5ELNS1_11target_archE942ELNS1_3gpuE9ELNS1_3repE0EEENS1_47radix_sort_onesweep_sort_config_static_selectorELNS0_4arch9wavefront6targetE1EEEvSK_,@function
_ZN7rocprim17ROCPRIM_400000_NS6detail17trampoline_kernelINS0_14default_configENS1_35radix_sort_onesweep_config_selectorIxNS0_10empty_typeEEEZZNS1_29radix_sort_onesweep_iterationIS3_Lb0EN6thrust23THRUST_200600_302600_NS6detail15normal_iteratorINS9_10device_ptrIxEEEESE_PS5_SF_jNS0_19identity_decomposerENS1_16block_id_wrapperIjLb1EEEEE10hipError_tT1_PNSt15iterator_traitsISK_E10value_typeET2_T3_PNSL_ISQ_E10value_typeET4_T5_PSV_SW_PNS1_23onesweep_lookback_stateEbbT6_jjT7_P12ihipStream_tbENKUlT_T0_SK_SP_E_clISE_PxSF_SF_EEDaS13_S14_SK_SP_EUlS13_E_NS1_11comp_targetILNS1_3genE5ELNS1_11target_archE942ELNS1_3gpuE9ELNS1_3repE0EEENS1_47radix_sort_onesweep_sort_config_static_selectorELNS0_4arch9wavefront6targetE1EEEvSK_: ; @_ZN7rocprim17ROCPRIM_400000_NS6detail17trampoline_kernelINS0_14default_configENS1_35radix_sort_onesweep_config_selectorIxNS0_10empty_typeEEEZZNS1_29radix_sort_onesweep_iterationIS3_Lb0EN6thrust23THRUST_200600_302600_NS6detail15normal_iteratorINS9_10device_ptrIxEEEESE_PS5_SF_jNS0_19identity_decomposerENS1_16block_id_wrapperIjLb1EEEEE10hipError_tT1_PNSt15iterator_traitsISK_E10value_typeET2_T3_PNSL_ISQ_E10value_typeET4_T5_PSV_SW_PNS1_23onesweep_lookback_stateEbbT6_jjT7_P12ihipStream_tbENKUlT_T0_SK_SP_E_clISE_PxSF_SF_EEDaS13_S14_SK_SP_EUlS13_E_NS1_11comp_targetILNS1_3genE5ELNS1_11target_archE942ELNS1_3gpuE9ELNS1_3repE0EEENS1_47radix_sort_onesweep_sort_config_static_selectorELNS0_4arch9wavefront6targetE1EEEvSK_
; %bb.0:
	.section	.rodata,"a",@progbits
	.p2align	6, 0x0
	.amdhsa_kernel _ZN7rocprim17ROCPRIM_400000_NS6detail17trampoline_kernelINS0_14default_configENS1_35radix_sort_onesweep_config_selectorIxNS0_10empty_typeEEEZZNS1_29radix_sort_onesweep_iterationIS3_Lb0EN6thrust23THRUST_200600_302600_NS6detail15normal_iteratorINS9_10device_ptrIxEEEESE_PS5_SF_jNS0_19identity_decomposerENS1_16block_id_wrapperIjLb1EEEEE10hipError_tT1_PNSt15iterator_traitsISK_E10value_typeET2_T3_PNSL_ISQ_E10value_typeET4_T5_PSV_SW_PNS1_23onesweep_lookback_stateEbbT6_jjT7_P12ihipStream_tbENKUlT_T0_SK_SP_E_clISE_PxSF_SF_EEDaS13_S14_SK_SP_EUlS13_E_NS1_11comp_targetILNS1_3genE5ELNS1_11target_archE942ELNS1_3gpuE9ELNS1_3repE0EEENS1_47radix_sort_onesweep_sort_config_static_selectorELNS0_4arch9wavefront6targetE1EEEvSK_
		.amdhsa_group_segment_fixed_size 0
		.amdhsa_private_segment_fixed_size 0
		.amdhsa_kernarg_size 88
		.amdhsa_user_sgpr_count 6
		.amdhsa_user_sgpr_private_segment_buffer 1
		.amdhsa_user_sgpr_dispatch_ptr 0
		.amdhsa_user_sgpr_queue_ptr 0
		.amdhsa_user_sgpr_kernarg_segment_ptr 1
		.amdhsa_user_sgpr_dispatch_id 0
		.amdhsa_user_sgpr_flat_scratch_init 0
		.amdhsa_user_sgpr_kernarg_preload_length 0
		.amdhsa_user_sgpr_kernarg_preload_offset 0
		.amdhsa_user_sgpr_private_segment_size 0
		.amdhsa_uses_dynamic_stack 0
		.amdhsa_system_sgpr_private_segment_wavefront_offset 0
		.amdhsa_system_sgpr_workgroup_id_x 1
		.amdhsa_system_sgpr_workgroup_id_y 0
		.amdhsa_system_sgpr_workgroup_id_z 0
		.amdhsa_system_sgpr_workgroup_info 0
		.amdhsa_system_vgpr_workitem_id 0
		.amdhsa_next_free_vgpr 1
		.amdhsa_next_free_sgpr 0
		.amdhsa_accum_offset 4
		.amdhsa_reserve_vcc 0
		.amdhsa_reserve_flat_scratch 0
		.amdhsa_float_round_mode_32 0
		.amdhsa_float_round_mode_16_64 0
		.amdhsa_float_denorm_mode_32 3
		.amdhsa_float_denorm_mode_16_64 3
		.amdhsa_dx10_clamp 1
		.amdhsa_ieee_mode 1
		.amdhsa_fp16_overflow 0
		.amdhsa_tg_split 0
		.amdhsa_exception_fp_ieee_invalid_op 0
		.amdhsa_exception_fp_denorm_src 0
		.amdhsa_exception_fp_ieee_div_zero 0
		.amdhsa_exception_fp_ieee_overflow 0
		.amdhsa_exception_fp_ieee_underflow 0
		.amdhsa_exception_fp_ieee_inexact 0
		.amdhsa_exception_int_div_zero 0
	.end_amdhsa_kernel
	.section	.text._ZN7rocprim17ROCPRIM_400000_NS6detail17trampoline_kernelINS0_14default_configENS1_35radix_sort_onesweep_config_selectorIxNS0_10empty_typeEEEZZNS1_29radix_sort_onesweep_iterationIS3_Lb0EN6thrust23THRUST_200600_302600_NS6detail15normal_iteratorINS9_10device_ptrIxEEEESE_PS5_SF_jNS0_19identity_decomposerENS1_16block_id_wrapperIjLb1EEEEE10hipError_tT1_PNSt15iterator_traitsISK_E10value_typeET2_T3_PNSL_ISQ_E10value_typeET4_T5_PSV_SW_PNS1_23onesweep_lookback_stateEbbT6_jjT7_P12ihipStream_tbENKUlT_T0_SK_SP_E_clISE_PxSF_SF_EEDaS13_S14_SK_SP_EUlS13_E_NS1_11comp_targetILNS1_3genE5ELNS1_11target_archE942ELNS1_3gpuE9ELNS1_3repE0EEENS1_47radix_sort_onesweep_sort_config_static_selectorELNS0_4arch9wavefront6targetE1EEEvSK_,"axG",@progbits,_ZN7rocprim17ROCPRIM_400000_NS6detail17trampoline_kernelINS0_14default_configENS1_35radix_sort_onesweep_config_selectorIxNS0_10empty_typeEEEZZNS1_29radix_sort_onesweep_iterationIS3_Lb0EN6thrust23THRUST_200600_302600_NS6detail15normal_iteratorINS9_10device_ptrIxEEEESE_PS5_SF_jNS0_19identity_decomposerENS1_16block_id_wrapperIjLb1EEEEE10hipError_tT1_PNSt15iterator_traitsISK_E10value_typeET2_T3_PNSL_ISQ_E10value_typeET4_T5_PSV_SW_PNS1_23onesweep_lookback_stateEbbT6_jjT7_P12ihipStream_tbENKUlT_T0_SK_SP_E_clISE_PxSF_SF_EEDaS13_S14_SK_SP_EUlS13_E_NS1_11comp_targetILNS1_3genE5ELNS1_11target_archE942ELNS1_3gpuE9ELNS1_3repE0EEENS1_47radix_sort_onesweep_sort_config_static_selectorELNS0_4arch9wavefront6targetE1EEEvSK_,comdat
.Lfunc_end1553:
	.size	_ZN7rocprim17ROCPRIM_400000_NS6detail17trampoline_kernelINS0_14default_configENS1_35radix_sort_onesweep_config_selectorIxNS0_10empty_typeEEEZZNS1_29radix_sort_onesweep_iterationIS3_Lb0EN6thrust23THRUST_200600_302600_NS6detail15normal_iteratorINS9_10device_ptrIxEEEESE_PS5_SF_jNS0_19identity_decomposerENS1_16block_id_wrapperIjLb1EEEEE10hipError_tT1_PNSt15iterator_traitsISK_E10value_typeET2_T3_PNSL_ISQ_E10value_typeET4_T5_PSV_SW_PNS1_23onesweep_lookback_stateEbbT6_jjT7_P12ihipStream_tbENKUlT_T0_SK_SP_E_clISE_PxSF_SF_EEDaS13_S14_SK_SP_EUlS13_E_NS1_11comp_targetILNS1_3genE5ELNS1_11target_archE942ELNS1_3gpuE9ELNS1_3repE0EEENS1_47radix_sort_onesweep_sort_config_static_selectorELNS0_4arch9wavefront6targetE1EEEvSK_, .Lfunc_end1553-_ZN7rocprim17ROCPRIM_400000_NS6detail17trampoline_kernelINS0_14default_configENS1_35radix_sort_onesweep_config_selectorIxNS0_10empty_typeEEEZZNS1_29radix_sort_onesweep_iterationIS3_Lb0EN6thrust23THRUST_200600_302600_NS6detail15normal_iteratorINS9_10device_ptrIxEEEESE_PS5_SF_jNS0_19identity_decomposerENS1_16block_id_wrapperIjLb1EEEEE10hipError_tT1_PNSt15iterator_traitsISK_E10value_typeET2_T3_PNSL_ISQ_E10value_typeET4_T5_PSV_SW_PNS1_23onesweep_lookback_stateEbbT6_jjT7_P12ihipStream_tbENKUlT_T0_SK_SP_E_clISE_PxSF_SF_EEDaS13_S14_SK_SP_EUlS13_E_NS1_11comp_targetILNS1_3genE5ELNS1_11target_archE942ELNS1_3gpuE9ELNS1_3repE0EEENS1_47radix_sort_onesweep_sort_config_static_selectorELNS0_4arch9wavefront6targetE1EEEvSK_
                                        ; -- End function
	.section	.AMDGPU.csdata,"",@progbits
; Kernel info:
; codeLenInByte = 0
; NumSgprs: 4
; NumVgprs: 0
; NumAgprs: 0
; TotalNumVgprs: 0
; ScratchSize: 0
; MemoryBound: 0
; FloatMode: 240
; IeeeMode: 1
; LDSByteSize: 0 bytes/workgroup (compile time only)
; SGPRBlocks: 0
; VGPRBlocks: 0
; NumSGPRsForWavesPerEU: 4
; NumVGPRsForWavesPerEU: 1
; AccumOffset: 4
; Occupancy: 8
; WaveLimiterHint : 0
; COMPUTE_PGM_RSRC2:SCRATCH_EN: 0
; COMPUTE_PGM_RSRC2:USER_SGPR: 6
; COMPUTE_PGM_RSRC2:TRAP_HANDLER: 0
; COMPUTE_PGM_RSRC2:TGID_X_EN: 1
; COMPUTE_PGM_RSRC2:TGID_Y_EN: 0
; COMPUTE_PGM_RSRC2:TGID_Z_EN: 0
; COMPUTE_PGM_RSRC2:TIDIG_COMP_CNT: 0
; COMPUTE_PGM_RSRC3_GFX90A:ACCUM_OFFSET: 0
; COMPUTE_PGM_RSRC3_GFX90A:TG_SPLIT: 0
	.section	.text._ZN7rocprim17ROCPRIM_400000_NS6detail17trampoline_kernelINS0_14default_configENS1_35radix_sort_onesweep_config_selectorIxNS0_10empty_typeEEEZZNS1_29radix_sort_onesweep_iterationIS3_Lb0EN6thrust23THRUST_200600_302600_NS6detail15normal_iteratorINS9_10device_ptrIxEEEESE_PS5_SF_jNS0_19identity_decomposerENS1_16block_id_wrapperIjLb1EEEEE10hipError_tT1_PNSt15iterator_traitsISK_E10value_typeET2_T3_PNSL_ISQ_E10value_typeET4_T5_PSV_SW_PNS1_23onesweep_lookback_stateEbbT6_jjT7_P12ihipStream_tbENKUlT_T0_SK_SP_E_clISE_PxSF_SF_EEDaS13_S14_SK_SP_EUlS13_E_NS1_11comp_targetILNS1_3genE2ELNS1_11target_archE906ELNS1_3gpuE6ELNS1_3repE0EEENS1_47radix_sort_onesweep_sort_config_static_selectorELNS0_4arch9wavefront6targetE1EEEvSK_,"axG",@progbits,_ZN7rocprim17ROCPRIM_400000_NS6detail17trampoline_kernelINS0_14default_configENS1_35radix_sort_onesweep_config_selectorIxNS0_10empty_typeEEEZZNS1_29radix_sort_onesweep_iterationIS3_Lb0EN6thrust23THRUST_200600_302600_NS6detail15normal_iteratorINS9_10device_ptrIxEEEESE_PS5_SF_jNS0_19identity_decomposerENS1_16block_id_wrapperIjLb1EEEEE10hipError_tT1_PNSt15iterator_traitsISK_E10value_typeET2_T3_PNSL_ISQ_E10value_typeET4_T5_PSV_SW_PNS1_23onesweep_lookback_stateEbbT6_jjT7_P12ihipStream_tbENKUlT_T0_SK_SP_E_clISE_PxSF_SF_EEDaS13_S14_SK_SP_EUlS13_E_NS1_11comp_targetILNS1_3genE2ELNS1_11target_archE906ELNS1_3gpuE6ELNS1_3repE0EEENS1_47radix_sort_onesweep_sort_config_static_selectorELNS0_4arch9wavefront6targetE1EEEvSK_,comdat
	.protected	_ZN7rocprim17ROCPRIM_400000_NS6detail17trampoline_kernelINS0_14default_configENS1_35radix_sort_onesweep_config_selectorIxNS0_10empty_typeEEEZZNS1_29radix_sort_onesweep_iterationIS3_Lb0EN6thrust23THRUST_200600_302600_NS6detail15normal_iteratorINS9_10device_ptrIxEEEESE_PS5_SF_jNS0_19identity_decomposerENS1_16block_id_wrapperIjLb1EEEEE10hipError_tT1_PNSt15iterator_traitsISK_E10value_typeET2_T3_PNSL_ISQ_E10value_typeET4_T5_PSV_SW_PNS1_23onesweep_lookback_stateEbbT6_jjT7_P12ihipStream_tbENKUlT_T0_SK_SP_E_clISE_PxSF_SF_EEDaS13_S14_SK_SP_EUlS13_E_NS1_11comp_targetILNS1_3genE2ELNS1_11target_archE906ELNS1_3gpuE6ELNS1_3repE0EEENS1_47radix_sort_onesweep_sort_config_static_selectorELNS0_4arch9wavefront6targetE1EEEvSK_ ; -- Begin function _ZN7rocprim17ROCPRIM_400000_NS6detail17trampoline_kernelINS0_14default_configENS1_35radix_sort_onesweep_config_selectorIxNS0_10empty_typeEEEZZNS1_29radix_sort_onesweep_iterationIS3_Lb0EN6thrust23THRUST_200600_302600_NS6detail15normal_iteratorINS9_10device_ptrIxEEEESE_PS5_SF_jNS0_19identity_decomposerENS1_16block_id_wrapperIjLb1EEEEE10hipError_tT1_PNSt15iterator_traitsISK_E10value_typeET2_T3_PNSL_ISQ_E10value_typeET4_T5_PSV_SW_PNS1_23onesweep_lookback_stateEbbT6_jjT7_P12ihipStream_tbENKUlT_T0_SK_SP_E_clISE_PxSF_SF_EEDaS13_S14_SK_SP_EUlS13_E_NS1_11comp_targetILNS1_3genE2ELNS1_11target_archE906ELNS1_3gpuE6ELNS1_3repE0EEENS1_47radix_sort_onesweep_sort_config_static_selectorELNS0_4arch9wavefront6targetE1EEEvSK_
	.globl	_ZN7rocprim17ROCPRIM_400000_NS6detail17trampoline_kernelINS0_14default_configENS1_35radix_sort_onesweep_config_selectorIxNS0_10empty_typeEEEZZNS1_29radix_sort_onesweep_iterationIS3_Lb0EN6thrust23THRUST_200600_302600_NS6detail15normal_iteratorINS9_10device_ptrIxEEEESE_PS5_SF_jNS0_19identity_decomposerENS1_16block_id_wrapperIjLb1EEEEE10hipError_tT1_PNSt15iterator_traitsISK_E10value_typeET2_T3_PNSL_ISQ_E10value_typeET4_T5_PSV_SW_PNS1_23onesweep_lookback_stateEbbT6_jjT7_P12ihipStream_tbENKUlT_T0_SK_SP_E_clISE_PxSF_SF_EEDaS13_S14_SK_SP_EUlS13_E_NS1_11comp_targetILNS1_3genE2ELNS1_11target_archE906ELNS1_3gpuE6ELNS1_3repE0EEENS1_47radix_sort_onesweep_sort_config_static_selectorELNS0_4arch9wavefront6targetE1EEEvSK_
	.p2align	8
	.type	_ZN7rocprim17ROCPRIM_400000_NS6detail17trampoline_kernelINS0_14default_configENS1_35radix_sort_onesweep_config_selectorIxNS0_10empty_typeEEEZZNS1_29radix_sort_onesweep_iterationIS3_Lb0EN6thrust23THRUST_200600_302600_NS6detail15normal_iteratorINS9_10device_ptrIxEEEESE_PS5_SF_jNS0_19identity_decomposerENS1_16block_id_wrapperIjLb1EEEEE10hipError_tT1_PNSt15iterator_traitsISK_E10value_typeET2_T3_PNSL_ISQ_E10value_typeET4_T5_PSV_SW_PNS1_23onesweep_lookback_stateEbbT6_jjT7_P12ihipStream_tbENKUlT_T0_SK_SP_E_clISE_PxSF_SF_EEDaS13_S14_SK_SP_EUlS13_E_NS1_11comp_targetILNS1_3genE2ELNS1_11target_archE906ELNS1_3gpuE6ELNS1_3repE0EEENS1_47radix_sort_onesweep_sort_config_static_selectorELNS0_4arch9wavefront6targetE1EEEvSK_,@function
_ZN7rocprim17ROCPRIM_400000_NS6detail17trampoline_kernelINS0_14default_configENS1_35radix_sort_onesweep_config_selectorIxNS0_10empty_typeEEEZZNS1_29radix_sort_onesweep_iterationIS3_Lb0EN6thrust23THRUST_200600_302600_NS6detail15normal_iteratorINS9_10device_ptrIxEEEESE_PS5_SF_jNS0_19identity_decomposerENS1_16block_id_wrapperIjLb1EEEEE10hipError_tT1_PNSt15iterator_traitsISK_E10value_typeET2_T3_PNSL_ISQ_E10value_typeET4_T5_PSV_SW_PNS1_23onesweep_lookback_stateEbbT6_jjT7_P12ihipStream_tbENKUlT_T0_SK_SP_E_clISE_PxSF_SF_EEDaS13_S14_SK_SP_EUlS13_E_NS1_11comp_targetILNS1_3genE2ELNS1_11target_archE906ELNS1_3gpuE6ELNS1_3repE0EEENS1_47radix_sort_onesweep_sort_config_static_selectorELNS0_4arch9wavefront6targetE1EEEvSK_: ; @_ZN7rocprim17ROCPRIM_400000_NS6detail17trampoline_kernelINS0_14default_configENS1_35radix_sort_onesweep_config_selectorIxNS0_10empty_typeEEEZZNS1_29radix_sort_onesweep_iterationIS3_Lb0EN6thrust23THRUST_200600_302600_NS6detail15normal_iteratorINS9_10device_ptrIxEEEESE_PS5_SF_jNS0_19identity_decomposerENS1_16block_id_wrapperIjLb1EEEEE10hipError_tT1_PNSt15iterator_traitsISK_E10value_typeET2_T3_PNSL_ISQ_E10value_typeET4_T5_PSV_SW_PNS1_23onesweep_lookback_stateEbbT6_jjT7_P12ihipStream_tbENKUlT_T0_SK_SP_E_clISE_PxSF_SF_EEDaS13_S14_SK_SP_EUlS13_E_NS1_11comp_targetILNS1_3genE2ELNS1_11target_archE906ELNS1_3gpuE6ELNS1_3repE0EEENS1_47radix_sort_onesweep_sort_config_static_selectorELNS0_4arch9wavefront6targetE1EEEvSK_
; %bb.0:
	.section	.rodata,"a",@progbits
	.p2align	6, 0x0
	.amdhsa_kernel _ZN7rocprim17ROCPRIM_400000_NS6detail17trampoline_kernelINS0_14default_configENS1_35radix_sort_onesweep_config_selectorIxNS0_10empty_typeEEEZZNS1_29radix_sort_onesweep_iterationIS3_Lb0EN6thrust23THRUST_200600_302600_NS6detail15normal_iteratorINS9_10device_ptrIxEEEESE_PS5_SF_jNS0_19identity_decomposerENS1_16block_id_wrapperIjLb1EEEEE10hipError_tT1_PNSt15iterator_traitsISK_E10value_typeET2_T3_PNSL_ISQ_E10value_typeET4_T5_PSV_SW_PNS1_23onesweep_lookback_stateEbbT6_jjT7_P12ihipStream_tbENKUlT_T0_SK_SP_E_clISE_PxSF_SF_EEDaS13_S14_SK_SP_EUlS13_E_NS1_11comp_targetILNS1_3genE2ELNS1_11target_archE906ELNS1_3gpuE6ELNS1_3repE0EEENS1_47radix_sort_onesweep_sort_config_static_selectorELNS0_4arch9wavefront6targetE1EEEvSK_
		.amdhsa_group_segment_fixed_size 0
		.amdhsa_private_segment_fixed_size 0
		.amdhsa_kernarg_size 88
		.amdhsa_user_sgpr_count 6
		.amdhsa_user_sgpr_private_segment_buffer 1
		.amdhsa_user_sgpr_dispatch_ptr 0
		.amdhsa_user_sgpr_queue_ptr 0
		.amdhsa_user_sgpr_kernarg_segment_ptr 1
		.amdhsa_user_sgpr_dispatch_id 0
		.amdhsa_user_sgpr_flat_scratch_init 0
		.amdhsa_user_sgpr_kernarg_preload_length 0
		.amdhsa_user_sgpr_kernarg_preload_offset 0
		.amdhsa_user_sgpr_private_segment_size 0
		.amdhsa_uses_dynamic_stack 0
		.amdhsa_system_sgpr_private_segment_wavefront_offset 0
		.amdhsa_system_sgpr_workgroup_id_x 1
		.amdhsa_system_sgpr_workgroup_id_y 0
		.amdhsa_system_sgpr_workgroup_id_z 0
		.amdhsa_system_sgpr_workgroup_info 0
		.amdhsa_system_vgpr_workitem_id 0
		.amdhsa_next_free_vgpr 1
		.amdhsa_next_free_sgpr 0
		.amdhsa_accum_offset 4
		.amdhsa_reserve_vcc 0
		.amdhsa_reserve_flat_scratch 0
		.amdhsa_float_round_mode_32 0
		.amdhsa_float_round_mode_16_64 0
		.amdhsa_float_denorm_mode_32 3
		.amdhsa_float_denorm_mode_16_64 3
		.amdhsa_dx10_clamp 1
		.amdhsa_ieee_mode 1
		.amdhsa_fp16_overflow 0
		.amdhsa_tg_split 0
		.amdhsa_exception_fp_ieee_invalid_op 0
		.amdhsa_exception_fp_denorm_src 0
		.amdhsa_exception_fp_ieee_div_zero 0
		.amdhsa_exception_fp_ieee_overflow 0
		.amdhsa_exception_fp_ieee_underflow 0
		.amdhsa_exception_fp_ieee_inexact 0
		.amdhsa_exception_int_div_zero 0
	.end_amdhsa_kernel
	.section	.text._ZN7rocprim17ROCPRIM_400000_NS6detail17trampoline_kernelINS0_14default_configENS1_35radix_sort_onesweep_config_selectorIxNS0_10empty_typeEEEZZNS1_29radix_sort_onesweep_iterationIS3_Lb0EN6thrust23THRUST_200600_302600_NS6detail15normal_iteratorINS9_10device_ptrIxEEEESE_PS5_SF_jNS0_19identity_decomposerENS1_16block_id_wrapperIjLb1EEEEE10hipError_tT1_PNSt15iterator_traitsISK_E10value_typeET2_T3_PNSL_ISQ_E10value_typeET4_T5_PSV_SW_PNS1_23onesweep_lookback_stateEbbT6_jjT7_P12ihipStream_tbENKUlT_T0_SK_SP_E_clISE_PxSF_SF_EEDaS13_S14_SK_SP_EUlS13_E_NS1_11comp_targetILNS1_3genE2ELNS1_11target_archE906ELNS1_3gpuE6ELNS1_3repE0EEENS1_47radix_sort_onesweep_sort_config_static_selectorELNS0_4arch9wavefront6targetE1EEEvSK_,"axG",@progbits,_ZN7rocprim17ROCPRIM_400000_NS6detail17trampoline_kernelINS0_14default_configENS1_35radix_sort_onesweep_config_selectorIxNS0_10empty_typeEEEZZNS1_29radix_sort_onesweep_iterationIS3_Lb0EN6thrust23THRUST_200600_302600_NS6detail15normal_iteratorINS9_10device_ptrIxEEEESE_PS5_SF_jNS0_19identity_decomposerENS1_16block_id_wrapperIjLb1EEEEE10hipError_tT1_PNSt15iterator_traitsISK_E10value_typeET2_T3_PNSL_ISQ_E10value_typeET4_T5_PSV_SW_PNS1_23onesweep_lookback_stateEbbT6_jjT7_P12ihipStream_tbENKUlT_T0_SK_SP_E_clISE_PxSF_SF_EEDaS13_S14_SK_SP_EUlS13_E_NS1_11comp_targetILNS1_3genE2ELNS1_11target_archE906ELNS1_3gpuE6ELNS1_3repE0EEENS1_47radix_sort_onesweep_sort_config_static_selectorELNS0_4arch9wavefront6targetE1EEEvSK_,comdat
.Lfunc_end1554:
	.size	_ZN7rocprim17ROCPRIM_400000_NS6detail17trampoline_kernelINS0_14default_configENS1_35radix_sort_onesweep_config_selectorIxNS0_10empty_typeEEEZZNS1_29radix_sort_onesweep_iterationIS3_Lb0EN6thrust23THRUST_200600_302600_NS6detail15normal_iteratorINS9_10device_ptrIxEEEESE_PS5_SF_jNS0_19identity_decomposerENS1_16block_id_wrapperIjLb1EEEEE10hipError_tT1_PNSt15iterator_traitsISK_E10value_typeET2_T3_PNSL_ISQ_E10value_typeET4_T5_PSV_SW_PNS1_23onesweep_lookback_stateEbbT6_jjT7_P12ihipStream_tbENKUlT_T0_SK_SP_E_clISE_PxSF_SF_EEDaS13_S14_SK_SP_EUlS13_E_NS1_11comp_targetILNS1_3genE2ELNS1_11target_archE906ELNS1_3gpuE6ELNS1_3repE0EEENS1_47radix_sort_onesweep_sort_config_static_selectorELNS0_4arch9wavefront6targetE1EEEvSK_, .Lfunc_end1554-_ZN7rocprim17ROCPRIM_400000_NS6detail17trampoline_kernelINS0_14default_configENS1_35radix_sort_onesweep_config_selectorIxNS0_10empty_typeEEEZZNS1_29radix_sort_onesweep_iterationIS3_Lb0EN6thrust23THRUST_200600_302600_NS6detail15normal_iteratorINS9_10device_ptrIxEEEESE_PS5_SF_jNS0_19identity_decomposerENS1_16block_id_wrapperIjLb1EEEEE10hipError_tT1_PNSt15iterator_traitsISK_E10value_typeET2_T3_PNSL_ISQ_E10value_typeET4_T5_PSV_SW_PNS1_23onesweep_lookback_stateEbbT6_jjT7_P12ihipStream_tbENKUlT_T0_SK_SP_E_clISE_PxSF_SF_EEDaS13_S14_SK_SP_EUlS13_E_NS1_11comp_targetILNS1_3genE2ELNS1_11target_archE906ELNS1_3gpuE6ELNS1_3repE0EEENS1_47radix_sort_onesweep_sort_config_static_selectorELNS0_4arch9wavefront6targetE1EEEvSK_
                                        ; -- End function
	.section	.AMDGPU.csdata,"",@progbits
; Kernel info:
; codeLenInByte = 0
; NumSgprs: 4
; NumVgprs: 0
; NumAgprs: 0
; TotalNumVgprs: 0
; ScratchSize: 0
; MemoryBound: 0
; FloatMode: 240
; IeeeMode: 1
; LDSByteSize: 0 bytes/workgroup (compile time only)
; SGPRBlocks: 0
; VGPRBlocks: 0
; NumSGPRsForWavesPerEU: 4
; NumVGPRsForWavesPerEU: 1
; AccumOffset: 4
; Occupancy: 8
; WaveLimiterHint : 0
; COMPUTE_PGM_RSRC2:SCRATCH_EN: 0
; COMPUTE_PGM_RSRC2:USER_SGPR: 6
; COMPUTE_PGM_RSRC2:TRAP_HANDLER: 0
; COMPUTE_PGM_RSRC2:TGID_X_EN: 1
; COMPUTE_PGM_RSRC2:TGID_Y_EN: 0
; COMPUTE_PGM_RSRC2:TGID_Z_EN: 0
; COMPUTE_PGM_RSRC2:TIDIG_COMP_CNT: 0
; COMPUTE_PGM_RSRC3_GFX90A:ACCUM_OFFSET: 0
; COMPUTE_PGM_RSRC3_GFX90A:TG_SPLIT: 0
	.section	.text._ZN7rocprim17ROCPRIM_400000_NS6detail17trampoline_kernelINS0_14default_configENS1_35radix_sort_onesweep_config_selectorIxNS0_10empty_typeEEEZZNS1_29radix_sort_onesweep_iterationIS3_Lb0EN6thrust23THRUST_200600_302600_NS6detail15normal_iteratorINS9_10device_ptrIxEEEESE_PS5_SF_jNS0_19identity_decomposerENS1_16block_id_wrapperIjLb1EEEEE10hipError_tT1_PNSt15iterator_traitsISK_E10value_typeET2_T3_PNSL_ISQ_E10value_typeET4_T5_PSV_SW_PNS1_23onesweep_lookback_stateEbbT6_jjT7_P12ihipStream_tbENKUlT_T0_SK_SP_E_clISE_PxSF_SF_EEDaS13_S14_SK_SP_EUlS13_E_NS1_11comp_targetILNS1_3genE4ELNS1_11target_archE910ELNS1_3gpuE8ELNS1_3repE0EEENS1_47radix_sort_onesweep_sort_config_static_selectorELNS0_4arch9wavefront6targetE1EEEvSK_,"axG",@progbits,_ZN7rocprim17ROCPRIM_400000_NS6detail17trampoline_kernelINS0_14default_configENS1_35radix_sort_onesweep_config_selectorIxNS0_10empty_typeEEEZZNS1_29radix_sort_onesweep_iterationIS3_Lb0EN6thrust23THRUST_200600_302600_NS6detail15normal_iteratorINS9_10device_ptrIxEEEESE_PS5_SF_jNS0_19identity_decomposerENS1_16block_id_wrapperIjLb1EEEEE10hipError_tT1_PNSt15iterator_traitsISK_E10value_typeET2_T3_PNSL_ISQ_E10value_typeET4_T5_PSV_SW_PNS1_23onesweep_lookback_stateEbbT6_jjT7_P12ihipStream_tbENKUlT_T0_SK_SP_E_clISE_PxSF_SF_EEDaS13_S14_SK_SP_EUlS13_E_NS1_11comp_targetILNS1_3genE4ELNS1_11target_archE910ELNS1_3gpuE8ELNS1_3repE0EEENS1_47radix_sort_onesweep_sort_config_static_selectorELNS0_4arch9wavefront6targetE1EEEvSK_,comdat
	.protected	_ZN7rocprim17ROCPRIM_400000_NS6detail17trampoline_kernelINS0_14default_configENS1_35radix_sort_onesweep_config_selectorIxNS0_10empty_typeEEEZZNS1_29radix_sort_onesweep_iterationIS3_Lb0EN6thrust23THRUST_200600_302600_NS6detail15normal_iteratorINS9_10device_ptrIxEEEESE_PS5_SF_jNS0_19identity_decomposerENS1_16block_id_wrapperIjLb1EEEEE10hipError_tT1_PNSt15iterator_traitsISK_E10value_typeET2_T3_PNSL_ISQ_E10value_typeET4_T5_PSV_SW_PNS1_23onesweep_lookback_stateEbbT6_jjT7_P12ihipStream_tbENKUlT_T0_SK_SP_E_clISE_PxSF_SF_EEDaS13_S14_SK_SP_EUlS13_E_NS1_11comp_targetILNS1_3genE4ELNS1_11target_archE910ELNS1_3gpuE8ELNS1_3repE0EEENS1_47radix_sort_onesweep_sort_config_static_selectorELNS0_4arch9wavefront6targetE1EEEvSK_ ; -- Begin function _ZN7rocprim17ROCPRIM_400000_NS6detail17trampoline_kernelINS0_14default_configENS1_35radix_sort_onesweep_config_selectorIxNS0_10empty_typeEEEZZNS1_29radix_sort_onesweep_iterationIS3_Lb0EN6thrust23THRUST_200600_302600_NS6detail15normal_iteratorINS9_10device_ptrIxEEEESE_PS5_SF_jNS0_19identity_decomposerENS1_16block_id_wrapperIjLb1EEEEE10hipError_tT1_PNSt15iterator_traitsISK_E10value_typeET2_T3_PNSL_ISQ_E10value_typeET4_T5_PSV_SW_PNS1_23onesweep_lookback_stateEbbT6_jjT7_P12ihipStream_tbENKUlT_T0_SK_SP_E_clISE_PxSF_SF_EEDaS13_S14_SK_SP_EUlS13_E_NS1_11comp_targetILNS1_3genE4ELNS1_11target_archE910ELNS1_3gpuE8ELNS1_3repE0EEENS1_47radix_sort_onesweep_sort_config_static_selectorELNS0_4arch9wavefront6targetE1EEEvSK_
	.globl	_ZN7rocprim17ROCPRIM_400000_NS6detail17trampoline_kernelINS0_14default_configENS1_35radix_sort_onesweep_config_selectorIxNS0_10empty_typeEEEZZNS1_29radix_sort_onesweep_iterationIS3_Lb0EN6thrust23THRUST_200600_302600_NS6detail15normal_iteratorINS9_10device_ptrIxEEEESE_PS5_SF_jNS0_19identity_decomposerENS1_16block_id_wrapperIjLb1EEEEE10hipError_tT1_PNSt15iterator_traitsISK_E10value_typeET2_T3_PNSL_ISQ_E10value_typeET4_T5_PSV_SW_PNS1_23onesweep_lookback_stateEbbT6_jjT7_P12ihipStream_tbENKUlT_T0_SK_SP_E_clISE_PxSF_SF_EEDaS13_S14_SK_SP_EUlS13_E_NS1_11comp_targetILNS1_3genE4ELNS1_11target_archE910ELNS1_3gpuE8ELNS1_3repE0EEENS1_47radix_sort_onesweep_sort_config_static_selectorELNS0_4arch9wavefront6targetE1EEEvSK_
	.p2align	8
	.type	_ZN7rocprim17ROCPRIM_400000_NS6detail17trampoline_kernelINS0_14default_configENS1_35radix_sort_onesweep_config_selectorIxNS0_10empty_typeEEEZZNS1_29radix_sort_onesweep_iterationIS3_Lb0EN6thrust23THRUST_200600_302600_NS6detail15normal_iteratorINS9_10device_ptrIxEEEESE_PS5_SF_jNS0_19identity_decomposerENS1_16block_id_wrapperIjLb1EEEEE10hipError_tT1_PNSt15iterator_traitsISK_E10value_typeET2_T3_PNSL_ISQ_E10value_typeET4_T5_PSV_SW_PNS1_23onesweep_lookback_stateEbbT6_jjT7_P12ihipStream_tbENKUlT_T0_SK_SP_E_clISE_PxSF_SF_EEDaS13_S14_SK_SP_EUlS13_E_NS1_11comp_targetILNS1_3genE4ELNS1_11target_archE910ELNS1_3gpuE8ELNS1_3repE0EEENS1_47radix_sort_onesweep_sort_config_static_selectorELNS0_4arch9wavefront6targetE1EEEvSK_,@function
_ZN7rocprim17ROCPRIM_400000_NS6detail17trampoline_kernelINS0_14default_configENS1_35radix_sort_onesweep_config_selectorIxNS0_10empty_typeEEEZZNS1_29radix_sort_onesweep_iterationIS3_Lb0EN6thrust23THRUST_200600_302600_NS6detail15normal_iteratorINS9_10device_ptrIxEEEESE_PS5_SF_jNS0_19identity_decomposerENS1_16block_id_wrapperIjLb1EEEEE10hipError_tT1_PNSt15iterator_traitsISK_E10value_typeET2_T3_PNSL_ISQ_E10value_typeET4_T5_PSV_SW_PNS1_23onesweep_lookback_stateEbbT6_jjT7_P12ihipStream_tbENKUlT_T0_SK_SP_E_clISE_PxSF_SF_EEDaS13_S14_SK_SP_EUlS13_E_NS1_11comp_targetILNS1_3genE4ELNS1_11target_archE910ELNS1_3gpuE8ELNS1_3repE0EEENS1_47radix_sort_onesweep_sort_config_static_selectorELNS0_4arch9wavefront6targetE1EEEvSK_: ; @_ZN7rocprim17ROCPRIM_400000_NS6detail17trampoline_kernelINS0_14default_configENS1_35radix_sort_onesweep_config_selectorIxNS0_10empty_typeEEEZZNS1_29radix_sort_onesweep_iterationIS3_Lb0EN6thrust23THRUST_200600_302600_NS6detail15normal_iteratorINS9_10device_ptrIxEEEESE_PS5_SF_jNS0_19identity_decomposerENS1_16block_id_wrapperIjLb1EEEEE10hipError_tT1_PNSt15iterator_traitsISK_E10value_typeET2_T3_PNSL_ISQ_E10value_typeET4_T5_PSV_SW_PNS1_23onesweep_lookback_stateEbbT6_jjT7_P12ihipStream_tbENKUlT_T0_SK_SP_E_clISE_PxSF_SF_EEDaS13_S14_SK_SP_EUlS13_E_NS1_11comp_targetILNS1_3genE4ELNS1_11target_archE910ELNS1_3gpuE8ELNS1_3repE0EEENS1_47radix_sort_onesweep_sort_config_static_selectorELNS0_4arch9wavefront6targetE1EEEvSK_
; %bb.0:
	s_load_dwordx4 s[16:19], s[4:5], 0x28
	s_load_dwordx2 s[14:15], s[4:5], 0x38
	s_load_dwordx4 s[20:23], s[4:5], 0x44
	v_and_b32_e32 v2, 0x3ff, v0
	v_cmp_eq_u32_e64 s[0:1], 0, v2
	s_and_saveexec_b64 s[2:3], s[0:1]
	s_cbranch_execz .LBB1555_4
; %bb.1:
	s_mov_b64 s[10:11], exec
	v_mbcnt_lo_u32_b32 v1, s10, 0
	v_mbcnt_hi_u32_b32 v1, s11, v1
	v_cmp_eq_u32_e32 vcc, 0, v1
                                        ; implicit-def: $vgpr3
	s_and_saveexec_b64 s[8:9], vcc
	s_cbranch_execz .LBB1555_3
; %bb.2:
	s_load_dwordx2 s[12:13], s[4:5], 0x50
	s_bcnt1_i32_b64 s7, s[10:11]
	v_mov_b32_e32 v3, 0
	v_mov_b32_e32 v4, s7
	s_waitcnt lgkmcnt(0)
	global_atomic_add v3, v3, v4, s[12:13] glc
.LBB1555_3:
	s_or_b64 exec, exec, s[8:9]
	s_waitcnt vmcnt(0)
	v_readfirstlane_b32 s7, v3
	v_add_u32_e32 v1, s7, v1
	v_mov_b32_e32 v3, 0
	ds_write_b32 v3, v1 offset:20544
.LBB1555_4:
	s_or_b64 exec, exec, s[2:3]
	v_mov_b32_e32 v1, 0
	s_load_dwordx4 s[24:27], s[4:5], 0x0
	s_load_dword s2, s[4:5], 0x20
	s_waitcnt lgkmcnt(0)
	s_barrier
	ds_read_b32 v1, v1 offset:20544
	v_lshlrev_b32_e32 v3, 3, v2
	s_waitcnt lgkmcnt(0)
	s_barrier
	v_cmp_le_u32_e32 vcc, s22, v1
	v_readfirstlane_b32 s28, v1
	v_mbcnt_lo_u32_b32 v1, -1, 0
	s_cbranch_vccz .LBB1555_63
; %bb.5:
	s_lshl_b32 s3, s22, 13
	s_sub_i32 s7, s2, s3
	s_lshl_b32 s2, s28, 13
	s_mov_b32 s3, 0
	s_lshl_b64 s[2:3], s[2:3], 3
	v_mbcnt_hi_u32_b32 v24, -1, v1
	s_add_u32 s8, s24, s2
	v_and_b32_e32 v4, 63, v24
	s_addc_u32 s9, s25, s3
	v_lshlrev_b32_e32 v6, 3, v4
	v_and_b32_e32 v5, 0x1e00, v3
	v_mov_b32_e32 v7, s9
	v_add_co_u32_e32 v6, vcc, s8, v6
	v_addc_co_u32_e32 v7, vcc, 0, v7, vcc
	v_lshlrev_b32_e32 v8, 3, v5
	s_mov_b32 s2, -1
	v_add_co_u32_e32 v20, vcc, v6, v8
	s_brev_b32 s3, -2
	v_addc_co_u32_e32 v21, vcc, 0, v7, vcc
	v_or_b32_e32 v18, v4, v5
	v_cmp_gt_u32_e32 vcc, s7, v18
	v_pk_mov_b32 v[4:5], s[2:3], s[2:3] op_sel:[0,1]
	s_and_saveexec_b64 s[8:9], vcc
	s_cbranch_execz .LBB1555_7
; %bb.6:
	global_load_dwordx2 v[4:5], v[20:21], off
.LBB1555_7:
	s_or_b64 exec, exec, s[8:9]
	v_or_b32_e32 v6, 64, v18
	v_cmp_gt_u32_e32 vcc, s7, v6
	v_pk_mov_b32 v[6:7], s[2:3], s[2:3] op_sel:[0,1]
	s_and_saveexec_b64 s[2:3], vcc
	s_cbranch_execz .LBB1555_9
; %bb.8:
	global_load_dwordx2 v[6:7], v[20:21], off offset:512
.LBB1555_9:
	s_or_b64 exec, exec, s[2:3]
	s_mov_b32 s2, -1
	v_or_b32_e32 v8, 0x80, v18
	s_brev_b32 s3, -2
	v_cmp_gt_u32_e32 vcc, s7, v8
	v_pk_mov_b32 v[8:9], s[2:3], s[2:3] op_sel:[0,1]
	s_and_saveexec_b64 s[8:9], vcc
	s_cbranch_execz .LBB1555_11
; %bb.10:
	global_load_dwordx2 v[8:9], v[20:21], off offset:1024
.LBB1555_11:
	s_or_b64 exec, exec, s[8:9]
	v_or_b32_e32 v10, 0xc0, v18
	v_cmp_gt_u32_e32 vcc, s7, v10
	v_pk_mov_b32 v[10:11], s[2:3], s[2:3] op_sel:[0,1]
	s_and_saveexec_b64 s[2:3], vcc
	s_cbranch_execz .LBB1555_13
; %bb.12:
	global_load_dwordx2 v[10:11], v[20:21], off offset:1536
.LBB1555_13:
	s_or_b64 exec, exec, s[2:3]
	s_mov_b32 s2, -1
	v_or_b32_e32 v12, 0x100, v18
	s_brev_b32 s3, -2
	v_cmp_gt_u32_e32 vcc, s7, v12
	v_pk_mov_b32 v[12:13], s[2:3], s[2:3] op_sel:[0,1]
	s_and_saveexec_b64 s[8:9], vcc
	s_cbranch_execz .LBB1555_15
; %bb.14:
	global_load_dwordx2 v[12:13], v[20:21], off offset:2048
.LBB1555_15:
	;; [unrolled: 20-line block ×3, first 2 shown]
	s_or_b64 exec, exec, s[8:9]
	v_or_b32_e32 v18, 0x1c0, v18
	v_cmp_gt_u32_e32 vcc, s7, v18
	v_pk_mov_b32 v[18:19], s[2:3], s[2:3] op_sel:[0,1]
	s_and_saveexec_b64 s[2:3], vcc
	s_cbranch_execz .LBB1555_21
; %bb.20:
	global_load_dwordx2 v[18:19], v[20:21], off offset:3584
.LBB1555_21:
	s_or_b64 exec, exec, s[2:3]
	s_load_dword s2, s[4:5], 0x64
	s_load_dword s29, s[4:5], 0x58
	s_add_u32 s3, s4, 0x58
	s_addc_u32 s8, s5, 0
	v_mov_b32_e32 v20, 0
	s_waitcnt lgkmcnt(0)
	s_lshr_b32 s9, s2, 16
	s_cmp_lt_u32 s6, s29
	s_cselect_b32 s2, 12, 18
	s_add_u32 s2, s3, s2
	s_addc_u32 s3, s8, 0
	global_load_ushort v26, v20, s[2:3]
	s_waitcnt vmcnt(1)
	v_xor_b32_e32 v5, 0x80000000, v5
	v_mul_u32_u24_e32 v22, 5, v2
	s_lshl_b32 s2, -1, s21
	v_lshlrev_b32_e32 v25, 2, v22
	v_lshrrev_b64 v[22:23], s20, v[4:5]
	s_not_b32 s30, s2
	v_and_b32_e32 v22, s30, v22
	v_and_b32_e32 v28, 1, v22
	v_bfe_u32 v21, v0, 10, 10
	v_bfe_u32 v27, v0, 20, 10
	v_add_co_u32_e32 v29, vcc, -1, v28
	v_mad_u32_u24 v23, v27, s9, v21
	v_lshlrev_b32_e32 v21, 30, v22
	v_addc_co_u32_e64 v30, s[2:3], 0, -1, vcc
	v_cmp_ne_u32_e32 vcc, 0, v28
	v_cmp_gt_i64_e64 s[2:3], 0, v[20:21]
	v_not_b32_e32 v28, v21
	v_lshlrev_b32_e32 v21, 29, v22
	v_xor_b32_e32 v30, vcc_hi, v30
	v_xor_b32_e32 v29, vcc_lo, v29
	v_ashrrev_i32_e32 v28, 31, v28
	v_cmp_gt_i64_e32 vcc, 0, v[20:21]
	v_not_b32_e32 v31, v21
	v_lshlrev_b32_e32 v21, 28, v22
	v_and_b32_e32 v30, exec_hi, v30
	v_and_b32_e32 v29, exec_lo, v29
	v_xor_b32_e32 v32, s3, v28
	v_xor_b32_e32 v28, s2, v28
	v_ashrrev_i32_e32 v31, 31, v31
	v_cmp_gt_i64_e64 s[2:3], 0, v[20:21]
	v_not_b32_e32 v33, v21
	v_lshlrev_b32_e32 v21, 27, v22
	v_and_b32_e32 v30, v30, v32
	v_and_b32_e32 v28, v29, v28
	v_xor_b32_e32 v29, vcc_hi, v31
	v_xor_b32_e32 v31, vcc_lo, v31
	v_ashrrev_i32_e32 v32, 31, v33
	v_cmp_gt_i64_e32 vcc, 0, v[20:21]
	v_not_b32_e32 v33, v21
	v_lshlrev_b32_e32 v21, 26, v22
	v_and_b32_e32 v29, v30, v29
	v_and_b32_e32 v28, v28, v31
	v_xor_b32_e32 v30, s3, v32
	v_xor_b32_e32 v31, s2, v32
	v_ashrrev_i32_e32 v32, 31, v33
	v_cmp_gt_i64_e64 s[2:3], 0, v[20:21]
	v_not_b32_e32 v33, v21
	v_lshlrev_b32_e32 v21, 25, v22
	v_and_b32_e32 v29, v29, v30
	v_and_b32_e32 v28, v28, v31
	v_xor_b32_e32 v30, vcc_hi, v32
	v_xor_b32_e32 v31, vcc_lo, v32
	v_ashrrev_i32_e32 v32, 31, v33
	v_not_b32_e32 v33, v21
	v_lshl_add_u32 v27, v22, 4, v22
	v_cmp_gt_i64_e32 vcc, 0, v[20:21]
	v_lshlrev_b32_e32 v21, 24, v22
	v_and_b32_e32 v22, v29, v30
	v_and_b32_e32 v28, v28, v31
	v_xor_b32_e32 v29, s3, v32
	v_ashrrev_i32_e32 v31, 31, v33
	v_xor_b32_e32 v30, s2, v32
	v_cmp_gt_i64_e64 s[2:3], 0, v[20:21]
	v_not_b32_e32 v21, v21
	v_and_b32_e32 v22, v22, v29
	v_xor_b32_e32 v29, vcc_hi, v31
	v_and_b32_e32 v28, v28, v30
	v_xor_b32_e32 v30, vcc_lo, v31
	v_and_b32_e32 v29, v22, v29
	v_ashrrev_i32_e32 v21, 31, v21
	v_and_b32_e32 v28, v28, v30
	ds_write2_b32 v25, v20, v20 offset0:16 offset1:17
	ds_write2_b32 v25, v20, v20 offset0:18 offset1:19
	ds_write_b32 v25, v20 offset:80
	s_waitcnt lgkmcnt(0)
	s_barrier
	s_waitcnt lgkmcnt(0)
	; wave barrier
	s_waitcnt vmcnt(0)
	v_mad_u64_u32 v[22:23], s[8:9], v23, v26, v[2:3]
	v_lshrrev_b32_e32 v37, 6, v22
	v_xor_b32_e32 v22, s3, v21
	v_xor_b32_e32 v21, s2, v21
	v_and_b32_e32 v23, v29, v22
	v_and_b32_e32 v22, v28, v21
	v_mbcnt_lo_u32_b32 v21, v22, 0
	v_mbcnt_hi_u32_b32 v26, v23, v21
	v_cmp_eq_u32_e32 vcc, 0, v26
	v_cmp_ne_u64_e64 s[2:3], 0, v[22:23]
	v_add_lshl_u32 v30, v37, v27, 2
	s_and_b64 s[8:9], s[2:3], vcc
	s_and_saveexec_b64 s[2:3], s[8:9]
	s_cbranch_execz .LBB1555_23
; %bb.22:
	v_bcnt_u32_b32 v21, v22, 0
	v_bcnt_u32_b32 v21, v23, v21
	ds_write_b32 v30, v21 offset:64
.LBB1555_23:
	s_or_b64 exec, exec, s[2:3]
	v_xor_b32_e32 v7, 0x80000000, v7
	v_lshrrev_b64 v[22:23], s20, v[6:7]
	v_and_b32_e32 v22, s30, v22
	v_lshl_add_u32 v21, v22, 4, v22
	v_add_lshl_u32 v31, v37, v21, 2
	v_and_b32_e32 v21, 1, v22
	v_add_co_u32_e32 v23, vcc, -1, v21
	v_addc_co_u32_e64 v28, s[2:3], 0, -1, vcc
	v_cmp_ne_u32_e32 vcc, 0, v21
	v_xor_b32_e32 v21, vcc_hi, v28
	v_and_b32_e32 v28, exec_hi, v21
	v_lshlrev_b32_e32 v21, 30, v22
	v_xor_b32_e32 v23, vcc_lo, v23
	v_cmp_gt_i64_e32 vcc, 0, v[20:21]
	v_not_b32_e32 v21, v21
	v_ashrrev_i32_e32 v21, 31, v21
	v_and_b32_e32 v23, exec_lo, v23
	v_xor_b32_e32 v29, vcc_hi, v21
	v_xor_b32_e32 v21, vcc_lo, v21
	v_and_b32_e32 v23, v23, v21
	v_lshlrev_b32_e32 v21, 29, v22
	v_cmp_gt_i64_e32 vcc, 0, v[20:21]
	v_not_b32_e32 v21, v21
	v_ashrrev_i32_e32 v21, 31, v21
	v_and_b32_e32 v28, v28, v29
	v_xor_b32_e32 v29, vcc_hi, v21
	v_xor_b32_e32 v21, vcc_lo, v21
	v_and_b32_e32 v23, v23, v21
	v_lshlrev_b32_e32 v21, 28, v22
	v_cmp_gt_i64_e32 vcc, 0, v[20:21]
	v_not_b32_e32 v21, v21
	v_ashrrev_i32_e32 v21, 31, v21
	v_and_b32_e32 v28, v28, v29
	;; [unrolled: 8-line block ×5, first 2 shown]
	v_xor_b32_e32 v29, vcc_hi, v21
	v_xor_b32_e32 v21, vcc_lo, v21
	v_and_b32_e32 v23, v23, v21
	v_lshlrev_b32_e32 v21, 24, v22
	v_cmp_gt_i64_e32 vcc, 0, v[20:21]
	v_not_b32_e32 v20, v21
	v_ashrrev_i32_e32 v20, 31, v20
	v_xor_b32_e32 v21, vcc_hi, v20
	v_xor_b32_e32 v20, vcc_lo, v20
	; wave barrier
	ds_read_b32 v27, v31 offset:64
	v_and_b32_e32 v28, v28, v29
	v_and_b32_e32 v20, v23, v20
	;; [unrolled: 1-line block ×3, first 2 shown]
	v_mbcnt_lo_u32_b32 v22, v20, 0
	v_mbcnt_hi_u32_b32 v28, v21, v22
	v_cmp_eq_u32_e32 vcc, 0, v28
	v_cmp_ne_u64_e64 s[2:3], 0, v[20:21]
	s_and_b64 s[8:9], s[2:3], vcc
	; wave barrier
	s_and_saveexec_b64 s[2:3], s[8:9]
	s_cbranch_execz .LBB1555_25
; %bb.24:
	v_bcnt_u32_b32 v20, v20, 0
	v_bcnt_u32_b32 v20, v21, v20
	s_waitcnt lgkmcnt(0)
	v_add_u32_e32 v20, v27, v20
	ds_write_b32 v31, v20 offset:64
.LBB1555_25:
	s_or_b64 exec, exec, s[2:3]
	v_xor_b32_e32 v9, 0x80000000, v9
	v_lshrrev_b64 v[20:21], s20, v[8:9]
	v_and_b32_e32 v22, s30, v20
	v_and_b32_e32 v21, 1, v22
	v_add_co_u32_e32 v23, vcc, -1, v21
	v_addc_co_u32_e64 v32, s[2:3], 0, -1, vcc
	v_cmp_ne_u32_e32 vcc, 0, v21
	v_lshl_add_u32 v20, v22, 4, v22
	v_xor_b32_e32 v21, vcc_hi, v32
	v_add_lshl_u32 v34, v37, v20, 2
	v_mov_b32_e32 v20, 0
	v_and_b32_e32 v32, exec_hi, v21
	v_lshlrev_b32_e32 v21, 30, v22
	v_xor_b32_e32 v23, vcc_lo, v23
	v_cmp_gt_i64_e32 vcc, 0, v[20:21]
	v_not_b32_e32 v21, v21
	v_ashrrev_i32_e32 v21, 31, v21
	v_and_b32_e32 v23, exec_lo, v23
	v_xor_b32_e32 v33, vcc_hi, v21
	v_xor_b32_e32 v21, vcc_lo, v21
	v_and_b32_e32 v23, v23, v21
	v_lshlrev_b32_e32 v21, 29, v22
	v_cmp_gt_i64_e32 vcc, 0, v[20:21]
	v_not_b32_e32 v21, v21
	v_ashrrev_i32_e32 v21, 31, v21
	v_and_b32_e32 v32, v32, v33
	v_xor_b32_e32 v33, vcc_hi, v21
	v_xor_b32_e32 v21, vcc_lo, v21
	v_and_b32_e32 v23, v23, v21
	v_lshlrev_b32_e32 v21, 28, v22
	v_cmp_gt_i64_e32 vcc, 0, v[20:21]
	v_not_b32_e32 v21, v21
	v_ashrrev_i32_e32 v21, 31, v21
	v_and_b32_e32 v32, v32, v33
	;; [unrolled: 8-line block ×5, first 2 shown]
	v_xor_b32_e32 v33, vcc_hi, v21
	v_xor_b32_e32 v21, vcc_lo, v21
	v_and_b32_e32 v32, v32, v33
	v_and_b32_e32 v33, v23, v21
	v_lshlrev_b32_e32 v21, 24, v22
	v_cmp_gt_i64_e32 vcc, 0, v[20:21]
	v_not_b32_e32 v21, v21
	v_ashrrev_i32_e32 v21, 31, v21
	v_xor_b32_e32 v22, vcc_hi, v21
	v_xor_b32_e32 v21, vcc_lo, v21
	; wave barrier
	ds_read_b32 v29, v34 offset:64
	v_and_b32_e32 v23, v32, v22
	v_and_b32_e32 v22, v33, v21
	v_mbcnt_lo_u32_b32 v21, v22, 0
	v_mbcnt_hi_u32_b32 v32, v23, v21
	v_cmp_eq_u32_e32 vcc, 0, v32
	v_cmp_ne_u64_e64 s[2:3], 0, v[22:23]
	s_and_b64 s[8:9], s[2:3], vcc
	; wave barrier
	s_and_saveexec_b64 s[2:3], s[8:9]
	s_cbranch_execz .LBB1555_27
; %bb.26:
	v_bcnt_u32_b32 v21, v22, 0
	v_bcnt_u32_b32 v21, v23, v21
	s_waitcnt lgkmcnt(0)
	v_add_u32_e32 v21, v29, v21
	ds_write_b32 v34, v21 offset:64
.LBB1555_27:
	s_or_b64 exec, exec, s[2:3]
	v_xor_b32_e32 v11, 0x80000000, v11
	v_lshrrev_b64 v[22:23], s20, v[10:11]
	v_and_b32_e32 v22, s30, v22
	v_lshl_add_u32 v21, v22, 4, v22
	v_add_lshl_u32 v38, v37, v21, 2
	v_and_b32_e32 v21, 1, v22
	v_add_co_u32_e32 v23, vcc, -1, v21
	v_addc_co_u32_e64 v35, s[2:3], 0, -1, vcc
	v_cmp_ne_u32_e32 vcc, 0, v21
	v_xor_b32_e32 v21, vcc_hi, v35
	v_and_b32_e32 v35, exec_hi, v21
	v_lshlrev_b32_e32 v21, 30, v22
	v_xor_b32_e32 v23, vcc_lo, v23
	v_cmp_gt_i64_e32 vcc, 0, v[20:21]
	v_not_b32_e32 v21, v21
	v_ashrrev_i32_e32 v21, 31, v21
	v_and_b32_e32 v23, exec_lo, v23
	v_xor_b32_e32 v36, vcc_hi, v21
	v_xor_b32_e32 v21, vcc_lo, v21
	v_and_b32_e32 v23, v23, v21
	v_lshlrev_b32_e32 v21, 29, v22
	v_cmp_gt_i64_e32 vcc, 0, v[20:21]
	v_not_b32_e32 v21, v21
	v_ashrrev_i32_e32 v21, 31, v21
	v_and_b32_e32 v35, v35, v36
	v_xor_b32_e32 v36, vcc_hi, v21
	v_xor_b32_e32 v21, vcc_lo, v21
	v_and_b32_e32 v23, v23, v21
	v_lshlrev_b32_e32 v21, 28, v22
	v_cmp_gt_i64_e32 vcc, 0, v[20:21]
	v_not_b32_e32 v21, v21
	v_ashrrev_i32_e32 v21, 31, v21
	v_and_b32_e32 v35, v35, v36
	;; [unrolled: 8-line block ×5, first 2 shown]
	v_xor_b32_e32 v36, vcc_hi, v21
	v_xor_b32_e32 v21, vcc_lo, v21
	v_and_b32_e32 v23, v23, v21
	v_lshlrev_b32_e32 v21, 24, v22
	v_cmp_gt_i64_e32 vcc, 0, v[20:21]
	v_not_b32_e32 v20, v21
	v_ashrrev_i32_e32 v20, 31, v20
	v_xor_b32_e32 v21, vcc_hi, v20
	v_xor_b32_e32 v20, vcc_lo, v20
	; wave barrier
	ds_read_b32 v33, v38 offset:64
	v_and_b32_e32 v35, v35, v36
	v_and_b32_e32 v20, v23, v20
	;; [unrolled: 1-line block ×3, first 2 shown]
	v_mbcnt_lo_u32_b32 v22, v20, 0
	v_mbcnt_hi_u32_b32 v35, v21, v22
	v_cmp_eq_u32_e32 vcc, 0, v35
	v_cmp_ne_u64_e64 s[2:3], 0, v[20:21]
	s_and_b64 s[8:9], s[2:3], vcc
	; wave barrier
	s_and_saveexec_b64 s[2:3], s[8:9]
	s_cbranch_execz .LBB1555_29
; %bb.28:
	v_bcnt_u32_b32 v20, v20, 0
	v_bcnt_u32_b32 v20, v21, v20
	s_waitcnt lgkmcnt(0)
	v_add_u32_e32 v20, v33, v20
	ds_write_b32 v38, v20 offset:64
.LBB1555_29:
	s_or_b64 exec, exec, s[2:3]
	v_xor_b32_e32 v13, 0x80000000, v13
	v_lshrrev_b64 v[20:21], s20, v[12:13]
	v_and_b32_e32 v22, s30, v20
	v_and_b32_e32 v21, 1, v22
	v_add_co_u32_e32 v23, vcc, -1, v21
	v_addc_co_u32_e64 v39, s[2:3], 0, -1, vcc
	v_cmp_ne_u32_e32 vcc, 0, v21
	v_lshl_add_u32 v20, v22, 4, v22
	v_xor_b32_e32 v21, vcc_hi, v39
	v_add_lshl_u32 v41, v37, v20, 2
	v_mov_b32_e32 v20, 0
	v_and_b32_e32 v39, exec_hi, v21
	v_lshlrev_b32_e32 v21, 30, v22
	v_xor_b32_e32 v23, vcc_lo, v23
	v_cmp_gt_i64_e32 vcc, 0, v[20:21]
	v_not_b32_e32 v21, v21
	v_ashrrev_i32_e32 v21, 31, v21
	v_and_b32_e32 v23, exec_lo, v23
	v_xor_b32_e32 v40, vcc_hi, v21
	v_xor_b32_e32 v21, vcc_lo, v21
	v_and_b32_e32 v23, v23, v21
	v_lshlrev_b32_e32 v21, 29, v22
	v_cmp_gt_i64_e32 vcc, 0, v[20:21]
	v_not_b32_e32 v21, v21
	v_ashrrev_i32_e32 v21, 31, v21
	v_and_b32_e32 v39, v39, v40
	v_xor_b32_e32 v40, vcc_hi, v21
	v_xor_b32_e32 v21, vcc_lo, v21
	v_and_b32_e32 v23, v23, v21
	v_lshlrev_b32_e32 v21, 28, v22
	v_cmp_gt_i64_e32 vcc, 0, v[20:21]
	v_not_b32_e32 v21, v21
	v_ashrrev_i32_e32 v21, 31, v21
	v_and_b32_e32 v39, v39, v40
	;; [unrolled: 8-line block ×5, first 2 shown]
	v_xor_b32_e32 v40, vcc_hi, v21
	v_xor_b32_e32 v21, vcc_lo, v21
	v_and_b32_e32 v39, v39, v40
	v_and_b32_e32 v40, v23, v21
	v_lshlrev_b32_e32 v21, 24, v22
	v_cmp_gt_i64_e32 vcc, 0, v[20:21]
	v_not_b32_e32 v21, v21
	v_ashrrev_i32_e32 v21, 31, v21
	v_xor_b32_e32 v22, vcc_hi, v21
	v_xor_b32_e32 v21, vcc_lo, v21
	; wave barrier
	ds_read_b32 v36, v41 offset:64
	v_and_b32_e32 v23, v39, v22
	v_and_b32_e32 v22, v40, v21
	v_mbcnt_lo_u32_b32 v21, v22, 0
	v_mbcnt_hi_u32_b32 v39, v23, v21
	v_cmp_eq_u32_e32 vcc, 0, v39
	v_cmp_ne_u64_e64 s[2:3], 0, v[22:23]
	s_and_b64 s[8:9], s[2:3], vcc
	; wave barrier
	s_and_saveexec_b64 s[2:3], s[8:9]
	s_cbranch_execz .LBB1555_31
; %bb.30:
	v_bcnt_u32_b32 v21, v22, 0
	v_bcnt_u32_b32 v21, v23, v21
	s_waitcnt lgkmcnt(0)
	v_add_u32_e32 v21, v36, v21
	ds_write_b32 v41, v21 offset:64
.LBB1555_31:
	s_or_b64 exec, exec, s[2:3]
	v_xor_b32_e32 v15, 0x80000000, v15
	v_lshrrev_b64 v[22:23], s20, v[14:15]
	v_and_b32_e32 v22, s30, v22
	v_lshl_add_u32 v21, v22, 4, v22
	v_add_lshl_u32 v44, v37, v21, 2
	v_and_b32_e32 v21, 1, v22
	v_add_co_u32_e32 v23, vcc, -1, v21
	v_addc_co_u32_e64 v42, s[2:3], 0, -1, vcc
	v_cmp_ne_u32_e32 vcc, 0, v21
	v_xor_b32_e32 v21, vcc_hi, v42
	v_and_b32_e32 v42, exec_hi, v21
	v_lshlrev_b32_e32 v21, 30, v22
	v_xor_b32_e32 v23, vcc_lo, v23
	v_cmp_gt_i64_e32 vcc, 0, v[20:21]
	v_not_b32_e32 v21, v21
	v_ashrrev_i32_e32 v21, 31, v21
	v_and_b32_e32 v23, exec_lo, v23
	v_xor_b32_e32 v43, vcc_hi, v21
	v_xor_b32_e32 v21, vcc_lo, v21
	v_and_b32_e32 v23, v23, v21
	v_lshlrev_b32_e32 v21, 29, v22
	v_cmp_gt_i64_e32 vcc, 0, v[20:21]
	v_not_b32_e32 v21, v21
	v_ashrrev_i32_e32 v21, 31, v21
	v_and_b32_e32 v42, v42, v43
	v_xor_b32_e32 v43, vcc_hi, v21
	v_xor_b32_e32 v21, vcc_lo, v21
	v_and_b32_e32 v23, v23, v21
	v_lshlrev_b32_e32 v21, 28, v22
	v_cmp_gt_i64_e32 vcc, 0, v[20:21]
	v_not_b32_e32 v21, v21
	v_ashrrev_i32_e32 v21, 31, v21
	v_and_b32_e32 v42, v42, v43
	;; [unrolled: 8-line block ×5, first 2 shown]
	v_xor_b32_e32 v43, vcc_hi, v21
	v_xor_b32_e32 v21, vcc_lo, v21
	v_and_b32_e32 v23, v23, v21
	v_lshlrev_b32_e32 v21, 24, v22
	v_cmp_gt_i64_e32 vcc, 0, v[20:21]
	v_not_b32_e32 v20, v21
	v_ashrrev_i32_e32 v20, 31, v20
	v_xor_b32_e32 v21, vcc_hi, v20
	v_xor_b32_e32 v20, vcc_lo, v20
	; wave barrier
	ds_read_b32 v40, v44 offset:64
	v_and_b32_e32 v42, v42, v43
	v_and_b32_e32 v20, v23, v20
	;; [unrolled: 1-line block ×3, first 2 shown]
	v_mbcnt_lo_u32_b32 v22, v20, 0
	v_mbcnt_hi_u32_b32 v42, v21, v22
	v_cmp_eq_u32_e32 vcc, 0, v42
	v_cmp_ne_u64_e64 s[2:3], 0, v[20:21]
	s_and_b64 s[8:9], s[2:3], vcc
	; wave barrier
	s_and_saveexec_b64 s[2:3], s[8:9]
	s_cbranch_execz .LBB1555_33
; %bb.32:
	v_bcnt_u32_b32 v20, v20, 0
	v_bcnt_u32_b32 v20, v21, v20
	s_waitcnt lgkmcnt(0)
	v_add_u32_e32 v20, v40, v20
	ds_write_b32 v44, v20 offset:64
.LBB1555_33:
	s_or_b64 exec, exec, s[2:3]
	v_xor_b32_e32 v17, 0x80000000, v17
	v_lshrrev_b64 v[20:21], s20, v[16:17]
	v_and_b32_e32 v22, s30, v20
	v_and_b32_e32 v21, 1, v22
	v_add_co_u32_e32 v23, vcc, -1, v21
	v_addc_co_u32_e64 v45, s[2:3], 0, -1, vcc
	v_cmp_ne_u32_e32 vcc, 0, v21
	v_lshl_add_u32 v20, v22, 4, v22
	v_xor_b32_e32 v21, vcc_hi, v45
	v_add_lshl_u32 v46, v37, v20, 2
	v_mov_b32_e32 v20, 0
	v_and_b32_e32 v45, exec_hi, v21
	v_lshlrev_b32_e32 v21, 30, v22
	v_xor_b32_e32 v23, vcc_lo, v23
	v_cmp_gt_i64_e32 vcc, 0, v[20:21]
	v_not_b32_e32 v21, v21
	v_ashrrev_i32_e32 v21, 31, v21
	v_and_b32_e32 v23, exec_lo, v23
	v_xor_b32_e32 v47, vcc_hi, v21
	v_xor_b32_e32 v21, vcc_lo, v21
	v_and_b32_e32 v23, v23, v21
	v_lshlrev_b32_e32 v21, 29, v22
	v_cmp_gt_i64_e32 vcc, 0, v[20:21]
	v_not_b32_e32 v21, v21
	v_ashrrev_i32_e32 v21, 31, v21
	v_and_b32_e32 v45, v45, v47
	v_xor_b32_e32 v47, vcc_hi, v21
	v_xor_b32_e32 v21, vcc_lo, v21
	v_and_b32_e32 v23, v23, v21
	v_lshlrev_b32_e32 v21, 28, v22
	v_cmp_gt_i64_e32 vcc, 0, v[20:21]
	v_not_b32_e32 v21, v21
	v_ashrrev_i32_e32 v21, 31, v21
	v_and_b32_e32 v45, v45, v47
	;; [unrolled: 8-line block ×5, first 2 shown]
	v_xor_b32_e32 v47, vcc_hi, v21
	v_xor_b32_e32 v21, vcc_lo, v21
	v_and_b32_e32 v45, v45, v47
	v_and_b32_e32 v47, v23, v21
	v_lshlrev_b32_e32 v21, 24, v22
	v_cmp_gt_i64_e32 vcc, 0, v[20:21]
	v_not_b32_e32 v21, v21
	v_ashrrev_i32_e32 v21, 31, v21
	v_xor_b32_e32 v22, vcc_hi, v21
	v_xor_b32_e32 v21, vcc_lo, v21
	; wave barrier
	ds_read_b32 v43, v46 offset:64
	v_and_b32_e32 v23, v45, v22
	v_and_b32_e32 v22, v47, v21
	v_mbcnt_lo_u32_b32 v21, v22, 0
	v_mbcnt_hi_u32_b32 v45, v23, v21
	v_cmp_eq_u32_e32 vcc, 0, v45
	v_cmp_ne_u64_e64 s[2:3], 0, v[22:23]
	s_and_b64 s[8:9], s[2:3], vcc
	; wave barrier
	s_and_saveexec_b64 s[2:3], s[8:9]
	s_cbranch_execz .LBB1555_35
; %bb.34:
	v_bcnt_u32_b32 v21, v22, 0
	v_bcnt_u32_b32 v21, v23, v21
	s_waitcnt lgkmcnt(0)
	v_add_u32_e32 v21, v43, v21
	ds_write_b32 v46, v21 offset:64
.LBB1555_35:
	s_or_b64 exec, exec, s[2:3]
	v_xor_b32_e32 v19, 0x80000000, v19
	v_lshrrev_b64 v[22:23], s20, v[18:19]
	v_and_b32_e32 v22, s30, v22
	v_lshl_add_u32 v21, v22, 4, v22
	v_add_lshl_u32 v48, v37, v21, 2
	v_and_b32_e32 v21, 1, v22
	v_add_co_u32_e32 v23, vcc, -1, v21
	v_addc_co_u32_e64 v47, s[2:3], 0, -1, vcc
	v_cmp_ne_u32_e32 vcc, 0, v21
	v_xor_b32_e32 v21, vcc_hi, v47
	v_and_b32_e32 v47, exec_hi, v21
	v_lshlrev_b32_e32 v21, 30, v22
	v_xor_b32_e32 v23, vcc_lo, v23
	v_cmp_gt_i64_e32 vcc, 0, v[20:21]
	v_not_b32_e32 v21, v21
	v_ashrrev_i32_e32 v21, 31, v21
	v_and_b32_e32 v23, exec_lo, v23
	v_xor_b32_e32 v50, vcc_hi, v21
	v_xor_b32_e32 v21, vcc_lo, v21
	v_and_b32_e32 v23, v23, v21
	v_lshlrev_b32_e32 v21, 29, v22
	v_cmp_gt_i64_e32 vcc, 0, v[20:21]
	v_not_b32_e32 v21, v21
	v_ashrrev_i32_e32 v21, 31, v21
	v_and_b32_e32 v47, v47, v50
	v_xor_b32_e32 v50, vcc_hi, v21
	v_xor_b32_e32 v21, vcc_lo, v21
	v_and_b32_e32 v23, v23, v21
	v_lshlrev_b32_e32 v21, 28, v22
	v_cmp_gt_i64_e32 vcc, 0, v[20:21]
	v_not_b32_e32 v21, v21
	v_ashrrev_i32_e32 v21, 31, v21
	v_and_b32_e32 v47, v47, v50
	;; [unrolled: 8-line block ×5, first 2 shown]
	v_xor_b32_e32 v50, vcc_hi, v21
	v_xor_b32_e32 v21, vcc_lo, v21
	v_and_b32_e32 v23, v23, v21
	v_lshlrev_b32_e32 v21, 24, v22
	v_cmp_gt_i64_e32 vcc, 0, v[20:21]
	v_not_b32_e32 v20, v21
	v_ashrrev_i32_e32 v20, 31, v20
	v_xor_b32_e32 v21, vcc_hi, v20
	v_xor_b32_e32 v20, vcc_lo, v20
	; wave barrier
	ds_read_b32 v37, v48 offset:64
	v_and_b32_e32 v47, v47, v50
	v_and_b32_e32 v20, v23, v20
	;; [unrolled: 1-line block ×3, first 2 shown]
	v_mbcnt_lo_u32_b32 v22, v20, 0
	v_mbcnt_hi_u32_b32 v47, v21, v22
	v_cmp_eq_u32_e32 vcc, 0, v47
	v_cmp_ne_u64_e64 s[2:3], 0, v[20:21]
	v_add_u32_e32 v49, 64, v25
	s_and_b64 s[8:9], s[2:3], vcc
	; wave barrier
	s_and_saveexec_b64 s[2:3], s[8:9]
	s_cbranch_execz .LBB1555_37
; %bb.36:
	v_bcnt_u32_b32 v20, v20, 0
	v_bcnt_u32_b32 v20, v21, v20
	s_waitcnt lgkmcnt(0)
	v_add_u32_e32 v20, v37, v20
	ds_write_b32 v48, v20 offset:64
.LBB1555_37:
	s_or_b64 exec, exec, s[2:3]
	; wave barrier
	s_waitcnt lgkmcnt(0)
	s_barrier
	ds_read2_b32 v[22:23], v25 offset0:16 offset1:17
	ds_read2_b32 v[20:21], v49 offset0:2 offset1:3
	ds_read_b32 v50, v49 offset:16
	v_cmp_lt_u32_e64 s[12:13], 31, v24
	s_waitcnt lgkmcnt(1)
	v_add3_u32 v51, v23, v22, v20
	s_waitcnt lgkmcnt(0)
	v_add3_u32 v50, v51, v21, v50
	v_and_b32_e32 v51, 15, v24
	v_cmp_eq_u32_e32 vcc, 0, v51
	v_mov_b32_dpp v52, v50 row_shr:1 row_mask:0xf bank_mask:0xf
	v_cndmask_b32_e64 v52, v52, 0, vcc
	v_add_u32_e32 v50, v52, v50
	v_cmp_lt_u32_e64 s[2:3], 1, v51
	v_cmp_lt_u32_e64 s[10:11], 3, v51
	v_mov_b32_dpp v52, v50 row_shr:2 row_mask:0xf bank_mask:0xf
	v_cndmask_b32_e64 v52, 0, v52, s[2:3]
	v_add_u32_e32 v50, v50, v52
	v_cmp_lt_u32_e64 s[8:9], 7, v51
	s_nop 0
	v_mov_b32_dpp v52, v50 row_shr:4 row_mask:0xf bank_mask:0xf
	v_cndmask_b32_e64 v52, 0, v52, s[10:11]
	v_add_u32_e32 v50, v50, v52
	s_nop 1
	v_mov_b32_dpp v52, v50 row_shr:8 row_mask:0xf bank_mask:0xf
	v_cndmask_b32_e64 v51, 0, v52, s[8:9]
	v_add_u32_e32 v50, v50, v51
	v_bfe_i32 v52, v24, 4, 1
	s_nop 0
	v_mov_b32_dpp v51, v50 row_bcast:15 row_mask:0xf bank_mask:0xf
	v_and_b32_e32 v51, v52, v51
	v_add_u32_e32 v50, v50, v51
	v_and_b32_e32 v52, 63, v2
	s_nop 0
	v_mov_b32_dpp v51, v50 row_bcast:31 row_mask:0xf bank_mask:0xf
	v_cndmask_b32_e64 v51, 0, v51, s[12:13]
	v_add_u32_e32 v50, v50, v51
	v_lshrrev_b32_e32 v51, 6, v2
	v_cmp_eq_u32_e64 s[12:13], 63, v52
	s_and_saveexec_b64 s[22:23], s[12:13]
	s_cbranch_execz .LBB1555_39
; %bb.38:
	v_lshlrev_b32_e32 v52, 2, v51
	ds_write_b32 v52, v50
.LBB1555_39:
	s_or_b64 exec, exec, s[22:23]
	v_cmp_gt_u32_e64 s[12:13], 16, v2
	s_waitcnt lgkmcnt(0)
	s_barrier
	s_and_saveexec_b64 s[22:23], s[12:13]
	s_cbranch_execz .LBB1555_41
; %bb.40:
	v_lshlrev_b32_e32 v52, 2, v2
	ds_read_b32 v53, v52
	s_waitcnt lgkmcnt(0)
	s_nop 0
	v_mov_b32_dpp v54, v53 row_shr:1 row_mask:0xf bank_mask:0xf
	v_cndmask_b32_e64 v54, v54, 0, vcc
	v_add_u32_e32 v53, v54, v53
	s_nop 1
	v_mov_b32_dpp v54, v53 row_shr:2 row_mask:0xf bank_mask:0xf
	v_cndmask_b32_e64 v54, 0, v54, s[2:3]
	v_add_u32_e32 v53, v53, v54
	s_nop 1
	v_mov_b32_dpp v54, v53 row_shr:4 row_mask:0xf bank_mask:0xf
	v_cndmask_b32_e64 v54, 0, v54, s[10:11]
	;; [unrolled: 4-line block ×3, first 2 shown]
	v_add_u32_e32 v53, v53, v54
	ds_write_b32 v52, v53
.LBB1555_41:
	s_or_b64 exec, exec, s[22:23]
	v_cmp_lt_u32_e32 vcc, 63, v2
	v_mov_b32_e32 v52, 0
	s_waitcnt lgkmcnt(0)
	s_barrier
	s_and_saveexec_b64 s[2:3], vcc
	s_cbranch_execz .LBB1555_43
; %bb.42:
	v_lshl_add_u32 v51, v51, 2, -4
	ds_read_b32 v52, v51
.LBB1555_43:
	s_or_b64 exec, exec, s[2:3]
	v_add_u32_e32 v51, -1, v24
	v_and_b32_e32 v53, 64, v24
	v_cmp_lt_i32_e32 vcc, v51, v53
	v_cndmask_b32_e32 v51, v51, v24, vcc
	s_waitcnt lgkmcnt(0)
	v_add_u32_e32 v50, v52, v50
	v_lshlrev_b32_e32 v51, 2, v51
	ds_bpermute_b32 v50, v51, v50
	v_cmp_eq_u32_e32 vcc, 0, v24
	s_movk_i32 s2, 0x100
	s_waitcnt lgkmcnt(0)
	v_cndmask_b32_e32 v24, v50, v52, vcc
	v_cndmask_b32_e64 v24, v24, 0, s[0:1]
	v_add_u32_e32 v22, v24, v22
	v_add_u32_e32 v23, v22, v23
	;; [unrolled: 1-line block ×4, first 2 shown]
	ds_write2_b32 v25, v24, v22 offset0:16 offset1:17
	ds_write2_b32 v49, v23, v20 offset0:2 offset1:3
	ds_write_b32 v49, v21 offset:16
	s_waitcnt lgkmcnt(0)
	s_barrier
	ds_read_b32 v50, v30 offset:64
	ds_read_b32 v49, v31 offset:64
	ds_read_b32 v34, v34 offset:64
	ds_read_b32 v38, v38 offset:64
	ds_read_b32 v41, v41 offset:64
	ds_read_b32 v44, v44 offset:64
	ds_read_b32 v46, v46 offset:64
	ds_read_b32 v48, v48 offset:64
	v_cmp_gt_u32_e32 vcc, s2, v2
                                        ; implicit-def: $vgpr30
                                        ; implicit-def: $vgpr31
	s_and_saveexec_b64 s[8:9], vcc
	s_cbranch_execz .LBB1555_47
; %bb.44:
	v_mul_u32_u24_e32 v20, 17, v2
	v_lshlrev_b32_e32 v21, 2, v20
	ds_read_b32 v30, v21 offset:64
	s_movk_i32 s2, 0xff
	v_cmp_ne_u32_e64 s[2:3], s2, v2
	v_mov_b32_e32 v20, 0x2000
	s_and_saveexec_b64 s[10:11], s[2:3]
	s_cbranch_execz .LBB1555_46
; %bb.45:
	ds_read_b32 v20, v21 offset:132
.LBB1555_46:
	s_or_b64 exec, exec, s[10:11]
	s_waitcnt lgkmcnt(0)
	v_sub_u32_e32 v31, v20, v30
.LBB1555_47:
	s_or_b64 exec, exec, s[8:9]
	s_waitcnt lgkmcnt(0)
	s_barrier
	s_and_saveexec_b64 s[8:9], vcc
	s_cbranch_execz .LBB1555_57
; %bb.48:
	v_lshl_or_b32 v20, s28, 8, v2
	v_mov_b32_e32 v21, 0
	v_lshlrev_b64 v[22:23], 2, v[20:21]
	v_mov_b32_e32 v51, s15
	v_add_co_u32_e64 v22, s[2:3], s14, v22
	v_addc_co_u32_e64 v23, s[2:3], v51, v23, s[2:3]
	v_or_b32_e32 v20, 2.0, v31
	s_mov_b64 s[10:11], 0
	s_brev_b32 s31, 1
	s_mov_b32 s33, s28
	v_mov_b32_e32 v52, 0
	global_store_dword v[22:23], v20, off
                                        ; implicit-def: $sgpr2_sgpr3
	s_branch .LBB1555_50
.LBB1555_49:                            ;   in Loop: Header=BB1555_50 Depth=1
	s_or_b64 exec, exec, s[12:13]
	v_and_b32_e32 v24, 0x3fffffff, v53
	v_add_u32_e32 v52, v24, v52
	v_cmp_eq_u32_e64 s[2:3], s31, v20
	s_and_b64 s[12:13], exec, s[2:3]
	s_or_b64 s[10:11], s[12:13], s[10:11]
	s_andn2_b64 exec, exec, s[10:11]
	s_cbranch_execz .LBB1555_56
.LBB1555_50:                            ; =>This Loop Header: Depth=1
                                        ;     Child Loop BB1555_53 Depth 2
	s_or_b64 s[2:3], s[2:3], exec
	s_cmp_eq_u32 s33, 0
	s_cbranch_scc1 .LBB1555_55
; %bb.51:                               ;   in Loop: Header=BB1555_50 Depth=1
	s_add_i32 s33, s33, -1
	v_lshl_or_b32 v20, s33, 8, v2
	v_lshlrev_b64 v[24:25], 2, v[20:21]
	v_add_co_u32_e64 v24, s[2:3], s14, v24
	v_addc_co_u32_e64 v25, s[2:3], v51, v25, s[2:3]
	global_load_dword v53, v[24:25], off glc
	s_waitcnt vmcnt(0)
	v_and_b32_e32 v20, -2.0, v53
	v_cmp_eq_u32_e64 s[2:3], 0, v20
	s_and_saveexec_b64 s[12:13], s[2:3]
	s_cbranch_execz .LBB1555_49
; %bb.52:                               ;   in Loop: Header=BB1555_50 Depth=1
	s_mov_b64 s[22:23], 0
.LBB1555_53:                            ;   Parent Loop BB1555_50 Depth=1
                                        ; =>  This Inner Loop Header: Depth=2
	global_load_dword v53, v[24:25], off glc
	s_waitcnt vmcnt(0)
	v_and_b32_e32 v20, -2.0, v53
	v_cmp_ne_u32_e64 s[2:3], 0, v20
	s_or_b64 s[22:23], s[2:3], s[22:23]
	s_andn2_b64 exec, exec, s[22:23]
	s_cbranch_execnz .LBB1555_53
; %bb.54:                               ;   in Loop: Header=BB1555_50 Depth=1
	s_or_b64 exec, exec, s[22:23]
	s_branch .LBB1555_49
.LBB1555_55:                            ;   in Loop: Header=BB1555_50 Depth=1
                                        ; implicit-def: $sgpr33
	s_and_b64 s[12:13], exec, s[2:3]
	s_or_b64 s[10:11], s[12:13], s[10:11]
	s_andn2_b64 exec, exec, s[10:11]
	s_cbranch_execnz .LBB1555_50
.LBB1555_56:
	s_or_b64 exec, exec, s[10:11]
	v_add_u32_e32 v20, v52, v31
	v_or_b32_e32 v20, 0x80000000, v20
	global_store_dword v[22:23], v20, off
	v_lshlrev_b32_e32 v20, 2, v2
	global_load_dword v21, v20, s[16:17]
	v_sub_u32_e32 v22, v52, v30
	s_waitcnt vmcnt(0)
	v_add_u32_e32 v21, v22, v21
	ds_write_b32 v20, v21
.LBB1555_57:
	s_or_b64 exec, exec, s[8:9]
	v_add_u32_e32 v22, v50, v26
	s_movk_i32 s10, 0x400
	v_add_u32_e32 v23, 0x400, v3
	v_add3_u32 v24, v47, v48, v37
	v_add3_u32 v25, v45, v46, v43
	;; [unrolled: 1-line block ×7, first 2 shown]
	s_mov_b32 s11, 0
	v_mov_b32_e32 v21, 0
	v_mov_b32_e32 v28, v2
	s_branch .LBB1555_59
.LBB1555_58:                            ;   in Loop: Header=BB1555_59 Depth=1
	s_or_b64 exec, exec, s[8:9]
	s_addk_i32 s11, 0xf800
	s_cmpk_eq_i32 s11, 0xe000
	v_add_u32_e32 v28, 0x800, v28
	s_barrier
	s_cbranch_scc1 .LBB1555_64
.LBB1555_59:                            ; =>This Inner Loop Header: Depth=1
	v_add_u32_e32 v20, s11, v22
	v_min_u32_e32 v20, 0x800, v20
	v_lshlrev_b32_e32 v20, 3, v20
	ds_write_b64 v20, v[4:5] offset:1024
	v_add_u32_e32 v20, s11, v27
	v_min_u32_e32 v20, 0x800, v20
	v_lshlrev_b32_e32 v20, 3, v20
	ds_write_b64 v20, v[6:7] offset:1024
	;; [unrolled: 4-line block ×7, first 2 shown]
	v_add_u32_e32 v20, s11, v24
	v_min_u32_e32 v20, 0x800, v20
	v_lshlrev_b32_e32 v20, 3, v20
	v_cmp_gt_u32_e64 s[2:3], s7, v28
	ds_write_b64 v20, v[18:19] offset:1024
	s_waitcnt lgkmcnt(0)
	s_barrier
	s_and_saveexec_b64 s[8:9], s[2:3]
	s_cbranch_execz .LBB1555_61
; %bb.60:                               ;   in Loop: Header=BB1555_59 Depth=1
	ds_read_b64 v[34:35], v3 offset:1024
	v_mov_b32_e32 v32, s27
	s_waitcnt lgkmcnt(0)
	v_lshrrev_b64 v[38:39], s20, v[34:35]
	v_and_b32_e32 v20, s30, v38
	v_lshlrev_b32_e32 v20, 2, v20
	ds_read_b32 v20, v20
	v_xor_b32_e32 v35, 0x80000000, v35
	s_waitcnt lgkmcnt(0)
	v_add_u32_e32 v20, v28, v20
	v_lshlrev_b64 v[38:39], 3, v[20:21]
	v_add_co_u32_e64 v38, s[2:3], s26, v38
	v_addc_co_u32_e64 v39, s[2:3], v32, v39, s[2:3]
	global_store_dwordx2 v[38:39], v[34:35], off
.LBB1555_61:                            ;   in Loop: Header=BB1555_59 Depth=1
	s_or_b64 exec, exec, s[8:9]
	v_add_u32_e32 v20, 0x400, v28
	v_cmp_gt_u32_e64 s[2:3], s7, v20
	s_and_saveexec_b64 s[8:9], s[2:3]
	s_cbranch_execz .LBB1555_58
; %bb.62:                               ;   in Loop: Header=BB1555_59 Depth=1
	ds_read_b64 v[34:35], v23 offset:8192
	v_mov_b32_e32 v32, s27
	s_waitcnt lgkmcnt(0)
	v_lshrrev_b64 v[38:39], s20, v[34:35]
	v_and_b32_e32 v20, s30, v38
	v_lshlrev_b32_e32 v20, 2, v20
	ds_read_b32 v20, v20
	v_xor_b32_e32 v35, 0x80000000, v35
	s_waitcnt lgkmcnt(0)
	v_add3_u32 v20, v28, v20, s10
	v_lshlrev_b64 v[38:39], 3, v[20:21]
	v_add_co_u32_e64 v38, s[2:3], s26, v38
	v_addc_co_u32_e64 v39, s[2:3], v32, v39, s[2:3]
	global_store_dwordx2 v[38:39], v[34:35], off
	s_branch .LBB1555_58
.LBB1555_63:
	s_mov_b64 s[10:11], 0
                                        ; implicit-def: $vgpr4
	s_cbranch_execnz .LBB1555_67
	s_branch .LBB1555_108
.LBB1555_64:
	s_add_i32 s29, s29, -1
	s_cmp_eq_u32 s29, s28
	s_cselect_b64 s[2:3], -1, 0
	s_and_b64 s[8:9], vcc, s[2:3]
	s_mov_b64 s[2:3], 0
	s_mov_b64 s[10:11], 0
                                        ; implicit-def: $vgpr4
	s_and_saveexec_b64 s[12:13], s[8:9]
	s_xor_b64 s[8:9], exec, s[12:13]
; %bb.65:
	s_mov_b64 s[10:11], exec
	v_add_u32_e32 v4, v30, v31
; %bb.66:
	s_or_b64 exec, exec, s[8:9]
	s_and_b64 vcc, exec, s[2:3]
	s_cbranch_vccz .LBB1555_108
.LBB1555_67:
	s_lshl_b32 s2, s28, 13
	s_mov_b32 s3, 0
	v_mbcnt_hi_u32_b32 v22, -1, v1
	s_lshl_b64 s[2:3], s[2:3], 3
	v_and_b32_e32 v1, 63, v22
	s_add_u32 s2, s24, s2
	v_lshlrev_b32_e32 v1, 3, v1
	v_add_co_u32_e32 v1, vcc, s2, v1
	s_load_dword s22, s[4:5], 0x58
	s_load_dword s2, s[4:5], 0x64
	s_addc_u32 s3, s25, s3
	v_mov_b32_e32 v4, s3
	v_lshlrev_b32_e32 v5, 6, v2
	v_addc_co_u32_e32 v4, vcc, 0, v4, vcc
	v_and_b32_e32 v5, 0xf000, v5
	s_add_u32 s3, s4, 0x58
	v_add_co_u32_e32 v20, vcc, v1, v5
	s_addc_u32 s4, s5, 0
	s_waitcnt lgkmcnt(0)
	s_lshr_b32 s5, s2, 16
	v_addc_co_u32_e32 v21, vcc, 0, v4, vcc
	s_cmp_lt_u32 s6, s22
	global_load_dwordx2 v[4:5], v[20:21], off
	s_cselect_b32 s2, 12, 18
	s_add_u32 s2, s3, s2
	v_mov_b32_e32 v18, 0
	s_addc_u32 s3, s4, 0
	global_load_ushort v19, v18, s[2:3]
	v_mul_u32_u24_e32 v6, 5, v2
	v_lshlrev_b32_e32 v23, 2, v6
	v_bfe_u32 v1, v0, 10, 10
	v_bfe_u32 v0, v0, 20, 10
	ds_write2_b32 v23, v18, v18 offset0:16 offset1:17
	ds_write2_b32 v23, v18, v18 offset0:18 offset1:19
	ds_write_b32 v23, v18 offset:80
	v_mad_u32_u24 v24, v0, s5, v1
	global_load_dwordx2 v[0:1], v[20:21], off offset:512
	global_load_dwordx2 v[6:7], v[20:21], off offset:1024
	;; [unrolled: 1-line block ×7, first 2 shown]
	s_lshl_b32 s2, -1, s21
	s_not_b32 s21, s2
	s_waitcnt lgkmcnt(0)
	s_barrier
	s_waitcnt lgkmcnt(0)
	; wave barrier
	s_waitcnt vmcnt(8)
	v_xor_b32_e32 v5, 0x80000000, v5
	v_lshrrev_b64 v[20:21], s20, v[4:5]
	v_and_b32_e32 v25, s21, v20
	s_waitcnt vmcnt(7)
	v_mad_u64_u32 v[20:21], s[2:3], v24, v19, v[2:3]
	v_and_b32_e32 v24, 1, v25
	v_lshrrev_b32_e32 v32, 6, v20
	v_add_co_u32_e32 v20, vcc, -1, v24
	v_lshlrev_b32_e32 v19, 30, v25
	v_addc_co_u32_e64 v27, s[2:3], 0, -1, vcc
	v_lshl_add_u32 v21, v25, 4, v25
	v_cmp_ne_u32_e32 vcc, 0, v24
	v_cmp_gt_i64_e64 s[2:3], 0, v[18:19]
	v_not_b32_e32 v24, v19
	v_lshlrev_b32_e32 v19, 29, v25
	v_add_lshl_u32 v26, v32, v21, 2
	v_xor_b32_e32 v21, vcc_hi, v27
	v_xor_b32_e32 v20, vcc_lo, v20
	v_ashrrev_i32_e32 v24, 31, v24
	v_cmp_gt_i64_e32 vcc, 0, v[18:19]
	v_not_b32_e32 v27, v19
	v_lshlrev_b32_e32 v19, 28, v25
	v_and_b32_e32 v21, exec_hi, v21
	v_and_b32_e32 v20, exec_lo, v20
	v_xor_b32_e32 v28, s3, v24
	v_xor_b32_e32 v24, s2, v24
	v_ashrrev_i32_e32 v27, 31, v27
	v_cmp_gt_i64_e64 s[2:3], 0, v[18:19]
	v_not_b32_e32 v29, v19
	v_lshlrev_b32_e32 v19, 27, v25
	v_and_b32_e32 v21, v21, v28
	v_and_b32_e32 v20, v20, v24
	v_xor_b32_e32 v24, vcc_hi, v27
	v_xor_b32_e32 v27, vcc_lo, v27
	v_ashrrev_i32_e32 v28, 31, v29
	v_cmp_gt_i64_e32 vcc, 0, v[18:19]
	v_not_b32_e32 v19, v19
	v_and_b32_e32 v21, v21, v24
	v_and_b32_e32 v20, v20, v27
	v_xor_b32_e32 v24, s3, v28
	v_xor_b32_e32 v27, s2, v28
	v_ashrrev_i32_e32 v19, 31, v19
	v_and_b32_e32 v21, v21, v24
	v_and_b32_e32 v20, v20, v27
	v_xor_b32_e32 v24, vcc_hi, v19
	v_xor_b32_e32 v19, vcc_lo, v19
	v_and_b32_e32 v20, v20, v19
	v_lshlrev_b32_e32 v19, 26, v25
	v_cmp_gt_i64_e32 vcc, 0, v[18:19]
	v_not_b32_e32 v19, v19
	v_ashrrev_i32_e32 v19, 31, v19
	v_and_b32_e32 v21, v21, v24
	v_xor_b32_e32 v24, vcc_hi, v19
	v_xor_b32_e32 v19, vcc_lo, v19
	v_and_b32_e32 v20, v20, v19
	v_lshlrev_b32_e32 v19, 25, v25
	v_cmp_gt_i64_e32 vcc, 0, v[18:19]
	v_not_b32_e32 v19, v19
	v_ashrrev_i32_e32 v19, 31, v19
	;; [unrolled: 8-line block ×3, first 2 shown]
	v_and_b32_e32 v21, v21, v24
	v_xor_b32_e32 v24, vcc_hi, v19
	v_xor_b32_e32 v19, vcc_lo, v19
	v_and_b32_e32 v20, v20, v19
	v_and_b32_e32 v21, v21, v24
	v_mbcnt_lo_u32_b32 v19, v20, 0
	v_mbcnt_hi_u32_b32 v24, v21, v19
	v_cmp_eq_u32_e32 vcc, 0, v24
	v_cmp_ne_u64_e64 s[2:3], 0, v[20:21]
	s_and_b64 s[4:5], s[2:3], vcc
	s_and_saveexec_b64 s[2:3], s[4:5]
	s_cbranch_execz .LBB1555_69
; %bb.68:
	v_bcnt_u32_b32 v19, v20, 0
	v_bcnt_u32_b32 v19, v21, v19
	ds_write_b32 v26, v19 offset:64
.LBB1555_69:
	s_or_b64 exec, exec, s[2:3]
	s_waitcnt vmcnt(6)
	v_xor_b32_e32 v1, 0x80000000, v1
	v_lshrrev_b64 v[20:21], s20, v[0:1]
	v_and_b32_e32 v20, s21, v20
	v_lshl_add_u32 v19, v20, 4, v20
	v_add_lshl_u32 v29, v32, v19, 2
	v_and_b32_e32 v19, 1, v20
	v_add_co_u32_e32 v21, vcc, -1, v19
	v_addc_co_u32_e64 v27, s[2:3], 0, -1, vcc
	v_cmp_ne_u32_e32 vcc, 0, v19
	v_xor_b32_e32 v19, vcc_hi, v27
	v_and_b32_e32 v27, exec_hi, v19
	v_lshlrev_b32_e32 v19, 30, v20
	v_xor_b32_e32 v21, vcc_lo, v21
	v_cmp_gt_i64_e32 vcc, 0, v[18:19]
	v_not_b32_e32 v19, v19
	v_ashrrev_i32_e32 v19, 31, v19
	v_and_b32_e32 v21, exec_lo, v21
	v_xor_b32_e32 v28, vcc_hi, v19
	v_xor_b32_e32 v19, vcc_lo, v19
	v_and_b32_e32 v21, v21, v19
	v_lshlrev_b32_e32 v19, 29, v20
	v_cmp_gt_i64_e32 vcc, 0, v[18:19]
	v_not_b32_e32 v19, v19
	v_ashrrev_i32_e32 v19, 31, v19
	v_and_b32_e32 v27, v27, v28
	v_xor_b32_e32 v28, vcc_hi, v19
	v_xor_b32_e32 v19, vcc_lo, v19
	v_and_b32_e32 v21, v21, v19
	v_lshlrev_b32_e32 v19, 28, v20
	v_cmp_gt_i64_e32 vcc, 0, v[18:19]
	v_not_b32_e32 v19, v19
	v_ashrrev_i32_e32 v19, 31, v19
	v_and_b32_e32 v27, v27, v28
	;; [unrolled: 8-line block ×5, first 2 shown]
	v_xor_b32_e32 v28, vcc_hi, v19
	v_xor_b32_e32 v19, vcc_lo, v19
	v_and_b32_e32 v21, v21, v19
	v_lshlrev_b32_e32 v19, 24, v20
	v_cmp_gt_i64_e32 vcc, 0, v[18:19]
	v_not_b32_e32 v18, v19
	v_ashrrev_i32_e32 v18, 31, v18
	v_xor_b32_e32 v19, vcc_hi, v18
	v_xor_b32_e32 v18, vcc_lo, v18
	; wave barrier
	ds_read_b32 v25, v29 offset:64
	v_and_b32_e32 v27, v27, v28
	v_and_b32_e32 v18, v21, v18
	;; [unrolled: 1-line block ×3, first 2 shown]
	v_mbcnt_lo_u32_b32 v20, v18, 0
	v_mbcnt_hi_u32_b32 v27, v19, v20
	v_cmp_eq_u32_e32 vcc, 0, v27
	v_cmp_ne_u64_e64 s[2:3], 0, v[18:19]
	s_and_b64 s[4:5], s[2:3], vcc
	; wave barrier
	s_and_saveexec_b64 s[2:3], s[4:5]
	s_cbranch_execz .LBB1555_71
; %bb.70:
	v_bcnt_u32_b32 v18, v18, 0
	v_bcnt_u32_b32 v18, v19, v18
	s_waitcnt lgkmcnt(0)
	v_add_u32_e32 v18, v25, v18
	ds_write_b32 v29, v18 offset:64
.LBB1555_71:
	s_or_b64 exec, exec, s[2:3]
	s_waitcnt vmcnt(5)
	v_xor_b32_e32 v7, 0x80000000, v7
	v_lshrrev_b64 v[18:19], s20, v[6:7]
	v_and_b32_e32 v20, s21, v18
	v_and_b32_e32 v19, 1, v20
	v_add_co_u32_e32 v21, vcc, -1, v19
	v_addc_co_u32_e64 v30, s[2:3], 0, -1, vcc
	v_cmp_ne_u32_e32 vcc, 0, v19
	v_lshl_add_u32 v18, v20, 4, v20
	v_xor_b32_e32 v19, vcc_hi, v30
	v_add_lshl_u32 v33, v32, v18, 2
	v_mov_b32_e32 v18, 0
	v_and_b32_e32 v30, exec_hi, v19
	v_lshlrev_b32_e32 v19, 30, v20
	v_xor_b32_e32 v21, vcc_lo, v21
	v_cmp_gt_i64_e32 vcc, 0, v[18:19]
	v_not_b32_e32 v19, v19
	v_ashrrev_i32_e32 v19, 31, v19
	v_and_b32_e32 v21, exec_lo, v21
	v_xor_b32_e32 v31, vcc_hi, v19
	v_xor_b32_e32 v19, vcc_lo, v19
	v_and_b32_e32 v21, v21, v19
	v_lshlrev_b32_e32 v19, 29, v20
	v_cmp_gt_i64_e32 vcc, 0, v[18:19]
	v_not_b32_e32 v19, v19
	v_ashrrev_i32_e32 v19, 31, v19
	v_and_b32_e32 v30, v30, v31
	v_xor_b32_e32 v31, vcc_hi, v19
	v_xor_b32_e32 v19, vcc_lo, v19
	v_and_b32_e32 v21, v21, v19
	v_lshlrev_b32_e32 v19, 28, v20
	v_cmp_gt_i64_e32 vcc, 0, v[18:19]
	v_not_b32_e32 v19, v19
	v_ashrrev_i32_e32 v19, 31, v19
	v_and_b32_e32 v30, v30, v31
	;; [unrolled: 8-line block ×5, first 2 shown]
	v_xor_b32_e32 v31, vcc_hi, v19
	v_xor_b32_e32 v19, vcc_lo, v19
	v_and_b32_e32 v30, v30, v31
	v_and_b32_e32 v31, v21, v19
	v_lshlrev_b32_e32 v19, 24, v20
	v_cmp_gt_i64_e32 vcc, 0, v[18:19]
	v_not_b32_e32 v19, v19
	v_ashrrev_i32_e32 v19, 31, v19
	v_xor_b32_e32 v20, vcc_hi, v19
	v_xor_b32_e32 v19, vcc_lo, v19
	; wave barrier
	ds_read_b32 v28, v33 offset:64
	v_and_b32_e32 v21, v30, v20
	v_and_b32_e32 v20, v31, v19
	v_mbcnt_lo_u32_b32 v19, v20, 0
	v_mbcnt_hi_u32_b32 v30, v21, v19
	v_cmp_eq_u32_e32 vcc, 0, v30
	v_cmp_ne_u64_e64 s[2:3], 0, v[20:21]
	s_and_b64 s[4:5], s[2:3], vcc
	; wave barrier
	s_and_saveexec_b64 s[2:3], s[4:5]
	s_cbranch_execz .LBB1555_73
; %bb.72:
	v_bcnt_u32_b32 v19, v20, 0
	v_bcnt_u32_b32 v19, v21, v19
	s_waitcnt lgkmcnt(0)
	v_add_u32_e32 v19, v28, v19
	ds_write_b32 v33, v19 offset:64
.LBB1555_73:
	s_or_b64 exec, exec, s[2:3]
	s_waitcnt vmcnt(4)
	v_xor_b32_e32 v9, 0x80000000, v9
	v_lshrrev_b64 v[20:21], s20, v[8:9]
	v_and_b32_e32 v20, s21, v20
	v_lshl_add_u32 v19, v20, 4, v20
	v_add_lshl_u32 v36, v32, v19, 2
	v_and_b32_e32 v19, 1, v20
	v_add_co_u32_e32 v21, vcc, -1, v19
	v_addc_co_u32_e64 v34, s[2:3], 0, -1, vcc
	v_cmp_ne_u32_e32 vcc, 0, v19
	v_xor_b32_e32 v19, vcc_hi, v34
	v_and_b32_e32 v34, exec_hi, v19
	v_lshlrev_b32_e32 v19, 30, v20
	v_xor_b32_e32 v21, vcc_lo, v21
	v_cmp_gt_i64_e32 vcc, 0, v[18:19]
	v_not_b32_e32 v19, v19
	v_ashrrev_i32_e32 v19, 31, v19
	v_and_b32_e32 v21, exec_lo, v21
	v_xor_b32_e32 v35, vcc_hi, v19
	v_xor_b32_e32 v19, vcc_lo, v19
	v_and_b32_e32 v21, v21, v19
	v_lshlrev_b32_e32 v19, 29, v20
	v_cmp_gt_i64_e32 vcc, 0, v[18:19]
	v_not_b32_e32 v19, v19
	v_ashrrev_i32_e32 v19, 31, v19
	v_and_b32_e32 v34, v34, v35
	v_xor_b32_e32 v35, vcc_hi, v19
	v_xor_b32_e32 v19, vcc_lo, v19
	v_and_b32_e32 v21, v21, v19
	v_lshlrev_b32_e32 v19, 28, v20
	v_cmp_gt_i64_e32 vcc, 0, v[18:19]
	v_not_b32_e32 v19, v19
	v_ashrrev_i32_e32 v19, 31, v19
	v_and_b32_e32 v34, v34, v35
	;; [unrolled: 8-line block ×5, first 2 shown]
	v_xor_b32_e32 v35, vcc_hi, v19
	v_xor_b32_e32 v19, vcc_lo, v19
	v_and_b32_e32 v21, v21, v19
	v_lshlrev_b32_e32 v19, 24, v20
	v_cmp_gt_i64_e32 vcc, 0, v[18:19]
	v_not_b32_e32 v18, v19
	v_ashrrev_i32_e32 v18, 31, v18
	v_xor_b32_e32 v19, vcc_hi, v18
	v_xor_b32_e32 v18, vcc_lo, v18
	; wave barrier
	ds_read_b32 v31, v36 offset:64
	v_and_b32_e32 v34, v34, v35
	v_and_b32_e32 v18, v21, v18
	;; [unrolled: 1-line block ×3, first 2 shown]
	v_mbcnt_lo_u32_b32 v20, v18, 0
	v_mbcnt_hi_u32_b32 v34, v19, v20
	v_cmp_eq_u32_e32 vcc, 0, v34
	v_cmp_ne_u64_e64 s[2:3], 0, v[18:19]
	s_and_b64 s[4:5], s[2:3], vcc
	; wave barrier
	s_and_saveexec_b64 s[2:3], s[4:5]
	s_cbranch_execz .LBB1555_75
; %bb.74:
	v_bcnt_u32_b32 v18, v18, 0
	v_bcnt_u32_b32 v18, v19, v18
	s_waitcnt lgkmcnt(0)
	v_add_u32_e32 v18, v31, v18
	ds_write_b32 v36, v18 offset:64
.LBB1555_75:
	s_or_b64 exec, exec, s[2:3]
	s_waitcnt vmcnt(3)
	v_xor_b32_e32 v11, 0x80000000, v11
	v_lshrrev_b64 v[18:19], s20, v[10:11]
	v_and_b32_e32 v20, s21, v18
	v_and_b32_e32 v19, 1, v20
	v_add_co_u32_e32 v21, vcc, -1, v19
	v_addc_co_u32_e64 v37, s[2:3], 0, -1, vcc
	v_cmp_ne_u32_e32 vcc, 0, v19
	v_lshl_add_u32 v18, v20, 4, v20
	v_xor_b32_e32 v19, vcc_hi, v37
	v_add_lshl_u32 v39, v32, v18, 2
	v_mov_b32_e32 v18, 0
	v_and_b32_e32 v37, exec_hi, v19
	v_lshlrev_b32_e32 v19, 30, v20
	v_xor_b32_e32 v21, vcc_lo, v21
	v_cmp_gt_i64_e32 vcc, 0, v[18:19]
	v_not_b32_e32 v19, v19
	v_ashrrev_i32_e32 v19, 31, v19
	v_and_b32_e32 v21, exec_lo, v21
	v_xor_b32_e32 v38, vcc_hi, v19
	v_xor_b32_e32 v19, vcc_lo, v19
	v_and_b32_e32 v21, v21, v19
	v_lshlrev_b32_e32 v19, 29, v20
	v_cmp_gt_i64_e32 vcc, 0, v[18:19]
	v_not_b32_e32 v19, v19
	v_ashrrev_i32_e32 v19, 31, v19
	v_and_b32_e32 v37, v37, v38
	v_xor_b32_e32 v38, vcc_hi, v19
	v_xor_b32_e32 v19, vcc_lo, v19
	v_and_b32_e32 v21, v21, v19
	v_lshlrev_b32_e32 v19, 28, v20
	v_cmp_gt_i64_e32 vcc, 0, v[18:19]
	v_not_b32_e32 v19, v19
	v_ashrrev_i32_e32 v19, 31, v19
	v_and_b32_e32 v37, v37, v38
	;; [unrolled: 8-line block ×5, first 2 shown]
	v_xor_b32_e32 v38, vcc_hi, v19
	v_xor_b32_e32 v19, vcc_lo, v19
	v_and_b32_e32 v37, v37, v38
	v_and_b32_e32 v38, v21, v19
	v_lshlrev_b32_e32 v19, 24, v20
	v_cmp_gt_i64_e32 vcc, 0, v[18:19]
	v_not_b32_e32 v19, v19
	v_ashrrev_i32_e32 v19, 31, v19
	v_xor_b32_e32 v20, vcc_hi, v19
	v_xor_b32_e32 v19, vcc_lo, v19
	; wave barrier
	ds_read_b32 v35, v39 offset:64
	v_and_b32_e32 v21, v37, v20
	v_and_b32_e32 v20, v38, v19
	v_mbcnt_lo_u32_b32 v19, v20, 0
	v_mbcnt_hi_u32_b32 v37, v21, v19
	v_cmp_eq_u32_e32 vcc, 0, v37
	v_cmp_ne_u64_e64 s[2:3], 0, v[20:21]
	s_and_b64 s[4:5], s[2:3], vcc
	; wave barrier
	s_and_saveexec_b64 s[2:3], s[4:5]
	s_cbranch_execz .LBB1555_77
; %bb.76:
	v_bcnt_u32_b32 v19, v20, 0
	v_bcnt_u32_b32 v19, v21, v19
	s_waitcnt lgkmcnt(0)
	v_add_u32_e32 v19, v35, v19
	ds_write_b32 v39, v19 offset:64
.LBB1555_77:
	s_or_b64 exec, exec, s[2:3]
	s_waitcnt vmcnt(2)
	v_xor_b32_e32 v13, 0x80000000, v13
	v_lshrrev_b64 v[20:21], s20, v[12:13]
	v_and_b32_e32 v20, s21, v20
	v_lshl_add_u32 v19, v20, 4, v20
	v_add_lshl_u32 v42, v32, v19, 2
	v_and_b32_e32 v19, 1, v20
	v_add_co_u32_e32 v21, vcc, -1, v19
	v_addc_co_u32_e64 v40, s[2:3], 0, -1, vcc
	v_cmp_ne_u32_e32 vcc, 0, v19
	v_xor_b32_e32 v19, vcc_hi, v40
	v_and_b32_e32 v40, exec_hi, v19
	v_lshlrev_b32_e32 v19, 30, v20
	v_xor_b32_e32 v21, vcc_lo, v21
	v_cmp_gt_i64_e32 vcc, 0, v[18:19]
	v_not_b32_e32 v19, v19
	v_ashrrev_i32_e32 v19, 31, v19
	v_and_b32_e32 v21, exec_lo, v21
	v_xor_b32_e32 v41, vcc_hi, v19
	v_xor_b32_e32 v19, vcc_lo, v19
	v_and_b32_e32 v21, v21, v19
	v_lshlrev_b32_e32 v19, 29, v20
	v_cmp_gt_i64_e32 vcc, 0, v[18:19]
	v_not_b32_e32 v19, v19
	v_ashrrev_i32_e32 v19, 31, v19
	v_and_b32_e32 v40, v40, v41
	v_xor_b32_e32 v41, vcc_hi, v19
	v_xor_b32_e32 v19, vcc_lo, v19
	v_and_b32_e32 v21, v21, v19
	v_lshlrev_b32_e32 v19, 28, v20
	v_cmp_gt_i64_e32 vcc, 0, v[18:19]
	v_not_b32_e32 v19, v19
	v_ashrrev_i32_e32 v19, 31, v19
	v_and_b32_e32 v40, v40, v41
	;; [unrolled: 8-line block ×5, first 2 shown]
	v_xor_b32_e32 v41, vcc_hi, v19
	v_xor_b32_e32 v19, vcc_lo, v19
	v_and_b32_e32 v21, v21, v19
	v_lshlrev_b32_e32 v19, 24, v20
	v_cmp_gt_i64_e32 vcc, 0, v[18:19]
	v_not_b32_e32 v18, v19
	v_ashrrev_i32_e32 v18, 31, v18
	v_xor_b32_e32 v19, vcc_hi, v18
	v_xor_b32_e32 v18, vcc_lo, v18
	; wave barrier
	ds_read_b32 v38, v42 offset:64
	v_and_b32_e32 v40, v40, v41
	v_and_b32_e32 v18, v21, v18
	;; [unrolled: 1-line block ×3, first 2 shown]
	v_mbcnt_lo_u32_b32 v20, v18, 0
	v_mbcnt_hi_u32_b32 v40, v19, v20
	v_cmp_eq_u32_e32 vcc, 0, v40
	v_cmp_ne_u64_e64 s[2:3], 0, v[18:19]
	s_and_b64 s[4:5], s[2:3], vcc
	; wave barrier
	s_and_saveexec_b64 s[2:3], s[4:5]
	s_cbranch_execz .LBB1555_79
; %bb.78:
	v_bcnt_u32_b32 v18, v18, 0
	v_bcnt_u32_b32 v18, v19, v18
	s_waitcnt lgkmcnt(0)
	v_add_u32_e32 v18, v38, v18
	ds_write_b32 v42, v18 offset:64
.LBB1555_79:
	s_or_b64 exec, exec, s[2:3]
	s_waitcnt vmcnt(1)
	v_xor_b32_e32 v15, 0x80000000, v15
	v_lshrrev_b64 v[18:19], s20, v[14:15]
	v_and_b32_e32 v20, s21, v18
	v_and_b32_e32 v19, 1, v20
	v_add_co_u32_e32 v21, vcc, -1, v19
	v_addc_co_u32_e64 v43, s[2:3], 0, -1, vcc
	v_cmp_ne_u32_e32 vcc, 0, v19
	v_lshl_add_u32 v18, v20, 4, v20
	v_xor_b32_e32 v19, vcc_hi, v43
	v_add_lshl_u32 v44, v32, v18, 2
	v_mov_b32_e32 v18, 0
	v_and_b32_e32 v43, exec_hi, v19
	v_lshlrev_b32_e32 v19, 30, v20
	v_xor_b32_e32 v21, vcc_lo, v21
	v_cmp_gt_i64_e32 vcc, 0, v[18:19]
	v_not_b32_e32 v19, v19
	v_ashrrev_i32_e32 v19, 31, v19
	v_and_b32_e32 v21, exec_lo, v21
	v_xor_b32_e32 v45, vcc_hi, v19
	v_xor_b32_e32 v19, vcc_lo, v19
	v_and_b32_e32 v21, v21, v19
	v_lshlrev_b32_e32 v19, 29, v20
	v_cmp_gt_i64_e32 vcc, 0, v[18:19]
	v_not_b32_e32 v19, v19
	v_ashrrev_i32_e32 v19, 31, v19
	v_and_b32_e32 v43, v43, v45
	v_xor_b32_e32 v45, vcc_hi, v19
	v_xor_b32_e32 v19, vcc_lo, v19
	v_and_b32_e32 v21, v21, v19
	v_lshlrev_b32_e32 v19, 28, v20
	v_cmp_gt_i64_e32 vcc, 0, v[18:19]
	v_not_b32_e32 v19, v19
	v_ashrrev_i32_e32 v19, 31, v19
	v_and_b32_e32 v43, v43, v45
	;; [unrolled: 8-line block ×5, first 2 shown]
	v_xor_b32_e32 v45, vcc_hi, v19
	v_xor_b32_e32 v19, vcc_lo, v19
	v_and_b32_e32 v43, v43, v45
	v_and_b32_e32 v45, v21, v19
	v_lshlrev_b32_e32 v19, 24, v20
	v_cmp_gt_i64_e32 vcc, 0, v[18:19]
	v_not_b32_e32 v19, v19
	v_ashrrev_i32_e32 v19, 31, v19
	v_xor_b32_e32 v20, vcc_hi, v19
	v_xor_b32_e32 v19, vcc_lo, v19
	; wave barrier
	ds_read_b32 v41, v44 offset:64
	v_and_b32_e32 v21, v43, v20
	v_and_b32_e32 v20, v45, v19
	v_mbcnt_lo_u32_b32 v19, v20, 0
	v_mbcnt_hi_u32_b32 v43, v21, v19
	v_cmp_eq_u32_e32 vcc, 0, v43
	v_cmp_ne_u64_e64 s[2:3], 0, v[20:21]
	s_and_b64 s[4:5], s[2:3], vcc
	; wave barrier
	s_and_saveexec_b64 s[2:3], s[4:5]
	s_cbranch_execz .LBB1555_81
; %bb.80:
	v_bcnt_u32_b32 v19, v20, 0
	v_bcnt_u32_b32 v19, v21, v19
	s_waitcnt lgkmcnt(0)
	v_add_u32_e32 v19, v41, v19
	ds_write_b32 v44, v19 offset:64
.LBB1555_81:
	s_or_b64 exec, exec, s[2:3]
	s_waitcnt vmcnt(0)
	v_xor_b32_e32 v17, 0x80000000, v17
	v_lshrrev_b64 v[20:21], s20, v[16:17]
	v_and_b32_e32 v20, s21, v20
	v_lshl_add_u32 v19, v20, 4, v20
	v_add_lshl_u32 v46, v32, v19, 2
	v_and_b32_e32 v19, 1, v20
	v_add_co_u32_e32 v21, vcc, -1, v19
	v_addc_co_u32_e64 v45, s[2:3], 0, -1, vcc
	v_cmp_ne_u32_e32 vcc, 0, v19
	v_xor_b32_e32 v19, vcc_hi, v45
	v_and_b32_e32 v45, exec_hi, v19
	v_lshlrev_b32_e32 v19, 30, v20
	v_xor_b32_e32 v21, vcc_lo, v21
	v_cmp_gt_i64_e32 vcc, 0, v[18:19]
	v_not_b32_e32 v19, v19
	v_ashrrev_i32_e32 v19, 31, v19
	v_and_b32_e32 v21, exec_lo, v21
	v_xor_b32_e32 v48, vcc_hi, v19
	v_xor_b32_e32 v19, vcc_lo, v19
	v_and_b32_e32 v21, v21, v19
	v_lshlrev_b32_e32 v19, 29, v20
	v_cmp_gt_i64_e32 vcc, 0, v[18:19]
	v_not_b32_e32 v19, v19
	v_ashrrev_i32_e32 v19, 31, v19
	v_and_b32_e32 v45, v45, v48
	v_xor_b32_e32 v48, vcc_hi, v19
	v_xor_b32_e32 v19, vcc_lo, v19
	v_and_b32_e32 v21, v21, v19
	v_lshlrev_b32_e32 v19, 28, v20
	v_cmp_gt_i64_e32 vcc, 0, v[18:19]
	v_not_b32_e32 v19, v19
	v_ashrrev_i32_e32 v19, 31, v19
	v_and_b32_e32 v45, v45, v48
	;; [unrolled: 8-line block ×5, first 2 shown]
	v_xor_b32_e32 v48, vcc_hi, v19
	v_xor_b32_e32 v19, vcc_lo, v19
	v_and_b32_e32 v21, v21, v19
	v_lshlrev_b32_e32 v19, 24, v20
	v_cmp_gt_i64_e32 vcc, 0, v[18:19]
	v_not_b32_e32 v18, v19
	v_ashrrev_i32_e32 v18, 31, v18
	v_xor_b32_e32 v19, vcc_hi, v18
	v_xor_b32_e32 v18, vcc_lo, v18
	; wave barrier
	ds_read_b32 v32, v46 offset:64
	v_and_b32_e32 v45, v45, v48
	v_and_b32_e32 v18, v21, v18
	v_and_b32_e32 v19, v45, v19
	v_mbcnt_lo_u32_b32 v20, v18, 0
	v_mbcnt_hi_u32_b32 v45, v19, v20
	v_cmp_eq_u32_e32 vcc, 0, v45
	v_cmp_ne_u64_e64 s[2:3], 0, v[18:19]
	v_add_u32_e32 v47, 64, v23
	s_and_b64 s[4:5], s[2:3], vcc
	; wave barrier
	s_and_saveexec_b64 s[2:3], s[4:5]
	s_cbranch_execz .LBB1555_83
; %bb.82:
	v_bcnt_u32_b32 v18, v18, 0
	v_bcnt_u32_b32 v18, v19, v18
	s_waitcnt lgkmcnt(0)
	v_add_u32_e32 v18, v32, v18
	ds_write_b32 v46, v18 offset:64
.LBB1555_83:
	s_or_b64 exec, exec, s[2:3]
	; wave barrier
	s_waitcnt lgkmcnt(0)
	s_barrier
	ds_read2_b32 v[20:21], v23 offset0:16 offset1:17
	ds_read2_b32 v[18:19], v47 offset0:2 offset1:3
	ds_read_b32 v48, v47 offset:16
	v_cmp_lt_u32_e64 s[8:9], 31, v22
	s_waitcnt lgkmcnt(1)
	v_add3_u32 v49, v21, v20, v18
	s_waitcnt lgkmcnt(0)
	v_add3_u32 v48, v49, v19, v48
	v_and_b32_e32 v49, 15, v22
	v_cmp_eq_u32_e32 vcc, 0, v49
	v_mov_b32_dpp v50, v48 row_shr:1 row_mask:0xf bank_mask:0xf
	v_cndmask_b32_e64 v50, v50, 0, vcc
	v_add_u32_e32 v48, v50, v48
	v_cmp_lt_u32_e64 s[2:3], 1, v49
	v_cmp_lt_u32_e64 s[4:5], 3, v49
	v_mov_b32_dpp v50, v48 row_shr:2 row_mask:0xf bank_mask:0xf
	v_cndmask_b32_e64 v50, 0, v50, s[2:3]
	v_add_u32_e32 v48, v48, v50
	v_cmp_lt_u32_e64 s[6:7], 7, v49
	s_nop 0
	v_mov_b32_dpp v50, v48 row_shr:4 row_mask:0xf bank_mask:0xf
	v_cndmask_b32_e64 v50, 0, v50, s[4:5]
	v_add_u32_e32 v48, v48, v50
	s_nop 1
	v_mov_b32_dpp v50, v48 row_shr:8 row_mask:0xf bank_mask:0xf
	v_cndmask_b32_e64 v49, 0, v50, s[6:7]
	v_add_u32_e32 v48, v48, v49
	v_bfe_i32 v50, v22, 4, 1
	s_nop 0
	v_mov_b32_dpp v49, v48 row_bcast:15 row_mask:0xf bank_mask:0xf
	v_and_b32_e32 v49, v50, v49
	v_add_u32_e32 v48, v48, v49
	v_and_b32_e32 v50, 63, v2
	s_nop 0
	v_mov_b32_dpp v49, v48 row_bcast:31 row_mask:0xf bank_mask:0xf
	v_cndmask_b32_e64 v49, 0, v49, s[8:9]
	v_add_u32_e32 v48, v48, v49
	v_lshrrev_b32_e32 v49, 6, v2
	v_cmp_eq_u32_e64 s[8:9], 63, v50
	s_and_saveexec_b64 s[12:13], s[8:9]
	s_cbranch_execz .LBB1555_85
; %bb.84:
	v_lshlrev_b32_e32 v50, 2, v49
	ds_write_b32 v50, v48
.LBB1555_85:
	s_or_b64 exec, exec, s[12:13]
	v_cmp_gt_u32_e64 s[8:9], 16, v2
	s_waitcnt lgkmcnt(0)
	s_barrier
	s_and_saveexec_b64 s[12:13], s[8:9]
	s_cbranch_execz .LBB1555_87
; %bb.86:
	v_lshlrev_b32_e32 v50, 2, v2
	ds_read_b32 v51, v50
	s_waitcnt lgkmcnt(0)
	s_nop 0
	v_mov_b32_dpp v52, v51 row_shr:1 row_mask:0xf bank_mask:0xf
	v_cndmask_b32_e64 v52, v52, 0, vcc
	v_add_u32_e32 v51, v52, v51
	s_nop 1
	v_mov_b32_dpp v52, v51 row_shr:2 row_mask:0xf bank_mask:0xf
	v_cndmask_b32_e64 v52, 0, v52, s[2:3]
	v_add_u32_e32 v51, v51, v52
	s_nop 1
	v_mov_b32_dpp v52, v51 row_shr:4 row_mask:0xf bank_mask:0xf
	v_cndmask_b32_e64 v52, 0, v52, s[4:5]
	;; [unrolled: 4-line block ×3, first 2 shown]
	v_add_u32_e32 v51, v51, v52
	ds_write_b32 v50, v51
.LBB1555_87:
	s_or_b64 exec, exec, s[12:13]
	v_cmp_lt_u32_e32 vcc, 63, v2
	v_mov_b32_e32 v50, 0
	s_waitcnt lgkmcnt(0)
	s_barrier
	s_and_saveexec_b64 s[2:3], vcc
	s_cbranch_execz .LBB1555_89
; %bb.88:
	v_lshl_add_u32 v49, v49, 2, -4
	ds_read_b32 v50, v49
.LBB1555_89:
	s_or_b64 exec, exec, s[2:3]
	v_add_u32_e32 v49, -1, v22
	v_and_b32_e32 v51, 64, v22
	v_cmp_lt_i32_e32 vcc, v49, v51
	v_cndmask_b32_e32 v49, v49, v22, vcc
	s_waitcnt lgkmcnt(0)
	v_add_u32_e32 v48, v50, v48
	v_lshlrev_b32_e32 v49, 2, v49
	ds_bpermute_b32 v48, v49, v48
	v_cmp_eq_u32_e32 vcc, 0, v22
	s_waitcnt lgkmcnt(0)
	v_cndmask_b32_e32 v22, v48, v50, vcc
	v_cndmask_b32_e64 v22, v22, 0, s[0:1]
	v_add_u32_e32 v20, v22, v20
	v_add_u32_e32 v21, v20, v21
	v_add_u32_e32 v18, v21, v18
	v_add_u32_e32 v19, v18, v19
	ds_write2_b32 v23, v22, v20 offset0:16 offset1:17
	ds_write2_b32 v47, v21, v18 offset0:2 offset1:3
	ds_write_b32 v47, v19 offset:16
	s_waitcnt lgkmcnt(0)
	s_barrier
	ds_read_b32 v48, v26 offset:64
	ds_read_b32 v47, v29 offset:64
	;; [unrolled: 1-line block ×8, first 2 shown]
	s_movk_i32 s0, 0x100
	v_cmp_gt_u32_e32 vcc, s0, v2
                                        ; implicit-def: $vgpr26
                                        ; implicit-def: $vgpr29
	s_and_saveexec_b64 s[2:3], vcc
	s_cbranch_execz .LBB1555_93
; %bb.90:
	v_mul_u32_u24_e32 v18, 17, v2
	v_lshlrev_b32_e32 v19, 2, v18
	ds_read_b32 v26, v19 offset:64
	s_movk_i32 s0, 0xff
	v_cmp_ne_u32_e64 s[0:1], s0, v2
	v_mov_b32_e32 v18, 0x2000
	s_and_saveexec_b64 s[4:5], s[0:1]
	s_cbranch_execz .LBB1555_92
; %bb.91:
	ds_read_b32 v18, v19 offset:132
.LBB1555_92:
	s_or_b64 exec, exec, s[4:5]
	s_waitcnt lgkmcnt(0)
	v_sub_u32_e32 v29, v18, v26
.LBB1555_93:
	s_or_b64 exec, exec, s[2:3]
	s_waitcnt lgkmcnt(0)
	s_barrier
	s_and_saveexec_b64 s[2:3], vcc
	s_cbranch_execz .LBB1555_103
; %bb.94:
	v_lshl_or_b32 v18, s28, 8, v2
	v_mov_b32_e32 v19, 0
	v_lshlrev_b64 v[20:21], 2, v[18:19]
	v_mov_b32_e32 v49, s15
	v_add_co_u32_e64 v20, s[0:1], s14, v20
	v_addc_co_u32_e64 v21, s[0:1], v49, v21, s[0:1]
	v_or_b32_e32 v18, 2.0, v29
	s_mov_b64 s[4:5], 0
	s_brev_b32 s12, 1
	s_mov_b32 s13, s28
	v_mov_b32_e32 v50, 0
	global_store_dword v[20:21], v18, off
                                        ; implicit-def: $sgpr0_sgpr1
	s_branch .LBB1555_97
.LBB1555_95:                            ;   in Loop: Header=BB1555_97 Depth=1
	s_or_b64 exec, exec, s[8:9]
.LBB1555_96:                            ;   in Loop: Header=BB1555_97 Depth=1
	s_or_b64 exec, exec, s[6:7]
	v_and_b32_e32 v22, 0x3fffffff, v51
	v_add_u32_e32 v50, v22, v50
	v_cmp_eq_u32_e64 s[0:1], s12, v18
	s_and_b64 s[6:7], exec, s[0:1]
	s_or_b64 s[4:5], s[6:7], s[4:5]
	s_andn2_b64 exec, exec, s[4:5]
	s_cbranch_execz .LBB1555_102
.LBB1555_97:                            ; =>This Loop Header: Depth=1
                                        ;     Child Loop BB1555_100 Depth 2
	s_or_b64 s[0:1], s[0:1], exec
	s_cmp_eq_u32 s13, 0
	s_cbranch_scc1 .LBB1555_101
; %bb.98:                               ;   in Loop: Header=BB1555_97 Depth=1
	s_add_i32 s13, s13, -1
	v_lshl_or_b32 v18, s13, 8, v2
	v_lshlrev_b64 v[22:23], 2, v[18:19]
	v_add_co_u32_e64 v22, s[0:1], s14, v22
	v_addc_co_u32_e64 v23, s[0:1], v49, v23, s[0:1]
	global_load_dword v51, v[22:23], off glc
	s_waitcnt vmcnt(0)
	v_and_b32_e32 v18, -2.0, v51
	v_cmp_eq_u32_e64 s[0:1], 0, v18
	s_and_saveexec_b64 s[6:7], s[0:1]
	s_cbranch_execz .LBB1555_96
; %bb.99:                               ;   in Loop: Header=BB1555_97 Depth=1
	s_mov_b64 s[8:9], 0
.LBB1555_100:                           ;   Parent Loop BB1555_97 Depth=1
                                        ; =>  This Inner Loop Header: Depth=2
	global_load_dword v51, v[22:23], off glc
	s_waitcnt vmcnt(0)
	v_and_b32_e32 v18, -2.0, v51
	v_cmp_ne_u32_e64 s[0:1], 0, v18
	s_or_b64 s[8:9], s[0:1], s[8:9]
	s_andn2_b64 exec, exec, s[8:9]
	s_cbranch_execnz .LBB1555_100
	s_branch .LBB1555_95
.LBB1555_101:                           ;   in Loop: Header=BB1555_97 Depth=1
                                        ; implicit-def: $sgpr13
	s_and_b64 s[6:7], exec, s[0:1]
	s_or_b64 s[4:5], s[6:7], s[4:5]
	s_andn2_b64 exec, exec, s[4:5]
	s_cbranch_execnz .LBB1555_97
.LBB1555_102:
	s_or_b64 exec, exec, s[4:5]
	v_add_u32_e32 v18, v50, v29
	v_or_b32_e32 v18, 0x80000000, v18
	global_store_dword v[20:21], v18, off
	v_lshlrev_b32_e32 v18, 2, v2
	global_load_dword v19, v18, s[16:17]
	v_sub_u32_e32 v20, v50, v26
	s_waitcnt vmcnt(0)
	v_add_u32_e32 v19, v20, v19
	ds_write_b32 v18, v19
.LBB1555_103:
	s_or_b64 exec, exec, s[2:3]
	v_add_u32_e32 v20, v48, v24
	s_movk_i32 s2, 0x400
	v_add_u32_e32 v21, 0x400, v3
	v_add3_u32 v22, v45, v46, v32
	v_add3_u32 v23, v43, v44, v41
	;; [unrolled: 1-line block ×7, first 2 shown]
	s_mov_b32 s3, 0
	v_mov_b32_e32 v27, s27
	v_mov_b32_e32 v19, 0
	;; [unrolled: 1-line block ×3, first 2 shown]
.LBB1555_104:                           ; =>This Inner Loop Header: Depth=1
	v_add_u32_e32 v18, s3, v20
	v_add_u32_e32 v34, s3, v28
	;; [unrolled: 1-line block ×8, first 2 shown]
	v_min_u32_e32 v18, 0x800, v18
	v_min_u32_e32 v34, 0x800, v34
	;; [unrolled: 1-line block ×8, first 2 shown]
	v_lshlrev_b32_e32 v18, 3, v18
	v_lshlrev_b32_e32 v34, 3, v34
	;; [unrolled: 1-line block ×8, first 2 shown]
	ds_write_b64 v18, v[4:5] offset:1024
	ds_write_b64 v33, v[0:1] offset:1024
	;; [unrolled: 1-line block ×8, first 2 shown]
	s_waitcnt lgkmcnt(0)
	s_barrier
	ds_read_b64 v[34:35], v3 offset:1024
	s_addk_i32 s3, 0xf800
	s_cmpk_lg_i32 s3, 0xe000
	s_waitcnt lgkmcnt(0)
	v_lshrrev_b64 v[36:37], s20, v[34:35]
	v_and_b32_e32 v18, s21, v36
	v_lshlrev_b32_e32 v18, 2, v18
	ds_read_b32 v18, v18
	ds_read_b64 v[36:37], v21 offset:8192
	v_xor_b32_e32 v35, 0x80000000, v35
	s_waitcnt lgkmcnt(1)
	v_add_u32_e32 v18, v30, v18
	s_waitcnt lgkmcnt(0)
	v_lshrrev_b64 v[38:39], s20, v[36:37]
	v_lshlrev_b64 v[40:41], 3, v[18:19]
	v_and_b32_e32 v18, s21, v38
	v_lshlrev_b32_e32 v18, 2, v18
	ds_read_b32 v18, v18
	v_add_co_u32_e64 v38, s[0:1], s26, v40
	v_addc_co_u32_e64 v39, s[0:1], v27, v41, s[0:1]
	s_waitcnt lgkmcnt(0)
	v_add3_u32 v18, v30, v18, s2
	global_store_dwordx2 v[38:39], v[34:35], off
	v_lshlrev_b64 v[34:35], 3, v[18:19]
	v_add_co_u32_e64 v34, s[0:1], s26, v34
	v_xor_b32_e32 v37, 0x80000000, v37
	v_add_u32_e32 v30, 0x800, v30
	v_addc_co_u32_e64 v35, s[0:1], v27, v35, s[0:1]
	global_store_dwordx2 v[34:35], v[36:37], off
	s_barrier
	s_cbranch_scc1 .LBB1555_104
; %bb.105:
	s_add_i32 s22, s22, -1
	s_cmp_eq_u32 s22, s28
	s_cselect_b64 s[0:1], -1, 0
	s_and_b64 s[2:3], vcc, s[0:1]
                                        ; implicit-def: $vgpr4
	s_and_saveexec_b64 s[0:1], s[2:3]
; %bb.106:
	v_add_u32_e32 v4, v26, v29
	s_or_b64 s[10:11], s[10:11], exec
; %bb.107:
	s_or_b64 exec, exec, s[0:1]
.LBB1555_108:
	s_and_saveexec_b64 s[0:1], s[10:11]
	s_cbranch_execnz .LBB1555_110
; %bb.109:
	s_endpgm
.LBB1555_110:
	v_lshlrev_b32_e32 v0, 2, v2
	ds_read_b32 v1, v0
	s_waitcnt lgkmcnt(0)
	v_add_u32_e32 v1, v1, v4
	global_store_dword v0, v1, s[18:19]
	s_endpgm
	.section	.rodata,"a",@progbits
	.p2align	6, 0x0
	.amdhsa_kernel _ZN7rocprim17ROCPRIM_400000_NS6detail17trampoline_kernelINS0_14default_configENS1_35radix_sort_onesweep_config_selectorIxNS0_10empty_typeEEEZZNS1_29radix_sort_onesweep_iterationIS3_Lb0EN6thrust23THRUST_200600_302600_NS6detail15normal_iteratorINS9_10device_ptrIxEEEESE_PS5_SF_jNS0_19identity_decomposerENS1_16block_id_wrapperIjLb1EEEEE10hipError_tT1_PNSt15iterator_traitsISK_E10value_typeET2_T3_PNSL_ISQ_E10value_typeET4_T5_PSV_SW_PNS1_23onesweep_lookback_stateEbbT6_jjT7_P12ihipStream_tbENKUlT_T0_SK_SP_E_clISE_PxSF_SF_EEDaS13_S14_SK_SP_EUlS13_E_NS1_11comp_targetILNS1_3genE4ELNS1_11target_archE910ELNS1_3gpuE8ELNS1_3repE0EEENS1_47radix_sort_onesweep_sort_config_static_selectorELNS0_4arch9wavefront6targetE1EEEvSK_
		.amdhsa_group_segment_fixed_size 20552
		.amdhsa_private_segment_fixed_size 0
		.amdhsa_kernarg_size 344
		.amdhsa_user_sgpr_count 6
		.amdhsa_user_sgpr_private_segment_buffer 1
		.amdhsa_user_sgpr_dispatch_ptr 0
		.amdhsa_user_sgpr_queue_ptr 0
		.amdhsa_user_sgpr_kernarg_segment_ptr 1
		.amdhsa_user_sgpr_dispatch_id 0
		.amdhsa_user_sgpr_flat_scratch_init 0
		.amdhsa_user_sgpr_kernarg_preload_length 0
		.amdhsa_user_sgpr_kernarg_preload_offset 0
		.amdhsa_user_sgpr_private_segment_size 0
		.amdhsa_uses_dynamic_stack 0
		.amdhsa_system_sgpr_private_segment_wavefront_offset 0
		.amdhsa_system_sgpr_workgroup_id_x 1
		.amdhsa_system_sgpr_workgroup_id_y 0
		.amdhsa_system_sgpr_workgroup_id_z 0
		.amdhsa_system_sgpr_workgroup_info 0
		.amdhsa_system_vgpr_workitem_id 2
		.amdhsa_next_free_vgpr 55
		.amdhsa_next_free_sgpr 34
		.amdhsa_accum_offset 56
		.amdhsa_reserve_vcc 1
		.amdhsa_reserve_flat_scratch 0
		.amdhsa_float_round_mode_32 0
		.amdhsa_float_round_mode_16_64 0
		.amdhsa_float_denorm_mode_32 3
		.amdhsa_float_denorm_mode_16_64 3
		.amdhsa_dx10_clamp 1
		.amdhsa_ieee_mode 1
		.amdhsa_fp16_overflow 0
		.amdhsa_tg_split 0
		.amdhsa_exception_fp_ieee_invalid_op 0
		.amdhsa_exception_fp_denorm_src 0
		.amdhsa_exception_fp_ieee_div_zero 0
		.amdhsa_exception_fp_ieee_overflow 0
		.amdhsa_exception_fp_ieee_underflow 0
		.amdhsa_exception_fp_ieee_inexact 0
		.amdhsa_exception_int_div_zero 0
	.end_amdhsa_kernel
	.section	.text._ZN7rocprim17ROCPRIM_400000_NS6detail17trampoline_kernelINS0_14default_configENS1_35radix_sort_onesweep_config_selectorIxNS0_10empty_typeEEEZZNS1_29radix_sort_onesweep_iterationIS3_Lb0EN6thrust23THRUST_200600_302600_NS6detail15normal_iteratorINS9_10device_ptrIxEEEESE_PS5_SF_jNS0_19identity_decomposerENS1_16block_id_wrapperIjLb1EEEEE10hipError_tT1_PNSt15iterator_traitsISK_E10value_typeET2_T3_PNSL_ISQ_E10value_typeET4_T5_PSV_SW_PNS1_23onesweep_lookback_stateEbbT6_jjT7_P12ihipStream_tbENKUlT_T0_SK_SP_E_clISE_PxSF_SF_EEDaS13_S14_SK_SP_EUlS13_E_NS1_11comp_targetILNS1_3genE4ELNS1_11target_archE910ELNS1_3gpuE8ELNS1_3repE0EEENS1_47radix_sort_onesweep_sort_config_static_selectorELNS0_4arch9wavefront6targetE1EEEvSK_,"axG",@progbits,_ZN7rocprim17ROCPRIM_400000_NS6detail17trampoline_kernelINS0_14default_configENS1_35radix_sort_onesweep_config_selectorIxNS0_10empty_typeEEEZZNS1_29radix_sort_onesweep_iterationIS3_Lb0EN6thrust23THRUST_200600_302600_NS6detail15normal_iteratorINS9_10device_ptrIxEEEESE_PS5_SF_jNS0_19identity_decomposerENS1_16block_id_wrapperIjLb1EEEEE10hipError_tT1_PNSt15iterator_traitsISK_E10value_typeET2_T3_PNSL_ISQ_E10value_typeET4_T5_PSV_SW_PNS1_23onesweep_lookback_stateEbbT6_jjT7_P12ihipStream_tbENKUlT_T0_SK_SP_E_clISE_PxSF_SF_EEDaS13_S14_SK_SP_EUlS13_E_NS1_11comp_targetILNS1_3genE4ELNS1_11target_archE910ELNS1_3gpuE8ELNS1_3repE0EEENS1_47radix_sort_onesweep_sort_config_static_selectorELNS0_4arch9wavefront6targetE1EEEvSK_,comdat
.Lfunc_end1555:
	.size	_ZN7rocprim17ROCPRIM_400000_NS6detail17trampoline_kernelINS0_14default_configENS1_35radix_sort_onesweep_config_selectorIxNS0_10empty_typeEEEZZNS1_29radix_sort_onesweep_iterationIS3_Lb0EN6thrust23THRUST_200600_302600_NS6detail15normal_iteratorINS9_10device_ptrIxEEEESE_PS5_SF_jNS0_19identity_decomposerENS1_16block_id_wrapperIjLb1EEEEE10hipError_tT1_PNSt15iterator_traitsISK_E10value_typeET2_T3_PNSL_ISQ_E10value_typeET4_T5_PSV_SW_PNS1_23onesweep_lookback_stateEbbT6_jjT7_P12ihipStream_tbENKUlT_T0_SK_SP_E_clISE_PxSF_SF_EEDaS13_S14_SK_SP_EUlS13_E_NS1_11comp_targetILNS1_3genE4ELNS1_11target_archE910ELNS1_3gpuE8ELNS1_3repE0EEENS1_47radix_sort_onesweep_sort_config_static_selectorELNS0_4arch9wavefront6targetE1EEEvSK_, .Lfunc_end1555-_ZN7rocprim17ROCPRIM_400000_NS6detail17trampoline_kernelINS0_14default_configENS1_35radix_sort_onesweep_config_selectorIxNS0_10empty_typeEEEZZNS1_29radix_sort_onesweep_iterationIS3_Lb0EN6thrust23THRUST_200600_302600_NS6detail15normal_iteratorINS9_10device_ptrIxEEEESE_PS5_SF_jNS0_19identity_decomposerENS1_16block_id_wrapperIjLb1EEEEE10hipError_tT1_PNSt15iterator_traitsISK_E10value_typeET2_T3_PNSL_ISQ_E10value_typeET4_T5_PSV_SW_PNS1_23onesweep_lookback_stateEbbT6_jjT7_P12ihipStream_tbENKUlT_T0_SK_SP_E_clISE_PxSF_SF_EEDaS13_S14_SK_SP_EUlS13_E_NS1_11comp_targetILNS1_3genE4ELNS1_11target_archE910ELNS1_3gpuE8ELNS1_3repE0EEENS1_47radix_sort_onesweep_sort_config_static_selectorELNS0_4arch9wavefront6targetE1EEEvSK_
                                        ; -- End function
	.section	.AMDGPU.csdata,"",@progbits
; Kernel info:
; codeLenInByte = 10488
; NumSgprs: 38
; NumVgprs: 55
; NumAgprs: 0
; TotalNumVgprs: 55
; ScratchSize: 0
; MemoryBound: 0
; FloatMode: 240
; IeeeMode: 1
; LDSByteSize: 20552 bytes/workgroup (compile time only)
; SGPRBlocks: 4
; VGPRBlocks: 6
; NumSGPRsForWavesPerEU: 38
; NumVGPRsForWavesPerEU: 55
; AccumOffset: 56
; Occupancy: 8
; WaveLimiterHint : 1
; COMPUTE_PGM_RSRC2:SCRATCH_EN: 0
; COMPUTE_PGM_RSRC2:USER_SGPR: 6
; COMPUTE_PGM_RSRC2:TRAP_HANDLER: 0
; COMPUTE_PGM_RSRC2:TGID_X_EN: 1
; COMPUTE_PGM_RSRC2:TGID_Y_EN: 0
; COMPUTE_PGM_RSRC2:TGID_Z_EN: 0
; COMPUTE_PGM_RSRC2:TIDIG_COMP_CNT: 2
; COMPUTE_PGM_RSRC3_GFX90A:ACCUM_OFFSET: 13
; COMPUTE_PGM_RSRC3_GFX90A:TG_SPLIT: 0
	.section	.text._ZN7rocprim17ROCPRIM_400000_NS6detail17trampoline_kernelINS0_14default_configENS1_35radix_sort_onesweep_config_selectorIxNS0_10empty_typeEEEZZNS1_29radix_sort_onesweep_iterationIS3_Lb0EN6thrust23THRUST_200600_302600_NS6detail15normal_iteratorINS9_10device_ptrIxEEEESE_PS5_SF_jNS0_19identity_decomposerENS1_16block_id_wrapperIjLb1EEEEE10hipError_tT1_PNSt15iterator_traitsISK_E10value_typeET2_T3_PNSL_ISQ_E10value_typeET4_T5_PSV_SW_PNS1_23onesweep_lookback_stateEbbT6_jjT7_P12ihipStream_tbENKUlT_T0_SK_SP_E_clISE_PxSF_SF_EEDaS13_S14_SK_SP_EUlS13_E_NS1_11comp_targetILNS1_3genE3ELNS1_11target_archE908ELNS1_3gpuE7ELNS1_3repE0EEENS1_47radix_sort_onesweep_sort_config_static_selectorELNS0_4arch9wavefront6targetE1EEEvSK_,"axG",@progbits,_ZN7rocprim17ROCPRIM_400000_NS6detail17trampoline_kernelINS0_14default_configENS1_35radix_sort_onesweep_config_selectorIxNS0_10empty_typeEEEZZNS1_29radix_sort_onesweep_iterationIS3_Lb0EN6thrust23THRUST_200600_302600_NS6detail15normal_iteratorINS9_10device_ptrIxEEEESE_PS5_SF_jNS0_19identity_decomposerENS1_16block_id_wrapperIjLb1EEEEE10hipError_tT1_PNSt15iterator_traitsISK_E10value_typeET2_T3_PNSL_ISQ_E10value_typeET4_T5_PSV_SW_PNS1_23onesweep_lookback_stateEbbT6_jjT7_P12ihipStream_tbENKUlT_T0_SK_SP_E_clISE_PxSF_SF_EEDaS13_S14_SK_SP_EUlS13_E_NS1_11comp_targetILNS1_3genE3ELNS1_11target_archE908ELNS1_3gpuE7ELNS1_3repE0EEENS1_47radix_sort_onesweep_sort_config_static_selectorELNS0_4arch9wavefront6targetE1EEEvSK_,comdat
	.protected	_ZN7rocprim17ROCPRIM_400000_NS6detail17trampoline_kernelINS0_14default_configENS1_35radix_sort_onesweep_config_selectorIxNS0_10empty_typeEEEZZNS1_29radix_sort_onesweep_iterationIS3_Lb0EN6thrust23THRUST_200600_302600_NS6detail15normal_iteratorINS9_10device_ptrIxEEEESE_PS5_SF_jNS0_19identity_decomposerENS1_16block_id_wrapperIjLb1EEEEE10hipError_tT1_PNSt15iterator_traitsISK_E10value_typeET2_T3_PNSL_ISQ_E10value_typeET4_T5_PSV_SW_PNS1_23onesweep_lookback_stateEbbT6_jjT7_P12ihipStream_tbENKUlT_T0_SK_SP_E_clISE_PxSF_SF_EEDaS13_S14_SK_SP_EUlS13_E_NS1_11comp_targetILNS1_3genE3ELNS1_11target_archE908ELNS1_3gpuE7ELNS1_3repE0EEENS1_47radix_sort_onesweep_sort_config_static_selectorELNS0_4arch9wavefront6targetE1EEEvSK_ ; -- Begin function _ZN7rocprim17ROCPRIM_400000_NS6detail17trampoline_kernelINS0_14default_configENS1_35radix_sort_onesweep_config_selectorIxNS0_10empty_typeEEEZZNS1_29radix_sort_onesweep_iterationIS3_Lb0EN6thrust23THRUST_200600_302600_NS6detail15normal_iteratorINS9_10device_ptrIxEEEESE_PS5_SF_jNS0_19identity_decomposerENS1_16block_id_wrapperIjLb1EEEEE10hipError_tT1_PNSt15iterator_traitsISK_E10value_typeET2_T3_PNSL_ISQ_E10value_typeET4_T5_PSV_SW_PNS1_23onesweep_lookback_stateEbbT6_jjT7_P12ihipStream_tbENKUlT_T0_SK_SP_E_clISE_PxSF_SF_EEDaS13_S14_SK_SP_EUlS13_E_NS1_11comp_targetILNS1_3genE3ELNS1_11target_archE908ELNS1_3gpuE7ELNS1_3repE0EEENS1_47radix_sort_onesweep_sort_config_static_selectorELNS0_4arch9wavefront6targetE1EEEvSK_
	.globl	_ZN7rocprim17ROCPRIM_400000_NS6detail17trampoline_kernelINS0_14default_configENS1_35radix_sort_onesweep_config_selectorIxNS0_10empty_typeEEEZZNS1_29radix_sort_onesweep_iterationIS3_Lb0EN6thrust23THRUST_200600_302600_NS6detail15normal_iteratorINS9_10device_ptrIxEEEESE_PS5_SF_jNS0_19identity_decomposerENS1_16block_id_wrapperIjLb1EEEEE10hipError_tT1_PNSt15iterator_traitsISK_E10value_typeET2_T3_PNSL_ISQ_E10value_typeET4_T5_PSV_SW_PNS1_23onesweep_lookback_stateEbbT6_jjT7_P12ihipStream_tbENKUlT_T0_SK_SP_E_clISE_PxSF_SF_EEDaS13_S14_SK_SP_EUlS13_E_NS1_11comp_targetILNS1_3genE3ELNS1_11target_archE908ELNS1_3gpuE7ELNS1_3repE0EEENS1_47radix_sort_onesweep_sort_config_static_selectorELNS0_4arch9wavefront6targetE1EEEvSK_
	.p2align	8
	.type	_ZN7rocprim17ROCPRIM_400000_NS6detail17trampoline_kernelINS0_14default_configENS1_35radix_sort_onesweep_config_selectorIxNS0_10empty_typeEEEZZNS1_29radix_sort_onesweep_iterationIS3_Lb0EN6thrust23THRUST_200600_302600_NS6detail15normal_iteratorINS9_10device_ptrIxEEEESE_PS5_SF_jNS0_19identity_decomposerENS1_16block_id_wrapperIjLb1EEEEE10hipError_tT1_PNSt15iterator_traitsISK_E10value_typeET2_T3_PNSL_ISQ_E10value_typeET4_T5_PSV_SW_PNS1_23onesweep_lookback_stateEbbT6_jjT7_P12ihipStream_tbENKUlT_T0_SK_SP_E_clISE_PxSF_SF_EEDaS13_S14_SK_SP_EUlS13_E_NS1_11comp_targetILNS1_3genE3ELNS1_11target_archE908ELNS1_3gpuE7ELNS1_3repE0EEENS1_47radix_sort_onesweep_sort_config_static_selectorELNS0_4arch9wavefront6targetE1EEEvSK_,@function
_ZN7rocprim17ROCPRIM_400000_NS6detail17trampoline_kernelINS0_14default_configENS1_35radix_sort_onesweep_config_selectorIxNS0_10empty_typeEEEZZNS1_29radix_sort_onesweep_iterationIS3_Lb0EN6thrust23THRUST_200600_302600_NS6detail15normal_iteratorINS9_10device_ptrIxEEEESE_PS5_SF_jNS0_19identity_decomposerENS1_16block_id_wrapperIjLb1EEEEE10hipError_tT1_PNSt15iterator_traitsISK_E10value_typeET2_T3_PNSL_ISQ_E10value_typeET4_T5_PSV_SW_PNS1_23onesweep_lookback_stateEbbT6_jjT7_P12ihipStream_tbENKUlT_T0_SK_SP_E_clISE_PxSF_SF_EEDaS13_S14_SK_SP_EUlS13_E_NS1_11comp_targetILNS1_3genE3ELNS1_11target_archE908ELNS1_3gpuE7ELNS1_3repE0EEENS1_47radix_sort_onesweep_sort_config_static_selectorELNS0_4arch9wavefront6targetE1EEEvSK_: ; @_ZN7rocprim17ROCPRIM_400000_NS6detail17trampoline_kernelINS0_14default_configENS1_35radix_sort_onesweep_config_selectorIxNS0_10empty_typeEEEZZNS1_29radix_sort_onesweep_iterationIS3_Lb0EN6thrust23THRUST_200600_302600_NS6detail15normal_iteratorINS9_10device_ptrIxEEEESE_PS5_SF_jNS0_19identity_decomposerENS1_16block_id_wrapperIjLb1EEEEE10hipError_tT1_PNSt15iterator_traitsISK_E10value_typeET2_T3_PNSL_ISQ_E10value_typeET4_T5_PSV_SW_PNS1_23onesweep_lookback_stateEbbT6_jjT7_P12ihipStream_tbENKUlT_T0_SK_SP_E_clISE_PxSF_SF_EEDaS13_S14_SK_SP_EUlS13_E_NS1_11comp_targetILNS1_3genE3ELNS1_11target_archE908ELNS1_3gpuE7ELNS1_3repE0EEENS1_47radix_sort_onesweep_sort_config_static_selectorELNS0_4arch9wavefront6targetE1EEEvSK_
; %bb.0:
	.section	.rodata,"a",@progbits
	.p2align	6, 0x0
	.amdhsa_kernel _ZN7rocprim17ROCPRIM_400000_NS6detail17trampoline_kernelINS0_14default_configENS1_35radix_sort_onesweep_config_selectorIxNS0_10empty_typeEEEZZNS1_29radix_sort_onesweep_iterationIS3_Lb0EN6thrust23THRUST_200600_302600_NS6detail15normal_iteratorINS9_10device_ptrIxEEEESE_PS5_SF_jNS0_19identity_decomposerENS1_16block_id_wrapperIjLb1EEEEE10hipError_tT1_PNSt15iterator_traitsISK_E10value_typeET2_T3_PNSL_ISQ_E10value_typeET4_T5_PSV_SW_PNS1_23onesweep_lookback_stateEbbT6_jjT7_P12ihipStream_tbENKUlT_T0_SK_SP_E_clISE_PxSF_SF_EEDaS13_S14_SK_SP_EUlS13_E_NS1_11comp_targetILNS1_3genE3ELNS1_11target_archE908ELNS1_3gpuE7ELNS1_3repE0EEENS1_47radix_sort_onesweep_sort_config_static_selectorELNS0_4arch9wavefront6targetE1EEEvSK_
		.amdhsa_group_segment_fixed_size 0
		.amdhsa_private_segment_fixed_size 0
		.amdhsa_kernarg_size 88
		.amdhsa_user_sgpr_count 6
		.amdhsa_user_sgpr_private_segment_buffer 1
		.amdhsa_user_sgpr_dispatch_ptr 0
		.amdhsa_user_sgpr_queue_ptr 0
		.amdhsa_user_sgpr_kernarg_segment_ptr 1
		.amdhsa_user_sgpr_dispatch_id 0
		.amdhsa_user_sgpr_flat_scratch_init 0
		.amdhsa_user_sgpr_kernarg_preload_length 0
		.amdhsa_user_sgpr_kernarg_preload_offset 0
		.amdhsa_user_sgpr_private_segment_size 0
		.amdhsa_uses_dynamic_stack 0
		.amdhsa_system_sgpr_private_segment_wavefront_offset 0
		.amdhsa_system_sgpr_workgroup_id_x 1
		.amdhsa_system_sgpr_workgroup_id_y 0
		.amdhsa_system_sgpr_workgroup_id_z 0
		.amdhsa_system_sgpr_workgroup_info 0
		.amdhsa_system_vgpr_workitem_id 0
		.amdhsa_next_free_vgpr 1
		.amdhsa_next_free_sgpr 0
		.amdhsa_accum_offset 4
		.amdhsa_reserve_vcc 0
		.amdhsa_reserve_flat_scratch 0
		.amdhsa_float_round_mode_32 0
		.amdhsa_float_round_mode_16_64 0
		.amdhsa_float_denorm_mode_32 3
		.amdhsa_float_denorm_mode_16_64 3
		.amdhsa_dx10_clamp 1
		.amdhsa_ieee_mode 1
		.amdhsa_fp16_overflow 0
		.amdhsa_tg_split 0
		.amdhsa_exception_fp_ieee_invalid_op 0
		.amdhsa_exception_fp_denorm_src 0
		.amdhsa_exception_fp_ieee_div_zero 0
		.amdhsa_exception_fp_ieee_overflow 0
		.amdhsa_exception_fp_ieee_underflow 0
		.amdhsa_exception_fp_ieee_inexact 0
		.amdhsa_exception_int_div_zero 0
	.end_amdhsa_kernel
	.section	.text._ZN7rocprim17ROCPRIM_400000_NS6detail17trampoline_kernelINS0_14default_configENS1_35radix_sort_onesweep_config_selectorIxNS0_10empty_typeEEEZZNS1_29radix_sort_onesweep_iterationIS3_Lb0EN6thrust23THRUST_200600_302600_NS6detail15normal_iteratorINS9_10device_ptrIxEEEESE_PS5_SF_jNS0_19identity_decomposerENS1_16block_id_wrapperIjLb1EEEEE10hipError_tT1_PNSt15iterator_traitsISK_E10value_typeET2_T3_PNSL_ISQ_E10value_typeET4_T5_PSV_SW_PNS1_23onesweep_lookback_stateEbbT6_jjT7_P12ihipStream_tbENKUlT_T0_SK_SP_E_clISE_PxSF_SF_EEDaS13_S14_SK_SP_EUlS13_E_NS1_11comp_targetILNS1_3genE3ELNS1_11target_archE908ELNS1_3gpuE7ELNS1_3repE0EEENS1_47radix_sort_onesweep_sort_config_static_selectorELNS0_4arch9wavefront6targetE1EEEvSK_,"axG",@progbits,_ZN7rocprim17ROCPRIM_400000_NS6detail17trampoline_kernelINS0_14default_configENS1_35radix_sort_onesweep_config_selectorIxNS0_10empty_typeEEEZZNS1_29radix_sort_onesweep_iterationIS3_Lb0EN6thrust23THRUST_200600_302600_NS6detail15normal_iteratorINS9_10device_ptrIxEEEESE_PS5_SF_jNS0_19identity_decomposerENS1_16block_id_wrapperIjLb1EEEEE10hipError_tT1_PNSt15iterator_traitsISK_E10value_typeET2_T3_PNSL_ISQ_E10value_typeET4_T5_PSV_SW_PNS1_23onesweep_lookback_stateEbbT6_jjT7_P12ihipStream_tbENKUlT_T0_SK_SP_E_clISE_PxSF_SF_EEDaS13_S14_SK_SP_EUlS13_E_NS1_11comp_targetILNS1_3genE3ELNS1_11target_archE908ELNS1_3gpuE7ELNS1_3repE0EEENS1_47radix_sort_onesweep_sort_config_static_selectorELNS0_4arch9wavefront6targetE1EEEvSK_,comdat
.Lfunc_end1556:
	.size	_ZN7rocprim17ROCPRIM_400000_NS6detail17trampoline_kernelINS0_14default_configENS1_35radix_sort_onesweep_config_selectorIxNS0_10empty_typeEEEZZNS1_29radix_sort_onesweep_iterationIS3_Lb0EN6thrust23THRUST_200600_302600_NS6detail15normal_iteratorINS9_10device_ptrIxEEEESE_PS5_SF_jNS0_19identity_decomposerENS1_16block_id_wrapperIjLb1EEEEE10hipError_tT1_PNSt15iterator_traitsISK_E10value_typeET2_T3_PNSL_ISQ_E10value_typeET4_T5_PSV_SW_PNS1_23onesweep_lookback_stateEbbT6_jjT7_P12ihipStream_tbENKUlT_T0_SK_SP_E_clISE_PxSF_SF_EEDaS13_S14_SK_SP_EUlS13_E_NS1_11comp_targetILNS1_3genE3ELNS1_11target_archE908ELNS1_3gpuE7ELNS1_3repE0EEENS1_47radix_sort_onesweep_sort_config_static_selectorELNS0_4arch9wavefront6targetE1EEEvSK_, .Lfunc_end1556-_ZN7rocprim17ROCPRIM_400000_NS6detail17trampoline_kernelINS0_14default_configENS1_35radix_sort_onesweep_config_selectorIxNS0_10empty_typeEEEZZNS1_29radix_sort_onesweep_iterationIS3_Lb0EN6thrust23THRUST_200600_302600_NS6detail15normal_iteratorINS9_10device_ptrIxEEEESE_PS5_SF_jNS0_19identity_decomposerENS1_16block_id_wrapperIjLb1EEEEE10hipError_tT1_PNSt15iterator_traitsISK_E10value_typeET2_T3_PNSL_ISQ_E10value_typeET4_T5_PSV_SW_PNS1_23onesweep_lookback_stateEbbT6_jjT7_P12ihipStream_tbENKUlT_T0_SK_SP_E_clISE_PxSF_SF_EEDaS13_S14_SK_SP_EUlS13_E_NS1_11comp_targetILNS1_3genE3ELNS1_11target_archE908ELNS1_3gpuE7ELNS1_3repE0EEENS1_47radix_sort_onesweep_sort_config_static_selectorELNS0_4arch9wavefront6targetE1EEEvSK_
                                        ; -- End function
	.section	.AMDGPU.csdata,"",@progbits
; Kernel info:
; codeLenInByte = 0
; NumSgprs: 4
; NumVgprs: 0
; NumAgprs: 0
; TotalNumVgprs: 0
; ScratchSize: 0
; MemoryBound: 0
; FloatMode: 240
; IeeeMode: 1
; LDSByteSize: 0 bytes/workgroup (compile time only)
; SGPRBlocks: 0
; VGPRBlocks: 0
; NumSGPRsForWavesPerEU: 4
; NumVGPRsForWavesPerEU: 1
; AccumOffset: 4
; Occupancy: 8
; WaveLimiterHint : 0
; COMPUTE_PGM_RSRC2:SCRATCH_EN: 0
; COMPUTE_PGM_RSRC2:USER_SGPR: 6
; COMPUTE_PGM_RSRC2:TRAP_HANDLER: 0
; COMPUTE_PGM_RSRC2:TGID_X_EN: 1
; COMPUTE_PGM_RSRC2:TGID_Y_EN: 0
; COMPUTE_PGM_RSRC2:TGID_Z_EN: 0
; COMPUTE_PGM_RSRC2:TIDIG_COMP_CNT: 0
; COMPUTE_PGM_RSRC3_GFX90A:ACCUM_OFFSET: 0
; COMPUTE_PGM_RSRC3_GFX90A:TG_SPLIT: 0
	.section	.text._ZN7rocprim17ROCPRIM_400000_NS6detail17trampoline_kernelINS0_14default_configENS1_35radix_sort_onesweep_config_selectorIxNS0_10empty_typeEEEZZNS1_29radix_sort_onesweep_iterationIS3_Lb0EN6thrust23THRUST_200600_302600_NS6detail15normal_iteratorINS9_10device_ptrIxEEEESE_PS5_SF_jNS0_19identity_decomposerENS1_16block_id_wrapperIjLb1EEEEE10hipError_tT1_PNSt15iterator_traitsISK_E10value_typeET2_T3_PNSL_ISQ_E10value_typeET4_T5_PSV_SW_PNS1_23onesweep_lookback_stateEbbT6_jjT7_P12ihipStream_tbENKUlT_T0_SK_SP_E_clISE_PxSF_SF_EEDaS13_S14_SK_SP_EUlS13_E_NS1_11comp_targetILNS1_3genE10ELNS1_11target_archE1201ELNS1_3gpuE5ELNS1_3repE0EEENS1_47radix_sort_onesweep_sort_config_static_selectorELNS0_4arch9wavefront6targetE1EEEvSK_,"axG",@progbits,_ZN7rocprim17ROCPRIM_400000_NS6detail17trampoline_kernelINS0_14default_configENS1_35radix_sort_onesweep_config_selectorIxNS0_10empty_typeEEEZZNS1_29radix_sort_onesweep_iterationIS3_Lb0EN6thrust23THRUST_200600_302600_NS6detail15normal_iteratorINS9_10device_ptrIxEEEESE_PS5_SF_jNS0_19identity_decomposerENS1_16block_id_wrapperIjLb1EEEEE10hipError_tT1_PNSt15iterator_traitsISK_E10value_typeET2_T3_PNSL_ISQ_E10value_typeET4_T5_PSV_SW_PNS1_23onesweep_lookback_stateEbbT6_jjT7_P12ihipStream_tbENKUlT_T0_SK_SP_E_clISE_PxSF_SF_EEDaS13_S14_SK_SP_EUlS13_E_NS1_11comp_targetILNS1_3genE10ELNS1_11target_archE1201ELNS1_3gpuE5ELNS1_3repE0EEENS1_47radix_sort_onesweep_sort_config_static_selectorELNS0_4arch9wavefront6targetE1EEEvSK_,comdat
	.protected	_ZN7rocprim17ROCPRIM_400000_NS6detail17trampoline_kernelINS0_14default_configENS1_35radix_sort_onesweep_config_selectorIxNS0_10empty_typeEEEZZNS1_29radix_sort_onesweep_iterationIS3_Lb0EN6thrust23THRUST_200600_302600_NS6detail15normal_iteratorINS9_10device_ptrIxEEEESE_PS5_SF_jNS0_19identity_decomposerENS1_16block_id_wrapperIjLb1EEEEE10hipError_tT1_PNSt15iterator_traitsISK_E10value_typeET2_T3_PNSL_ISQ_E10value_typeET4_T5_PSV_SW_PNS1_23onesweep_lookback_stateEbbT6_jjT7_P12ihipStream_tbENKUlT_T0_SK_SP_E_clISE_PxSF_SF_EEDaS13_S14_SK_SP_EUlS13_E_NS1_11comp_targetILNS1_3genE10ELNS1_11target_archE1201ELNS1_3gpuE5ELNS1_3repE0EEENS1_47radix_sort_onesweep_sort_config_static_selectorELNS0_4arch9wavefront6targetE1EEEvSK_ ; -- Begin function _ZN7rocprim17ROCPRIM_400000_NS6detail17trampoline_kernelINS0_14default_configENS1_35radix_sort_onesweep_config_selectorIxNS0_10empty_typeEEEZZNS1_29radix_sort_onesweep_iterationIS3_Lb0EN6thrust23THRUST_200600_302600_NS6detail15normal_iteratorINS9_10device_ptrIxEEEESE_PS5_SF_jNS0_19identity_decomposerENS1_16block_id_wrapperIjLb1EEEEE10hipError_tT1_PNSt15iterator_traitsISK_E10value_typeET2_T3_PNSL_ISQ_E10value_typeET4_T5_PSV_SW_PNS1_23onesweep_lookback_stateEbbT6_jjT7_P12ihipStream_tbENKUlT_T0_SK_SP_E_clISE_PxSF_SF_EEDaS13_S14_SK_SP_EUlS13_E_NS1_11comp_targetILNS1_3genE10ELNS1_11target_archE1201ELNS1_3gpuE5ELNS1_3repE0EEENS1_47radix_sort_onesweep_sort_config_static_selectorELNS0_4arch9wavefront6targetE1EEEvSK_
	.globl	_ZN7rocprim17ROCPRIM_400000_NS6detail17trampoline_kernelINS0_14default_configENS1_35radix_sort_onesweep_config_selectorIxNS0_10empty_typeEEEZZNS1_29radix_sort_onesweep_iterationIS3_Lb0EN6thrust23THRUST_200600_302600_NS6detail15normal_iteratorINS9_10device_ptrIxEEEESE_PS5_SF_jNS0_19identity_decomposerENS1_16block_id_wrapperIjLb1EEEEE10hipError_tT1_PNSt15iterator_traitsISK_E10value_typeET2_T3_PNSL_ISQ_E10value_typeET4_T5_PSV_SW_PNS1_23onesweep_lookback_stateEbbT6_jjT7_P12ihipStream_tbENKUlT_T0_SK_SP_E_clISE_PxSF_SF_EEDaS13_S14_SK_SP_EUlS13_E_NS1_11comp_targetILNS1_3genE10ELNS1_11target_archE1201ELNS1_3gpuE5ELNS1_3repE0EEENS1_47radix_sort_onesweep_sort_config_static_selectorELNS0_4arch9wavefront6targetE1EEEvSK_
	.p2align	8
	.type	_ZN7rocprim17ROCPRIM_400000_NS6detail17trampoline_kernelINS0_14default_configENS1_35radix_sort_onesweep_config_selectorIxNS0_10empty_typeEEEZZNS1_29radix_sort_onesweep_iterationIS3_Lb0EN6thrust23THRUST_200600_302600_NS6detail15normal_iteratorINS9_10device_ptrIxEEEESE_PS5_SF_jNS0_19identity_decomposerENS1_16block_id_wrapperIjLb1EEEEE10hipError_tT1_PNSt15iterator_traitsISK_E10value_typeET2_T3_PNSL_ISQ_E10value_typeET4_T5_PSV_SW_PNS1_23onesweep_lookback_stateEbbT6_jjT7_P12ihipStream_tbENKUlT_T0_SK_SP_E_clISE_PxSF_SF_EEDaS13_S14_SK_SP_EUlS13_E_NS1_11comp_targetILNS1_3genE10ELNS1_11target_archE1201ELNS1_3gpuE5ELNS1_3repE0EEENS1_47radix_sort_onesweep_sort_config_static_selectorELNS0_4arch9wavefront6targetE1EEEvSK_,@function
_ZN7rocprim17ROCPRIM_400000_NS6detail17trampoline_kernelINS0_14default_configENS1_35radix_sort_onesweep_config_selectorIxNS0_10empty_typeEEEZZNS1_29radix_sort_onesweep_iterationIS3_Lb0EN6thrust23THRUST_200600_302600_NS6detail15normal_iteratorINS9_10device_ptrIxEEEESE_PS5_SF_jNS0_19identity_decomposerENS1_16block_id_wrapperIjLb1EEEEE10hipError_tT1_PNSt15iterator_traitsISK_E10value_typeET2_T3_PNSL_ISQ_E10value_typeET4_T5_PSV_SW_PNS1_23onesweep_lookback_stateEbbT6_jjT7_P12ihipStream_tbENKUlT_T0_SK_SP_E_clISE_PxSF_SF_EEDaS13_S14_SK_SP_EUlS13_E_NS1_11comp_targetILNS1_3genE10ELNS1_11target_archE1201ELNS1_3gpuE5ELNS1_3repE0EEENS1_47radix_sort_onesweep_sort_config_static_selectorELNS0_4arch9wavefront6targetE1EEEvSK_: ; @_ZN7rocprim17ROCPRIM_400000_NS6detail17trampoline_kernelINS0_14default_configENS1_35radix_sort_onesweep_config_selectorIxNS0_10empty_typeEEEZZNS1_29radix_sort_onesweep_iterationIS3_Lb0EN6thrust23THRUST_200600_302600_NS6detail15normal_iteratorINS9_10device_ptrIxEEEESE_PS5_SF_jNS0_19identity_decomposerENS1_16block_id_wrapperIjLb1EEEEE10hipError_tT1_PNSt15iterator_traitsISK_E10value_typeET2_T3_PNSL_ISQ_E10value_typeET4_T5_PSV_SW_PNS1_23onesweep_lookback_stateEbbT6_jjT7_P12ihipStream_tbENKUlT_T0_SK_SP_E_clISE_PxSF_SF_EEDaS13_S14_SK_SP_EUlS13_E_NS1_11comp_targetILNS1_3genE10ELNS1_11target_archE1201ELNS1_3gpuE5ELNS1_3repE0EEENS1_47radix_sort_onesweep_sort_config_static_selectorELNS0_4arch9wavefront6targetE1EEEvSK_
; %bb.0:
	.section	.rodata,"a",@progbits
	.p2align	6, 0x0
	.amdhsa_kernel _ZN7rocprim17ROCPRIM_400000_NS6detail17trampoline_kernelINS0_14default_configENS1_35radix_sort_onesweep_config_selectorIxNS0_10empty_typeEEEZZNS1_29radix_sort_onesweep_iterationIS3_Lb0EN6thrust23THRUST_200600_302600_NS6detail15normal_iteratorINS9_10device_ptrIxEEEESE_PS5_SF_jNS0_19identity_decomposerENS1_16block_id_wrapperIjLb1EEEEE10hipError_tT1_PNSt15iterator_traitsISK_E10value_typeET2_T3_PNSL_ISQ_E10value_typeET4_T5_PSV_SW_PNS1_23onesweep_lookback_stateEbbT6_jjT7_P12ihipStream_tbENKUlT_T0_SK_SP_E_clISE_PxSF_SF_EEDaS13_S14_SK_SP_EUlS13_E_NS1_11comp_targetILNS1_3genE10ELNS1_11target_archE1201ELNS1_3gpuE5ELNS1_3repE0EEENS1_47radix_sort_onesweep_sort_config_static_selectorELNS0_4arch9wavefront6targetE1EEEvSK_
		.amdhsa_group_segment_fixed_size 0
		.amdhsa_private_segment_fixed_size 0
		.amdhsa_kernarg_size 88
		.amdhsa_user_sgpr_count 6
		.amdhsa_user_sgpr_private_segment_buffer 1
		.amdhsa_user_sgpr_dispatch_ptr 0
		.amdhsa_user_sgpr_queue_ptr 0
		.amdhsa_user_sgpr_kernarg_segment_ptr 1
		.amdhsa_user_sgpr_dispatch_id 0
		.amdhsa_user_sgpr_flat_scratch_init 0
		.amdhsa_user_sgpr_kernarg_preload_length 0
		.amdhsa_user_sgpr_kernarg_preload_offset 0
		.amdhsa_user_sgpr_private_segment_size 0
		.amdhsa_uses_dynamic_stack 0
		.amdhsa_system_sgpr_private_segment_wavefront_offset 0
		.amdhsa_system_sgpr_workgroup_id_x 1
		.amdhsa_system_sgpr_workgroup_id_y 0
		.amdhsa_system_sgpr_workgroup_id_z 0
		.amdhsa_system_sgpr_workgroup_info 0
		.amdhsa_system_vgpr_workitem_id 0
		.amdhsa_next_free_vgpr 1
		.amdhsa_next_free_sgpr 0
		.amdhsa_accum_offset 4
		.amdhsa_reserve_vcc 0
		.amdhsa_reserve_flat_scratch 0
		.amdhsa_float_round_mode_32 0
		.amdhsa_float_round_mode_16_64 0
		.amdhsa_float_denorm_mode_32 3
		.amdhsa_float_denorm_mode_16_64 3
		.amdhsa_dx10_clamp 1
		.amdhsa_ieee_mode 1
		.amdhsa_fp16_overflow 0
		.amdhsa_tg_split 0
		.amdhsa_exception_fp_ieee_invalid_op 0
		.amdhsa_exception_fp_denorm_src 0
		.amdhsa_exception_fp_ieee_div_zero 0
		.amdhsa_exception_fp_ieee_overflow 0
		.amdhsa_exception_fp_ieee_underflow 0
		.amdhsa_exception_fp_ieee_inexact 0
		.amdhsa_exception_int_div_zero 0
	.end_amdhsa_kernel
	.section	.text._ZN7rocprim17ROCPRIM_400000_NS6detail17trampoline_kernelINS0_14default_configENS1_35radix_sort_onesweep_config_selectorIxNS0_10empty_typeEEEZZNS1_29radix_sort_onesweep_iterationIS3_Lb0EN6thrust23THRUST_200600_302600_NS6detail15normal_iteratorINS9_10device_ptrIxEEEESE_PS5_SF_jNS0_19identity_decomposerENS1_16block_id_wrapperIjLb1EEEEE10hipError_tT1_PNSt15iterator_traitsISK_E10value_typeET2_T3_PNSL_ISQ_E10value_typeET4_T5_PSV_SW_PNS1_23onesweep_lookback_stateEbbT6_jjT7_P12ihipStream_tbENKUlT_T0_SK_SP_E_clISE_PxSF_SF_EEDaS13_S14_SK_SP_EUlS13_E_NS1_11comp_targetILNS1_3genE10ELNS1_11target_archE1201ELNS1_3gpuE5ELNS1_3repE0EEENS1_47radix_sort_onesweep_sort_config_static_selectorELNS0_4arch9wavefront6targetE1EEEvSK_,"axG",@progbits,_ZN7rocprim17ROCPRIM_400000_NS6detail17trampoline_kernelINS0_14default_configENS1_35radix_sort_onesweep_config_selectorIxNS0_10empty_typeEEEZZNS1_29radix_sort_onesweep_iterationIS3_Lb0EN6thrust23THRUST_200600_302600_NS6detail15normal_iteratorINS9_10device_ptrIxEEEESE_PS5_SF_jNS0_19identity_decomposerENS1_16block_id_wrapperIjLb1EEEEE10hipError_tT1_PNSt15iterator_traitsISK_E10value_typeET2_T3_PNSL_ISQ_E10value_typeET4_T5_PSV_SW_PNS1_23onesweep_lookback_stateEbbT6_jjT7_P12ihipStream_tbENKUlT_T0_SK_SP_E_clISE_PxSF_SF_EEDaS13_S14_SK_SP_EUlS13_E_NS1_11comp_targetILNS1_3genE10ELNS1_11target_archE1201ELNS1_3gpuE5ELNS1_3repE0EEENS1_47radix_sort_onesweep_sort_config_static_selectorELNS0_4arch9wavefront6targetE1EEEvSK_,comdat
.Lfunc_end1557:
	.size	_ZN7rocprim17ROCPRIM_400000_NS6detail17trampoline_kernelINS0_14default_configENS1_35radix_sort_onesweep_config_selectorIxNS0_10empty_typeEEEZZNS1_29radix_sort_onesweep_iterationIS3_Lb0EN6thrust23THRUST_200600_302600_NS6detail15normal_iteratorINS9_10device_ptrIxEEEESE_PS5_SF_jNS0_19identity_decomposerENS1_16block_id_wrapperIjLb1EEEEE10hipError_tT1_PNSt15iterator_traitsISK_E10value_typeET2_T3_PNSL_ISQ_E10value_typeET4_T5_PSV_SW_PNS1_23onesweep_lookback_stateEbbT6_jjT7_P12ihipStream_tbENKUlT_T0_SK_SP_E_clISE_PxSF_SF_EEDaS13_S14_SK_SP_EUlS13_E_NS1_11comp_targetILNS1_3genE10ELNS1_11target_archE1201ELNS1_3gpuE5ELNS1_3repE0EEENS1_47radix_sort_onesweep_sort_config_static_selectorELNS0_4arch9wavefront6targetE1EEEvSK_, .Lfunc_end1557-_ZN7rocprim17ROCPRIM_400000_NS6detail17trampoline_kernelINS0_14default_configENS1_35radix_sort_onesweep_config_selectorIxNS0_10empty_typeEEEZZNS1_29radix_sort_onesweep_iterationIS3_Lb0EN6thrust23THRUST_200600_302600_NS6detail15normal_iteratorINS9_10device_ptrIxEEEESE_PS5_SF_jNS0_19identity_decomposerENS1_16block_id_wrapperIjLb1EEEEE10hipError_tT1_PNSt15iterator_traitsISK_E10value_typeET2_T3_PNSL_ISQ_E10value_typeET4_T5_PSV_SW_PNS1_23onesweep_lookback_stateEbbT6_jjT7_P12ihipStream_tbENKUlT_T0_SK_SP_E_clISE_PxSF_SF_EEDaS13_S14_SK_SP_EUlS13_E_NS1_11comp_targetILNS1_3genE10ELNS1_11target_archE1201ELNS1_3gpuE5ELNS1_3repE0EEENS1_47radix_sort_onesweep_sort_config_static_selectorELNS0_4arch9wavefront6targetE1EEEvSK_
                                        ; -- End function
	.section	.AMDGPU.csdata,"",@progbits
; Kernel info:
; codeLenInByte = 0
; NumSgprs: 4
; NumVgprs: 0
; NumAgprs: 0
; TotalNumVgprs: 0
; ScratchSize: 0
; MemoryBound: 0
; FloatMode: 240
; IeeeMode: 1
; LDSByteSize: 0 bytes/workgroup (compile time only)
; SGPRBlocks: 0
; VGPRBlocks: 0
; NumSGPRsForWavesPerEU: 4
; NumVGPRsForWavesPerEU: 1
; AccumOffset: 4
; Occupancy: 8
; WaveLimiterHint : 0
; COMPUTE_PGM_RSRC2:SCRATCH_EN: 0
; COMPUTE_PGM_RSRC2:USER_SGPR: 6
; COMPUTE_PGM_RSRC2:TRAP_HANDLER: 0
; COMPUTE_PGM_RSRC2:TGID_X_EN: 1
; COMPUTE_PGM_RSRC2:TGID_Y_EN: 0
; COMPUTE_PGM_RSRC2:TGID_Z_EN: 0
; COMPUTE_PGM_RSRC2:TIDIG_COMP_CNT: 0
; COMPUTE_PGM_RSRC3_GFX90A:ACCUM_OFFSET: 0
; COMPUTE_PGM_RSRC3_GFX90A:TG_SPLIT: 0
	.section	.text._ZN7rocprim17ROCPRIM_400000_NS6detail17trampoline_kernelINS0_14default_configENS1_35radix_sort_onesweep_config_selectorIxNS0_10empty_typeEEEZZNS1_29radix_sort_onesweep_iterationIS3_Lb0EN6thrust23THRUST_200600_302600_NS6detail15normal_iteratorINS9_10device_ptrIxEEEESE_PS5_SF_jNS0_19identity_decomposerENS1_16block_id_wrapperIjLb1EEEEE10hipError_tT1_PNSt15iterator_traitsISK_E10value_typeET2_T3_PNSL_ISQ_E10value_typeET4_T5_PSV_SW_PNS1_23onesweep_lookback_stateEbbT6_jjT7_P12ihipStream_tbENKUlT_T0_SK_SP_E_clISE_PxSF_SF_EEDaS13_S14_SK_SP_EUlS13_E_NS1_11comp_targetILNS1_3genE9ELNS1_11target_archE1100ELNS1_3gpuE3ELNS1_3repE0EEENS1_47radix_sort_onesweep_sort_config_static_selectorELNS0_4arch9wavefront6targetE1EEEvSK_,"axG",@progbits,_ZN7rocprim17ROCPRIM_400000_NS6detail17trampoline_kernelINS0_14default_configENS1_35radix_sort_onesweep_config_selectorIxNS0_10empty_typeEEEZZNS1_29radix_sort_onesweep_iterationIS3_Lb0EN6thrust23THRUST_200600_302600_NS6detail15normal_iteratorINS9_10device_ptrIxEEEESE_PS5_SF_jNS0_19identity_decomposerENS1_16block_id_wrapperIjLb1EEEEE10hipError_tT1_PNSt15iterator_traitsISK_E10value_typeET2_T3_PNSL_ISQ_E10value_typeET4_T5_PSV_SW_PNS1_23onesweep_lookback_stateEbbT6_jjT7_P12ihipStream_tbENKUlT_T0_SK_SP_E_clISE_PxSF_SF_EEDaS13_S14_SK_SP_EUlS13_E_NS1_11comp_targetILNS1_3genE9ELNS1_11target_archE1100ELNS1_3gpuE3ELNS1_3repE0EEENS1_47radix_sort_onesweep_sort_config_static_selectorELNS0_4arch9wavefront6targetE1EEEvSK_,comdat
	.protected	_ZN7rocprim17ROCPRIM_400000_NS6detail17trampoline_kernelINS0_14default_configENS1_35radix_sort_onesweep_config_selectorIxNS0_10empty_typeEEEZZNS1_29radix_sort_onesweep_iterationIS3_Lb0EN6thrust23THRUST_200600_302600_NS6detail15normal_iteratorINS9_10device_ptrIxEEEESE_PS5_SF_jNS0_19identity_decomposerENS1_16block_id_wrapperIjLb1EEEEE10hipError_tT1_PNSt15iterator_traitsISK_E10value_typeET2_T3_PNSL_ISQ_E10value_typeET4_T5_PSV_SW_PNS1_23onesweep_lookback_stateEbbT6_jjT7_P12ihipStream_tbENKUlT_T0_SK_SP_E_clISE_PxSF_SF_EEDaS13_S14_SK_SP_EUlS13_E_NS1_11comp_targetILNS1_3genE9ELNS1_11target_archE1100ELNS1_3gpuE3ELNS1_3repE0EEENS1_47radix_sort_onesweep_sort_config_static_selectorELNS0_4arch9wavefront6targetE1EEEvSK_ ; -- Begin function _ZN7rocprim17ROCPRIM_400000_NS6detail17trampoline_kernelINS0_14default_configENS1_35radix_sort_onesweep_config_selectorIxNS0_10empty_typeEEEZZNS1_29radix_sort_onesweep_iterationIS3_Lb0EN6thrust23THRUST_200600_302600_NS6detail15normal_iteratorINS9_10device_ptrIxEEEESE_PS5_SF_jNS0_19identity_decomposerENS1_16block_id_wrapperIjLb1EEEEE10hipError_tT1_PNSt15iterator_traitsISK_E10value_typeET2_T3_PNSL_ISQ_E10value_typeET4_T5_PSV_SW_PNS1_23onesweep_lookback_stateEbbT6_jjT7_P12ihipStream_tbENKUlT_T0_SK_SP_E_clISE_PxSF_SF_EEDaS13_S14_SK_SP_EUlS13_E_NS1_11comp_targetILNS1_3genE9ELNS1_11target_archE1100ELNS1_3gpuE3ELNS1_3repE0EEENS1_47radix_sort_onesweep_sort_config_static_selectorELNS0_4arch9wavefront6targetE1EEEvSK_
	.globl	_ZN7rocprim17ROCPRIM_400000_NS6detail17trampoline_kernelINS0_14default_configENS1_35radix_sort_onesweep_config_selectorIxNS0_10empty_typeEEEZZNS1_29radix_sort_onesweep_iterationIS3_Lb0EN6thrust23THRUST_200600_302600_NS6detail15normal_iteratorINS9_10device_ptrIxEEEESE_PS5_SF_jNS0_19identity_decomposerENS1_16block_id_wrapperIjLb1EEEEE10hipError_tT1_PNSt15iterator_traitsISK_E10value_typeET2_T3_PNSL_ISQ_E10value_typeET4_T5_PSV_SW_PNS1_23onesweep_lookback_stateEbbT6_jjT7_P12ihipStream_tbENKUlT_T0_SK_SP_E_clISE_PxSF_SF_EEDaS13_S14_SK_SP_EUlS13_E_NS1_11comp_targetILNS1_3genE9ELNS1_11target_archE1100ELNS1_3gpuE3ELNS1_3repE0EEENS1_47radix_sort_onesweep_sort_config_static_selectorELNS0_4arch9wavefront6targetE1EEEvSK_
	.p2align	8
	.type	_ZN7rocprim17ROCPRIM_400000_NS6detail17trampoline_kernelINS0_14default_configENS1_35radix_sort_onesweep_config_selectorIxNS0_10empty_typeEEEZZNS1_29radix_sort_onesweep_iterationIS3_Lb0EN6thrust23THRUST_200600_302600_NS6detail15normal_iteratorINS9_10device_ptrIxEEEESE_PS5_SF_jNS0_19identity_decomposerENS1_16block_id_wrapperIjLb1EEEEE10hipError_tT1_PNSt15iterator_traitsISK_E10value_typeET2_T3_PNSL_ISQ_E10value_typeET4_T5_PSV_SW_PNS1_23onesweep_lookback_stateEbbT6_jjT7_P12ihipStream_tbENKUlT_T0_SK_SP_E_clISE_PxSF_SF_EEDaS13_S14_SK_SP_EUlS13_E_NS1_11comp_targetILNS1_3genE9ELNS1_11target_archE1100ELNS1_3gpuE3ELNS1_3repE0EEENS1_47radix_sort_onesweep_sort_config_static_selectorELNS0_4arch9wavefront6targetE1EEEvSK_,@function
_ZN7rocprim17ROCPRIM_400000_NS6detail17trampoline_kernelINS0_14default_configENS1_35radix_sort_onesweep_config_selectorIxNS0_10empty_typeEEEZZNS1_29radix_sort_onesweep_iterationIS3_Lb0EN6thrust23THRUST_200600_302600_NS6detail15normal_iteratorINS9_10device_ptrIxEEEESE_PS5_SF_jNS0_19identity_decomposerENS1_16block_id_wrapperIjLb1EEEEE10hipError_tT1_PNSt15iterator_traitsISK_E10value_typeET2_T3_PNSL_ISQ_E10value_typeET4_T5_PSV_SW_PNS1_23onesweep_lookback_stateEbbT6_jjT7_P12ihipStream_tbENKUlT_T0_SK_SP_E_clISE_PxSF_SF_EEDaS13_S14_SK_SP_EUlS13_E_NS1_11comp_targetILNS1_3genE9ELNS1_11target_archE1100ELNS1_3gpuE3ELNS1_3repE0EEENS1_47radix_sort_onesweep_sort_config_static_selectorELNS0_4arch9wavefront6targetE1EEEvSK_: ; @_ZN7rocprim17ROCPRIM_400000_NS6detail17trampoline_kernelINS0_14default_configENS1_35radix_sort_onesweep_config_selectorIxNS0_10empty_typeEEEZZNS1_29radix_sort_onesweep_iterationIS3_Lb0EN6thrust23THRUST_200600_302600_NS6detail15normal_iteratorINS9_10device_ptrIxEEEESE_PS5_SF_jNS0_19identity_decomposerENS1_16block_id_wrapperIjLb1EEEEE10hipError_tT1_PNSt15iterator_traitsISK_E10value_typeET2_T3_PNSL_ISQ_E10value_typeET4_T5_PSV_SW_PNS1_23onesweep_lookback_stateEbbT6_jjT7_P12ihipStream_tbENKUlT_T0_SK_SP_E_clISE_PxSF_SF_EEDaS13_S14_SK_SP_EUlS13_E_NS1_11comp_targetILNS1_3genE9ELNS1_11target_archE1100ELNS1_3gpuE3ELNS1_3repE0EEENS1_47radix_sort_onesweep_sort_config_static_selectorELNS0_4arch9wavefront6targetE1EEEvSK_
; %bb.0:
	.section	.rodata,"a",@progbits
	.p2align	6, 0x0
	.amdhsa_kernel _ZN7rocprim17ROCPRIM_400000_NS6detail17trampoline_kernelINS0_14default_configENS1_35radix_sort_onesweep_config_selectorIxNS0_10empty_typeEEEZZNS1_29radix_sort_onesweep_iterationIS3_Lb0EN6thrust23THRUST_200600_302600_NS6detail15normal_iteratorINS9_10device_ptrIxEEEESE_PS5_SF_jNS0_19identity_decomposerENS1_16block_id_wrapperIjLb1EEEEE10hipError_tT1_PNSt15iterator_traitsISK_E10value_typeET2_T3_PNSL_ISQ_E10value_typeET4_T5_PSV_SW_PNS1_23onesweep_lookback_stateEbbT6_jjT7_P12ihipStream_tbENKUlT_T0_SK_SP_E_clISE_PxSF_SF_EEDaS13_S14_SK_SP_EUlS13_E_NS1_11comp_targetILNS1_3genE9ELNS1_11target_archE1100ELNS1_3gpuE3ELNS1_3repE0EEENS1_47radix_sort_onesweep_sort_config_static_selectorELNS0_4arch9wavefront6targetE1EEEvSK_
		.amdhsa_group_segment_fixed_size 0
		.amdhsa_private_segment_fixed_size 0
		.amdhsa_kernarg_size 88
		.amdhsa_user_sgpr_count 6
		.amdhsa_user_sgpr_private_segment_buffer 1
		.amdhsa_user_sgpr_dispatch_ptr 0
		.amdhsa_user_sgpr_queue_ptr 0
		.amdhsa_user_sgpr_kernarg_segment_ptr 1
		.amdhsa_user_sgpr_dispatch_id 0
		.amdhsa_user_sgpr_flat_scratch_init 0
		.amdhsa_user_sgpr_kernarg_preload_length 0
		.amdhsa_user_sgpr_kernarg_preload_offset 0
		.amdhsa_user_sgpr_private_segment_size 0
		.amdhsa_uses_dynamic_stack 0
		.amdhsa_system_sgpr_private_segment_wavefront_offset 0
		.amdhsa_system_sgpr_workgroup_id_x 1
		.amdhsa_system_sgpr_workgroup_id_y 0
		.amdhsa_system_sgpr_workgroup_id_z 0
		.amdhsa_system_sgpr_workgroup_info 0
		.amdhsa_system_vgpr_workitem_id 0
		.amdhsa_next_free_vgpr 1
		.amdhsa_next_free_sgpr 0
		.amdhsa_accum_offset 4
		.amdhsa_reserve_vcc 0
		.amdhsa_reserve_flat_scratch 0
		.amdhsa_float_round_mode_32 0
		.amdhsa_float_round_mode_16_64 0
		.amdhsa_float_denorm_mode_32 3
		.amdhsa_float_denorm_mode_16_64 3
		.amdhsa_dx10_clamp 1
		.amdhsa_ieee_mode 1
		.amdhsa_fp16_overflow 0
		.amdhsa_tg_split 0
		.amdhsa_exception_fp_ieee_invalid_op 0
		.amdhsa_exception_fp_denorm_src 0
		.amdhsa_exception_fp_ieee_div_zero 0
		.amdhsa_exception_fp_ieee_overflow 0
		.amdhsa_exception_fp_ieee_underflow 0
		.amdhsa_exception_fp_ieee_inexact 0
		.amdhsa_exception_int_div_zero 0
	.end_amdhsa_kernel
	.section	.text._ZN7rocprim17ROCPRIM_400000_NS6detail17trampoline_kernelINS0_14default_configENS1_35radix_sort_onesweep_config_selectorIxNS0_10empty_typeEEEZZNS1_29radix_sort_onesweep_iterationIS3_Lb0EN6thrust23THRUST_200600_302600_NS6detail15normal_iteratorINS9_10device_ptrIxEEEESE_PS5_SF_jNS0_19identity_decomposerENS1_16block_id_wrapperIjLb1EEEEE10hipError_tT1_PNSt15iterator_traitsISK_E10value_typeET2_T3_PNSL_ISQ_E10value_typeET4_T5_PSV_SW_PNS1_23onesweep_lookback_stateEbbT6_jjT7_P12ihipStream_tbENKUlT_T0_SK_SP_E_clISE_PxSF_SF_EEDaS13_S14_SK_SP_EUlS13_E_NS1_11comp_targetILNS1_3genE9ELNS1_11target_archE1100ELNS1_3gpuE3ELNS1_3repE0EEENS1_47radix_sort_onesweep_sort_config_static_selectorELNS0_4arch9wavefront6targetE1EEEvSK_,"axG",@progbits,_ZN7rocprim17ROCPRIM_400000_NS6detail17trampoline_kernelINS0_14default_configENS1_35radix_sort_onesweep_config_selectorIxNS0_10empty_typeEEEZZNS1_29radix_sort_onesweep_iterationIS3_Lb0EN6thrust23THRUST_200600_302600_NS6detail15normal_iteratorINS9_10device_ptrIxEEEESE_PS5_SF_jNS0_19identity_decomposerENS1_16block_id_wrapperIjLb1EEEEE10hipError_tT1_PNSt15iterator_traitsISK_E10value_typeET2_T3_PNSL_ISQ_E10value_typeET4_T5_PSV_SW_PNS1_23onesweep_lookback_stateEbbT6_jjT7_P12ihipStream_tbENKUlT_T0_SK_SP_E_clISE_PxSF_SF_EEDaS13_S14_SK_SP_EUlS13_E_NS1_11comp_targetILNS1_3genE9ELNS1_11target_archE1100ELNS1_3gpuE3ELNS1_3repE0EEENS1_47radix_sort_onesweep_sort_config_static_selectorELNS0_4arch9wavefront6targetE1EEEvSK_,comdat
.Lfunc_end1558:
	.size	_ZN7rocprim17ROCPRIM_400000_NS6detail17trampoline_kernelINS0_14default_configENS1_35radix_sort_onesweep_config_selectorIxNS0_10empty_typeEEEZZNS1_29radix_sort_onesweep_iterationIS3_Lb0EN6thrust23THRUST_200600_302600_NS6detail15normal_iteratorINS9_10device_ptrIxEEEESE_PS5_SF_jNS0_19identity_decomposerENS1_16block_id_wrapperIjLb1EEEEE10hipError_tT1_PNSt15iterator_traitsISK_E10value_typeET2_T3_PNSL_ISQ_E10value_typeET4_T5_PSV_SW_PNS1_23onesweep_lookback_stateEbbT6_jjT7_P12ihipStream_tbENKUlT_T0_SK_SP_E_clISE_PxSF_SF_EEDaS13_S14_SK_SP_EUlS13_E_NS1_11comp_targetILNS1_3genE9ELNS1_11target_archE1100ELNS1_3gpuE3ELNS1_3repE0EEENS1_47radix_sort_onesweep_sort_config_static_selectorELNS0_4arch9wavefront6targetE1EEEvSK_, .Lfunc_end1558-_ZN7rocprim17ROCPRIM_400000_NS6detail17trampoline_kernelINS0_14default_configENS1_35radix_sort_onesweep_config_selectorIxNS0_10empty_typeEEEZZNS1_29radix_sort_onesweep_iterationIS3_Lb0EN6thrust23THRUST_200600_302600_NS6detail15normal_iteratorINS9_10device_ptrIxEEEESE_PS5_SF_jNS0_19identity_decomposerENS1_16block_id_wrapperIjLb1EEEEE10hipError_tT1_PNSt15iterator_traitsISK_E10value_typeET2_T3_PNSL_ISQ_E10value_typeET4_T5_PSV_SW_PNS1_23onesweep_lookback_stateEbbT6_jjT7_P12ihipStream_tbENKUlT_T0_SK_SP_E_clISE_PxSF_SF_EEDaS13_S14_SK_SP_EUlS13_E_NS1_11comp_targetILNS1_3genE9ELNS1_11target_archE1100ELNS1_3gpuE3ELNS1_3repE0EEENS1_47radix_sort_onesweep_sort_config_static_selectorELNS0_4arch9wavefront6targetE1EEEvSK_
                                        ; -- End function
	.section	.AMDGPU.csdata,"",@progbits
; Kernel info:
; codeLenInByte = 0
; NumSgprs: 4
; NumVgprs: 0
; NumAgprs: 0
; TotalNumVgprs: 0
; ScratchSize: 0
; MemoryBound: 0
; FloatMode: 240
; IeeeMode: 1
; LDSByteSize: 0 bytes/workgroup (compile time only)
; SGPRBlocks: 0
; VGPRBlocks: 0
; NumSGPRsForWavesPerEU: 4
; NumVGPRsForWavesPerEU: 1
; AccumOffset: 4
; Occupancy: 8
; WaveLimiterHint : 0
; COMPUTE_PGM_RSRC2:SCRATCH_EN: 0
; COMPUTE_PGM_RSRC2:USER_SGPR: 6
; COMPUTE_PGM_RSRC2:TRAP_HANDLER: 0
; COMPUTE_PGM_RSRC2:TGID_X_EN: 1
; COMPUTE_PGM_RSRC2:TGID_Y_EN: 0
; COMPUTE_PGM_RSRC2:TGID_Z_EN: 0
; COMPUTE_PGM_RSRC2:TIDIG_COMP_CNT: 0
; COMPUTE_PGM_RSRC3_GFX90A:ACCUM_OFFSET: 0
; COMPUTE_PGM_RSRC3_GFX90A:TG_SPLIT: 0
	.section	.text._ZN7rocprim17ROCPRIM_400000_NS6detail17trampoline_kernelINS0_14default_configENS1_35radix_sort_onesweep_config_selectorIxNS0_10empty_typeEEEZZNS1_29radix_sort_onesweep_iterationIS3_Lb0EN6thrust23THRUST_200600_302600_NS6detail15normal_iteratorINS9_10device_ptrIxEEEESE_PS5_SF_jNS0_19identity_decomposerENS1_16block_id_wrapperIjLb1EEEEE10hipError_tT1_PNSt15iterator_traitsISK_E10value_typeET2_T3_PNSL_ISQ_E10value_typeET4_T5_PSV_SW_PNS1_23onesweep_lookback_stateEbbT6_jjT7_P12ihipStream_tbENKUlT_T0_SK_SP_E_clISE_PxSF_SF_EEDaS13_S14_SK_SP_EUlS13_E_NS1_11comp_targetILNS1_3genE8ELNS1_11target_archE1030ELNS1_3gpuE2ELNS1_3repE0EEENS1_47radix_sort_onesweep_sort_config_static_selectorELNS0_4arch9wavefront6targetE1EEEvSK_,"axG",@progbits,_ZN7rocprim17ROCPRIM_400000_NS6detail17trampoline_kernelINS0_14default_configENS1_35radix_sort_onesweep_config_selectorIxNS0_10empty_typeEEEZZNS1_29radix_sort_onesweep_iterationIS3_Lb0EN6thrust23THRUST_200600_302600_NS6detail15normal_iteratorINS9_10device_ptrIxEEEESE_PS5_SF_jNS0_19identity_decomposerENS1_16block_id_wrapperIjLb1EEEEE10hipError_tT1_PNSt15iterator_traitsISK_E10value_typeET2_T3_PNSL_ISQ_E10value_typeET4_T5_PSV_SW_PNS1_23onesweep_lookback_stateEbbT6_jjT7_P12ihipStream_tbENKUlT_T0_SK_SP_E_clISE_PxSF_SF_EEDaS13_S14_SK_SP_EUlS13_E_NS1_11comp_targetILNS1_3genE8ELNS1_11target_archE1030ELNS1_3gpuE2ELNS1_3repE0EEENS1_47radix_sort_onesweep_sort_config_static_selectorELNS0_4arch9wavefront6targetE1EEEvSK_,comdat
	.protected	_ZN7rocprim17ROCPRIM_400000_NS6detail17trampoline_kernelINS0_14default_configENS1_35radix_sort_onesweep_config_selectorIxNS0_10empty_typeEEEZZNS1_29radix_sort_onesweep_iterationIS3_Lb0EN6thrust23THRUST_200600_302600_NS6detail15normal_iteratorINS9_10device_ptrIxEEEESE_PS5_SF_jNS0_19identity_decomposerENS1_16block_id_wrapperIjLb1EEEEE10hipError_tT1_PNSt15iterator_traitsISK_E10value_typeET2_T3_PNSL_ISQ_E10value_typeET4_T5_PSV_SW_PNS1_23onesweep_lookback_stateEbbT6_jjT7_P12ihipStream_tbENKUlT_T0_SK_SP_E_clISE_PxSF_SF_EEDaS13_S14_SK_SP_EUlS13_E_NS1_11comp_targetILNS1_3genE8ELNS1_11target_archE1030ELNS1_3gpuE2ELNS1_3repE0EEENS1_47radix_sort_onesweep_sort_config_static_selectorELNS0_4arch9wavefront6targetE1EEEvSK_ ; -- Begin function _ZN7rocprim17ROCPRIM_400000_NS6detail17trampoline_kernelINS0_14default_configENS1_35radix_sort_onesweep_config_selectorIxNS0_10empty_typeEEEZZNS1_29radix_sort_onesweep_iterationIS3_Lb0EN6thrust23THRUST_200600_302600_NS6detail15normal_iteratorINS9_10device_ptrIxEEEESE_PS5_SF_jNS0_19identity_decomposerENS1_16block_id_wrapperIjLb1EEEEE10hipError_tT1_PNSt15iterator_traitsISK_E10value_typeET2_T3_PNSL_ISQ_E10value_typeET4_T5_PSV_SW_PNS1_23onesweep_lookback_stateEbbT6_jjT7_P12ihipStream_tbENKUlT_T0_SK_SP_E_clISE_PxSF_SF_EEDaS13_S14_SK_SP_EUlS13_E_NS1_11comp_targetILNS1_3genE8ELNS1_11target_archE1030ELNS1_3gpuE2ELNS1_3repE0EEENS1_47radix_sort_onesweep_sort_config_static_selectorELNS0_4arch9wavefront6targetE1EEEvSK_
	.globl	_ZN7rocprim17ROCPRIM_400000_NS6detail17trampoline_kernelINS0_14default_configENS1_35radix_sort_onesweep_config_selectorIxNS0_10empty_typeEEEZZNS1_29radix_sort_onesweep_iterationIS3_Lb0EN6thrust23THRUST_200600_302600_NS6detail15normal_iteratorINS9_10device_ptrIxEEEESE_PS5_SF_jNS0_19identity_decomposerENS1_16block_id_wrapperIjLb1EEEEE10hipError_tT1_PNSt15iterator_traitsISK_E10value_typeET2_T3_PNSL_ISQ_E10value_typeET4_T5_PSV_SW_PNS1_23onesweep_lookback_stateEbbT6_jjT7_P12ihipStream_tbENKUlT_T0_SK_SP_E_clISE_PxSF_SF_EEDaS13_S14_SK_SP_EUlS13_E_NS1_11comp_targetILNS1_3genE8ELNS1_11target_archE1030ELNS1_3gpuE2ELNS1_3repE0EEENS1_47radix_sort_onesweep_sort_config_static_selectorELNS0_4arch9wavefront6targetE1EEEvSK_
	.p2align	8
	.type	_ZN7rocprim17ROCPRIM_400000_NS6detail17trampoline_kernelINS0_14default_configENS1_35radix_sort_onesweep_config_selectorIxNS0_10empty_typeEEEZZNS1_29radix_sort_onesweep_iterationIS3_Lb0EN6thrust23THRUST_200600_302600_NS6detail15normal_iteratorINS9_10device_ptrIxEEEESE_PS5_SF_jNS0_19identity_decomposerENS1_16block_id_wrapperIjLb1EEEEE10hipError_tT1_PNSt15iterator_traitsISK_E10value_typeET2_T3_PNSL_ISQ_E10value_typeET4_T5_PSV_SW_PNS1_23onesweep_lookback_stateEbbT6_jjT7_P12ihipStream_tbENKUlT_T0_SK_SP_E_clISE_PxSF_SF_EEDaS13_S14_SK_SP_EUlS13_E_NS1_11comp_targetILNS1_3genE8ELNS1_11target_archE1030ELNS1_3gpuE2ELNS1_3repE0EEENS1_47radix_sort_onesweep_sort_config_static_selectorELNS0_4arch9wavefront6targetE1EEEvSK_,@function
_ZN7rocprim17ROCPRIM_400000_NS6detail17trampoline_kernelINS0_14default_configENS1_35radix_sort_onesweep_config_selectorIxNS0_10empty_typeEEEZZNS1_29radix_sort_onesweep_iterationIS3_Lb0EN6thrust23THRUST_200600_302600_NS6detail15normal_iteratorINS9_10device_ptrIxEEEESE_PS5_SF_jNS0_19identity_decomposerENS1_16block_id_wrapperIjLb1EEEEE10hipError_tT1_PNSt15iterator_traitsISK_E10value_typeET2_T3_PNSL_ISQ_E10value_typeET4_T5_PSV_SW_PNS1_23onesweep_lookback_stateEbbT6_jjT7_P12ihipStream_tbENKUlT_T0_SK_SP_E_clISE_PxSF_SF_EEDaS13_S14_SK_SP_EUlS13_E_NS1_11comp_targetILNS1_3genE8ELNS1_11target_archE1030ELNS1_3gpuE2ELNS1_3repE0EEENS1_47radix_sort_onesweep_sort_config_static_selectorELNS0_4arch9wavefront6targetE1EEEvSK_: ; @_ZN7rocprim17ROCPRIM_400000_NS6detail17trampoline_kernelINS0_14default_configENS1_35radix_sort_onesweep_config_selectorIxNS0_10empty_typeEEEZZNS1_29radix_sort_onesweep_iterationIS3_Lb0EN6thrust23THRUST_200600_302600_NS6detail15normal_iteratorINS9_10device_ptrIxEEEESE_PS5_SF_jNS0_19identity_decomposerENS1_16block_id_wrapperIjLb1EEEEE10hipError_tT1_PNSt15iterator_traitsISK_E10value_typeET2_T3_PNSL_ISQ_E10value_typeET4_T5_PSV_SW_PNS1_23onesweep_lookback_stateEbbT6_jjT7_P12ihipStream_tbENKUlT_T0_SK_SP_E_clISE_PxSF_SF_EEDaS13_S14_SK_SP_EUlS13_E_NS1_11comp_targetILNS1_3genE8ELNS1_11target_archE1030ELNS1_3gpuE2ELNS1_3repE0EEENS1_47radix_sort_onesweep_sort_config_static_selectorELNS0_4arch9wavefront6targetE1EEEvSK_
; %bb.0:
	.section	.rodata,"a",@progbits
	.p2align	6, 0x0
	.amdhsa_kernel _ZN7rocprim17ROCPRIM_400000_NS6detail17trampoline_kernelINS0_14default_configENS1_35radix_sort_onesweep_config_selectorIxNS0_10empty_typeEEEZZNS1_29radix_sort_onesweep_iterationIS3_Lb0EN6thrust23THRUST_200600_302600_NS6detail15normal_iteratorINS9_10device_ptrIxEEEESE_PS5_SF_jNS0_19identity_decomposerENS1_16block_id_wrapperIjLb1EEEEE10hipError_tT1_PNSt15iterator_traitsISK_E10value_typeET2_T3_PNSL_ISQ_E10value_typeET4_T5_PSV_SW_PNS1_23onesweep_lookback_stateEbbT6_jjT7_P12ihipStream_tbENKUlT_T0_SK_SP_E_clISE_PxSF_SF_EEDaS13_S14_SK_SP_EUlS13_E_NS1_11comp_targetILNS1_3genE8ELNS1_11target_archE1030ELNS1_3gpuE2ELNS1_3repE0EEENS1_47radix_sort_onesweep_sort_config_static_selectorELNS0_4arch9wavefront6targetE1EEEvSK_
		.amdhsa_group_segment_fixed_size 0
		.amdhsa_private_segment_fixed_size 0
		.amdhsa_kernarg_size 88
		.amdhsa_user_sgpr_count 6
		.amdhsa_user_sgpr_private_segment_buffer 1
		.amdhsa_user_sgpr_dispatch_ptr 0
		.amdhsa_user_sgpr_queue_ptr 0
		.amdhsa_user_sgpr_kernarg_segment_ptr 1
		.amdhsa_user_sgpr_dispatch_id 0
		.amdhsa_user_sgpr_flat_scratch_init 0
		.amdhsa_user_sgpr_kernarg_preload_length 0
		.amdhsa_user_sgpr_kernarg_preload_offset 0
		.amdhsa_user_sgpr_private_segment_size 0
		.amdhsa_uses_dynamic_stack 0
		.amdhsa_system_sgpr_private_segment_wavefront_offset 0
		.amdhsa_system_sgpr_workgroup_id_x 1
		.amdhsa_system_sgpr_workgroup_id_y 0
		.amdhsa_system_sgpr_workgroup_id_z 0
		.amdhsa_system_sgpr_workgroup_info 0
		.amdhsa_system_vgpr_workitem_id 0
		.amdhsa_next_free_vgpr 1
		.amdhsa_next_free_sgpr 0
		.amdhsa_accum_offset 4
		.amdhsa_reserve_vcc 0
		.amdhsa_reserve_flat_scratch 0
		.amdhsa_float_round_mode_32 0
		.amdhsa_float_round_mode_16_64 0
		.amdhsa_float_denorm_mode_32 3
		.amdhsa_float_denorm_mode_16_64 3
		.amdhsa_dx10_clamp 1
		.amdhsa_ieee_mode 1
		.amdhsa_fp16_overflow 0
		.amdhsa_tg_split 0
		.amdhsa_exception_fp_ieee_invalid_op 0
		.amdhsa_exception_fp_denorm_src 0
		.amdhsa_exception_fp_ieee_div_zero 0
		.amdhsa_exception_fp_ieee_overflow 0
		.amdhsa_exception_fp_ieee_underflow 0
		.amdhsa_exception_fp_ieee_inexact 0
		.amdhsa_exception_int_div_zero 0
	.end_amdhsa_kernel
	.section	.text._ZN7rocprim17ROCPRIM_400000_NS6detail17trampoline_kernelINS0_14default_configENS1_35radix_sort_onesweep_config_selectorIxNS0_10empty_typeEEEZZNS1_29radix_sort_onesweep_iterationIS3_Lb0EN6thrust23THRUST_200600_302600_NS6detail15normal_iteratorINS9_10device_ptrIxEEEESE_PS5_SF_jNS0_19identity_decomposerENS1_16block_id_wrapperIjLb1EEEEE10hipError_tT1_PNSt15iterator_traitsISK_E10value_typeET2_T3_PNSL_ISQ_E10value_typeET4_T5_PSV_SW_PNS1_23onesweep_lookback_stateEbbT6_jjT7_P12ihipStream_tbENKUlT_T0_SK_SP_E_clISE_PxSF_SF_EEDaS13_S14_SK_SP_EUlS13_E_NS1_11comp_targetILNS1_3genE8ELNS1_11target_archE1030ELNS1_3gpuE2ELNS1_3repE0EEENS1_47radix_sort_onesweep_sort_config_static_selectorELNS0_4arch9wavefront6targetE1EEEvSK_,"axG",@progbits,_ZN7rocprim17ROCPRIM_400000_NS6detail17trampoline_kernelINS0_14default_configENS1_35radix_sort_onesweep_config_selectorIxNS0_10empty_typeEEEZZNS1_29radix_sort_onesweep_iterationIS3_Lb0EN6thrust23THRUST_200600_302600_NS6detail15normal_iteratorINS9_10device_ptrIxEEEESE_PS5_SF_jNS0_19identity_decomposerENS1_16block_id_wrapperIjLb1EEEEE10hipError_tT1_PNSt15iterator_traitsISK_E10value_typeET2_T3_PNSL_ISQ_E10value_typeET4_T5_PSV_SW_PNS1_23onesweep_lookback_stateEbbT6_jjT7_P12ihipStream_tbENKUlT_T0_SK_SP_E_clISE_PxSF_SF_EEDaS13_S14_SK_SP_EUlS13_E_NS1_11comp_targetILNS1_3genE8ELNS1_11target_archE1030ELNS1_3gpuE2ELNS1_3repE0EEENS1_47radix_sort_onesweep_sort_config_static_selectorELNS0_4arch9wavefront6targetE1EEEvSK_,comdat
.Lfunc_end1559:
	.size	_ZN7rocprim17ROCPRIM_400000_NS6detail17trampoline_kernelINS0_14default_configENS1_35radix_sort_onesweep_config_selectorIxNS0_10empty_typeEEEZZNS1_29radix_sort_onesweep_iterationIS3_Lb0EN6thrust23THRUST_200600_302600_NS6detail15normal_iteratorINS9_10device_ptrIxEEEESE_PS5_SF_jNS0_19identity_decomposerENS1_16block_id_wrapperIjLb1EEEEE10hipError_tT1_PNSt15iterator_traitsISK_E10value_typeET2_T3_PNSL_ISQ_E10value_typeET4_T5_PSV_SW_PNS1_23onesweep_lookback_stateEbbT6_jjT7_P12ihipStream_tbENKUlT_T0_SK_SP_E_clISE_PxSF_SF_EEDaS13_S14_SK_SP_EUlS13_E_NS1_11comp_targetILNS1_3genE8ELNS1_11target_archE1030ELNS1_3gpuE2ELNS1_3repE0EEENS1_47radix_sort_onesweep_sort_config_static_selectorELNS0_4arch9wavefront6targetE1EEEvSK_, .Lfunc_end1559-_ZN7rocprim17ROCPRIM_400000_NS6detail17trampoline_kernelINS0_14default_configENS1_35radix_sort_onesweep_config_selectorIxNS0_10empty_typeEEEZZNS1_29radix_sort_onesweep_iterationIS3_Lb0EN6thrust23THRUST_200600_302600_NS6detail15normal_iteratorINS9_10device_ptrIxEEEESE_PS5_SF_jNS0_19identity_decomposerENS1_16block_id_wrapperIjLb1EEEEE10hipError_tT1_PNSt15iterator_traitsISK_E10value_typeET2_T3_PNSL_ISQ_E10value_typeET4_T5_PSV_SW_PNS1_23onesweep_lookback_stateEbbT6_jjT7_P12ihipStream_tbENKUlT_T0_SK_SP_E_clISE_PxSF_SF_EEDaS13_S14_SK_SP_EUlS13_E_NS1_11comp_targetILNS1_3genE8ELNS1_11target_archE1030ELNS1_3gpuE2ELNS1_3repE0EEENS1_47radix_sort_onesweep_sort_config_static_selectorELNS0_4arch9wavefront6targetE1EEEvSK_
                                        ; -- End function
	.section	.AMDGPU.csdata,"",@progbits
; Kernel info:
; codeLenInByte = 0
; NumSgprs: 4
; NumVgprs: 0
; NumAgprs: 0
; TotalNumVgprs: 0
; ScratchSize: 0
; MemoryBound: 0
; FloatMode: 240
; IeeeMode: 1
; LDSByteSize: 0 bytes/workgroup (compile time only)
; SGPRBlocks: 0
; VGPRBlocks: 0
; NumSGPRsForWavesPerEU: 4
; NumVGPRsForWavesPerEU: 1
; AccumOffset: 4
; Occupancy: 8
; WaveLimiterHint : 0
; COMPUTE_PGM_RSRC2:SCRATCH_EN: 0
; COMPUTE_PGM_RSRC2:USER_SGPR: 6
; COMPUTE_PGM_RSRC2:TRAP_HANDLER: 0
; COMPUTE_PGM_RSRC2:TGID_X_EN: 1
; COMPUTE_PGM_RSRC2:TGID_Y_EN: 0
; COMPUTE_PGM_RSRC2:TGID_Z_EN: 0
; COMPUTE_PGM_RSRC2:TIDIG_COMP_CNT: 0
; COMPUTE_PGM_RSRC3_GFX90A:ACCUM_OFFSET: 0
; COMPUTE_PGM_RSRC3_GFX90A:TG_SPLIT: 0
	.section	.text._ZN7rocprim17ROCPRIM_400000_NS6detail17trampoline_kernelINS0_14default_configENS1_35radix_sort_onesweep_config_selectorIxNS0_10empty_typeEEEZZNS1_29radix_sort_onesweep_iterationIS3_Lb0EN6thrust23THRUST_200600_302600_NS6detail15normal_iteratorINS9_10device_ptrIxEEEESE_PS5_SF_jNS0_19identity_decomposerENS1_16block_id_wrapperIjLb1EEEEE10hipError_tT1_PNSt15iterator_traitsISK_E10value_typeET2_T3_PNSL_ISQ_E10value_typeET4_T5_PSV_SW_PNS1_23onesweep_lookback_stateEbbT6_jjT7_P12ihipStream_tbENKUlT_T0_SK_SP_E_clIPxSE_SF_SF_EEDaS13_S14_SK_SP_EUlS13_E_NS1_11comp_targetILNS1_3genE0ELNS1_11target_archE4294967295ELNS1_3gpuE0ELNS1_3repE0EEENS1_47radix_sort_onesweep_sort_config_static_selectorELNS0_4arch9wavefront6targetE1EEEvSK_,"axG",@progbits,_ZN7rocprim17ROCPRIM_400000_NS6detail17trampoline_kernelINS0_14default_configENS1_35radix_sort_onesweep_config_selectorIxNS0_10empty_typeEEEZZNS1_29radix_sort_onesweep_iterationIS3_Lb0EN6thrust23THRUST_200600_302600_NS6detail15normal_iteratorINS9_10device_ptrIxEEEESE_PS5_SF_jNS0_19identity_decomposerENS1_16block_id_wrapperIjLb1EEEEE10hipError_tT1_PNSt15iterator_traitsISK_E10value_typeET2_T3_PNSL_ISQ_E10value_typeET4_T5_PSV_SW_PNS1_23onesweep_lookback_stateEbbT6_jjT7_P12ihipStream_tbENKUlT_T0_SK_SP_E_clIPxSE_SF_SF_EEDaS13_S14_SK_SP_EUlS13_E_NS1_11comp_targetILNS1_3genE0ELNS1_11target_archE4294967295ELNS1_3gpuE0ELNS1_3repE0EEENS1_47radix_sort_onesweep_sort_config_static_selectorELNS0_4arch9wavefront6targetE1EEEvSK_,comdat
	.protected	_ZN7rocprim17ROCPRIM_400000_NS6detail17trampoline_kernelINS0_14default_configENS1_35radix_sort_onesweep_config_selectorIxNS0_10empty_typeEEEZZNS1_29radix_sort_onesweep_iterationIS3_Lb0EN6thrust23THRUST_200600_302600_NS6detail15normal_iteratorINS9_10device_ptrIxEEEESE_PS5_SF_jNS0_19identity_decomposerENS1_16block_id_wrapperIjLb1EEEEE10hipError_tT1_PNSt15iterator_traitsISK_E10value_typeET2_T3_PNSL_ISQ_E10value_typeET4_T5_PSV_SW_PNS1_23onesweep_lookback_stateEbbT6_jjT7_P12ihipStream_tbENKUlT_T0_SK_SP_E_clIPxSE_SF_SF_EEDaS13_S14_SK_SP_EUlS13_E_NS1_11comp_targetILNS1_3genE0ELNS1_11target_archE4294967295ELNS1_3gpuE0ELNS1_3repE0EEENS1_47radix_sort_onesweep_sort_config_static_selectorELNS0_4arch9wavefront6targetE1EEEvSK_ ; -- Begin function _ZN7rocprim17ROCPRIM_400000_NS6detail17trampoline_kernelINS0_14default_configENS1_35radix_sort_onesweep_config_selectorIxNS0_10empty_typeEEEZZNS1_29radix_sort_onesweep_iterationIS3_Lb0EN6thrust23THRUST_200600_302600_NS6detail15normal_iteratorINS9_10device_ptrIxEEEESE_PS5_SF_jNS0_19identity_decomposerENS1_16block_id_wrapperIjLb1EEEEE10hipError_tT1_PNSt15iterator_traitsISK_E10value_typeET2_T3_PNSL_ISQ_E10value_typeET4_T5_PSV_SW_PNS1_23onesweep_lookback_stateEbbT6_jjT7_P12ihipStream_tbENKUlT_T0_SK_SP_E_clIPxSE_SF_SF_EEDaS13_S14_SK_SP_EUlS13_E_NS1_11comp_targetILNS1_3genE0ELNS1_11target_archE4294967295ELNS1_3gpuE0ELNS1_3repE0EEENS1_47radix_sort_onesweep_sort_config_static_selectorELNS0_4arch9wavefront6targetE1EEEvSK_
	.globl	_ZN7rocprim17ROCPRIM_400000_NS6detail17trampoline_kernelINS0_14default_configENS1_35radix_sort_onesweep_config_selectorIxNS0_10empty_typeEEEZZNS1_29radix_sort_onesweep_iterationIS3_Lb0EN6thrust23THRUST_200600_302600_NS6detail15normal_iteratorINS9_10device_ptrIxEEEESE_PS5_SF_jNS0_19identity_decomposerENS1_16block_id_wrapperIjLb1EEEEE10hipError_tT1_PNSt15iterator_traitsISK_E10value_typeET2_T3_PNSL_ISQ_E10value_typeET4_T5_PSV_SW_PNS1_23onesweep_lookback_stateEbbT6_jjT7_P12ihipStream_tbENKUlT_T0_SK_SP_E_clIPxSE_SF_SF_EEDaS13_S14_SK_SP_EUlS13_E_NS1_11comp_targetILNS1_3genE0ELNS1_11target_archE4294967295ELNS1_3gpuE0ELNS1_3repE0EEENS1_47radix_sort_onesweep_sort_config_static_selectorELNS0_4arch9wavefront6targetE1EEEvSK_
	.p2align	8
	.type	_ZN7rocprim17ROCPRIM_400000_NS6detail17trampoline_kernelINS0_14default_configENS1_35radix_sort_onesweep_config_selectorIxNS0_10empty_typeEEEZZNS1_29radix_sort_onesweep_iterationIS3_Lb0EN6thrust23THRUST_200600_302600_NS6detail15normal_iteratorINS9_10device_ptrIxEEEESE_PS5_SF_jNS0_19identity_decomposerENS1_16block_id_wrapperIjLb1EEEEE10hipError_tT1_PNSt15iterator_traitsISK_E10value_typeET2_T3_PNSL_ISQ_E10value_typeET4_T5_PSV_SW_PNS1_23onesweep_lookback_stateEbbT6_jjT7_P12ihipStream_tbENKUlT_T0_SK_SP_E_clIPxSE_SF_SF_EEDaS13_S14_SK_SP_EUlS13_E_NS1_11comp_targetILNS1_3genE0ELNS1_11target_archE4294967295ELNS1_3gpuE0ELNS1_3repE0EEENS1_47radix_sort_onesweep_sort_config_static_selectorELNS0_4arch9wavefront6targetE1EEEvSK_,@function
_ZN7rocprim17ROCPRIM_400000_NS6detail17trampoline_kernelINS0_14default_configENS1_35radix_sort_onesweep_config_selectorIxNS0_10empty_typeEEEZZNS1_29radix_sort_onesweep_iterationIS3_Lb0EN6thrust23THRUST_200600_302600_NS6detail15normal_iteratorINS9_10device_ptrIxEEEESE_PS5_SF_jNS0_19identity_decomposerENS1_16block_id_wrapperIjLb1EEEEE10hipError_tT1_PNSt15iterator_traitsISK_E10value_typeET2_T3_PNSL_ISQ_E10value_typeET4_T5_PSV_SW_PNS1_23onesweep_lookback_stateEbbT6_jjT7_P12ihipStream_tbENKUlT_T0_SK_SP_E_clIPxSE_SF_SF_EEDaS13_S14_SK_SP_EUlS13_E_NS1_11comp_targetILNS1_3genE0ELNS1_11target_archE4294967295ELNS1_3gpuE0ELNS1_3repE0EEENS1_47radix_sort_onesweep_sort_config_static_selectorELNS0_4arch9wavefront6targetE1EEEvSK_: ; @_ZN7rocprim17ROCPRIM_400000_NS6detail17trampoline_kernelINS0_14default_configENS1_35radix_sort_onesweep_config_selectorIxNS0_10empty_typeEEEZZNS1_29radix_sort_onesweep_iterationIS3_Lb0EN6thrust23THRUST_200600_302600_NS6detail15normal_iteratorINS9_10device_ptrIxEEEESE_PS5_SF_jNS0_19identity_decomposerENS1_16block_id_wrapperIjLb1EEEEE10hipError_tT1_PNSt15iterator_traitsISK_E10value_typeET2_T3_PNSL_ISQ_E10value_typeET4_T5_PSV_SW_PNS1_23onesweep_lookback_stateEbbT6_jjT7_P12ihipStream_tbENKUlT_T0_SK_SP_E_clIPxSE_SF_SF_EEDaS13_S14_SK_SP_EUlS13_E_NS1_11comp_targetILNS1_3genE0ELNS1_11target_archE4294967295ELNS1_3gpuE0ELNS1_3repE0EEENS1_47radix_sort_onesweep_sort_config_static_selectorELNS0_4arch9wavefront6targetE1EEEvSK_
; %bb.0:
	.section	.rodata,"a",@progbits
	.p2align	6, 0x0
	.amdhsa_kernel _ZN7rocprim17ROCPRIM_400000_NS6detail17trampoline_kernelINS0_14default_configENS1_35radix_sort_onesweep_config_selectorIxNS0_10empty_typeEEEZZNS1_29radix_sort_onesweep_iterationIS3_Lb0EN6thrust23THRUST_200600_302600_NS6detail15normal_iteratorINS9_10device_ptrIxEEEESE_PS5_SF_jNS0_19identity_decomposerENS1_16block_id_wrapperIjLb1EEEEE10hipError_tT1_PNSt15iterator_traitsISK_E10value_typeET2_T3_PNSL_ISQ_E10value_typeET4_T5_PSV_SW_PNS1_23onesweep_lookback_stateEbbT6_jjT7_P12ihipStream_tbENKUlT_T0_SK_SP_E_clIPxSE_SF_SF_EEDaS13_S14_SK_SP_EUlS13_E_NS1_11comp_targetILNS1_3genE0ELNS1_11target_archE4294967295ELNS1_3gpuE0ELNS1_3repE0EEENS1_47radix_sort_onesweep_sort_config_static_selectorELNS0_4arch9wavefront6targetE1EEEvSK_
		.amdhsa_group_segment_fixed_size 0
		.amdhsa_private_segment_fixed_size 0
		.amdhsa_kernarg_size 88
		.amdhsa_user_sgpr_count 6
		.amdhsa_user_sgpr_private_segment_buffer 1
		.amdhsa_user_sgpr_dispatch_ptr 0
		.amdhsa_user_sgpr_queue_ptr 0
		.amdhsa_user_sgpr_kernarg_segment_ptr 1
		.amdhsa_user_sgpr_dispatch_id 0
		.amdhsa_user_sgpr_flat_scratch_init 0
		.amdhsa_user_sgpr_kernarg_preload_length 0
		.amdhsa_user_sgpr_kernarg_preload_offset 0
		.amdhsa_user_sgpr_private_segment_size 0
		.amdhsa_uses_dynamic_stack 0
		.amdhsa_system_sgpr_private_segment_wavefront_offset 0
		.amdhsa_system_sgpr_workgroup_id_x 1
		.amdhsa_system_sgpr_workgroup_id_y 0
		.amdhsa_system_sgpr_workgroup_id_z 0
		.amdhsa_system_sgpr_workgroup_info 0
		.amdhsa_system_vgpr_workitem_id 0
		.amdhsa_next_free_vgpr 1
		.amdhsa_next_free_sgpr 0
		.amdhsa_accum_offset 4
		.amdhsa_reserve_vcc 0
		.amdhsa_reserve_flat_scratch 0
		.amdhsa_float_round_mode_32 0
		.amdhsa_float_round_mode_16_64 0
		.amdhsa_float_denorm_mode_32 3
		.amdhsa_float_denorm_mode_16_64 3
		.amdhsa_dx10_clamp 1
		.amdhsa_ieee_mode 1
		.amdhsa_fp16_overflow 0
		.amdhsa_tg_split 0
		.amdhsa_exception_fp_ieee_invalid_op 0
		.amdhsa_exception_fp_denorm_src 0
		.amdhsa_exception_fp_ieee_div_zero 0
		.amdhsa_exception_fp_ieee_overflow 0
		.amdhsa_exception_fp_ieee_underflow 0
		.amdhsa_exception_fp_ieee_inexact 0
		.amdhsa_exception_int_div_zero 0
	.end_amdhsa_kernel
	.section	.text._ZN7rocprim17ROCPRIM_400000_NS6detail17trampoline_kernelINS0_14default_configENS1_35radix_sort_onesweep_config_selectorIxNS0_10empty_typeEEEZZNS1_29radix_sort_onesweep_iterationIS3_Lb0EN6thrust23THRUST_200600_302600_NS6detail15normal_iteratorINS9_10device_ptrIxEEEESE_PS5_SF_jNS0_19identity_decomposerENS1_16block_id_wrapperIjLb1EEEEE10hipError_tT1_PNSt15iterator_traitsISK_E10value_typeET2_T3_PNSL_ISQ_E10value_typeET4_T5_PSV_SW_PNS1_23onesweep_lookback_stateEbbT6_jjT7_P12ihipStream_tbENKUlT_T0_SK_SP_E_clIPxSE_SF_SF_EEDaS13_S14_SK_SP_EUlS13_E_NS1_11comp_targetILNS1_3genE0ELNS1_11target_archE4294967295ELNS1_3gpuE0ELNS1_3repE0EEENS1_47radix_sort_onesweep_sort_config_static_selectorELNS0_4arch9wavefront6targetE1EEEvSK_,"axG",@progbits,_ZN7rocprim17ROCPRIM_400000_NS6detail17trampoline_kernelINS0_14default_configENS1_35radix_sort_onesweep_config_selectorIxNS0_10empty_typeEEEZZNS1_29radix_sort_onesweep_iterationIS3_Lb0EN6thrust23THRUST_200600_302600_NS6detail15normal_iteratorINS9_10device_ptrIxEEEESE_PS5_SF_jNS0_19identity_decomposerENS1_16block_id_wrapperIjLb1EEEEE10hipError_tT1_PNSt15iterator_traitsISK_E10value_typeET2_T3_PNSL_ISQ_E10value_typeET4_T5_PSV_SW_PNS1_23onesweep_lookback_stateEbbT6_jjT7_P12ihipStream_tbENKUlT_T0_SK_SP_E_clIPxSE_SF_SF_EEDaS13_S14_SK_SP_EUlS13_E_NS1_11comp_targetILNS1_3genE0ELNS1_11target_archE4294967295ELNS1_3gpuE0ELNS1_3repE0EEENS1_47radix_sort_onesweep_sort_config_static_selectorELNS0_4arch9wavefront6targetE1EEEvSK_,comdat
.Lfunc_end1560:
	.size	_ZN7rocprim17ROCPRIM_400000_NS6detail17trampoline_kernelINS0_14default_configENS1_35radix_sort_onesweep_config_selectorIxNS0_10empty_typeEEEZZNS1_29radix_sort_onesweep_iterationIS3_Lb0EN6thrust23THRUST_200600_302600_NS6detail15normal_iteratorINS9_10device_ptrIxEEEESE_PS5_SF_jNS0_19identity_decomposerENS1_16block_id_wrapperIjLb1EEEEE10hipError_tT1_PNSt15iterator_traitsISK_E10value_typeET2_T3_PNSL_ISQ_E10value_typeET4_T5_PSV_SW_PNS1_23onesweep_lookback_stateEbbT6_jjT7_P12ihipStream_tbENKUlT_T0_SK_SP_E_clIPxSE_SF_SF_EEDaS13_S14_SK_SP_EUlS13_E_NS1_11comp_targetILNS1_3genE0ELNS1_11target_archE4294967295ELNS1_3gpuE0ELNS1_3repE0EEENS1_47radix_sort_onesweep_sort_config_static_selectorELNS0_4arch9wavefront6targetE1EEEvSK_, .Lfunc_end1560-_ZN7rocprim17ROCPRIM_400000_NS6detail17trampoline_kernelINS0_14default_configENS1_35radix_sort_onesweep_config_selectorIxNS0_10empty_typeEEEZZNS1_29radix_sort_onesweep_iterationIS3_Lb0EN6thrust23THRUST_200600_302600_NS6detail15normal_iteratorINS9_10device_ptrIxEEEESE_PS5_SF_jNS0_19identity_decomposerENS1_16block_id_wrapperIjLb1EEEEE10hipError_tT1_PNSt15iterator_traitsISK_E10value_typeET2_T3_PNSL_ISQ_E10value_typeET4_T5_PSV_SW_PNS1_23onesweep_lookback_stateEbbT6_jjT7_P12ihipStream_tbENKUlT_T0_SK_SP_E_clIPxSE_SF_SF_EEDaS13_S14_SK_SP_EUlS13_E_NS1_11comp_targetILNS1_3genE0ELNS1_11target_archE4294967295ELNS1_3gpuE0ELNS1_3repE0EEENS1_47radix_sort_onesweep_sort_config_static_selectorELNS0_4arch9wavefront6targetE1EEEvSK_
                                        ; -- End function
	.section	.AMDGPU.csdata,"",@progbits
; Kernel info:
; codeLenInByte = 0
; NumSgprs: 4
; NumVgprs: 0
; NumAgprs: 0
; TotalNumVgprs: 0
; ScratchSize: 0
; MemoryBound: 0
; FloatMode: 240
; IeeeMode: 1
; LDSByteSize: 0 bytes/workgroup (compile time only)
; SGPRBlocks: 0
; VGPRBlocks: 0
; NumSGPRsForWavesPerEU: 4
; NumVGPRsForWavesPerEU: 1
; AccumOffset: 4
; Occupancy: 8
; WaveLimiterHint : 0
; COMPUTE_PGM_RSRC2:SCRATCH_EN: 0
; COMPUTE_PGM_RSRC2:USER_SGPR: 6
; COMPUTE_PGM_RSRC2:TRAP_HANDLER: 0
; COMPUTE_PGM_RSRC2:TGID_X_EN: 1
; COMPUTE_PGM_RSRC2:TGID_Y_EN: 0
; COMPUTE_PGM_RSRC2:TGID_Z_EN: 0
; COMPUTE_PGM_RSRC2:TIDIG_COMP_CNT: 0
; COMPUTE_PGM_RSRC3_GFX90A:ACCUM_OFFSET: 0
; COMPUTE_PGM_RSRC3_GFX90A:TG_SPLIT: 0
	.section	.text._ZN7rocprim17ROCPRIM_400000_NS6detail17trampoline_kernelINS0_14default_configENS1_35radix_sort_onesweep_config_selectorIxNS0_10empty_typeEEEZZNS1_29radix_sort_onesweep_iterationIS3_Lb0EN6thrust23THRUST_200600_302600_NS6detail15normal_iteratorINS9_10device_ptrIxEEEESE_PS5_SF_jNS0_19identity_decomposerENS1_16block_id_wrapperIjLb1EEEEE10hipError_tT1_PNSt15iterator_traitsISK_E10value_typeET2_T3_PNSL_ISQ_E10value_typeET4_T5_PSV_SW_PNS1_23onesweep_lookback_stateEbbT6_jjT7_P12ihipStream_tbENKUlT_T0_SK_SP_E_clIPxSE_SF_SF_EEDaS13_S14_SK_SP_EUlS13_E_NS1_11comp_targetILNS1_3genE6ELNS1_11target_archE950ELNS1_3gpuE13ELNS1_3repE0EEENS1_47radix_sort_onesweep_sort_config_static_selectorELNS0_4arch9wavefront6targetE1EEEvSK_,"axG",@progbits,_ZN7rocprim17ROCPRIM_400000_NS6detail17trampoline_kernelINS0_14default_configENS1_35radix_sort_onesweep_config_selectorIxNS0_10empty_typeEEEZZNS1_29radix_sort_onesweep_iterationIS3_Lb0EN6thrust23THRUST_200600_302600_NS6detail15normal_iteratorINS9_10device_ptrIxEEEESE_PS5_SF_jNS0_19identity_decomposerENS1_16block_id_wrapperIjLb1EEEEE10hipError_tT1_PNSt15iterator_traitsISK_E10value_typeET2_T3_PNSL_ISQ_E10value_typeET4_T5_PSV_SW_PNS1_23onesweep_lookback_stateEbbT6_jjT7_P12ihipStream_tbENKUlT_T0_SK_SP_E_clIPxSE_SF_SF_EEDaS13_S14_SK_SP_EUlS13_E_NS1_11comp_targetILNS1_3genE6ELNS1_11target_archE950ELNS1_3gpuE13ELNS1_3repE0EEENS1_47radix_sort_onesweep_sort_config_static_selectorELNS0_4arch9wavefront6targetE1EEEvSK_,comdat
	.protected	_ZN7rocprim17ROCPRIM_400000_NS6detail17trampoline_kernelINS0_14default_configENS1_35radix_sort_onesweep_config_selectorIxNS0_10empty_typeEEEZZNS1_29radix_sort_onesweep_iterationIS3_Lb0EN6thrust23THRUST_200600_302600_NS6detail15normal_iteratorINS9_10device_ptrIxEEEESE_PS5_SF_jNS0_19identity_decomposerENS1_16block_id_wrapperIjLb1EEEEE10hipError_tT1_PNSt15iterator_traitsISK_E10value_typeET2_T3_PNSL_ISQ_E10value_typeET4_T5_PSV_SW_PNS1_23onesweep_lookback_stateEbbT6_jjT7_P12ihipStream_tbENKUlT_T0_SK_SP_E_clIPxSE_SF_SF_EEDaS13_S14_SK_SP_EUlS13_E_NS1_11comp_targetILNS1_3genE6ELNS1_11target_archE950ELNS1_3gpuE13ELNS1_3repE0EEENS1_47radix_sort_onesweep_sort_config_static_selectorELNS0_4arch9wavefront6targetE1EEEvSK_ ; -- Begin function _ZN7rocprim17ROCPRIM_400000_NS6detail17trampoline_kernelINS0_14default_configENS1_35radix_sort_onesweep_config_selectorIxNS0_10empty_typeEEEZZNS1_29radix_sort_onesweep_iterationIS3_Lb0EN6thrust23THRUST_200600_302600_NS6detail15normal_iteratorINS9_10device_ptrIxEEEESE_PS5_SF_jNS0_19identity_decomposerENS1_16block_id_wrapperIjLb1EEEEE10hipError_tT1_PNSt15iterator_traitsISK_E10value_typeET2_T3_PNSL_ISQ_E10value_typeET4_T5_PSV_SW_PNS1_23onesweep_lookback_stateEbbT6_jjT7_P12ihipStream_tbENKUlT_T0_SK_SP_E_clIPxSE_SF_SF_EEDaS13_S14_SK_SP_EUlS13_E_NS1_11comp_targetILNS1_3genE6ELNS1_11target_archE950ELNS1_3gpuE13ELNS1_3repE0EEENS1_47radix_sort_onesweep_sort_config_static_selectorELNS0_4arch9wavefront6targetE1EEEvSK_
	.globl	_ZN7rocprim17ROCPRIM_400000_NS6detail17trampoline_kernelINS0_14default_configENS1_35radix_sort_onesweep_config_selectorIxNS0_10empty_typeEEEZZNS1_29radix_sort_onesweep_iterationIS3_Lb0EN6thrust23THRUST_200600_302600_NS6detail15normal_iteratorINS9_10device_ptrIxEEEESE_PS5_SF_jNS0_19identity_decomposerENS1_16block_id_wrapperIjLb1EEEEE10hipError_tT1_PNSt15iterator_traitsISK_E10value_typeET2_T3_PNSL_ISQ_E10value_typeET4_T5_PSV_SW_PNS1_23onesweep_lookback_stateEbbT6_jjT7_P12ihipStream_tbENKUlT_T0_SK_SP_E_clIPxSE_SF_SF_EEDaS13_S14_SK_SP_EUlS13_E_NS1_11comp_targetILNS1_3genE6ELNS1_11target_archE950ELNS1_3gpuE13ELNS1_3repE0EEENS1_47radix_sort_onesweep_sort_config_static_selectorELNS0_4arch9wavefront6targetE1EEEvSK_
	.p2align	8
	.type	_ZN7rocprim17ROCPRIM_400000_NS6detail17trampoline_kernelINS0_14default_configENS1_35radix_sort_onesweep_config_selectorIxNS0_10empty_typeEEEZZNS1_29radix_sort_onesweep_iterationIS3_Lb0EN6thrust23THRUST_200600_302600_NS6detail15normal_iteratorINS9_10device_ptrIxEEEESE_PS5_SF_jNS0_19identity_decomposerENS1_16block_id_wrapperIjLb1EEEEE10hipError_tT1_PNSt15iterator_traitsISK_E10value_typeET2_T3_PNSL_ISQ_E10value_typeET4_T5_PSV_SW_PNS1_23onesweep_lookback_stateEbbT6_jjT7_P12ihipStream_tbENKUlT_T0_SK_SP_E_clIPxSE_SF_SF_EEDaS13_S14_SK_SP_EUlS13_E_NS1_11comp_targetILNS1_3genE6ELNS1_11target_archE950ELNS1_3gpuE13ELNS1_3repE0EEENS1_47radix_sort_onesweep_sort_config_static_selectorELNS0_4arch9wavefront6targetE1EEEvSK_,@function
_ZN7rocprim17ROCPRIM_400000_NS6detail17trampoline_kernelINS0_14default_configENS1_35radix_sort_onesweep_config_selectorIxNS0_10empty_typeEEEZZNS1_29radix_sort_onesweep_iterationIS3_Lb0EN6thrust23THRUST_200600_302600_NS6detail15normal_iteratorINS9_10device_ptrIxEEEESE_PS5_SF_jNS0_19identity_decomposerENS1_16block_id_wrapperIjLb1EEEEE10hipError_tT1_PNSt15iterator_traitsISK_E10value_typeET2_T3_PNSL_ISQ_E10value_typeET4_T5_PSV_SW_PNS1_23onesweep_lookback_stateEbbT6_jjT7_P12ihipStream_tbENKUlT_T0_SK_SP_E_clIPxSE_SF_SF_EEDaS13_S14_SK_SP_EUlS13_E_NS1_11comp_targetILNS1_3genE6ELNS1_11target_archE950ELNS1_3gpuE13ELNS1_3repE0EEENS1_47radix_sort_onesweep_sort_config_static_selectorELNS0_4arch9wavefront6targetE1EEEvSK_: ; @_ZN7rocprim17ROCPRIM_400000_NS6detail17trampoline_kernelINS0_14default_configENS1_35radix_sort_onesweep_config_selectorIxNS0_10empty_typeEEEZZNS1_29radix_sort_onesweep_iterationIS3_Lb0EN6thrust23THRUST_200600_302600_NS6detail15normal_iteratorINS9_10device_ptrIxEEEESE_PS5_SF_jNS0_19identity_decomposerENS1_16block_id_wrapperIjLb1EEEEE10hipError_tT1_PNSt15iterator_traitsISK_E10value_typeET2_T3_PNSL_ISQ_E10value_typeET4_T5_PSV_SW_PNS1_23onesweep_lookback_stateEbbT6_jjT7_P12ihipStream_tbENKUlT_T0_SK_SP_E_clIPxSE_SF_SF_EEDaS13_S14_SK_SP_EUlS13_E_NS1_11comp_targetILNS1_3genE6ELNS1_11target_archE950ELNS1_3gpuE13ELNS1_3repE0EEENS1_47radix_sort_onesweep_sort_config_static_selectorELNS0_4arch9wavefront6targetE1EEEvSK_
; %bb.0:
	.section	.rodata,"a",@progbits
	.p2align	6, 0x0
	.amdhsa_kernel _ZN7rocprim17ROCPRIM_400000_NS6detail17trampoline_kernelINS0_14default_configENS1_35radix_sort_onesweep_config_selectorIxNS0_10empty_typeEEEZZNS1_29radix_sort_onesweep_iterationIS3_Lb0EN6thrust23THRUST_200600_302600_NS6detail15normal_iteratorINS9_10device_ptrIxEEEESE_PS5_SF_jNS0_19identity_decomposerENS1_16block_id_wrapperIjLb1EEEEE10hipError_tT1_PNSt15iterator_traitsISK_E10value_typeET2_T3_PNSL_ISQ_E10value_typeET4_T5_PSV_SW_PNS1_23onesweep_lookback_stateEbbT6_jjT7_P12ihipStream_tbENKUlT_T0_SK_SP_E_clIPxSE_SF_SF_EEDaS13_S14_SK_SP_EUlS13_E_NS1_11comp_targetILNS1_3genE6ELNS1_11target_archE950ELNS1_3gpuE13ELNS1_3repE0EEENS1_47radix_sort_onesweep_sort_config_static_selectorELNS0_4arch9wavefront6targetE1EEEvSK_
		.amdhsa_group_segment_fixed_size 0
		.amdhsa_private_segment_fixed_size 0
		.amdhsa_kernarg_size 88
		.amdhsa_user_sgpr_count 6
		.amdhsa_user_sgpr_private_segment_buffer 1
		.amdhsa_user_sgpr_dispatch_ptr 0
		.amdhsa_user_sgpr_queue_ptr 0
		.amdhsa_user_sgpr_kernarg_segment_ptr 1
		.amdhsa_user_sgpr_dispatch_id 0
		.amdhsa_user_sgpr_flat_scratch_init 0
		.amdhsa_user_sgpr_kernarg_preload_length 0
		.amdhsa_user_sgpr_kernarg_preload_offset 0
		.amdhsa_user_sgpr_private_segment_size 0
		.amdhsa_uses_dynamic_stack 0
		.amdhsa_system_sgpr_private_segment_wavefront_offset 0
		.amdhsa_system_sgpr_workgroup_id_x 1
		.amdhsa_system_sgpr_workgroup_id_y 0
		.amdhsa_system_sgpr_workgroup_id_z 0
		.amdhsa_system_sgpr_workgroup_info 0
		.amdhsa_system_vgpr_workitem_id 0
		.amdhsa_next_free_vgpr 1
		.amdhsa_next_free_sgpr 0
		.amdhsa_accum_offset 4
		.amdhsa_reserve_vcc 0
		.amdhsa_reserve_flat_scratch 0
		.amdhsa_float_round_mode_32 0
		.amdhsa_float_round_mode_16_64 0
		.amdhsa_float_denorm_mode_32 3
		.amdhsa_float_denorm_mode_16_64 3
		.amdhsa_dx10_clamp 1
		.amdhsa_ieee_mode 1
		.amdhsa_fp16_overflow 0
		.amdhsa_tg_split 0
		.amdhsa_exception_fp_ieee_invalid_op 0
		.amdhsa_exception_fp_denorm_src 0
		.amdhsa_exception_fp_ieee_div_zero 0
		.amdhsa_exception_fp_ieee_overflow 0
		.amdhsa_exception_fp_ieee_underflow 0
		.amdhsa_exception_fp_ieee_inexact 0
		.amdhsa_exception_int_div_zero 0
	.end_amdhsa_kernel
	.section	.text._ZN7rocprim17ROCPRIM_400000_NS6detail17trampoline_kernelINS0_14default_configENS1_35radix_sort_onesweep_config_selectorIxNS0_10empty_typeEEEZZNS1_29radix_sort_onesweep_iterationIS3_Lb0EN6thrust23THRUST_200600_302600_NS6detail15normal_iteratorINS9_10device_ptrIxEEEESE_PS5_SF_jNS0_19identity_decomposerENS1_16block_id_wrapperIjLb1EEEEE10hipError_tT1_PNSt15iterator_traitsISK_E10value_typeET2_T3_PNSL_ISQ_E10value_typeET4_T5_PSV_SW_PNS1_23onesweep_lookback_stateEbbT6_jjT7_P12ihipStream_tbENKUlT_T0_SK_SP_E_clIPxSE_SF_SF_EEDaS13_S14_SK_SP_EUlS13_E_NS1_11comp_targetILNS1_3genE6ELNS1_11target_archE950ELNS1_3gpuE13ELNS1_3repE0EEENS1_47radix_sort_onesweep_sort_config_static_selectorELNS0_4arch9wavefront6targetE1EEEvSK_,"axG",@progbits,_ZN7rocprim17ROCPRIM_400000_NS6detail17trampoline_kernelINS0_14default_configENS1_35radix_sort_onesweep_config_selectorIxNS0_10empty_typeEEEZZNS1_29radix_sort_onesweep_iterationIS3_Lb0EN6thrust23THRUST_200600_302600_NS6detail15normal_iteratorINS9_10device_ptrIxEEEESE_PS5_SF_jNS0_19identity_decomposerENS1_16block_id_wrapperIjLb1EEEEE10hipError_tT1_PNSt15iterator_traitsISK_E10value_typeET2_T3_PNSL_ISQ_E10value_typeET4_T5_PSV_SW_PNS1_23onesweep_lookback_stateEbbT6_jjT7_P12ihipStream_tbENKUlT_T0_SK_SP_E_clIPxSE_SF_SF_EEDaS13_S14_SK_SP_EUlS13_E_NS1_11comp_targetILNS1_3genE6ELNS1_11target_archE950ELNS1_3gpuE13ELNS1_3repE0EEENS1_47radix_sort_onesweep_sort_config_static_selectorELNS0_4arch9wavefront6targetE1EEEvSK_,comdat
.Lfunc_end1561:
	.size	_ZN7rocprim17ROCPRIM_400000_NS6detail17trampoline_kernelINS0_14default_configENS1_35radix_sort_onesweep_config_selectorIxNS0_10empty_typeEEEZZNS1_29radix_sort_onesweep_iterationIS3_Lb0EN6thrust23THRUST_200600_302600_NS6detail15normal_iteratorINS9_10device_ptrIxEEEESE_PS5_SF_jNS0_19identity_decomposerENS1_16block_id_wrapperIjLb1EEEEE10hipError_tT1_PNSt15iterator_traitsISK_E10value_typeET2_T3_PNSL_ISQ_E10value_typeET4_T5_PSV_SW_PNS1_23onesweep_lookback_stateEbbT6_jjT7_P12ihipStream_tbENKUlT_T0_SK_SP_E_clIPxSE_SF_SF_EEDaS13_S14_SK_SP_EUlS13_E_NS1_11comp_targetILNS1_3genE6ELNS1_11target_archE950ELNS1_3gpuE13ELNS1_3repE0EEENS1_47radix_sort_onesweep_sort_config_static_selectorELNS0_4arch9wavefront6targetE1EEEvSK_, .Lfunc_end1561-_ZN7rocprim17ROCPRIM_400000_NS6detail17trampoline_kernelINS0_14default_configENS1_35radix_sort_onesweep_config_selectorIxNS0_10empty_typeEEEZZNS1_29radix_sort_onesweep_iterationIS3_Lb0EN6thrust23THRUST_200600_302600_NS6detail15normal_iteratorINS9_10device_ptrIxEEEESE_PS5_SF_jNS0_19identity_decomposerENS1_16block_id_wrapperIjLb1EEEEE10hipError_tT1_PNSt15iterator_traitsISK_E10value_typeET2_T3_PNSL_ISQ_E10value_typeET4_T5_PSV_SW_PNS1_23onesweep_lookback_stateEbbT6_jjT7_P12ihipStream_tbENKUlT_T0_SK_SP_E_clIPxSE_SF_SF_EEDaS13_S14_SK_SP_EUlS13_E_NS1_11comp_targetILNS1_3genE6ELNS1_11target_archE950ELNS1_3gpuE13ELNS1_3repE0EEENS1_47radix_sort_onesweep_sort_config_static_selectorELNS0_4arch9wavefront6targetE1EEEvSK_
                                        ; -- End function
	.section	.AMDGPU.csdata,"",@progbits
; Kernel info:
; codeLenInByte = 0
; NumSgprs: 4
; NumVgprs: 0
; NumAgprs: 0
; TotalNumVgprs: 0
; ScratchSize: 0
; MemoryBound: 0
; FloatMode: 240
; IeeeMode: 1
; LDSByteSize: 0 bytes/workgroup (compile time only)
; SGPRBlocks: 0
; VGPRBlocks: 0
; NumSGPRsForWavesPerEU: 4
; NumVGPRsForWavesPerEU: 1
; AccumOffset: 4
; Occupancy: 8
; WaveLimiterHint : 0
; COMPUTE_PGM_RSRC2:SCRATCH_EN: 0
; COMPUTE_PGM_RSRC2:USER_SGPR: 6
; COMPUTE_PGM_RSRC2:TRAP_HANDLER: 0
; COMPUTE_PGM_RSRC2:TGID_X_EN: 1
; COMPUTE_PGM_RSRC2:TGID_Y_EN: 0
; COMPUTE_PGM_RSRC2:TGID_Z_EN: 0
; COMPUTE_PGM_RSRC2:TIDIG_COMP_CNT: 0
; COMPUTE_PGM_RSRC3_GFX90A:ACCUM_OFFSET: 0
; COMPUTE_PGM_RSRC3_GFX90A:TG_SPLIT: 0
	.section	.text._ZN7rocprim17ROCPRIM_400000_NS6detail17trampoline_kernelINS0_14default_configENS1_35radix_sort_onesweep_config_selectorIxNS0_10empty_typeEEEZZNS1_29radix_sort_onesweep_iterationIS3_Lb0EN6thrust23THRUST_200600_302600_NS6detail15normal_iteratorINS9_10device_ptrIxEEEESE_PS5_SF_jNS0_19identity_decomposerENS1_16block_id_wrapperIjLb1EEEEE10hipError_tT1_PNSt15iterator_traitsISK_E10value_typeET2_T3_PNSL_ISQ_E10value_typeET4_T5_PSV_SW_PNS1_23onesweep_lookback_stateEbbT6_jjT7_P12ihipStream_tbENKUlT_T0_SK_SP_E_clIPxSE_SF_SF_EEDaS13_S14_SK_SP_EUlS13_E_NS1_11comp_targetILNS1_3genE5ELNS1_11target_archE942ELNS1_3gpuE9ELNS1_3repE0EEENS1_47radix_sort_onesweep_sort_config_static_selectorELNS0_4arch9wavefront6targetE1EEEvSK_,"axG",@progbits,_ZN7rocprim17ROCPRIM_400000_NS6detail17trampoline_kernelINS0_14default_configENS1_35radix_sort_onesweep_config_selectorIxNS0_10empty_typeEEEZZNS1_29radix_sort_onesweep_iterationIS3_Lb0EN6thrust23THRUST_200600_302600_NS6detail15normal_iteratorINS9_10device_ptrIxEEEESE_PS5_SF_jNS0_19identity_decomposerENS1_16block_id_wrapperIjLb1EEEEE10hipError_tT1_PNSt15iterator_traitsISK_E10value_typeET2_T3_PNSL_ISQ_E10value_typeET4_T5_PSV_SW_PNS1_23onesweep_lookback_stateEbbT6_jjT7_P12ihipStream_tbENKUlT_T0_SK_SP_E_clIPxSE_SF_SF_EEDaS13_S14_SK_SP_EUlS13_E_NS1_11comp_targetILNS1_3genE5ELNS1_11target_archE942ELNS1_3gpuE9ELNS1_3repE0EEENS1_47radix_sort_onesweep_sort_config_static_selectorELNS0_4arch9wavefront6targetE1EEEvSK_,comdat
	.protected	_ZN7rocprim17ROCPRIM_400000_NS6detail17trampoline_kernelINS0_14default_configENS1_35radix_sort_onesweep_config_selectorIxNS0_10empty_typeEEEZZNS1_29radix_sort_onesweep_iterationIS3_Lb0EN6thrust23THRUST_200600_302600_NS6detail15normal_iteratorINS9_10device_ptrIxEEEESE_PS5_SF_jNS0_19identity_decomposerENS1_16block_id_wrapperIjLb1EEEEE10hipError_tT1_PNSt15iterator_traitsISK_E10value_typeET2_T3_PNSL_ISQ_E10value_typeET4_T5_PSV_SW_PNS1_23onesweep_lookback_stateEbbT6_jjT7_P12ihipStream_tbENKUlT_T0_SK_SP_E_clIPxSE_SF_SF_EEDaS13_S14_SK_SP_EUlS13_E_NS1_11comp_targetILNS1_3genE5ELNS1_11target_archE942ELNS1_3gpuE9ELNS1_3repE0EEENS1_47radix_sort_onesweep_sort_config_static_selectorELNS0_4arch9wavefront6targetE1EEEvSK_ ; -- Begin function _ZN7rocprim17ROCPRIM_400000_NS6detail17trampoline_kernelINS0_14default_configENS1_35radix_sort_onesweep_config_selectorIxNS0_10empty_typeEEEZZNS1_29radix_sort_onesweep_iterationIS3_Lb0EN6thrust23THRUST_200600_302600_NS6detail15normal_iteratorINS9_10device_ptrIxEEEESE_PS5_SF_jNS0_19identity_decomposerENS1_16block_id_wrapperIjLb1EEEEE10hipError_tT1_PNSt15iterator_traitsISK_E10value_typeET2_T3_PNSL_ISQ_E10value_typeET4_T5_PSV_SW_PNS1_23onesweep_lookback_stateEbbT6_jjT7_P12ihipStream_tbENKUlT_T0_SK_SP_E_clIPxSE_SF_SF_EEDaS13_S14_SK_SP_EUlS13_E_NS1_11comp_targetILNS1_3genE5ELNS1_11target_archE942ELNS1_3gpuE9ELNS1_3repE0EEENS1_47radix_sort_onesweep_sort_config_static_selectorELNS0_4arch9wavefront6targetE1EEEvSK_
	.globl	_ZN7rocprim17ROCPRIM_400000_NS6detail17trampoline_kernelINS0_14default_configENS1_35radix_sort_onesweep_config_selectorIxNS0_10empty_typeEEEZZNS1_29radix_sort_onesweep_iterationIS3_Lb0EN6thrust23THRUST_200600_302600_NS6detail15normal_iteratorINS9_10device_ptrIxEEEESE_PS5_SF_jNS0_19identity_decomposerENS1_16block_id_wrapperIjLb1EEEEE10hipError_tT1_PNSt15iterator_traitsISK_E10value_typeET2_T3_PNSL_ISQ_E10value_typeET4_T5_PSV_SW_PNS1_23onesweep_lookback_stateEbbT6_jjT7_P12ihipStream_tbENKUlT_T0_SK_SP_E_clIPxSE_SF_SF_EEDaS13_S14_SK_SP_EUlS13_E_NS1_11comp_targetILNS1_3genE5ELNS1_11target_archE942ELNS1_3gpuE9ELNS1_3repE0EEENS1_47radix_sort_onesweep_sort_config_static_selectorELNS0_4arch9wavefront6targetE1EEEvSK_
	.p2align	8
	.type	_ZN7rocprim17ROCPRIM_400000_NS6detail17trampoline_kernelINS0_14default_configENS1_35radix_sort_onesweep_config_selectorIxNS0_10empty_typeEEEZZNS1_29radix_sort_onesweep_iterationIS3_Lb0EN6thrust23THRUST_200600_302600_NS6detail15normal_iteratorINS9_10device_ptrIxEEEESE_PS5_SF_jNS0_19identity_decomposerENS1_16block_id_wrapperIjLb1EEEEE10hipError_tT1_PNSt15iterator_traitsISK_E10value_typeET2_T3_PNSL_ISQ_E10value_typeET4_T5_PSV_SW_PNS1_23onesweep_lookback_stateEbbT6_jjT7_P12ihipStream_tbENKUlT_T0_SK_SP_E_clIPxSE_SF_SF_EEDaS13_S14_SK_SP_EUlS13_E_NS1_11comp_targetILNS1_3genE5ELNS1_11target_archE942ELNS1_3gpuE9ELNS1_3repE0EEENS1_47radix_sort_onesweep_sort_config_static_selectorELNS0_4arch9wavefront6targetE1EEEvSK_,@function
_ZN7rocprim17ROCPRIM_400000_NS6detail17trampoline_kernelINS0_14default_configENS1_35radix_sort_onesweep_config_selectorIxNS0_10empty_typeEEEZZNS1_29radix_sort_onesweep_iterationIS3_Lb0EN6thrust23THRUST_200600_302600_NS6detail15normal_iteratorINS9_10device_ptrIxEEEESE_PS5_SF_jNS0_19identity_decomposerENS1_16block_id_wrapperIjLb1EEEEE10hipError_tT1_PNSt15iterator_traitsISK_E10value_typeET2_T3_PNSL_ISQ_E10value_typeET4_T5_PSV_SW_PNS1_23onesweep_lookback_stateEbbT6_jjT7_P12ihipStream_tbENKUlT_T0_SK_SP_E_clIPxSE_SF_SF_EEDaS13_S14_SK_SP_EUlS13_E_NS1_11comp_targetILNS1_3genE5ELNS1_11target_archE942ELNS1_3gpuE9ELNS1_3repE0EEENS1_47radix_sort_onesweep_sort_config_static_selectorELNS0_4arch9wavefront6targetE1EEEvSK_: ; @_ZN7rocprim17ROCPRIM_400000_NS6detail17trampoline_kernelINS0_14default_configENS1_35radix_sort_onesweep_config_selectorIxNS0_10empty_typeEEEZZNS1_29radix_sort_onesweep_iterationIS3_Lb0EN6thrust23THRUST_200600_302600_NS6detail15normal_iteratorINS9_10device_ptrIxEEEESE_PS5_SF_jNS0_19identity_decomposerENS1_16block_id_wrapperIjLb1EEEEE10hipError_tT1_PNSt15iterator_traitsISK_E10value_typeET2_T3_PNSL_ISQ_E10value_typeET4_T5_PSV_SW_PNS1_23onesweep_lookback_stateEbbT6_jjT7_P12ihipStream_tbENKUlT_T0_SK_SP_E_clIPxSE_SF_SF_EEDaS13_S14_SK_SP_EUlS13_E_NS1_11comp_targetILNS1_3genE5ELNS1_11target_archE942ELNS1_3gpuE9ELNS1_3repE0EEENS1_47radix_sort_onesweep_sort_config_static_selectorELNS0_4arch9wavefront6targetE1EEEvSK_
; %bb.0:
	.section	.rodata,"a",@progbits
	.p2align	6, 0x0
	.amdhsa_kernel _ZN7rocprim17ROCPRIM_400000_NS6detail17trampoline_kernelINS0_14default_configENS1_35radix_sort_onesweep_config_selectorIxNS0_10empty_typeEEEZZNS1_29radix_sort_onesweep_iterationIS3_Lb0EN6thrust23THRUST_200600_302600_NS6detail15normal_iteratorINS9_10device_ptrIxEEEESE_PS5_SF_jNS0_19identity_decomposerENS1_16block_id_wrapperIjLb1EEEEE10hipError_tT1_PNSt15iterator_traitsISK_E10value_typeET2_T3_PNSL_ISQ_E10value_typeET4_T5_PSV_SW_PNS1_23onesweep_lookback_stateEbbT6_jjT7_P12ihipStream_tbENKUlT_T0_SK_SP_E_clIPxSE_SF_SF_EEDaS13_S14_SK_SP_EUlS13_E_NS1_11comp_targetILNS1_3genE5ELNS1_11target_archE942ELNS1_3gpuE9ELNS1_3repE0EEENS1_47radix_sort_onesweep_sort_config_static_selectorELNS0_4arch9wavefront6targetE1EEEvSK_
		.amdhsa_group_segment_fixed_size 0
		.amdhsa_private_segment_fixed_size 0
		.amdhsa_kernarg_size 88
		.amdhsa_user_sgpr_count 6
		.amdhsa_user_sgpr_private_segment_buffer 1
		.amdhsa_user_sgpr_dispatch_ptr 0
		.amdhsa_user_sgpr_queue_ptr 0
		.amdhsa_user_sgpr_kernarg_segment_ptr 1
		.amdhsa_user_sgpr_dispatch_id 0
		.amdhsa_user_sgpr_flat_scratch_init 0
		.amdhsa_user_sgpr_kernarg_preload_length 0
		.amdhsa_user_sgpr_kernarg_preload_offset 0
		.amdhsa_user_sgpr_private_segment_size 0
		.amdhsa_uses_dynamic_stack 0
		.amdhsa_system_sgpr_private_segment_wavefront_offset 0
		.amdhsa_system_sgpr_workgroup_id_x 1
		.amdhsa_system_sgpr_workgroup_id_y 0
		.amdhsa_system_sgpr_workgroup_id_z 0
		.amdhsa_system_sgpr_workgroup_info 0
		.amdhsa_system_vgpr_workitem_id 0
		.amdhsa_next_free_vgpr 1
		.amdhsa_next_free_sgpr 0
		.amdhsa_accum_offset 4
		.amdhsa_reserve_vcc 0
		.amdhsa_reserve_flat_scratch 0
		.amdhsa_float_round_mode_32 0
		.amdhsa_float_round_mode_16_64 0
		.amdhsa_float_denorm_mode_32 3
		.amdhsa_float_denorm_mode_16_64 3
		.amdhsa_dx10_clamp 1
		.amdhsa_ieee_mode 1
		.amdhsa_fp16_overflow 0
		.amdhsa_tg_split 0
		.amdhsa_exception_fp_ieee_invalid_op 0
		.amdhsa_exception_fp_denorm_src 0
		.amdhsa_exception_fp_ieee_div_zero 0
		.amdhsa_exception_fp_ieee_overflow 0
		.amdhsa_exception_fp_ieee_underflow 0
		.amdhsa_exception_fp_ieee_inexact 0
		.amdhsa_exception_int_div_zero 0
	.end_amdhsa_kernel
	.section	.text._ZN7rocprim17ROCPRIM_400000_NS6detail17trampoline_kernelINS0_14default_configENS1_35radix_sort_onesweep_config_selectorIxNS0_10empty_typeEEEZZNS1_29radix_sort_onesweep_iterationIS3_Lb0EN6thrust23THRUST_200600_302600_NS6detail15normal_iteratorINS9_10device_ptrIxEEEESE_PS5_SF_jNS0_19identity_decomposerENS1_16block_id_wrapperIjLb1EEEEE10hipError_tT1_PNSt15iterator_traitsISK_E10value_typeET2_T3_PNSL_ISQ_E10value_typeET4_T5_PSV_SW_PNS1_23onesweep_lookback_stateEbbT6_jjT7_P12ihipStream_tbENKUlT_T0_SK_SP_E_clIPxSE_SF_SF_EEDaS13_S14_SK_SP_EUlS13_E_NS1_11comp_targetILNS1_3genE5ELNS1_11target_archE942ELNS1_3gpuE9ELNS1_3repE0EEENS1_47radix_sort_onesweep_sort_config_static_selectorELNS0_4arch9wavefront6targetE1EEEvSK_,"axG",@progbits,_ZN7rocprim17ROCPRIM_400000_NS6detail17trampoline_kernelINS0_14default_configENS1_35radix_sort_onesweep_config_selectorIxNS0_10empty_typeEEEZZNS1_29radix_sort_onesweep_iterationIS3_Lb0EN6thrust23THRUST_200600_302600_NS6detail15normal_iteratorINS9_10device_ptrIxEEEESE_PS5_SF_jNS0_19identity_decomposerENS1_16block_id_wrapperIjLb1EEEEE10hipError_tT1_PNSt15iterator_traitsISK_E10value_typeET2_T3_PNSL_ISQ_E10value_typeET4_T5_PSV_SW_PNS1_23onesweep_lookback_stateEbbT6_jjT7_P12ihipStream_tbENKUlT_T0_SK_SP_E_clIPxSE_SF_SF_EEDaS13_S14_SK_SP_EUlS13_E_NS1_11comp_targetILNS1_3genE5ELNS1_11target_archE942ELNS1_3gpuE9ELNS1_3repE0EEENS1_47radix_sort_onesweep_sort_config_static_selectorELNS0_4arch9wavefront6targetE1EEEvSK_,comdat
.Lfunc_end1562:
	.size	_ZN7rocprim17ROCPRIM_400000_NS6detail17trampoline_kernelINS0_14default_configENS1_35radix_sort_onesweep_config_selectorIxNS0_10empty_typeEEEZZNS1_29radix_sort_onesweep_iterationIS3_Lb0EN6thrust23THRUST_200600_302600_NS6detail15normal_iteratorINS9_10device_ptrIxEEEESE_PS5_SF_jNS0_19identity_decomposerENS1_16block_id_wrapperIjLb1EEEEE10hipError_tT1_PNSt15iterator_traitsISK_E10value_typeET2_T3_PNSL_ISQ_E10value_typeET4_T5_PSV_SW_PNS1_23onesweep_lookback_stateEbbT6_jjT7_P12ihipStream_tbENKUlT_T0_SK_SP_E_clIPxSE_SF_SF_EEDaS13_S14_SK_SP_EUlS13_E_NS1_11comp_targetILNS1_3genE5ELNS1_11target_archE942ELNS1_3gpuE9ELNS1_3repE0EEENS1_47radix_sort_onesweep_sort_config_static_selectorELNS0_4arch9wavefront6targetE1EEEvSK_, .Lfunc_end1562-_ZN7rocprim17ROCPRIM_400000_NS6detail17trampoline_kernelINS0_14default_configENS1_35radix_sort_onesweep_config_selectorIxNS0_10empty_typeEEEZZNS1_29radix_sort_onesweep_iterationIS3_Lb0EN6thrust23THRUST_200600_302600_NS6detail15normal_iteratorINS9_10device_ptrIxEEEESE_PS5_SF_jNS0_19identity_decomposerENS1_16block_id_wrapperIjLb1EEEEE10hipError_tT1_PNSt15iterator_traitsISK_E10value_typeET2_T3_PNSL_ISQ_E10value_typeET4_T5_PSV_SW_PNS1_23onesweep_lookback_stateEbbT6_jjT7_P12ihipStream_tbENKUlT_T0_SK_SP_E_clIPxSE_SF_SF_EEDaS13_S14_SK_SP_EUlS13_E_NS1_11comp_targetILNS1_3genE5ELNS1_11target_archE942ELNS1_3gpuE9ELNS1_3repE0EEENS1_47radix_sort_onesweep_sort_config_static_selectorELNS0_4arch9wavefront6targetE1EEEvSK_
                                        ; -- End function
	.section	.AMDGPU.csdata,"",@progbits
; Kernel info:
; codeLenInByte = 0
; NumSgprs: 4
; NumVgprs: 0
; NumAgprs: 0
; TotalNumVgprs: 0
; ScratchSize: 0
; MemoryBound: 0
; FloatMode: 240
; IeeeMode: 1
; LDSByteSize: 0 bytes/workgroup (compile time only)
; SGPRBlocks: 0
; VGPRBlocks: 0
; NumSGPRsForWavesPerEU: 4
; NumVGPRsForWavesPerEU: 1
; AccumOffset: 4
; Occupancy: 8
; WaveLimiterHint : 0
; COMPUTE_PGM_RSRC2:SCRATCH_EN: 0
; COMPUTE_PGM_RSRC2:USER_SGPR: 6
; COMPUTE_PGM_RSRC2:TRAP_HANDLER: 0
; COMPUTE_PGM_RSRC2:TGID_X_EN: 1
; COMPUTE_PGM_RSRC2:TGID_Y_EN: 0
; COMPUTE_PGM_RSRC2:TGID_Z_EN: 0
; COMPUTE_PGM_RSRC2:TIDIG_COMP_CNT: 0
; COMPUTE_PGM_RSRC3_GFX90A:ACCUM_OFFSET: 0
; COMPUTE_PGM_RSRC3_GFX90A:TG_SPLIT: 0
	.section	.text._ZN7rocprim17ROCPRIM_400000_NS6detail17trampoline_kernelINS0_14default_configENS1_35radix_sort_onesweep_config_selectorIxNS0_10empty_typeEEEZZNS1_29radix_sort_onesweep_iterationIS3_Lb0EN6thrust23THRUST_200600_302600_NS6detail15normal_iteratorINS9_10device_ptrIxEEEESE_PS5_SF_jNS0_19identity_decomposerENS1_16block_id_wrapperIjLb1EEEEE10hipError_tT1_PNSt15iterator_traitsISK_E10value_typeET2_T3_PNSL_ISQ_E10value_typeET4_T5_PSV_SW_PNS1_23onesweep_lookback_stateEbbT6_jjT7_P12ihipStream_tbENKUlT_T0_SK_SP_E_clIPxSE_SF_SF_EEDaS13_S14_SK_SP_EUlS13_E_NS1_11comp_targetILNS1_3genE2ELNS1_11target_archE906ELNS1_3gpuE6ELNS1_3repE0EEENS1_47radix_sort_onesweep_sort_config_static_selectorELNS0_4arch9wavefront6targetE1EEEvSK_,"axG",@progbits,_ZN7rocprim17ROCPRIM_400000_NS6detail17trampoline_kernelINS0_14default_configENS1_35radix_sort_onesweep_config_selectorIxNS0_10empty_typeEEEZZNS1_29radix_sort_onesweep_iterationIS3_Lb0EN6thrust23THRUST_200600_302600_NS6detail15normal_iteratorINS9_10device_ptrIxEEEESE_PS5_SF_jNS0_19identity_decomposerENS1_16block_id_wrapperIjLb1EEEEE10hipError_tT1_PNSt15iterator_traitsISK_E10value_typeET2_T3_PNSL_ISQ_E10value_typeET4_T5_PSV_SW_PNS1_23onesweep_lookback_stateEbbT6_jjT7_P12ihipStream_tbENKUlT_T0_SK_SP_E_clIPxSE_SF_SF_EEDaS13_S14_SK_SP_EUlS13_E_NS1_11comp_targetILNS1_3genE2ELNS1_11target_archE906ELNS1_3gpuE6ELNS1_3repE0EEENS1_47radix_sort_onesweep_sort_config_static_selectorELNS0_4arch9wavefront6targetE1EEEvSK_,comdat
	.protected	_ZN7rocprim17ROCPRIM_400000_NS6detail17trampoline_kernelINS0_14default_configENS1_35radix_sort_onesweep_config_selectorIxNS0_10empty_typeEEEZZNS1_29radix_sort_onesweep_iterationIS3_Lb0EN6thrust23THRUST_200600_302600_NS6detail15normal_iteratorINS9_10device_ptrIxEEEESE_PS5_SF_jNS0_19identity_decomposerENS1_16block_id_wrapperIjLb1EEEEE10hipError_tT1_PNSt15iterator_traitsISK_E10value_typeET2_T3_PNSL_ISQ_E10value_typeET4_T5_PSV_SW_PNS1_23onesweep_lookback_stateEbbT6_jjT7_P12ihipStream_tbENKUlT_T0_SK_SP_E_clIPxSE_SF_SF_EEDaS13_S14_SK_SP_EUlS13_E_NS1_11comp_targetILNS1_3genE2ELNS1_11target_archE906ELNS1_3gpuE6ELNS1_3repE0EEENS1_47radix_sort_onesweep_sort_config_static_selectorELNS0_4arch9wavefront6targetE1EEEvSK_ ; -- Begin function _ZN7rocprim17ROCPRIM_400000_NS6detail17trampoline_kernelINS0_14default_configENS1_35radix_sort_onesweep_config_selectorIxNS0_10empty_typeEEEZZNS1_29radix_sort_onesweep_iterationIS3_Lb0EN6thrust23THRUST_200600_302600_NS6detail15normal_iteratorINS9_10device_ptrIxEEEESE_PS5_SF_jNS0_19identity_decomposerENS1_16block_id_wrapperIjLb1EEEEE10hipError_tT1_PNSt15iterator_traitsISK_E10value_typeET2_T3_PNSL_ISQ_E10value_typeET4_T5_PSV_SW_PNS1_23onesweep_lookback_stateEbbT6_jjT7_P12ihipStream_tbENKUlT_T0_SK_SP_E_clIPxSE_SF_SF_EEDaS13_S14_SK_SP_EUlS13_E_NS1_11comp_targetILNS1_3genE2ELNS1_11target_archE906ELNS1_3gpuE6ELNS1_3repE0EEENS1_47radix_sort_onesweep_sort_config_static_selectorELNS0_4arch9wavefront6targetE1EEEvSK_
	.globl	_ZN7rocprim17ROCPRIM_400000_NS6detail17trampoline_kernelINS0_14default_configENS1_35radix_sort_onesweep_config_selectorIxNS0_10empty_typeEEEZZNS1_29radix_sort_onesweep_iterationIS3_Lb0EN6thrust23THRUST_200600_302600_NS6detail15normal_iteratorINS9_10device_ptrIxEEEESE_PS5_SF_jNS0_19identity_decomposerENS1_16block_id_wrapperIjLb1EEEEE10hipError_tT1_PNSt15iterator_traitsISK_E10value_typeET2_T3_PNSL_ISQ_E10value_typeET4_T5_PSV_SW_PNS1_23onesweep_lookback_stateEbbT6_jjT7_P12ihipStream_tbENKUlT_T0_SK_SP_E_clIPxSE_SF_SF_EEDaS13_S14_SK_SP_EUlS13_E_NS1_11comp_targetILNS1_3genE2ELNS1_11target_archE906ELNS1_3gpuE6ELNS1_3repE0EEENS1_47radix_sort_onesweep_sort_config_static_selectorELNS0_4arch9wavefront6targetE1EEEvSK_
	.p2align	8
	.type	_ZN7rocprim17ROCPRIM_400000_NS6detail17trampoline_kernelINS0_14default_configENS1_35radix_sort_onesweep_config_selectorIxNS0_10empty_typeEEEZZNS1_29radix_sort_onesweep_iterationIS3_Lb0EN6thrust23THRUST_200600_302600_NS6detail15normal_iteratorINS9_10device_ptrIxEEEESE_PS5_SF_jNS0_19identity_decomposerENS1_16block_id_wrapperIjLb1EEEEE10hipError_tT1_PNSt15iterator_traitsISK_E10value_typeET2_T3_PNSL_ISQ_E10value_typeET4_T5_PSV_SW_PNS1_23onesweep_lookback_stateEbbT6_jjT7_P12ihipStream_tbENKUlT_T0_SK_SP_E_clIPxSE_SF_SF_EEDaS13_S14_SK_SP_EUlS13_E_NS1_11comp_targetILNS1_3genE2ELNS1_11target_archE906ELNS1_3gpuE6ELNS1_3repE0EEENS1_47radix_sort_onesweep_sort_config_static_selectorELNS0_4arch9wavefront6targetE1EEEvSK_,@function
_ZN7rocprim17ROCPRIM_400000_NS6detail17trampoline_kernelINS0_14default_configENS1_35radix_sort_onesweep_config_selectorIxNS0_10empty_typeEEEZZNS1_29radix_sort_onesweep_iterationIS3_Lb0EN6thrust23THRUST_200600_302600_NS6detail15normal_iteratorINS9_10device_ptrIxEEEESE_PS5_SF_jNS0_19identity_decomposerENS1_16block_id_wrapperIjLb1EEEEE10hipError_tT1_PNSt15iterator_traitsISK_E10value_typeET2_T3_PNSL_ISQ_E10value_typeET4_T5_PSV_SW_PNS1_23onesweep_lookback_stateEbbT6_jjT7_P12ihipStream_tbENKUlT_T0_SK_SP_E_clIPxSE_SF_SF_EEDaS13_S14_SK_SP_EUlS13_E_NS1_11comp_targetILNS1_3genE2ELNS1_11target_archE906ELNS1_3gpuE6ELNS1_3repE0EEENS1_47radix_sort_onesweep_sort_config_static_selectorELNS0_4arch9wavefront6targetE1EEEvSK_: ; @_ZN7rocprim17ROCPRIM_400000_NS6detail17trampoline_kernelINS0_14default_configENS1_35radix_sort_onesweep_config_selectorIxNS0_10empty_typeEEEZZNS1_29radix_sort_onesweep_iterationIS3_Lb0EN6thrust23THRUST_200600_302600_NS6detail15normal_iteratorINS9_10device_ptrIxEEEESE_PS5_SF_jNS0_19identity_decomposerENS1_16block_id_wrapperIjLb1EEEEE10hipError_tT1_PNSt15iterator_traitsISK_E10value_typeET2_T3_PNSL_ISQ_E10value_typeET4_T5_PSV_SW_PNS1_23onesweep_lookback_stateEbbT6_jjT7_P12ihipStream_tbENKUlT_T0_SK_SP_E_clIPxSE_SF_SF_EEDaS13_S14_SK_SP_EUlS13_E_NS1_11comp_targetILNS1_3genE2ELNS1_11target_archE906ELNS1_3gpuE6ELNS1_3repE0EEENS1_47radix_sort_onesweep_sort_config_static_selectorELNS0_4arch9wavefront6targetE1EEEvSK_
; %bb.0:
	.section	.rodata,"a",@progbits
	.p2align	6, 0x0
	.amdhsa_kernel _ZN7rocprim17ROCPRIM_400000_NS6detail17trampoline_kernelINS0_14default_configENS1_35radix_sort_onesweep_config_selectorIxNS0_10empty_typeEEEZZNS1_29radix_sort_onesweep_iterationIS3_Lb0EN6thrust23THRUST_200600_302600_NS6detail15normal_iteratorINS9_10device_ptrIxEEEESE_PS5_SF_jNS0_19identity_decomposerENS1_16block_id_wrapperIjLb1EEEEE10hipError_tT1_PNSt15iterator_traitsISK_E10value_typeET2_T3_PNSL_ISQ_E10value_typeET4_T5_PSV_SW_PNS1_23onesweep_lookback_stateEbbT6_jjT7_P12ihipStream_tbENKUlT_T0_SK_SP_E_clIPxSE_SF_SF_EEDaS13_S14_SK_SP_EUlS13_E_NS1_11comp_targetILNS1_3genE2ELNS1_11target_archE906ELNS1_3gpuE6ELNS1_3repE0EEENS1_47radix_sort_onesweep_sort_config_static_selectorELNS0_4arch9wavefront6targetE1EEEvSK_
		.amdhsa_group_segment_fixed_size 0
		.amdhsa_private_segment_fixed_size 0
		.amdhsa_kernarg_size 88
		.amdhsa_user_sgpr_count 6
		.amdhsa_user_sgpr_private_segment_buffer 1
		.amdhsa_user_sgpr_dispatch_ptr 0
		.amdhsa_user_sgpr_queue_ptr 0
		.amdhsa_user_sgpr_kernarg_segment_ptr 1
		.amdhsa_user_sgpr_dispatch_id 0
		.amdhsa_user_sgpr_flat_scratch_init 0
		.amdhsa_user_sgpr_kernarg_preload_length 0
		.amdhsa_user_sgpr_kernarg_preload_offset 0
		.amdhsa_user_sgpr_private_segment_size 0
		.amdhsa_uses_dynamic_stack 0
		.amdhsa_system_sgpr_private_segment_wavefront_offset 0
		.amdhsa_system_sgpr_workgroup_id_x 1
		.amdhsa_system_sgpr_workgroup_id_y 0
		.amdhsa_system_sgpr_workgroup_id_z 0
		.amdhsa_system_sgpr_workgroup_info 0
		.amdhsa_system_vgpr_workitem_id 0
		.amdhsa_next_free_vgpr 1
		.amdhsa_next_free_sgpr 0
		.amdhsa_accum_offset 4
		.amdhsa_reserve_vcc 0
		.amdhsa_reserve_flat_scratch 0
		.amdhsa_float_round_mode_32 0
		.amdhsa_float_round_mode_16_64 0
		.amdhsa_float_denorm_mode_32 3
		.amdhsa_float_denorm_mode_16_64 3
		.amdhsa_dx10_clamp 1
		.amdhsa_ieee_mode 1
		.amdhsa_fp16_overflow 0
		.amdhsa_tg_split 0
		.amdhsa_exception_fp_ieee_invalid_op 0
		.amdhsa_exception_fp_denorm_src 0
		.amdhsa_exception_fp_ieee_div_zero 0
		.amdhsa_exception_fp_ieee_overflow 0
		.amdhsa_exception_fp_ieee_underflow 0
		.amdhsa_exception_fp_ieee_inexact 0
		.amdhsa_exception_int_div_zero 0
	.end_amdhsa_kernel
	.section	.text._ZN7rocprim17ROCPRIM_400000_NS6detail17trampoline_kernelINS0_14default_configENS1_35radix_sort_onesweep_config_selectorIxNS0_10empty_typeEEEZZNS1_29radix_sort_onesweep_iterationIS3_Lb0EN6thrust23THRUST_200600_302600_NS6detail15normal_iteratorINS9_10device_ptrIxEEEESE_PS5_SF_jNS0_19identity_decomposerENS1_16block_id_wrapperIjLb1EEEEE10hipError_tT1_PNSt15iterator_traitsISK_E10value_typeET2_T3_PNSL_ISQ_E10value_typeET4_T5_PSV_SW_PNS1_23onesweep_lookback_stateEbbT6_jjT7_P12ihipStream_tbENKUlT_T0_SK_SP_E_clIPxSE_SF_SF_EEDaS13_S14_SK_SP_EUlS13_E_NS1_11comp_targetILNS1_3genE2ELNS1_11target_archE906ELNS1_3gpuE6ELNS1_3repE0EEENS1_47radix_sort_onesweep_sort_config_static_selectorELNS0_4arch9wavefront6targetE1EEEvSK_,"axG",@progbits,_ZN7rocprim17ROCPRIM_400000_NS6detail17trampoline_kernelINS0_14default_configENS1_35radix_sort_onesweep_config_selectorIxNS0_10empty_typeEEEZZNS1_29radix_sort_onesweep_iterationIS3_Lb0EN6thrust23THRUST_200600_302600_NS6detail15normal_iteratorINS9_10device_ptrIxEEEESE_PS5_SF_jNS0_19identity_decomposerENS1_16block_id_wrapperIjLb1EEEEE10hipError_tT1_PNSt15iterator_traitsISK_E10value_typeET2_T3_PNSL_ISQ_E10value_typeET4_T5_PSV_SW_PNS1_23onesweep_lookback_stateEbbT6_jjT7_P12ihipStream_tbENKUlT_T0_SK_SP_E_clIPxSE_SF_SF_EEDaS13_S14_SK_SP_EUlS13_E_NS1_11comp_targetILNS1_3genE2ELNS1_11target_archE906ELNS1_3gpuE6ELNS1_3repE0EEENS1_47radix_sort_onesweep_sort_config_static_selectorELNS0_4arch9wavefront6targetE1EEEvSK_,comdat
.Lfunc_end1563:
	.size	_ZN7rocprim17ROCPRIM_400000_NS6detail17trampoline_kernelINS0_14default_configENS1_35radix_sort_onesweep_config_selectorIxNS0_10empty_typeEEEZZNS1_29radix_sort_onesweep_iterationIS3_Lb0EN6thrust23THRUST_200600_302600_NS6detail15normal_iteratorINS9_10device_ptrIxEEEESE_PS5_SF_jNS0_19identity_decomposerENS1_16block_id_wrapperIjLb1EEEEE10hipError_tT1_PNSt15iterator_traitsISK_E10value_typeET2_T3_PNSL_ISQ_E10value_typeET4_T5_PSV_SW_PNS1_23onesweep_lookback_stateEbbT6_jjT7_P12ihipStream_tbENKUlT_T0_SK_SP_E_clIPxSE_SF_SF_EEDaS13_S14_SK_SP_EUlS13_E_NS1_11comp_targetILNS1_3genE2ELNS1_11target_archE906ELNS1_3gpuE6ELNS1_3repE0EEENS1_47radix_sort_onesweep_sort_config_static_selectorELNS0_4arch9wavefront6targetE1EEEvSK_, .Lfunc_end1563-_ZN7rocprim17ROCPRIM_400000_NS6detail17trampoline_kernelINS0_14default_configENS1_35radix_sort_onesweep_config_selectorIxNS0_10empty_typeEEEZZNS1_29radix_sort_onesweep_iterationIS3_Lb0EN6thrust23THRUST_200600_302600_NS6detail15normal_iteratorINS9_10device_ptrIxEEEESE_PS5_SF_jNS0_19identity_decomposerENS1_16block_id_wrapperIjLb1EEEEE10hipError_tT1_PNSt15iterator_traitsISK_E10value_typeET2_T3_PNSL_ISQ_E10value_typeET4_T5_PSV_SW_PNS1_23onesweep_lookback_stateEbbT6_jjT7_P12ihipStream_tbENKUlT_T0_SK_SP_E_clIPxSE_SF_SF_EEDaS13_S14_SK_SP_EUlS13_E_NS1_11comp_targetILNS1_3genE2ELNS1_11target_archE906ELNS1_3gpuE6ELNS1_3repE0EEENS1_47radix_sort_onesweep_sort_config_static_selectorELNS0_4arch9wavefront6targetE1EEEvSK_
                                        ; -- End function
	.section	.AMDGPU.csdata,"",@progbits
; Kernel info:
; codeLenInByte = 0
; NumSgprs: 4
; NumVgprs: 0
; NumAgprs: 0
; TotalNumVgprs: 0
; ScratchSize: 0
; MemoryBound: 0
; FloatMode: 240
; IeeeMode: 1
; LDSByteSize: 0 bytes/workgroup (compile time only)
; SGPRBlocks: 0
; VGPRBlocks: 0
; NumSGPRsForWavesPerEU: 4
; NumVGPRsForWavesPerEU: 1
; AccumOffset: 4
; Occupancy: 8
; WaveLimiterHint : 0
; COMPUTE_PGM_RSRC2:SCRATCH_EN: 0
; COMPUTE_PGM_RSRC2:USER_SGPR: 6
; COMPUTE_PGM_RSRC2:TRAP_HANDLER: 0
; COMPUTE_PGM_RSRC2:TGID_X_EN: 1
; COMPUTE_PGM_RSRC2:TGID_Y_EN: 0
; COMPUTE_PGM_RSRC2:TGID_Z_EN: 0
; COMPUTE_PGM_RSRC2:TIDIG_COMP_CNT: 0
; COMPUTE_PGM_RSRC3_GFX90A:ACCUM_OFFSET: 0
; COMPUTE_PGM_RSRC3_GFX90A:TG_SPLIT: 0
	.section	.text._ZN7rocprim17ROCPRIM_400000_NS6detail17trampoline_kernelINS0_14default_configENS1_35radix_sort_onesweep_config_selectorIxNS0_10empty_typeEEEZZNS1_29radix_sort_onesweep_iterationIS3_Lb0EN6thrust23THRUST_200600_302600_NS6detail15normal_iteratorINS9_10device_ptrIxEEEESE_PS5_SF_jNS0_19identity_decomposerENS1_16block_id_wrapperIjLb1EEEEE10hipError_tT1_PNSt15iterator_traitsISK_E10value_typeET2_T3_PNSL_ISQ_E10value_typeET4_T5_PSV_SW_PNS1_23onesweep_lookback_stateEbbT6_jjT7_P12ihipStream_tbENKUlT_T0_SK_SP_E_clIPxSE_SF_SF_EEDaS13_S14_SK_SP_EUlS13_E_NS1_11comp_targetILNS1_3genE4ELNS1_11target_archE910ELNS1_3gpuE8ELNS1_3repE0EEENS1_47radix_sort_onesweep_sort_config_static_selectorELNS0_4arch9wavefront6targetE1EEEvSK_,"axG",@progbits,_ZN7rocprim17ROCPRIM_400000_NS6detail17trampoline_kernelINS0_14default_configENS1_35radix_sort_onesweep_config_selectorIxNS0_10empty_typeEEEZZNS1_29radix_sort_onesweep_iterationIS3_Lb0EN6thrust23THRUST_200600_302600_NS6detail15normal_iteratorINS9_10device_ptrIxEEEESE_PS5_SF_jNS0_19identity_decomposerENS1_16block_id_wrapperIjLb1EEEEE10hipError_tT1_PNSt15iterator_traitsISK_E10value_typeET2_T3_PNSL_ISQ_E10value_typeET4_T5_PSV_SW_PNS1_23onesweep_lookback_stateEbbT6_jjT7_P12ihipStream_tbENKUlT_T0_SK_SP_E_clIPxSE_SF_SF_EEDaS13_S14_SK_SP_EUlS13_E_NS1_11comp_targetILNS1_3genE4ELNS1_11target_archE910ELNS1_3gpuE8ELNS1_3repE0EEENS1_47radix_sort_onesweep_sort_config_static_selectorELNS0_4arch9wavefront6targetE1EEEvSK_,comdat
	.protected	_ZN7rocprim17ROCPRIM_400000_NS6detail17trampoline_kernelINS0_14default_configENS1_35radix_sort_onesweep_config_selectorIxNS0_10empty_typeEEEZZNS1_29radix_sort_onesweep_iterationIS3_Lb0EN6thrust23THRUST_200600_302600_NS6detail15normal_iteratorINS9_10device_ptrIxEEEESE_PS5_SF_jNS0_19identity_decomposerENS1_16block_id_wrapperIjLb1EEEEE10hipError_tT1_PNSt15iterator_traitsISK_E10value_typeET2_T3_PNSL_ISQ_E10value_typeET4_T5_PSV_SW_PNS1_23onesweep_lookback_stateEbbT6_jjT7_P12ihipStream_tbENKUlT_T0_SK_SP_E_clIPxSE_SF_SF_EEDaS13_S14_SK_SP_EUlS13_E_NS1_11comp_targetILNS1_3genE4ELNS1_11target_archE910ELNS1_3gpuE8ELNS1_3repE0EEENS1_47radix_sort_onesweep_sort_config_static_selectorELNS0_4arch9wavefront6targetE1EEEvSK_ ; -- Begin function _ZN7rocprim17ROCPRIM_400000_NS6detail17trampoline_kernelINS0_14default_configENS1_35radix_sort_onesweep_config_selectorIxNS0_10empty_typeEEEZZNS1_29radix_sort_onesweep_iterationIS3_Lb0EN6thrust23THRUST_200600_302600_NS6detail15normal_iteratorINS9_10device_ptrIxEEEESE_PS5_SF_jNS0_19identity_decomposerENS1_16block_id_wrapperIjLb1EEEEE10hipError_tT1_PNSt15iterator_traitsISK_E10value_typeET2_T3_PNSL_ISQ_E10value_typeET4_T5_PSV_SW_PNS1_23onesweep_lookback_stateEbbT6_jjT7_P12ihipStream_tbENKUlT_T0_SK_SP_E_clIPxSE_SF_SF_EEDaS13_S14_SK_SP_EUlS13_E_NS1_11comp_targetILNS1_3genE4ELNS1_11target_archE910ELNS1_3gpuE8ELNS1_3repE0EEENS1_47radix_sort_onesweep_sort_config_static_selectorELNS0_4arch9wavefront6targetE1EEEvSK_
	.globl	_ZN7rocprim17ROCPRIM_400000_NS6detail17trampoline_kernelINS0_14default_configENS1_35radix_sort_onesweep_config_selectorIxNS0_10empty_typeEEEZZNS1_29radix_sort_onesweep_iterationIS3_Lb0EN6thrust23THRUST_200600_302600_NS6detail15normal_iteratorINS9_10device_ptrIxEEEESE_PS5_SF_jNS0_19identity_decomposerENS1_16block_id_wrapperIjLb1EEEEE10hipError_tT1_PNSt15iterator_traitsISK_E10value_typeET2_T3_PNSL_ISQ_E10value_typeET4_T5_PSV_SW_PNS1_23onesweep_lookback_stateEbbT6_jjT7_P12ihipStream_tbENKUlT_T0_SK_SP_E_clIPxSE_SF_SF_EEDaS13_S14_SK_SP_EUlS13_E_NS1_11comp_targetILNS1_3genE4ELNS1_11target_archE910ELNS1_3gpuE8ELNS1_3repE0EEENS1_47radix_sort_onesweep_sort_config_static_selectorELNS0_4arch9wavefront6targetE1EEEvSK_
	.p2align	8
	.type	_ZN7rocprim17ROCPRIM_400000_NS6detail17trampoline_kernelINS0_14default_configENS1_35radix_sort_onesweep_config_selectorIxNS0_10empty_typeEEEZZNS1_29radix_sort_onesweep_iterationIS3_Lb0EN6thrust23THRUST_200600_302600_NS6detail15normal_iteratorINS9_10device_ptrIxEEEESE_PS5_SF_jNS0_19identity_decomposerENS1_16block_id_wrapperIjLb1EEEEE10hipError_tT1_PNSt15iterator_traitsISK_E10value_typeET2_T3_PNSL_ISQ_E10value_typeET4_T5_PSV_SW_PNS1_23onesweep_lookback_stateEbbT6_jjT7_P12ihipStream_tbENKUlT_T0_SK_SP_E_clIPxSE_SF_SF_EEDaS13_S14_SK_SP_EUlS13_E_NS1_11comp_targetILNS1_3genE4ELNS1_11target_archE910ELNS1_3gpuE8ELNS1_3repE0EEENS1_47radix_sort_onesweep_sort_config_static_selectorELNS0_4arch9wavefront6targetE1EEEvSK_,@function
_ZN7rocprim17ROCPRIM_400000_NS6detail17trampoline_kernelINS0_14default_configENS1_35radix_sort_onesweep_config_selectorIxNS0_10empty_typeEEEZZNS1_29radix_sort_onesweep_iterationIS3_Lb0EN6thrust23THRUST_200600_302600_NS6detail15normal_iteratorINS9_10device_ptrIxEEEESE_PS5_SF_jNS0_19identity_decomposerENS1_16block_id_wrapperIjLb1EEEEE10hipError_tT1_PNSt15iterator_traitsISK_E10value_typeET2_T3_PNSL_ISQ_E10value_typeET4_T5_PSV_SW_PNS1_23onesweep_lookback_stateEbbT6_jjT7_P12ihipStream_tbENKUlT_T0_SK_SP_E_clIPxSE_SF_SF_EEDaS13_S14_SK_SP_EUlS13_E_NS1_11comp_targetILNS1_3genE4ELNS1_11target_archE910ELNS1_3gpuE8ELNS1_3repE0EEENS1_47radix_sort_onesweep_sort_config_static_selectorELNS0_4arch9wavefront6targetE1EEEvSK_: ; @_ZN7rocprim17ROCPRIM_400000_NS6detail17trampoline_kernelINS0_14default_configENS1_35radix_sort_onesweep_config_selectorIxNS0_10empty_typeEEEZZNS1_29radix_sort_onesweep_iterationIS3_Lb0EN6thrust23THRUST_200600_302600_NS6detail15normal_iteratorINS9_10device_ptrIxEEEESE_PS5_SF_jNS0_19identity_decomposerENS1_16block_id_wrapperIjLb1EEEEE10hipError_tT1_PNSt15iterator_traitsISK_E10value_typeET2_T3_PNSL_ISQ_E10value_typeET4_T5_PSV_SW_PNS1_23onesweep_lookback_stateEbbT6_jjT7_P12ihipStream_tbENKUlT_T0_SK_SP_E_clIPxSE_SF_SF_EEDaS13_S14_SK_SP_EUlS13_E_NS1_11comp_targetILNS1_3genE4ELNS1_11target_archE910ELNS1_3gpuE8ELNS1_3repE0EEENS1_47radix_sort_onesweep_sort_config_static_selectorELNS0_4arch9wavefront6targetE1EEEvSK_
; %bb.0:
	s_load_dwordx4 s[16:19], s[4:5], 0x28
	s_load_dwordx2 s[14:15], s[4:5], 0x38
	s_load_dwordx4 s[20:23], s[4:5], 0x44
	v_and_b32_e32 v2, 0x3ff, v0
	v_cmp_eq_u32_e64 s[0:1], 0, v2
	s_and_saveexec_b64 s[2:3], s[0:1]
	s_cbranch_execz .LBB1564_4
; %bb.1:
	s_mov_b64 s[10:11], exec
	v_mbcnt_lo_u32_b32 v1, s10, 0
	v_mbcnt_hi_u32_b32 v1, s11, v1
	v_cmp_eq_u32_e32 vcc, 0, v1
                                        ; implicit-def: $vgpr3
	s_and_saveexec_b64 s[8:9], vcc
	s_cbranch_execz .LBB1564_3
; %bb.2:
	s_load_dwordx2 s[12:13], s[4:5], 0x50
	s_bcnt1_i32_b64 s7, s[10:11]
	v_mov_b32_e32 v3, 0
	v_mov_b32_e32 v4, s7
	s_waitcnt lgkmcnt(0)
	global_atomic_add v3, v3, v4, s[12:13] glc
.LBB1564_3:
	s_or_b64 exec, exec, s[8:9]
	s_waitcnt vmcnt(0)
	v_readfirstlane_b32 s7, v3
	v_add_u32_e32 v1, s7, v1
	v_mov_b32_e32 v3, 0
	ds_write_b32 v3, v1 offset:20544
.LBB1564_4:
	s_or_b64 exec, exec, s[2:3]
	v_mov_b32_e32 v1, 0
	s_load_dwordx4 s[24:27], s[4:5], 0x0
	s_load_dword s2, s[4:5], 0x20
	s_waitcnt lgkmcnt(0)
	s_barrier
	ds_read_b32 v1, v1 offset:20544
	v_lshlrev_b32_e32 v3, 3, v2
	s_waitcnt lgkmcnt(0)
	s_barrier
	v_cmp_le_u32_e32 vcc, s22, v1
	v_readfirstlane_b32 s28, v1
	v_mbcnt_lo_u32_b32 v1, -1, 0
	s_cbranch_vccz .LBB1564_63
; %bb.5:
	s_lshl_b32 s3, s22, 13
	s_sub_i32 s7, s2, s3
	s_lshl_b32 s2, s28, 13
	s_mov_b32 s3, 0
	s_lshl_b64 s[2:3], s[2:3], 3
	v_mbcnt_hi_u32_b32 v24, -1, v1
	s_add_u32 s8, s24, s2
	v_and_b32_e32 v4, 63, v24
	s_addc_u32 s9, s25, s3
	v_lshlrev_b32_e32 v6, 3, v4
	v_and_b32_e32 v5, 0x1e00, v3
	v_mov_b32_e32 v7, s9
	v_add_co_u32_e32 v6, vcc, s8, v6
	v_addc_co_u32_e32 v7, vcc, 0, v7, vcc
	v_lshlrev_b32_e32 v8, 3, v5
	s_mov_b32 s2, -1
	v_add_co_u32_e32 v20, vcc, v6, v8
	s_brev_b32 s3, -2
	v_addc_co_u32_e32 v21, vcc, 0, v7, vcc
	v_or_b32_e32 v18, v4, v5
	v_cmp_gt_u32_e32 vcc, s7, v18
	v_pk_mov_b32 v[4:5], s[2:3], s[2:3] op_sel:[0,1]
	s_and_saveexec_b64 s[8:9], vcc
	s_cbranch_execz .LBB1564_7
; %bb.6:
	global_load_dwordx2 v[4:5], v[20:21], off
.LBB1564_7:
	s_or_b64 exec, exec, s[8:9]
	v_or_b32_e32 v6, 64, v18
	v_cmp_gt_u32_e32 vcc, s7, v6
	v_pk_mov_b32 v[6:7], s[2:3], s[2:3] op_sel:[0,1]
	s_and_saveexec_b64 s[2:3], vcc
	s_cbranch_execz .LBB1564_9
; %bb.8:
	global_load_dwordx2 v[6:7], v[20:21], off offset:512
.LBB1564_9:
	s_or_b64 exec, exec, s[2:3]
	s_mov_b32 s2, -1
	v_or_b32_e32 v8, 0x80, v18
	s_brev_b32 s3, -2
	v_cmp_gt_u32_e32 vcc, s7, v8
	v_pk_mov_b32 v[8:9], s[2:3], s[2:3] op_sel:[0,1]
	s_and_saveexec_b64 s[8:9], vcc
	s_cbranch_execz .LBB1564_11
; %bb.10:
	global_load_dwordx2 v[8:9], v[20:21], off offset:1024
.LBB1564_11:
	s_or_b64 exec, exec, s[8:9]
	v_or_b32_e32 v10, 0xc0, v18
	v_cmp_gt_u32_e32 vcc, s7, v10
	v_pk_mov_b32 v[10:11], s[2:3], s[2:3] op_sel:[0,1]
	s_and_saveexec_b64 s[2:3], vcc
	s_cbranch_execz .LBB1564_13
; %bb.12:
	global_load_dwordx2 v[10:11], v[20:21], off offset:1536
.LBB1564_13:
	s_or_b64 exec, exec, s[2:3]
	s_mov_b32 s2, -1
	v_or_b32_e32 v12, 0x100, v18
	s_brev_b32 s3, -2
	v_cmp_gt_u32_e32 vcc, s7, v12
	v_pk_mov_b32 v[12:13], s[2:3], s[2:3] op_sel:[0,1]
	s_and_saveexec_b64 s[8:9], vcc
	s_cbranch_execz .LBB1564_15
; %bb.14:
	global_load_dwordx2 v[12:13], v[20:21], off offset:2048
.LBB1564_15:
	;; [unrolled: 20-line block ×3, first 2 shown]
	s_or_b64 exec, exec, s[8:9]
	v_or_b32_e32 v18, 0x1c0, v18
	v_cmp_gt_u32_e32 vcc, s7, v18
	v_pk_mov_b32 v[18:19], s[2:3], s[2:3] op_sel:[0,1]
	s_and_saveexec_b64 s[2:3], vcc
	s_cbranch_execz .LBB1564_21
; %bb.20:
	global_load_dwordx2 v[18:19], v[20:21], off offset:3584
.LBB1564_21:
	s_or_b64 exec, exec, s[2:3]
	s_load_dword s2, s[4:5], 0x64
	s_load_dword s29, s[4:5], 0x58
	s_add_u32 s3, s4, 0x58
	s_addc_u32 s8, s5, 0
	v_mov_b32_e32 v20, 0
	s_waitcnt lgkmcnt(0)
	s_lshr_b32 s9, s2, 16
	s_cmp_lt_u32 s6, s29
	s_cselect_b32 s2, 12, 18
	s_add_u32 s2, s3, s2
	s_addc_u32 s3, s8, 0
	global_load_ushort v26, v20, s[2:3]
	s_waitcnt vmcnt(1)
	v_xor_b32_e32 v5, 0x80000000, v5
	v_mul_u32_u24_e32 v22, 5, v2
	s_lshl_b32 s2, -1, s21
	v_lshlrev_b32_e32 v25, 2, v22
	v_lshrrev_b64 v[22:23], s20, v[4:5]
	s_not_b32 s30, s2
	v_and_b32_e32 v22, s30, v22
	v_and_b32_e32 v28, 1, v22
	v_bfe_u32 v21, v0, 10, 10
	v_bfe_u32 v27, v0, 20, 10
	v_add_co_u32_e32 v29, vcc, -1, v28
	v_mad_u32_u24 v23, v27, s9, v21
	v_lshlrev_b32_e32 v21, 30, v22
	v_addc_co_u32_e64 v30, s[2:3], 0, -1, vcc
	v_cmp_ne_u32_e32 vcc, 0, v28
	v_cmp_gt_i64_e64 s[2:3], 0, v[20:21]
	v_not_b32_e32 v28, v21
	v_lshlrev_b32_e32 v21, 29, v22
	v_xor_b32_e32 v30, vcc_hi, v30
	v_xor_b32_e32 v29, vcc_lo, v29
	v_ashrrev_i32_e32 v28, 31, v28
	v_cmp_gt_i64_e32 vcc, 0, v[20:21]
	v_not_b32_e32 v31, v21
	v_lshlrev_b32_e32 v21, 28, v22
	v_and_b32_e32 v30, exec_hi, v30
	v_and_b32_e32 v29, exec_lo, v29
	v_xor_b32_e32 v32, s3, v28
	v_xor_b32_e32 v28, s2, v28
	v_ashrrev_i32_e32 v31, 31, v31
	v_cmp_gt_i64_e64 s[2:3], 0, v[20:21]
	v_not_b32_e32 v33, v21
	v_lshlrev_b32_e32 v21, 27, v22
	v_and_b32_e32 v30, v30, v32
	v_and_b32_e32 v28, v29, v28
	v_xor_b32_e32 v29, vcc_hi, v31
	v_xor_b32_e32 v31, vcc_lo, v31
	v_ashrrev_i32_e32 v32, 31, v33
	v_cmp_gt_i64_e32 vcc, 0, v[20:21]
	v_not_b32_e32 v33, v21
	v_lshlrev_b32_e32 v21, 26, v22
	v_and_b32_e32 v29, v30, v29
	v_and_b32_e32 v28, v28, v31
	v_xor_b32_e32 v30, s3, v32
	v_xor_b32_e32 v31, s2, v32
	v_ashrrev_i32_e32 v32, 31, v33
	v_cmp_gt_i64_e64 s[2:3], 0, v[20:21]
	v_not_b32_e32 v33, v21
	v_lshlrev_b32_e32 v21, 25, v22
	v_and_b32_e32 v29, v29, v30
	v_and_b32_e32 v28, v28, v31
	v_xor_b32_e32 v30, vcc_hi, v32
	v_xor_b32_e32 v31, vcc_lo, v32
	v_ashrrev_i32_e32 v32, 31, v33
	v_not_b32_e32 v33, v21
	v_lshl_add_u32 v27, v22, 4, v22
	v_cmp_gt_i64_e32 vcc, 0, v[20:21]
	v_lshlrev_b32_e32 v21, 24, v22
	v_and_b32_e32 v22, v29, v30
	v_and_b32_e32 v28, v28, v31
	v_xor_b32_e32 v29, s3, v32
	v_ashrrev_i32_e32 v31, 31, v33
	v_xor_b32_e32 v30, s2, v32
	v_cmp_gt_i64_e64 s[2:3], 0, v[20:21]
	v_not_b32_e32 v21, v21
	v_and_b32_e32 v22, v22, v29
	v_xor_b32_e32 v29, vcc_hi, v31
	v_and_b32_e32 v28, v28, v30
	v_xor_b32_e32 v30, vcc_lo, v31
	v_and_b32_e32 v29, v22, v29
	v_ashrrev_i32_e32 v21, 31, v21
	v_and_b32_e32 v28, v28, v30
	ds_write2_b32 v25, v20, v20 offset0:16 offset1:17
	ds_write2_b32 v25, v20, v20 offset0:18 offset1:19
	ds_write_b32 v25, v20 offset:80
	s_waitcnt lgkmcnt(0)
	s_barrier
	s_waitcnt lgkmcnt(0)
	; wave barrier
	s_waitcnt vmcnt(0)
	v_mad_u64_u32 v[22:23], s[8:9], v23, v26, v[2:3]
	v_lshrrev_b32_e32 v37, 6, v22
	v_xor_b32_e32 v22, s3, v21
	v_xor_b32_e32 v21, s2, v21
	v_and_b32_e32 v23, v29, v22
	v_and_b32_e32 v22, v28, v21
	v_mbcnt_lo_u32_b32 v21, v22, 0
	v_mbcnt_hi_u32_b32 v26, v23, v21
	v_cmp_eq_u32_e32 vcc, 0, v26
	v_cmp_ne_u64_e64 s[2:3], 0, v[22:23]
	v_add_lshl_u32 v30, v37, v27, 2
	s_and_b64 s[8:9], s[2:3], vcc
	s_and_saveexec_b64 s[2:3], s[8:9]
	s_cbranch_execz .LBB1564_23
; %bb.22:
	v_bcnt_u32_b32 v21, v22, 0
	v_bcnt_u32_b32 v21, v23, v21
	ds_write_b32 v30, v21 offset:64
.LBB1564_23:
	s_or_b64 exec, exec, s[2:3]
	v_xor_b32_e32 v7, 0x80000000, v7
	v_lshrrev_b64 v[22:23], s20, v[6:7]
	v_and_b32_e32 v22, s30, v22
	v_lshl_add_u32 v21, v22, 4, v22
	v_add_lshl_u32 v31, v37, v21, 2
	v_and_b32_e32 v21, 1, v22
	v_add_co_u32_e32 v23, vcc, -1, v21
	v_addc_co_u32_e64 v28, s[2:3], 0, -1, vcc
	v_cmp_ne_u32_e32 vcc, 0, v21
	v_xor_b32_e32 v21, vcc_hi, v28
	v_and_b32_e32 v28, exec_hi, v21
	v_lshlrev_b32_e32 v21, 30, v22
	v_xor_b32_e32 v23, vcc_lo, v23
	v_cmp_gt_i64_e32 vcc, 0, v[20:21]
	v_not_b32_e32 v21, v21
	v_ashrrev_i32_e32 v21, 31, v21
	v_and_b32_e32 v23, exec_lo, v23
	v_xor_b32_e32 v29, vcc_hi, v21
	v_xor_b32_e32 v21, vcc_lo, v21
	v_and_b32_e32 v23, v23, v21
	v_lshlrev_b32_e32 v21, 29, v22
	v_cmp_gt_i64_e32 vcc, 0, v[20:21]
	v_not_b32_e32 v21, v21
	v_ashrrev_i32_e32 v21, 31, v21
	v_and_b32_e32 v28, v28, v29
	v_xor_b32_e32 v29, vcc_hi, v21
	v_xor_b32_e32 v21, vcc_lo, v21
	v_and_b32_e32 v23, v23, v21
	v_lshlrev_b32_e32 v21, 28, v22
	v_cmp_gt_i64_e32 vcc, 0, v[20:21]
	v_not_b32_e32 v21, v21
	v_ashrrev_i32_e32 v21, 31, v21
	v_and_b32_e32 v28, v28, v29
	;; [unrolled: 8-line block ×5, first 2 shown]
	v_xor_b32_e32 v29, vcc_hi, v21
	v_xor_b32_e32 v21, vcc_lo, v21
	v_and_b32_e32 v23, v23, v21
	v_lshlrev_b32_e32 v21, 24, v22
	v_cmp_gt_i64_e32 vcc, 0, v[20:21]
	v_not_b32_e32 v20, v21
	v_ashrrev_i32_e32 v20, 31, v20
	v_xor_b32_e32 v21, vcc_hi, v20
	v_xor_b32_e32 v20, vcc_lo, v20
	; wave barrier
	ds_read_b32 v27, v31 offset:64
	v_and_b32_e32 v28, v28, v29
	v_and_b32_e32 v20, v23, v20
	;; [unrolled: 1-line block ×3, first 2 shown]
	v_mbcnt_lo_u32_b32 v22, v20, 0
	v_mbcnt_hi_u32_b32 v28, v21, v22
	v_cmp_eq_u32_e32 vcc, 0, v28
	v_cmp_ne_u64_e64 s[2:3], 0, v[20:21]
	s_and_b64 s[8:9], s[2:3], vcc
	; wave barrier
	s_and_saveexec_b64 s[2:3], s[8:9]
	s_cbranch_execz .LBB1564_25
; %bb.24:
	v_bcnt_u32_b32 v20, v20, 0
	v_bcnt_u32_b32 v20, v21, v20
	s_waitcnt lgkmcnt(0)
	v_add_u32_e32 v20, v27, v20
	ds_write_b32 v31, v20 offset:64
.LBB1564_25:
	s_or_b64 exec, exec, s[2:3]
	v_xor_b32_e32 v9, 0x80000000, v9
	v_lshrrev_b64 v[20:21], s20, v[8:9]
	v_and_b32_e32 v22, s30, v20
	v_and_b32_e32 v21, 1, v22
	v_add_co_u32_e32 v23, vcc, -1, v21
	v_addc_co_u32_e64 v32, s[2:3], 0, -1, vcc
	v_cmp_ne_u32_e32 vcc, 0, v21
	v_lshl_add_u32 v20, v22, 4, v22
	v_xor_b32_e32 v21, vcc_hi, v32
	v_add_lshl_u32 v34, v37, v20, 2
	v_mov_b32_e32 v20, 0
	v_and_b32_e32 v32, exec_hi, v21
	v_lshlrev_b32_e32 v21, 30, v22
	v_xor_b32_e32 v23, vcc_lo, v23
	v_cmp_gt_i64_e32 vcc, 0, v[20:21]
	v_not_b32_e32 v21, v21
	v_ashrrev_i32_e32 v21, 31, v21
	v_and_b32_e32 v23, exec_lo, v23
	v_xor_b32_e32 v33, vcc_hi, v21
	v_xor_b32_e32 v21, vcc_lo, v21
	v_and_b32_e32 v23, v23, v21
	v_lshlrev_b32_e32 v21, 29, v22
	v_cmp_gt_i64_e32 vcc, 0, v[20:21]
	v_not_b32_e32 v21, v21
	v_ashrrev_i32_e32 v21, 31, v21
	v_and_b32_e32 v32, v32, v33
	v_xor_b32_e32 v33, vcc_hi, v21
	v_xor_b32_e32 v21, vcc_lo, v21
	v_and_b32_e32 v23, v23, v21
	v_lshlrev_b32_e32 v21, 28, v22
	v_cmp_gt_i64_e32 vcc, 0, v[20:21]
	v_not_b32_e32 v21, v21
	v_ashrrev_i32_e32 v21, 31, v21
	v_and_b32_e32 v32, v32, v33
	;; [unrolled: 8-line block ×5, first 2 shown]
	v_xor_b32_e32 v33, vcc_hi, v21
	v_xor_b32_e32 v21, vcc_lo, v21
	v_and_b32_e32 v32, v32, v33
	v_and_b32_e32 v33, v23, v21
	v_lshlrev_b32_e32 v21, 24, v22
	v_cmp_gt_i64_e32 vcc, 0, v[20:21]
	v_not_b32_e32 v21, v21
	v_ashrrev_i32_e32 v21, 31, v21
	v_xor_b32_e32 v22, vcc_hi, v21
	v_xor_b32_e32 v21, vcc_lo, v21
	; wave barrier
	ds_read_b32 v29, v34 offset:64
	v_and_b32_e32 v23, v32, v22
	v_and_b32_e32 v22, v33, v21
	v_mbcnt_lo_u32_b32 v21, v22, 0
	v_mbcnt_hi_u32_b32 v32, v23, v21
	v_cmp_eq_u32_e32 vcc, 0, v32
	v_cmp_ne_u64_e64 s[2:3], 0, v[22:23]
	s_and_b64 s[8:9], s[2:3], vcc
	; wave barrier
	s_and_saveexec_b64 s[2:3], s[8:9]
	s_cbranch_execz .LBB1564_27
; %bb.26:
	v_bcnt_u32_b32 v21, v22, 0
	v_bcnt_u32_b32 v21, v23, v21
	s_waitcnt lgkmcnt(0)
	v_add_u32_e32 v21, v29, v21
	ds_write_b32 v34, v21 offset:64
.LBB1564_27:
	s_or_b64 exec, exec, s[2:3]
	v_xor_b32_e32 v11, 0x80000000, v11
	v_lshrrev_b64 v[22:23], s20, v[10:11]
	v_and_b32_e32 v22, s30, v22
	v_lshl_add_u32 v21, v22, 4, v22
	v_add_lshl_u32 v38, v37, v21, 2
	v_and_b32_e32 v21, 1, v22
	v_add_co_u32_e32 v23, vcc, -1, v21
	v_addc_co_u32_e64 v35, s[2:3], 0, -1, vcc
	v_cmp_ne_u32_e32 vcc, 0, v21
	v_xor_b32_e32 v21, vcc_hi, v35
	v_and_b32_e32 v35, exec_hi, v21
	v_lshlrev_b32_e32 v21, 30, v22
	v_xor_b32_e32 v23, vcc_lo, v23
	v_cmp_gt_i64_e32 vcc, 0, v[20:21]
	v_not_b32_e32 v21, v21
	v_ashrrev_i32_e32 v21, 31, v21
	v_and_b32_e32 v23, exec_lo, v23
	v_xor_b32_e32 v36, vcc_hi, v21
	v_xor_b32_e32 v21, vcc_lo, v21
	v_and_b32_e32 v23, v23, v21
	v_lshlrev_b32_e32 v21, 29, v22
	v_cmp_gt_i64_e32 vcc, 0, v[20:21]
	v_not_b32_e32 v21, v21
	v_ashrrev_i32_e32 v21, 31, v21
	v_and_b32_e32 v35, v35, v36
	v_xor_b32_e32 v36, vcc_hi, v21
	v_xor_b32_e32 v21, vcc_lo, v21
	v_and_b32_e32 v23, v23, v21
	v_lshlrev_b32_e32 v21, 28, v22
	v_cmp_gt_i64_e32 vcc, 0, v[20:21]
	v_not_b32_e32 v21, v21
	v_ashrrev_i32_e32 v21, 31, v21
	v_and_b32_e32 v35, v35, v36
	;; [unrolled: 8-line block ×5, first 2 shown]
	v_xor_b32_e32 v36, vcc_hi, v21
	v_xor_b32_e32 v21, vcc_lo, v21
	v_and_b32_e32 v23, v23, v21
	v_lshlrev_b32_e32 v21, 24, v22
	v_cmp_gt_i64_e32 vcc, 0, v[20:21]
	v_not_b32_e32 v20, v21
	v_ashrrev_i32_e32 v20, 31, v20
	v_xor_b32_e32 v21, vcc_hi, v20
	v_xor_b32_e32 v20, vcc_lo, v20
	; wave barrier
	ds_read_b32 v33, v38 offset:64
	v_and_b32_e32 v35, v35, v36
	v_and_b32_e32 v20, v23, v20
	;; [unrolled: 1-line block ×3, first 2 shown]
	v_mbcnt_lo_u32_b32 v22, v20, 0
	v_mbcnt_hi_u32_b32 v35, v21, v22
	v_cmp_eq_u32_e32 vcc, 0, v35
	v_cmp_ne_u64_e64 s[2:3], 0, v[20:21]
	s_and_b64 s[8:9], s[2:3], vcc
	; wave barrier
	s_and_saveexec_b64 s[2:3], s[8:9]
	s_cbranch_execz .LBB1564_29
; %bb.28:
	v_bcnt_u32_b32 v20, v20, 0
	v_bcnt_u32_b32 v20, v21, v20
	s_waitcnt lgkmcnt(0)
	v_add_u32_e32 v20, v33, v20
	ds_write_b32 v38, v20 offset:64
.LBB1564_29:
	s_or_b64 exec, exec, s[2:3]
	v_xor_b32_e32 v13, 0x80000000, v13
	v_lshrrev_b64 v[20:21], s20, v[12:13]
	v_and_b32_e32 v22, s30, v20
	v_and_b32_e32 v21, 1, v22
	v_add_co_u32_e32 v23, vcc, -1, v21
	v_addc_co_u32_e64 v39, s[2:3], 0, -1, vcc
	v_cmp_ne_u32_e32 vcc, 0, v21
	v_lshl_add_u32 v20, v22, 4, v22
	v_xor_b32_e32 v21, vcc_hi, v39
	v_add_lshl_u32 v41, v37, v20, 2
	v_mov_b32_e32 v20, 0
	v_and_b32_e32 v39, exec_hi, v21
	v_lshlrev_b32_e32 v21, 30, v22
	v_xor_b32_e32 v23, vcc_lo, v23
	v_cmp_gt_i64_e32 vcc, 0, v[20:21]
	v_not_b32_e32 v21, v21
	v_ashrrev_i32_e32 v21, 31, v21
	v_and_b32_e32 v23, exec_lo, v23
	v_xor_b32_e32 v40, vcc_hi, v21
	v_xor_b32_e32 v21, vcc_lo, v21
	v_and_b32_e32 v23, v23, v21
	v_lshlrev_b32_e32 v21, 29, v22
	v_cmp_gt_i64_e32 vcc, 0, v[20:21]
	v_not_b32_e32 v21, v21
	v_ashrrev_i32_e32 v21, 31, v21
	v_and_b32_e32 v39, v39, v40
	v_xor_b32_e32 v40, vcc_hi, v21
	v_xor_b32_e32 v21, vcc_lo, v21
	v_and_b32_e32 v23, v23, v21
	v_lshlrev_b32_e32 v21, 28, v22
	v_cmp_gt_i64_e32 vcc, 0, v[20:21]
	v_not_b32_e32 v21, v21
	v_ashrrev_i32_e32 v21, 31, v21
	v_and_b32_e32 v39, v39, v40
	;; [unrolled: 8-line block ×5, first 2 shown]
	v_xor_b32_e32 v40, vcc_hi, v21
	v_xor_b32_e32 v21, vcc_lo, v21
	v_and_b32_e32 v39, v39, v40
	v_and_b32_e32 v40, v23, v21
	v_lshlrev_b32_e32 v21, 24, v22
	v_cmp_gt_i64_e32 vcc, 0, v[20:21]
	v_not_b32_e32 v21, v21
	v_ashrrev_i32_e32 v21, 31, v21
	v_xor_b32_e32 v22, vcc_hi, v21
	v_xor_b32_e32 v21, vcc_lo, v21
	; wave barrier
	ds_read_b32 v36, v41 offset:64
	v_and_b32_e32 v23, v39, v22
	v_and_b32_e32 v22, v40, v21
	v_mbcnt_lo_u32_b32 v21, v22, 0
	v_mbcnt_hi_u32_b32 v39, v23, v21
	v_cmp_eq_u32_e32 vcc, 0, v39
	v_cmp_ne_u64_e64 s[2:3], 0, v[22:23]
	s_and_b64 s[8:9], s[2:3], vcc
	; wave barrier
	s_and_saveexec_b64 s[2:3], s[8:9]
	s_cbranch_execz .LBB1564_31
; %bb.30:
	v_bcnt_u32_b32 v21, v22, 0
	v_bcnt_u32_b32 v21, v23, v21
	s_waitcnt lgkmcnt(0)
	v_add_u32_e32 v21, v36, v21
	ds_write_b32 v41, v21 offset:64
.LBB1564_31:
	s_or_b64 exec, exec, s[2:3]
	v_xor_b32_e32 v15, 0x80000000, v15
	v_lshrrev_b64 v[22:23], s20, v[14:15]
	v_and_b32_e32 v22, s30, v22
	v_lshl_add_u32 v21, v22, 4, v22
	v_add_lshl_u32 v44, v37, v21, 2
	v_and_b32_e32 v21, 1, v22
	v_add_co_u32_e32 v23, vcc, -1, v21
	v_addc_co_u32_e64 v42, s[2:3], 0, -1, vcc
	v_cmp_ne_u32_e32 vcc, 0, v21
	v_xor_b32_e32 v21, vcc_hi, v42
	v_and_b32_e32 v42, exec_hi, v21
	v_lshlrev_b32_e32 v21, 30, v22
	v_xor_b32_e32 v23, vcc_lo, v23
	v_cmp_gt_i64_e32 vcc, 0, v[20:21]
	v_not_b32_e32 v21, v21
	v_ashrrev_i32_e32 v21, 31, v21
	v_and_b32_e32 v23, exec_lo, v23
	v_xor_b32_e32 v43, vcc_hi, v21
	v_xor_b32_e32 v21, vcc_lo, v21
	v_and_b32_e32 v23, v23, v21
	v_lshlrev_b32_e32 v21, 29, v22
	v_cmp_gt_i64_e32 vcc, 0, v[20:21]
	v_not_b32_e32 v21, v21
	v_ashrrev_i32_e32 v21, 31, v21
	v_and_b32_e32 v42, v42, v43
	v_xor_b32_e32 v43, vcc_hi, v21
	v_xor_b32_e32 v21, vcc_lo, v21
	v_and_b32_e32 v23, v23, v21
	v_lshlrev_b32_e32 v21, 28, v22
	v_cmp_gt_i64_e32 vcc, 0, v[20:21]
	v_not_b32_e32 v21, v21
	v_ashrrev_i32_e32 v21, 31, v21
	v_and_b32_e32 v42, v42, v43
	;; [unrolled: 8-line block ×5, first 2 shown]
	v_xor_b32_e32 v43, vcc_hi, v21
	v_xor_b32_e32 v21, vcc_lo, v21
	v_and_b32_e32 v23, v23, v21
	v_lshlrev_b32_e32 v21, 24, v22
	v_cmp_gt_i64_e32 vcc, 0, v[20:21]
	v_not_b32_e32 v20, v21
	v_ashrrev_i32_e32 v20, 31, v20
	v_xor_b32_e32 v21, vcc_hi, v20
	v_xor_b32_e32 v20, vcc_lo, v20
	; wave barrier
	ds_read_b32 v40, v44 offset:64
	v_and_b32_e32 v42, v42, v43
	v_and_b32_e32 v20, v23, v20
	;; [unrolled: 1-line block ×3, first 2 shown]
	v_mbcnt_lo_u32_b32 v22, v20, 0
	v_mbcnt_hi_u32_b32 v42, v21, v22
	v_cmp_eq_u32_e32 vcc, 0, v42
	v_cmp_ne_u64_e64 s[2:3], 0, v[20:21]
	s_and_b64 s[8:9], s[2:3], vcc
	; wave barrier
	s_and_saveexec_b64 s[2:3], s[8:9]
	s_cbranch_execz .LBB1564_33
; %bb.32:
	v_bcnt_u32_b32 v20, v20, 0
	v_bcnt_u32_b32 v20, v21, v20
	s_waitcnt lgkmcnt(0)
	v_add_u32_e32 v20, v40, v20
	ds_write_b32 v44, v20 offset:64
.LBB1564_33:
	s_or_b64 exec, exec, s[2:3]
	v_xor_b32_e32 v17, 0x80000000, v17
	v_lshrrev_b64 v[20:21], s20, v[16:17]
	v_and_b32_e32 v22, s30, v20
	v_and_b32_e32 v21, 1, v22
	v_add_co_u32_e32 v23, vcc, -1, v21
	v_addc_co_u32_e64 v45, s[2:3], 0, -1, vcc
	v_cmp_ne_u32_e32 vcc, 0, v21
	v_lshl_add_u32 v20, v22, 4, v22
	v_xor_b32_e32 v21, vcc_hi, v45
	v_add_lshl_u32 v46, v37, v20, 2
	v_mov_b32_e32 v20, 0
	v_and_b32_e32 v45, exec_hi, v21
	v_lshlrev_b32_e32 v21, 30, v22
	v_xor_b32_e32 v23, vcc_lo, v23
	v_cmp_gt_i64_e32 vcc, 0, v[20:21]
	v_not_b32_e32 v21, v21
	v_ashrrev_i32_e32 v21, 31, v21
	v_and_b32_e32 v23, exec_lo, v23
	v_xor_b32_e32 v47, vcc_hi, v21
	v_xor_b32_e32 v21, vcc_lo, v21
	v_and_b32_e32 v23, v23, v21
	v_lshlrev_b32_e32 v21, 29, v22
	v_cmp_gt_i64_e32 vcc, 0, v[20:21]
	v_not_b32_e32 v21, v21
	v_ashrrev_i32_e32 v21, 31, v21
	v_and_b32_e32 v45, v45, v47
	v_xor_b32_e32 v47, vcc_hi, v21
	v_xor_b32_e32 v21, vcc_lo, v21
	v_and_b32_e32 v23, v23, v21
	v_lshlrev_b32_e32 v21, 28, v22
	v_cmp_gt_i64_e32 vcc, 0, v[20:21]
	v_not_b32_e32 v21, v21
	v_ashrrev_i32_e32 v21, 31, v21
	v_and_b32_e32 v45, v45, v47
	;; [unrolled: 8-line block ×5, first 2 shown]
	v_xor_b32_e32 v47, vcc_hi, v21
	v_xor_b32_e32 v21, vcc_lo, v21
	v_and_b32_e32 v45, v45, v47
	v_and_b32_e32 v47, v23, v21
	v_lshlrev_b32_e32 v21, 24, v22
	v_cmp_gt_i64_e32 vcc, 0, v[20:21]
	v_not_b32_e32 v21, v21
	v_ashrrev_i32_e32 v21, 31, v21
	v_xor_b32_e32 v22, vcc_hi, v21
	v_xor_b32_e32 v21, vcc_lo, v21
	; wave barrier
	ds_read_b32 v43, v46 offset:64
	v_and_b32_e32 v23, v45, v22
	v_and_b32_e32 v22, v47, v21
	v_mbcnt_lo_u32_b32 v21, v22, 0
	v_mbcnt_hi_u32_b32 v45, v23, v21
	v_cmp_eq_u32_e32 vcc, 0, v45
	v_cmp_ne_u64_e64 s[2:3], 0, v[22:23]
	s_and_b64 s[8:9], s[2:3], vcc
	; wave barrier
	s_and_saveexec_b64 s[2:3], s[8:9]
	s_cbranch_execz .LBB1564_35
; %bb.34:
	v_bcnt_u32_b32 v21, v22, 0
	v_bcnt_u32_b32 v21, v23, v21
	s_waitcnt lgkmcnt(0)
	v_add_u32_e32 v21, v43, v21
	ds_write_b32 v46, v21 offset:64
.LBB1564_35:
	s_or_b64 exec, exec, s[2:3]
	v_xor_b32_e32 v19, 0x80000000, v19
	v_lshrrev_b64 v[22:23], s20, v[18:19]
	v_and_b32_e32 v22, s30, v22
	v_lshl_add_u32 v21, v22, 4, v22
	v_add_lshl_u32 v48, v37, v21, 2
	v_and_b32_e32 v21, 1, v22
	v_add_co_u32_e32 v23, vcc, -1, v21
	v_addc_co_u32_e64 v47, s[2:3], 0, -1, vcc
	v_cmp_ne_u32_e32 vcc, 0, v21
	v_xor_b32_e32 v21, vcc_hi, v47
	v_and_b32_e32 v47, exec_hi, v21
	v_lshlrev_b32_e32 v21, 30, v22
	v_xor_b32_e32 v23, vcc_lo, v23
	v_cmp_gt_i64_e32 vcc, 0, v[20:21]
	v_not_b32_e32 v21, v21
	v_ashrrev_i32_e32 v21, 31, v21
	v_and_b32_e32 v23, exec_lo, v23
	v_xor_b32_e32 v50, vcc_hi, v21
	v_xor_b32_e32 v21, vcc_lo, v21
	v_and_b32_e32 v23, v23, v21
	v_lshlrev_b32_e32 v21, 29, v22
	v_cmp_gt_i64_e32 vcc, 0, v[20:21]
	v_not_b32_e32 v21, v21
	v_ashrrev_i32_e32 v21, 31, v21
	v_and_b32_e32 v47, v47, v50
	v_xor_b32_e32 v50, vcc_hi, v21
	v_xor_b32_e32 v21, vcc_lo, v21
	v_and_b32_e32 v23, v23, v21
	v_lshlrev_b32_e32 v21, 28, v22
	v_cmp_gt_i64_e32 vcc, 0, v[20:21]
	v_not_b32_e32 v21, v21
	v_ashrrev_i32_e32 v21, 31, v21
	v_and_b32_e32 v47, v47, v50
	;; [unrolled: 8-line block ×5, first 2 shown]
	v_xor_b32_e32 v50, vcc_hi, v21
	v_xor_b32_e32 v21, vcc_lo, v21
	v_and_b32_e32 v23, v23, v21
	v_lshlrev_b32_e32 v21, 24, v22
	v_cmp_gt_i64_e32 vcc, 0, v[20:21]
	v_not_b32_e32 v20, v21
	v_ashrrev_i32_e32 v20, 31, v20
	v_xor_b32_e32 v21, vcc_hi, v20
	v_xor_b32_e32 v20, vcc_lo, v20
	; wave barrier
	ds_read_b32 v37, v48 offset:64
	v_and_b32_e32 v47, v47, v50
	v_and_b32_e32 v20, v23, v20
	;; [unrolled: 1-line block ×3, first 2 shown]
	v_mbcnt_lo_u32_b32 v22, v20, 0
	v_mbcnt_hi_u32_b32 v47, v21, v22
	v_cmp_eq_u32_e32 vcc, 0, v47
	v_cmp_ne_u64_e64 s[2:3], 0, v[20:21]
	v_add_u32_e32 v49, 64, v25
	s_and_b64 s[8:9], s[2:3], vcc
	; wave barrier
	s_and_saveexec_b64 s[2:3], s[8:9]
	s_cbranch_execz .LBB1564_37
; %bb.36:
	v_bcnt_u32_b32 v20, v20, 0
	v_bcnt_u32_b32 v20, v21, v20
	s_waitcnt lgkmcnt(0)
	v_add_u32_e32 v20, v37, v20
	ds_write_b32 v48, v20 offset:64
.LBB1564_37:
	s_or_b64 exec, exec, s[2:3]
	; wave barrier
	s_waitcnt lgkmcnt(0)
	s_barrier
	ds_read2_b32 v[22:23], v25 offset0:16 offset1:17
	ds_read2_b32 v[20:21], v49 offset0:2 offset1:3
	ds_read_b32 v50, v49 offset:16
	v_cmp_lt_u32_e64 s[12:13], 31, v24
	s_waitcnt lgkmcnt(1)
	v_add3_u32 v51, v23, v22, v20
	s_waitcnt lgkmcnt(0)
	v_add3_u32 v50, v51, v21, v50
	v_and_b32_e32 v51, 15, v24
	v_cmp_eq_u32_e32 vcc, 0, v51
	v_mov_b32_dpp v52, v50 row_shr:1 row_mask:0xf bank_mask:0xf
	v_cndmask_b32_e64 v52, v52, 0, vcc
	v_add_u32_e32 v50, v52, v50
	v_cmp_lt_u32_e64 s[2:3], 1, v51
	v_cmp_lt_u32_e64 s[10:11], 3, v51
	v_mov_b32_dpp v52, v50 row_shr:2 row_mask:0xf bank_mask:0xf
	v_cndmask_b32_e64 v52, 0, v52, s[2:3]
	v_add_u32_e32 v50, v50, v52
	v_cmp_lt_u32_e64 s[8:9], 7, v51
	s_nop 0
	v_mov_b32_dpp v52, v50 row_shr:4 row_mask:0xf bank_mask:0xf
	v_cndmask_b32_e64 v52, 0, v52, s[10:11]
	v_add_u32_e32 v50, v50, v52
	s_nop 1
	v_mov_b32_dpp v52, v50 row_shr:8 row_mask:0xf bank_mask:0xf
	v_cndmask_b32_e64 v51, 0, v52, s[8:9]
	v_add_u32_e32 v50, v50, v51
	v_bfe_i32 v52, v24, 4, 1
	s_nop 0
	v_mov_b32_dpp v51, v50 row_bcast:15 row_mask:0xf bank_mask:0xf
	v_and_b32_e32 v51, v52, v51
	v_add_u32_e32 v50, v50, v51
	v_and_b32_e32 v52, 63, v2
	s_nop 0
	v_mov_b32_dpp v51, v50 row_bcast:31 row_mask:0xf bank_mask:0xf
	v_cndmask_b32_e64 v51, 0, v51, s[12:13]
	v_add_u32_e32 v50, v50, v51
	v_lshrrev_b32_e32 v51, 6, v2
	v_cmp_eq_u32_e64 s[12:13], 63, v52
	s_and_saveexec_b64 s[22:23], s[12:13]
	s_cbranch_execz .LBB1564_39
; %bb.38:
	v_lshlrev_b32_e32 v52, 2, v51
	ds_write_b32 v52, v50
.LBB1564_39:
	s_or_b64 exec, exec, s[22:23]
	v_cmp_gt_u32_e64 s[12:13], 16, v2
	s_waitcnt lgkmcnt(0)
	s_barrier
	s_and_saveexec_b64 s[22:23], s[12:13]
	s_cbranch_execz .LBB1564_41
; %bb.40:
	v_lshlrev_b32_e32 v52, 2, v2
	ds_read_b32 v53, v52
	s_waitcnt lgkmcnt(0)
	s_nop 0
	v_mov_b32_dpp v54, v53 row_shr:1 row_mask:0xf bank_mask:0xf
	v_cndmask_b32_e64 v54, v54, 0, vcc
	v_add_u32_e32 v53, v54, v53
	s_nop 1
	v_mov_b32_dpp v54, v53 row_shr:2 row_mask:0xf bank_mask:0xf
	v_cndmask_b32_e64 v54, 0, v54, s[2:3]
	v_add_u32_e32 v53, v53, v54
	s_nop 1
	v_mov_b32_dpp v54, v53 row_shr:4 row_mask:0xf bank_mask:0xf
	v_cndmask_b32_e64 v54, 0, v54, s[10:11]
	;; [unrolled: 4-line block ×3, first 2 shown]
	v_add_u32_e32 v53, v53, v54
	ds_write_b32 v52, v53
.LBB1564_41:
	s_or_b64 exec, exec, s[22:23]
	v_cmp_lt_u32_e32 vcc, 63, v2
	v_mov_b32_e32 v52, 0
	s_waitcnt lgkmcnt(0)
	s_barrier
	s_and_saveexec_b64 s[2:3], vcc
	s_cbranch_execz .LBB1564_43
; %bb.42:
	v_lshl_add_u32 v51, v51, 2, -4
	ds_read_b32 v52, v51
.LBB1564_43:
	s_or_b64 exec, exec, s[2:3]
	v_add_u32_e32 v51, -1, v24
	v_and_b32_e32 v53, 64, v24
	v_cmp_lt_i32_e32 vcc, v51, v53
	v_cndmask_b32_e32 v51, v51, v24, vcc
	s_waitcnt lgkmcnt(0)
	v_add_u32_e32 v50, v52, v50
	v_lshlrev_b32_e32 v51, 2, v51
	ds_bpermute_b32 v50, v51, v50
	v_cmp_eq_u32_e32 vcc, 0, v24
	s_movk_i32 s2, 0x100
	s_waitcnt lgkmcnt(0)
	v_cndmask_b32_e32 v24, v50, v52, vcc
	v_cndmask_b32_e64 v24, v24, 0, s[0:1]
	v_add_u32_e32 v22, v24, v22
	v_add_u32_e32 v23, v22, v23
	;; [unrolled: 1-line block ×4, first 2 shown]
	ds_write2_b32 v25, v24, v22 offset0:16 offset1:17
	ds_write2_b32 v49, v23, v20 offset0:2 offset1:3
	ds_write_b32 v49, v21 offset:16
	s_waitcnt lgkmcnt(0)
	s_barrier
	ds_read_b32 v50, v30 offset:64
	ds_read_b32 v49, v31 offset:64
	;; [unrolled: 1-line block ×8, first 2 shown]
	v_cmp_gt_u32_e32 vcc, s2, v2
                                        ; implicit-def: $vgpr30
                                        ; implicit-def: $vgpr31
	s_and_saveexec_b64 s[8:9], vcc
	s_cbranch_execz .LBB1564_47
; %bb.44:
	v_mul_u32_u24_e32 v20, 17, v2
	v_lshlrev_b32_e32 v21, 2, v20
	ds_read_b32 v30, v21 offset:64
	s_movk_i32 s2, 0xff
	v_cmp_ne_u32_e64 s[2:3], s2, v2
	v_mov_b32_e32 v20, 0x2000
	s_and_saveexec_b64 s[10:11], s[2:3]
	s_cbranch_execz .LBB1564_46
; %bb.45:
	ds_read_b32 v20, v21 offset:132
.LBB1564_46:
	s_or_b64 exec, exec, s[10:11]
	s_waitcnt lgkmcnt(0)
	v_sub_u32_e32 v31, v20, v30
.LBB1564_47:
	s_or_b64 exec, exec, s[8:9]
	s_waitcnt lgkmcnt(0)
	s_barrier
	s_and_saveexec_b64 s[8:9], vcc
	s_cbranch_execz .LBB1564_57
; %bb.48:
	v_lshl_or_b32 v20, s28, 8, v2
	v_mov_b32_e32 v21, 0
	v_lshlrev_b64 v[22:23], 2, v[20:21]
	v_mov_b32_e32 v51, s15
	v_add_co_u32_e64 v22, s[2:3], s14, v22
	v_addc_co_u32_e64 v23, s[2:3], v51, v23, s[2:3]
	v_or_b32_e32 v20, 2.0, v31
	s_mov_b64 s[10:11], 0
	s_brev_b32 s31, 1
	s_mov_b32 s33, s28
	v_mov_b32_e32 v52, 0
	global_store_dword v[22:23], v20, off
                                        ; implicit-def: $sgpr2_sgpr3
	s_branch .LBB1564_50
.LBB1564_49:                            ;   in Loop: Header=BB1564_50 Depth=1
	s_or_b64 exec, exec, s[12:13]
	v_and_b32_e32 v24, 0x3fffffff, v53
	v_add_u32_e32 v52, v24, v52
	v_cmp_eq_u32_e64 s[2:3], s31, v20
	s_and_b64 s[12:13], exec, s[2:3]
	s_or_b64 s[10:11], s[12:13], s[10:11]
	s_andn2_b64 exec, exec, s[10:11]
	s_cbranch_execz .LBB1564_56
.LBB1564_50:                            ; =>This Loop Header: Depth=1
                                        ;     Child Loop BB1564_53 Depth 2
	s_or_b64 s[2:3], s[2:3], exec
	s_cmp_eq_u32 s33, 0
	s_cbranch_scc1 .LBB1564_55
; %bb.51:                               ;   in Loop: Header=BB1564_50 Depth=1
	s_add_i32 s33, s33, -1
	v_lshl_or_b32 v20, s33, 8, v2
	v_lshlrev_b64 v[24:25], 2, v[20:21]
	v_add_co_u32_e64 v24, s[2:3], s14, v24
	v_addc_co_u32_e64 v25, s[2:3], v51, v25, s[2:3]
	global_load_dword v53, v[24:25], off glc
	s_waitcnt vmcnt(0)
	v_and_b32_e32 v20, -2.0, v53
	v_cmp_eq_u32_e64 s[2:3], 0, v20
	s_and_saveexec_b64 s[12:13], s[2:3]
	s_cbranch_execz .LBB1564_49
; %bb.52:                               ;   in Loop: Header=BB1564_50 Depth=1
	s_mov_b64 s[22:23], 0
.LBB1564_53:                            ;   Parent Loop BB1564_50 Depth=1
                                        ; =>  This Inner Loop Header: Depth=2
	global_load_dword v53, v[24:25], off glc
	s_waitcnt vmcnt(0)
	v_and_b32_e32 v20, -2.0, v53
	v_cmp_ne_u32_e64 s[2:3], 0, v20
	s_or_b64 s[22:23], s[2:3], s[22:23]
	s_andn2_b64 exec, exec, s[22:23]
	s_cbranch_execnz .LBB1564_53
; %bb.54:                               ;   in Loop: Header=BB1564_50 Depth=1
	s_or_b64 exec, exec, s[22:23]
	s_branch .LBB1564_49
.LBB1564_55:                            ;   in Loop: Header=BB1564_50 Depth=1
                                        ; implicit-def: $sgpr33
	s_and_b64 s[12:13], exec, s[2:3]
	s_or_b64 s[10:11], s[12:13], s[10:11]
	s_andn2_b64 exec, exec, s[10:11]
	s_cbranch_execnz .LBB1564_50
.LBB1564_56:
	s_or_b64 exec, exec, s[10:11]
	v_add_u32_e32 v20, v52, v31
	v_or_b32_e32 v20, 0x80000000, v20
	global_store_dword v[22:23], v20, off
	v_lshlrev_b32_e32 v20, 2, v2
	global_load_dword v21, v20, s[16:17]
	v_sub_u32_e32 v22, v52, v30
	s_waitcnt vmcnt(0)
	v_add_u32_e32 v21, v22, v21
	ds_write_b32 v20, v21
.LBB1564_57:
	s_or_b64 exec, exec, s[8:9]
	v_add_u32_e32 v22, v50, v26
	s_movk_i32 s10, 0x400
	v_add_u32_e32 v23, 0x400, v3
	v_add3_u32 v24, v47, v48, v37
	v_add3_u32 v25, v45, v46, v43
	;; [unrolled: 1-line block ×7, first 2 shown]
	s_mov_b32 s11, 0
	v_mov_b32_e32 v21, 0
	v_mov_b32_e32 v28, v2
	s_branch .LBB1564_59
.LBB1564_58:                            ;   in Loop: Header=BB1564_59 Depth=1
	s_or_b64 exec, exec, s[8:9]
	s_addk_i32 s11, 0xf800
	s_cmpk_eq_i32 s11, 0xe000
	v_add_u32_e32 v28, 0x800, v28
	s_barrier
	s_cbranch_scc1 .LBB1564_64
.LBB1564_59:                            ; =>This Inner Loop Header: Depth=1
	v_add_u32_e32 v20, s11, v22
	v_min_u32_e32 v20, 0x800, v20
	v_lshlrev_b32_e32 v20, 3, v20
	ds_write_b64 v20, v[4:5] offset:1024
	v_add_u32_e32 v20, s11, v27
	v_min_u32_e32 v20, 0x800, v20
	v_lshlrev_b32_e32 v20, 3, v20
	ds_write_b64 v20, v[6:7] offset:1024
	;; [unrolled: 4-line block ×7, first 2 shown]
	v_add_u32_e32 v20, s11, v24
	v_min_u32_e32 v20, 0x800, v20
	v_lshlrev_b32_e32 v20, 3, v20
	v_cmp_gt_u32_e64 s[2:3], s7, v28
	ds_write_b64 v20, v[18:19] offset:1024
	s_waitcnt lgkmcnt(0)
	s_barrier
	s_and_saveexec_b64 s[8:9], s[2:3]
	s_cbranch_execz .LBB1564_61
; %bb.60:                               ;   in Loop: Header=BB1564_59 Depth=1
	ds_read_b64 v[34:35], v3 offset:1024
	v_mov_b32_e32 v32, s27
	s_waitcnt lgkmcnt(0)
	v_lshrrev_b64 v[38:39], s20, v[34:35]
	v_and_b32_e32 v20, s30, v38
	v_lshlrev_b32_e32 v20, 2, v20
	ds_read_b32 v20, v20
	v_xor_b32_e32 v35, 0x80000000, v35
	s_waitcnt lgkmcnt(0)
	v_add_u32_e32 v20, v28, v20
	v_lshlrev_b64 v[38:39], 3, v[20:21]
	v_add_co_u32_e64 v38, s[2:3], s26, v38
	v_addc_co_u32_e64 v39, s[2:3], v32, v39, s[2:3]
	global_store_dwordx2 v[38:39], v[34:35], off
.LBB1564_61:                            ;   in Loop: Header=BB1564_59 Depth=1
	s_or_b64 exec, exec, s[8:9]
	v_add_u32_e32 v20, 0x400, v28
	v_cmp_gt_u32_e64 s[2:3], s7, v20
	s_and_saveexec_b64 s[8:9], s[2:3]
	s_cbranch_execz .LBB1564_58
; %bb.62:                               ;   in Loop: Header=BB1564_59 Depth=1
	ds_read_b64 v[34:35], v23 offset:8192
	v_mov_b32_e32 v32, s27
	s_waitcnt lgkmcnt(0)
	v_lshrrev_b64 v[38:39], s20, v[34:35]
	v_and_b32_e32 v20, s30, v38
	v_lshlrev_b32_e32 v20, 2, v20
	ds_read_b32 v20, v20
	v_xor_b32_e32 v35, 0x80000000, v35
	s_waitcnt lgkmcnt(0)
	v_add3_u32 v20, v28, v20, s10
	v_lshlrev_b64 v[38:39], 3, v[20:21]
	v_add_co_u32_e64 v38, s[2:3], s26, v38
	v_addc_co_u32_e64 v39, s[2:3], v32, v39, s[2:3]
	global_store_dwordx2 v[38:39], v[34:35], off
	s_branch .LBB1564_58
.LBB1564_63:
	s_mov_b64 s[10:11], 0
                                        ; implicit-def: $vgpr4
	s_cbranch_execnz .LBB1564_67
	s_branch .LBB1564_108
.LBB1564_64:
	s_add_i32 s29, s29, -1
	s_cmp_eq_u32 s29, s28
	s_cselect_b64 s[2:3], -1, 0
	s_and_b64 s[8:9], vcc, s[2:3]
	s_mov_b64 s[2:3], 0
	s_mov_b64 s[10:11], 0
                                        ; implicit-def: $vgpr4
	s_and_saveexec_b64 s[12:13], s[8:9]
	s_xor_b64 s[8:9], exec, s[12:13]
; %bb.65:
	s_mov_b64 s[10:11], exec
	v_add_u32_e32 v4, v30, v31
; %bb.66:
	s_or_b64 exec, exec, s[8:9]
	s_and_b64 vcc, exec, s[2:3]
	s_cbranch_vccz .LBB1564_108
.LBB1564_67:
	s_lshl_b32 s2, s28, 13
	s_mov_b32 s3, 0
	v_mbcnt_hi_u32_b32 v22, -1, v1
	s_lshl_b64 s[2:3], s[2:3], 3
	v_and_b32_e32 v1, 63, v22
	s_add_u32 s2, s24, s2
	v_lshlrev_b32_e32 v1, 3, v1
	v_add_co_u32_e32 v1, vcc, s2, v1
	s_load_dword s22, s[4:5], 0x58
	s_load_dword s2, s[4:5], 0x64
	s_addc_u32 s3, s25, s3
	v_mov_b32_e32 v4, s3
	v_lshlrev_b32_e32 v5, 6, v2
	v_addc_co_u32_e32 v4, vcc, 0, v4, vcc
	v_and_b32_e32 v5, 0xf000, v5
	s_add_u32 s3, s4, 0x58
	v_add_co_u32_e32 v20, vcc, v1, v5
	s_addc_u32 s4, s5, 0
	s_waitcnt lgkmcnt(0)
	s_lshr_b32 s5, s2, 16
	v_addc_co_u32_e32 v21, vcc, 0, v4, vcc
	s_cmp_lt_u32 s6, s22
	global_load_dwordx2 v[4:5], v[20:21], off
	s_cselect_b32 s2, 12, 18
	s_add_u32 s2, s3, s2
	v_mov_b32_e32 v18, 0
	s_addc_u32 s3, s4, 0
	global_load_ushort v19, v18, s[2:3]
	v_mul_u32_u24_e32 v6, 5, v2
	v_lshlrev_b32_e32 v23, 2, v6
	v_bfe_u32 v1, v0, 10, 10
	v_bfe_u32 v0, v0, 20, 10
	ds_write2_b32 v23, v18, v18 offset0:16 offset1:17
	ds_write2_b32 v23, v18, v18 offset0:18 offset1:19
	ds_write_b32 v23, v18 offset:80
	v_mad_u32_u24 v24, v0, s5, v1
	global_load_dwordx2 v[0:1], v[20:21], off offset:512
	global_load_dwordx2 v[6:7], v[20:21], off offset:1024
	global_load_dwordx2 v[8:9], v[20:21], off offset:1536
	global_load_dwordx2 v[10:11], v[20:21], off offset:2048
	global_load_dwordx2 v[12:13], v[20:21], off offset:2560
	global_load_dwordx2 v[14:15], v[20:21], off offset:3072
	global_load_dwordx2 v[16:17], v[20:21], off offset:3584
	s_lshl_b32 s2, -1, s21
	s_not_b32 s21, s2
	s_waitcnt lgkmcnt(0)
	s_barrier
	s_waitcnt lgkmcnt(0)
	; wave barrier
	s_waitcnt vmcnt(8)
	v_xor_b32_e32 v5, 0x80000000, v5
	v_lshrrev_b64 v[20:21], s20, v[4:5]
	v_and_b32_e32 v25, s21, v20
	s_waitcnt vmcnt(7)
	v_mad_u64_u32 v[20:21], s[2:3], v24, v19, v[2:3]
	v_and_b32_e32 v24, 1, v25
	v_lshrrev_b32_e32 v32, 6, v20
	v_add_co_u32_e32 v20, vcc, -1, v24
	v_lshlrev_b32_e32 v19, 30, v25
	v_addc_co_u32_e64 v27, s[2:3], 0, -1, vcc
	v_lshl_add_u32 v21, v25, 4, v25
	v_cmp_ne_u32_e32 vcc, 0, v24
	v_cmp_gt_i64_e64 s[2:3], 0, v[18:19]
	v_not_b32_e32 v24, v19
	v_lshlrev_b32_e32 v19, 29, v25
	v_add_lshl_u32 v26, v32, v21, 2
	v_xor_b32_e32 v21, vcc_hi, v27
	v_xor_b32_e32 v20, vcc_lo, v20
	v_ashrrev_i32_e32 v24, 31, v24
	v_cmp_gt_i64_e32 vcc, 0, v[18:19]
	v_not_b32_e32 v27, v19
	v_lshlrev_b32_e32 v19, 28, v25
	v_and_b32_e32 v21, exec_hi, v21
	v_and_b32_e32 v20, exec_lo, v20
	v_xor_b32_e32 v28, s3, v24
	v_xor_b32_e32 v24, s2, v24
	v_ashrrev_i32_e32 v27, 31, v27
	v_cmp_gt_i64_e64 s[2:3], 0, v[18:19]
	v_not_b32_e32 v29, v19
	v_lshlrev_b32_e32 v19, 27, v25
	v_and_b32_e32 v21, v21, v28
	v_and_b32_e32 v20, v20, v24
	v_xor_b32_e32 v24, vcc_hi, v27
	v_xor_b32_e32 v27, vcc_lo, v27
	v_ashrrev_i32_e32 v28, 31, v29
	v_cmp_gt_i64_e32 vcc, 0, v[18:19]
	v_not_b32_e32 v19, v19
	v_and_b32_e32 v21, v21, v24
	v_and_b32_e32 v20, v20, v27
	v_xor_b32_e32 v24, s3, v28
	v_xor_b32_e32 v27, s2, v28
	v_ashrrev_i32_e32 v19, 31, v19
	v_and_b32_e32 v21, v21, v24
	v_and_b32_e32 v20, v20, v27
	v_xor_b32_e32 v24, vcc_hi, v19
	v_xor_b32_e32 v19, vcc_lo, v19
	v_and_b32_e32 v20, v20, v19
	v_lshlrev_b32_e32 v19, 26, v25
	v_cmp_gt_i64_e32 vcc, 0, v[18:19]
	v_not_b32_e32 v19, v19
	v_ashrrev_i32_e32 v19, 31, v19
	v_and_b32_e32 v21, v21, v24
	v_xor_b32_e32 v24, vcc_hi, v19
	v_xor_b32_e32 v19, vcc_lo, v19
	v_and_b32_e32 v20, v20, v19
	v_lshlrev_b32_e32 v19, 25, v25
	v_cmp_gt_i64_e32 vcc, 0, v[18:19]
	v_not_b32_e32 v19, v19
	v_ashrrev_i32_e32 v19, 31, v19
	;; [unrolled: 8-line block ×3, first 2 shown]
	v_and_b32_e32 v21, v21, v24
	v_xor_b32_e32 v24, vcc_hi, v19
	v_xor_b32_e32 v19, vcc_lo, v19
	v_and_b32_e32 v20, v20, v19
	v_and_b32_e32 v21, v21, v24
	v_mbcnt_lo_u32_b32 v19, v20, 0
	v_mbcnt_hi_u32_b32 v24, v21, v19
	v_cmp_eq_u32_e32 vcc, 0, v24
	v_cmp_ne_u64_e64 s[2:3], 0, v[20:21]
	s_and_b64 s[4:5], s[2:3], vcc
	s_and_saveexec_b64 s[2:3], s[4:5]
	s_cbranch_execz .LBB1564_69
; %bb.68:
	v_bcnt_u32_b32 v19, v20, 0
	v_bcnt_u32_b32 v19, v21, v19
	ds_write_b32 v26, v19 offset:64
.LBB1564_69:
	s_or_b64 exec, exec, s[2:3]
	s_waitcnt vmcnt(6)
	v_xor_b32_e32 v1, 0x80000000, v1
	v_lshrrev_b64 v[20:21], s20, v[0:1]
	v_and_b32_e32 v20, s21, v20
	v_lshl_add_u32 v19, v20, 4, v20
	v_add_lshl_u32 v29, v32, v19, 2
	v_and_b32_e32 v19, 1, v20
	v_add_co_u32_e32 v21, vcc, -1, v19
	v_addc_co_u32_e64 v27, s[2:3], 0, -1, vcc
	v_cmp_ne_u32_e32 vcc, 0, v19
	v_xor_b32_e32 v19, vcc_hi, v27
	v_and_b32_e32 v27, exec_hi, v19
	v_lshlrev_b32_e32 v19, 30, v20
	v_xor_b32_e32 v21, vcc_lo, v21
	v_cmp_gt_i64_e32 vcc, 0, v[18:19]
	v_not_b32_e32 v19, v19
	v_ashrrev_i32_e32 v19, 31, v19
	v_and_b32_e32 v21, exec_lo, v21
	v_xor_b32_e32 v28, vcc_hi, v19
	v_xor_b32_e32 v19, vcc_lo, v19
	v_and_b32_e32 v21, v21, v19
	v_lshlrev_b32_e32 v19, 29, v20
	v_cmp_gt_i64_e32 vcc, 0, v[18:19]
	v_not_b32_e32 v19, v19
	v_ashrrev_i32_e32 v19, 31, v19
	v_and_b32_e32 v27, v27, v28
	v_xor_b32_e32 v28, vcc_hi, v19
	v_xor_b32_e32 v19, vcc_lo, v19
	v_and_b32_e32 v21, v21, v19
	v_lshlrev_b32_e32 v19, 28, v20
	v_cmp_gt_i64_e32 vcc, 0, v[18:19]
	v_not_b32_e32 v19, v19
	v_ashrrev_i32_e32 v19, 31, v19
	v_and_b32_e32 v27, v27, v28
	;; [unrolled: 8-line block ×5, first 2 shown]
	v_xor_b32_e32 v28, vcc_hi, v19
	v_xor_b32_e32 v19, vcc_lo, v19
	v_and_b32_e32 v21, v21, v19
	v_lshlrev_b32_e32 v19, 24, v20
	v_cmp_gt_i64_e32 vcc, 0, v[18:19]
	v_not_b32_e32 v18, v19
	v_ashrrev_i32_e32 v18, 31, v18
	v_xor_b32_e32 v19, vcc_hi, v18
	v_xor_b32_e32 v18, vcc_lo, v18
	; wave barrier
	ds_read_b32 v25, v29 offset:64
	v_and_b32_e32 v27, v27, v28
	v_and_b32_e32 v18, v21, v18
	;; [unrolled: 1-line block ×3, first 2 shown]
	v_mbcnt_lo_u32_b32 v20, v18, 0
	v_mbcnt_hi_u32_b32 v27, v19, v20
	v_cmp_eq_u32_e32 vcc, 0, v27
	v_cmp_ne_u64_e64 s[2:3], 0, v[18:19]
	s_and_b64 s[4:5], s[2:3], vcc
	; wave barrier
	s_and_saveexec_b64 s[2:3], s[4:5]
	s_cbranch_execz .LBB1564_71
; %bb.70:
	v_bcnt_u32_b32 v18, v18, 0
	v_bcnt_u32_b32 v18, v19, v18
	s_waitcnt lgkmcnt(0)
	v_add_u32_e32 v18, v25, v18
	ds_write_b32 v29, v18 offset:64
.LBB1564_71:
	s_or_b64 exec, exec, s[2:3]
	s_waitcnt vmcnt(5)
	v_xor_b32_e32 v7, 0x80000000, v7
	v_lshrrev_b64 v[18:19], s20, v[6:7]
	v_and_b32_e32 v20, s21, v18
	v_and_b32_e32 v19, 1, v20
	v_add_co_u32_e32 v21, vcc, -1, v19
	v_addc_co_u32_e64 v30, s[2:3], 0, -1, vcc
	v_cmp_ne_u32_e32 vcc, 0, v19
	v_lshl_add_u32 v18, v20, 4, v20
	v_xor_b32_e32 v19, vcc_hi, v30
	v_add_lshl_u32 v33, v32, v18, 2
	v_mov_b32_e32 v18, 0
	v_and_b32_e32 v30, exec_hi, v19
	v_lshlrev_b32_e32 v19, 30, v20
	v_xor_b32_e32 v21, vcc_lo, v21
	v_cmp_gt_i64_e32 vcc, 0, v[18:19]
	v_not_b32_e32 v19, v19
	v_ashrrev_i32_e32 v19, 31, v19
	v_and_b32_e32 v21, exec_lo, v21
	v_xor_b32_e32 v31, vcc_hi, v19
	v_xor_b32_e32 v19, vcc_lo, v19
	v_and_b32_e32 v21, v21, v19
	v_lshlrev_b32_e32 v19, 29, v20
	v_cmp_gt_i64_e32 vcc, 0, v[18:19]
	v_not_b32_e32 v19, v19
	v_ashrrev_i32_e32 v19, 31, v19
	v_and_b32_e32 v30, v30, v31
	v_xor_b32_e32 v31, vcc_hi, v19
	v_xor_b32_e32 v19, vcc_lo, v19
	v_and_b32_e32 v21, v21, v19
	v_lshlrev_b32_e32 v19, 28, v20
	v_cmp_gt_i64_e32 vcc, 0, v[18:19]
	v_not_b32_e32 v19, v19
	v_ashrrev_i32_e32 v19, 31, v19
	v_and_b32_e32 v30, v30, v31
	;; [unrolled: 8-line block ×5, first 2 shown]
	v_xor_b32_e32 v31, vcc_hi, v19
	v_xor_b32_e32 v19, vcc_lo, v19
	v_and_b32_e32 v30, v30, v31
	v_and_b32_e32 v31, v21, v19
	v_lshlrev_b32_e32 v19, 24, v20
	v_cmp_gt_i64_e32 vcc, 0, v[18:19]
	v_not_b32_e32 v19, v19
	v_ashrrev_i32_e32 v19, 31, v19
	v_xor_b32_e32 v20, vcc_hi, v19
	v_xor_b32_e32 v19, vcc_lo, v19
	; wave barrier
	ds_read_b32 v28, v33 offset:64
	v_and_b32_e32 v21, v30, v20
	v_and_b32_e32 v20, v31, v19
	v_mbcnt_lo_u32_b32 v19, v20, 0
	v_mbcnt_hi_u32_b32 v30, v21, v19
	v_cmp_eq_u32_e32 vcc, 0, v30
	v_cmp_ne_u64_e64 s[2:3], 0, v[20:21]
	s_and_b64 s[4:5], s[2:3], vcc
	; wave barrier
	s_and_saveexec_b64 s[2:3], s[4:5]
	s_cbranch_execz .LBB1564_73
; %bb.72:
	v_bcnt_u32_b32 v19, v20, 0
	v_bcnt_u32_b32 v19, v21, v19
	s_waitcnt lgkmcnt(0)
	v_add_u32_e32 v19, v28, v19
	ds_write_b32 v33, v19 offset:64
.LBB1564_73:
	s_or_b64 exec, exec, s[2:3]
	s_waitcnt vmcnt(4)
	v_xor_b32_e32 v9, 0x80000000, v9
	v_lshrrev_b64 v[20:21], s20, v[8:9]
	v_and_b32_e32 v20, s21, v20
	v_lshl_add_u32 v19, v20, 4, v20
	v_add_lshl_u32 v36, v32, v19, 2
	v_and_b32_e32 v19, 1, v20
	v_add_co_u32_e32 v21, vcc, -1, v19
	v_addc_co_u32_e64 v34, s[2:3], 0, -1, vcc
	v_cmp_ne_u32_e32 vcc, 0, v19
	v_xor_b32_e32 v19, vcc_hi, v34
	v_and_b32_e32 v34, exec_hi, v19
	v_lshlrev_b32_e32 v19, 30, v20
	v_xor_b32_e32 v21, vcc_lo, v21
	v_cmp_gt_i64_e32 vcc, 0, v[18:19]
	v_not_b32_e32 v19, v19
	v_ashrrev_i32_e32 v19, 31, v19
	v_and_b32_e32 v21, exec_lo, v21
	v_xor_b32_e32 v35, vcc_hi, v19
	v_xor_b32_e32 v19, vcc_lo, v19
	v_and_b32_e32 v21, v21, v19
	v_lshlrev_b32_e32 v19, 29, v20
	v_cmp_gt_i64_e32 vcc, 0, v[18:19]
	v_not_b32_e32 v19, v19
	v_ashrrev_i32_e32 v19, 31, v19
	v_and_b32_e32 v34, v34, v35
	v_xor_b32_e32 v35, vcc_hi, v19
	v_xor_b32_e32 v19, vcc_lo, v19
	v_and_b32_e32 v21, v21, v19
	v_lshlrev_b32_e32 v19, 28, v20
	v_cmp_gt_i64_e32 vcc, 0, v[18:19]
	v_not_b32_e32 v19, v19
	v_ashrrev_i32_e32 v19, 31, v19
	v_and_b32_e32 v34, v34, v35
	;; [unrolled: 8-line block ×5, first 2 shown]
	v_xor_b32_e32 v35, vcc_hi, v19
	v_xor_b32_e32 v19, vcc_lo, v19
	v_and_b32_e32 v21, v21, v19
	v_lshlrev_b32_e32 v19, 24, v20
	v_cmp_gt_i64_e32 vcc, 0, v[18:19]
	v_not_b32_e32 v18, v19
	v_ashrrev_i32_e32 v18, 31, v18
	v_xor_b32_e32 v19, vcc_hi, v18
	v_xor_b32_e32 v18, vcc_lo, v18
	; wave barrier
	ds_read_b32 v31, v36 offset:64
	v_and_b32_e32 v34, v34, v35
	v_and_b32_e32 v18, v21, v18
	;; [unrolled: 1-line block ×3, first 2 shown]
	v_mbcnt_lo_u32_b32 v20, v18, 0
	v_mbcnt_hi_u32_b32 v34, v19, v20
	v_cmp_eq_u32_e32 vcc, 0, v34
	v_cmp_ne_u64_e64 s[2:3], 0, v[18:19]
	s_and_b64 s[4:5], s[2:3], vcc
	; wave barrier
	s_and_saveexec_b64 s[2:3], s[4:5]
	s_cbranch_execz .LBB1564_75
; %bb.74:
	v_bcnt_u32_b32 v18, v18, 0
	v_bcnt_u32_b32 v18, v19, v18
	s_waitcnt lgkmcnt(0)
	v_add_u32_e32 v18, v31, v18
	ds_write_b32 v36, v18 offset:64
.LBB1564_75:
	s_or_b64 exec, exec, s[2:3]
	s_waitcnt vmcnt(3)
	v_xor_b32_e32 v11, 0x80000000, v11
	v_lshrrev_b64 v[18:19], s20, v[10:11]
	v_and_b32_e32 v20, s21, v18
	v_and_b32_e32 v19, 1, v20
	v_add_co_u32_e32 v21, vcc, -1, v19
	v_addc_co_u32_e64 v37, s[2:3], 0, -1, vcc
	v_cmp_ne_u32_e32 vcc, 0, v19
	v_lshl_add_u32 v18, v20, 4, v20
	v_xor_b32_e32 v19, vcc_hi, v37
	v_add_lshl_u32 v39, v32, v18, 2
	v_mov_b32_e32 v18, 0
	v_and_b32_e32 v37, exec_hi, v19
	v_lshlrev_b32_e32 v19, 30, v20
	v_xor_b32_e32 v21, vcc_lo, v21
	v_cmp_gt_i64_e32 vcc, 0, v[18:19]
	v_not_b32_e32 v19, v19
	v_ashrrev_i32_e32 v19, 31, v19
	v_and_b32_e32 v21, exec_lo, v21
	v_xor_b32_e32 v38, vcc_hi, v19
	v_xor_b32_e32 v19, vcc_lo, v19
	v_and_b32_e32 v21, v21, v19
	v_lshlrev_b32_e32 v19, 29, v20
	v_cmp_gt_i64_e32 vcc, 0, v[18:19]
	v_not_b32_e32 v19, v19
	v_ashrrev_i32_e32 v19, 31, v19
	v_and_b32_e32 v37, v37, v38
	v_xor_b32_e32 v38, vcc_hi, v19
	v_xor_b32_e32 v19, vcc_lo, v19
	v_and_b32_e32 v21, v21, v19
	v_lshlrev_b32_e32 v19, 28, v20
	v_cmp_gt_i64_e32 vcc, 0, v[18:19]
	v_not_b32_e32 v19, v19
	v_ashrrev_i32_e32 v19, 31, v19
	v_and_b32_e32 v37, v37, v38
	;; [unrolled: 8-line block ×5, first 2 shown]
	v_xor_b32_e32 v38, vcc_hi, v19
	v_xor_b32_e32 v19, vcc_lo, v19
	v_and_b32_e32 v37, v37, v38
	v_and_b32_e32 v38, v21, v19
	v_lshlrev_b32_e32 v19, 24, v20
	v_cmp_gt_i64_e32 vcc, 0, v[18:19]
	v_not_b32_e32 v19, v19
	v_ashrrev_i32_e32 v19, 31, v19
	v_xor_b32_e32 v20, vcc_hi, v19
	v_xor_b32_e32 v19, vcc_lo, v19
	; wave barrier
	ds_read_b32 v35, v39 offset:64
	v_and_b32_e32 v21, v37, v20
	v_and_b32_e32 v20, v38, v19
	v_mbcnt_lo_u32_b32 v19, v20, 0
	v_mbcnt_hi_u32_b32 v37, v21, v19
	v_cmp_eq_u32_e32 vcc, 0, v37
	v_cmp_ne_u64_e64 s[2:3], 0, v[20:21]
	s_and_b64 s[4:5], s[2:3], vcc
	; wave barrier
	s_and_saveexec_b64 s[2:3], s[4:5]
	s_cbranch_execz .LBB1564_77
; %bb.76:
	v_bcnt_u32_b32 v19, v20, 0
	v_bcnt_u32_b32 v19, v21, v19
	s_waitcnt lgkmcnt(0)
	v_add_u32_e32 v19, v35, v19
	ds_write_b32 v39, v19 offset:64
.LBB1564_77:
	s_or_b64 exec, exec, s[2:3]
	s_waitcnt vmcnt(2)
	v_xor_b32_e32 v13, 0x80000000, v13
	v_lshrrev_b64 v[20:21], s20, v[12:13]
	v_and_b32_e32 v20, s21, v20
	v_lshl_add_u32 v19, v20, 4, v20
	v_add_lshl_u32 v42, v32, v19, 2
	v_and_b32_e32 v19, 1, v20
	v_add_co_u32_e32 v21, vcc, -1, v19
	v_addc_co_u32_e64 v40, s[2:3], 0, -1, vcc
	v_cmp_ne_u32_e32 vcc, 0, v19
	v_xor_b32_e32 v19, vcc_hi, v40
	v_and_b32_e32 v40, exec_hi, v19
	v_lshlrev_b32_e32 v19, 30, v20
	v_xor_b32_e32 v21, vcc_lo, v21
	v_cmp_gt_i64_e32 vcc, 0, v[18:19]
	v_not_b32_e32 v19, v19
	v_ashrrev_i32_e32 v19, 31, v19
	v_and_b32_e32 v21, exec_lo, v21
	v_xor_b32_e32 v41, vcc_hi, v19
	v_xor_b32_e32 v19, vcc_lo, v19
	v_and_b32_e32 v21, v21, v19
	v_lshlrev_b32_e32 v19, 29, v20
	v_cmp_gt_i64_e32 vcc, 0, v[18:19]
	v_not_b32_e32 v19, v19
	v_ashrrev_i32_e32 v19, 31, v19
	v_and_b32_e32 v40, v40, v41
	v_xor_b32_e32 v41, vcc_hi, v19
	v_xor_b32_e32 v19, vcc_lo, v19
	v_and_b32_e32 v21, v21, v19
	v_lshlrev_b32_e32 v19, 28, v20
	v_cmp_gt_i64_e32 vcc, 0, v[18:19]
	v_not_b32_e32 v19, v19
	v_ashrrev_i32_e32 v19, 31, v19
	v_and_b32_e32 v40, v40, v41
	;; [unrolled: 8-line block ×5, first 2 shown]
	v_xor_b32_e32 v41, vcc_hi, v19
	v_xor_b32_e32 v19, vcc_lo, v19
	v_and_b32_e32 v21, v21, v19
	v_lshlrev_b32_e32 v19, 24, v20
	v_cmp_gt_i64_e32 vcc, 0, v[18:19]
	v_not_b32_e32 v18, v19
	v_ashrrev_i32_e32 v18, 31, v18
	v_xor_b32_e32 v19, vcc_hi, v18
	v_xor_b32_e32 v18, vcc_lo, v18
	; wave barrier
	ds_read_b32 v38, v42 offset:64
	v_and_b32_e32 v40, v40, v41
	v_and_b32_e32 v18, v21, v18
	;; [unrolled: 1-line block ×3, first 2 shown]
	v_mbcnt_lo_u32_b32 v20, v18, 0
	v_mbcnt_hi_u32_b32 v40, v19, v20
	v_cmp_eq_u32_e32 vcc, 0, v40
	v_cmp_ne_u64_e64 s[2:3], 0, v[18:19]
	s_and_b64 s[4:5], s[2:3], vcc
	; wave barrier
	s_and_saveexec_b64 s[2:3], s[4:5]
	s_cbranch_execz .LBB1564_79
; %bb.78:
	v_bcnt_u32_b32 v18, v18, 0
	v_bcnt_u32_b32 v18, v19, v18
	s_waitcnt lgkmcnt(0)
	v_add_u32_e32 v18, v38, v18
	ds_write_b32 v42, v18 offset:64
.LBB1564_79:
	s_or_b64 exec, exec, s[2:3]
	s_waitcnt vmcnt(1)
	v_xor_b32_e32 v15, 0x80000000, v15
	v_lshrrev_b64 v[18:19], s20, v[14:15]
	v_and_b32_e32 v20, s21, v18
	v_and_b32_e32 v19, 1, v20
	v_add_co_u32_e32 v21, vcc, -1, v19
	v_addc_co_u32_e64 v43, s[2:3], 0, -1, vcc
	v_cmp_ne_u32_e32 vcc, 0, v19
	v_lshl_add_u32 v18, v20, 4, v20
	v_xor_b32_e32 v19, vcc_hi, v43
	v_add_lshl_u32 v44, v32, v18, 2
	v_mov_b32_e32 v18, 0
	v_and_b32_e32 v43, exec_hi, v19
	v_lshlrev_b32_e32 v19, 30, v20
	v_xor_b32_e32 v21, vcc_lo, v21
	v_cmp_gt_i64_e32 vcc, 0, v[18:19]
	v_not_b32_e32 v19, v19
	v_ashrrev_i32_e32 v19, 31, v19
	v_and_b32_e32 v21, exec_lo, v21
	v_xor_b32_e32 v45, vcc_hi, v19
	v_xor_b32_e32 v19, vcc_lo, v19
	v_and_b32_e32 v21, v21, v19
	v_lshlrev_b32_e32 v19, 29, v20
	v_cmp_gt_i64_e32 vcc, 0, v[18:19]
	v_not_b32_e32 v19, v19
	v_ashrrev_i32_e32 v19, 31, v19
	v_and_b32_e32 v43, v43, v45
	v_xor_b32_e32 v45, vcc_hi, v19
	v_xor_b32_e32 v19, vcc_lo, v19
	v_and_b32_e32 v21, v21, v19
	v_lshlrev_b32_e32 v19, 28, v20
	v_cmp_gt_i64_e32 vcc, 0, v[18:19]
	v_not_b32_e32 v19, v19
	v_ashrrev_i32_e32 v19, 31, v19
	v_and_b32_e32 v43, v43, v45
	;; [unrolled: 8-line block ×5, first 2 shown]
	v_xor_b32_e32 v45, vcc_hi, v19
	v_xor_b32_e32 v19, vcc_lo, v19
	v_and_b32_e32 v43, v43, v45
	v_and_b32_e32 v45, v21, v19
	v_lshlrev_b32_e32 v19, 24, v20
	v_cmp_gt_i64_e32 vcc, 0, v[18:19]
	v_not_b32_e32 v19, v19
	v_ashrrev_i32_e32 v19, 31, v19
	v_xor_b32_e32 v20, vcc_hi, v19
	v_xor_b32_e32 v19, vcc_lo, v19
	; wave barrier
	ds_read_b32 v41, v44 offset:64
	v_and_b32_e32 v21, v43, v20
	v_and_b32_e32 v20, v45, v19
	v_mbcnt_lo_u32_b32 v19, v20, 0
	v_mbcnt_hi_u32_b32 v43, v21, v19
	v_cmp_eq_u32_e32 vcc, 0, v43
	v_cmp_ne_u64_e64 s[2:3], 0, v[20:21]
	s_and_b64 s[4:5], s[2:3], vcc
	; wave barrier
	s_and_saveexec_b64 s[2:3], s[4:5]
	s_cbranch_execz .LBB1564_81
; %bb.80:
	v_bcnt_u32_b32 v19, v20, 0
	v_bcnt_u32_b32 v19, v21, v19
	s_waitcnt lgkmcnt(0)
	v_add_u32_e32 v19, v41, v19
	ds_write_b32 v44, v19 offset:64
.LBB1564_81:
	s_or_b64 exec, exec, s[2:3]
	s_waitcnt vmcnt(0)
	v_xor_b32_e32 v17, 0x80000000, v17
	v_lshrrev_b64 v[20:21], s20, v[16:17]
	v_and_b32_e32 v20, s21, v20
	v_lshl_add_u32 v19, v20, 4, v20
	v_add_lshl_u32 v46, v32, v19, 2
	v_and_b32_e32 v19, 1, v20
	v_add_co_u32_e32 v21, vcc, -1, v19
	v_addc_co_u32_e64 v45, s[2:3], 0, -1, vcc
	v_cmp_ne_u32_e32 vcc, 0, v19
	v_xor_b32_e32 v19, vcc_hi, v45
	v_and_b32_e32 v45, exec_hi, v19
	v_lshlrev_b32_e32 v19, 30, v20
	v_xor_b32_e32 v21, vcc_lo, v21
	v_cmp_gt_i64_e32 vcc, 0, v[18:19]
	v_not_b32_e32 v19, v19
	v_ashrrev_i32_e32 v19, 31, v19
	v_and_b32_e32 v21, exec_lo, v21
	v_xor_b32_e32 v48, vcc_hi, v19
	v_xor_b32_e32 v19, vcc_lo, v19
	v_and_b32_e32 v21, v21, v19
	v_lshlrev_b32_e32 v19, 29, v20
	v_cmp_gt_i64_e32 vcc, 0, v[18:19]
	v_not_b32_e32 v19, v19
	v_ashrrev_i32_e32 v19, 31, v19
	v_and_b32_e32 v45, v45, v48
	v_xor_b32_e32 v48, vcc_hi, v19
	v_xor_b32_e32 v19, vcc_lo, v19
	v_and_b32_e32 v21, v21, v19
	v_lshlrev_b32_e32 v19, 28, v20
	v_cmp_gt_i64_e32 vcc, 0, v[18:19]
	v_not_b32_e32 v19, v19
	v_ashrrev_i32_e32 v19, 31, v19
	v_and_b32_e32 v45, v45, v48
	;; [unrolled: 8-line block ×5, first 2 shown]
	v_xor_b32_e32 v48, vcc_hi, v19
	v_xor_b32_e32 v19, vcc_lo, v19
	v_and_b32_e32 v21, v21, v19
	v_lshlrev_b32_e32 v19, 24, v20
	v_cmp_gt_i64_e32 vcc, 0, v[18:19]
	v_not_b32_e32 v18, v19
	v_ashrrev_i32_e32 v18, 31, v18
	v_xor_b32_e32 v19, vcc_hi, v18
	v_xor_b32_e32 v18, vcc_lo, v18
	; wave barrier
	ds_read_b32 v32, v46 offset:64
	v_and_b32_e32 v45, v45, v48
	v_and_b32_e32 v18, v21, v18
	;; [unrolled: 1-line block ×3, first 2 shown]
	v_mbcnt_lo_u32_b32 v20, v18, 0
	v_mbcnt_hi_u32_b32 v45, v19, v20
	v_cmp_eq_u32_e32 vcc, 0, v45
	v_cmp_ne_u64_e64 s[2:3], 0, v[18:19]
	v_add_u32_e32 v47, 64, v23
	s_and_b64 s[4:5], s[2:3], vcc
	; wave barrier
	s_and_saveexec_b64 s[2:3], s[4:5]
	s_cbranch_execz .LBB1564_83
; %bb.82:
	v_bcnt_u32_b32 v18, v18, 0
	v_bcnt_u32_b32 v18, v19, v18
	s_waitcnt lgkmcnt(0)
	v_add_u32_e32 v18, v32, v18
	ds_write_b32 v46, v18 offset:64
.LBB1564_83:
	s_or_b64 exec, exec, s[2:3]
	; wave barrier
	s_waitcnt lgkmcnt(0)
	s_barrier
	ds_read2_b32 v[20:21], v23 offset0:16 offset1:17
	ds_read2_b32 v[18:19], v47 offset0:2 offset1:3
	ds_read_b32 v48, v47 offset:16
	v_cmp_lt_u32_e64 s[8:9], 31, v22
	s_waitcnt lgkmcnt(1)
	v_add3_u32 v49, v21, v20, v18
	s_waitcnt lgkmcnt(0)
	v_add3_u32 v48, v49, v19, v48
	v_and_b32_e32 v49, 15, v22
	v_cmp_eq_u32_e32 vcc, 0, v49
	v_mov_b32_dpp v50, v48 row_shr:1 row_mask:0xf bank_mask:0xf
	v_cndmask_b32_e64 v50, v50, 0, vcc
	v_add_u32_e32 v48, v50, v48
	v_cmp_lt_u32_e64 s[2:3], 1, v49
	v_cmp_lt_u32_e64 s[4:5], 3, v49
	v_mov_b32_dpp v50, v48 row_shr:2 row_mask:0xf bank_mask:0xf
	v_cndmask_b32_e64 v50, 0, v50, s[2:3]
	v_add_u32_e32 v48, v48, v50
	v_cmp_lt_u32_e64 s[6:7], 7, v49
	s_nop 0
	v_mov_b32_dpp v50, v48 row_shr:4 row_mask:0xf bank_mask:0xf
	v_cndmask_b32_e64 v50, 0, v50, s[4:5]
	v_add_u32_e32 v48, v48, v50
	s_nop 1
	v_mov_b32_dpp v50, v48 row_shr:8 row_mask:0xf bank_mask:0xf
	v_cndmask_b32_e64 v49, 0, v50, s[6:7]
	v_add_u32_e32 v48, v48, v49
	v_bfe_i32 v50, v22, 4, 1
	s_nop 0
	v_mov_b32_dpp v49, v48 row_bcast:15 row_mask:0xf bank_mask:0xf
	v_and_b32_e32 v49, v50, v49
	v_add_u32_e32 v48, v48, v49
	v_and_b32_e32 v50, 63, v2
	s_nop 0
	v_mov_b32_dpp v49, v48 row_bcast:31 row_mask:0xf bank_mask:0xf
	v_cndmask_b32_e64 v49, 0, v49, s[8:9]
	v_add_u32_e32 v48, v48, v49
	v_lshrrev_b32_e32 v49, 6, v2
	v_cmp_eq_u32_e64 s[8:9], 63, v50
	s_and_saveexec_b64 s[12:13], s[8:9]
	s_cbranch_execz .LBB1564_85
; %bb.84:
	v_lshlrev_b32_e32 v50, 2, v49
	ds_write_b32 v50, v48
.LBB1564_85:
	s_or_b64 exec, exec, s[12:13]
	v_cmp_gt_u32_e64 s[8:9], 16, v2
	s_waitcnt lgkmcnt(0)
	s_barrier
	s_and_saveexec_b64 s[12:13], s[8:9]
	s_cbranch_execz .LBB1564_87
; %bb.86:
	v_lshlrev_b32_e32 v50, 2, v2
	ds_read_b32 v51, v50
	s_waitcnt lgkmcnt(0)
	s_nop 0
	v_mov_b32_dpp v52, v51 row_shr:1 row_mask:0xf bank_mask:0xf
	v_cndmask_b32_e64 v52, v52, 0, vcc
	v_add_u32_e32 v51, v52, v51
	s_nop 1
	v_mov_b32_dpp v52, v51 row_shr:2 row_mask:0xf bank_mask:0xf
	v_cndmask_b32_e64 v52, 0, v52, s[2:3]
	v_add_u32_e32 v51, v51, v52
	s_nop 1
	v_mov_b32_dpp v52, v51 row_shr:4 row_mask:0xf bank_mask:0xf
	v_cndmask_b32_e64 v52, 0, v52, s[4:5]
	;; [unrolled: 4-line block ×3, first 2 shown]
	v_add_u32_e32 v51, v51, v52
	ds_write_b32 v50, v51
.LBB1564_87:
	s_or_b64 exec, exec, s[12:13]
	v_cmp_lt_u32_e32 vcc, 63, v2
	v_mov_b32_e32 v50, 0
	s_waitcnt lgkmcnt(0)
	s_barrier
	s_and_saveexec_b64 s[2:3], vcc
	s_cbranch_execz .LBB1564_89
; %bb.88:
	v_lshl_add_u32 v49, v49, 2, -4
	ds_read_b32 v50, v49
.LBB1564_89:
	s_or_b64 exec, exec, s[2:3]
	v_add_u32_e32 v49, -1, v22
	v_and_b32_e32 v51, 64, v22
	v_cmp_lt_i32_e32 vcc, v49, v51
	v_cndmask_b32_e32 v49, v49, v22, vcc
	s_waitcnt lgkmcnt(0)
	v_add_u32_e32 v48, v50, v48
	v_lshlrev_b32_e32 v49, 2, v49
	ds_bpermute_b32 v48, v49, v48
	v_cmp_eq_u32_e32 vcc, 0, v22
	s_waitcnt lgkmcnt(0)
	v_cndmask_b32_e32 v22, v48, v50, vcc
	v_cndmask_b32_e64 v22, v22, 0, s[0:1]
	v_add_u32_e32 v20, v22, v20
	v_add_u32_e32 v21, v20, v21
	;; [unrolled: 1-line block ×4, first 2 shown]
	ds_write2_b32 v23, v22, v20 offset0:16 offset1:17
	ds_write2_b32 v47, v21, v18 offset0:2 offset1:3
	ds_write_b32 v47, v19 offset:16
	s_waitcnt lgkmcnt(0)
	s_barrier
	ds_read_b32 v48, v26 offset:64
	ds_read_b32 v47, v29 offset:64
	;; [unrolled: 1-line block ×8, first 2 shown]
	s_movk_i32 s0, 0x100
	v_cmp_gt_u32_e32 vcc, s0, v2
                                        ; implicit-def: $vgpr26
                                        ; implicit-def: $vgpr29
	s_and_saveexec_b64 s[2:3], vcc
	s_cbranch_execz .LBB1564_93
; %bb.90:
	v_mul_u32_u24_e32 v18, 17, v2
	v_lshlrev_b32_e32 v19, 2, v18
	ds_read_b32 v26, v19 offset:64
	s_movk_i32 s0, 0xff
	v_cmp_ne_u32_e64 s[0:1], s0, v2
	v_mov_b32_e32 v18, 0x2000
	s_and_saveexec_b64 s[4:5], s[0:1]
	s_cbranch_execz .LBB1564_92
; %bb.91:
	ds_read_b32 v18, v19 offset:132
.LBB1564_92:
	s_or_b64 exec, exec, s[4:5]
	s_waitcnt lgkmcnt(0)
	v_sub_u32_e32 v29, v18, v26
.LBB1564_93:
	s_or_b64 exec, exec, s[2:3]
	s_waitcnt lgkmcnt(0)
	s_barrier
	s_and_saveexec_b64 s[2:3], vcc
	s_cbranch_execz .LBB1564_103
; %bb.94:
	v_lshl_or_b32 v18, s28, 8, v2
	v_mov_b32_e32 v19, 0
	v_lshlrev_b64 v[20:21], 2, v[18:19]
	v_mov_b32_e32 v49, s15
	v_add_co_u32_e64 v20, s[0:1], s14, v20
	v_addc_co_u32_e64 v21, s[0:1], v49, v21, s[0:1]
	v_or_b32_e32 v18, 2.0, v29
	s_mov_b64 s[4:5], 0
	s_brev_b32 s12, 1
	s_mov_b32 s13, s28
	v_mov_b32_e32 v50, 0
	global_store_dword v[20:21], v18, off
                                        ; implicit-def: $sgpr0_sgpr1
	s_branch .LBB1564_97
.LBB1564_95:                            ;   in Loop: Header=BB1564_97 Depth=1
	s_or_b64 exec, exec, s[8:9]
.LBB1564_96:                            ;   in Loop: Header=BB1564_97 Depth=1
	s_or_b64 exec, exec, s[6:7]
	v_and_b32_e32 v22, 0x3fffffff, v51
	v_add_u32_e32 v50, v22, v50
	v_cmp_eq_u32_e64 s[0:1], s12, v18
	s_and_b64 s[6:7], exec, s[0:1]
	s_or_b64 s[4:5], s[6:7], s[4:5]
	s_andn2_b64 exec, exec, s[4:5]
	s_cbranch_execz .LBB1564_102
.LBB1564_97:                            ; =>This Loop Header: Depth=1
                                        ;     Child Loop BB1564_100 Depth 2
	s_or_b64 s[0:1], s[0:1], exec
	s_cmp_eq_u32 s13, 0
	s_cbranch_scc1 .LBB1564_101
; %bb.98:                               ;   in Loop: Header=BB1564_97 Depth=1
	s_add_i32 s13, s13, -1
	v_lshl_or_b32 v18, s13, 8, v2
	v_lshlrev_b64 v[22:23], 2, v[18:19]
	v_add_co_u32_e64 v22, s[0:1], s14, v22
	v_addc_co_u32_e64 v23, s[0:1], v49, v23, s[0:1]
	global_load_dword v51, v[22:23], off glc
	s_waitcnt vmcnt(0)
	v_and_b32_e32 v18, -2.0, v51
	v_cmp_eq_u32_e64 s[0:1], 0, v18
	s_and_saveexec_b64 s[6:7], s[0:1]
	s_cbranch_execz .LBB1564_96
; %bb.99:                               ;   in Loop: Header=BB1564_97 Depth=1
	s_mov_b64 s[8:9], 0
.LBB1564_100:                           ;   Parent Loop BB1564_97 Depth=1
                                        ; =>  This Inner Loop Header: Depth=2
	global_load_dword v51, v[22:23], off glc
	s_waitcnt vmcnt(0)
	v_and_b32_e32 v18, -2.0, v51
	v_cmp_ne_u32_e64 s[0:1], 0, v18
	s_or_b64 s[8:9], s[0:1], s[8:9]
	s_andn2_b64 exec, exec, s[8:9]
	s_cbranch_execnz .LBB1564_100
	s_branch .LBB1564_95
.LBB1564_101:                           ;   in Loop: Header=BB1564_97 Depth=1
                                        ; implicit-def: $sgpr13
	s_and_b64 s[6:7], exec, s[0:1]
	s_or_b64 s[4:5], s[6:7], s[4:5]
	s_andn2_b64 exec, exec, s[4:5]
	s_cbranch_execnz .LBB1564_97
.LBB1564_102:
	s_or_b64 exec, exec, s[4:5]
	v_add_u32_e32 v18, v50, v29
	v_or_b32_e32 v18, 0x80000000, v18
	global_store_dword v[20:21], v18, off
	v_lshlrev_b32_e32 v18, 2, v2
	global_load_dword v19, v18, s[16:17]
	v_sub_u32_e32 v20, v50, v26
	s_waitcnt vmcnt(0)
	v_add_u32_e32 v19, v20, v19
	ds_write_b32 v18, v19
.LBB1564_103:
	s_or_b64 exec, exec, s[2:3]
	v_add_u32_e32 v20, v48, v24
	s_movk_i32 s2, 0x400
	v_add_u32_e32 v21, 0x400, v3
	v_add3_u32 v22, v45, v46, v32
	v_add3_u32 v23, v43, v44, v41
	;; [unrolled: 1-line block ×7, first 2 shown]
	s_mov_b32 s3, 0
	v_mov_b32_e32 v27, s27
	v_mov_b32_e32 v19, 0
	;; [unrolled: 1-line block ×3, first 2 shown]
.LBB1564_104:                           ; =>This Inner Loop Header: Depth=1
	v_add_u32_e32 v18, s3, v20
	v_add_u32_e32 v34, s3, v28
	;; [unrolled: 1-line block ×8, first 2 shown]
	v_min_u32_e32 v18, 0x800, v18
	v_min_u32_e32 v34, 0x800, v34
	;; [unrolled: 1-line block ×8, first 2 shown]
	v_lshlrev_b32_e32 v18, 3, v18
	v_lshlrev_b32_e32 v34, 3, v34
	;; [unrolled: 1-line block ×8, first 2 shown]
	ds_write_b64 v18, v[4:5] offset:1024
	ds_write_b64 v33, v[0:1] offset:1024
	;; [unrolled: 1-line block ×8, first 2 shown]
	s_waitcnt lgkmcnt(0)
	s_barrier
	ds_read_b64 v[34:35], v3 offset:1024
	s_addk_i32 s3, 0xf800
	s_cmpk_lg_i32 s3, 0xe000
	s_waitcnt lgkmcnt(0)
	v_lshrrev_b64 v[36:37], s20, v[34:35]
	v_and_b32_e32 v18, s21, v36
	v_lshlrev_b32_e32 v18, 2, v18
	ds_read_b32 v18, v18
	ds_read_b64 v[36:37], v21 offset:8192
	v_xor_b32_e32 v35, 0x80000000, v35
	s_waitcnt lgkmcnt(1)
	v_add_u32_e32 v18, v30, v18
	s_waitcnt lgkmcnt(0)
	v_lshrrev_b64 v[38:39], s20, v[36:37]
	v_lshlrev_b64 v[40:41], 3, v[18:19]
	v_and_b32_e32 v18, s21, v38
	v_lshlrev_b32_e32 v18, 2, v18
	ds_read_b32 v18, v18
	v_add_co_u32_e64 v38, s[0:1], s26, v40
	v_addc_co_u32_e64 v39, s[0:1], v27, v41, s[0:1]
	s_waitcnt lgkmcnt(0)
	v_add3_u32 v18, v30, v18, s2
	global_store_dwordx2 v[38:39], v[34:35], off
	v_lshlrev_b64 v[34:35], 3, v[18:19]
	v_add_co_u32_e64 v34, s[0:1], s26, v34
	v_xor_b32_e32 v37, 0x80000000, v37
	v_add_u32_e32 v30, 0x800, v30
	v_addc_co_u32_e64 v35, s[0:1], v27, v35, s[0:1]
	global_store_dwordx2 v[34:35], v[36:37], off
	s_barrier
	s_cbranch_scc1 .LBB1564_104
; %bb.105:
	s_add_i32 s22, s22, -1
	s_cmp_eq_u32 s22, s28
	s_cselect_b64 s[0:1], -1, 0
	s_and_b64 s[2:3], vcc, s[0:1]
                                        ; implicit-def: $vgpr4
	s_and_saveexec_b64 s[0:1], s[2:3]
; %bb.106:
	v_add_u32_e32 v4, v26, v29
	s_or_b64 s[10:11], s[10:11], exec
; %bb.107:
	s_or_b64 exec, exec, s[0:1]
.LBB1564_108:
	s_and_saveexec_b64 s[0:1], s[10:11]
	s_cbranch_execnz .LBB1564_110
; %bb.109:
	s_endpgm
.LBB1564_110:
	v_lshlrev_b32_e32 v0, 2, v2
	ds_read_b32 v1, v0
	s_waitcnt lgkmcnt(0)
	v_add_u32_e32 v1, v1, v4
	global_store_dword v0, v1, s[18:19]
	s_endpgm
	.section	.rodata,"a",@progbits
	.p2align	6, 0x0
	.amdhsa_kernel _ZN7rocprim17ROCPRIM_400000_NS6detail17trampoline_kernelINS0_14default_configENS1_35radix_sort_onesweep_config_selectorIxNS0_10empty_typeEEEZZNS1_29radix_sort_onesweep_iterationIS3_Lb0EN6thrust23THRUST_200600_302600_NS6detail15normal_iteratorINS9_10device_ptrIxEEEESE_PS5_SF_jNS0_19identity_decomposerENS1_16block_id_wrapperIjLb1EEEEE10hipError_tT1_PNSt15iterator_traitsISK_E10value_typeET2_T3_PNSL_ISQ_E10value_typeET4_T5_PSV_SW_PNS1_23onesweep_lookback_stateEbbT6_jjT7_P12ihipStream_tbENKUlT_T0_SK_SP_E_clIPxSE_SF_SF_EEDaS13_S14_SK_SP_EUlS13_E_NS1_11comp_targetILNS1_3genE4ELNS1_11target_archE910ELNS1_3gpuE8ELNS1_3repE0EEENS1_47radix_sort_onesweep_sort_config_static_selectorELNS0_4arch9wavefront6targetE1EEEvSK_
		.amdhsa_group_segment_fixed_size 20552
		.amdhsa_private_segment_fixed_size 0
		.amdhsa_kernarg_size 344
		.amdhsa_user_sgpr_count 6
		.amdhsa_user_sgpr_private_segment_buffer 1
		.amdhsa_user_sgpr_dispatch_ptr 0
		.amdhsa_user_sgpr_queue_ptr 0
		.amdhsa_user_sgpr_kernarg_segment_ptr 1
		.amdhsa_user_sgpr_dispatch_id 0
		.amdhsa_user_sgpr_flat_scratch_init 0
		.amdhsa_user_sgpr_kernarg_preload_length 0
		.amdhsa_user_sgpr_kernarg_preload_offset 0
		.amdhsa_user_sgpr_private_segment_size 0
		.amdhsa_uses_dynamic_stack 0
		.amdhsa_system_sgpr_private_segment_wavefront_offset 0
		.amdhsa_system_sgpr_workgroup_id_x 1
		.amdhsa_system_sgpr_workgroup_id_y 0
		.amdhsa_system_sgpr_workgroup_id_z 0
		.amdhsa_system_sgpr_workgroup_info 0
		.amdhsa_system_vgpr_workitem_id 2
		.amdhsa_next_free_vgpr 55
		.amdhsa_next_free_sgpr 34
		.amdhsa_accum_offset 56
		.amdhsa_reserve_vcc 1
		.amdhsa_reserve_flat_scratch 0
		.amdhsa_float_round_mode_32 0
		.amdhsa_float_round_mode_16_64 0
		.amdhsa_float_denorm_mode_32 3
		.amdhsa_float_denorm_mode_16_64 3
		.amdhsa_dx10_clamp 1
		.amdhsa_ieee_mode 1
		.amdhsa_fp16_overflow 0
		.amdhsa_tg_split 0
		.amdhsa_exception_fp_ieee_invalid_op 0
		.amdhsa_exception_fp_denorm_src 0
		.amdhsa_exception_fp_ieee_div_zero 0
		.amdhsa_exception_fp_ieee_overflow 0
		.amdhsa_exception_fp_ieee_underflow 0
		.amdhsa_exception_fp_ieee_inexact 0
		.amdhsa_exception_int_div_zero 0
	.end_amdhsa_kernel
	.section	.text._ZN7rocprim17ROCPRIM_400000_NS6detail17trampoline_kernelINS0_14default_configENS1_35radix_sort_onesweep_config_selectorIxNS0_10empty_typeEEEZZNS1_29radix_sort_onesweep_iterationIS3_Lb0EN6thrust23THRUST_200600_302600_NS6detail15normal_iteratorINS9_10device_ptrIxEEEESE_PS5_SF_jNS0_19identity_decomposerENS1_16block_id_wrapperIjLb1EEEEE10hipError_tT1_PNSt15iterator_traitsISK_E10value_typeET2_T3_PNSL_ISQ_E10value_typeET4_T5_PSV_SW_PNS1_23onesweep_lookback_stateEbbT6_jjT7_P12ihipStream_tbENKUlT_T0_SK_SP_E_clIPxSE_SF_SF_EEDaS13_S14_SK_SP_EUlS13_E_NS1_11comp_targetILNS1_3genE4ELNS1_11target_archE910ELNS1_3gpuE8ELNS1_3repE0EEENS1_47radix_sort_onesweep_sort_config_static_selectorELNS0_4arch9wavefront6targetE1EEEvSK_,"axG",@progbits,_ZN7rocprim17ROCPRIM_400000_NS6detail17trampoline_kernelINS0_14default_configENS1_35radix_sort_onesweep_config_selectorIxNS0_10empty_typeEEEZZNS1_29radix_sort_onesweep_iterationIS3_Lb0EN6thrust23THRUST_200600_302600_NS6detail15normal_iteratorINS9_10device_ptrIxEEEESE_PS5_SF_jNS0_19identity_decomposerENS1_16block_id_wrapperIjLb1EEEEE10hipError_tT1_PNSt15iterator_traitsISK_E10value_typeET2_T3_PNSL_ISQ_E10value_typeET4_T5_PSV_SW_PNS1_23onesweep_lookback_stateEbbT6_jjT7_P12ihipStream_tbENKUlT_T0_SK_SP_E_clIPxSE_SF_SF_EEDaS13_S14_SK_SP_EUlS13_E_NS1_11comp_targetILNS1_3genE4ELNS1_11target_archE910ELNS1_3gpuE8ELNS1_3repE0EEENS1_47radix_sort_onesweep_sort_config_static_selectorELNS0_4arch9wavefront6targetE1EEEvSK_,comdat
.Lfunc_end1564:
	.size	_ZN7rocprim17ROCPRIM_400000_NS6detail17trampoline_kernelINS0_14default_configENS1_35radix_sort_onesweep_config_selectorIxNS0_10empty_typeEEEZZNS1_29radix_sort_onesweep_iterationIS3_Lb0EN6thrust23THRUST_200600_302600_NS6detail15normal_iteratorINS9_10device_ptrIxEEEESE_PS5_SF_jNS0_19identity_decomposerENS1_16block_id_wrapperIjLb1EEEEE10hipError_tT1_PNSt15iterator_traitsISK_E10value_typeET2_T3_PNSL_ISQ_E10value_typeET4_T5_PSV_SW_PNS1_23onesweep_lookback_stateEbbT6_jjT7_P12ihipStream_tbENKUlT_T0_SK_SP_E_clIPxSE_SF_SF_EEDaS13_S14_SK_SP_EUlS13_E_NS1_11comp_targetILNS1_3genE4ELNS1_11target_archE910ELNS1_3gpuE8ELNS1_3repE0EEENS1_47radix_sort_onesweep_sort_config_static_selectorELNS0_4arch9wavefront6targetE1EEEvSK_, .Lfunc_end1564-_ZN7rocprim17ROCPRIM_400000_NS6detail17trampoline_kernelINS0_14default_configENS1_35radix_sort_onesweep_config_selectorIxNS0_10empty_typeEEEZZNS1_29radix_sort_onesweep_iterationIS3_Lb0EN6thrust23THRUST_200600_302600_NS6detail15normal_iteratorINS9_10device_ptrIxEEEESE_PS5_SF_jNS0_19identity_decomposerENS1_16block_id_wrapperIjLb1EEEEE10hipError_tT1_PNSt15iterator_traitsISK_E10value_typeET2_T3_PNSL_ISQ_E10value_typeET4_T5_PSV_SW_PNS1_23onesweep_lookback_stateEbbT6_jjT7_P12ihipStream_tbENKUlT_T0_SK_SP_E_clIPxSE_SF_SF_EEDaS13_S14_SK_SP_EUlS13_E_NS1_11comp_targetILNS1_3genE4ELNS1_11target_archE910ELNS1_3gpuE8ELNS1_3repE0EEENS1_47radix_sort_onesweep_sort_config_static_selectorELNS0_4arch9wavefront6targetE1EEEvSK_
                                        ; -- End function
	.section	.AMDGPU.csdata,"",@progbits
; Kernel info:
; codeLenInByte = 10488
; NumSgprs: 38
; NumVgprs: 55
; NumAgprs: 0
; TotalNumVgprs: 55
; ScratchSize: 0
; MemoryBound: 0
; FloatMode: 240
; IeeeMode: 1
; LDSByteSize: 20552 bytes/workgroup (compile time only)
; SGPRBlocks: 4
; VGPRBlocks: 6
; NumSGPRsForWavesPerEU: 38
; NumVGPRsForWavesPerEU: 55
; AccumOffset: 56
; Occupancy: 8
; WaveLimiterHint : 1
; COMPUTE_PGM_RSRC2:SCRATCH_EN: 0
; COMPUTE_PGM_RSRC2:USER_SGPR: 6
; COMPUTE_PGM_RSRC2:TRAP_HANDLER: 0
; COMPUTE_PGM_RSRC2:TGID_X_EN: 1
; COMPUTE_PGM_RSRC2:TGID_Y_EN: 0
; COMPUTE_PGM_RSRC2:TGID_Z_EN: 0
; COMPUTE_PGM_RSRC2:TIDIG_COMP_CNT: 2
; COMPUTE_PGM_RSRC3_GFX90A:ACCUM_OFFSET: 13
; COMPUTE_PGM_RSRC3_GFX90A:TG_SPLIT: 0
	.section	.text._ZN7rocprim17ROCPRIM_400000_NS6detail17trampoline_kernelINS0_14default_configENS1_35radix_sort_onesweep_config_selectorIxNS0_10empty_typeEEEZZNS1_29radix_sort_onesweep_iterationIS3_Lb0EN6thrust23THRUST_200600_302600_NS6detail15normal_iteratorINS9_10device_ptrIxEEEESE_PS5_SF_jNS0_19identity_decomposerENS1_16block_id_wrapperIjLb1EEEEE10hipError_tT1_PNSt15iterator_traitsISK_E10value_typeET2_T3_PNSL_ISQ_E10value_typeET4_T5_PSV_SW_PNS1_23onesweep_lookback_stateEbbT6_jjT7_P12ihipStream_tbENKUlT_T0_SK_SP_E_clIPxSE_SF_SF_EEDaS13_S14_SK_SP_EUlS13_E_NS1_11comp_targetILNS1_3genE3ELNS1_11target_archE908ELNS1_3gpuE7ELNS1_3repE0EEENS1_47radix_sort_onesweep_sort_config_static_selectorELNS0_4arch9wavefront6targetE1EEEvSK_,"axG",@progbits,_ZN7rocprim17ROCPRIM_400000_NS6detail17trampoline_kernelINS0_14default_configENS1_35radix_sort_onesweep_config_selectorIxNS0_10empty_typeEEEZZNS1_29radix_sort_onesweep_iterationIS3_Lb0EN6thrust23THRUST_200600_302600_NS6detail15normal_iteratorINS9_10device_ptrIxEEEESE_PS5_SF_jNS0_19identity_decomposerENS1_16block_id_wrapperIjLb1EEEEE10hipError_tT1_PNSt15iterator_traitsISK_E10value_typeET2_T3_PNSL_ISQ_E10value_typeET4_T5_PSV_SW_PNS1_23onesweep_lookback_stateEbbT6_jjT7_P12ihipStream_tbENKUlT_T0_SK_SP_E_clIPxSE_SF_SF_EEDaS13_S14_SK_SP_EUlS13_E_NS1_11comp_targetILNS1_3genE3ELNS1_11target_archE908ELNS1_3gpuE7ELNS1_3repE0EEENS1_47radix_sort_onesweep_sort_config_static_selectorELNS0_4arch9wavefront6targetE1EEEvSK_,comdat
	.protected	_ZN7rocprim17ROCPRIM_400000_NS6detail17trampoline_kernelINS0_14default_configENS1_35radix_sort_onesweep_config_selectorIxNS0_10empty_typeEEEZZNS1_29radix_sort_onesweep_iterationIS3_Lb0EN6thrust23THRUST_200600_302600_NS6detail15normal_iteratorINS9_10device_ptrIxEEEESE_PS5_SF_jNS0_19identity_decomposerENS1_16block_id_wrapperIjLb1EEEEE10hipError_tT1_PNSt15iterator_traitsISK_E10value_typeET2_T3_PNSL_ISQ_E10value_typeET4_T5_PSV_SW_PNS1_23onesweep_lookback_stateEbbT6_jjT7_P12ihipStream_tbENKUlT_T0_SK_SP_E_clIPxSE_SF_SF_EEDaS13_S14_SK_SP_EUlS13_E_NS1_11comp_targetILNS1_3genE3ELNS1_11target_archE908ELNS1_3gpuE7ELNS1_3repE0EEENS1_47radix_sort_onesweep_sort_config_static_selectorELNS0_4arch9wavefront6targetE1EEEvSK_ ; -- Begin function _ZN7rocprim17ROCPRIM_400000_NS6detail17trampoline_kernelINS0_14default_configENS1_35radix_sort_onesweep_config_selectorIxNS0_10empty_typeEEEZZNS1_29radix_sort_onesweep_iterationIS3_Lb0EN6thrust23THRUST_200600_302600_NS6detail15normal_iteratorINS9_10device_ptrIxEEEESE_PS5_SF_jNS0_19identity_decomposerENS1_16block_id_wrapperIjLb1EEEEE10hipError_tT1_PNSt15iterator_traitsISK_E10value_typeET2_T3_PNSL_ISQ_E10value_typeET4_T5_PSV_SW_PNS1_23onesweep_lookback_stateEbbT6_jjT7_P12ihipStream_tbENKUlT_T0_SK_SP_E_clIPxSE_SF_SF_EEDaS13_S14_SK_SP_EUlS13_E_NS1_11comp_targetILNS1_3genE3ELNS1_11target_archE908ELNS1_3gpuE7ELNS1_3repE0EEENS1_47radix_sort_onesweep_sort_config_static_selectorELNS0_4arch9wavefront6targetE1EEEvSK_
	.globl	_ZN7rocprim17ROCPRIM_400000_NS6detail17trampoline_kernelINS0_14default_configENS1_35radix_sort_onesweep_config_selectorIxNS0_10empty_typeEEEZZNS1_29radix_sort_onesweep_iterationIS3_Lb0EN6thrust23THRUST_200600_302600_NS6detail15normal_iteratorINS9_10device_ptrIxEEEESE_PS5_SF_jNS0_19identity_decomposerENS1_16block_id_wrapperIjLb1EEEEE10hipError_tT1_PNSt15iterator_traitsISK_E10value_typeET2_T3_PNSL_ISQ_E10value_typeET4_T5_PSV_SW_PNS1_23onesweep_lookback_stateEbbT6_jjT7_P12ihipStream_tbENKUlT_T0_SK_SP_E_clIPxSE_SF_SF_EEDaS13_S14_SK_SP_EUlS13_E_NS1_11comp_targetILNS1_3genE3ELNS1_11target_archE908ELNS1_3gpuE7ELNS1_3repE0EEENS1_47radix_sort_onesweep_sort_config_static_selectorELNS0_4arch9wavefront6targetE1EEEvSK_
	.p2align	8
	.type	_ZN7rocprim17ROCPRIM_400000_NS6detail17trampoline_kernelINS0_14default_configENS1_35radix_sort_onesweep_config_selectorIxNS0_10empty_typeEEEZZNS1_29radix_sort_onesweep_iterationIS3_Lb0EN6thrust23THRUST_200600_302600_NS6detail15normal_iteratorINS9_10device_ptrIxEEEESE_PS5_SF_jNS0_19identity_decomposerENS1_16block_id_wrapperIjLb1EEEEE10hipError_tT1_PNSt15iterator_traitsISK_E10value_typeET2_T3_PNSL_ISQ_E10value_typeET4_T5_PSV_SW_PNS1_23onesweep_lookback_stateEbbT6_jjT7_P12ihipStream_tbENKUlT_T0_SK_SP_E_clIPxSE_SF_SF_EEDaS13_S14_SK_SP_EUlS13_E_NS1_11comp_targetILNS1_3genE3ELNS1_11target_archE908ELNS1_3gpuE7ELNS1_3repE0EEENS1_47radix_sort_onesweep_sort_config_static_selectorELNS0_4arch9wavefront6targetE1EEEvSK_,@function
_ZN7rocprim17ROCPRIM_400000_NS6detail17trampoline_kernelINS0_14default_configENS1_35radix_sort_onesweep_config_selectorIxNS0_10empty_typeEEEZZNS1_29radix_sort_onesweep_iterationIS3_Lb0EN6thrust23THRUST_200600_302600_NS6detail15normal_iteratorINS9_10device_ptrIxEEEESE_PS5_SF_jNS0_19identity_decomposerENS1_16block_id_wrapperIjLb1EEEEE10hipError_tT1_PNSt15iterator_traitsISK_E10value_typeET2_T3_PNSL_ISQ_E10value_typeET4_T5_PSV_SW_PNS1_23onesweep_lookback_stateEbbT6_jjT7_P12ihipStream_tbENKUlT_T0_SK_SP_E_clIPxSE_SF_SF_EEDaS13_S14_SK_SP_EUlS13_E_NS1_11comp_targetILNS1_3genE3ELNS1_11target_archE908ELNS1_3gpuE7ELNS1_3repE0EEENS1_47radix_sort_onesweep_sort_config_static_selectorELNS0_4arch9wavefront6targetE1EEEvSK_: ; @_ZN7rocprim17ROCPRIM_400000_NS6detail17trampoline_kernelINS0_14default_configENS1_35radix_sort_onesweep_config_selectorIxNS0_10empty_typeEEEZZNS1_29radix_sort_onesweep_iterationIS3_Lb0EN6thrust23THRUST_200600_302600_NS6detail15normal_iteratorINS9_10device_ptrIxEEEESE_PS5_SF_jNS0_19identity_decomposerENS1_16block_id_wrapperIjLb1EEEEE10hipError_tT1_PNSt15iterator_traitsISK_E10value_typeET2_T3_PNSL_ISQ_E10value_typeET4_T5_PSV_SW_PNS1_23onesweep_lookback_stateEbbT6_jjT7_P12ihipStream_tbENKUlT_T0_SK_SP_E_clIPxSE_SF_SF_EEDaS13_S14_SK_SP_EUlS13_E_NS1_11comp_targetILNS1_3genE3ELNS1_11target_archE908ELNS1_3gpuE7ELNS1_3repE0EEENS1_47radix_sort_onesweep_sort_config_static_selectorELNS0_4arch9wavefront6targetE1EEEvSK_
; %bb.0:
	.section	.rodata,"a",@progbits
	.p2align	6, 0x0
	.amdhsa_kernel _ZN7rocprim17ROCPRIM_400000_NS6detail17trampoline_kernelINS0_14default_configENS1_35radix_sort_onesweep_config_selectorIxNS0_10empty_typeEEEZZNS1_29radix_sort_onesweep_iterationIS3_Lb0EN6thrust23THRUST_200600_302600_NS6detail15normal_iteratorINS9_10device_ptrIxEEEESE_PS5_SF_jNS0_19identity_decomposerENS1_16block_id_wrapperIjLb1EEEEE10hipError_tT1_PNSt15iterator_traitsISK_E10value_typeET2_T3_PNSL_ISQ_E10value_typeET4_T5_PSV_SW_PNS1_23onesweep_lookback_stateEbbT6_jjT7_P12ihipStream_tbENKUlT_T0_SK_SP_E_clIPxSE_SF_SF_EEDaS13_S14_SK_SP_EUlS13_E_NS1_11comp_targetILNS1_3genE3ELNS1_11target_archE908ELNS1_3gpuE7ELNS1_3repE0EEENS1_47radix_sort_onesweep_sort_config_static_selectorELNS0_4arch9wavefront6targetE1EEEvSK_
		.amdhsa_group_segment_fixed_size 0
		.amdhsa_private_segment_fixed_size 0
		.amdhsa_kernarg_size 88
		.amdhsa_user_sgpr_count 6
		.amdhsa_user_sgpr_private_segment_buffer 1
		.amdhsa_user_sgpr_dispatch_ptr 0
		.amdhsa_user_sgpr_queue_ptr 0
		.amdhsa_user_sgpr_kernarg_segment_ptr 1
		.amdhsa_user_sgpr_dispatch_id 0
		.amdhsa_user_sgpr_flat_scratch_init 0
		.amdhsa_user_sgpr_kernarg_preload_length 0
		.amdhsa_user_sgpr_kernarg_preload_offset 0
		.amdhsa_user_sgpr_private_segment_size 0
		.amdhsa_uses_dynamic_stack 0
		.amdhsa_system_sgpr_private_segment_wavefront_offset 0
		.amdhsa_system_sgpr_workgroup_id_x 1
		.amdhsa_system_sgpr_workgroup_id_y 0
		.amdhsa_system_sgpr_workgroup_id_z 0
		.amdhsa_system_sgpr_workgroup_info 0
		.amdhsa_system_vgpr_workitem_id 0
		.amdhsa_next_free_vgpr 1
		.amdhsa_next_free_sgpr 0
		.amdhsa_accum_offset 4
		.amdhsa_reserve_vcc 0
		.amdhsa_reserve_flat_scratch 0
		.amdhsa_float_round_mode_32 0
		.amdhsa_float_round_mode_16_64 0
		.amdhsa_float_denorm_mode_32 3
		.amdhsa_float_denorm_mode_16_64 3
		.amdhsa_dx10_clamp 1
		.amdhsa_ieee_mode 1
		.amdhsa_fp16_overflow 0
		.amdhsa_tg_split 0
		.amdhsa_exception_fp_ieee_invalid_op 0
		.amdhsa_exception_fp_denorm_src 0
		.amdhsa_exception_fp_ieee_div_zero 0
		.amdhsa_exception_fp_ieee_overflow 0
		.amdhsa_exception_fp_ieee_underflow 0
		.amdhsa_exception_fp_ieee_inexact 0
		.amdhsa_exception_int_div_zero 0
	.end_amdhsa_kernel
	.section	.text._ZN7rocprim17ROCPRIM_400000_NS6detail17trampoline_kernelINS0_14default_configENS1_35radix_sort_onesweep_config_selectorIxNS0_10empty_typeEEEZZNS1_29radix_sort_onesweep_iterationIS3_Lb0EN6thrust23THRUST_200600_302600_NS6detail15normal_iteratorINS9_10device_ptrIxEEEESE_PS5_SF_jNS0_19identity_decomposerENS1_16block_id_wrapperIjLb1EEEEE10hipError_tT1_PNSt15iterator_traitsISK_E10value_typeET2_T3_PNSL_ISQ_E10value_typeET4_T5_PSV_SW_PNS1_23onesweep_lookback_stateEbbT6_jjT7_P12ihipStream_tbENKUlT_T0_SK_SP_E_clIPxSE_SF_SF_EEDaS13_S14_SK_SP_EUlS13_E_NS1_11comp_targetILNS1_3genE3ELNS1_11target_archE908ELNS1_3gpuE7ELNS1_3repE0EEENS1_47radix_sort_onesweep_sort_config_static_selectorELNS0_4arch9wavefront6targetE1EEEvSK_,"axG",@progbits,_ZN7rocprim17ROCPRIM_400000_NS6detail17trampoline_kernelINS0_14default_configENS1_35radix_sort_onesweep_config_selectorIxNS0_10empty_typeEEEZZNS1_29radix_sort_onesweep_iterationIS3_Lb0EN6thrust23THRUST_200600_302600_NS6detail15normal_iteratorINS9_10device_ptrIxEEEESE_PS5_SF_jNS0_19identity_decomposerENS1_16block_id_wrapperIjLb1EEEEE10hipError_tT1_PNSt15iterator_traitsISK_E10value_typeET2_T3_PNSL_ISQ_E10value_typeET4_T5_PSV_SW_PNS1_23onesweep_lookback_stateEbbT6_jjT7_P12ihipStream_tbENKUlT_T0_SK_SP_E_clIPxSE_SF_SF_EEDaS13_S14_SK_SP_EUlS13_E_NS1_11comp_targetILNS1_3genE3ELNS1_11target_archE908ELNS1_3gpuE7ELNS1_3repE0EEENS1_47radix_sort_onesweep_sort_config_static_selectorELNS0_4arch9wavefront6targetE1EEEvSK_,comdat
.Lfunc_end1565:
	.size	_ZN7rocprim17ROCPRIM_400000_NS6detail17trampoline_kernelINS0_14default_configENS1_35radix_sort_onesweep_config_selectorIxNS0_10empty_typeEEEZZNS1_29radix_sort_onesweep_iterationIS3_Lb0EN6thrust23THRUST_200600_302600_NS6detail15normal_iteratorINS9_10device_ptrIxEEEESE_PS5_SF_jNS0_19identity_decomposerENS1_16block_id_wrapperIjLb1EEEEE10hipError_tT1_PNSt15iterator_traitsISK_E10value_typeET2_T3_PNSL_ISQ_E10value_typeET4_T5_PSV_SW_PNS1_23onesweep_lookback_stateEbbT6_jjT7_P12ihipStream_tbENKUlT_T0_SK_SP_E_clIPxSE_SF_SF_EEDaS13_S14_SK_SP_EUlS13_E_NS1_11comp_targetILNS1_3genE3ELNS1_11target_archE908ELNS1_3gpuE7ELNS1_3repE0EEENS1_47radix_sort_onesweep_sort_config_static_selectorELNS0_4arch9wavefront6targetE1EEEvSK_, .Lfunc_end1565-_ZN7rocprim17ROCPRIM_400000_NS6detail17trampoline_kernelINS0_14default_configENS1_35radix_sort_onesweep_config_selectorIxNS0_10empty_typeEEEZZNS1_29radix_sort_onesweep_iterationIS3_Lb0EN6thrust23THRUST_200600_302600_NS6detail15normal_iteratorINS9_10device_ptrIxEEEESE_PS5_SF_jNS0_19identity_decomposerENS1_16block_id_wrapperIjLb1EEEEE10hipError_tT1_PNSt15iterator_traitsISK_E10value_typeET2_T3_PNSL_ISQ_E10value_typeET4_T5_PSV_SW_PNS1_23onesweep_lookback_stateEbbT6_jjT7_P12ihipStream_tbENKUlT_T0_SK_SP_E_clIPxSE_SF_SF_EEDaS13_S14_SK_SP_EUlS13_E_NS1_11comp_targetILNS1_3genE3ELNS1_11target_archE908ELNS1_3gpuE7ELNS1_3repE0EEENS1_47radix_sort_onesweep_sort_config_static_selectorELNS0_4arch9wavefront6targetE1EEEvSK_
                                        ; -- End function
	.section	.AMDGPU.csdata,"",@progbits
; Kernel info:
; codeLenInByte = 0
; NumSgprs: 4
; NumVgprs: 0
; NumAgprs: 0
; TotalNumVgprs: 0
; ScratchSize: 0
; MemoryBound: 0
; FloatMode: 240
; IeeeMode: 1
; LDSByteSize: 0 bytes/workgroup (compile time only)
; SGPRBlocks: 0
; VGPRBlocks: 0
; NumSGPRsForWavesPerEU: 4
; NumVGPRsForWavesPerEU: 1
; AccumOffset: 4
; Occupancy: 8
; WaveLimiterHint : 0
; COMPUTE_PGM_RSRC2:SCRATCH_EN: 0
; COMPUTE_PGM_RSRC2:USER_SGPR: 6
; COMPUTE_PGM_RSRC2:TRAP_HANDLER: 0
; COMPUTE_PGM_RSRC2:TGID_X_EN: 1
; COMPUTE_PGM_RSRC2:TGID_Y_EN: 0
; COMPUTE_PGM_RSRC2:TGID_Z_EN: 0
; COMPUTE_PGM_RSRC2:TIDIG_COMP_CNT: 0
; COMPUTE_PGM_RSRC3_GFX90A:ACCUM_OFFSET: 0
; COMPUTE_PGM_RSRC3_GFX90A:TG_SPLIT: 0
	.section	.text._ZN7rocprim17ROCPRIM_400000_NS6detail17trampoline_kernelINS0_14default_configENS1_35radix_sort_onesweep_config_selectorIxNS0_10empty_typeEEEZZNS1_29radix_sort_onesweep_iterationIS3_Lb0EN6thrust23THRUST_200600_302600_NS6detail15normal_iteratorINS9_10device_ptrIxEEEESE_PS5_SF_jNS0_19identity_decomposerENS1_16block_id_wrapperIjLb1EEEEE10hipError_tT1_PNSt15iterator_traitsISK_E10value_typeET2_T3_PNSL_ISQ_E10value_typeET4_T5_PSV_SW_PNS1_23onesweep_lookback_stateEbbT6_jjT7_P12ihipStream_tbENKUlT_T0_SK_SP_E_clIPxSE_SF_SF_EEDaS13_S14_SK_SP_EUlS13_E_NS1_11comp_targetILNS1_3genE10ELNS1_11target_archE1201ELNS1_3gpuE5ELNS1_3repE0EEENS1_47radix_sort_onesweep_sort_config_static_selectorELNS0_4arch9wavefront6targetE1EEEvSK_,"axG",@progbits,_ZN7rocprim17ROCPRIM_400000_NS6detail17trampoline_kernelINS0_14default_configENS1_35radix_sort_onesweep_config_selectorIxNS0_10empty_typeEEEZZNS1_29radix_sort_onesweep_iterationIS3_Lb0EN6thrust23THRUST_200600_302600_NS6detail15normal_iteratorINS9_10device_ptrIxEEEESE_PS5_SF_jNS0_19identity_decomposerENS1_16block_id_wrapperIjLb1EEEEE10hipError_tT1_PNSt15iterator_traitsISK_E10value_typeET2_T3_PNSL_ISQ_E10value_typeET4_T5_PSV_SW_PNS1_23onesweep_lookback_stateEbbT6_jjT7_P12ihipStream_tbENKUlT_T0_SK_SP_E_clIPxSE_SF_SF_EEDaS13_S14_SK_SP_EUlS13_E_NS1_11comp_targetILNS1_3genE10ELNS1_11target_archE1201ELNS1_3gpuE5ELNS1_3repE0EEENS1_47radix_sort_onesweep_sort_config_static_selectorELNS0_4arch9wavefront6targetE1EEEvSK_,comdat
	.protected	_ZN7rocprim17ROCPRIM_400000_NS6detail17trampoline_kernelINS0_14default_configENS1_35radix_sort_onesweep_config_selectorIxNS0_10empty_typeEEEZZNS1_29radix_sort_onesweep_iterationIS3_Lb0EN6thrust23THRUST_200600_302600_NS6detail15normal_iteratorINS9_10device_ptrIxEEEESE_PS5_SF_jNS0_19identity_decomposerENS1_16block_id_wrapperIjLb1EEEEE10hipError_tT1_PNSt15iterator_traitsISK_E10value_typeET2_T3_PNSL_ISQ_E10value_typeET4_T5_PSV_SW_PNS1_23onesweep_lookback_stateEbbT6_jjT7_P12ihipStream_tbENKUlT_T0_SK_SP_E_clIPxSE_SF_SF_EEDaS13_S14_SK_SP_EUlS13_E_NS1_11comp_targetILNS1_3genE10ELNS1_11target_archE1201ELNS1_3gpuE5ELNS1_3repE0EEENS1_47radix_sort_onesweep_sort_config_static_selectorELNS0_4arch9wavefront6targetE1EEEvSK_ ; -- Begin function _ZN7rocprim17ROCPRIM_400000_NS6detail17trampoline_kernelINS0_14default_configENS1_35radix_sort_onesweep_config_selectorIxNS0_10empty_typeEEEZZNS1_29radix_sort_onesweep_iterationIS3_Lb0EN6thrust23THRUST_200600_302600_NS6detail15normal_iteratorINS9_10device_ptrIxEEEESE_PS5_SF_jNS0_19identity_decomposerENS1_16block_id_wrapperIjLb1EEEEE10hipError_tT1_PNSt15iterator_traitsISK_E10value_typeET2_T3_PNSL_ISQ_E10value_typeET4_T5_PSV_SW_PNS1_23onesweep_lookback_stateEbbT6_jjT7_P12ihipStream_tbENKUlT_T0_SK_SP_E_clIPxSE_SF_SF_EEDaS13_S14_SK_SP_EUlS13_E_NS1_11comp_targetILNS1_3genE10ELNS1_11target_archE1201ELNS1_3gpuE5ELNS1_3repE0EEENS1_47radix_sort_onesweep_sort_config_static_selectorELNS0_4arch9wavefront6targetE1EEEvSK_
	.globl	_ZN7rocprim17ROCPRIM_400000_NS6detail17trampoline_kernelINS0_14default_configENS1_35radix_sort_onesweep_config_selectorIxNS0_10empty_typeEEEZZNS1_29radix_sort_onesweep_iterationIS3_Lb0EN6thrust23THRUST_200600_302600_NS6detail15normal_iteratorINS9_10device_ptrIxEEEESE_PS5_SF_jNS0_19identity_decomposerENS1_16block_id_wrapperIjLb1EEEEE10hipError_tT1_PNSt15iterator_traitsISK_E10value_typeET2_T3_PNSL_ISQ_E10value_typeET4_T5_PSV_SW_PNS1_23onesweep_lookback_stateEbbT6_jjT7_P12ihipStream_tbENKUlT_T0_SK_SP_E_clIPxSE_SF_SF_EEDaS13_S14_SK_SP_EUlS13_E_NS1_11comp_targetILNS1_3genE10ELNS1_11target_archE1201ELNS1_3gpuE5ELNS1_3repE0EEENS1_47radix_sort_onesweep_sort_config_static_selectorELNS0_4arch9wavefront6targetE1EEEvSK_
	.p2align	8
	.type	_ZN7rocprim17ROCPRIM_400000_NS6detail17trampoline_kernelINS0_14default_configENS1_35radix_sort_onesweep_config_selectorIxNS0_10empty_typeEEEZZNS1_29radix_sort_onesweep_iterationIS3_Lb0EN6thrust23THRUST_200600_302600_NS6detail15normal_iteratorINS9_10device_ptrIxEEEESE_PS5_SF_jNS0_19identity_decomposerENS1_16block_id_wrapperIjLb1EEEEE10hipError_tT1_PNSt15iterator_traitsISK_E10value_typeET2_T3_PNSL_ISQ_E10value_typeET4_T5_PSV_SW_PNS1_23onesweep_lookback_stateEbbT6_jjT7_P12ihipStream_tbENKUlT_T0_SK_SP_E_clIPxSE_SF_SF_EEDaS13_S14_SK_SP_EUlS13_E_NS1_11comp_targetILNS1_3genE10ELNS1_11target_archE1201ELNS1_3gpuE5ELNS1_3repE0EEENS1_47radix_sort_onesweep_sort_config_static_selectorELNS0_4arch9wavefront6targetE1EEEvSK_,@function
_ZN7rocprim17ROCPRIM_400000_NS6detail17trampoline_kernelINS0_14default_configENS1_35radix_sort_onesweep_config_selectorIxNS0_10empty_typeEEEZZNS1_29radix_sort_onesweep_iterationIS3_Lb0EN6thrust23THRUST_200600_302600_NS6detail15normal_iteratorINS9_10device_ptrIxEEEESE_PS5_SF_jNS0_19identity_decomposerENS1_16block_id_wrapperIjLb1EEEEE10hipError_tT1_PNSt15iterator_traitsISK_E10value_typeET2_T3_PNSL_ISQ_E10value_typeET4_T5_PSV_SW_PNS1_23onesweep_lookback_stateEbbT6_jjT7_P12ihipStream_tbENKUlT_T0_SK_SP_E_clIPxSE_SF_SF_EEDaS13_S14_SK_SP_EUlS13_E_NS1_11comp_targetILNS1_3genE10ELNS1_11target_archE1201ELNS1_3gpuE5ELNS1_3repE0EEENS1_47radix_sort_onesweep_sort_config_static_selectorELNS0_4arch9wavefront6targetE1EEEvSK_: ; @_ZN7rocprim17ROCPRIM_400000_NS6detail17trampoline_kernelINS0_14default_configENS1_35radix_sort_onesweep_config_selectorIxNS0_10empty_typeEEEZZNS1_29radix_sort_onesweep_iterationIS3_Lb0EN6thrust23THRUST_200600_302600_NS6detail15normal_iteratorINS9_10device_ptrIxEEEESE_PS5_SF_jNS0_19identity_decomposerENS1_16block_id_wrapperIjLb1EEEEE10hipError_tT1_PNSt15iterator_traitsISK_E10value_typeET2_T3_PNSL_ISQ_E10value_typeET4_T5_PSV_SW_PNS1_23onesweep_lookback_stateEbbT6_jjT7_P12ihipStream_tbENKUlT_T0_SK_SP_E_clIPxSE_SF_SF_EEDaS13_S14_SK_SP_EUlS13_E_NS1_11comp_targetILNS1_3genE10ELNS1_11target_archE1201ELNS1_3gpuE5ELNS1_3repE0EEENS1_47radix_sort_onesweep_sort_config_static_selectorELNS0_4arch9wavefront6targetE1EEEvSK_
; %bb.0:
	.section	.rodata,"a",@progbits
	.p2align	6, 0x0
	.amdhsa_kernel _ZN7rocprim17ROCPRIM_400000_NS6detail17trampoline_kernelINS0_14default_configENS1_35radix_sort_onesweep_config_selectorIxNS0_10empty_typeEEEZZNS1_29radix_sort_onesweep_iterationIS3_Lb0EN6thrust23THRUST_200600_302600_NS6detail15normal_iteratorINS9_10device_ptrIxEEEESE_PS5_SF_jNS0_19identity_decomposerENS1_16block_id_wrapperIjLb1EEEEE10hipError_tT1_PNSt15iterator_traitsISK_E10value_typeET2_T3_PNSL_ISQ_E10value_typeET4_T5_PSV_SW_PNS1_23onesweep_lookback_stateEbbT6_jjT7_P12ihipStream_tbENKUlT_T0_SK_SP_E_clIPxSE_SF_SF_EEDaS13_S14_SK_SP_EUlS13_E_NS1_11comp_targetILNS1_3genE10ELNS1_11target_archE1201ELNS1_3gpuE5ELNS1_3repE0EEENS1_47radix_sort_onesweep_sort_config_static_selectorELNS0_4arch9wavefront6targetE1EEEvSK_
		.amdhsa_group_segment_fixed_size 0
		.amdhsa_private_segment_fixed_size 0
		.amdhsa_kernarg_size 88
		.amdhsa_user_sgpr_count 6
		.amdhsa_user_sgpr_private_segment_buffer 1
		.amdhsa_user_sgpr_dispatch_ptr 0
		.amdhsa_user_sgpr_queue_ptr 0
		.amdhsa_user_sgpr_kernarg_segment_ptr 1
		.amdhsa_user_sgpr_dispatch_id 0
		.amdhsa_user_sgpr_flat_scratch_init 0
		.amdhsa_user_sgpr_kernarg_preload_length 0
		.amdhsa_user_sgpr_kernarg_preload_offset 0
		.amdhsa_user_sgpr_private_segment_size 0
		.amdhsa_uses_dynamic_stack 0
		.amdhsa_system_sgpr_private_segment_wavefront_offset 0
		.amdhsa_system_sgpr_workgroup_id_x 1
		.amdhsa_system_sgpr_workgroup_id_y 0
		.amdhsa_system_sgpr_workgroup_id_z 0
		.amdhsa_system_sgpr_workgroup_info 0
		.amdhsa_system_vgpr_workitem_id 0
		.amdhsa_next_free_vgpr 1
		.amdhsa_next_free_sgpr 0
		.amdhsa_accum_offset 4
		.amdhsa_reserve_vcc 0
		.amdhsa_reserve_flat_scratch 0
		.amdhsa_float_round_mode_32 0
		.amdhsa_float_round_mode_16_64 0
		.amdhsa_float_denorm_mode_32 3
		.amdhsa_float_denorm_mode_16_64 3
		.amdhsa_dx10_clamp 1
		.amdhsa_ieee_mode 1
		.amdhsa_fp16_overflow 0
		.amdhsa_tg_split 0
		.amdhsa_exception_fp_ieee_invalid_op 0
		.amdhsa_exception_fp_denorm_src 0
		.amdhsa_exception_fp_ieee_div_zero 0
		.amdhsa_exception_fp_ieee_overflow 0
		.amdhsa_exception_fp_ieee_underflow 0
		.amdhsa_exception_fp_ieee_inexact 0
		.amdhsa_exception_int_div_zero 0
	.end_amdhsa_kernel
	.section	.text._ZN7rocprim17ROCPRIM_400000_NS6detail17trampoline_kernelINS0_14default_configENS1_35radix_sort_onesweep_config_selectorIxNS0_10empty_typeEEEZZNS1_29radix_sort_onesweep_iterationIS3_Lb0EN6thrust23THRUST_200600_302600_NS6detail15normal_iteratorINS9_10device_ptrIxEEEESE_PS5_SF_jNS0_19identity_decomposerENS1_16block_id_wrapperIjLb1EEEEE10hipError_tT1_PNSt15iterator_traitsISK_E10value_typeET2_T3_PNSL_ISQ_E10value_typeET4_T5_PSV_SW_PNS1_23onesweep_lookback_stateEbbT6_jjT7_P12ihipStream_tbENKUlT_T0_SK_SP_E_clIPxSE_SF_SF_EEDaS13_S14_SK_SP_EUlS13_E_NS1_11comp_targetILNS1_3genE10ELNS1_11target_archE1201ELNS1_3gpuE5ELNS1_3repE0EEENS1_47radix_sort_onesweep_sort_config_static_selectorELNS0_4arch9wavefront6targetE1EEEvSK_,"axG",@progbits,_ZN7rocprim17ROCPRIM_400000_NS6detail17trampoline_kernelINS0_14default_configENS1_35radix_sort_onesweep_config_selectorIxNS0_10empty_typeEEEZZNS1_29radix_sort_onesweep_iterationIS3_Lb0EN6thrust23THRUST_200600_302600_NS6detail15normal_iteratorINS9_10device_ptrIxEEEESE_PS5_SF_jNS0_19identity_decomposerENS1_16block_id_wrapperIjLb1EEEEE10hipError_tT1_PNSt15iterator_traitsISK_E10value_typeET2_T3_PNSL_ISQ_E10value_typeET4_T5_PSV_SW_PNS1_23onesweep_lookback_stateEbbT6_jjT7_P12ihipStream_tbENKUlT_T0_SK_SP_E_clIPxSE_SF_SF_EEDaS13_S14_SK_SP_EUlS13_E_NS1_11comp_targetILNS1_3genE10ELNS1_11target_archE1201ELNS1_3gpuE5ELNS1_3repE0EEENS1_47radix_sort_onesweep_sort_config_static_selectorELNS0_4arch9wavefront6targetE1EEEvSK_,comdat
.Lfunc_end1566:
	.size	_ZN7rocprim17ROCPRIM_400000_NS6detail17trampoline_kernelINS0_14default_configENS1_35radix_sort_onesweep_config_selectorIxNS0_10empty_typeEEEZZNS1_29radix_sort_onesweep_iterationIS3_Lb0EN6thrust23THRUST_200600_302600_NS6detail15normal_iteratorINS9_10device_ptrIxEEEESE_PS5_SF_jNS0_19identity_decomposerENS1_16block_id_wrapperIjLb1EEEEE10hipError_tT1_PNSt15iterator_traitsISK_E10value_typeET2_T3_PNSL_ISQ_E10value_typeET4_T5_PSV_SW_PNS1_23onesweep_lookback_stateEbbT6_jjT7_P12ihipStream_tbENKUlT_T0_SK_SP_E_clIPxSE_SF_SF_EEDaS13_S14_SK_SP_EUlS13_E_NS1_11comp_targetILNS1_3genE10ELNS1_11target_archE1201ELNS1_3gpuE5ELNS1_3repE0EEENS1_47radix_sort_onesweep_sort_config_static_selectorELNS0_4arch9wavefront6targetE1EEEvSK_, .Lfunc_end1566-_ZN7rocprim17ROCPRIM_400000_NS6detail17trampoline_kernelINS0_14default_configENS1_35radix_sort_onesweep_config_selectorIxNS0_10empty_typeEEEZZNS1_29radix_sort_onesweep_iterationIS3_Lb0EN6thrust23THRUST_200600_302600_NS6detail15normal_iteratorINS9_10device_ptrIxEEEESE_PS5_SF_jNS0_19identity_decomposerENS1_16block_id_wrapperIjLb1EEEEE10hipError_tT1_PNSt15iterator_traitsISK_E10value_typeET2_T3_PNSL_ISQ_E10value_typeET4_T5_PSV_SW_PNS1_23onesweep_lookback_stateEbbT6_jjT7_P12ihipStream_tbENKUlT_T0_SK_SP_E_clIPxSE_SF_SF_EEDaS13_S14_SK_SP_EUlS13_E_NS1_11comp_targetILNS1_3genE10ELNS1_11target_archE1201ELNS1_3gpuE5ELNS1_3repE0EEENS1_47radix_sort_onesweep_sort_config_static_selectorELNS0_4arch9wavefront6targetE1EEEvSK_
                                        ; -- End function
	.section	.AMDGPU.csdata,"",@progbits
; Kernel info:
; codeLenInByte = 0
; NumSgprs: 4
; NumVgprs: 0
; NumAgprs: 0
; TotalNumVgprs: 0
; ScratchSize: 0
; MemoryBound: 0
; FloatMode: 240
; IeeeMode: 1
; LDSByteSize: 0 bytes/workgroup (compile time only)
; SGPRBlocks: 0
; VGPRBlocks: 0
; NumSGPRsForWavesPerEU: 4
; NumVGPRsForWavesPerEU: 1
; AccumOffset: 4
; Occupancy: 8
; WaveLimiterHint : 0
; COMPUTE_PGM_RSRC2:SCRATCH_EN: 0
; COMPUTE_PGM_RSRC2:USER_SGPR: 6
; COMPUTE_PGM_RSRC2:TRAP_HANDLER: 0
; COMPUTE_PGM_RSRC2:TGID_X_EN: 1
; COMPUTE_PGM_RSRC2:TGID_Y_EN: 0
; COMPUTE_PGM_RSRC2:TGID_Z_EN: 0
; COMPUTE_PGM_RSRC2:TIDIG_COMP_CNT: 0
; COMPUTE_PGM_RSRC3_GFX90A:ACCUM_OFFSET: 0
; COMPUTE_PGM_RSRC3_GFX90A:TG_SPLIT: 0
	.section	.text._ZN7rocprim17ROCPRIM_400000_NS6detail17trampoline_kernelINS0_14default_configENS1_35radix_sort_onesweep_config_selectorIxNS0_10empty_typeEEEZZNS1_29radix_sort_onesweep_iterationIS3_Lb0EN6thrust23THRUST_200600_302600_NS6detail15normal_iteratorINS9_10device_ptrIxEEEESE_PS5_SF_jNS0_19identity_decomposerENS1_16block_id_wrapperIjLb1EEEEE10hipError_tT1_PNSt15iterator_traitsISK_E10value_typeET2_T3_PNSL_ISQ_E10value_typeET4_T5_PSV_SW_PNS1_23onesweep_lookback_stateEbbT6_jjT7_P12ihipStream_tbENKUlT_T0_SK_SP_E_clIPxSE_SF_SF_EEDaS13_S14_SK_SP_EUlS13_E_NS1_11comp_targetILNS1_3genE9ELNS1_11target_archE1100ELNS1_3gpuE3ELNS1_3repE0EEENS1_47radix_sort_onesweep_sort_config_static_selectorELNS0_4arch9wavefront6targetE1EEEvSK_,"axG",@progbits,_ZN7rocprim17ROCPRIM_400000_NS6detail17trampoline_kernelINS0_14default_configENS1_35radix_sort_onesweep_config_selectorIxNS0_10empty_typeEEEZZNS1_29radix_sort_onesweep_iterationIS3_Lb0EN6thrust23THRUST_200600_302600_NS6detail15normal_iteratorINS9_10device_ptrIxEEEESE_PS5_SF_jNS0_19identity_decomposerENS1_16block_id_wrapperIjLb1EEEEE10hipError_tT1_PNSt15iterator_traitsISK_E10value_typeET2_T3_PNSL_ISQ_E10value_typeET4_T5_PSV_SW_PNS1_23onesweep_lookback_stateEbbT6_jjT7_P12ihipStream_tbENKUlT_T0_SK_SP_E_clIPxSE_SF_SF_EEDaS13_S14_SK_SP_EUlS13_E_NS1_11comp_targetILNS1_3genE9ELNS1_11target_archE1100ELNS1_3gpuE3ELNS1_3repE0EEENS1_47radix_sort_onesweep_sort_config_static_selectorELNS0_4arch9wavefront6targetE1EEEvSK_,comdat
	.protected	_ZN7rocprim17ROCPRIM_400000_NS6detail17trampoline_kernelINS0_14default_configENS1_35radix_sort_onesweep_config_selectorIxNS0_10empty_typeEEEZZNS1_29radix_sort_onesweep_iterationIS3_Lb0EN6thrust23THRUST_200600_302600_NS6detail15normal_iteratorINS9_10device_ptrIxEEEESE_PS5_SF_jNS0_19identity_decomposerENS1_16block_id_wrapperIjLb1EEEEE10hipError_tT1_PNSt15iterator_traitsISK_E10value_typeET2_T3_PNSL_ISQ_E10value_typeET4_T5_PSV_SW_PNS1_23onesweep_lookback_stateEbbT6_jjT7_P12ihipStream_tbENKUlT_T0_SK_SP_E_clIPxSE_SF_SF_EEDaS13_S14_SK_SP_EUlS13_E_NS1_11comp_targetILNS1_3genE9ELNS1_11target_archE1100ELNS1_3gpuE3ELNS1_3repE0EEENS1_47radix_sort_onesweep_sort_config_static_selectorELNS0_4arch9wavefront6targetE1EEEvSK_ ; -- Begin function _ZN7rocprim17ROCPRIM_400000_NS6detail17trampoline_kernelINS0_14default_configENS1_35radix_sort_onesweep_config_selectorIxNS0_10empty_typeEEEZZNS1_29radix_sort_onesweep_iterationIS3_Lb0EN6thrust23THRUST_200600_302600_NS6detail15normal_iteratorINS9_10device_ptrIxEEEESE_PS5_SF_jNS0_19identity_decomposerENS1_16block_id_wrapperIjLb1EEEEE10hipError_tT1_PNSt15iterator_traitsISK_E10value_typeET2_T3_PNSL_ISQ_E10value_typeET4_T5_PSV_SW_PNS1_23onesweep_lookback_stateEbbT6_jjT7_P12ihipStream_tbENKUlT_T0_SK_SP_E_clIPxSE_SF_SF_EEDaS13_S14_SK_SP_EUlS13_E_NS1_11comp_targetILNS1_3genE9ELNS1_11target_archE1100ELNS1_3gpuE3ELNS1_3repE0EEENS1_47radix_sort_onesweep_sort_config_static_selectorELNS0_4arch9wavefront6targetE1EEEvSK_
	.globl	_ZN7rocprim17ROCPRIM_400000_NS6detail17trampoline_kernelINS0_14default_configENS1_35radix_sort_onesweep_config_selectorIxNS0_10empty_typeEEEZZNS1_29radix_sort_onesweep_iterationIS3_Lb0EN6thrust23THRUST_200600_302600_NS6detail15normal_iteratorINS9_10device_ptrIxEEEESE_PS5_SF_jNS0_19identity_decomposerENS1_16block_id_wrapperIjLb1EEEEE10hipError_tT1_PNSt15iterator_traitsISK_E10value_typeET2_T3_PNSL_ISQ_E10value_typeET4_T5_PSV_SW_PNS1_23onesweep_lookback_stateEbbT6_jjT7_P12ihipStream_tbENKUlT_T0_SK_SP_E_clIPxSE_SF_SF_EEDaS13_S14_SK_SP_EUlS13_E_NS1_11comp_targetILNS1_3genE9ELNS1_11target_archE1100ELNS1_3gpuE3ELNS1_3repE0EEENS1_47radix_sort_onesweep_sort_config_static_selectorELNS0_4arch9wavefront6targetE1EEEvSK_
	.p2align	8
	.type	_ZN7rocprim17ROCPRIM_400000_NS6detail17trampoline_kernelINS0_14default_configENS1_35radix_sort_onesweep_config_selectorIxNS0_10empty_typeEEEZZNS1_29radix_sort_onesweep_iterationIS3_Lb0EN6thrust23THRUST_200600_302600_NS6detail15normal_iteratorINS9_10device_ptrIxEEEESE_PS5_SF_jNS0_19identity_decomposerENS1_16block_id_wrapperIjLb1EEEEE10hipError_tT1_PNSt15iterator_traitsISK_E10value_typeET2_T3_PNSL_ISQ_E10value_typeET4_T5_PSV_SW_PNS1_23onesweep_lookback_stateEbbT6_jjT7_P12ihipStream_tbENKUlT_T0_SK_SP_E_clIPxSE_SF_SF_EEDaS13_S14_SK_SP_EUlS13_E_NS1_11comp_targetILNS1_3genE9ELNS1_11target_archE1100ELNS1_3gpuE3ELNS1_3repE0EEENS1_47radix_sort_onesweep_sort_config_static_selectorELNS0_4arch9wavefront6targetE1EEEvSK_,@function
_ZN7rocprim17ROCPRIM_400000_NS6detail17trampoline_kernelINS0_14default_configENS1_35radix_sort_onesweep_config_selectorIxNS0_10empty_typeEEEZZNS1_29radix_sort_onesweep_iterationIS3_Lb0EN6thrust23THRUST_200600_302600_NS6detail15normal_iteratorINS9_10device_ptrIxEEEESE_PS5_SF_jNS0_19identity_decomposerENS1_16block_id_wrapperIjLb1EEEEE10hipError_tT1_PNSt15iterator_traitsISK_E10value_typeET2_T3_PNSL_ISQ_E10value_typeET4_T5_PSV_SW_PNS1_23onesweep_lookback_stateEbbT6_jjT7_P12ihipStream_tbENKUlT_T0_SK_SP_E_clIPxSE_SF_SF_EEDaS13_S14_SK_SP_EUlS13_E_NS1_11comp_targetILNS1_3genE9ELNS1_11target_archE1100ELNS1_3gpuE3ELNS1_3repE0EEENS1_47radix_sort_onesweep_sort_config_static_selectorELNS0_4arch9wavefront6targetE1EEEvSK_: ; @_ZN7rocprim17ROCPRIM_400000_NS6detail17trampoline_kernelINS0_14default_configENS1_35radix_sort_onesweep_config_selectorIxNS0_10empty_typeEEEZZNS1_29radix_sort_onesweep_iterationIS3_Lb0EN6thrust23THRUST_200600_302600_NS6detail15normal_iteratorINS9_10device_ptrIxEEEESE_PS5_SF_jNS0_19identity_decomposerENS1_16block_id_wrapperIjLb1EEEEE10hipError_tT1_PNSt15iterator_traitsISK_E10value_typeET2_T3_PNSL_ISQ_E10value_typeET4_T5_PSV_SW_PNS1_23onesweep_lookback_stateEbbT6_jjT7_P12ihipStream_tbENKUlT_T0_SK_SP_E_clIPxSE_SF_SF_EEDaS13_S14_SK_SP_EUlS13_E_NS1_11comp_targetILNS1_3genE9ELNS1_11target_archE1100ELNS1_3gpuE3ELNS1_3repE0EEENS1_47radix_sort_onesweep_sort_config_static_selectorELNS0_4arch9wavefront6targetE1EEEvSK_
; %bb.0:
	.section	.rodata,"a",@progbits
	.p2align	6, 0x0
	.amdhsa_kernel _ZN7rocprim17ROCPRIM_400000_NS6detail17trampoline_kernelINS0_14default_configENS1_35radix_sort_onesweep_config_selectorIxNS0_10empty_typeEEEZZNS1_29radix_sort_onesweep_iterationIS3_Lb0EN6thrust23THRUST_200600_302600_NS6detail15normal_iteratorINS9_10device_ptrIxEEEESE_PS5_SF_jNS0_19identity_decomposerENS1_16block_id_wrapperIjLb1EEEEE10hipError_tT1_PNSt15iterator_traitsISK_E10value_typeET2_T3_PNSL_ISQ_E10value_typeET4_T5_PSV_SW_PNS1_23onesweep_lookback_stateEbbT6_jjT7_P12ihipStream_tbENKUlT_T0_SK_SP_E_clIPxSE_SF_SF_EEDaS13_S14_SK_SP_EUlS13_E_NS1_11comp_targetILNS1_3genE9ELNS1_11target_archE1100ELNS1_3gpuE3ELNS1_3repE0EEENS1_47radix_sort_onesweep_sort_config_static_selectorELNS0_4arch9wavefront6targetE1EEEvSK_
		.amdhsa_group_segment_fixed_size 0
		.amdhsa_private_segment_fixed_size 0
		.amdhsa_kernarg_size 88
		.amdhsa_user_sgpr_count 6
		.amdhsa_user_sgpr_private_segment_buffer 1
		.amdhsa_user_sgpr_dispatch_ptr 0
		.amdhsa_user_sgpr_queue_ptr 0
		.amdhsa_user_sgpr_kernarg_segment_ptr 1
		.amdhsa_user_sgpr_dispatch_id 0
		.amdhsa_user_sgpr_flat_scratch_init 0
		.amdhsa_user_sgpr_kernarg_preload_length 0
		.amdhsa_user_sgpr_kernarg_preload_offset 0
		.amdhsa_user_sgpr_private_segment_size 0
		.amdhsa_uses_dynamic_stack 0
		.amdhsa_system_sgpr_private_segment_wavefront_offset 0
		.amdhsa_system_sgpr_workgroup_id_x 1
		.amdhsa_system_sgpr_workgroup_id_y 0
		.amdhsa_system_sgpr_workgroup_id_z 0
		.amdhsa_system_sgpr_workgroup_info 0
		.amdhsa_system_vgpr_workitem_id 0
		.amdhsa_next_free_vgpr 1
		.amdhsa_next_free_sgpr 0
		.amdhsa_accum_offset 4
		.amdhsa_reserve_vcc 0
		.amdhsa_reserve_flat_scratch 0
		.amdhsa_float_round_mode_32 0
		.amdhsa_float_round_mode_16_64 0
		.amdhsa_float_denorm_mode_32 3
		.amdhsa_float_denorm_mode_16_64 3
		.amdhsa_dx10_clamp 1
		.amdhsa_ieee_mode 1
		.amdhsa_fp16_overflow 0
		.amdhsa_tg_split 0
		.amdhsa_exception_fp_ieee_invalid_op 0
		.amdhsa_exception_fp_denorm_src 0
		.amdhsa_exception_fp_ieee_div_zero 0
		.amdhsa_exception_fp_ieee_overflow 0
		.amdhsa_exception_fp_ieee_underflow 0
		.amdhsa_exception_fp_ieee_inexact 0
		.amdhsa_exception_int_div_zero 0
	.end_amdhsa_kernel
	.section	.text._ZN7rocprim17ROCPRIM_400000_NS6detail17trampoline_kernelINS0_14default_configENS1_35radix_sort_onesweep_config_selectorIxNS0_10empty_typeEEEZZNS1_29radix_sort_onesweep_iterationIS3_Lb0EN6thrust23THRUST_200600_302600_NS6detail15normal_iteratorINS9_10device_ptrIxEEEESE_PS5_SF_jNS0_19identity_decomposerENS1_16block_id_wrapperIjLb1EEEEE10hipError_tT1_PNSt15iterator_traitsISK_E10value_typeET2_T3_PNSL_ISQ_E10value_typeET4_T5_PSV_SW_PNS1_23onesweep_lookback_stateEbbT6_jjT7_P12ihipStream_tbENKUlT_T0_SK_SP_E_clIPxSE_SF_SF_EEDaS13_S14_SK_SP_EUlS13_E_NS1_11comp_targetILNS1_3genE9ELNS1_11target_archE1100ELNS1_3gpuE3ELNS1_3repE0EEENS1_47radix_sort_onesweep_sort_config_static_selectorELNS0_4arch9wavefront6targetE1EEEvSK_,"axG",@progbits,_ZN7rocprim17ROCPRIM_400000_NS6detail17trampoline_kernelINS0_14default_configENS1_35radix_sort_onesweep_config_selectorIxNS0_10empty_typeEEEZZNS1_29radix_sort_onesweep_iterationIS3_Lb0EN6thrust23THRUST_200600_302600_NS6detail15normal_iteratorINS9_10device_ptrIxEEEESE_PS5_SF_jNS0_19identity_decomposerENS1_16block_id_wrapperIjLb1EEEEE10hipError_tT1_PNSt15iterator_traitsISK_E10value_typeET2_T3_PNSL_ISQ_E10value_typeET4_T5_PSV_SW_PNS1_23onesweep_lookback_stateEbbT6_jjT7_P12ihipStream_tbENKUlT_T0_SK_SP_E_clIPxSE_SF_SF_EEDaS13_S14_SK_SP_EUlS13_E_NS1_11comp_targetILNS1_3genE9ELNS1_11target_archE1100ELNS1_3gpuE3ELNS1_3repE0EEENS1_47radix_sort_onesweep_sort_config_static_selectorELNS0_4arch9wavefront6targetE1EEEvSK_,comdat
.Lfunc_end1567:
	.size	_ZN7rocprim17ROCPRIM_400000_NS6detail17trampoline_kernelINS0_14default_configENS1_35radix_sort_onesweep_config_selectorIxNS0_10empty_typeEEEZZNS1_29radix_sort_onesweep_iterationIS3_Lb0EN6thrust23THRUST_200600_302600_NS6detail15normal_iteratorINS9_10device_ptrIxEEEESE_PS5_SF_jNS0_19identity_decomposerENS1_16block_id_wrapperIjLb1EEEEE10hipError_tT1_PNSt15iterator_traitsISK_E10value_typeET2_T3_PNSL_ISQ_E10value_typeET4_T5_PSV_SW_PNS1_23onesweep_lookback_stateEbbT6_jjT7_P12ihipStream_tbENKUlT_T0_SK_SP_E_clIPxSE_SF_SF_EEDaS13_S14_SK_SP_EUlS13_E_NS1_11comp_targetILNS1_3genE9ELNS1_11target_archE1100ELNS1_3gpuE3ELNS1_3repE0EEENS1_47radix_sort_onesweep_sort_config_static_selectorELNS0_4arch9wavefront6targetE1EEEvSK_, .Lfunc_end1567-_ZN7rocprim17ROCPRIM_400000_NS6detail17trampoline_kernelINS0_14default_configENS1_35radix_sort_onesweep_config_selectorIxNS0_10empty_typeEEEZZNS1_29radix_sort_onesweep_iterationIS3_Lb0EN6thrust23THRUST_200600_302600_NS6detail15normal_iteratorINS9_10device_ptrIxEEEESE_PS5_SF_jNS0_19identity_decomposerENS1_16block_id_wrapperIjLb1EEEEE10hipError_tT1_PNSt15iterator_traitsISK_E10value_typeET2_T3_PNSL_ISQ_E10value_typeET4_T5_PSV_SW_PNS1_23onesweep_lookback_stateEbbT6_jjT7_P12ihipStream_tbENKUlT_T0_SK_SP_E_clIPxSE_SF_SF_EEDaS13_S14_SK_SP_EUlS13_E_NS1_11comp_targetILNS1_3genE9ELNS1_11target_archE1100ELNS1_3gpuE3ELNS1_3repE0EEENS1_47radix_sort_onesweep_sort_config_static_selectorELNS0_4arch9wavefront6targetE1EEEvSK_
                                        ; -- End function
	.section	.AMDGPU.csdata,"",@progbits
; Kernel info:
; codeLenInByte = 0
; NumSgprs: 4
; NumVgprs: 0
; NumAgprs: 0
; TotalNumVgprs: 0
; ScratchSize: 0
; MemoryBound: 0
; FloatMode: 240
; IeeeMode: 1
; LDSByteSize: 0 bytes/workgroup (compile time only)
; SGPRBlocks: 0
; VGPRBlocks: 0
; NumSGPRsForWavesPerEU: 4
; NumVGPRsForWavesPerEU: 1
; AccumOffset: 4
; Occupancy: 8
; WaveLimiterHint : 0
; COMPUTE_PGM_RSRC2:SCRATCH_EN: 0
; COMPUTE_PGM_RSRC2:USER_SGPR: 6
; COMPUTE_PGM_RSRC2:TRAP_HANDLER: 0
; COMPUTE_PGM_RSRC2:TGID_X_EN: 1
; COMPUTE_PGM_RSRC2:TGID_Y_EN: 0
; COMPUTE_PGM_RSRC2:TGID_Z_EN: 0
; COMPUTE_PGM_RSRC2:TIDIG_COMP_CNT: 0
; COMPUTE_PGM_RSRC3_GFX90A:ACCUM_OFFSET: 0
; COMPUTE_PGM_RSRC3_GFX90A:TG_SPLIT: 0
	.section	.text._ZN7rocprim17ROCPRIM_400000_NS6detail17trampoline_kernelINS0_14default_configENS1_35radix_sort_onesweep_config_selectorIxNS0_10empty_typeEEEZZNS1_29radix_sort_onesweep_iterationIS3_Lb0EN6thrust23THRUST_200600_302600_NS6detail15normal_iteratorINS9_10device_ptrIxEEEESE_PS5_SF_jNS0_19identity_decomposerENS1_16block_id_wrapperIjLb1EEEEE10hipError_tT1_PNSt15iterator_traitsISK_E10value_typeET2_T3_PNSL_ISQ_E10value_typeET4_T5_PSV_SW_PNS1_23onesweep_lookback_stateEbbT6_jjT7_P12ihipStream_tbENKUlT_T0_SK_SP_E_clIPxSE_SF_SF_EEDaS13_S14_SK_SP_EUlS13_E_NS1_11comp_targetILNS1_3genE8ELNS1_11target_archE1030ELNS1_3gpuE2ELNS1_3repE0EEENS1_47radix_sort_onesweep_sort_config_static_selectorELNS0_4arch9wavefront6targetE1EEEvSK_,"axG",@progbits,_ZN7rocprim17ROCPRIM_400000_NS6detail17trampoline_kernelINS0_14default_configENS1_35radix_sort_onesweep_config_selectorIxNS0_10empty_typeEEEZZNS1_29radix_sort_onesweep_iterationIS3_Lb0EN6thrust23THRUST_200600_302600_NS6detail15normal_iteratorINS9_10device_ptrIxEEEESE_PS5_SF_jNS0_19identity_decomposerENS1_16block_id_wrapperIjLb1EEEEE10hipError_tT1_PNSt15iterator_traitsISK_E10value_typeET2_T3_PNSL_ISQ_E10value_typeET4_T5_PSV_SW_PNS1_23onesweep_lookback_stateEbbT6_jjT7_P12ihipStream_tbENKUlT_T0_SK_SP_E_clIPxSE_SF_SF_EEDaS13_S14_SK_SP_EUlS13_E_NS1_11comp_targetILNS1_3genE8ELNS1_11target_archE1030ELNS1_3gpuE2ELNS1_3repE0EEENS1_47radix_sort_onesweep_sort_config_static_selectorELNS0_4arch9wavefront6targetE1EEEvSK_,comdat
	.protected	_ZN7rocprim17ROCPRIM_400000_NS6detail17trampoline_kernelINS0_14default_configENS1_35radix_sort_onesweep_config_selectorIxNS0_10empty_typeEEEZZNS1_29radix_sort_onesweep_iterationIS3_Lb0EN6thrust23THRUST_200600_302600_NS6detail15normal_iteratorINS9_10device_ptrIxEEEESE_PS5_SF_jNS0_19identity_decomposerENS1_16block_id_wrapperIjLb1EEEEE10hipError_tT1_PNSt15iterator_traitsISK_E10value_typeET2_T3_PNSL_ISQ_E10value_typeET4_T5_PSV_SW_PNS1_23onesweep_lookback_stateEbbT6_jjT7_P12ihipStream_tbENKUlT_T0_SK_SP_E_clIPxSE_SF_SF_EEDaS13_S14_SK_SP_EUlS13_E_NS1_11comp_targetILNS1_3genE8ELNS1_11target_archE1030ELNS1_3gpuE2ELNS1_3repE0EEENS1_47radix_sort_onesweep_sort_config_static_selectorELNS0_4arch9wavefront6targetE1EEEvSK_ ; -- Begin function _ZN7rocprim17ROCPRIM_400000_NS6detail17trampoline_kernelINS0_14default_configENS1_35radix_sort_onesweep_config_selectorIxNS0_10empty_typeEEEZZNS1_29radix_sort_onesweep_iterationIS3_Lb0EN6thrust23THRUST_200600_302600_NS6detail15normal_iteratorINS9_10device_ptrIxEEEESE_PS5_SF_jNS0_19identity_decomposerENS1_16block_id_wrapperIjLb1EEEEE10hipError_tT1_PNSt15iterator_traitsISK_E10value_typeET2_T3_PNSL_ISQ_E10value_typeET4_T5_PSV_SW_PNS1_23onesweep_lookback_stateEbbT6_jjT7_P12ihipStream_tbENKUlT_T0_SK_SP_E_clIPxSE_SF_SF_EEDaS13_S14_SK_SP_EUlS13_E_NS1_11comp_targetILNS1_3genE8ELNS1_11target_archE1030ELNS1_3gpuE2ELNS1_3repE0EEENS1_47radix_sort_onesweep_sort_config_static_selectorELNS0_4arch9wavefront6targetE1EEEvSK_
	.globl	_ZN7rocprim17ROCPRIM_400000_NS6detail17trampoline_kernelINS0_14default_configENS1_35radix_sort_onesweep_config_selectorIxNS0_10empty_typeEEEZZNS1_29radix_sort_onesweep_iterationIS3_Lb0EN6thrust23THRUST_200600_302600_NS6detail15normal_iteratorINS9_10device_ptrIxEEEESE_PS5_SF_jNS0_19identity_decomposerENS1_16block_id_wrapperIjLb1EEEEE10hipError_tT1_PNSt15iterator_traitsISK_E10value_typeET2_T3_PNSL_ISQ_E10value_typeET4_T5_PSV_SW_PNS1_23onesweep_lookback_stateEbbT6_jjT7_P12ihipStream_tbENKUlT_T0_SK_SP_E_clIPxSE_SF_SF_EEDaS13_S14_SK_SP_EUlS13_E_NS1_11comp_targetILNS1_3genE8ELNS1_11target_archE1030ELNS1_3gpuE2ELNS1_3repE0EEENS1_47radix_sort_onesweep_sort_config_static_selectorELNS0_4arch9wavefront6targetE1EEEvSK_
	.p2align	8
	.type	_ZN7rocprim17ROCPRIM_400000_NS6detail17trampoline_kernelINS0_14default_configENS1_35radix_sort_onesweep_config_selectorIxNS0_10empty_typeEEEZZNS1_29radix_sort_onesweep_iterationIS3_Lb0EN6thrust23THRUST_200600_302600_NS6detail15normal_iteratorINS9_10device_ptrIxEEEESE_PS5_SF_jNS0_19identity_decomposerENS1_16block_id_wrapperIjLb1EEEEE10hipError_tT1_PNSt15iterator_traitsISK_E10value_typeET2_T3_PNSL_ISQ_E10value_typeET4_T5_PSV_SW_PNS1_23onesweep_lookback_stateEbbT6_jjT7_P12ihipStream_tbENKUlT_T0_SK_SP_E_clIPxSE_SF_SF_EEDaS13_S14_SK_SP_EUlS13_E_NS1_11comp_targetILNS1_3genE8ELNS1_11target_archE1030ELNS1_3gpuE2ELNS1_3repE0EEENS1_47radix_sort_onesweep_sort_config_static_selectorELNS0_4arch9wavefront6targetE1EEEvSK_,@function
_ZN7rocprim17ROCPRIM_400000_NS6detail17trampoline_kernelINS0_14default_configENS1_35radix_sort_onesweep_config_selectorIxNS0_10empty_typeEEEZZNS1_29radix_sort_onesweep_iterationIS3_Lb0EN6thrust23THRUST_200600_302600_NS6detail15normal_iteratorINS9_10device_ptrIxEEEESE_PS5_SF_jNS0_19identity_decomposerENS1_16block_id_wrapperIjLb1EEEEE10hipError_tT1_PNSt15iterator_traitsISK_E10value_typeET2_T3_PNSL_ISQ_E10value_typeET4_T5_PSV_SW_PNS1_23onesweep_lookback_stateEbbT6_jjT7_P12ihipStream_tbENKUlT_T0_SK_SP_E_clIPxSE_SF_SF_EEDaS13_S14_SK_SP_EUlS13_E_NS1_11comp_targetILNS1_3genE8ELNS1_11target_archE1030ELNS1_3gpuE2ELNS1_3repE0EEENS1_47radix_sort_onesweep_sort_config_static_selectorELNS0_4arch9wavefront6targetE1EEEvSK_: ; @_ZN7rocprim17ROCPRIM_400000_NS6detail17trampoline_kernelINS0_14default_configENS1_35radix_sort_onesweep_config_selectorIxNS0_10empty_typeEEEZZNS1_29radix_sort_onesweep_iterationIS3_Lb0EN6thrust23THRUST_200600_302600_NS6detail15normal_iteratorINS9_10device_ptrIxEEEESE_PS5_SF_jNS0_19identity_decomposerENS1_16block_id_wrapperIjLb1EEEEE10hipError_tT1_PNSt15iterator_traitsISK_E10value_typeET2_T3_PNSL_ISQ_E10value_typeET4_T5_PSV_SW_PNS1_23onesweep_lookback_stateEbbT6_jjT7_P12ihipStream_tbENKUlT_T0_SK_SP_E_clIPxSE_SF_SF_EEDaS13_S14_SK_SP_EUlS13_E_NS1_11comp_targetILNS1_3genE8ELNS1_11target_archE1030ELNS1_3gpuE2ELNS1_3repE0EEENS1_47radix_sort_onesweep_sort_config_static_selectorELNS0_4arch9wavefront6targetE1EEEvSK_
; %bb.0:
	.section	.rodata,"a",@progbits
	.p2align	6, 0x0
	.amdhsa_kernel _ZN7rocprim17ROCPRIM_400000_NS6detail17trampoline_kernelINS0_14default_configENS1_35radix_sort_onesweep_config_selectorIxNS0_10empty_typeEEEZZNS1_29radix_sort_onesweep_iterationIS3_Lb0EN6thrust23THRUST_200600_302600_NS6detail15normal_iteratorINS9_10device_ptrIxEEEESE_PS5_SF_jNS0_19identity_decomposerENS1_16block_id_wrapperIjLb1EEEEE10hipError_tT1_PNSt15iterator_traitsISK_E10value_typeET2_T3_PNSL_ISQ_E10value_typeET4_T5_PSV_SW_PNS1_23onesweep_lookback_stateEbbT6_jjT7_P12ihipStream_tbENKUlT_T0_SK_SP_E_clIPxSE_SF_SF_EEDaS13_S14_SK_SP_EUlS13_E_NS1_11comp_targetILNS1_3genE8ELNS1_11target_archE1030ELNS1_3gpuE2ELNS1_3repE0EEENS1_47radix_sort_onesweep_sort_config_static_selectorELNS0_4arch9wavefront6targetE1EEEvSK_
		.amdhsa_group_segment_fixed_size 0
		.amdhsa_private_segment_fixed_size 0
		.amdhsa_kernarg_size 88
		.amdhsa_user_sgpr_count 6
		.amdhsa_user_sgpr_private_segment_buffer 1
		.amdhsa_user_sgpr_dispatch_ptr 0
		.amdhsa_user_sgpr_queue_ptr 0
		.amdhsa_user_sgpr_kernarg_segment_ptr 1
		.amdhsa_user_sgpr_dispatch_id 0
		.amdhsa_user_sgpr_flat_scratch_init 0
		.amdhsa_user_sgpr_kernarg_preload_length 0
		.amdhsa_user_sgpr_kernarg_preload_offset 0
		.amdhsa_user_sgpr_private_segment_size 0
		.amdhsa_uses_dynamic_stack 0
		.amdhsa_system_sgpr_private_segment_wavefront_offset 0
		.amdhsa_system_sgpr_workgroup_id_x 1
		.amdhsa_system_sgpr_workgroup_id_y 0
		.amdhsa_system_sgpr_workgroup_id_z 0
		.amdhsa_system_sgpr_workgroup_info 0
		.amdhsa_system_vgpr_workitem_id 0
		.amdhsa_next_free_vgpr 1
		.amdhsa_next_free_sgpr 0
		.amdhsa_accum_offset 4
		.amdhsa_reserve_vcc 0
		.amdhsa_reserve_flat_scratch 0
		.amdhsa_float_round_mode_32 0
		.amdhsa_float_round_mode_16_64 0
		.amdhsa_float_denorm_mode_32 3
		.amdhsa_float_denorm_mode_16_64 3
		.amdhsa_dx10_clamp 1
		.amdhsa_ieee_mode 1
		.amdhsa_fp16_overflow 0
		.amdhsa_tg_split 0
		.amdhsa_exception_fp_ieee_invalid_op 0
		.amdhsa_exception_fp_denorm_src 0
		.amdhsa_exception_fp_ieee_div_zero 0
		.amdhsa_exception_fp_ieee_overflow 0
		.amdhsa_exception_fp_ieee_underflow 0
		.amdhsa_exception_fp_ieee_inexact 0
		.amdhsa_exception_int_div_zero 0
	.end_amdhsa_kernel
	.section	.text._ZN7rocprim17ROCPRIM_400000_NS6detail17trampoline_kernelINS0_14default_configENS1_35radix_sort_onesweep_config_selectorIxNS0_10empty_typeEEEZZNS1_29radix_sort_onesweep_iterationIS3_Lb0EN6thrust23THRUST_200600_302600_NS6detail15normal_iteratorINS9_10device_ptrIxEEEESE_PS5_SF_jNS0_19identity_decomposerENS1_16block_id_wrapperIjLb1EEEEE10hipError_tT1_PNSt15iterator_traitsISK_E10value_typeET2_T3_PNSL_ISQ_E10value_typeET4_T5_PSV_SW_PNS1_23onesweep_lookback_stateEbbT6_jjT7_P12ihipStream_tbENKUlT_T0_SK_SP_E_clIPxSE_SF_SF_EEDaS13_S14_SK_SP_EUlS13_E_NS1_11comp_targetILNS1_3genE8ELNS1_11target_archE1030ELNS1_3gpuE2ELNS1_3repE0EEENS1_47radix_sort_onesweep_sort_config_static_selectorELNS0_4arch9wavefront6targetE1EEEvSK_,"axG",@progbits,_ZN7rocprim17ROCPRIM_400000_NS6detail17trampoline_kernelINS0_14default_configENS1_35radix_sort_onesweep_config_selectorIxNS0_10empty_typeEEEZZNS1_29radix_sort_onesweep_iterationIS3_Lb0EN6thrust23THRUST_200600_302600_NS6detail15normal_iteratorINS9_10device_ptrIxEEEESE_PS5_SF_jNS0_19identity_decomposerENS1_16block_id_wrapperIjLb1EEEEE10hipError_tT1_PNSt15iterator_traitsISK_E10value_typeET2_T3_PNSL_ISQ_E10value_typeET4_T5_PSV_SW_PNS1_23onesweep_lookback_stateEbbT6_jjT7_P12ihipStream_tbENKUlT_T0_SK_SP_E_clIPxSE_SF_SF_EEDaS13_S14_SK_SP_EUlS13_E_NS1_11comp_targetILNS1_3genE8ELNS1_11target_archE1030ELNS1_3gpuE2ELNS1_3repE0EEENS1_47radix_sort_onesweep_sort_config_static_selectorELNS0_4arch9wavefront6targetE1EEEvSK_,comdat
.Lfunc_end1568:
	.size	_ZN7rocprim17ROCPRIM_400000_NS6detail17trampoline_kernelINS0_14default_configENS1_35radix_sort_onesweep_config_selectorIxNS0_10empty_typeEEEZZNS1_29radix_sort_onesweep_iterationIS3_Lb0EN6thrust23THRUST_200600_302600_NS6detail15normal_iteratorINS9_10device_ptrIxEEEESE_PS5_SF_jNS0_19identity_decomposerENS1_16block_id_wrapperIjLb1EEEEE10hipError_tT1_PNSt15iterator_traitsISK_E10value_typeET2_T3_PNSL_ISQ_E10value_typeET4_T5_PSV_SW_PNS1_23onesweep_lookback_stateEbbT6_jjT7_P12ihipStream_tbENKUlT_T0_SK_SP_E_clIPxSE_SF_SF_EEDaS13_S14_SK_SP_EUlS13_E_NS1_11comp_targetILNS1_3genE8ELNS1_11target_archE1030ELNS1_3gpuE2ELNS1_3repE0EEENS1_47radix_sort_onesweep_sort_config_static_selectorELNS0_4arch9wavefront6targetE1EEEvSK_, .Lfunc_end1568-_ZN7rocprim17ROCPRIM_400000_NS6detail17trampoline_kernelINS0_14default_configENS1_35radix_sort_onesweep_config_selectorIxNS0_10empty_typeEEEZZNS1_29radix_sort_onesweep_iterationIS3_Lb0EN6thrust23THRUST_200600_302600_NS6detail15normal_iteratorINS9_10device_ptrIxEEEESE_PS5_SF_jNS0_19identity_decomposerENS1_16block_id_wrapperIjLb1EEEEE10hipError_tT1_PNSt15iterator_traitsISK_E10value_typeET2_T3_PNSL_ISQ_E10value_typeET4_T5_PSV_SW_PNS1_23onesweep_lookback_stateEbbT6_jjT7_P12ihipStream_tbENKUlT_T0_SK_SP_E_clIPxSE_SF_SF_EEDaS13_S14_SK_SP_EUlS13_E_NS1_11comp_targetILNS1_3genE8ELNS1_11target_archE1030ELNS1_3gpuE2ELNS1_3repE0EEENS1_47radix_sort_onesweep_sort_config_static_selectorELNS0_4arch9wavefront6targetE1EEEvSK_
                                        ; -- End function
	.section	.AMDGPU.csdata,"",@progbits
; Kernel info:
; codeLenInByte = 0
; NumSgprs: 4
; NumVgprs: 0
; NumAgprs: 0
; TotalNumVgprs: 0
; ScratchSize: 0
; MemoryBound: 0
; FloatMode: 240
; IeeeMode: 1
; LDSByteSize: 0 bytes/workgroup (compile time only)
; SGPRBlocks: 0
; VGPRBlocks: 0
; NumSGPRsForWavesPerEU: 4
; NumVGPRsForWavesPerEU: 1
; AccumOffset: 4
; Occupancy: 8
; WaveLimiterHint : 0
; COMPUTE_PGM_RSRC2:SCRATCH_EN: 0
; COMPUTE_PGM_RSRC2:USER_SGPR: 6
; COMPUTE_PGM_RSRC2:TRAP_HANDLER: 0
; COMPUTE_PGM_RSRC2:TGID_X_EN: 1
; COMPUTE_PGM_RSRC2:TGID_Y_EN: 0
; COMPUTE_PGM_RSRC2:TGID_Z_EN: 0
; COMPUTE_PGM_RSRC2:TIDIG_COMP_CNT: 0
; COMPUTE_PGM_RSRC3_GFX90A:ACCUM_OFFSET: 0
; COMPUTE_PGM_RSRC3_GFX90A:TG_SPLIT: 0
	.section	.text._ZN7rocprim17ROCPRIM_400000_NS6detail17trampoline_kernelINS0_14default_configENS1_35radix_sort_onesweep_config_selectorIxNS0_10empty_typeEEEZZNS1_29radix_sort_onesweep_iterationIS3_Lb0EN6thrust23THRUST_200600_302600_NS6detail15normal_iteratorINS9_10device_ptrIxEEEESE_PS5_SF_jNS0_19identity_decomposerENS1_16block_id_wrapperIjLb0EEEEE10hipError_tT1_PNSt15iterator_traitsISK_E10value_typeET2_T3_PNSL_ISQ_E10value_typeET4_T5_PSV_SW_PNS1_23onesweep_lookback_stateEbbT6_jjT7_P12ihipStream_tbENKUlT_T0_SK_SP_E_clISE_SE_SF_SF_EEDaS13_S14_SK_SP_EUlS13_E_NS1_11comp_targetILNS1_3genE0ELNS1_11target_archE4294967295ELNS1_3gpuE0ELNS1_3repE0EEENS1_47radix_sort_onesweep_sort_config_static_selectorELNS0_4arch9wavefront6targetE1EEEvSK_,"axG",@progbits,_ZN7rocprim17ROCPRIM_400000_NS6detail17trampoline_kernelINS0_14default_configENS1_35radix_sort_onesweep_config_selectorIxNS0_10empty_typeEEEZZNS1_29radix_sort_onesweep_iterationIS3_Lb0EN6thrust23THRUST_200600_302600_NS6detail15normal_iteratorINS9_10device_ptrIxEEEESE_PS5_SF_jNS0_19identity_decomposerENS1_16block_id_wrapperIjLb0EEEEE10hipError_tT1_PNSt15iterator_traitsISK_E10value_typeET2_T3_PNSL_ISQ_E10value_typeET4_T5_PSV_SW_PNS1_23onesweep_lookback_stateEbbT6_jjT7_P12ihipStream_tbENKUlT_T0_SK_SP_E_clISE_SE_SF_SF_EEDaS13_S14_SK_SP_EUlS13_E_NS1_11comp_targetILNS1_3genE0ELNS1_11target_archE4294967295ELNS1_3gpuE0ELNS1_3repE0EEENS1_47radix_sort_onesweep_sort_config_static_selectorELNS0_4arch9wavefront6targetE1EEEvSK_,comdat
	.protected	_ZN7rocprim17ROCPRIM_400000_NS6detail17trampoline_kernelINS0_14default_configENS1_35radix_sort_onesweep_config_selectorIxNS0_10empty_typeEEEZZNS1_29radix_sort_onesweep_iterationIS3_Lb0EN6thrust23THRUST_200600_302600_NS6detail15normal_iteratorINS9_10device_ptrIxEEEESE_PS5_SF_jNS0_19identity_decomposerENS1_16block_id_wrapperIjLb0EEEEE10hipError_tT1_PNSt15iterator_traitsISK_E10value_typeET2_T3_PNSL_ISQ_E10value_typeET4_T5_PSV_SW_PNS1_23onesweep_lookback_stateEbbT6_jjT7_P12ihipStream_tbENKUlT_T0_SK_SP_E_clISE_SE_SF_SF_EEDaS13_S14_SK_SP_EUlS13_E_NS1_11comp_targetILNS1_3genE0ELNS1_11target_archE4294967295ELNS1_3gpuE0ELNS1_3repE0EEENS1_47radix_sort_onesweep_sort_config_static_selectorELNS0_4arch9wavefront6targetE1EEEvSK_ ; -- Begin function _ZN7rocprim17ROCPRIM_400000_NS6detail17trampoline_kernelINS0_14default_configENS1_35radix_sort_onesweep_config_selectorIxNS0_10empty_typeEEEZZNS1_29radix_sort_onesweep_iterationIS3_Lb0EN6thrust23THRUST_200600_302600_NS6detail15normal_iteratorINS9_10device_ptrIxEEEESE_PS5_SF_jNS0_19identity_decomposerENS1_16block_id_wrapperIjLb0EEEEE10hipError_tT1_PNSt15iterator_traitsISK_E10value_typeET2_T3_PNSL_ISQ_E10value_typeET4_T5_PSV_SW_PNS1_23onesweep_lookback_stateEbbT6_jjT7_P12ihipStream_tbENKUlT_T0_SK_SP_E_clISE_SE_SF_SF_EEDaS13_S14_SK_SP_EUlS13_E_NS1_11comp_targetILNS1_3genE0ELNS1_11target_archE4294967295ELNS1_3gpuE0ELNS1_3repE0EEENS1_47radix_sort_onesweep_sort_config_static_selectorELNS0_4arch9wavefront6targetE1EEEvSK_
	.globl	_ZN7rocprim17ROCPRIM_400000_NS6detail17trampoline_kernelINS0_14default_configENS1_35radix_sort_onesweep_config_selectorIxNS0_10empty_typeEEEZZNS1_29radix_sort_onesweep_iterationIS3_Lb0EN6thrust23THRUST_200600_302600_NS6detail15normal_iteratorINS9_10device_ptrIxEEEESE_PS5_SF_jNS0_19identity_decomposerENS1_16block_id_wrapperIjLb0EEEEE10hipError_tT1_PNSt15iterator_traitsISK_E10value_typeET2_T3_PNSL_ISQ_E10value_typeET4_T5_PSV_SW_PNS1_23onesweep_lookback_stateEbbT6_jjT7_P12ihipStream_tbENKUlT_T0_SK_SP_E_clISE_SE_SF_SF_EEDaS13_S14_SK_SP_EUlS13_E_NS1_11comp_targetILNS1_3genE0ELNS1_11target_archE4294967295ELNS1_3gpuE0ELNS1_3repE0EEENS1_47radix_sort_onesweep_sort_config_static_selectorELNS0_4arch9wavefront6targetE1EEEvSK_
	.p2align	8
	.type	_ZN7rocprim17ROCPRIM_400000_NS6detail17trampoline_kernelINS0_14default_configENS1_35radix_sort_onesweep_config_selectorIxNS0_10empty_typeEEEZZNS1_29radix_sort_onesweep_iterationIS3_Lb0EN6thrust23THRUST_200600_302600_NS6detail15normal_iteratorINS9_10device_ptrIxEEEESE_PS5_SF_jNS0_19identity_decomposerENS1_16block_id_wrapperIjLb0EEEEE10hipError_tT1_PNSt15iterator_traitsISK_E10value_typeET2_T3_PNSL_ISQ_E10value_typeET4_T5_PSV_SW_PNS1_23onesweep_lookback_stateEbbT6_jjT7_P12ihipStream_tbENKUlT_T0_SK_SP_E_clISE_SE_SF_SF_EEDaS13_S14_SK_SP_EUlS13_E_NS1_11comp_targetILNS1_3genE0ELNS1_11target_archE4294967295ELNS1_3gpuE0ELNS1_3repE0EEENS1_47radix_sort_onesweep_sort_config_static_selectorELNS0_4arch9wavefront6targetE1EEEvSK_,@function
_ZN7rocprim17ROCPRIM_400000_NS6detail17trampoline_kernelINS0_14default_configENS1_35radix_sort_onesweep_config_selectorIxNS0_10empty_typeEEEZZNS1_29radix_sort_onesweep_iterationIS3_Lb0EN6thrust23THRUST_200600_302600_NS6detail15normal_iteratorINS9_10device_ptrIxEEEESE_PS5_SF_jNS0_19identity_decomposerENS1_16block_id_wrapperIjLb0EEEEE10hipError_tT1_PNSt15iterator_traitsISK_E10value_typeET2_T3_PNSL_ISQ_E10value_typeET4_T5_PSV_SW_PNS1_23onesweep_lookback_stateEbbT6_jjT7_P12ihipStream_tbENKUlT_T0_SK_SP_E_clISE_SE_SF_SF_EEDaS13_S14_SK_SP_EUlS13_E_NS1_11comp_targetILNS1_3genE0ELNS1_11target_archE4294967295ELNS1_3gpuE0ELNS1_3repE0EEENS1_47radix_sort_onesweep_sort_config_static_selectorELNS0_4arch9wavefront6targetE1EEEvSK_: ; @_ZN7rocprim17ROCPRIM_400000_NS6detail17trampoline_kernelINS0_14default_configENS1_35radix_sort_onesweep_config_selectorIxNS0_10empty_typeEEEZZNS1_29radix_sort_onesweep_iterationIS3_Lb0EN6thrust23THRUST_200600_302600_NS6detail15normal_iteratorINS9_10device_ptrIxEEEESE_PS5_SF_jNS0_19identity_decomposerENS1_16block_id_wrapperIjLb0EEEEE10hipError_tT1_PNSt15iterator_traitsISK_E10value_typeET2_T3_PNSL_ISQ_E10value_typeET4_T5_PSV_SW_PNS1_23onesweep_lookback_stateEbbT6_jjT7_P12ihipStream_tbENKUlT_T0_SK_SP_E_clISE_SE_SF_SF_EEDaS13_S14_SK_SP_EUlS13_E_NS1_11comp_targetILNS1_3genE0ELNS1_11target_archE4294967295ELNS1_3gpuE0ELNS1_3repE0EEENS1_47radix_sort_onesweep_sort_config_static_selectorELNS0_4arch9wavefront6targetE1EEEvSK_
; %bb.0:
	.section	.rodata,"a",@progbits
	.p2align	6, 0x0
	.amdhsa_kernel _ZN7rocprim17ROCPRIM_400000_NS6detail17trampoline_kernelINS0_14default_configENS1_35radix_sort_onesweep_config_selectorIxNS0_10empty_typeEEEZZNS1_29radix_sort_onesweep_iterationIS3_Lb0EN6thrust23THRUST_200600_302600_NS6detail15normal_iteratorINS9_10device_ptrIxEEEESE_PS5_SF_jNS0_19identity_decomposerENS1_16block_id_wrapperIjLb0EEEEE10hipError_tT1_PNSt15iterator_traitsISK_E10value_typeET2_T3_PNSL_ISQ_E10value_typeET4_T5_PSV_SW_PNS1_23onesweep_lookback_stateEbbT6_jjT7_P12ihipStream_tbENKUlT_T0_SK_SP_E_clISE_SE_SF_SF_EEDaS13_S14_SK_SP_EUlS13_E_NS1_11comp_targetILNS1_3genE0ELNS1_11target_archE4294967295ELNS1_3gpuE0ELNS1_3repE0EEENS1_47radix_sort_onesweep_sort_config_static_selectorELNS0_4arch9wavefront6targetE1EEEvSK_
		.amdhsa_group_segment_fixed_size 0
		.amdhsa_private_segment_fixed_size 0
		.amdhsa_kernarg_size 88
		.amdhsa_user_sgpr_count 6
		.amdhsa_user_sgpr_private_segment_buffer 1
		.amdhsa_user_sgpr_dispatch_ptr 0
		.amdhsa_user_sgpr_queue_ptr 0
		.amdhsa_user_sgpr_kernarg_segment_ptr 1
		.amdhsa_user_sgpr_dispatch_id 0
		.amdhsa_user_sgpr_flat_scratch_init 0
		.amdhsa_user_sgpr_kernarg_preload_length 0
		.amdhsa_user_sgpr_kernarg_preload_offset 0
		.amdhsa_user_sgpr_private_segment_size 0
		.amdhsa_uses_dynamic_stack 0
		.amdhsa_system_sgpr_private_segment_wavefront_offset 0
		.amdhsa_system_sgpr_workgroup_id_x 1
		.amdhsa_system_sgpr_workgroup_id_y 0
		.amdhsa_system_sgpr_workgroup_id_z 0
		.amdhsa_system_sgpr_workgroup_info 0
		.amdhsa_system_vgpr_workitem_id 0
		.amdhsa_next_free_vgpr 1
		.amdhsa_next_free_sgpr 0
		.amdhsa_accum_offset 4
		.amdhsa_reserve_vcc 0
		.amdhsa_reserve_flat_scratch 0
		.amdhsa_float_round_mode_32 0
		.amdhsa_float_round_mode_16_64 0
		.amdhsa_float_denorm_mode_32 3
		.amdhsa_float_denorm_mode_16_64 3
		.amdhsa_dx10_clamp 1
		.amdhsa_ieee_mode 1
		.amdhsa_fp16_overflow 0
		.amdhsa_tg_split 0
		.amdhsa_exception_fp_ieee_invalid_op 0
		.amdhsa_exception_fp_denorm_src 0
		.amdhsa_exception_fp_ieee_div_zero 0
		.amdhsa_exception_fp_ieee_overflow 0
		.amdhsa_exception_fp_ieee_underflow 0
		.amdhsa_exception_fp_ieee_inexact 0
		.amdhsa_exception_int_div_zero 0
	.end_amdhsa_kernel
	.section	.text._ZN7rocprim17ROCPRIM_400000_NS6detail17trampoline_kernelINS0_14default_configENS1_35radix_sort_onesweep_config_selectorIxNS0_10empty_typeEEEZZNS1_29radix_sort_onesweep_iterationIS3_Lb0EN6thrust23THRUST_200600_302600_NS6detail15normal_iteratorINS9_10device_ptrIxEEEESE_PS5_SF_jNS0_19identity_decomposerENS1_16block_id_wrapperIjLb0EEEEE10hipError_tT1_PNSt15iterator_traitsISK_E10value_typeET2_T3_PNSL_ISQ_E10value_typeET4_T5_PSV_SW_PNS1_23onesweep_lookback_stateEbbT6_jjT7_P12ihipStream_tbENKUlT_T0_SK_SP_E_clISE_SE_SF_SF_EEDaS13_S14_SK_SP_EUlS13_E_NS1_11comp_targetILNS1_3genE0ELNS1_11target_archE4294967295ELNS1_3gpuE0ELNS1_3repE0EEENS1_47radix_sort_onesweep_sort_config_static_selectorELNS0_4arch9wavefront6targetE1EEEvSK_,"axG",@progbits,_ZN7rocprim17ROCPRIM_400000_NS6detail17trampoline_kernelINS0_14default_configENS1_35radix_sort_onesweep_config_selectorIxNS0_10empty_typeEEEZZNS1_29radix_sort_onesweep_iterationIS3_Lb0EN6thrust23THRUST_200600_302600_NS6detail15normal_iteratorINS9_10device_ptrIxEEEESE_PS5_SF_jNS0_19identity_decomposerENS1_16block_id_wrapperIjLb0EEEEE10hipError_tT1_PNSt15iterator_traitsISK_E10value_typeET2_T3_PNSL_ISQ_E10value_typeET4_T5_PSV_SW_PNS1_23onesweep_lookback_stateEbbT6_jjT7_P12ihipStream_tbENKUlT_T0_SK_SP_E_clISE_SE_SF_SF_EEDaS13_S14_SK_SP_EUlS13_E_NS1_11comp_targetILNS1_3genE0ELNS1_11target_archE4294967295ELNS1_3gpuE0ELNS1_3repE0EEENS1_47radix_sort_onesweep_sort_config_static_selectorELNS0_4arch9wavefront6targetE1EEEvSK_,comdat
.Lfunc_end1569:
	.size	_ZN7rocprim17ROCPRIM_400000_NS6detail17trampoline_kernelINS0_14default_configENS1_35radix_sort_onesweep_config_selectorIxNS0_10empty_typeEEEZZNS1_29radix_sort_onesweep_iterationIS3_Lb0EN6thrust23THRUST_200600_302600_NS6detail15normal_iteratorINS9_10device_ptrIxEEEESE_PS5_SF_jNS0_19identity_decomposerENS1_16block_id_wrapperIjLb0EEEEE10hipError_tT1_PNSt15iterator_traitsISK_E10value_typeET2_T3_PNSL_ISQ_E10value_typeET4_T5_PSV_SW_PNS1_23onesweep_lookback_stateEbbT6_jjT7_P12ihipStream_tbENKUlT_T0_SK_SP_E_clISE_SE_SF_SF_EEDaS13_S14_SK_SP_EUlS13_E_NS1_11comp_targetILNS1_3genE0ELNS1_11target_archE4294967295ELNS1_3gpuE0ELNS1_3repE0EEENS1_47radix_sort_onesweep_sort_config_static_selectorELNS0_4arch9wavefront6targetE1EEEvSK_, .Lfunc_end1569-_ZN7rocprim17ROCPRIM_400000_NS6detail17trampoline_kernelINS0_14default_configENS1_35radix_sort_onesweep_config_selectorIxNS0_10empty_typeEEEZZNS1_29radix_sort_onesweep_iterationIS3_Lb0EN6thrust23THRUST_200600_302600_NS6detail15normal_iteratorINS9_10device_ptrIxEEEESE_PS5_SF_jNS0_19identity_decomposerENS1_16block_id_wrapperIjLb0EEEEE10hipError_tT1_PNSt15iterator_traitsISK_E10value_typeET2_T3_PNSL_ISQ_E10value_typeET4_T5_PSV_SW_PNS1_23onesweep_lookback_stateEbbT6_jjT7_P12ihipStream_tbENKUlT_T0_SK_SP_E_clISE_SE_SF_SF_EEDaS13_S14_SK_SP_EUlS13_E_NS1_11comp_targetILNS1_3genE0ELNS1_11target_archE4294967295ELNS1_3gpuE0ELNS1_3repE0EEENS1_47radix_sort_onesweep_sort_config_static_selectorELNS0_4arch9wavefront6targetE1EEEvSK_
                                        ; -- End function
	.section	.AMDGPU.csdata,"",@progbits
; Kernel info:
; codeLenInByte = 0
; NumSgprs: 4
; NumVgprs: 0
; NumAgprs: 0
; TotalNumVgprs: 0
; ScratchSize: 0
; MemoryBound: 0
; FloatMode: 240
; IeeeMode: 1
; LDSByteSize: 0 bytes/workgroup (compile time only)
; SGPRBlocks: 0
; VGPRBlocks: 0
; NumSGPRsForWavesPerEU: 4
; NumVGPRsForWavesPerEU: 1
; AccumOffset: 4
; Occupancy: 8
; WaveLimiterHint : 0
; COMPUTE_PGM_RSRC2:SCRATCH_EN: 0
; COMPUTE_PGM_RSRC2:USER_SGPR: 6
; COMPUTE_PGM_RSRC2:TRAP_HANDLER: 0
; COMPUTE_PGM_RSRC2:TGID_X_EN: 1
; COMPUTE_PGM_RSRC2:TGID_Y_EN: 0
; COMPUTE_PGM_RSRC2:TGID_Z_EN: 0
; COMPUTE_PGM_RSRC2:TIDIG_COMP_CNT: 0
; COMPUTE_PGM_RSRC3_GFX90A:ACCUM_OFFSET: 0
; COMPUTE_PGM_RSRC3_GFX90A:TG_SPLIT: 0
	.section	.text._ZN7rocprim17ROCPRIM_400000_NS6detail17trampoline_kernelINS0_14default_configENS1_35radix_sort_onesweep_config_selectorIxNS0_10empty_typeEEEZZNS1_29radix_sort_onesweep_iterationIS3_Lb0EN6thrust23THRUST_200600_302600_NS6detail15normal_iteratorINS9_10device_ptrIxEEEESE_PS5_SF_jNS0_19identity_decomposerENS1_16block_id_wrapperIjLb0EEEEE10hipError_tT1_PNSt15iterator_traitsISK_E10value_typeET2_T3_PNSL_ISQ_E10value_typeET4_T5_PSV_SW_PNS1_23onesweep_lookback_stateEbbT6_jjT7_P12ihipStream_tbENKUlT_T0_SK_SP_E_clISE_SE_SF_SF_EEDaS13_S14_SK_SP_EUlS13_E_NS1_11comp_targetILNS1_3genE6ELNS1_11target_archE950ELNS1_3gpuE13ELNS1_3repE0EEENS1_47radix_sort_onesweep_sort_config_static_selectorELNS0_4arch9wavefront6targetE1EEEvSK_,"axG",@progbits,_ZN7rocprim17ROCPRIM_400000_NS6detail17trampoline_kernelINS0_14default_configENS1_35radix_sort_onesweep_config_selectorIxNS0_10empty_typeEEEZZNS1_29radix_sort_onesweep_iterationIS3_Lb0EN6thrust23THRUST_200600_302600_NS6detail15normal_iteratorINS9_10device_ptrIxEEEESE_PS5_SF_jNS0_19identity_decomposerENS1_16block_id_wrapperIjLb0EEEEE10hipError_tT1_PNSt15iterator_traitsISK_E10value_typeET2_T3_PNSL_ISQ_E10value_typeET4_T5_PSV_SW_PNS1_23onesweep_lookback_stateEbbT6_jjT7_P12ihipStream_tbENKUlT_T0_SK_SP_E_clISE_SE_SF_SF_EEDaS13_S14_SK_SP_EUlS13_E_NS1_11comp_targetILNS1_3genE6ELNS1_11target_archE950ELNS1_3gpuE13ELNS1_3repE0EEENS1_47radix_sort_onesweep_sort_config_static_selectorELNS0_4arch9wavefront6targetE1EEEvSK_,comdat
	.protected	_ZN7rocprim17ROCPRIM_400000_NS6detail17trampoline_kernelINS0_14default_configENS1_35radix_sort_onesweep_config_selectorIxNS0_10empty_typeEEEZZNS1_29radix_sort_onesweep_iterationIS3_Lb0EN6thrust23THRUST_200600_302600_NS6detail15normal_iteratorINS9_10device_ptrIxEEEESE_PS5_SF_jNS0_19identity_decomposerENS1_16block_id_wrapperIjLb0EEEEE10hipError_tT1_PNSt15iterator_traitsISK_E10value_typeET2_T3_PNSL_ISQ_E10value_typeET4_T5_PSV_SW_PNS1_23onesweep_lookback_stateEbbT6_jjT7_P12ihipStream_tbENKUlT_T0_SK_SP_E_clISE_SE_SF_SF_EEDaS13_S14_SK_SP_EUlS13_E_NS1_11comp_targetILNS1_3genE6ELNS1_11target_archE950ELNS1_3gpuE13ELNS1_3repE0EEENS1_47radix_sort_onesweep_sort_config_static_selectorELNS0_4arch9wavefront6targetE1EEEvSK_ ; -- Begin function _ZN7rocprim17ROCPRIM_400000_NS6detail17trampoline_kernelINS0_14default_configENS1_35radix_sort_onesweep_config_selectorIxNS0_10empty_typeEEEZZNS1_29radix_sort_onesweep_iterationIS3_Lb0EN6thrust23THRUST_200600_302600_NS6detail15normal_iteratorINS9_10device_ptrIxEEEESE_PS5_SF_jNS0_19identity_decomposerENS1_16block_id_wrapperIjLb0EEEEE10hipError_tT1_PNSt15iterator_traitsISK_E10value_typeET2_T3_PNSL_ISQ_E10value_typeET4_T5_PSV_SW_PNS1_23onesweep_lookback_stateEbbT6_jjT7_P12ihipStream_tbENKUlT_T0_SK_SP_E_clISE_SE_SF_SF_EEDaS13_S14_SK_SP_EUlS13_E_NS1_11comp_targetILNS1_3genE6ELNS1_11target_archE950ELNS1_3gpuE13ELNS1_3repE0EEENS1_47radix_sort_onesweep_sort_config_static_selectorELNS0_4arch9wavefront6targetE1EEEvSK_
	.globl	_ZN7rocprim17ROCPRIM_400000_NS6detail17trampoline_kernelINS0_14default_configENS1_35radix_sort_onesweep_config_selectorIxNS0_10empty_typeEEEZZNS1_29radix_sort_onesweep_iterationIS3_Lb0EN6thrust23THRUST_200600_302600_NS6detail15normal_iteratorINS9_10device_ptrIxEEEESE_PS5_SF_jNS0_19identity_decomposerENS1_16block_id_wrapperIjLb0EEEEE10hipError_tT1_PNSt15iterator_traitsISK_E10value_typeET2_T3_PNSL_ISQ_E10value_typeET4_T5_PSV_SW_PNS1_23onesweep_lookback_stateEbbT6_jjT7_P12ihipStream_tbENKUlT_T0_SK_SP_E_clISE_SE_SF_SF_EEDaS13_S14_SK_SP_EUlS13_E_NS1_11comp_targetILNS1_3genE6ELNS1_11target_archE950ELNS1_3gpuE13ELNS1_3repE0EEENS1_47radix_sort_onesweep_sort_config_static_selectorELNS0_4arch9wavefront6targetE1EEEvSK_
	.p2align	8
	.type	_ZN7rocprim17ROCPRIM_400000_NS6detail17trampoline_kernelINS0_14default_configENS1_35radix_sort_onesweep_config_selectorIxNS0_10empty_typeEEEZZNS1_29radix_sort_onesweep_iterationIS3_Lb0EN6thrust23THRUST_200600_302600_NS6detail15normal_iteratorINS9_10device_ptrIxEEEESE_PS5_SF_jNS0_19identity_decomposerENS1_16block_id_wrapperIjLb0EEEEE10hipError_tT1_PNSt15iterator_traitsISK_E10value_typeET2_T3_PNSL_ISQ_E10value_typeET4_T5_PSV_SW_PNS1_23onesweep_lookback_stateEbbT6_jjT7_P12ihipStream_tbENKUlT_T0_SK_SP_E_clISE_SE_SF_SF_EEDaS13_S14_SK_SP_EUlS13_E_NS1_11comp_targetILNS1_3genE6ELNS1_11target_archE950ELNS1_3gpuE13ELNS1_3repE0EEENS1_47radix_sort_onesweep_sort_config_static_selectorELNS0_4arch9wavefront6targetE1EEEvSK_,@function
_ZN7rocprim17ROCPRIM_400000_NS6detail17trampoline_kernelINS0_14default_configENS1_35radix_sort_onesweep_config_selectorIxNS0_10empty_typeEEEZZNS1_29radix_sort_onesweep_iterationIS3_Lb0EN6thrust23THRUST_200600_302600_NS6detail15normal_iteratorINS9_10device_ptrIxEEEESE_PS5_SF_jNS0_19identity_decomposerENS1_16block_id_wrapperIjLb0EEEEE10hipError_tT1_PNSt15iterator_traitsISK_E10value_typeET2_T3_PNSL_ISQ_E10value_typeET4_T5_PSV_SW_PNS1_23onesweep_lookback_stateEbbT6_jjT7_P12ihipStream_tbENKUlT_T0_SK_SP_E_clISE_SE_SF_SF_EEDaS13_S14_SK_SP_EUlS13_E_NS1_11comp_targetILNS1_3genE6ELNS1_11target_archE950ELNS1_3gpuE13ELNS1_3repE0EEENS1_47radix_sort_onesweep_sort_config_static_selectorELNS0_4arch9wavefront6targetE1EEEvSK_: ; @_ZN7rocprim17ROCPRIM_400000_NS6detail17trampoline_kernelINS0_14default_configENS1_35radix_sort_onesweep_config_selectorIxNS0_10empty_typeEEEZZNS1_29radix_sort_onesweep_iterationIS3_Lb0EN6thrust23THRUST_200600_302600_NS6detail15normal_iteratorINS9_10device_ptrIxEEEESE_PS5_SF_jNS0_19identity_decomposerENS1_16block_id_wrapperIjLb0EEEEE10hipError_tT1_PNSt15iterator_traitsISK_E10value_typeET2_T3_PNSL_ISQ_E10value_typeET4_T5_PSV_SW_PNS1_23onesweep_lookback_stateEbbT6_jjT7_P12ihipStream_tbENKUlT_T0_SK_SP_E_clISE_SE_SF_SF_EEDaS13_S14_SK_SP_EUlS13_E_NS1_11comp_targetILNS1_3genE6ELNS1_11target_archE950ELNS1_3gpuE13ELNS1_3repE0EEENS1_47radix_sort_onesweep_sort_config_static_selectorELNS0_4arch9wavefront6targetE1EEEvSK_
; %bb.0:
	.section	.rodata,"a",@progbits
	.p2align	6, 0x0
	.amdhsa_kernel _ZN7rocprim17ROCPRIM_400000_NS6detail17trampoline_kernelINS0_14default_configENS1_35radix_sort_onesweep_config_selectorIxNS0_10empty_typeEEEZZNS1_29radix_sort_onesweep_iterationIS3_Lb0EN6thrust23THRUST_200600_302600_NS6detail15normal_iteratorINS9_10device_ptrIxEEEESE_PS5_SF_jNS0_19identity_decomposerENS1_16block_id_wrapperIjLb0EEEEE10hipError_tT1_PNSt15iterator_traitsISK_E10value_typeET2_T3_PNSL_ISQ_E10value_typeET4_T5_PSV_SW_PNS1_23onesweep_lookback_stateEbbT6_jjT7_P12ihipStream_tbENKUlT_T0_SK_SP_E_clISE_SE_SF_SF_EEDaS13_S14_SK_SP_EUlS13_E_NS1_11comp_targetILNS1_3genE6ELNS1_11target_archE950ELNS1_3gpuE13ELNS1_3repE0EEENS1_47radix_sort_onesweep_sort_config_static_selectorELNS0_4arch9wavefront6targetE1EEEvSK_
		.amdhsa_group_segment_fixed_size 0
		.amdhsa_private_segment_fixed_size 0
		.amdhsa_kernarg_size 88
		.amdhsa_user_sgpr_count 6
		.amdhsa_user_sgpr_private_segment_buffer 1
		.amdhsa_user_sgpr_dispatch_ptr 0
		.amdhsa_user_sgpr_queue_ptr 0
		.amdhsa_user_sgpr_kernarg_segment_ptr 1
		.amdhsa_user_sgpr_dispatch_id 0
		.amdhsa_user_sgpr_flat_scratch_init 0
		.amdhsa_user_sgpr_kernarg_preload_length 0
		.amdhsa_user_sgpr_kernarg_preload_offset 0
		.amdhsa_user_sgpr_private_segment_size 0
		.amdhsa_uses_dynamic_stack 0
		.amdhsa_system_sgpr_private_segment_wavefront_offset 0
		.amdhsa_system_sgpr_workgroup_id_x 1
		.amdhsa_system_sgpr_workgroup_id_y 0
		.amdhsa_system_sgpr_workgroup_id_z 0
		.amdhsa_system_sgpr_workgroup_info 0
		.amdhsa_system_vgpr_workitem_id 0
		.amdhsa_next_free_vgpr 1
		.amdhsa_next_free_sgpr 0
		.amdhsa_accum_offset 4
		.amdhsa_reserve_vcc 0
		.amdhsa_reserve_flat_scratch 0
		.amdhsa_float_round_mode_32 0
		.amdhsa_float_round_mode_16_64 0
		.amdhsa_float_denorm_mode_32 3
		.amdhsa_float_denorm_mode_16_64 3
		.amdhsa_dx10_clamp 1
		.amdhsa_ieee_mode 1
		.amdhsa_fp16_overflow 0
		.amdhsa_tg_split 0
		.amdhsa_exception_fp_ieee_invalid_op 0
		.amdhsa_exception_fp_denorm_src 0
		.amdhsa_exception_fp_ieee_div_zero 0
		.amdhsa_exception_fp_ieee_overflow 0
		.amdhsa_exception_fp_ieee_underflow 0
		.amdhsa_exception_fp_ieee_inexact 0
		.amdhsa_exception_int_div_zero 0
	.end_amdhsa_kernel
	.section	.text._ZN7rocprim17ROCPRIM_400000_NS6detail17trampoline_kernelINS0_14default_configENS1_35radix_sort_onesweep_config_selectorIxNS0_10empty_typeEEEZZNS1_29radix_sort_onesweep_iterationIS3_Lb0EN6thrust23THRUST_200600_302600_NS6detail15normal_iteratorINS9_10device_ptrIxEEEESE_PS5_SF_jNS0_19identity_decomposerENS1_16block_id_wrapperIjLb0EEEEE10hipError_tT1_PNSt15iterator_traitsISK_E10value_typeET2_T3_PNSL_ISQ_E10value_typeET4_T5_PSV_SW_PNS1_23onesweep_lookback_stateEbbT6_jjT7_P12ihipStream_tbENKUlT_T0_SK_SP_E_clISE_SE_SF_SF_EEDaS13_S14_SK_SP_EUlS13_E_NS1_11comp_targetILNS1_3genE6ELNS1_11target_archE950ELNS1_3gpuE13ELNS1_3repE0EEENS1_47radix_sort_onesweep_sort_config_static_selectorELNS0_4arch9wavefront6targetE1EEEvSK_,"axG",@progbits,_ZN7rocprim17ROCPRIM_400000_NS6detail17trampoline_kernelINS0_14default_configENS1_35radix_sort_onesweep_config_selectorIxNS0_10empty_typeEEEZZNS1_29radix_sort_onesweep_iterationIS3_Lb0EN6thrust23THRUST_200600_302600_NS6detail15normal_iteratorINS9_10device_ptrIxEEEESE_PS5_SF_jNS0_19identity_decomposerENS1_16block_id_wrapperIjLb0EEEEE10hipError_tT1_PNSt15iterator_traitsISK_E10value_typeET2_T3_PNSL_ISQ_E10value_typeET4_T5_PSV_SW_PNS1_23onesweep_lookback_stateEbbT6_jjT7_P12ihipStream_tbENKUlT_T0_SK_SP_E_clISE_SE_SF_SF_EEDaS13_S14_SK_SP_EUlS13_E_NS1_11comp_targetILNS1_3genE6ELNS1_11target_archE950ELNS1_3gpuE13ELNS1_3repE0EEENS1_47radix_sort_onesweep_sort_config_static_selectorELNS0_4arch9wavefront6targetE1EEEvSK_,comdat
.Lfunc_end1570:
	.size	_ZN7rocprim17ROCPRIM_400000_NS6detail17trampoline_kernelINS0_14default_configENS1_35radix_sort_onesweep_config_selectorIxNS0_10empty_typeEEEZZNS1_29radix_sort_onesweep_iterationIS3_Lb0EN6thrust23THRUST_200600_302600_NS6detail15normal_iteratorINS9_10device_ptrIxEEEESE_PS5_SF_jNS0_19identity_decomposerENS1_16block_id_wrapperIjLb0EEEEE10hipError_tT1_PNSt15iterator_traitsISK_E10value_typeET2_T3_PNSL_ISQ_E10value_typeET4_T5_PSV_SW_PNS1_23onesweep_lookback_stateEbbT6_jjT7_P12ihipStream_tbENKUlT_T0_SK_SP_E_clISE_SE_SF_SF_EEDaS13_S14_SK_SP_EUlS13_E_NS1_11comp_targetILNS1_3genE6ELNS1_11target_archE950ELNS1_3gpuE13ELNS1_3repE0EEENS1_47radix_sort_onesweep_sort_config_static_selectorELNS0_4arch9wavefront6targetE1EEEvSK_, .Lfunc_end1570-_ZN7rocprim17ROCPRIM_400000_NS6detail17trampoline_kernelINS0_14default_configENS1_35radix_sort_onesweep_config_selectorIxNS0_10empty_typeEEEZZNS1_29radix_sort_onesweep_iterationIS3_Lb0EN6thrust23THRUST_200600_302600_NS6detail15normal_iteratorINS9_10device_ptrIxEEEESE_PS5_SF_jNS0_19identity_decomposerENS1_16block_id_wrapperIjLb0EEEEE10hipError_tT1_PNSt15iterator_traitsISK_E10value_typeET2_T3_PNSL_ISQ_E10value_typeET4_T5_PSV_SW_PNS1_23onesweep_lookback_stateEbbT6_jjT7_P12ihipStream_tbENKUlT_T0_SK_SP_E_clISE_SE_SF_SF_EEDaS13_S14_SK_SP_EUlS13_E_NS1_11comp_targetILNS1_3genE6ELNS1_11target_archE950ELNS1_3gpuE13ELNS1_3repE0EEENS1_47radix_sort_onesweep_sort_config_static_selectorELNS0_4arch9wavefront6targetE1EEEvSK_
                                        ; -- End function
	.section	.AMDGPU.csdata,"",@progbits
; Kernel info:
; codeLenInByte = 0
; NumSgprs: 4
; NumVgprs: 0
; NumAgprs: 0
; TotalNumVgprs: 0
; ScratchSize: 0
; MemoryBound: 0
; FloatMode: 240
; IeeeMode: 1
; LDSByteSize: 0 bytes/workgroup (compile time only)
; SGPRBlocks: 0
; VGPRBlocks: 0
; NumSGPRsForWavesPerEU: 4
; NumVGPRsForWavesPerEU: 1
; AccumOffset: 4
; Occupancy: 8
; WaveLimiterHint : 0
; COMPUTE_PGM_RSRC2:SCRATCH_EN: 0
; COMPUTE_PGM_RSRC2:USER_SGPR: 6
; COMPUTE_PGM_RSRC2:TRAP_HANDLER: 0
; COMPUTE_PGM_RSRC2:TGID_X_EN: 1
; COMPUTE_PGM_RSRC2:TGID_Y_EN: 0
; COMPUTE_PGM_RSRC2:TGID_Z_EN: 0
; COMPUTE_PGM_RSRC2:TIDIG_COMP_CNT: 0
; COMPUTE_PGM_RSRC3_GFX90A:ACCUM_OFFSET: 0
; COMPUTE_PGM_RSRC3_GFX90A:TG_SPLIT: 0
	.section	.text._ZN7rocprim17ROCPRIM_400000_NS6detail17trampoline_kernelINS0_14default_configENS1_35radix_sort_onesweep_config_selectorIxNS0_10empty_typeEEEZZNS1_29radix_sort_onesweep_iterationIS3_Lb0EN6thrust23THRUST_200600_302600_NS6detail15normal_iteratorINS9_10device_ptrIxEEEESE_PS5_SF_jNS0_19identity_decomposerENS1_16block_id_wrapperIjLb0EEEEE10hipError_tT1_PNSt15iterator_traitsISK_E10value_typeET2_T3_PNSL_ISQ_E10value_typeET4_T5_PSV_SW_PNS1_23onesweep_lookback_stateEbbT6_jjT7_P12ihipStream_tbENKUlT_T0_SK_SP_E_clISE_SE_SF_SF_EEDaS13_S14_SK_SP_EUlS13_E_NS1_11comp_targetILNS1_3genE5ELNS1_11target_archE942ELNS1_3gpuE9ELNS1_3repE0EEENS1_47radix_sort_onesweep_sort_config_static_selectorELNS0_4arch9wavefront6targetE1EEEvSK_,"axG",@progbits,_ZN7rocprim17ROCPRIM_400000_NS6detail17trampoline_kernelINS0_14default_configENS1_35radix_sort_onesweep_config_selectorIxNS0_10empty_typeEEEZZNS1_29radix_sort_onesweep_iterationIS3_Lb0EN6thrust23THRUST_200600_302600_NS6detail15normal_iteratorINS9_10device_ptrIxEEEESE_PS5_SF_jNS0_19identity_decomposerENS1_16block_id_wrapperIjLb0EEEEE10hipError_tT1_PNSt15iterator_traitsISK_E10value_typeET2_T3_PNSL_ISQ_E10value_typeET4_T5_PSV_SW_PNS1_23onesweep_lookback_stateEbbT6_jjT7_P12ihipStream_tbENKUlT_T0_SK_SP_E_clISE_SE_SF_SF_EEDaS13_S14_SK_SP_EUlS13_E_NS1_11comp_targetILNS1_3genE5ELNS1_11target_archE942ELNS1_3gpuE9ELNS1_3repE0EEENS1_47radix_sort_onesweep_sort_config_static_selectorELNS0_4arch9wavefront6targetE1EEEvSK_,comdat
	.protected	_ZN7rocprim17ROCPRIM_400000_NS6detail17trampoline_kernelINS0_14default_configENS1_35radix_sort_onesweep_config_selectorIxNS0_10empty_typeEEEZZNS1_29radix_sort_onesweep_iterationIS3_Lb0EN6thrust23THRUST_200600_302600_NS6detail15normal_iteratorINS9_10device_ptrIxEEEESE_PS5_SF_jNS0_19identity_decomposerENS1_16block_id_wrapperIjLb0EEEEE10hipError_tT1_PNSt15iterator_traitsISK_E10value_typeET2_T3_PNSL_ISQ_E10value_typeET4_T5_PSV_SW_PNS1_23onesweep_lookback_stateEbbT6_jjT7_P12ihipStream_tbENKUlT_T0_SK_SP_E_clISE_SE_SF_SF_EEDaS13_S14_SK_SP_EUlS13_E_NS1_11comp_targetILNS1_3genE5ELNS1_11target_archE942ELNS1_3gpuE9ELNS1_3repE0EEENS1_47radix_sort_onesweep_sort_config_static_selectorELNS0_4arch9wavefront6targetE1EEEvSK_ ; -- Begin function _ZN7rocprim17ROCPRIM_400000_NS6detail17trampoline_kernelINS0_14default_configENS1_35radix_sort_onesweep_config_selectorIxNS0_10empty_typeEEEZZNS1_29radix_sort_onesweep_iterationIS3_Lb0EN6thrust23THRUST_200600_302600_NS6detail15normal_iteratorINS9_10device_ptrIxEEEESE_PS5_SF_jNS0_19identity_decomposerENS1_16block_id_wrapperIjLb0EEEEE10hipError_tT1_PNSt15iterator_traitsISK_E10value_typeET2_T3_PNSL_ISQ_E10value_typeET4_T5_PSV_SW_PNS1_23onesweep_lookback_stateEbbT6_jjT7_P12ihipStream_tbENKUlT_T0_SK_SP_E_clISE_SE_SF_SF_EEDaS13_S14_SK_SP_EUlS13_E_NS1_11comp_targetILNS1_3genE5ELNS1_11target_archE942ELNS1_3gpuE9ELNS1_3repE0EEENS1_47radix_sort_onesweep_sort_config_static_selectorELNS0_4arch9wavefront6targetE1EEEvSK_
	.globl	_ZN7rocprim17ROCPRIM_400000_NS6detail17trampoline_kernelINS0_14default_configENS1_35radix_sort_onesweep_config_selectorIxNS0_10empty_typeEEEZZNS1_29radix_sort_onesweep_iterationIS3_Lb0EN6thrust23THRUST_200600_302600_NS6detail15normal_iteratorINS9_10device_ptrIxEEEESE_PS5_SF_jNS0_19identity_decomposerENS1_16block_id_wrapperIjLb0EEEEE10hipError_tT1_PNSt15iterator_traitsISK_E10value_typeET2_T3_PNSL_ISQ_E10value_typeET4_T5_PSV_SW_PNS1_23onesweep_lookback_stateEbbT6_jjT7_P12ihipStream_tbENKUlT_T0_SK_SP_E_clISE_SE_SF_SF_EEDaS13_S14_SK_SP_EUlS13_E_NS1_11comp_targetILNS1_3genE5ELNS1_11target_archE942ELNS1_3gpuE9ELNS1_3repE0EEENS1_47radix_sort_onesweep_sort_config_static_selectorELNS0_4arch9wavefront6targetE1EEEvSK_
	.p2align	8
	.type	_ZN7rocprim17ROCPRIM_400000_NS6detail17trampoline_kernelINS0_14default_configENS1_35radix_sort_onesweep_config_selectorIxNS0_10empty_typeEEEZZNS1_29radix_sort_onesweep_iterationIS3_Lb0EN6thrust23THRUST_200600_302600_NS6detail15normal_iteratorINS9_10device_ptrIxEEEESE_PS5_SF_jNS0_19identity_decomposerENS1_16block_id_wrapperIjLb0EEEEE10hipError_tT1_PNSt15iterator_traitsISK_E10value_typeET2_T3_PNSL_ISQ_E10value_typeET4_T5_PSV_SW_PNS1_23onesweep_lookback_stateEbbT6_jjT7_P12ihipStream_tbENKUlT_T0_SK_SP_E_clISE_SE_SF_SF_EEDaS13_S14_SK_SP_EUlS13_E_NS1_11comp_targetILNS1_3genE5ELNS1_11target_archE942ELNS1_3gpuE9ELNS1_3repE0EEENS1_47radix_sort_onesweep_sort_config_static_selectorELNS0_4arch9wavefront6targetE1EEEvSK_,@function
_ZN7rocprim17ROCPRIM_400000_NS6detail17trampoline_kernelINS0_14default_configENS1_35radix_sort_onesweep_config_selectorIxNS0_10empty_typeEEEZZNS1_29radix_sort_onesweep_iterationIS3_Lb0EN6thrust23THRUST_200600_302600_NS6detail15normal_iteratorINS9_10device_ptrIxEEEESE_PS5_SF_jNS0_19identity_decomposerENS1_16block_id_wrapperIjLb0EEEEE10hipError_tT1_PNSt15iterator_traitsISK_E10value_typeET2_T3_PNSL_ISQ_E10value_typeET4_T5_PSV_SW_PNS1_23onesweep_lookback_stateEbbT6_jjT7_P12ihipStream_tbENKUlT_T0_SK_SP_E_clISE_SE_SF_SF_EEDaS13_S14_SK_SP_EUlS13_E_NS1_11comp_targetILNS1_3genE5ELNS1_11target_archE942ELNS1_3gpuE9ELNS1_3repE0EEENS1_47radix_sort_onesweep_sort_config_static_selectorELNS0_4arch9wavefront6targetE1EEEvSK_: ; @_ZN7rocprim17ROCPRIM_400000_NS6detail17trampoline_kernelINS0_14default_configENS1_35radix_sort_onesweep_config_selectorIxNS0_10empty_typeEEEZZNS1_29radix_sort_onesweep_iterationIS3_Lb0EN6thrust23THRUST_200600_302600_NS6detail15normal_iteratorINS9_10device_ptrIxEEEESE_PS5_SF_jNS0_19identity_decomposerENS1_16block_id_wrapperIjLb0EEEEE10hipError_tT1_PNSt15iterator_traitsISK_E10value_typeET2_T3_PNSL_ISQ_E10value_typeET4_T5_PSV_SW_PNS1_23onesweep_lookback_stateEbbT6_jjT7_P12ihipStream_tbENKUlT_T0_SK_SP_E_clISE_SE_SF_SF_EEDaS13_S14_SK_SP_EUlS13_E_NS1_11comp_targetILNS1_3genE5ELNS1_11target_archE942ELNS1_3gpuE9ELNS1_3repE0EEENS1_47radix_sort_onesweep_sort_config_static_selectorELNS0_4arch9wavefront6targetE1EEEvSK_
; %bb.0:
	.section	.rodata,"a",@progbits
	.p2align	6, 0x0
	.amdhsa_kernel _ZN7rocprim17ROCPRIM_400000_NS6detail17trampoline_kernelINS0_14default_configENS1_35radix_sort_onesweep_config_selectorIxNS0_10empty_typeEEEZZNS1_29radix_sort_onesweep_iterationIS3_Lb0EN6thrust23THRUST_200600_302600_NS6detail15normal_iteratorINS9_10device_ptrIxEEEESE_PS5_SF_jNS0_19identity_decomposerENS1_16block_id_wrapperIjLb0EEEEE10hipError_tT1_PNSt15iterator_traitsISK_E10value_typeET2_T3_PNSL_ISQ_E10value_typeET4_T5_PSV_SW_PNS1_23onesweep_lookback_stateEbbT6_jjT7_P12ihipStream_tbENKUlT_T0_SK_SP_E_clISE_SE_SF_SF_EEDaS13_S14_SK_SP_EUlS13_E_NS1_11comp_targetILNS1_3genE5ELNS1_11target_archE942ELNS1_3gpuE9ELNS1_3repE0EEENS1_47radix_sort_onesweep_sort_config_static_selectorELNS0_4arch9wavefront6targetE1EEEvSK_
		.amdhsa_group_segment_fixed_size 0
		.amdhsa_private_segment_fixed_size 0
		.amdhsa_kernarg_size 88
		.amdhsa_user_sgpr_count 6
		.amdhsa_user_sgpr_private_segment_buffer 1
		.amdhsa_user_sgpr_dispatch_ptr 0
		.amdhsa_user_sgpr_queue_ptr 0
		.amdhsa_user_sgpr_kernarg_segment_ptr 1
		.amdhsa_user_sgpr_dispatch_id 0
		.amdhsa_user_sgpr_flat_scratch_init 0
		.amdhsa_user_sgpr_kernarg_preload_length 0
		.amdhsa_user_sgpr_kernarg_preload_offset 0
		.amdhsa_user_sgpr_private_segment_size 0
		.amdhsa_uses_dynamic_stack 0
		.amdhsa_system_sgpr_private_segment_wavefront_offset 0
		.amdhsa_system_sgpr_workgroup_id_x 1
		.amdhsa_system_sgpr_workgroup_id_y 0
		.amdhsa_system_sgpr_workgroup_id_z 0
		.amdhsa_system_sgpr_workgroup_info 0
		.amdhsa_system_vgpr_workitem_id 0
		.amdhsa_next_free_vgpr 1
		.amdhsa_next_free_sgpr 0
		.amdhsa_accum_offset 4
		.amdhsa_reserve_vcc 0
		.amdhsa_reserve_flat_scratch 0
		.amdhsa_float_round_mode_32 0
		.amdhsa_float_round_mode_16_64 0
		.amdhsa_float_denorm_mode_32 3
		.amdhsa_float_denorm_mode_16_64 3
		.amdhsa_dx10_clamp 1
		.amdhsa_ieee_mode 1
		.amdhsa_fp16_overflow 0
		.amdhsa_tg_split 0
		.amdhsa_exception_fp_ieee_invalid_op 0
		.amdhsa_exception_fp_denorm_src 0
		.amdhsa_exception_fp_ieee_div_zero 0
		.amdhsa_exception_fp_ieee_overflow 0
		.amdhsa_exception_fp_ieee_underflow 0
		.amdhsa_exception_fp_ieee_inexact 0
		.amdhsa_exception_int_div_zero 0
	.end_amdhsa_kernel
	.section	.text._ZN7rocprim17ROCPRIM_400000_NS6detail17trampoline_kernelINS0_14default_configENS1_35radix_sort_onesweep_config_selectorIxNS0_10empty_typeEEEZZNS1_29radix_sort_onesweep_iterationIS3_Lb0EN6thrust23THRUST_200600_302600_NS6detail15normal_iteratorINS9_10device_ptrIxEEEESE_PS5_SF_jNS0_19identity_decomposerENS1_16block_id_wrapperIjLb0EEEEE10hipError_tT1_PNSt15iterator_traitsISK_E10value_typeET2_T3_PNSL_ISQ_E10value_typeET4_T5_PSV_SW_PNS1_23onesweep_lookback_stateEbbT6_jjT7_P12ihipStream_tbENKUlT_T0_SK_SP_E_clISE_SE_SF_SF_EEDaS13_S14_SK_SP_EUlS13_E_NS1_11comp_targetILNS1_3genE5ELNS1_11target_archE942ELNS1_3gpuE9ELNS1_3repE0EEENS1_47radix_sort_onesweep_sort_config_static_selectorELNS0_4arch9wavefront6targetE1EEEvSK_,"axG",@progbits,_ZN7rocprim17ROCPRIM_400000_NS6detail17trampoline_kernelINS0_14default_configENS1_35radix_sort_onesweep_config_selectorIxNS0_10empty_typeEEEZZNS1_29radix_sort_onesweep_iterationIS3_Lb0EN6thrust23THRUST_200600_302600_NS6detail15normal_iteratorINS9_10device_ptrIxEEEESE_PS5_SF_jNS0_19identity_decomposerENS1_16block_id_wrapperIjLb0EEEEE10hipError_tT1_PNSt15iterator_traitsISK_E10value_typeET2_T3_PNSL_ISQ_E10value_typeET4_T5_PSV_SW_PNS1_23onesweep_lookback_stateEbbT6_jjT7_P12ihipStream_tbENKUlT_T0_SK_SP_E_clISE_SE_SF_SF_EEDaS13_S14_SK_SP_EUlS13_E_NS1_11comp_targetILNS1_3genE5ELNS1_11target_archE942ELNS1_3gpuE9ELNS1_3repE0EEENS1_47radix_sort_onesweep_sort_config_static_selectorELNS0_4arch9wavefront6targetE1EEEvSK_,comdat
.Lfunc_end1571:
	.size	_ZN7rocprim17ROCPRIM_400000_NS6detail17trampoline_kernelINS0_14default_configENS1_35radix_sort_onesweep_config_selectorIxNS0_10empty_typeEEEZZNS1_29radix_sort_onesweep_iterationIS3_Lb0EN6thrust23THRUST_200600_302600_NS6detail15normal_iteratorINS9_10device_ptrIxEEEESE_PS5_SF_jNS0_19identity_decomposerENS1_16block_id_wrapperIjLb0EEEEE10hipError_tT1_PNSt15iterator_traitsISK_E10value_typeET2_T3_PNSL_ISQ_E10value_typeET4_T5_PSV_SW_PNS1_23onesweep_lookback_stateEbbT6_jjT7_P12ihipStream_tbENKUlT_T0_SK_SP_E_clISE_SE_SF_SF_EEDaS13_S14_SK_SP_EUlS13_E_NS1_11comp_targetILNS1_3genE5ELNS1_11target_archE942ELNS1_3gpuE9ELNS1_3repE0EEENS1_47radix_sort_onesweep_sort_config_static_selectorELNS0_4arch9wavefront6targetE1EEEvSK_, .Lfunc_end1571-_ZN7rocprim17ROCPRIM_400000_NS6detail17trampoline_kernelINS0_14default_configENS1_35radix_sort_onesweep_config_selectorIxNS0_10empty_typeEEEZZNS1_29radix_sort_onesweep_iterationIS3_Lb0EN6thrust23THRUST_200600_302600_NS6detail15normal_iteratorINS9_10device_ptrIxEEEESE_PS5_SF_jNS0_19identity_decomposerENS1_16block_id_wrapperIjLb0EEEEE10hipError_tT1_PNSt15iterator_traitsISK_E10value_typeET2_T3_PNSL_ISQ_E10value_typeET4_T5_PSV_SW_PNS1_23onesweep_lookback_stateEbbT6_jjT7_P12ihipStream_tbENKUlT_T0_SK_SP_E_clISE_SE_SF_SF_EEDaS13_S14_SK_SP_EUlS13_E_NS1_11comp_targetILNS1_3genE5ELNS1_11target_archE942ELNS1_3gpuE9ELNS1_3repE0EEENS1_47radix_sort_onesweep_sort_config_static_selectorELNS0_4arch9wavefront6targetE1EEEvSK_
                                        ; -- End function
	.section	.AMDGPU.csdata,"",@progbits
; Kernel info:
; codeLenInByte = 0
; NumSgprs: 4
; NumVgprs: 0
; NumAgprs: 0
; TotalNumVgprs: 0
; ScratchSize: 0
; MemoryBound: 0
; FloatMode: 240
; IeeeMode: 1
; LDSByteSize: 0 bytes/workgroup (compile time only)
; SGPRBlocks: 0
; VGPRBlocks: 0
; NumSGPRsForWavesPerEU: 4
; NumVGPRsForWavesPerEU: 1
; AccumOffset: 4
; Occupancy: 8
; WaveLimiterHint : 0
; COMPUTE_PGM_RSRC2:SCRATCH_EN: 0
; COMPUTE_PGM_RSRC2:USER_SGPR: 6
; COMPUTE_PGM_RSRC2:TRAP_HANDLER: 0
; COMPUTE_PGM_RSRC2:TGID_X_EN: 1
; COMPUTE_PGM_RSRC2:TGID_Y_EN: 0
; COMPUTE_PGM_RSRC2:TGID_Z_EN: 0
; COMPUTE_PGM_RSRC2:TIDIG_COMP_CNT: 0
; COMPUTE_PGM_RSRC3_GFX90A:ACCUM_OFFSET: 0
; COMPUTE_PGM_RSRC3_GFX90A:TG_SPLIT: 0
	.section	.text._ZN7rocprim17ROCPRIM_400000_NS6detail17trampoline_kernelINS0_14default_configENS1_35radix_sort_onesweep_config_selectorIxNS0_10empty_typeEEEZZNS1_29radix_sort_onesweep_iterationIS3_Lb0EN6thrust23THRUST_200600_302600_NS6detail15normal_iteratorINS9_10device_ptrIxEEEESE_PS5_SF_jNS0_19identity_decomposerENS1_16block_id_wrapperIjLb0EEEEE10hipError_tT1_PNSt15iterator_traitsISK_E10value_typeET2_T3_PNSL_ISQ_E10value_typeET4_T5_PSV_SW_PNS1_23onesweep_lookback_stateEbbT6_jjT7_P12ihipStream_tbENKUlT_T0_SK_SP_E_clISE_SE_SF_SF_EEDaS13_S14_SK_SP_EUlS13_E_NS1_11comp_targetILNS1_3genE2ELNS1_11target_archE906ELNS1_3gpuE6ELNS1_3repE0EEENS1_47radix_sort_onesweep_sort_config_static_selectorELNS0_4arch9wavefront6targetE1EEEvSK_,"axG",@progbits,_ZN7rocprim17ROCPRIM_400000_NS6detail17trampoline_kernelINS0_14default_configENS1_35radix_sort_onesweep_config_selectorIxNS0_10empty_typeEEEZZNS1_29radix_sort_onesweep_iterationIS3_Lb0EN6thrust23THRUST_200600_302600_NS6detail15normal_iteratorINS9_10device_ptrIxEEEESE_PS5_SF_jNS0_19identity_decomposerENS1_16block_id_wrapperIjLb0EEEEE10hipError_tT1_PNSt15iterator_traitsISK_E10value_typeET2_T3_PNSL_ISQ_E10value_typeET4_T5_PSV_SW_PNS1_23onesweep_lookback_stateEbbT6_jjT7_P12ihipStream_tbENKUlT_T0_SK_SP_E_clISE_SE_SF_SF_EEDaS13_S14_SK_SP_EUlS13_E_NS1_11comp_targetILNS1_3genE2ELNS1_11target_archE906ELNS1_3gpuE6ELNS1_3repE0EEENS1_47radix_sort_onesweep_sort_config_static_selectorELNS0_4arch9wavefront6targetE1EEEvSK_,comdat
	.protected	_ZN7rocprim17ROCPRIM_400000_NS6detail17trampoline_kernelINS0_14default_configENS1_35radix_sort_onesweep_config_selectorIxNS0_10empty_typeEEEZZNS1_29radix_sort_onesweep_iterationIS3_Lb0EN6thrust23THRUST_200600_302600_NS6detail15normal_iteratorINS9_10device_ptrIxEEEESE_PS5_SF_jNS0_19identity_decomposerENS1_16block_id_wrapperIjLb0EEEEE10hipError_tT1_PNSt15iterator_traitsISK_E10value_typeET2_T3_PNSL_ISQ_E10value_typeET4_T5_PSV_SW_PNS1_23onesweep_lookback_stateEbbT6_jjT7_P12ihipStream_tbENKUlT_T0_SK_SP_E_clISE_SE_SF_SF_EEDaS13_S14_SK_SP_EUlS13_E_NS1_11comp_targetILNS1_3genE2ELNS1_11target_archE906ELNS1_3gpuE6ELNS1_3repE0EEENS1_47radix_sort_onesweep_sort_config_static_selectorELNS0_4arch9wavefront6targetE1EEEvSK_ ; -- Begin function _ZN7rocprim17ROCPRIM_400000_NS6detail17trampoline_kernelINS0_14default_configENS1_35radix_sort_onesweep_config_selectorIxNS0_10empty_typeEEEZZNS1_29radix_sort_onesweep_iterationIS3_Lb0EN6thrust23THRUST_200600_302600_NS6detail15normal_iteratorINS9_10device_ptrIxEEEESE_PS5_SF_jNS0_19identity_decomposerENS1_16block_id_wrapperIjLb0EEEEE10hipError_tT1_PNSt15iterator_traitsISK_E10value_typeET2_T3_PNSL_ISQ_E10value_typeET4_T5_PSV_SW_PNS1_23onesweep_lookback_stateEbbT6_jjT7_P12ihipStream_tbENKUlT_T0_SK_SP_E_clISE_SE_SF_SF_EEDaS13_S14_SK_SP_EUlS13_E_NS1_11comp_targetILNS1_3genE2ELNS1_11target_archE906ELNS1_3gpuE6ELNS1_3repE0EEENS1_47radix_sort_onesweep_sort_config_static_selectorELNS0_4arch9wavefront6targetE1EEEvSK_
	.globl	_ZN7rocprim17ROCPRIM_400000_NS6detail17trampoline_kernelINS0_14default_configENS1_35radix_sort_onesweep_config_selectorIxNS0_10empty_typeEEEZZNS1_29radix_sort_onesweep_iterationIS3_Lb0EN6thrust23THRUST_200600_302600_NS6detail15normal_iteratorINS9_10device_ptrIxEEEESE_PS5_SF_jNS0_19identity_decomposerENS1_16block_id_wrapperIjLb0EEEEE10hipError_tT1_PNSt15iterator_traitsISK_E10value_typeET2_T3_PNSL_ISQ_E10value_typeET4_T5_PSV_SW_PNS1_23onesweep_lookback_stateEbbT6_jjT7_P12ihipStream_tbENKUlT_T0_SK_SP_E_clISE_SE_SF_SF_EEDaS13_S14_SK_SP_EUlS13_E_NS1_11comp_targetILNS1_3genE2ELNS1_11target_archE906ELNS1_3gpuE6ELNS1_3repE0EEENS1_47radix_sort_onesweep_sort_config_static_selectorELNS0_4arch9wavefront6targetE1EEEvSK_
	.p2align	8
	.type	_ZN7rocprim17ROCPRIM_400000_NS6detail17trampoline_kernelINS0_14default_configENS1_35radix_sort_onesweep_config_selectorIxNS0_10empty_typeEEEZZNS1_29radix_sort_onesweep_iterationIS3_Lb0EN6thrust23THRUST_200600_302600_NS6detail15normal_iteratorINS9_10device_ptrIxEEEESE_PS5_SF_jNS0_19identity_decomposerENS1_16block_id_wrapperIjLb0EEEEE10hipError_tT1_PNSt15iterator_traitsISK_E10value_typeET2_T3_PNSL_ISQ_E10value_typeET4_T5_PSV_SW_PNS1_23onesweep_lookback_stateEbbT6_jjT7_P12ihipStream_tbENKUlT_T0_SK_SP_E_clISE_SE_SF_SF_EEDaS13_S14_SK_SP_EUlS13_E_NS1_11comp_targetILNS1_3genE2ELNS1_11target_archE906ELNS1_3gpuE6ELNS1_3repE0EEENS1_47radix_sort_onesweep_sort_config_static_selectorELNS0_4arch9wavefront6targetE1EEEvSK_,@function
_ZN7rocprim17ROCPRIM_400000_NS6detail17trampoline_kernelINS0_14default_configENS1_35radix_sort_onesweep_config_selectorIxNS0_10empty_typeEEEZZNS1_29radix_sort_onesweep_iterationIS3_Lb0EN6thrust23THRUST_200600_302600_NS6detail15normal_iteratorINS9_10device_ptrIxEEEESE_PS5_SF_jNS0_19identity_decomposerENS1_16block_id_wrapperIjLb0EEEEE10hipError_tT1_PNSt15iterator_traitsISK_E10value_typeET2_T3_PNSL_ISQ_E10value_typeET4_T5_PSV_SW_PNS1_23onesweep_lookback_stateEbbT6_jjT7_P12ihipStream_tbENKUlT_T0_SK_SP_E_clISE_SE_SF_SF_EEDaS13_S14_SK_SP_EUlS13_E_NS1_11comp_targetILNS1_3genE2ELNS1_11target_archE906ELNS1_3gpuE6ELNS1_3repE0EEENS1_47radix_sort_onesweep_sort_config_static_selectorELNS0_4arch9wavefront6targetE1EEEvSK_: ; @_ZN7rocprim17ROCPRIM_400000_NS6detail17trampoline_kernelINS0_14default_configENS1_35radix_sort_onesweep_config_selectorIxNS0_10empty_typeEEEZZNS1_29radix_sort_onesweep_iterationIS3_Lb0EN6thrust23THRUST_200600_302600_NS6detail15normal_iteratorINS9_10device_ptrIxEEEESE_PS5_SF_jNS0_19identity_decomposerENS1_16block_id_wrapperIjLb0EEEEE10hipError_tT1_PNSt15iterator_traitsISK_E10value_typeET2_T3_PNSL_ISQ_E10value_typeET4_T5_PSV_SW_PNS1_23onesweep_lookback_stateEbbT6_jjT7_P12ihipStream_tbENKUlT_T0_SK_SP_E_clISE_SE_SF_SF_EEDaS13_S14_SK_SP_EUlS13_E_NS1_11comp_targetILNS1_3genE2ELNS1_11target_archE906ELNS1_3gpuE6ELNS1_3repE0EEENS1_47radix_sort_onesweep_sort_config_static_selectorELNS0_4arch9wavefront6targetE1EEEvSK_
; %bb.0:
	.section	.rodata,"a",@progbits
	.p2align	6, 0x0
	.amdhsa_kernel _ZN7rocprim17ROCPRIM_400000_NS6detail17trampoline_kernelINS0_14default_configENS1_35radix_sort_onesweep_config_selectorIxNS0_10empty_typeEEEZZNS1_29radix_sort_onesweep_iterationIS3_Lb0EN6thrust23THRUST_200600_302600_NS6detail15normal_iteratorINS9_10device_ptrIxEEEESE_PS5_SF_jNS0_19identity_decomposerENS1_16block_id_wrapperIjLb0EEEEE10hipError_tT1_PNSt15iterator_traitsISK_E10value_typeET2_T3_PNSL_ISQ_E10value_typeET4_T5_PSV_SW_PNS1_23onesweep_lookback_stateEbbT6_jjT7_P12ihipStream_tbENKUlT_T0_SK_SP_E_clISE_SE_SF_SF_EEDaS13_S14_SK_SP_EUlS13_E_NS1_11comp_targetILNS1_3genE2ELNS1_11target_archE906ELNS1_3gpuE6ELNS1_3repE0EEENS1_47radix_sort_onesweep_sort_config_static_selectorELNS0_4arch9wavefront6targetE1EEEvSK_
		.amdhsa_group_segment_fixed_size 0
		.amdhsa_private_segment_fixed_size 0
		.amdhsa_kernarg_size 88
		.amdhsa_user_sgpr_count 6
		.amdhsa_user_sgpr_private_segment_buffer 1
		.amdhsa_user_sgpr_dispatch_ptr 0
		.amdhsa_user_sgpr_queue_ptr 0
		.amdhsa_user_sgpr_kernarg_segment_ptr 1
		.amdhsa_user_sgpr_dispatch_id 0
		.amdhsa_user_sgpr_flat_scratch_init 0
		.amdhsa_user_sgpr_kernarg_preload_length 0
		.amdhsa_user_sgpr_kernarg_preload_offset 0
		.amdhsa_user_sgpr_private_segment_size 0
		.amdhsa_uses_dynamic_stack 0
		.amdhsa_system_sgpr_private_segment_wavefront_offset 0
		.amdhsa_system_sgpr_workgroup_id_x 1
		.amdhsa_system_sgpr_workgroup_id_y 0
		.amdhsa_system_sgpr_workgroup_id_z 0
		.amdhsa_system_sgpr_workgroup_info 0
		.amdhsa_system_vgpr_workitem_id 0
		.amdhsa_next_free_vgpr 1
		.amdhsa_next_free_sgpr 0
		.amdhsa_accum_offset 4
		.amdhsa_reserve_vcc 0
		.amdhsa_reserve_flat_scratch 0
		.amdhsa_float_round_mode_32 0
		.amdhsa_float_round_mode_16_64 0
		.amdhsa_float_denorm_mode_32 3
		.amdhsa_float_denorm_mode_16_64 3
		.amdhsa_dx10_clamp 1
		.amdhsa_ieee_mode 1
		.amdhsa_fp16_overflow 0
		.amdhsa_tg_split 0
		.amdhsa_exception_fp_ieee_invalid_op 0
		.amdhsa_exception_fp_denorm_src 0
		.amdhsa_exception_fp_ieee_div_zero 0
		.amdhsa_exception_fp_ieee_overflow 0
		.amdhsa_exception_fp_ieee_underflow 0
		.amdhsa_exception_fp_ieee_inexact 0
		.amdhsa_exception_int_div_zero 0
	.end_amdhsa_kernel
	.section	.text._ZN7rocprim17ROCPRIM_400000_NS6detail17trampoline_kernelINS0_14default_configENS1_35radix_sort_onesweep_config_selectorIxNS0_10empty_typeEEEZZNS1_29radix_sort_onesweep_iterationIS3_Lb0EN6thrust23THRUST_200600_302600_NS6detail15normal_iteratorINS9_10device_ptrIxEEEESE_PS5_SF_jNS0_19identity_decomposerENS1_16block_id_wrapperIjLb0EEEEE10hipError_tT1_PNSt15iterator_traitsISK_E10value_typeET2_T3_PNSL_ISQ_E10value_typeET4_T5_PSV_SW_PNS1_23onesweep_lookback_stateEbbT6_jjT7_P12ihipStream_tbENKUlT_T0_SK_SP_E_clISE_SE_SF_SF_EEDaS13_S14_SK_SP_EUlS13_E_NS1_11comp_targetILNS1_3genE2ELNS1_11target_archE906ELNS1_3gpuE6ELNS1_3repE0EEENS1_47radix_sort_onesweep_sort_config_static_selectorELNS0_4arch9wavefront6targetE1EEEvSK_,"axG",@progbits,_ZN7rocprim17ROCPRIM_400000_NS6detail17trampoline_kernelINS0_14default_configENS1_35radix_sort_onesweep_config_selectorIxNS0_10empty_typeEEEZZNS1_29radix_sort_onesweep_iterationIS3_Lb0EN6thrust23THRUST_200600_302600_NS6detail15normal_iteratorINS9_10device_ptrIxEEEESE_PS5_SF_jNS0_19identity_decomposerENS1_16block_id_wrapperIjLb0EEEEE10hipError_tT1_PNSt15iterator_traitsISK_E10value_typeET2_T3_PNSL_ISQ_E10value_typeET4_T5_PSV_SW_PNS1_23onesweep_lookback_stateEbbT6_jjT7_P12ihipStream_tbENKUlT_T0_SK_SP_E_clISE_SE_SF_SF_EEDaS13_S14_SK_SP_EUlS13_E_NS1_11comp_targetILNS1_3genE2ELNS1_11target_archE906ELNS1_3gpuE6ELNS1_3repE0EEENS1_47radix_sort_onesweep_sort_config_static_selectorELNS0_4arch9wavefront6targetE1EEEvSK_,comdat
.Lfunc_end1572:
	.size	_ZN7rocprim17ROCPRIM_400000_NS6detail17trampoline_kernelINS0_14default_configENS1_35radix_sort_onesweep_config_selectorIxNS0_10empty_typeEEEZZNS1_29radix_sort_onesweep_iterationIS3_Lb0EN6thrust23THRUST_200600_302600_NS6detail15normal_iteratorINS9_10device_ptrIxEEEESE_PS5_SF_jNS0_19identity_decomposerENS1_16block_id_wrapperIjLb0EEEEE10hipError_tT1_PNSt15iterator_traitsISK_E10value_typeET2_T3_PNSL_ISQ_E10value_typeET4_T5_PSV_SW_PNS1_23onesweep_lookback_stateEbbT6_jjT7_P12ihipStream_tbENKUlT_T0_SK_SP_E_clISE_SE_SF_SF_EEDaS13_S14_SK_SP_EUlS13_E_NS1_11comp_targetILNS1_3genE2ELNS1_11target_archE906ELNS1_3gpuE6ELNS1_3repE0EEENS1_47radix_sort_onesweep_sort_config_static_selectorELNS0_4arch9wavefront6targetE1EEEvSK_, .Lfunc_end1572-_ZN7rocprim17ROCPRIM_400000_NS6detail17trampoline_kernelINS0_14default_configENS1_35radix_sort_onesweep_config_selectorIxNS0_10empty_typeEEEZZNS1_29radix_sort_onesweep_iterationIS3_Lb0EN6thrust23THRUST_200600_302600_NS6detail15normal_iteratorINS9_10device_ptrIxEEEESE_PS5_SF_jNS0_19identity_decomposerENS1_16block_id_wrapperIjLb0EEEEE10hipError_tT1_PNSt15iterator_traitsISK_E10value_typeET2_T3_PNSL_ISQ_E10value_typeET4_T5_PSV_SW_PNS1_23onesweep_lookback_stateEbbT6_jjT7_P12ihipStream_tbENKUlT_T0_SK_SP_E_clISE_SE_SF_SF_EEDaS13_S14_SK_SP_EUlS13_E_NS1_11comp_targetILNS1_3genE2ELNS1_11target_archE906ELNS1_3gpuE6ELNS1_3repE0EEENS1_47radix_sort_onesweep_sort_config_static_selectorELNS0_4arch9wavefront6targetE1EEEvSK_
                                        ; -- End function
	.section	.AMDGPU.csdata,"",@progbits
; Kernel info:
; codeLenInByte = 0
; NumSgprs: 4
; NumVgprs: 0
; NumAgprs: 0
; TotalNumVgprs: 0
; ScratchSize: 0
; MemoryBound: 0
; FloatMode: 240
; IeeeMode: 1
; LDSByteSize: 0 bytes/workgroup (compile time only)
; SGPRBlocks: 0
; VGPRBlocks: 0
; NumSGPRsForWavesPerEU: 4
; NumVGPRsForWavesPerEU: 1
; AccumOffset: 4
; Occupancy: 8
; WaveLimiterHint : 0
; COMPUTE_PGM_RSRC2:SCRATCH_EN: 0
; COMPUTE_PGM_RSRC2:USER_SGPR: 6
; COMPUTE_PGM_RSRC2:TRAP_HANDLER: 0
; COMPUTE_PGM_RSRC2:TGID_X_EN: 1
; COMPUTE_PGM_RSRC2:TGID_Y_EN: 0
; COMPUTE_PGM_RSRC2:TGID_Z_EN: 0
; COMPUTE_PGM_RSRC2:TIDIG_COMP_CNT: 0
; COMPUTE_PGM_RSRC3_GFX90A:ACCUM_OFFSET: 0
; COMPUTE_PGM_RSRC3_GFX90A:TG_SPLIT: 0
	.section	.text._ZN7rocprim17ROCPRIM_400000_NS6detail17trampoline_kernelINS0_14default_configENS1_35radix_sort_onesweep_config_selectorIxNS0_10empty_typeEEEZZNS1_29radix_sort_onesweep_iterationIS3_Lb0EN6thrust23THRUST_200600_302600_NS6detail15normal_iteratorINS9_10device_ptrIxEEEESE_PS5_SF_jNS0_19identity_decomposerENS1_16block_id_wrapperIjLb0EEEEE10hipError_tT1_PNSt15iterator_traitsISK_E10value_typeET2_T3_PNSL_ISQ_E10value_typeET4_T5_PSV_SW_PNS1_23onesweep_lookback_stateEbbT6_jjT7_P12ihipStream_tbENKUlT_T0_SK_SP_E_clISE_SE_SF_SF_EEDaS13_S14_SK_SP_EUlS13_E_NS1_11comp_targetILNS1_3genE4ELNS1_11target_archE910ELNS1_3gpuE8ELNS1_3repE0EEENS1_47radix_sort_onesweep_sort_config_static_selectorELNS0_4arch9wavefront6targetE1EEEvSK_,"axG",@progbits,_ZN7rocprim17ROCPRIM_400000_NS6detail17trampoline_kernelINS0_14default_configENS1_35radix_sort_onesweep_config_selectorIxNS0_10empty_typeEEEZZNS1_29radix_sort_onesweep_iterationIS3_Lb0EN6thrust23THRUST_200600_302600_NS6detail15normal_iteratorINS9_10device_ptrIxEEEESE_PS5_SF_jNS0_19identity_decomposerENS1_16block_id_wrapperIjLb0EEEEE10hipError_tT1_PNSt15iterator_traitsISK_E10value_typeET2_T3_PNSL_ISQ_E10value_typeET4_T5_PSV_SW_PNS1_23onesweep_lookback_stateEbbT6_jjT7_P12ihipStream_tbENKUlT_T0_SK_SP_E_clISE_SE_SF_SF_EEDaS13_S14_SK_SP_EUlS13_E_NS1_11comp_targetILNS1_3genE4ELNS1_11target_archE910ELNS1_3gpuE8ELNS1_3repE0EEENS1_47radix_sort_onesweep_sort_config_static_selectorELNS0_4arch9wavefront6targetE1EEEvSK_,comdat
	.protected	_ZN7rocprim17ROCPRIM_400000_NS6detail17trampoline_kernelINS0_14default_configENS1_35radix_sort_onesweep_config_selectorIxNS0_10empty_typeEEEZZNS1_29radix_sort_onesweep_iterationIS3_Lb0EN6thrust23THRUST_200600_302600_NS6detail15normal_iteratorINS9_10device_ptrIxEEEESE_PS5_SF_jNS0_19identity_decomposerENS1_16block_id_wrapperIjLb0EEEEE10hipError_tT1_PNSt15iterator_traitsISK_E10value_typeET2_T3_PNSL_ISQ_E10value_typeET4_T5_PSV_SW_PNS1_23onesweep_lookback_stateEbbT6_jjT7_P12ihipStream_tbENKUlT_T0_SK_SP_E_clISE_SE_SF_SF_EEDaS13_S14_SK_SP_EUlS13_E_NS1_11comp_targetILNS1_3genE4ELNS1_11target_archE910ELNS1_3gpuE8ELNS1_3repE0EEENS1_47radix_sort_onesweep_sort_config_static_selectorELNS0_4arch9wavefront6targetE1EEEvSK_ ; -- Begin function _ZN7rocprim17ROCPRIM_400000_NS6detail17trampoline_kernelINS0_14default_configENS1_35radix_sort_onesweep_config_selectorIxNS0_10empty_typeEEEZZNS1_29radix_sort_onesweep_iterationIS3_Lb0EN6thrust23THRUST_200600_302600_NS6detail15normal_iteratorINS9_10device_ptrIxEEEESE_PS5_SF_jNS0_19identity_decomposerENS1_16block_id_wrapperIjLb0EEEEE10hipError_tT1_PNSt15iterator_traitsISK_E10value_typeET2_T3_PNSL_ISQ_E10value_typeET4_T5_PSV_SW_PNS1_23onesweep_lookback_stateEbbT6_jjT7_P12ihipStream_tbENKUlT_T0_SK_SP_E_clISE_SE_SF_SF_EEDaS13_S14_SK_SP_EUlS13_E_NS1_11comp_targetILNS1_3genE4ELNS1_11target_archE910ELNS1_3gpuE8ELNS1_3repE0EEENS1_47radix_sort_onesweep_sort_config_static_selectorELNS0_4arch9wavefront6targetE1EEEvSK_
	.globl	_ZN7rocprim17ROCPRIM_400000_NS6detail17trampoline_kernelINS0_14default_configENS1_35radix_sort_onesweep_config_selectorIxNS0_10empty_typeEEEZZNS1_29radix_sort_onesweep_iterationIS3_Lb0EN6thrust23THRUST_200600_302600_NS6detail15normal_iteratorINS9_10device_ptrIxEEEESE_PS5_SF_jNS0_19identity_decomposerENS1_16block_id_wrapperIjLb0EEEEE10hipError_tT1_PNSt15iterator_traitsISK_E10value_typeET2_T3_PNSL_ISQ_E10value_typeET4_T5_PSV_SW_PNS1_23onesweep_lookback_stateEbbT6_jjT7_P12ihipStream_tbENKUlT_T0_SK_SP_E_clISE_SE_SF_SF_EEDaS13_S14_SK_SP_EUlS13_E_NS1_11comp_targetILNS1_3genE4ELNS1_11target_archE910ELNS1_3gpuE8ELNS1_3repE0EEENS1_47radix_sort_onesweep_sort_config_static_selectorELNS0_4arch9wavefront6targetE1EEEvSK_
	.p2align	8
	.type	_ZN7rocprim17ROCPRIM_400000_NS6detail17trampoline_kernelINS0_14default_configENS1_35radix_sort_onesweep_config_selectorIxNS0_10empty_typeEEEZZNS1_29radix_sort_onesweep_iterationIS3_Lb0EN6thrust23THRUST_200600_302600_NS6detail15normal_iteratorINS9_10device_ptrIxEEEESE_PS5_SF_jNS0_19identity_decomposerENS1_16block_id_wrapperIjLb0EEEEE10hipError_tT1_PNSt15iterator_traitsISK_E10value_typeET2_T3_PNSL_ISQ_E10value_typeET4_T5_PSV_SW_PNS1_23onesweep_lookback_stateEbbT6_jjT7_P12ihipStream_tbENKUlT_T0_SK_SP_E_clISE_SE_SF_SF_EEDaS13_S14_SK_SP_EUlS13_E_NS1_11comp_targetILNS1_3genE4ELNS1_11target_archE910ELNS1_3gpuE8ELNS1_3repE0EEENS1_47radix_sort_onesweep_sort_config_static_selectorELNS0_4arch9wavefront6targetE1EEEvSK_,@function
_ZN7rocprim17ROCPRIM_400000_NS6detail17trampoline_kernelINS0_14default_configENS1_35radix_sort_onesweep_config_selectorIxNS0_10empty_typeEEEZZNS1_29radix_sort_onesweep_iterationIS3_Lb0EN6thrust23THRUST_200600_302600_NS6detail15normal_iteratorINS9_10device_ptrIxEEEESE_PS5_SF_jNS0_19identity_decomposerENS1_16block_id_wrapperIjLb0EEEEE10hipError_tT1_PNSt15iterator_traitsISK_E10value_typeET2_T3_PNSL_ISQ_E10value_typeET4_T5_PSV_SW_PNS1_23onesweep_lookback_stateEbbT6_jjT7_P12ihipStream_tbENKUlT_T0_SK_SP_E_clISE_SE_SF_SF_EEDaS13_S14_SK_SP_EUlS13_E_NS1_11comp_targetILNS1_3genE4ELNS1_11target_archE910ELNS1_3gpuE8ELNS1_3repE0EEENS1_47radix_sort_onesweep_sort_config_static_selectorELNS0_4arch9wavefront6targetE1EEEvSK_: ; @_ZN7rocprim17ROCPRIM_400000_NS6detail17trampoline_kernelINS0_14default_configENS1_35radix_sort_onesweep_config_selectorIxNS0_10empty_typeEEEZZNS1_29radix_sort_onesweep_iterationIS3_Lb0EN6thrust23THRUST_200600_302600_NS6detail15normal_iteratorINS9_10device_ptrIxEEEESE_PS5_SF_jNS0_19identity_decomposerENS1_16block_id_wrapperIjLb0EEEEE10hipError_tT1_PNSt15iterator_traitsISK_E10value_typeET2_T3_PNSL_ISQ_E10value_typeET4_T5_PSV_SW_PNS1_23onesweep_lookback_stateEbbT6_jjT7_P12ihipStream_tbENKUlT_T0_SK_SP_E_clISE_SE_SF_SF_EEDaS13_S14_SK_SP_EUlS13_E_NS1_11comp_targetILNS1_3genE4ELNS1_11target_archE910ELNS1_3gpuE8ELNS1_3repE0EEENS1_47radix_sort_onesweep_sort_config_static_selectorELNS0_4arch9wavefront6targetE1EEEvSK_
; %bb.0:
	s_load_dwordx2 s[24:25], s[4:5], 0x38
	s_load_dwordx4 s[16:19], s[4:5], 0x44
	s_load_dwordx4 s[20:23], s[4:5], 0x0
	;; [unrolled: 1-line block ×3, first 2 shown]
	v_mbcnt_lo_u32_b32 v1, -1, 0
	s_waitcnt lgkmcnt(0)
	s_cmp_ge_u32 s6, s18
	s_cbranch_scc0 .LBB1573_59
; %bb.1:
	s_load_dword s2, s[4:5], 0x20
	s_lshl_b32 s3, s18, 13
	s_lshl_b32 s0, s6, 13
	s_mov_b32 s1, 0
	s_lshl_b64 s[0:1], s[0:1], 3
	s_waitcnt lgkmcnt(0)
	s_sub_i32 s7, s2, s3
	v_mbcnt_hi_u32_b32 v24, -1, v1
	v_and_b32_e32 v2, 0x3ff, v0
	s_add_u32 s2, s20, s0
	v_and_b32_e32 v4, 63, v24
	s_addc_u32 s3, s21, s1
	v_lshlrev_b32_e32 v3, 3, v2
	v_lshlrev_b32_e32 v6, 3, v4
	v_and_b32_e32 v5, 0x1e00, v3
	v_mov_b32_e32 v7, s3
	v_add_co_u32_e32 v6, vcc, s2, v6
	v_addc_co_u32_e32 v7, vcc, 0, v7, vcc
	v_lshlrev_b32_e32 v8, 3, v5
	s_mov_b32 s0, -1
	v_add_co_u32_e32 v20, vcc, v6, v8
	s_brev_b32 s1, -2
	v_addc_co_u32_e32 v21, vcc, 0, v7, vcc
	v_or_b32_e32 v18, v4, v5
	v_cmp_gt_u32_e32 vcc, s7, v18
	v_pk_mov_b32 v[4:5], s[0:1], s[0:1] op_sel:[0,1]
	s_and_saveexec_b64 s[2:3], vcc
	s_cbranch_execz .LBB1573_3
; %bb.2:
	global_load_dwordx2 v[4:5], v[20:21], off
.LBB1573_3:
	s_or_b64 exec, exec, s[2:3]
	v_or_b32_e32 v6, 64, v18
	v_cmp_gt_u32_e32 vcc, s7, v6
	v_pk_mov_b32 v[6:7], s[0:1], s[0:1] op_sel:[0,1]
	s_and_saveexec_b64 s[0:1], vcc
	s_cbranch_execz .LBB1573_5
; %bb.4:
	global_load_dwordx2 v[6:7], v[20:21], off offset:512
.LBB1573_5:
	s_or_b64 exec, exec, s[0:1]
	s_mov_b32 s0, -1
	v_or_b32_e32 v8, 0x80, v18
	s_brev_b32 s1, -2
	v_cmp_gt_u32_e32 vcc, s7, v8
	v_pk_mov_b32 v[8:9], s[0:1], s[0:1] op_sel:[0,1]
	s_and_saveexec_b64 s[2:3], vcc
	s_cbranch_execz .LBB1573_7
; %bb.6:
	global_load_dwordx2 v[8:9], v[20:21], off offset:1024
.LBB1573_7:
	s_or_b64 exec, exec, s[2:3]
	v_or_b32_e32 v10, 0xc0, v18
	v_cmp_gt_u32_e32 vcc, s7, v10
	v_pk_mov_b32 v[10:11], s[0:1], s[0:1] op_sel:[0,1]
	s_and_saveexec_b64 s[0:1], vcc
	s_cbranch_execz .LBB1573_9
; %bb.8:
	global_load_dwordx2 v[10:11], v[20:21], off offset:1536
.LBB1573_9:
	s_or_b64 exec, exec, s[0:1]
	s_mov_b32 s0, -1
	v_or_b32_e32 v12, 0x100, v18
	s_brev_b32 s1, -2
	v_cmp_gt_u32_e32 vcc, s7, v12
	v_pk_mov_b32 v[12:13], s[0:1], s[0:1] op_sel:[0,1]
	s_and_saveexec_b64 s[2:3], vcc
	s_cbranch_execz .LBB1573_11
; %bb.10:
	global_load_dwordx2 v[12:13], v[20:21], off offset:2048
.LBB1573_11:
	;; [unrolled: 20-line block ×3, first 2 shown]
	s_or_b64 exec, exec, s[2:3]
	v_or_b32_e32 v18, 0x1c0, v18
	v_cmp_gt_u32_e32 vcc, s7, v18
	v_pk_mov_b32 v[18:19], s[0:1], s[0:1] op_sel:[0,1]
	s_and_saveexec_b64 s[0:1], vcc
	s_cbranch_execz .LBB1573_17
; %bb.16:
	global_load_dwordx2 v[18:19], v[20:21], off offset:3584
.LBB1573_17:
	s_or_b64 exec, exec, s[0:1]
	s_load_dword s0, s[4:5], 0x64
	s_load_dword s26, s[4:5], 0x58
	s_add_u32 s1, s4, 0x58
	s_addc_u32 s2, s5, 0
	v_mov_b32_e32 v20, 0
	s_waitcnt lgkmcnt(0)
	s_lshr_b32 s3, s0, 16
	s_cmp_lt_u32 s6, s26
	s_cselect_b32 s0, 12, 18
	s_add_u32 s0, s1, s0
	s_addc_u32 s1, s2, 0
	global_load_ushort v26, v20, s[0:1]
	s_waitcnt vmcnt(1)
	v_xor_b32_e32 v5, 0x80000000, v5
	v_mul_u32_u24_e32 v22, 5, v2
	s_lshl_b32 s0, -1, s17
	v_lshlrev_b32_e32 v25, 2, v22
	v_lshrrev_b64 v[22:23], s16, v[4:5]
	s_not_b32 s27, s0
	v_and_b32_e32 v22, s27, v22
	v_and_b32_e32 v28, 1, v22
	v_bfe_u32 v21, v0, 10, 10
	v_bfe_u32 v27, v0, 20, 10
	v_add_co_u32_e32 v29, vcc, -1, v28
	v_mad_u32_u24 v23, v27, s3, v21
	v_lshlrev_b32_e32 v21, 30, v22
	v_addc_co_u32_e64 v30, s[0:1], 0, -1, vcc
	v_cmp_ne_u32_e32 vcc, 0, v28
	v_cmp_gt_i64_e64 s[0:1], 0, v[20:21]
	v_not_b32_e32 v28, v21
	v_lshlrev_b32_e32 v21, 29, v22
	v_xor_b32_e32 v30, vcc_hi, v30
	v_xor_b32_e32 v29, vcc_lo, v29
	v_ashrrev_i32_e32 v28, 31, v28
	v_cmp_gt_i64_e32 vcc, 0, v[20:21]
	v_not_b32_e32 v31, v21
	v_lshlrev_b32_e32 v21, 28, v22
	v_and_b32_e32 v30, exec_hi, v30
	v_and_b32_e32 v29, exec_lo, v29
	v_xor_b32_e32 v32, s1, v28
	v_xor_b32_e32 v28, s0, v28
	v_ashrrev_i32_e32 v31, 31, v31
	v_cmp_gt_i64_e64 s[0:1], 0, v[20:21]
	v_not_b32_e32 v33, v21
	v_lshlrev_b32_e32 v21, 27, v22
	v_and_b32_e32 v30, v30, v32
	v_and_b32_e32 v28, v29, v28
	v_xor_b32_e32 v29, vcc_hi, v31
	v_xor_b32_e32 v31, vcc_lo, v31
	v_ashrrev_i32_e32 v32, 31, v33
	v_cmp_gt_i64_e32 vcc, 0, v[20:21]
	v_not_b32_e32 v33, v21
	v_lshlrev_b32_e32 v21, 26, v22
	v_and_b32_e32 v29, v30, v29
	v_and_b32_e32 v28, v28, v31
	v_xor_b32_e32 v30, s1, v32
	v_xor_b32_e32 v31, s0, v32
	v_ashrrev_i32_e32 v32, 31, v33
	v_cmp_gt_i64_e64 s[0:1], 0, v[20:21]
	v_not_b32_e32 v33, v21
	v_lshlrev_b32_e32 v21, 25, v22
	v_and_b32_e32 v29, v29, v30
	v_and_b32_e32 v28, v28, v31
	v_xor_b32_e32 v30, vcc_hi, v32
	v_xor_b32_e32 v31, vcc_lo, v32
	v_ashrrev_i32_e32 v32, 31, v33
	v_not_b32_e32 v33, v21
	v_lshl_add_u32 v27, v22, 4, v22
	v_cmp_gt_i64_e32 vcc, 0, v[20:21]
	v_lshlrev_b32_e32 v21, 24, v22
	v_and_b32_e32 v22, v29, v30
	v_and_b32_e32 v28, v28, v31
	v_xor_b32_e32 v29, s1, v32
	v_ashrrev_i32_e32 v31, 31, v33
	v_xor_b32_e32 v30, s0, v32
	v_cmp_gt_i64_e64 s[0:1], 0, v[20:21]
	v_not_b32_e32 v21, v21
	v_and_b32_e32 v22, v22, v29
	v_xor_b32_e32 v29, vcc_hi, v31
	v_and_b32_e32 v28, v28, v30
	v_xor_b32_e32 v30, vcc_lo, v31
	v_and_b32_e32 v29, v22, v29
	v_ashrrev_i32_e32 v21, 31, v21
	v_and_b32_e32 v28, v28, v30
	ds_write2_b32 v25, v20, v20 offset0:16 offset1:17
	ds_write2_b32 v25, v20, v20 offset0:18 offset1:19
	ds_write_b32 v25, v20 offset:80
	s_waitcnt lgkmcnt(0)
	s_barrier
	s_waitcnt lgkmcnt(0)
	; wave barrier
	s_waitcnt vmcnt(0)
	v_mad_u64_u32 v[22:23], s[2:3], v23, v26, v[2:3]
	v_lshrrev_b32_e32 v37, 6, v22
	v_xor_b32_e32 v22, s1, v21
	v_xor_b32_e32 v21, s0, v21
	v_and_b32_e32 v23, v29, v22
	v_and_b32_e32 v22, v28, v21
	v_mbcnt_lo_u32_b32 v21, v22, 0
	v_mbcnt_hi_u32_b32 v26, v23, v21
	v_cmp_eq_u32_e32 vcc, 0, v26
	v_cmp_ne_u64_e64 s[0:1], 0, v[22:23]
	v_add_lshl_u32 v30, v37, v27, 2
	s_and_b64 s[2:3], s[0:1], vcc
	s_and_saveexec_b64 s[0:1], s[2:3]
	s_cbranch_execz .LBB1573_19
; %bb.18:
	v_bcnt_u32_b32 v21, v22, 0
	v_bcnt_u32_b32 v21, v23, v21
	ds_write_b32 v30, v21 offset:64
.LBB1573_19:
	s_or_b64 exec, exec, s[0:1]
	v_xor_b32_e32 v7, 0x80000000, v7
	v_lshrrev_b64 v[22:23], s16, v[6:7]
	v_and_b32_e32 v22, s27, v22
	v_lshl_add_u32 v21, v22, 4, v22
	v_add_lshl_u32 v31, v37, v21, 2
	v_and_b32_e32 v21, 1, v22
	v_add_co_u32_e32 v23, vcc, -1, v21
	v_addc_co_u32_e64 v28, s[0:1], 0, -1, vcc
	v_cmp_ne_u32_e32 vcc, 0, v21
	v_xor_b32_e32 v21, vcc_hi, v28
	v_and_b32_e32 v28, exec_hi, v21
	v_lshlrev_b32_e32 v21, 30, v22
	v_xor_b32_e32 v23, vcc_lo, v23
	v_cmp_gt_i64_e32 vcc, 0, v[20:21]
	v_not_b32_e32 v21, v21
	v_ashrrev_i32_e32 v21, 31, v21
	v_and_b32_e32 v23, exec_lo, v23
	v_xor_b32_e32 v29, vcc_hi, v21
	v_xor_b32_e32 v21, vcc_lo, v21
	v_and_b32_e32 v23, v23, v21
	v_lshlrev_b32_e32 v21, 29, v22
	v_cmp_gt_i64_e32 vcc, 0, v[20:21]
	v_not_b32_e32 v21, v21
	v_ashrrev_i32_e32 v21, 31, v21
	v_and_b32_e32 v28, v28, v29
	v_xor_b32_e32 v29, vcc_hi, v21
	v_xor_b32_e32 v21, vcc_lo, v21
	v_and_b32_e32 v23, v23, v21
	v_lshlrev_b32_e32 v21, 28, v22
	v_cmp_gt_i64_e32 vcc, 0, v[20:21]
	v_not_b32_e32 v21, v21
	v_ashrrev_i32_e32 v21, 31, v21
	v_and_b32_e32 v28, v28, v29
	v_xor_b32_e32 v29, vcc_hi, v21
	v_xor_b32_e32 v21, vcc_lo, v21
	v_and_b32_e32 v23, v23, v21
	v_lshlrev_b32_e32 v21, 27, v22
	v_cmp_gt_i64_e32 vcc, 0, v[20:21]
	v_not_b32_e32 v21, v21
	v_ashrrev_i32_e32 v21, 31, v21
	v_and_b32_e32 v28, v28, v29
	v_xor_b32_e32 v29, vcc_hi, v21
	v_xor_b32_e32 v21, vcc_lo, v21
	v_and_b32_e32 v23, v23, v21
	v_lshlrev_b32_e32 v21, 26, v22
	v_cmp_gt_i64_e32 vcc, 0, v[20:21]
	v_not_b32_e32 v21, v21
	v_ashrrev_i32_e32 v21, 31, v21
	v_and_b32_e32 v28, v28, v29
	v_xor_b32_e32 v29, vcc_hi, v21
	v_xor_b32_e32 v21, vcc_lo, v21
	v_and_b32_e32 v23, v23, v21
	v_lshlrev_b32_e32 v21, 25, v22
	v_cmp_gt_i64_e32 vcc, 0, v[20:21]
	v_not_b32_e32 v21, v21
	v_ashrrev_i32_e32 v21, 31, v21
	v_and_b32_e32 v28, v28, v29
	v_xor_b32_e32 v29, vcc_hi, v21
	v_xor_b32_e32 v21, vcc_lo, v21
	v_and_b32_e32 v23, v23, v21
	v_lshlrev_b32_e32 v21, 24, v22
	v_cmp_gt_i64_e32 vcc, 0, v[20:21]
	v_not_b32_e32 v20, v21
	v_ashrrev_i32_e32 v20, 31, v20
	v_xor_b32_e32 v21, vcc_hi, v20
	v_xor_b32_e32 v20, vcc_lo, v20
	; wave barrier
	ds_read_b32 v27, v31 offset:64
	v_and_b32_e32 v28, v28, v29
	v_and_b32_e32 v20, v23, v20
	;; [unrolled: 1-line block ×3, first 2 shown]
	v_mbcnt_lo_u32_b32 v22, v20, 0
	v_mbcnt_hi_u32_b32 v28, v21, v22
	v_cmp_eq_u32_e32 vcc, 0, v28
	v_cmp_ne_u64_e64 s[0:1], 0, v[20:21]
	s_and_b64 s[2:3], s[0:1], vcc
	; wave barrier
	s_and_saveexec_b64 s[0:1], s[2:3]
	s_cbranch_execz .LBB1573_21
; %bb.20:
	v_bcnt_u32_b32 v20, v20, 0
	v_bcnt_u32_b32 v20, v21, v20
	s_waitcnt lgkmcnt(0)
	v_add_u32_e32 v20, v27, v20
	ds_write_b32 v31, v20 offset:64
.LBB1573_21:
	s_or_b64 exec, exec, s[0:1]
	v_xor_b32_e32 v9, 0x80000000, v9
	v_lshrrev_b64 v[20:21], s16, v[8:9]
	v_and_b32_e32 v22, s27, v20
	v_and_b32_e32 v21, 1, v22
	v_add_co_u32_e32 v23, vcc, -1, v21
	v_addc_co_u32_e64 v32, s[0:1], 0, -1, vcc
	v_cmp_ne_u32_e32 vcc, 0, v21
	v_lshl_add_u32 v20, v22, 4, v22
	v_xor_b32_e32 v21, vcc_hi, v32
	v_add_lshl_u32 v34, v37, v20, 2
	v_mov_b32_e32 v20, 0
	v_and_b32_e32 v32, exec_hi, v21
	v_lshlrev_b32_e32 v21, 30, v22
	v_xor_b32_e32 v23, vcc_lo, v23
	v_cmp_gt_i64_e32 vcc, 0, v[20:21]
	v_not_b32_e32 v21, v21
	v_ashrrev_i32_e32 v21, 31, v21
	v_and_b32_e32 v23, exec_lo, v23
	v_xor_b32_e32 v33, vcc_hi, v21
	v_xor_b32_e32 v21, vcc_lo, v21
	v_and_b32_e32 v23, v23, v21
	v_lshlrev_b32_e32 v21, 29, v22
	v_cmp_gt_i64_e32 vcc, 0, v[20:21]
	v_not_b32_e32 v21, v21
	v_ashrrev_i32_e32 v21, 31, v21
	v_and_b32_e32 v32, v32, v33
	v_xor_b32_e32 v33, vcc_hi, v21
	v_xor_b32_e32 v21, vcc_lo, v21
	v_and_b32_e32 v23, v23, v21
	v_lshlrev_b32_e32 v21, 28, v22
	v_cmp_gt_i64_e32 vcc, 0, v[20:21]
	v_not_b32_e32 v21, v21
	v_ashrrev_i32_e32 v21, 31, v21
	v_and_b32_e32 v32, v32, v33
	v_xor_b32_e32 v33, vcc_hi, v21
	v_xor_b32_e32 v21, vcc_lo, v21
	v_and_b32_e32 v23, v23, v21
	v_lshlrev_b32_e32 v21, 27, v22
	v_cmp_gt_i64_e32 vcc, 0, v[20:21]
	v_not_b32_e32 v21, v21
	v_ashrrev_i32_e32 v21, 31, v21
	v_and_b32_e32 v32, v32, v33
	v_xor_b32_e32 v33, vcc_hi, v21
	v_xor_b32_e32 v21, vcc_lo, v21
	v_and_b32_e32 v23, v23, v21
	v_lshlrev_b32_e32 v21, 26, v22
	v_cmp_gt_i64_e32 vcc, 0, v[20:21]
	v_not_b32_e32 v21, v21
	v_ashrrev_i32_e32 v21, 31, v21
	v_and_b32_e32 v32, v32, v33
	v_xor_b32_e32 v33, vcc_hi, v21
	v_xor_b32_e32 v21, vcc_lo, v21
	v_and_b32_e32 v23, v23, v21
	v_lshlrev_b32_e32 v21, 25, v22
	v_cmp_gt_i64_e32 vcc, 0, v[20:21]
	v_not_b32_e32 v21, v21
	v_ashrrev_i32_e32 v21, 31, v21
	v_and_b32_e32 v32, v32, v33
	v_xor_b32_e32 v33, vcc_hi, v21
	v_xor_b32_e32 v21, vcc_lo, v21
	v_and_b32_e32 v32, v32, v33
	v_and_b32_e32 v33, v23, v21
	v_lshlrev_b32_e32 v21, 24, v22
	v_cmp_gt_i64_e32 vcc, 0, v[20:21]
	v_not_b32_e32 v21, v21
	v_ashrrev_i32_e32 v21, 31, v21
	v_xor_b32_e32 v22, vcc_hi, v21
	v_xor_b32_e32 v21, vcc_lo, v21
	; wave barrier
	ds_read_b32 v29, v34 offset:64
	v_and_b32_e32 v23, v32, v22
	v_and_b32_e32 v22, v33, v21
	v_mbcnt_lo_u32_b32 v21, v22, 0
	v_mbcnt_hi_u32_b32 v32, v23, v21
	v_cmp_eq_u32_e32 vcc, 0, v32
	v_cmp_ne_u64_e64 s[0:1], 0, v[22:23]
	s_and_b64 s[2:3], s[0:1], vcc
	; wave barrier
	s_and_saveexec_b64 s[0:1], s[2:3]
	s_cbranch_execz .LBB1573_23
; %bb.22:
	v_bcnt_u32_b32 v21, v22, 0
	v_bcnt_u32_b32 v21, v23, v21
	s_waitcnt lgkmcnt(0)
	v_add_u32_e32 v21, v29, v21
	ds_write_b32 v34, v21 offset:64
.LBB1573_23:
	s_or_b64 exec, exec, s[0:1]
	v_xor_b32_e32 v11, 0x80000000, v11
	v_lshrrev_b64 v[22:23], s16, v[10:11]
	v_and_b32_e32 v22, s27, v22
	v_lshl_add_u32 v21, v22, 4, v22
	v_add_lshl_u32 v38, v37, v21, 2
	v_and_b32_e32 v21, 1, v22
	v_add_co_u32_e32 v23, vcc, -1, v21
	v_addc_co_u32_e64 v35, s[0:1], 0, -1, vcc
	v_cmp_ne_u32_e32 vcc, 0, v21
	v_xor_b32_e32 v21, vcc_hi, v35
	v_and_b32_e32 v35, exec_hi, v21
	v_lshlrev_b32_e32 v21, 30, v22
	v_xor_b32_e32 v23, vcc_lo, v23
	v_cmp_gt_i64_e32 vcc, 0, v[20:21]
	v_not_b32_e32 v21, v21
	v_ashrrev_i32_e32 v21, 31, v21
	v_and_b32_e32 v23, exec_lo, v23
	v_xor_b32_e32 v36, vcc_hi, v21
	v_xor_b32_e32 v21, vcc_lo, v21
	v_and_b32_e32 v23, v23, v21
	v_lshlrev_b32_e32 v21, 29, v22
	v_cmp_gt_i64_e32 vcc, 0, v[20:21]
	v_not_b32_e32 v21, v21
	v_ashrrev_i32_e32 v21, 31, v21
	v_and_b32_e32 v35, v35, v36
	v_xor_b32_e32 v36, vcc_hi, v21
	v_xor_b32_e32 v21, vcc_lo, v21
	v_and_b32_e32 v23, v23, v21
	v_lshlrev_b32_e32 v21, 28, v22
	v_cmp_gt_i64_e32 vcc, 0, v[20:21]
	v_not_b32_e32 v21, v21
	v_ashrrev_i32_e32 v21, 31, v21
	v_and_b32_e32 v35, v35, v36
	v_xor_b32_e32 v36, vcc_hi, v21
	v_xor_b32_e32 v21, vcc_lo, v21
	v_and_b32_e32 v23, v23, v21
	v_lshlrev_b32_e32 v21, 27, v22
	v_cmp_gt_i64_e32 vcc, 0, v[20:21]
	v_not_b32_e32 v21, v21
	v_ashrrev_i32_e32 v21, 31, v21
	v_and_b32_e32 v35, v35, v36
	v_xor_b32_e32 v36, vcc_hi, v21
	v_xor_b32_e32 v21, vcc_lo, v21
	v_and_b32_e32 v23, v23, v21
	v_lshlrev_b32_e32 v21, 26, v22
	v_cmp_gt_i64_e32 vcc, 0, v[20:21]
	v_not_b32_e32 v21, v21
	v_ashrrev_i32_e32 v21, 31, v21
	v_and_b32_e32 v35, v35, v36
	v_xor_b32_e32 v36, vcc_hi, v21
	v_xor_b32_e32 v21, vcc_lo, v21
	v_and_b32_e32 v23, v23, v21
	v_lshlrev_b32_e32 v21, 25, v22
	v_cmp_gt_i64_e32 vcc, 0, v[20:21]
	v_not_b32_e32 v21, v21
	v_ashrrev_i32_e32 v21, 31, v21
	v_and_b32_e32 v35, v35, v36
	v_xor_b32_e32 v36, vcc_hi, v21
	v_xor_b32_e32 v21, vcc_lo, v21
	v_and_b32_e32 v23, v23, v21
	v_lshlrev_b32_e32 v21, 24, v22
	v_cmp_gt_i64_e32 vcc, 0, v[20:21]
	v_not_b32_e32 v20, v21
	v_ashrrev_i32_e32 v20, 31, v20
	v_xor_b32_e32 v21, vcc_hi, v20
	v_xor_b32_e32 v20, vcc_lo, v20
	; wave barrier
	ds_read_b32 v33, v38 offset:64
	v_and_b32_e32 v35, v35, v36
	v_and_b32_e32 v20, v23, v20
	;; [unrolled: 1-line block ×3, first 2 shown]
	v_mbcnt_lo_u32_b32 v22, v20, 0
	v_mbcnt_hi_u32_b32 v35, v21, v22
	v_cmp_eq_u32_e32 vcc, 0, v35
	v_cmp_ne_u64_e64 s[0:1], 0, v[20:21]
	s_and_b64 s[2:3], s[0:1], vcc
	; wave barrier
	s_and_saveexec_b64 s[0:1], s[2:3]
	s_cbranch_execz .LBB1573_25
; %bb.24:
	v_bcnt_u32_b32 v20, v20, 0
	v_bcnt_u32_b32 v20, v21, v20
	s_waitcnt lgkmcnt(0)
	v_add_u32_e32 v20, v33, v20
	ds_write_b32 v38, v20 offset:64
.LBB1573_25:
	s_or_b64 exec, exec, s[0:1]
	v_xor_b32_e32 v13, 0x80000000, v13
	v_lshrrev_b64 v[20:21], s16, v[12:13]
	v_and_b32_e32 v22, s27, v20
	v_and_b32_e32 v21, 1, v22
	v_add_co_u32_e32 v23, vcc, -1, v21
	v_addc_co_u32_e64 v39, s[0:1], 0, -1, vcc
	v_cmp_ne_u32_e32 vcc, 0, v21
	v_lshl_add_u32 v20, v22, 4, v22
	v_xor_b32_e32 v21, vcc_hi, v39
	v_add_lshl_u32 v41, v37, v20, 2
	v_mov_b32_e32 v20, 0
	v_and_b32_e32 v39, exec_hi, v21
	v_lshlrev_b32_e32 v21, 30, v22
	v_xor_b32_e32 v23, vcc_lo, v23
	v_cmp_gt_i64_e32 vcc, 0, v[20:21]
	v_not_b32_e32 v21, v21
	v_ashrrev_i32_e32 v21, 31, v21
	v_and_b32_e32 v23, exec_lo, v23
	v_xor_b32_e32 v40, vcc_hi, v21
	v_xor_b32_e32 v21, vcc_lo, v21
	v_and_b32_e32 v23, v23, v21
	v_lshlrev_b32_e32 v21, 29, v22
	v_cmp_gt_i64_e32 vcc, 0, v[20:21]
	v_not_b32_e32 v21, v21
	v_ashrrev_i32_e32 v21, 31, v21
	v_and_b32_e32 v39, v39, v40
	v_xor_b32_e32 v40, vcc_hi, v21
	v_xor_b32_e32 v21, vcc_lo, v21
	v_and_b32_e32 v23, v23, v21
	v_lshlrev_b32_e32 v21, 28, v22
	v_cmp_gt_i64_e32 vcc, 0, v[20:21]
	v_not_b32_e32 v21, v21
	v_ashrrev_i32_e32 v21, 31, v21
	v_and_b32_e32 v39, v39, v40
	;; [unrolled: 8-line block ×5, first 2 shown]
	v_xor_b32_e32 v40, vcc_hi, v21
	v_xor_b32_e32 v21, vcc_lo, v21
	v_and_b32_e32 v39, v39, v40
	v_and_b32_e32 v40, v23, v21
	v_lshlrev_b32_e32 v21, 24, v22
	v_cmp_gt_i64_e32 vcc, 0, v[20:21]
	v_not_b32_e32 v21, v21
	v_ashrrev_i32_e32 v21, 31, v21
	v_xor_b32_e32 v22, vcc_hi, v21
	v_xor_b32_e32 v21, vcc_lo, v21
	; wave barrier
	ds_read_b32 v36, v41 offset:64
	v_and_b32_e32 v23, v39, v22
	v_and_b32_e32 v22, v40, v21
	v_mbcnt_lo_u32_b32 v21, v22, 0
	v_mbcnt_hi_u32_b32 v39, v23, v21
	v_cmp_eq_u32_e32 vcc, 0, v39
	v_cmp_ne_u64_e64 s[0:1], 0, v[22:23]
	s_and_b64 s[2:3], s[0:1], vcc
	; wave barrier
	s_and_saveexec_b64 s[0:1], s[2:3]
	s_cbranch_execz .LBB1573_27
; %bb.26:
	v_bcnt_u32_b32 v21, v22, 0
	v_bcnt_u32_b32 v21, v23, v21
	s_waitcnt lgkmcnt(0)
	v_add_u32_e32 v21, v36, v21
	ds_write_b32 v41, v21 offset:64
.LBB1573_27:
	s_or_b64 exec, exec, s[0:1]
	v_xor_b32_e32 v15, 0x80000000, v15
	v_lshrrev_b64 v[22:23], s16, v[14:15]
	v_and_b32_e32 v22, s27, v22
	v_lshl_add_u32 v21, v22, 4, v22
	v_add_lshl_u32 v44, v37, v21, 2
	v_and_b32_e32 v21, 1, v22
	v_add_co_u32_e32 v23, vcc, -1, v21
	v_addc_co_u32_e64 v42, s[0:1], 0, -1, vcc
	v_cmp_ne_u32_e32 vcc, 0, v21
	v_xor_b32_e32 v21, vcc_hi, v42
	v_and_b32_e32 v42, exec_hi, v21
	v_lshlrev_b32_e32 v21, 30, v22
	v_xor_b32_e32 v23, vcc_lo, v23
	v_cmp_gt_i64_e32 vcc, 0, v[20:21]
	v_not_b32_e32 v21, v21
	v_ashrrev_i32_e32 v21, 31, v21
	v_and_b32_e32 v23, exec_lo, v23
	v_xor_b32_e32 v43, vcc_hi, v21
	v_xor_b32_e32 v21, vcc_lo, v21
	v_and_b32_e32 v23, v23, v21
	v_lshlrev_b32_e32 v21, 29, v22
	v_cmp_gt_i64_e32 vcc, 0, v[20:21]
	v_not_b32_e32 v21, v21
	v_ashrrev_i32_e32 v21, 31, v21
	v_and_b32_e32 v42, v42, v43
	v_xor_b32_e32 v43, vcc_hi, v21
	v_xor_b32_e32 v21, vcc_lo, v21
	v_and_b32_e32 v23, v23, v21
	v_lshlrev_b32_e32 v21, 28, v22
	v_cmp_gt_i64_e32 vcc, 0, v[20:21]
	v_not_b32_e32 v21, v21
	v_ashrrev_i32_e32 v21, 31, v21
	v_and_b32_e32 v42, v42, v43
	;; [unrolled: 8-line block ×5, first 2 shown]
	v_xor_b32_e32 v43, vcc_hi, v21
	v_xor_b32_e32 v21, vcc_lo, v21
	v_and_b32_e32 v23, v23, v21
	v_lshlrev_b32_e32 v21, 24, v22
	v_cmp_gt_i64_e32 vcc, 0, v[20:21]
	v_not_b32_e32 v20, v21
	v_ashrrev_i32_e32 v20, 31, v20
	v_xor_b32_e32 v21, vcc_hi, v20
	v_xor_b32_e32 v20, vcc_lo, v20
	; wave barrier
	ds_read_b32 v40, v44 offset:64
	v_and_b32_e32 v42, v42, v43
	v_and_b32_e32 v20, v23, v20
	;; [unrolled: 1-line block ×3, first 2 shown]
	v_mbcnt_lo_u32_b32 v22, v20, 0
	v_mbcnt_hi_u32_b32 v42, v21, v22
	v_cmp_eq_u32_e32 vcc, 0, v42
	v_cmp_ne_u64_e64 s[0:1], 0, v[20:21]
	s_and_b64 s[2:3], s[0:1], vcc
	; wave barrier
	s_and_saveexec_b64 s[0:1], s[2:3]
	s_cbranch_execz .LBB1573_29
; %bb.28:
	v_bcnt_u32_b32 v20, v20, 0
	v_bcnt_u32_b32 v20, v21, v20
	s_waitcnt lgkmcnt(0)
	v_add_u32_e32 v20, v40, v20
	ds_write_b32 v44, v20 offset:64
.LBB1573_29:
	s_or_b64 exec, exec, s[0:1]
	v_xor_b32_e32 v17, 0x80000000, v17
	v_lshrrev_b64 v[20:21], s16, v[16:17]
	v_and_b32_e32 v22, s27, v20
	v_and_b32_e32 v21, 1, v22
	v_add_co_u32_e32 v23, vcc, -1, v21
	v_addc_co_u32_e64 v45, s[0:1], 0, -1, vcc
	v_cmp_ne_u32_e32 vcc, 0, v21
	v_lshl_add_u32 v20, v22, 4, v22
	v_xor_b32_e32 v21, vcc_hi, v45
	v_add_lshl_u32 v46, v37, v20, 2
	v_mov_b32_e32 v20, 0
	v_and_b32_e32 v45, exec_hi, v21
	v_lshlrev_b32_e32 v21, 30, v22
	v_xor_b32_e32 v23, vcc_lo, v23
	v_cmp_gt_i64_e32 vcc, 0, v[20:21]
	v_not_b32_e32 v21, v21
	v_ashrrev_i32_e32 v21, 31, v21
	v_and_b32_e32 v23, exec_lo, v23
	v_xor_b32_e32 v47, vcc_hi, v21
	v_xor_b32_e32 v21, vcc_lo, v21
	v_and_b32_e32 v23, v23, v21
	v_lshlrev_b32_e32 v21, 29, v22
	v_cmp_gt_i64_e32 vcc, 0, v[20:21]
	v_not_b32_e32 v21, v21
	v_ashrrev_i32_e32 v21, 31, v21
	v_and_b32_e32 v45, v45, v47
	v_xor_b32_e32 v47, vcc_hi, v21
	v_xor_b32_e32 v21, vcc_lo, v21
	v_and_b32_e32 v23, v23, v21
	v_lshlrev_b32_e32 v21, 28, v22
	v_cmp_gt_i64_e32 vcc, 0, v[20:21]
	v_not_b32_e32 v21, v21
	v_ashrrev_i32_e32 v21, 31, v21
	v_and_b32_e32 v45, v45, v47
	;; [unrolled: 8-line block ×5, first 2 shown]
	v_xor_b32_e32 v47, vcc_hi, v21
	v_xor_b32_e32 v21, vcc_lo, v21
	v_and_b32_e32 v45, v45, v47
	v_and_b32_e32 v47, v23, v21
	v_lshlrev_b32_e32 v21, 24, v22
	v_cmp_gt_i64_e32 vcc, 0, v[20:21]
	v_not_b32_e32 v21, v21
	v_ashrrev_i32_e32 v21, 31, v21
	v_xor_b32_e32 v22, vcc_hi, v21
	v_xor_b32_e32 v21, vcc_lo, v21
	; wave barrier
	ds_read_b32 v43, v46 offset:64
	v_and_b32_e32 v23, v45, v22
	v_and_b32_e32 v22, v47, v21
	v_mbcnt_lo_u32_b32 v21, v22, 0
	v_mbcnt_hi_u32_b32 v45, v23, v21
	v_cmp_eq_u32_e32 vcc, 0, v45
	v_cmp_ne_u64_e64 s[0:1], 0, v[22:23]
	s_and_b64 s[2:3], s[0:1], vcc
	; wave barrier
	s_and_saveexec_b64 s[0:1], s[2:3]
	s_cbranch_execz .LBB1573_31
; %bb.30:
	v_bcnt_u32_b32 v21, v22, 0
	v_bcnt_u32_b32 v21, v23, v21
	s_waitcnt lgkmcnt(0)
	v_add_u32_e32 v21, v43, v21
	ds_write_b32 v46, v21 offset:64
.LBB1573_31:
	s_or_b64 exec, exec, s[0:1]
	v_xor_b32_e32 v19, 0x80000000, v19
	v_lshrrev_b64 v[22:23], s16, v[18:19]
	v_and_b32_e32 v22, s27, v22
	v_lshl_add_u32 v21, v22, 4, v22
	v_add_lshl_u32 v49, v37, v21, 2
	v_and_b32_e32 v21, 1, v22
	v_add_co_u32_e32 v23, vcc, -1, v21
	v_addc_co_u32_e64 v47, s[0:1], 0, -1, vcc
	v_cmp_ne_u32_e32 vcc, 0, v21
	v_xor_b32_e32 v21, vcc_hi, v47
	v_and_b32_e32 v47, exec_hi, v21
	v_lshlrev_b32_e32 v21, 30, v22
	v_xor_b32_e32 v23, vcc_lo, v23
	v_cmp_gt_i64_e32 vcc, 0, v[20:21]
	v_not_b32_e32 v21, v21
	v_ashrrev_i32_e32 v21, 31, v21
	v_and_b32_e32 v23, exec_lo, v23
	v_xor_b32_e32 v48, vcc_hi, v21
	v_xor_b32_e32 v21, vcc_lo, v21
	v_and_b32_e32 v23, v23, v21
	v_lshlrev_b32_e32 v21, 29, v22
	v_cmp_gt_i64_e32 vcc, 0, v[20:21]
	v_not_b32_e32 v21, v21
	v_ashrrev_i32_e32 v21, 31, v21
	v_and_b32_e32 v47, v47, v48
	v_xor_b32_e32 v48, vcc_hi, v21
	v_xor_b32_e32 v21, vcc_lo, v21
	v_and_b32_e32 v23, v23, v21
	v_lshlrev_b32_e32 v21, 28, v22
	v_cmp_gt_i64_e32 vcc, 0, v[20:21]
	v_not_b32_e32 v21, v21
	v_ashrrev_i32_e32 v21, 31, v21
	v_and_b32_e32 v47, v47, v48
	;; [unrolled: 8-line block ×5, first 2 shown]
	v_xor_b32_e32 v48, vcc_hi, v21
	v_xor_b32_e32 v21, vcc_lo, v21
	v_and_b32_e32 v23, v23, v21
	v_lshlrev_b32_e32 v21, 24, v22
	v_cmp_gt_i64_e32 vcc, 0, v[20:21]
	v_not_b32_e32 v20, v21
	v_ashrrev_i32_e32 v20, 31, v20
	v_xor_b32_e32 v21, vcc_hi, v20
	v_xor_b32_e32 v20, vcc_lo, v20
	; wave barrier
	ds_read_b32 v37, v49 offset:64
	v_and_b32_e32 v47, v47, v48
	v_and_b32_e32 v20, v23, v20
	;; [unrolled: 1-line block ×3, first 2 shown]
	v_mbcnt_lo_u32_b32 v22, v20, 0
	v_mbcnt_hi_u32_b32 v47, v21, v22
	v_cmp_eq_u32_e32 vcc, 0, v47
	v_cmp_ne_u64_e64 s[0:1], 0, v[20:21]
	v_add_u32_e32 v50, 64, v25
	s_and_b64 s[2:3], s[0:1], vcc
	; wave barrier
	s_and_saveexec_b64 s[0:1], s[2:3]
	s_cbranch_execz .LBB1573_33
; %bb.32:
	v_bcnt_u32_b32 v20, v20, 0
	v_bcnt_u32_b32 v20, v21, v20
	s_waitcnt lgkmcnt(0)
	v_add_u32_e32 v20, v37, v20
	ds_write_b32 v49, v20 offset:64
.LBB1573_33:
	s_or_b64 exec, exec, s[0:1]
	; wave barrier
	s_waitcnt lgkmcnt(0)
	s_barrier
	ds_read2_b32 v[22:23], v25 offset0:16 offset1:17
	ds_read2_b32 v[20:21], v50 offset0:2 offset1:3
	ds_read_b32 v48, v50 offset:16
	v_cmp_lt_u32_e64 s[10:11], 31, v24
	s_waitcnt lgkmcnt(1)
	v_add3_u32 v51, v23, v22, v20
	s_waitcnt lgkmcnt(0)
	v_add3_u32 v48, v51, v21, v48
	v_and_b32_e32 v51, 15, v24
	v_cmp_eq_u32_e32 vcc, 0, v51
	v_mov_b32_dpp v52, v48 row_shr:1 row_mask:0xf bank_mask:0xf
	v_cndmask_b32_e64 v52, v52, 0, vcc
	v_add_u32_e32 v48, v52, v48
	v_cmp_lt_u32_e64 s[0:1], 1, v51
	v_cmp_lt_u32_e64 s[2:3], 3, v51
	v_mov_b32_dpp v52, v48 row_shr:2 row_mask:0xf bank_mask:0xf
	v_cndmask_b32_e64 v52, 0, v52, s[0:1]
	v_add_u32_e32 v48, v48, v52
	v_cmp_lt_u32_e64 s[8:9], 7, v51
	s_nop 0
	v_mov_b32_dpp v52, v48 row_shr:4 row_mask:0xf bank_mask:0xf
	v_cndmask_b32_e64 v52, 0, v52, s[2:3]
	v_add_u32_e32 v48, v48, v52
	s_nop 1
	v_mov_b32_dpp v52, v48 row_shr:8 row_mask:0xf bank_mask:0xf
	v_cndmask_b32_e64 v51, 0, v52, s[8:9]
	v_add_u32_e32 v48, v48, v51
	v_bfe_i32 v52, v24, 4, 1
	s_nop 0
	v_mov_b32_dpp v51, v48 row_bcast:15 row_mask:0xf bank_mask:0xf
	v_and_b32_e32 v51, v52, v51
	v_add_u32_e32 v48, v48, v51
	v_lshrrev_b32_e32 v52, 6, v2
	s_nop 0
	v_mov_b32_dpp v51, v48 row_bcast:31 row_mask:0xf bank_mask:0xf
	v_cndmask_b32_e64 v51, 0, v51, s[10:11]
	v_add_u32_e32 v51, v48, v51
	v_and_b32_e32 v48, 63, v2
	v_cmp_eq_u32_e64 s[10:11], 63, v48
	s_and_saveexec_b64 s[18:19], s[10:11]
	s_cbranch_execz .LBB1573_35
; %bb.34:
	v_lshlrev_b32_e32 v48, 2, v52
	ds_write_b32 v48, v51
.LBB1573_35:
	s_or_b64 exec, exec, s[18:19]
	v_cmp_gt_u32_e64 s[10:11], 16, v2
	v_lshlrev_b32_e32 v48, 2, v2
	s_waitcnt lgkmcnt(0)
	s_barrier
	s_and_saveexec_b64 s[18:19], s[10:11]
	s_cbranch_execz .LBB1573_37
; %bb.36:
	ds_read_b32 v53, v48
	s_waitcnt lgkmcnt(0)
	s_nop 0
	v_mov_b32_dpp v54, v53 row_shr:1 row_mask:0xf bank_mask:0xf
	v_cndmask_b32_e64 v54, v54, 0, vcc
	v_add_u32_e32 v53, v54, v53
	s_nop 1
	v_mov_b32_dpp v54, v53 row_shr:2 row_mask:0xf bank_mask:0xf
	v_cndmask_b32_e64 v54, 0, v54, s[0:1]
	v_add_u32_e32 v53, v53, v54
	s_nop 1
	v_mov_b32_dpp v54, v53 row_shr:4 row_mask:0xf bank_mask:0xf
	v_cndmask_b32_e64 v54, 0, v54, s[2:3]
	v_add_u32_e32 v53, v53, v54
	s_nop 1
	v_mov_b32_dpp v54, v53 row_shr:8 row_mask:0xf bank_mask:0xf
	v_cndmask_b32_e64 v54, 0, v54, s[8:9]
	v_add_u32_e32 v53, v53, v54
	ds_write_b32 v48, v53
.LBB1573_37:
	s_or_b64 exec, exec, s[18:19]
	v_cmp_lt_u32_e32 vcc, 63, v2
	v_mov_b32_e32 v53, 0
	s_waitcnt lgkmcnt(0)
	s_barrier
	s_and_saveexec_b64 s[0:1], vcc
	s_cbranch_execz .LBB1573_39
; %bb.38:
	v_lshl_add_u32 v52, v52, 2, -4
	ds_read_b32 v53, v52
.LBB1573_39:
	s_or_b64 exec, exec, s[0:1]
	v_add_u32_e32 v52, -1, v24
	v_and_b32_e32 v54, 64, v24
	v_cmp_lt_i32_e32 vcc, v52, v54
	v_cndmask_b32_e32 v52, v52, v24, vcc
	s_waitcnt lgkmcnt(0)
	v_add_u32_e32 v51, v53, v51
	v_lshlrev_b32_e32 v52, 2, v52
	ds_bpermute_b32 v51, v52, v51
	v_cmp_eq_u32_e32 vcc, 0, v24
	s_movk_i32 s0, 0x100
	s_waitcnt lgkmcnt(0)
	v_cndmask_b32_e32 v24, v51, v53, vcc
	v_cmp_ne_u32_e32 vcc, 0, v2
	v_cndmask_b32_e32 v24, 0, v24, vcc
	v_add_u32_e32 v22, v24, v22
	v_add_u32_e32 v23, v22, v23
	;; [unrolled: 1-line block ×4, first 2 shown]
	ds_write2_b32 v25, v24, v22 offset0:16 offset1:17
	ds_write2_b32 v50, v23, v20 offset0:2 offset1:3
	ds_write_b32 v50, v21 offset:16
	s_waitcnt lgkmcnt(0)
	s_barrier
	ds_read_b32 v51, v30 offset:64
	ds_read_b32 v50, v31 offset:64
	;; [unrolled: 1-line block ×8, first 2 shown]
	v_cmp_gt_u32_e32 vcc, s0, v2
                                        ; implicit-def: $vgpr30
                                        ; implicit-def: $vgpr31
	s_and_saveexec_b64 s[2:3], vcc
	s_cbranch_execz .LBB1573_43
; %bb.40:
	v_mul_u32_u24_e32 v20, 17, v2
	v_lshlrev_b32_e32 v21, 2, v20
	ds_read_b32 v30, v21 offset:64
	s_movk_i32 s0, 0xff
	v_cmp_ne_u32_e64 s[0:1], s0, v2
	v_mov_b32_e32 v20, 0x2000
	s_and_saveexec_b64 s[8:9], s[0:1]
	s_cbranch_execz .LBB1573_42
; %bb.41:
	ds_read_b32 v20, v21 offset:132
.LBB1573_42:
	s_or_b64 exec, exec, s[8:9]
	s_waitcnt lgkmcnt(0)
	v_sub_u32_e32 v31, v20, v30
.LBB1573_43:
	s_or_b64 exec, exec, s[2:3]
	s_waitcnt lgkmcnt(0)
	s_barrier
	s_and_saveexec_b64 s[2:3], vcc
	s_cbranch_execz .LBB1573_53
; %bb.44:
	v_lshl_or_b32 v20, s6, 8, v2
	v_mov_b32_e32 v21, 0
	v_lshlrev_b64 v[22:23], 2, v[20:21]
	v_mov_b32_e32 v52, s25
	v_add_co_u32_e64 v22, s[0:1], s24, v22
	v_addc_co_u32_e64 v23, s[0:1], v52, v23, s[0:1]
	v_or_b32_e32 v20, 2.0, v31
	s_mov_b64 s[8:9], 0
	s_brev_b32 s28, 1
	s_mov_b32 s29, s6
	v_mov_b32_e32 v53, 0
	global_store_dword v[22:23], v20, off
                                        ; implicit-def: $sgpr0_sgpr1
	s_branch .LBB1573_46
.LBB1573_45:                            ;   in Loop: Header=BB1573_46 Depth=1
	s_or_b64 exec, exec, s[10:11]
	v_and_b32_e32 v24, 0x3fffffff, v54
	v_add_u32_e32 v53, v24, v53
	v_cmp_eq_u32_e64 s[0:1], s28, v20
	s_and_b64 s[10:11], exec, s[0:1]
	s_or_b64 s[8:9], s[10:11], s[8:9]
	s_andn2_b64 exec, exec, s[8:9]
	s_cbranch_execz .LBB1573_52
.LBB1573_46:                            ; =>This Loop Header: Depth=1
                                        ;     Child Loop BB1573_49 Depth 2
	s_or_b64 s[0:1], s[0:1], exec
	s_cmp_eq_u32 s29, 0
	s_cbranch_scc1 .LBB1573_51
; %bb.47:                               ;   in Loop: Header=BB1573_46 Depth=1
	s_add_i32 s29, s29, -1
	v_lshl_or_b32 v20, s29, 8, v2
	v_lshlrev_b64 v[24:25], 2, v[20:21]
	v_add_co_u32_e64 v24, s[0:1], s24, v24
	v_addc_co_u32_e64 v25, s[0:1], v52, v25, s[0:1]
	global_load_dword v54, v[24:25], off glc
	s_waitcnt vmcnt(0)
	v_and_b32_e32 v20, -2.0, v54
	v_cmp_eq_u32_e64 s[0:1], 0, v20
	s_and_saveexec_b64 s[10:11], s[0:1]
	s_cbranch_execz .LBB1573_45
; %bb.48:                               ;   in Loop: Header=BB1573_46 Depth=1
	s_mov_b64 s[18:19], 0
.LBB1573_49:                            ;   Parent Loop BB1573_46 Depth=1
                                        ; =>  This Inner Loop Header: Depth=2
	global_load_dword v54, v[24:25], off glc
	s_waitcnt vmcnt(0)
	v_and_b32_e32 v20, -2.0, v54
	v_cmp_ne_u32_e64 s[0:1], 0, v20
	s_or_b64 s[18:19], s[0:1], s[18:19]
	s_andn2_b64 exec, exec, s[18:19]
	s_cbranch_execnz .LBB1573_49
; %bb.50:                               ;   in Loop: Header=BB1573_46 Depth=1
	s_or_b64 exec, exec, s[18:19]
	s_branch .LBB1573_45
.LBB1573_51:                            ;   in Loop: Header=BB1573_46 Depth=1
                                        ; implicit-def: $sgpr29
	s_and_b64 s[10:11], exec, s[0:1]
	s_or_b64 s[8:9], s[10:11], s[8:9]
	s_andn2_b64 exec, exec, s[8:9]
	s_cbranch_execnz .LBB1573_46
.LBB1573_52:
	s_or_b64 exec, exec, s[8:9]
	v_add_u32_e32 v20, v53, v31
	v_or_b32_e32 v20, 0x80000000, v20
	global_store_dword v[22:23], v20, off
	global_load_dword v20, v48, s[12:13]
	v_sub_u32_e32 v21, v53, v30
	s_waitcnt vmcnt(0)
	v_add_u32_e32 v20, v21, v20
	ds_write_b32 v48, v20
.LBB1573_53:
	s_or_b64 exec, exec, s[2:3]
	v_add_u32_e32 v22, v51, v26
	s_movk_i32 s8, 0x400
	v_add_u32_e32 v23, 0x400, v3
	v_add3_u32 v24, v47, v49, v37
	v_add3_u32 v25, v45, v46, v43
	;; [unrolled: 1-line block ×7, first 2 shown]
	s_mov_b32 s9, 0
	v_mov_b32_e32 v21, 0
	v_mov_b32_e32 v28, v2
	s_branch .LBB1573_55
.LBB1573_54:                            ;   in Loop: Header=BB1573_55 Depth=1
	s_or_b64 exec, exec, s[2:3]
	s_addk_i32 s9, 0xf800
	s_cmpk_eq_i32 s9, 0xe000
	v_add_u32_e32 v28, 0x800, v28
	s_barrier
	s_cbranch_scc1 .LBB1573_60
.LBB1573_55:                            ; =>This Inner Loop Header: Depth=1
	v_add_u32_e32 v20, s9, v22
	v_min_u32_e32 v20, 0x800, v20
	v_lshlrev_b32_e32 v20, 3, v20
	ds_write_b64 v20, v[4:5] offset:1024
	v_add_u32_e32 v20, s9, v27
	v_min_u32_e32 v20, 0x800, v20
	v_lshlrev_b32_e32 v20, 3, v20
	ds_write_b64 v20, v[6:7] offset:1024
	;; [unrolled: 4-line block ×7, first 2 shown]
	v_add_u32_e32 v20, s9, v24
	v_min_u32_e32 v20, 0x800, v20
	v_lshlrev_b32_e32 v20, 3, v20
	v_cmp_gt_u32_e64 s[0:1], s7, v28
	ds_write_b64 v20, v[18:19] offset:1024
	s_waitcnt lgkmcnt(0)
	s_barrier
	s_and_saveexec_b64 s[2:3], s[0:1]
	s_cbranch_execz .LBB1573_57
; %bb.56:                               ;   in Loop: Header=BB1573_55 Depth=1
	ds_read_b64 v[34:35], v3 offset:1024
	v_mov_b32_e32 v32, s23
	s_waitcnt lgkmcnt(0)
	v_lshrrev_b64 v[38:39], s16, v[34:35]
	v_and_b32_e32 v20, s27, v38
	v_lshlrev_b32_e32 v20, 2, v20
	ds_read_b32 v20, v20
	v_xor_b32_e32 v35, 0x80000000, v35
	s_waitcnt lgkmcnt(0)
	v_add_u32_e32 v20, v28, v20
	v_lshlrev_b64 v[38:39], 3, v[20:21]
	v_add_co_u32_e64 v38, s[0:1], s22, v38
	v_addc_co_u32_e64 v39, s[0:1], v32, v39, s[0:1]
	global_store_dwordx2 v[38:39], v[34:35], off
.LBB1573_57:                            ;   in Loop: Header=BB1573_55 Depth=1
	s_or_b64 exec, exec, s[2:3]
	v_add_u32_e32 v20, 0x400, v28
	v_cmp_gt_u32_e64 s[0:1], s7, v20
	s_and_saveexec_b64 s[2:3], s[0:1]
	s_cbranch_execz .LBB1573_54
; %bb.58:                               ;   in Loop: Header=BB1573_55 Depth=1
	ds_read_b64 v[34:35], v23 offset:8192
	v_mov_b32_e32 v32, s23
	s_waitcnt lgkmcnt(0)
	v_lshrrev_b64 v[38:39], s16, v[34:35]
	v_and_b32_e32 v20, s27, v38
	v_lshlrev_b32_e32 v20, 2, v20
	ds_read_b32 v20, v20
	v_xor_b32_e32 v35, 0x80000000, v35
	s_waitcnt lgkmcnt(0)
	v_add3_u32 v20, v28, v20, s8
	v_lshlrev_b64 v[38:39], 3, v[20:21]
	v_add_co_u32_e64 v38, s[0:1], s22, v38
	v_addc_co_u32_e64 v39, s[0:1], v32, v39, s[0:1]
	global_store_dwordx2 v[38:39], v[34:35], off
	s_branch .LBB1573_54
.LBB1573_59:
	s_mov_b64 s[10:11], 0
                                        ; implicit-def: $vgpr4
                                        ; implicit-def: $vgpr2
	s_cbranch_execnz .LBB1573_63
	s_branch .LBB1573_104
.LBB1573_60:
	s_add_i32 s26, s26, -1
	s_cmp_eq_u32 s26, s6
	s_cselect_b64 s[0:1], -1, 0
	s_and_b64 s[2:3], vcc, s[0:1]
	s_mov_b64 s[0:1], 0
	s_mov_b64 s[10:11], 0
                                        ; implicit-def: $vgpr4
	s_and_saveexec_b64 s[8:9], s[2:3]
	s_xor_b64 s[2:3], exec, s[8:9]
; %bb.61:
	s_mov_b64 s[10:11], exec
	v_add_u32_e32 v4, v30, v31
; %bb.62:
	s_or_b64 exec, exec, s[2:3]
	s_and_b64 vcc, exec, s[0:1]
	s_cbranch_vccz .LBB1573_104
.LBB1573_63:
	s_lshl_b32 s0, s6, 13
	s_mov_b32 s1, 0
	v_mbcnt_hi_u32_b32 v22, -1, v1
	s_lshl_b64 s[0:1], s[0:1], 3
	v_and_b32_e32 v1, 63, v22
	s_add_u32 s0, s20, s0
	v_lshlrev_b32_e32 v1, 3, v1
	v_add_co_u32_e32 v1, vcc, s0, v1
	s_load_dword s7, s[4:5], 0x58
	s_load_dword s0, s[4:5], 0x64
	v_and_b32_e32 v2, 0x3ff, v0
	s_addc_u32 s1, s21, s1
	v_mov_b32_e32 v3, s1
	v_lshlrev_b32_e32 v4, 6, v2
	s_add_u32 s1, s4, 0x58
	v_addc_co_u32_e32 v3, vcc, 0, v3, vcc
	v_and_b32_e32 v4, 0xf000, v4
	s_addc_u32 s2, s5, 0
	s_waitcnt lgkmcnt(0)
	s_lshr_b32 s3, s0, 16
	v_add_co_u32_e32 v20, vcc, v1, v4
	s_cmp_lt_u32 s6, s7
	v_addc_co_u32_e32 v21, vcc, 0, v3, vcc
	s_cselect_b32 s0, 12, 18
	global_load_dwordx2 v[4:5], v[20:21], off
	s_add_u32 s0, s1, s0
	v_mov_b32_e32 v18, 0
	s_addc_u32 s1, s2, 0
	global_load_ushort v3, v18, s[0:1]
	v_mul_u32_u24_e32 v6, 5, v2
	v_lshlrev_b32_e32 v23, 2, v6
	v_bfe_u32 v1, v0, 10, 10
	v_bfe_u32 v0, v0, 20, 10
	ds_write2_b32 v23, v18, v18 offset0:16 offset1:17
	ds_write2_b32 v23, v18, v18 offset0:18 offset1:19
	ds_write_b32 v23, v18 offset:80
	v_mad_u32_u24 v19, v0, s3, v1
	global_load_dwordx2 v[0:1], v[20:21], off offset:512
	global_load_dwordx2 v[6:7], v[20:21], off offset:1024
	;; [unrolled: 1-line block ×7, first 2 shown]
	s_lshl_b32 s0, -1, s17
	s_not_b32 s17, s0
	s_waitcnt lgkmcnt(0)
	s_barrier
	s_waitcnt lgkmcnt(0)
	; wave barrier
	s_waitcnt vmcnt(8)
	v_xor_b32_e32 v5, 0x80000000, v5
	v_lshrrev_b64 v[20:21], s16, v[4:5]
	v_and_b32_e32 v24, s17, v20
	s_waitcnt vmcnt(7)
	v_mad_u64_u32 v[20:21], s[0:1], v19, v3, v[2:3]
	v_and_b32_e32 v21, 1, v24
	v_lshrrev_b32_e32 v31, 6, v20
	v_add_co_u32_e32 v20, vcc, -1, v21
	v_lshlrev_b32_e32 v19, 30, v24
	v_addc_co_u32_e64 v26, s[0:1], 0, -1, vcc
	v_lshl_add_u32 v3, v24, 4, v24
	v_cmp_ne_u32_e32 vcc, 0, v21
	v_cmp_gt_i64_e64 s[0:1], 0, v[18:19]
	v_not_b32_e32 v21, v19
	v_lshlrev_b32_e32 v19, 29, v24
	v_add_lshl_u32 v25, v31, v3, 2
	v_xor_b32_e32 v3, vcc_hi, v26
	v_xor_b32_e32 v20, vcc_lo, v20
	v_ashrrev_i32_e32 v21, 31, v21
	v_cmp_gt_i64_e32 vcc, 0, v[18:19]
	v_not_b32_e32 v26, v19
	v_lshlrev_b32_e32 v19, 28, v24
	v_and_b32_e32 v3, exec_hi, v3
	v_and_b32_e32 v20, exec_lo, v20
	v_xor_b32_e32 v27, s1, v21
	v_xor_b32_e32 v21, s0, v21
	v_ashrrev_i32_e32 v26, 31, v26
	v_cmp_gt_i64_e64 s[0:1], 0, v[18:19]
	v_not_b32_e32 v28, v19
	v_lshlrev_b32_e32 v19, 27, v24
	v_and_b32_e32 v3, v3, v27
	v_and_b32_e32 v20, v20, v21
	v_xor_b32_e32 v21, vcc_hi, v26
	v_xor_b32_e32 v26, vcc_lo, v26
	v_ashrrev_i32_e32 v27, 31, v28
	v_cmp_gt_i64_e32 vcc, 0, v[18:19]
	v_not_b32_e32 v19, v19
	v_and_b32_e32 v3, v3, v21
	v_and_b32_e32 v20, v20, v26
	v_xor_b32_e32 v21, s1, v27
	v_xor_b32_e32 v26, s0, v27
	v_ashrrev_i32_e32 v19, 31, v19
	v_and_b32_e32 v3, v3, v21
	v_and_b32_e32 v20, v20, v26
	v_xor_b32_e32 v21, vcc_hi, v19
	v_xor_b32_e32 v19, vcc_lo, v19
	v_and_b32_e32 v20, v20, v19
	v_lshlrev_b32_e32 v19, 26, v24
	v_cmp_gt_i64_e32 vcc, 0, v[18:19]
	v_not_b32_e32 v19, v19
	v_ashrrev_i32_e32 v19, 31, v19
	v_and_b32_e32 v3, v3, v21
	v_xor_b32_e32 v21, vcc_hi, v19
	v_xor_b32_e32 v19, vcc_lo, v19
	v_and_b32_e32 v20, v20, v19
	v_lshlrev_b32_e32 v19, 25, v24
	v_cmp_gt_i64_e32 vcc, 0, v[18:19]
	v_not_b32_e32 v19, v19
	v_ashrrev_i32_e32 v19, 31, v19
	;; [unrolled: 8-line block ×3, first 2 shown]
	v_and_b32_e32 v3, v3, v21
	v_xor_b32_e32 v21, vcc_hi, v19
	v_xor_b32_e32 v19, vcc_lo, v19
	v_and_b32_e32 v20, v20, v19
	v_and_b32_e32 v21, v3, v21
	v_mbcnt_lo_u32_b32 v3, v20, 0
	v_mbcnt_hi_u32_b32 v3, v21, v3
	v_cmp_eq_u32_e32 vcc, 0, v3
	v_cmp_ne_u64_e64 s[0:1], 0, v[20:21]
	s_and_b64 s[2:3], s[0:1], vcc
	s_and_saveexec_b64 s[0:1], s[2:3]
	s_cbranch_execz .LBB1573_65
; %bb.64:
	v_bcnt_u32_b32 v19, v20, 0
	v_bcnt_u32_b32 v19, v21, v19
	ds_write_b32 v25, v19 offset:64
.LBB1573_65:
	s_or_b64 exec, exec, s[0:1]
	s_waitcnt vmcnt(6)
	v_xor_b32_e32 v1, 0x80000000, v1
	v_lshrrev_b64 v[20:21], s16, v[0:1]
	v_and_b32_e32 v20, s17, v20
	v_lshl_add_u32 v19, v20, 4, v20
	v_add_lshl_u32 v28, v31, v19, 2
	v_and_b32_e32 v19, 1, v20
	v_add_co_u32_e32 v21, vcc, -1, v19
	v_addc_co_u32_e64 v26, s[0:1], 0, -1, vcc
	v_cmp_ne_u32_e32 vcc, 0, v19
	v_xor_b32_e32 v19, vcc_hi, v26
	v_and_b32_e32 v26, exec_hi, v19
	v_lshlrev_b32_e32 v19, 30, v20
	v_xor_b32_e32 v21, vcc_lo, v21
	v_cmp_gt_i64_e32 vcc, 0, v[18:19]
	v_not_b32_e32 v19, v19
	v_ashrrev_i32_e32 v19, 31, v19
	v_and_b32_e32 v21, exec_lo, v21
	v_xor_b32_e32 v27, vcc_hi, v19
	v_xor_b32_e32 v19, vcc_lo, v19
	v_and_b32_e32 v21, v21, v19
	v_lshlrev_b32_e32 v19, 29, v20
	v_cmp_gt_i64_e32 vcc, 0, v[18:19]
	v_not_b32_e32 v19, v19
	v_ashrrev_i32_e32 v19, 31, v19
	v_and_b32_e32 v26, v26, v27
	v_xor_b32_e32 v27, vcc_hi, v19
	v_xor_b32_e32 v19, vcc_lo, v19
	v_and_b32_e32 v21, v21, v19
	v_lshlrev_b32_e32 v19, 28, v20
	v_cmp_gt_i64_e32 vcc, 0, v[18:19]
	v_not_b32_e32 v19, v19
	v_ashrrev_i32_e32 v19, 31, v19
	v_and_b32_e32 v26, v26, v27
	;; [unrolled: 8-line block ×5, first 2 shown]
	v_xor_b32_e32 v27, vcc_hi, v19
	v_xor_b32_e32 v19, vcc_lo, v19
	v_and_b32_e32 v21, v21, v19
	v_lshlrev_b32_e32 v19, 24, v20
	v_cmp_gt_i64_e32 vcc, 0, v[18:19]
	v_not_b32_e32 v18, v19
	v_ashrrev_i32_e32 v18, 31, v18
	v_xor_b32_e32 v19, vcc_hi, v18
	v_xor_b32_e32 v18, vcc_lo, v18
	; wave barrier
	ds_read_b32 v24, v28 offset:64
	v_and_b32_e32 v26, v26, v27
	v_and_b32_e32 v18, v21, v18
	;; [unrolled: 1-line block ×3, first 2 shown]
	v_mbcnt_lo_u32_b32 v20, v18, 0
	v_mbcnt_hi_u32_b32 v26, v19, v20
	v_cmp_eq_u32_e32 vcc, 0, v26
	v_cmp_ne_u64_e64 s[0:1], 0, v[18:19]
	s_and_b64 s[2:3], s[0:1], vcc
	; wave barrier
	s_and_saveexec_b64 s[0:1], s[2:3]
	s_cbranch_execz .LBB1573_67
; %bb.66:
	v_bcnt_u32_b32 v18, v18, 0
	v_bcnt_u32_b32 v18, v19, v18
	s_waitcnt lgkmcnt(0)
	v_add_u32_e32 v18, v24, v18
	ds_write_b32 v28, v18 offset:64
.LBB1573_67:
	s_or_b64 exec, exec, s[0:1]
	s_waitcnt vmcnt(5)
	v_xor_b32_e32 v7, 0x80000000, v7
	v_lshrrev_b64 v[18:19], s16, v[6:7]
	v_and_b32_e32 v20, s17, v18
	v_and_b32_e32 v19, 1, v20
	v_add_co_u32_e32 v21, vcc, -1, v19
	v_addc_co_u32_e64 v29, s[0:1], 0, -1, vcc
	v_cmp_ne_u32_e32 vcc, 0, v19
	v_lshl_add_u32 v18, v20, 4, v20
	v_xor_b32_e32 v19, vcc_hi, v29
	v_add_lshl_u32 v32, v31, v18, 2
	v_mov_b32_e32 v18, 0
	v_and_b32_e32 v29, exec_hi, v19
	v_lshlrev_b32_e32 v19, 30, v20
	v_xor_b32_e32 v21, vcc_lo, v21
	v_cmp_gt_i64_e32 vcc, 0, v[18:19]
	v_not_b32_e32 v19, v19
	v_ashrrev_i32_e32 v19, 31, v19
	v_and_b32_e32 v21, exec_lo, v21
	v_xor_b32_e32 v30, vcc_hi, v19
	v_xor_b32_e32 v19, vcc_lo, v19
	v_and_b32_e32 v21, v21, v19
	v_lshlrev_b32_e32 v19, 29, v20
	v_cmp_gt_i64_e32 vcc, 0, v[18:19]
	v_not_b32_e32 v19, v19
	v_ashrrev_i32_e32 v19, 31, v19
	v_and_b32_e32 v29, v29, v30
	v_xor_b32_e32 v30, vcc_hi, v19
	v_xor_b32_e32 v19, vcc_lo, v19
	v_and_b32_e32 v21, v21, v19
	v_lshlrev_b32_e32 v19, 28, v20
	v_cmp_gt_i64_e32 vcc, 0, v[18:19]
	v_not_b32_e32 v19, v19
	v_ashrrev_i32_e32 v19, 31, v19
	v_and_b32_e32 v29, v29, v30
	;; [unrolled: 8-line block ×5, first 2 shown]
	v_xor_b32_e32 v30, vcc_hi, v19
	v_xor_b32_e32 v19, vcc_lo, v19
	v_and_b32_e32 v29, v29, v30
	v_and_b32_e32 v30, v21, v19
	v_lshlrev_b32_e32 v19, 24, v20
	v_cmp_gt_i64_e32 vcc, 0, v[18:19]
	v_not_b32_e32 v19, v19
	v_ashrrev_i32_e32 v19, 31, v19
	v_xor_b32_e32 v20, vcc_hi, v19
	v_xor_b32_e32 v19, vcc_lo, v19
	; wave barrier
	ds_read_b32 v27, v32 offset:64
	v_and_b32_e32 v21, v29, v20
	v_and_b32_e32 v20, v30, v19
	v_mbcnt_lo_u32_b32 v19, v20, 0
	v_mbcnt_hi_u32_b32 v29, v21, v19
	v_cmp_eq_u32_e32 vcc, 0, v29
	v_cmp_ne_u64_e64 s[0:1], 0, v[20:21]
	s_and_b64 s[2:3], s[0:1], vcc
	; wave barrier
	s_and_saveexec_b64 s[0:1], s[2:3]
	s_cbranch_execz .LBB1573_69
; %bb.68:
	v_bcnt_u32_b32 v19, v20, 0
	v_bcnt_u32_b32 v19, v21, v19
	s_waitcnt lgkmcnt(0)
	v_add_u32_e32 v19, v27, v19
	ds_write_b32 v32, v19 offset:64
.LBB1573_69:
	s_or_b64 exec, exec, s[0:1]
	s_waitcnt vmcnt(4)
	v_xor_b32_e32 v9, 0x80000000, v9
	v_lshrrev_b64 v[20:21], s16, v[8:9]
	v_and_b32_e32 v20, s17, v20
	v_lshl_add_u32 v19, v20, 4, v20
	v_add_lshl_u32 v35, v31, v19, 2
	v_and_b32_e32 v19, 1, v20
	v_add_co_u32_e32 v21, vcc, -1, v19
	v_addc_co_u32_e64 v33, s[0:1], 0, -1, vcc
	v_cmp_ne_u32_e32 vcc, 0, v19
	v_xor_b32_e32 v19, vcc_hi, v33
	v_and_b32_e32 v33, exec_hi, v19
	v_lshlrev_b32_e32 v19, 30, v20
	v_xor_b32_e32 v21, vcc_lo, v21
	v_cmp_gt_i64_e32 vcc, 0, v[18:19]
	v_not_b32_e32 v19, v19
	v_ashrrev_i32_e32 v19, 31, v19
	v_and_b32_e32 v21, exec_lo, v21
	v_xor_b32_e32 v34, vcc_hi, v19
	v_xor_b32_e32 v19, vcc_lo, v19
	v_and_b32_e32 v21, v21, v19
	v_lshlrev_b32_e32 v19, 29, v20
	v_cmp_gt_i64_e32 vcc, 0, v[18:19]
	v_not_b32_e32 v19, v19
	v_ashrrev_i32_e32 v19, 31, v19
	v_and_b32_e32 v33, v33, v34
	v_xor_b32_e32 v34, vcc_hi, v19
	v_xor_b32_e32 v19, vcc_lo, v19
	v_and_b32_e32 v21, v21, v19
	v_lshlrev_b32_e32 v19, 28, v20
	v_cmp_gt_i64_e32 vcc, 0, v[18:19]
	v_not_b32_e32 v19, v19
	v_ashrrev_i32_e32 v19, 31, v19
	v_and_b32_e32 v33, v33, v34
	v_xor_b32_e32 v34, vcc_hi, v19
	v_xor_b32_e32 v19, vcc_lo, v19
	v_and_b32_e32 v21, v21, v19
	v_lshlrev_b32_e32 v19, 27, v20
	v_cmp_gt_i64_e32 vcc, 0, v[18:19]
	v_not_b32_e32 v19, v19
	v_ashrrev_i32_e32 v19, 31, v19
	v_and_b32_e32 v33, v33, v34
	v_xor_b32_e32 v34, vcc_hi, v19
	v_xor_b32_e32 v19, vcc_lo, v19
	v_and_b32_e32 v21, v21, v19
	v_lshlrev_b32_e32 v19, 26, v20
	v_cmp_gt_i64_e32 vcc, 0, v[18:19]
	v_not_b32_e32 v19, v19
	v_ashrrev_i32_e32 v19, 31, v19
	v_and_b32_e32 v33, v33, v34
	v_xor_b32_e32 v34, vcc_hi, v19
	v_xor_b32_e32 v19, vcc_lo, v19
	v_and_b32_e32 v21, v21, v19
	v_lshlrev_b32_e32 v19, 25, v20
	v_cmp_gt_i64_e32 vcc, 0, v[18:19]
	v_not_b32_e32 v19, v19
	v_ashrrev_i32_e32 v19, 31, v19
	v_and_b32_e32 v33, v33, v34
	v_xor_b32_e32 v34, vcc_hi, v19
	v_xor_b32_e32 v19, vcc_lo, v19
	v_and_b32_e32 v21, v21, v19
	v_lshlrev_b32_e32 v19, 24, v20
	v_cmp_gt_i64_e32 vcc, 0, v[18:19]
	v_not_b32_e32 v18, v19
	v_ashrrev_i32_e32 v18, 31, v18
	v_xor_b32_e32 v19, vcc_hi, v18
	v_xor_b32_e32 v18, vcc_lo, v18
	; wave barrier
	ds_read_b32 v30, v35 offset:64
	v_and_b32_e32 v33, v33, v34
	v_and_b32_e32 v18, v21, v18
	;; [unrolled: 1-line block ×3, first 2 shown]
	v_mbcnt_lo_u32_b32 v20, v18, 0
	v_mbcnt_hi_u32_b32 v33, v19, v20
	v_cmp_eq_u32_e32 vcc, 0, v33
	v_cmp_ne_u64_e64 s[0:1], 0, v[18:19]
	s_and_b64 s[2:3], s[0:1], vcc
	; wave barrier
	s_and_saveexec_b64 s[0:1], s[2:3]
	s_cbranch_execz .LBB1573_71
; %bb.70:
	v_bcnt_u32_b32 v18, v18, 0
	v_bcnt_u32_b32 v18, v19, v18
	s_waitcnt lgkmcnt(0)
	v_add_u32_e32 v18, v30, v18
	ds_write_b32 v35, v18 offset:64
.LBB1573_71:
	s_or_b64 exec, exec, s[0:1]
	s_waitcnt vmcnt(3)
	v_xor_b32_e32 v11, 0x80000000, v11
	v_lshrrev_b64 v[18:19], s16, v[10:11]
	v_and_b32_e32 v20, s17, v18
	v_and_b32_e32 v19, 1, v20
	v_add_co_u32_e32 v21, vcc, -1, v19
	v_addc_co_u32_e64 v36, s[0:1], 0, -1, vcc
	v_cmp_ne_u32_e32 vcc, 0, v19
	v_lshl_add_u32 v18, v20, 4, v20
	v_xor_b32_e32 v19, vcc_hi, v36
	v_add_lshl_u32 v38, v31, v18, 2
	v_mov_b32_e32 v18, 0
	v_and_b32_e32 v36, exec_hi, v19
	v_lshlrev_b32_e32 v19, 30, v20
	v_xor_b32_e32 v21, vcc_lo, v21
	v_cmp_gt_i64_e32 vcc, 0, v[18:19]
	v_not_b32_e32 v19, v19
	v_ashrrev_i32_e32 v19, 31, v19
	v_and_b32_e32 v21, exec_lo, v21
	v_xor_b32_e32 v37, vcc_hi, v19
	v_xor_b32_e32 v19, vcc_lo, v19
	v_and_b32_e32 v21, v21, v19
	v_lshlrev_b32_e32 v19, 29, v20
	v_cmp_gt_i64_e32 vcc, 0, v[18:19]
	v_not_b32_e32 v19, v19
	v_ashrrev_i32_e32 v19, 31, v19
	v_and_b32_e32 v36, v36, v37
	v_xor_b32_e32 v37, vcc_hi, v19
	v_xor_b32_e32 v19, vcc_lo, v19
	v_and_b32_e32 v21, v21, v19
	v_lshlrev_b32_e32 v19, 28, v20
	v_cmp_gt_i64_e32 vcc, 0, v[18:19]
	v_not_b32_e32 v19, v19
	v_ashrrev_i32_e32 v19, 31, v19
	v_and_b32_e32 v36, v36, v37
	v_xor_b32_e32 v37, vcc_hi, v19
	v_xor_b32_e32 v19, vcc_lo, v19
	v_and_b32_e32 v21, v21, v19
	v_lshlrev_b32_e32 v19, 27, v20
	v_cmp_gt_i64_e32 vcc, 0, v[18:19]
	v_not_b32_e32 v19, v19
	v_ashrrev_i32_e32 v19, 31, v19
	v_and_b32_e32 v36, v36, v37
	v_xor_b32_e32 v37, vcc_hi, v19
	v_xor_b32_e32 v19, vcc_lo, v19
	v_and_b32_e32 v21, v21, v19
	v_lshlrev_b32_e32 v19, 26, v20
	v_cmp_gt_i64_e32 vcc, 0, v[18:19]
	v_not_b32_e32 v19, v19
	v_ashrrev_i32_e32 v19, 31, v19
	v_and_b32_e32 v36, v36, v37
	v_xor_b32_e32 v37, vcc_hi, v19
	v_xor_b32_e32 v19, vcc_lo, v19
	v_and_b32_e32 v21, v21, v19
	v_lshlrev_b32_e32 v19, 25, v20
	v_cmp_gt_i64_e32 vcc, 0, v[18:19]
	v_not_b32_e32 v19, v19
	v_ashrrev_i32_e32 v19, 31, v19
	v_and_b32_e32 v36, v36, v37
	v_xor_b32_e32 v37, vcc_hi, v19
	v_xor_b32_e32 v19, vcc_lo, v19
	v_and_b32_e32 v36, v36, v37
	v_and_b32_e32 v37, v21, v19
	v_lshlrev_b32_e32 v19, 24, v20
	v_cmp_gt_i64_e32 vcc, 0, v[18:19]
	v_not_b32_e32 v19, v19
	v_ashrrev_i32_e32 v19, 31, v19
	v_xor_b32_e32 v20, vcc_hi, v19
	v_xor_b32_e32 v19, vcc_lo, v19
	; wave barrier
	ds_read_b32 v34, v38 offset:64
	v_and_b32_e32 v21, v36, v20
	v_and_b32_e32 v20, v37, v19
	v_mbcnt_lo_u32_b32 v19, v20, 0
	v_mbcnt_hi_u32_b32 v36, v21, v19
	v_cmp_eq_u32_e32 vcc, 0, v36
	v_cmp_ne_u64_e64 s[0:1], 0, v[20:21]
	s_and_b64 s[2:3], s[0:1], vcc
	; wave barrier
	s_and_saveexec_b64 s[0:1], s[2:3]
	s_cbranch_execz .LBB1573_73
; %bb.72:
	v_bcnt_u32_b32 v19, v20, 0
	v_bcnt_u32_b32 v19, v21, v19
	s_waitcnt lgkmcnt(0)
	v_add_u32_e32 v19, v34, v19
	ds_write_b32 v38, v19 offset:64
.LBB1573_73:
	s_or_b64 exec, exec, s[0:1]
	s_waitcnt vmcnt(2)
	v_xor_b32_e32 v13, 0x80000000, v13
	v_lshrrev_b64 v[20:21], s16, v[12:13]
	v_and_b32_e32 v20, s17, v20
	v_lshl_add_u32 v19, v20, 4, v20
	v_add_lshl_u32 v41, v31, v19, 2
	v_and_b32_e32 v19, 1, v20
	v_add_co_u32_e32 v21, vcc, -1, v19
	v_addc_co_u32_e64 v39, s[0:1], 0, -1, vcc
	v_cmp_ne_u32_e32 vcc, 0, v19
	v_xor_b32_e32 v19, vcc_hi, v39
	v_and_b32_e32 v39, exec_hi, v19
	v_lshlrev_b32_e32 v19, 30, v20
	v_xor_b32_e32 v21, vcc_lo, v21
	v_cmp_gt_i64_e32 vcc, 0, v[18:19]
	v_not_b32_e32 v19, v19
	v_ashrrev_i32_e32 v19, 31, v19
	v_and_b32_e32 v21, exec_lo, v21
	v_xor_b32_e32 v40, vcc_hi, v19
	v_xor_b32_e32 v19, vcc_lo, v19
	v_and_b32_e32 v21, v21, v19
	v_lshlrev_b32_e32 v19, 29, v20
	v_cmp_gt_i64_e32 vcc, 0, v[18:19]
	v_not_b32_e32 v19, v19
	v_ashrrev_i32_e32 v19, 31, v19
	v_and_b32_e32 v39, v39, v40
	v_xor_b32_e32 v40, vcc_hi, v19
	v_xor_b32_e32 v19, vcc_lo, v19
	v_and_b32_e32 v21, v21, v19
	v_lshlrev_b32_e32 v19, 28, v20
	v_cmp_gt_i64_e32 vcc, 0, v[18:19]
	v_not_b32_e32 v19, v19
	v_ashrrev_i32_e32 v19, 31, v19
	v_and_b32_e32 v39, v39, v40
	;; [unrolled: 8-line block ×5, first 2 shown]
	v_xor_b32_e32 v40, vcc_hi, v19
	v_xor_b32_e32 v19, vcc_lo, v19
	v_and_b32_e32 v21, v21, v19
	v_lshlrev_b32_e32 v19, 24, v20
	v_cmp_gt_i64_e32 vcc, 0, v[18:19]
	v_not_b32_e32 v18, v19
	v_ashrrev_i32_e32 v18, 31, v18
	v_xor_b32_e32 v19, vcc_hi, v18
	v_xor_b32_e32 v18, vcc_lo, v18
	; wave barrier
	ds_read_b32 v37, v41 offset:64
	v_and_b32_e32 v39, v39, v40
	v_and_b32_e32 v18, v21, v18
	;; [unrolled: 1-line block ×3, first 2 shown]
	v_mbcnt_lo_u32_b32 v20, v18, 0
	v_mbcnt_hi_u32_b32 v39, v19, v20
	v_cmp_eq_u32_e32 vcc, 0, v39
	v_cmp_ne_u64_e64 s[0:1], 0, v[18:19]
	s_and_b64 s[2:3], s[0:1], vcc
	; wave barrier
	s_and_saveexec_b64 s[0:1], s[2:3]
	s_cbranch_execz .LBB1573_75
; %bb.74:
	v_bcnt_u32_b32 v18, v18, 0
	v_bcnt_u32_b32 v18, v19, v18
	s_waitcnt lgkmcnt(0)
	v_add_u32_e32 v18, v37, v18
	ds_write_b32 v41, v18 offset:64
.LBB1573_75:
	s_or_b64 exec, exec, s[0:1]
	s_waitcnt vmcnt(1)
	v_xor_b32_e32 v15, 0x80000000, v15
	v_lshrrev_b64 v[18:19], s16, v[14:15]
	v_and_b32_e32 v20, s17, v18
	v_and_b32_e32 v19, 1, v20
	v_add_co_u32_e32 v21, vcc, -1, v19
	v_addc_co_u32_e64 v42, s[0:1], 0, -1, vcc
	v_cmp_ne_u32_e32 vcc, 0, v19
	v_lshl_add_u32 v18, v20, 4, v20
	v_xor_b32_e32 v19, vcc_hi, v42
	v_add_lshl_u32 v43, v31, v18, 2
	v_mov_b32_e32 v18, 0
	v_and_b32_e32 v42, exec_hi, v19
	v_lshlrev_b32_e32 v19, 30, v20
	v_xor_b32_e32 v21, vcc_lo, v21
	v_cmp_gt_i64_e32 vcc, 0, v[18:19]
	v_not_b32_e32 v19, v19
	v_ashrrev_i32_e32 v19, 31, v19
	v_and_b32_e32 v21, exec_lo, v21
	v_xor_b32_e32 v44, vcc_hi, v19
	v_xor_b32_e32 v19, vcc_lo, v19
	v_and_b32_e32 v21, v21, v19
	v_lshlrev_b32_e32 v19, 29, v20
	v_cmp_gt_i64_e32 vcc, 0, v[18:19]
	v_not_b32_e32 v19, v19
	v_ashrrev_i32_e32 v19, 31, v19
	v_and_b32_e32 v42, v42, v44
	v_xor_b32_e32 v44, vcc_hi, v19
	v_xor_b32_e32 v19, vcc_lo, v19
	v_and_b32_e32 v21, v21, v19
	v_lshlrev_b32_e32 v19, 28, v20
	v_cmp_gt_i64_e32 vcc, 0, v[18:19]
	v_not_b32_e32 v19, v19
	v_ashrrev_i32_e32 v19, 31, v19
	v_and_b32_e32 v42, v42, v44
	;; [unrolled: 8-line block ×5, first 2 shown]
	v_xor_b32_e32 v44, vcc_hi, v19
	v_xor_b32_e32 v19, vcc_lo, v19
	v_and_b32_e32 v42, v42, v44
	v_and_b32_e32 v44, v21, v19
	v_lshlrev_b32_e32 v19, 24, v20
	v_cmp_gt_i64_e32 vcc, 0, v[18:19]
	v_not_b32_e32 v19, v19
	v_ashrrev_i32_e32 v19, 31, v19
	v_xor_b32_e32 v20, vcc_hi, v19
	v_xor_b32_e32 v19, vcc_lo, v19
	; wave barrier
	ds_read_b32 v40, v43 offset:64
	v_and_b32_e32 v21, v42, v20
	v_and_b32_e32 v20, v44, v19
	v_mbcnt_lo_u32_b32 v19, v20, 0
	v_mbcnt_hi_u32_b32 v42, v21, v19
	v_cmp_eq_u32_e32 vcc, 0, v42
	v_cmp_ne_u64_e64 s[0:1], 0, v[20:21]
	s_and_b64 s[2:3], s[0:1], vcc
	; wave barrier
	s_and_saveexec_b64 s[0:1], s[2:3]
	s_cbranch_execz .LBB1573_77
; %bb.76:
	v_bcnt_u32_b32 v19, v20, 0
	v_bcnt_u32_b32 v19, v21, v19
	s_waitcnt lgkmcnt(0)
	v_add_u32_e32 v19, v40, v19
	ds_write_b32 v43, v19 offset:64
.LBB1573_77:
	s_or_b64 exec, exec, s[0:1]
	s_waitcnt vmcnt(0)
	v_xor_b32_e32 v17, 0x80000000, v17
	v_lshrrev_b64 v[20:21], s16, v[16:17]
	v_and_b32_e32 v20, s17, v20
	v_lshl_add_u32 v19, v20, 4, v20
	v_add_lshl_u32 v46, v31, v19, 2
	v_and_b32_e32 v19, 1, v20
	v_add_co_u32_e32 v21, vcc, -1, v19
	v_addc_co_u32_e64 v44, s[0:1], 0, -1, vcc
	v_cmp_ne_u32_e32 vcc, 0, v19
	v_xor_b32_e32 v19, vcc_hi, v44
	v_and_b32_e32 v44, exec_hi, v19
	v_lshlrev_b32_e32 v19, 30, v20
	v_xor_b32_e32 v21, vcc_lo, v21
	v_cmp_gt_i64_e32 vcc, 0, v[18:19]
	v_not_b32_e32 v19, v19
	v_ashrrev_i32_e32 v19, 31, v19
	v_and_b32_e32 v21, exec_lo, v21
	v_xor_b32_e32 v45, vcc_hi, v19
	v_xor_b32_e32 v19, vcc_lo, v19
	v_and_b32_e32 v21, v21, v19
	v_lshlrev_b32_e32 v19, 29, v20
	v_cmp_gt_i64_e32 vcc, 0, v[18:19]
	v_not_b32_e32 v19, v19
	v_ashrrev_i32_e32 v19, 31, v19
	v_and_b32_e32 v44, v44, v45
	v_xor_b32_e32 v45, vcc_hi, v19
	v_xor_b32_e32 v19, vcc_lo, v19
	v_and_b32_e32 v21, v21, v19
	v_lshlrev_b32_e32 v19, 28, v20
	v_cmp_gt_i64_e32 vcc, 0, v[18:19]
	v_not_b32_e32 v19, v19
	v_ashrrev_i32_e32 v19, 31, v19
	v_and_b32_e32 v44, v44, v45
	;; [unrolled: 8-line block ×5, first 2 shown]
	v_xor_b32_e32 v45, vcc_hi, v19
	v_xor_b32_e32 v19, vcc_lo, v19
	v_and_b32_e32 v21, v21, v19
	v_lshlrev_b32_e32 v19, 24, v20
	v_cmp_gt_i64_e32 vcc, 0, v[18:19]
	v_not_b32_e32 v18, v19
	v_ashrrev_i32_e32 v18, 31, v18
	v_xor_b32_e32 v19, vcc_hi, v18
	v_xor_b32_e32 v18, vcc_lo, v18
	; wave barrier
	ds_read_b32 v31, v46 offset:64
	v_and_b32_e32 v44, v44, v45
	v_and_b32_e32 v18, v21, v18
	;; [unrolled: 1-line block ×3, first 2 shown]
	v_mbcnt_lo_u32_b32 v20, v18, 0
	v_mbcnt_hi_u32_b32 v44, v19, v20
	v_cmp_eq_u32_e32 vcc, 0, v44
	v_cmp_ne_u64_e64 s[0:1], 0, v[18:19]
	v_add_u32_e32 v47, 64, v23
	s_and_b64 s[2:3], s[0:1], vcc
	; wave barrier
	s_and_saveexec_b64 s[0:1], s[2:3]
	s_cbranch_execz .LBB1573_79
; %bb.78:
	v_bcnt_u32_b32 v18, v18, 0
	v_bcnt_u32_b32 v18, v19, v18
	s_waitcnt lgkmcnt(0)
	v_add_u32_e32 v18, v31, v18
	ds_write_b32 v46, v18 offset:64
.LBB1573_79:
	s_or_b64 exec, exec, s[0:1]
	; wave barrier
	s_waitcnt lgkmcnt(0)
	s_barrier
	ds_read2_b32 v[20:21], v23 offset0:16 offset1:17
	ds_read2_b32 v[18:19], v47 offset0:2 offset1:3
	ds_read_b32 v45, v47 offset:16
	v_cmp_lt_u32_e64 s[8:9], 31, v22
	s_waitcnt lgkmcnt(1)
	v_add3_u32 v48, v21, v20, v18
	s_waitcnt lgkmcnt(0)
	v_add3_u32 v45, v48, v19, v45
	v_and_b32_e32 v48, 15, v22
	v_cmp_eq_u32_e32 vcc, 0, v48
	v_mov_b32_dpp v49, v45 row_shr:1 row_mask:0xf bank_mask:0xf
	v_cndmask_b32_e64 v49, v49, 0, vcc
	v_add_u32_e32 v45, v49, v45
	v_cmp_lt_u32_e64 s[0:1], 1, v48
	v_cmp_lt_u32_e64 s[2:3], 3, v48
	v_mov_b32_dpp v49, v45 row_shr:2 row_mask:0xf bank_mask:0xf
	v_cndmask_b32_e64 v49, 0, v49, s[0:1]
	v_add_u32_e32 v45, v45, v49
	v_cmp_lt_u32_e64 s[4:5], 7, v48
	s_nop 0
	v_mov_b32_dpp v49, v45 row_shr:4 row_mask:0xf bank_mask:0xf
	v_cndmask_b32_e64 v49, 0, v49, s[2:3]
	v_add_u32_e32 v45, v45, v49
	s_nop 1
	v_mov_b32_dpp v49, v45 row_shr:8 row_mask:0xf bank_mask:0xf
	v_cndmask_b32_e64 v48, 0, v49, s[4:5]
	v_add_u32_e32 v45, v45, v48
	v_bfe_i32 v49, v22, 4, 1
	s_nop 0
	v_mov_b32_dpp v48, v45 row_bcast:15 row_mask:0xf bank_mask:0xf
	v_and_b32_e32 v48, v49, v48
	v_add_u32_e32 v45, v45, v48
	v_lshrrev_b32_e32 v49, 6, v2
	s_nop 0
	v_mov_b32_dpp v48, v45 row_bcast:31 row_mask:0xf bank_mask:0xf
	v_cndmask_b32_e64 v48, 0, v48, s[8:9]
	v_add_u32_e32 v48, v45, v48
	v_and_b32_e32 v45, 63, v2
	v_cmp_eq_u32_e64 s[8:9], 63, v45
	s_and_saveexec_b64 s[18:19], s[8:9]
	s_cbranch_execz .LBB1573_81
; %bb.80:
	v_lshlrev_b32_e32 v45, 2, v49
	ds_write_b32 v45, v48
.LBB1573_81:
	s_or_b64 exec, exec, s[18:19]
	v_cmp_gt_u32_e64 s[8:9], 16, v2
	v_lshlrev_b32_e32 v45, 2, v2
	s_waitcnt lgkmcnt(0)
	s_barrier
	s_and_saveexec_b64 s[18:19], s[8:9]
	s_cbranch_execz .LBB1573_83
; %bb.82:
	ds_read_b32 v50, v45
	s_waitcnt lgkmcnt(0)
	s_nop 0
	v_mov_b32_dpp v51, v50 row_shr:1 row_mask:0xf bank_mask:0xf
	v_cndmask_b32_e64 v51, v51, 0, vcc
	v_add_u32_e32 v50, v51, v50
	s_nop 1
	v_mov_b32_dpp v51, v50 row_shr:2 row_mask:0xf bank_mask:0xf
	v_cndmask_b32_e64 v51, 0, v51, s[0:1]
	v_add_u32_e32 v50, v50, v51
	s_nop 1
	v_mov_b32_dpp v51, v50 row_shr:4 row_mask:0xf bank_mask:0xf
	v_cndmask_b32_e64 v51, 0, v51, s[2:3]
	;; [unrolled: 4-line block ×3, first 2 shown]
	v_add_u32_e32 v50, v50, v51
	ds_write_b32 v45, v50
.LBB1573_83:
	s_or_b64 exec, exec, s[18:19]
	v_cmp_lt_u32_e32 vcc, 63, v2
	v_mov_b32_e32 v50, 0
	s_waitcnt lgkmcnt(0)
	s_barrier
	s_and_saveexec_b64 s[0:1], vcc
	s_cbranch_execz .LBB1573_85
; %bb.84:
	v_lshl_add_u32 v49, v49, 2, -4
	ds_read_b32 v50, v49
.LBB1573_85:
	s_or_b64 exec, exec, s[0:1]
	v_add_u32_e32 v49, -1, v22
	v_and_b32_e32 v51, 64, v22
	v_cmp_lt_i32_e32 vcc, v49, v51
	v_cndmask_b32_e32 v49, v49, v22, vcc
	s_waitcnt lgkmcnt(0)
	v_add_u32_e32 v48, v50, v48
	v_lshlrev_b32_e32 v49, 2, v49
	ds_bpermute_b32 v48, v49, v48
	v_cmp_eq_u32_e32 vcc, 0, v22
	s_movk_i32 s0, 0x100
	s_waitcnt lgkmcnt(0)
	v_cndmask_b32_e32 v22, v48, v50, vcc
	v_cmp_ne_u32_e32 vcc, 0, v2
	v_cndmask_b32_e32 v22, 0, v22, vcc
	v_add_u32_e32 v20, v22, v20
	v_add_u32_e32 v21, v20, v21
	;; [unrolled: 1-line block ×4, first 2 shown]
	ds_write2_b32 v23, v22, v20 offset0:16 offset1:17
	ds_write2_b32 v47, v21, v18 offset0:2 offset1:3
	ds_write_b32 v47, v19 offset:16
	s_waitcnt lgkmcnt(0)
	s_barrier
	ds_read_b32 v48, v25 offset:64
	ds_read_b32 v47, v28 offset:64
	;; [unrolled: 1-line block ×8, first 2 shown]
	v_cmp_gt_u32_e32 vcc, s0, v2
                                        ; implicit-def: $vgpr25
                                        ; implicit-def: $vgpr28
	s_and_saveexec_b64 s[2:3], vcc
	s_cbranch_execz .LBB1573_89
; %bb.86:
	v_mul_u32_u24_e32 v18, 17, v2
	v_lshlrev_b32_e32 v19, 2, v18
	ds_read_b32 v25, v19 offset:64
	s_movk_i32 s0, 0xff
	v_cmp_ne_u32_e64 s[0:1], s0, v2
	v_mov_b32_e32 v18, 0x2000
	s_and_saveexec_b64 s[4:5], s[0:1]
	s_cbranch_execz .LBB1573_88
; %bb.87:
	ds_read_b32 v18, v19 offset:132
.LBB1573_88:
	s_or_b64 exec, exec, s[4:5]
	s_waitcnt lgkmcnt(0)
	v_sub_u32_e32 v28, v18, v25
.LBB1573_89:
	s_or_b64 exec, exec, s[2:3]
	s_waitcnt lgkmcnt(0)
	s_barrier
	s_and_saveexec_b64 s[2:3], vcc
	s_cbranch_execz .LBB1573_99
; %bb.90:
	v_lshl_or_b32 v18, s6, 8, v2
	v_mov_b32_e32 v19, 0
	v_lshlrev_b64 v[20:21], 2, v[18:19]
	v_mov_b32_e32 v49, s25
	v_add_co_u32_e64 v20, s[0:1], s24, v20
	v_addc_co_u32_e64 v21, s[0:1], v49, v21, s[0:1]
	v_or_b32_e32 v18, 2.0, v28
	s_mov_b64 s[4:5], 0
	s_brev_b32 s20, 1
	s_mov_b32 s21, s6
	v_mov_b32_e32 v50, 0
	global_store_dword v[20:21], v18, off
                                        ; implicit-def: $sgpr0_sgpr1
	s_branch .LBB1573_93
.LBB1573_91:                            ;   in Loop: Header=BB1573_93 Depth=1
	s_or_b64 exec, exec, s[18:19]
.LBB1573_92:                            ;   in Loop: Header=BB1573_93 Depth=1
	s_or_b64 exec, exec, s[8:9]
	v_and_b32_e32 v22, 0x3fffffff, v51
	v_add_u32_e32 v50, v22, v50
	v_cmp_eq_u32_e64 s[0:1], s20, v18
	s_and_b64 s[8:9], exec, s[0:1]
	s_or_b64 s[4:5], s[8:9], s[4:5]
	s_andn2_b64 exec, exec, s[4:5]
	s_cbranch_execz .LBB1573_98
.LBB1573_93:                            ; =>This Loop Header: Depth=1
                                        ;     Child Loop BB1573_96 Depth 2
	s_or_b64 s[0:1], s[0:1], exec
	s_cmp_eq_u32 s21, 0
	s_cbranch_scc1 .LBB1573_97
; %bb.94:                               ;   in Loop: Header=BB1573_93 Depth=1
	s_add_i32 s21, s21, -1
	v_lshl_or_b32 v18, s21, 8, v2
	v_lshlrev_b64 v[22:23], 2, v[18:19]
	v_add_co_u32_e64 v22, s[0:1], s24, v22
	v_addc_co_u32_e64 v23, s[0:1], v49, v23, s[0:1]
	global_load_dword v51, v[22:23], off glc
	s_waitcnt vmcnt(0)
	v_and_b32_e32 v18, -2.0, v51
	v_cmp_eq_u32_e64 s[0:1], 0, v18
	s_and_saveexec_b64 s[8:9], s[0:1]
	s_cbranch_execz .LBB1573_92
; %bb.95:                               ;   in Loop: Header=BB1573_93 Depth=1
	s_mov_b64 s[18:19], 0
.LBB1573_96:                            ;   Parent Loop BB1573_93 Depth=1
                                        ; =>  This Inner Loop Header: Depth=2
	global_load_dword v51, v[22:23], off glc
	s_waitcnt vmcnt(0)
	v_and_b32_e32 v18, -2.0, v51
	v_cmp_ne_u32_e64 s[0:1], 0, v18
	s_or_b64 s[18:19], s[0:1], s[18:19]
	s_andn2_b64 exec, exec, s[18:19]
	s_cbranch_execnz .LBB1573_96
	s_branch .LBB1573_91
.LBB1573_97:                            ;   in Loop: Header=BB1573_93 Depth=1
                                        ; implicit-def: $sgpr21
	s_and_b64 s[8:9], exec, s[0:1]
	s_or_b64 s[4:5], s[8:9], s[4:5]
	s_andn2_b64 exec, exec, s[4:5]
	s_cbranch_execnz .LBB1573_93
.LBB1573_98:
	s_or_b64 exec, exec, s[4:5]
	v_add_u32_e32 v18, v50, v28
	v_or_b32_e32 v18, 0x80000000, v18
	global_store_dword v[20:21], v18, off
	global_load_dword v18, v45, s[12:13]
	v_sub_u32_e32 v19, v50, v25
	s_waitcnt vmcnt(0)
	v_add_u32_e32 v18, v19, v18
	ds_write_b32 v45, v18
.LBB1573_99:
	s_or_b64 exec, exec, s[2:3]
	v_lshlrev_b32_e32 v20, 3, v2
	v_add_u32_e32 v3, v48, v3
	s_movk_i32 s2, 0x400
	v_add_u32_e32 v21, 0x400, v20
	v_add3_u32 v22, v44, v46, v31
	v_add3_u32 v23, v42, v43, v40
	;; [unrolled: 1-line block ×7, first 2 shown]
	s_mov_b32 s3, 0
	v_mov_b32_e32 v26, s23
	v_mov_b32_e32 v19, 0
	v_mov_b32_e32 v29, v2
.LBB1573_100:                           ; =>This Inner Loop Header: Depth=1
	v_add_u32_e32 v18, s3, v3
	v_add_u32_e32 v32, s3, v24
	;; [unrolled: 1-line block ×8, first 2 shown]
	v_min_u32_e32 v18, 0x800, v18
	v_min_u32_e32 v32, 0x800, v32
	;; [unrolled: 1-line block ×8, first 2 shown]
	v_lshlrev_b32_e32 v18, 3, v18
	v_lshlrev_b32_e32 v32, 3, v32
	;; [unrolled: 1-line block ×8, first 2 shown]
	ds_write_b64 v18, v[4:5] offset:1024
	ds_write_b64 v32, v[0:1] offset:1024
	;; [unrolled: 1-line block ×8, first 2 shown]
	s_waitcnt lgkmcnt(0)
	s_barrier
	ds_read_b64 v[32:33], v20 offset:1024
	ds_read_b64 v[36:37], v21 offset:8192
	s_addk_i32 s3, 0xf800
	s_cmpk_lg_i32 s3, 0xe000
	s_waitcnt lgkmcnt(1)
	v_lshrrev_b64 v[38:39], s16, v[32:33]
	s_waitcnt lgkmcnt(0)
	v_lshrrev_b64 v[40:41], s16, v[36:37]
	v_and_b32_e32 v18, s17, v38
	v_and_b32_e32 v35, s17, v40
	v_lshlrev_b32_e32 v18, 2, v18
	v_lshlrev_b32_e32 v35, 2, v35
	ds_read_b32 v18, v18
	ds_read_b32 v35, v35
	v_xor_b32_e32 v33, 0x80000000, v33
	v_xor_b32_e32 v37, 0x80000000, v37
	s_waitcnt lgkmcnt(1)
	v_add_u32_e32 v18, v29, v18
	v_lshlrev_b64 v[38:39], 3, v[18:19]
	s_waitcnt lgkmcnt(0)
	v_add3_u32 v18, v29, v35, s2
	v_add_co_u32_e64 v38, s[0:1], s22, v38
	v_addc_co_u32_e64 v39, s[0:1], v26, v39, s[0:1]
	v_lshlrev_b64 v[40:41], 3, v[18:19]
	global_store_dwordx2 v[38:39], v[32:33], off
	v_add_co_u32_e64 v32, s[0:1], s22, v40
	v_add_u32_e32 v29, 0x800, v29
	v_addc_co_u32_e64 v33, s[0:1], v26, v41, s[0:1]
	global_store_dwordx2 v[32:33], v[36:37], off
	s_barrier
	s_cbranch_scc1 .LBB1573_100
; %bb.101:
	s_add_i32 s7, s7, -1
	s_cmp_eq_u32 s7, s6
	s_cselect_b64 s[0:1], -1, 0
	s_and_b64 s[2:3], vcc, s[0:1]
                                        ; implicit-def: $vgpr4
	s_and_saveexec_b64 s[0:1], s[2:3]
; %bb.102:
	v_add_u32_e32 v4, v25, v28
	s_or_b64 s[10:11], s[10:11], exec
; %bb.103:
	s_or_b64 exec, exec, s[0:1]
.LBB1573_104:
	s_and_saveexec_b64 s[0:1], s[10:11]
	s_cbranch_execnz .LBB1573_106
; %bb.105:
	s_endpgm
.LBB1573_106:
	v_mov_b32_e32 v3, 0
	v_lshlrev_b32_e32 v5, 2, v2
	v_lshlrev_b64 v[0:1], 2, v[2:3]
	ds_read_b32 v3, v5
	v_mov_b32_e32 v2, s15
	v_add_co_u32_e32 v0, vcc, s14, v0
	v_addc_co_u32_e32 v1, vcc, v2, v1, vcc
	s_waitcnt lgkmcnt(0)
	v_add_u32_e32 v2, v3, v4
	global_store_dword v[0:1], v2, off
	s_endpgm
	.section	.rodata,"a",@progbits
	.p2align	6, 0x0
	.amdhsa_kernel _ZN7rocprim17ROCPRIM_400000_NS6detail17trampoline_kernelINS0_14default_configENS1_35radix_sort_onesweep_config_selectorIxNS0_10empty_typeEEEZZNS1_29radix_sort_onesweep_iterationIS3_Lb0EN6thrust23THRUST_200600_302600_NS6detail15normal_iteratorINS9_10device_ptrIxEEEESE_PS5_SF_jNS0_19identity_decomposerENS1_16block_id_wrapperIjLb0EEEEE10hipError_tT1_PNSt15iterator_traitsISK_E10value_typeET2_T3_PNSL_ISQ_E10value_typeET4_T5_PSV_SW_PNS1_23onesweep_lookback_stateEbbT6_jjT7_P12ihipStream_tbENKUlT_T0_SK_SP_E_clISE_SE_SF_SF_EEDaS13_S14_SK_SP_EUlS13_E_NS1_11comp_targetILNS1_3genE4ELNS1_11target_archE910ELNS1_3gpuE8ELNS1_3repE0EEENS1_47radix_sort_onesweep_sort_config_static_selectorELNS0_4arch9wavefront6targetE1EEEvSK_
		.amdhsa_group_segment_fixed_size 20552
		.amdhsa_private_segment_fixed_size 0
		.amdhsa_kernarg_size 344
		.amdhsa_user_sgpr_count 6
		.amdhsa_user_sgpr_private_segment_buffer 1
		.amdhsa_user_sgpr_dispatch_ptr 0
		.amdhsa_user_sgpr_queue_ptr 0
		.amdhsa_user_sgpr_kernarg_segment_ptr 1
		.amdhsa_user_sgpr_dispatch_id 0
		.amdhsa_user_sgpr_flat_scratch_init 0
		.amdhsa_user_sgpr_kernarg_preload_length 0
		.amdhsa_user_sgpr_kernarg_preload_offset 0
		.amdhsa_user_sgpr_private_segment_size 0
		.amdhsa_uses_dynamic_stack 0
		.amdhsa_system_sgpr_private_segment_wavefront_offset 0
		.amdhsa_system_sgpr_workgroup_id_x 1
		.amdhsa_system_sgpr_workgroup_id_y 0
		.amdhsa_system_sgpr_workgroup_id_z 0
		.amdhsa_system_sgpr_workgroup_info 0
		.amdhsa_system_vgpr_workitem_id 2
		.amdhsa_next_free_vgpr 55
		.amdhsa_next_free_sgpr 30
		.amdhsa_accum_offset 56
		.amdhsa_reserve_vcc 1
		.amdhsa_reserve_flat_scratch 0
		.amdhsa_float_round_mode_32 0
		.amdhsa_float_round_mode_16_64 0
		.amdhsa_float_denorm_mode_32 3
		.amdhsa_float_denorm_mode_16_64 3
		.amdhsa_dx10_clamp 1
		.amdhsa_ieee_mode 1
		.amdhsa_fp16_overflow 0
		.amdhsa_tg_split 0
		.amdhsa_exception_fp_ieee_invalid_op 0
		.amdhsa_exception_fp_denorm_src 0
		.amdhsa_exception_fp_ieee_div_zero 0
		.amdhsa_exception_fp_ieee_overflow 0
		.amdhsa_exception_fp_ieee_underflow 0
		.amdhsa_exception_fp_ieee_inexact 0
		.amdhsa_exception_int_div_zero 0
	.end_amdhsa_kernel
	.section	.text._ZN7rocprim17ROCPRIM_400000_NS6detail17trampoline_kernelINS0_14default_configENS1_35radix_sort_onesweep_config_selectorIxNS0_10empty_typeEEEZZNS1_29radix_sort_onesweep_iterationIS3_Lb0EN6thrust23THRUST_200600_302600_NS6detail15normal_iteratorINS9_10device_ptrIxEEEESE_PS5_SF_jNS0_19identity_decomposerENS1_16block_id_wrapperIjLb0EEEEE10hipError_tT1_PNSt15iterator_traitsISK_E10value_typeET2_T3_PNSL_ISQ_E10value_typeET4_T5_PSV_SW_PNS1_23onesweep_lookback_stateEbbT6_jjT7_P12ihipStream_tbENKUlT_T0_SK_SP_E_clISE_SE_SF_SF_EEDaS13_S14_SK_SP_EUlS13_E_NS1_11comp_targetILNS1_3genE4ELNS1_11target_archE910ELNS1_3gpuE8ELNS1_3repE0EEENS1_47radix_sort_onesweep_sort_config_static_selectorELNS0_4arch9wavefront6targetE1EEEvSK_,"axG",@progbits,_ZN7rocprim17ROCPRIM_400000_NS6detail17trampoline_kernelINS0_14default_configENS1_35radix_sort_onesweep_config_selectorIxNS0_10empty_typeEEEZZNS1_29radix_sort_onesweep_iterationIS3_Lb0EN6thrust23THRUST_200600_302600_NS6detail15normal_iteratorINS9_10device_ptrIxEEEESE_PS5_SF_jNS0_19identity_decomposerENS1_16block_id_wrapperIjLb0EEEEE10hipError_tT1_PNSt15iterator_traitsISK_E10value_typeET2_T3_PNSL_ISQ_E10value_typeET4_T5_PSV_SW_PNS1_23onesweep_lookback_stateEbbT6_jjT7_P12ihipStream_tbENKUlT_T0_SK_SP_E_clISE_SE_SF_SF_EEDaS13_S14_SK_SP_EUlS13_E_NS1_11comp_targetILNS1_3genE4ELNS1_11target_archE910ELNS1_3gpuE8ELNS1_3repE0EEENS1_47radix_sort_onesweep_sort_config_static_selectorELNS0_4arch9wavefront6targetE1EEEvSK_,comdat
.Lfunc_end1573:
	.size	_ZN7rocprim17ROCPRIM_400000_NS6detail17trampoline_kernelINS0_14default_configENS1_35radix_sort_onesweep_config_selectorIxNS0_10empty_typeEEEZZNS1_29radix_sort_onesweep_iterationIS3_Lb0EN6thrust23THRUST_200600_302600_NS6detail15normal_iteratorINS9_10device_ptrIxEEEESE_PS5_SF_jNS0_19identity_decomposerENS1_16block_id_wrapperIjLb0EEEEE10hipError_tT1_PNSt15iterator_traitsISK_E10value_typeET2_T3_PNSL_ISQ_E10value_typeET4_T5_PSV_SW_PNS1_23onesweep_lookback_stateEbbT6_jjT7_P12ihipStream_tbENKUlT_T0_SK_SP_E_clISE_SE_SF_SF_EEDaS13_S14_SK_SP_EUlS13_E_NS1_11comp_targetILNS1_3genE4ELNS1_11target_archE910ELNS1_3gpuE8ELNS1_3repE0EEENS1_47radix_sort_onesweep_sort_config_static_selectorELNS0_4arch9wavefront6targetE1EEEvSK_, .Lfunc_end1573-_ZN7rocprim17ROCPRIM_400000_NS6detail17trampoline_kernelINS0_14default_configENS1_35radix_sort_onesweep_config_selectorIxNS0_10empty_typeEEEZZNS1_29radix_sort_onesweep_iterationIS3_Lb0EN6thrust23THRUST_200600_302600_NS6detail15normal_iteratorINS9_10device_ptrIxEEEESE_PS5_SF_jNS0_19identity_decomposerENS1_16block_id_wrapperIjLb0EEEEE10hipError_tT1_PNSt15iterator_traitsISK_E10value_typeET2_T3_PNSL_ISQ_E10value_typeET4_T5_PSV_SW_PNS1_23onesweep_lookback_stateEbbT6_jjT7_P12ihipStream_tbENKUlT_T0_SK_SP_E_clISE_SE_SF_SF_EEDaS13_S14_SK_SP_EUlS13_E_NS1_11comp_targetILNS1_3genE4ELNS1_11target_archE910ELNS1_3gpuE8ELNS1_3repE0EEENS1_47radix_sort_onesweep_sort_config_static_selectorELNS0_4arch9wavefront6targetE1EEEvSK_
                                        ; -- End function
	.section	.AMDGPU.csdata,"",@progbits
; Kernel info:
; codeLenInByte = 10380
; NumSgprs: 34
; NumVgprs: 55
; NumAgprs: 0
; TotalNumVgprs: 55
; ScratchSize: 0
; MemoryBound: 0
; FloatMode: 240
; IeeeMode: 1
; LDSByteSize: 20552 bytes/workgroup (compile time only)
; SGPRBlocks: 4
; VGPRBlocks: 6
; NumSGPRsForWavesPerEU: 34
; NumVGPRsForWavesPerEU: 55
; AccumOffset: 56
; Occupancy: 8
; WaveLimiterHint : 1
; COMPUTE_PGM_RSRC2:SCRATCH_EN: 0
; COMPUTE_PGM_RSRC2:USER_SGPR: 6
; COMPUTE_PGM_RSRC2:TRAP_HANDLER: 0
; COMPUTE_PGM_RSRC2:TGID_X_EN: 1
; COMPUTE_PGM_RSRC2:TGID_Y_EN: 0
; COMPUTE_PGM_RSRC2:TGID_Z_EN: 0
; COMPUTE_PGM_RSRC2:TIDIG_COMP_CNT: 2
; COMPUTE_PGM_RSRC3_GFX90A:ACCUM_OFFSET: 13
; COMPUTE_PGM_RSRC3_GFX90A:TG_SPLIT: 0
	.section	.text._ZN7rocprim17ROCPRIM_400000_NS6detail17trampoline_kernelINS0_14default_configENS1_35radix_sort_onesweep_config_selectorIxNS0_10empty_typeEEEZZNS1_29radix_sort_onesweep_iterationIS3_Lb0EN6thrust23THRUST_200600_302600_NS6detail15normal_iteratorINS9_10device_ptrIxEEEESE_PS5_SF_jNS0_19identity_decomposerENS1_16block_id_wrapperIjLb0EEEEE10hipError_tT1_PNSt15iterator_traitsISK_E10value_typeET2_T3_PNSL_ISQ_E10value_typeET4_T5_PSV_SW_PNS1_23onesweep_lookback_stateEbbT6_jjT7_P12ihipStream_tbENKUlT_T0_SK_SP_E_clISE_SE_SF_SF_EEDaS13_S14_SK_SP_EUlS13_E_NS1_11comp_targetILNS1_3genE3ELNS1_11target_archE908ELNS1_3gpuE7ELNS1_3repE0EEENS1_47radix_sort_onesweep_sort_config_static_selectorELNS0_4arch9wavefront6targetE1EEEvSK_,"axG",@progbits,_ZN7rocprim17ROCPRIM_400000_NS6detail17trampoline_kernelINS0_14default_configENS1_35radix_sort_onesweep_config_selectorIxNS0_10empty_typeEEEZZNS1_29radix_sort_onesweep_iterationIS3_Lb0EN6thrust23THRUST_200600_302600_NS6detail15normal_iteratorINS9_10device_ptrIxEEEESE_PS5_SF_jNS0_19identity_decomposerENS1_16block_id_wrapperIjLb0EEEEE10hipError_tT1_PNSt15iterator_traitsISK_E10value_typeET2_T3_PNSL_ISQ_E10value_typeET4_T5_PSV_SW_PNS1_23onesweep_lookback_stateEbbT6_jjT7_P12ihipStream_tbENKUlT_T0_SK_SP_E_clISE_SE_SF_SF_EEDaS13_S14_SK_SP_EUlS13_E_NS1_11comp_targetILNS1_3genE3ELNS1_11target_archE908ELNS1_3gpuE7ELNS1_3repE0EEENS1_47radix_sort_onesweep_sort_config_static_selectorELNS0_4arch9wavefront6targetE1EEEvSK_,comdat
	.protected	_ZN7rocprim17ROCPRIM_400000_NS6detail17trampoline_kernelINS0_14default_configENS1_35radix_sort_onesweep_config_selectorIxNS0_10empty_typeEEEZZNS1_29radix_sort_onesweep_iterationIS3_Lb0EN6thrust23THRUST_200600_302600_NS6detail15normal_iteratorINS9_10device_ptrIxEEEESE_PS5_SF_jNS0_19identity_decomposerENS1_16block_id_wrapperIjLb0EEEEE10hipError_tT1_PNSt15iterator_traitsISK_E10value_typeET2_T3_PNSL_ISQ_E10value_typeET4_T5_PSV_SW_PNS1_23onesweep_lookback_stateEbbT6_jjT7_P12ihipStream_tbENKUlT_T0_SK_SP_E_clISE_SE_SF_SF_EEDaS13_S14_SK_SP_EUlS13_E_NS1_11comp_targetILNS1_3genE3ELNS1_11target_archE908ELNS1_3gpuE7ELNS1_3repE0EEENS1_47radix_sort_onesweep_sort_config_static_selectorELNS0_4arch9wavefront6targetE1EEEvSK_ ; -- Begin function _ZN7rocprim17ROCPRIM_400000_NS6detail17trampoline_kernelINS0_14default_configENS1_35radix_sort_onesweep_config_selectorIxNS0_10empty_typeEEEZZNS1_29radix_sort_onesweep_iterationIS3_Lb0EN6thrust23THRUST_200600_302600_NS6detail15normal_iteratorINS9_10device_ptrIxEEEESE_PS5_SF_jNS0_19identity_decomposerENS1_16block_id_wrapperIjLb0EEEEE10hipError_tT1_PNSt15iterator_traitsISK_E10value_typeET2_T3_PNSL_ISQ_E10value_typeET4_T5_PSV_SW_PNS1_23onesweep_lookback_stateEbbT6_jjT7_P12ihipStream_tbENKUlT_T0_SK_SP_E_clISE_SE_SF_SF_EEDaS13_S14_SK_SP_EUlS13_E_NS1_11comp_targetILNS1_3genE3ELNS1_11target_archE908ELNS1_3gpuE7ELNS1_3repE0EEENS1_47radix_sort_onesweep_sort_config_static_selectorELNS0_4arch9wavefront6targetE1EEEvSK_
	.globl	_ZN7rocprim17ROCPRIM_400000_NS6detail17trampoline_kernelINS0_14default_configENS1_35radix_sort_onesweep_config_selectorIxNS0_10empty_typeEEEZZNS1_29radix_sort_onesweep_iterationIS3_Lb0EN6thrust23THRUST_200600_302600_NS6detail15normal_iteratorINS9_10device_ptrIxEEEESE_PS5_SF_jNS0_19identity_decomposerENS1_16block_id_wrapperIjLb0EEEEE10hipError_tT1_PNSt15iterator_traitsISK_E10value_typeET2_T3_PNSL_ISQ_E10value_typeET4_T5_PSV_SW_PNS1_23onesweep_lookback_stateEbbT6_jjT7_P12ihipStream_tbENKUlT_T0_SK_SP_E_clISE_SE_SF_SF_EEDaS13_S14_SK_SP_EUlS13_E_NS1_11comp_targetILNS1_3genE3ELNS1_11target_archE908ELNS1_3gpuE7ELNS1_3repE0EEENS1_47radix_sort_onesweep_sort_config_static_selectorELNS0_4arch9wavefront6targetE1EEEvSK_
	.p2align	8
	.type	_ZN7rocprim17ROCPRIM_400000_NS6detail17trampoline_kernelINS0_14default_configENS1_35radix_sort_onesweep_config_selectorIxNS0_10empty_typeEEEZZNS1_29radix_sort_onesweep_iterationIS3_Lb0EN6thrust23THRUST_200600_302600_NS6detail15normal_iteratorINS9_10device_ptrIxEEEESE_PS5_SF_jNS0_19identity_decomposerENS1_16block_id_wrapperIjLb0EEEEE10hipError_tT1_PNSt15iterator_traitsISK_E10value_typeET2_T3_PNSL_ISQ_E10value_typeET4_T5_PSV_SW_PNS1_23onesweep_lookback_stateEbbT6_jjT7_P12ihipStream_tbENKUlT_T0_SK_SP_E_clISE_SE_SF_SF_EEDaS13_S14_SK_SP_EUlS13_E_NS1_11comp_targetILNS1_3genE3ELNS1_11target_archE908ELNS1_3gpuE7ELNS1_3repE0EEENS1_47radix_sort_onesweep_sort_config_static_selectorELNS0_4arch9wavefront6targetE1EEEvSK_,@function
_ZN7rocprim17ROCPRIM_400000_NS6detail17trampoline_kernelINS0_14default_configENS1_35radix_sort_onesweep_config_selectorIxNS0_10empty_typeEEEZZNS1_29radix_sort_onesweep_iterationIS3_Lb0EN6thrust23THRUST_200600_302600_NS6detail15normal_iteratorINS9_10device_ptrIxEEEESE_PS5_SF_jNS0_19identity_decomposerENS1_16block_id_wrapperIjLb0EEEEE10hipError_tT1_PNSt15iterator_traitsISK_E10value_typeET2_T3_PNSL_ISQ_E10value_typeET4_T5_PSV_SW_PNS1_23onesweep_lookback_stateEbbT6_jjT7_P12ihipStream_tbENKUlT_T0_SK_SP_E_clISE_SE_SF_SF_EEDaS13_S14_SK_SP_EUlS13_E_NS1_11comp_targetILNS1_3genE3ELNS1_11target_archE908ELNS1_3gpuE7ELNS1_3repE0EEENS1_47radix_sort_onesweep_sort_config_static_selectorELNS0_4arch9wavefront6targetE1EEEvSK_: ; @_ZN7rocprim17ROCPRIM_400000_NS6detail17trampoline_kernelINS0_14default_configENS1_35radix_sort_onesweep_config_selectorIxNS0_10empty_typeEEEZZNS1_29radix_sort_onesweep_iterationIS3_Lb0EN6thrust23THRUST_200600_302600_NS6detail15normal_iteratorINS9_10device_ptrIxEEEESE_PS5_SF_jNS0_19identity_decomposerENS1_16block_id_wrapperIjLb0EEEEE10hipError_tT1_PNSt15iterator_traitsISK_E10value_typeET2_T3_PNSL_ISQ_E10value_typeET4_T5_PSV_SW_PNS1_23onesweep_lookback_stateEbbT6_jjT7_P12ihipStream_tbENKUlT_T0_SK_SP_E_clISE_SE_SF_SF_EEDaS13_S14_SK_SP_EUlS13_E_NS1_11comp_targetILNS1_3genE3ELNS1_11target_archE908ELNS1_3gpuE7ELNS1_3repE0EEENS1_47radix_sort_onesweep_sort_config_static_selectorELNS0_4arch9wavefront6targetE1EEEvSK_
; %bb.0:
	.section	.rodata,"a",@progbits
	.p2align	6, 0x0
	.amdhsa_kernel _ZN7rocprim17ROCPRIM_400000_NS6detail17trampoline_kernelINS0_14default_configENS1_35radix_sort_onesweep_config_selectorIxNS0_10empty_typeEEEZZNS1_29radix_sort_onesweep_iterationIS3_Lb0EN6thrust23THRUST_200600_302600_NS6detail15normal_iteratorINS9_10device_ptrIxEEEESE_PS5_SF_jNS0_19identity_decomposerENS1_16block_id_wrapperIjLb0EEEEE10hipError_tT1_PNSt15iterator_traitsISK_E10value_typeET2_T3_PNSL_ISQ_E10value_typeET4_T5_PSV_SW_PNS1_23onesweep_lookback_stateEbbT6_jjT7_P12ihipStream_tbENKUlT_T0_SK_SP_E_clISE_SE_SF_SF_EEDaS13_S14_SK_SP_EUlS13_E_NS1_11comp_targetILNS1_3genE3ELNS1_11target_archE908ELNS1_3gpuE7ELNS1_3repE0EEENS1_47radix_sort_onesweep_sort_config_static_selectorELNS0_4arch9wavefront6targetE1EEEvSK_
		.amdhsa_group_segment_fixed_size 0
		.amdhsa_private_segment_fixed_size 0
		.amdhsa_kernarg_size 88
		.amdhsa_user_sgpr_count 6
		.amdhsa_user_sgpr_private_segment_buffer 1
		.amdhsa_user_sgpr_dispatch_ptr 0
		.amdhsa_user_sgpr_queue_ptr 0
		.amdhsa_user_sgpr_kernarg_segment_ptr 1
		.amdhsa_user_sgpr_dispatch_id 0
		.amdhsa_user_sgpr_flat_scratch_init 0
		.amdhsa_user_sgpr_kernarg_preload_length 0
		.amdhsa_user_sgpr_kernarg_preload_offset 0
		.amdhsa_user_sgpr_private_segment_size 0
		.amdhsa_uses_dynamic_stack 0
		.amdhsa_system_sgpr_private_segment_wavefront_offset 0
		.amdhsa_system_sgpr_workgroup_id_x 1
		.amdhsa_system_sgpr_workgroup_id_y 0
		.amdhsa_system_sgpr_workgroup_id_z 0
		.amdhsa_system_sgpr_workgroup_info 0
		.amdhsa_system_vgpr_workitem_id 0
		.amdhsa_next_free_vgpr 1
		.amdhsa_next_free_sgpr 0
		.amdhsa_accum_offset 4
		.amdhsa_reserve_vcc 0
		.amdhsa_reserve_flat_scratch 0
		.amdhsa_float_round_mode_32 0
		.amdhsa_float_round_mode_16_64 0
		.amdhsa_float_denorm_mode_32 3
		.amdhsa_float_denorm_mode_16_64 3
		.amdhsa_dx10_clamp 1
		.amdhsa_ieee_mode 1
		.amdhsa_fp16_overflow 0
		.amdhsa_tg_split 0
		.amdhsa_exception_fp_ieee_invalid_op 0
		.amdhsa_exception_fp_denorm_src 0
		.amdhsa_exception_fp_ieee_div_zero 0
		.amdhsa_exception_fp_ieee_overflow 0
		.amdhsa_exception_fp_ieee_underflow 0
		.amdhsa_exception_fp_ieee_inexact 0
		.amdhsa_exception_int_div_zero 0
	.end_amdhsa_kernel
	.section	.text._ZN7rocprim17ROCPRIM_400000_NS6detail17trampoline_kernelINS0_14default_configENS1_35radix_sort_onesweep_config_selectorIxNS0_10empty_typeEEEZZNS1_29radix_sort_onesweep_iterationIS3_Lb0EN6thrust23THRUST_200600_302600_NS6detail15normal_iteratorINS9_10device_ptrIxEEEESE_PS5_SF_jNS0_19identity_decomposerENS1_16block_id_wrapperIjLb0EEEEE10hipError_tT1_PNSt15iterator_traitsISK_E10value_typeET2_T3_PNSL_ISQ_E10value_typeET4_T5_PSV_SW_PNS1_23onesweep_lookback_stateEbbT6_jjT7_P12ihipStream_tbENKUlT_T0_SK_SP_E_clISE_SE_SF_SF_EEDaS13_S14_SK_SP_EUlS13_E_NS1_11comp_targetILNS1_3genE3ELNS1_11target_archE908ELNS1_3gpuE7ELNS1_3repE0EEENS1_47radix_sort_onesweep_sort_config_static_selectorELNS0_4arch9wavefront6targetE1EEEvSK_,"axG",@progbits,_ZN7rocprim17ROCPRIM_400000_NS6detail17trampoline_kernelINS0_14default_configENS1_35radix_sort_onesweep_config_selectorIxNS0_10empty_typeEEEZZNS1_29radix_sort_onesweep_iterationIS3_Lb0EN6thrust23THRUST_200600_302600_NS6detail15normal_iteratorINS9_10device_ptrIxEEEESE_PS5_SF_jNS0_19identity_decomposerENS1_16block_id_wrapperIjLb0EEEEE10hipError_tT1_PNSt15iterator_traitsISK_E10value_typeET2_T3_PNSL_ISQ_E10value_typeET4_T5_PSV_SW_PNS1_23onesweep_lookback_stateEbbT6_jjT7_P12ihipStream_tbENKUlT_T0_SK_SP_E_clISE_SE_SF_SF_EEDaS13_S14_SK_SP_EUlS13_E_NS1_11comp_targetILNS1_3genE3ELNS1_11target_archE908ELNS1_3gpuE7ELNS1_3repE0EEENS1_47radix_sort_onesweep_sort_config_static_selectorELNS0_4arch9wavefront6targetE1EEEvSK_,comdat
.Lfunc_end1574:
	.size	_ZN7rocprim17ROCPRIM_400000_NS6detail17trampoline_kernelINS0_14default_configENS1_35radix_sort_onesweep_config_selectorIxNS0_10empty_typeEEEZZNS1_29radix_sort_onesweep_iterationIS3_Lb0EN6thrust23THRUST_200600_302600_NS6detail15normal_iteratorINS9_10device_ptrIxEEEESE_PS5_SF_jNS0_19identity_decomposerENS1_16block_id_wrapperIjLb0EEEEE10hipError_tT1_PNSt15iterator_traitsISK_E10value_typeET2_T3_PNSL_ISQ_E10value_typeET4_T5_PSV_SW_PNS1_23onesweep_lookback_stateEbbT6_jjT7_P12ihipStream_tbENKUlT_T0_SK_SP_E_clISE_SE_SF_SF_EEDaS13_S14_SK_SP_EUlS13_E_NS1_11comp_targetILNS1_3genE3ELNS1_11target_archE908ELNS1_3gpuE7ELNS1_3repE0EEENS1_47radix_sort_onesweep_sort_config_static_selectorELNS0_4arch9wavefront6targetE1EEEvSK_, .Lfunc_end1574-_ZN7rocprim17ROCPRIM_400000_NS6detail17trampoline_kernelINS0_14default_configENS1_35radix_sort_onesweep_config_selectorIxNS0_10empty_typeEEEZZNS1_29radix_sort_onesweep_iterationIS3_Lb0EN6thrust23THRUST_200600_302600_NS6detail15normal_iteratorINS9_10device_ptrIxEEEESE_PS5_SF_jNS0_19identity_decomposerENS1_16block_id_wrapperIjLb0EEEEE10hipError_tT1_PNSt15iterator_traitsISK_E10value_typeET2_T3_PNSL_ISQ_E10value_typeET4_T5_PSV_SW_PNS1_23onesweep_lookback_stateEbbT6_jjT7_P12ihipStream_tbENKUlT_T0_SK_SP_E_clISE_SE_SF_SF_EEDaS13_S14_SK_SP_EUlS13_E_NS1_11comp_targetILNS1_3genE3ELNS1_11target_archE908ELNS1_3gpuE7ELNS1_3repE0EEENS1_47radix_sort_onesweep_sort_config_static_selectorELNS0_4arch9wavefront6targetE1EEEvSK_
                                        ; -- End function
	.section	.AMDGPU.csdata,"",@progbits
; Kernel info:
; codeLenInByte = 0
; NumSgprs: 4
; NumVgprs: 0
; NumAgprs: 0
; TotalNumVgprs: 0
; ScratchSize: 0
; MemoryBound: 0
; FloatMode: 240
; IeeeMode: 1
; LDSByteSize: 0 bytes/workgroup (compile time only)
; SGPRBlocks: 0
; VGPRBlocks: 0
; NumSGPRsForWavesPerEU: 4
; NumVGPRsForWavesPerEU: 1
; AccumOffset: 4
; Occupancy: 8
; WaveLimiterHint : 0
; COMPUTE_PGM_RSRC2:SCRATCH_EN: 0
; COMPUTE_PGM_RSRC2:USER_SGPR: 6
; COMPUTE_PGM_RSRC2:TRAP_HANDLER: 0
; COMPUTE_PGM_RSRC2:TGID_X_EN: 1
; COMPUTE_PGM_RSRC2:TGID_Y_EN: 0
; COMPUTE_PGM_RSRC2:TGID_Z_EN: 0
; COMPUTE_PGM_RSRC2:TIDIG_COMP_CNT: 0
; COMPUTE_PGM_RSRC3_GFX90A:ACCUM_OFFSET: 0
; COMPUTE_PGM_RSRC3_GFX90A:TG_SPLIT: 0
	.section	.text._ZN7rocprim17ROCPRIM_400000_NS6detail17trampoline_kernelINS0_14default_configENS1_35radix_sort_onesweep_config_selectorIxNS0_10empty_typeEEEZZNS1_29radix_sort_onesweep_iterationIS3_Lb0EN6thrust23THRUST_200600_302600_NS6detail15normal_iteratorINS9_10device_ptrIxEEEESE_PS5_SF_jNS0_19identity_decomposerENS1_16block_id_wrapperIjLb0EEEEE10hipError_tT1_PNSt15iterator_traitsISK_E10value_typeET2_T3_PNSL_ISQ_E10value_typeET4_T5_PSV_SW_PNS1_23onesweep_lookback_stateEbbT6_jjT7_P12ihipStream_tbENKUlT_T0_SK_SP_E_clISE_SE_SF_SF_EEDaS13_S14_SK_SP_EUlS13_E_NS1_11comp_targetILNS1_3genE10ELNS1_11target_archE1201ELNS1_3gpuE5ELNS1_3repE0EEENS1_47radix_sort_onesweep_sort_config_static_selectorELNS0_4arch9wavefront6targetE1EEEvSK_,"axG",@progbits,_ZN7rocprim17ROCPRIM_400000_NS6detail17trampoline_kernelINS0_14default_configENS1_35radix_sort_onesweep_config_selectorIxNS0_10empty_typeEEEZZNS1_29radix_sort_onesweep_iterationIS3_Lb0EN6thrust23THRUST_200600_302600_NS6detail15normal_iteratorINS9_10device_ptrIxEEEESE_PS5_SF_jNS0_19identity_decomposerENS1_16block_id_wrapperIjLb0EEEEE10hipError_tT1_PNSt15iterator_traitsISK_E10value_typeET2_T3_PNSL_ISQ_E10value_typeET4_T5_PSV_SW_PNS1_23onesweep_lookback_stateEbbT6_jjT7_P12ihipStream_tbENKUlT_T0_SK_SP_E_clISE_SE_SF_SF_EEDaS13_S14_SK_SP_EUlS13_E_NS1_11comp_targetILNS1_3genE10ELNS1_11target_archE1201ELNS1_3gpuE5ELNS1_3repE0EEENS1_47radix_sort_onesweep_sort_config_static_selectorELNS0_4arch9wavefront6targetE1EEEvSK_,comdat
	.protected	_ZN7rocprim17ROCPRIM_400000_NS6detail17trampoline_kernelINS0_14default_configENS1_35radix_sort_onesweep_config_selectorIxNS0_10empty_typeEEEZZNS1_29radix_sort_onesweep_iterationIS3_Lb0EN6thrust23THRUST_200600_302600_NS6detail15normal_iteratorINS9_10device_ptrIxEEEESE_PS5_SF_jNS0_19identity_decomposerENS1_16block_id_wrapperIjLb0EEEEE10hipError_tT1_PNSt15iterator_traitsISK_E10value_typeET2_T3_PNSL_ISQ_E10value_typeET4_T5_PSV_SW_PNS1_23onesweep_lookback_stateEbbT6_jjT7_P12ihipStream_tbENKUlT_T0_SK_SP_E_clISE_SE_SF_SF_EEDaS13_S14_SK_SP_EUlS13_E_NS1_11comp_targetILNS1_3genE10ELNS1_11target_archE1201ELNS1_3gpuE5ELNS1_3repE0EEENS1_47radix_sort_onesweep_sort_config_static_selectorELNS0_4arch9wavefront6targetE1EEEvSK_ ; -- Begin function _ZN7rocprim17ROCPRIM_400000_NS6detail17trampoline_kernelINS0_14default_configENS1_35radix_sort_onesweep_config_selectorIxNS0_10empty_typeEEEZZNS1_29radix_sort_onesweep_iterationIS3_Lb0EN6thrust23THRUST_200600_302600_NS6detail15normal_iteratorINS9_10device_ptrIxEEEESE_PS5_SF_jNS0_19identity_decomposerENS1_16block_id_wrapperIjLb0EEEEE10hipError_tT1_PNSt15iterator_traitsISK_E10value_typeET2_T3_PNSL_ISQ_E10value_typeET4_T5_PSV_SW_PNS1_23onesweep_lookback_stateEbbT6_jjT7_P12ihipStream_tbENKUlT_T0_SK_SP_E_clISE_SE_SF_SF_EEDaS13_S14_SK_SP_EUlS13_E_NS1_11comp_targetILNS1_3genE10ELNS1_11target_archE1201ELNS1_3gpuE5ELNS1_3repE0EEENS1_47radix_sort_onesweep_sort_config_static_selectorELNS0_4arch9wavefront6targetE1EEEvSK_
	.globl	_ZN7rocprim17ROCPRIM_400000_NS6detail17trampoline_kernelINS0_14default_configENS1_35radix_sort_onesweep_config_selectorIxNS0_10empty_typeEEEZZNS1_29radix_sort_onesweep_iterationIS3_Lb0EN6thrust23THRUST_200600_302600_NS6detail15normal_iteratorINS9_10device_ptrIxEEEESE_PS5_SF_jNS0_19identity_decomposerENS1_16block_id_wrapperIjLb0EEEEE10hipError_tT1_PNSt15iterator_traitsISK_E10value_typeET2_T3_PNSL_ISQ_E10value_typeET4_T5_PSV_SW_PNS1_23onesweep_lookback_stateEbbT6_jjT7_P12ihipStream_tbENKUlT_T0_SK_SP_E_clISE_SE_SF_SF_EEDaS13_S14_SK_SP_EUlS13_E_NS1_11comp_targetILNS1_3genE10ELNS1_11target_archE1201ELNS1_3gpuE5ELNS1_3repE0EEENS1_47radix_sort_onesweep_sort_config_static_selectorELNS0_4arch9wavefront6targetE1EEEvSK_
	.p2align	8
	.type	_ZN7rocprim17ROCPRIM_400000_NS6detail17trampoline_kernelINS0_14default_configENS1_35radix_sort_onesweep_config_selectorIxNS0_10empty_typeEEEZZNS1_29radix_sort_onesweep_iterationIS3_Lb0EN6thrust23THRUST_200600_302600_NS6detail15normal_iteratorINS9_10device_ptrIxEEEESE_PS5_SF_jNS0_19identity_decomposerENS1_16block_id_wrapperIjLb0EEEEE10hipError_tT1_PNSt15iterator_traitsISK_E10value_typeET2_T3_PNSL_ISQ_E10value_typeET4_T5_PSV_SW_PNS1_23onesweep_lookback_stateEbbT6_jjT7_P12ihipStream_tbENKUlT_T0_SK_SP_E_clISE_SE_SF_SF_EEDaS13_S14_SK_SP_EUlS13_E_NS1_11comp_targetILNS1_3genE10ELNS1_11target_archE1201ELNS1_3gpuE5ELNS1_3repE0EEENS1_47radix_sort_onesweep_sort_config_static_selectorELNS0_4arch9wavefront6targetE1EEEvSK_,@function
_ZN7rocprim17ROCPRIM_400000_NS6detail17trampoline_kernelINS0_14default_configENS1_35radix_sort_onesweep_config_selectorIxNS0_10empty_typeEEEZZNS1_29radix_sort_onesweep_iterationIS3_Lb0EN6thrust23THRUST_200600_302600_NS6detail15normal_iteratorINS9_10device_ptrIxEEEESE_PS5_SF_jNS0_19identity_decomposerENS1_16block_id_wrapperIjLb0EEEEE10hipError_tT1_PNSt15iterator_traitsISK_E10value_typeET2_T3_PNSL_ISQ_E10value_typeET4_T5_PSV_SW_PNS1_23onesweep_lookback_stateEbbT6_jjT7_P12ihipStream_tbENKUlT_T0_SK_SP_E_clISE_SE_SF_SF_EEDaS13_S14_SK_SP_EUlS13_E_NS1_11comp_targetILNS1_3genE10ELNS1_11target_archE1201ELNS1_3gpuE5ELNS1_3repE0EEENS1_47radix_sort_onesweep_sort_config_static_selectorELNS0_4arch9wavefront6targetE1EEEvSK_: ; @_ZN7rocprim17ROCPRIM_400000_NS6detail17trampoline_kernelINS0_14default_configENS1_35radix_sort_onesweep_config_selectorIxNS0_10empty_typeEEEZZNS1_29radix_sort_onesweep_iterationIS3_Lb0EN6thrust23THRUST_200600_302600_NS6detail15normal_iteratorINS9_10device_ptrIxEEEESE_PS5_SF_jNS0_19identity_decomposerENS1_16block_id_wrapperIjLb0EEEEE10hipError_tT1_PNSt15iterator_traitsISK_E10value_typeET2_T3_PNSL_ISQ_E10value_typeET4_T5_PSV_SW_PNS1_23onesweep_lookback_stateEbbT6_jjT7_P12ihipStream_tbENKUlT_T0_SK_SP_E_clISE_SE_SF_SF_EEDaS13_S14_SK_SP_EUlS13_E_NS1_11comp_targetILNS1_3genE10ELNS1_11target_archE1201ELNS1_3gpuE5ELNS1_3repE0EEENS1_47radix_sort_onesweep_sort_config_static_selectorELNS0_4arch9wavefront6targetE1EEEvSK_
; %bb.0:
	.section	.rodata,"a",@progbits
	.p2align	6, 0x0
	.amdhsa_kernel _ZN7rocprim17ROCPRIM_400000_NS6detail17trampoline_kernelINS0_14default_configENS1_35radix_sort_onesweep_config_selectorIxNS0_10empty_typeEEEZZNS1_29radix_sort_onesweep_iterationIS3_Lb0EN6thrust23THRUST_200600_302600_NS6detail15normal_iteratorINS9_10device_ptrIxEEEESE_PS5_SF_jNS0_19identity_decomposerENS1_16block_id_wrapperIjLb0EEEEE10hipError_tT1_PNSt15iterator_traitsISK_E10value_typeET2_T3_PNSL_ISQ_E10value_typeET4_T5_PSV_SW_PNS1_23onesweep_lookback_stateEbbT6_jjT7_P12ihipStream_tbENKUlT_T0_SK_SP_E_clISE_SE_SF_SF_EEDaS13_S14_SK_SP_EUlS13_E_NS1_11comp_targetILNS1_3genE10ELNS1_11target_archE1201ELNS1_3gpuE5ELNS1_3repE0EEENS1_47radix_sort_onesweep_sort_config_static_selectorELNS0_4arch9wavefront6targetE1EEEvSK_
		.amdhsa_group_segment_fixed_size 0
		.amdhsa_private_segment_fixed_size 0
		.amdhsa_kernarg_size 88
		.amdhsa_user_sgpr_count 6
		.amdhsa_user_sgpr_private_segment_buffer 1
		.amdhsa_user_sgpr_dispatch_ptr 0
		.amdhsa_user_sgpr_queue_ptr 0
		.amdhsa_user_sgpr_kernarg_segment_ptr 1
		.amdhsa_user_sgpr_dispatch_id 0
		.amdhsa_user_sgpr_flat_scratch_init 0
		.amdhsa_user_sgpr_kernarg_preload_length 0
		.amdhsa_user_sgpr_kernarg_preload_offset 0
		.amdhsa_user_sgpr_private_segment_size 0
		.amdhsa_uses_dynamic_stack 0
		.amdhsa_system_sgpr_private_segment_wavefront_offset 0
		.amdhsa_system_sgpr_workgroup_id_x 1
		.amdhsa_system_sgpr_workgroup_id_y 0
		.amdhsa_system_sgpr_workgroup_id_z 0
		.amdhsa_system_sgpr_workgroup_info 0
		.amdhsa_system_vgpr_workitem_id 0
		.amdhsa_next_free_vgpr 1
		.amdhsa_next_free_sgpr 0
		.amdhsa_accum_offset 4
		.amdhsa_reserve_vcc 0
		.amdhsa_reserve_flat_scratch 0
		.amdhsa_float_round_mode_32 0
		.amdhsa_float_round_mode_16_64 0
		.amdhsa_float_denorm_mode_32 3
		.amdhsa_float_denorm_mode_16_64 3
		.amdhsa_dx10_clamp 1
		.amdhsa_ieee_mode 1
		.amdhsa_fp16_overflow 0
		.amdhsa_tg_split 0
		.amdhsa_exception_fp_ieee_invalid_op 0
		.amdhsa_exception_fp_denorm_src 0
		.amdhsa_exception_fp_ieee_div_zero 0
		.amdhsa_exception_fp_ieee_overflow 0
		.amdhsa_exception_fp_ieee_underflow 0
		.amdhsa_exception_fp_ieee_inexact 0
		.amdhsa_exception_int_div_zero 0
	.end_amdhsa_kernel
	.section	.text._ZN7rocprim17ROCPRIM_400000_NS6detail17trampoline_kernelINS0_14default_configENS1_35radix_sort_onesweep_config_selectorIxNS0_10empty_typeEEEZZNS1_29radix_sort_onesweep_iterationIS3_Lb0EN6thrust23THRUST_200600_302600_NS6detail15normal_iteratorINS9_10device_ptrIxEEEESE_PS5_SF_jNS0_19identity_decomposerENS1_16block_id_wrapperIjLb0EEEEE10hipError_tT1_PNSt15iterator_traitsISK_E10value_typeET2_T3_PNSL_ISQ_E10value_typeET4_T5_PSV_SW_PNS1_23onesweep_lookback_stateEbbT6_jjT7_P12ihipStream_tbENKUlT_T0_SK_SP_E_clISE_SE_SF_SF_EEDaS13_S14_SK_SP_EUlS13_E_NS1_11comp_targetILNS1_3genE10ELNS1_11target_archE1201ELNS1_3gpuE5ELNS1_3repE0EEENS1_47radix_sort_onesweep_sort_config_static_selectorELNS0_4arch9wavefront6targetE1EEEvSK_,"axG",@progbits,_ZN7rocprim17ROCPRIM_400000_NS6detail17trampoline_kernelINS0_14default_configENS1_35radix_sort_onesweep_config_selectorIxNS0_10empty_typeEEEZZNS1_29radix_sort_onesweep_iterationIS3_Lb0EN6thrust23THRUST_200600_302600_NS6detail15normal_iteratorINS9_10device_ptrIxEEEESE_PS5_SF_jNS0_19identity_decomposerENS1_16block_id_wrapperIjLb0EEEEE10hipError_tT1_PNSt15iterator_traitsISK_E10value_typeET2_T3_PNSL_ISQ_E10value_typeET4_T5_PSV_SW_PNS1_23onesweep_lookback_stateEbbT6_jjT7_P12ihipStream_tbENKUlT_T0_SK_SP_E_clISE_SE_SF_SF_EEDaS13_S14_SK_SP_EUlS13_E_NS1_11comp_targetILNS1_3genE10ELNS1_11target_archE1201ELNS1_3gpuE5ELNS1_3repE0EEENS1_47radix_sort_onesweep_sort_config_static_selectorELNS0_4arch9wavefront6targetE1EEEvSK_,comdat
.Lfunc_end1575:
	.size	_ZN7rocprim17ROCPRIM_400000_NS6detail17trampoline_kernelINS0_14default_configENS1_35radix_sort_onesweep_config_selectorIxNS0_10empty_typeEEEZZNS1_29radix_sort_onesweep_iterationIS3_Lb0EN6thrust23THRUST_200600_302600_NS6detail15normal_iteratorINS9_10device_ptrIxEEEESE_PS5_SF_jNS0_19identity_decomposerENS1_16block_id_wrapperIjLb0EEEEE10hipError_tT1_PNSt15iterator_traitsISK_E10value_typeET2_T3_PNSL_ISQ_E10value_typeET4_T5_PSV_SW_PNS1_23onesweep_lookback_stateEbbT6_jjT7_P12ihipStream_tbENKUlT_T0_SK_SP_E_clISE_SE_SF_SF_EEDaS13_S14_SK_SP_EUlS13_E_NS1_11comp_targetILNS1_3genE10ELNS1_11target_archE1201ELNS1_3gpuE5ELNS1_3repE0EEENS1_47radix_sort_onesweep_sort_config_static_selectorELNS0_4arch9wavefront6targetE1EEEvSK_, .Lfunc_end1575-_ZN7rocprim17ROCPRIM_400000_NS6detail17trampoline_kernelINS0_14default_configENS1_35radix_sort_onesweep_config_selectorIxNS0_10empty_typeEEEZZNS1_29radix_sort_onesweep_iterationIS3_Lb0EN6thrust23THRUST_200600_302600_NS6detail15normal_iteratorINS9_10device_ptrIxEEEESE_PS5_SF_jNS0_19identity_decomposerENS1_16block_id_wrapperIjLb0EEEEE10hipError_tT1_PNSt15iterator_traitsISK_E10value_typeET2_T3_PNSL_ISQ_E10value_typeET4_T5_PSV_SW_PNS1_23onesweep_lookback_stateEbbT6_jjT7_P12ihipStream_tbENKUlT_T0_SK_SP_E_clISE_SE_SF_SF_EEDaS13_S14_SK_SP_EUlS13_E_NS1_11comp_targetILNS1_3genE10ELNS1_11target_archE1201ELNS1_3gpuE5ELNS1_3repE0EEENS1_47radix_sort_onesweep_sort_config_static_selectorELNS0_4arch9wavefront6targetE1EEEvSK_
                                        ; -- End function
	.section	.AMDGPU.csdata,"",@progbits
; Kernel info:
; codeLenInByte = 0
; NumSgprs: 4
; NumVgprs: 0
; NumAgprs: 0
; TotalNumVgprs: 0
; ScratchSize: 0
; MemoryBound: 0
; FloatMode: 240
; IeeeMode: 1
; LDSByteSize: 0 bytes/workgroup (compile time only)
; SGPRBlocks: 0
; VGPRBlocks: 0
; NumSGPRsForWavesPerEU: 4
; NumVGPRsForWavesPerEU: 1
; AccumOffset: 4
; Occupancy: 8
; WaveLimiterHint : 0
; COMPUTE_PGM_RSRC2:SCRATCH_EN: 0
; COMPUTE_PGM_RSRC2:USER_SGPR: 6
; COMPUTE_PGM_RSRC2:TRAP_HANDLER: 0
; COMPUTE_PGM_RSRC2:TGID_X_EN: 1
; COMPUTE_PGM_RSRC2:TGID_Y_EN: 0
; COMPUTE_PGM_RSRC2:TGID_Z_EN: 0
; COMPUTE_PGM_RSRC2:TIDIG_COMP_CNT: 0
; COMPUTE_PGM_RSRC3_GFX90A:ACCUM_OFFSET: 0
; COMPUTE_PGM_RSRC3_GFX90A:TG_SPLIT: 0
	.section	.text._ZN7rocprim17ROCPRIM_400000_NS6detail17trampoline_kernelINS0_14default_configENS1_35radix_sort_onesweep_config_selectorIxNS0_10empty_typeEEEZZNS1_29radix_sort_onesweep_iterationIS3_Lb0EN6thrust23THRUST_200600_302600_NS6detail15normal_iteratorINS9_10device_ptrIxEEEESE_PS5_SF_jNS0_19identity_decomposerENS1_16block_id_wrapperIjLb0EEEEE10hipError_tT1_PNSt15iterator_traitsISK_E10value_typeET2_T3_PNSL_ISQ_E10value_typeET4_T5_PSV_SW_PNS1_23onesweep_lookback_stateEbbT6_jjT7_P12ihipStream_tbENKUlT_T0_SK_SP_E_clISE_SE_SF_SF_EEDaS13_S14_SK_SP_EUlS13_E_NS1_11comp_targetILNS1_3genE9ELNS1_11target_archE1100ELNS1_3gpuE3ELNS1_3repE0EEENS1_47radix_sort_onesweep_sort_config_static_selectorELNS0_4arch9wavefront6targetE1EEEvSK_,"axG",@progbits,_ZN7rocprim17ROCPRIM_400000_NS6detail17trampoline_kernelINS0_14default_configENS1_35radix_sort_onesweep_config_selectorIxNS0_10empty_typeEEEZZNS1_29radix_sort_onesweep_iterationIS3_Lb0EN6thrust23THRUST_200600_302600_NS6detail15normal_iteratorINS9_10device_ptrIxEEEESE_PS5_SF_jNS0_19identity_decomposerENS1_16block_id_wrapperIjLb0EEEEE10hipError_tT1_PNSt15iterator_traitsISK_E10value_typeET2_T3_PNSL_ISQ_E10value_typeET4_T5_PSV_SW_PNS1_23onesweep_lookback_stateEbbT6_jjT7_P12ihipStream_tbENKUlT_T0_SK_SP_E_clISE_SE_SF_SF_EEDaS13_S14_SK_SP_EUlS13_E_NS1_11comp_targetILNS1_3genE9ELNS1_11target_archE1100ELNS1_3gpuE3ELNS1_3repE0EEENS1_47radix_sort_onesweep_sort_config_static_selectorELNS0_4arch9wavefront6targetE1EEEvSK_,comdat
	.protected	_ZN7rocprim17ROCPRIM_400000_NS6detail17trampoline_kernelINS0_14default_configENS1_35radix_sort_onesweep_config_selectorIxNS0_10empty_typeEEEZZNS1_29radix_sort_onesweep_iterationIS3_Lb0EN6thrust23THRUST_200600_302600_NS6detail15normal_iteratorINS9_10device_ptrIxEEEESE_PS5_SF_jNS0_19identity_decomposerENS1_16block_id_wrapperIjLb0EEEEE10hipError_tT1_PNSt15iterator_traitsISK_E10value_typeET2_T3_PNSL_ISQ_E10value_typeET4_T5_PSV_SW_PNS1_23onesweep_lookback_stateEbbT6_jjT7_P12ihipStream_tbENKUlT_T0_SK_SP_E_clISE_SE_SF_SF_EEDaS13_S14_SK_SP_EUlS13_E_NS1_11comp_targetILNS1_3genE9ELNS1_11target_archE1100ELNS1_3gpuE3ELNS1_3repE0EEENS1_47radix_sort_onesweep_sort_config_static_selectorELNS0_4arch9wavefront6targetE1EEEvSK_ ; -- Begin function _ZN7rocprim17ROCPRIM_400000_NS6detail17trampoline_kernelINS0_14default_configENS1_35radix_sort_onesweep_config_selectorIxNS0_10empty_typeEEEZZNS1_29radix_sort_onesweep_iterationIS3_Lb0EN6thrust23THRUST_200600_302600_NS6detail15normal_iteratorINS9_10device_ptrIxEEEESE_PS5_SF_jNS0_19identity_decomposerENS1_16block_id_wrapperIjLb0EEEEE10hipError_tT1_PNSt15iterator_traitsISK_E10value_typeET2_T3_PNSL_ISQ_E10value_typeET4_T5_PSV_SW_PNS1_23onesweep_lookback_stateEbbT6_jjT7_P12ihipStream_tbENKUlT_T0_SK_SP_E_clISE_SE_SF_SF_EEDaS13_S14_SK_SP_EUlS13_E_NS1_11comp_targetILNS1_3genE9ELNS1_11target_archE1100ELNS1_3gpuE3ELNS1_3repE0EEENS1_47radix_sort_onesweep_sort_config_static_selectorELNS0_4arch9wavefront6targetE1EEEvSK_
	.globl	_ZN7rocprim17ROCPRIM_400000_NS6detail17trampoline_kernelINS0_14default_configENS1_35radix_sort_onesweep_config_selectorIxNS0_10empty_typeEEEZZNS1_29radix_sort_onesweep_iterationIS3_Lb0EN6thrust23THRUST_200600_302600_NS6detail15normal_iteratorINS9_10device_ptrIxEEEESE_PS5_SF_jNS0_19identity_decomposerENS1_16block_id_wrapperIjLb0EEEEE10hipError_tT1_PNSt15iterator_traitsISK_E10value_typeET2_T3_PNSL_ISQ_E10value_typeET4_T5_PSV_SW_PNS1_23onesweep_lookback_stateEbbT6_jjT7_P12ihipStream_tbENKUlT_T0_SK_SP_E_clISE_SE_SF_SF_EEDaS13_S14_SK_SP_EUlS13_E_NS1_11comp_targetILNS1_3genE9ELNS1_11target_archE1100ELNS1_3gpuE3ELNS1_3repE0EEENS1_47radix_sort_onesweep_sort_config_static_selectorELNS0_4arch9wavefront6targetE1EEEvSK_
	.p2align	8
	.type	_ZN7rocprim17ROCPRIM_400000_NS6detail17trampoline_kernelINS0_14default_configENS1_35radix_sort_onesweep_config_selectorIxNS0_10empty_typeEEEZZNS1_29radix_sort_onesweep_iterationIS3_Lb0EN6thrust23THRUST_200600_302600_NS6detail15normal_iteratorINS9_10device_ptrIxEEEESE_PS5_SF_jNS0_19identity_decomposerENS1_16block_id_wrapperIjLb0EEEEE10hipError_tT1_PNSt15iterator_traitsISK_E10value_typeET2_T3_PNSL_ISQ_E10value_typeET4_T5_PSV_SW_PNS1_23onesweep_lookback_stateEbbT6_jjT7_P12ihipStream_tbENKUlT_T0_SK_SP_E_clISE_SE_SF_SF_EEDaS13_S14_SK_SP_EUlS13_E_NS1_11comp_targetILNS1_3genE9ELNS1_11target_archE1100ELNS1_3gpuE3ELNS1_3repE0EEENS1_47radix_sort_onesweep_sort_config_static_selectorELNS0_4arch9wavefront6targetE1EEEvSK_,@function
_ZN7rocprim17ROCPRIM_400000_NS6detail17trampoline_kernelINS0_14default_configENS1_35radix_sort_onesweep_config_selectorIxNS0_10empty_typeEEEZZNS1_29radix_sort_onesweep_iterationIS3_Lb0EN6thrust23THRUST_200600_302600_NS6detail15normal_iteratorINS9_10device_ptrIxEEEESE_PS5_SF_jNS0_19identity_decomposerENS1_16block_id_wrapperIjLb0EEEEE10hipError_tT1_PNSt15iterator_traitsISK_E10value_typeET2_T3_PNSL_ISQ_E10value_typeET4_T5_PSV_SW_PNS1_23onesweep_lookback_stateEbbT6_jjT7_P12ihipStream_tbENKUlT_T0_SK_SP_E_clISE_SE_SF_SF_EEDaS13_S14_SK_SP_EUlS13_E_NS1_11comp_targetILNS1_3genE9ELNS1_11target_archE1100ELNS1_3gpuE3ELNS1_3repE0EEENS1_47radix_sort_onesweep_sort_config_static_selectorELNS0_4arch9wavefront6targetE1EEEvSK_: ; @_ZN7rocprim17ROCPRIM_400000_NS6detail17trampoline_kernelINS0_14default_configENS1_35radix_sort_onesweep_config_selectorIxNS0_10empty_typeEEEZZNS1_29radix_sort_onesweep_iterationIS3_Lb0EN6thrust23THRUST_200600_302600_NS6detail15normal_iteratorINS9_10device_ptrIxEEEESE_PS5_SF_jNS0_19identity_decomposerENS1_16block_id_wrapperIjLb0EEEEE10hipError_tT1_PNSt15iterator_traitsISK_E10value_typeET2_T3_PNSL_ISQ_E10value_typeET4_T5_PSV_SW_PNS1_23onesweep_lookback_stateEbbT6_jjT7_P12ihipStream_tbENKUlT_T0_SK_SP_E_clISE_SE_SF_SF_EEDaS13_S14_SK_SP_EUlS13_E_NS1_11comp_targetILNS1_3genE9ELNS1_11target_archE1100ELNS1_3gpuE3ELNS1_3repE0EEENS1_47radix_sort_onesweep_sort_config_static_selectorELNS0_4arch9wavefront6targetE1EEEvSK_
; %bb.0:
	.section	.rodata,"a",@progbits
	.p2align	6, 0x0
	.amdhsa_kernel _ZN7rocprim17ROCPRIM_400000_NS6detail17trampoline_kernelINS0_14default_configENS1_35radix_sort_onesweep_config_selectorIxNS0_10empty_typeEEEZZNS1_29radix_sort_onesweep_iterationIS3_Lb0EN6thrust23THRUST_200600_302600_NS6detail15normal_iteratorINS9_10device_ptrIxEEEESE_PS5_SF_jNS0_19identity_decomposerENS1_16block_id_wrapperIjLb0EEEEE10hipError_tT1_PNSt15iterator_traitsISK_E10value_typeET2_T3_PNSL_ISQ_E10value_typeET4_T5_PSV_SW_PNS1_23onesweep_lookback_stateEbbT6_jjT7_P12ihipStream_tbENKUlT_T0_SK_SP_E_clISE_SE_SF_SF_EEDaS13_S14_SK_SP_EUlS13_E_NS1_11comp_targetILNS1_3genE9ELNS1_11target_archE1100ELNS1_3gpuE3ELNS1_3repE0EEENS1_47radix_sort_onesweep_sort_config_static_selectorELNS0_4arch9wavefront6targetE1EEEvSK_
		.amdhsa_group_segment_fixed_size 0
		.amdhsa_private_segment_fixed_size 0
		.amdhsa_kernarg_size 88
		.amdhsa_user_sgpr_count 6
		.amdhsa_user_sgpr_private_segment_buffer 1
		.amdhsa_user_sgpr_dispatch_ptr 0
		.amdhsa_user_sgpr_queue_ptr 0
		.amdhsa_user_sgpr_kernarg_segment_ptr 1
		.amdhsa_user_sgpr_dispatch_id 0
		.amdhsa_user_sgpr_flat_scratch_init 0
		.amdhsa_user_sgpr_kernarg_preload_length 0
		.amdhsa_user_sgpr_kernarg_preload_offset 0
		.amdhsa_user_sgpr_private_segment_size 0
		.amdhsa_uses_dynamic_stack 0
		.amdhsa_system_sgpr_private_segment_wavefront_offset 0
		.amdhsa_system_sgpr_workgroup_id_x 1
		.amdhsa_system_sgpr_workgroup_id_y 0
		.amdhsa_system_sgpr_workgroup_id_z 0
		.amdhsa_system_sgpr_workgroup_info 0
		.amdhsa_system_vgpr_workitem_id 0
		.amdhsa_next_free_vgpr 1
		.amdhsa_next_free_sgpr 0
		.amdhsa_accum_offset 4
		.amdhsa_reserve_vcc 0
		.amdhsa_reserve_flat_scratch 0
		.amdhsa_float_round_mode_32 0
		.amdhsa_float_round_mode_16_64 0
		.amdhsa_float_denorm_mode_32 3
		.amdhsa_float_denorm_mode_16_64 3
		.amdhsa_dx10_clamp 1
		.amdhsa_ieee_mode 1
		.amdhsa_fp16_overflow 0
		.amdhsa_tg_split 0
		.amdhsa_exception_fp_ieee_invalid_op 0
		.amdhsa_exception_fp_denorm_src 0
		.amdhsa_exception_fp_ieee_div_zero 0
		.amdhsa_exception_fp_ieee_overflow 0
		.amdhsa_exception_fp_ieee_underflow 0
		.amdhsa_exception_fp_ieee_inexact 0
		.amdhsa_exception_int_div_zero 0
	.end_amdhsa_kernel
	.section	.text._ZN7rocprim17ROCPRIM_400000_NS6detail17trampoline_kernelINS0_14default_configENS1_35radix_sort_onesweep_config_selectorIxNS0_10empty_typeEEEZZNS1_29radix_sort_onesweep_iterationIS3_Lb0EN6thrust23THRUST_200600_302600_NS6detail15normal_iteratorINS9_10device_ptrIxEEEESE_PS5_SF_jNS0_19identity_decomposerENS1_16block_id_wrapperIjLb0EEEEE10hipError_tT1_PNSt15iterator_traitsISK_E10value_typeET2_T3_PNSL_ISQ_E10value_typeET4_T5_PSV_SW_PNS1_23onesweep_lookback_stateEbbT6_jjT7_P12ihipStream_tbENKUlT_T0_SK_SP_E_clISE_SE_SF_SF_EEDaS13_S14_SK_SP_EUlS13_E_NS1_11comp_targetILNS1_3genE9ELNS1_11target_archE1100ELNS1_3gpuE3ELNS1_3repE0EEENS1_47radix_sort_onesweep_sort_config_static_selectorELNS0_4arch9wavefront6targetE1EEEvSK_,"axG",@progbits,_ZN7rocprim17ROCPRIM_400000_NS6detail17trampoline_kernelINS0_14default_configENS1_35radix_sort_onesweep_config_selectorIxNS0_10empty_typeEEEZZNS1_29radix_sort_onesweep_iterationIS3_Lb0EN6thrust23THRUST_200600_302600_NS6detail15normal_iteratorINS9_10device_ptrIxEEEESE_PS5_SF_jNS0_19identity_decomposerENS1_16block_id_wrapperIjLb0EEEEE10hipError_tT1_PNSt15iterator_traitsISK_E10value_typeET2_T3_PNSL_ISQ_E10value_typeET4_T5_PSV_SW_PNS1_23onesweep_lookback_stateEbbT6_jjT7_P12ihipStream_tbENKUlT_T0_SK_SP_E_clISE_SE_SF_SF_EEDaS13_S14_SK_SP_EUlS13_E_NS1_11comp_targetILNS1_3genE9ELNS1_11target_archE1100ELNS1_3gpuE3ELNS1_3repE0EEENS1_47radix_sort_onesweep_sort_config_static_selectorELNS0_4arch9wavefront6targetE1EEEvSK_,comdat
.Lfunc_end1576:
	.size	_ZN7rocprim17ROCPRIM_400000_NS6detail17trampoline_kernelINS0_14default_configENS1_35radix_sort_onesweep_config_selectorIxNS0_10empty_typeEEEZZNS1_29radix_sort_onesweep_iterationIS3_Lb0EN6thrust23THRUST_200600_302600_NS6detail15normal_iteratorINS9_10device_ptrIxEEEESE_PS5_SF_jNS0_19identity_decomposerENS1_16block_id_wrapperIjLb0EEEEE10hipError_tT1_PNSt15iterator_traitsISK_E10value_typeET2_T3_PNSL_ISQ_E10value_typeET4_T5_PSV_SW_PNS1_23onesweep_lookback_stateEbbT6_jjT7_P12ihipStream_tbENKUlT_T0_SK_SP_E_clISE_SE_SF_SF_EEDaS13_S14_SK_SP_EUlS13_E_NS1_11comp_targetILNS1_3genE9ELNS1_11target_archE1100ELNS1_3gpuE3ELNS1_3repE0EEENS1_47radix_sort_onesweep_sort_config_static_selectorELNS0_4arch9wavefront6targetE1EEEvSK_, .Lfunc_end1576-_ZN7rocprim17ROCPRIM_400000_NS6detail17trampoline_kernelINS0_14default_configENS1_35radix_sort_onesweep_config_selectorIxNS0_10empty_typeEEEZZNS1_29radix_sort_onesweep_iterationIS3_Lb0EN6thrust23THRUST_200600_302600_NS6detail15normal_iteratorINS9_10device_ptrIxEEEESE_PS5_SF_jNS0_19identity_decomposerENS1_16block_id_wrapperIjLb0EEEEE10hipError_tT1_PNSt15iterator_traitsISK_E10value_typeET2_T3_PNSL_ISQ_E10value_typeET4_T5_PSV_SW_PNS1_23onesweep_lookback_stateEbbT6_jjT7_P12ihipStream_tbENKUlT_T0_SK_SP_E_clISE_SE_SF_SF_EEDaS13_S14_SK_SP_EUlS13_E_NS1_11comp_targetILNS1_3genE9ELNS1_11target_archE1100ELNS1_3gpuE3ELNS1_3repE0EEENS1_47radix_sort_onesweep_sort_config_static_selectorELNS0_4arch9wavefront6targetE1EEEvSK_
                                        ; -- End function
	.section	.AMDGPU.csdata,"",@progbits
; Kernel info:
; codeLenInByte = 0
; NumSgprs: 4
; NumVgprs: 0
; NumAgprs: 0
; TotalNumVgprs: 0
; ScratchSize: 0
; MemoryBound: 0
; FloatMode: 240
; IeeeMode: 1
; LDSByteSize: 0 bytes/workgroup (compile time only)
; SGPRBlocks: 0
; VGPRBlocks: 0
; NumSGPRsForWavesPerEU: 4
; NumVGPRsForWavesPerEU: 1
; AccumOffset: 4
; Occupancy: 8
; WaveLimiterHint : 0
; COMPUTE_PGM_RSRC2:SCRATCH_EN: 0
; COMPUTE_PGM_RSRC2:USER_SGPR: 6
; COMPUTE_PGM_RSRC2:TRAP_HANDLER: 0
; COMPUTE_PGM_RSRC2:TGID_X_EN: 1
; COMPUTE_PGM_RSRC2:TGID_Y_EN: 0
; COMPUTE_PGM_RSRC2:TGID_Z_EN: 0
; COMPUTE_PGM_RSRC2:TIDIG_COMP_CNT: 0
; COMPUTE_PGM_RSRC3_GFX90A:ACCUM_OFFSET: 0
; COMPUTE_PGM_RSRC3_GFX90A:TG_SPLIT: 0
	.section	.text._ZN7rocprim17ROCPRIM_400000_NS6detail17trampoline_kernelINS0_14default_configENS1_35radix_sort_onesweep_config_selectorIxNS0_10empty_typeEEEZZNS1_29radix_sort_onesweep_iterationIS3_Lb0EN6thrust23THRUST_200600_302600_NS6detail15normal_iteratorINS9_10device_ptrIxEEEESE_PS5_SF_jNS0_19identity_decomposerENS1_16block_id_wrapperIjLb0EEEEE10hipError_tT1_PNSt15iterator_traitsISK_E10value_typeET2_T3_PNSL_ISQ_E10value_typeET4_T5_PSV_SW_PNS1_23onesweep_lookback_stateEbbT6_jjT7_P12ihipStream_tbENKUlT_T0_SK_SP_E_clISE_SE_SF_SF_EEDaS13_S14_SK_SP_EUlS13_E_NS1_11comp_targetILNS1_3genE8ELNS1_11target_archE1030ELNS1_3gpuE2ELNS1_3repE0EEENS1_47radix_sort_onesweep_sort_config_static_selectorELNS0_4arch9wavefront6targetE1EEEvSK_,"axG",@progbits,_ZN7rocprim17ROCPRIM_400000_NS6detail17trampoline_kernelINS0_14default_configENS1_35radix_sort_onesweep_config_selectorIxNS0_10empty_typeEEEZZNS1_29radix_sort_onesweep_iterationIS3_Lb0EN6thrust23THRUST_200600_302600_NS6detail15normal_iteratorINS9_10device_ptrIxEEEESE_PS5_SF_jNS0_19identity_decomposerENS1_16block_id_wrapperIjLb0EEEEE10hipError_tT1_PNSt15iterator_traitsISK_E10value_typeET2_T3_PNSL_ISQ_E10value_typeET4_T5_PSV_SW_PNS1_23onesweep_lookback_stateEbbT6_jjT7_P12ihipStream_tbENKUlT_T0_SK_SP_E_clISE_SE_SF_SF_EEDaS13_S14_SK_SP_EUlS13_E_NS1_11comp_targetILNS1_3genE8ELNS1_11target_archE1030ELNS1_3gpuE2ELNS1_3repE0EEENS1_47radix_sort_onesweep_sort_config_static_selectorELNS0_4arch9wavefront6targetE1EEEvSK_,comdat
	.protected	_ZN7rocprim17ROCPRIM_400000_NS6detail17trampoline_kernelINS0_14default_configENS1_35radix_sort_onesweep_config_selectorIxNS0_10empty_typeEEEZZNS1_29radix_sort_onesweep_iterationIS3_Lb0EN6thrust23THRUST_200600_302600_NS6detail15normal_iteratorINS9_10device_ptrIxEEEESE_PS5_SF_jNS0_19identity_decomposerENS1_16block_id_wrapperIjLb0EEEEE10hipError_tT1_PNSt15iterator_traitsISK_E10value_typeET2_T3_PNSL_ISQ_E10value_typeET4_T5_PSV_SW_PNS1_23onesweep_lookback_stateEbbT6_jjT7_P12ihipStream_tbENKUlT_T0_SK_SP_E_clISE_SE_SF_SF_EEDaS13_S14_SK_SP_EUlS13_E_NS1_11comp_targetILNS1_3genE8ELNS1_11target_archE1030ELNS1_3gpuE2ELNS1_3repE0EEENS1_47radix_sort_onesweep_sort_config_static_selectorELNS0_4arch9wavefront6targetE1EEEvSK_ ; -- Begin function _ZN7rocprim17ROCPRIM_400000_NS6detail17trampoline_kernelINS0_14default_configENS1_35radix_sort_onesweep_config_selectorIxNS0_10empty_typeEEEZZNS1_29radix_sort_onesweep_iterationIS3_Lb0EN6thrust23THRUST_200600_302600_NS6detail15normal_iteratorINS9_10device_ptrIxEEEESE_PS5_SF_jNS0_19identity_decomposerENS1_16block_id_wrapperIjLb0EEEEE10hipError_tT1_PNSt15iterator_traitsISK_E10value_typeET2_T3_PNSL_ISQ_E10value_typeET4_T5_PSV_SW_PNS1_23onesweep_lookback_stateEbbT6_jjT7_P12ihipStream_tbENKUlT_T0_SK_SP_E_clISE_SE_SF_SF_EEDaS13_S14_SK_SP_EUlS13_E_NS1_11comp_targetILNS1_3genE8ELNS1_11target_archE1030ELNS1_3gpuE2ELNS1_3repE0EEENS1_47radix_sort_onesweep_sort_config_static_selectorELNS0_4arch9wavefront6targetE1EEEvSK_
	.globl	_ZN7rocprim17ROCPRIM_400000_NS6detail17trampoline_kernelINS0_14default_configENS1_35radix_sort_onesweep_config_selectorIxNS0_10empty_typeEEEZZNS1_29radix_sort_onesweep_iterationIS3_Lb0EN6thrust23THRUST_200600_302600_NS6detail15normal_iteratorINS9_10device_ptrIxEEEESE_PS5_SF_jNS0_19identity_decomposerENS1_16block_id_wrapperIjLb0EEEEE10hipError_tT1_PNSt15iterator_traitsISK_E10value_typeET2_T3_PNSL_ISQ_E10value_typeET4_T5_PSV_SW_PNS1_23onesweep_lookback_stateEbbT6_jjT7_P12ihipStream_tbENKUlT_T0_SK_SP_E_clISE_SE_SF_SF_EEDaS13_S14_SK_SP_EUlS13_E_NS1_11comp_targetILNS1_3genE8ELNS1_11target_archE1030ELNS1_3gpuE2ELNS1_3repE0EEENS1_47radix_sort_onesweep_sort_config_static_selectorELNS0_4arch9wavefront6targetE1EEEvSK_
	.p2align	8
	.type	_ZN7rocprim17ROCPRIM_400000_NS6detail17trampoline_kernelINS0_14default_configENS1_35radix_sort_onesweep_config_selectorIxNS0_10empty_typeEEEZZNS1_29radix_sort_onesweep_iterationIS3_Lb0EN6thrust23THRUST_200600_302600_NS6detail15normal_iteratorINS9_10device_ptrIxEEEESE_PS5_SF_jNS0_19identity_decomposerENS1_16block_id_wrapperIjLb0EEEEE10hipError_tT1_PNSt15iterator_traitsISK_E10value_typeET2_T3_PNSL_ISQ_E10value_typeET4_T5_PSV_SW_PNS1_23onesweep_lookback_stateEbbT6_jjT7_P12ihipStream_tbENKUlT_T0_SK_SP_E_clISE_SE_SF_SF_EEDaS13_S14_SK_SP_EUlS13_E_NS1_11comp_targetILNS1_3genE8ELNS1_11target_archE1030ELNS1_3gpuE2ELNS1_3repE0EEENS1_47radix_sort_onesweep_sort_config_static_selectorELNS0_4arch9wavefront6targetE1EEEvSK_,@function
_ZN7rocprim17ROCPRIM_400000_NS6detail17trampoline_kernelINS0_14default_configENS1_35radix_sort_onesweep_config_selectorIxNS0_10empty_typeEEEZZNS1_29radix_sort_onesweep_iterationIS3_Lb0EN6thrust23THRUST_200600_302600_NS6detail15normal_iteratorINS9_10device_ptrIxEEEESE_PS5_SF_jNS0_19identity_decomposerENS1_16block_id_wrapperIjLb0EEEEE10hipError_tT1_PNSt15iterator_traitsISK_E10value_typeET2_T3_PNSL_ISQ_E10value_typeET4_T5_PSV_SW_PNS1_23onesweep_lookback_stateEbbT6_jjT7_P12ihipStream_tbENKUlT_T0_SK_SP_E_clISE_SE_SF_SF_EEDaS13_S14_SK_SP_EUlS13_E_NS1_11comp_targetILNS1_3genE8ELNS1_11target_archE1030ELNS1_3gpuE2ELNS1_3repE0EEENS1_47radix_sort_onesweep_sort_config_static_selectorELNS0_4arch9wavefront6targetE1EEEvSK_: ; @_ZN7rocprim17ROCPRIM_400000_NS6detail17trampoline_kernelINS0_14default_configENS1_35radix_sort_onesweep_config_selectorIxNS0_10empty_typeEEEZZNS1_29radix_sort_onesweep_iterationIS3_Lb0EN6thrust23THRUST_200600_302600_NS6detail15normal_iteratorINS9_10device_ptrIxEEEESE_PS5_SF_jNS0_19identity_decomposerENS1_16block_id_wrapperIjLb0EEEEE10hipError_tT1_PNSt15iterator_traitsISK_E10value_typeET2_T3_PNSL_ISQ_E10value_typeET4_T5_PSV_SW_PNS1_23onesweep_lookback_stateEbbT6_jjT7_P12ihipStream_tbENKUlT_T0_SK_SP_E_clISE_SE_SF_SF_EEDaS13_S14_SK_SP_EUlS13_E_NS1_11comp_targetILNS1_3genE8ELNS1_11target_archE1030ELNS1_3gpuE2ELNS1_3repE0EEENS1_47radix_sort_onesweep_sort_config_static_selectorELNS0_4arch9wavefront6targetE1EEEvSK_
; %bb.0:
	.section	.rodata,"a",@progbits
	.p2align	6, 0x0
	.amdhsa_kernel _ZN7rocprim17ROCPRIM_400000_NS6detail17trampoline_kernelINS0_14default_configENS1_35radix_sort_onesweep_config_selectorIxNS0_10empty_typeEEEZZNS1_29radix_sort_onesweep_iterationIS3_Lb0EN6thrust23THRUST_200600_302600_NS6detail15normal_iteratorINS9_10device_ptrIxEEEESE_PS5_SF_jNS0_19identity_decomposerENS1_16block_id_wrapperIjLb0EEEEE10hipError_tT1_PNSt15iterator_traitsISK_E10value_typeET2_T3_PNSL_ISQ_E10value_typeET4_T5_PSV_SW_PNS1_23onesweep_lookback_stateEbbT6_jjT7_P12ihipStream_tbENKUlT_T0_SK_SP_E_clISE_SE_SF_SF_EEDaS13_S14_SK_SP_EUlS13_E_NS1_11comp_targetILNS1_3genE8ELNS1_11target_archE1030ELNS1_3gpuE2ELNS1_3repE0EEENS1_47radix_sort_onesweep_sort_config_static_selectorELNS0_4arch9wavefront6targetE1EEEvSK_
		.amdhsa_group_segment_fixed_size 0
		.amdhsa_private_segment_fixed_size 0
		.amdhsa_kernarg_size 88
		.amdhsa_user_sgpr_count 6
		.amdhsa_user_sgpr_private_segment_buffer 1
		.amdhsa_user_sgpr_dispatch_ptr 0
		.amdhsa_user_sgpr_queue_ptr 0
		.amdhsa_user_sgpr_kernarg_segment_ptr 1
		.amdhsa_user_sgpr_dispatch_id 0
		.amdhsa_user_sgpr_flat_scratch_init 0
		.amdhsa_user_sgpr_kernarg_preload_length 0
		.amdhsa_user_sgpr_kernarg_preload_offset 0
		.amdhsa_user_sgpr_private_segment_size 0
		.amdhsa_uses_dynamic_stack 0
		.amdhsa_system_sgpr_private_segment_wavefront_offset 0
		.amdhsa_system_sgpr_workgroup_id_x 1
		.amdhsa_system_sgpr_workgroup_id_y 0
		.amdhsa_system_sgpr_workgroup_id_z 0
		.amdhsa_system_sgpr_workgroup_info 0
		.amdhsa_system_vgpr_workitem_id 0
		.amdhsa_next_free_vgpr 1
		.amdhsa_next_free_sgpr 0
		.amdhsa_accum_offset 4
		.amdhsa_reserve_vcc 0
		.amdhsa_reserve_flat_scratch 0
		.amdhsa_float_round_mode_32 0
		.amdhsa_float_round_mode_16_64 0
		.amdhsa_float_denorm_mode_32 3
		.amdhsa_float_denorm_mode_16_64 3
		.amdhsa_dx10_clamp 1
		.amdhsa_ieee_mode 1
		.amdhsa_fp16_overflow 0
		.amdhsa_tg_split 0
		.amdhsa_exception_fp_ieee_invalid_op 0
		.amdhsa_exception_fp_denorm_src 0
		.amdhsa_exception_fp_ieee_div_zero 0
		.amdhsa_exception_fp_ieee_overflow 0
		.amdhsa_exception_fp_ieee_underflow 0
		.amdhsa_exception_fp_ieee_inexact 0
		.amdhsa_exception_int_div_zero 0
	.end_amdhsa_kernel
	.section	.text._ZN7rocprim17ROCPRIM_400000_NS6detail17trampoline_kernelINS0_14default_configENS1_35radix_sort_onesweep_config_selectorIxNS0_10empty_typeEEEZZNS1_29radix_sort_onesweep_iterationIS3_Lb0EN6thrust23THRUST_200600_302600_NS6detail15normal_iteratorINS9_10device_ptrIxEEEESE_PS5_SF_jNS0_19identity_decomposerENS1_16block_id_wrapperIjLb0EEEEE10hipError_tT1_PNSt15iterator_traitsISK_E10value_typeET2_T3_PNSL_ISQ_E10value_typeET4_T5_PSV_SW_PNS1_23onesweep_lookback_stateEbbT6_jjT7_P12ihipStream_tbENKUlT_T0_SK_SP_E_clISE_SE_SF_SF_EEDaS13_S14_SK_SP_EUlS13_E_NS1_11comp_targetILNS1_3genE8ELNS1_11target_archE1030ELNS1_3gpuE2ELNS1_3repE0EEENS1_47radix_sort_onesweep_sort_config_static_selectorELNS0_4arch9wavefront6targetE1EEEvSK_,"axG",@progbits,_ZN7rocprim17ROCPRIM_400000_NS6detail17trampoline_kernelINS0_14default_configENS1_35radix_sort_onesweep_config_selectorIxNS0_10empty_typeEEEZZNS1_29radix_sort_onesweep_iterationIS3_Lb0EN6thrust23THRUST_200600_302600_NS6detail15normal_iteratorINS9_10device_ptrIxEEEESE_PS5_SF_jNS0_19identity_decomposerENS1_16block_id_wrapperIjLb0EEEEE10hipError_tT1_PNSt15iterator_traitsISK_E10value_typeET2_T3_PNSL_ISQ_E10value_typeET4_T5_PSV_SW_PNS1_23onesweep_lookback_stateEbbT6_jjT7_P12ihipStream_tbENKUlT_T0_SK_SP_E_clISE_SE_SF_SF_EEDaS13_S14_SK_SP_EUlS13_E_NS1_11comp_targetILNS1_3genE8ELNS1_11target_archE1030ELNS1_3gpuE2ELNS1_3repE0EEENS1_47radix_sort_onesweep_sort_config_static_selectorELNS0_4arch9wavefront6targetE1EEEvSK_,comdat
.Lfunc_end1577:
	.size	_ZN7rocprim17ROCPRIM_400000_NS6detail17trampoline_kernelINS0_14default_configENS1_35radix_sort_onesweep_config_selectorIxNS0_10empty_typeEEEZZNS1_29radix_sort_onesweep_iterationIS3_Lb0EN6thrust23THRUST_200600_302600_NS6detail15normal_iteratorINS9_10device_ptrIxEEEESE_PS5_SF_jNS0_19identity_decomposerENS1_16block_id_wrapperIjLb0EEEEE10hipError_tT1_PNSt15iterator_traitsISK_E10value_typeET2_T3_PNSL_ISQ_E10value_typeET4_T5_PSV_SW_PNS1_23onesweep_lookback_stateEbbT6_jjT7_P12ihipStream_tbENKUlT_T0_SK_SP_E_clISE_SE_SF_SF_EEDaS13_S14_SK_SP_EUlS13_E_NS1_11comp_targetILNS1_3genE8ELNS1_11target_archE1030ELNS1_3gpuE2ELNS1_3repE0EEENS1_47radix_sort_onesweep_sort_config_static_selectorELNS0_4arch9wavefront6targetE1EEEvSK_, .Lfunc_end1577-_ZN7rocprim17ROCPRIM_400000_NS6detail17trampoline_kernelINS0_14default_configENS1_35radix_sort_onesweep_config_selectorIxNS0_10empty_typeEEEZZNS1_29radix_sort_onesweep_iterationIS3_Lb0EN6thrust23THRUST_200600_302600_NS6detail15normal_iteratorINS9_10device_ptrIxEEEESE_PS5_SF_jNS0_19identity_decomposerENS1_16block_id_wrapperIjLb0EEEEE10hipError_tT1_PNSt15iterator_traitsISK_E10value_typeET2_T3_PNSL_ISQ_E10value_typeET4_T5_PSV_SW_PNS1_23onesweep_lookback_stateEbbT6_jjT7_P12ihipStream_tbENKUlT_T0_SK_SP_E_clISE_SE_SF_SF_EEDaS13_S14_SK_SP_EUlS13_E_NS1_11comp_targetILNS1_3genE8ELNS1_11target_archE1030ELNS1_3gpuE2ELNS1_3repE0EEENS1_47radix_sort_onesweep_sort_config_static_selectorELNS0_4arch9wavefront6targetE1EEEvSK_
                                        ; -- End function
	.section	.AMDGPU.csdata,"",@progbits
; Kernel info:
; codeLenInByte = 0
; NumSgprs: 4
; NumVgprs: 0
; NumAgprs: 0
; TotalNumVgprs: 0
; ScratchSize: 0
; MemoryBound: 0
; FloatMode: 240
; IeeeMode: 1
; LDSByteSize: 0 bytes/workgroup (compile time only)
; SGPRBlocks: 0
; VGPRBlocks: 0
; NumSGPRsForWavesPerEU: 4
; NumVGPRsForWavesPerEU: 1
; AccumOffset: 4
; Occupancy: 8
; WaveLimiterHint : 0
; COMPUTE_PGM_RSRC2:SCRATCH_EN: 0
; COMPUTE_PGM_RSRC2:USER_SGPR: 6
; COMPUTE_PGM_RSRC2:TRAP_HANDLER: 0
; COMPUTE_PGM_RSRC2:TGID_X_EN: 1
; COMPUTE_PGM_RSRC2:TGID_Y_EN: 0
; COMPUTE_PGM_RSRC2:TGID_Z_EN: 0
; COMPUTE_PGM_RSRC2:TIDIG_COMP_CNT: 0
; COMPUTE_PGM_RSRC3_GFX90A:ACCUM_OFFSET: 0
; COMPUTE_PGM_RSRC3_GFX90A:TG_SPLIT: 0
	.section	.text._ZN7rocprim17ROCPRIM_400000_NS6detail17trampoline_kernelINS0_14default_configENS1_35radix_sort_onesweep_config_selectorIxNS0_10empty_typeEEEZZNS1_29radix_sort_onesweep_iterationIS3_Lb0EN6thrust23THRUST_200600_302600_NS6detail15normal_iteratorINS9_10device_ptrIxEEEESE_PS5_SF_jNS0_19identity_decomposerENS1_16block_id_wrapperIjLb0EEEEE10hipError_tT1_PNSt15iterator_traitsISK_E10value_typeET2_T3_PNSL_ISQ_E10value_typeET4_T5_PSV_SW_PNS1_23onesweep_lookback_stateEbbT6_jjT7_P12ihipStream_tbENKUlT_T0_SK_SP_E_clISE_PxSF_SF_EEDaS13_S14_SK_SP_EUlS13_E_NS1_11comp_targetILNS1_3genE0ELNS1_11target_archE4294967295ELNS1_3gpuE0ELNS1_3repE0EEENS1_47radix_sort_onesweep_sort_config_static_selectorELNS0_4arch9wavefront6targetE1EEEvSK_,"axG",@progbits,_ZN7rocprim17ROCPRIM_400000_NS6detail17trampoline_kernelINS0_14default_configENS1_35radix_sort_onesweep_config_selectorIxNS0_10empty_typeEEEZZNS1_29radix_sort_onesweep_iterationIS3_Lb0EN6thrust23THRUST_200600_302600_NS6detail15normal_iteratorINS9_10device_ptrIxEEEESE_PS5_SF_jNS0_19identity_decomposerENS1_16block_id_wrapperIjLb0EEEEE10hipError_tT1_PNSt15iterator_traitsISK_E10value_typeET2_T3_PNSL_ISQ_E10value_typeET4_T5_PSV_SW_PNS1_23onesweep_lookback_stateEbbT6_jjT7_P12ihipStream_tbENKUlT_T0_SK_SP_E_clISE_PxSF_SF_EEDaS13_S14_SK_SP_EUlS13_E_NS1_11comp_targetILNS1_3genE0ELNS1_11target_archE4294967295ELNS1_3gpuE0ELNS1_3repE0EEENS1_47radix_sort_onesweep_sort_config_static_selectorELNS0_4arch9wavefront6targetE1EEEvSK_,comdat
	.protected	_ZN7rocprim17ROCPRIM_400000_NS6detail17trampoline_kernelINS0_14default_configENS1_35radix_sort_onesweep_config_selectorIxNS0_10empty_typeEEEZZNS1_29radix_sort_onesweep_iterationIS3_Lb0EN6thrust23THRUST_200600_302600_NS6detail15normal_iteratorINS9_10device_ptrIxEEEESE_PS5_SF_jNS0_19identity_decomposerENS1_16block_id_wrapperIjLb0EEEEE10hipError_tT1_PNSt15iterator_traitsISK_E10value_typeET2_T3_PNSL_ISQ_E10value_typeET4_T5_PSV_SW_PNS1_23onesweep_lookback_stateEbbT6_jjT7_P12ihipStream_tbENKUlT_T0_SK_SP_E_clISE_PxSF_SF_EEDaS13_S14_SK_SP_EUlS13_E_NS1_11comp_targetILNS1_3genE0ELNS1_11target_archE4294967295ELNS1_3gpuE0ELNS1_3repE0EEENS1_47radix_sort_onesweep_sort_config_static_selectorELNS0_4arch9wavefront6targetE1EEEvSK_ ; -- Begin function _ZN7rocprim17ROCPRIM_400000_NS6detail17trampoline_kernelINS0_14default_configENS1_35radix_sort_onesweep_config_selectorIxNS0_10empty_typeEEEZZNS1_29radix_sort_onesweep_iterationIS3_Lb0EN6thrust23THRUST_200600_302600_NS6detail15normal_iteratorINS9_10device_ptrIxEEEESE_PS5_SF_jNS0_19identity_decomposerENS1_16block_id_wrapperIjLb0EEEEE10hipError_tT1_PNSt15iterator_traitsISK_E10value_typeET2_T3_PNSL_ISQ_E10value_typeET4_T5_PSV_SW_PNS1_23onesweep_lookback_stateEbbT6_jjT7_P12ihipStream_tbENKUlT_T0_SK_SP_E_clISE_PxSF_SF_EEDaS13_S14_SK_SP_EUlS13_E_NS1_11comp_targetILNS1_3genE0ELNS1_11target_archE4294967295ELNS1_3gpuE0ELNS1_3repE0EEENS1_47radix_sort_onesweep_sort_config_static_selectorELNS0_4arch9wavefront6targetE1EEEvSK_
	.globl	_ZN7rocprim17ROCPRIM_400000_NS6detail17trampoline_kernelINS0_14default_configENS1_35radix_sort_onesweep_config_selectorIxNS0_10empty_typeEEEZZNS1_29radix_sort_onesweep_iterationIS3_Lb0EN6thrust23THRUST_200600_302600_NS6detail15normal_iteratorINS9_10device_ptrIxEEEESE_PS5_SF_jNS0_19identity_decomposerENS1_16block_id_wrapperIjLb0EEEEE10hipError_tT1_PNSt15iterator_traitsISK_E10value_typeET2_T3_PNSL_ISQ_E10value_typeET4_T5_PSV_SW_PNS1_23onesweep_lookback_stateEbbT6_jjT7_P12ihipStream_tbENKUlT_T0_SK_SP_E_clISE_PxSF_SF_EEDaS13_S14_SK_SP_EUlS13_E_NS1_11comp_targetILNS1_3genE0ELNS1_11target_archE4294967295ELNS1_3gpuE0ELNS1_3repE0EEENS1_47radix_sort_onesweep_sort_config_static_selectorELNS0_4arch9wavefront6targetE1EEEvSK_
	.p2align	8
	.type	_ZN7rocprim17ROCPRIM_400000_NS6detail17trampoline_kernelINS0_14default_configENS1_35radix_sort_onesweep_config_selectorIxNS0_10empty_typeEEEZZNS1_29radix_sort_onesweep_iterationIS3_Lb0EN6thrust23THRUST_200600_302600_NS6detail15normal_iteratorINS9_10device_ptrIxEEEESE_PS5_SF_jNS0_19identity_decomposerENS1_16block_id_wrapperIjLb0EEEEE10hipError_tT1_PNSt15iterator_traitsISK_E10value_typeET2_T3_PNSL_ISQ_E10value_typeET4_T5_PSV_SW_PNS1_23onesweep_lookback_stateEbbT6_jjT7_P12ihipStream_tbENKUlT_T0_SK_SP_E_clISE_PxSF_SF_EEDaS13_S14_SK_SP_EUlS13_E_NS1_11comp_targetILNS1_3genE0ELNS1_11target_archE4294967295ELNS1_3gpuE0ELNS1_3repE0EEENS1_47radix_sort_onesweep_sort_config_static_selectorELNS0_4arch9wavefront6targetE1EEEvSK_,@function
_ZN7rocprim17ROCPRIM_400000_NS6detail17trampoline_kernelINS0_14default_configENS1_35radix_sort_onesweep_config_selectorIxNS0_10empty_typeEEEZZNS1_29radix_sort_onesweep_iterationIS3_Lb0EN6thrust23THRUST_200600_302600_NS6detail15normal_iteratorINS9_10device_ptrIxEEEESE_PS5_SF_jNS0_19identity_decomposerENS1_16block_id_wrapperIjLb0EEEEE10hipError_tT1_PNSt15iterator_traitsISK_E10value_typeET2_T3_PNSL_ISQ_E10value_typeET4_T5_PSV_SW_PNS1_23onesweep_lookback_stateEbbT6_jjT7_P12ihipStream_tbENKUlT_T0_SK_SP_E_clISE_PxSF_SF_EEDaS13_S14_SK_SP_EUlS13_E_NS1_11comp_targetILNS1_3genE0ELNS1_11target_archE4294967295ELNS1_3gpuE0ELNS1_3repE0EEENS1_47radix_sort_onesweep_sort_config_static_selectorELNS0_4arch9wavefront6targetE1EEEvSK_: ; @_ZN7rocprim17ROCPRIM_400000_NS6detail17trampoline_kernelINS0_14default_configENS1_35radix_sort_onesweep_config_selectorIxNS0_10empty_typeEEEZZNS1_29radix_sort_onesweep_iterationIS3_Lb0EN6thrust23THRUST_200600_302600_NS6detail15normal_iteratorINS9_10device_ptrIxEEEESE_PS5_SF_jNS0_19identity_decomposerENS1_16block_id_wrapperIjLb0EEEEE10hipError_tT1_PNSt15iterator_traitsISK_E10value_typeET2_T3_PNSL_ISQ_E10value_typeET4_T5_PSV_SW_PNS1_23onesweep_lookback_stateEbbT6_jjT7_P12ihipStream_tbENKUlT_T0_SK_SP_E_clISE_PxSF_SF_EEDaS13_S14_SK_SP_EUlS13_E_NS1_11comp_targetILNS1_3genE0ELNS1_11target_archE4294967295ELNS1_3gpuE0ELNS1_3repE0EEENS1_47radix_sort_onesweep_sort_config_static_selectorELNS0_4arch9wavefront6targetE1EEEvSK_
; %bb.0:
	.section	.rodata,"a",@progbits
	.p2align	6, 0x0
	.amdhsa_kernel _ZN7rocprim17ROCPRIM_400000_NS6detail17trampoline_kernelINS0_14default_configENS1_35radix_sort_onesweep_config_selectorIxNS0_10empty_typeEEEZZNS1_29radix_sort_onesweep_iterationIS3_Lb0EN6thrust23THRUST_200600_302600_NS6detail15normal_iteratorINS9_10device_ptrIxEEEESE_PS5_SF_jNS0_19identity_decomposerENS1_16block_id_wrapperIjLb0EEEEE10hipError_tT1_PNSt15iterator_traitsISK_E10value_typeET2_T3_PNSL_ISQ_E10value_typeET4_T5_PSV_SW_PNS1_23onesweep_lookback_stateEbbT6_jjT7_P12ihipStream_tbENKUlT_T0_SK_SP_E_clISE_PxSF_SF_EEDaS13_S14_SK_SP_EUlS13_E_NS1_11comp_targetILNS1_3genE0ELNS1_11target_archE4294967295ELNS1_3gpuE0ELNS1_3repE0EEENS1_47radix_sort_onesweep_sort_config_static_selectorELNS0_4arch9wavefront6targetE1EEEvSK_
		.amdhsa_group_segment_fixed_size 0
		.amdhsa_private_segment_fixed_size 0
		.amdhsa_kernarg_size 88
		.amdhsa_user_sgpr_count 6
		.amdhsa_user_sgpr_private_segment_buffer 1
		.amdhsa_user_sgpr_dispatch_ptr 0
		.amdhsa_user_sgpr_queue_ptr 0
		.amdhsa_user_sgpr_kernarg_segment_ptr 1
		.amdhsa_user_sgpr_dispatch_id 0
		.amdhsa_user_sgpr_flat_scratch_init 0
		.amdhsa_user_sgpr_kernarg_preload_length 0
		.amdhsa_user_sgpr_kernarg_preload_offset 0
		.amdhsa_user_sgpr_private_segment_size 0
		.amdhsa_uses_dynamic_stack 0
		.amdhsa_system_sgpr_private_segment_wavefront_offset 0
		.amdhsa_system_sgpr_workgroup_id_x 1
		.amdhsa_system_sgpr_workgroup_id_y 0
		.amdhsa_system_sgpr_workgroup_id_z 0
		.amdhsa_system_sgpr_workgroup_info 0
		.amdhsa_system_vgpr_workitem_id 0
		.amdhsa_next_free_vgpr 1
		.amdhsa_next_free_sgpr 0
		.amdhsa_accum_offset 4
		.amdhsa_reserve_vcc 0
		.amdhsa_reserve_flat_scratch 0
		.amdhsa_float_round_mode_32 0
		.amdhsa_float_round_mode_16_64 0
		.amdhsa_float_denorm_mode_32 3
		.amdhsa_float_denorm_mode_16_64 3
		.amdhsa_dx10_clamp 1
		.amdhsa_ieee_mode 1
		.amdhsa_fp16_overflow 0
		.amdhsa_tg_split 0
		.amdhsa_exception_fp_ieee_invalid_op 0
		.amdhsa_exception_fp_denorm_src 0
		.amdhsa_exception_fp_ieee_div_zero 0
		.amdhsa_exception_fp_ieee_overflow 0
		.amdhsa_exception_fp_ieee_underflow 0
		.amdhsa_exception_fp_ieee_inexact 0
		.amdhsa_exception_int_div_zero 0
	.end_amdhsa_kernel
	.section	.text._ZN7rocprim17ROCPRIM_400000_NS6detail17trampoline_kernelINS0_14default_configENS1_35radix_sort_onesweep_config_selectorIxNS0_10empty_typeEEEZZNS1_29radix_sort_onesweep_iterationIS3_Lb0EN6thrust23THRUST_200600_302600_NS6detail15normal_iteratorINS9_10device_ptrIxEEEESE_PS5_SF_jNS0_19identity_decomposerENS1_16block_id_wrapperIjLb0EEEEE10hipError_tT1_PNSt15iterator_traitsISK_E10value_typeET2_T3_PNSL_ISQ_E10value_typeET4_T5_PSV_SW_PNS1_23onesweep_lookback_stateEbbT6_jjT7_P12ihipStream_tbENKUlT_T0_SK_SP_E_clISE_PxSF_SF_EEDaS13_S14_SK_SP_EUlS13_E_NS1_11comp_targetILNS1_3genE0ELNS1_11target_archE4294967295ELNS1_3gpuE0ELNS1_3repE0EEENS1_47radix_sort_onesweep_sort_config_static_selectorELNS0_4arch9wavefront6targetE1EEEvSK_,"axG",@progbits,_ZN7rocprim17ROCPRIM_400000_NS6detail17trampoline_kernelINS0_14default_configENS1_35radix_sort_onesweep_config_selectorIxNS0_10empty_typeEEEZZNS1_29radix_sort_onesweep_iterationIS3_Lb0EN6thrust23THRUST_200600_302600_NS6detail15normal_iteratorINS9_10device_ptrIxEEEESE_PS5_SF_jNS0_19identity_decomposerENS1_16block_id_wrapperIjLb0EEEEE10hipError_tT1_PNSt15iterator_traitsISK_E10value_typeET2_T3_PNSL_ISQ_E10value_typeET4_T5_PSV_SW_PNS1_23onesweep_lookback_stateEbbT6_jjT7_P12ihipStream_tbENKUlT_T0_SK_SP_E_clISE_PxSF_SF_EEDaS13_S14_SK_SP_EUlS13_E_NS1_11comp_targetILNS1_3genE0ELNS1_11target_archE4294967295ELNS1_3gpuE0ELNS1_3repE0EEENS1_47radix_sort_onesweep_sort_config_static_selectorELNS0_4arch9wavefront6targetE1EEEvSK_,comdat
.Lfunc_end1578:
	.size	_ZN7rocprim17ROCPRIM_400000_NS6detail17trampoline_kernelINS0_14default_configENS1_35radix_sort_onesweep_config_selectorIxNS0_10empty_typeEEEZZNS1_29radix_sort_onesweep_iterationIS3_Lb0EN6thrust23THRUST_200600_302600_NS6detail15normal_iteratorINS9_10device_ptrIxEEEESE_PS5_SF_jNS0_19identity_decomposerENS1_16block_id_wrapperIjLb0EEEEE10hipError_tT1_PNSt15iterator_traitsISK_E10value_typeET2_T3_PNSL_ISQ_E10value_typeET4_T5_PSV_SW_PNS1_23onesweep_lookback_stateEbbT6_jjT7_P12ihipStream_tbENKUlT_T0_SK_SP_E_clISE_PxSF_SF_EEDaS13_S14_SK_SP_EUlS13_E_NS1_11comp_targetILNS1_3genE0ELNS1_11target_archE4294967295ELNS1_3gpuE0ELNS1_3repE0EEENS1_47radix_sort_onesweep_sort_config_static_selectorELNS0_4arch9wavefront6targetE1EEEvSK_, .Lfunc_end1578-_ZN7rocprim17ROCPRIM_400000_NS6detail17trampoline_kernelINS0_14default_configENS1_35radix_sort_onesweep_config_selectorIxNS0_10empty_typeEEEZZNS1_29radix_sort_onesweep_iterationIS3_Lb0EN6thrust23THRUST_200600_302600_NS6detail15normal_iteratorINS9_10device_ptrIxEEEESE_PS5_SF_jNS0_19identity_decomposerENS1_16block_id_wrapperIjLb0EEEEE10hipError_tT1_PNSt15iterator_traitsISK_E10value_typeET2_T3_PNSL_ISQ_E10value_typeET4_T5_PSV_SW_PNS1_23onesweep_lookback_stateEbbT6_jjT7_P12ihipStream_tbENKUlT_T0_SK_SP_E_clISE_PxSF_SF_EEDaS13_S14_SK_SP_EUlS13_E_NS1_11comp_targetILNS1_3genE0ELNS1_11target_archE4294967295ELNS1_3gpuE0ELNS1_3repE0EEENS1_47radix_sort_onesweep_sort_config_static_selectorELNS0_4arch9wavefront6targetE1EEEvSK_
                                        ; -- End function
	.section	.AMDGPU.csdata,"",@progbits
; Kernel info:
; codeLenInByte = 0
; NumSgprs: 4
; NumVgprs: 0
; NumAgprs: 0
; TotalNumVgprs: 0
; ScratchSize: 0
; MemoryBound: 0
; FloatMode: 240
; IeeeMode: 1
; LDSByteSize: 0 bytes/workgroup (compile time only)
; SGPRBlocks: 0
; VGPRBlocks: 0
; NumSGPRsForWavesPerEU: 4
; NumVGPRsForWavesPerEU: 1
; AccumOffset: 4
; Occupancy: 8
; WaveLimiterHint : 0
; COMPUTE_PGM_RSRC2:SCRATCH_EN: 0
; COMPUTE_PGM_RSRC2:USER_SGPR: 6
; COMPUTE_PGM_RSRC2:TRAP_HANDLER: 0
; COMPUTE_PGM_RSRC2:TGID_X_EN: 1
; COMPUTE_PGM_RSRC2:TGID_Y_EN: 0
; COMPUTE_PGM_RSRC2:TGID_Z_EN: 0
; COMPUTE_PGM_RSRC2:TIDIG_COMP_CNT: 0
; COMPUTE_PGM_RSRC3_GFX90A:ACCUM_OFFSET: 0
; COMPUTE_PGM_RSRC3_GFX90A:TG_SPLIT: 0
	.section	.text._ZN7rocprim17ROCPRIM_400000_NS6detail17trampoline_kernelINS0_14default_configENS1_35radix_sort_onesweep_config_selectorIxNS0_10empty_typeEEEZZNS1_29radix_sort_onesweep_iterationIS3_Lb0EN6thrust23THRUST_200600_302600_NS6detail15normal_iteratorINS9_10device_ptrIxEEEESE_PS5_SF_jNS0_19identity_decomposerENS1_16block_id_wrapperIjLb0EEEEE10hipError_tT1_PNSt15iterator_traitsISK_E10value_typeET2_T3_PNSL_ISQ_E10value_typeET4_T5_PSV_SW_PNS1_23onesweep_lookback_stateEbbT6_jjT7_P12ihipStream_tbENKUlT_T0_SK_SP_E_clISE_PxSF_SF_EEDaS13_S14_SK_SP_EUlS13_E_NS1_11comp_targetILNS1_3genE6ELNS1_11target_archE950ELNS1_3gpuE13ELNS1_3repE0EEENS1_47radix_sort_onesweep_sort_config_static_selectorELNS0_4arch9wavefront6targetE1EEEvSK_,"axG",@progbits,_ZN7rocprim17ROCPRIM_400000_NS6detail17trampoline_kernelINS0_14default_configENS1_35radix_sort_onesweep_config_selectorIxNS0_10empty_typeEEEZZNS1_29radix_sort_onesweep_iterationIS3_Lb0EN6thrust23THRUST_200600_302600_NS6detail15normal_iteratorINS9_10device_ptrIxEEEESE_PS5_SF_jNS0_19identity_decomposerENS1_16block_id_wrapperIjLb0EEEEE10hipError_tT1_PNSt15iterator_traitsISK_E10value_typeET2_T3_PNSL_ISQ_E10value_typeET4_T5_PSV_SW_PNS1_23onesweep_lookback_stateEbbT6_jjT7_P12ihipStream_tbENKUlT_T0_SK_SP_E_clISE_PxSF_SF_EEDaS13_S14_SK_SP_EUlS13_E_NS1_11comp_targetILNS1_3genE6ELNS1_11target_archE950ELNS1_3gpuE13ELNS1_3repE0EEENS1_47radix_sort_onesweep_sort_config_static_selectorELNS0_4arch9wavefront6targetE1EEEvSK_,comdat
	.protected	_ZN7rocprim17ROCPRIM_400000_NS6detail17trampoline_kernelINS0_14default_configENS1_35radix_sort_onesweep_config_selectorIxNS0_10empty_typeEEEZZNS1_29radix_sort_onesweep_iterationIS3_Lb0EN6thrust23THRUST_200600_302600_NS6detail15normal_iteratorINS9_10device_ptrIxEEEESE_PS5_SF_jNS0_19identity_decomposerENS1_16block_id_wrapperIjLb0EEEEE10hipError_tT1_PNSt15iterator_traitsISK_E10value_typeET2_T3_PNSL_ISQ_E10value_typeET4_T5_PSV_SW_PNS1_23onesweep_lookback_stateEbbT6_jjT7_P12ihipStream_tbENKUlT_T0_SK_SP_E_clISE_PxSF_SF_EEDaS13_S14_SK_SP_EUlS13_E_NS1_11comp_targetILNS1_3genE6ELNS1_11target_archE950ELNS1_3gpuE13ELNS1_3repE0EEENS1_47radix_sort_onesweep_sort_config_static_selectorELNS0_4arch9wavefront6targetE1EEEvSK_ ; -- Begin function _ZN7rocprim17ROCPRIM_400000_NS6detail17trampoline_kernelINS0_14default_configENS1_35radix_sort_onesweep_config_selectorIxNS0_10empty_typeEEEZZNS1_29radix_sort_onesweep_iterationIS3_Lb0EN6thrust23THRUST_200600_302600_NS6detail15normal_iteratorINS9_10device_ptrIxEEEESE_PS5_SF_jNS0_19identity_decomposerENS1_16block_id_wrapperIjLb0EEEEE10hipError_tT1_PNSt15iterator_traitsISK_E10value_typeET2_T3_PNSL_ISQ_E10value_typeET4_T5_PSV_SW_PNS1_23onesweep_lookback_stateEbbT6_jjT7_P12ihipStream_tbENKUlT_T0_SK_SP_E_clISE_PxSF_SF_EEDaS13_S14_SK_SP_EUlS13_E_NS1_11comp_targetILNS1_3genE6ELNS1_11target_archE950ELNS1_3gpuE13ELNS1_3repE0EEENS1_47radix_sort_onesweep_sort_config_static_selectorELNS0_4arch9wavefront6targetE1EEEvSK_
	.globl	_ZN7rocprim17ROCPRIM_400000_NS6detail17trampoline_kernelINS0_14default_configENS1_35radix_sort_onesweep_config_selectorIxNS0_10empty_typeEEEZZNS1_29radix_sort_onesweep_iterationIS3_Lb0EN6thrust23THRUST_200600_302600_NS6detail15normal_iteratorINS9_10device_ptrIxEEEESE_PS5_SF_jNS0_19identity_decomposerENS1_16block_id_wrapperIjLb0EEEEE10hipError_tT1_PNSt15iterator_traitsISK_E10value_typeET2_T3_PNSL_ISQ_E10value_typeET4_T5_PSV_SW_PNS1_23onesweep_lookback_stateEbbT6_jjT7_P12ihipStream_tbENKUlT_T0_SK_SP_E_clISE_PxSF_SF_EEDaS13_S14_SK_SP_EUlS13_E_NS1_11comp_targetILNS1_3genE6ELNS1_11target_archE950ELNS1_3gpuE13ELNS1_3repE0EEENS1_47radix_sort_onesweep_sort_config_static_selectorELNS0_4arch9wavefront6targetE1EEEvSK_
	.p2align	8
	.type	_ZN7rocprim17ROCPRIM_400000_NS6detail17trampoline_kernelINS0_14default_configENS1_35radix_sort_onesweep_config_selectorIxNS0_10empty_typeEEEZZNS1_29radix_sort_onesweep_iterationIS3_Lb0EN6thrust23THRUST_200600_302600_NS6detail15normal_iteratorINS9_10device_ptrIxEEEESE_PS5_SF_jNS0_19identity_decomposerENS1_16block_id_wrapperIjLb0EEEEE10hipError_tT1_PNSt15iterator_traitsISK_E10value_typeET2_T3_PNSL_ISQ_E10value_typeET4_T5_PSV_SW_PNS1_23onesweep_lookback_stateEbbT6_jjT7_P12ihipStream_tbENKUlT_T0_SK_SP_E_clISE_PxSF_SF_EEDaS13_S14_SK_SP_EUlS13_E_NS1_11comp_targetILNS1_3genE6ELNS1_11target_archE950ELNS1_3gpuE13ELNS1_3repE0EEENS1_47radix_sort_onesweep_sort_config_static_selectorELNS0_4arch9wavefront6targetE1EEEvSK_,@function
_ZN7rocprim17ROCPRIM_400000_NS6detail17trampoline_kernelINS0_14default_configENS1_35radix_sort_onesweep_config_selectorIxNS0_10empty_typeEEEZZNS1_29radix_sort_onesweep_iterationIS3_Lb0EN6thrust23THRUST_200600_302600_NS6detail15normal_iteratorINS9_10device_ptrIxEEEESE_PS5_SF_jNS0_19identity_decomposerENS1_16block_id_wrapperIjLb0EEEEE10hipError_tT1_PNSt15iterator_traitsISK_E10value_typeET2_T3_PNSL_ISQ_E10value_typeET4_T5_PSV_SW_PNS1_23onesweep_lookback_stateEbbT6_jjT7_P12ihipStream_tbENKUlT_T0_SK_SP_E_clISE_PxSF_SF_EEDaS13_S14_SK_SP_EUlS13_E_NS1_11comp_targetILNS1_3genE6ELNS1_11target_archE950ELNS1_3gpuE13ELNS1_3repE0EEENS1_47radix_sort_onesweep_sort_config_static_selectorELNS0_4arch9wavefront6targetE1EEEvSK_: ; @_ZN7rocprim17ROCPRIM_400000_NS6detail17trampoline_kernelINS0_14default_configENS1_35radix_sort_onesweep_config_selectorIxNS0_10empty_typeEEEZZNS1_29radix_sort_onesweep_iterationIS3_Lb0EN6thrust23THRUST_200600_302600_NS6detail15normal_iteratorINS9_10device_ptrIxEEEESE_PS5_SF_jNS0_19identity_decomposerENS1_16block_id_wrapperIjLb0EEEEE10hipError_tT1_PNSt15iterator_traitsISK_E10value_typeET2_T3_PNSL_ISQ_E10value_typeET4_T5_PSV_SW_PNS1_23onesweep_lookback_stateEbbT6_jjT7_P12ihipStream_tbENKUlT_T0_SK_SP_E_clISE_PxSF_SF_EEDaS13_S14_SK_SP_EUlS13_E_NS1_11comp_targetILNS1_3genE6ELNS1_11target_archE950ELNS1_3gpuE13ELNS1_3repE0EEENS1_47radix_sort_onesweep_sort_config_static_selectorELNS0_4arch9wavefront6targetE1EEEvSK_
; %bb.0:
	.section	.rodata,"a",@progbits
	.p2align	6, 0x0
	.amdhsa_kernel _ZN7rocprim17ROCPRIM_400000_NS6detail17trampoline_kernelINS0_14default_configENS1_35radix_sort_onesweep_config_selectorIxNS0_10empty_typeEEEZZNS1_29radix_sort_onesweep_iterationIS3_Lb0EN6thrust23THRUST_200600_302600_NS6detail15normal_iteratorINS9_10device_ptrIxEEEESE_PS5_SF_jNS0_19identity_decomposerENS1_16block_id_wrapperIjLb0EEEEE10hipError_tT1_PNSt15iterator_traitsISK_E10value_typeET2_T3_PNSL_ISQ_E10value_typeET4_T5_PSV_SW_PNS1_23onesweep_lookback_stateEbbT6_jjT7_P12ihipStream_tbENKUlT_T0_SK_SP_E_clISE_PxSF_SF_EEDaS13_S14_SK_SP_EUlS13_E_NS1_11comp_targetILNS1_3genE6ELNS1_11target_archE950ELNS1_3gpuE13ELNS1_3repE0EEENS1_47radix_sort_onesweep_sort_config_static_selectorELNS0_4arch9wavefront6targetE1EEEvSK_
		.amdhsa_group_segment_fixed_size 0
		.amdhsa_private_segment_fixed_size 0
		.amdhsa_kernarg_size 88
		.amdhsa_user_sgpr_count 6
		.amdhsa_user_sgpr_private_segment_buffer 1
		.amdhsa_user_sgpr_dispatch_ptr 0
		.amdhsa_user_sgpr_queue_ptr 0
		.amdhsa_user_sgpr_kernarg_segment_ptr 1
		.amdhsa_user_sgpr_dispatch_id 0
		.amdhsa_user_sgpr_flat_scratch_init 0
		.amdhsa_user_sgpr_kernarg_preload_length 0
		.amdhsa_user_sgpr_kernarg_preload_offset 0
		.amdhsa_user_sgpr_private_segment_size 0
		.amdhsa_uses_dynamic_stack 0
		.amdhsa_system_sgpr_private_segment_wavefront_offset 0
		.amdhsa_system_sgpr_workgroup_id_x 1
		.amdhsa_system_sgpr_workgroup_id_y 0
		.amdhsa_system_sgpr_workgroup_id_z 0
		.amdhsa_system_sgpr_workgroup_info 0
		.amdhsa_system_vgpr_workitem_id 0
		.amdhsa_next_free_vgpr 1
		.amdhsa_next_free_sgpr 0
		.amdhsa_accum_offset 4
		.amdhsa_reserve_vcc 0
		.amdhsa_reserve_flat_scratch 0
		.amdhsa_float_round_mode_32 0
		.amdhsa_float_round_mode_16_64 0
		.amdhsa_float_denorm_mode_32 3
		.amdhsa_float_denorm_mode_16_64 3
		.amdhsa_dx10_clamp 1
		.amdhsa_ieee_mode 1
		.amdhsa_fp16_overflow 0
		.amdhsa_tg_split 0
		.amdhsa_exception_fp_ieee_invalid_op 0
		.amdhsa_exception_fp_denorm_src 0
		.amdhsa_exception_fp_ieee_div_zero 0
		.amdhsa_exception_fp_ieee_overflow 0
		.amdhsa_exception_fp_ieee_underflow 0
		.amdhsa_exception_fp_ieee_inexact 0
		.amdhsa_exception_int_div_zero 0
	.end_amdhsa_kernel
	.section	.text._ZN7rocprim17ROCPRIM_400000_NS6detail17trampoline_kernelINS0_14default_configENS1_35radix_sort_onesweep_config_selectorIxNS0_10empty_typeEEEZZNS1_29radix_sort_onesweep_iterationIS3_Lb0EN6thrust23THRUST_200600_302600_NS6detail15normal_iteratorINS9_10device_ptrIxEEEESE_PS5_SF_jNS0_19identity_decomposerENS1_16block_id_wrapperIjLb0EEEEE10hipError_tT1_PNSt15iterator_traitsISK_E10value_typeET2_T3_PNSL_ISQ_E10value_typeET4_T5_PSV_SW_PNS1_23onesweep_lookback_stateEbbT6_jjT7_P12ihipStream_tbENKUlT_T0_SK_SP_E_clISE_PxSF_SF_EEDaS13_S14_SK_SP_EUlS13_E_NS1_11comp_targetILNS1_3genE6ELNS1_11target_archE950ELNS1_3gpuE13ELNS1_3repE0EEENS1_47radix_sort_onesweep_sort_config_static_selectorELNS0_4arch9wavefront6targetE1EEEvSK_,"axG",@progbits,_ZN7rocprim17ROCPRIM_400000_NS6detail17trampoline_kernelINS0_14default_configENS1_35radix_sort_onesweep_config_selectorIxNS0_10empty_typeEEEZZNS1_29radix_sort_onesweep_iterationIS3_Lb0EN6thrust23THRUST_200600_302600_NS6detail15normal_iteratorINS9_10device_ptrIxEEEESE_PS5_SF_jNS0_19identity_decomposerENS1_16block_id_wrapperIjLb0EEEEE10hipError_tT1_PNSt15iterator_traitsISK_E10value_typeET2_T3_PNSL_ISQ_E10value_typeET4_T5_PSV_SW_PNS1_23onesweep_lookback_stateEbbT6_jjT7_P12ihipStream_tbENKUlT_T0_SK_SP_E_clISE_PxSF_SF_EEDaS13_S14_SK_SP_EUlS13_E_NS1_11comp_targetILNS1_3genE6ELNS1_11target_archE950ELNS1_3gpuE13ELNS1_3repE0EEENS1_47radix_sort_onesweep_sort_config_static_selectorELNS0_4arch9wavefront6targetE1EEEvSK_,comdat
.Lfunc_end1579:
	.size	_ZN7rocprim17ROCPRIM_400000_NS6detail17trampoline_kernelINS0_14default_configENS1_35radix_sort_onesweep_config_selectorIxNS0_10empty_typeEEEZZNS1_29radix_sort_onesweep_iterationIS3_Lb0EN6thrust23THRUST_200600_302600_NS6detail15normal_iteratorINS9_10device_ptrIxEEEESE_PS5_SF_jNS0_19identity_decomposerENS1_16block_id_wrapperIjLb0EEEEE10hipError_tT1_PNSt15iterator_traitsISK_E10value_typeET2_T3_PNSL_ISQ_E10value_typeET4_T5_PSV_SW_PNS1_23onesweep_lookback_stateEbbT6_jjT7_P12ihipStream_tbENKUlT_T0_SK_SP_E_clISE_PxSF_SF_EEDaS13_S14_SK_SP_EUlS13_E_NS1_11comp_targetILNS1_3genE6ELNS1_11target_archE950ELNS1_3gpuE13ELNS1_3repE0EEENS1_47radix_sort_onesweep_sort_config_static_selectorELNS0_4arch9wavefront6targetE1EEEvSK_, .Lfunc_end1579-_ZN7rocprim17ROCPRIM_400000_NS6detail17trampoline_kernelINS0_14default_configENS1_35radix_sort_onesweep_config_selectorIxNS0_10empty_typeEEEZZNS1_29radix_sort_onesweep_iterationIS3_Lb0EN6thrust23THRUST_200600_302600_NS6detail15normal_iteratorINS9_10device_ptrIxEEEESE_PS5_SF_jNS0_19identity_decomposerENS1_16block_id_wrapperIjLb0EEEEE10hipError_tT1_PNSt15iterator_traitsISK_E10value_typeET2_T3_PNSL_ISQ_E10value_typeET4_T5_PSV_SW_PNS1_23onesweep_lookback_stateEbbT6_jjT7_P12ihipStream_tbENKUlT_T0_SK_SP_E_clISE_PxSF_SF_EEDaS13_S14_SK_SP_EUlS13_E_NS1_11comp_targetILNS1_3genE6ELNS1_11target_archE950ELNS1_3gpuE13ELNS1_3repE0EEENS1_47radix_sort_onesweep_sort_config_static_selectorELNS0_4arch9wavefront6targetE1EEEvSK_
                                        ; -- End function
	.section	.AMDGPU.csdata,"",@progbits
; Kernel info:
; codeLenInByte = 0
; NumSgprs: 4
; NumVgprs: 0
; NumAgprs: 0
; TotalNumVgprs: 0
; ScratchSize: 0
; MemoryBound: 0
; FloatMode: 240
; IeeeMode: 1
; LDSByteSize: 0 bytes/workgroup (compile time only)
; SGPRBlocks: 0
; VGPRBlocks: 0
; NumSGPRsForWavesPerEU: 4
; NumVGPRsForWavesPerEU: 1
; AccumOffset: 4
; Occupancy: 8
; WaveLimiterHint : 0
; COMPUTE_PGM_RSRC2:SCRATCH_EN: 0
; COMPUTE_PGM_RSRC2:USER_SGPR: 6
; COMPUTE_PGM_RSRC2:TRAP_HANDLER: 0
; COMPUTE_PGM_RSRC2:TGID_X_EN: 1
; COMPUTE_PGM_RSRC2:TGID_Y_EN: 0
; COMPUTE_PGM_RSRC2:TGID_Z_EN: 0
; COMPUTE_PGM_RSRC2:TIDIG_COMP_CNT: 0
; COMPUTE_PGM_RSRC3_GFX90A:ACCUM_OFFSET: 0
; COMPUTE_PGM_RSRC3_GFX90A:TG_SPLIT: 0
	.section	.text._ZN7rocprim17ROCPRIM_400000_NS6detail17trampoline_kernelINS0_14default_configENS1_35radix_sort_onesweep_config_selectorIxNS0_10empty_typeEEEZZNS1_29radix_sort_onesweep_iterationIS3_Lb0EN6thrust23THRUST_200600_302600_NS6detail15normal_iteratorINS9_10device_ptrIxEEEESE_PS5_SF_jNS0_19identity_decomposerENS1_16block_id_wrapperIjLb0EEEEE10hipError_tT1_PNSt15iterator_traitsISK_E10value_typeET2_T3_PNSL_ISQ_E10value_typeET4_T5_PSV_SW_PNS1_23onesweep_lookback_stateEbbT6_jjT7_P12ihipStream_tbENKUlT_T0_SK_SP_E_clISE_PxSF_SF_EEDaS13_S14_SK_SP_EUlS13_E_NS1_11comp_targetILNS1_3genE5ELNS1_11target_archE942ELNS1_3gpuE9ELNS1_3repE0EEENS1_47radix_sort_onesweep_sort_config_static_selectorELNS0_4arch9wavefront6targetE1EEEvSK_,"axG",@progbits,_ZN7rocprim17ROCPRIM_400000_NS6detail17trampoline_kernelINS0_14default_configENS1_35radix_sort_onesweep_config_selectorIxNS0_10empty_typeEEEZZNS1_29radix_sort_onesweep_iterationIS3_Lb0EN6thrust23THRUST_200600_302600_NS6detail15normal_iteratorINS9_10device_ptrIxEEEESE_PS5_SF_jNS0_19identity_decomposerENS1_16block_id_wrapperIjLb0EEEEE10hipError_tT1_PNSt15iterator_traitsISK_E10value_typeET2_T3_PNSL_ISQ_E10value_typeET4_T5_PSV_SW_PNS1_23onesweep_lookback_stateEbbT6_jjT7_P12ihipStream_tbENKUlT_T0_SK_SP_E_clISE_PxSF_SF_EEDaS13_S14_SK_SP_EUlS13_E_NS1_11comp_targetILNS1_3genE5ELNS1_11target_archE942ELNS1_3gpuE9ELNS1_3repE0EEENS1_47radix_sort_onesweep_sort_config_static_selectorELNS0_4arch9wavefront6targetE1EEEvSK_,comdat
	.protected	_ZN7rocprim17ROCPRIM_400000_NS6detail17trampoline_kernelINS0_14default_configENS1_35radix_sort_onesweep_config_selectorIxNS0_10empty_typeEEEZZNS1_29radix_sort_onesweep_iterationIS3_Lb0EN6thrust23THRUST_200600_302600_NS6detail15normal_iteratorINS9_10device_ptrIxEEEESE_PS5_SF_jNS0_19identity_decomposerENS1_16block_id_wrapperIjLb0EEEEE10hipError_tT1_PNSt15iterator_traitsISK_E10value_typeET2_T3_PNSL_ISQ_E10value_typeET4_T5_PSV_SW_PNS1_23onesweep_lookback_stateEbbT6_jjT7_P12ihipStream_tbENKUlT_T0_SK_SP_E_clISE_PxSF_SF_EEDaS13_S14_SK_SP_EUlS13_E_NS1_11comp_targetILNS1_3genE5ELNS1_11target_archE942ELNS1_3gpuE9ELNS1_3repE0EEENS1_47radix_sort_onesweep_sort_config_static_selectorELNS0_4arch9wavefront6targetE1EEEvSK_ ; -- Begin function _ZN7rocprim17ROCPRIM_400000_NS6detail17trampoline_kernelINS0_14default_configENS1_35radix_sort_onesweep_config_selectorIxNS0_10empty_typeEEEZZNS1_29radix_sort_onesweep_iterationIS3_Lb0EN6thrust23THRUST_200600_302600_NS6detail15normal_iteratorINS9_10device_ptrIxEEEESE_PS5_SF_jNS0_19identity_decomposerENS1_16block_id_wrapperIjLb0EEEEE10hipError_tT1_PNSt15iterator_traitsISK_E10value_typeET2_T3_PNSL_ISQ_E10value_typeET4_T5_PSV_SW_PNS1_23onesweep_lookback_stateEbbT6_jjT7_P12ihipStream_tbENKUlT_T0_SK_SP_E_clISE_PxSF_SF_EEDaS13_S14_SK_SP_EUlS13_E_NS1_11comp_targetILNS1_3genE5ELNS1_11target_archE942ELNS1_3gpuE9ELNS1_3repE0EEENS1_47radix_sort_onesweep_sort_config_static_selectorELNS0_4arch9wavefront6targetE1EEEvSK_
	.globl	_ZN7rocprim17ROCPRIM_400000_NS6detail17trampoline_kernelINS0_14default_configENS1_35radix_sort_onesweep_config_selectorIxNS0_10empty_typeEEEZZNS1_29radix_sort_onesweep_iterationIS3_Lb0EN6thrust23THRUST_200600_302600_NS6detail15normal_iteratorINS9_10device_ptrIxEEEESE_PS5_SF_jNS0_19identity_decomposerENS1_16block_id_wrapperIjLb0EEEEE10hipError_tT1_PNSt15iterator_traitsISK_E10value_typeET2_T3_PNSL_ISQ_E10value_typeET4_T5_PSV_SW_PNS1_23onesweep_lookback_stateEbbT6_jjT7_P12ihipStream_tbENKUlT_T0_SK_SP_E_clISE_PxSF_SF_EEDaS13_S14_SK_SP_EUlS13_E_NS1_11comp_targetILNS1_3genE5ELNS1_11target_archE942ELNS1_3gpuE9ELNS1_3repE0EEENS1_47radix_sort_onesweep_sort_config_static_selectorELNS0_4arch9wavefront6targetE1EEEvSK_
	.p2align	8
	.type	_ZN7rocprim17ROCPRIM_400000_NS6detail17trampoline_kernelINS0_14default_configENS1_35radix_sort_onesweep_config_selectorIxNS0_10empty_typeEEEZZNS1_29radix_sort_onesweep_iterationIS3_Lb0EN6thrust23THRUST_200600_302600_NS6detail15normal_iteratorINS9_10device_ptrIxEEEESE_PS5_SF_jNS0_19identity_decomposerENS1_16block_id_wrapperIjLb0EEEEE10hipError_tT1_PNSt15iterator_traitsISK_E10value_typeET2_T3_PNSL_ISQ_E10value_typeET4_T5_PSV_SW_PNS1_23onesweep_lookback_stateEbbT6_jjT7_P12ihipStream_tbENKUlT_T0_SK_SP_E_clISE_PxSF_SF_EEDaS13_S14_SK_SP_EUlS13_E_NS1_11comp_targetILNS1_3genE5ELNS1_11target_archE942ELNS1_3gpuE9ELNS1_3repE0EEENS1_47radix_sort_onesweep_sort_config_static_selectorELNS0_4arch9wavefront6targetE1EEEvSK_,@function
_ZN7rocprim17ROCPRIM_400000_NS6detail17trampoline_kernelINS0_14default_configENS1_35radix_sort_onesweep_config_selectorIxNS0_10empty_typeEEEZZNS1_29radix_sort_onesweep_iterationIS3_Lb0EN6thrust23THRUST_200600_302600_NS6detail15normal_iteratorINS9_10device_ptrIxEEEESE_PS5_SF_jNS0_19identity_decomposerENS1_16block_id_wrapperIjLb0EEEEE10hipError_tT1_PNSt15iterator_traitsISK_E10value_typeET2_T3_PNSL_ISQ_E10value_typeET4_T5_PSV_SW_PNS1_23onesweep_lookback_stateEbbT6_jjT7_P12ihipStream_tbENKUlT_T0_SK_SP_E_clISE_PxSF_SF_EEDaS13_S14_SK_SP_EUlS13_E_NS1_11comp_targetILNS1_3genE5ELNS1_11target_archE942ELNS1_3gpuE9ELNS1_3repE0EEENS1_47radix_sort_onesweep_sort_config_static_selectorELNS0_4arch9wavefront6targetE1EEEvSK_: ; @_ZN7rocprim17ROCPRIM_400000_NS6detail17trampoline_kernelINS0_14default_configENS1_35radix_sort_onesweep_config_selectorIxNS0_10empty_typeEEEZZNS1_29radix_sort_onesweep_iterationIS3_Lb0EN6thrust23THRUST_200600_302600_NS6detail15normal_iteratorINS9_10device_ptrIxEEEESE_PS5_SF_jNS0_19identity_decomposerENS1_16block_id_wrapperIjLb0EEEEE10hipError_tT1_PNSt15iterator_traitsISK_E10value_typeET2_T3_PNSL_ISQ_E10value_typeET4_T5_PSV_SW_PNS1_23onesweep_lookback_stateEbbT6_jjT7_P12ihipStream_tbENKUlT_T0_SK_SP_E_clISE_PxSF_SF_EEDaS13_S14_SK_SP_EUlS13_E_NS1_11comp_targetILNS1_3genE5ELNS1_11target_archE942ELNS1_3gpuE9ELNS1_3repE0EEENS1_47radix_sort_onesweep_sort_config_static_selectorELNS0_4arch9wavefront6targetE1EEEvSK_
; %bb.0:
	.section	.rodata,"a",@progbits
	.p2align	6, 0x0
	.amdhsa_kernel _ZN7rocprim17ROCPRIM_400000_NS6detail17trampoline_kernelINS0_14default_configENS1_35radix_sort_onesweep_config_selectorIxNS0_10empty_typeEEEZZNS1_29radix_sort_onesweep_iterationIS3_Lb0EN6thrust23THRUST_200600_302600_NS6detail15normal_iteratorINS9_10device_ptrIxEEEESE_PS5_SF_jNS0_19identity_decomposerENS1_16block_id_wrapperIjLb0EEEEE10hipError_tT1_PNSt15iterator_traitsISK_E10value_typeET2_T3_PNSL_ISQ_E10value_typeET4_T5_PSV_SW_PNS1_23onesweep_lookback_stateEbbT6_jjT7_P12ihipStream_tbENKUlT_T0_SK_SP_E_clISE_PxSF_SF_EEDaS13_S14_SK_SP_EUlS13_E_NS1_11comp_targetILNS1_3genE5ELNS1_11target_archE942ELNS1_3gpuE9ELNS1_3repE0EEENS1_47radix_sort_onesweep_sort_config_static_selectorELNS0_4arch9wavefront6targetE1EEEvSK_
		.amdhsa_group_segment_fixed_size 0
		.amdhsa_private_segment_fixed_size 0
		.amdhsa_kernarg_size 88
		.amdhsa_user_sgpr_count 6
		.amdhsa_user_sgpr_private_segment_buffer 1
		.amdhsa_user_sgpr_dispatch_ptr 0
		.amdhsa_user_sgpr_queue_ptr 0
		.amdhsa_user_sgpr_kernarg_segment_ptr 1
		.amdhsa_user_sgpr_dispatch_id 0
		.amdhsa_user_sgpr_flat_scratch_init 0
		.amdhsa_user_sgpr_kernarg_preload_length 0
		.amdhsa_user_sgpr_kernarg_preload_offset 0
		.amdhsa_user_sgpr_private_segment_size 0
		.amdhsa_uses_dynamic_stack 0
		.amdhsa_system_sgpr_private_segment_wavefront_offset 0
		.amdhsa_system_sgpr_workgroup_id_x 1
		.amdhsa_system_sgpr_workgroup_id_y 0
		.amdhsa_system_sgpr_workgroup_id_z 0
		.amdhsa_system_sgpr_workgroup_info 0
		.amdhsa_system_vgpr_workitem_id 0
		.amdhsa_next_free_vgpr 1
		.amdhsa_next_free_sgpr 0
		.amdhsa_accum_offset 4
		.amdhsa_reserve_vcc 0
		.amdhsa_reserve_flat_scratch 0
		.amdhsa_float_round_mode_32 0
		.amdhsa_float_round_mode_16_64 0
		.amdhsa_float_denorm_mode_32 3
		.amdhsa_float_denorm_mode_16_64 3
		.amdhsa_dx10_clamp 1
		.amdhsa_ieee_mode 1
		.amdhsa_fp16_overflow 0
		.amdhsa_tg_split 0
		.amdhsa_exception_fp_ieee_invalid_op 0
		.amdhsa_exception_fp_denorm_src 0
		.amdhsa_exception_fp_ieee_div_zero 0
		.amdhsa_exception_fp_ieee_overflow 0
		.amdhsa_exception_fp_ieee_underflow 0
		.amdhsa_exception_fp_ieee_inexact 0
		.amdhsa_exception_int_div_zero 0
	.end_amdhsa_kernel
	.section	.text._ZN7rocprim17ROCPRIM_400000_NS6detail17trampoline_kernelINS0_14default_configENS1_35radix_sort_onesweep_config_selectorIxNS0_10empty_typeEEEZZNS1_29radix_sort_onesweep_iterationIS3_Lb0EN6thrust23THRUST_200600_302600_NS6detail15normal_iteratorINS9_10device_ptrIxEEEESE_PS5_SF_jNS0_19identity_decomposerENS1_16block_id_wrapperIjLb0EEEEE10hipError_tT1_PNSt15iterator_traitsISK_E10value_typeET2_T3_PNSL_ISQ_E10value_typeET4_T5_PSV_SW_PNS1_23onesweep_lookback_stateEbbT6_jjT7_P12ihipStream_tbENKUlT_T0_SK_SP_E_clISE_PxSF_SF_EEDaS13_S14_SK_SP_EUlS13_E_NS1_11comp_targetILNS1_3genE5ELNS1_11target_archE942ELNS1_3gpuE9ELNS1_3repE0EEENS1_47radix_sort_onesweep_sort_config_static_selectorELNS0_4arch9wavefront6targetE1EEEvSK_,"axG",@progbits,_ZN7rocprim17ROCPRIM_400000_NS6detail17trampoline_kernelINS0_14default_configENS1_35radix_sort_onesweep_config_selectorIxNS0_10empty_typeEEEZZNS1_29radix_sort_onesweep_iterationIS3_Lb0EN6thrust23THRUST_200600_302600_NS6detail15normal_iteratorINS9_10device_ptrIxEEEESE_PS5_SF_jNS0_19identity_decomposerENS1_16block_id_wrapperIjLb0EEEEE10hipError_tT1_PNSt15iterator_traitsISK_E10value_typeET2_T3_PNSL_ISQ_E10value_typeET4_T5_PSV_SW_PNS1_23onesweep_lookback_stateEbbT6_jjT7_P12ihipStream_tbENKUlT_T0_SK_SP_E_clISE_PxSF_SF_EEDaS13_S14_SK_SP_EUlS13_E_NS1_11comp_targetILNS1_3genE5ELNS1_11target_archE942ELNS1_3gpuE9ELNS1_3repE0EEENS1_47radix_sort_onesweep_sort_config_static_selectorELNS0_4arch9wavefront6targetE1EEEvSK_,comdat
.Lfunc_end1580:
	.size	_ZN7rocprim17ROCPRIM_400000_NS6detail17trampoline_kernelINS0_14default_configENS1_35radix_sort_onesweep_config_selectorIxNS0_10empty_typeEEEZZNS1_29radix_sort_onesweep_iterationIS3_Lb0EN6thrust23THRUST_200600_302600_NS6detail15normal_iteratorINS9_10device_ptrIxEEEESE_PS5_SF_jNS0_19identity_decomposerENS1_16block_id_wrapperIjLb0EEEEE10hipError_tT1_PNSt15iterator_traitsISK_E10value_typeET2_T3_PNSL_ISQ_E10value_typeET4_T5_PSV_SW_PNS1_23onesweep_lookback_stateEbbT6_jjT7_P12ihipStream_tbENKUlT_T0_SK_SP_E_clISE_PxSF_SF_EEDaS13_S14_SK_SP_EUlS13_E_NS1_11comp_targetILNS1_3genE5ELNS1_11target_archE942ELNS1_3gpuE9ELNS1_3repE0EEENS1_47radix_sort_onesweep_sort_config_static_selectorELNS0_4arch9wavefront6targetE1EEEvSK_, .Lfunc_end1580-_ZN7rocprim17ROCPRIM_400000_NS6detail17trampoline_kernelINS0_14default_configENS1_35radix_sort_onesweep_config_selectorIxNS0_10empty_typeEEEZZNS1_29radix_sort_onesweep_iterationIS3_Lb0EN6thrust23THRUST_200600_302600_NS6detail15normal_iteratorINS9_10device_ptrIxEEEESE_PS5_SF_jNS0_19identity_decomposerENS1_16block_id_wrapperIjLb0EEEEE10hipError_tT1_PNSt15iterator_traitsISK_E10value_typeET2_T3_PNSL_ISQ_E10value_typeET4_T5_PSV_SW_PNS1_23onesweep_lookback_stateEbbT6_jjT7_P12ihipStream_tbENKUlT_T0_SK_SP_E_clISE_PxSF_SF_EEDaS13_S14_SK_SP_EUlS13_E_NS1_11comp_targetILNS1_3genE5ELNS1_11target_archE942ELNS1_3gpuE9ELNS1_3repE0EEENS1_47radix_sort_onesweep_sort_config_static_selectorELNS0_4arch9wavefront6targetE1EEEvSK_
                                        ; -- End function
	.section	.AMDGPU.csdata,"",@progbits
; Kernel info:
; codeLenInByte = 0
; NumSgprs: 4
; NumVgprs: 0
; NumAgprs: 0
; TotalNumVgprs: 0
; ScratchSize: 0
; MemoryBound: 0
; FloatMode: 240
; IeeeMode: 1
; LDSByteSize: 0 bytes/workgroup (compile time only)
; SGPRBlocks: 0
; VGPRBlocks: 0
; NumSGPRsForWavesPerEU: 4
; NumVGPRsForWavesPerEU: 1
; AccumOffset: 4
; Occupancy: 8
; WaveLimiterHint : 0
; COMPUTE_PGM_RSRC2:SCRATCH_EN: 0
; COMPUTE_PGM_RSRC2:USER_SGPR: 6
; COMPUTE_PGM_RSRC2:TRAP_HANDLER: 0
; COMPUTE_PGM_RSRC2:TGID_X_EN: 1
; COMPUTE_PGM_RSRC2:TGID_Y_EN: 0
; COMPUTE_PGM_RSRC2:TGID_Z_EN: 0
; COMPUTE_PGM_RSRC2:TIDIG_COMP_CNT: 0
; COMPUTE_PGM_RSRC3_GFX90A:ACCUM_OFFSET: 0
; COMPUTE_PGM_RSRC3_GFX90A:TG_SPLIT: 0
	.section	.text._ZN7rocprim17ROCPRIM_400000_NS6detail17trampoline_kernelINS0_14default_configENS1_35radix_sort_onesweep_config_selectorIxNS0_10empty_typeEEEZZNS1_29radix_sort_onesweep_iterationIS3_Lb0EN6thrust23THRUST_200600_302600_NS6detail15normal_iteratorINS9_10device_ptrIxEEEESE_PS5_SF_jNS0_19identity_decomposerENS1_16block_id_wrapperIjLb0EEEEE10hipError_tT1_PNSt15iterator_traitsISK_E10value_typeET2_T3_PNSL_ISQ_E10value_typeET4_T5_PSV_SW_PNS1_23onesweep_lookback_stateEbbT6_jjT7_P12ihipStream_tbENKUlT_T0_SK_SP_E_clISE_PxSF_SF_EEDaS13_S14_SK_SP_EUlS13_E_NS1_11comp_targetILNS1_3genE2ELNS1_11target_archE906ELNS1_3gpuE6ELNS1_3repE0EEENS1_47radix_sort_onesweep_sort_config_static_selectorELNS0_4arch9wavefront6targetE1EEEvSK_,"axG",@progbits,_ZN7rocprim17ROCPRIM_400000_NS6detail17trampoline_kernelINS0_14default_configENS1_35radix_sort_onesweep_config_selectorIxNS0_10empty_typeEEEZZNS1_29radix_sort_onesweep_iterationIS3_Lb0EN6thrust23THRUST_200600_302600_NS6detail15normal_iteratorINS9_10device_ptrIxEEEESE_PS5_SF_jNS0_19identity_decomposerENS1_16block_id_wrapperIjLb0EEEEE10hipError_tT1_PNSt15iterator_traitsISK_E10value_typeET2_T3_PNSL_ISQ_E10value_typeET4_T5_PSV_SW_PNS1_23onesweep_lookback_stateEbbT6_jjT7_P12ihipStream_tbENKUlT_T0_SK_SP_E_clISE_PxSF_SF_EEDaS13_S14_SK_SP_EUlS13_E_NS1_11comp_targetILNS1_3genE2ELNS1_11target_archE906ELNS1_3gpuE6ELNS1_3repE0EEENS1_47radix_sort_onesweep_sort_config_static_selectorELNS0_4arch9wavefront6targetE1EEEvSK_,comdat
	.protected	_ZN7rocprim17ROCPRIM_400000_NS6detail17trampoline_kernelINS0_14default_configENS1_35radix_sort_onesweep_config_selectorIxNS0_10empty_typeEEEZZNS1_29radix_sort_onesweep_iterationIS3_Lb0EN6thrust23THRUST_200600_302600_NS6detail15normal_iteratorINS9_10device_ptrIxEEEESE_PS5_SF_jNS0_19identity_decomposerENS1_16block_id_wrapperIjLb0EEEEE10hipError_tT1_PNSt15iterator_traitsISK_E10value_typeET2_T3_PNSL_ISQ_E10value_typeET4_T5_PSV_SW_PNS1_23onesweep_lookback_stateEbbT6_jjT7_P12ihipStream_tbENKUlT_T0_SK_SP_E_clISE_PxSF_SF_EEDaS13_S14_SK_SP_EUlS13_E_NS1_11comp_targetILNS1_3genE2ELNS1_11target_archE906ELNS1_3gpuE6ELNS1_3repE0EEENS1_47radix_sort_onesweep_sort_config_static_selectorELNS0_4arch9wavefront6targetE1EEEvSK_ ; -- Begin function _ZN7rocprim17ROCPRIM_400000_NS6detail17trampoline_kernelINS0_14default_configENS1_35radix_sort_onesweep_config_selectorIxNS0_10empty_typeEEEZZNS1_29radix_sort_onesweep_iterationIS3_Lb0EN6thrust23THRUST_200600_302600_NS6detail15normal_iteratorINS9_10device_ptrIxEEEESE_PS5_SF_jNS0_19identity_decomposerENS1_16block_id_wrapperIjLb0EEEEE10hipError_tT1_PNSt15iterator_traitsISK_E10value_typeET2_T3_PNSL_ISQ_E10value_typeET4_T5_PSV_SW_PNS1_23onesweep_lookback_stateEbbT6_jjT7_P12ihipStream_tbENKUlT_T0_SK_SP_E_clISE_PxSF_SF_EEDaS13_S14_SK_SP_EUlS13_E_NS1_11comp_targetILNS1_3genE2ELNS1_11target_archE906ELNS1_3gpuE6ELNS1_3repE0EEENS1_47radix_sort_onesweep_sort_config_static_selectorELNS0_4arch9wavefront6targetE1EEEvSK_
	.globl	_ZN7rocprim17ROCPRIM_400000_NS6detail17trampoline_kernelINS0_14default_configENS1_35radix_sort_onesweep_config_selectorIxNS0_10empty_typeEEEZZNS1_29radix_sort_onesweep_iterationIS3_Lb0EN6thrust23THRUST_200600_302600_NS6detail15normal_iteratorINS9_10device_ptrIxEEEESE_PS5_SF_jNS0_19identity_decomposerENS1_16block_id_wrapperIjLb0EEEEE10hipError_tT1_PNSt15iterator_traitsISK_E10value_typeET2_T3_PNSL_ISQ_E10value_typeET4_T5_PSV_SW_PNS1_23onesweep_lookback_stateEbbT6_jjT7_P12ihipStream_tbENKUlT_T0_SK_SP_E_clISE_PxSF_SF_EEDaS13_S14_SK_SP_EUlS13_E_NS1_11comp_targetILNS1_3genE2ELNS1_11target_archE906ELNS1_3gpuE6ELNS1_3repE0EEENS1_47radix_sort_onesweep_sort_config_static_selectorELNS0_4arch9wavefront6targetE1EEEvSK_
	.p2align	8
	.type	_ZN7rocprim17ROCPRIM_400000_NS6detail17trampoline_kernelINS0_14default_configENS1_35radix_sort_onesweep_config_selectorIxNS0_10empty_typeEEEZZNS1_29radix_sort_onesweep_iterationIS3_Lb0EN6thrust23THRUST_200600_302600_NS6detail15normal_iteratorINS9_10device_ptrIxEEEESE_PS5_SF_jNS0_19identity_decomposerENS1_16block_id_wrapperIjLb0EEEEE10hipError_tT1_PNSt15iterator_traitsISK_E10value_typeET2_T3_PNSL_ISQ_E10value_typeET4_T5_PSV_SW_PNS1_23onesweep_lookback_stateEbbT6_jjT7_P12ihipStream_tbENKUlT_T0_SK_SP_E_clISE_PxSF_SF_EEDaS13_S14_SK_SP_EUlS13_E_NS1_11comp_targetILNS1_3genE2ELNS1_11target_archE906ELNS1_3gpuE6ELNS1_3repE0EEENS1_47radix_sort_onesweep_sort_config_static_selectorELNS0_4arch9wavefront6targetE1EEEvSK_,@function
_ZN7rocprim17ROCPRIM_400000_NS6detail17trampoline_kernelINS0_14default_configENS1_35radix_sort_onesweep_config_selectorIxNS0_10empty_typeEEEZZNS1_29radix_sort_onesweep_iterationIS3_Lb0EN6thrust23THRUST_200600_302600_NS6detail15normal_iteratorINS9_10device_ptrIxEEEESE_PS5_SF_jNS0_19identity_decomposerENS1_16block_id_wrapperIjLb0EEEEE10hipError_tT1_PNSt15iterator_traitsISK_E10value_typeET2_T3_PNSL_ISQ_E10value_typeET4_T5_PSV_SW_PNS1_23onesweep_lookback_stateEbbT6_jjT7_P12ihipStream_tbENKUlT_T0_SK_SP_E_clISE_PxSF_SF_EEDaS13_S14_SK_SP_EUlS13_E_NS1_11comp_targetILNS1_3genE2ELNS1_11target_archE906ELNS1_3gpuE6ELNS1_3repE0EEENS1_47radix_sort_onesweep_sort_config_static_selectorELNS0_4arch9wavefront6targetE1EEEvSK_: ; @_ZN7rocprim17ROCPRIM_400000_NS6detail17trampoline_kernelINS0_14default_configENS1_35radix_sort_onesweep_config_selectorIxNS0_10empty_typeEEEZZNS1_29radix_sort_onesweep_iterationIS3_Lb0EN6thrust23THRUST_200600_302600_NS6detail15normal_iteratorINS9_10device_ptrIxEEEESE_PS5_SF_jNS0_19identity_decomposerENS1_16block_id_wrapperIjLb0EEEEE10hipError_tT1_PNSt15iterator_traitsISK_E10value_typeET2_T3_PNSL_ISQ_E10value_typeET4_T5_PSV_SW_PNS1_23onesweep_lookback_stateEbbT6_jjT7_P12ihipStream_tbENKUlT_T0_SK_SP_E_clISE_PxSF_SF_EEDaS13_S14_SK_SP_EUlS13_E_NS1_11comp_targetILNS1_3genE2ELNS1_11target_archE906ELNS1_3gpuE6ELNS1_3repE0EEENS1_47radix_sort_onesweep_sort_config_static_selectorELNS0_4arch9wavefront6targetE1EEEvSK_
; %bb.0:
	.section	.rodata,"a",@progbits
	.p2align	6, 0x0
	.amdhsa_kernel _ZN7rocprim17ROCPRIM_400000_NS6detail17trampoline_kernelINS0_14default_configENS1_35radix_sort_onesweep_config_selectorIxNS0_10empty_typeEEEZZNS1_29radix_sort_onesweep_iterationIS3_Lb0EN6thrust23THRUST_200600_302600_NS6detail15normal_iteratorINS9_10device_ptrIxEEEESE_PS5_SF_jNS0_19identity_decomposerENS1_16block_id_wrapperIjLb0EEEEE10hipError_tT1_PNSt15iterator_traitsISK_E10value_typeET2_T3_PNSL_ISQ_E10value_typeET4_T5_PSV_SW_PNS1_23onesweep_lookback_stateEbbT6_jjT7_P12ihipStream_tbENKUlT_T0_SK_SP_E_clISE_PxSF_SF_EEDaS13_S14_SK_SP_EUlS13_E_NS1_11comp_targetILNS1_3genE2ELNS1_11target_archE906ELNS1_3gpuE6ELNS1_3repE0EEENS1_47radix_sort_onesweep_sort_config_static_selectorELNS0_4arch9wavefront6targetE1EEEvSK_
		.amdhsa_group_segment_fixed_size 0
		.amdhsa_private_segment_fixed_size 0
		.amdhsa_kernarg_size 88
		.amdhsa_user_sgpr_count 6
		.amdhsa_user_sgpr_private_segment_buffer 1
		.amdhsa_user_sgpr_dispatch_ptr 0
		.amdhsa_user_sgpr_queue_ptr 0
		.amdhsa_user_sgpr_kernarg_segment_ptr 1
		.amdhsa_user_sgpr_dispatch_id 0
		.amdhsa_user_sgpr_flat_scratch_init 0
		.amdhsa_user_sgpr_kernarg_preload_length 0
		.amdhsa_user_sgpr_kernarg_preload_offset 0
		.amdhsa_user_sgpr_private_segment_size 0
		.amdhsa_uses_dynamic_stack 0
		.amdhsa_system_sgpr_private_segment_wavefront_offset 0
		.amdhsa_system_sgpr_workgroup_id_x 1
		.amdhsa_system_sgpr_workgroup_id_y 0
		.amdhsa_system_sgpr_workgroup_id_z 0
		.amdhsa_system_sgpr_workgroup_info 0
		.amdhsa_system_vgpr_workitem_id 0
		.amdhsa_next_free_vgpr 1
		.amdhsa_next_free_sgpr 0
		.amdhsa_accum_offset 4
		.amdhsa_reserve_vcc 0
		.amdhsa_reserve_flat_scratch 0
		.amdhsa_float_round_mode_32 0
		.amdhsa_float_round_mode_16_64 0
		.amdhsa_float_denorm_mode_32 3
		.amdhsa_float_denorm_mode_16_64 3
		.amdhsa_dx10_clamp 1
		.amdhsa_ieee_mode 1
		.amdhsa_fp16_overflow 0
		.amdhsa_tg_split 0
		.amdhsa_exception_fp_ieee_invalid_op 0
		.amdhsa_exception_fp_denorm_src 0
		.amdhsa_exception_fp_ieee_div_zero 0
		.amdhsa_exception_fp_ieee_overflow 0
		.amdhsa_exception_fp_ieee_underflow 0
		.amdhsa_exception_fp_ieee_inexact 0
		.amdhsa_exception_int_div_zero 0
	.end_amdhsa_kernel
	.section	.text._ZN7rocprim17ROCPRIM_400000_NS6detail17trampoline_kernelINS0_14default_configENS1_35radix_sort_onesweep_config_selectorIxNS0_10empty_typeEEEZZNS1_29radix_sort_onesweep_iterationIS3_Lb0EN6thrust23THRUST_200600_302600_NS6detail15normal_iteratorINS9_10device_ptrIxEEEESE_PS5_SF_jNS0_19identity_decomposerENS1_16block_id_wrapperIjLb0EEEEE10hipError_tT1_PNSt15iterator_traitsISK_E10value_typeET2_T3_PNSL_ISQ_E10value_typeET4_T5_PSV_SW_PNS1_23onesweep_lookback_stateEbbT6_jjT7_P12ihipStream_tbENKUlT_T0_SK_SP_E_clISE_PxSF_SF_EEDaS13_S14_SK_SP_EUlS13_E_NS1_11comp_targetILNS1_3genE2ELNS1_11target_archE906ELNS1_3gpuE6ELNS1_3repE0EEENS1_47radix_sort_onesweep_sort_config_static_selectorELNS0_4arch9wavefront6targetE1EEEvSK_,"axG",@progbits,_ZN7rocprim17ROCPRIM_400000_NS6detail17trampoline_kernelINS0_14default_configENS1_35radix_sort_onesweep_config_selectorIxNS0_10empty_typeEEEZZNS1_29radix_sort_onesweep_iterationIS3_Lb0EN6thrust23THRUST_200600_302600_NS6detail15normal_iteratorINS9_10device_ptrIxEEEESE_PS5_SF_jNS0_19identity_decomposerENS1_16block_id_wrapperIjLb0EEEEE10hipError_tT1_PNSt15iterator_traitsISK_E10value_typeET2_T3_PNSL_ISQ_E10value_typeET4_T5_PSV_SW_PNS1_23onesweep_lookback_stateEbbT6_jjT7_P12ihipStream_tbENKUlT_T0_SK_SP_E_clISE_PxSF_SF_EEDaS13_S14_SK_SP_EUlS13_E_NS1_11comp_targetILNS1_3genE2ELNS1_11target_archE906ELNS1_3gpuE6ELNS1_3repE0EEENS1_47radix_sort_onesweep_sort_config_static_selectorELNS0_4arch9wavefront6targetE1EEEvSK_,comdat
.Lfunc_end1581:
	.size	_ZN7rocprim17ROCPRIM_400000_NS6detail17trampoline_kernelINS0_14default_configENS1_35radix_sort_onesweep_config_selectorIxNS0_10empty_typeEEEZZNS1_29radix_sort_onesweep_iterationIS3_Lb0EN6thrust23THRUST_200600_302600_NS6detail15normal_iteratorINS9_10device_ptrIxEEEESE_PS5_SF_jNS0_19identity_decomposerENS1_16block_id_wrapperIjLb0EEEEE10hipError_tT1_PNSt15iterator_traitsISK_E10value_typeET2_T3_PNSL_ISQ_E10value_typeET4_T5_PSV_SW_PNS1_23onesweep_lookback_stateEbbT6_jjT7_P12ihipStream_tbENKUlT_T0_SK_SP_E_clISE_PxSF_SF_EEDaS13_S14_SK_SP_EUlS13_E_NS1_11comp_targetILNS1_3genE2ELNS1_11target_archE906ELNS1_3gpuE6ELNS1_3repE0EEENS1_47radix_sort_onesweep_sort_config_static_selectorELNS0_4arch9wavefront6targetE1EEEvSK_, .Lfunc_end1581-_ZN7rocprim17ROCPRIM_400000_NS6detail17trampoline_kernelINS0_14default_configENS1_35radix_sort_onesweep_config_selectorIxNS0_10empty_typeEEEZZNS1_29radix_sort_onesweep_iterationIS3_Lb0EN6thrust23THRUST_200600_302600_NS6detail15normal_iteratorINS9_10device_ptrIxEEEESE_PS5_SF_jNS0_19identity_decomposerENS1_16block_id_wrapperIjLb0EEEEE10hipError_tT1_PNSt15iterator_traitsISK_E10value_typeET2_T3_PNSL_ISQ_E10value_typeET4_T5_PSV_SW_PNS1_23onesweep_lookback_stateEbbT6_jjT7_P12ihipStream_tbENKUlT_T0_SK_SP_E_clISE_PxSF_SF_EEDaS13_S14_SK_SP_EUlS13_E_NS1_11comp_targetILNS1_3genE2ELNS1_11target_archE906ELNS1_3gpuE6ELNS1_3repE0EEENS1_47radix_sort_onesweep_sort_config_static_selectorELNS0_4arch9wavefront6targetE1EEEvSK_
                                        ; -- End function
	.section	.AMDGPU.csdata,"",@progbits
; Kernel info:
; codeLenInByte = 0
; NumSgprs: 4
; NumVgprs: 0
; NumAgprs: 0
; TotalNumVgprs: 0
; ScratchSize: 0
; MemoryBound: 0
; FloatMode: 240
; IeeeMode: 1
; LDSByteSize: 0 bytes/workgroup (compile time only)
; SGPRBlocks: 0
; VGPRBlocks: 0
; NumSGPRsForWavesPerEU: 4
; NumVGPRsForWavesPerEU: 1
; AccumOffset: 4
; Occupancy: 8
; WaveLimiterHint : 0
; COMPUTE_PGM_RSRC2:SCRATCH_EN: 0
; COMPUTE_PGM_RSRC2:USER_SGPR: 6
; COMPUTE_PGM_RSRC2:TRAP_HANDLER: 0
; COMPUTE_PGM_RSRC2:TGID_X_EN: 1
; COMPUTE_PGM_RSRC2:TGID_Y_EN: 0
; COMPUTE_PGM_RSRC2:TGID_Z_EN: 0
; COMPUTE_PGM_RSRC2:TIDIG_COMP_CNT: 0
; COMPUTE_PGM_RSRC3_GFX90A:ACCUM_OFFSET: 0
; COMPUTE_PGM_RSRC3_GFX90A:TG_SPLIT: 0
	.section	.text._ZN7rocprim17ROCPRIM_400000_NS6detail17trampoline_kernelINS0_14default_configENS1_35radix_sort_onesweep_config_selectorIxNS0_10empty_typeEEEZZNS1_29radix_sort_onesweep_iterationIS3_Lb0EN6thrust23THRUST_200600_302600_NS6detail15normal_iteratorINS9_10device_ptrIxEEEESE_PS5_SF_jNS0_19identity_decomposerENS1_16block_id_wrapperIjLb0EEEEE10hipError_tT1_PNSt15iterator_traitsISK_E10value_typeET2_T3_PNSL_ISQ_E10value_typeET4_T5_PSV_SW_PNS1_23onesweep_lookback_stateEbbT6_jjT7_P12ihipStream_tbENKUlT_T0_SK_SP_E_clISE_PxSF_SF_EEDaS13_S14_SK_SP_EUlS13_E_NS1_11comp_targetILNS1_3genE4ELNS1_11target_archE910ELNS1_3gpuE8ELNS1_3repE0EEENS1_47radix_sort_onesweep_sort_config_static_selectorELNS0_4arch9wavefront6targetE1EEEvSK_,"axG",@progbits,_ZN7rocprim17ROCPRIM_400000_NS6detail17trampoline_kernelINS0_14default_configENS1_35radix_sort_onesweep_config_selectorIxNS0_10empty_typeEEEZZNS1_29radix_sort_onesweep_iterationIS3_Lb0EN6thrust23THRUST_200600_302600_NS6detail15normal_iteratorINS9_10device_ptrIxEEEESE_PS5_SF_jNS0_19identity_decomposerENS1_16block_id_wrapperIjLb0EEEEE10hipError_tT1_PNSt15iterator_traitsISK_E10value_typeET2_T3_PNSL_ISQ_E10value_typeET4_T5_PSV_SW_PNS1_23onesweep_lookback_stateEbbT6_jjT7_P12ihipStream_tbENKUlT_T0_SK_SP_E_clISE_PxSF_SF_EEDaS13_S14_SK_SP_EUlS13_E_NS1_11comp_targetILNS1_3genE4ELNS1_11target_archE910ELNS1_3gpuE8ELNS1_3repE0EEENS1_47radix_sort_onesweep_sort_config_static_selectorELNS0_4arch9wavefront6targetE1EEEvSK_,comdat
	.protected	_ZN7rocprim17ROCPRIM_400000_NS6detail17trampoline_kernelINS0_14default_configENS1_35radix_sort_onesweep_config_selectorIxNS0_10empty_typeEEEZZNS1_29radix_sort_onesweep_iterationIS3_Lb0EN6thrust23THRUST_200600_302600_NS6detail15normal_iteratorINS9_10device_ptrIxEEEESE_PS5_SF_jNS0_19identity_decomposerENS1_16block_id_wrapperIjLb0EEEEE10hipError_tT1_PNSt15iterator_traitsISK_E10value_typeET2_T3_PNSL_ISQ_E10value_typeET4_T5_PSV_SW_PNS1_23onesweep_lookback_stateEbbT6_jjT7_P12ihipStream_tbENKUlT_T0_SK_SP_E_clISE_PxSF_SF_EEDaS13_S14_SK_SP_EUlS13_E_NS1_11comp_targetILNS1_3genE4ELNS1_11target_archE910ELNS1_3gpuE8ELNS1_3repE0EEENS1_47radix_sort_onesweep_sort_config_static_selectorELNS0_4arch9wavefront6targetE1EEEvSK_ ; -- Begin function _ZN7rocprim17ROCPRIM_400000_NS6detail17trampoline_kernelINS0_14default_configENS1_35radix_sort_onesweep_config_selectorIxNS0_10empty_typeEEEZZNS1_29radix_sort_onesweep_iterationIS3_Lb0EN6thrust23THRUST_200600_302600_NS6detail15normal_iteratorINS9_10device_ptrIxEEEESE_PS5_SF_jNS0_19identity_decomposerENS1_16block_id_wrapperIjLb0EEEEE10hipError_tT1_PNSt15iterator_traitsISK_E10value_typeET2_T3_PNSL_ISQ_E10value_typeET4_T5_PSV_SW_PNS1_23onesweep_lookback_stateEbbT6_jjT7_P12ihipStream_tbENKUlT_T0_SK_SP_E_clISE_PxSF_SF_EEDaS13_S14_SK_SP_EUlS13_E_NS1_11comp_targetILNS1_3genE4ELNS1_11target_archE910ELNS1_3gpuE8ELNS1_3repE0EEENS1_47radix_sort_onesweep_sort_config_static_selectorELNS0_4arch9wavefront6targetE1EEEvSK_
	.globl	_ZN7rocprim17ROCPRIM_400000_NS6detail17trampoline_kernelINS0_14default_configENS1_35radix_sort_onesweep_config_selectorIxNS0_10empty_typeEEEZZNS1_29radix_sort_onesweep_iterationIS3_Lb0EN6thrust23THRUST_200600_302600_NS6detail15normal_iteratorINS9_10device_ptrIxEEEESE_PS5_SF_jNS0_19identity_decomposerENS1_16block_id_wrapperIjLb0EEEEE10hipError_tT1_PNSt15iterator_traitsISK_E10value_typeET2_T3_PNSL_ISQ_E10value_typeET4_T5_PSV_SW_PNS1_23onesweep_lookback_stateEbbT6_jjT7_P12ihipStream_tbENKUlT_T0_SK_SP_E_clISE_PxSF_SF_EEDaS13_S14_SK_SP_EUlS13_E_NS1_11comp_targetILNS1_3genE4ELNS1_11target_archE910ELNS1_3gpuE8ELNS1_3repE0EEENS1_47radix_sort_onesweep_sort_config_static_selectorELNS0_4arch9wavefront6targetE1EEEvSK_
	.p2align	8
	.type	_ZN7rocprim17ROCPRIM_400000_NS6detail17trampoline_kernelINS0_14default_configENS1_35radix_sort_onesweep_config_selectorIxNS0_10empty_typeEEEZZNS1_29radix_sort_onesweep_iterationIS3_Lb0EN6thrust23THRUST_200600_302600_NS6detail15normal_iteratorINS9_10device_ptrIxEEEESE_PS5_SF_jNS0_19identity_decomposerENS1_16block_id_wrapperIjLb0EEEEE10hipError_tT1_PNSt15iterator_traitsISK_E10value_typeET2_T3_PNSL_ISQ_E10value_typeET4_T5_PSV_SW_PNS1_23onesweep_lookback_stateEbbT6_jjT7_P12ihipStream_tbENKUlT_T0_SK_SP_E_clISE_PxSF_SF_EEDaS13_S14_SK_SP_EUlS13_E_NS1_11comp_targetILNS1_3genE4ELNS1_11target_archE910ELNS1_3gpuE8ELNS1_3repE0EEENS1_47radix_sort_onesweep_sort_config_static_selectorELNS0_4arch9wavefront6targetE1EEEvSK_,@function
_ZN7rocprim17ROCPRIM_400000_NS6detail17trampoline_kernelINS0_14default_configENS1_35radix_sort_onesweep_config_selectorIxNS0_10empty_typeEEEZZNS1_29radix_sort_onesweep_iterationIS3_Lb0EN6thrust23THRUST_200600_302600_NS6detail15normal_iteratorINS9_10device_ptrIxEEEESE_PS5_SF_jNS0_19identity_decomposerENS1_16block_id_wrapperIjLb0EEEEE10hipError_tT1_PNSt15iterator_traitsISK_E10value_typeET2_T3_PNSL_ISQ_E10value_typeET4_T5_PSV_SW_PNS1_23onesweep_lookback_stateEbbT6_jjT7_P12ihipStream_tbENKUlT_T0_SK_SP_E_clISE_PxSF_SF_EEDaS13_S14_SK_SP_EUlS13_E_NS1_11comp_targetILNS1_3genE4ELNS1_11target_archE910ELNS1_3gpuE8ELNS1_3repE0EEENS1_47radix_sort_onesweep_sort_config_static_selectorELNS0_4arch9wavefront6targetE1EEEvSK_: ; @_ZN7rocprim17ROCPRIM_400000_NS6detail17trampoline_kernelINS0_14default_configENS1_35radix_sort_onesweep_config_selectorIxNS0_10empty_typeEEEZZNS1_29radix_sort_onesweep_iterationIS3_Lb0EN6thrust23THRUST_200600_302600_NS6detail15normal_iteratorINS9_10device_ptrIxEEEESE_PS5_SF_jNS0_19identity_decomposerENS1_16block_id_wrapperIjLb0EEEEE10hipError_tT1_PNSt15iterator_traitsISK_E10value_typeET2_T3_PNSL_ISQ_E10value_typeET4_T5_PSV_SW_PNS1_23onesweep_lookback_stateEbbT6_jjT7_P12ihipStream_tbENKUlT_T0_SK_SP_E_clISE_PxSF_SF_EEDaS13_S14_SK_SP_EUlS13_E_NS1_11comp_targetILNS1_3genE4ELNS1_11target_archE910ELNS1_3gpuE8ELNS1_3repE0EEENS1_47radix_sort_onesweep_sort_config_static_selectorELNS0_4arch9wavefront6targetE1EEEvSK_
; %bb.0:
	s_load_dwordx2 s[24:25], s[4:5], 0x38
	s_load_dwordx4 s[16:19], s[4:5], 0x44
	s_load_dwordx4 s[20:23], s[4:5], 0x0
	;; [unrolled: 1-line block ×3, first 2 shown]
	v_mbcnt_lo_u32_b32 v1, -1, 0
	s_waitcnt lgkmcnt(0)
	s_cmp_ge_u32 s6, s18
	s_cbranch_scc0 .LBB1582_59
; %bb.1:
	s_load_dword s2, s[4:5], 0x20
	s_lshl_b32 s3, s18, 13
	s_lshl_b32 s0, s6, 13
	s_mov_b32 s1, 0
	s_lshl_b64 s[0:1], s[0:1], 3
	s_waitcnt lgkmcnt(0)
	s_sub_i32 s7, s2, s3
	v_mbcnt_hi_u32_b32 v24, -1, v1
	v_and_b32_e32 v2, 0x3ff, v0
	s_add_u32 s2, s20, s0
	v_and_b32_e32 v4, 63, v24
	s_addc_u32 s3, s21, s1
	v_lshlrev_b32_e32 v3, 3, v2
	v_lshlrev_b32_e32 v6, 3, v4
	v_and_b32_e32 v5, 0x1e00, v3
	v_mov_b32_e32 v7, s3
	v_add_co_u32_e32 v6, vcc, s2, v6
	v_addc_co_u32_e32 v7, vcc, 0, v7, vcc
	v_lshlrev_b32_e32 v8, 3, v5
	s_mov_b32 s0, -1
	v_add_co_u32_e32 v20, vcc, v6, v8
	s_brev_b32 s1, -2
	v_addc_co_u32_e32 v21, vcc, 0, v7, vcc
	v_or_b32_e32 v18, v4, v5
	v_cmp_gt_u32_e32 vcc, s7, v18
	v_pk_mov_b32 v[4:5], s[0:1], s[0:1] op_sel:[0,1]
	s_and_saveexec_b64 s[2:3], vcc
	s_cbranch_execz .LBB1582_3
; %bb.2:
	global_load_dwordx2 v[4:5], v[20:21], off
.LBB1582_3:
	s_or_b64 exec, exec, s[2:3]
	v_or_b32_e32 v6, 64, v18
	v_cmp_gt_u32_e32 vcc, s7, v6
	v_pk_mov_b32 v[6:7], s[0:1], s[0:1] op_sel:[0,1]
	s_and_saveexec_b64 s[0:1], vcc
	s_cbranch_execz .LBB1582_5
; %bb.4:
	global_load_dwordx2 v[6:7], v[20:21], off offset:512
.LBB1582_5:
	s_or_b64 exec, exec, s[0:1]
	s_mov_b32 s0, -1
	v_or_b32_e32 v8, 0x80, v18
	s_brev_b32 s1, -2
	v_cmp_gt_u32_e32 vcc, s7, v8
	v_pk_mov_b32 v[8:9], s[0:1], s[0:1] op_sel:[0,1]
	s_and_saveexec_b64 s[2:3], vcc
	s_cbranch_execz .LBB1582_7
; %bb.6:
	global_load_dwordx2 v[8:9], v[20:21], off offset:1024
.LBB1582_7:
	s_or_b64 exec, exec, s[2:3]
	v_or_b32_e32 v10, 0xc0, v18
	v_cmp_gt_u32_e32 vcc, s7, v10
	v_pk_mov_b32 v[10:11], s[0:1], s[0:1] op_sel:[0,1]
	s_and_saveexec_b64 s[0:1], vcc
	s_cbranch_execz .LBB1582_9
; %bb.8:
	global_load_dwordx2 v[10:11], v[20:21], off offset:1536
.LBB1582_9:
	s_or_b64 exec, exec, s[0:1]
	s_mov_b32 s0, -1
	v_or_b32_e32 v12, 0x100, v18
	s_brev_b32 s1, -2
	v_cmp_gt_u32_e32 vcc, s7, v12
	v_pk_mov_b32 v[12:13], s[0:1], s[0:1] op_sel:[0,1]
	s_and_saveexec_b64 s[2:3], vcc
	s_cbranch_execz .LBB1582_11
; %bb.10:
	global_load_dwordx2 v[12:13], v[20:21], off offset:2048
.LBB1582_11:
	;; [unrolled: 20-line block ×3, first 2 shown]
	s_or_b64 exec, exec, s[2:3]
	v_or_b32_e32 v18, 0x1c0, v18
	v_cmp_gt_u32_e32 vcc, s7, v18
	v_pk_mov_b32 v[18:19], s[0:1], s[0:1] op_sel:[0,1]
	s_and_saveexec_b64 s[0:1], vcc
	s_cbranch_execz .LBB1582_17
; %bb.16:
	global_load_dwordx2 v[18:19], v[20:21], off offset:3584
.LBB1582_17:
	s_or_b64 exec, exec, s[0:1]
	s_load_dword s0, s[4:5], 0x64
	s_load_dword s26, s[4:5], 0x58
	s_add_u32 s1, s4, 0x58
	s_addc_u32 s2, s5, 0
	v_mov_b32_e32 v20, 0
	s_waitcnt lgkmcnt(0)
	s_lshr_b32 s3, s0, 16
	s_cmp_lt_u32 s6, s26
	s_cselect_b32 s0, 12, 18
	s_add_u32 s0, s1, s0
	s_addc_u32 s1, s2, 0
	global_load_ushort v26, v20, s[0:1]
	s_waitcnt vmcnt(1)
	v_xor_b32_e32 v5, 0x80000000, v5
	v_mul_u32_u24_e32 v22, 5, v2
	s_lshl_b32 s0, -1, s17
	v_lshlrev_b32_e32 v25, 2, v22
	v_lshrrev_b64 v[22:23], s16, v[4:5]
	s_not_b32 s27, s0
	v_and_b32_e32 v22, s27, v22
	v_and_b32_e32 v28, 1, v22
	v_bfe_u32 v21, v0, 10, 10
	v_bfe_u32 v27, v0, 20, 10
	v_add_co_u32_e32 v29, vcc, -1, v28
	v_mad_u32_u24 v23, v27, s3, v21
	v_lshlrev_b32_e32 v21, 30, v22
	v_addc_co_u32_e64 v30, s[0:1], 0, -1, vcc
	v_cmp_ne_u32_e32 vcc, 0, v28
	v_cmp_gt_i64_e64 s[0:1], 0, v[20:21]
	v_not_b32_e32 v28, v21
	v_lshlrev_b32_e32 v21, 29, v22
	v_xor_b32_e32 v30, vcc_hi, v30
	v_xor_b32_e32 v29, vcc_lo, v29
	v_ashrrev_i32_e32 v28, 31, v28
	v_cmp_gt_i64_e32 vcc, 0, v[20:21]
	v_not_b32_e32 v31, v21
	v_lshlrev_b32_e32 v21, 28, v22
	v_and_b32_e32 v30, exec_hi, v30
	v_and_b32_e32 v29, exec_lo, v29
	v_xor_b32_e32 v32, s1, v28
	v_xor_b32_e32 v28, s0, v28
	v_ashrrev_i32_e32 v31, 31, v31
	v_cmp_gt_i64_e64 s[0:1], 0, v[20:21]
	v_not_b32_e32 v33, v21
	v_lshlrev_b32_e32 v21, 27, v22
	v_and_b32_e32 v30, v30, v32
	v_and_b32_e32 v28, v29, v28
	v_xor_b32_e32 v29, vcc_hi, v31
	v_xor_b32_e32 v31, vcc_lo, v31
	v_ashrrev_i32_e32 v32, 31, v33
	v_cmp_gt_i64_e32 vcc, 0, v[20:21]
	v_not_b32_e32 v33, v21
	v_lshlrev_b32_e32 v21, 26, v22
	v_and_b32_e32 v29, v30, v29
	v_and_b32_e32 v28, v28, v31
	v_xor_b32_e32 v30, s1, v32
	v_xor_b32_e32 v31, s0, v32
	v_ashrrev_i32_e32 v32, 31, v33
	v_cmp_gt_i64_e64 s[0:1], 0, v[20:21]
	v_not_b32_e32 v33, v21
	v_lshlrev_b32_e32 v21, 25, v22
	v_and_b32_e32 v29, v29, v30
	v_and_b32_e32 v28, v28, v31
	v_xor_b32_e32 v30, vcc_hi, v32
	v_xor_b32_e32 v31, vcc_lo, v32
	v_ashrrev_i32_e32 v32, 31, v33
	v_not_b32_e32 v33, v21
	v_lshl_add_u32 v27, v22, 4, v22
	v_cmp_gt_i64_e32 vcc, 0, v[20:21]
	v_lshlrev_b32_e32 v21, 24, v22
	v_and_b32_e32 v22, v29, v30
	v_and_b32_e32 v28, v28, v31
	v_xor_b32_e32 v29, s1, v32
	v_ashrrev_i32_e32 v31, 31, v33
	v_xor_b32_e32 v30, s0, v32
	v_cmp_gt_i64_e64 s[0:1], 0, v[20:21]
	v_not_b32_e32 v21, v21
	v_and_b32_e32 v22, v22, v29
	v_xor_b32_e32 v29, vcc_hi, v31
	v_and_b32_e32 v28, v28, v30
	v_xor_b32_e32 v30, vcc_lo, v31
	v_and_b32_e32 v29, v22, v29
	v_ashrrev_i32_e32 v21, 31, v21
	v_and_b32_e32 v28, v28, v30
	ds_write2_b32 v25, v20, v20 offset0:16 offset1:17
	ds_write2_b32 v25, v20, v20 offset0:18 offset1:19
	ds_write_b32 v25, v20 offset:80
	s_waitcnt lgkmcnt(0)
	s_barrier
	s_waitcnt lgkmcnt(0)
	; wave barrier
	s_waitcnt vmcnt(0)
	v_mad_u64_u32 v[22:23], s[2:3], v23, v26, v[2:3]
	v_lshrrev_b32_e32 v37, 6, v22
	v_xor_b32_e32 v22, s1, v21
	v_xor_b32_e32 v21, s0, v21
	v_and_b32_e32 v23, v29, v22
	v_and_b32_e32 v22, v28, v21
	v_mbcnt_lo_u32_b32 v21, v22, 0
	v_mbcnt_hi_u32_b32 v26, v23, v21
	v_cmp_eq_u32_e32 vcc, 0, v26
	v_cmp_ne_u64_e64 s[0:1], 0, v[22:23]
	v_add_lshl_u32 v30, v37, v27, 2
	s_and_b64 s[2:3], s[0:1], vcc
	s_and_saveexec_b64 s[0:1], s[2:3]
	s_cbranch_execz .LBB1582_19
; %bb.18:
	v_bcnt_u32_b32 v21, v22, 0
	v_bcnt_u32_b32 v21, v23, v21
	ds_write_b32 v30, v21 offset:64
.LBB1582_19:
	s_or_b64 exec, exec, s[0:1]
	v_xor_b32_e32 v7, 0x80000000, v7
	v_lshrrev_b64 v[22:23], s16, v[6:7]
	v_and_b32_e32 v22, s27, v22
	v_lshl_add_u32 v21, v22, 4, v22
	v_add_lshl_u32 v31, v37, v21, 2
	v_and_b32_e32 v21, 1, v22
	v_add_co_u32_e32 v23, vcc, -1, v21
	v_addc_co_u32_e64 v28, s[0:1], 0, -1, vcc
	v_cmp_ne_u32_e32 vcc, 0, v21
	v_xor_b32_e32 v21, vcc_hi, v28
	v_and_b32_e32 v28, exec_hi, v21
	v_lshlrev_b32_e32 v21, 30, v22
	v_xor_b32_e32 v23, vcc_lo, v23
	v_cmp_gt_i64_e32 vcc, 0, v[20:21]
	v_not_b32_e32 v21, v21
	v_ashrrev_i32_e32 v21, 31, v21
	v_and_b32_e32 v23, exec_lo, v23
	v_xor_b32_e32 v29, vcc_hi, v21
	v_xor_b32_e32 v21, vcc_lo, v21
	v_and_b32_e32 v23, v23, v21
	v_lshlrev_b32_e32 v21, 29, v22
	v_cmp_gt_i64_e32 vcc, 0, v[20:21]
	v_not_b32_e32 v21, v21
	v_ashrrev_i32_e32 v21, 31, v21
	v_and_b32_e32 v28, v28, v29
	v_xor_b32_e32 v29, vcc_hi, v21
	v_xor_b32_e32 v21, vcc_lo, v21
	v_and_b32_e32 v23, v23, v21
	v_lshlrev_b32_e32 v21, 28, v22
	v_cmp_gt_i64_e32 vcc, 0, v[20:21]
	v_not_b32_e32 v21, v21
	v_ashrrev_i32_e32 v21, 31, v21
	v_and_b32_e32 v28, v28, v29
	;; [unrolled: 8-line block ×5, first 2 shown]
	v_xor_b32_e32 v29, vcc_hi, v21
	v_xor_b32_e32 v21, vcc_lo, v21
	v_and_b32_e32 v23, v23, v21
	v_lshlrev_b32_e32 v21, 24, v22
	v_cmp_gt_i64_e32 vcc, 0, v[20:21]
	v_not_b32_e32 v20, v21
	v_ashrrev_i32_e32 v20, 31, v20
	v_xor_b32_e32 v21, vcc_hi, v20
	v_xor_b32_e32 v20, vcc_lo, v20
	; wave barrier
	ds_read_b32 v27, v31 offset:64
	v_and_b32_e32 v28, v28, v29
	v_and_b32_e32 v20, v23, v20
	;; [unrolled: 1-line block ×3, first 2 shown]
	v_mbcnt_lo_u32_b32 v22, v20, 0
	v_mbcnt_hi_u32_b32 v28, v21, v22
	v_cmp_eq_u32_e32 vcc, 0, v28
	v_cmp_ne_u64_e64 s[0:1], 0, v[20:21]
	s_and_b64 s[2:3], s[0:1], vcc
	; wave barrier
	s_and_saveexec_b64 s[0:1], s[2:3]
	s_cbranch_execz .LBB1582_21
; %bb.20:
	v_bcnt_u32_b32 v20, v20, 0
	v_bcnt_u32_b32 v20, v21, v20
	s_waitcnt lgkmcnt(0)
	v_add_u32_e32 v20, v27, v20
	ds_write_b32 v31, v20 offset:64
.LBB1582_21:
	s_or_b64 exec, exec, s[0:1]
	v_xor_b32_e32 v9, 0x80000000, v9
	v_lshrrev_b64 v[20:21], s16, v[8:9]
	v_and_b32_e32 v22, s27, v20
	v_and_b32_e32 v21, 1, v22
	v_add_co_u32_e32 v23, vcc, -1, v21
	v_addc_co_u32_e64 v32, s[0:1], 0, -1, vcc
	v_cmp_ne_u32_e32 vcc, 0, v21
	v_lshl_add_u32 v20, v22, 4, v22
	v_xor_b32_e32 v21, vcc_hi, v32
	v_add_lshl_u32 v34, v37, v20, 2
	v_mov_b32_e32 v20, 0
	v_and_b32_e32 v32, exec_hi, v21
	v_lshlrev_b32_e32 v21, 30, v22
	v_xor_b32_e32 v23, vcc_lo, v23
	v_cmp_gt_i64_e32 vcc, 0, v[20:21]
	v_not_b32_e32 v21, v21
	v_ashrrev_i32_e32 v21, 31, v21
	v_and_b32_e32 v23, exec_lo, v23
	v_xor_b32_e32 v33, vcc_hi, v21
	v_xor_b32_e32 v21, vcc_lo, v21
	v_and_b32_e32 v23, v23, v21
	v_lshlrev_b32_e32 v21, 29, v22
	v_cmp_gt_i64_e32 vcc, 0, v[20:21]
	v_not_b32_e32 v21, v21
	v_ashrrev_i32_e32 v21, 31, v21
	v_and_b32_e32 v32, v32, v33
	v_xor_b32_e32 v33, vcc_hi, v21
	v_xor_b32_e32 v21, vcc_lo, v21
	v_and_b32_e32 v23, v23, v21
	v_lshlrev_b32_e32 v21, 28, v22
	v_cmp_gt_i64_e32 vcc, 0, v[20:21]
	v_not_b32_e32 v21, v21
	v_ashrrev_i32_e32 v21, 31, v21
	v_and_b32_e32 v32, v32, v33
	;; [unrolled: 8-line block ×5, first 2 shown]
	v_xor_b32_e32 v33, vcc_hi, v21
	v_xor_b32_e32 v21, vcc_lo, v21
	v_and_b32_e32 v32, v32, v33
	v_and_b32_e32 v33, v23, v21
	v_lshlrev_b32_e32 v21, 24, v22
	v_cmp_gt_i64_e32 vcc, 0, v[20:21]
	v_not_b32_e32 v21, v21
	v_ashrrev_i32_e32 v21, 31, v21
	v_xor_b32_e32 v22, vcc_hi, v21
	v_xor_b32_e32 v21, vcc_lo, v21
	; wave barrier
	ds_read_b32 v29, v34 offset:64
	v_and_b32_e32 v23, v32, v22
	v_and_b32_e32 v22, v33, v21
	v_mbcnt_lo_u32_b32 v21, v22, 0
	v_mbcnt_hi_u32_b32 v32, v23, v21
	v_cmp_eq_u32_e32 vcc, 0, v32
	v_cmp_ne_u64_e64 s[0:1], 0, v[22:23]
	s_and_b64 s[2:3], s[0:1], vcc
	; wave barrier
	s_and_saveexec_b64 s[0:1], s[2:3]
	s_cbranch_execz .LBB1582_23
; %bb.22:
	v_bcnt_u32_b32 v21, v22, 0
	v_bcnt_u32_b32 v21, v23, v21
	s_waitcnt lgkmcnt(0)
	v_add_u32_e32 v21, v29, v21
	ds_write_b32 v34, v21 offset:64
.LBB1582_23:
	s_or_b64 exec, exec, s[0:1]
	v_xor_b32_e32 v11, 0x80000000, v11
	v_lshrrev_b64 v[22:23], s16, v[10:11]
	v_and_b32_e32 v22, s27, v22
	v_lshl_add_u32 v21, v22, 4, v22
	v_add_lshl_u32 v38, v37, v21, 2
	v_and_b32_e32 v21, 1, v22
	v_add_co_u32_e32 v23, vcc, -1, v21
	v_addc_co_u32_e64 v35, s[0:1], 0, -1, vcc
	v_cmp_ne_u32_e32 vcc, 0, v21
	v_xor_b32_e32 v21, vcc_hi, v35
	v_and_b32_e32 v35, exec_hi, v21
	v_lshlrev_b32_e32 v21, 30, v22
	v_xor_b32_e32 v23, vcc_lo, v23
	v_cmp_gt_i64_e32 vcc, 0, v[20:21]
	v_not_b32_e32 v21, v21
	v_ashrrev_i32_e32 v21, 31, v21
	v_and_b32_e32 v23, exec_lo, v23
	v_xor_b32_e32 v36, vcc_hi, v21
	v_xor_b32_e32 v21, vcc_lo, v21
	v_and_b32_e32 v23, v23, v21
	v_lshlrev_b32_e32 v21, 29, v22
	v_cmp_gt_i64_e32 vcc, 0, v[20:21]
	v_not_b32_e32 v21, v21
	v_ashrrev_i32_e32 v21, 31, v21
	v_and_b32_e32 v35, v35, v36
	v_xor_b32_e32 v36, vcc_hi, v21
	v_xor_b32_e32 v21, vcc_lo, v21
	v_and_b32_e32 v23, v23, v21
	v_lshlrev_b32_e32 v21, 28, v22
	v_cmp_gt_i64_e32 vcc, 0, v[20:21]
	v_not_b32_e32 v21, v21
	v_ashrrev_i32_e32 v21, 31, v21
	v_and_b32_e32 v35, v35, v36
	;; [unrolled: 8-line block ×5, first 2 shown]
	v_xor_b32_e32 v36, vcc_hi, v21
	v_xor_b32_e32 v21, vcc_lo, v21
	v_and_b32_e32 v23, v23, v21
	v_lshlrev_b32_e32 v21, 24, v22
	v_cmp_gt_i64_e32 vcc, 0, v[20:21]
	v_not_b32_e32 v20, v21
	v_ashrrev_i32_e32 v20, 31, v20
	v_xor_b32_e32 v21, vcc_hi, v20
	v_xor_b32_e32 v20, vcc_lo, v20
	; wave barrier
	ds_read_b32 v33, v38 offset:64
	v_and_b32_e32 v35, v35, v36
	v_and_b32_e32 v20, v23, v20
	;; [unrolled: 1-line block ×3, first 2 shown]
	v_mbcnt_lo_u32_b32 v22, v20, 0
	v_mbcnt_hi_u32_b32 v35, v21, v22
	v_cmp_eq_u32_e32 vcc, 0, v35
	v_cmp_ne_u64_e64 s[0:1], 0, v[20:21]
	s_and_b64 s[2:3], s[0:1], vcc
	; wave barrier
	s_and_saveexec_b64 s[0:1], s[2:3]
	s_cbranch_execz .LBB1582_25
; %bb.24:
	v_bcnt_u32_b32 v20, v20, 0
	v_bcnt_u32_b32 v20, v21, v20
	s_waitcnt lgkmcnt(0)
	v_add_u32_e32 v20, v33, v20
	ds_write_b32 v38, v20 offset:64
.LBB1582_25:
	s_or_b64 exec, exec, s[0:1]
	v_xor_b32_e32 v13, 0x80000000, v13
	v_lshrrev_b64 v[20:21], s16, v[12:13]
	v_and_b32_e32 v22, s27, v20
	v_and_b32_e32 v21, 1, v22
	v_add_co_u32_e32 v23, vcc, -1, v21
	v_addc_co_u32_e64 v39, s[0:1], 0, -1, vcc
	v_cmp_ne_u32_e32 vcc, 0, v21
	v_lshl_add_u32 v20, v22, 4, v22
	v_xor_b32_e32 v21, vcc_hi, v39
	v_add_lshl_u32 v41, v37, v20, 2
	v_mov_b32_e32 v20, 0
	v_and_b32_e32 v39, exec_hi, v21
	v_lshlrev_b32_e32 v21, 30, v22
	v_xor_b32_e32 v23, vcc_lo, v23
	v_cmp_gt_i64_e32 vcc, 0, v[20:21]
	v_not_b32_e32 v21, v21
	v_ashrrev_i32_e32 v21, 31, v21
	v_and_b32_e32 v23, exec_lo, v23
	v_xor_b32_e32 v40, vcc_hi, v21
	v_xor_b32_e32 v21, vcc_lo, v21
	v_and_b32_e32 v23, v23, v21
	v_lshlrev_b32_e32 v21, 29, v22
	v_cmp_gt_i64_e32 vcc, 0, v[20:21]
	v_not_b32_e32 v21, v21
	v_ashrrev_i32_e32 v21, 31, v21
	v_and_b32_e32 v39, v39, v40
	v_xor_b32_e32 v40, vcc_hi, v21
	v_xor_b32_e32 v21, vcc_lo, v21
	v_and_b32_e32 v23, v23, v21
	v_lshlrev_b32_e32 v21, 28, v22
	v_cmp_gt_i64_e32 vcc, 0, v[20:21]
	v_not_b32_e32 v21, v21
	v_ashrrev_i32_e32 v21, 31, v21
	v_and_b32_e32 v39, v39, v40
	;; [unrolled: 8-line block ×5, first 2 shown]
	v_xor_b32_e32 v40, vcc_hi, v21
	v_xor_b32_e32 v21, vcc_lo, v21
	v_and_b32_e32 v39, v39, v40
	v_and_b32_e32 v40, v23, v21
	v_lshlrev_b32_e32 v21, 24, v22
	v_cmp_gt_i64_e32 vcc, 0, v[20:21]
	v_not_b32_e32 v21, v21
	v_ashrrev_i32_e32 v21, 31, v21
	v_xor_b32_e32 v22, vcc_hi, v21
	v_xor_b32_e32 v21, vcc_lo, v21
	; wave barrier
	ds_read_b32 v36, v41 offset:64
	v_and_b32_e32 v23, v39, v22
	v_and_b32_e32 v22, v40, v21
	v_mbcnt_lo_u32_b32 v21, v22, 0
	v_mbcnt_hi_u32_b32 v39, v23, v21
	v_cmp_eq_u32_e32 vcc, 0, v39
	v_cmp_ne_u64_e64 s[0:1], 0, v[22:23]
	s_and_b64 s[2:3], s[0:1], vcc
	; wave barrier
	s_and_saveexec_b64 s[0:1], s[2:3]
	s_cbranch_execz .LBB1582_27
; %bb.26:
	v_bcnt_u32_b32 v21, v22, 0
	v_bcnt_u32_b32 v21, v23, v21
	s_waitcnt lgkmcnt(0)
	v_add_u32_e32 v21, v36, v21
	ds_write_b32 v41, v21 offset:64
.LBB1582_27:
	s_or_b64 exec, exec, s[0:1]
	v_xor_b32_e32 v15, 0x80000000, v15
	v_lshrrev_b64 v[22:23], s16, v[14:15]
	v_and_b32_e32 v22, s27, v22
	v_lshl_add_u32 v21, v22, 4, v22
	v_add_lshl_u32 v44, v37, v21, 2
	v_and_b32_e32 v21, 1, v22
	v_add_co_u32_e32 v23, vcc, -1, v21
	v_addc_co_u32_e64 v42, s[0:1], 0, -1, vcc
	v_cmp_ne_u32_e32 vcc, 0, v21
	v_xor_b32_e32 v21, vcc_hi, v42
	v_and_b32_e32 v42, exec_hi, v21
	v_lshlrev_b32_e32 v21, 30, v22
	v_xor_b32_e32 v23, vcc_lo, v23
	v_cmp_gt_i64_e32 vcc, 0, v[20:21]
	v_not_b32_e32 v21, v21
	v_ashrrev_i32_e32 v21, 31, v21
	v_and_b32_e32 v23, exec_lo, v23
	v_xor_b32_e32 v43, vcc_hi, v21
	v_xor_b32_e32 v21, vcc_lo, v21
	v_and_b32_e32 v23, v23, v21
	v_lshlrev_b32_e32 v21, 29, v22
	v_cmp_gt_i64_e32 vcc, 0, v[20:21]
	v_not_b32_e32 v21, v21
	v_ashrrev_i32_e32 v21, 31, v21
	v_and_b32_e32 v42, v42, v43
	v_xor_b32_e32 v43, vcc_hi, v21
	v_xor_b32_e32 v21, vcc_lo, v21
	v_and_b32_e32 v23, v23, v21
	v_lshlrev_b32_e32 v21, 28, v22
	v_cmp_gt_i64_e32 vcc, 0, v[20:21]
	v_not_b32_e32 v21, v21
	v_ashrrev_i32_e32 v21, 31, v21
	v_and_b32_e32 v42, v42, v43
	;; [unrolled: 8-line block ×5, first 2 shown]
	v_xor_b32_e32 v43, vcc_hi, v21
	v_xor_b32_e32 v21, vcc_lo, v21
	v_and_b32_e32 v23, v23, v21
	v_lshlrev_b32_e32 v21, 24, v22
	v_cmp_gt_i64_e32 vcc, 0, v[20:21]
	v_not_b32_e32 v20, v21
	v_ashrrev_i32_e32 v20, 31, v20
	v_xor_b32_e32 v21, vcc_hi, v20
	v_xor_b32_e32 v20, vcc_lo, v20
	; wave barrier
	ds_read_b32 v40, v44 offset:64
	v_and_b32_e32 v42, v42, v43
	v_and_b32_e32 v20, v23, v20
	;; [unrolled: 1-line block ×3, first 2 shown]
	v_mbcnt_lo_u32_b32 v22, v20, 0
	v_mbcnt_hi_u32_b32 v42, v21, v22
	v_cmp_eq_u32_e32 vcc, 0, v42
	v_cmp_ne_u64_e64 s[0:1], 0, v[20:21]
	s_and_b64 s[2:3], s[0:1], vcc
	; wave barrier
	s_and_saveexec_b64 s[0:1], s[2:3]
	s_cbranch_execz .LBB1582_29
; %bb.28:
	v_bcnt_u32_b32 v20, v20, 0
	v_bcnt_u32_b32 v20, v21, v20
	s_waitcnt lgkmcnt(0)
	v_add_u32_e32 v20, v40, v20
	ds_write_b32 v44, v20 offset:64
.LBB1582_29:
	s_or_b64 exec, exec, s[0:1]
	v_xor_b32_e32 v17, 0x80000000, v17
	v_lshrrev_b64 v[20:21], s16, v[16:17]
	v_and_b32_e32 v22, s27, v20
	v_and_b32_e32 v21, 1, v22
	v_add_co_u32_e32 v23, vcc, -1, v21
	v_addc_co_u32_e64 v45, s[0:1], 0, -1, vcc
	v_cmp_ne_u32_e32 vcc, 0, v21
	v_lshl_add_u32 v20, v22, 4, v22
	v_xor_b32_e32 v21, vcc_hi, v45
	v_add_lshl_u32 v46, v37, v20, 2
	v_mov_b32_e32 v20, 0
	v_and_b32_e32 v45, exec_hi, v21
	v_lshlrev_b32_e32 v21, 30, v22
	v_xor_b32_e32 v23, vcc_lo, v23
	v_cmp_gt_i64_e32 vcc, 0, v[20:21]
	v_not_b32_e32 v21, v21
	v_ashrrev_i32_e32 v21, 31, v21
	v_and_b32_e32 v23, exec_lo, v23
	v_xor_b32_e32 v47, vcc_hi, v21
	v_xor_b32_e32 v21, vcc_lo, v21
	v_and_b32_e32 v23, v23, v21
	v_lshlrev_b32_e32 v21, 29, v22
	v_cmp_gt_i64_e32 vcc, 0, v[20:21]
	v_not_b32_e32 v21, v21
	v_ashrrev_i32_e32 v21, 31, v21
	v_and_b32_e32 v45, v45, v47
	v_xor_b32_e32 v47, vcc_hi, v21
	v_xor_b32_e32 v21, vcc_lo, v21
	v_and_b32_e32 v23, v23, v21
	v_lshlrev_b32_e32 v21, 28, v22
	v_cmp_gt_i64_e32 vcc, 0, v[20:21]
	v_not_b32_e32 v21, v21
	v_ashrrev_i32_e32 v21, 31, v21
	v_and_b32_e32 v45, v45, v47
	;; [unrolled: 8-line block ×5, first 2 shown]
	v_xor_b32_e32 v47, vcc_hi, v21
	v_xor_b32_e32 v21, vcc_lo, v21
	v_and_b32_e32 v45, v45, v47
	v_and_b32_e32 v47, v23, v21
	v_lshlrev_b32_e32 v21, 24, v22
	v_cmp_gt_i64_e32 vcc, 0, v[20:21]
	v_not_b32_e32 v21, v21
	v_ashrrev_i32_e32 v21, 31, v21
	v_xor_b32_e32 v22, vcc_hi, v21
	v_xor_b32_e32 v21, vcc_lo, v21
	; wave barrier
	ds_read_b32 v43, v46 offset:64
	v_and_b32_e32 v23, v45, v22
	v_and_b32_e32 v22, v47, v21
	v_mbcnt_lo_u32_b32 v21, v22, 0
	v_mbcnt_hi_u32_b32 v45, v23, v21
	v_cmp_eq_u32_e32 vcc, 0, v45
	v_cmp_ne_u64_e64 s[0:1], 0, v[22:23]
	s_and_b64 s[2:3], s[0:1], vcc
	; wave barrier
	s_and_saveexec_b64 s[0:1], s[2:3]
	s_cbranch_execz .LBB1582_31
; %bb.30:
	v_bcnt_u32_b32 v21, v22, 0
	v_bcnt_u32_b32 v21, v23, v21
	s_waitcnt lgkmcnt(0)
	v_add_u32_e32 v21, v43, v21
	ds_write_b32 v46, v21 offset:64
.LBB1582_31:
	s_or_b64 exec, exec, s[0:1]
	v_xor_b32_e32 v19, 0x80000000, v19
	v_lshrrev_b64 v[22:23], s16, v[18:19]
	v_and_b32_e32 v22, s27, v22
	v_lshl_add_u32 v21, v22, 4, v22
	v_add_lshl_u32 v49, v37, v21, 2
	v_and_b32_e32 v21, 1, v22
	v_add_co_u32_e32 v23, vcc, -1, v21
	v_addc_co_u32_e64 v47, s[0:1], 0, -1, vcc
	v_cmp_ne_u32_e32 vcc, 0, v21
	v_xor_b32_e32 v21, vcc_hi, v47
	v_and_b32_e32 v47, exec_hi, v21
	v_lshlrev_b32_e32 v21, 30, v22
	v_xor_b32_e32 v23, vcc_lo, v23
	v_cmp_gt_i64_e32 vcc, 0, v[20:21]
	v_not_b32_e32 v21, v21
	v_ashrrev_i32_e32 v21, 31, v21
	v_and_b32_e32 v23, exec_lo, v23
	v_xor_b32_e32 v48, vcc_hi, v21
	v_xor_b32_e32 v21, vcc_lo, v21
	v_and_b32_e32 v23, v23, v21
	v_lshlrev_b32_e32 v21, 29, v22
	v_cmp_gt_i64_e32 vcc, 0, v[20:21]
	v_not_b32_e32 v21, v21
	v_ashrrev_i32_e32 v21, 31, v21
	v_and_b32_e32 v47, v47, v48
	v_xor_b32_e32 v48, vcc_hi, v21
	v_xor_b32_e32 v21, vcc_lo, v21
	v_and_b32_e32 v23, v23, v21
	v_lshlrev_b32_e32 v21, 28, v22
	v_cmp_gt_i64_e32 vcc, 0, v[20:21]
	v_not_b32_e32 v21, v21
	v_ashrrev_i32_e32 v21, 31, v21
	v_and_b32_e32 v47, v47, v48
	;; [unrolled: 8-line block ×5, first 2 shown]
	v_xor_b32_e32 v48, vcc_hi, v21
	v_xor_b32_e32 v21, vcc_lo, v21
	v_and_b32_e32 v23, v23, v21
	v_lshlrev_b32_e32 v21, 24, v22
	v_cmp_gt_i64_e32 vcc, 0, v[20:21]
	v_not_b32_e32 v20, v21
	v_ashrrev_i32_e32 v20, 31, v20
	v_xor_b32_e32 v21, vcc_hi, v20
	v_xor_b32_e32 v20, vcc_lo, v20
	; wave barrier
	ds_read_b32 v37, v49 offset:64
	v_and_b32_e32 v47, v47, v48
	v_and_b32_e32 v20, v23, v20
	;; [unrolled: 1-line block ×3, first 2 shown]
	v_mbcnt_lo_u32_b32 v22, v20, 0
	v_mbcnt_hi_u32_b32 v47, v21, v22
	v_cmp_eq_u32_e32 vcc, 0, v47
	v_cmp_ne_u64_e64 s[0:1], 0, v[20:21]
	v_add_u32_e32 v50, 64, v25
	s_and_b64 s[2:3], s[0:1], vcc
	; wave barrier
	s_and_saveexec_b64 s[0:1], s[2:3]
	s_cbranch_execz .LBB1582_33
; %bb.32:
	v_bcnt_u32_b32 v20, v20, 0
	v_bcnt_u32_b32 v20, v21, v20
	s_waitcnt lgkmcnt(0)
	v_add_u32_e32 v20, v37, v20
	ds_write_b32 v49, v20 offset:64
.LBB1582_33:
	s_or_b64 exec, exec, s[0:1]
	; wave barrier
	s_waitcnt lgkmcnt(0)
	s_barrier
	ds_read2_b32 v[22:23], v25 offset0:16 offset1:17
	ds_read2_b32 v[20:21], v50 offset0:2 offset1:3
	ds_read_b32 v48, v50 offset:16
	v_cmp_lt_u32_e64 s[10:11], 31, v24
	s_waitcnt lgkmcnt(1)
	v_add3_u32 v51, v23, v22, v20
	s_waitcnt lgkmcnt(0)
	v_add3_u32 v48, v51, v21, v48
	v_and_b32_e32 v51, 15, v24
	v_cmp_eq_u32_e32 vcc, 0, v51
	v_mov_b32_dpp v52, v48 row_shr:1 row_mask:0xf bank_mask:0xf
	v_cndmask_b32_e64 v52, v52, 0, vcc
	v_add_u32_e32 v48, v52, v48
	v_cmp_lt_u32_e64 s[0:1], 1, v51
	v_cmp_lt_u32_e64 s[2:3], 3, v51
	v_mov_b32_dpp v52, v48 row_shr:2 row_mask:0xf bank_mask:0xf
	v_cndmask_b32_e64 v52, 0, v52, s[0:1]
	v_add_u32_e32 v48, v48, v52
	v_cmp_lt_u32_e64 s[8:9], 7, v51
	s_nop 0
	v_mov_b32_dpp v52, v48 row_shr:4 row_mask:0xf bank_mask:0xf
	v_cndmask_b32_e64 v52, 0, v52, s[2:3]
	v_add_u32_e32 v48, v48, v52
	s_nop 1
	v_mov_b32_dpp v52, v48 row_shr:8 row_mask:0xf bank_mask:0xf
	v_cndmask_b32_e64 v51, 0, v52, s[8:9]
	v_add_u32_e32 v48, v48, v51
	v_bfe_i32 v52, v24, 4, 1
	s_nop 0
	v_mov_b32_dpp v51, v48 row_bcast:15 row_mask:0xf bank_mask:0xf
	v_and_b32_e32 v51, v52, v51
	v_add_u32_e32 v48, v48, v51
	v_lshrrev_b32_e32 v52, 6, v2
	s_nop 0
	v_mov_b32_dpp v51, v48 row_bcast:31 row_mask:0xf bank_mask:0xf
	v_cndmask_b32_e64 v51, 0, v51, s[10:11]
	v_add_u32_e32 v51, v48, v51
	v_and_b32_e32 v48, 63, v2
	v_cmp_eq_u32_e64 s[10:11], 63, v48
	s_and_saveexec_b64 s[18:19], s[10:11]
	s_cbranch_execz .LBB1582_35
; %bb.34:
	v_lshlrev_b32_e32 v48, 2, v52
	ds_write_b32 v48, v51
.LBB1582_35:
	s_or_b64 exec, exec, s[18:19]
	v_cmp_gt_u32_e64 s[10:11], 16, v2
	v_lshlrev_b32_e32 v48, 2, v2
	s_waitcnt lgkmcnt(0)
	s_barrier
	s_and_saveexec_b64 s[18:19], s[10:11]
	s_cbranch_execz .LBB1582_37
; %bb.36:
	ds_read_b32 v53, v48
	s_waitcnt lgkmcnt(0)
	s_nop 0
	v_mov_b32_dpp v54, v53 row_shr:1 row_mask:0xf bank_mask:0xf
	v_cndmask_b32_e64 v54, v54, 0, vcc
	v_add_u32_e32 v53, v54, v53
	s_nop 1
	v_mov_b32_dpp v54, v53 row_shr:2 row_mask:0xf bank_mask:0xf
	v_cndmask_b32_e64 v54, 0, v54, s[0:1]
	v_add_u32_e32 v53, v53, v54
	s_nop 1
	v_mov_b32_dpp v54, v53 row_shr:4 row_mask:0xf bank_mask:0xf
	v_cndmask_b32_e64 v54, 0, v54, s[2:3]
	;; [unrolled: 4-line block ×3, first 2 shown]
	v_add_u32_e32 v53, v53, v54
	ds_write_b32 v48, v53
.LBB1582_37:
	s_or_b64 exec, exec, s[18:19]
	v_cmp_lt_u32_e32 vcc, 63, v2
	v_mov_b32_e32 v53, 0
	s_waitcnt lgkmcnt(0)
	s_barrier
	s_and_saveexec_b64 s[0:1], vcc
	s_cbranch_execz .LBB1582_39
; %bb.38:
	v_lshl_add_u32 v52, v52, 2, -4
	ds_read_b32 v53, v52
.LBB1582_39:
	s_or_b64 exec, exec, s[0:1]
	v_add_u32_e32 v52, -1, v24
	v_and_b32_e32 v54, 64, v24
	v_cmp_lt_i32_e32 vcc, v52, v54
	v_cndmask_b32_e32 v52, v52, v24, vcc
	s_waitcnt lgkmcnt(0)
	v_add_u32_e32 v51, v53, v51
	v_lshlrev_b32_e32 v52, 2, v52
	ds_bpermute_b32 v51, v52, v51
	v_cmp_eq_u32_e32 vcc, 0, v24
	s_movk_i32 s0, 0x100
	s_waitcnt lgkmcnt(0)
	v_cndmask_b32_e32 v24, v51, v53, vcc
	v_cmp_ne_u32_e32 vcc, 0, v2
	v_cndmask_b32_e32 v24, 0, v24, vcc
	v_add_u32_e32 v22, v24, v22
	v_add_u32_e32 v23, v22, v23
	;; [unrolled: 1-line block ×4, first 2 shown]
	ds_write2_b32 v25, v24, v22 offset0:16 offset1:17
	ds_write2_b32 v50, v23, v20 offset0:2 offset1:3
	ds_write_b32 v50, v21 offset:16
	s_waitcnt lgkmcnt(0)
	s_barrier
	ds_read_b32 v51, v30 offset:64
	ds_read_b32 v50, v31 offset:64
	;; [unrolled: 1-line block ×8, first 2 shown]
	v_cmp_gt_u32_e32 vcc, s0, v2
                                        ; implicit-def: $vgpr30
                                        ; implicit-def: $vgpr31
	s_and_saveexec_b64 s[2:3], vcc
	s_cbranch_execz .LBB1582_43
; %bb.40:
	v_mul_u32_u24_e32 v20, 17, v2
	v_lshlrev_b32_e32 v21, 2, v20
	ds_read_b32 v30, v21 offset:64
	s_movk_i32 s0, 0xff
	v_cmp_ne_u32_e64 s[0:1], s0, v2
	v_mov_b32_e32 v20, 0x2000
	s_and_saveexec_b64 s[8:9], s[0:1]
	s_cbranch_execz .LBB1582_42
; %bb.41:
	ds_read_b32 v20, v21 offset:132
.LBB1582_42:
	s_or_b64 exec, exec, s[8:9]
	s_waitcnt lgkmcnt(0)
	v_sub_u32_e32 v31, v20, v30
.LBB1582_43:
	s_or_b64 exec, exec, s[2:3]
	s_waitcnt lgkmcnt(0)
	s_barrier
	s_and_saveexec_b64 s[2:3], vcc
	s_cbranch_execz .LBB1582_53
; %bb.44:
	v_lshl_or_b32 v20, s6, 8, v2
	v_mov_b32_e32 v21, 0
	v_lshlrev_b64 v[22:23], 2, v[20:21]
	v_mov_b32_e32 v52, s25
	v_add_co_u32_e64 v22, s[0:1], s24, v22
	v_addc_co_u32_e64 v23, s[0:1], v52, v23, s[0:1]
	v_or_b32_e32 v20, 2.0, v31
	s_mov_b64 s[8:9], 0
	s_brev_b32 s28, 1
	s_mov_b32 s29, s6
	v_mov_b32_e32 v53, 0
	global_store_dword v[22:23], v20, off
                                        ; implicit-def: $sgpr0_sgpr1
	s_branch .LBB1582_46
.LBB1582_45:                            ;   in Loop: Header=BB1582_46 Depth=1
	s_or_b64 exec, exec, s[10:11]
	v_and_b32_e32 v24, 0x3fffffff, v54
	v_add_u32_e32 v53, v24, v53
	v_cmp_eq_u32_e64 s[0:1], s28, v20
	s_and_b64 s[10:11], exec, s[0:1]
	s_or_b64 s[8:9], s[10:11], s[8:9]
	s_andn2_b64 exec, exec, s[8:9]
	s_cbranch_execz .LBB1582_52
.LBB1582_46:                            ; =>This Loop Header: Depth=1
                                        ;     Child Loop BB1582_49 Depth 2
	s_or_b64 s[0:1], s[0:1], exec
	s_cmp_eq_u32 s29, 0
	s_cbranch_scc1 .LBB1582_51
; %bb.47:                               ;   in Loop: Header=BB1582_46 Depth=1
	s_add_i32 s29, s29, -1
	v_lshl_or_b32 v20, s29, 8, v2
	v_lshlrev_b64 v[24:25], 2, v[20:21]
	v_add_co_u32_e64 v24, s[0:1], s24, v24
	v_addc_co_u32_e64 v25, s[0:1], v52, v25, s[0:1]
	global_load_dword v54, v[24:25], off glc
	s_waitcnt vmcnt(0)
	v_and_b32_e32 v20, -2.0, v54
	v_cmp_eq_u32_e64 s[0:1], 0, v20
	s_and_saveexec_b64 s[10:11], s[0:1]
	s_cbranch_execz .LBB1582_45
; %bb.48:                               ;   in Loop: Header=BB1582_46 Depth=1
	s_mov_b64 s[18:19], 0
.LBB1582_49:                            ;   Parent Loop BB1582_46 Depth=1
                                        ; =>  This Inner Loop Header: Depth=2
	global_load_dword v54, v[24:25], off glc
	s_waitcnt vmcnt(0)
	v_and_b32_e32 v20, -2.0, v54
	v_cmp_ne_u32_e64 s[0:1], 0, v20
	s_or_b64 s[18:19], s[0:1], s[18:19]
	s_andn2_b64 exec, exec, s[18:19]
	s_cbranch_execnz .LBB1582_49
; %bb.50:                               ;   in Loop: Header=BB1582_46 Depth=1
	s_or_b64 exec, exec, s[18:19]
	s_branch .LBB1582_45
.LBB1582_51:                            ;   in Loop: Header=BB1582_46 Depth=1
                                        ; implicit-def: $sgpr29
	s_and_b64 s[10:11], exec, s[0:1]
	s_or_b64 s[8:9], s[10:11], s[8:9]
	s_andn2_b64 exec, exec, s[8:9]
	s_cbranch_execnz .LBB1582_46
.LBB1582_52:
	s_or_b64 exec, exec, s[8:9]
	v_add_u32_e32 v20, v53, v31
	v_or_b32_e32 v20, 0x80000000, v20
	global_store_dword v[22:23], v20, off
	global_load_dword v20, v48, s[12:13]
	v_sub_u32_e32 v21, v53, v30
	s_waitcnt vmcnt(0)
	v_add_u32_e32 v20, v21, v20
	ds_write_b32 v48, v20
.LBB1582_53:
	s_or_b64 exec, exec, s[2:3]
	v_add_u32_e32 v22, v51, v26
	s_movk_i32 s8, 0x400
	v_add_u32_e32 v23, 0x400, v3
	v_add3_u32 v24, v47, v49, v37
	v_add3_u32 v25, v45, v46, v43
	;; [unrolled: 1-line block ×7, first 2 shown]
	s_mov_b32 s9, 0
	v_mov_b32_e32 v21, 0
	v_mov_b32_e32 v28, v2
	s_branch .LBB1582_55
.LBB1582_54:                            ;   in Loop: Header=BB1582_55 Depth=1
	s_or_b64 exec, exec, s[2:3]
	s_addk_i32 s9, 0xf800
	s_cmpk_eq_i32 s9, 0xe000
	v_add_u32_e32 v28, 0x800, v28
	s_barrier
	s_cbranch_scc1 .LBB1582_60
.LBB1582_55:                            ; =>This Inner Loop Header: Depth=1
	v_add_u32_e32 v20, s9, v22
	v_min_u32_e32 v20, 0x800, v20
	v_lshlrev_b32_e32 v20, 3, v20
	ds_write_b64 v20, v[4:5] offset:1024
	v_add_u32_e32 v20, s9, v27
	v_min_u32_e32 v20, 0x800, v20
	v_lshlrev_b32_e32 v20, 3, v20
	ds_write_b64 v20, v[6:7] offset:1024
	;; [unrolled: 4-line block ×7, first 2 shown]
	v_add_u32_e32 v20, s9, v24
	v_min_u32_e32 v20, 0x800, v20
	v_lshlrev_b32_e32 v20, 3, v20
	v_cmp_gt_u32_e64 s[0:1], s7, v28
	ds_write_b64 v20, v[18:19] offset:1024
	s_waitcnt lgkmcnt(0)
	s_barrier
	s_and_saveexec_b64 s[2:3], s[0:1]
	s_cbranch_execz .LBB1582_57
; %bb.56:                               ;   in Loop: Header=BB1582_55 Depth=1
	ds_read_b64 v[34:35], v3 offset:1024
	v_mov_b32_e32 v32, s23
	s_waitcnt lgkmcnt(0)
	v_lshrrev_b64 v[38:39], s16, v[34:35]
	v_and_b32_e32 v20, s27, v38
	v_lshlrev_b32_e32 v20, 2, v20
	ds_read_b32 v20, v20
	v_xor_b32_e32 v35, 0x80000000, v35
	s_waitcnt lgkmcnt(0)
	v_add_u32_e32 v20, v28, v20
	v_lshlrev_b64 v[38:39], 3, v[20:21]
	v_add_co_u32_e64 v38, s[0:1], s22, v38
	v_addc_co_u32_e64 v39, s[0:1], v32, v39, s[0:1]
	global_store_dwordx2 v[38:39], v[34:35], off
.LBB1582_57:                            ;   in Loop: Header=BB1582_55 Depth=1
	s_or_b64 exec, exec, s[2:3]
	v_add_u32_e32 v20, 0x400, v28
	v_cmp_gt_u32_e64 s[0:1], s7, v20
	s_and_saveexec_b64 s[2:3], s[0:1]
	s_cbranch_execz .LBB1582_54
; %bb.58:                               ;   in Loop: Header=BB1582_55 Depth=1
	ds_read_b64 v[34:35], v23 offset:8192
	v_mov_b32_e32 v32, s23
	s_waitcnt lgkmcnt(0)
	v_lshrrev_b64 v[38:39], s16, v[34:35]
	v_and_b32_e32 v20, s27, v38
	v_lshlrev_b32_e32 v20, 2, v20
	ds_read_b32 v20, v20
	v_xor_b32_e32 v35, 0x80000000, v35
	s_waitcnt lgkmcnt(0)
	v_add3_u32 v20, v28, v20, s8
	v_lshlrev_b64 v[38:39], 3, v[20:21]
	v_add_co_u32_e64 v38, s[0:1], s22, v38
	v_addc_co_u32_e64 v39, s[0:1], v32, v39, s[0:1]
	global_store_dwordx2 v[38:39], v[34:35], off
	s_branch .LBB1582_54
.LBB1582_59:
	s_mov_b64 s[10:11], 0
                                        ; implicit-def: $vgpr4
                                        ; implicit-def: $vgpr2
	s_cbranch_execnz .LBB1582_63
	s_branch .LBB1582_104
.LBB1582_60:
	s_add_i32 s26, s26, -1
	s_cmp_eq_u32 s26, s6
	s_cselect_b64 s[0:1], -1, 0
	s_and_b64 s[2:3], vcc, s[0:1]
	s_mov_b64 s[0:1], 0
	s_mov_b64 s[10:11], 0
                                        ; implicit-def: $vgpr4
	s_and_saveexec_b64 s[8:9], s[2:3]
	s_xor_b64 s[2:3], exec, s[8:9]
; %bb.61:
	s_mov_b64 s[10:11], exec
	v_add_u32_e32 v4, v30, v31
; %bb.62:
	s_or_b64 exec, exec, s[2:3]
	s_and_b64 vcc, exec, s[0:1]
	s_cbranch_vccz .LBB1582_104
.LBB1582_63:
	s_lshl_b32 s0, s6, 13
	s_mov_b32 s1, 0
	v_mbcnt_hi_u32_b32 v22, -1, v1
	s_lshl_b64 s[0:1], s[0:1], 3
	v_and_b32_e32 v1, 63, v22
	s_add_u32 s0, s20, s0
	v_lshlrev_b32_e32 v1, 3, v1
	v_add_co_u32_e32 v1, vcc, s0, v1
	s_load_dword s7, s[4:5], 0x58
	s_load_dword s0, s[4:5], 0x64
	v_and_b32_e32 v2, 0x3ff, v0
	s_addc_u32 s1, s21, s1
	v_mov_b32_e32 v3, s1
	v_lshlrev_b32_e32 v4, 6, v2
	s_add_u32 s1, s4, 0x58
	v_addc_co_u32_e32 v3, vcc, 0, v3, vcc
	v_and_b32_e32 v4, 0xf000, v4
	s_addc_u32 s2, s5, 0
	s_waitcnt lgkmcnt(0)
	s_lshr_b32 s3, s0, 16
	v_add_co_u32_e32 v20, vcc, v1, v4
	s_cmp_lt_u32 s6, s7
	v_addc_co_u32_e32 v21, vcc, 0, v3, vcc
	s_cselect_b32 s0, 12, 18
	global_load_dwordx2 v[4:5], v[20:21], off
	s_add_u32 s0, s1, s0
	v_mov_b32_e32 v18, 0
	s_addc_u32 s1, s2, 0
	global_load_ushort v3, v18, s[0:1]
	v_mul_u32_u24_e32 v6, 5, v2
	v_lshlrev_b32_e32 v23, 2, v6
	v_bfe_u32 v1, v0, 10, 10
	v_bfe_u32 v0, v0, 20, 10
	ds_write2_b32 v23, v18, v18 offset0:16 offset1:17
	ds_write2_b32 v23, v18, v18 offset0:18 offset1:19
	ds_write_b32 v23, v18 offset:80
	v_mad_u32_u24 v19, v0, s3, v1
	global_load_dwordx2 v[0:1], v[20:21], off offset:512
	global_load_dwordx2 v[6:7], v[20:21], off offset:1024
	;; [unrolled: 1-line block ×7, first 2 shown]
	s_lshl_b32 s0, -1, s17
	s_not_b32 s17, s0
	s_waitcnt lgkmcnt(0)
	s_barrier
	s_waitcnt lgkmcnt(0)
	; wave barrier
	s_waitcnt vmcnt(8)
	v_xor_b32_e32 v5, 0x80000000, v5
	v_lshrrev_b64 v[20:21], s16, v[4:5]
	v_and_b32_e32 v24, s17, v20
	s_waitcnt vmcnt(7)
	v_mad_u64_u32 v[20:21], s[0:1], v19, v3, v[2:3]
	v_and_b32_e32 v21, 1, v24
	v_lshrrev_b32_e32 v31, 6, v20
	v_add_co_u32_e32 v20, vcc, -1, v21
	v_lshlrev_b32_e32 v19, 30, v24
	v_addc_co_u32_e64 v26, s[0:1], 0, -1, vcc
	v_lshl_add_u32 v3, v24, 4, v24
	v_cmp_ne_u32_e32 vcc, 0, v21
	v_cmp_gt_i64_e64 s[0:1], 0, v[18:19]
	v_not_b32_e32 v21, v19
	v_lshlrev_b32_e32 v19, 29, v24
	v_add_lshl_u32 v25, v31, v3, 2
	v_xor_b32_e32 v3, vcc_hi, v26
	v_xor_b32_e32 v20, vcc_lo, v20
	v_ashrrev_i32_e32 v21, 31, v21
	v_cmp_gt_i64_e32 vcc, 0, v[18:19]
	v_not_b32_e32 v26, v19
	v_lshlrev_b32_e32 v19, 28, v24
	v_and_b32_e32 v3, exec_hi, v3
	v_and_b32_e32 v20, exec_lo, v20
	v_xor_b32_e32 v27, s1, v21
	v_xor_b32_e32 v21, s0, v21
	v_ashrrev_i32_e32 v26, 31, v26
	v_cmp_gt_i64_e64 s[0:1], 0, v[18:19]
	v_not_b32_e32 v28, v19
	v_lshlrev_b32_e32 v19, 27, v24
	v_and_b32_e32 v3, v3, v27
	v_and_b32_e32 v20, v20, v21
	v_xor_b32_e32 v21, vcc_hi, v26
	v_xor_b32_e32 v26, vcc_lo, v26
	v_ashrrev_i32_e32 v27, 31, v28
	v_cmp_gt_i64_e32 vcc, 0, v[18:19]
	v_not_b32_e32 v19, v19
	v_and_b32_e32 v3, v3, v21
	v_and_b32_e32 v20, v20, v26
	v_xor_b32_e32 v21, s1, v27
	v_xor_b32_e32 v26, s0, v27
	v_ashrrev_i32_e32 v19, 31, v19
	v_and_b32_e32 v3, v3, v21
	v_and_b32_e32 v20, v20, v26
	v_xor_b32_e32 v21, vcc_hi, v19
	v_xor_b32_e32 v19, vcc_lo, v19
	v_and_b32_e32 v20, v20, v19
	v_lshlrev_b32_e32 v19, 26, v24
	v_cmp_gt_i64_e32 vcc, 0, v[18:19]
	v_not_b32_e32 v19, v19
	v_ashrrev_i32_e32 v19, 31, v19
	v_and_b32_e32 v3, v3, v21
	v_xor_b32_e32 v21, vcc_hi, v19
	v_xor_b32_e32 v19, vcc_lo, v19
	v_and_b32_e32 v20, v20, v19
	v_lshlrev_b32_e32 v19, 25, v24
	v_cmp_gt_i64_e32 vcc, 0, v[18:19]
	v_not_b32_e32 v19, v19
	v_ashrrev_i32_e32 v19, 31, v19
	;; [unrolled: 8-line block ×3, first 2 shown]
	v_and_b32_e32 v3, v3, v21
	v_xor_b32_e32 v21, vcc_hi, v19
	v_xor_b32_e32 v19, vcc_lo, v19
	v_and_b32_e32 v20, v20, v19
	v_and_b32_e32 v21, v3, v21
	v_mbcnt_lo_u32_b32 v3, v20, 0
	v_mbcnt_hi_u32_b32 v3, v21, v3
	v_cmp_eq_u32_e32 vcc, 0, v3
	v_cmp_ne_u64_e64 s[0:1], 0, v[20:21]
	s_and_b64 s[2:3], s[0:1], vcc
	s_and_saveexec_b64 s[0:1], s[2:3]
	s_cbranch_execz .LBB1582_65
; %bb.64:
	v_bcnt_u32_b32 v19, v20, 0
	v_bcnt_u32_b32 v19, v21, v19
	ds_write_b32 v25, v19 offset:64
.LBB1582_65:
	s_or_b64 exec, exec, s[0:1]
	s_waitcnt vmcnt(6)
	v_xor_b32_e32 v1, 0x80000000, v1
	v_lshrrev_b64 v[20:21], s16, v[0:1]
	v_and_b32_e32 v20, s17, v20
	v_lshl_add_u32 v19, v20, 4, v20
	v_add_lshl_u32 v28, v31, v19, 2
	v_and_b32_e32 v19, 1, v20
	v_add_co_u32_e32 v21, vcc, -1, v19
	v_addc_co_u32_e64 v26, s[0:1], 0, -1, vcc
	v_cmp_ne_u32_e32 vcc, 0, v19
	v_xor_b32_e32 v19, vcc_hi, v26
	v_and_b32_e32 v26, exec_hi, v19
	v_lshlrev_b32_e32 v19, 30, v20
	v_xor_b32_e32 v21, vcc_lo, v21
	v_cmp_gt_i64_e32 vcc, 0, v[18:19]
	v_not_b32_e32 v19, v19
	v_ashrrev_i32_e32 v19, 31, v19
	v_and_b32_e32 v21, exec_lo, v21
	v_xor_b32_e32 v27, vcc_hi, v19
	v_xor_b32_e32 v19, vcc_lo, v19
	v_and_b32_e32 v21, v21, v19
	v_lshlrev_b32_e32 v19, 29, v20
	v_cmp_gt_i64_e32 vcc, 0, v[18:19]
	v_not_b32_e32 v19, v19
	v_ashrrev_i32_e32 v19, 31, v19
	v_and_b32_e32 v26, v26, v27
	v_xor_b32_e32 v27, vcc_hi, v19
	v_xor_b32_e32 v19, vcc_lo, v19
	v_and_b32_e32 v21, v21, v19
	v_lshlrev_b32_e32 v19, 28, v20
	v_cmp_gt_i64_e32 vcc, 0, v[18:19]
	v_not_b32_e32 v19, v19
	v_ashrrev_i32_e32 v19, 31, v19
	v_and_b32_e32 v26, v26, v27
	;; [unrolled: 8-line block ×5, first 2 shown]
	v_xor_b32_e32 v27, vcc_hi, v19
	v_xor_b32_e32 v19, vcc_lo, v19
	v_and_b32_e32 v21, v21, v19
	v_lshlrev_b32_e32 v19, 24, v20
	v_cmp_gt_i64_e32 vcc, 0, v[18:19]
	v_not_b32_e32 v18, v19
	v_ashrrev_i32_e32 v18, 31, v18
	v_xor_b32_e32 v19, vcc_hi, v18
	v_xor_b32_e32 v18, vcc_lo, v18
	; wave barrier
	ds_read_b32 v24, v28 offset:64
	v_and_b32_e32 v26, v26, v27
	v_and_b32_e32 v18, v21, v18
	;; [unrolled: 1-line block ×3, first 2 shown]
	v_mbcnt_lo_u32_b32 v20, v18, 0
	v_mbcnt_hi_u32_b32 v26, v19, v20
	v_cmp_eq_u32_e32 vcc, 0, v26
	v_cmp_ne_u64_e64 s[0:1], 0, v[18:19]
	s_and_b64 s[2:3], s[0:1], vcc
	; wave barrier
	s_and_saveexec_b64 s[0:1], s[2:3]
	s_cbranch_execz .LBB1582_67
; %bb.66:
	v_bcnt_u32_b32 v18, v18, 0
	v_bcnt_u32_b32 v18, v19, v18
	s_waitcnt lgkmcnt(0)
	v_add_u32_e32 v18, v24, v18
	ds_write_b32 v28, v18 offset:64
.LBB1582_67:
	s_or_b64 exec, exec, s[0:1]
	s_waitcnt vmcnt(5)
	v_xor_b32_e32 v7, 0x80000000, v7
	v_lshrrev_b64 v[18:19], s16, v[6:7]
	v_and_b32_e32 v20, s17, v18
	v_and_b32_e32 v19, 1, v20
	v_add_co_u32_e32 v21, vcc, -1, v19
	v_addc_co_u32_e64 v29, s[0:1], 0, -1, vcc
	v_cmp_ne_u32_e32 vcc, 0, v19
	v_lshl_add_u32 v18, v20, 4, v20
	v_xor_b32_e32 v19, vcc_hi, v29
	v_add_lshl_u32 v32, v31, v18, 2
	v_mov_b32_e32 v18, 0
	v_and_b32_e32 v29, exec_hi, v19
	v_lshlrev_b32_e32 v19, 30, v20
	v_xor_b32_e32 v21, vcc_lo, v21
	v_cmp_gt_i64_e32 vcc, 0, v[18:19]
	v_not_b32_e32 v19, v19
	v_ashrrev_i32_e32 v19, 31, v19
	v_and_b32_e32 v21, exec_lo, v21
	v_xor_b32_e32 v30, vcc_hi, v19
	v_xor_b32_e32 v19, vcc_lo, v19
	v_and_b32_e32 v21, v21, v19
	v_lshlrev_b32_e32 v19, 29, v20
	v_cmp_gt_i64_e32 vcc, 0, v[18:19]
	v_not_b32_e32 v19, v19
	v_ashrrev_i32_e32 v19, 31, v19
	v_and_b32_e32 v29, v29, v30
	v_xor_b32_e32 v30, vcc_hi, v19
	v_xor_b32_e32 v19, vcc_lo, v19
	v_and_b32_e32 v21, v21, v19
	v_lshlrev_b32_e32 v19, 28, v20
	v_cmp_gt_i64_e32 vcc, 0, v[18:19]
	v_not_b32_e32 v19, v19
	v_ashrrev_i32_e32 v19, 31, v19
	v_and_b32_e32 v29, v29, v30
	;; [unrolled: 8-line block ×5, first 2 shown]
	v_xor_b32_e32 v30, vcc_hi, v19
	v_xor_b32_e32 v19, vcc_lo, v19
	v_and_b32_e32 v29, v29, v30
	v_and_b32_e32 v30, v21, v19
	v_lshlrev_b32_e32 v19, 24, v20
	v_cmp_gt_i64_e32 vcc, 0, v[18:19]
	v_not_b32_e32 v19, v19
	v_ashrrev_i32_e32 v19, 31, v19
	v_xor_b32_e32 v20, vcc_hi, v19
	v_xor_b32_e32 v19, vcc_lo, v19
	; wave barrier
	ds_read_b32 v27, v32 offset:64
	v_and_b32_e32 v21, v29, v20
	v_and_b32_e32 v20, v30, v19
	v_mbcnt_lo_u32_b32 v19, v20, 0
	v_mbcnt_hi_u32_b32 v29, v21, v19
	v_cmp_eq_u32_e32 vcc, 0, v29
	v_cmp_ne_u64_e64 s[0:1], 0, v[20:21]
	s_and_b64 s[2:3], s[0:1], vcc
	; wave barrier
	s_and_saveexec_b64 s[0:1], s[2:3]
	s_cbranch_execz .LBB1582_69
; %bb.68:
	v_bcnt_u32_b32 v19, v20, 0
	v_bcnt_u32_b32 v19, v21, v19
	s_waitcnt lgkmcnt(0)
	v_add_u32_e32 v19, v27, v19
	ds_write_b32 v32, v19 offset:64
.LBB1582_69:
	s_or_b64 exec, exec, s[0:1]
	s_waitcnt vmcnt(4)
	v_xor_b32_e32 v9, 0x80000000, v9
	v_lshrrev_b64 v[20:21], s16, v[8:9]
	v_and_b32_e32 v20, s17, v20
	v_lshl_add_u32 v19, v20, 4, v20
	v_add_lshl_u32 v35, v31, v19, 2
	v_and_b32_e32 v19, 1, v20
	v_add_co_u32_e32 v21, vcc, -1, v19
	v_addc_co_u32_e64 v33, s[0:1], 0, -1, vcc
	v_cmp_ne_u32_e32 vcc, 0, v19
	v_xor_b32_e32 v19, vcc_hi, v33
	v_and_b32_e32 v33, exec_hi, v19
	v_lshlrev_b32_e32 v19, 30, v20
	v_xor_b32_e32 v21, vcc_lo, v21
	v_cmp_gt_i64_e32 vcc, 0, v[18:19]
	v_not_b32_e32 v19, v19
	v_ashrrev_i32_e32 v19, 31, v19
	v_and_b32_e32 v21, exec_lo, v21
	v_xor_b32_e32 v34, vcc_hi, v19
	v_xor_b32_e32 v19, vcc_lo, v19
	v_and_b32_e32 v21, v21, v19
	v_lshlrev_b32_e32 v19, 29, v20
	v_cmp_gt_i64_e32 vcc, 0, v[18:19]
	v_not_b32_e32 v19, v19
	v_ashrrev_i32_e32 v19, 31, v19
	v_and_b32_e32 v33, v33, v34
	v_xor_b32_e32 v34, vcc_hi, v19
	v_xor_b32_e32 v19, vcc_lo, v19
	v_and_b32_e32 v21, v21, v19
	v_lshlrev_b32_e32 v19, 28, v20
	v_cmp_gt_i64_e32 vcc, 0, v[18:19]
	v_not_b32_e32 v19, v19
	v_ashrrev_i32_e32 v19, 31, v19
	v_and_b32_e32 v33, v33, v34
	v_xor_b32_e32 v34, vcc_hi, v19
	v_xor_b32_e32 v19, vcc_lo, v19
	v_and_b32_e32 v21, v21, v19
	v_lshlrev_b32_e32 v19, 27, v20
	v_cmp_gt_i64_e32 vcc, 0, v[18:19]
	v_not_b32_e32 v19, v19
	v_ashrrev_i32_e32 v19, 31, v19
	v_and_b32_e32 v33, v33, v34
	v_xor_b32_e32 v34, vcc_hi, v19
	v_xor_b32_e32 v19, vcc_lo, v19
	v_and_b32_e32 v21, v21, v19
	v_lshlrev_b32_e32 v19, 26, v20
	v_cmp_gt_i64_e32 vcc, 0, v[18:19]
	v_not_b32_e32 v19, v19
	v_ashrrev_i32_e32 v19, 31, v19
	v_and_b32_e32 v33, v33, v34
	v_xor_b32_e32 v34, vcc_hi, v19
	v_xor_b32_e32 v19, vcc_lo, v19
	v_and_b32_e32 v21, v21, v19
	v_lshlrev_b32_e32 v19, 25, v20
	v_cmp_gt_i64_e32 vcc, 0, v[18:19]
	v_not_b32_e32 v19, v19
	v_ashrrev_i32_e32 v19, 31, v19
	v_and_b32_e32 v33, v33, v34
	v_xor_b32_e32 v34, vcc_hi, v19
	v_xor_b32_e32 v19, vcc_lo, v19
	v_and_b32_e32 v21, v21, v19
	v_lshlrev_b32_e32 v19, 24, v20
	v_cmp_gt_i64_e32 vcc, 0, v[18:19]
	v_not_b32_e32 v18, v19
	v_ashrrev_i32_e32 v18, 31, v18
	v_xor_b32_e32 v19, vcc_hi, v18
	v_xor_b32_e32 v18, vcc_lo, v18
	; wave barrier
	ds_read_b32 v30, v35 offset:64
	v_and_b32_e32 v33, v33, v34
	v_and_b32_e32 v18, v21, v18
	;; [unrolled: 1-line block ×3, first 2 shown]
	v_mbcnt_lo_u32_b32 v20, v18, 0
	v_mbcnt_hi_u32_b32 v33, v19, v20
	v_cmp_eq_u32_e32 vcc, 0, v33
	v_cmp_ne_u64_e64 s[0:1], 0, v[18:19]
	s_and_b64 s[2:3], s[0:1], vcc
	; wave barrier
	s_and_saveexec_b64 s[0:1], s[2:3]
	s_cbranch_execz .LBB1582_71
; %bb.70:
	v_bcnt_u32_b32 v18, v18, 0
	v_bcnt_u32_b32 v18, v19, v18
	s_waitcnt lgkmcnt(0)
	v_add_u32_e32 v18, v30, v18
	ds_write_b32 v35, v18 offset:64
.LBB1582_71:
	s_or_b64 exec, exec, s[0:1]
	s_waitcnt vmcnt(3)
	v_xor_b32_e32 v11, 0x80000000, v11
	v_lshrrev_b64 v[18:19], s16, v[10:11]
	v_and_b32_e32 v20, s17, v18
	v_and_b32_e32 v19, 1, v20
	v_add_co_u32_e32 v21, vcc, -1, v19
	v_addc_co_u32_e64 v36, s[0:1], 0, -1, vcc
	v_cmp_ne_u32_e32 vcc, 0, v19
	v_lshl_add_u32 v18, v20, 4, v20
	v_xor_b32_e32 v19, vcc_hi, v36
	v_add_lshl_u32 v38, v31, v18, 2
	v_mov_b32_e32 v18, 0
	v_and_b32_e32 v36, exec_hi, v19
	v_lshlrev_b32_e32 v19, 30, v20
	v_xor_b32_e32 v21, vcc_lo, v21
	v_cmp_gt_i64_e32 vcc, 0, v[18:19]
	v_not_b32_e32 v19, v19
	v_ashrrev_i32_e32 v19, 31, v19
	v_and_b32_e32 v21, exec_lo, v21
	v_xor_b32_e32 v37, vcc_hi, v19
	v_xor_b32_e32 v19, vcc_lo, v19
	v_and_b32_e32 v21, v21, v19
	v_lshlrev_b32_e32 v19, 29, v20
	v_cmp_gt_i64_e32 vcc, 0, v[18:19]
	v_not_b32_e32 v19, v19
	v_ashrrev_i32_e32 v19, 31, v19
	v_and_b32_e32 v36, v36, v37
	v_xor_b32_e32 v37, vcc_hi, v19
	v_xor_b32_e32 v19, vcc_lo, v19
	v_and_b32_e32 v21, v21, v19
	v_lshlrev_b32_e32 v19, 28, v20
	v_cmp_gt_i64_e32 vcc, 0, v[18:19]
	v_not_b32_e32 v19, v19
	v_ashrrev_i32_e32 v19, 31, v19
	v_and_b32_e32 v36, v36, v37
	;; [unrolled: 8-line block ×5, first 2 shown]
	v_xor_b32_e32 v37, vcc_hi, v19
	v_xor_b32_e32 v19, vcc_lo, v19
	v_and_b32_e32 v36, v36, v37
	v_and_b32_e32 v37, v21, v19
	v_lshlrev_b32_e32 v19, 24, v20
	v_cmp_gt_i64_e32 vcc, 0, v[18:19]
	v_not_b32_e32 v19, v19
	v_ashrrev_i32_e32 v19, 31, v19
	v_xor_b32_e32 v20, vcc_hi, v19
	v_xor_b32_e32 v19, vcc_lo, v19
	; wave barrier
	ds_read_b32 v34, v38 offset:64
	v_and_b32_e32 v21, v36, v20
	v_and_b32_e32 v20, v37, v19
	v_mbcnt_lo_u32_b32 v19, v20, 0
	v_mbcnt_hi_u32_b32 v36, v21, v19
	v_cmp_eq_u32_e32 vcc, 0, v36
	v_cmp_ne_u64_e64 s[0:1], 0, v[20:21]
	s_and_b64 s[2:3], s[0:1], vcc
	; wave barrier
	s_and_saveexec_b64 s[0:1], s[2:3]
	s_cbranch_execz .LBB1582_73
; %bb.72:
	v_bcnt_u32_b32 v19, v20, 0
	v_bcnt_u32_b32 v19, v21, v19
	s_waitcnt lgkmcnt(0)
	v_add_u32_e32 v19, v34, v19
	ds_write_b32 v38, v19 offset:64
.LBB1582_73:
	s_or_b64 exec, exec, s[0:1]
	s_waitcnt vmcnt(2)
	v_xor_b32_e32 v13, 0x80000000, v13
	v_lshrrev_b64 v[20:21], s16, v[12:13]
	v_and_b32_e32 v20, s17, v20
	v_lshl_add_u32 v19, v20, 4, v20
	v_add_lshl_u32 v41, v31, v19, 2
	v_and_b32_e32 v19, 1, v20
	v_add_co_u32_e32 v21, vcc, -1, v19
	v_addc_co_u32_e64 v39, s[0:1], 0, -1, vcc
	v_cmp_ne_u32_e32 vcc, 0, v19
	v_xor_b32_e32 v19, vcc_hi, v39
	v_and_b32_e32 v39, exec_hi, v19
	v_lshlrev_b32_e32 v19, 30, v20
	v_xor_b32_e32 v21, vcc_lo, v21
	v_cmp_gt_i64_e32 vcc, 0, v[18:19]
	v_not_b32_e32 v19, v19
	v_ashrrev_i32_e32 v19, 31, v19
	v_and_b32_e32 v21, exec_lo, v21
	v_xor_b32_e32 v40, vcc_hi, v19
	v_xor_b32_e32 v19, vcc_lo, v19
	v_and_b32_e32 v21, v21, v19
	v_lshlrev_b32_e32 v19, 29, v20
	v_cmp_gt_i64_e32 vcc, 0, v[18:19]
	v_not_b32_e32 v19, v19
	v_ashrrev_i32_e32 v19, 31, v19
	v_and_b32_e32 v39, v39, v40
	v_xor_b32_e32 v40, vcc_hi, v19
	v_xor_b32_e32 v19, vcc_lo, v19
	v_and_b32_e32 v21, v21, v19
	v_lshlrev_b32_e32 v19, 28, v20
	v_cmp_gt_i64_e32 vcc, 0, v[18:19]
	v_not_b32_e32 v19, v19
	v_ashrrev_i32_e32 v19, 31, v19
	v_and_b32_e32 v39, v39, v40
	;; [unrolled: 8-line block ×5, first 2 shown]
	v_xor_b32_e32 v40, vcc_hi, v19
	v_xor_b32_e32 v19, vcc_lo, v19
	v_and_b32_e32 v21, v21, v19
	v_lshlrev_b32_e32 v19, 24, v20
	v_cmp_gt_i64_e32 vcc, 0, v[18:19]
	v_not_b32_e32 v18, v19
	v_ashrrev_i32_e32 v18, 31, v18
	v_xor_b32_e32 v19, vcc_hi, v18
	v_xor_b32_e32 v18, vcc_lo, v18
	; wave barrier
	ds_read_b32 v37, v41 offset:64
	v_and_b32_e32 v39, v39, v40
	v_and_b32_e32 v18, v21, v18
	;; [unrolled: 1-line block ×3, first 2 shown]
	v_mbcnt_lo_u32_b32 v20, v18, 0
	v_mbcnt_hi_u32_b32 v39, v19, v20
	v_cmp_eq_u32_e32 vcc, 0, v39
	v_cmp_ne_u64_e64 s[0:1], 0, v[18:19]
	s_and_b64 s[2:3], s[0:1], vcc
	; wave barrier
	s_and_saveexec_b64 s[0:1], s[2:3]
	s_cbranch_execz .LBB1582_75
; %bb.74:
	v_bcnt_u32_b32 v18, v18, 0
	v_bcnt_u32_b32 v18, v19, v18
	s_waitcnt lgkmcnt(0)
	v_add_u32_e32 v18, v37, v18
	ds_write_b32 v41, v18 offset:64
.LBB1582_75:
	s_or_b64 exec, exec, s[0:1]
	s_waitcnt vmcnt(1)
	v_xor_b32_e32 v15, 0x80000000, v15
	v_lshrrev_b64 v[18:19], s16, v[14:15]
	v_and_b32_e32 v20, s17, v18
	v_and_b32_e32 v19, 1, v20
	v_add_co_u32_e32 v21, vcc, -1, v19
	v_addc_co_u32_e64 v42, s[0:1], 0, -1, vcc
	v_cmp_ne_u32_e32 vcc, 0, v19
	v_lshl_add_u32 v18, v20, 4, v20
	v_xor_b32_e32 v19, vcc_hi, v42
	v_add_lshl_u32 v43, v31, v18, 2
	v_mov_b32_e32 v18, 0
	v_and_b32_e32 v42, exec_hi, v19
	v_lshlrev_b32_e32 v19, 30, v20
	v_xor_b32_e32 v21, vcc_lo, v21
	v_cmp_gt_i64_e32 vcc, 0, v[18:19]
	v_not_b32_e32 v19, v19
	v_ashrrev_i32_e32 v19, 31, v19
	v_and_b32_e32 v21, exec_lo, v21
	v_xor_b32_e32 v44, vcc_hi, v19
	v_xor_b32_e32 v19, vcc_lo, v19
	v_and_b32_e32 v21, v21, v19
	v_lshlrev_b32_e32 v19, 29, v20
	v_cmp_gt_i64_e32 vcc, 0, v[18:19]
	v_not_b32_e32 v19, v19
	v_ashrrev_i32_e32 v19, 31, v19
	v_and_b32_e32 v42, v42, v44
	v_xor_b32_e32 v44, vcc_hi, v19
	v_xor_b32_e32 v19, vcc_lo, v19
	v_and_b32_e32 v21, v21, v19
	v_lshlrev_b32_e32 v19, 28, v20
	v_cmp_gt_i64_e32 vcc, 0, v[18:19]
	v_not_b32_e32 v19, v19
	v_ashrrev_i32_e32 v19, 31, v19
	v_and_b32_e32 v42, v42, v44
	;; [unrolled: 8-line block ×5, first 2 shown]
	v_xor_b32_e32 v44, vcc_hi, v19
	v_xor_b32_e32 v19, vcc_lo, v19
	v_and_b32_e32 v42, v42, v44
	v_and_b32_e32 v44, v21, v19
	v_lshlrev_b32_e32 v19, 24, v20
	v_cmp_gt_i64_e32 vcc, 0, v[18:19]
	v_not_b32_e32 v19, v19
	v_ashrrev_i32_e32 v19, 31, v19
	v_xor_b32_e32 v20, vcc_hi, v19
	v_xor_b32_e32 v19, vcc_lo, v19
	; wave barrier
	ds_read_b32 v40, v43 offset:64
	v_and_b32_e32 v21, v42, v20
	v_and_b32_e32 v20, v44, v19
	v_mbcnt_lo_u32_b32 v19, v20, 0
	v_mbcnt_hi_u32_b32 v42, v21, v19
	v_cmp_eq_u32_e32 vcc, 0, v42
	v_cmp_ne_u64_e64 s[0:1], 0, v[20:21]
	s_and_b64 s[2:3], s[0:1], vcc
	; wave barrier
	s_and_saveexec_b64 s[0:1], s[2:3]
	s_cbranch_execz .LBB1582_77
; %bb.76:
	v_bcnt_u32_b32 v19, v20, 0
	v_bcnt_u32_b32 v19, v21, v19
	s_waitcnt lgkmcnt(0)
	v_add_u32_e32 v19, v40, v19
	ds_write_b32 v43, v19 offset:64
.LBB1582_77:
	s_or_b64 exec, exec, s[0:1]
	s_waitcnt vmcnt(0)
	v_xor_b32_e32 v17, 0x80000000, v17
	v_lshrrev_b64 v[20:21], s16, v[16:17]
	v_and_b32_e32 v20, s17, v20
	v_lshl_add_u32 v19, v20, 4, v20
	v_add_lshl_u32 v46, v31, v19, 2
	v_and_b32_e32 v19, 1, v20
	v_add_co_u32_e32 v21, vcc, -1, v19
	v_addc_co_u32_e64 v44, s[0:1], 0, -1, vcc
	v_cmp_ne_u32_e32 vcc, 0, v19
	v_xor_b32_e32 v19, vcc_hi, v44
	v_and_b32_e32 v44, exec_hi, v19
	v_lshlrev_b32_e32 v19, 30, v20
	v_xor_b32_e32 v21, vcc_lo, v21
	v_cmp_gt_i64_e32 vcc, 0, v[18:19]
	v_not_b32_e32 v19, v19
	v_ashrrev_i32_e32 v19, 31, v19
	v_and_b32_e32 v21, exec_lo, v21
	v_xor_b32_e32 v45, vcc_hi, v19
	v_xor_b32_e32 v19, vcc_lo, v19
	v_and_b32_e32 v21, v21, v19
	v_lshlrev_b32_e32 v19, 29, v20
	v_cmp_gt_i64_e32 vcc, 0, v[18:19]
	v_not_b32_e32 v19, v19
	v_ashrrev_i32_e32 v19, 31, v19
	v_and_b32_e32 v44, v44, v45
	v_xor_b32_e32 v45, vcc_hi, v19
	v_xor_b32_e32 v19, vcc_lo, v19
	v_and_b32_e32 v21, v21, v19
	v_lshlrev_b32_e32 v19, 28, v20
	v_cmp_gt_i64_e32 vcc, 0, v[18:19]
	v_not_b32_e32 v19, v19
	v_ashrrev_i32_e32 v19, 31, v19
	v_and_b32_e32 v44, v44, v45
	;; [unrolled: 8-line block ×5, first 2 shown]
	v_xor_b32_e32 v45, vcc_hi, v19
	v_xor_b32_e32 v19, vcc_lo, v19
	v_and_b32_e32 v21, v21, v19
	v_lshlrev_b32_e32 v19, 24, v20
	v_cmp_gt_i64_e32 vcc, 0, v[18:19]
	v_not_b32_e32 v18, v19
	v_ashrrev_i32_e32 v18, 31, v18
	v_xor_b32_e32 v19, vcc_hi, v18
	v_xor_b32_e32 v18, vcc_lo, v18
	; wave barrier
	ds_read_b32 v31, v46 offset:64
	v_and_b32_e32 v44, v44, v45
	v_and_b32_e32 v18, v21, v18
	;; [unrolled: 1-line block ×3, first 2 shown]
	v_mbcnt_lo_u32_b32 v20, v18, 0
	v_mbcnt_hi_u32_b32 v44, v19, v20
	v_cmp_eq_u32_e32 vcc, 0, v44
	v_cmp_ne_u64_e64 s[0:1], 0, v[18:19]
	v_add_u32_e32 v47, 64, v23
	s_and_b64 s[2:3], s[0:1], vcc
	; wave barrier
	s_and_saveexec_b64 s[0:1], s[2:3]
	s_cbranch_execz .LBB1582_79
; %bb.78:
	v_bcnt_u32_b32 v18, v18, 0
	v_bcnt_u32_b32 v18, v19, v18
	s_waitcnt lgkmcnt(0)
	v_add_u32_e32 v18, v31, v18
	ds_write_b32 v46, v18 offset:64
.LBB1582_79:
	s_or_b64 exec, exec, s[0:1]
	; wave barrier
	s_waitcnt lgkmcnt(0)
	s_barrier
	ds_read2_b32 v[20:21], v23 offset0:16 offset1:17
	ds_read2_b32 v[18:19], v47 offset0:2 offset1:3
	ds_read_b32 v45, v47 offset:16
	v_cmp_lt_u32_e64 s[8:9], 31, v22
	s_waitcnt lgkmcnt(1)
	v_add3_u32 v48, v21, v20, v18
	s_waitcnt lgkmcnt(0)
	v_add3_u32 v45, v48, v19, v45
	v_and_b32_e32 v48, 15, v22
	v_cmp_eq_u32_e32 vcc, 0, v48
	v_mov_b32_dpp v49, v45 row_shr:1 row_mask:0xf bank_mask:0xf
	v_cndmask_b32_e64 v49, v49, 0, vcc
	v_add_u32_e32 v45, v49, v45
	v_cmp_lt_u32_e64 s[0:1], 1, v48
	v_cmp_lt_u32_e64 s[2:3], 3, v48
	v_mov_b32_dpp v49, v45 row_shr:2 row_mask:0xf bank_mask:0xf
	v_cndmask_b32_e64 v49, 0, v49, s[0:1]
	v_add_u32_e32 v45, v45, v49
	v_cmp_lt_u32_e64 s[4:5], 7, v48
	s_nop 0
	v_mov_b32_dpp v49, v45 row_shr:4 row_mask:0xf bank_mask:0xf
	v_cndmask_b32_e64 v49, 0, v49, s[2:3]
	v_add_u32_e32 v45, v45, v49
	s_nop 1
	v_mov_b32_dpp v49, v45 row_shr:8 row_mask:0xf bank_mask:0xf
	v_cndmask_b32_e64 v48, 0, v49, s[4:5]
	v_add_u32_e32 v45, v45, v48
	v_bfe_i32 v49, v22, 4, 1
	s_nop 0
	v_mov_b32_dpp v48, v45 row_bcast:15 row_mask:0xf bank_mask:0xf
	v_and_b32_e32 v48, v49, v48
	v_add_u32_e32 v45, v45, v48
	v_lshrrev_b32_e32 v49, 6, v2
	s_nop 0
	v_mov_b32_dpp v48, v45 row_bcast:31 row_mask:0xf bank_mask:0xf
	v_cndmask_b32_e64 v48, 0, v48, s[8:9]
	v_add_u32_e32 v48, v45, v48
	v_and_b32_e32 v45, 63, v2
	v_cmp_eq_u32_e64 s[8:9], 63, v45
	s_and_saveexec_b64 s[18:19], s[8:9]
	s_cbranch_execz .LBB1582_81
; %bb.80:
	v_lshlrev_b32_e32 v45, 2, v49
	ds_write_b32 v45, v48
.LBB1582_81:
	s_or_b64 exec, exec, s[18:19]
	v_cmp_gt_u32_e64 s[8:9], 16, v2
	v_lshlrev_b32_e32 v45, 2, v2
	s_waitcnt lgkmcnt(0)
	s_barrier
	s_and_saveexec_b64 s[18:19], s[8:9]
	s_cbranch_execz .LBB1582_83
; %bb.82:
	ds_read_b32 v50, v45
	s_waitcnt lgkmcnt(0)
	s_nop 0
	v_mov_b32_dpp v51, v50 row_shr:1 row_mask:0xf bank_mask:0xf
	v_cndmask_b32_e64 v51, v51, 0, vcc
	v_add_u32_e32 v50, v51, v50
	s_nop 1
	v_mov_b32_dpp v51, v50 row_shr:2 row_mask:0xf bank_mask:0xf
	v_cndmask_b32_e64 v51, 0, v51, s[0:1]
	v_add_u32_e32 v50, v50, v51
	s_nop 1
	v_mov_b32_dpp v51, v50 row_shr:4 row_mask:0xf bank_mask:0xf
	v_cndmask_b32_e64 v51, 0, v51, s[2:3]
	;; [unrolled: 4-line block ×3, first 2 shown]
	v_add_u32_e32 v50, v50, v51
	ds_write_b32 v45, v50
.LBB1582_83:
	s_or_b64 exec, exec, s[18:19]
	v_cmp_lt_u32_e32 vcc, 63, v2
	v_mov_b32_e32 v50, 0
	s_waitcnt lgkmcnt(0)
	s_barrier
	s_and_saveexec_b64 s[0:1], vcc
	s_cbranch_execz .LBB1582_85
; %bb.84:
	v_lshl_add_u32 v49, v49, 2, -4
	ds_read_b32 v50, v49
.LBB1582_85:
	s_or_b64 exec, exec, s[0:1]
	v_add_u32_e32 v49, -1, v22
	v_and_b32_e32 v51, 64, v22
	v_cmp_lt_i32_e32 vcc, v49, v51
	v_cndmask_b32_e32 v49, v49, v22, vcc
	s_waitcnt lgkmcnt(0)
	v_add_u32_e32 v48, v50, v48
	v_lshlrev_b32_e32 v49, 2, v49
	ds_bpermute_b32 v48, v49, v48
	v_cmp_eq_u32_e32 vcc, 0, v22
	s_movk_i32 s0, 0x100
	s_waitcnt lgkmcnt(0)
	v_cndmask_b32_e32 v22, v48, v50, vcc
	v_cmp_ne_u32_e32 vcc, 0, v2
	v_cndmask_b32_e32 v22, 0, v22, vcc
	v_add_u32_e32 v20, v22, v20
	v_add_u32_e32 v21, v20, v21
	;; [unrolled: 1-line block ×4, first 2 shown]
	ds_write2_b32 v23, v22, v20 offset0:16 offset1:17
	ds_write2_b32 v47, v21, v18 offset0:2 offset1:3
	ds_write_b32 v47, v19 offset:16
	s_waitcnt lgkmcnt(0)
	s_barrier
	ds_read_b32 v48, v25 offset:64
	ds_read_b32 v47, v28 offset:64
	;; [unrolled: 1-line block ×8, first 2 shown]
	v_cmp_gt_u32_e32 vcc, s0, v2
                                        ; implicit-def: $vgpr25
                                        ; implicit-def: $vgpr28
	s_and_saveexec_b64 s[2:3], vcc
	s_cbranch_execz .LBB1582_89
; %bb.86:
	v_mul_u32_u24_e32 v18, 17, v2
	v_lshlrev_b32_e32 v19, 2, v18
	ds_read_b32 v25, v19 offset:64
	s_movk_i32 s0, 0xff
	v_cmp_ne_u32_e64 s[0:1], s0, v2
	v_mov_b32_e32 v18, 0x2000
	s_and_saveexec_b64 s[4:5], s[0:1]
	s_cbranch_execz .LBB1582_88
; %bb.87:
	ds_read_b32 v18, v19 offset:132
.LBB1582_88:
	s_or_b64 exec, exec, s[4:5]
	s_waitcnt lgkmcnt(0)
	v_sub_u32_e32 v28, v18, v25
.LBB1582_89:
	s_or_b64 exec, exec, s[2:3]
	s_waitcnt lgkmcnt(0)
	s_barrier
	s_and_saveexec_b64 s[2:3], vcc
	s_cbranch_execz .LBB1582_99
; %bb.90:
	v_lshl_or_b32 v18, s6, 8, v2
	v_mov_b32_e32 v19, 0
	v_lshlrev_b64 v[20:21], 2, v[18:19]
	v_mov_b32_e32 v49, s25
	v_add_co_u32_e64 v20, s[0:1], s24, v20
	v_addc_co_u32_e64 v21, s[0:1], v49, v21, s[0:1]
	v_or_b32_e32 v18, 2.0, v28
	s_mov_b64 s[4:5], 0
	s_brev_b32 s20, 1
	s_mov_b32 s21, s6
	v_mov_b32_e32 v50, 0
	global_store_dword v[20:21], v18, off
                                        ; implicit-def: $sgpr0_sgpr1
	s_branch .LBB1582_93
.LBB1582_91:                            ;   in Loop: Header=BB1582_93 Depth=1
	s_or_b64 exec, exec, s[18:19]
.LBB1582_92:                            ;   in Loop: Header=BB1582_93 Depth=1
	s_or_b64 exec, exec, s[8:9]
	v_and_b32_e32 v22, 0x3fffffff, v51
	v_add_u32_e32 v50, v22, v50
	v_cmp_eq_u32_e64 s[0:1], s20, v18
	s_and_b64 s[8:9], exec, s[0:1]
	s_or_b64 s[4:5], s[8:9], s[4:5]
	s_andn2_b64 exec, exec, s[4:5]
	s_cbranch_execz .LBB1582_98
.LBB1582_93:                            ; =>This Loop Header: Depth=1
                                        ;     Child Loop BB1582_96 Depth 2
	s_or_b64 s[0:1], s[0:1], exec
	s_cmp_eq_u32 s21, 0
	s_cbranch_scc1 .LBB1582_97
; %bb.94:                               ;   in Loop: Header=BB1582_93 Depth=1
	s_add_i32 s21, s21, -1
	v_lshl_or_b32 v18, s21, 8, v2
	v_lshlrev_b64 v[22:23], 2, v[18:19]
	v_add_co_u32_e64 v22, s[0:1], s24, v22
	v_addc_co_u32_e64 v23, s[0:1], v49, v23, s[0:1]
	global_load_dword v51, v[22:23], off glc
	s_waitcnt vmcnt(0)
	v_and_b32_e32 v18, -2.0, v51
	v_cmp_eq_u32_e64 s[0:1], 0, v18
	s_and_saveexec_b64 s[8:9], s[0:1]
	s_cbranch_execz .LBB1582_92
; %bb.95:                               ;   in Loop: Header=BB1582_93 Depth=1
	s_mov_b64 s[18:19], 0
.LBB1582_96:                            ;   Parent Loop BB1582_93 Depth=1
                                        ; =>  This Inner Loop Header: Depth=2
	global_load_dword v51, v[22:23], off glc
	s_waitcnt vmcnt(0)
	v_and_b32_e32 v18, -2.0, v51
	v_cmp_ne_u32_e64 s[0:1], 0, v18
	s_or_b64 s[18:19], s[0:1], s[18:19]
	s_andn2_b64 exec, exec, s[18:19]
	s_cbranch_execnz .LBB1582_96
	s_branch .LBB1582_91
.LBB1582_97:                            ;   in Loop: Header=BB1582_93 Depth=1
                                        ; implicit-def: $sgpr21
	s_and_b64 s[8:9], exec, s[0:1]
	s_or_b64 s[4:5], s[8:9], s[4:5]
	s_andn2_b64 exec, exec, s[4:5]
	s_cbranch_execnz .LBB1582_93
.LBB1582_98:
	s_or_b64 exec, exec, s[4:5]
	v_add_u32_e32 v18, v50, v28
	v_or_b32_e32 v18, 0x80000000, v18
	global_store_dword v[20:21], v18, off
	global_load_dword v18, v45, s[12:13]
	v_sub_u32_e32 v19, v50, v25
	s_waitcnt vmcnt(0)
	v_add_u32_e32 v18, v19, v18
	ds_write_b32 v45, v18
.LBB1582_99:
	s_or_b64 exec, exec, s[2:3]
	v_lshlrev_b32_e32 v20, 3, v2
	v_add_u32_e32 v3, v48, v3
	s_movk_i32 s2, 0x400
	v_add_u32_e32 v21, 0x400, v20
	v_add3_u32 v22, v44, v46, v31
	v_add3_u32 v23, v42, v43, v40
	;; [unrolled: 1-line block ×7, first 2 shown]
	s_mov_b32 s3, 0
	v_mov_b32_e32 v26, s23
	v_mov_b32_e32 v19, 0
	;; [unrolled: 1-line block ×3, first 2 shown]
.LBB1582_100:                           ; =>This Inner Loop Header: Depth=1
	v_add_u32_e32 v18, s3, v3
	v_add_u32_e32 v32, s3, v24
	v_add_u32_e32 v33, s3, v27
	v_add_u32_e32 v36, s3, v34
	v_add_u32_e32 v37, s3, v31
	v_add_u32_e32 v35, s3, v30
	v_add_u32_e32 v38, s3, v23
	v_add_u32_e32 v39, s3, v22
	v_min_u32_e32 v18, 0x800, v18
	v_min_u32_e32 v32, 0x800, v32
	;; [unrolled: 1-line block ×8, first 2 shown]
	v_lshlrev_b32_e32 v18, 3, v18
	v_lshlrev_b32_e32 v32, 3, v32
	;; [unrolled: 1-line block ×8, first 2 shown]
	ds_write_b64 v18, v[4:5] offset:1024
	ds_write_b64 v32, v[0:1] offset:1024
	;; [unrolled: 1-line block ×8, first 2 shown]
	s_waitcnt lgkmcnt(0)
	s_barrier
	ds_read_b64 v[32:33], v20 offset:1024
	ds_read_b64 v[36:37], v21 offset:8192
	s_addk_i32 s3, 0xf800
	s_cmpk_lg_i32 s3, 0xe000
	s_waitcnt lgkmcnt(1)
	v_lshrrev_b64 v[38:39], s16, v[32:33]
	s_waitcnt lgkmcnt(0)
	v_lshrrev_b64 v[40:41], s16, v[36:37]
	v_and_b32_e32 v18, s17, v38
	v_and_b32_e32 v35, s17, v40
	v_lshlrev_b32_e32 v18, 2, v18
	v_lshlrev_b32_e32 v35, 2, v35
	ds_read_b32 v18, v18
	ds_read_b32 v35, v35
	v_xor_b32_e32 v33, 0x80000000, v33
	v_xor_b32_e32 v37, 0x80000000, v37
	s_waitcnt lgkmcnt(1)
	v_add_u32_e32 v18, v29, v18
	v_lshlrev_b64 v[38:39], 3, v[18:19]
	s_waitcnt lgkmcnt(0)
	v_add3_u32 v18, v29, v35, s2
	v_add_co_u32_e64 v38, s[0:1], s22, v38
	v_addc_co_u32_e64 v39, s[0:1], v26, v39, s[0:1]
	v_lshlrev_b64 v[40:41], 3, v[18:19]
	global_store_dwordx2 v[38:39], v[32:33], off
	v_add_co_u32_e64 v32, s[0:1], s22, v40
	v_add_u32_e32 v29, 0x800, v29
	v_addc_co_u32_e64 v33, s[0:1], v26, v41, s[0:1]
	global_store_dwordx2 v[32:33], v[36:37], off
	s_barrier
	s_cbranch_scc1 .LBB1582_100
; %bb.101:
	s_add_i32 s7, s7, -1
	s_cmp_eq_u32 s7, s6
	s_cselect_b64 s[0:1], -1, 0
	s_and_b64 s[2:3], vcc, s[0:1]
                                        ; implicit-def: $vgpr4
	s_and_saveexec_b64 s[0:1], s[2:3]
; %bb.102:
	v_add_u32_e32 v4, v25, v28
	s_or_b64 s[10:11], s[10:11], exec
; %bb.103:
	s_or_b64 exec, exec, s[0:1]
.LBB1582_104:
	s_and_saveexec_b64 s[0:1], s[10:11]
	s_cbranch_execnz .LBB1582_106
; %bb.105:
	s_endpgm
.LBB1582_106:
	v_mov_b32_e32 v3, 0
	v_lshlrev_b32_e32 v5, 2, v2
	v_lshlrev_b64 v[0:1], 2, v[2:3]
	ds_read_b32 v3, v5
	v_mov_b32_e32 v2, s15
	v_add_co_u32_e32 v0, vcc, s14, v0
	v_addc_co_u32_e32 v1, vcc, v2, v1, vcc
	s_waitcnt lgkmcnt(0)
	v_add_u32_e32 v2, v3, v4
	global_store_dword v[0:1], v2, off
	s_endpgm
	.section	.rodata,"a",@progbits
	.p2align	6, 0x0
	.amdhsa_kernel _ZN7rocprim17ROCPRIM_400000_NS6detail17trampoline_kernelINS0_14default_configENS1_35radix_sort_onesweep_config_selectorIxNS0_10empty_typeEEEZZNS1_29radix_sort_onesweep_iterationIS3_Lb0EN6thrust23THRUST_200600_302600_NS6detail15normal_iteratorINS9_10device_ptrIxEEEESE_PS5_SF_jNS0_19identity_decomposerENS1_16block_id_wrapperIjLb0EEEEE10hipError_tT1_PNSt15iterator_traitsISK_E10value_typeET2_T3_PNSL_ISQ_E10value_typeET4_T5_PSV_SW_PNS1_23onesweep_lookback_stateEbbT6_jjT7_P12ihipStream_tbENKUlT_T0_SK_SP_E_clISE_PxSF_SF_EEDaS13_S14_SK_SP_EUlS13_E_NS1_11comp_targetILNS1_3genE4ELNS1_11target_archE910ELNS1_3gpuE8ELNS1_3repE0EEENS1_47radix_sort_onesweep_sort_config_static_selectorELNS0_4arch9wavefront6targetE1EEEvSK_
		.amdhsa_group_segment_fixed_size 20552
		.amdhsa_private_segment_fixed_size 0
		.amdhsa_kernarg_size 344
		.amdhsa_user_sgpr_count 6
		.amdhsa_user_sgpr_private_segment_buffer 1
		.amdhsa_user_sgpr_dispatch_ptr 0
		.amdhsa_user_sgpr_queue_ptr 0
		.amdhsa_user_sgpr_kernarg_segment_ptr 1
		.amdhsa_user_sgpr_dispatch_id 0
		.amdhsa_user_sgpr_flat_scratch_init 0
		.amdhsa_user_sgpr_kernarg_preload_length 0
		.amdhsa_user_sgpr_kernarg_preload_offset 0
		.amdhsa_user_sgpr_private_segment_size 0
		.amdhsa_uses_dynamic_stack 0
		.amdhsa_system_sgpr_private_segment_wavefront_offset 0
		.amdhsa_system_sgpr_workgroup_id_x 1
		.amdhsa_system_sgpr_workgroup_id_y 0
		.amdhsa_system_sgpr_workgroup_id_z 0
		.amdhsa_system_sgpr_workgroup_info 0
		.amdhsa_system_vgpr_workitem_id 2
		.amdhsa_next_free_vgpr 55
		.amdhsa_next_free_sgpr 30
		.amdhsa_accum_offset 56
		.amdhsa_reserve_vcc 1
		.amdhsa_reserve_flat_scratch 0
		.amdhsa_float_round_mode_32 0
		.amdhsa_float_round_mode_16_64 0
		.amdhsa_float_denorm_mode_32 3
		.amdhsa_float_denorm_mode_16_64 3
		.amdhsa_dx10_clamp 1
		.amdhsa_ieee_mode 1
		.amdhsa_fp16_overflow 0
		.amdhsa_tg_split 0
		.amdhsa_exception_fp_ieee_invalid_op 0
		.amdhsa_exception_fp_denorm_src 0
		.amdhsa_exception_fp_ieee_div_zero 0
		.amdhsa_exception_fp_ieee_overflow 0
		.amdhsa_exception_fp_ieee_underflow 0
		.amdhsa_exception_fp_ieee_inexact 0
		.amdhsa_exception_int_div_zero 0
	.end_amdhsa_kernel
	.section	.text._ZN7rocprim17ROCPRIM_400000_NS6detail17trampoline_kernelINS0_14default_configENS1_35radix_sort_onesweep_config_selectorIxNS0_10empty_typeEEEZZNS1_29radix_sort_onesweep_iterationIS3_Lb0EN6thrust23THRUST_200600_302600_NS6detail15normal_iteratorINS9_10device_ptrIxEEEESE_PS5_SF_jNS0_19identity_decomposerENS1_16block_id_wrapperIjLb0EEEEE10hipError_tT1_PNSt15iterator_traitsISK_E10value_typeET2_T3_PNSL_ISQ_E10value_typeET4_T5_PSV_SW_PNS1_23onesweep_lookback_stateEbbT6_jjT7_P12ihipStream_tbENKUlT_T0_SK_SP_E_clISE_PxSF_SF_EEDaS13_S14_SK_SP_EUlS13_E_NS1_11comp_targetILNS1_3genE4ELNS1_11target_archE910ELNS1_3gpuE8ELNS1_3repE0EEENS1_47radix_sort_onesweep_sort_config_static_selectorELNS0_4arch9wavefront6targetE1EEEvSK_,"axG",@progbits,_ZN7rocprim17ROCPRIM_400000_NS6detail17trampoline_kernelINS0_14default_configENS1_35radix_sort_onesweep_config_selectorIxNS0_10empty_typeEEEZZNS1_29radix_sort_onesweep_iterationIS3_Lb0EN6thrust23THRUST_200600_302600_NS6detail15normal_iteratorINS9_10device_ptrIxEEEESE_PS5_SF_jNS0_19identity_decomposerENS1_16block_id_wrapperIjLb0EEEEE10hipError_tT1_PNSt15iterator_traitsISK_E10value_typeET2_T3_PNSL_ISQ_E10value_typeET4_T5_PSV_SW_PNS1_23onesweep_lookback_stateEbbT6_jjT7_P12ihipStream_tbENKUlT_T0_SK_SP_E_clISE_PxSF_SF_EEDaS13_S14_SK_SP_EUlS13_E_NS1_11comp_targetILNS1_3genE4ELNS1_11target_archE910ELNS1_3gpuE8ELNS1_3repE0EEENS1_47radix_sort_onesweep_sort_config_static_selectorELNS0_4arch9wavefront6targetE1EEEvSK_,comdat
.Lfunc_end1582:
	.size	_ZN7rocprim17ROCPRIM_400000_NS6detail17trampoline_kernelINS0_14default_configENS1_35radix_sort_onesweep_config_selectorIxNS0_10empty_typeEEEZZNS1_29radix_sort_onesweep_iterationIS3_Lb0EN6thrust23THRUST_200600_302600_NS6detail15normal_iteratorINS9_10device_ptrIxEEEESE_PS5_SF_jNS0_19identity_decomposerENS1_16block_id_wrapperIjLb0EEEEE10hipError_tT1_PNSt15iterator_traitsISK_E10value_typeET2_T3_PNSL_ISQ_E10value_typeET4_T5_PSV_SW_PNS1_23onesweep_lookback_stateEbbT6_jjT7_P12ihipStream_tbENKUlT_T0_SK_SP_E_clISE_PxSF_SF_EEDaS13_S14_SK_SP_EUlS13_E_NS1_11comp_targetILNS1_3genE4ELNS1_11target_archE910ELNS1_3gpuE8ELNS1_3repE0EEENS1_47radix_sort_onesweep_sort_config_static_selectorELNS0_4arch9wavefront6targetE1EEEvSK_, .Lfunc_end1582-_ZN7rocprim17ROCPRIM_400000_NS6detail17trampoline_kernelINS0_14default_configENS1_35radix_sort_onesweep_config_selectorIxNS0_10empty_typeEEEZZNS1_29radix_sort_onesweep_iterationIS3_Lb0EN6thrust23THRUST_200600_302600_NS6detail15normal_iteratorINS9_10device_ptrIxEEEESE_PS5_SF_jNS0_19identity_decomposerENS1_16block_id_wrapperIjLb0EEEEE10hipError_tT1_PNSt15iterator_traitsISK_E10value_typeET2_T3_PNSL_ISQ_E10value_typeET4_T5_PSV_SW_PNS1_23onesweep_lookback_stateEbbT6_jjT7_P12ihipStream_tbENKUlT_T0_SK_SP_E_clISE_PxSF_SF_EEDaS13_S14_SK_SP_EUlS13_E_NS1_11comp_targetILNS1_3genE4ELNS1_11target_archE910ELNS1_3gpuE8ELNS1_3repE0EEENS1_47radix_sort_onesweep_sort_config_static_selectorELNS0_4arch9wavefront6targetE1EEEvSK_
                                        ; -- End function
	.section	.AMDGPU.csdata,"",@progbits
; Kernel info:
; codeLenInByte = 10380
; NumSgprs: 34
; NumVgprs: 55
; NumAgprs: 0
; TotalNumVgprs: 55
; ScratchSize: 0
; MemoryBound: 0
; FloatMode: 240
; IeeeMode: 1
; LDSByteSize: 20552 bytes/workgroup (compile time only)
; SGPRBlocks: 4
; VGPRBlocks: 6
; NumSGPRsForWavesPerEU: 34
; NumVGPRsForWavesPerEU: 55
; AccumOffset: 56
; Occupancy: 8
; WaveLimiterHint : 1
; COMPUTE_PGM_RSRC2:SCRATCH_EN: 0
; COMPUTE_PGM_RSRC2:USER_SGPR: 6
; COMPUTE_PGM_RSRC2:TRAP_HANDLER: 0
; COMPUTE_PGM_RSRC2:TGID_X_EN: 1
; COMPUTE_PGM_RSRC2:TGID_Y_EN: 0
; COMPUTE_PGM_RSRC2:TGID_Z_EN: 0
; COMPUTE_PGM_RSRC2:TIDIG_COMP_CNT: 2
; COMPUTE_PGM_RSRC3_GFX90A:ACCUM_OFFSET: 13
; COMPUTE_PGM_RSRC3_GFX90A:TG_SPLIT: 0
	.section	.text._ZN7rocprim17ROCPRIM_400000_NS6detail17trampoline_kernelINS0_14default_configENS1_35radix_sort_onesweep_config_selectorIxNS0_10empty_typeEEEZZNS1_29radix_sort_onesweep_iterationIS3_Lb0EN6thrust23THRUST_200600_302600_NS6detail15normal_iteratorINS9_10device_ptrIxEEEESE_PS5_SF_jNS0_19identity_decomposerENS1_16block_id_wrapperIjLb0EEEEE10hipError_tT1_PNSt15iterator_traitsISK_E10value_typeET2_T3_PNSL_ISQ_E10value_typeET4_T5_PSV_SW_PNS1_23onesweep_lookback_stateEbbT6_jjT7_P12ihipStream_tbENKUlT_T0_SK_SP_E_clISE_PxSF_SF_EEDaS13_S14_SK_SP_EUlS13_E_NS1_11comp_targetILNS1_3genE3ELNS1_11target_archE908ELNS1_3gpuE7ELNS1_3repE0EEENS1_47radix_sort_onesweep_sort_config_static_selectorELNS0_4arch9wavefront6targetE1EEEvSK_,"axG",@progbits,_ZN7rocprim17ROCPRIM_400000_NS6detail17trampoline_kernelINS0_14default_configENS1_35radix_sort_onesweep_config_selectorIxNS0_10empty_typeEEEZZNS1_29radix_sort_onesweep_iterationIS3_Lb0EN6thrust23THRUST_200600_302600_NS6detail15normal_iteratorINS9_10device_ptrIxEEEESE_PS5_SF_jNS0_19identity_decomposerENS1_16block_id_wrapperIjLb0EEEEE10hipError_tT1_PNSt15iterator_traitsISK_E10value_typeET2_T3_PNSL_ISQ_E10value_typeET4_T5_PSV_SW_PNS1_23onesweep_lookback_stateEbbT6_jjT7_P12ihipStream_tbENKUlT_T0_SK_SP_E_clISE_PxSF_SF_EEDaS13_S14_SK_SP_EUlS13_E_NS1_11comp_targetILNS1_3genE3ELNS1_11target_archE908ELNS1_3gpuE7ELNS1_3repE0EEENS1_47radix_sort_onesweep_sort_config_static_selectorELNS0_4arch9wavefront6targetE1EEEvSK_,comdat
	.protected	_ZN7rocprim17ROCPRIM_400000_NS6detail17trampoline_kernelINS0_14default_configENS1_35radix_sort_onesweep_config_selectorIxNS0_10empty_typeEEEZZNS1_29radix_sort_onesweep_iterationIS3_Lb0EN6thrust23THRUST_200600_302600_NS6detail15normal_iteratorINS9_10device_ptrIxEEEESE_PS5_SF_jNS0_19identity_decomposerENS1_16block_id_wrapperIjLb0EEEEE10hipError_tT1_PNSt15iterator_traitsISK_E10value_typeET2_T3_PNSL_ISQ_E10value_typeET4_T5_PSV_SW_PNS1_23onesweep_lookback_stateEbbT6_jjT7_P12ihipStream_tbENKUlT_T0_SK_SP_E_clISE_PxSF_SF_EEDaS13_S14_SK_SP_EUlS13_E_NS1_11comp_targetILNS1_3genE3ELNS1_11target_archE908ELNS1_3gpuE7ELNS1_3repE0EEENS1_47radix_sort_onesweep_sort_config_static_selectorELNS0_4arch9wavefront6targetE1EEEvSK_ ; -- Begin function _ZN7rocprim17ROCPRIM_400000_NS6detail17trampoline_kernelINS0_14default_configENS1_35radix_sort_onesweep_config_selectorIxNS0_10empty_typeEEEZZNS1_29radix_sort_onesweep_iterationIS3_Lb0EN6thrust23THRUST_200600_302600_NS6detail15normal_iteratorINS9_10device_ptrIxEEEESE_PS5_SF_jNS0_19identity_decomposerENS1_16block_id_wrapperIjLb0EEEEE10hipError_tT1_PNSt15iterator_traitsISK_E10value_typeET2_T3_PNSL_ISQ_E10value_typeET4_T5_PSV_SW_PNS1_23onesweep_lookback_stateEbbT6_jjT7_P12ihipStream_tbENKUlT_T0_SK_SP_E_clISE_PxSF_SF_EEDaS13_S14_SK_SP_EUlS13_E_NS1_11comp_targetILNS1_3genE3ELNS1_11target_archE908ELNS1_3gpuE7ELNS1_3repE0EEENS1_47radix_sort_onesweep_sort_config_static_selectorELNS0_4arch9wavefront6targetE1EEEvSK_
	.globl	_ZN7rocprim17ROCPRIM_400000_NS6detail17trampoline_kernelINS0_14default_configENS1_35radix_sort_onesweep_config_selectorIxNS0_10empty_typeEEEZZNS1_29radix_sort_onesweep_iterationIS3_Lb0EN6thrust23THRUST_200600_302600_NS6detail15normal_iteratorINS9_10device_ptrIxEEEESE_PS5_SF_jNS0_19identity_decomposerENS1_16block_id_wrapperIjLb0EEEEE10hipError_tT1_PNSt15iterator_traitsISK_E10value_typeET2_T3_PNSL_ISQ_E10value_typeET4_T5_PSV_SW_PNS1_23onesweep_lookback_stateEbbT6_jjT7_P12ihipStream_tbENKUlT_T0_SK_SP_E_clISE_PxSF_SF_EEDaS13_S14_SK_SP_EUlS13_E_NS1_11comp_targetILNS1_3genE3ELNS1_11target_archE908ELNS1_3gpuE7ELNS1_3repE0EEENS1_47radix_sort_onesweep_sort_config_static_selectorELNS0_4arch9wavefront6targetE1EEEvSK_
	.p2align	8
	.type	_ZN7rocprim17ROCPRIM_400000_NS6detail17trampoline_kernelINS0_14default_configENS1_35radix_sort_onesweep_config_selectorIxNS0_10empty_typeEEEZZNS1_29radix_sort_onesweep_iterationIS3_Lb0EN6thrust23THRUST_200600_302600_NS6detail15normal_iteratorINS9_10device_ptrIxEEEESE_PS5_SF_jNS0_19identity_decomposerENS1_16block_id_wrapperIjLb0EEEEE10hipError_tT1_PNSt15iterator_traitsISK_E10value_typeET2_T3_PNSL_ISQ_E10value_typeET4_T5_PSV_SW_PNS1_23onesweep_lookback_stateEbbT6_jjT7_P12ihipStream_tbENKUlT_T0_SK_SP_E_clISE_PxSF_SF_EEDaS13_S14_SK_SP_EUlS13_E_NS1_11comp_targetILNS1_3genE3ELNS1_11target_archE908ELNS1_3gpuE7ELNS1_3repE0EEENS1_47radix_sort_onesweep_sort_config_static_selectorELNS0_4arch9wavefront6targetE1EEEvSK_,@function
_ZN7rocprim17ROCPRIM_400000_NS6detail17trampoline_kernelINS0_14default_configENS1_35radix_sort_onesweep_config_selectorIxNS0_10empty_typeEEEZZNS1_29radix_sort_onesweep_iterationIS3_Lb0EN6thrust23THRUST_200600_302600_NS6detail15normal_iteratorINS9_10device_ptrIxEEEESE_PS5_SF_jNS0_19identity_decomposerENS1_16block_id_wrapperIjLb0EEEEE10hipError_tT1_PNSt15iterator_traitsISK_E10value_typeET2_T3_PNSL_ISQ_E10value_typeET4_T5_PSV_SW_PNS1_23onesweep_lookback_stateEbbT6_jjT7_P12ihipStream_tbENKUlT_T0_SK_SP_E_clISE_PxSF_SF_EEDaS13_S14_SK_SP_EUlS13_E_NS1_11comp_targetILNS1_3genE3ELNS1_11target_archE908ELNS1_3gpuE7ELNS1_3repE0EEENS1_47radix_sort_onesweep_sort_config_static_selectorELNS0_4arch9wavefront6targetE1EEEvSK_: ; @_ZN7rocprim17ROCPRIM_400000_NS6detail17trampoline_kernelINS0_14default_configENS1_35radix_sort_onesweep_config_selectorIxNS0_10empty_typeEEEZZNS1_29radix_sort_onesweep_iterationIS3_Lb0EN6thrust23THRUST_200600_302600_NS6detail15normal_iteratorINS9_10device_ptrIxEEEESE_PS5_SF_jNS0_19identity_decomposerENS1_16block_id_wrapperIjLb0EEEEE10hipError_tT1_PNSt15iterator_traitsISK_E10value_typeET2_T3_PNSL_ISQ_E10value_typeET4_T5_PSV_SW_PNS1_23onesweep_lookback_stateEbbT6_jjT7_P12ihipStream_tbENKUlT_T0_SK_SP_E_clISE_PxSF_SF_EEDaS13_S14_SK_SP_EUlS13_E_NS1_11comp_targetILNS1_3genE3ELNS1_11target_archE908ELNS1_3gpuE7ELNS1_3repE0EEENS1_47radix_sort_onesweep_sort_config_static_selectorELNS0_4arch9wavefront6targetE1EEEvSK_
; %bb.0:
	.section	.rodata,"a",@progbits
	.p2align	6, 0x0
	.amdhsa_kernel _ZN7rocprim17ROCPRIM_400000_NS6detail17trampoline_kernelINS0_14default_configENS1_35radix_sort_onesweep_config_selectorIxNS0_10empty_typeEEEZZNS1_29radix_sort_onesweep_iterationIS3_Lb0EN6thrust23THRUST_200600_302600_NS6detail15normal_iteratorINS9_10device_ptrIxEEEESE_PS5_SF_jNS0_19identity_decomposerENS1_16block_id_wrapperIjLb0EEEEE10hipError_tT1_PNSt15iterator_traitsISK_E10value_typeET2_T3_PNSL_ISQ_E10value_typeET4_T5_PSV_SW_PNS1_23onesweep_lookback_stateEbbT6_jjT7_P12ihipStream_tbENKUlT_T0_SK_SP_E_clISE_PxSF_SF_EEDaS13_S14_SK_SP_EUlS13_E_NS1_11comp_targetILNS1_3genE3ELNS1_11target_archE908ELNS1_3gpuE7ELNS1_3repE0EEENS1_47radix_sort_onesweep_sort_config_static_selectorELNS0_4arch9wavefront6targetE1EEEvSK_
		.amdhsa_group_segment_fixed_size 0
		.amdhsa_private_segment_fixed_size 0
		.amdhsa_kernarg_size 88
		.amdhsa_user_sgpr_count 6
		.amdhsa_user_sgpr_private_segment_buffer 1
		.amdhsa_user_sgpr_dispatch_ptr 0
		.amdhsa_user_sgpr_queue_ptr 0
		.amdhsa_user_sgpr_kernarg_segment_ptr 1
		.amdhsa_user_sgpr_dispatch_id 0
		.amdhsa_user_sgpr_flat_scratch_init 0
		.amdhsa_user_sgpr_kernarg_preload_length 0
		.amdhsa_user_sgpr_kernarg_preload_offset 0
		.amdhsa_user_sgpr_private_segment_size 0
		.amdhsa_uses_dynamic_stack 0
		.amdhsa_system_sgpr_private_segment_wavefront_offset 0
		.amdhsa_system_sgpr_workgroup_id_x 1
		.amdhsa_system_sgpr_workgroup_id_y 0
		.amdhsa_system_sgpr_workgroup_id_z 0
		.amdhsa_system_sgpr_workgroup_info 0
		.amdhsa_system_vgpr_workitem_id 0
		.amdhsa_next_free_vgpr 1
		.amdhsa_next_free_sgpr 0
		.amdhsa_accum_offset 4
		.amdhsa_reserve_vcc 0
		.amdhsa_reserve_flat_scratch 0
		.amdhsa_float_round_mode_32 0
		.amdhsa_float_round_mode_16_64 0
		.amdhsa_float_denorm_mode_32 3
		.amdhsa_float_denorm_mode_16_64 3
		.amdhsa_dx10_clamp 1
		.amdhsa_ieee_mode 1
		.amdhsa_fp16_overflow 0
		.amdhsa_tg_split 0
		.amdhsa_exception_fp_ieee_invalid_op 0
		.amdhsa_exception_fp_denorm_src 0
		.amdhsa_exception_fp_ieee_div_zero 0
		.amdhsa_exception_fp_ieee_overflow 0
		.amdhsa_exception_fp_ieee_underflow 0
		.amdhsa_exception_fp_ieee_inexact 0
		.amdhsa_exception_int_div_zero 0
	.end_amdhsa_kernel
	.section	.text._ZN7rocprim17ROCPRIM_400000_NS6detail17trampoline_kernelINS0_14default_configENS1_35radix_sort_onesweep_config_selectorIxNS0_10empty_typeEEEZZNS1_29radix_sort_onesweep_iterationIS3_Lb0EN6thrust23THRUST_200600_302600_NS6detail15normal_iteratorINS9_10device_ptrIxEEEESE_PS5_SF_jNS0_19identity_decomposerENS1_16block_id_wrapperIjLb0EEEEE10hipError_tT1_PNSt15iterator_traitsISK_E10value_typeET2_T3_PNSL_ISQ_E10value_typeET4_T5_PSV_SW_PNS1_23onesweep_lookback_stateEbbT6_jjT7_P12ihipStream_tbENKUlT_T0_SK_SP_E_clISE_PxSF_SF_EEDaS13_S14_SK_SP_EUlS13_E_NS1_11comp_targetILNS1_3genE3ELNS1_11target_archE908ELNS1_3gpuE7ELNS1_3repE0EEENS1_47radix_sort_onesweep_sort_config_static_selectorELNS0_4arch9wavefront6targetE1EEEvSK_,"axG",@progbits,_ZN7rocprim17ROCPRIM_400000_NS6detail17trampoline_kernelINS0_14default_configENS1_35radix_sort_onesweep_config_selectorIxNS0_10empty_typeEEEZZNS1_29radix_sort_onesweep_iterationIS3_Lb0EN6thrust23THRUST_200600_302600_NS6detail15normal_iteratorINS9_10device_ptrIxEEEESE_PS5_SF_jNS0_19identity_decomposerENS1_16block_id_wrapperIjLb0EEEEE10hipError_tT1_PNSt15iterator_traitsISK_E10value_typeET2_T3_PNSL_ISQ_E10value_typeET4_T5_PSV_SW_PNS1_23onesweep_lookback_stateEbbT6_jjT7_P12ihipStream_tbENKUlT_T0_SK_SP_E_clISE_PxSF_SF_EEDaS13_S14_SK_SP_EUlS13_E_NS1_11comp_targetILNS1_3genE3ELNS1_11target_archE908ELNS1_3gpuE7ELNS1_3repE0EEENS1_47radix_sort_onesweep_sort_config_static_selectorELNS0_4arch9wavefront6targetE1EEEvSK_,comdat
.Lfunc_end1583:
	.size	_ZN7rocprim17ROCPRIM_400000_NS6detail17trampoline_kernelINS0_14default_configENS1_35radix_sort_onesweep_config_selectorIxNS0_10empty_typeEEEZZNS1_29radix_sort_onesweep_iterationIS3_Lb0EN6thrust23THRUST_200600_302600_NS6detail15normal_iteratorINS9_10device_ptrIxEEEESE_PS5_SF_jNS0_19identity_decomposerENS1_16block_id_wrapperIjLb0EEEEE10hipError_tT1_PNSt15iterator_traitsISK_E10value_typeET2_T3_PNSL_ISQ_E10value_typeET4_T5_PSV_SW_PNS1_23onesweep_lookback_stateEbbT6_jjT7_P12ihipStream_tbENKUlT_T0_SK_SP_E_clISE_PxSF_SF_EEDaS13_S14_SK_SP_EUlS13_E_NS1_11comp_targetILNS1_3genE3ELNS1_11target_archE908ELNS1_3gpuE7ELNS1_3repE0EEENS1_47radix_sort_onesweep_sort_config_static_selectorELNS0_4arch9wavefront6targetE1EEEvSK_, .Lfunc_end1583-_ZN7rocprim17ROCPRIM_400000_NS6detail17trampoline_kernelINS0_14default_configENS1_35radix_sort_onesweep_config_selectorIxNS0_10empty_typeEEEZZNS1_29radix_sort_onesweep_iterationIS3_Lb0EN6thrust23THRUST_200600_302600_NS6detail15normal_iteratorINS9_10device_ptrIxEEEESE_PS5_SF_jNS0_19identity_decomposerENS1_16block_id_wrapperIjLb0EEEEE10hipError_tT1_PNSt15iterator_traitsISK_E10value_typeET2_T3_PNSL_ISQ_E10value_typeET4_T5_PSV_SW_PNS1_23onesweep_lookback_stateEbbT6_jjT7_P12ihipStream_tbENKUlT_T0_SK_SP_E_clISE_PxSF_SF_EEDaS13_S14_SK_SP_EUlS13_E_NS1_11comp_targetILNS1_3genE3ELNS1_11target_archE908ELNS1_3gpuE7ELNS1_3repE0EEENS1_47radix_sort_onesweep_sort_config_static_selectorELNS0_4arch9wavefront6targetE1EEEvSK_
                                        ; -- End function
	.section	.AMDGPU.csdata,"",@progbits
; Kernel info:
; codeLenInByte = 0
; NumSgprs: 4
; NumVgprs: 0
; NumAgprs: 0
; TotalNumVgprs: 0
; ScratchSize: 0
; MemoryBound: 0
; FloatMode: 240
; IeeeMode: 1
; LDSByteSize: 0 bytes/workgroup (compile time only)
; SGPRBlocks: 0
; VGPRBlocks: 0
; NumSGPRsForWavesPerEU: 4
; NumVGPRsForWavesPerEU: 1
; AccumOffset: 4
; Occupancy: 8
; WaveLimiterHint : 0
; COMPUTE_PGM_RSRC2:SCRATCH_EN: 0
; COMPUTE_PGM_RSRC2:USER_SGPR: 6
; COMPUTE_PGM_RSRC2:TRAP_HANDLER: 0
; COMPUTE_PGM_RSRC2:TGID_X_EN: 1
; COMPUTE_PGM_RSRC2:TGID_Y_EN: 0
; COMPUTE_PGM_RSRC2:TGID_Z_EN: 0
; COMPUTE_PGM_RSRC2:TIDIG_COMP_CNT: 0
; COMPUTE_PGM_RSRC3_GFX90A:ACCUM_OFFSET: 0
; COMPUTE_PGM_RSRC3_GFX90A:TG_SPLIT: 0
	.section	.text._ZN7rocprim17ROCPRIM_400000_NS6detail17trampoline_kernelINS0_14default_configENS1_35radix_sort_onesweep_config_selectorIxNS0_10empty_typeEEEZZNS1_29radix_sort_onesweep_iterationIS3_Lb0EN6thrust23THRUST_200600_302600_NS6detail15normal_iteratorINS9_10device_ptrIxEEEESE_PS5_SF_jNS0_19identity_decomposerENS1_16block_id_wrapperIjLb0EEEEE10hipError_tT1_PNSt15iterator_traitsISK_E10value_typeET2_T3_PNSL_ISQ_E10value_typeET4_T5_PSV_SW_PNS1_23onesweep_lookback_stateEbbT6_jjT7_P12ihipStream_tbENKUlT_T0_SK_SP_E_clISE_PxSF_SF_EEDaS13_S14_SK_SP_EUlS13_E_NS1_11comp_targetILNS1_3genE10ELNS1_11target_archE1201ELNS1_3gpuE5ELNS1_3repE0EEENS1_47radix_sort_onesweep_sort_config_static_selectorELNS0_4arch9wavefront6targetE1EEEvSK_,"axG",@progbits,_ZN7rocprim17ROCPRIM_400000_NS6detail17trampoline_kernelINS0_14default_configENS1_35radix_sort_onesweep_config_selectorIxNS0_10empty_typeEEEZZNS1_29radix_sort_onesweep_iterationIS3_Lb0EN6thrust23THRUST_200600_302600_NS6detail15normal_iteratorINS9_10device_ptrIxEEEESE_PS5_SF_jNS0_19identity_decomposerENS1_16block_id_wrapperIjLb0EEEEE10hipError_tT1_PNSt15iterator_traitsISK_E10value_typeET2_T3_PNSL_ISQ_E10value_typeET4_T5_PSV_SW_PNS1_23onesweep_lookback_stateEbbT6_jjT7_P12ihipStream_tbENKUlT_T0_SK_SP_E_clISE_PxSF_SF_EEDaS13_S14_SK_SP_EUlS13_E_NS1_11comp_targetILNS1_3genE10ELNS1_11target_archE1201ELNS1_3gpuE5ELNS1_3repE0EEENS1_47radix_sort_onesweep_sort_config_static_selectorELNS0_4arch9wavefront6targetE1EEEvSK_,comdat
	.protected	_ZN7rocprim17ROCPRIM_400000_NS6detail17trampoline_kernelINS0_14default_configENS1_35radix_sort_onesweep_config_selectorIxNS0_10empty_typeEEEZZNS1_29radix_sort_onesweep_iterationIS3_Lb0EN6thrust23THRUST_200600_302600_NS6detail15normal_iteratorINS9_10device_ptrIxEEEESE_PS5_SF_jNS0_19identity_decomposerENS1_16block_id_wrapperIjLb0EEEEE10hipError_tT1_PNSt15iterator_traitsISK_E10value_typeET2_T3_PNSL_ISQ_E10value_typeET4_T5_PSV_SW_PNS1_23onesweep_lookback_stateEbbT6_jjT7_P12ihipStream_tbENKUlT_T0_SK_SP_E_clISE_PxSF_SF_EEDaS13_S14_SK_SP_EUlS13_E_NS1_11comp_targetILNS1_3genE10ELNS1_11target_archE1201ELNS1_3gpuE5ELNS1_3repE0EEENS1_47radix_sort_onesweep_sort_config_static_selectorELNS0_4arch9wavefront6targetE1EEEvSK_ ; -- Begin function _ZN7rocprim17ROCPRIM_400000_NS6detail17trampoline_kernelINS0_14default_configENS1_35radix_sort_onesweep_config_selectorIxNS0_10empty_typeEEEZZNS1_29radix_sort_onesweep_iterationIS3_Lb0EN6thrust23THRUST_200600_302600_NS6detail15normal_iteratorINS9_10device_ptrIxEEEESE_PS5_SF_jNS0_19identity_decomposerENS1_16block_id_wrapperIjLb0EEEEE10hipError_tT1_PNSt15iterator_traitsISK_E10value_typeET2_T3_PNSL_ISQ_E10value_typeET4_T5_PSV_SW_PNS1_23onesweep_lookback_stateEbbT6_jjT7_P12ihipStream_tbENKUlT_T0_SK_SP_E_clISE_PxSF_SF_EEDaS13_S14_SK_SP_EUlS13_E_NS1_11comp_targetILNS1_3genE10ELNS1_11target_archE1201ELNS1_3gpuE5ELNS1_3repE0EEENS1_47radix_sort_onesweep_sort_config_static_selectorELNS0_4arch9wavefront6targetE1EEEvSK_
	.globl	_ZN7rocprim17ROCPRIM_400000_NS6detail17trampoline_kernelINS0_14default_configENS1_35radix_sort_onesweep_config_selectorIxNS0_10empty_typeEEEZZNS1_29radix_sort_onesweep_iterationIS3_Lb0EN6thrust23THRUST_200600_302600_NS6detail15normal_iteratorINS9_10device_ptrIxEEEESE_PS5_SF_jNS0_19identity_decomposerENS1_16block_id_wrapperIjLb0EEEEE10hipError_tT1_PNSt15iterator_traitsISK_E10value_typeET2_T3_PNSL_ISQ_E10value_typeET4_T5_PSV_SW_PNS1_23onesweep_lookback_stateEbbT6_jjT7_P12ihipStream_tbENKUlT_T0_SK_SP_E_clISE_PxSF_SF_EEDaS13_S14_SK_SP_EUlS13_E_NS1_11comp_targetILNS1_3genE10ELNS1_11target_archE1201ELNS1_3gpuE5ELNS1_3repE0EEENS1_47radix_sort_onesweep_sort_config_static_selectorELNS0_4arch9wavefront6targetE1EEEvSK_
	.p2align	8
	.type	_ZN7rocprim17ROCPRIM_400000_NS6detail17trampoline_kernelINS0_14default_configENS1_35radix_sort_onesweep_config_selectorIxNS0_10empty_typeEEEZZNS1_29radix_sort_onesweep_iterationIS3_Lb0EN6thrust23THRUST_200600_302600_NS6detail15normal_iteratorINS9_10device_ptrIxEEEESE_PS5_SF_jNS0_19identity_decomposerENS1_16block_id_wrapperIjLb0EEEEE10hipError_tT1_PNSt15iterator_traitsISK_E10value_typeET2_T3_PNSL_ISQ_E10value_typeET4_T5_PSV_SW_PNS1_23onesweep_lookback_stateEbbT6_jjT7_P12ihipStream_tbENKUlT_T0_SK_SP_E_clISE_PxSF_SF_EEDaS13_S14_SK_SP_EUlS13_E_NS1_11comp_targetILNS1_3genE10ELNS1_11target_archE1201ELNS1_3gpuE5ELNS1_3repE0EEENS1_47radix_sort_onesweep_sort_config_static_selectorELNS0_4arch9wavefront6targetE1EEEvSK_,@function
_ZN7rocprim17ROCPRIM_400000_NS6detail17trampoline_kernelINS0_14default_configENS1_35radix_sort_onesweep_config_selectorIxNS0_10empty_typeEEEZZNS1_29radix_sort_onesweep_iterationIS3_Lb0EN6thrust23THRUST_200600_302600_NS6detail15normal_iteratorINS9_10device_ptrIxEEEESE_PS5_SF_jNS0_19identity_decomposerENS1_16block_id_wrapperIjLb0EEEEE10hipError_tT1_PNSt15iterator_traitsISK_E10value_typeET2_T3_PNSL_ISQ_E10value_typeET4_T5_PSV_SW_PNS1_23onesweep_lookback_stateEbbT6_jjT7_P12ihipStream_tbENKUlT_T0_SK_SP_E_clISE_PxSF_SF_EEDaS13_S14_SK_SP_EUlS13_E_NS1_11comp_targetILNS1_3genE10ELNS1_11target_archE1201ELNS1_3gpuE5ELNS1_3repE0EEENS1_47radix_sort_onesweep_sort_config_static_selectorELNS0_4arch9wavefront6targetE1EEEvSK_: ; @_ZN7rocprim17ROCPRIM_400000_NS6detail17trampoline_kernelINS0_14default_configENS1_35radix_sort_onesweep_config_selectorIxNS0_10empty_typeEEEZZNS1_29radix_sort_onesweep_iterationIS3_Lb0EN6thrust23THRUST_200600_302600_NS6detail15normal_iteratorINS9_10device_ptrIxEEEESE_PS5_SF_jNS0_19identity_decomposerENS1_16block_id_wrapperIjLb0EEEEE10hipError_tT1_PNSt15iterator_traitsISK_E10value_typeET2_T3_PNSL_ISQ_E10value_typeET4_T5_PSV_SW_PNS1_23onesweep_lookback_stateEbbT6_jjT7_P12ihipStream_tbENKUlT_T0_SK_SP_E_clISE_PxSF_SF_EEDaS13_S14_SK_SP_EUlS13_E_NS1_11comp_targetILNS1_3genE10ELNS1_11target_archE1201ELNS1_3gpuE5ELNS1_3repE0EEENS1_47radix_sort_onesweep_sort_config_static_selectorELNS0_4arch9wavefront6targetE1EEEvSK_
; %bb.0:
	.section	.rodata,"a",@progbits
	.p2align	6, 0x0
	.amdhsa_kernel _ZN7rocprim17ROCPRIM_400000_NS6detail17trampoline_kernelINS0_14default_configENS1_35radix_sort_onesweep_config_selectorIxNS0_10empty_typeEEEZZNS1_29radix_sort_onesweep_iterationIS3_Lb0EN6thrust23THRUST_200600_302600_NS6detail15normal_iteratorINS9_10device_ptrIxEEEESE_PS5_SF_jNS0_19identity_decomposerENS1_16block_id_wrapperIjLb0EEEEE10hipError_tT1_PNSt15iterator_traitsISK_E10value_typeET2_T3_PNSL_ISQ_E10value_typeET4_T5_PSV_SW_PNS1_23onesweep_lookback_stateEbbT6_jjT7_P12ihipStream_tbENKUlT_T0_SK_SP_E_clISE_PxSF_SF_EEDaS13_S14_SK_SP_EUlS13_E_NS1_11comp_targetILNS1_3genE10ELNS1_11target_archE1201ELNS1_3gpuE5ELNS1_3repE0EEENS1_47radix_sort_onesweep_sort_config_static_selectorELNS0_4arch9wavefront6targetE1EEEvSK_
		.amdhsa_group_segment_fixed_size 0
		.amdhsa_private_segment_fixed_size 0
		.amdhsa_kernarg_size 88
		.amdhsa_user_sgpr_count 6
		.amdhsa_user_sgpr_private_segment_buffer 1
		.amdhsa_user_sgpr_dispatch_ptr 0
		.amdhsa_user_sgpr_queue_ptr 0
		.amdhsa_user_sgpr_kernarg_segment_ptr 1
		.amdhsa_user_sgpr_dispatch_id 0
		.amdhsa_user_sgpr_flat_scratch_init 0
		.amdhsa_user_sgpr_kernarg_preload_length 0
		.amdhsa_user_sgpr_kernarg_preload_offset 0
		.amdhsa_user_sgpr_private_segment_size 0
		.amdhsa_uses_dynamic_stack 0
		.amdhsa_system_sgpr_private_segment_wavefront_offset 0
		.amdhsa_system_sgpr_workgroup_id_x 1
		.amdhsa_system_sgpr_workgroup_id_y 0
		.amdhsa_system_sgpr_workgroup_id_z 0
		.amdhsa_system_sgpr_workgroup_info 0
		.amdhsa_system_vgpr_workitem_id 0
		.amdhsa_next_free_vgpr 1
		.amdhsa_next_free_sgpr 0
		.amdhsa_accum_offset 4
		.amdhsa_reserve_vcc 0
		.amdhsa_reserve_flat_scratch 0
		.amdhsa_float_round_mode_32 0
		.amdhsa_float_round_mode_16_64 0
		.amdhsa_float_denorm_mode_32 3
		.amdhsa_float_denorm_mode_16_64 3
		.amdhsa_dx10_clamp 1
		.amdhsa_ieee_mode 1
		.amdhsa_fp16_overflow 0
		.amdhsa_tg_split 0
		.amdhsa_exception_fp_ieee_invalid_op 0
		.amdhsa_exception_fp_denorm_src 0
		.amdhsa_exception_fp_ieee_div_zero 0
		.amdhsa_exception_fp_ieee_overflow 0
		.amdhsa_exception_fp_ieee_underflow 0
		.amdhsa_exception_fp_ieee_inexact 0
		.amdhsa_exception_int_div_zero 0
	.end_amdhsa_kernel
	.section	.text._ZN7rocprim17ROCPRIM_400000_NS6detail17trampoline_kernelINS0_14default_configENS1_35radix_sort_onesweep_config_selectorIxNS0_10empty_typeEEEZZNS1_29radix_sort_onesweep_iterationIS3_Lb0EN6thrust23THRUST_200600_302600_NS6detail15normal_iteratorINS9_10device_ptrIxEEEESE_PS5_SF_jNS0_19identity_decomposerENS1_16block_id_wrapperIjLb0EEEEE10hipError_tT1_PNSt15iterator_traitsISK_E10value_typeET2_T3_PNSL_ISQ_E10value_typeET4_T5_PSV_SW_PNS1_23onesweep_lookback_stateEbbT6_jjT7_P12ihipStream_tbENKUlT_T0_SK_SP_E_clISE_PxSF_SF_EEDaS13_S14_SK_SP_EUlS13_E_NS1_11comp_targetILNS1_3genE10ELNS1_11target_archE1201ELNS1_3gpuE5ELNS1_3repE0EEENS1_47radix_sort_onesweep_sort_config_static_selectorELNS0_4arch9wavefront6targetE1EEEvSK_,"axG",@progbits,_ZN7rocprim17ROCPRIM_400000_NS6detail17trampoline_kernelINS0_14default_configENS1_35radix_sort_onesweep_config_selectorIxNS0_10empty_typeEEEZZNS1_29radix_sort_onesweep_iterationIS3_Lb0EN6thrust23THRUST_200600_302600_NS6detail15normal_iteratorINS9_10device_ptrIxEEEESE_PS5_SF_jNS0_19identity_decomposerENS1_16block_id_wrapperIjLb0EEEEE10hipError_tT1_PNSt15iterator_traitsISK_E10value_typeET2_T3_PNSL_ISQ_E10value_typeET4_T5_PSV_SW_PNS1_23onesweep_lookback_stateEbbT6_jjT7_P12ihipStream_tbENKUlT_T0_SK_SP_E_clISE_PxSF_SF_EEDaS13_S14_SK_SP_EUlS13_E_NS1_11comp_targetILNS1_3genE10ELNS1_11target_archE1201ELNS1_3gpuE5ELNS1_3repE0EEENS1_47radix_sort_onesweep_sort_config_static_selectorELNS0_4arch9wavefront6targetE1EEEvSK_,comdat
.Lfunc_end1584:
	.size	_ZN7rocprim17ROCPRIM_400000_NS6detail17trampoline_kernelINS0_14default_configENS1_35radix_sort_onesweep_config_selectorIxNS0_10empty_typeEEEZZNS1_29radix_sort_onesweep_iterationIS3_Lb0EN6thrust23THRUST_200600_302600_NS6detail15normal_iteratorINS9_10device_ptrIxEEEESE_PS5_SF_jNS0_19identity_decomposerENS1_16block_id_wrapperIjLb0EEEEE10hipError_tT1_PNSt15iterator_traitsISK_E10value_typeET2_T3_PNSL_ISQ_E10value_typeET4_T5_PSV_SW_PNS1_23onesweep_lookback_stateEbbT6_jjT7_P12ihipStream_tbENKUlT_T0_SK_SP_E_clISE_PxSF_SF_EEDaS13_S14_SK_SP_EUlS13_E_NS1_11comp_targetILNS1_3genE10ELNS1_11target_archE1201ELNS1_3gpuE5ELNS1_3repE0EEENS1_47radix_sort_onesweep_sort_config_static_selectorELNS0_4arch9wavefront6targetE1EEEvSK_, .Lfunc_end1584-_ZN7rocprim17ROCPRIM_400000_NS6detail17trampoline_kernelINS0_14default_configENS1_35radix_sort_onesweep_config_selectorIxNS0_10empty_typeEEEZZNS1_29radix_sort_onesweep_iterationIS3_Lb0EN6thrust23THRUST_200600_302600_NS6detail15normal_iteratorINS9_10device_ptrIxEEEESE_PS5_SF_jNS0_19identity_decomposerENS1_16block_id_wrapperIjLb0EEEEE10hipError_tT1_PNSt15iterator_traitsISK_E10value_typeET2_T3_PNSL_ISQ_E10value_typeET4_T5_PSV_SW_PNS1_23onesweep_lookback_stateEbbT6_jjT7_P12ihipStream_tbENKUlT_T0_SK_SP_E_clISE_PxSF_SF_EEDaS13_S14_SK_SP_EUlS13_E_NS1_11comp_targetILNS1_3genE10ELNS1_11target_archE1201ELNS1_3gpuE5ELNS1_3repE0EEENS1_47radix_sort_onesweep_sort_config_static_selectorELNS0_4arch9wavefront6targetE1EEEvSK_
                                        ; -- End function
	.section	.AMDGPU.csdata,"",@progbits
; Kernel info:
; codeLenInByte = 0
; NumSgprs: 4
; NumVgprs: 0
; NumAgprs: 0
; TotalNumVgprs: 0
; ScratchSize: 0
; MemoryBound: 0
; FloatMode: 240
; IeeeMode: 1
; LDSByteSize: 0 bytes/workgroup (compile time only)
; SGPRBlocks: 0
; VGPRBlocks: 0
; NumSGPRsForWavesPerEU: 4
; NumVGPRsForWavesPerEU: 1
; AccumOffset: 4
; Occupancy: 8
; WaveLimiterHint : 0
; COMPUTE_PGM_RSRC2:SCRATCH_EN: 0
; COMPUTE_PGM_RSRC2:USER_SGPR: 6
; COMPUTE_PGM_RSRC2:TRAP_HANDLER: 0
; COMPUTE_PGM_RSRC2:TGID_X_EN: 1
; COMPUTE_PGM_RSRC2:TGID_Y_EN: 0
; COMPUTE_PGM_RSRC2:TGID_Z_EN: 0
; COMPUTE_PGM_RSRC2:TIDIG_COMP_CNT: 0
; COMPUTE_PGM_RSRC3_GFX90A:ACCUM_OFFSET: 0
; COMPUTE_PGM_RSRC3_GFX90A:TG_SPLIT: 0
	.section	.text._ZN7rocprim17ROCPRIM_400000_NS6detail17trampoline_kernelINS0_14default_configENS1_35radix_sort_onesweep_config_selectorIxNS0_10empty_typeEEEZZNS1_29radix_sort_onesweep_iterationIS3_Lb0EN6thrust23THRUST_200600_302600_NS6detail15normal_iteratorINS9_10device_ptrIxEEEESE_PS5_SF_jNS0_19identity_decomposerENS1_16block_id_wrapperIjLb0EEEEE10hipError_tT1_PNSt15iterator_traitsISK_E10value_typeET2_T3_PNSL_ISQ_E10value_typeET4_T5_PSV_SW_PNS1_23onesweep_lookback_stateEbbT6_jjT7_P12ihipStream_tbENKUlT_T0_SK_SP_E_clISE_PxSF_SF_EEDaS13_S14_SK_SP_EUlS13_E_NS1_11comp_targetILNS1_3genE9ELNS1_11target_archE1100ELNS1_3gpuE3ELNS1_3repE0EEENS1_47radix_sort_onesweep_sort_config_static_selectorELNS0_4arch9wavefront6targetE1EEEvSK_,"axG",@progbits,_ZN7rocprim17ROCPRIM_400000_NS6detail17trampoline_kernelINS0_14default_configENS1_35radix_sort_onesweep_config_selectorIxNS0_10empty_typeEEEZZNS1_29radix_sort_onesweep_iterationIS3_Lb0EN6thrust23THRUST_200600_302600_NS6detail15normal_iteratorINS9_10device_ptrIxEEEESE_PS5_SF_jNS0_19identity_decomposerENS1_16block_id_wrapperIjLb0EEEEE10hipError_tT1_PNSt15iterator_traitsISK_E10value_typeET2_T3_PNSL_ISQ_E10value_typeET4_T5_PSV_SW_PNS1_23onesweep_lookback_stateEbbT6_jjT7_P12ihipStream_tbENKUlT_T0_SK_SP_E_clISE_PxSF_SF_EEDaS13_S14_SK_SP_EUlS13_E_NS1_11comp_targetILNS1_3genE9ELNS1_11target_archE1100ELNS1_3gpuE3ELNS1_3repE0EEENS1_47radix_sort_onesweep_sort_config_static_selectorELNS0_4arch9wavefront6targetE1EEEvSK_,comdat
	.protected	_ZN7rocprim17ROCPRIM_400000_NS6detail17trampoline_kernelINS0_14default_configENS1_35radix_sort_onesweep_config_selectorIxNS0_10empty_typeEEEZZNS1_29radix_sort_onesweep_iterationIS3_Lb0EN6thrust23THRUST_200600_302600_NS6detail15normal_iteratorINS9_10device_ptrIxEEEESE_PS5_SF_jNS0_19identity_decomposerENS1_16block_id_wrapperIjLb0EEEEE10hipError_tT1_PNSt15iterator_traitsISK_E10value_typeET2_T3_PNSL_ISQ_E10value_typeET4_T5_PSV_SW_PNS1_23onesweep_lookback_stateEbbT6_jjT7_P12ihipStream_tbENKUlT_T0_SK_SP_E_clISE_PxSF_SF_EEDaS13_S14_SK_SP_EUlS13_E_NS1_11comp_targetILNS1_3genE9ELNS1_11target_archE1100ELNS1_3gpuE3ELNS1_3repE0EEENS1_47radix_sort_onesweep_sort_config_static_selectorELNS0_4arch9wavefront6targetE1EEEvSK_ ; -- Begin function _ZN7rocprim17ROCPRIM_400000_NS6detail17trampoline_kernelINS0_14default_configENS1_35radix_sort_onesweep_config_selectorIxNS0_10empty_typeEEEZZNS1_29radix_sort_onesweep_iterationIS3_Lb0EN6thrust23THRUST_200600_302600_NS6detail15normal_iteratorINS9_10device_ptrIxEEEESE_PS5_SF_jNS0_19identity_decomposerENS1_16block_id_wrapperIjLb0EEEEE10hipError_tT1_PNSt15iterator_traitsISK_E10value_typeET2_T3_PNSL_ISQ_E10value_typeET4_T5_PSV_SW_PNS1_23onesweep_lookback_stateEbbT6_jjT7_P12ihipStream_tbENKUlT_T0_SK_SP_E_clISE_PxSF_SF_EEDaS13_S14_SK_SP_EUlS13_E_NS1_11comp_targetILNS1_3genE9ELNS1_11target_archE1100ELNS1_3gpuE3ELNS1_3repE0EEENS1_47radix_sort_onesweep_sort_config_static_selectorELNS0_4arch9wavefront6targetE1EEEvSK_
	.globl	_ZN7rocprim17ROCPRIM_400000_NS6detail17trampoline_kernelINS0_14default_configENS1_35radix_sort_onesweep_config_selectorIxNS0_10empty_typeEEEZZNS1_29radix_sort_onesweep_iterationIS3_Lb0EN6thrust23THRUST_200600_302600_NS6detail15normal_iteratorINS9_10device_ptrIxEEEESE_PS5_SF_jNS0_19identity_decomposerENS1_16block_id_wrapperIjLb0EEEEE10hipError_tT1_PNSt15iterator_traitsISK_E10value_typeET2_T3_PNSL_ISQ_E10value_typeET4_T5_PSV_SW_PNS1_23onesweep_lookback_stateEbbT6_jjT7_P12ihipStream_tbENKUlT_T0_SK_SP_E_clISE_PxSF_SF_EEDaS13_S14_SK_SP_EUlS13_E_NS1_11comp_targetILNS1_3genE9ELNS1_11target_archE1100ELNS1_3gpuE3ELNS1_3repE0EEENS1_47radix_sort_onesweep_sort_config_static_selectorELNS0_4arch9wavefront6targetE1EEEvSK_
	.p2align	8
	.type	_ZN7rocprim17ROCPRIM_400000_NS6detail17trampoline_kernelINS0_14default_configENS1_35radix_sort_onesweep_config_selectorIxNS0_10empty_typeEEEZZNS1_29radix_sort_onesweep_iterationIS3_Lb0EN6thrust23THRUST_200600_302600_NS6detail15normal_iteratorINS9_10device_ptrIxEEEESE_PS5_SF_jNS0_19identity_decomposerENS1_16block_id_wrapperIjLb0EEEEE10hipError_tT1_PNSt15iterator_traitsISK_E10value_typeET2_T3_PNSL_ISQ_E10value_typeET4_T5_PSV_SW_PNS1_23onesweep_lookback_stateEbbT6_jjT7_P12ihipStream_tbENKUlT_T0_SK_SP_E_clISE_PxSF_SF_EEDaS13_S14_SK_SP_EUlS13_E_NS1_11comp_targetILNS1_3genE9ELNS1_11target_archE1100ELNS1_3gpuE3ELNS1_3repE0EEENS1_47radix_sort_onesweep_sort_config_static_selectorELNS0_4arch9wavefront6targetE1EEEvSK_,@function
_ZN7rocprim17ROCPRIM_400000_NS6detail17trampoline_kernelINS0_14default_configENS1_35radix_sort_onesweep_config_selectorIxNS0_10empty_typeEEEZZNS1_29radix_sort_onesweep_iterationIS3_Lb0EN6thrust23THRUST_200600_302600_NS6detail15normal_iteratorINS9_10device_ptrIxEEEESE_PS5_SF_jNS0_19identity_decomposerENS1_16block_id_wrapperIjLb0EEEEE10hipError_tT1_PNSt15iterator_traitsISK_E10value_typeET2_T3_PNSL_ISQ_E10value_typeET4_T5_PSV_SW_PNS1_23onesweep_lookback_stateEbbT6_jjT7_P12ihipStream_tbENKUlT_T0_SK_SP_E_clISE_PxSF_SF_EEDaS13_S14_SK_SP_EUlS13_E_NS1_11comp_targetILNS1_3genE9ELNS1_11target_archE1100ELNS1_3gpuE3ELNS1_3repE0EEENS1_47radix_sort_onesweep_sort_config_static_selectorELNS0_4arch9wavefront6targetE1EEEvSK_: ; @_ZN7rocprim17ROCPRIM_400000_NS6detail17trampoline_kernelINS0_14default_configENS1_35radix_sort_onesweep_config_selectorIxNS0_10empty_typeEEEZZNS1_29radix_sort_onesweep_iterationIS3_Lb0EN6thrust23THRUST_200600_302600_NS6detail15normal_iteratorINS9_10device_ptrIxEEEESE_PS5_SF_jNS0_19identity_decomposerENS1_16block_id_wrapperIjLb0EEEEE10hipError_tT1_PNSt15iterator_traitsISK_E10value_typeET2_T3_PNSL_ISQ_E10value_typeET4_T5_PSV_SW_PNS1_23onesweep_lookback_stateEbbT6_jjT7_P12ihipStream_tbENKUlT_T0_SK_SP_E_clISE_PxSF_SF_EEDaS13_S14_SK_SP_EUlS13_E_NS1_11comp_targetILNS1_3genE9ELNS1_11target_archE1100ELNS1_3gpuE3ELNS1_3repE0EEENS1_47radix_sort_onesweep_sort_config_static_selectorELNS0_4arch9wavefront6targetE1EEEvSK_
; %bb.0:
	.section	.rodata,"a",@progbits
	.p2align	6, 0x0
	.amdhsa_kernel _ZN7rocprim17ROCPRIM_400000_NS6detail17trampoline_kernelINS0_14default_configENS1_35radix_sort_onesweep_config_selectorIxNS0_10empty_typeEEEZZNS1_29radix_sort_onesweep_iterationIS3_Lb0EN6thrust23THRUST_200600_302600_NS6detail15normal_iteratorINS9_10device_ptrIxEEEESE_PS5_SF_jNS0_19identity_decomposerENS1_16block_id_wrapperIjLb0EEEEE10hipError_tT1_PNSt15iterator_traitsISK_E10value_typeET2_T3_PNSL_ISQ_E10value_typeET4_T5_PSV_SW_PNS1_23onesweep_lookback_stateEbbT6_jjT7_P12ihipStream_tbENKUlT_T0_SK_SP_E_clISE_PxSF_SF_EEDaS13_S14_SK_SP_EUlS13_E_NS1_11comp_targetILNS1_3genE9ELNS1_11target_archE1100ELNS1_3gpuE3ELNS1_3repE0EEENS1_47radix_sort_onesweep_sort_config_static_selectorELNS0_4arch9wavefront6targetE1EEEvSK_
		.amdhsa_group_segment_fixed_size 0
		.amdhsa_private_segment_fixed_size 0
		.amdhsa_kernarg_size 88
		.amdhsa_user_sgpr_count 6
		.amdhsa_user_sgpr_private_segment_buffer 1
		.amdhsa_user_sgpr_dispatch_ptr 0
		.amdhsa_user_sgpr_queue_ptr 0
		.amdhsa_user_sgpr_kernarg_segment_ptr 1
		.amdhsa_user_sgpr_dispatch_id 0
		.amdhsa_user_sgpr_flat_scratch_init 0
		.amdhsa_user_sgpr_kernarg_preload_length 0
		.amdhsa_user_sgpr_kernarg_preload_offset 0
		.amdhsa_user_sgpr_private_segment_size 0
		.amdhsa_uses_dynamic_stack 0
		.amdhsa_system_sgpr_private_segment_wavefront_offset 0
		.amdhsa_system_sgpr_workgroup_id_x 1
		.amdhsa_system_sgpr_workgroup_id_y 0
		.amdhsa_system_sgpr_workgroup_id_z 0
		.amdhsa_system_sgpr_workgroup_info 0
		.amdhsa_system_vgpr_workitem_id 0
		.amdhsa_next_free_vgpr 1
		.amdhsa_next_free_sgpr 0
		.amdhsa_accum_offset 4
		.amdhsa_reserve_vcc 0
		.amdhsa_reserve_flat_scratch 0
		.amdhsa_float_round_mode_32 0
		.amdhsa_float_round_mode_16_64 0
		.amdhsa_float_denorm_mode_32 3
		.amdhsa_float_denorm_mode_16_64 3
		.amdhsa_dx10_clamp 1
		.amdhsa_ieee_mode 1
		.amdhsa_fp16_overflow 0
		.amdhsa_tg_split 0
		.amdhsa_exception_fp_ieee_invalid_op 0
		.amdhsa_exception_fp_denorm_src 0
		.amdhsa_exception_fp_ieee_div_zero 0
		.amdhsa_exception_fp_ieee_overflow 0
		.amdhsa_exception_fp_ieee_underflow 0
		.amdhsa_exception_fp_ieee_inexact 0
		.amdhsa_exception_int_div_zero 0
	.end_amdhsa_kernel
	.section	.text._ZN7rocprim17ROCPRIM_400000_NS6detail17trampoline_kernelINS0_14default_configENS1_35radix_sort_onesweep_config_selectorIxNS0_10empty_typeEEEZZNS1_29radix_sort_onesweep_iterationIS3_Lb0EN6thrust23THRUST_200600_302600_NS6detail15normal_iteratorINS9_10device_ptrIxEEEESE_PS5_SF_jNS0_19identity_decomposerENS1_16block_id_wrapperIjLb0EEEEE10hipError_tT1_PNSt15iterator_traitsISK_E10value_typeET2_T3_PNSL_ISQ_E10value_typeET4_T5_PSV_SW_PNS1_23onesweep_lookback_stateEbbT6_jjT7_P12ihipStream_tbENKUlT_T0_SK_SP_E_clISE_PxSF_SF_EEDaS13_S14_SK_SP_EUlS13_E_NS1_11comp_targetILNS1_3genE9ELNS1_11target_archE1100ELNS1_3gpuE3ELNS1_3repE0EEENS1_47radix_sort_onesweep_sort_config_static_selectorELNS0_4arch9wavefront6targetE1EEEvSK_,"axG",@progbits,_ZN7rocprim17ROCPRIM_400000_NS6detail17trampoline_kernelINS0_14default_configENS1_35radix_sort_onesweep_config_selectorIxNS0_10empty_typeEEEZZNS1_29radix_sort_onesweep_iterationIS3_Lb0EN6thrust23THRUST_200600_302600_NS6detail15normal_iteratorINS9_10device_ptrIxEEEESE_PS5_SF_jNS0_19identity_decomposerENS1_16block_id_wrapperIjLb0EEEEE10hipError_tT1_PNSt15iterator_traitsISK_E10value_typeET2_T3_PNSL_ISQ_E10value_typeET4_T5_PSV_SW_PNS1_23onesweep_lookback_stateEbbT6_jjT7_P12ihipStream_tbENKUlT_T0_SK_SP_E_clISE_PxSF_SF_EEDaS13_S14_SK_SP_EUlS13_E_NS1_11comp_targetILNS1_3genE9ELNS1_11target_archE1100ELNS1_3gpuE3ELNS1_3repE0EEENS1_47radix_sort_onesweep_sort_config_static_selectorELNS0_4arch9wavefront6targetE1EEEvSK_,comdat
.Lfunc_end1585:
	.size	_ZN7rocprim17ROCPRIM_400000_NS6detail17trampoline_kernelINS0_14default_configENS1_35radix_sort_onesweep_config_selectorIxNS0_10empty_typeEEEZZNS1_29radix_sort_onesweep_iterationIS3_Lb0EN6thrust23THRUST_200600_302600_NS6detail15normal_iteratorINS9_10device_ptrIxEEEESE_PS5_SF_jNS0_19identity_decomposerENS1_16block_id_wrapperIjLb0EEEEE10hipError_tT1_PNSt15iterator_traitsISK_E10value_typeET2_T3_PNSL_ISQ_E10value_typeET4_T5_PSV_SW_PNS1_23onesweep_lookback_stateEbbT6_jjT7_P12ihipStream_tbENKUlT_T0_SK_SP_E_clISE_PxSF_SF_EEDaS13_S14_SK_SP_EUlS13_E_NS1_11comp_targetILNS1_3genE9ELNS1_11target_archE1100ELNS1_3gpuE3ELNS1_3repE0EEENS1_47radix_sort_onesweep_sort_config_static_selectorELNS0_4arch9wavefront6targetE1EEEvSK_, .Lfunc_end1585-_ZN7rocprim17ROCPRIM_400000_NS6detail17trampoline_kernelINS0_14default_configENS1_35radix_sort_onesweep_config_selectorIxNS0_10empty_typeEEEZZNS1_29radix_sort_onesweep_iterationIS3_Lb0EN6thrust23THRUST_200600_302600_NS6detail15normal_iteratorINS9_10device_ptrIxEEEESE_PS5_SF_jNS0_19identity_decomposerENS1_16block_id_wrapperIjLb0EEEEE10hipError_tT1_PNSt15iterator_traitsISK_E10value_typeET2_T3_PNSL_ISQ_E10value_typeET4_T5_PSV_SW_PNS1_23onesweep_lookback_stateEbbT6_jjT7_P12ihipStream_tbENKUlT_T0_SK_SP_E_clISE_PxSF_SF_EEDaS13_S14_SK_SP_EUlS13_E_NS1_11comp_targetILNS1_3genE9ELNS1_11target_archE1100ELNS1_3gpuE3ELNS1_3repE0EEENS1_47radix_sort_onesweep_sort_config_static_selectorELNS0_4arch9wavefront6targetE1EEEvSK_
                                        ; -- End function
	.section	.AMDGPU.csdata,"",@progbits
; Kernel info:
; codeLenInByte = 0
; NumSgprs: 4
; NumVgprs: 0
; NumAgprs: 0
; TotalNumVgprs: 0
; ScratchSize: 0
; MemoryBound: 0
; FloatMode: 240
; IeeeMode: 1
; LDSByteSize: 0 bytes/workgroup (compile time only)
; SGPRBlocks: 0
; VGPRBlocks: 0
; NumSGPRsForWavesPerEU: 4
; NumVGPRsForWavesPerEU: 1
; AccumOffset: 4
; Occupancy: 8
; WaveLimiterHint : 0
; COMPUTE_PGM_RSRC2:SCRATCH_EN: 0
; COMPUTE_PGM_RSRC2:USER_SGPR: 6
; COMPUTE_PGM_RSRC2:TRAP_HANDLER: 0
; COMPUTE_PGM_RSRC2:TGID_X_EN: 1
; COMPUTE_PGM_RSRC2:TGID_Y_EN: 0
; COMPUTE_PGM_RSRC2:TGID_Z_EN: 0
; COMPUTE_PGM_RSRC2:TIDIG_COMP_CNT: 0
; COMPUTE_PGM_RSRC3_GFX90A:ACCUM_OFFSET: 0
; COMPUTE_PGM_RSRC3_GFX90A:TG_SPLIT: 0
	.section	.text._ZN7rocprim17ROCPRIM_400000_NS6detail17trampoline_kernelINS0_14default_configENS1_35radix_sort_onesweep_config_selectorIxNS0_10empty_typeEEEZZNS1_29radix_sort_onesweep_iterationIS3_Lb0EN6thrust23THRUST_200600_302600_NS6detail15normal_iteratorINS9_10device_ptrIxEEEESE_PS5_SF_jNS0_19identity_decomposerENS1_16block_id_wrapperIjLb0EEEEE10hipError_tT1_PNSt15iterator_traitsISK_E10value_typeET2_T3_PNSL_ISQ_E10value_typeET4_T5_PSV_SW_PNS1_23onesweep_lookback_stateEbbT6_jjT7_P12ihipStream_tbENKUlT_T0_SK_SP_E_clISE_PxSF_SF_EEDaS13_S14_SK_SP_EUlS13_E_NS1_11comp_targetILNS1_3genE8ELNS1_11target_archE1030ELNS1_3gpuE2ELNS1_3repE0EEENS1_47radix_sort_onesweep_sort_config_static_selectorELNS0_4arch9wavefront6targetE1EEEvSK_,"axG",@progbits,_ZN7rocprim17ROCPRIM_400000_NS6detail17trampoline_kernelINS0_14default_configENS1_35radix_sort_onesweep_config_selectorIxNS0_10empty_typeEEEZZNS1_29radix_sort_onesweep_iterationIS3_Lb0EN6thrust23THRUST_200600_302600_NS6detail15normal_iteratorINS9_10device_ptrIxEEEESE_PS5_SF_jNS0_19identity_decomposerENS1_16block_id_wrapperIjLb0EEEEE10hipError_tT1_PNSt15iterator_traitsISK_E10value_typeET2_T3_PNSL_ISQ_E10value_typeET4_T5_PSV_SW_PNS1_23onesweep_lookback_stateEbbT6_jjT7_P12ihipStream_tbENKUlT_T0_SK_SP_E_clISE_PxSF_SF_EEDaS13_S14_SK_SP_EUlS13_E_NS1_11comp_targetILNS1_3genE8ELNS1_11target_archE1030ELNS1_3gpuE2ELNS1_3repE0EEENS1_47radix_sort_onesweep_sort_config_static_selectorELNS0_4arch9wavefront6targetE1EEEvSK_,comdat
	.protected	_ZN7rocprim17ROCPRIM_400000_NS6detail17trampoline_kernelINS0_14default_configENS1_35radix_sort_onesweep_config_selectorIxNS0_10empty_typeEEEZZNS1_29radix_sort_onesweep_iterationIS3_Lb0EN6thrust23THRUST_200600_302600_NS6detail15normal_iteratorINS9_10device_ptrIxEEEESE_PS5_SF_jNS0_19identity_decomposerENS1_16block_id_wrapperIjLb0EEEEE10hipError_tT1_PNSt15iterator_traitsISK_E10value_typeET2_T3_PNSL_ISQ_E10value_typeET4_T5_PSV_SW_PNS1_23onesweep_lookback_stateEbbT6_jjT7_P12ihipStream_tbENKUlT_T0_SK_SP_E_clISE_PxSF_SF_EEDaS13_S14_SK_SP_EUlS13_E_NS1_11comp_targetILNS1_3genE8ELNS1_11target_archE1030ELNS1_3gpuE2ELNS1_3repE0EEENS1_47radix_sort_onesweep_sort_config_static_selectorELNS0_4arch9wavefront6targetE1EEEvSK_ ; -- Begin function _ZN7rocprim17ROCPRIM_400000_NS6detail17trampoline_kernelINS0_14default_configENS1_35radix_sort_onesweep_config_selectorIxNS0_10empty_typeEEEZZNS1_29radix_sort_onesweep_iterationIS3_Lb0EN6thrust23THRUST_200600_302600_NS6detail15normal_iteratorINS9_10device_ptrIxEEEESE_PS5_SF_jNS0_19identity_decomposerENS1_16block_id_wrapperIjLb0EEEEE10hipError_tT1_PNSt15iterator_traitsISK_E10value_typeET2_T3_PNSL_ISQ_E10value_typeET4_T5_PSV_SW_PNS1_23onesweep_lookback_stateEbbT6_jjT7_P12ihipStream_tbENKUlT_T0_SK_SP_E_clISE_PxSF_SF_EEDaS13_S14_SK_SP_EUlS13_E_NS1_11comp_targetILNS1_3genE8ELNS1_11target_archE1030ELNS1_3gpuE2ELNS1_3repE0EEENS1_47radix_sort_onesweep_sort_config_static_selectorELNS0_4arch9wavefront6targetE1EEEvSK_
	.globl	_ZN7rocprim17ROCPRIM_400000_NS6detail17trampoline_kernelINS0_14default_configENS1_35radix_sort_onesweep_config_selectorIxNS0_10empty_typeEEEZZNS1_29radix_sort_onesweep_iterationIS3_Lb0EN6thrust23THRUST_200600_302600_NS6detail15normal_iteratorINS9_10device_ptrIxEEEESE_PS5_SF_jNS0_19identity_decomposerENS1_16block_id_wrapperIjLb0EEEEE10hipError_tT1_PNSt15iterator_traitsISK_E10value_typeET2_T3_PNSL_ISQ_E10value_typeET4_T5_PSV_SW_PNS1_23onesweep_lookback_stateEbbT6_jjT7_P12ihipStream_tbENKUlT_T0_SK_SP_E_clISE_PxSF_SF_EEDaS13_S14_SK_SP_EUlS13_E_NS1_11comp_targetILNS1_3genE8ELNS1_11target_archE1030ELNS1_3gpuE2ELNS1_3repE0EEENS1_47radix_sort_onesweep_sort_config_static_selectorELNS0_4arch9wavefront6targetE1EEEvSK_
	.p2align	8
	.type	_ZN7rocprim17ROCPRIM_400000_NS6detail17trampoline_kernelINS0_14default_configENS1_35radix_sort_onesweep_config_selectorIxNS0_10empty_typeEEEZZNS1_29radix_sort_onesweep_iterationIS3_Lb0EN6thrust23THRUST_200600_302600_NS6detail15normal_iteratorINS9_10device_ptrIxEEEESE_PS5_SF_jNS0_19identity_decomposerENS1_16block_id_wrapperIjLb0EEEEE10hipError_tT1_PNSt15iterator_traitsISK_E10value_typeET2_T3_PNSL_ISQ_E10value_typeET4_T5_PSV_SW_PNS1_23onesweep_lookback_stateEbbT6_jjT7_P12ihipStream_tbENKUlT_T0_SK_SP_E_clISE_PxSF_SF_EEDaS13_S14_SK_SP_EUlS13_E_NS1_11comp_targetILNS1_3genE8ELNS1_11target_archE1030ELNS1_3gpuE2ELNS1_3repE0EEENS1_47radix_sort_onesweep_sort_config_static_selectorELNS0_4arch9wavefront6targetE1EEEvSK_,@function
_ZN7rocprim17ROCPRIM_400000_NS6detail17trampoline_kernelINS0_14default_configENS1_35radix_sort_onesweep_config_selectorIxNS0_10empty_typeEEEZZNS1_29radix_sort_onesweep_iterationIS3_Lb0EN6thrust23THRUST_200600_302600_NS6detail15normal_iteratorINS9_10device_ptrIxEEEESE_PS5_SF_jNS0_19identity_decomposerENS1_16block_id_wrapperIjLb0EEEEE10hipError_tT1_PNSt15iterator_traitsISK_E10value_typeET2_T3_PNSL_ISQ_E10value_typeET4_T5_PSV_SW_PNS1_23onesweep_lookback_stateEbbT6_jjT7_P12ihipStream_tbENKUlT_T0_SK_SP_E_clISE_PxSF_SF_EEDaS13_S14_SK_SP_EUlS13_E_NS1_11comp_targetILNS1_3genE8ELNS1_11target_archE1030ELNS1_3gpuE2ELNS1_3repE0EEENS1_47radix_sort_onesweep_sort_config_static_selectorELNS0_4arch9wavefront6targetE1EEEvSK_: ; @_ZN7rocprim17ROCPRIM_400000_NS6detail17trampoline_kernelINS0_14default_configENS1_35radix_sort_onesweep_config_selectorIxNS0_10empty_typeEEEZZNS1_29radix_sort_onesweep_iterationIS3_Lb0EN6thrust23THRUST_200600_302600_NS6detail15normal_iteratorINS9_10device_ptrIxEEEESE_PS5_SF_jNS0_19identity_decomposerENS1_16block_id_wrapperIjLb0EEEEE10hipError_tT1_PNSt15iterator_traitsISK_E10value_typeET2_T3_PNSL_ISQ_E10value_typeET4_T5_PSV_SW_PNS1_23onesweep_lookback_stateEbbT6_jjT7_P12ihipStream_tbENKUlT_T0_SK_SP_E_clISE_PxSF_SF_EEDaS13_S14_SK_SP_EUlS13_E_NS1_11comp_targetILNS1_3genE8ELNS1_11target_archE1030ELNS1_3gpuE2ELNS1_3repE0EEENS1_47radix_sort_onesweep_sort_config_static_selectorELNS0_4arch9wavefront6targetE1EEEvSK_
; %bb.0:
	.section	.rodata,"a",@progbits
	.p2align	6, 0x0
	.amdhsa_kernel _ZN7rocprim17ROCPRIM_400000_NS6detail17trampoline_kernelINS0_14default_configENS1_35radix_sort_onesweep_config_selectorIxNS0_10empty_typeEEEZZNS1_29radix_sort_onesweep_iterationIS3_Lb0EN6thrust23THRUST_200600_302600_NS6detail15normal_iteratorINS9_10device_ptrIxEEEESE_PS5_SF_jNS0_19identity_decomposerENS1_16block_id_wrapperIjLb0EEEEE10hipError_tT1_PNSt15iterator_traitsISK_E10value_typeET2_T3_PNSL_ISQ_E10value_typeET4_T5_PSV_SW_PNS1_23onesweep_lookback_stateEbbT6_jjT7_P12ihipStream_tbENKUlT_T0_SK_SP_E_clISE_PxSF_SF_EEDaS13_S14_SK_SP_EUlS13_E_NS1_11comp_targetILNS1_3genE8ELNS1_11target_archE1030ELNS1_3gpuE2ELNS1_3repE0EEENS1_47radix_sort_onesweep_sort_config_static_selectorELNS0_4arch9wavefront6targetE1EEEvSK_
		.amdhsa_group_segment_fixed_size 0
		.amdhsa_private_segment_fixed_size 0
		.amdhsa_kernarg_size 88
		.amdhsa_user_sgpr_count 6
		.amdhsa_user_sgpr_private_segment_buffer 1
		.amdhsa_user_sgpr_dispatch_ptr 0
		.amdhsa_user_sgpr_queue_ptr 0
		.amdhsa_user_sgpr_kernarg_segment_ptr 1
		.amdhsa_user_sgpr_dispatch_id 0
		.amdhsa_user_sgpr_flat_scratch_init 0
		.amdhsa_user_sgpr_kernarg_preload_length 0
		.amdhsa_user_sgpr_kernarg_preload_offset 0
		.amdhsa_user_sgpr_private_segment_size 0
		.amdhsa_uses_dynamic_stack 0
		.amdhsa_system_sgpr_private_segment_wavefront_offset 0
		.amdhsa_system_sgpr_workgroup_id_x 1
		.amdhsa_system_sgpr_workgroup_id_y 0
		.amdhsa_system_sgpr_workgroup_id_z 0
		.amdhsa_system_sgpr_workgroup_info 0
		.amdhsa_system_vgpr_workitem_id 0
		.amdhsa_next_free_vgpr 1
		.amdhsa_next_free_sgpr 0
		.amdhsa_accum_offset 4
		.amdhsa_reserve_vcc 0
		.amdhsa_reserve_flat_scratch 0
		.amdhsa_float_round_mode_32 0
		.amdhsa_float_round_mode_16_64 0
		.amdhsa_float_denorm_mode_32 3
		.amdhsa_float_denorm_mode_16_64 3
		.amdhsa_dx10_clamp 1
		.amdhsa_ieee_mode 1
		.amdhsa_fp16_overflow 0
		.amdhsa_tg_split 0
		.amdhsa_exception_fp_ieee_invalid_op 0
		.amdhsa_exception_fp_denorm_src 0
		.amdhsa_exception_fp_ieee_div_zero 0
		.amdhsa_exception_fp_ieee_overflow 0
		.amdhsa_exception_fp_ieee_underflow 0
		.amdhsa_exception_fp_ieee_inexact 0
		.amdhsa_exception_int_div_zero 0
	.end_amdhsa_kernel
	.section	.text._ZN7rocprim17ROCPRIM_400000_NS6detail17trampoline_kernelINS0_14default_configENS1_35radix_sort_onesweep_config_selectorIxNS0_10empty_typeEEEZZNS1_29radix_sort_onesweep_iterationIS3_Lb0EN6thrust23THRUST_200600_302600_NS6detail15normal_iteratorINS9_10device_ptrIxEEEESE_PS5_SF_jNS0_19identity_decomposerENS1_16block_id_wrapperIjLb0EEEEE10hipError_tT1_PNSt15iterator_traitsISK_E10value_typeET2_T3_PNSL_ISQ_E10value_typeET4_T5_PSV_SW_PNS1_23onesweep_lookback_stateEbbT6_jjT7_P12ihipStream_tbENKUlT_T0_SK_SP_E_clISE_PxSF_SF_EEDaS13_S14_SK_SP_EUlS13_E_NS1_11comp_targetILNS1_3genE8ELNS1_11target_archE1030ELNS1_3gpuE2ELNS1_3repE0EEENS1_47radix_sort_onesweep_sort_config_static_selectorELNS0_4arch9wavefront6targetE1EEEvSK_,"axG",@progbits,_ZN7rocprim17ROCPRIM_400000_NS6detail17trampoline_kernelINS0_14default_configENS1_35radix_sort_onesweep_config_selectorIxNS0_10empty_typeEEEZZNS1_29radix_sort_onesweep_iterationIS3_Lb0EN6thrust23THRUST_200600_302600_NS6detail15normal_iteratorINS9_10device_ptrIxEEEESE_PS5_SF_jNS0_19identity_decomposerENS1_16block_id_wrapperIjLb0EEEEE10hipError_tT1_PNSt15iterator_traitsISK_E10value_typeET2_T3_PNSL_ISQ_E10value_typeET4_T5_PSV_SW_PNS1_23onesweep_lookback_stateEbbT6_jjT7_P12ihipStream_tbENKUlT_T0_SK_SP_E_clISE_PxSF_SF_EEDaS13_S14_SK_SP_EUlS13_E_NS1_11comp_targetILNS1_3genE8ELNS1_11target_archE1030ELNS1_3gpuE2ELNS1_3repE0EEENS1_47radix_sort_onesweep_sort_config_static_selectorELNS0_4arch9wavefront6targetE1EEEvSK_,comdat
.Lfunc_end1586:
	.size	_ZN7rocprim17ROCPRIM_400000_NS6detail17trampoline_kernelINS0_14default_configENS1_35radix_sort_onesweep_config_selectorIxNS0_10empty_typeEEEZZNS1_29radix_sort_onesweep_iterationIS3_Lb0EN6thrust23THRUST_200600_302600_NS6detail15normal_iteratorINS9_10device_ptrIxEEEESE_PS5_SF_jNS0_19identity_decomposerENS1_16block_id_wrapperIjLb0EEEEE10hipError_tT1_PNSt15iterator_traitsISK_E10value_typeET2_T3_PNSL_ISQ_E10value_typeET4_T5_PSV_SW_PNS1_23onesweep_lookback_stateEbbT6_jjT7_P12ihipStream_tbENKUlT_T0_SK_SP_E_clISE_PxSF_SF_EEDaS13_S14_SK_SP_EUlS13_E_NS1_11comp_targetILNS1_3genE8ELNS1_11target_archE1030ELNS1_3gpuE2ELNS1_3repE0EEENS1_47radix_sort_onesweep_sort_config_static_selectorELNS0_4arch9wavefront6targetE1EEEvSK_, .Lfunc_end1586-_ZN7rocprim17ROCPRIM_400000_NS6detail17trampoline_kernelINS0_14default_configENS1_35radix_sort_onesweep_config_selectorIxNS0_10empty_typeEEEZZNS1_29radix_sort_onesweep_iterationIS3_Lb0EN6thrust23THRUST_200600_302600_NS6detail15normal_iteratorINS9_10device_ptrIxEEEESE_PS5_SF_jNS0_19identity_decomposerENS1_16block_id_wrapperIjLb0EEEEE10hipError_tT1_PNSt15iterator_traitsISK_E10value_typeET2_T3_PNSL_ISQ_E10value_typeET4_T5_PSV_SW_PNS1_23onesweep_lookback_stateEbbT6_jjT7_P12ihipStream_tbENKUlT_T0_SK_SP_E_clISE_PxSF_SF_EEDaS13_S14_SK_SP_EUlS13_E_NS1_11comp_targetILNS1_3genE8ELNS1_11target_archE1030ELNS1_3gpuE2ELNS1_3repE0EEENS1_47radix_sort_onesweep_sort_config_static_selectorELNS0_4arch9wavefront6targetE1EEEvSK_
                                        ; -- End function
	.section	.AMDGPU.csdata,"",@progbits
; Kernel info:
; codeLenInByte = 0
; NumSgprs: 4
; NumVgprs: 0
; NumAgprs: 0
; TotalNumVgprs: 0
; ScratchSize: 0
; MemoryBound: 0
; FloatMode: 240
; IeeeMode: 1
; LDSByteSize: 0 bytes/workgroup (compile time only)
; SGPRBlocks: 0
; VGPRBlocks: 0
; NumSGPRsForWavesPerEU: 4
; NumVGPRsForWavesPerEU: 1
; AccumOffset: 4
; Occupancy: 8
; WaveLimiterHint : 0
; COMPUTE_PGM_RSRC2:SCRATCH_EN: 0
; COMPUTE_PGM_RSRC2:USER_SGPR: 6
; COMPUTE_PGM_RSRC2:TRAP_HANDLER: 0
; COMPUTE_PGM_RSRC2:TGID_X_EN: 1
; COMPUTE_PGM_RSRC2:TGID_Y_EN: 0
; COMPUTE_PGM_RSRC2:TGID_Z_EN: 0
; COMPUTE_PGM_RSRC2:TIDIG_COMP_CNT: 0
; COMPUTE_PGM_RSRC3_GFX90A:ACCUM_OFFSET: 0
; COMPUTE_PGM_RSRC3_GFX90A:TG_SPLIT: 0
	.section	.text._ZN7rocprim17ROCPRIM_400000_NS6detail17trampoline_kernelINS0_14default_configENS1_35radix_sort_onesweep_config_selectorIxNS0_10empty_typeEEEZZNS1_29radix_sort_onesweep_iterationIS3_Lb0EN6thrust23THRUST_200600_302600_NS6detail15normal_iteratorINS9_10device_ptrIxEEEESE_PS5_SF_jNS0_19identity_decomposerENS1_16block_id_wrapperIjLb0EEEEE10hipError_tT1_PNSt15iterator_traitsISK_E10value_typeET2_T3_PNSL_ISQ_E10value_typeET4_T5_PSV_SW_PNS1_23onesweep_lookback_stateEbbT6_jjT7_P12ihipStream_tbENKUlT_T0_SK_SP_E_clIPxSE_SF_SF_EEDaS13_S14_SK_SP_EUlS13_E_NS1_11comp_targetILNS1_3genE0ELNS1_11target_archE4294967295ELNS1_3gpuE0ELNS1_3repE0EEENS1_47radix_sort_onesweep_sort_config_static_selectorELNS0_4arch9wavefront6targetE1EEEvSK_,"axG",@progbits,_ZN7rocprim17ROCPRIM_400000_NS6detail17trampoline_kernelINS0_14default_configENS1_35radix_sort_onesweep_config_selectorIxNS0_10empty_typeEEEZZNS1_29radix_sort_onesweep_iterationIS3_Lb0EN6thrust23THRUST_200600_302600_NS6detail15normal_iteratorINS9_10device_ptrIxEEEESE_PS5_SF_jNS0_19identity_decomposerENS1_16block_id_wrapperIjLb0EEEEE10hipError_tT1_PNSt15iterator_traitsISK_E10value_typeET2_T3_PNSL_ISQ_E10value_typeET4_T5_PSV_SW_PNS1_23onesweep_lookback_stateEbbT6_jjT7_P12ihipStream_tbENKUlT_T0_SK_SP_E_clIPxSE_SF_SF_EEDaS13_S14_SK_SP_EUlS13_E_NS1_11comp_targetILNS1_3genE0ELNS1_11target_archE4294967295ELNS1_3gpuE0ELNS1_3repE0EEENS1_47radix_sort_onesweep_sort_config_static_selectorELNS0_4arch9wavefront6targetE1EEEvSK_,comdat
	.protected	_ZN7rocprim17ROCPRIM_400000_NS6detail17trampoline_kernelINS0_14default_configENS1_35radix_sort_onesweep_config_selectorIxNS0_10empty_typeEEEZZNS1_29radix_sort_onesweep_iterationIS3_Lb0EN6thrust23THRUST_200600_302600_NS6detail15normal_iteratorINS9_10device_ptrIxEEEESE_PS5_SF_jNS0_19identity_decomposerENS1_16block_id_wrapperIjLb0EEEEE10hipError_tT1_PNSt15iterator_traitsISK_E10value_typeET2_T3_PNSL_ISQ_E10value_typeET4_T5_PSV_SW_PNS1_23onesweep_lookback_stateEbbT6_jjT7_P12ihipStream_tbENKUlT_T0_SK_SP_E_clIPxSE_SF_SF_EEDaS13_S14_SK_SP_EUlS13_E_NS1_11comp_targetILNS1_3genE0ELNS1_11target_archE4294967295ELNS1_3gpuE0ELNS1_3repE0EEENS1_47radix_sort_onesweep_sort_config_static_selectorELNS0_4arch9wavefront6targetE1EEEvSK_ ; -- Begin function _ZN7rocprim17ROCPRIM_400000_NS6detail17trampoline_kernelINS0_14default_configENS1_35radix_sort_onesweep_config_selectorIxNS0_10empty_typeEEEZZNS1_29radix_sort_onesweep_iterationIS3_Lb0EN6thrust23THRUST_200600_302600_NS6detail15normal_iteratorINS9_10device_ptrIxEEEESE_PS5_SF_jNS0_19identity_decomposerENS1_16block_id_wrapperIjLb0EEEEE10hipError_tT1_PNSt15iterator_traitsISK_E10value_typeET2_T3_PNSL_ISQ_E10value_typeET4_T5_PSV_SW_PNS1_23onesweep_lookback_stateEbbT6_jjT7_P12ihipStream_tbENKUlT_T0_SK_SP_E_clIPxSE_SF_SF_EEDaS13_S14_SK_SP_EUlS13_E_NS1_11comp_targetILNS1_3genE0ELNS1_11target_archE4294967295ELNS1_3gpuE0ELNS1_3repE0EEENS1_47radix_sort_onesweep_sort_config_static_selectorELNS0_4arch9wavefront6targetE1EEEvSK_
	.globl	_ZN7rocprim17ROCPRIM_400000_NS6detail17trampoline_kernelINS0_14default_configENS1_35radix_sort_onesweep_config_selectorIxNS0_10empty_typeEEEZZNS1_29radix_sort_onesweep_iterationIS3_Lb0EN6thrust23THRUST_200600_302600_NS6detail15normal_iteratorINS9_10device_ptrIxEEEESE_PS5_SF_jNS0_19identity_decomposerENS1_16block_id_wrapperIjLb0EEEEE10hipError_tT1_PNSt15iterator_traitsISK_E10value_typeET2_T3_PNSL_ISQ_E10value_typeET4_T5_PSV_SW_PNS1_23onesweep_lookback_stateEbbT6_jjT7_P12ihipStream_tbENKUlT_T0_SK_SP_E_clIPxSE_SF_SF_EEDaS13_S14_SK_SP_EUlS13_E_NS1_11comp_targetILNS1_3genE0ELNS1_11target_archE4294967295ELNS1_3gpuE0ELNS1_3repE0EEENS1_47radix_sort_onesweep_sort_config_static_selectorELNS0_4arch9wavefront6targetE1EEEvSK_
	.p2align	8
	.type	_ZN7rocprim17ROCPRIM_400000_NS6detail17trampoline_kernelINS0_14default_configENS1_35radix_sort_onesweep_config_selectorIxNS0_10empty_typeEEEZZNS1_29radix_sort_onesweep_iterationIS3_Lb0EN6thrust23THRUST_200600_302600_NS6detail15normal_iteratorINS9_10device_ptrIxEEEESE_PS5_SF_jNS0_19identity_decomposerENS1_16block_id_wrapperIjLb0EEEEE10hipError_tT1_PNSt15iterator_traitsISK_E10value_typeET2_T3_PNSL_ISQ_E10value_typeET4_T5_PSV_SW_PNS1_23onesweep_lookback_stateEbbT6_jjT7_P12ihipStream_tbENKUlT_T0_SK_SP_E_clIPxSE_SF_SF_EEDaS13_S14_SK_SP_EUlS13_E_NS1_11comp_targetILNS1_3genE0ELNS1_11target_archE4294967295ELNS1_3gpuE0ELNS1_3repE0EEENS1_47radix_sort_onesweep_sort_config_static_selectorELNS0_4arch9wavefront6targetE1EEEvSK_,@function
_ZN7rocprim17ROCPRIM_400000_NS6detail17trampoline_kernelINS0_14default_configENS1_35radix_sort_onesweep_config_selectorIxNS0_10empty_typeEEEZZNS1_29radix_sort_onesweep_iterationIS3_Lb0EN6thrust23THRUST_200600_302600_NS6detail15normal_iteratorINS9_10device_ptrIxEEEESE_PS5_SF_jNS0_19identity_decomposerENS1_16block_id_wrapperIjLb0EEEEE10hipError_tT1_PNSt15iterator_traitsISK_E10value_typeET2_T3_PNSL_ISQ_E10value_typeET4_T5_PSV_SW_PNS1_23onesweep_lookback_stateEbbT6_jjT7_P12ihipStream_tbENKUlT_T0_SK_SP_E_clIPxSE_SF_SF_EEDaS13_S14_SK_SP_EUlS13_E_NS1_11comp_targetILNS1_3genE0ELNS1_11target_archE4294967295ELNS1_3gpuE0ELNS1_3repE0EEENS1_47radix_sort_onesweep_sort_config_static_selectorELNS0_4arch9wavefront6targetE1EEEvSK_: ; @_ZN7rocprim17ROCPRIM_400000_NS6detail17trampoline_kernelINS0_14default_configENS1_35radix_sort_onesweep_config_selectorIxNS0_10empty_typeEEEZZNS1_29radix_sort_onesweep_iterationIS3_Lb0EN6thrust23THRUST_200600_302600_NS6detail15normal_iteratorINS9_10device_ptrIxEEEESE_PS5_SF_jNS0_19identity_decomposerENS1_16block_id_wrapperIjLb0EEEEE10hipError_tT1_PNSt15iterator_traitsISK_E10value_typeET2_T3_PNSL_ISQ_E10value_typeET4_T5_PSV_SW_PNS1_23onesweep_lookback_stateEbbT6_jjT7_P12ihipStream_tbENKUlT_T0_SK_SP_E_clIPxSE_SF_SF_EEDaS13_S14_SK_SP_EUlS13_E_NS1_11comp_targetILNS1_3genE0ELNS1_11target_archE4294967295ELNS1_3gpuE0ELNS1_3repE0EEENS1_47radix_sort_onesweep_sort_config_static_selectorELNS0_4arch9wavefront6targetE1EEEvSK_
; %bb.0:
	.section	.rodata,"a",@progbits
	.p2align	6, 0x0
	.amdhsa_kernel _ZN7rocprim17ROCPRIM_400000_NS6detail17trampoline_kernelINS0_14default_configENS1_35radix_sort_onesweep_config_selectorIxNS0_10empty_typeEEEZZNS1_29radix_sort_onesweep_iterationIS3_Lb0EN6thrust23THRUST_200600_302600_NS6detail15normal_iteratorINS9_10device_ptrIxEEEESE_PS5_SF_jNS0_19identity_decomposerENS1_16block_id_wrapperIjLb0EEEEE10hipError_tT1_PNSt15iterator_traitsISK_E10value_typeET2_T3_PNSL_ISQ_E10value_typeET4_T5_PSV_SW_PNS1_23onesweep_lookback_stateEbbT6_jjT7_P12ihipStream_tbENKUlT_T0_SK_SP_E_clIPxSE_SF_SF_EEDaS13_S14_SK_SP_EUlS13_E_NS1_11comp_targetILNS1_3genE0ELNS1_11target_archE4294967295ELNS1_3gpuE0ELNS1_3repE0EEENS1_47radix_sort_onesweep_sort_config_static_selectorELNS0_4arch9wavefront6targetE1EEEvSK_
		.amdhsa_group_segment_fixed_size 0
		.amdhsa_private_segment_fixed_size 0
		.amdhsa_kernarg_size 88
		.amdhsa_user_sgpr_count 6
		.amdhsa_user_sgpr_private_segment_buffer 1
		.amdhsa_user_sgpr_dispatch_ptr 0
		.amdhsa_user_sgpr_queue_ptr 0
		.amdhsa_user_sgpr_kernarg_segment_ptr 1
		.amdhsa_user_sgpr_dispatch_id 0
		.amdhsa_user_sgpr_flat_scratch_init 0
		.amdhsa_user_sgpr_kernarg_preload_length 0
		.amdhsa_user_sgpr_kernarg_preload_offset 0
		.amdhsa_user_sgpr_private_segment_size 0
		.amdhsa_uses_dynamic_stack 0
		.amdhsa_system_sgpr_private_segment_wavefront_offset 0
		.amdhsa_system_sgpr_workgroup_id_x 1
		.amdhsa_system_sgpr_workgroup_id_y 0
		.amdhsa_system_sgpr_workgroup_id_z 0
		.amdhsa_system_sgpr_workgroup_info 0
		.amdhsa_system_vgpr_workitem_id 0
		.amdhsa_next_free_vgpr 1
		.amdhsa_next_free_sgpr 0
		.amdhsa_accum_offset 4
		.amdhsa_reserve_vcc 0
		.amdhsa_reserve_flat_scratch 0
		.amdhsa_float_round_mode_32 0
		.amdhsa_float_round_mode_16_64 0
		.amdhsa_float_denorm_mode_32 3
		.amdhsa_float_denorm_mode_16_64 3
		.amdhsa_dx10_clamp 1
		.amdhsa_ieee_mode 1
		.amdhsa_fp16_overflow 0
		.amdhsa_tg_split 0
		.amdhsa_exception_fp_ieee_invalid_op 0
		.amdhsa_exception_fp_denorm_src 0
		.amdhsa_exception_fp_ieee_div_zero 0
		.amdhsa_exception_fp_ieee_overflow 0
		.amdhsa_exception_fp_ieee_underflow 0
		.amdhsa_exception_fp_ieee_inexact 0
		.amdhsa_exception_int_div_zero 0
	.end_amdhsa_kernel
	.section	.text._ZN7rocprim17ROCPRIM_400000_NS6detail17trampoline_kernelINS0_14default_configENS1_35radix_sort_onesweep_config_selectorIxNS0_10empty_typeEEEZZNS1_29radix_sort_onesweep_iterationIS3_Lb0EN6thrust23THRUST_200600_302600_NS6detail15normal_iteratorINS9_10device_ptrIxEEEESE_PS5_SF_jNS0_19identity_decomposerENS1_16block_id_wrapperIjLb0EEEEE10hipError_tT1_PNSt15iterator_traitsISK_E10value_typeET2_T3_PNSL_ISQ_E10value_typeET4_T5_PSV_SW_PNS1_23onesweep_lookback_stateEbbT6_jjT7_P12ihipStream_tbENKUlT_T0_SK_SP_E_clIPxSE_SF_SF_EEDaS13_S14_SK_SP_EUlS13_E_NS1_11comp_targetILNS1_3genE0ELNS1_11target_archE4294967295ELNS1_3gpuE0ELNS1_3repE0EEENS1_47radix_sort_onesweep_sort_config_static_selectorELNS0_4arch9wavefront6targetE1EEEvSK_,"axG",@progbits,_ZN7rocprim17ROCPRIM_400000_NS6detail17trampoline_kernelINS0_14default_configENS1_35radix_sort_onesweep_config_selectorIxNS0_10empty_typeEEEZZNS1_29radix_sort_onesweep_iterationIS3_Lb0EN6thrust23THRUST_200600_302600_NS6detail15normal_iteratorINS9_10device_ptrIxEEEESE_PS5_SF_jNS0_19identity_decomposerENS1_16block_id_wrapperIjLb0EEEEE10hipError_tT1_PNSt15iterator_traitsISK_E10value_typeET2_T3_PNSL_ISQ_E10value_typeET4_T5_PSV_SW_PNS1_23onesweep_lookback_stateEbbT6_jjT7_P12ihipStream_tbENKUlT_T0_SK_SP_E_clIPxSE_SF_SF_EEDaS13_S14_SK_SP_EUlS13_E_NS1_11comp_targetILNS1_3genE0ELNS1_11target_archE4294967295ELNS1_3gpuE0ELNS1_3repE0EEENS1_47radix_sort_onesweep_sort_config_static_selectorELNS0_4arch9wavefront6targetE1EEEvSK_,comdat
.Lfunc_end1587:
	.size	_ZN7rocprim17ROCPRIM_400000_NS6detail17trampoline_kernelINS0_14default_configENS1_35radix_sort_onesweep_config_selectorIxNS0_10empty_typeEEEZZNS1_29radix_sort_onesweep_iterationIS3_Lb0EN6thrust23THRUST_200600_302600_NS6detail15normal_iteratorINS9_10device_ptrIxEEEESE_PS5_SF_jNS0_19identity_decomposerENS1_16block_id_wrapperIjLb0EEEEE10hipError_tT1_PNSt15iterator_traitsISK_E10value_typeET2_T3_PNSL_ISQ_E10value_typeET4_T5_PSV_SW_PNS1_23onesweep_lookback_stateEbbT6_jjT7_P12ihipStream_tbENKUlT_T0_SK_SP_E_clIPxSE_SF_SF_EEDaS13_S14_SK_SP_EUlS13_E_NS1_11comp_targetILNS1_3genE0ELNS1_11target_archE4294967295ELNS1_3gpuE0ELNS1_3repE0EEENS1_47radix_sort_onesweep_sort_config_static_selectorELNS0_4arch9wavefront6targetE1EEEvSK_, .Lfunc_end1587-_ZN7rocprim17ROCPRIM_400000_NS6detail17trampoline_kernelINS0_14default_configENS1_35radix_sort_onesweep_config_selectorIxNS0_10empty_typeEEEZZNS1_29radix_sort_onesweep_iterationIS3_Lb0EN6thrust23THRUST_200600_302600_NS6detail15normal_iteratorINS9_10device_ptrIxEEEESE_PS5_SF_jNS0_19identity_decomposerENS1_16block_id_wrapperIjLb0EEEEE10hipError_tT1_PNSt15iterator_traitsISK_E10value_typeET2_T3_PNSL_ISQ_E10value_typeET4_T5_PSV_SW_PNS1_23onesweep_lookback_stateEbbT6_jjT7_P12ihipStream_tbENKUlT_T0_SK_SP_E_clIPxSE_SF_SF_EEDaS13_S14_SK_SP_EUlS13_E_NS1_11comp_targetILNS1_3genE0ELNS1_11target_archE4294967295ELNS1_3gpuE0ELNS1_3repE0EEENS1_47radix_sort_onesweep_sort_config_static_selectorELNS0_4arch9wavefront6targetE1EEEvSK_
                                        ; -- End function
	.section	.AMDGPU.csdata,"",@progbits
; Kernel info:
; codeLenInByte = 0
; NumSgprs: 4
; NumVgprs: 0
; NumAgprs: 0
; TotalNumVgprs: 0
; ScratchSize: 0
; MemoryBound: 0
; FloatMode: 240
; IeeeMode: 1
; LDSByteSize: 0 bytes/workgroup (compile time only)
; SGPRBlocks: 0
; VGPRBlocks: 0
; NumSGPRsForWavesPerEU: 4
; NumVGPRsForWavesPerEU: 1
; AccumOffset: 4
; Occupancy: 8
; WaveLimiterHint : 0
; COMPUTE_PGM_RSRC2:SCRATCH_EN: 0
; COMPUTE_PGM_RSRC2:USER_SGPR: 6
; COMPUTE_PGM_RSRC2:TRAP_HANDLER: 0
; COMPUTE_PGM_RSRC2:TGID_X_EN: 1
; COMPUTE_PGM_RSRC2:TGID_Y_EN: 0
; COMPUTE_PGM_RSRC2:TGID_Z_EN: 0
; COMPUTE_PGM_RSRC2:TIDIG_COMP_CNT: 0
; COMPUTE_PGM_RSRC3_GFX90A:ACCUM_OFFSET: 0
; COMPUTE_PGM_RSRC3_GFX90A:TG_SPLIT: 0
	.section	.text._ZN7rocprim17ROCPRIM_400000_NS6detail17trampoline_kernelINS0_14default_configENS1_35radix_sort_onesweep_config_selectorIxNS0_10empty_typeEEEZZNS1_29radix_sort_onesweep_iterationIS3_Lb0EN6thrust23THRUST_200600_302600_NS6detail15normal_iteratorINS9_10device_ptrIxEEEESE_PS5_SF_jNS0_19identity_decomposerENS1_16block_id_wrapperIjLb0EEEEE10hipError_tT1_PNSt15iterator_traitsISK_E10value_typeET2_T3_PNSL_ISQ_E10value_typeET4_T5_PSV_SW_PNS1_23onesweep_lookback_stateEbbT6_jjT7_P12ihipStream_tbENKUlT_T0_SK_SP_E_clIPxSE_SF_SF_EEDaS13_S14_SK_SP_EUlS13_E_NS1_11comp_targetILNS1_3genE6ELNS1_11target_archE950ELNS1_3gpuE13ELNS1_3repE0EEENS1_47radix_sort_onesweep_sort_config_static_selectorELNS0_4arch9wavefront6targetE1EEEvSK_,"axG",@progbits,_ZN7rocprim17ROCPRIM_400000_NS6detail17trampoline_kernelINS0_14default_configENS1_35radix_sort_onesweep_config_selectorIxNS0_10empty_typeEEEZZNS1_29radix_sort_onesweep_iterationIS3_Lb0EN6thrust23THRUST_200600_302600_NS6detail15normal_iteratorINS9_10device_ptrIxEEEESE_PS5_SF_jNS0_19identity_decomposerENS1_16block_id_wrapperIjLb0EEEEE10hipError_tT1_PNSt15iterator_traitsISK_E10value_typeET2_T3_PNSL_ISQ_E10value_typeET4_T5_PSV_SW_PNS1_23onesweep_lookback_stateEbbT6_jjT7_P12ihipStream_tbENKUlT_T0_SK_SP_E_clIPxSE_SF_SF_EEDaS13_S14_SK_SP_EUlS13_E_NS1_11comp_targetILNS1_3genE6ELNS1_11target_archE950ELNS1_3gpuE13ELNS1_3repE0EEENS1_47radix_sort_onesweep_sort_config_static_selectorELNS0_4arch9wavefront6targetE1EEEvSK_,comdat
	.protected	_ZN7rocprim17ROCPRIM_400000_NS6detail17trampoline_kernelINS0_14default_configENS1_35radix_sort_onesweep_config_selectorIxNS0_10empty_typeEEEZZNS1_29radix_sort_onesweep_iterationIS3_Lb0EN6thrust23THRUST_200600_302600_NS6detail15normal_iteratorINS9_10device_ptrIxEEEESE_PS5_SF_jNS0_19identity_decomposerENS1_16block_id_wrapperIjLb0EEEEE10hipError_tT1_PNSt15iterator_traitsISK_E10value_typeET2_T3_PNSL_ISQ_E10value_typeET4_T5_PSV_SW_PNS1_23onesweep_lookback_stateEbbT6_jjT7_P12ihipStream_tbENKUlT_T0_SK_SP_E_clIPxSE_SF_SF_EEDaS13_S14_SK_SP_EUlS13_E_NS1_11comp_targetILNS1_3genE6ELNS1_11target_archE950ELNS1_3gpuE13ELNS1_3repE0EEENS1_47radix_sort_onesweep_sort_config_static_selectorELNS0_4arch9wavefront6targetE1EEEvSK_ ; -- Begin function _ZN7rocprim17ROCPRIM_400000_NS6detail17trampoline_kernelINS0_14default_configENS1_35radix_sort_onesweep_config_selectorIxNS0_10empty_typeEEEZZNS1_29radix_sort_onesweep_iterationIS3_Lb0EN6thrust23THRUST_200600_302600_NS6detail15normal_iteratorINS9_10device_ptrIxEEEESE_PS5_SF_jNS0_19identity_decomposerENS1_16block_id_wrapperIjLb0EEEEE10hipError_tT1_PNSt15iterator_traitsISK_E10value_typeET2_T3_PNSL_ISQ_E10value_typeET4_T5_PSV_SW_PNS1_23onesweep_lookback_stateEbbT6_jjT7_P12ihipStream_tbENKUlT_T0_SK_SP_E_clIPxSE_SF_SF_EEDaS13_S14_SK_SP_EUlS13_E_NS1_11comp_targetILNS1_3genE6ELNS1_11target_archE950ELNS1_3gpuE13ELNS1_3repE0EEENS1_47radix_sort_onesweep_sort_config_static_selectorELNS0_4arch9wavefront6targetE1EEEvSK_
	.globl	_ZN7rocprim17ROCPRIM_400000_NS6detail17trampoline_kernelINS0_14default_configENS1_35radix_sort_onesweep_config_selectorIxNS0_10empty_typeEEEZZNS1_29radix_sort_onesweep_iterationIS3_Lb0EN6thrust23THRUST_200600_302600_NS6detail15normal_iteratorINS9_10device_ptrIxEEEESE_PS5_SF_jNS0_19identity_decomposerENS1_16block_id_wrapperIjLb0EEEEE10hipError_tT1_PNSt15iterator_traitsISK_E10value_typeET2_T3_PNSL_ISQ_E10value_typeET4_T5_PSV_SW_PNS1_23onesweep_lookback_stateEbbT6_jjT7_P12ihipStream_tbENKUlT_T0_SK_SP_E_clIPxSE_SF_SF_EEDaS13_S14_SK_SP_EUlS13_E_NS1_11comp_targetILNS1_3genE6ELNS1_11target_archE950ELNS1_3gpuE13ELNS1_3repE0EEENS1_47radix_sort_onesweep_sort_config_static_selectorELNS0_4arch9wavefront6targetE1EEEvSK_
	.p2align	8
	.type	_ZN7rocprim17ROCPRIM_400000_NS6detail17trampoline_kernelINS0_14default_configENS1_35radix_sort_onesweep_config_selectorIxNS0_10empty_typeEEEZZNS1_29radix_sort_onesweep_iterationIS3_Lb0EN6thrust23THRUST_200600_302600_NS6detail15normal_iteratorINS9_10device_ptrIxEEEESE_PS5_SF_jNS0_19identity_decomposerENS1_16block_id_wrapperIjLb0EEEEE10hipError_tT1_PNSt15iterator_traitsISK_E10value_typeET2_T3_PNSL_ISQ_E10value_typeET4_T5_PSV_SW_PNS1_23onesweep_lookback_stateEbbT6_jjT7_P12ihipStream_tbENKUlT_T0_SK_SP_E_clIPxSE_SF_SF_EEDaS13_S14_SK_SP_EUlS13_E_NS1_11comp_targetILNS1_3genE6ELNS1_11target_archE950ELNS1_3gpuE13ELNS1_3repE0EEENS1_47radix_sort_onesweep_sort_config_static_selectorELNS0_4arch9wavefront6targetE1EEEvSK_,@function
_ZN7rocprim17ROCPRIM_400000_NS6detail17trampoline_kernelINS0_14default_configENS1_35radix_sort_onesweep_config_selectorIxNS0_10empty_typeEEEZZNS1_29radix_sort_onesweep_iterationIS3_Lb0EN6thrust23THRUST_200600_302600_NS6detail15normal_iteratorINS9_10device_ptrIxEEEESE_PS5_SF_jNS0_19identity_decomposerENS1_16block_id_wrapperIjLb0EEEEE10hipError_tT1_PNSt15iterator_traitsISK_E10value_typeET2_T3_PNSL_ISQ_E10value_typeET4_T5_PSV_SW_PNS1_23onesweep_lookback_stateEbbT6_jjT7_P12ihipStream_tbENKUlT_T0_SK_SP_E_clIPxSE_SF_SF_EEDaS13_S14_SK_SP_EUlS13_E_NS1_11comp_targetILNS1_3genE6ELNS1_11target_archE950ELNS1_3gpuE13ELNS1_3repE0EEENS1_47radix_sort_onesweep_sort_config_static_selectorELNS0_4arch9wavefront6targetE1EEEvSK_: ; @_ZN7rocprim17ROCPRIM_400000_NS6detail17trampoline_kernelINS0_14default_configENS1_35radix_sort_onesweep_config_selectorIxNS0_10empty_typeEEEZZNS1_29radix_sort_onesweep_iterationIS3_Lb0EN6thrust23THRUST_200600_302600_NS6detail15normal_iteratorINS9_10device_ptrIxEEEESE_PS5_SF_jNS0_19identity_decomposerENS1_16block_id_wrapperIjLb0EEEEE10hipError_tT1_PNSt15iterator_traitsISK_E10value_typeET2_T3_PNSL_ISQ_E10value_typeET4_T5_PSV_SW_PNS1_23onesweep_lookback_stateEbbT6_jjT7_P12ihipStream_tbENKUlT_T0_SK_SP_E_clIPxSE_SF_SF_EEDaS13_S14_SK_SP_EUlS13_E_NS1_11comp_targetILNS1_3genE6ELNS1_11target_archE950ELNS1_3gpuE13ELNS1_3repE0EEENS1_47radix_sort_onesweep_sort_config_static_selectorELNS0_4arch9wavefront6targetE1EEEvSK_
; %bb.0:
	.section	.rodata,"a",@progbits
	.p2align	6, 0x0
	.amdhsa_kernel _ZN7rocprim17ROCPRIM_400000_NS6detail17trampoline_kernelINS0_14default_configENS1_35radix_sort_onesweep_config_selectorIxNS0_10empty_typeEEEZZNS1_29radix_sort_onesweep_iterationIS3_Lb0EN6thrust23THRUST_200600_302600_NS6detail15normal_iteratorINS9_10device_ptrIxEEEESE_PS5_SF_jNS0_19identity_decomposerENS1_16block_id_wrapperIjLb0EEEEE10hipError_tT1_PNSt15iterator_traitsISK_E10value_typeET2_T3_PNSL_ISQ_E10value_typeET4_T5_PSV_SW_PNS1_23onesweep_lookback_stateEbbT6_jjT7_P12ihipStream_tbENKUlT_T0_SK_SP_E_clIPxSE_SF_SF_EEDaS13_S14_SK_SP_EUlS13_E_NS1_11comp_targetILNS1_3genE6ELNS1_11target_archE950ELNS1_3gpuE13ELNS1_3repE0EEENS1_47radix_sort_onesweep_sort_config_static_selectorELNS0_4arch9wavefront6targetE1EEEvSK_
		.amdhsa_group_segment_fixed_size 0
		.amdhsa_private_segment_fixed_size 0
		.amdhsa_kernarg_size 88
		.amdhsa_user_sgpr_count 6
		.amdhsa_user_sgpr_private_segment_buffer 1
		.amdhsa_user_sgpr_dispatch_ptr 0
		.amdhsa_user_sgpr_queue_ptr 0
		.amdhsa_user_sgpr_kernarg_segment_ptr 1
		.amdhsa_user_sgpr_dispatch_id 0
		.amdhsa_user_sgpr_flat_scratch_init 0
		.amdhsa_user_sgpr_kernarg_preload_length 0
		.amdhsa_user_sgpr_kernarg_preload_offset 0
		.amdhsa_user_sgpr_private_segment_size 0
		.amdhsa_uses_dynamic_stack 0
		.amdhsa_system_sgpr_private_segment_wavefront_offset 0
		.amdhsa_system_sgpr_workgroup_id_x 1
		.amdhsa_system_sgpr_workgroup_id_y 0
		.amdhsa_system_sgpr_workgroup_id_z 0
		.amdhsa_system_sgpr_workgroup_info 0
		.amdhsa_system_vgpr_workitem_id 0
		.amdhsa_next_free_vgpr 1
		.amdhsa_next_free_sgpr 0
		.amdhsa_accum_offset 4
		.amdhsa_reserve_vcc 0
		.amdhsa_reserve_flat_scratch 0
		.amdhsa_float_round_mode_32 0
		.amdhsa_float_round_mode_16_64 0
		.amdhsa_float_denorm_mode_32 3
		.amdhsa_float_denorm_mode_16_64 3
		.amdhsa_dx10_clamp 1
		.amdhsa_ieee_mode 1
		.amdhsa_fp16_overflow 0
		.amdhsa_tg_split 0
		.amdhsa_exception_fp_ieee_invalid_op 0
		.amdhsa_exception_fp_denorm_src 0
		.amdhsa_exception_fp_ieee_div_zero 0
		.amdhsa_exception_fp_ieee_overflow 0
		.amdhsa_exception_fp_ieee_underflow 0
		.amdhsa_exception_fp_ieee_inexact 0
		.amdhsa_exception_int_div_zero 0
	.end_amdhsa_kernel
	.section	.text._ZN7rocprim17ROCPRIM_400000_NS6detail17trampoline_kernelINS0_14default_configENS1_35radix_sort_onesweep_config_selectorIxNS0_10empty_typeEEEZZNS1_29radix_sort_onesweep_iterationIS3_Lb0EN6thrust23THRUST_200600_302600_NS6detail15normal_iteratorINS9_10device_ptrIxEEEESE_PS5_SF_jNS0_19identity_decomposerENS1_16block_id_wrapperIjLb0EEEEE10hipError_tT1_PNSt15iterator_traitsISK_E10value_typeET2_T3_PNSL_ISQ_E10value_typeET4_T5_PSV_SW_PNS1_23onesweep_lookback_stateEbbT6_jjT7_P12ihipStream_tbENKUlT_T0_SK_SP_E_clIPxSE_SF_SF_EEDaS13_S14_SK_SP_EUlS13_E_NS1_11comp_targetILNS1_3genE6ELNS1_11target_archE950ELNS1_3gpuE13ELNS1_3repE0EEENS1_47radix_sort_onesweep_sort_config_static_selectorELNS0_4arch9wavefront6targetE1EEEvSK_,"axG",@progbits,_ZN7rocprim17ROCPRIM_400000_NS6detail17trampoline_kernelINS0_14default_configENS1_35radix_sort_onesweep_config_selectorIxNS0_10empty_typeEEEZZNS1_29radix_sort_onesweep_iterationIS3_Lb0EN6thrust23THRUST_200600_302600_NS6detail15normal_iteratorINS9_10device_ptrIxEEEESE_PS5_SF_jNS0_19identity_decomposerENS1_16block_id_wrapperIjLb0EEEEE10hipError_tT1_PNSt15iterator_traitsISK_E10value_typeET2_T3_PNSL_ISQ_E10value_typeET4_T5_PSV_SW_PNS1_23onesweep_lookback_stateEbbT6_jjT7_P12ihipStream_tbENKUlT_T0_SK_SP_E_clIPxSE_SF_SF_EEDaS13_S14_SK_SP_EUlS13_E_NS1_11comp_targetILNS1_3genE6ELNS1_11target_archE950ELNS1_3gpuE13ELNS1_3repE0EEENS1_47radix_sort_onesweep_sort_config_static_selectorELNS0_4arch9wavefront6targetE1EEEvSK_,comdat
.Lfunc_end1588:
	.size	_ZN7rocprim17ROCPRIM_400000_NS6detail17trampoline_kernelINS0_14default_configENS1_35radix_sort_onesweep_config_selectorIxNS0_10empty_typeEEEZZNS1_29radix_sort_onesweep_iterationIS3_Lb0EN6thrust23THRUST_200600_302600_NS6detail15normal_iteratorINS9_10device_ptrIxEEEESE_PS5_SF_jNS0_19identity_decomposerENS1_16block_id_wrapperIjLb0EEEEE10hipError_tT1_PNSt15iterator_traitsISK_E10value_typeET2_T3_PNSL_ISQ_E10value_typeET4_T5_PSV_SW_PNS1_23onesweep_lookback_stateEbbT6_jjT7_P12ihipStream_tbENKUlT_T0_SK_SP_E_clIPxSE_SF_SF_EEDaS13_S14_SK_SP_EUlS13_E_NS1_11comp_targetILNS1_3genE6ELNS1_11target_archE950ELNS1_3gpuE13ELNS1_3repE0EEENS1_47radix_sort_onesweep_sort_config_static_selectorELNS0_4arch9wavefront6targetE1EEEvSK_, .Lfunc_end1588-_ZN7rocprim17ROCPRIM_400000_NS6detail17trampoline_kernelINS0_14default_configENS1_35radix_sort_onesweep_config_selectorIxNS0_10empty_typeEEEZZNS1_29radix_sort_onesweep_iterationIS3_Lb0EN6thrust23THRUST_200600_302600_NS6detail15normal_iteratorINS9_10device_ptrIxEEEESE_PS5_SF_jNS0_19identity_decomposerENS1_16block_id_wrapperIjLb0EEEEE10hipError_tT1_PNSt15iterator_traitsISK_E10value_typeET2_T3_PNSL_ISQ_E10value_typeET4_T5_PSV_SW_PNS1_23onesweep_lookback_stateEbbT6_jjT7_P12ihipStream_tbENKUlT_T0_SK_SP_E_clIPxSE_SF_SF_EEDaS13_S14_SK_SP_EUlS13_E_NS1_11comp_targetILNS1_3genE6ELNS1_11target_archE950ELNS1_3gpuE13ELNS1_3repE0EEENS1_47radix_sort_onesweep_sort_config_static_selectorELNS0_4arch9wavefront6targetE1EEEvSK_
                                        ; -- End function
	.section	.AMDGPU.csdata,"",@progbits
; Kernel info:
; codeLenInByte = 0
; NumSgprs: 4
; NumVgprs: 0
; NumAgprs: 0
; TotalNumVgprs: 0
; ScratchSize: 0
; MemoryBound: 0
; FloatMode: 240
; IeeeMode: 1
; LDSByteSize: 0 bytes/workgroup (compile time only)
; SGPRBlocks: 0
; VGPRBlocks: 0
; NumSGPRsForWavesPerEU: 4
; NumVGPRsForWavesPerEU: 1
; AccumOffset: 4
; Occupancy: 8
; WaveLimiterHint : 0
; COMPUTE_PGM_RSRC2:SCRATCH_EN: 0
; COMPUTE_PGM_RSRC2:USER_SGPR: 6
; COMPUTE_PGM_RSRC2:TRAP_HANDLER: 0
; COMPUTE_PGM_RSRC2:TGID_X_EN: 1
; COMPUTE_PGM_RSRC2:TGID_Y_EN: 0
; COMPUTE_PGM_RSRC2:TGID_Z_EN: 0
; COMPUTE_PGM_RSRC2:TIDIG_COMP_CNT: 0
; COMPUTE_PGM_RSRC3_GFX90A:ACCUM_OFFSET: 0
; COMPUTE_PGM_RSRC3_GFX90A:TG_SPLIT: 0
	.section	.text._ZN7rocprim17ROCPRIM_400000_NS6detail17trampoline_kernelINS0_14default_configENS1_35radix_sort_onesweep_config_selectorIxNS0_10empty_typeEEEZZNS1_29radix_sort_onesweep_iterationIS3_Lb0EN6thrust23THRUST_200600_302600_NS6detail15normal_iteratorINS9_10device_ptrIxEEEESE_PS5_SF_jNS0_19identity_decomposerENS1_16block_id_wrapperIjLb0EEEEE10hipError_tT1_PNSt15iterator_traitsISK_E10value_typeET2_T3_PNSL_ISQ_E10value_typeET4_T5_PSV_SW_PNS1_23onesweep_lookback_stateEbbT6_jjT7_P12ihipStream_tbENKUlT_T0_SK_SP_E_clIPxSE_SF_SF_EEDaS13_S14_SK_SP_EUlS13_E_NS1_11comp_targetILNS1_3genE5ELNS1_11target_archE942ELNS1_3gpuE9ELNS1_3repE0EEENS1_47radix_sort_onesweep_sort_config_static_selectorELNS0_4arch9wavefront6targetE1EEEvSK_,"axG",@progbits,_ZN7rocprim17ROCPRIM_400000_NS6detail17trampoline_kernelINS0_14default_configENS1_35radix_sort_onesweep_config_selectorIxNS0_10empty_typeEEEZZNS1_29radix_sort_onesweep_iterationIS3_Lb0EN6thrust23THRUST_200600_302600_NS6detail15normal_iteratorINS9_10device_ptrIxEEEESE_PS5_SF_jNS0_19identity_decomposerENS1_16block_id_wrapperIjLb0EEEEE10hipError_tT1_PNSt15iterator_traitsISK_E10value_typeET2_T3_PNSL_ISQ_E10value_typeET4_T5_PSV_SW_PNS1_23onesweep_lookback_stateEbbT6_jjT7_P12ihipStream_tbENKUlT_T0_SK_SP_E_clIPxSE_SF_SF_EEDaS13_S14_SK_SP_EUlS13_E_NS1_11comp_targetILNS1_3genE5ELNS1_11target_archE942ELNS1_3gpuE9ELNS1_3repE0EEENS1_47radix_sort_onesweep_sort_config_static_selectorELNS0_4arch9wavefront6targetE1EEEvSK_,comdat
	.protected	_ZN7rocprim17ROCPRIM_400000_NS6detail17trampoline_kernelINS0_14default_configENS1_35radix_sort_onesweep_config_selectorIxNS0_10empty_typeEEEZZNS1_29radix_sort_onesweep_iterationIS3_Lb0EN6thrust23THRUST_200600_302600_NS6detail15normal_iteratorINS9_10device_ptrIxEEEESE_PS5_SF_jNS0_19identity_decomposerENS1_16block_id_wrapperIjLb0EEEEE10hipError_tT1_PNSt15iterator_traitsISK_E10value_typeET2_T3_PNSL_ISQ_E10value_typeET4_T5_PSV_SW_PNS1_23onesweep_lookback_stateEbbT6_jjT7_P12ihipStream_tbENKUlT_T0_SK_SP_E_clIPxSE_SF_SF_EEDaS13_S14_SK_SP_EUlS13_E_NS1_11comp_targetILNS1_3genE5ELNS1_11target_archE942ELNS1_3gpuE9ELNS1_3repE0EEENS1_47radix_sort_onesweep_sort_config_static_selectorELNS0_4arch9wavefront6targetE1EEEvSK_ ; -- Begin function _ZN7rocprim17ROCPRIM_400000_NS6detail17trampoline_kernelINS0_14default_configENS1_35radix_sort_onesweep_config_selectorIxNS0_10empty_typeEEEZZNS1_29radix_sort_onesweep_iterationIS3_Lb0EN6thrust23THRUST_200600_302600_NS6detail15normal_iteratorINS9_10device_ptrIxEEEESE_PS5_SF_jNS0_19identity_decomposerENS1_16block_id_wrapperIjLb0EEEEE10hipError_tT1_PNSt15iterator_traitsISK_E10value_typeET2_T3_PNSL_ISQ_E10value_typeET4_T5_PSV_SW_PNS1_23onesweep_lookback_stateEbbT6_jjT7_P12ihipStream_tbENKUlT_T0_SK_SP_E_clIPxSE_SF_SF_EEDaS13_S14_SK_SP_EUlS13_E_NS1_11comp_targetILNS1_3genE5ELNS1_11target_archE942ELNS1_3gpuE9ELNS1_3repE0EEENS1_47radix_sort_onesweep_sort_config_static_selectorELNS0_4arch9wavefront6targetE1EEEvSK_
	.globl	_ZN7rocprim17ROCPRIM_400000_NS6detail17trampoline_kernelINS0_14default_configENS1_35radix_sort_onesweep_config_selectorIxNS0_10empty_typeEEEZZNS1_29radix_sort_onesweep_iterationIS3_Lb0EN6thrust23THRUST_200600_302600_NS6detail15normal_iteratorINS9_10device_ptrIxEEEESE_PS5_SF_jNS0_19identity_decomposerENS1_16block_id_wrapperIjLb0EEEEE10hipError_tT1_PNSt15iterator_traitsISK_E10value_typeET2_T3_PNSL_ISQ_E10value_typeET4_T5_PSV_SW_PNS1_23onesweep_lookback_stateEbbT6_jjT7_P12ihipStream_tbENKUlT_T0_SK_SP_E_clIPxSE_SF_SF_EEDaS13_S14_SK_SP_EUlS13_E_NS1_11comp_targetILNS1_3genE5ELNS1_11target_archE942ELNS1_3gpuE9ELNS1_3repE0EEENS1_47radix_sort_onesweep_sort_config_static_selectorELNS0_4arch9wavefront6targetE1EEEvSK_
	.p2align	8
	.type	_ZN7rocprim17ROCPRIM_400000_NS6detail17trampoline_kernelINS0_14default_configENS1_35radix_sort_onesweep_config_selectorIxNS0_10empty_typeEEEZZNS1_29radix_sort_onesweep_iterationIS3_Lb0EN6thrust23THRUST_200600_302600_NS6detail15normal_iteratorINS9_10device_ptrIxEEEESE_PS5_SF_jNS0_19identity_decomposerENS1_16block_id_wrapperIjLb0EEEEE10hipError_tT1_PNSt15iterator_traitsISK_E10value_typeET2_T3_PNSL_ISQ_E10value_typeET4_T5_PSV_SW_PNS1_23onesweep_lookback_stateEbbT6_jjT7_P12ihipStream_tbENKUlT_T0_SK_SP_E_clIPxSE_SF_SF_EEDaS13_S14_SK_SP_EUlS13_E_NS1_11comp_targetILNS1_3genE5ELNS1_11target_archE942ELNS1_3gpuE9ELNS1_3repE0EEENS1_47radix_sort_onesweep_sort_config_static_selectorELNS0_4arch9wavefront6targetE1EEEvSK_,@function
_ZN7rocprim17ROCPRIM_400000_NS6detail17trampoline_kernelINS0_14default_configENS1_35radix_sort_onesweep_config_selectorIxNS0_10empty_typeEEEZZNS1_29radix_sort_onesweep_iterationIS3_Lb0EN6thrust23THRUST_200600_302600_NS6detail15normal_iteratorINS9_10device_ptrIxEEEESE_PS5_SF_jNS0_19identity_decomposerENS1_16block_id_wrapperIjLb0EEEEE10hipError_tT1_PNSt15iterator_traitsISK_E10value_typeET2_T3_PNSL_ISQ_E10value_typeET4_T5_PSV_SW_PNS1_23onesweep_lookback_stateEbbT6_jjT7_P12ihipStream_tbENKUlT_T0_SK_SP_E_clIPxSE_SF_SF_EEDaS13_S14_SK_SP_EUlS13_E_NS1_11comp_targetILNS1_3genE5ELNS1_11target_archE942ELNS1_3gpuE9ELNS1_3repE0EEENS1_47radix_sort_onesweep_sort_config_static_selectorELNS0_4arch9wavefront6targetE1EEEvSK_: ; @_ZN7rocprim17ROCPRIM_400000_NS6detail17trampoline_kernelINS0_14default_configENS1_35radix_sort_onesweep_config_selectorIxNS0_10empty_typeEEEZZNS1_29radix_sort_onesweep_iterationIS3_Lb0EN6thrust23THRUST_200600_302600_NS6detail15normal_iteratorINS9_10device_ptrIxEEEESE_PS5_SF_jNS0_19identity_decomposerENS1_16block_id_wrapperIjLb0EEEEE10hipError_tT1_PNSt15iterator_traitsISK_E10value_typeET2_T3_PNSL_ISQ_E10value_typeET4_T5_PSV_SW_PNS1_23onesweep_lookback_stateEbbT6_jjT7_P12ihipStream_tbENKUlT_T0_SK_SP_E_clIPxSE_SF_SF_EEDaS13_S14_SK_SP_EUlS13_E_NS1_11comp_targetILNS1_3genE5ELNS1_11target_archE942ELNS1_3gpuE9ELNS1_3repE0EEENS1_47radix_sort_onesweep_sort_config_static_selectorELNS0_4arch9wavefront6targetE1EEEvSK_
; %bb.0:
	.section	.rodata,"a",@progbits
	.p2align	6, 0x0
	.amdhsa_kernel _ZN7rocprim17ROCPRIM_400000_NS6detail17trampoline_kernelINS0_14default_configENS1_35radix_sort_onesweep_config_selectorIxNS0_10empty_typeEEEZZNS1_29radix_sort_onesweep_iterationIS3_Lb0EN6thrust23THRUST_200600_302600_NS6detail15normal_iteratorINS9_10device_ptrIxEEEESE_PS5_SF_jNS0_19identity_decomposerENS1_16block_id_wrapperIjLb0EEEEE10hipError_tT1_PNSt15iterator_traitsISK_E10value_typeET2_T3_PNSL_ISQ_E10value_typeET4_T5_PSV_SW_PNS1_23onesweep_lookback_stateEbbT6_jjT7_P12ihipStream_tbENKUlT_T0_SK_SP_E_clIPxSE_SF_SF_EEDaS13_S14_SK_SP_EUlS13_E_NS1_11comp_targetILNS1_3genE5ELNS1_11target_archE942ELNS1_3gpuE9ELNS1_3repE0EEENS1_47radix_sort_onesweep_sort_config_static_selectorELNS0_4arch9wavefront6targetE1EEEvSK_
		.amdhsa_group_segment_fixed_size 0
		.amdhsa_private_segment_fixed_size 0
		.amdhsa_kernarg_size 88
		.amdhsa_user_sgpr_count 6
		.amdhsa_user_sgpr_private_segment_buffer 1
		.amdhsa_user_sgpr_dispatch_ptr 0
		.amdhsa_user_sgpr_queue_ptr 0
		.amdhsa_user_sgpr_kernarg_segment_ptr 1
		.amdhsa_user_sgpr_dispatch_id 0
		.amdhsa_user_sgpr_flat_scratch_init 0
		.amdhsa_user_sgpr_kernarg_preload_length 0
		.amdhsa_user_sgpr_kernarg_preload_offset 0
		.amdhsa_user_sgpr_private_segment_size 0
		.amdhsa_uses_dynamic_stack 0
		.amdhsa_system_sgpr_private_segment_wavefront_offset 0
		.amdhsa_system_sgpr_workgroup_id_x 1
		.amdhsa_system_sgpr_workgroup_id_y 0
		.amdhsa_system_sgpr_workgroup_id_z 0
		.amdhsa_system_sgpr_workgroup_info 0
		.amdhsa_system_vgpr_workitem_id 0
		.amdhsa_next_free_vgpr 1
		.amdhsa_next_free_sgpr 0
		.amdhsa_accum_offset 4
		.amdhsa_reserve_vcc 0
		.amdhsa_reserve_flat_scratch 0
		.amdhsa_float_round_mode_32 0
		.amdhsa_float_round_mode_16_64 0
		.amdhsa_float_denorm_mode_32 3
		.amdhsa_float_denorm_mode_16_64 3
		.amdhsa_dx10_clamp 1
		.amdhsa_ieee_mode 1
		.amdhsa_fp16_overflow 0
		.amdhsa_tg_split 0
		.amdhsa_exception_fp_ieee_invalid_op 0
		.amdhsa_exception_fp_denorm_src 0
		.amdhsa_exception_fp_ieee_div_zero 0
		.amdhsa_exception_fp_ieee_overflow 0
		.amdhsa_exception_fp_ieee_underflow 0
		.amdhsa_exception_fp_ieee_inexact 0
		.amdhsa_exception_int_div_zero 0
	.end_amdhsa_kernel
	.section	.text._ZN7rocprim17ROCPRIM_400000_NS6detail17trampoline_kernelINS0_14default_configENS1_35radix_sort_onesweep_config_selectorIxNS0_10empty_typeEEEZZNS1_29radix_sort_onesweep_iterationIS3_Lb0EN6thrust23THRUST_200600_302600_NS6detail15normal_iteratorINS9_10device_ptrIxEEEESE_PS5_SF_jNS0_19identity_decomposerENS1_16block_id_wrapperIjLb0EEEEE10hipError_tT1_PNSt15iterator_traitsISK_E10value_typeET2_T3_PNSL_ISQ_E10value_typeET4_T5_PSV_SW_PNS1_23onesweep_lookback_stateEbbT6_jjT7_P12ihipStream_tbENKUlT_T0_SK_SP_E_clIPxSE_SF_SF_EEDaS13_S14_SK_SP_EUlS13_E_NS1_11comp_targetILNS1_3genE5ELNS1_11target_archE942ELNS1_3gpuE9ELNS1_3repE0EEENS1_47radix_sort_onesweep_sort_config_static_selectorELNS0_4arch9wavefront6targetE1EEEvSK_,"axG",@progbits,_ZN7rocprim17ROCPRIM_400000_NS6detail17trampoline_kernelINS0_14default_configENS1_35radix_sort_onesweep_config_selectorIxNS0_10empty_typeEEEZZNS1_29radix_sort_onesweep_iterationIS3_Lb0EN6thrust23THRUST_200600_302600_NS6detail15normal_iteratorINS9_10device_ptrIxEEEESE_PS5_SF_jNS0_19identity_decomposerENS1_16block_id_wrapperIjLb0EEEEE10hipError_tT1_PNSt15iterator_traitsISK_E10value_typeET2_T3_PNSL_ISQ_E10value_typeET4_T5_PSV_SW_PNS1_23onesweep_lookback_stateEbbT6_jjT7_P12ihipStream_tbENKUlT_T0_SK_SP_E_clIPxSE_SF_SF_EEDaS13_S14_SK_SP_EUlS13_E_NS1_11comp_targetILNS1_3genE5ELNS1_11target_archE942ELNS1_3gpuE9ELNS1_3repE0EEENS1_47radix_sort_onesweep_sort_config_static_selectorELNS0_4arch9wavefront6targetE1EEEvSK_,comdat
.Lfunc_end1589:
	.size	_ZN7rocprim17ROCPRIM_400000_NS6detail17trampoline_kernelINS0_14default_configENS1_35radix_sort_onesweep_config_selectorIxNS0_10empty_typeEEEZZNS1_29radix_sort_onesweep_iterationIS3_Lb0EN6thrust23THRUST_200600_302600_NS6detail15normal_iteratorINS9_10device_ptrIxEEEESE_PS5_SF_jNS0_19identity_decomposerENS1_16block_id_wrapperIjLb0EEEEE10hipError_tT1_PNSt15iterator_traitsISK_E10value_typeET2_T3_PNSL_ISQ_E10value_typeET4_T5_PSV_SW_PNS1_23onesweep_lookback_stateEbbT6_jjT7_P12ihipStream_tbENKUlT_T0_SK_SP_E_clIPxSE_SF_SF_EEDaS13_S14_SK_SP_EUlS13_E_NS1_11comp_targetILNS1_3genE5ELNS1_11target_archE942ELNS1_3gpuE9ELNS1_3repE0EEENS1_47radix_sort_onesweep_sort_config_static_selectorELNS0_4arch9wavefront6targetE1EEEvSK_, .Lfunc_end1589-_ZN7rocprim17ROCPRIM_400000_NS6detail17trampoline_kernelINS0_14default_configENS1_35radix_sort_onesweep_config_selectorIxNS0_10empty_typeEEEZZNS1_29radix_sort_onesweep_iterationIS3_Lb0EN6thrust23THRUST_200600_302600_NS6detail15normal_iteratorINS9_10device_ptrIxEEEESE_PS5_SF_jNS0_19identity_decomposerENS1_16block_id_wrapperIjLb0EEEEE10hipError_tT1_PNSt15iterator_traitsISK_E10value_typeET2_T3_PNSL_ISQ_E10value_typeET4_T5_PSV_SW_PNS1_23onesweep_lookback_stateEbbT6_jjT7_P12ihipStream_tbENKUlT_T0_SK_SP_E_clIPxSE_SF_SF_EEDaS13_S14_SK_SP_EUlS13_E_NS1_11comp_targetILNS1_3genE5ELNS1_11target_archE942ELNS1_3gpuE9ELNS1_3repE0EEENS1_47radix_sort_onesweep_sort_config_static_selectorELNS0_4arch9wavefront6targetE1EEEvSK_
                                        ; -- End function
	.section	.AMDGPU.csdata,"",@progbits
; Kernel info:
; codeLenInByte = 0
; NumSgprs: 4
; NumVgprs: 0
; NumAgprs: 0
; TotalNumVgprs: 0
; ScratchSize: 0
; MemoryBound: 0
; FloatMode: 240
; IeeeMode: 1
; LDSByteSize: 0 bytes/workgroup (compile time only)
; SGPRBlocks: 0
; VGPRBlocks: 0
; NumSGPRsForWavesPerEU: 4
; NumVGPRsForWavesPerEU: 1
; AccumOffset: 4
; Occupancy: 8
; WaveLimiterHint : 0
; COMPUTE_PGM_RSRC2:SCRATCH_EN: 0
; COMPUTE_PGM_RSRC2:USER_SGPR: 6
; COMPUTE_PGM_RSRC2:TRAP_HANDLER: 0
; COMPUTE_PGM_RSRC2:TGID_X_EN: 1
; COMPUTE_PGM_RSRC2:TGID_Y_EN: 0
; COMPUTE_PGM_RSRC2:TGID_Z_EN: 0
; COMPUTE_PGM_RSRC2:TIDIG_COMP_CNT: 0
; COMPUTE_PGM_RSRC3_GFX90A:ACCUM_OFFSET: 0
; COMPUTE_PGM_RSRC3_GFX90A:TG_SPLIT: 0
	.section	.text._ZN7rocprim17ROCPRIM_400000_NS6detail17trampoline_kernelINS0_14default_configENS1_35radix_sort_onesweep_config_selectorIxNS0_10empty_typeEEEZZNS1_29radix_sort_onesweep_iterationIS3_Lb0EN6thrust23THRUST_200600_302600_NS6detail15normal_iteratorINS9_10device_ptrIxEEEESE_PS5_SF_jNS0_19identity_decomposerENS1_16block_id_wrapperIjLb0EEEEE10hipError_tT1_PNSt15iterator_traitsISK_E10value_typeET2_T3_PNSL_ISQ_E10value_typeET4_T5_PSV_SW_PNS1_23onesweep_lookback_stateEbbT6_jjT7_P12ihipStream_tbENKUlT_T0_SK_SP_E_clIPxSE_SF_SF_EEDaS13_S14_SK_SP_EUlS13_E_NS1_11comp_targetILNS1_3genE2ELNS1_11target_archE906ELNS1_3gpuE6ELNS1_3repE0EEENS1_47radix_sort_onesweep_sort_config_static_selectorELNS0_4arch9wavefront6targetE1EEEvSK_,"axG",@progbits,_ZN7rocprim17ROCPRIM_400000_NS6detail17trampoline_kernelINS0_14default_configENS1_35radix_sort_onesweep_config_selectorIxNS0_10empty_typeEEEZZNS1_29radix_sort_onesweep_iterationIS3_Lb0EN6thrust23THRUST_200600_302600_NS6detail15normal_iteratorINS9_10device_ptrIxEEEESE_PS5_SF_jNS0_19identity_decomposerENS1_16block_id_wrapperIjLb0EEEEE10hipError_tT1_PNSt15iterator_traitsISK_E10value_typeET2_T3_PNSL_ISQ_E10value_typeET4_T5_PSV_SW_PNS1_23onesweep_lookback_stateEbbT6_jjT7_P12ihipStream_tbENKUlT_T0_SK_SP_E_clIPxSE_SF_SF_EEDaS13_S14_SK_SP_EUlS13_E_NS1_11comp_targetILNS1_3genE2ELNS1_11target_archE906ELNS1_3gpuE6ELNS1_3repE0EEENS1_47radix_sort_onesweep_sort_config_static_selectorELNS0_4arch9wavefront6targetE1EEEvSK_,comdat
	.protected	_ZN7rocprim17ROCPRIM_400000_NS6detail17trampoline_kernelINS0_14default_configENS1_35radix_sort_onesweep_config_selectorIxNS0_10empty_typeEEEZZNS1_29radix_sort_onesweep_iterationIS3_Lb0EN6thrust23THRUST_200600_302600_NS6detail15normal_iteratorINS9_10device_ptrIxEEEESE_PS5_SF_jNS0_19identity_decomposerENS1_16block_id_wrapperIjLb0EEEEE10hipError_tT1_PNSt15iterator_traitsISK_E10value_typeET2_T3_PNSL_ISQ_E10value_typeET4_T5_PSV_SW_PNS1_23onesweep_lookback_stateEbbT6_jjT7_P12ihipStream_tbENKUlT_T0_SK_SP_E_clIPxSE_SF_SF_EEDaS13_S14_SK_SP_EUlS13_E_NS1_11comp_targetILNS1_3genE2ELNS1_11target_archE906ELNS1_3gpuE6ELNS1_3repE0EEENS1_47radix_sort_onesweep_sort_config_static_selectorELNS0_4arch9wavefront6targetE1EEEvSK_ ; -- Begin function _ZN7rocprim17ROCPRIM_400000_NS6detail17trampoline_kernelINS0_14default_configENS1_35radix_sort_onesweep_config_selectorIxNS0_10empty_typeEEEZZNS1_29radix_sort_onesweep_iterationIS3_Lb0EN6thrust23THRUST_200600_302600_NS6detail15normal_iteratorINS9_10device_ptrIxEEEESE_PS5_SF_jNS0_19identity_decomposerENS1_16block_id_wrapperIjLb0EEEEE10hipError_tT1_PNSt15iterator_traitsISK_E10value_typeET2_T3_PNSL_ISQ_E10value_typeET4_T5_PSV_SW_PNS1_23onesweep_lookback_stateEbbT6_jjT7_P12ihipStream_tbENKUlT_T0_SK_SP_E_clIPxSE_SF_SF_EEDaS13_S14_SK_SP_EUlS13_E_NS1_11comp_targetILNS1_3genE2ELNS1_11target_archE906ELNS1_3gpuE6ELNS1_3repE0EEENS1_47radix_sort_onesweep_sort_config_static_selectorELNS0_4arch9wavefront6targetE1EEEvSK_
	.globl	_ZN7rocprim17ROCPRIM_400000_NS6detail17trampoline_kernelINS0_14default_configENS1_35radix_sort_onesweep_config_selectorIxNS0_10empty_typeEEEZZNS1_29radix_sort_onesweep_iterationIS3_Lb0EN6thrust23THRUST_200600_302600_NS6detail15normal_iteratorINS9_10device_ptrIxEEEESE_PS5_SF_jNS0_19identity_decomposerENS1_16block_id_wrapperIjLb0EEEEE10hipError_tT1_PNSt15iterator_traitsISK_E10value_typeET2_T3_PNSL_ISQ_E10value_typeET4_T5_PSV_SW_PNS1_23onesweep_lookback_stateEbbT6_jjT7_P12ihipStream_tbENKUlT_T0_SK_SP_E_clIPxSE_SF_SF_EEDaS13_S14_SK_SP_EUlS13_E_NS1_11comp_targetILNS1_3genE2ELNS1_11target_archE906ELNS1_3gpuE6ELNS1_3repE0EEENS1_47radix_sort_onesweep_sort_config_static_selectorELNS0_4arch9wavefront6targetE1EEEvSK_
	.p2align	8
	.type	_ZN7rocprim17ROCPRIM_400000_NS6detail17trampoline_kernelINS0_14default_configENS1_35radix_sort_onesweep_config_selectorIxNS0_10empty_typeEEEZZNS1_29radix_sort_onesweep_iterationIS3_Lb0EN6thrust23THRUST_200600_302600_NS6detail15normal_iteratorINS9_10device_ptrIxEEEESE_PS5_SF_jNS0_19identity_decomposerENS1_16block_id_wrapperIjLb0EEEEE10hipError_tT1_PNSt15iterator_traitsISK_E10value_typeET2_T3_PNSL_ISQ_E10value_typeET4_T5_PSV_SW_PNS1_23onesweep_lookback_stateEbbT6_jjT7_P12ihipStream_tbENKUlT_T0_SK_SP_E_clIPxSE_SF_SF_EEDaS13_S14_SK_SP_EUlS13_E_NS1_11comp_targetILNS1_3genE2ELNS1_11target_archE906ELNS1_3gpuE6ELNS1_3repE0EEENS1_47radix_sort_onesweep_sort_config_static_selectorELNS0_4arch9wavefront6targetE1EEEvSK_,@function
_ZN7rocprim17ROCPRIM_400000_NS6detail17trampoline_kernelINS0_14default_configENS1_35radix_sort_onesweep_config_selectorIxNS0_10empty_typeEEEZZNS1_29radix_sort_onesweep_iterationIS3_Lb0EN6thrust23THRUST_200600_302600_NS6detail15normal_iteratorINS9_10device_ptrIxEEEESE_PS5_SF_jNS0_19identity_decomposerENS1_16block_id_wrapperIjLb0EEEEE10hipError_tT1_PNSt15iterator_traitsISK_E10value_typeET2_T3_PNSL_ISQ_E10value_typeET4_T5_PSV_SW_PNS1_23onesweep_lookback_stateEbbT6_jjT7_P12ihipStream_tbENKUlT_T0_SK_SP_E_clIPxSE_SF_SF_EEDaS13_S14_SK_SP_EUlS13_E_NS1_11comp_targetILNS1_3genE2ELNS1_11target_archE906ELNS1_3gpuE6ELNS1_3repE0EEENS1_47radix_sort_onesweep_sort_config_static_selectorELNS0_4arch9wavefront6targetE1EEEvSK_: ; @_ZN7rocprim17ROCPRIM_400000_NS6detail17trampoline_kernelINS0_14default_configENS1_35radix_sort_onesweep_config_selectorIxNS0_10empty_typeEEEZZNS1_29radix_sort_onesweep_iterationIS3_Lb0EN6thrust23THRUST_200600_302600_NS6detail15normal_iteratorINS9_10device_ptrIxEEEESE_PS5_SF_jNS0_19identity_decomposerENS1_16block_id_wrapperIjLb0EEEEE10hipError_tT1_PNSt15iterator_traitsISK_E10value_typeET2_T3_PNSL_ISQ_E10value_typeET4_T5_PSV_SW_PNS1_23onesweep_lookback_stateEbbT6_jjT7_P12ihipStream_tbENKUlT_T0_SK_SP_E_clIPxSE_SF_SF_EEDaS13_S14_SK_SP_EUlS13_E_NS1_11comp_targetILNS1_3genE2ELNS1_11target_archE906ELNS1_3gpuE6ELNS1_3repE0EEENS1_47radix_sort_onesweep_sort_config_static_selectorELNS0_4arch9wavefront6targetE1EEEvSK_
; %bb.0:
	.section	.rodata,"a",@progbits
	.p2align	6, 0x0
	.amdhsa_kernel _ZN7rocprim17ROCPRIM_400000_NS6detail17trampoline_kernelINS0_14default_configENS1_35radix_sort_onesweep_config_selectorIxNS0_10empty_typeEEEZZNS1_29radix_sort_onesweep_iterationIS3_Lb0EN6thrust23THRUST_200600_302600_NS6detail15normal_iteratorINS9_10device_ptrIxEEEESE_PS5_SF_jNS0_19identity_decomposerENS1_16block_id_wrapperIjLb0EEEEE10hipError_tT1_PNSt15iterator_traitsISK_E10value_typeET2_T3_PNSL_ISQ_E10value_typeET4_T5_PSV_SW_PNS1_23onesweep_lookback_stateEbbT6_jjT7_P12ihipStream_tbENKUlT_T0_SK_SP_E_clIPxSE_SF_SF_EEDaS13_S14_SK_SP_EUlS13_E_NS1_11comp_targetILNS1_3genE2ELNS1_11target_archE906ELNS1_3gpuE6ELNS1_3repE0EEENS1_47radix_sort_onesweep_sort_config_static_selectorELNS0_4arch9wavefront6targetE1EEEvSK_
		.amdhsa_group_segment_fixed_size 0
		.amdhsa_private_segment_fixed_size 0
		.amdhsa_kernarg_size 88
		.amdhsa_user_sgpr_count 6
		.amdhsa_user_sgpr_private_segment_buffer 1
		.amdhsa_user_sgpr_dispatch_ptr 0
		.amdhsa_user_sgpr_queue_ptr 0
		.amdhsa_user_sgpr_kernarg_segment_ptr 1
		.amdhsa_user_sgpr_dispatch_id 0
		.amdhsa_user_sgpr_flat_scratch_init 0
		.amdhsa_user_sgpr_kernarg_preload_length 0
		.amdhsa_user_sgpr_kernarg_preload_offset 0
		.amdhsa_user_sgpr_private_segment_size 0
		.amdhsa_uses_dynamic_stack 0
		.amdhsa_system_sgpr_private_segment_wavefront_offset 0
		.amdhsa_system_sgpr_workgroup_id_x 1
		.amdhsa_system_sgpr_workgroup_id_y 0
		.amdhsa_system_sgpr_workgroup_id_z 0
		.amdhsa_system_sgpr_workgroup_info 0
		.amdhsa_system_vgpr_workitem_id 0
		.amdhsa_next_free_vgpr 1
		.amdhsa_next_free_sgpr 0
		.amdhsa_accum_offset 4
		.amdhsa_reserve_vcc 0
		.amdhsa_reserve_flat_scratch 0
		.amdhsa_float_round_mode_32 0
		.amdhsa_float_round_mode_16_64 0
		.amdhsa_float_denorm_mode_32 3
		.amdhsa_float_denorm_mode_16_64 3
		.amdhsa_dx10_clamp 1
		.amdhsa_ieee_mode 1
		.amdhsa_fp16_overflow 0
		.amdhsa_tg_split 0
		.amdhsa_exception_fp_ieee_invalid_op 0
		.amdhsa_exception_fp_denorm_src 0
		.amdhsa_exception_fp_ieee_div_zero 0
		.amdhsa_exception_fp_ieee_overflow 0
		.amdhsa_exception_fp_ieee_underflow 0
		.amdhsa_exception_fp_ieee_inexact 0
		.amdhsa_exception_int_div_zero 0
	.end_amdhsa_kernel
	.section	.text._ZN7rocprim17ROCPRIM_400000_NS6detail17trampoline_kernelINS0_14default_configENS1_35radix_sort_onesweep_config_selectorIxNS0_10empty_typeEEEZZNS1_29radix_sort_onesweep_iterationIS3_Lb0EN6thrust23THRUST_200600_302600_NS6detail15normal_iteratorINS9_10device_ptrIxEEEESE_PS5_SF_jNS0_19identity_decomposerENS1_16block_id_wrapperIjLb0EEEEE10hipError_tT1_PNSt15iterator_traitsISK_E10value_typeET2_T3_PNSL_ISQ_E10value_typeET4_T5_PSV_SW_PNS1_23onesweep_lookback_stateEbbT6_jjT7_P12ihipStream_tbENKUlT_T0_SK_SP_E_clIPxSE_SF_SF_EEDaS13_S14_SK_SP_EUlS13_E_NS1_11comp_targetILNS1_3genE2ELNS1_11target_archE906ELNS1_3gpuE6ELNS1_3repE0EEENS1_47radix_sort_onesweep_sort_config_static_selectorELNS0_4arch9wavefront6targetE1EEEvSK_,"axG",@progbits,_ZN7rocprim17ROCPRIM_400000_NS6detail17trampoline_kernelINS0_14default_configENS1_35radix_sort_onesweep_config_selectorIxNS0_10empty_typeEEEZZNS1_29radix_sort_onesweep_iterationIS3_Lb0EN6thrust23THRUST_200600_302600_NS6detail15normal_iteratorINS9_10device_ptrIxEEEESE_PS5_SF_jNS0_19identity_decomposerENS1_16block_id_wrapperIjLb0EEEEE10hipError_tT1_PNSt15iterator_traitsISK_E10value_typeET2_T3_PNSL_ISQ_E10value_typeET4_T5_PSV_SW_PNS1_23onesweep_lookback_stateEbbT6_jjT7_P12ihipStream_tbENKUlT_T0_SK_SP_E_clIPxSE_SF_SF_EEDaS13_S14_SK_SP_EUlS13_E_NS1_11comp_targetILNS1_3genE2ELNS1_11target_archE906ELNS1_3gpuE6ELNS1_3repE0EEENS1_47radix_sort_onesweep_sort_config_static_selectorELNS0_4arch9wavefront6targetE1EEEvSK_,comdat
.Lfunc_end1590:
	.size	_ZN7rocprim17ROCPRIM_400000_NS6detail17trampoline_kernelINS0_14default_configENS1_35radix_sort_onesweep_config_selectorIxNS0_10empty_typeEEEZZNS1_29radix_sort_onesweep_iterationIS3_Lb0EN6thrust23THRUST_200600_302600_NS6detail15normal_iteratorINS9_10device_ptrIxEEEESE_PS5_SF_jNS0_19identity_decomposerENS1_16block_id_wrapperIjLb0EEEEE10hipError_tT1_PNSt15iterator_traitsISK_E10value_typeET2_T3_PNSL_ISQ_E10value_typeET4_T5_PSV_SW_PNS1_23onesweep_lookback_stateEbbT6_jjT7_P12ihipStream_tbENKUlT_T0_SK_SP_E_clIPxSE_SF_SF_EEDaS13_S14_SK_SP_EUlS13_E_NS1_11comp_targetILNS1_3genE2ELNS1_11target_archE906ELNS1_3gpuE6ELNS1_3repE0EEENS1_47radix_sort_onesweep_sort_config_static_selectorELNS0_4arch9wavefront6targetE1EEEvSK_, .Lfunc_end1590-_ZN7rocprim17ROCPRIM_400000_NS6detail17trampoline_kernelINS0_14default_configENS1_35radix_sort_onesweep_config_selectorIxNS0_10empty_typeEEEZZNS1_29radix_sort_onesweep_iterationIS3_Lb0EN6thrust23THRUST_200600_302600_NS6detail15normal_iteratorINS9_10device_ptrIxEEEESE_PS5_SF_jNS0_19identity_decomposerENS1_16block_id_wrapperIjLb0EEEEE10hipError_tT1_PNSt15iterator_traitsISK_E10value_typeET2_T3_PNSL_ISQ_E10value_typeET4_T5_PSV_SW_PNS1_23onesweep_lookback_stateEbbT6_jjT7_P12ihipStream_tbENKUlT_T0_SK_SP_E_clIPxSE_SF_SF_EEDaS13_S14_SK_SP_EUlS13_E_NS1_11comp_targetILNS1_3genE2ELNS1_11target_archE906ELNS1_3gpuE6ELNS1_3repE0EEENS1_47radix_sort_onesweep_sort_config_static_selectorELNS0_4arch9wavefront6targetE1EEEvSK_
                                        ; -- End function
	.section	.AMDGPU.csdata,"",@progbits
; Kernel info:
; codeLenInByte = 0
; NumSgprs: 4
; NumVgprs: 0
; NumAgprs: 0
; TotalNumVgprs: 0
; ScratchSize: 0
; MemoryBound: 0
; FloatMode: 240
; IeeeMode: 1
; LDSByteSize: 0 bytes/workgroup (compile time only)
; SGPRBlocks: 0
; VGPRBlocks: 0
; NumSGPRsForWavesPerEU: 4
; NumVGPRsForWavesPerEU: 1
; AccumOffset: 4
; Occupancy: 8
; WaveLimiterHint : 0
; COMPUTE_PGM_RSRC2:SCRATCH_EN: 0
; COMPUTE_PGM_RSRC2:USER_SGPR: 6
; COMPUTE_PGM_RSRC2:TRAP_HANDLER: 0
; COMPUTE_PGM_RSRC2:TGID_X_EN: 1
; COMPUTE_PGM_RSRC2:TGID_Y_EN: 0
; COMPUTE_PGM_RSRC2:TGID_Z_EN: 0
; COMPUTE_PGM_RSRC2:TIDIG_COMP_CNT: 0
; COMPUTE_PGM_RSRC3_GFX90A:ACCUM_OFFSET: 0
; COMPUTE_PGM_RSRC3_GFX90A:TG_SPLIT: 0
	.section	.text._ZN7rocprim17ROCPRIM_400000_NS6detail17trampoline_kernelINS0_14default_configENS1_35radix_sort_onesweep_config_selectorIxNS0_10empty_typeEEEZZNS1_29radix_sort_onesweep_iterationIS3_Lb0EN6thrust23THRUST_200600_302600_NS6detail15normal_iteratorINS9_10device_ptrIxEEEESE_PS5_SF_jNS0_19identity_decomposerENS1_16block_id_wrapperIjLb0EEEEE10hipError_tT1_PNSt15iterator_traitsISK_E10value_typeET2_T3_PNSL_ISQ_E10value_typeET4_T5_PSV_SW_PNS1_23onesweep_lookback_stateEbbT6_jjT7_P12ihipStream_tbENKUlT_T0_SK_SP_E_clIPxSE_SF_SF_EEDaS13_S14_SK_SP_EUlS13_E_NS1_11comp_targetILNS1_3genE4ELNS1_11target_archE910ELNS1_3gpuE8ELNS1_3repE0EEENS1_47radix_sort_onesweep_sort_config_static_selectorELNS0_4arch9wavefront6targetE1EEEvSK_,"axG",@progbits,_ZN7rocprim17ROCPRIM_400000_NS6detail17trampoline_kernelINS0_14default_configENS1_35radix_sort_onesweep_config_selectorIxNS0_10empty_typeEEEZZNS1_29radix_sort_onesweep_iterationIS3_Lb0EN6thrust23THRUST_200600_302600_NS6detail15normal_iteratorINS9_10device_ptrIxEEEESE_PS5_SF_jNS0_19identity_decomposerENS1_16block_id_wrapperIjLb0EEEEE10hipError_tT1_PNSt15iterator_traitsISK_E10value_typeET2_T3_PNSL_ISQ_E10value_typeET4_T5_PSV_SW_PNS1_23onesweep_lookback_stateEbbT6_jjT7_P12ihipStream_tbENKUlT_T0_SK_SP_E_clIPxSE_SF_SF_EEDaS13_S14_SK_SP_EUlS13_E_NS1_11comp_targetILNS1_3genE4ELNS1_11target_archE910ELNS1_3gpuE8ELNS1_3repE0EEENS1_47radix_sort_onesweep_sort_config_static_selectorELNS0_4arch9wavefront6targetE1EEEvSK_,comdat
	.protected	_ZN7rocprim17ROCPRIM_400000_NS6detail17trampoline_kernelINS0_14default_configENS1_35radix_sort_onesweep_config_selectorIxNS0_10empty_typeEEEZZNS1_29radix_sort_onesweep_iterationIS3_Lb0EN6thrust23THRUST_200600_302600_NS6detail15normal_iteratorINS9_10device_ptrIxEEEESE_PS5_SF_jNS0_19identity_decomposerENS1_16block_id_wrapperIjLb0EEEEE10hipError_tT1_PNSt15iterator_traitsISK_E10value_typeET2_T3_PNSL_ISQ_E10value_typeET4_T5_PSV_SW_PNS1_23onesweep_lookback_stateEbbT6_jjT7_P12ihipStream_tbENKUlT_T0_SK_SP_E_clIPxSE_SF_SF_EEDaS13_S14_SK_SP_EUlS13_E_NS1_11comp_targetILNS1_3genE4ELNS1_11target_archE910ELNS1_3gpuE8ELNS1_3repE0EEENS1_47radix_sort_onesweep_sort_config_static_selectorELNS0_4arch9wavefront6targetE1EEEvSK_ ; -- Begin function _ZN7rocprim17ROCPRIM_400000_NS6detail17trampoline_kernelINS0_14default_configENS1_35radix_sort_onesweep_config_selectorIxNS0_10empty_typeEEEZZNS1_29radix_sort_onesweep_iterationIS3_Lb0EN6thrust23THRUST_200600_302600_NS6detail15normal_iteratorINS9_10device_ptrIxEEEESE_PS5_SF_jNS0_19identity_decomposerENS1_16block_id_wrapperIjLb0EEEEE10hipError_tT1_PNSt15iterator_traitsISK_E10value_typeET2_T3_PNSL_ISQ_E10value_typeET4_T5_PSV_SW_PNS1_23onesweep_lookback_stateEbbT6_jjT7_P12ihipStream_tbENKUlT_T0_SK_SP_E_clIPxSE_SF_SF_EEDaS13_S14_SK_SP_EUlS13_E_NS1_11comp_targetILNS1_3genE4ELNS1_11target_archE910ELNS1_3gpuE8ELNS1_3repE0EEENS1_47radix_sort_onesweep_sort_config_static_selectorELNS0_4arch9wavefront6targetE1EEEvSK_
	.globl	_ZN7rocprim17ROCPRIM_400000_NS6detail17trampoline_kernelINS0_14default_configENS1_35radix_sort_onesweep_config_selectorIxNS0_10empty_typeEEEZZNS1_29radix_sort_onesweep_iterationIS3_Lb0EN6thrust23THRUST_200600_302600_NS6detail15normal_iteratorINS9_10device_ptrIxEEEESE_PS5_SF_jNS0_19identity_decomposerENS1_16block_id_wrapperIjLb0EEEEE10hipError_tT1_PNSt15iterator_traitsISK_E10value_typeET2_T3_PNSL_ISQ_E10value_typeET4_T5_PSV_SW_PNS1_23onesweep_lookback_stateEbbT6_jjT7_P12ihipStream_tbENKUlT_T0_SK_SP_E_clIPxSE_SF_SF_EEDaS13_S14_SK_SP_EUlS13_E_NS1_11comp_targetILNS1_3genE4ELNS1_11target_archE910ELNS1_3gpuE8ELNS1_3repE0EEENS1_47radix_sort_onesweep_sort_config_static_selectorELNS0_4arch9wavefront6targetE1EEEvSK_
	.p2align	8
	.type	_ZN7rocprim17ROCPRIM_400000_NS6detail17trampoline_kernelINS0_14default_configENS1_35radix_sort_onesweep_config_selectorIxNS0_10empty_typeEEEZZNS1_29radix_sort_onesweep_iterationIS3_Lb0EN6thrust23THRUST_200600_302600_NS6detail15normal_iteratorINS9_10device_ptrIxEEEESE_PS5_SF_jNS0_19identity_decomposerENS1_16block_id_wrapperIjLb0EEEEE10hipError_tT1_PNSt15iterator_traitsISK_E10value_typeET2_T3_PNSL_ISQ_E10value_typeET4_T5_PSV_SW_PNS1_23onesweep_lookback_stateEbbT6_jjT7_P12ihipStream_tbENKUlT_T0_SK_SP_E_clIPxSE_SF_SF_EEDaS13_S14_SK_SP_EUlS13_E_NS1_11comp_targetILNS1_3genE4ELNS1_11target_archE910ELNS1_3gpuE8ELNS1_3repE0EEENS1_47radix_sort_onesweep_sort_config_static_selectorELNS0_4arch9wavefront6targetE1EEEvSK_,@function
_ZN7rocprim17ROCPRIM_400000_NS6detail17trampoline_kernelINS0_14default_configENS1_35radix_sort_onesweep_config_selectorIxNS0_10empty_typeEEEZZNS1_29radix_sort_onesweep_iterationIS3_Lb0EN6thrust23THRUST_200600_302600_NS6detail15normal_iteratorINS9_10device_ptrIxEEEESE_PS5_SF_jNS0_19identity_decomposerENS1_16block_id_wrapperIjLb0EEEEE10hipError_tT1_PNSt15iterator_traitsISK_E10value_typeET2_T3_PNSL_ISQ_E10value_typeET4_T5_PSV_SW_PNS1_23onesweep_lookback_stateEbbT6_jjT7_P12ihipStream_tbENKUlT_T0_SK_SP_E_clIPxSE_SF_SF_EEDaS13_S14_SK_SP_EUlS13_E_NS1_11comp_targetILNS1_3genE4ELNS1_11target_archE910ELNS1_3gpuE8ELNS1_3repE0EEENS1_47radix_sort_onesweep_sort_config_static_selectorELNS0_4arch9wavefront6targetE1EEEvSK_: ; @_ZN7rocprim17ROCPRIM_400000_NS6detail17trampoline_kernelINS0_14default_configENS1_35radix_sort_onesweep_config_selectorIxNS0_10empty_typeEEEZZNS1_29radix_sort_onesweep_iterationIS3_Lb0EN6thrust23THRUST_200600_302600_NS6detail15normal_iteratorINS9_10device_ptrIxEEEESE_PS5_SF_jNS0_19identity_decomposerENS1_16block_id_wrapperIjLb0EEEEE10hipError_tT1_PNSt15iterator_traitsISK_E10value_typeET2_T3_PNSL_ISQ_E10value_typeET4_T5_PSV_SW_PNS1_23onesweep_lookback_stateEbbT6_jjT7_P12ihipStream_tbENKUlT_T0_SK_SP_E_clIPxSE_SF_SF_EEDaS13_S14_SK_SP_EUlS13_E_NS1_11comp_targetILNS1_3genE4ELNS1_11target_archE910ELNS1_3gpuE8ELNS1_3repE0EEENS1_47radix_sort_onesweep_sort_config_static_selectorELNS0_4arch9wavefront6targetE1EEEvSK_
; %bb.0:
	s_load_dwordx2 s[24:25], s[4:5], 0x38
	s_load_dwordx4 s[16:19], s[4:5], 0x44
	s_load_dwordx4 s[20:23], s[4:5], 0x0
	;; [unrolled: 1-line block ×3, first 2 shown]
	v_mbcnt_lo_u32_b32 v1, -1, 0
	s_waitcnt lgkmcnt(0)
	s_cmp_ge_u32 s6, s18
	s_cbranch_scc0 .LBB1591_59
; %bb.1:
	s_load_dword s2, s[4:5], 0x20
	s_lshl_b32 s3, s18, 13
	s_lshl_b32 s0, s6, 13
	s_mov_b32 s1, 0
	s_lshl_b64 s[0:1], s[0:1], 3
	s_waitcnt lgkmcnt(0)
	s_sub_i32 s7, s2, s3
	v_mbcnt_hi_u32_b32 v24, -1, v1
	v_and_b32_e32 v2, 0x3ff, v0
	s_add_u32 s2, s20, s0
	v_and_b32_e32 v4, 63, v24
	s_addc_u32 s3, s21, s1
	v_lshlrev_b32_e32 v3, 3, v2
	v_lshlrev_b32_e32 v6, 3, v4
	v_and_b32_e32 v5, 0x1e00, v3
	v_mov_b32_e32 v7, s3
	v_add_co_u32_e32 v6, vcc, s2, v6
	v_addc_co_u32_e32 v7, vcc, 0, v7, vcc
	v_lshlrev_b32_e32 v8, 3, v5
	s_mov_b32 s0, -1
	v_add_co_u32_e32 v20, vcc, v6, v8
	s_brev_b32 s1, -2
	v_addc_co_u32_e32 v21, vcc, 0, v7, vcc
	v_or_b32_e32 v18, v4, v5
	v_cmp_gt_u32_e32 vcc, s7, v18
	v_pk_mov_b32 v[4:5], s[0:1], s[0:1] op_sel:[0,1]
	s_and_saveexec_b64 s[2:3], vcc
	s_cbranch_execz .LBB1591_3
; %bb.2:
	global_load_dwordx2 v[4:5], v[20:21], off
.LBB1591_3:
	s_or_b64 exec, exec, s[2:3]
	v_or_b32_e32 v6, 64, v18
	v_cmp_gt_u32_e32 vcc, s7, v6
	v_pk_mov_b32 v[6:7], s[0:1], s[0:1] op_sel:[0,1]
	s_and_saveexec_b64 s[0:1], vcc
	s_cbranch_execz .LBB1591_5
; %bb.4:
	global_load_dwordx2 v[6:7], v[20:21], off offset:512
.LBB1591_5:
	s_or_b64 exec, exec, s[0:1]
	s_mov_b32 s0, -1
	v_or_b32_e32 v8, 0x80, v18
	s_brev_b32 s1, -2
	v_cmp_gt_u32_e32 vcc, s7, v8
	v_pk_mov_b32 v[8:9], s[0:1], s[0:1] op_sel:[0,1]
	s_and_saveexec_b64 s[2:3], vcc
	s_cbranch_execz .LBB1591_7
; %bb.6:
	global_load_dwordx2 v[8:9], v[20:21], off offset:1024
.LBB1591_7:
	s_or_b64 exec, exec, s[2:3]
	v_or_b32_e32 v10, 0xc0, v18
	v_cmp_gt_u32_e32 vcc, s7, v10
	v_pk_mov_b32 v[10:11], s[0:1], s[0:1] op_sel:[0,1]
	s_and_saveexec_b64 s[0:1], vcc
	s_cbranch_execz .LBB1591_9
; %bb.8:
	global_load_dwordx2 v[10:11], v[20:21], off offset:1536
.LBB1591_9:
	s_or_b64 exec, exec, s[0:1]
	s_mov_b32 s0, -1
	v_or_b32_e32 v12, 0x100, v18
	s_brev_b32 s1, -2
	v_cmp_gt_u32_e32 vcc, s7, v12
	v_pk_mov_b32 v[12:13], s[0:1], s[0:1] op_sel:[0,1]
	s_and_saveexec_b64 s[2:3], vcc
	s_cbranch_execz .LBB1591_11
; %bb.10:
	global_load_dwordx2 v[12:13], v[20:21], off offset:2048
.LBB1591_11:
	;; [unrolled: 20-line block ×3, first 2 shown]
	s_or_b64 exec, exec, s[2:3]
	v_or_b32_e32 v18, 0x1c0, v18
	v_cmp_gt_u32_e32 vcc, s7, v18
	v_pk_mov_b32 v[18:19], s[0:1], s[0:1] op_sel:[0,1]
	s_and_saveexec_b64 s[0:1], vcc
	s_cbranch_execz .LBB1591_17
; %bb.16:
	global_load_dwordx2 v[18:19], v[20:21], off offset:3584
.LBB1591_17:
	s_or_b64 exec, exec, s[0:1]
	s_load_dword s0, s[4:5], 0x64
	s_load_dword s26, s[4:5], 0x58
	s_add_u32 s1, s4, 0x58
	s_addc_u32 s2, s5, 0
	v_mov_b32_e32 v20, 0
	s_waitcnt lgkmcnt(0)
	s_lshr_b32 s3, s0, 16
	s_cmp_lt_u32 s6, s26
	s_cselect_b32 s0, 12, 18
	s_add_u32 s0, s1, s0
	s_addc_u32 s1, s2, 0
	global_load_ushort v26, v20, s[0:1]
	s_waitcnt vmcnt(1)
	v_xor_b32_e32 v5, 0x80000000, v5
	v_mul_u32_u24_e32 v22, 5, v2
	s_lshl_b32 s0, -1, s17
	v_lshlrev_b32_e32 v25, 2, v22
	v_lshrrev_b64 v[22:23], s16, v[4:5]
	s_not_b32 s27, s0
	v_and_b32_e32 v22, s27, v22
	v_and_b32_e32 v28, 1, v22
	v_bfe_u32 v21, v0, 10, 10
	v_bfe_u32 v27, v0, 20, 10
	v_add_co_u32_e32 v29, vcc, -1, v28
	v_mad_u32_u24 v23, v27, s3, v21
	v_lshlrev_b32_e32 v21, 30, v22
	v_addc_co_u32_e64 v30, s[0:1], 0, -1, vcc
	v_cmp_ne_u32_e32 vcc, 0, v28
	v_cmp_gt_i64_e64 s[0:1], 0, v[20:21]
	v_not_b32_e32 v28, v21
	v_lshlrev_b32_e32 v21, 29, v22
	v_xor_b32_e32 v30, vcc_hi, v30
	v_xor_b32_e32 v29, vcc_lo, v29
	v_ashrrev_i32_e32 v28, 31, v28
	v_cmp_gt_i64_e32 vcc, 0, v[20:21]
	v_not_b32_e32 v31, v21
	v_lshlrev_b32_e32 v21, 28, v22
	v_and_b32_e32 v30, exec_hi, v30
	v_and_b32_e32 v29, exec_lo, v29
	v_xor_b32_e32 v32, s1, v28
	v_xor_b32_e32 v28, s0, v28
	v_ashrrev_i32_e32 v31, 31, v31
	v_cmp_gt_i64_e64 s[0:1], 0, v[20:21]
	v_not_b32_e32 v33, v21
	v_lshlrev_b32_e32 v21, 27, v22
	v_and_b32_e32 v30, v30, v32
	v_and_b32_e32 v28, v29, v28
	v_xor_b32_e32 v29, vcc_hi, v31
	v_xor_b32_e32 v31, vcc_lo, v31
	v_ashrrev_i32_e32 v32, 31, v33
	v_cmp_gt_i64_e32 vcc, 0, v[20:21]
	v_not_b32_e32 v33, v21
	v_lshlrev_b32_e32 v21, 26, v22
	v_and_b32_e32 v29, v30, v29
	v_and_b32_e32 v28, v28, v31
	v_xor_b32_e32 v30, s1, v32
	v_xor_b32_e32 v31, s0, v32
	v_ashrrev_i32_e32 v32, 31, v33
	v_cmp_gt_i64_e64 s[0:1], 0, v[20:21]
	v_not_b32_e32 v33, v21
	v_lshlrev_b32_e32 v21, 25, v22
	v_and_b32_e32 v29, v29, v30
	v_and_b32_e32 v28, v28, v31
	v_xor_b32_e32 v30, vcc_hi, v32
	v_xor_b32_e32 v31, vcc_lo, v32
	v_ashrrev_i32_e32 v32, 31, v33
	v_not_b32_e32 v33, v21
	v_lshl_add_u32 v27, v22, 4, v22
	v_cmp_gt_i64_e32 vcc, 0, v[20:21]
	v_lshlrev_b32_e32 v21, 24, v22
	v_and_b32_e32 v22, v29, v30
	v_and_b32_e32 v28, v28, v31
	v_xor_b32_e32 v29, s1, v32
	v_ashrrev_i32_e32 v31, 31, v33
	v_xor_b32_e32 v30, s0, v32
	v_cmp_gt_i64_e64 s[0:1], 0, v[20:21]
	v_not_b32_e32 v21, v21
	v_and_b32_e32 v22, v22, v29
	v_xor_b32_e32 v29, vcc_hi, v31
	v_and_b32_e32 v28, v28, v30
	v_xor_b32_e32 v30, vcc_lo, v31
	v_and_b32_e32 v29, v22, v29
	v_ashrrev_i32_e32 v21, 31, v21
	v_and_b32_e32 v28, v28, v30
	ds_write2_b32 v25, v20, v20 offset0:16 offset1:17
	ds_write2_b32 v25, v20, v20 offset0:18 offset1:19
	ds_write_b32 v25, v20 offset:80
	s_waitcnt lgkmcnt(0)
	s_barrier
	s_waitcnt lgkmcnt(0)
	; wave barrier
	s_waitcnt vmcnt(0)
	v_mad_u64_u32 v[22:23], s[2:3], v23, v26, v[2:3]
	v_lshrrev_b32_e32 v37, 6, v22
	v_xor_b32_e32 v22, s1, v21
	v_xor_b32_e32 v21, s0, v21
	v_and_b32_e32 v23, v29, v22
	v_and_b32_e32 v22, v28, v21
	v_mbcnt_lo_u32_b32 v21, v22, 0
	v_mbcnt_hi_u32_b32 v26, v23, v21
	v_cmp_eq_u32_e32 vcc, 0, v26
	v_cmp_ne_u64_e64 s[0:1], 0, v[22:23]
	v_add_lshl_u32 v30, v37, v27, 2
	s_and_b64 s[2:3], s[0:1], vcc
	s_and_saveexec_b64 s[0:1], s[2:3]
	s_cbranch_execz .LBB1591_19
; %bb.18:
	v_bcnt_u32_b32 v21, v22, 0
	v_bcnt_u32_b32 v21, v23, v21
	ds_write_b32 v30, v21 offset:64
.LBB1591_19:
	s_or_b64 exec, exec, s[0:1]
	v_xor_b32_e32 v7, 0x80000000, v7
	v_lshrrev_b64 v[22:23], s16, v[6:7]
	v_and_b32_e32 v22, s27, v22
	v_lshl_add_u32 v21, v22, 4, v22
	v_add_lshl_u32 v31, v37, v21, 2
	v_and_b32_e32 v21, 1, v22
	v_add_co_u32_e32 v23, vcc, -1, v21
	v_addc_co_u32_e64 v28, s[0:1], 0, -1, vcc
	v_cmp_ne_u32_e32 vcc, 0, v21
	v_xor_b32_e32 v21, vcc_hi, v28
	v_and_b32_e32 v28, exec_hi, v21
	v_lshlrev_b32_e32 v21, 30, v22
	v_xor_b32_e32 v23, vcc_lo, v23
	v_cmp_gt_i64_e32 vcc, 0, v[20:21]
	v_not_b32_e32 v21, v21
	v_ashrrev_i32_e32 v21, 31, v21
	v_and_b32_e32 v23, exec_lo, v23
	v_xor_b32_e32 v29, vcc_hi, v21
	v_xor_b32_e32 v21, vcc_lo, v21
	v_and_b32_e32 v23, v23, v21
	v_lshlrev_b32_e32 v21, 29, v22
	v_cmp_gt_i64_e32 vcc, 0, v[20:21]
	v_not_b32_e32 v21, v21
	v_ashrrev_i32_e32 v21, 31, v21
	v_and_b32_e32 v28, v28, v29
	v_xor_b32_e32 v29, vcc_hi, v21
	v_xor_b32_e32 v21, vcc_lo, v21
	v_and_b32_e32 v23, v23, v21
	v_lshlrev_b32_e32 v21, 28, v22
	v_cmp_gt_i64_e32 vcc, 0, v[20:21]
	v_not_b32_e32 v21, v21
	v_ashrrev_i32_e32 v21, 31, v21
	v_and_b32_e32 v28, v28, v29
	;; [unrolled: 8-line block ×5, first 2 shown]
	v_xor_b32_e32 v29, vcc_hi, v21
	v_xor_b32_e32 v21, vcc_lo, v21
	v_and_b32_e32 v23, v23, v21
	v_lshlrev_b32_e32 v21, 24, v22
	v_cmp_gt_i64_e32 vcc, 0, v[20:21]
	v_not_b32_e32 v20, v21
	v_ashrrev_i32_e32 v20, 31, v20
	v_xor_b32_e32 v21, vcc_hi, v20
	v_xor_b32_e32 v20, vcc_lo, v20
	; wave barrier
	ds_read_b32 v27, v31 offset:64
	v_and_b32_e32 v28, v28, v29
	v_and_b32_e32 v20, v23, v20
	v_and_b32_e32 v21, v28, v21
	v_mbcnt_lo_u32_b32 v22, v20, 0
	v_mbcnt_hi_u32_b32 v28, v21, v22
	v_cmp_eq_u32_e32 vcc, 0, v28
	v_cmp_ne_u64_e64 s[0:1], 0, v[20:21]
	s_and_b64 s[2:3], s[0:1], vcc
	; wave barrier
	s_and_saveexec_b64 s[0:1], s[2:3]
	s_cbranch_execz .LBB1591_21
; %bb.20:
	v_bcnt_u32_b32 v20, v20, 0
	v_bcnt_u32_b32 v20, v21, v20
	s_waitcnt lgkmcnt(0)
	v_add_u32_e32 v20, v27, v20
	ds_write_b32 v31, v20 offset:64
.LBB1591_21:
	s_or_b64 exec, exec, s[0:1]
	v_xor_b32_e32 v9, 0x80000000, v9
	v_lshrrev_b64 v[20:21], s16, v[8:9]
	v_and_b32_e32 v22, s27, v20
	v_and_b32_e32 v21, 1, v22
	v_add_co_u32_e32 v23, vcc, -1, v21
	v_addc_co_u32_e64 v32, s[0:1], 0, -1, vcc
	v_cmp_ne_u32_e32 vcc, 0, v21
	v_lshl_add_u32 v20, v22, 4, v22
	v_xor_b32_e32 v21, vcc_hi, v32
	v_add_lshl_u32 v34, v37, v20, 2
	v_mov_b32_e32 v20, 0
	v_and_b32_e32 v32, exec_hi, v21
	v_lshlrev_b32_e32 v21, 30, v22
	v_xor_b32_e32 v23, vcc_lo, v23
	v_cmp_gt_i64_e32 vcc, 0, v[20:21]
	v_not_b32_e32 v21, v21
	v_ashrrev_i32_e32 v21, 31, v21
	v_and_b32_e32 v23, exec_lo, v23
	v_xor_b32_e32 v33, vcc_hi, v21
	v_xor_b32_e32 v21, vcc_lo, v21
	v_and_b32_e32 v23, v23, v21
	v_lshlrev_b32_e32 v21, 29, v22
	v_cmp_gt_i64_e32 vcc, 0, v[20:21]
	v_not_b32_e32 v21, v21
	v_ashrrev_i32_e32 v21, 31, v21
	v_and_b32_e32 v32, v32, v33
	v_xor_b32_e32 v33, vcc_hi, v21
	v_xor_b32_e32 v21, vcc_lo, v21
	v_and_b32_e32 v23, v23, v21
	v_lshlrev_b32_e32 v21, 28, v22
	v_cmp_gt_i64_e32 vcc, 0, v[20:21]
	v_not_b32_e32 v21, v21
	v_ashrrev_i32_e32 v21, 31, v21
	v_and_b32_e32 v32, v32, v33
	;; [unrolled: 8-line block ×5, first 2 shown]
	v_xor_b32_e32 v33, vcc_hi, v21
	v_xor_b32_e32 v21, vcc_lo, v21
	v_and_b32_e32 v32, v32, v33
	v_and_b32_e32 v33, v23, v21
	v_lshlrev_b32_e32 v21, 24, v22
	v_cmp_gt_i64_e32 vcc, 0, v[20:21]
	v_not_b32_e32 v21, v21
	v_ashrrev_i32_e32 v21, 31, v21
	v_xor_b32_e32 v22, vcc_hi, v21
	v_xor_b32_e32 v21, vcc_lo, v21
	; wave barrier
	ds_read_b32 v29, v34 offset:64
	v_and_b32_e32 v23, v32, v22
	v_and_b32_e32 v22, v33, v21
	v_mbcnt_lo_u32_b32 v21, v22, 0
	v_mbcnt_hi_u32_b32 v32, v23, v21
	v_cmp_eq_u32_e32 vcc, 0, v32
	v_cmp_ne_u64_e64 s[0:1], 0, v[22:23]
	s_and_b64 s[2:3], s[0:1], vcc
	; wave barrier
	s_and_saveexec_b64 s[0:1], s[2:3]
	s_cbranch_execz .LBB1591_23
; %bb.22:
	v_bcnt_u32_b32 v21, v22, 0
	v_bcnt_u32_b32 v21, v23, v21
	s_waitcnt lgkmcnt(0)
	v_add_u32_e32 v21, v29, v21
	ds_write_b32 v34, v21 offset:64
.LBB1591_23:
	s_or_b64 exec, exec, s[0:1]
	v_xor_b32_e32 v11, 0x80000000, v11
	v_lshrrev_b64 v[22:23], s16, v[10:11]
	v_and_b32_e32 v22, s27, v22
	v_lshl_add_u32 v21, v22, 4, v22
	v_add_lshl_u32 v38, v37, v21, 2
	v_and_b32_e32 v21, 1, v22
	v_add_co_u32_e32 v23, vcc, -1, v21
	v_addc_co_u32_e64 v35, s[0:1], 0, -1, vcc
	v_cmp_ne_u32_e32 vcc, 0, v21
	v_xor_b32_e32 v21, vcc_hi, v35
	v_and_b32_e32 v35, exec_hi, v21
	v_lshlrev_b32_e32 v21, 30, v22
	v_xor_b32_e32 v23, vcc_lo, v23
	v_cmp_gt_i64_e32 vcc, 0, v[20:21]
	v_not_b32_e32 v21, v21
	v_ashrrev_i32_e32 v21, 31, v21
	v_and_b32_e32 v23, exec_lo, v23
	v_xor_b32_e32 v36, vcc_hi, v21
	v_xor_b32_e32 v21, vcc_lo, v21
	v_and_b32_e32 v23, v23, v21
	v_lshlrev_b32_e32 v21, 29, v22
	v_cmp_gt_i64_e32 vcc, 0, v[20:21]
	v_not_b32_e32 v21, v21
	v_ashrrev_i32_e32 v21, 31, v21
	v_and_b32_e32 v35, v35, v36
	v_xor_b32_e32 v36, vcc_hi, v21
	v_xor_b32_e32 v21, vcc_lo, v21
	v_and_b32_e32 v23, v23, v21
	v_lshlrev_b32_e32 v21, 28, v22
	v_cmp_gt_i64_e32 vcc, 0, v[20:21]
	v_not_b32_e32 v21, v21
	v_ashrrev_i32_e32 v21, 31, v21
	v_and_b32_e32 v35, v35, v36
	;; [unrolled: 8-line block ×5, first 2 shown]
	v_xor_b32_e32 v36, vcc_hi, v21
	v_xor_b32_e32 v21, vcc_lo, v21
	v_and_b32_e32 v23, v23, v21
	v_lshlrev_b32_e32 v21, 24, v22
	v_cmp_gt_i64_e32 vcc, 0, v[20:21]
	v_not_b32_e32 v20, v21
	v_ashrrev_i32_e32 v20, 31, v20
	v_xor_b32_e32 v21, vcc_hi, v20
	v_xor_b32_e32 v20, vcc_lo, v20
	; wave barrier
	ds_read_b32 v33, v38 offset:64
	v_and_b32_e32 v35, v35, v36
	v_and_b32_e32 v20, v23, v20
	;; [unrolled: 1-line block ×3, first 2 shown]
	v_mbcnt_lo_u32_b32 v22, v20, 0
	v_mbcnt_hi_u32_b32 v35, v21, v22
	v_cmp_eq_u32_e32 vcc, 0, v35
	v_cmp_ne_u64_e64 s[0:1], 0, v[20:21]
	s_and_b64 s[2:3], s[0:1], vcc
	; wave barrier
	s_and_saveexec_b64 s[0:1], s[2:3]
	s_cbranch_execz .LBB1591_25
; %bb.24:
	v_bcnt_u32_b32 v20, v20, 0
	v_bcnt_u32_b32 v20, v21, v20
	s_waitcnt lgkmcnt(0)
	v_add_u32_e32 v20, v33, v20
	ds_write_b32 v38, v20 offset:64
.LBB1591_25:
	s_or_b64 exec, exec, s[0:1]
	v_xor_b32_e32 v13, 0x80000000, v13
	v_lshrrev_b64 v[20:21], s16, v[12:13]
	v_and_b32_e32 v22, s27, v20
	v_and_b32_e32 v21, 1, v22
	v_add_co_u32_e32 v23, vcc, -1, v21
	v_addc_co_u32_e64 v39, s[0:1], 0, -1, vcc
	v_cmp_ne_u32_e32 vcc, 0, v21
	v_lshl_add_u32 v20, v22, 4, v22
	v_xor_b32_e32 v21, vcc_hi, v39
	v_add_lshl_u32 v41, v37, v20, 2
	v_mov_b32_e32 v20, 0
	v_and_b32_e32 v39, exec_hi, v21
	v_lshlrev_b32_e32 v21, 30, v22
	v_xor_b32_e32 v23, vcc_lo, v23
	v_cmp_gt_i64_e32 vcc, 0, v[20:21]
	v_not_b32_e32 v21, v21
	v_ashrrev_i32_e32 v21, 31, v21
	v_and_b32_e32 v23, exec_lo, v23
	v_xor_b32_e32 v40, vcc_hi, v21
	v_xor_b32_e32 v21, vcc_lo, v21
	v_and_b32_e32 v23, v23, v21
	v_lshlrev_b32_e32 v21, 29, v22
	v_cmp_gt_i64_e32 vcc, 0, v[20:21]
	v_not_b32_e32 v21, v21
	v_ashrrev_i32_e32 v21, 31, v21
	v_and_b32_e32 v39, v39, v40
	v_xor_b32_e32 v40, vcc_hi, v21
	v_xor_b32_e32 v21, vcc_lo, v21
	v_and_b32_e32 v23, v23, v21
	v_lshlrev_b32_e32 v21, 28, v22
	v_cmp_gt_i64_e32 vcc, 0, v[20:21]
	v_not_b32_e32 v21, v21
	v_ashrrev_i32_e32 v21, 31, v21
	v_and_b32_e32 v39, v39, v40
	;; [unrolled: 8-line block ×5, first 2 shown]
	v_xor_b32_e32 v40, vcc_hi, v21
	v_xor_b32_e32 v21, vcc_lo, v21
	v_and_b32_e32 v39, v39, v40
	v_and_b32_e32 v40, v23, v21
	v_lshlrev_b32_e32 v21, 24, v22
	v_cmp_gt_i64_e32 vcc, 0, v[20:21]
	v_not_b32_e32 v21, v21
	v_ashrrev_i32_e32 v21, 31, v21
	v_xor_b32_e32 v22, vcc_hi, v21
	v_xor_b32_e32 v21, vcc_lo, v21
	; wave barrier
	ds_read_b32 v36, v41 offset:64
	v_and_b32_e32 v23, v39, v22
	v_and_b32_e32 v22, v40, v21
	v_mbcnt_lo_u32_b32 v21, v22, 0
	v_mbcnt_hi_u32_b32 v39, v23, v21
	v_cmp_eq_u32_e32 vcc, 0, v39
	v_cmp_ne_u64_e64 s[0:1], 0, v[22:23]
	s_and_b64 s[2:3], s[0:1], vcc
	; wave barrier
	s_and_saveexec_b64 s[0:1], s[2:3]
	s_cbranch_execz .LBB1591_27
; %bb.26:
	v_bcnt_u32_b32 v21, v22, 0
	v_bcnt_u32_b32 v21, v23, v21
	s_waitcnt lgkmcnt(0)
	v_add_u32_e32 v21, v36, v21
	ds_write_b32 v41, v21 offset:64
.LBB1591_27:
	s_or_b64 exec, exec, s[0:1]
	v_xor_b32_e32 v15, 0x80000000, v15
	v_lshrrev_b64 v[22:23], s16, v[14:15]
	v_and_b32_e32 v22, s27, v22
	v_lshl_add_u32 v21, v22, 4, v22
	v_add_lshl_u32 v44, v37, v21, 2
	v_and_b32_e32 v21, 1, v22
	v_add_co_u32_e32 v23, vcc, -1, v21
	v_addc_co_u32_e64 v42, s[0:1], 0, -1, vcc
	v_cmp_ne_u32_e32 vcc, 0, v21
	v_xor_b32_e32 v21, vcc_hi, v42
	v_and_b32_e32 v42, exec_hi, v21
	v_lshlrev_b32_e32 v21, 30, v22
	v_xor_b32_e32 v23, vcc_lo, v23
	v_cmp_gt_i64_e32 vcc, 0, v[20:21]
	v_not_b32_e32 v21, v21
	v_ashrrev_i32_e32 v21, 31, v21
	v_and_b32_e32 v23, exec_lo, v23
	v_xor_b32_e32 v43, vcc_hi, v21
	v_xor_b32_e32 v21, vcc_lo, v21
	v_and_b32_e32 v23, v23, v21
	v_lshlrev_b32_e32 v21, 29, v22
	v_cmp_gt_i64_e32 vcc, 0, v[20:21]
	v_not_b32_e32 v21, v21
	v_ashrrev_i32_e32 v21, 31, v21
	v_and_b32_e32 v42, v42, v43
	v_xor_b32_e32 v43, vcc_hi, v21
	v_xor_b32_e32 v21, vcc_lo, v21
	v_and_b32_e32 v23, v23, v21
	v_lshlrev_b32_e32 v21, 28, v22
	v_cmp_gt_i64_e32 vcc, 0, v[20:21]
	v_not_b32_e32 v21, v21
	v_ashrrev_i32_e32 v21, 31, v21
	v_and_b32_e32 v42, v42, v43
	;; [unrolled: 8-line block ×5, first 2 shown]
	v_xor_b32_e32 v43, vcc_hi, v21
	v_xor_b32_e32 v21, vcc_lo, v21
	v_and_b32_e32 v23, v23, v21
	v_lshlrev_b32_e32 v21, 24, v22
	v_cmp_gt_i64_e32 vcc, 0, v[20:21]
	v_not_b32_e32 v20, v21
	v_ashrrev_i32_e32 v20, 31, v20
	v_xor_b32_e32 v21, vcc_hi, v20
	v_xor_b32_e32 v20, vcc_lo, v20
	; wave barrier
	ds_read_b32 v40, v44 offset:64
	v_and_b32_e32 v42, v42, v43
	v_and_b32_e32 v20, v23, v20
	;; [unrolled: 1-line block ×3, first 2 shown]
	v_mbcnt_lo_u32_b32 v22, v20, 0
	v_mbcnt_hi_u32_b32 v42, v21, v22
	v_cmp_eq_u32_e32 vcc, 0, v42
	v_cmp_ne_u64_e64 s[0:1], 0, v[20:21]
	s_and_b64 s[2:3], s[0:1], vcc
	; wave barrier
	s_and_saveexec_b64 s[0:1], s[2:3]
	s_cbranch_execz .LBB1591_29
; %bb.28:
	v_bcnt_u32_b32 v20, v20, 0
	v_bcnt_u32_b32 v20, v21, v20
	s_waitcnt lgkmcnt(0)
	v_add_u32_e32 v20, v40, v20
	ds_write_b32 v44, v20 offset:64
.LBB1591_29:
	s_or_b64 exec, exec, s[0:1]
	v_xor_b32_e32 v17, 0x80000000, v17
	v_lshrrev_b64 v[20:21], s16, v[16:17]
	v_and_b32_e32 v22, s27, v20
	v_and_b32_e32 v21, 1, v22
	v_add_co_u32_e32 v23, vcc, -1, v21
	v_addc_co_u32_e64 v45, s[0:1], 0, -1, vcc
	v_cmp_ne_u32_e32 vcc, 0, v21
	v_lshl_add_u32 v20, v22, 4, v22
	v_xor_b32_e32 v21, vcc_hi, v45
	v_add_lshl_u32 v46, v37, v20, 2
	v_mov_b32_e32 v20, 0
	v_and_b32_e32 v45, exec_hi, v21
	v_lshlrev_b32_e32 v21, 30, v22
	v_xor_b32_e32 v23, vcc_lo, v23
	v_cmp_gt_i64_e32 vcc, 0, v[20:21]
	v_not_b32_e32 v21, v21
	v_ashrrev_i32_e32 v21, 31, v21
	v_and_b32_e32 v23, exec_lo, v23
	v_xor_b32_e32 v47, vcc_hi, v21
	v_xor_b32_e32 v21, vcc_lo, v21
	v_and_b32_e32 v23, v23, v21
	v_lshlrev_b32_e32 v21, 29, v22
	v_cmp_gt_i64_e32 vcc, 0, v[20:21]
	v_not_b32_e32 v21, v21
	v_ashrrev_i32_e32 v21, 31, v21
	v_and_b32_e32 v45, v45, v47
	v_xor_b32_e32 v47, vcc_hi, v21
	v_xor_b32_e32 v21, vcc_lo, v21
	v_and_b32_e32 v23, v23, v21
	v_lshlrev_b32_e32 v21, 28, v22
	v_cmp_gt_i64_e32 vcc, 0, v[20:21]
	v_not_b32_e32 v21, v21
	v_ashrrev_i32_e32 v21, 31, v21
	v_and_b32_e32 v45, v45, v47
	;; [unrolled: 8-line block ×5, first 2 shown]
	v_xor_b32_e32 v47, vcc_hi, v21
	v_xor_b32_e32 v21, vcc_lo, v21
	v_and_b32_e32 v45, v45, v47
	v_and_b32_e32 v47, v23, v21
	v_lshlrev_b32_e32 v21, 24, v22
	v_cmp_gt_i64_e32 vcc, 0, v[20:21]
	v_not_b32_e32 v21, v21
	v_ashrrev_i32_e32 v21, 31, v21
	v_xor_b32_e32 v22, vcc_hi, v21
	v_xor_b32_e32 v21, vcc_lo, v21
	; wave barrier
	ds_read_b32 v43, v46 offset:64
	v_and_b32_e32 v23, v45, v22
	v_and_b32_e32 v22, v47, v21
	v_mbcnt_lo_u32_b32 v21, v22, 0
	v_mbcnt_hi_u32_b32 v45, v23, v21
	v_cmp_eq_u32_e32 vcc, 0, v45
	v_cmp_ne_u64_e64 s[0:1], 0, v[22:23]
	s_and_b64 s[2:3], s[0:1], vcc
	; wave barrier
	s_and_saveexec_b64 s[0:1], s[2:3]
	s_cbranch_execz .LBB1591_31
; %bb.30:
	v_bcnt_u32_b32 v21, v22, 0
	v_bcnt_u32_b32 v21, v23, v21
	s_waitcnt lgkmcnt(0)
	v_add_u32_e32 v21, v43, v21
	ds_write_b32 v46, v21 offset:64
.LBB1591_31:
	s_or_b64 exec, exec, s[0:1]
	v_xor_b32_e32 v19, 0x80000000, v19
	v_lshrrev_b64 v[22:23], s16, v[18:19]
	v_and_b32_e32 v22, s27, v22
	v_lshl_add_u32 v21, v22, 4, v22
	v_add_lshl_u32 v49, v37, v21, 2
	v_and_b32_e32 v21, 1, v22
	v_add_co_u32_e32 v23, vcc, -1, v21
	v_addc_co_u32_e64 v47, s[0:1], 0, -1, vcc
	v_cmp_ne_u32_e32 vcc, 0, v21
	v_xor_b32_e32 v21, vcc_hi, v47
	v_and_b32_e32 v47, exec_hi, v21
	v_lshlrev_b32_e32 v21, 30, v22
	v_xor_b32_e32 v23, vcc_lo, v23
	v_cmp_gt_i64_e32 vcc, 0, v[20:21]
	v_not_b32_e32 v21, v21
	v_ashrrev_i32_e32 v21, 31, v21
	v_and_b32_e32 v23, exec_lo, v23
	v_xor_b32_e32 v48, vcc_hi, v21
	v_xor_b32_e32 v21, vcc_lo, v21
	v_and_b32_e32 v23, v23, v21
	v_lshlrev_b32_e32 v21, 29, v22
	v_cmp_gt_i64_e32 vcc, 0, v[20:21]
	v_not_b32_e32 v21, v21
	v_ashrrev_i32_e32 v21, 31, v21
	v_and_b32_e32 v47, v47, v48
	v_xor_b32_e32 v48, vcc_hi, v21
	v_xor_b32_e32 v21, vcc_lo, v21
	v_and_b32_e32 v23, v23, v21
	v_lshlrev_b32_e32 v21, 28, v22
	v_cmp_gt_i64_e32 vcc, 0, v[20:21]
	v_not_b32_e32 v21, v21
	v_ashrrev_i32_e32 v21, 31, v21
	v_and_b32_e32 v47, v47, v48
	;; [unrolled: 8-line block ×5, first 2 shown]
	v_xor_b32_e32 v48, vcc_hi, v21
	v_xor_b32_e32 v21, vcc_lo, v21
	v_and_b32_e32 v23, v23, v21
	v_lshlrev_b32_e32 v21, 24, v22
	v_cmp_gt_i64_e32 vcc, 0, v[20:21]
	v_not_b32_e32 v20, v21
	v_ashrrev_i32_e32 v20, 31, v20
	v_xor_b32_e32 v21, vcc_hi, v20
	v_xor_b32_e32 v20, vcc_lo, v20
	; wave barrier
	ds_read_b32 v37, v49 offset:64
	v_and_b32_e32 v47, v47, v48
	v_and_b32_e32 v20, v23, v20
	;; [unrolled: 1-line block ×3, first 2 shown]
	v_mbcnt_lo_u32_b32 v22, v20, 0
	v_mbcnt_hi_u32_b32 v47, v21, v22
	v_cmp_eq_u32_e32 vcc, 0, v47
	v_cmp_ne_u64_e64 s[0:1], 0, v[20:21]
	v_add_u32_e32 v50, 64, v25
	s_and_b64 s[2:3], s[0:1], vcc
	; wave barrier
	s_and_saveexec_b64 s[0:1], s[2:3]
	s_cbranch_execz .LBB1591_33
; %bb.32:
	v_bcnt_u32_b32 v20, v20, 0
	v_bcnt_u32_b32 v20, v21, v20
	s_waitcnt lgkmcnt(0)
	v_add_u32_e32 v20, v37, v20
	ds_write_b32 v49, v20 offset:64
.LBB1591_33:
	s_or_b64 exec, exec, s[0:1]
	; wave barrier
	s_waitcnt lgkmcnt(0)
	s_barrier
	ds_read2_b32 v[22:23], v25 offset0:16 offset1:17
	ds_read2_b32 v[20:21], v50 offset0:2 offset1:3
	ds_read_b32 v48, v50 offset:16
	v_cmp_lt_u32_e64 s[10:11], 31, v24
	s_waitcnt lgkmcnt(1)
	v_add3_u32 v51, v23, v22, v20
	s_waitcnt lgkmcnt(0)
	v_add3_u32 v48, v51, v21, v48
	v_and_b32_e32 v51, 15, v24
	v_cmp_eq_u32_e32 vcc, 0, v51
	v_mov_b32_dpp v52, v48 row_shr:1 row_mask:0xf bank_mask:0xf
	v_cndmask_b32_e64 v52, v52, 0, vcc
	v_add_u32_e32 v48, v52, v48
	v_cmp_lt_u32_e64 s[0:1], 1, v51
	v_cmp_lt_u32_e64 s[2:3], 3, v51
	v_mov_b32_dpp v52, v48 row_shr:2 row_mask:0xf bank_mask:0xf
	v_cndmask_b32_e64 v52, 0, v52, s[0:1]
	v_add_u32_e32 v48, v48, v52
	v_cmp_lt_u32_e64 s[8:9], 7, v51
	s_nop 0
	v_mov_b32_dpp v52, v48 row_shr:4 row_mask:0xf bank_mask:0xf
	v_cndmask_b32_e64 v52, 0, v52, s[2:3]
	v_add_u32_e32 v48, v48, v52
	s_nop 1
	v_mov_b32_dpp v52, v48 row_shr:8 row_mask:0xf bank_mask:0xf
	v_cndmask_b32_e64 v51, 0, v52, s[8:9]
	v_add_u32_e32 v48, v48, v51
	v_bfe_i32 v52, v24, 4, 1
	s_nop 0
	v_mov_b32_dpp v51, v48 row_bcast:15 row_mask:0xf bank_mask:0xf
	v_and_b32_e32 v51, v52, v51
	v_add_u32_e32 v48, v48, v51
	v_lshrrev_b32_e32 v52, 6, v2
	s_nop 0
	v_mov_b32_dpp v51, v48 row_bcast:31 row_mask:0xf bank_mask:0xf
	v_cndmask_b32_e64 v51, 0, v51, s[10:11]
	v_add_u32_e32 v51, v48, v51
	v_and_b32_e32 v48, 63, v2
	v_cmp_eq_u32_e64 s[10:11], 63, v48
	s_and_saveexec_b64 s[18:19], s[10:11]
	s_cbranch_execz .LBB1591_35
; %bb.34:
	v_lshlrev_b32_e32 v48, 2, v52
	ds_write_b32 v48, v51
.LBB1591_35:
	s_or_b64 exec, exec, s[18:19]
	v_cmp_gt_u32_e64 s[10:11], 16, v2
	v_lshlrev_b32_e32 v48, 2, v2
	s_waitcnt lgkmcnt(0)
	s_barrier
	s_and_saveexec_b64 s[18:19], s[10:11]
	s_cbranch_execz .LBB1591_37
; %bb.36:
	ds_read_b32 v53, v48
	s_waitcnt lgkmcnt(0)
	s_nop 0
	v_mov_b32_dpp v54, v53 row_shr:1 row_mask:0xf bank_mask:0xf
	v_cndmask_b32_e64 v54, v54, 0, vcc
	v_add_u32_e32 v53, v54, v53
	s_nop 1
	v_mov_b32_dpp v54, v53 row_shr:2 row_mask:0xf bank_mask:0xf
	v_cndmask_b32_e64 v54, 0, v54, s[0:1]
	v_add_u32_e32 v53, v53, v54
	s_nop 1
	v_mov_b32_dpp v54, v53 row_shr:4 row_mask:0xf bank_mask:0xf
	v_cndmask_b32_e64 v54, 0, v54, s[2:3]
	;; [unrolled: 4-line block ×3, first 2 shown]
	v_add_u32_e32 v53, v53, v54
	ds_write_b32 v48, v53
.LBB1591_37:
	s_or_b64 exec, exec, s[18:19]
	v_cmp_lt_u32_e32 vcc, 63, v2
	v_mov_b32_e32 v53, 0
	s_waitcnt lgkmcnt(0)
	s_barrier
	s_and_saveexec_b64 s[0:1], vcc
	s_cbranch_execz .LBB1591_39
; %bb.38:
	v_lshl_add_u32 v52, v52, 2, -4
	ds_read_b32 v53, v52
.LBB1591_39:
	s_or_b64 exec, exec, s[0:1]
	v_add_u32_e32 v52, -1, v24
	v_and_b32_e32 v54, 64, v24
	v_cmp_lt_i32_e32 vcc, v52, v54
	v_cndmask_b32_e32 v52, v52, v24, vcc
	s_waitcnt lgkmcnt(0)
	v_add_u32_e32 v51, v53, v51
	v_lshlrev_b32_e32 v52, 2, v52
	ds_bpermute_b32 v51, v52, v51
	v_cmp_eq_u32_e32 vcc, 0, v24
	s_movk_i32 s0, 0x100
	s_waitcnt lgkmcnt(0)
	v_cndmask_b32_e32 v24, v51, v53, vcc
	v_cmp_ne_u32_e32 vcc, 0, v2
	v_cndmask_b32_e32 v24, 0, v24, vcc
	v_add_u32_e32 v22, v24, v22
	v_add_u32_e32 v23, v22, v23
	;; [unrolled: 1-line block ×4, first 2 shown]
	ds_write2_b32 v25, v24, v22 offset0:16 offset1:17
	ds_write2_b32 v50, v23, v20 offset0:2 offset1:3
	ds_write_b32 v50, v21 offset:16
	s_waitcnt lgkmcnt(0)
	s_barrier
	ds_read_b32 v51, v30 offset:64
	ds_read_b32 v50, v31 offset:64
	ds_read_b32 v34, v34 offset:64
	ds_read_b32 v38, v38 offset:64
	ds_read_b32 v41, v41 offset:64
	ds_read_b32 v44, v44 offset:64
	ds_read_b32 v46, v46 offset:64
	ds_read_b32 v49, v49 offset:64
	v_cmp_gt_u32_e32 vcc, s0, v2
                                        ; implicit-def: $vgpr30
                                        ; implicit-def: $vgpr31
	s_and_saveexec_b64 s[2:3], vcc
	s_cbranch_execz .LBB1591_43
; %bb.40:
	v_mul_u32_u24_e32 v20, 17, v2
	v_lshlrev_b32_e32 v21, 2, v20
	ds_read_b32 v30, v21 offset:64
	s_movk_i32 s0, 0xff
	v_cmp_ne_u32_e64 s[0:1], s0, v2
	v_mov_b32_e32 v20, 0x2000
	s_and_saveexec_b64 s[8:9], s[0:1]
	s_cbranch_execz .LBB1591_42
; %bb.41:
	ds_read_b32 v20, v21 offset:132
.LBB1591_42:
	s_or_b64 exec, exec, s[8:9]
	s_waitcnt lgkmcnt(0)
	v_sub_u32_e32 v31, v20, v30
.LBB1591_43:
	s_or_b64 exec, exec, s[2:3]
	s_waitcnt lgkmcnt(0)
	s_barrier
	s_and_saveexec_b64 s[2:3], vcc
	s_cbranch_execz .LBB1591_53
; %bb.44:
	v_lshl_or_b32 v20, s6, 8, v2
	v_mov_b32_e32 v21, 0
	v_lshlrev_b64 v[22:23], 2, v[20:21]
	v_mov_b32_e32 v52, s25
	v_add_co_u32_e64 v22, s[0:1], s24, v22
	v_addc_co_u32_e64 v23, s[0:1], v52, v23, s[0:1]
	v_or_b32_e32 v20, 2.0, v31
	s_mov_b64 s[8:9], 0
	s_brev_b32 s28, 1
	s_mov_b32 s29, s6
	v_mov_b32_e32 v53, 0
	global_store_dword v[22:23], v20, off
                                        ; implicit-def: $sgpr0_sgpr1
	s_branch .LBB1591_46
.LBB1591_45:                            ;   in Loop: Header=BB1591_46 Depth=1
	s_or_b64 exec, exec, s[10:11]
	v_and_b32_e32 v24, 0x3fffffff, v54
	v_add_u32_e32 v53, v24, v53
	v_cmp_eq_u32_e64 s[0:1], s28, v20
	s_and_b64 s[10:11], exec, s[0:1]
	s_or_b64 s[8:9], s[10:11], s[8:9]
	s_andn2_b64 exec, exec, s[8:9]
	s_cbranch_execz .LBB1591_52
.LBB1591_46:                            ; =>This Loop Header: Depth=1
                                        ;     Child Loop BB1591_49 Depth 2
	s_or_b64 s[0:1], s[0:1], exec
	s_cmp_eq_u32 s29, 0
	s_cbranch_scc1 .LBB1591_51
; %bb.47:                               ;   in Loop: Header=BB1591_46 Depth=1
	s_add_i32 s29, s29, -1
	v_lshl_or_b32 v20, s29, 8, v2
	v_lshlrev_b64 v[24:25], 2, v[20:21]
	v_add_co_u32_e64 v24, s[0:1], s24, v24
	v_addc_co_u32_e64 v25, s[0:1], v52, v25, s[0:1]
	global_load_dword v54, v[24:25], off glc
	s_waitcnt vmcnt(0)
	v_and_b32_e32 v20, -2.0, v54
	v_cmp_eq_u32_e64 s[0:1], 0, v20
	s_and_saveexec_b64 s[10:11], s[0:1]
	s_cbranch_execz .LBB1591_45
; %bb.48:                               ;   in Loop: Header=BB1591_46 Depth=1
	s_mov_b64 s[18:19], 0
.LBB1591_49:                            ;   Parent Loop BB1591_46 Depth=1
                                        ; =>  This Inner Loop Header: Depth=2
	global_load_dword v54, v[24:25], off glc
	s_waitcnt vmcnt(0)
	v_and_b32_e32 v20, -2.0, v54
	v_cmp_ne_u32_e64 s[0:1], 0, v20
	s_or_b64 s[18:19], s[0:1], s[18:19]
	s_andn2_b64 exec, exec, s[18:19]
	s_cbranch_execnz .LBB1591_49
; %bb.50:                               ;   in Loop: Header=BB1591_46 Depth=1
	s_or_b64 exec, exec, s[18:19]
	s_branch .LBB1591_45
.LBB1591_51:                            ;   in Loop: Header=BB1591_46 Depth=1
                                        ; implicit-def: $sgpr29
	s_and_b64 s[10:11], exec, s[0:1]
	s_or_b64 s[8:9], s[10:11], s[8:9]
	s_andn2_b64 exec, exec, s[8:9]
	s_cbranch_execnz .LBB1591_46
.LBB1591_52:
	s_or_b64 exec, exec, s[8:9]
	v_add_u32_e32 v20, v53, v31
	v_or_b32_e32 v20, 0x80000000, v20
	global_store_dword v[22:23], v20, off
	global_load_dword v20, v48, s[12:13]
	v_sub_u32_e32 v21, v53, v30
	s_waitcnt vmcnt(0)
	v_add_u32_e32 v20, v21, v20
	ds_write_b32 v48, v20
.LBB1591_53:
	s_or_b64 exec, exec, s[2:3]
	v_add_u32_e32 v22, v51, v26
	s_movk_i32 s8, 0x400
	v_add_u32_e32 v23, 0x400, v3
	v_add3_u32 v24, v47, v49, v37
	v_add3_u32 v25, v45, v46, v43
	;; [unrolled: 1-line block ×7, first 2 shown]
	s_mov_b32 s9, 0
	v_mov_b32_e32 v21, 0
	v_mov_b32_e32 v28, v2
	s_branch .LBB1591_55
.LBB1591_54:                            ;   in Loop: Header=BB1591_55 Depth=1
	s_or_b64 exec, exec, s[2:3]
	s_addk_i32 s9, 0xf800
	s_cmpk_eq_i32 s9, 0xe000
	v_add_u32_e32 v28, 0x800, v28
	s_barrier
	s_cbranch_scc1 .LBB1591_60
.LBB1591_55:                            ; =>This Inner Loop Header: Depth=1
	v_add_u32_e32 v20, s9, v22
	v_min_u32_e32 v20, 0x800, v20
	v_lshlrev_b32_e32 v20, 3, v20
	ds_write_b64 v20, v[4:5] offset:1024
	v_add_u32_e32 v20, s9, v27
	v_min_u32_e32 v20, 0x800, v20
	v_lshlrev_b32_e32 v20, 3, v20
	ds_write_b64 v20, v[6:7] offset:1024
	;; [unrolled: 4-line block ×7, first 2 shown]
	v_add_u32_e32 v20, s9, v24
	v_min_u32_e32 v20, 0x800, v20
	v_lshlrev_b32_e32 v20, 3, v20
	v_cmp_gt_u32_e64 s[0:1], s7, v28
	ds_write_b64 v20, v[18:19] offset:1024
	s_waitcnt lgkmcnt(0)
	s_barrier
	s_and_saveexec_b64 s[2:3], s[0:1]
	s_cbranch_execz .LBB1591_57
; %bb.56:                               ;   in Loop: Header=BB1591_55 Depth=1
	ds_read_b64 v[34:35], v3 offset:1024
	v_mov_b32_e32 v32, s23
	s_waitcnt lgkmcnt(0)
	v_lshrrev_b64 v[38:39], s16, v[34:35]
	v_and_b32_e32 v20, s27, v38
	v_lshlrev_b32_e32 v20, 2, v20
	ds_read_b32 v20, v20
	v_xor_b32_e32 v35, 0x80000000, v35
	s_waitcnt lgkmcnt(0)
	v_add_u32_e32 v20, v28, v20
	v_lshlrev_b64 v[38:39], 3, v[20:21]
	v_add_co_u32_e64 v38, s[0:1], s22, v38
	v_addc_co_u32_e64 v39, s[0:1], v32, v39, s[0:1]
	global_store_dwordx2 v[38:39], v[34:35], off
.LBB1591_57:                            ;   in Loop: Header=BB1591_55 Depth=1
	s_or_b64 exec, exec, s[2:3]
	v_add_u32_e32 v20, 0x400, v28
	v_cmp_gt_u32_e64 s[0:1], s7, v20
	s_and_saveexec_b64 s[2:3], s[0:1]
	s_cbranch_execz .LBB1591_54
; %bb.58:                               ;   in Loop: Header=BB1591_55 Depth=1
	ds_read_b64 v[34:35], v23 offset:8192
	v_mov_b32_e32 v32, s23
	s_waitcnt lgkmcnt(0)
	v_lshrrev_b64 v[38:39], s16, v[34:35]
	v_and_b32_e32 v20, s27, v38
	v_lshlrev_b32_e32 v20, 2, v20
	ds_read_b32 v20, v20
	v_xor_b32_e32 v35, 0x80000000, v35
	s_waitcnt lgkmcnt(0)
	v_add3_u32 v20, v28, v20, s8
	v_lshlrev_b64 v[38:39], 3, v[20:21]
	v_add_co_u32_e64 v38, s[0:1], s22, v38
	v_addc_co_u32_e64 v39, s[0:1], v32, v39, s[0:1]
	global_store_dwordx2 v[38:39], v[34:35], off
	s_branch .LBB1591_54
.LBB1591_59:
	s_mov_b64 s[10:11], 0
                                        ; implicit-def: $vgpr4
                                        ; implicit-def: $vgpr2
	s_cbranch_execnz .LBB1591_63
	s_branch .LBB1591_104
.LBB1591_60:
	s_add_i32 s26, s26, -1
	s_cmp_eq_u32 s26, s6
	s_cselect_b64 s[0:1], -1, 0
	s_and_b64 s[2:3], vcc, s[0:1]
	s_mov_b64 s[0:1], 0
	s_mov_b64 s[10:11], 0
                                        ; implicit-def: $vgpr4
	s_and_saveexec_b64 s[8:9], s[2:3]
	s_xor_b64 s[2:3], exec, s[8:9]
; %bb.61:
	s_mov_b64 s[10:11], exec
	v_add_u32_e32 v4, v30, v31
; %bb.62:
	s_or_b64 exec, exec, s[2:3]
	s_and_b64 vcc, exec, s[0:1]
	s_cbranch_vccz .LBB1591_104
.LBB1591_63:
	s_lshl_b32 s0, s6, 13
	s_mov_b32 s1, 0
	v_mbcnt_hi_u32_b32 v22, -1, v1
	s_lshl_b64 s[0:1], s[0:1], 3
	v_and_b32_e32 v1, 63, v22
	s_add_u32 s0, s20, s0
	v_lshlrev_b32_e32 v1, 3, v1
	v_add_co_u32_e32 v1, vcc, s0, v1
	s_load_dword s7, s[4:5], 0x58
	s_load_dword s0, s[4:5], 0x64
	v_and_b32_e32 v2, 0x3ff, v0
	s_addc_u32 s1, s21, s1
	v_mov_b32_e32 v3, s1
	v_lshlrev_b32_e32 v4, 6, v2
	s_add_u32 s1, s4, 0x58
	v_addc_co_u32_e32 v3, vcc, 0, v3, vcc
	v_and_b32_e32 v4, 0xf000, v4
	s_addc_u32 s2, s5, 0
	s_waitcnt lgkmcnt(0)
	s_lshr_b32 s3, s0, 16
	v_add_co_u32_e32 v20, vcc, v1, v4
	s_cmp_lt_u32 s6, s7
	v_addc_co_u32_e32 v21, vcc, 0, v3, vcc
	s_cselect_b32 s0, 12, 18
	global_load_dwordx2 v[4:5], v[20:21], off
	s_add_u32 s0, s1, s0
	v_mov_b32_e32 v18, 0
	s_addc_u32 s1, s2, 0
	global_load_ushort v3, v18, s[0:1]
	v_mul_u32_u24_e32 v6, 5, v2
	v_lshlrev_b32_e32 v23, 2, v6
	v_bfe_u32 v1, v0, 10, 10
	v_bfe_u32 v0, v0, 20, 10
	ds_write2_b32 v23, v18, v18 offset0:16 offset1:17
	ds_write2_b32 v23, v18, v18 offset0:18 offset1:19
	ds_write_b32 v23, v18 offset:80
	v_mad_u32_u24 v19, v0, s3, v1
	global_load_dwordx2 v[0:1], v[20:21], off offset:512
	global_load_dwordx2 v[6:7], v[20:21], off offset:1024
	global_load_dwordx2 v[8:9], v[20:21], off offset:1536
	global_load_dwordx2 v[10:11], v[20:21], off offset:2048
	global_load_dwordx2 v[12:13], v[20:21], off offset:2560
	global_load_dwordx2 v[14:15], v[20:21], off offset:3072
	global_load_dwordx2 v[16:17], v[20:21], off offset:3584
	s_lshl_b32 s0, -1, s17
	s_not_b32 s17, s0
	s_waitcnt lgkmcnt(0)
	s_barrier
	s_waitcnt lgkmcnt(0)
	; wave barrier
	s_waitcnt vmcnt(8)
	v_xor_b32_e32 v5, 0x80000000, v5
	v_lshrrev_b64 v[20:21], s16, v[4:5]
	v_and_b32_e32 v24, s17, v20
	s_waitcnt vmcnt(7)
	v_mad_u64_u32 v[20:21], s[0:1], v19, v3, v[2:3]
	v_and_b32_e32 v21, 1, v24
	v_lshrrev_b32_e32 v31, 6, v20
	v_add_co_u32_e32 v20, vcc, -1, v21
	v_lshlrev_b32_e32 v19, 30, v24
	v_addc_co_u32_e64 v26, s[0:1], 0, -1, vcc
	v_lshl_add_u32 v3, v24, 4, v24
	v_cmp_ne_u32_e32 vcc, 0, v21
	v_cmp_gt_i64_e64 s[0:1], 0, v[18:19]
	v_not_b32_e32 v21, v19
	v_lshlrev_b32_e32 v19, 29, v24
	v_add_lshl_u32 v25, v31, v3, 2
	v_xor_b32_e32 v3, vcc_hi, v26
	v_xor_b32_e32 v20, vcc_lo, v20
	v_ashrrev_i32_e32 v21, 31, v21
	v_cmp_gt_i64_e32 vcc, 0, v[18:19]
	v_not_b32_e32 v26, v19
	v_lshlrev_b32_e32 v19, 28, v24
	v_and_b32_e32 v3, exec_hi, v3
	v_and_b32_e32 v20, exec_lo, v20
	v_xor_b32_e32 v27, s1, v21
	v_xor_b32_e32 v21, s0, v21
	v_ashrrev_i32_e32 v26, 31, v26
	v_cmp_gt_i64_e64 s[0:1], 0, v[18:19]
	v_not_b32_e32 v28, v19
	v_lshlrev_b32_e32 v19, 27, v24
	v_and_b32_e32 v3, v3, v27
	v_and_b32_e32 v20, v20, v21
	v_xor_b32_e32 v21, vcc_hi, v26
	v_xor_b32_e32 v26, vcc_lo, v26
	v_ashrrev_i32_e32 v27, 31, v28
	v_cmp_gt_i64_e32 vcc, 0, v[18:19]
	v_not_b32_e32 v19, v19
	v_and_b32_e32 v3, v3, v21
	v_and_b32_e32 v20, v20, v26
	v_xor_b32_e32 v21, s1, v27
	v_xor_b32_e32 v26, s0, v27
	v_ashrrev_i32_e32 v19, 31, v19
	v_and_b32_e32 v3, v3, v21
	v_and_b32_e32 v20, v20, v26
	v_xor_b32_e32 v21, vcc_hi, v19
	v_xor_b32_e32 v19, vcc_lo, v19
	v_and_b32_e32 v20, v20, v19
	v_lshlrev_b32_e32 v19, 26, v24
	v_cmp_gt_i64_e32 vcc, 0, v[18:19]
	v_not_b32_e32 v19, v19
	v_ashrrev_i32_e32 v19, 31, v19
	v_and_b32_e32 v3, v3, v21
	v_xor_b32_e32 v21, vcc_hi, v19
	v_xor_b32_e32 v19, vcc_lo, v19
	v_and_b32_e32 v20, v20, v19
	v_lshlrev_b32_e32 v19, 25, v24
	v_cmp_gt_i64_e32 vcc, 0, v[18:19]
	v_not_b32_e32 v19, v19
	v_ashrrev_i32_e32 v19, 31, v19
	;; [unrolled: 8-line block ×3, first 2 shown]
	v_and_b32_e32 v3, v3, v21
	v_xor_b32_e32 v21, vcc_hi, v19
	v_xor_b32_e32 v19, vcc_lo, v19
	v_and_b32_e32 v20, v20, v19
	v_and_b32_e32 v21, v3, v21
	v_mbcnt_lo_u32_b32 v3, v20, 0
	v_mbcnt_hi_u32_b32 v3, v21, v3
	v_cmp_eq_u32_e32 vcc, 0, v3
	v_cmp_ne_u64_e64 s[0:1], 0, v[20:21]
	s_and_b64 s[2:3], s[0:1], vcc
	s_and_saveexec_b64 s[0:1], s[2:3]
	s_cbranch_execz .LBB1591_65
; %bb.64:
	v_bcnt_u32_b32 v19, v20, 0
	v_bcnt_u32_b32 v19, v21, v19
	ds_write_b32 v25, v19 offset:64
.LBB1591_65:
	s_or_b64 exec, exec, s[0:1]
	s_waitcnt vmcnt(6)
	v_xor_b32_e32 v1, 0x80000000, v1
	v_lshrrev_b64 v[20:21], s16, v[0:1]
	v_and_b32_e32 v20, s17, v20
	v_lshl_add_u32 v19, v20, 4, v20
	v_add_lshl_u32 v28, v31, v19, 2
	v_and_b32_e32 v19, 1, v20
	v_add_co_u32_e32 v21, vcc, -1, v19
	v_addc_co_u32_e64 v26, s[0:1], 0, -1, vcc
	v_cmp_ne_u32_e32 vcc, 0, v19
	v_xor_b32_e32 v19, vcc_hi, v26
	v_and_b32_e32 v26, exec_hi, v19
	v_lshlrev_b32_e32 v19, 30, v20
	v_xor_b32_e32 v21, vcc_lo, v21
	v_cmp_gt_i64_e32 vcc, 0, v[18:19]
	v_not_b32_e32 v19, v19
	v_ashrrev_i32_e32 v19, 31, v19
	v_and_b32_e32 v21, exec_lo, v21
	v_xor_b32_e32 v27, vcc_hi, v19
	v_xor_b32_e32 v19, vcc_lo, v19
	v_and_b32_e32 v21, v21, v19
	v_lshlrev_b32_e32 v19, 29, v20
	v_cmp_gt_i64_e32 vcc, 0, v[18:19]
	v_not_b32_e32 v19, v19
	v_ashrrev_i32_e32 v19, 31, v19
	v_and_b32_e32 v26, v26, v27
	v_xor_b32_e32 v27, vcc_hi, v19
	v_xor_b32_e32 v19, vcc_lo, v19
	v_and_b32_e32 v21, v21, v19
	v_lshlrev_b32_e32 v19, 28, v20
	v_cmp_gt_i64_e32 vcc, 0, v[18:19]
	v_not_b32_e32 v19, v19
	v_ashrrev_i32_e32 v19, 31, v19
	v_and_b32_e32 v26, v26, v27
	;; [unrolled: 8-line block ×5, first 2 shown]
	v_xor_b32_e32 v27, vcc_hi, v19
	v_xor_b32_e32 v19, vcc_lo, v19
	v_and_b32_e32 v21, v21, v19
	v_lshlrev_b32_e32 v19, 24, v20
	v_cmp_gt_i64_e32 vcc, 0, v[18:19]
	v_not_b32_e32 v18, v19
	v_ashrrev_i32_e32 v18, 31, v18
	v_xor_b32_e32 v19, vcc_hi, v18
	v_xor_b32_e32 v18, vcc_lo, v18
	; wave barrier
	ds_read_b32 v24, v28 offset:64
	v_and_b32_e32 v26, v26, v27
	v_and_b32_e32 v18, v21, v18
	;; [unrolled: 1-line block ×3, first 2 shown]
	v_mbcnt_lo_u32_b32 v20, v18, 0
	v_mbcnt_hi_u32_b32 v26, v19, v20
	v_cmp_eq_u32_e32 vcc, 0, v26
	v_cmp_ne_u64_e64 s[0:1], 0, v[18:19]
	s_and_b64 s[2:3], s[0:1], vcc
	; wave barrier
	s_and_saveexec_b64 s[0:1], s[2:3]
	s_cbranch_execz .LBB1591_67
; %bb.66:
	v_bcnt_u32_b32 v18, v18, 0
	v_bcnt_u32_b32 v18, v19, v18
	s_waitcnt lgkmcnt(0)
	v_add_u32_e32 v18, v24, v18
	ds_write_b32 v28, v18 offset:64
.LBB1591_67:
	s_or_b64 exec, exec, s[0:1]
	s_waitcnt vmcnt(5)
	v_xor_b32_e32 v7, 0x80000000, v7
	v_lshrrev_b64 v[18:19], s16, v[6:7]
	v_and_b32_e32 v20, s17, v18
	v_and_b32_e32 v19, 1, v20
	v_add_co_u32_e32 v21, vcc, -1, v19
	v_addc_co_u32_e64 v29, s[0:1], 0, -1, vcc
	v_cmp_ne_u32_e32 vcc, 0, v19
	v_lshl_add_u32 v18, v20, 4, v20
	v_xor_b32_e32 v19, vcc_hi, v29
	v_add_lshl_u32 v32, v31, v18, 2
	v_mov_b32_e32 v18, 0
	v_and_b32_e32 v29, exec_hi, v19
	v_lshlrev_b32_e32 v19, 30, v20
	v_xor_b32_e32 v21, vcc_lo, v21
	v_cmp_gt_i64_e32 vcc, 0, v[18:19]
	v_not_b32_e32 v19, v19
	v_ashrrev_i32_e32 v19, 31, v19
	v_and_b32_e32 v21, exec_lo, v21
	v_xor_b32_e32 v30, vcc_hi, v19
	v_xor_b32_e32 v19, vcc_lo, v19
	v_and_b32_e32 v21, v21, v19
	v_lshlrev_b32_e32 v19, 29, v20
	v_cmp_gt_i64_e32 vcc, 0, v[18:19]
	v_not_b32_e32 v19, v19
	v_ashrrev_i32_e32 v19, 31, v19
	v_and_b32_e32 v29, v29, v30
	v_xor_b32_e32 v30, vcc_hi, v19
	v_xor_b32_e32 v19, vcc_lo, v19
	v_and_b32_e32 v21, v21, v19
	v_lshlrev_b32_e32 v19, 28, v20
	v_cmp_gt_i64_e32 vcc, 0, v[18:19]
	v_not_b32_e32 v19, v19
	v_ashrrev_i32_e32 v19, 31, v19
	v_and_b32_e32 v29, v29, v30
	;; [unrolled: 8-line block ×5, first 2 shown]
	v_xor_b32_e32 v30, vcc_hi, v19
	v_xor_b32_e32 v19, vcc_lo, v19
	v_and_b32_e32 v29, v29, v30
	v_and_b32_e32 v30, v21, v19
	v_lshlrev_b32_e32 v19, 24, v20
	v_cmp_gt_i64_e32 vcc, 0, v[18:19]
	v_not_b32_e32 v19, v19
	v_ashrrev_i32_e32 v19, 31, v19
	v_xor_b32_e32 v20, vcc_hi, v19
	v_xor_b32_e32 v19, vcc_lo, v19
	; wave barrier
	ds_read_b32 v27, v32 offset:64
	v_and_b32_e32 v21, v29, v20
	v_and_b32_e32 v20, v30, v19
	v_mbcnt_lo_u32_b32 v19, v20, 0
	v_mbcnt_hi_u32_b32 v29, v21, v19
	v_cmp_eq_u32_e32 vcc, 0, v29
	v_cmp_ne_u64_e64 s[0:1], 0, v[20:21]
	s_and_b64 s[2:3], s[0:1], vcc
	; wave barrier
	s_and_saveexec_b64 s[0:1], s[2:3]
	s_cbranch_execz .LBB1591_69
; %bb.68:
	v_bcnt_u32_b32 v19, v20, 0
	v_bcnt_u32_b32 v19, v21, v19
	s_waitcnt lgkmcnt(0)
	v_add_u32_e32 v19, v27, v19
	ds_write_b32 v32, v19 offset:64
.LBB1591_69:
	s_or_b64 exec, exec, s[0:1]
	s_waitcnt vmcnt(4)
	v_xor_b32_e32 v9, 0x80000000, v9
	v_lshrrev_b64 v[20:21], s16, v[8:9]
	v_and_b32_e32 v20, s17, v20
	v_lshl_add_u32 v19, v20, 4, v20
	v_add_lshl_u32 v35, v31, v19, 2
	v_and_b32_e32 v19, 1, v20
	v_add_co_u32_e32 v21, vcc, -1, v19
	v_addc_co_u32_e64 v33, s[0:1], 0, -1, vcc
	v_cmp_ne_u32_e32 vcc, 0, v19
	v_xor_b32_e32 v19, vcc_hi, v33
	v_and_b32_e32 v33, exec_hi, v19
	v_lshlrev_b32_e32 v19, 30, v20
	v_xor_b32_e32 v21, vcc_lo, v21
	v_cmp_gt_i64_e32 vcc, 0, v[18:19]
	v_not_b32_e32 v19, v19
	v_ashrrev_i32_e32 v19, 31, v19
	v_and_b32_e32 v21, exec_lo, v21
	v_xor_b32_e32 v34, vcc_hi, v19
	v_xor_b32_e32 v19, vcc_lo, v19
	v_and_b32_e32 v21, v21, v19
	v_lshlrev_b32_e32 v19, 29, v20
	v_cmp_gt_i64_e32 vcc, 0, v[18:19]
	v_not_b32_e32 v19, v19
	v_ashrrev_i32_e32 v19, 31, v19
	v_and_b32_e32 v33, v33, v34
	v_xor_b32_e32 v34, vcc_hi, v19
	v_xor_b32_e32 v19, vcc_lo, v19
	v_and_b32_e32 v21, v21, v19
	v_lshlrev_b32_e32 v19, 28, v20
	v_cmp_gt_i64_e32 vcc, 0, v[18:19]
	v_not_b32_e32 v19, v19
	v_ashrrev_i32_e32 v19, 31, v19
	v_and_b32_e32 v33, v33, v34
	;; [unrolled: 8-line block ×5, first 2 shown]
	v_xor_b32_e32 v34, vcc_hi, v19
	v_xor_b32_e32 v19, vcc_lo, v19
	v_and_b32_e32 v21, v21, v19
	v_lshlrev_b32_e32 v19, 24, v20
	v_cmp_gt_i64_e32 vcc, 0, v[18:19]
	v_not_b32_e32 v18, v19
	v_ashrrev_i32_e32 v18, 31, v18
	v_xor_b32_e32 v19, vcc_hi, v18
	v_xor_b32_e32 v18, vcc_lo, v18
	; wave barrier
	ds_read_b32 v30, v35 offset:64
	v_and_b32_e32 v33, v33, v34
	v_and_b32_e32 v18, v21, v18
	;; [unrolled: 1-line block ×3, first 2 shown]
	v_mbcnt_lo_u32_b32 v20, v18, 0
	v_mbcnt_hi_u32_b32 v33, v19, v20
	v_cmp_eq_u32_e32 vcc, 0, v33
	v_cmp_ne_u64_e64 s[0:1], 0, v[18:19]
	s_and_b64 s[2:3], s[0:1], vcc
	; wave barrier
	s_and_saveexec_b64 s[0:1], s[2:3]
	s_cbranch_execz .LBB1591_71
; %bb.70:
	v_bcnt_u32_b32 v18, v18, 0
	v_bcnt_u32_b32 v18, v19, v18
	s_waitcnt lgkmcnt(0)
	v_add_u32_e32 v18, v30, v18
	ds_write_b32 v35, v18 offset:64
.LBB1591_71:
	s_or_b64 exec, exec, s[0:1]
	s_waitcnt vmcnt(3)
	v_xor_b32_e32 v11, 0x80000000, v11
	v_lshrrev_b64 v[18:19], s16, v[10:11]
	v_and_b32_e32 v20, s17, v18
	v_and_b32_e32 v19, 1, v20
	v_add_co_u32_e32 v21, vcc, -1, v19
	v_addc_co_u32_e64 v36, s[0:1], 0, -1, vcc
	v_cmp_ne_u32_e32 vcc, 0, v19
	v_lshl_add_u32 v18, v20, 4, v20
	v_xor_b32_e32 v19, vcc_hi, v36
	v_add_lshl_u32 v38, v31, v18, 2
	v_mov_b32_e32 v18, 0
	v_and_b32_e32 v36, exec_hi, v19
	v_lshlrev_b32_e32 v19, 30, v20
	v_xor_b32_e32 v21, vcc_lo, v21
	v_cmp_gt_i64_e32 vcc, 0, v[18:19]
	v_not_b32_e32 v19, v19
	v_ashrrev_i32_e32 v19, 31, v19
	v_and_b32_e32 v21, exec_lo, v21
	v_xor_b32_e32 v37, vcc_hi, v19
	v_xor_b32_e32 v19, vcc_lo, v19
	v_and_b32_e32 v21, v21, v19
	v_lshlrev_b32_e32 v19, 29, v20
	v_cmp_gt_i64_e32 vcc, 0, v[18:19]
	v_not_b32_e32 v19, v19
	v_ashrrev_i32_e32 v19, 31, v19
	v_and_b32_e32 v36, v36, v37
	v_xor_b32_e32 v37, vcc_hi, v19
	v_xor_b32_e32 v19, vcc_lo, v19
	v_and_b32_e32 v21, v21, v19
	v_lshlrev_b32_e32 v19, 28, v20
	v_cmp_gt_i64_e32 vcc, 0, v[18:19]
	v_not_b32_e32 v19, v19
	v_ashrrev_i32_e32 v19, 31, v19
	v_and_b32_e32 v36, v36, v37
	;; [unrolled: 8-line block ×5, first 2 shown]
	v_xor_b32_e32 v37, vcc_hi, v19
	v_xor_b32_e32 v19, vcc_lo, v19
	v_and_b32_e32 v36, v36, v37
	v_and_b32_e32 v37, v21, v19
	v_lshlrev_b32_e32 v19, 24, v20
	v_cmp_gt_i64_e32 vcc, 0, v[18:19]
	v_not_b32_e32 v19, v19
	v_ashrrev_i32_e32 v19, 31, v19
	v_xor_b32_e32 v20, vcc_hi, v19
	v_xor_b32_e32 v19, vcc_lo, v19
	; wave barrier
	ds_read_b32 v34, v38 offset:64
	v_and_b32_e32 v21, v36, v20
	v_and_b32_e32 v20, v37, v19
	v_mbcnt_lo_u32_b32 v19, v20, 0
	v_mbcnt_hi_u32_b32 v36, v21, v19
	v_cmp_eq_u32_e32 vcc, 0, v36
	v_cmp_ne_u64_e64 s[0:1], 0, v[20:21]
	s_and_b64 s[2:3], s[0:1], vcc
	; wave barrier
	s_and_saveexec_b64 s[0:1], s[2:3]
	s_cbranch_execz .LBB1591_73
; %bb.72:
	v_bcnt_u32_b32 v19, v20, 0
	v_bcnt_u32_b32 v19, v21, v19
	s_waitcnt lgkmcnt(0)
	v_add_u32_e32 v19, v34, v19
	ds_write_b32 v38, v19 offset:64
.LBB1591_73:
	s_or_b64 exec, exec, s[0:1]
	s_waitcnt vmcnt(2)
	v_xor_b32_e32 v13, 0x80000000, v13
	v_lshrrev_b64 v[20:21], s16, v[12:13]
	v_and_b32_e32 v20, s17, v20
	v_lshl_add_u32 v19, v20, 4, v20
	v_add_lshl_u32 v41, v31, v19, 2
	v_and_b32_e32 v19, 1, v20
	v_add_co_u32_e32 v21, vcc, -1, v19
	v_addc_co_u32_e64 v39, s[0:1], 0, -1, vcc
	v_cmp_ne_u32_e32 vcc, 0, v19
	v_xor_b32_e32 v19, vcc_hi, v39
	v_and_b32_e32 v39, exec_hi, v19
	v_lshlrev_b32_e32 v19, 30, v20
	v_xor_b32_e32 v21, vcc_lo, v21
	v_cmp_gt_i64_e32 vcc, 0, v[18:19]
	v_not_b32_e32 v19, v19
	v_ashrrev_i32_e32 v19, 31, v19
	v_and_b32_e32 v21, exec_lo, v21
	v_xor_b32_e32 v40, vcc_hi, v19
	v_xor_b32_e32 v19, vcc_lo, v19
	v_and_b32_e32 v21, v21, v19
	v_lshlrev_b32_e32 v19, 29, v20
	v_cmp_gt_i64_e32 vcc, 0, v[18:19]
	v_not_b32_e32 v19, v19
	v_ashrrev_i32_e32 v19, 31, v19
	v_and_b32_e32 v39, v39, v40
	v_xor_b32_e32 v40, vcc_hi, v19
	v_xor_b32_e32 v19, vcc_lo, v19
	v_and_b32_e32 v21, v21, v19
	v_lshlrev_b32_e32 v19, 28, v20
	v_cmp_gt_i64_e32 vcc, 0, v[18:19]
	v_not_b32_e32 v19, v19
	v_ashrrev_i32_e32 v19, 31, v19
	v_and_b32_e32 v39, v39, v40
	;; [unrolled: 8-line block ×5, first 2 shown]
	v_xor_b32_e32 v40, vcc_hi, v19
	v_xor_b32_e32 v19, vcc_lo, v19
	v_and_b32_e32 v21, v21, v19
	v_lshlrev_b32_e32 v19, 24, v20
	v_cmp_gt_i64_e32 vcc, 0, v[18:19]
	v_not_b32_e32 v18, v19
	v_ashrrev_i32_e32 v18, 31, v18
	v_xor_b32_e32 v19, vcc_hi, v18
	v_xor_b32_e32 v18, vcc_lo, v18
	; wave barrier
	ds_read_b32 v37, v41 offset:64
	v_and_b32_e32 v39, v39, v40
	v_and_b32_e32 v18, v21, v18
	;; [unrolled: 1-line block ×3, first 2 shown]
	v_mbcnt_lo_u32_b32 v20, v18, 0
	v_mbcnt_hi_u32_b32 v39, v19, v20
	v_cmp_eq_u32_e32 vcc, 0, v39
	v_cmp_ne_u64_e64 s[0:1], 0, v[18:19]
	s_and_b64 s[2:3], s[0:1], vcc
	; wave barrier
	s_and_saveexec_b64 s[0:1], s[2:3]
	s_cbranch_execz .LBB1591_75
; %bb.74:
	v_bcnt_u32_b32 v18, v18, 0
	v_bcnt_u32_b32 v18, v19, v18
	s_waitcnt lgkmcnt(0)
	v_add_u32_e32 v18, v37, v18
	ds_write_b32 v41, v18 offset:64
.LBB1591_75:
	s_or_b64 exec, exec, s[0:1]
	s_waitcnt vmcnt(1)
	v_xor_b32_e32 v15, 0x80000000, v15
	v_lshrrev_b64 v[18:19], s16, v[14:15]
	v_and_b32_e32 v20, s17, v18
	v_and_b32_e32 v19, 1, v20
	v_add_co_u32_e32 v21, vcc, -1, v19
	v_addc_co_u32_e64 v42, s[0:1], 0, -1, vcc
	v_cmp_ne_u32_e32 vcc, 0, v19
	v_lshl_add_u32 v18, v20, 4, v20
	v_xor_b32_e32 v19, vcc_hi, v42
	v_add_lshl_u32 v43, v31, v18, 2
	v_mov_b32_e32 v18, 0
	v_and_b32_e32 v42, exec_hi, v19
	v_lshlrev_b32_e32 v19, 30, v20
	v_xor_b32_e32 v21, vcc_lo, v21
	v_cmp_gt_i64_e32 vcc, 0, v[18:19]
	v_not_b32_e32 v19, v19
	v_ashrrev_i32_e32 v19, 31, v19
	v_and_b32_e32 v21, exec_lo, v21
	v_xor_b32_e32 v44, vcc_hi, v19
	v_xor_b32_e32 v19, vcc_lo, v19
	v_and_b32_e32 v21, v21, v19
	v_lshlrev_b32_e32 v19, 29, v20
	v_cmp_gt_i64_e32 vcc, 0, v[18:19]
	v_not_b32_e32 v19, v19
	v_ashrrev_i32_e32 v19, 31, v19
	v_and_b32_e32 v42, v42, v44
	v_xor_b32_e32 v44, vcc_hi, v19
	v_xor_b32_e32 v19, vcc_lo, v19
	v_and_b32_e32 v21, v21, v19
	v_lshlrev_b32_e32 v19, 28, v20
	v_cmp_gt_i64_e32 vcc, 0, v[18:19]
	v_not_b32_e32 v19, v19
	v_ashrrev_i32_e32 v19, 31, v19
	v_and_b32_e32 v42, v42, v44
	;; [unrolled: 8-line block ×5, first 2 shown]
	v_xor_b32_e32 v44, vcc_hi, v19
	v_xor_b32_e32 v19, vcc_lo, v19
	v_and_b32_e32 v42, v42, v44
	v_and_b32_e32 v44, v21, v19
	v_lshlrev_b32_e32 v19, 24, v20
	v_cmp_gt_i64_e32 vcc, 0, v[18:19]
	v_not_b32_e32 v19, v19
	v_ashrrev_i32_e32 v19, 31, v19
	v_xor_b32_e32 v20, vcc_hi, v19
	v_xor_b32_e32 v19, vcc_lo, v19
	; wave barrier
	ds_read_b32 v40, v43 offset:64
	v_and_b32_e32 v21, v42, v20
	v_and_b32_e32 v20, v44, v19
	v_mbcnt_lo_u32_b32 v19, v20, 0
	v_mbcnt_hi_u32_b32 v42, v21, v19
	v_cmp_eq_u32_e32 vcc, 0, v42
	v_cmp_ne_u64_e64 s[0:1], 0, v[20:21]
	s_and_b64 s[2:3], s[0:1], vcc
	; wave barrier
	s_and_saveexec_b64 s[0:1], s[2:3]
	s_cbranch_execz .LBB1591_77
; %bb.76:
	v_bcnt_u32_b32 v19, v20, 0
	v_bcnt_u32_b32 v19, v21, v19
	s_waitcnt lgkmcnt(0)
	v_add_u32_e32 v19, v40, v19
	ds_write_b32 v43, v19 offset:64
.LBB1591_77:
	s_or_b64 exec, exec, s[0:1]
	s_waitcnt vmcnt(0)
	v_xor_b32_e32 v17, 0x80000000, v17
	v_lshrrev_b64 v[20:21], s16, v[16:17]
	v_and_b32_e32 v20, s17, v20
	v_lshl_add_u32 v19, v20, 4, v20
	v_add_lshl_u32 v46, v31, v19, 2
	v_and_b32_e32 v19, 1, v20
	v_add_co_u32_e32 v21, vcc, -1, v19
	v_addc_co_u32_e64 v44, s[0:1], 0, -1, vcc
	v_cmp_ne_u32_e32 vcc, 0, v19
	v_xor_b32_e32 v19, vcc_hi, v44
	v_and_b32_e32 v44, exec_hi, v19
	v_lshlrev_b32_e32 v19, 30, v20
	v_xor_b32_e32 v21, vcc_lo, v21
	v_cmp_gt_i64_e32 vcc, 0, v[18:19]
	v_not_b32_e32 v19, v19
	v_ashrrev_i32_e32 v19, 31, v19
	v_and_b32_e32 v21, exec_lo, v21
	v_xor_b32_e32 v45, vcc_hi, v19
	v_xor_b32_e32 v19, vcc_lo, v19
	v_and_b32_e32 v21, v21, v19
	v_lshlrev_b32_e32 v19, 29, v20
	v_cmp_gt_i64_e32 vcc, 0, v[18:19]
	v_not_b32_e32 v19, v19
	v_ashrrev_i32_e32 v19, 31, v19
	v_and_b32_e32 v44, v44, v45
	v_xor_b32_e32 v45, vcc_hi, v19
	v_xor_b32_e32 v19, vcc_lo, v19
	v_and_b32_e32 v21, v21, v19
	v_lshlrev_b32_e32 v19, 28, v20
	v_cmp_gt_i64_e32 vcc, 0, v[18:19]
	v_not_b32_e32 v19, v19
	v_ashrrev_i32_e32 v19, 31, v19
	v_and_b32_e32 v44, v44, v45
	;; [unrolled: 8-line block ×5, first 2 shown]
	v_xor_b32_e32 v45, vcc_hi, v19
	v_xor_b32_e32 v19, vcc_lo, v19
	v_and_b32_e32 v21, v21, v19
	v_lshlrev_b32_e32 v19, 24, v20
	v_cmp_gt_i64_e32 vcc, 0, v[18:19]
	v_not_b32_e32 v18, v19
	v_ashrrev_i32_e32 v18, 31, v18
	v_xor_b32_e32 v19, vcc_hi, v18
	v_xor_b32_e32 v18, vcc_lo, v18
	; wave barrier
	ds_read_b32 v31, v46 offset:64
	v_and_b32_e32 v44, v44, v45
	v_and_b32_e32 v18, v21, v18
	;; [unrolled: 1-line block ×3, first 2 shown]
	v_mbcnt_lo_u32_b32 v20, v18, 0
	v_mbcnt_hi_u32_b32 v44, v19, v20
	v_cmp_eq_u32_e32 vcc, 0, v44
	v_cmp_ne_u64_e64 s[0:1], 0, v[18:19]
	v_add_u32_e32 v47, 64, v23
	s_and_b64 s[2:3], s[0:1], vcc
	; wave barrier
	s_and_saveexec_b64 s[0:1], s[2:3]
	s_cbranch_execz .LBB1591_79
; %bb.78:
	v_bcnt_u32_b32 v18, v18, 0
	v_bcnt_u32_b32 v18, v19, v18
	s_waitcnt lgkmcnt(0)
	v_add_u32_e32 v18, v31, v18
	ds_write_b32 v46, v18 offset:64
.LBB1591_79:
	s_or_b64 exec, exec, s[0:1]
	; wave barrier
	s_waitcnt lgkmcnt(0)
	s_barrier
	ds_read2_b32 v[20:21], v23 offset0:16 offset1:17
	ds_read2_b32 v[18:19], v47 offset0:2 offset1:3
	ds_read_b32 v45, v47 offset:16
	v_cmp_lt_u32_e64 s[8:9], 31, v22
	s_waitcnt lgkmcnt(1)
	v_add3_u32 v48, v21, v20, v18
	s_waitcnt lgkmcnt(0)
	v_add3_u32 v45, v48, v19, v45
	v_and_b32_e32 v48, 15, v22
	v_cmp_eq_u32_e32 vcc, 0, v48
	v_mov_b32_dpp v49, v45 row_shr:1 row_mask:0xf bank_mask:0xf
	v_cndmask_b32_e64 v49, v49, 0, vcc
	v_add_u32_e32 v45, v49, v45
	v_cmp_lt_u32_e64 s[0:1], 1, v48
	v_cmp_lt_u32_e64 s[2:3], 3, v48
	v_mov_b32_dpp v49, v45 row_shr:2 row_mask:0xf bank_mask:0xf
	v_cndmask_b32_e64 v49, 0, v49, s[0:1]
	v_add_u32_e32 v45, v45, v49
	v_cmp_lt_u32_e64 s[4:5], 7, v48
	s_nop 0
	v_mov_b32_dpp v49, v45 row_shr:4 row_mask:0xf bank_mask:0xf
	v_cndmask_b32_e64 v49, 0, v49, s[2:3]
	v_add_u32_e32 v45, v45, v49
	s_nop 1
	v_mov_b32_dpp v49, v45 row_shr:8 row_mask:0xf bank_mask:0xf
	v_cndmask_b32_e64 v48, 0, v49, s[4:5]
	v_add_u32_e32 v45, v45, v48
	v_bfe_i32 v49, v22, 4, 1
	s_nop 0
	v_mov_b32_dpp v48, v45 row_bcast:15 row_mask:0xf bank_mask:0xf
	v_and_b32_e32 v48, v49, v48
	v_add_u32_e32 v45, v45, v48
	v_lshrrev_b32_e32 v49, 6, v2
	s_nop 0
	v_mov_b32_dpp v48, v45 row_bcast:31 row_mask:0xf bank_mask:0xf
	v_cndmask_b32_e64 v48, 0, v48, s[8:9]
	v_add_u32_e32 v48, v45, v48
	v_and_b32_e32 v45, 63, v2
	v_cmp_eq_u32_e64 s[8:9], 63, v45
	s_and_saveexec_b64 s[18:19], s[8:9]
	s_cbranch_execz .LBB1591_81
; %bb.80:
	v_lshlrev_b32_e32 v45, 2, v49
	ds_write_b32 v45, v48
.LBB1591_81:
	s_or_b64 exec, exec, s[18:19]
	v_cmp_gt_u32_e64 s[8:9], 16, v2
	v_lshlrev_b32_e32 v45, 2, v2
	s_waitcnt lgkmcnt(0)
	s_barrier
	s_and_saveexec_b64 s[18:19], s[8:9]
	s_cbranch_execz .LBB1591_83
; %bb.82:
	ds_read_b32 v50, v45
	s_waitcnt lgkmcnt(0)
	s_nop 0
	v_mov_b32_dpp v51, v50 row_shr:1 row_mask:0xf bank_mask:0xf
	v_cndmask_b32_e64 v51, v51, 0, vcc
	v_add_u32_e32 v50, v51, v50
	s_nop 1
	v_mov_b32_dpp v51, v50 row_shr:2 row_mask:0xf bank_mask:0xf
	v_cndmask_b32_e64 v51, 0, v51, s[0:1]
	v_add_u32_e32 v50, v50, v51
	s_nop 1
	v_mov_b32_dpp v51, v50 row_shr:4 row_mask:0xf bank_mask:0xf
	v_cndmask_b32_e64 v51, 0, v51, s[2:3]
	;; [unrolled: 4-line block ×3, first 2 shown]
	v_add_u32_e32 v50, v50, v51
	ds_write_b32 v45, v50
.LBB1591_83:
	s_or_b64 exec, exec, s[18:19]
	v_cmp_lt_u32_e32 vcc, 63, v2
	v_mov_b32_e32 v50, 0
	s_waitcnt lgkmcnt(0)
	s_barrier
	s_and_saveexec_b64 s[0:1], vcc
	s_cbranch_execz .LBB1591_85
; %bb.84:
	v_lshl_add_u32 v49, v49, 2, -4
	ds_read_b32 v50, v49
.LBB1591_85:
	s_or_b64 exec, exec, s[0:1]
	v_add_u32_e32 v49, -1, v22
	v_and_b32_e32 v51, 64, v22
	v_cmp_lt_i32_e32 vcc, v49, v51
	v_cndmask_b32_e32 v49, v49, v22, vcc
	s_waitcnt lgkmcnt(0)
	v_add_u32_e32 v48, v50, v48
	v_lshlrev_b32_e32 v49, 2, v49
	ds_bpermute_b32 v48, v49, v48
	v_cmp_eq_u32_e32 vcc, 0, v22
	s_movk_i32 s0, 0x100
	s_waitcnt lgkmcnt(0)
	v_cndmask_b32_e32 v22, v48, v50, vcc
	v_cmp_ne_u32_e32 vcc, 0, v2
	v_cndmask_b32_e32 v22, 0, v22, vcc
	v_add_u32_e32 v20, v22, v20
	v_add_u32_e32 v21, v20, v21
	;; [unrolled: 1-line block ×4, first 2 shown]
	ds_write2_b32 v23, v22, v20 offset0:16 offset1:17
	ds_write2_b32 v47, v21, v18 offset0:2 offset1:3
	ds_write_b32 v47, v19 offset:16
	s_waitcnt lgkmcnt(0)
	s_barrier
	ds_read_b32 v48, v25 offset:64
	ds_read_b32 v47, v28 offset:64
	;; [unrolled: 1-line block ×8, first 2 shown]
	v_cmp_gt_u32_e32 vcc, s0, v2
                                        ; implicit-def: $vgpr25
                                        ; implicit-def: $vgpr28
	s_and_saveexec_b64 s[2:3], vcc
	s_cbranch_execz .LBB1591_89
; %bb.86:
	v_mul_u32_u24_e32 v18, 17, v2
	v_lshlrev_b32_e32 v19, 2, v18
	ds_read_b32 v25, v19 offset:64
	s_movk_i32 s0, 0xff
	v_cmp_ne_u32_e64 s[0:1], s0, v2
	v_mov_b32_e32 v18, 0x2000
	s_and_saveexec_b64 s[4:5], s[0:1]
	s_cbranch_execz .LBB1591_88
; %bb.87:
	ds_read_b32 v18, v19 offset:132
.LBB1591_88:
	s_or_b64 exec, exec, s[4:5]
	s_waitcnt lgkmcnt(0)
	v_sub_u32_e32 v28, v18, v25
.LBB1591_89:
	s_or_b64 exec, exec, s[2:3]
	s_waitcnt lgkmcnt(0)
	s_barrier
	s_and_saveexec_b64 s[2:3], vcc
	s_cbranch_execz .LBB1591_99
; %bb.90:
	v_lshl_or_b32 v18, s6, 8, v2
	v_mov_b32_e32 v19, 0
	v_lshlrev_b64 v[20:21], 2, v[18:19]
	v_mov_b32_e32 v49, s25
	v_add_co_u32_e64 v20, s[0:1], s24, v20
	v_addc_co_u32_e64 v21, s[0:1], v49, v21, s[0:1]
	v_or_b32_e32 v18, 2.0, v28
	s_mov_b64 s[4:5], 0
	s_brev_b32 s20, 1
	s_mov_b32 s21, s6
	v_mov_b32_e32 v50, 0
	global_store_dword v[20:21], v18, off
                                        ; implicit-def: $sgpr0_sgpr1
	s_branch .LBB1591_93
.LBB1591_91:                            ;   in Loop: Header=BB1591_93 Depth=1
	s_or_b64 exec, exec, s[18:19]
.LBB1591_92:                            ;   in Loop: Header=BB1591_93 Depth=1
	s_or_b64 exec, exec, s[8:9]
	v_and_b32_e32 v22, 0x3fffffff, v51
	v_add_u32_e32 v50, v22, v50
	v_cmp_eq_u32_e64 s[0:1], s20, v18
	s_and_b64 s[8:9], exec, s[0:1]
	s_or_b64 s[4:5], s[8:9], s[4:5]
	s_andn2_b64 exec, exec, s[4:5]
	s_cbranch_execz .LBB1591_98
.LBB1591_93:                            ; =>This Loop Header: Depth=1
                                        ;     Child Loop BB1591_96 Depth 2
	s_or_b64 s[0:1], s[0:1], exec
	s_cmp_eq_u32 s21, 0
	s_cbranch_scc1 .LBB1591_97
; %bb.94:                               ;   in Loop: Header=BB1591_93 Depth=1
	s_add_i32 s21, s21, -1
	v_lshl_or_b32 v18, s21, 8, v2
	v_lshlrev_b64 v[22:23], 2, v[18:19]
	v_add_co_u32_e64 v22, s[0:1], s24, v22
	v_addc_co_u32_e64 v23, s[0:1], v49, v23, s[0:1]
	global_load_dword v51, v[22:23], off glc
	s_waitcnt vmcnt(0)
	v_and_b32_e32 v18, -2.0, v51
	v_cmp_eq_u32_e64 s[0:1], 0, v18
	s_and_saveexec_b64 s[8:9], s[0:1]
	s_cbranch_execz .LBB1591_92
; %bb.95:                               ;   in Loop: Header=BB1591_93 Depth=1
	s_mov_b64 s[18:19], 0
.LBB1591_96:                            ;   Parent Loop BB1591_93 Depth=1
                                        ; =>  This Inner Loop Header: Depth=2
	global_load_dword v51, v[22:23], off glc
	s_waitcnt vmcnt(0)
	v_and_b32_e32 v18, -2.0, v51
	v_cmp_ne_u32_e64 s[0:1], 0, v18
	s_or_b64 s[18:19], s[0:1], s[18:19]
	s_andn2_b64 exec, exec, s[18:19]
	s_cbranch_execnz .LBB1591_96
	s_branch .LBB1591_91
.LBB1591_97:                            ;   in Loop: Header=BB1591_93 Depth=1
                                        ; implicit-def: $sgpr21
	s_and_b64 s[8:9], exec, s[0:1]
	s_or_b64 s[4:5], s[8:9], s[4:5]
	s_andn2_b64 exec, exec, s[4:5]
	s_cbranch_execnz .LBB1591_93
.LBB1591_98:
	s_or_b64 exec, exec, s[4:5]
	v_add_u32_e32 v18, v50, v28
	v_or_b32_e32 v18, 0x80000000, v18
	global_store_dword v[20:21], v18, off
	global_load_dword v18, v45, s[12:13]
	v_sub_u32_e32 v19, v50, v25
	s_waitcnt vmcnt(0)
	v_add_u32_e32 v18, v19, v18
	ds_write_b32 v45, v18
.LBB1591_99:
	s_or_b64 exec, exec, s[2:3]
	v_lshlrev_b32_e32 v20, 3, v2
	v_add_u32_e32 v3, v48, v3
	s_movk_i32 s2, 0x400
	v_add_u32_e32 v21, 0x400, v20
	v_add3_u32 v22, v44, v46, v31
	v_add3_u32 v23, v42, v43, v40
	;; [unrolled: 1-line block ×7, first 2 shown]
	s_mov_b32 s3, 0
	v_mov_b32_e32 v26, s23
	v_mov_b32_e32 v19, 0
	;; [unrolled: 1-line block ×3, first 2 shown]
.LBB1591_100:                           ; =>This Inner Loop Header: Depth=1
	v_add_u32_e32 v18, s3, v3
	v_add_u32_e32 v32, s3, v24
	;; [unrolled: 1-line block ×8, first 2 shown]
	v_min_u32_e32 v18, 0x800, v18
	v_min_u32_e32 v32, 0x800, v32
	;; [unrolled: 1-line block ×8, first 2 shown]
	v_lshlrev_b32_e32 v18, 3, v18
	v_lshlrev_b32_e32 v32, 3, v32
	v_lshlrev_b32_e32 v33, 3, v33
	v_lshlrev_b32_e32 v36, 3, v36
	v_lshlrev_b32_e32 v37, 3, v37
	v_lshlrev_b32_e32 v35, 3, v35
	v_lshlrev_b32_e32 v38, 3, v38
	v_lshlrev_b32_e32 v39, 3, v39
	ds_write_b64 v18, v[4:5] offset:1024
	ds_write_b64 v32, v[0:1] offset:1024
	;; [unrolled: 1-line block ×8, first 2 shown]
	s_waitcnt lgkmcnt(0)
	s_barrier
	ds_read_b64 v[32:33], v20 offset:1024
	ds_read_b64 v[36:37], v21 offset:8192
	s_addk_i32 s3, 0xf800
	s_cmpk_lg_i32 s3, 0xe000
	s_waitcnt lgkmcnt(1)
	v_lshrrev_b64 v[38:39], s16, v[32:33]
	s_waitcnt lgkmcnt(0)
	v_lshrrev_b64 v[40:41], s16, v[36:37]
	v_and_b32_e32 v18, s17, v38
	v_and_b32_e32 v35, s17, v40
	v_lshlrev_b32_e32 v18, 2, v18
	v_lshlrev_b32_e32 v35, 2, v35
	ds_read_b32 v18, v18
	ds_read_b32 v35, v35
	v_xor_b32_e32 v33, 0x80000000, v33
	v_xor_b32_e32 v37, 0x80000000, v37
	s_waitcnt lgkmcnt(1)
	v_add_u32_e32 v18, v29, v18
	v_lshlrev_b64 v[38:39], 3, v[18:19]
	s_waitcnt lgkmcnt(0)
	v_add3_u32 v18, v29, v35, s2
	v_add_co_u32_e64 v38, s[0:1], s22, v38
	v_addc_co_u32_e64 v39, s[0:1], v26, v39, s[0:1]
	v_lshlrev_b64 v[40:41], 3, v[18:19]
	global_store_dwordx2 v[38:39], v[32:33], off
	v_add_co_u32_e64 v32, s[0:1], s22, v40
	v_add_u32_e32 v29, 0x800, v29
	v_addc_co_u32_e64 v33, s[0:1], v26, v41, s[0:1]
	global_store_dwordx2 v[32:33], v[36:37], off
	s_barrier
	s_cbranch_scc1 .LBB1591_100
; %bb.101:
	s_add_i32 s7, s7, -1
	s_cmp_eq_u32 s7, s6
	s_cselect_b64 s[0:1], -1, 0
	s_and_b64 s[2:3], vcc, s[0:1]
                                        ; implicit-def: $vgpr4
	s_and_saveexec_b64 s[0:1], s[2:3]
; %bb.102:
	v_add_u32_e32 v4, v25, v28
	s_or_b64 s[10:11], s[10:11], exec
; %bb.103:
	s_or_b64 exec, exec, s[0:1]
.LBB1591_104:
	s_and_saveexec_b64 s[0:1], s[10:11]
	s_cbranch_execnz .LBB1591_106
; %bb.105:
	s_endpgm
.LBB1591_106:
	v_mov_b32_e32 v3, 0
	v_lshlrev_b32_e32 v5, 2, v2
	v_lshlrev_b64 v[0:1], 2, v[2:3]
	ds_read_b32 v3, v5
	v_mov_b32_e32 v2, s15
	v_add_co_u32_e32 v0, vcc, s14, v0
	v_addc_co_u32_e32 v1, vcc, v2, v1, vcc
	s_waitcnt lgkmcnt(0)
	v_add_u32_e32 v2, v3, v4
	global_store_dword v[0:1], v2, off
	s_endpgm
	.section	.rodata,"a",@progbits
	.p2align	6, 0x0
	.amdhsa_kernel _ZN7rocprim17ROCPRIM_400000_NS6detail17trampoline_kernelINS0_14default_configENS1_35radix_sort_onesweep_config_selectorIxNS0_10empty_typeEEEZZNS1_29radix_sort_onesweep_iterationIS3_Lb0EN6thrust23THRUST_200600_302600_NS6detail15normal_iteratorINS9_10device_ptrIxEEEESE_PS5_SF_jNS0_19identity_decomposerENS1_16block_id_wrapperIjLb0EEEEE10hipError_tT1_PNSt15iterator_traitsISK_E10value_typeET2_T3_PNSL_ISQ_E10value_typeET4_T5_PSV_SW_PNS1_23onesweep_lookback_stateEbbT6_jjT7_P12ihipStream_tbENKUlT_T0_SK_SP_E_clIPxSE_SF_SF_EEDaS13_S14_SK_SP_EUlS13_E_NS1_11comp_targetILNS1_3genE4ELNS1_11target_archE910ELNS1_3gpuE8ELNS1_3repE0EEENS1_47radix_sort_onesweep_sort_config_static_selectorELNS0_4arch9wavefront6targetE1EEEvSK_
		.amdhsa_group_segment_fixed_size 20552
		.amdhsa_private_segment_fixed_size 0
		.amdhsa_kernarg_size 344
		.amdhsa_user_sgpr_count 6
		.amdhsa_user_sgpr_private_segment_buffer 1
		.amdhsa_user_sgpr_dispatch_ptr 0
		.amdhsa_user_sgpr_queue_ptr 0
		.amdhsa_user_sgpr_kernarg_segment_ptr 1
		.amdhsa_user_sgpr_dispatch_id 0
		.amdhsa_user_sgpr_flat_scratch_init 0
		.amdhsa_user_sgpr_kernarg_preload_length 0
		.amdhsa_user_sgpr_kernarg_preload_offset 0
		.amdhsa_user_sgpr_private_segment_size 0
		.amdhsa_uses_dynamic_stack 0
		.amdhsa_system_sgpr_private_segment_wavefront_offset 0
		.amdhsa_system_sgpr_workgroup_id_x 1
		.amdhsa_system_sgpr_workgroup_id_y 0
		.amdhsa_system_sgpr_workgroup_id_z 0
		.amdhsa_system_sgpr_workgroup_info 0
		.amdhsa_system_vgpr_workitem_id 2
		.amdhsa_next_free_vgpr 55
		.amdhsa_next_free_sgpr 30
		.amdhsa_accum_offset 56
		.amdhsa_reserve_vcc 1
		.amdhsa_reserve_flat_scratch 0
		.amdhsa_float_round_mode_32 0
		.amdhsa_float_round_mode_16_64 0
		.amdhsa_float_denorm_mode_32 3
		.amdhsa_float_denorm_mode_16_64 3
		.amdhsa_dx10_clamp 1
		.amdhsa_ieee_mode 1
		.amdhsa_fp16_overflow 0
		.amdhsa_tg_split 0
		.amdhsa_exception_fp_ieee_invalid_op 0
		.amdhsa_exception_fp_denorm_src 0
		.amdhsa_exception_fp_ieee_div_zero 0
		.amdhsa_exception_fp_ieee_overflow 0
		.amdhsa_exception_fp_ieee_underflow 0
		.amdhsa_exception_fp_ieee_inexact 0
		.amdhsa_exception_int_div_zero 0
	.end_amdhsa_kernel
	.section	.text._ZN7rocprim17ROCPRIM_400000_NS6detail17trampoline_kernelINS0_14default_configENS1_35radix_sort_onesweep_config_selectorIxNS0_10empty_typeEEEZZNS1_29radix_sort_onesweep_iterationIS3_Lb0EN6thrust23THRUST_200600_302600_NS6detail15normal_iteratorINS9_10device_ptrIxEEEESE_PS5_SF_jNS0_19identity_decomposerENS1_16block_id_wrapperIjLb0EEEEE10hipError_tT1_PNSt15iterator_traitsISK_E10value_typeET2_T3_PNSL_ISQ_E10value_typeET4_T5_PSV_SW_PNS1_23onesweep_lookback_stateEbbT6_jjT7_P12ihipStream_tbENKUlT_T0_SK_SP_E_clIPxSE_SF_SF_EEDaS13_S14_SK_SP_EUlS13_E_NS1_11comp_targetILNS1_3genE4ELNS1_11target_archE910ELNS1_3gpuE8ELNS1_3repE0EEENS1_47radix_sort_onesweep_sort_config_static_selectorELNS0_4arch9wavefront6targetE1EEEvSK_,"axG",@progbits,_ZN7rocprim17ROCPRIM_400000_NS6detail17trampoline_kernelINS0_14default_configENS1_35radix_sort_onesweep_config_selectorIxNS0_10empty_typeEEEZZNS1_29radix_sort_onesweep_iterationIS3_Lb0EN6thrust23THRUST_200600_302600_NS6detail15normal_iteratorINS9_10device_ptrIxEEEESE_PS5_SF_jNS0_19identity_decomposerENS1_16block_id_wrapperIjLb0EEEEE10hipError_tT1_PNSt15iterator_traitsISK_E10value_typeET2_T3_PNSL_ISQ_E10value_typeET4_T5_PSV_SW_PNS1_23onesweep_lookback_stateEbbT6_jjT7_P12ihipStream_tbENKUlT_T0_SK_SP_E_clIPxSE_SF_SF_EEDaS13_S14_SK_SP_EUlS13_E_NS1_11comp_targetILNS1_3genE4ELNS1_11target_archE910ELNS1_3gpuE8ELNS1_3repE0EEENS1_47radix_sort_onesweep_sort_config_static_selectorELNS0_4arch9wavefront6targetE1EEEvSK_,comdat
.Lfunc_end1591:
	.size	_ZN7rocprim17ROCPRIM_400000_NS6detail17trampoline_kernelINS0_14default_configENS1_35radix_sort_onesweep_config_selectorIxNS0_10empty_typeEEEZZNS1_29radix_sort_onesweep_iterationIS3_Lb0EN6thrust23THRUST_200600_302600_NS6detail15normal_iteratorINS9_10device_ptrIxEEEESE_PS5_SF_jNS0_19identity_decomposerENS1_16block_id_wrapperIjLb0EEEEE10hipError_tT1_PNSt15iterator_traitsISK_E10value_typeET2_T3_PNSL_ISQ_E10value_typeET4_T5_PSV_SW_PNS1_23onesweep_lookback_stateEbbT6_jjT7_P12ihipStream_tbENKUlT_T0_SK_SP_E_clIPxSE_SF_SF_EEDaS13_S14_SK_SP_EUlS13_E_NS1_11comp_targetILNS1_3genE4ELNS1_11target_archE910ELNS1_3gpuE8ELNS1_3repE0EEENS1_47radix_sort_onesweep_sort_config_static_selectorELNS0_4arch9wavefront6targetE1EEEvSK_, .Lfunc_end1591-_ZN7rocprim17ROCPRIM_400000_NS6detail17trampoline_kernelINS0_14default_configENS1_35radix_sort_onesweep_config_selectorIxNS0_10empty_typeEEEZZNS1_29radix_sort_onesweep_iterationIS3_Lb0EN6thrust23THRUST_200600_302600_NS6detail15normal_iteratorINS9_10device_ptrIxEEEESE_PS5_SF_jNS0_19identity_decomposerENS1_16block_id_wrapperIjLb0EEEEE10hipError_tT1_PNSt15iterator_traitsISK_E10value_typeET2_T3_PNSL_ISQ_E10value_typeET4_T5_PSV_SW_PNS1_23onesweep_lookback_stateEbbT6_jjT7_P12ihipStream_tbENKUlT_T0_SK_SP_E_clIPxSE_SF_SF_EEDaS13_S14_SK_SP_EUlS13_E_NS1_11comp_targetILNS1_3genE4ELNS1_11target_archE910ELNS1_3gpuE8ELNS1_3repE0EEENS1_47radix_sort_onesweep_sort_config_static_selectorELNS0_4arch9wavefront6targetE1EEEvSK_
                                        ; -- End function
	.section	.AMDGPU.csdata,"",@progbits
; Kernel info:
; codeLenInByte = 10380
; NumSgprs: 34
; NumVgprs: 55
; NumAgprs: 0
; TotalNumVgprs: 55
; ScratchSize: 0
; MemoryBound: 0
; FloatMode: 240
; IeeeMode: 1
; LDSByteSize: 20552 bytes/workgroup (compile time only)
; SGPRBlocks: 4
; VGPRBlocks: 6
; NumSGPRsForWavesPerEU: 34
; NumVGPRsForWavesPerEU: 55
; AccumOffset: 56
; Occupancy: 8
; WaveLimiterHint : 1
; COMPUTE_PGM_RSRC2:SCRATCH_EN: 0
; COMPUTE_PGM_RSRC2:USER_SGPR: 6
; COMPUTE_PGM_RSRC2:TRAP_HANDLER: 0
; COMPUTE_PGM_RSRC2:TGID_X_EN: 1
; COMPUTE_PGM_RSRC2:TGID_Y_EN: 0
; COMPUTE_PGM_RSRC2:TGID_Z_EN: 0
; COMPUTE_PGM_RSRC2:TIDIG_COMP_CNT: 2
; COMPUTE_PGM_RSRC3_GFX90A:ACCUM_OFFSET: 13
; COMPUTE_PGM_RSRC3_GFX90A:TG_SPLIT: 0
	.section	.text._ZN7rocprim17ROCPRIM_400000_NS6detail17trampoline_kernelINS0_14default_configENS1_35radix_sort_onesweep_config_selectorIxNS0_10empty_typeEEEZZNS1_29radix_sort_onesweep_iterationIS3_Lb0EN6thrust23THRUST_200600_302600_NS6detail15normal_iteratorINS9_10device_ptrIxEEEESE_PS5_SF_jNS0_19identity_decomposerENS1_16block_id_wrapperIjLb0EEEEE10hipError_tT1_PNSt15iterator_traitsISK_E10value_typeET2_T3_PNSL_ISQ_E10value_typeET4_T5_PSV_SW_PNS1_23onesweep_lookback_stateEbbT6_jjT7_P12ihipStream_tbENKUlT_T0_SK_SP_E_clIPxSE_SF_SF_EEDaS13_S14_SK_SP_EUlS13_E_NS1_11comp_targetILNS1_3genE3ELNS1_11target_archE908ELNS1_3gpuE7ELNS1_3repE0EEENS1_47radix_sort_onesweep_sort_config_static_selectorELNS0_4arch9wavefront6targetE1EEEvSK_,"axG",@progbits,_ZN7rocprim17ROCPRIM_400000_NS6detail17trampoline_kernelINS0_14default_configENS1_35radix_sort_onesweep_config_selectorIxNS0_10empty_typeEEEZZNS1_29radix_sort_onesweep_iterationIS3_Lb0EN6thrust23THRUST_200600_302600_NS6detail15normal_iteratorINS9_10device_ptrIxEEEESE_PS5_SF_jNS0_19identity_decomposerENS1_16block_id_wrapperIjLb0EEEEE10hipError_tT1_PNSt15iterator_traitsISK_E10value_typeET2_T3_PNSL_ISQ_E10value_typeET4_T5_PSV_SW_PNS1_23onesweep_lookback_stateEbbT6_jjT7_P12ihipStream_tbENKUlT_T0_SK_SP_E_clIPxSE_SF_SF_EEDaS13_S14_SK_SP_EUlS13_E_NS1_11comp_targetILNS1_3genE3ELNS1_11target_archE908ELNS1_3gpuE7ELNS1_3repE0EEENS1_47radix_sort_onesweep_sort_config_static_selectorELNS0_4arch9wavefront6targetE1EEEvSK_,comdat
	.protected	_ZN7rocprim17ROCPRIM_400000_NS6detail17trampoline_kernelINS0_14default_configENS1_35radix_sort_onesweep_config_selectorIxNS0_10empty_typeEEEZZNS1_29radix_sort_onesweep_iterationIS3_Lb0EN6thrust23THRUST_200600_302600_NS6detail15normal_iteratorINS9_10device_ptrIxEEEESE_PS5_SF_jNS0_19identity_decomposerENS1_16block_id_wrapperIjLb0EEEEE10hipError_tT1_PNSt15iterator_traitsISK_E10value_typeET2_T3_PNSL_ISQ_E10value_typeET4_T5_PSV_SW_PNS1_23onesweep_lookback_stateEbbT6_jjT7_P12ihipStream_tbENKUlT_T0_SK_SP_E_clIPxSE_SF_SF_EEDaS13_S14_SK_SP_EUlS13_E_NS1_11comp_targetILNS1_3genE3ELNS1_11target_archE908ELNS1_3gpuE7ELNS1_3repE0EEENS1_47radix_sort_onesweep_sort_config_static_selectorELNS0_4arch9wavefront6targetE1EEEvSK_ ; -- Begin function _ZN7rocprim17ROCPRIM_400000_NS6detail17trampoline_kernelINS0_14default_configENS1_35radix_sort_onesweep_config_selectorIxNS0_10empty_typeEEEZZNS1_29radix_sort_onesweep_iterationIS3_Lb0EN6thrust23THRUST_200600_302600_NS6detail15normal_iteratorINS9_10device_ptrIxEEEESE_PS5_SF_jNS0_19identity_decomposerENS1_16block_id_wrapperIjLb0EEEEE10hipError_tT1_PNSt15iterator_traitsISK_E10value_typeET2_T3_PNSL_ISQ_E10value_typeET4_T5_PSV_SW_PNS1_23onesweep_lookback_stateEbbT6_jjT7_P12ihipStream_tbENKUlT_T0_SK_SP_E_clIPxSE_SF_SF_EEDaS13_S14_SK_SP_EUlS13_E_NS1_11comp_targetILNS1_3genE3ELNS1_11target_archE908ELNS1_3gpuE7ELNS1_3repE0EEENS1_47radix_sort_onesweep_sort_config_static_selectorELNS0_4arch9wavefront6targetE1EEEvSK_
	.globl	_ZN7rocprim17ROCPRIM_400000_NS6detail17trampoline_kernelINS0_14default_configENS1_35radix_sort_onesweep_config_selectorIxNS0_10empty_typeEEEZZNS1_29radix_sort_onesweep_iterationIS3_Lb0EN6thrust23THRUST_200600_302600_NS6detail15normal_iteratorINS9_10device_ptrIxEEEESE_PS5_SF_jNS0_19identity_decomposerENS1_16block_id_wrapperIjLb0EEEEE10hipError_tT1_PNSt15iterator_traitsISK_E10value_typeET2_T3_PNSL_ISQ_E10value_typeET4_T5_PSV_SW_PNS1_23onesweep_lookback_stateEbbT6_jjT7_P12ihipStream_tbENKUlT_T0_SK_SP_E_clIPxSE_SF_SF_EEDaS13_S14_SK_SP_EUlS13_E_NS1_11comp_targetILNS1_3genE3ELNS1_11target_archE908ELNS1_3gpuE7ELNS1_3repE0EEENS1_47radix_sort_onesweep_sort_config_static_selectorELNS0_4arch9wavefront6targetE1EEEvSK_
	.p2align	8
	.type	_ZN7rocprim17ROCPRIM_400000_NS6detail17trampoline_kernelINS0_14default_configENS1_35radix_sort_onesweep_config_selectorIxNS0_10empty_typeEEEZZNS1_29radix_sort_onesweep_iterationIS3_Lb0EN6thrust23THRUST_200600_302600_NS6detail15normal_iteratorINS9_10device_ptrIxEEEESE_PS5_SF_jNS0_19identity_decomposerENS1_16block_id_wrapperIjLb0EEEEE10hipError_tT1_PNSt15iterator_traitsISK_E10value_typeET2_T3_PNSL_ISQ_E10value_typeET4_T5_PSV_SW_PNS1_23onesweep_lookback_stateEbbT6_jjT7_P12ihipStream_tbENKUlT_T0_SK_SP_E_clIPxSE_SF_SF_EEDaS13_S14_SK_SP_EUlS13_E_NS1_11comp_targetILNS1_3genE3ELNS1_11target_archE908ELNS1_3gpuE7ELNS1_3repE0EEENS1_47radix_sort_onesweep_sort_config_static_selectorELNS0_4arch9wavefront6targetE1EEEvSK_,@function
_ZN7rocprim17ROCPRIM_400000_NS6detail17trampoline_kernelINS0_14default_configENS1_35radix_sort_onesweep_config_selectorIxNS0_10empty_typeEEEZZNS1_29radix_sort_onesweep_iterationIS3_Lb0EN6thrust23THRUST_200600_302600_NS6detail15normal_iteratorINS9_10device_ptrIxEEEESE_PS5_SF_jNS0_19identity_decomposerENS1_16block_id_wrapperIjLb0EEEEE10hipError_tT1_PNSt15iterator_traitsISK_E10value_typeET2_T3_PNSL_ISQ_E10value_typeET4_T5_PSV_SW_PNS1_23onesweep_lookback_stateEbbT6_jjT7_P12ihipStream_tbENKUlT_T0_SK_SP_E_clIPxSE_SF_SF_EEDaS13_S14_SK_SP_EUlS13_E_NS1_11comp_targetILNS1_3genE3ELNS1_11target_archE908ELNS1_3gpuE7ELNS1_3repE0EEENS1_47radix_sort_onesweep_sort_config_static_selectorELNS0_4arch9wavefront6targetE1EEEvSK_: ; @_ZN7rocprim17ROCPRIM_400000_NS6detail17trampoline_kernelINS0_14default_configENS1_35radix_sort_onesweep_config_selectorIxNS0_10empty_typeEEEZZNS1_29radix_sort_onesweep_iterationIS3_Lb0EN6thrust23THRUST_200600_302600_NS6detail15normal_iteratorINS9_10device_ptrIxEEEESE_PS5_SF_jNS0_19identity_decomposerENS1_16block_id_wrapperIjLb0EEEEE10hipError_tT1_PNSt15iterator_traitsISK_E10value_typeET2_T3_PNSL_ISQ_E10value_typeET4_T5_PSV_SW_PNS1_23onesweep_lookback_stateEbbT6_jjT7_P12ihipStream_tbENKUlT_T0_SK_SP_E_clIPxSE_SF_SF_EEDaS13_S14_SK_SP_EUlS13_E_NS1_11comp_targetILNS1_3genE3ELNS1_11target_archE908ELNS1_3gpuE7ELNS1_3repE0EEENS1_47radix_sort_onesweep_sort_config_static_selectorELNS0_4arch9wavefront6targetE1EEEvSK_
; %bb.0:
	.section	.rodata,"a",@progbits
	.p2align	6, 0x0
	.amdhsa_kernel _ZN7rocprim17ROCPRIM_400000_NS6detail17trampoline_kernelINS0_14default_configENS1_35radix_sort_onesweep_config_selectorIxNS0_10empty_typeEEEZZNS1_29radix_sort_onesweep_iterationIS3_Lb0EN6thrust23THRUST_200600_302600_NS6detail15normal_iteratorINS9_10device_ptrIxEEEESE_PS5_SF_jNS0_19identity_decomposerENS1_16block_id_wrapperIjLb0EEEEE10hipError_tT1_PNSt15iterator_traitsISK_E10value_typeET2_T3_PNSL_ISQ_E10value_typeET4_T5_PSV_SW_PNS1_23onesweep_lookback_stateEbbT6_jjT7_P12ihipStream_tbENKUlT_T0_SK_SP_E_clIPxSE_SF_SF_EEDaS13_S14_SK_SP_EUlS13_E_NS1_11comp_targetILNS1_3genE3ELNS1_11target_archE908ELNS1_3gpuE7ELNS1_3repE0EEENS1_47radix_sort_onesweep_sort_config_static_selectorELNS0_4arch9wavefront6targetE1EEEvSK_
		.amdhsa_group_segment_fixed_size 0
		.amdhsa_private_segment_fixed_size 0
		.amdhsa_kernarg_size 88
		.amdhsa_user_sgpr_count 6
		.amdhsa_user_sgpr_private_segment_buffer 1
		.amdhsa_user_sgpr_dispatch_ptr 0
		.amdhsa_user_sgpr_queue_ptr 0
		.amdhsa_user_sgpr_kernarg_segment_ptr 1
		.amdhsa_user_sgpr_dispatch_id 0
		.amdhsa_user_sgpr_flat_scratch_init 0
		.amdhsa_user_sgpr_kernarg_preload_length 0
		.amdhsa_user_sgpr_kernarg_preload_offset 0
		.amdhsa_user_sgpr_private_segment_size 0
		.amdhsa_uses_dynamic_stack 0
		.amdhsa_system_sgpr_private_segment_wavefront_offset 0
		.amdhsa_system_sgpr_workgroup_id_x 1
		.amdhsa_system_sgpr_workgroup_id_y 0
		.amdhsa_system_sgpr_workgroup_id_z 0
		.amdhsa_system_sgpr_workgroup_info 0
		.amdhsa_system_vgpr_workitem_id 0
		.amdhsa_next_free_vgpr 1
		.amdhsa_next_free_sgpr 0
		.amdhsa_accum_offset 4
		.amdhsa_reserve_vcc 0
		.amdhsa_reserve_flat_scratch 0
		.amdhsa_float_round_mode_32 0
		.amdhsa_float_round_mode_16_64 0
		.amdhsa_float_denorm_mode_32 3
		.amdhsa_float_denorm_mode_16_64 3
		.amdhsa_dx10_clamp 1
		.amdhsa_ieee_mode 1
		.amdhsa_fp16_overflow 0
		.amdhsa_tg_split 0
		.amdhsa_exception_fp_ieee_invalid_op 0
		.amdhsa_exception_fp_denorm_src 0
		.amdhsa_exception_fp_ieee_div_zero 0
		.amdhsa_exception_fp_ieee_overflow 0
		.amdhsa_exception_fp_ieee_underflow 0
		.amdhsa_exception_fp_ieee_inexact 0
		.amdhsa_exception_int_div_zero 0
	.end_amdhsa_kernel
	.section	.text._ZN7rocprim17ROCPRIM_400000_NS6detail17trampoline_kernelINS0_14default_configENS1_35radix_sort_onesweep_config_selectorIxNS0_10empty_typeEEEZZNS1_29radix_sort_onesweep_iterationIS3_Lb0EN6thrust23THRUST_200600_302600_NS6detail15normal_iteratorINS9_10device_ptrIxEEEESE_PS5_SF_jNS0_19identity_decomposerENS1_16block_id_wrapperIjLb0EEEEE10hipError_tT1_PNSt15iterator_traitsISK_E10value_typeET2_T3_PNSL_ISQ_E10value_typeET4_T5_PSV_SW_PNS1_23onesweep_lookback_stateEbbT6_jjT7_P12ihipStream_tbENKUlT_T0_SK_SP_E_clIPxSE_SF_SF_EEDaS13_S14_SK_SP_EUlS13_E_NS1_11comp_targetILNS1_3genE3ELNS1_11target_archE908ELNS1_3gpuE7ELNS1_3repE0EEENS1_47radix_sort_onesweep_sort_config_static_selectorELNS0_4arch9wavefront6targetE1EEEvSK_,"axG",@progbits,_ZN7rocprim17ROCPRIM_400000_NS6detail17trampoline_kernelINS0_14default_configENS1_35radix_sort_onesweep_config_selectorIxNS0_10empty_typeEEEZZNS1_29radix_sort_onesweep_iterationIS3_Lb0EN6thrust23THRUST_200600_302600_NS6detail15normal_iteratorINS9_10device_ptrIxEEEESE_PS5_SF_jNS0_19identity_decomposerENS1_16block_id_wrapperIjLb0EEEEE10hipError_tT1_PNSt15iterator_traitsISK_E10value_typeET2_T3_PNSL_ISQ_E10value_typeET4_T5_PSV_SW_PNS1_23onesweep_lookback_stateEbbT6_jjT7_P12ihipStream_tbENKUlT_T0_SK_SP_E_clIPxSE_SF_SF_EEDaS13_S14_SK_SP_EUlS13_E_NS1_11comp_targetILNS1_3genE3ELNS1_11target_archE908ELNS1_3gpuE7ELNS1_3repE0EEENS1_47radix_sort_onesweep_sort_config_static_selectorELNS0_4arch9wavefront6targetE1EEEvSK_,comdat
.Lfunc_end1592:
	.size	_ZN7rocprim17ROCPRIM_400000_NS6detail17trampoline_kernelINS0_14default_configENS1_35radix_sort_onesweep_config_selectorIxNS0_10empty_typeEEEZZNS1_29radix_sort_onesweep_iterationIS3_Lb0EN6thrust23THRUST_200600_302600_NS6detail15normal_iteratorINS9_10device_ptrIxEEEESE_PS5_SF_jNS0_19identity_decomposerENS1_16block_id_wrapperIjLb0EEEEE10hipError_tT1_PNSt15iterator_traitsISK_E10value_typeET2_T3_PNSL_ISQ_E10value_typeET4_T5_PSV_SW_PNS1_23onesweep_lookback_stateEbbT6_jjT7_P12ihipStream_tbENKUlT_T0_SK_SP_E_clIPxSE_SF_SF_EEDaS13_S14_SK_SP_EUlS13_E_NS1_11comp_targetILNS1_3genE3ELNS1_11target_archE908ELNS1_3gpuE7ELNS1_3repE0EEENS1_47radix_sort_onesweep_sort_config_static_selectorELNS0_4arch9wavefront6targetE1EEEvSK_, .Lfunc_end1592-_ZN7rocprim17ROCPRIM_400000_NS6detail17trampoline_kernelINS0_14default_configENS1_35radix_sort_onesweep_config_selectorIxNS0_10empty_typeEEEZZNS1_29radix_sort_onesweep_iterationIS3_Lb0EN6thrust23THRUST_200600_302600_NS6detail15normal_iteratorINS9_10device_ptrIxEEEESE_PS5_SF_jNS0_19identity_decomposerENS1_16block_id_wrapperIjLb0EEEEE10hipError_tT1_PNSt15iterator_traitsISK_E10value_typeET2_T3_PNSL_ISQ_E10value_typeET4_T5_PSV_SW_PNS1_23onesweep_lookback_stateEbbT6_jjT7_P12ihipStream_tbENKUlT_T0_SK_SP_E_clIPxSE_SF_SF_EEDaS13_S14_SK_SP_EUlS13_E_NS1_11comp_targetILNS1_3genE3ELNS1_11target_archE908ELNS1_3gpuE7ELNS1_3repE0EEENS1_47radix_sort_onesweep_sort_config_static_selectorELNS0_4arch9wavefront6targetE1EEEvSK_
                                        ; -- End function
	.section	.AMDGPU.csdata,"",@progbits
; Kernel info:
; codeLenInByte = 0
; NumSgprs: 4
; NumVgprs: 0
; NumAgprs: 0
; TotalNumVgprs: 0
; ScratchSize: 0
; MemoryBound: 0
; FloatMode: 240
; IeeeMode: 1
; LDSByteSize: 0 bytes/workgroup (compile time only)
; SGPRBlocks: 0
; VGPRBlocks: 0
; NumSGPRsForWavesPerEU: 4
; NumVGPRsForWavesPerEU: 1
; AccumOffset: 4
; Occupancy: 8
; WaveLimiterHint : 0
; COMPUTE_PGM_RSRC2:SCRATCH_EN: 0
; COMPUTE_PGM_RSRC2:USER_SGPR: 6
; COMPUTE_PGM_RSRC2:TRAP_HANDLER: 0
; COMPUTE_PGM_RSRC2:TGID_X_EN: 1
; COMPUTE_PGM_RSRC2:TGID_Y_EN: 0
; COMPUTE_PGM_RSRC2:TGID_Z_EN: 0
; COMPUTE_PGM_RSRC2:TIDIG_COMP_CNT: 0
; COMPUTE_PGM_RSRC3_GFX90A:ACCUM_OFFSET: 0
; COMPUTE_PGM_RSRC3_GFX90A:TG_SPLIT: 0
	.section	.text._ZN7rocprim17ROCPRIM_400000_NS6detail17trampoline_kernelINS0_14default_configENS1_35radix_sort_onesweep_config_selectorIxNS0_10empty_typeEEEZZNS1_29radix_sort_onesweep_iterationIS3_Lb0EN6thrust23THRUST_200600_302600_NS6detail15normal_iteratorINS9_10device_ptrIxEEEESE_PS5_SF_jNS0_19identity_decomposerENS1_16block_id_wrapperIjLb0EEEEE10hipError_tT1_PNSt15iterator_traitsISK_E10value_typeET2_T3_PNSL_ISQ_E10value_typeET4_T5_PSV_SW_PNS1_23onesweep_lookback_stateEbbT6_jjT7_P12ihipStream_tbENKUlT_T0_SK_SP_E_clIPxSE_SF_SF_EEDaS13_S14_SK_SP_EUlS13_E_NS1_11comp_targetILNS1_3genE10ELNS1_11target_archE1201ELNS1_3gpuE5ELNS1_3repE0EEENS1_47radix_sort_onesweep_sort_config_static_selectorELNS0_4arch9wavefront6targetE1EEEvSK_,"axG",@progbits,_ZN7rocprim17ROCPRIM_400000_NS6detail17trampoline_kernelINS0_14default_configENS1_35radix_sort_onesweep_config_selectorIxNS0_10empty_typeEEEZZNS1_29radix_sort_onesweep_iterationIS3_Lb0EN6thrust23THRUST_200600_302600_NS6detail15normal_iteratorINS9_10device_ptrIxEEEESE_PS5_SF_jNS0_19identity_decomposerENS1_16block_id_wrapperIjLb0EEEEE10hipError_tT1_PNSt15iterator_traitsISK_E10value_typeET2_T3_PNSL_ISQ_E10value_typeET4_T5_PSV_SW_PNS1_23onesweep_lookback_stateEbbT6_jjT7_P12ihipStream_tbENKUlT_T0_SK_SP_E_clIPxSE_SF_SF_EEDaS13_S14_SK_SP_EUlS13_E_NS1_11comp_targetILNS1_3genE10ELNS1_11target_archE1201ELNS1_3gpuE5ELNS1_3repE0EEENS1_47radix_sort_onesweep_sort_config_static_selectorELNS0_4arch9wavefront6targetE1EEEvSK_,comdat
	.protected	_ZN7rocprim17ROCPRIM_400000_NS6detail17trampoline_kernelINS0_14default_configENS1_35radix_sort_onesweep_config_selectorIxNS0_10empty_typeEEEZZNS1_29radix_sort_onesweep_iterationIS3_Lb0EN6thrust23THRUST_200600_302600_NS6detail15normal_iteratorINS9_10device_ptrIxEEEESE_PS5_SF_jNS0_19identity_decomposerENS1_16block_id_wrapperIjLb0EEEEE10hipError_tT1_PNSt15iterator_traitsISK_E10value_typeET2_T3_PNSL_ISQ_E10value_typeET4_T5_PSV_SW_PNS1_23onesweep_lookback_stateEbbT6_jjT7_P12ihipStream_tbENKUlT_T0_SK_SP_E_clIPxSE_SF_SF_EEDaS13_S14_SK_SP_EUlS13_E_NS1_11comp_targetILNS1_3genE10ELNS1_11target_archE1201ELNS1_3gpuE5ELNS1_3repE0EEENS1_47radix_sort_onesweep_sort_config_static_selectorELNS0_4arch9wavefront6targetE1EEEvSK_ ; -- Begin function _ZN7rocprim17ROCPRIM_400000_NS6detail17trampoline_kernelINS0_14default_configENS1_35radix_sort_onesweep_config_selectorIxNS0_10empty_typeEEEZZNS1_29radix_sort_onesweep_iterationIS3_Lb0EN6thrust23THRUST_200600_302600_NS6detail15normal_iteratorINS9_10device_ptrIxEEEESE_PS5_SF_jNS0_19identity_decomposerENS1_16block_id_wrapperIjLb0EEEEE10hipError_tT1_PNSt15iterator_traitsISK_E10value_typeET2_T3_PNSL_ISQ_E10value_typeET4_T5_PSV_SW_PNS1_23onesweep_lookback_stateEbbT6_jjT7_P12ihipStream_tbENKUlT_T0_SK_SP_E_clIPxSE_SF_SF_EEDaS13_S14_SK_SP_EUlS13_E_NS1_11comp_targetILNS1_3genE10ELNS1_11target_archE1201ELNS1_3gpuE5ELNS1_3repE0EEENS1_47radix_sort_onesweep_sort_config_static_selectorELNS0_4arch9wavefront6targetE1EEEvSK_
	.globl	_ZN7rocprim17ROCPRIM_400000_NS6detail17trampoline_kernelINS0_14default_configENS1_35radix_sort_onesweep_config_selectorIxNS0_10empty_typeEEEZZNS1_29radix_sort_onesweep_iterationIS3_Lb0EN6thrust23THRUST_200600_302600_NS6detail15normal_iteratorINS9_10device_ptrIxEEEESE_PS5_SF_jNS0_19identity_decomposerENS1_16block_id_wrapperIjLb0EEEEE10hipError_tT1_PNSt15iterator_traitsISK_E10value_typeET2_T3_PNSL_ISQ_E10value_typeET4_T5_PSV_SW_PNS1_23onesweep_lookback_stateEbbT6_jjT7_P12ihipStream_tbENKUlT_T0_SK_SP_E_clIPxSE_SF_SF_EEDaS13_S14_SK_SP_EUlS13_E_NS1_11comp_targetILNS1_3genE10ELNS1_11target_archE1201ELNS1_3gpuE5ELNS1_3repE0EEENS1_47radix_sort_onesweep_sort_config_static_selectorELNS0_4arch9wavefront6targetE1EEEvSK_
	.p2align	8
	.type	_ZN7rocprim17ROCPRIM_400000_NS6detail17trampoline_kernelINS0_14default_configENS1_35radix_sort_onesweep_config_selectorIxNS0_10empty_typeEEEZZNS1_29radix_sort_onesweep_iterationIS3_Lb0EN6thrust23THRUST_200600_302600_NS6detail15normal_iteratorINS9_10device_ptrIxEEEESE_PS5_SF_jNS0_19identity_decomposerENS1_16block_id_wrapperIjLb0EEEEE10hipError_tT1_PNSt15iterator_traitsISK_E10value_typeET2_T3_PNSL_ISQ_E10value_typeET4_T5_PSV_SW_PNS1_23onesweep_lookback_stateEbbT6_jjT7_P12ihipStream_tbENKUlT_T0_SK_SP_E_clIPxSE_SF_SF_EEDaS13_S14_SK_SP_EUlS13_E_NS1_11comp_targetILNS1_3genE10ELNS1_11target_archE1201ELNS1_3gpuE5ELNS1_3repE0EEENS1_47radix_sort_onesweep_sort_config_static_selectorELNS0_4arch9wavefront6targetE1EEEvSK_,@function
_ZN7rocprim17ROCPRIM_400000_NS6detail17trampoline_kernelINS0_14default_configENS1_35radix_sort_onesweep_config_selectorIxNS0_10empty_typeEEEZZNS1_29radix_sort_onesweep_iterationIS3_Lb0EN6thrust23THRUST_200600_302600_NS6detail15normal_iteratorINS9_10device_ptrIxEEEESE_PS5_SF_jNS0_19identity_decomposerENS1_16block_id_wrapperIjLb0EEEEE10hipError_tT1_PNSt15iterator_traitsISK_E10value_typeET2_T3_PNSL_ISQ_E10value_typeET4_T5_PSV_SW_PNS1_23onesweep_lookback_stateEbbT6_jjT7_P12ihipStream_tbENKUlT_T0_SK_SP_E_clIPxSE_SF_SF_EEDaS13_S14_SK_SP_EUlS13_E_NS1_11comp_targetILNS1_3genE10ELNS1_11target_archE1201ELNS1_3gpuE5ELNS1_3repE0EEENS1_47radix_sort_onesweep_sort_config_static_selectorELNS0_4arch9wavefront6targetE1EEEvSK_: ; @_ZN7rocprim17ROCPRIM_400000_NS6detail17trampoline_kernelINS0_14default_configENS1_35radix_sort_onesweep_config_selectorIxNS0_10empty_typeEEEZZNS1_29radix_sort_onesweep_iterationIS3_Lb0EN6thrust23THRUST_200600_302600_NS6detail15normal_iteratorINS9_10device_ptrIxEEEESE_PS5_SF_jNS0_19identity_decomposerENS1_16block_id_wrapperIjLb0EEEEE10hipError_tT1_PNSt15iterator_traitsISK_E10value_typeET2_T3_PNSL_ISQ_E10value_typeET4_T5_PSV_SW_PNS1_23onesweep_lookback_stateEbbT6_jjT7_P12ihipStream_tbENKUlT_T0_SK_SP_E_clIPxSE_SF_SF_EEDaS13_S14_SK_SP_EUlS13_E_NS1_11comp_targetILNS1_3genE10ELNS1_11target_archE1201ELNS1_3gpuE5ELNS1_3repE0EEENS1_47radix_sort_onesweep_sort_config_static_selectorELNS0_4arch9wavefront6targetE1EEEvSK_
; %bb.0:
	.section	.rodata,"a",@progbits
	.p2align	6, 0x0
	.amdhsa_kernel _ZN7rocprim17ROCPRIM_400000_NS6detail17trampoline_kernelINS0_14default_configENS1_35radix_sort_onesweep_config_selectorIxNS0_10empty_typeEEEZZNS1_29radix_sort_onesweep_iterationIS3_Lb0EN6thrust23THRUST_200600_302600_NS6detail15normal_iteratorINS9_10device_ptrIxEEEESE_PS5_SF_jNS0_19identity_decomposerENS1_16block_id_wrapperIjLb0EEEEE10hipError_tT1_PNSt15iterator_traitsISK_E10value_typeET2_T3_PNSL_ISQ_E10value_typeET4_T5_PSV_SW_PNS1_23onesweep_lookback_stateEbbT6_jjT7_P12ihipStream_tbENKUlT_T0_SK_SP_E_clIPxSE_SF_SF_EEDaS13_S14_SK_SP_EUlS13_E_NS1_11comp_targetILNS1_3genE10ELNS1_11target_archE1201ELNS1_3gpuE5ELNS1_3repE0EEENS1_47radix_sort_onesweep_sort_config_static_selectorELNS0_4arch9wavefront6targetE1EEEvSK_
		.amdhsa_group_segment_fixed_size 0
		.amdhsa_private_segment_fixed_size 0
		.amdhsa_kernarg_size 88
		.amdhsa_user_sgpr_count 6
		.amdhsa_user_sgpr_private_segment_buffer 1
		.amdhsa_user_sgpr_dispatch_ptr 0
		.amdhsa_user_sgpr_queue_ptr 0
		.amdhsa_user_sgpr_kernarg_segment_ptr 1
		.amdhsa_user_sgpr_dispatch_id 0
		.amdhsa_user_sgpr_flat_scratch_init 0
		.amdhsa_user_sgpr_kernarg_preload_length 0
		.amdhsa_user_sgpr_kernarg_preload_offset 0
		.amdhsa_user_sgpr_private_segment_size 0
		.amdhsa_uses_dynamic_stack 0
		.amdhsa_system_sgpr_private_segment_wavefront_offset 0
		.amdhsa_system_sgpr_workgroup_id_x 1
		.amdhsa_system_sgpr_workgroup_id_y 0
		.amdhsa_system_sgpr_workgroup_id_z 0
		.amdhsa_system_sgpr_workgroup_info 0
		.amdhsa_system_vgpr_workitem_id 0
		.amdhsa_next_free_vgpr 1
		.amdhsa_next_free_sgpr 0
		.amdhsa_accum_offset 4
		.amdhsa_reserve_vcc 0
		.amdhsa_reserve_flat_scratch 0
		.amdhsa_float_round_mode_32 0
		.amdhsa_float_round_mode_16_64 0
		.amdhsa_float_denorm_mode_32 3
		.amdhsa_float_denorm_mode_16_64 3
		.amdhsa_dx10_clamp 1
		.amdhsa_ieee_mode 1
		.amdhsa_fp16_overflow 0
		.amdhsa_tg_split 0
		.amdhsa_exception_fp_ieee_invalid_op 0
		.amdhsa_exception_fp_denorm_src 0
		.amdhsa_exception_fp_ieee_div_zero 0
		.amdhsa_exception_fp_ieee_overflow 0
		.amdhsa_exception_fp_ieee_underflow 0
		.amdhsa_exception_fp_ieee_inexact 0
		.amdhsa_exception_int_div_zero 0
	.end_amdhsa_kernel
	.section	.text._ZN7rocprim17ROCPRIM_400000_NS6detail17trampoline_kernelINS0_14default_configENS1_35radix_sort_onesweep_config_selectorIxNS0_10empty_typeEEEZZNS1_29radix_sort_onesweep_iterationIS3_Lb0EN6thrust23THRUST_200600_302600_NS6detail15normal_iteratorINS9_10device_ptrIxEEEESE_PS5_SF_jNS0_19identity_decomposerENS1_16block_id_wrapperIjLb0EEEEE10hipError_tT1_PNSt15iterator_traitsISK_E10value_typeET2_T3_PNSL_ISQ_E10value_typeET4_T5_PSV_SW_PNS1_23onesweep_lookback_stateEbbT6_jjT7_P12ihipStream_tbENKUlT_T0_SK_SP_E_clIPxSE_SF_SF_EEDaS13_S14_SK_SP_EUlS13_E_NS1_11comp_targetILNS1_3genE10ELNS1_11target_archE1201ELNS1_3gpuE5ELNS1_3repE0EEENS1_47radix_sort_onesweep_sort_config_static_selectorELNS0_4arch9wavefront6targetE1EEEvSK_,"axG",@progbits,_ZN7rocprim17ROCPRIM_400000_NS6detail17trampoline_kernelINS0_14default_configENS1_35radix_sort_onesweep_config_selectorIxNS0_10empty_typeEEEZZNS1_29radix_sort_onesweep_iterationIS3_Lb0EN6thrust23THRUST_200600_302600_NS6detail15normal_iteratorINS9_10device_ptrIxEEEESE_PS5_SF_jNS0_19identity_decomposerENS1_16block_id_wrapperIjLb0EEEEE10hipError_tT1_PNSt15iterator_traitsISK_E10value_typeET2_T3_PNSL_ISQ_E10value_typeET4_T5_PSV_SW_PNS1_23onesweep_lookback_stateEbbT6_jjT7_P12ihipStream_tbENKUlT_T0_SK_SP_E_clIPxSE_SF_SF_EEDaS13_S14_SK_SP_EUlS13_E_NS1_11comp_targetILNS1_3genE10ELNS1_11target_archE1201ELNS1_3gpuE5ELNS1_3repE0EEENS1_47radix_sort_onesweep_sort_config_static_selectorELNS0_4arch9wavefront6targetE1EEEvSK_,comdat
.Lfunc_end1593:
	.size	_ZN7rocprim17ROCPRIM_400000_NS6detail17trampoline_kernelINS0_14default_configENS1_35radix_sort_onesweep_config_selectorIxNS0_10empty_typeEEEZZNS1_29radix_sort_onesweep_iterationIS3_Lb0EN6thrust23THRUST_200600_302600_NS6detail15normal_iteratorINS9_10device_ptrIxEEEESE_PS5_SF_jNS0_19identity_decomposerENS1_16block_id_wrapperIjLb0EEEEE10hipError_tT1_PNSt15iterator_traitsISK_E10value_typeET2_T3_PNSL_ISQ_E10value_typeET4_T5_PSV_SW_PNS1_23onesweep_lookback_stateEbbT6_jjT7_P12ihipStream_tbENKUlT_T0_SK_SP_E_clIPxSE_SF_SF_EEDaS13_S14_SK_SP_EUlS13_E_NS1_11comp_targetILNS1_3genE10ELNS1_11target_archE1201ELNS1_3gpuE5ELNS1_3repE0EEENS1_47radix_sort_onesweep_sort_config_static_selectorELNS0_4arch9wavefront6targetE1EEEvSK_, .Lfunc_end1593-_ZN7rocprim17ROCPRIM_400000_NS6detail17trampoline_kernelINS0_14default_configENS1_35radix_sort_onesweep_config_selectorIxNS0_10empty_typeEEEZZNS1_29radix_sort_onesweep_iterationIS3_Lb0EN6thrust23THRUST_200600_302600_NS6detail15normal_iteratorINS9_10device_ptrIxEEEESE_PS5_SF_jNS0_19identity_decomposerENS1_16block_id_wrapperIjLb0EEEEE10hipError_tT1_PNSt15iterator_traitsISK_E10value_typeET2_T3_PNSL_ISQ_E10value_typeET4_T5_PSV_SW_PNS1_23onesweep_lookback_stateEbbT6_jjT7_P12ihipStream_tbENKUlT_T0_SK_SP_E_clIPxSE_SF_SF_EEDaS13_S14_SK_SP_EUlS13_E_NS1_11comp_targetILNS1_3genE10ELNS1_11target_archE1201ELNS1_3gpuE5ELNS1_3repE0EEENS1_47radix_sort_onesweep_sort_config_static_selectorELNS0_4arch9wavefront6targetE1EEEvSK_
                                        ; -- End function
	.section	.AMDGPU.csdata,"",@progbits
; Kernel info:
; codeLenInByte = 0
; NumSgprs: 4
; NumVgprs: 0
; NumAgprs: 0
; TotalNumVgprs: 0
; ScratchSize: 0
; MemoryBound: 0
; FloatMode: 240
; IeeeMode: 1
; LDSByteSize: 0 bytes/workgroup (compile time only)
; SGPRBlocks: 0
; VGPRBlocks: 0
; NumSGPRsForWavesPerEU: 4
; NumVGPRsForWavesPerEU: 1
; AccumOffset: 4
; Occupancy: 8
; WaveLimiterHint : 0
; COMPUTE_PGM_RSRC2:SCRATCH_EN: 0
; COMPUTE_PGM_RSRC2:USER_SGPR: 6
; COMPUTE_PGM_RSRC2:TRAP_HANDLER: 0
; COMPUTE_PGM_RSRC2:TGID_X_EN: 1
; COMPUTE_PGM_RSRC2:TGID_Y_EN: 0
; COMPUTE_PGM_RSRC2:TGID_Z_EN: 0
; COMPUTE_PGM_RSRC2:TIDIG_COMP_CNT: 0
; COMPUTE_PGM_RSRC3_GFX90A:ACCUM_OFFSET: 0
; COMPUTE_PGM_RSRC3_GFX90A:TG_SPLIT: 0
	.section	.text._ZN7rocprim17ROCPRIM_400000_NS6detail17trampoline_kernelINS0_14default_configENS1_35radix_sort_onesweep_config_selectorIxNS0_10empty_typeEEEZZNS1_29radix_sort_onesweep_iterationIS3_Lb0EN6thrust23THRUST_200600_302600_NS6detail15normal_iteratorINS9_10device_ptrIxEEEESE_PS5_SF_jNS0_19identity_decomposerENS1_16block_id_wrapperIjLb0EEEEE10hipError_tT1_PNSt15iterator_traitsISK_E10value_typeET2_T3_PNSL_ISQ_E10value_typeET4_T5_PSV_SW_PNS1_23onesweep_lookback_stateEbbT6_jjT7_P12ihipStream_tbENKUlT_T0_SK_SP_E_clIPxSE_SF_SF_EEDaS13_S14_SK_SP_EUlS13_E_NS1_11comp_targetILNS1_3genE9ELNS1_11target_archE1100ELNS1_3gpuE3ELNS1_3repE0EEENS1_47radix_sort_onesweep_sort_config_static_selectorELNS0_4arch9wavefront6targetE1EEEvSK_,"axG",@progbits,_ZN7rocprim17ROCPRIM_400000_NS6detail17trampoline_kernelINS0_14default_configENS1_35radix_sort_onesweep_config_selectorIxNS0_10empty_typeEEEZZNS1_29radix_sort_onesweep_iterationIS3_Lb0EN6thrust23THRUST_200600_302600_NS6detail15normal_iteratorINS9_10device_ptrIxEEEESE_PS5_SF_jNS0_19identity_decomposerENS1_16block_id_wrapperIjLb0EEEEE10hipError_tT1_PNSt15iterator_traitsISK_E10value_typeET2_T3_PNSL_ISQ_E10value_typeET4_T5_PSV_SW_PNS1_23onesweep_lookback_stateEbbT6_jjT7_P12ihipStream_tbENKUlT_T0_SK_SP_E_clIPxSE_SF_SF_EEDaS13_S14_SK_SP_EUlS13_E_NS1_11comp_targetILNS1_3genE9ELNS1_11target_archE1100ELNS1_3gpuE3ELNS1_3repE0EEENS1_47radix_sort_onesweep_sort_config_static_selectorELNS0_4arch9wavefront6targetE1EEEvSK_,comdat
	.protected	_ZN7rocprim17ROCPRIM_400000_NS6detail17trampoline_kernelINS0_14default_configENS1_35radix_sort_onesweep_config_selectorIxNS0_10empty_typeEEEZZNS1_29radix_sort_onesweep_iterationIS3_Lb0EN6thrust23THRUST_200600_302600_NS6detail15normal_iteratorINS9_10device_ptrIxEEEESE_PS5_SF_jNS0_19identity_decomposerENS1_16block_id_wrapperIjLb0EEEEE10hipError_tT1_PNSt15iterator_traitsISK_E10value_typeET2_T3_PNSL_ISQ_E10value_typeET4_T5_PSV_SW_PNS1_23onesweep_lookback_stateEbbT6_jjT7_P12ihipStream_tbENKUlT_T0_SK_SP_E_clIPxSE_SF_SF_EEDaS13_S14_SK_SP_EUlS13_E_NS1_11comp_targetILNS1_3genE9ELNS1_11target_archE1100ELNS1_3gpuE3ELNS1_3repE0EEENS1_47radix_sort_onesweep_sort_config_static_selectorELNS0_4arch9wavefront6targetE1EEEvSK_ ; -- Begin function _ZN7rocprim17ROCPRIM_400000_NS6detail17trampoline_kernelINS0_14default_configENS1_35radix_sort_onesweep_config_selectorIxNS0_10empty_typeEEEZZNS1_29radix_sort_onesweep_iterationIS3_Lb0EN6thrust23THRUST_200600_302600_NS6detail15normal_iteratorINS9_10device_ptrIxEEEESE_PS5_SF_jNS0_19identity_decomposerENS1_16block_id_wrapperIjLb0EEEEE10hipError_tT1_PNSt15iterator_traitsISK_E10value_typeET2_T3_PNSL_ISQ_E10value_typeET4_T5_PSV_SW_PNS1_23onesweep_lookback_stateEbbT6_jjT7_P12ihipStream_tbENKUlT_T0_SK_SP_E_clIPxSE_SF_SF_EEDaS13_S14_SK_SP_EUlS13_E_NS1_11comp_targetILNS1_3genE9ELNS1_11target_archE1100ELNS1_3gpuE3ELNS1_3repE0EEENS1_47radix_sort_onesweep_sort_config_static_selectorELNS0_4arch9wavefront6targetE1EEEvSK_
	.globl	_ZN7rocprim17ROCPRIM_400000_NS6detail17trampoline_kernelINS0_14default_configENS1_35radix_sort_onesweep_config_selectorIxNS0_10empty_typeEEEZZNS1_29radix_sort_onesweep_iterationIS3_Lb0EN6thrust23THRUST_200600_302600_NS6detail15normal_iteratorINS9_10device_ptrIxEEEESE_PS5_SF_jNS0_19identity_decomposerENS1_16block_id_wrapperIjLb0EEEEE10hipError_tT1_PNSt15iterator_traitsISK_E10value_typeET2_T3_PNSL_ISQ_E10value_typeET4_T5_PSV_SW_PNS1_23onesweep_lookback_stateEbbT6_jjT7_P12ihipStream_tbENKUlT_T0_SK_SP_E_clIPxSE_SF_SF_EEDaS13_S14_SK_SP_EUlS13_E_NS1_11comp_targetILNS1_3genE9ELNS1_11target_archE1100ELNS1_3gpuE3ELNS1_3repE0EEENS1_47radix_sort_onesweep_sort_config_static_selectorELNS0_4arch9wavefront6targetE1EEEvSK_
	.p2align	8
	.type	_ZN7rocprim17ROCPRIM_400000_NS6detail17trampoline_kernelINS0_14default_configENS1_35radix_sort_onesweep_config_selectorIxNS0_10empty_typeEEEZZNS1_29radix_sort_onesweep_iterationIS3_Lb0EN6thrust23THRUST_200600_302600_NS6detail15normal_iteratorINS9_10device_ptrIxEEEESE_PS5_SF_jNS0_19identity_decomposerENS1_16block_id_wrapperIjLb0EEEEE10hipError_tT1_PNSt15iterator_traitsISK_E10value_typeET2_T3_PNSL_ISQ_E10value_typeET4_T5_PSV_SW_PNS1_23onesweep_lookback_stateEbbT6_jjT7_P12ihipStream_tbENKUlT_T0_SK_SP_E_clIPxSE_SF_SF_EEDaS13_S14_SK_SP_EUlS13_E_NS1_11comp_targetILNS1_3genE9ELNS1_11target_archE1100ELNS1_3gpuE3ELNS1_3repE0EEENS1_47radix_sort_onesweep_sort_config_static_selectorELNS0_4arch9wavefront6targetE1EEEvSK_,@function
_ZN7rocprim17ROCPRIM_400000_NS6detail17trampoline_kernelINS0_14default_configENS1_35radix_sort_onesweep_config_selectorIxNS0_10empty_typeEEEZZNS1_29radix_sort_onesweep_iterationIS3_Lb0EN6thrust23THRUST_200600_302600_NS6detail15normal_iteratorINS9_10device_ptrIxEEEESE_PS5_SF_jNS0_19identity_decomposerENS1_16block_id_wrapperIjLb0EEEEE10hipError_tT1_PNSt15iterator_traitsISK_E10value_typeET2_T3_PNSL_ISQ_E10value_typeET4_T5_PSV_SW_PNS1_23onesweep_lookback_stateEbbT6_jjT7_P12ihipStream_tbENKUlT_T0_SK_SP_E_clIPxSE_SF_SF_EEDaS13_S14_SK_SP_EUlS13_E_NS1_11comp_targetILNS1_3genE9ELNS1_11target_archE1100ELNS1_3gpuE3ELNS1_3repE0EEENS1_47radix_sort_onesweep_sort_config_static_selectorELNS0_4arch9wavefront6targetE1EEEvSK_: ; @_ZN7rocprim17ROCPRIM_400000_NS6detail17trampoline_kernelINS0_14default_configENS1_35radix_sort_onesweep_config_selectorIxNS0_10empty_typeEEEZZNS1_29radix_sort_onesweep_iterationIS3_Lb0EN6thrust23THRUST_200600_302600_NS6detail15normal_iteratorINS9_10device_ptrIxEEEESE_PS5_SF_jNS0_19identity_decomposerENS1_16block_id_wrapperIjLb0EEEEE10hipError_tT1_PNSt15iterator_traitsISK_E10value_typeET2_T3_PNSL_ISQ_E10value_typeET4_T5_PSV_SW_PNS1_23onesweep_lookback_stateEbbT6_jjT7_P12ihipStream_tbENKUlT_T0_SK_SP_E_clIPxSE_SF_SF_EEDaS13_S14_SK_SP_EUlS13_E_NS1_11comp_targetILNS1_3genE9ELNS1_11target_archE1100ELNS1_3gpuE3ELNS1_3repE0EEENS1_47radix_sort_onesweep_sort_config_static_selectorELNS0_4arch9wavefront6targetE1EEEvSK_
; %bb.0:
	.section	.rodata,"a",@progbits
	.p2align	6, 0x0
	.amdhsa_kernel _ZN7rocprim17ROCPRIM_400000_NS6detail17trampoline_kernelINS0_14default_configENS1_35radix_sort_onesweep_config_selectorIxNS0_10empty_typeEEEZZNS1_29radix_sort_onesweep_iterationIS3_Lb0EN6thrust23THRUST_200600_302600_NS6detail15normal_iteratorINS9_10device_ptrIxEEEESE_PS5_SF_jNS0_19identity_decomposerENS1_16block_id_wrapperIjLb0EEEEE10hipError_tT1_PNSt15iterator_traitsISK_E10value_typeET2_T3_PNSL_ISQ_E10value_typeET4_T5_PSV_SW_PNS1_23onesweep_lookback_stateEbbT6_jjT7_P12ihipStream_tbENKUlT_T0_SK_SP_E_clIPxSE_SF_SF_EEDaS13_S14_SK_SP_EUlS13_E_NS1_11comp_targetILNS1_3genE9ELNS1_11target_archE1100ELNS1_3gpuE3ELNS1_3repE0EEENS1_47radix_sort_onesweep_sort_config_static_selectorELNS0_4arch9wavefront6targetE1EEEvSK_
		.amdhsa_group_segment_fixed_size 0
		.amdhsa_private_segment_fixed_size 0
		.amdhsa_kernarg_size 88
		.amdhsa_user_sgpr_count 6
		.amdhsa_user_sgpr_private_segment_buffer 1
		.amdhsa_user_sgpr_dispatch_ptr 0
		.amdhsa_user_sgpr_queue_ptr 0
		.amdhsa_user_sgpr_kernarg_segment_ptr 1
		.amdhsa_user_sgpr_dispatch_id 0
		.amdhsa_user_sgpr_flat_scratch_init 0
		.amdhsa_user_sgpr_kernarg_preload_length 0
		.amdhsa_user_sgpr_kernarg_preload_offset 0
		.amdhsa_user_sgpr_private_segment_size 0
		.amdhsa_uses_dynamic_stack 0
		.amdhsa_system_sgpr_private_segment_wavefront_offset 0
		.amdhsa_system_sgpr_workgroup_id_x 1
		.amdhsa_system_sgpr_workgroup_id_y 0
		.amdhsa_system_sgpr_workgroup_id_z 0
		.amdhsa_system_sgpr_workgroup_info 0
		.amdhsa_system_vgpr_workitem_id 0
		.amdhsa_next_free_vgpr 1
		.amdhsa_next_free_sgpr 0
		.amdhsa_accum_offset 4
		.amdhsa_reserve_vcc 0
		.amdhsa_reserve_flat_scratch 0
		.amdhsa_float_round_mode_32 0
		.amdhsa_float_round_mode_16_64 0
		.amdhsa_float_denorm_mode_32 3
		.amdhsa_float_denorm_mode_16_64 3
		.amdhsa_dx10_clamp 1
		.amdhsa_ieee_mode 1
		.amdhsa_fp16_overflow 0
		.amdhsa_tg_split 0
		.amdhsa_exception_fp_ieee_invalid_op 0
		.amdhsa_exception_fp_denorm_src 0
		.amdhsa_exception_fp_ieee_div_zero 0
		.amdhsa_exception_fp_ieee_overflow 0
		.amdhsa_exception_fp_ieee_underflow 0
		.amdhsa_exception_fp_ieee_inexact 0
		.amdhsa_exception_int_div_zero 0
	.end_amdhsa_kernel
	.section	.text._ZN7rocprim17ROCPRIM_400000_NS6detail17trampoline_kernelINS0_14default_configENS1_35radix_sort_onesweep_config_selectorIxNS0_10empty_typeEEEZZNS1_29radix_sort_onesweep_iterationIS3_Lb0EN6thrust23THRUST_200600_302600_NS6detail15normal_iteratorINS9_10device_ptrIxEEEESE_PS5_SF_jNS0_19identity_decomposerENS1_16block_id_wrapperIjLb0EEEEE10hipError_tT1_PNSt15iterator_traitsISK_E10value_typeET2_T3_PNSL_ISQ_E10value_typeET4_T5_PSV_SW_PNS1_23onesweep_lookback_stateEbbT6_jjT7_P12ihipStream_tbENKUlT_T0_SK_SP_E_clIPxSE_SF_SF_EEDaS13_S14_SK_SP_EUlS13_E_NS1_11comp_targetILNS1_3genE9ELNS1_11target_archE1100ELNS1_3gpuE3ELNS1_3repE0EEENS1_47radix_sort_onesweep_sort_config_static_selectorELNS0_4arch9wavefront6targetE1EEEvSK_,"axG",@progbits,_ZN7rocprim17ROCPRIM_400000_NS6detail17trampoline_kernelINS0_14default_configENS1_35radix_sort_onesweep_config_selectorIxNS0_10empty_typeEEEZZNS1_29radix_sort_onesweep_iterationIS3_Lb0EN6thrust23THRUST_200600_302600_NS6detail15normal_iteratorINS9_10device_ptrIxEEEESE_PS5_SF_jNS0_19identity_decomposerENS1_16block_id_wrapperIjLb0EEEEE10hipError_tT1_PNSt15iterator_traitsISK_E10value_typeET2_T3_PNSL_ISQ_E10value_typeET4_T5_PSV_SW_PNS1_23onesweep_lookback_stateEbbT6_jjT7_P12ihipStream_tbENKUlT_T0_SK_SP_E_clIPxSE_SF_SF_EEDaS13_S14_SK_SP_EUlS13_E_NS1_11comp_targetILNS1_3genE9ELNS1_11target_archE1100ELNS1_3gpuE3ELNS1_3repE0EEENS1_47radix_sort_onesweep_sort_config_static_selectorELNS0_4arch9wavefront6targetE1EEEvSK_,comdat
.Lfunc_end1594:
	.size	_ZN7rocprim17ROCPRIM_400000_NS6detail17trampoline_kernelINS0_14default_configENS1_35radix_sort_onesweep_config_selectorIxNS0_10empty_typeEEEZZNS1_29radix_sort_onesweep_iterationIS3_Lb0EN6thrust23THRUST_200600_302600_NS6detail15normal_iteratorINS9_10device_ptrIxEEEESE_PS5_SF_jNS0_19identity_decomposerENS1_16block_id_wrapperIjLb0EEEEE10hipError_tT1_PNSt15iterator_traitsISK_E10value_typeET2_T3_PNSL_ISQ_E10value_typeET4_T5_PSV_SW_PNS1_23onesweep_lookback_stateEbbT6_jjT7_P12ihipStream_tbENKUlT_T0_SK_SP_E_clIPxSE_SF_SF_EEDaS13_S14_SK_SP_EUlS13_E_NS1_11comp_targetILNS1_3genE9ELNS1_11target_archE1100ELNS1_3gpuE3ELNS1_3repE0EEENS1_47radix_sort_onesweep_sort_config_static_selectorELNS0_4arch9wavefront6targetE1EEEvSK_, .Lfunc_end1594-_ZN7rocprim17ROCPRIM_400000_NS6detail17trampoline_kernelINS0_14default_configENS1_35radix_sort_onesweep_config_selectorIxNS0_10empty_typeEEEZZNS1_29radix_sort_onesweep_iterationIS3_Lb0EN6thrust23THRUST_200600_302600_NS6detail15normal_iteratorINS9_10device_ptrIxEEEESE_PS5_SF_jNS0_19identity_decomposerENS1_16block_id_wrapperIjLb0EEEEE10hipError_tT1_PNSt15iterator_traitsISK_E10value_typeET2_T3_PNSL_ISQ_E10value_typeET4_T5_PSV_SW_PNS1_23onesweep_lookback_stateEbbT6_jjT7_P12ihipStream_tbENKUlT_T0_SK_SP_E_clIPxSE_SF_SF_EEDaS13_S14_SK_SP_EUlS13_E_NS1_11comp_targetILNS1_3genE9ELNS1_11target_archE1100ELNS1_3gpuE3ELNS1_3repE0EEENS1_47radix_sort_onesweep_sort_config_static_selectorELNS0_4arch9wavefront6targetE1EEEvSK_
                                        ; -- End function
	.section	.AMDGPU.csdata,"",@progbits
; Kernel info:
; codeLenInByte = 0
; NumSgprs: 4
; NumVgprs: 0
; NumAgprs: 0
; TotalNumVgprs: 0
; ScratchSize: 0
; MemoryBound: 0
; FloatMode: 240
; IeeeMode: 1
; LDSByteSize: 0 bytes/workgroup (compile time only)
; SGPRBlocks: 0
; VGPRBlocks: 0
; NumSGPRsForWavesPerEU: 4
; NumVGPRsForWavesPerEU: 1
; AccumOffset: 4
; Occupancy: 8
; WaveLimiterHint : 0
; COMPUTE_PGM_RSRC2:SCRATCH_EN: 0
; COMPUTE_PGM_RSRC2:USER_SGPR: 6
; COMPUTE_PGM_RSRC2:TRAP_HANDLER: 0
; COMPUTE_PGM_RSRC2:TGID_X_EN: 1
; COMPUTE_PGM_RSRC2:TGID_Y_EN: 0
; COMPUTE_PGM_RSRC2:TGID_Z_EN: 0
; COMPUTE_PGM_RSRC2:TIDIG_COMP_CNT: 0
; COMPUTE_PGM_RSRC3_GFX90A:ACCUM_OFFSET: 0
; COMPUTE_PGM_RSRC3_GFX90A:TG_SPLIT: 0
	.section	.text._ZN7rocprim17ROCPRIM_400000_NS6detail17trampoline_kernelINS0_14default_configENS1_35radix_sort_onesweep_config_selectorIxNS0_10empty_typeEEEZZNS1_29radix_sort_onesweep_iterationIS3_Lb0EN6thrust23THRUST_200600_302600_NS6detail15normal_iteratorINS9_10device_ptrIxEEEESE_PS5_SF_jNS0_19identity_decomposerENS1_16block_id_wrapperIjLb0EEEEE10hipError_tT1_PNSt15iterator_traitsISK_E10value_typeET2_T3_PNSL_ISQ_E10value_typeET4_T5_PSV_SW_PNS1_23onesweep_lookback_stateEbbT6_jjT7_P12ihipStream_tbENKUlT_T0_SK_SP_E_clIPxSE_SF_SF_EEDaS13_S14_SK_SP_EUlS13_E_NS1_11comp_targetILNS1_3genE8ELNS1_11target_archE1030ELNS1_3gpuE2ELNS1_3repE0EEENS1_47radix_sort_onesweep_sort_config_static_selectorELNS0_4arch9wavefront6targetE1EEEvSK_,"axG",@progbits,_ZN7rocprim17ROCPRIM_400000_NS6detail17trampoline_kernelINS0_14default_configENS1_35radix_sort_onesweep_config_selectorIxNS0_10empty_typeEEEZZNS1_29radix_sort_onesweep_iterationIS3_Lb0EN6thrust23THRUST_200600_302600_NS6detail15normal_iteratorINS9_10device_ptrIxEEEESE_PS5_SF_jNS0_19identity_decomposerENS1_16block_id_wrapperIjLb0EEEEE10hipError_tT1_PNSt15iterator_traitsISK_E10value_typeET2_T3_PNSL_ISQ_E10value_typeET4_T5_PSV_SW_PNS1_23onesweep_lookback_stateEbbT6_jjT7_P12ihipStream_tbENKUlT_T0_SK_SP_E_clIPxSE_SF_SF_EEDaS13_S14_SK_SP_EUlS13_E_NS1_11comp_targetILNS1_3genE8ELNS1_11target_archE1030ELNS1_3gpuE2ELNS1_3repE0EEENS1_47radix_sort_onesweep_sort_config_static_selectorELNS0_4arch9wavefront6targetE1EEEvSK_,comdat
	.protected	_ZN7rocprim17ROCPRIM_400000_NS6detail17trampoline_kernelINS0_14default_configENS1_35radix_sort_onesweep_config_selectorIxNS0_10empty_typeEEEZZNS1_29radix_sort_onesweep_iterationIS3_Lb0EN6thrust23THRUST_200600_302600_NS6detail15normal_iteratorINS9_10device_ptrIxEEEESE_PS5_SF_jNS0_19identity_decomposerENS1_16block_id_wrapperIjLb0EEEEE10hipError_tT1_PNSt15iterator_traitsISK_E10value_typeET2_T3_PNSL_ISQ_E10value_typeET4_T5_PSV_SW_PNS1_23onesweep_lookback_stateEbbT6_jjT7_P12ihipStream_tbENKUlT_T0_SK_SP_E_clIPxSE_SF_SF_EEDaS13_S14_SK_SP_EUlS13_E_NS1_11comp_targetILNS1_3genE8ELNS1_11target_archE1030ELNS1_3gpuE2ELNS1_3repE0EEENS1_47radix_sort_onesweep_sort_config_static_selectorELNS0_4arch9wavefront6targetE1EEEvSK_ ; -- Begin function _ZN7rocprim17ROCPRIM_400000_NS6detail17trampoline_kernelINS0_14default_configENS1_35radix_sort_onesweep_config_selectorIxNS0_10empty_typeEEEZZNS1_29radix_sort_onesweep_iterationIS3_Lb0EN6thrust23THRUST_200600_302600_NS6detail15normal_iteratorINS9_10device_ptrIxEEEESE_PS5_SF_jNS0_19identity_decomposerENS1_16block_id_wrapperIjLb0EEEEE10hipError_tT1_PNSt15iterator_traitsISK_E10value_typeET2_T3_PNSL_ISQ_E10value_typeET4_T5_PSV_SW_PNS1_23onesweep_lookback_stateEbbT6_jjT7_P12ihipStream_tbENKUlT_T0_SK_SP_E_clIPxSE_SF_SF_EEDaS13_S14_SK_SP_EUlS13_E_NS1_11comp_targetILNS1_3genE8ELNS1_11target_archE1030ELNS1_3gpuE2ELNS1_3repE0EEENS1_47radix_sort_onesweep_sort_config_static_selectorELNS0_4arch9wavefront6targetE1EEEvSK_
	.globl	_ZN7rocprim17ROCPRIM_400000_NS6detail17trampoline_kernelINS0_14default_configENS1_35radix_sort_onesweep_config_selectorIxNS0_10empty_typeEEEZZNS1_29radix_sort_onesweep_iterationIS3_Lb0EN6thrust23THRUST_200600_302600_NS6detail15normal_iteratorINS9_10device_ptrIxEEEESE_PS5_SF_jNS0_19identity_decomposerENS1_16block_id_wrapperIjLb0EEEEE10hipError_tT1_PNSt15iterator_traitsISK_E10value_typeET2_T3_PNSL_ISQ_E10value_typeET4_T5_PSV_SW_PNS1_23onesweep_lookback_stateEbbT6_jjT7_P12ihipStream_tbENKUlT_T0_SK_SP_E_clIPxSE_SF_SF_EEDaS13_S14_SK_SP_EUlS13_E_NS1_11comp_targetILNS1_3genE8ELNS1_11target_archE1030ELNS1_3gpuE2ELNS1_3repE0EEENS1_47radix_sort_onesweep_sort_config_static_selectorELNS0_4arch9wavefront6targetE1EEEvSK_
	.p2align	8
	.type	_ZN7rocprim17ROCPRIM_400000_NS6detail17trampoline_kernelINS0_14default_configENS1_35radix_sort_onesweep_config_selectorIxNS0_10empty_typeEEEZZNS1_29radix_sort_onesweep_iterationIS3_Lb0EN6thrust23THRUST_200600_302600_NS6detail15normal_iteratorINS9_10device_ptrIxEEEESE_PS5_SF_jNS0_19identity_decomposerENS1_16block_id_wrapperIjLb0EEEEE10hipError_tT1_PNSt15iterator_traitsISK_E10value_typeET2_T3_PNSL_ISQ_E10value_typeET4_T5_PSV_SW_PNS1_23onesweep_lookback_stateEbbT6_jjT7_P12ihipStream_tbENKUlT_T0_SK_SP_E_clIPxSE_SF_SF_EEDaS13_S14_SK_SP_EUlS13_E_NS1_11comp_targetILNS1_3genE8ELNS1_11target_archE1030ELNS1_3gpuE2ELNS1_3repE0EEENS1_47radix_sort_onesweep_sort_config_static_selectorELNS0_4arch9wavefront6targetE1EEEvSK_,@function
_ZN7rocprim17ROCPRIM_400000_NS6detail17trampoline_kernelINS0_14default_configENS1_35radix_sort_onesweep_config_selectorIxNS0_10empty_typeEEEZZNS1_29radix_sort_onesweep_iterationIS3_Lb0EN6thrust23THRUST_200600_302600_NS6detail15normal_iteratorINS9_10device_ptrIxEEEESE_PS5_SF_jNS0_19identity_decomposerENS1_16block_id_wrapperIjLb0EEEEE10hipError_tT1_PNSt15iterator_traitsISK_E10value_typeET2_T3_PNSL_ISQ_E10value_typeET4_T5_PSV_SW_PNS1_23onesweep_lookback_stateEbbT6_jjT7_P12ihipStream_tbENKUlT_T0_SK_SP_E_clIPxSE_SF_SF_EEDaS13_S14_SK_SP_EUlS13_E_NS1_11comp_targetILNS1_3genE8ELNS1_11target_archE1030ELNS1_3gpuE2ELNS1_3repE0EEENS1_47radix_sort_onesweep_sort_config_static_selectorELNS0_4arch9wavefront6targetE1EEEvSK_: ; @_ZN7rocprim17ROCPRIM_400000_NS6detail17trampoline_kernelINS0_14default_configENS1_35radix_sort_onesweep_config_selectorIxNS0_10empty_typeEEEZZNS1_29radix_sort_onesweep_iterationIS3_Lb0EN6thrust23THRUST_200600_302600_NS6detail15normal_iteratorINS9_10device_ptrIxEEEESE_PS5_SF_jNS0_19identity_decomposerENS1_16block_id_wrapperIjLb0EEEEE10hipError_tT1_PNSt15iterator_traitsISK_E10value_typeET2_T3_PNSL_ISQ_E10value_typeET4_T5_PSV_SW_PNS1_23onesweep_lookback_stateEbbT6_jjT7_P12ihipStream_tbENKUlT_T0_SK_SP_E_clIPxSE_SF_SF_EEDaS13_S14_SK_SP_EUlS13_E_NS1_11comp_targetILNS1_3genE8ELNS1_11target_archE1030ELNS1_3gpuE2ELNS1_3repE0EEENS1_47radix_sort_onesweep_sort_config_static_selectorELNS0_4arch9wavefront6targetE1EEEvSK_
; %bb.0:
	.section	.rodata,"a",@progbits
	.p2align	6, 0x0
	.amdhsa_kernel _ZN7rocprim17ROCPRIM_400000_NS6detail17trampoline_kernelINS0_14default_configENS1_35radix_sort_onesweep_config_selectorIxNS0_10empty_typeEEEZZNS1_29radix_sort_onesweep_iterationIS3_Lb0EN6thrust23THRUST_200600_302600_NS6detail15normal_iteratorINS9_10device_ptrIxEEEESE_PS5_SF_jNS0_19identity_decomposerENS1_16block_id_wrapperIjLb0EEEEE10hipError_tT1_PNSt15iterator_traitsISK_E10value_typeET2_T3_PNSL_ISQ_E10value_typeET4_T5_PSV_SW_PNS1_23onesweep_lookback_stateEbbT6_jjT7_P12ihipStream_tbENKUlT_T0_SK_SP_E_clIPxSE_SF_SF_EEDaS13_S14_SK_SP_EUlS13_E_NS1_11comp_targetILNS1_3genE8ELNS1_11target_archE1030ELNS1_3gpuE2ELNS1_3repE0EEENS1_47radix_sort_onesweep_sort_config_static_selectorELNS0_4arch9wavefront6targetE1EEEvSK_
		.amdhsa_group_segment_fixed_size 0
		.amdhsa_private_segment_fixed_size 0
		.amdhsa_kernarg_size 88
		.amdhsa_user_sgpr_count 6
		.amdhsa_user_sgpr_private_segment_buffer 1
		.amdhsa_user_sgpr_dispatch_ptr 0
		.amdhsa_user_sgpr_queue_ptr 0
		.amdhsa_user_sgpr_kernarg_segment_ptr 1
		.amdhsa_user_sgpr_dispatch_id 0
		.amdhsa_user_sgpr_flat_scratch_init 0
		.amdhsa_user_sgpr_kernarg_preload_length 0
		.amdhsa_user_sgpr_kernarg_preload_offset 0
		.amdhsa_user_sgpr_private_segment_size 0
		.amdhsa_uses_dynamic_stack 0
		.amdhsa_system_sgpr_private_segment_wavefront_offset 0
		.amdhsa_system_sgpr_workgroup_id_x 1
		.amdhsa_system_sgpr_workgroup_id_y 0
		.amdhsa_system_sgpr_workgroup_id_z 0
		.amdhsa_system_sgpr_workgroup_info 0
		.amdhsa_system_vgpr_workitem_id 0
		.amdhsa_next_free_vgpr 1
		.amdhsa_next_free_sgpr 0
		.amdhsa_accum_offset 4
		.amdhsa_reserve_vcc 0
		.amdhsa_reserve_flat_scratch 0
		.amdhsa_float_round_mode_32 0
		.amdhsa_float_round_mode_16_64 0
		.amdhsa_float_denorm_mode_32 3
		.amdhsa_float_denorm_mode_16_64 3
		.amdhsa_dx10_clamp 1
		.amdhsa_ieee_mode 1
		.amdhsa_fp16_overflow 0
		.amdhsa_tg_split 0
		.amdhsa_exception_fp_ieee_invalid_op 0
		.amdhsa_exception_fp_denorm_src 0
		.amdhsa_exception_fp_ieee_div_zero 0
		.amdhsa_exception_fp_ieee_overflow 0
		.amdhsa_exception_fp_ieee_underflow 0
		.amdhsa_exception_fp_ieee_inexact 0
		.amdhsa_exception_int_div_zero 0
	.end_amdhsa_kernel
	.section	.text._ZN7rocprim17ROCPRIM_400000_NS6detail17trampoline_kernelINS0_14default_configENS1_35radix_sort_onesweep_config_selectorIxNS0_10empty_typeEEEZZNS1_29radix_sort_onesweep_iterationIS3_Lb0EN6thrust23THRUST_200600_302600_NS6detail15normal_iteratorINS9_10device_ptrIxEEEESE_PS5_SF_jNS0_19identity_decomposerENS1_16block_id_wrapperIjLb0EEEEE10hipError_tT1_PNSt15iterator_traitsISK_E10value_typeET2_T3_PNSL_ISQ_E10value_typeET4_T5_PSV_SW_PNS1_23onesweep_lookback_stateEbbT6_jjT7_P12ihipStream_tbENKUlT_T0_SK_SP_E_clIPxSE_SF_SF_EEDaS13_S14_SK_SP_EUlS13_E_NS1_11comp_targetILNS1_3genE8ELNS1_11target_archE1030ELNS1_3gpuE2ELNS1_3repE0EEENS1_47radix_sort_onesweep_sort_config_static_selectorELNS0_4arch9wavefront6targetE1EEEvSK_,"axG",@progbits,_ZN7rocprim17ROCPRIM_400000_NS6detail17trampoline_kernelINS0_14default_configENS1_35radix_sort_onesweep_config_selectorIxNS0_10empty_typeEEEZZNS1_29radix_sort_onesweep_iterationIS3_Lb0EN6thrust23THRUST_200600_302600_NS6detail15normal_iteratorINS9_10device_ptrIxEEEESE_PS5_SF_jNS0_19identity_decomposerENS1_16block_id_wrapperIjLb0EEEEE10hipError_tT1_PNSt15iterator_traitsISK_E10value_typeET2_T3_PNSL_ISQ_E10value_typeET4_T5_PSV_SW_PNS1_23onesweep_lookback_stateEbbT6_jjT7_P12ihipStream_tbENKUlT_T0_SK_SP_E_clIPxSE_SF_SF_EEDaS13_S14_SK_SP_EUlS13_E_NS1_11comp_targetILNS1_3genE8ELNS1_11target_archE1030ELNS1_3gpuE2ELNS1_3repE0EEENS1_47radix_sort_onesweep_sort_config_static_selectorELNS0_4arch9wavefront6targetE1EEEvSK_,comdat
.Lfunc_end1595:
	.size	_ZN7rocprim17ROCPRIM_400000_NS6detail17trampoline_kernelINS0_14default_configENS1_35radix_sort_onesweep_config_selectorIxNS0_10empty_typeEEEZZNS1_29radix_sort_onesweep_iterationIS3_Lb0EN6thrust23THRUST_200600_302600_NS6detail15normal_iteratorINS9_10device_ptrIxEEEESE_PS5_SF_jNS0_19identity_decomposerENS1_16block_id_wrapperIjLb0EEEEE10hipError_tT1_PNSt15iterator_traitsISK_E10value_typeET2_T3_PNSL_ISQ_E10value_typeET4_T5_PSV_SW_PNS1_23onesweep_lookback_stateEbbT6_jjT7_P12ihipStream_tbENKUlT_T0_SK_SP_E_clIPxSE_SF_SF_EEDaS13_S14_SK_SP_EUlS13_E_NS1_11comp_targetILNS1_3genE8ELNS1_11target_archE1030ELNS1_3gpuE2ELNS1_3repE0EEENS1_47radix_sort_onesweep_sort_config_static_selectorELNS0_4arch9wavefront6targetE1EEEvSK_, .Lfunc_end1595-_ZN7rocprim17ROCPRIM_400000_NS6detail17trampoline_kernelINS0_14default_configENS1_35radix_sort_onesweep_config_selectorIxNS0_10empty_typeEEEZZNS1_29radix_sort_onesweep_iterationIS3_Lb0EN6thrust23THRUST_200600_302600_NS6detail15normal_iteratorINS9_10device_ptrIxEEEESE_PS5_SF_jNS0_19identity_decomposerENS1_16block_id_wrapperIjLb0EEEEE10hipError_tT1_PNSt15iterator_traitsISK_E10value_typeET2_T3_PNSL_ISQ_E10value_typeET4_T5_PSV_SW_PNS1_23onesweep_lookback_stateEbbT6_jjT7_P12ihipStream_tbENKUlT_T0_SK_SP_E_clIPxSE_SF_SF_EEDaS13_S14_SK_SP_EUlS13_E_NS1_11comp_targetILNS1_3genE8ELNS1_11target_archE1030ELNS1_3gpuE2ELNS1_3repE0EEENS1_47radix_sort_onesweep_sort_config_static_selectorELNS0_4arch9wavefront6targetE1EEEvSK_
                                        ; -- End function
	.section	.AMDGPU.csdata,"",@progbits
; Kernel info:
; codeLenInByte = 0
; NumSgprs: 4
; NumVgprs: 0
; NumAgprs: 0
; TotalNumVgprs: 0
; ScratchSize: 0
; MemoryBound: 0
; FloatMode: 240
; IeeeMode: 1
; LDSByteSize: 0 bytes/workgroup (compile time only)
; SGPRBlocks: 0
; VGPRBlocks: 0
; NumSGPRsForWavesPerEU: 4
; NumVGPRsForWavesPerEU: 1
; AccumOffset: 4
; Occupancy: 8
; WaveLimiterHint : 0
; COMPUTE_PGM_RSRC2:SCRATCH_EN: 0
; COMPUTE_PGM_RSRC2:USER_SGPR: 6
; COMPUTE_PGM_RSRC2:TRAP_HANDLER: 0
; COMPUTE_PGM_RSRC2:TGID_X_EN: 1
; COMPUTE_PGM_RSRC2:TGID_Y_EN: 0
; COMPUTE_PGM_RSRC2:TGID_Z_EN: 0
; COMPUTE_PGM_RSRC2:TIDIG_COMP_CNT: 0
; COMPUTE_PGM_RSRC3_GFX90A:ACCUM_OFFSET: 0
; COMPUTE_PGM_RSRC3_GFX90A:TG_SPLIT: 0
	.section	.text._ZN7rocprim17ROCPRIM_400000_NS6detail17trampoline_kernelINS0_13kernel_configILj256ELj4ELj4294967295EEENS1_37radix_sort_block_sort_config_selectorIiNS0_10empty_typeEEEZNS1_21radix_sort_block_sortIS4_Lb0EN6thrust23THRUST_200600_302600_NS6detail15normal_iteratorINSA_10device_ptrIiEEEESF_PS6_SG_NS0_19identity_decomposerEEE10hipError_tT1_T2_T3_T4_jRjT5_jjP12ihipStream_tbEUlT_E_NS1_11comp_targetILNS1_3genE0ELNS1_11target_archE4294967295ELNS1_3gpuE0ELNS1_3repE0EEENS1_44radix_sort_block_sort_config_static_selectorELNS0_4arch9wavefront6targetE1EEEvSJ_,"axG",@progbits,_ZN7rocprim17ROCPRIM_400000_NS6detail17trampoline_kernelINS0_13kernel_configILj256ELj4ELj4294967295EEENS1_37radix_sort_block_sort_config_selectorIiNS0_10empty_typeEEEZNS1_21radix_sort_block_sortIS4_Lb0EN6thrust23THRUST_200600_302600_NS6detail15normal_iteratorINSA_10device_ptrIiEEEESF_PS6_SG_NS0_19identity_decomposerEEE10hipError_tT1_T2_T3_T4_jRjT5_jjP12ihipStream_tbEUlT_E_NS1_11comp_targetILNS1_3genE0ELNS1_11target_archE4294967295ELNS1_3gpuE0ELNS1_3repE0EEENS1_44radix_sort_block_sort_config_static_selectorELNS0_4arch9wavefront6targetE1EEEvSJ_,comdat
	.protected	_ZN7rocprim17ROCPRIM_400000_NS6detail17trampoline_kernelINS0_13kernel_configILj256ELj4ELj4294967295EEENS1_37radix_sort_block_sort_config_selectorIiNS0_10empty_typeEEEZNS1_21radix_sort_block_sortIS4_Lb0EN6thrust23THRUST_200600_302600_NS6detail15normal_iteratorINSA_10device_ptrIiEEEESF_PS6_SG_NS0_19identity_decomposerEEE10hipError_tT1_T2_T3_T4_jRjT5_jjP12ihipStream_tbEUlT_E_NS1_11comp_targetILNS1_3genE0ELNS1_11target_archE4294967295ELNS1_3gpuE0ELNS1_3repE0EEENS1_44radix_sort_block_sort_config_static_selectorELNS0_4arch9wavefront6targetE1EEEvSJ_ ; -- Begin function _ZN7rocprim17ROCPRIM_400000_NS6detail17trampoline_kernelINS0_13kernel_configILj256ELj4ELj4294967295EEENS1_37radix_sort_block_sort_config_selectorIiNS0_10empty_typeEEEZNS1_21radix_sort_block_sortIS4_Lb0EN6thrust23THRUST_200600_302600_NS6detail15normal_iteratorINSA_10device_ptrIiEEEESF_PS6_SG_NS0_19identity_decomposerEEE10hipError_tT1_T2_T3_T4_jRjT5_jjP12ihipStream_tbEUlT_E_NS1_11comp_targetILNS1_3genE0ELNS1_11target_archE4294967295ELNS1_3gpuE0ELNS1_3repE0EEENS1_44radix_sort_block_sort_config_static_selectorELNS0_4arch9wavefront6targetE1EEEvSJ_
	.globl	_ZN7rocprim17ROCPRIM_400000_NS6detail17trampoline_kernelINS0_13kernel_configILj256ELj4ELj4294967295EEENS1_37radix_sort_block_sort_config_selectorIiNS0_10empty_typeEEEZNS1_21radix_sort_block_sortIS4_Lb0EN6thrust23THRUST_200600_302600_NS6detail15normal_iteratorINSA_10device_ptrIiEEEESF_PS6_SG_NS0_19identity_decomposerEEE10hipError_tT1_T2_T3_T4_jRjT5_jjP12ihipStream_tbEUlT_E_NS1_11comp_targetILNS1_3genE0ELNS1_11target_archE4294967295ELNS1_3gpuE0ELNS1_3repE0EEENS1_44radix_sort_block_sort_config_static_selectorELNS0_4arch9wavefront6targetE1EEEvSJ_
	.p2align	8
	.type	_ZN7rocprim17ROCPRIM_400000_NS6detail17trampoline_kernelINS0_13kernel_configILj256ELj4ELj4294967295EEENS1_37radix_sort_block_sort_config_selectorIiNS0_10empty_typeEEEZNS1_21radix_sort_block_sortIS4_Lb0EN6thrust23THRUST_200600_302600_NS6detail15normal_iteratorINSA_10device_ptrIiEEEESF_PS6_SG_NS0_19identity_decomposerEEE10hipError_tT1_T2_T3_T4_jRjT5_jjP12ihipStream_tbEUlT_E_NS1_11comp_targetILNS1_3genE0ELNS1_11target_archE4294967295ELNS1_3gpuE0ELNS1_3repE0EEENS1_44radix_sort_block_sort_config_static_selectorELNS0_4arch9wavefront6targetE1EEEvSJ_,@function
_ZN7rocprim17ROCPRIM_400000_NS6detail17trampoline_kernelINS0_13kernel_configILj256ELj4ELj4294967295EEENS1_37radix_sort_block_sort_config_selectorIiNS0_10empty_typeEEEZNS1_21radix_sort_block_sortIS4_Lb0EN6thrust23THRUST_200600_302600_NS6detail15normal_iteratorINSA_10device_ptrIiEEEESF_PS6_SG_NS0_19identity_decomposerEEE10hipError_tT1_T2_T3_T4_jRjT5_jjP12ihipStream_tbEUlT_E_NS1_11comp_targetILNS1_3genE0ELNS1_11target_archE4294967295ELNS1_3gpuE0ELNS1_3repE0EEENS1_44radix_sort_block_sort_config_static_selectorELNS0_4arch9wavefront6targetE1EEEvSJ_: ; @_ZN7rocprim17ROCPRIM_400000_NS6detail17trampoline_kernelINS0_13kernel_configILj256ELj4ELj4294967295EEENS1_37radix_sort_block_sort_config_selectorIiNS0_10empty_typeEEEZNS1_21radix_sort_block_sortIS4_Lb0EN6thrust23THRUST_200600_302600_NS6detail15normal_iteratorINSA_10device_ptrIiEEEESF_PS6_SG_NS0_19identity_decomposerEEE10hipError_tT1_T2_T3_T4_jRjT5_jjP12ihipStream_tbEUlT_E_NS1_11comp_targetILNS1_3genE0ELNS1_11target_archE4294967295ELNS1_3gpuE0ELNS1_3repE0EEENS1_44radix_sort_block_sort_config_static_selectorELNS0_4arch9wavefront6targetE1EEEvSJ_
; %bb.0:
	.section	.rodata,"a",@progbits
	.p2align	6, 0x0
	.amdhsa_kernel _ZN7rocprim17ROCPRIM_400000_NS6detail17trampoline_kernelINS0_13kernel_configILj256ELj4ELj4294967295EEENS1_37radix_sort_block_sort_config_selectorIiNS0_10empty_typeEEEZNS1_21radix_sort_block_sortIS4_Lb0EN6thrust23THRUST_200600_302600_NS6detail15normal_iteratorINSA_10device_ptrIiEEEESF_PS6_SG_NS0_19identity_decomposerEEE10hipError_tT1_T2_T3_T4_jRjT5_jjP12ihipStream_tbEUlT_E_NS1_11comp_targetILNS1_3genE0ELNS1_11target_archE4294967295ELNS1_3gpuE0ELNS1_3repE0EEENS1_44radix_sort_block_sort_config_static_selectorELNS0_4arch9wavefront6targetE1EEEvSJ_
		.amdhsa_group_segment_fixed_size 0
		.amdhsa_private_segment_fixed_size 0
		.amdhsa_kernarg_size 48
		.amdhsa_user_sgpr_count 6
		.amdhsa_user_sgpr_private_segment_buffer 1
		.amdhsa_user_sgpr_dispatch_ptr 0
		.amdhsa_user_sgpr_queue_ptr 0
		.amdhsa_user_sgpr_kernarg_segment_ptr 1
		.amdhsa_user_sgpr_dispatch_id 0
		.amdhsa_user_sgpr_flat_scratch_init 0
		.amdhsa_user_sgpr_kernarg_preload_length 0
		.amdhsa_user_sgpr_kernarg_preload_offset 0
		.amdhsa_user_sgpr_private_segment_size 0
		.amdhsa_uses_dynamic_stack 0
		.amdhsa_system_sgpr_private_segment_wavefront_offset 0
		.amdhsa_system_sgpr_workgroup_id_x 1
		.amdhsa_system_sgpr_workgroup_id_y 0
		.amdhsa_system_sgpr_workgroup_id_z 0
		.amdhsa_system_sgpr_workgroup_info 0
		.amdhsa_system_vgpr_workitem_id 0
		.amdhsa_next_free_vgpr 1
		.amdhsa_next_free_sgpr 0
		.amdhsa_accum_offset 4
		.amdhsa_reserve_vcc 0
		.amdhsa_reserve_flat_scratch 0
		.amdhsa_float_round_mode_32 0
		.amdhsa_float_round_mode_16_64 0
		.amdhsa_float_denorm_mode_32 3
		.amdhsa_float_denorm_mode_16_64 3
		.amdhsa_dx10_clamp 1
		.amdhsa_ieee_mode 1
		.amdhsa_fp16_overflow 0
		.amdhsa_tg_split 0
		.amdhsa_exception_fp_ieee_invalid_op 0
		.amdhsa_exception_fp_denorm_src 0
		.amdhsa_exception_fp_ieee_div_zero 0
		.amdhsa_exception_fp_ieee_overflow 0
		.amdhsa_exception_fp_ieee_underflow 0
		.amdhsa_exception_fp_ieee_inexact 0
		.amdhsa_exception_int_div_zero 0
	.end_amdhsa_kernel
	.section	.text._ZN7rocprim17ROCPRIM_400000_NS6detail17trampoline_kernelINS0_13kernel_configILj256ELj4ELj4294967295EEENS1_37radix_sort_block_sort_config_selectorIiNS0_10empty_typeEEEZNS1_21radix_sort_block_sortIS4_Lb0EN6thrust23THRUST_200600_302600_NS6detail15normal_iteratorINSA_10device_ptrIiEEEESF_PS6_SG_NS0_19identity_decomposerEEE10hipError_tT1_T2_T3_T4_jRjT5_jjP12ihipStream_tbEUlT_E_NS1_11comp_targetILNS1_3genE0ELNS1_11target_archE4294967295ELNS1_3gpuE0ELNS1_3repE0EEENS1_44radix_sort_block_sort_config_static_selectorELNS0_4arch9wavefront6targetE1EEEvSJ_,"axG",@progbits,_ZN7rocprim17ROCPRIM_400000_NS6detail17trampoline_kernelINS0_13kernel_configILj256ELj4ELj4294967295EEENS1_37radix_sort_block_sort_config_selectorIiNS0_10empty_typeEEEZNS1_21radix_sort_block_sortIS4_Lb0EN6thrust23THRUST_200600_302600_NS6detail15normal_iteratorINSA_10device_ptrIiEEEESF_PS6_SG_NS0_19identity_decomposerEEE10hipError_tT1_T2_T3_T4_jRjT5_jjP12ihipStream_tbEUlT_E_NS1_11comp_targetILNS1_3genE0ELNS1_11target_archE4294967295ELNS1_3gpuE0ELNS1_3repE0EEENS1_44radix_sort_block_sort_config_static_selectorELNS0_4arch9wavefront6targetE1EEEvSJ_,comdat
.Lfunc_end1596:
	.size	_ZN7rocprim17ROCPRIM_400000_NS6detail17trampoline_kernelINS0_13kernel_configILj256ELj4ELj4294967295EEENS1_37radix_sort_block_sort_config_selectorIiNS0_10empty_typeEEEZNS1_21radix_sort_block_sortIS4_Lb0EN6thrust23THRUST_200600_302600_NS6detail15normal_iteratorINSA_10device_ptrIiEEEESF_PS6_SG_NS0_19identity_decomposerEEE10hipError_tT1_T2_T3_T4_jRjT5_jjP12ihipStream_tbEUlT_E_NS1_11comp_targetILNS1_3genE0ELNS1_11target_archE4294967295ELNS1_3gpuE0ELNS1_3repE0EEENS1_44radix_sort_block_sort_config_static_selectorELNS0_4arch9wavefront6targetE1EEEvSJ_, .Lfunc_end1596-_ZN7rocprim17ROCPRIM_400000_NS6detail17trampoline_kernelINS0_13kernel_configILj256ELj4ELj4294967295EEENS1_37radix_sort_block_sort_config_selectorIiNS0_10empty_typeEEEZNS1_21radix_sort_block_sortIS4_Lb0EN6thrust23THRUST_200600_302600_NS6detail15normal_iteratorINSA_10device_ptrIiEEEESF_PS6_SG_NS0_19identity_decomposerEEE10hipError_tT1_T2_T3_T4_jRjT5_jjP12ihipStream_tbEUlT_E_NS1_11comp_targetILNS1_3genE0ELNS1_11target_archE4294967295ELNS1_3gpuE0ELNS1_3repE0EEENS1_44radix_sort_block_sort_config_static_selectorELNS0_4arch9wavefront6targetE1EEEvSJ_
                                        ; -- End function
	.section	.AMDGPU.csdata,"",@progbits
; Kernel info:
; codeLenInByte = 0
; NumSgprs: 4
; NumVgprs: 0
; NumAgprs: 0
; TotalNumVgprs: 0
; ScratchSize: 0
; MemoryBound: 0
; FloatMode: 240
; IeeeMode: 1
; LDSByteSize: 0 bytes/workgroup (compile time only)
; SGPRBlocks: 0
; VGPRBlocks: 0
; NumSGPRsForWavesPerEU: 4
; NumVGPRsForWavesPerEU: 1
; AccumOffset: 4
; Occupancy: 8
; WaveLimiterHint : 0
; COMPUTE_PGM_RSRC2:SCRATCH_EN: 0
; COMPUTE_PGM_RSRC2:USER_SGPR: 6
; COMPUTE_PGM_RSRC2:TRAP_HANDLER: 0
; COMPUTE_PGM_RSRC2:TGID_X_EN: 1
; COMPUTE_PGM_RSRC2:TGID_Y_EN: 0
; COMPUTE_PGM_RSRC2:TGID_Z_EN: 0
; COMPUTE_PGM_RSRC2:TIDIG_COMP_CNT: 0
; COMPUTE_PGM_RSRC3_GFX90A:ACCUM_OFFSET: 0
; COMPUTE_PGM_RSRC3_GFX90A:TG_SPLIT: 0
	.section	.text._ZN7rocprim17ROCPRIM_400000_NS6detail17trampoline_kernelINS0_13kernel_configILj256ELj4ELj4294967295EEENS1_37radix_sort_block_sort_config_selectorIiNS0_10empty_typeEEEZNS1_21radix_sort_block_sortIS4_Lb0EN6thrust23THRUST_200600_302600_NS6detail15normal_iteratorINSA_10device_ptrIiEEEESF_PS6_SG_NS0_19identity_decomposerEEE10hipError_tT1_T2_T3_T4_jRjT5_jjP12ihipStream_tbEUlT_E_NS1_11comp_targetILNS1_3genE5ELNS1_11target_archE942ELNS1_3gpuE9ELNS1_3repE0EEENS1_44radix_sort_block_sort_config_static_selectorELNS0_4arch9wavefront6targetE1EEEvSJ_,"axG",@progbits,_ZN7rocprim17ROCPRIM_400000_NS6detail17trampoline_kernelINS0_13kernel_configILj256ELj4ELj4294967295EEENS1_37radix_sort_block_sort_config_selectorIiNS0_10empty_typeEEEZNS1_21radix_sort_block_sortIS4_Lb0EN6thrust23THRUST_200600_302600_NS6detail15normal_iteratorINSA_10device_ptrIiEEEESF_PS6_SG_NS0_19identity_decomposerEEE10hipError_tT1_T2_T3_T4_jRjT5_jjP12ihipStream_tbEUlT_E_NS1_11comp_targetILNS1_3genE5ELNS1_11target_archE942ELNS1_3gpuE9ELNS1_3repE0EEENS1_44radix_sort_block_sort_config_static_selectorELNS0_4arch9wavefront6targetE1EEEvSJ_,comdat
	.protected	_ZN7rocprim17ROCPRIM_400000_NS6detail17trampoline_kernelINS0_13kernel_configILj256ELj4ELj4294967295EEENS1_37radix_sort_block_sort_config_selectorIiNS0_10empty_typeEEEZNS1_21radix_sort_block_sortIS4_Lb0EN6thrust23THRUST_200600_302600_NS6detail15normal_iteratorINSA_10device_ptrIiEEEESF_PS6_SG_NS0_19identity_decomposerEEE10hipError_tT1_T2_T3_T4_jRjT5_jjP12ihipStream_tbEUlT_E_NS1_11comp_targetILNS1_3genE5ELNS1_11target_archE942ELNS1_3gpuE9ELNS1_3repE0EEENS1_44radix_sort_block_sort_config_static_selectorELNS0_4arch9wavefront6targetE1EEEvSJ_ ; -- Begin function _ZN7rocprim17ROCPRIM_400000_NS6detail17trampoline_kernelINS0_13kernel_configILj256ELj4ELj4294967295EEENS1_37radix_sort_block_sort_config_selectorIiNS0_10empty_typeEEEZNS1_21radix_sort_block_sortIS4_Lb0EN6thrust23THRUST_200600_302600_NS6detail15normal_iteratorINSA_10device_ptrIiEEEESF_PS6_SG_NS0_19identity_decomposerEEE10hipError_tT1_T2_T3_T4_jRjT5_jjP12ihipStream_tbEUlT_E_NS1_11comp_targetILNS1_3genE5ELNS1_11target_archE942ELNS1_3gpuE9ELNS1_3repE0EEENS1_44radix_sort_block_sort_config_static_selectorELNS0_4arch9wavefront6targetE1EEEvSJ_
	.globl	_ZN7rocprim17ROCPRIM_400000_NS6detail17trampoline_kernelINS0_13kernel_configILj256ELj4ELj4294967295EEENS1_37radix_sort_block_sort_config_selectorIiNS0_10empty_typeEEEZNS1_21radix_sort_block_sortIS4_Lb0EN6thrust23THRUST_200600_302600_NS6detail15normal_iteratorINSA_10device_ptrIiEEEESF_PS6_SG_NS0_19identity_decomposerEEE10hipError_tT1_T2_T3_T4_jRjT5_jjP12ihipStream_tbEUlT_E_NS1_11comp_targetILNS1_3genE5ELNS1_11target_archE942ELNS1_3gpuE9ELNS1_3repE0EEENS1_44radix_sort_block_sort_config_static_selectorELNS0_4arch9wavefront6targetE1EEEvSJ_
	.p2align	8
	.type	_ZN7rocprim17ROCPRIM_400000_NS6detail17trampoline_kernelINS0_13kernel_configILj256ELj4ELj4294967295EEENS1_37radix_sort_block_sort_config_selectorIiNS0_10empty_typeEEEZNS1_21radix_sort_block_sortIS4_Lb0EN6thrust23THRUST_200600_302600_NS6detail15normal_iteratorINSA_10device_ptrIiEEEESF_PS6_SG_NS0_19identity_decomposerEEE10hipError_tT1_T2_T3_T4_jRjT5_jjP12ihipStream_tbEUlT_E_NS1_11comp_targetILNS1_3genE5ELNS1_11target_archE942ELNS1_3gpuE9ELNS1_3repE0EEENS1_44radix_sort_block_sort_config_static_selectorELNS0_4arch9wavefront6targetE1EEEvSJ_,@function
_ZN7rocprim17ROCPRIM_400000_NS6detail17trampoline_kernelINS0_13kernel_configILj256ELj4ELj4294967295EEENS1_37radix_sort_block_sort_config_selectorIiNS0_10empty_typeEEEZNS1_21radix_sort_block_sortIS4_Lb0EN6thrust23THRUST_200600_302600_NS6detail15normal_iteratorINSA_10device_ptrIiEEEESF_PS6_SG_NS0_19identity_decomposerEEE10hipError_tT1_T2_T3_T4_jRjT5_jjP12ihipStream_tbEUlT_E_NS1_11comp_targetILNS1_3genE5ELNS1_11target_archE942ELNS1_3gpuE9ELNS1_3repE0EEENS1_44radix_sort_block_sort_config_static_selectorELNS0_4arch9wavefront6targetE1EEEvSJ_: ; @_ZN7rocprim17ROCPRIM_400000_NS6detail17trampoline_kernelINS0_13kernel_configILj256ELj4ELj4294967295EEENS1_37radix_sort_block_sort_config_selectorIiNS0_10empty_typeEEEZNS1_21radix_sort_block_sortIS4_Lb0EN6thrust23THRUST_200600_302600_NS6detail15normal_iteratorINSA_10device_ptrIiEEEESF_PS6_SG_NS0_19identity_decomposerEEE10hipError_tT1_T2_T3_T4_jRjT5_jjP12ihipStream_tbEUlT_E_NS1_11comp_targetILNS1_3genE5ELNS1_11target_archE942ELNS1_3gpuE9ELNS1_3repE0EEENS1_44radix_sort_block_sort_config_static_selectorELNS0_4arch9wavefront6targetE1EEEvSJ_
; %bb.0:
	.section	.rodata,"a",@progbits
	.p2align	6, 0x0
	.amdhsa_kernel _ZN7rocprim17ROCPRIM_400000_NS6detail17trampoline_kernelINS0_13kernel_configILj256ELj4ELj4294967295EEENS1_37radix_sort_block_sort_config_selectorIiNS0_10empty_typeEEEZNS1_21radix_sort_block_sortIS4_Lb0EN6thrust23THRUST_200600_302600_NS6detail15normal_iteratorINSA_10device_ptrIiEEEESF_PS6_SG_NS0_19identity_decomposerEEE10hipError_tT1_T2_T3_T4_jRjT5_jjP12ihipStream_tbEUlT_E_NS1_11comp_targetILNS1_3genE5ELNS1_11target_archE942ELNS1_3gpuE9ELNS1_3repE0EEENS1_44radix_sort_block_sort_config_static_selectorELNS0_4arch9wavefront6targetE1EEEvSJ_
		.amdhsa_group_segment_fixed_size 0
		.amdhsa_private_segment_fixed_size 0
		.amdhsa_kernarg_size 48
		.amdhsa_user_sgpr_count 6
		.amdhsa_user_sgpr_private_segment_buffer 1
		.amdhsa_user_sgpr_dispatch_ptr 0
		.amdhsa_user_sgpr_queue_ptr 0
		.amdhsa_user_sgpr_kernarg_segment_ptr 1
		.amdhsa_user_sgpr_dispatch_id 0
		.amdhsa_user_sgpr_flat_scratch_init 0
		.amdhsa_user_sgpr_kernarg_preload_length 0
		.amdhsa_user_sgpr_kernarg_preload_offset 0
		.amdhsa_user_sgpr_private_segment_size 0
		.amdhsa_uses_dynamic_stack 0
		.amdhsa_system_sgpr_private_segment_wavefront_offset 0
		.amdhsa_system_sgpr_workgroup_id_x 1
		.amdhsa_system_sgpr_workgroup_id_y 0
		.amdhsa_system_sgpr_workgroup_id_z 0
		.amdhsa_system_sgpr_workgroup_info 0
		.amdhsa_system_vgpr_workitem_id 0
		.amdhsa_next_free_vgpr 1
		.amdhsa_next_free_sgpr 0
		.amdhsa_accum_offset 4
		.amdhsa_reserve_vcc 0
		.amdhsa_reserve_flat_scratch 0
		.amdhsa_float_round_mode_32 0
		.amdhsa_float_round_mode_16_64 0
		.amdhsa_float_denorm_mode_32 3
		.amdhsa_float_denorm_mode_16_64 3
		.amdhsa_dx10_clamp 1
		.amdhsa_ieee_mode 1
		.amdhsa_fp16_overflow 0
		.amdhsa_tg_split 0
		.amdhsa_exception_fp_ieee_invalid_op 0
		.amdhsa_exception_fp_denorm_src 0
		.amdhsa_exception_fp_ieee_div_zero 0
		.amdhsa_exception_fp_ieee_overflow 0
		.amdhsa_exception_fp_ieee_underflow 0
		.amdhsa_exception_fp_ieee_inexact 0
		.amdhsa_exception_int_div_zero 0
	.end_amdhsa_kernel
	.section	.text._ZN7rocprim17ROCPRIM_400000_NS6detail17trampoline_kernelINS0_13kernel_configILj256ELj4ELj4294967295EEENS1_37radix_sort_block_sort_config_selectorIiNS0_10empty_typeEEEZNS1_21radix_sort_block_sortIS4_Lb0EN6thrust23THRUST_200600_302600_NS6detail15normal_iteratorINSA_10device_ptrIiEEEESF_PS6_SG_NS0_19identity_decomposerEEE10hipError_tT1_T2_T3_T4_jRjT5_jjP12ihipStream_tbEUlT_E_NS1_11comp_targetILNS1_3genE5ELNS1_11target_archE942ELNS1_3gpuE9ELNS1_3repE0EEENS1_44radix_sort_block_sort_config_static_selectorELNS0_4arch9wavefront6targetE1EEEvSJ_,"axG",@progbits,_ZN7rocprim17ROCPRIM_400000_NS6detail17trampoline_kernelINS0_13kernel_configILj256ELj4ELj4294967295EEENS1_37radix_sort_block_sort_config_selectorIiNS0_10empty_typeEEEZNS1_21radix_sort_block_sortIS4_Lb0EN6thrust23THRUST_200600_302600_NS6detail15normal_iteratorINSA_10device_ptrIiEEEESF_PS6_SG_NS0_19identity_decomposerEEE10hipError_tT1_T2_T3_T4_jRjT5_jjP12ihipStream_tbEUlT_E_NS1_11comp_targetILNS1_3genE5ELNS1_11target_archE942ELNS1_3gpuE9ELNS1_3repE0EEENS1_44radix_sort_block_sort_config_static_selectorELNS0_4arch9wavefront6targetE1EEEvSJ_,comdat
.Lfunc_end1597:
	.size	_ZN7rocprim17ROCPRIM_400000_NS6detail17trampoline_kernelINS0_13kernel_configILj256ELj4ELj4294967295EEENS1_37radix_sort_block_sort_config_selectorIiNS0_10empty_typeEEEZNS1_21radix_sort_block_sortIS4_Lb0EN6thrust23THRUST_200600_302600_NS6detail15normal_iteratorINSA_10device_ptrIiEEEESF_PS6_SG_NS0_19identity_decomposerEEE10hipError_tT1_T2_T3_T4_jRjT5_jjP12ihipStream_tbEUlT_E_NS1_11comp_targetILNS1_3genE5ELNS1_11target_archE942ELNS1_3gpuE9ELNS1_3repE0EEENS1_44radix_sort_block_sort_config_static_selectorELNS0_4arch9wavefront6targetE1EEEvSJ_, .Lfunc_end1597-_ZN7rocprim17ROCPRIM_400000_NS6detail17trampoline_kernelINS0_13kernel_configILj256ELj4ELj4294967295EEENS1_37radix_sort_block_sort_config_selectorIiNS0_10empty_typeEEEZNS1_21radix_sort_block_sortIS4_Lb0EN6thrust23THRUST_200600_302600_NS6detail15normal_iteratorINSA_10device_ptrIiEEEESF_PS6_SG_NS0_19identity_decomposerEEE10hipError_tT1_T2_T3_T4_jRjT5_jjP12ihipStream_tbEUlT_E_NS1_11comp_targetILNS1_3genE5ELNS1_11target_archE942ELNS1_3gpuE9ELNS1_3repE0EEENS1_44radix_sort_block_sort_config_static_selectorELNS0_4arch9wavefront6targetE1EEEvSJ_
                                        ; -- End function
	.section	.AMDGPU.csdata,"",@progbits
; Kernel info:
; codeLenInByte = 0
; NumSgprs: 4
; NumVgprs: 0
; NumAgprs: 0
; TotalNumVgprs: 0
; ScratchSize: 0
; MemoryBound: 0
; FloatMode: 240
; IeeeMode: 1
; LDSByteSize: 0 bytes/workgroup (compile time only)
; SGPRBlocks: 0
; VGPRBlocks: 0
; NumSGPRsForWavesPerEU: 4
; NumVGPRsForWavesPerEU: 1
; AccumOffset: 4
; Occupancy: 8
; WaveLimiterHint : 0
; COMPUTE_PGM_RSRC2:SCRATCH_EN: 0
; COMPUTE_PGM_RSRC2:USER_SGPR: 6
; COMPUTE_PGM_RSRC2:TRAP_HANDLER: 0
; COMPUTE_PGM_RSRC2:TGID_X_EN: 1
; COMPUTE_PGM_RSRC2:TGID_Y_EN: 0
; COMPUTE_PGM_RSRC2:TGID_Z_EN: 0
; COMPUTE_PGM_RSRC2:TIDIG_COMP_CNT: 0
; COMPUTE_PGM_RSRC3_GFX90A:ACCUM_OFFSET: 0
; COMPUTE_PGM_RSRC3_GFX90A:TG_SPLIT: 0
	.section	.text._ZN7rocprim17ROCPRIM_400000_NS6detail17trampoline_kernelINS0_13kernel_configILj256ELj4ELj4294967295EEENS1_37radix_sort_block_sort_config_selectorIiNS0_10empty_typeEEEZNS1_21radix_sort_block_sortIS4_Lb0EN6thrust23THRUST_200600_302600_NS6detail15normal_iteratorINSA_10device_ptrIiEEEESF_PS6_SG_NS0_19identity_decomposerEEE10hipError_tT1_T2_T3_T4_jRjT5_jjP12ihipStream_tbEUlT_E_NS1_11comp_targetILNS1_3genE4ELNS1_11target_archE910ELNS1_3gpuE8ELNS1_3repE0EEENS1_44radix_sort_block_sort_config_static_selectorELNS0_4arch9wavefront6targetE1EEEvSJ_,"axG",@progbits,_ZN7rocprim17ROCPRIM_400000_NS6detail17trampoline_kernelINS0_13kernel_configILj256ELj4ELj4294967295EEENS1_37radix_sort_block_sort_config_selectorIiNS0_10empty_typeEEEZNS1_21radix_sort_block_sortIS4_Lb0EN6thrust23THRUST_200600_302600_NS6detail15normal_iteratorINSA_10device_ptrIiEEEESF_PS6_SG_NS0_19identity_decomposerEEE10hipError_tT1_T2_T3_T4_jRjT5_jjP12ihipStream_tbEUlT_E_NS1_11comp_targetILNS1_3genE4ELNS1_11target_archE910ELNS1_3gpuE8ELNS1_3repE0EEENS1_44radix_sort_block_sort_config_static_selectorELNS0_4arch9wavefront6targetE1EEEvSJ_,comdat
	.protected	_ZN7rocprim17ROCPRIM_400000_NS6detail17trampoline_kernelINS0_13kernel_configILj256ELj4ELj4294967295EEENS1_37radix_sort_block_sort_config_selectorIiNS0_10empty_typeEEEZNS1_21radix_sort_block_sortIS4_Lb0EN6thrust23THRUST_200600_302600_NS6detail15normal_iteratorINSA_10device_ptrIiEEEESF_PS6_SG_NS0_19identity_decomposerEEE10hipError_tT1_T2_T3_T4_jRjT5_jjP12ihipStream_tbEUlT_E_NS1_11comp_targetILNS1_3genE4ELNS1_11target_archE910ELNS1_3gpuE8ELNS1_3repE0EEENS1_44radix_sort_block_sort_config_static_selectorELNS0_4arch9wavefront6targetE1EEEvSJ_ ; -- Begin function _ZN7rocprim17ROCPRIM_400000_NS6detail17trampoline_kernelINS0_13kernel_configILj256ELj4ELj4294967295EEENS1_37radix_sort_block_sort_config_selectorIiNS0_10empty_typeEEEZNS1_21radix_sort_block_sortIS4_Lb0EN6thrust23THRUST_200600_302600_NS6detail15normal_iteratorINSA_10device_ptrIiEEEESF_PS6_SG_NS0_19identity_decomposerEEE10hipError_tT1_T2_T3_T4_jRjT5_jjP12ihipStream_tbEUlT_E_NS1_11comp_targetILNS1_3genE4ELNS1_11target_archE910ELNS1_3gpuE8ELNS1_3repE0EEENS1_44radix_sort_block_sort_config_static_selectorELNS0_4arch9wavefront6targetE1EEEvSJ_
	.globl	_ZN7rocprim17ROCPRIM_400000_NS6detail17trampoline_kernelINS0_13kernel_configILj256ELj4ELj4294967295EEENS1_37radix_sort_block_sort_config_selectorIiNS0_10empty_typeEEEZNS1_21radix_sort_block_sortIS4_Lb0EN6thrust23THRUST_200600_302600_NS6detail15normal_iteratorINSA_10device_ptrIiEEEESF_PS6_SG_NS0_19identity_decomposerEEE10hipError_tT1_T2_T3_T4_jRjT5_jjP12ihipStream_tbEUlT_E_NS1_11comp_targetILNS1_3genE4ELNS1_11target_archE910ELNS1_3gpuE8ELNS1_3repE0EEENS1_44radix_sort_block_sort_config_static_selectorELNS0_4arch9wavefront6targetE1EEEvSJ_
	.p2align	8
	.type	_ZN7rocprim17ROCPRIM_400000_NS6detail17trampoline_kernelINS0_13kernel_configILj256ELj4ELj4294967295EEENS1_37radix_sort_block_sort_config_selectorIiNS0_10empty_typeEEEZNS1_21radix_sort_block_sortIS4_Lb0EN6thrust23THRUST_200600_302600_NS6detail15normal_iteratorINSA_10device_ptrIiEEEESF_PS6_SG_NS0_19identity_decomposerEEE10hipError_tT1_T2_T3_T4_jRjT5_jjP12ihipStream_tbEUlT_E_NS1_11comp_targetILNS1_3genE4ELNS1_11target_archE910ELNS1_3gpuE8ELNS1_3repE0EEENS1_44radix_sort_block_sort_config_static_selectorELNS0_4arch9wavefront6targetE1EEEvSJ_,@function
_ZN7rocprim17ROCPRIM_400000_NS6detail17trampoline_kernelINS0_13kernel_configILj256ELj4ELj4294967295EEENS1_37radix_sort_block_sort_config_selectorIiNS0_10empty_typeEEEZNS1_21radix_sort_block_sortIS4_Lb0EN6thrust23THRUST_200600_302600_NS6detail15normal_iteratorINSA_10device_ptrIiEEEESF_PS6_SG_NS0_19identity_decomposerEEE10hipError_tT1_T2_T3_T4_jRjT5_jjP12ihipStream_tbEUlT_E_NS1_11comp_targetILNS1_3genE4ELNS1_11target_archE910ELNS1_3gpuE8ELNS1_3repE0EEENS1_44radix_sort_block_sort_config_static_selectorELNS0_4arch9wavefront6targetE1EEEvSJ_: ; @_ZN7rocprim17ROCPRIM_400000_NS6detail17trampoline_kernelINS0_13kernel_configILj256ELj4ELj4294967295EEENS1_37radix_sort_block_sort_config_selectorIiNS0_10empty_typeEEEZNS1_21radix_sort_block_sortIS4_Lb0EN6thrust23THRUST_200600_302600_NS6detail15normal_iteratorINSA_10device_ptrIiEEEESF_PS6_SG_NS0_19identity_decomposerEEE10hipError_tT1_T2_T3_T4_jRjT5_jjP12ihipStream_tbEUlT_E_NS1_11comp_targetILNS1_3genE4ELNS1_11target_archE910ELNS1_3gpuE8ELNS1_3repE0EEENS1_44radix_sort_block_sort_config_static_selectorELNS0_4arch9wavefront6targetE1EEEvSJ_
; %bb.0:
	s_load_dword s7, s[4:5], 0x20
	s_load_dwordx4 s[28:31], s[4:5], 0x0
	s_lshl_b32 s0, s6, 10
	s_mov_b32 s1, 0
	v_mbcnt_lo_u32_b32 v1, -1, 0
	s_waitcnt lgkmcnt(0)
	s_lshr_b32 s2, s7, 10
	s_cmp_lg_u32 s6, s2
	s_cselect_b64 s[34:35], -1, 0
	s_lshl_b64 s[36:37], s[0:1], 2
	v_mbcnt_hi_u32_b32 v1, -1, v1
	v_and_b32_e32 v6, 0x3ff, v0
	s_add_u32 s1, s28, s36
	v_and_b32_e32 v10, 63, v1
	s_addc_u32 s3, s29, s37
	v_lshlrev_b32_e32 v7, 2, v6
	v_lshlrev_b32_e32 v2, 2, v10
	v_and_b32_e32 v11, 0x300, v7
	v_mov_b32_e32 v3, s3
	v_add_co_u32_e32 v2, vcc, s1, v2
	v_addc_co_u32_e32 v3, vcc, 0, v3, vcc
	v_lshlrev_b32_e32 v4, 2, v11
	v_add_co_u32_e32 v8, vcc, v2, v4
	s_cmp_eq_u32 s6, s2
	v_addc_co_u32_e32 v9, vcc, 0, v3, vcc
	v_or_b32_e32 v12, v10, v11
	s_cbranch_scc1 .LBB1598_2
; %bb.1:
	global_load_dword v2, v[8:9], off
	global_load_dword v3, v[8:9], off offset:256
	global_load_dword v4, v[8:9], off offset:512
	;; [unrolled: 1-line block ×3, first 2 shown]
	v_or_b32_e32 v18, v10, v11
	v_or_b32_e32 v10, 64, v18
	;; [unrolled: 1-line block ×4, first 2 shown]
	s_load_dwordx2 s[28:29], s[4:5], 0x28
	s_sub_i32 s33, s7, s0
	s_cbranch_execz .LBB1598_3
	s_branch .LBB1598_12
.LBB1598_2:
                                        ; implicit-def: $vgpr2_vgpr3_vgpr4_vgpr5
                                        ; implicit-def: $vgpr18
                                        ; implicit-def: $vgpr10
                                        ; implicit-def: $vgpr11
                                        ; implicit-def: $vgpr21
	s_load_dwordx2 s[28:29], s[4:5], 0x28
	s_sub_i32 s33, s7, s0
.LBB1598_3:
	s_brev_b32 s0, -2
	s_mov_b32 s2, s0
	s_mov_b32 s3, s0
	;; [unrolled: 1-line block ×3, first 2 shown]
	s_waitcnt vmcnt(0)
	v_pk_mov_b32 v[4:5], s[2:3], s[2:3] op_sel:[0,1]
	v_cmp_gt_u32_e32 vcc, s33, v12
	v_pk_mov_b32 v[2:3], s[0:1], s[0:1] op_sel:[0,1]
	s_and_saveexec_b64 s[0:1], vcc
	s_cbranch_execz .LBB1598_5
; %bb.4:
	global_load_dword v2, v[8:9], off
	v_bfrev_b32_e32 v3, -2
	v_mov_b32_e32 v4, v3
	v_mov_b32_e32 v5, v3
.LBB1598_5:
	s_or_b64 exec, exec, s[0:1]
	v_or_b32_e32 v10, 64, v12
	v_cmp_gt_u32_e32 vcc, s33, v10
	s_and_saveexec_b64 s[0:1], vcc
	s_cbranch_execz .LBB1598_7
; %bb.6:
	global_load_dword v3, v[8:9], off offset:256
.LBB1598_7:
	s_or_b64 exec, exec, s[0:1]
	v_or_b32_e32 v11, 0x80, v12
	v_cmp_gt_u32_e32 vcc, s33, v11
	s_and_saveexec_b64 s[0:1], vcc
	s_cbranch_execz .LBB1598_9
; %bb.8:
	global_load_dword v4, v[8:9], off offset:512
.LBB1598_9:
	;; [unrolled: 8-line block ×3, first 2 shown]
	s_or_b64 exec, exec, s[0:1]
	v_mov_b32_e32 v18, v12
.LBB1598_12:
	s_load_dword s2, s[4:5], 0x3c
	s_waitcnt lgkmcnt(0)
	s_add_i32 s38, s29, s28
	s_getpc_b64 s[0:1]
	s_add_u32 s0, s0, _ZN7rocprim17ROCPRIM_400000_NS16block_radix_sortIiLj256ELj4ENS0_10empty_typeELj1ELj1ELj0ELNS0_26block_radix_rank_algorithmE1ELNS0_18block_padding_hintE2ELNS0_4arch9wavefront6targetE1EE19radix_bits_per_passE@rel32@lo+4
	s_addc_u32 s1, s1, _ZN7rocprim17ROCPRIM_400000_NS16block_radix_sortIiLj256ELj4ENS0_10empty_typeELj1ELj1ELj0ELNS0_26block_radix_rank_algorithmE1ELNS0_18block_padding_hintE2ELNS0_4arch9wavefront6targetE1EE19radix_bits_per_passE@rel32@hi+12
	s_waitcnt vmcnt(0)
	v_xor_b32_e32 v26, 0x80000000, v4
	s_load_dword s39, s[0:1], 0x0
	s_lshr_b32 s0, s2, 16
	v_bfe_u32 v4, v0, 10, 10
	v_bfe_u32 v0, v0, 20, 10
	s_and_b32 s1, s2, 0xffff
	v_mad_u32_u24 v0, v0, s0, v4
	v_xor_b32_e32 v27, 0x80000000, v5
	v_mad_u64_u32 v[4:5], s[0:1], v0, s1, v[6:7]
	v_and_b32_e32 v0, 15, v1
	v_cmp_eq_u32_e64 s[0:1], 0, v0
	v_cmp_lt_u32_e64 s[2:3], 1, v0
	v_cmp_lt_u32_e64 s[4:5], 3, v0
	;; [unrolled: 1-line block ×3, first 2 shown]
	v_and_b32_e32 v0, 16, v1
	v_cmp_eq_u32_e64 s[8:9], 0, v0
	v_and_b32_e32 v0, 0x3c0, v6
	v_min_u32_e32 v0, 0xc0, v0
	v_or_b32_e32 v0, 63, v0
	v_lshrrev_b32_e32 v13, 6, v4
	v_cmp_eq_u32_e64 s[12:13], v0, v6
	v_add_u32_e32 v0, -1, v1
	v_and_b32_e32 v4, 64, v1
	v_cmp_lt_i32_e32 vcc, v0, v4
	v_cndmask_b32_e32 v0, v0, v1, vcc
	s_mov_b32 s26, 0
	v_lshlrev_b32_e32 v15, 2, v0
	v_lshrrev_b32_e32 v0, 4, v6
	v_and_b32_e32 v16, 60, v0
	v_and_b32_e32 v0, 3, v1
	s_mov_b32 s27, s26
	s_mov_b32 s40, s26
	;; [unrolled: 1-line block ×3, first 2 shown]
	v_xor_b32_e32 v2, 0x80000000, v2
	v_xor_b32_e32 v3, 0x80000000, v3
	v_lshlrev_b32_e32 v12, 2, v7
	v_cmp_lt_u32_e64 s[10:11], 31, v1
	v_cmp_gt_u32_e64 s[14:15], 4, v6
	v_cmp_lt_u32_e64 s[16:17], 63, v6
	v_cmp_eq_u32_e64 s[18:19], 0, v1
	v_cmp_eq_u32_e64 s[20:21], 0, v6
	v_mul_i32_i24_e32 v14, -12, v6
	v_cmp_eq_u32_e64 s[22:23], 0, v0
	v_cmp_lt_u32_e64 s[24:25], 1, v0
	v_add_u32_e32 v17, -4, v16
	v_lshlrev_b32_e32 v18, 2, v18
	v_lshlrev_b32_e32 v19, 2, v10
	;; [unrolled: 1-line block ×4, first 2 shown]
	v_pk_mov_b32 v[4:5], s[26:27], s[26:27] op_sel:[0,1]
	v_pk_mov_b32 v[8:9], s[40:41], s[40:41] op_sel:[0,1]
	v_mov_b32_e32 v10, 0
	s_branch .LBB1598_14
.LBB1598_13:                            ;   in Loop: Header=BB1598_14 Depth=1
	s_barrier
	ds_write_b32 v0, v25
	ds_write_b32 v1, v24
	;; [unrolled: 1-line block ×4, first 2 shown]
	s_waitcnt lgkmcnt(0)
	s_barrier
	ds_read_b32 v2, v18
	ds_read_b32 v3, v19
	;; [unrolled: 1-line block ×4, first 2 shown]
	s_add_i32 s29, s29, -8
	s_waitcnt lgkmcnt(0)
	s_barrier
	s_cbranch_execz .LBB1598_30
.LBB1598_14:                            ; =>This Inner Loop Header: Depth=1
	s_waitcnt lgkmcnt(0)
	s_min_u32 s26, s39, s29
	v_mov_b32_e32 v25, v2
	s_lshl_b32 s26, -1, s26
	s_not_b32 s40, s26
	v_lshrrev_b32_e32 v0, s28, v25
	v_and_b32_e32 v0, s40, v0
	v_lshl_add_u32 v1, v0, 2, v13
	v_mov_b32_e32 v23, v26
	v_lshl_add_u32 v26, v1, 2, 16
	v_and_b32_e32 v1, 1, v0
	v_add_co_u32_e32 v2, vcc, -1, v1
	v_mov_b32_e32 v24, v3
	v_addc_co_u32_e64 v3, s[26:27], 0, -1, vcc
	v_cmp_ne_u32_e32 vcc, 0, v1
	v_lshlrev_b32_e32 v11, 30, v0
	v_xor_b32_e32 v1, vcc_hi, v3
	v_not_b32_e32 v3, v11
	v_xor_b32_e32 v2, vcc_lo, v2
	v_cmp_gt_i64_e32 vcc, 0, v[10:11]
	v_ashrrev_i32_e32 v3, 31, v3
	v_and_b32_e32 v1, exec_hi, v1
	v_xor_b32_e32 v11, vcc_hi, v3
	v_and_b32_e32 v2, exec_lo, v2
	v_xor_b32_e32 v3, vcc_lo, v3
	v_and_b32_e32 v1, v1, v11
	v_lshlrev_b32_e32 v11, 29, v0
	v_and_b32_e32 v2, v2, v3
	v_not_b32_e32 v3, v11
	v_cmp_gt_i64_e32 vcc, 0, v[10:11]
	v_ashrrev_i32_e32 v3, 31, v3
	v_xor_b32_e32 v11, vcc_hi, v3
	v_xor_b32_e32 v3, vcc_lo, v3
	v_and_b32_e32 v1, v1, v11
	v_lshlrev_b32_e32 v11, 28, v0
	v_and_b32_e32 v2, v2, v3
	v_not_b32_e32 v3, v11
	v_cmp_gt_i64_e32 vcc, 0, v[10:11]
	v_ashrrev_i32_e32 v3, 31, v3
	v_xor_b32_e32 v11, vcc_hi, v3
	;; [unrolled: 8-line block ×5, first 2 shown]
	v_and_b32_e32 v1, v1, v11
	v_lshlrev_b32_e32 v11, 24, v0
	v_not_b32_e32 v0, v11
	v_xor_b32_e32 v3, vcc_lo, v3
	v_cmp_gt_i64_e32 vcc, 0, v[10:11]
	v_ashrrev_i32_e32 v0, 31, v0
	v_and_b32_e32 v2, v2, v3
	v_xor_b32_e32 v3, vcc_hi, v0
	v_xor_b32_e32 v0, vcc_lo, v0
	v_and_b32_e32 v0, v2, v0
	v_and_b32_e32 v1, v1, v3
	v_mbcnt_lo_u32_b32 v2, v0, 0
	v_mov_b32_e32 v22, v27
	v_mbcnt_hi_u32_b32 v27, v1, v2
	v_cmp_eq_u32_e32 vcc, 0, v27
	v_cmp_ne_u64_e64 s[26:27], 0, v[0:1]
	s_and_b64 s[42:43], s[26:27], vcc
	ds_write2_b64 v12, v[4:5], v[8:9] offset0:2 offset1:3
	s_waitcnt lgkmcnt(0)
	s_barrier
	s_waitcnt lgkmcnt(0)
	; wave barrier
	s_and_saveexec_b64 s[26:27], s[42:43]
	s_cbranch_execz .LBB1598_16
; %bb.15:                               ;   in Loop: Header=BB1598_14 Depth=1
	v_bcnt_u32_b32 v0, v0, 0
	v_bcnt_u32_b32 v0, v1, v0
	ds_write_b32 v26, v0
.LBB1598_16:                            ;   in Loop: Header=BB1598_14 Depth=1
	s_or_b64 exec, exec, s[26:27]
	v_lshrrev_b32_e32 v0, s28, v24
	v_and_b32_e32 v0, s40, v0
	v_lshlrev_b32_e32 v1, 2, v0
	v_add_lshl_u32 v1, v1, v13, 2
	; wave barrier
	v_add_u32_e32 v29, 16, v1
	ds_read_b32 v28, v1 offset:16
	v_and_b32_e32 v1, 1, v0
	v_add_co_u32_e32 v2, vcc, -1, v1
	v_addc_co_u32_e64 v3, s[26:27], 0, -1, vcc
	v_cmp_ne_u32_e32 vcc, 0, v1
	v_lshlrev_b32_e32 v11, 30, v0
	v_xor_b32_e32 v1, vcc_hi, v3
	v_not_b32_e32 v3, v11
	v_xor_b32_e32 v2, vcc_lo, v2
	v_cmp_gt_i64_e32 vcc, 0, v[10:11]
	v_ashrrev_i32_e32 v3, 31, v3
	v_and_b32_e32 v1, exec_hi, v1
	v_xor_b32_e32 v11, vcc_hi, v3
	v_and_b32_e32 v2, exec_lo, v2
	v_xor_b32_e32 v3, vcc_lo, v3
	v_and_b32_e32 v1, v1, v11
	v_lshlrev_b32_e32 v11, 29, v0
	v_and_b32_e32 v2, v2, v3
	v_not_b32_e32 v3, v11
	v_cmp_gt_i64_e32 vcc, 0, v[10:11]
	v_ashrrev_i32_e32 v3, 31, v3
	v_xor_b32_e32 v11, vcc_hi, v3
	v_xor_b32_e32 v3, vcc_lo, v3
	v_and_b32_e32 v1, v1, v11
	v_lshlrev_b32_e32 v11, 28, v0
	v_and_b32_e32 v2, v2, v3
	v_not_b32_e32 v3, v11
	v_cmp_gt_i64_e32 vcc, 0, v[10:11]
	v_ashrrev_i32_e32 v3, 31, v3
	v_xor_b32_e32 v11, vcc_hi, v3
	;; [unrolled: 8-line block ×5, first 2 shown]
	v_and_b32_e32 v1, v1, v11
	v_lshlrev_b32_e32 v11, 24, v0
	v_not_b32_e32 v0, v11
	v_xor_b32_e32 v3, vcc_lo, v3
	v_cmp_gt_i64_e32 vcc, 0, v[10:11]
	v_ashrrev_i32_e32 v0, 31, v0
	v_and_b32_e32 v2, v2, v3
	v_xor_b32_e32 v3, vcc_hi, v0
	v_xor_b32_e32 v0, vcc_lo, v0
	v_and_b32_e32 v0, v2, v0
	v_and_b32_e32 v1, v1, v3
	v_mbcnt_lo_u32_b32 v2, v0, 0
	v_mbcnt_hi_u32_b32 v30, v1, v2
	v_cmp_eq_u32_e32 vcc, 0, v30
	v_cmp_ne_u64_e64 s[26:27], 0, v[0:1]
	s_and_b64 s[42:43], s[26:27], vcc
	; wave barrier
	s_and_saveexec_b64 s[26:27], s[42:43]
	s_cbranch_execz .LBB1598_18
; %bb.17:                               ;   in Loop: Header=BB1598_14 Depth=1
	v_bcnt_u32_b32 v0, v0, 0
	v_bcnt_u32_b32 v0, v1, v0
	s_waitcnt lgkmcnt(0)
	v_add_u32_e32 v0, v28, v0
	ds_write_b32 v29, v0
.LBB1598_18:                            ;   in Loop: Header=BB1598_14 Depth=1
	s_or_b64 exec, exec, s[26:27]
	v_lshrrev_b32_e32 v0, s28, v23
	v_and_b32_e32 v0, s40, v0
	v_lshlrev_b32_e32 v1, 2, v0
	v_add_lshl_u32 v1, v1, v13, 2
	; wave barrier
	v_add_u32_e32 v32, 16, v1
	ds_read_b32 v31, v1 offset:16
	v_and_b32_e32 v1, 1, v0
	v_add_co_u32_e32 v2, vcc, -1, v1
	v_addc_co_u32_e64 v3, s[26:27], 0, -1, vcc
	v_cmp_ne_u32_e32 vcc, 0, v1
	v_lshlrev_b32_e32 v11, 30, v0
	v_xor_b32_e32 v1, vcc_hi, v3
	v_not_b32_e32 v3, v11
	v_xor_b32_e32 v2, vcc_lo, v2
	v_cmp_gt_i64_e32 vcc, 0, v[10:11]
	v_ashrrev_i32_e32 v3, 31, v3
	v_and_b32_e32 v1, exec_hi, v1
	v_xor_b32_e32 v11, vcc_hi, v3
	v_and_b32_e32 v2, exec_lo, v2
	v_xor_b32_e32 v3, vcc_lo, v3
	v_and_b32_e32 v1, v1, v11
	v_lshlrev_b32_e32 v11, 29, v0
	v_and_b32_e32 v2, v2, v3
	v_not_b32_e32 v3, v11
	v_cmp_gt_i64_e32 vcc, 0, v[10:11]
	v_ashrrev_i32_e32 v3, 31, v3
	v_xor_b32_e32 v11, vcc_hi, v3
	v_xor_b32_e32 v3, vcc_lo, v3
	v_and_b32_e32 v1, v1, v11
	v_lshlrev_b32_e32 v11, 28, v0
	v_and_b32_e32 v2, v2, v3
	v_not_b32_e32 v3, v11
	v_cmp_gt_i64_e32 vcc, 0, v[10:11]
	v_ashrrev_i32_e32 v3, 31, v3
	v_xor_b32_e32 v11, vcc_hi, v3
	;; [unrolled: 8-line block ×5, first 2 shown]
	v_and_b32_e32 v1, v1, v11
	v_lshlrev_b32_e32 v11, 24, v0
	v_not_b32_e32 v0, v11
	v_xor_b32_e32 v3, vcc_lo, v3
	v_cmp_gt_i64_e32 vcc, 0, v[10:11]
	v_ashrrev_i32_e32 v0, 31, v0
	v_and_b32_e32 v2, v2, v3
	v_xor_b32_e32 v3, vcc_hi, v0
	v_xor_b32_e32 v0, vcc_lo, v0
	v_and_b32_e32 v0, v2, v0
	v_and_b32_e32 v1, v1, v3
	v_mbcnt_lo_u32_b32 v2, v0, 0
	v_mbcnt_hi_u32_b32 v33, v1, v2
	v_cmp_eq_u32_e32 vcc, 0, v33
	v_cmp_ne_u64_e64 s[26:27], 0, v[0:1]
	s_and_b64 s[42:43], s[26:27], vcc
	; wave barrier
	s_and_saveexec_b64 s[26:27], s[42:43]
	s_cbranch_execz .LBB1598_20
; %bb.19:                               ;   in Loop: Header=BB1598_14 Depth=1
	v_bcnt_u32_b32 v0, v0, 0
	v_bcnt_u32_b32 v0, v1, v0
	s_waitcnt lgkmcnt(0)
	v_add_u32_e32 v0, v31, v0
	ds_write_b32 v32, v0
.LBB1598_20:                            ;   in Loop: Header=BB1598_14 Depth=1
	s_or_b64 exec, exec, s[26:27]
	v_lshrrev_b32_e32 v0, s28, v22
	v_and_b32_e32 v0, s40, v0
	v_lshlrev_b32_e32 v1, 2, v0
	v_add_lshl_u32 v1, v1, v13, 2
	; wave barrier
	v_add_u32_e32 v35, 16, v1
	ds_read_b32 v34, v1 offset:16
	v_and_b32_e32 v1, 1, v0
	v_add_co_u32_e32 v2, vcc, -1, v1
	v_addc_co_u32_e64 v3, s[26:27], 0, -1, vcc
	v_cmp_ne_u32_e32 vcc, 0, v1
	v_lshlrev_b32_e32 v11, 30, v0
	v_xor_b32_e32 v1, vcc_hi, v3
	v_not_b32_e32 v3, v11
	v_xor_b32_e32 v2, vcc_lo, v2
	v_cmp_gt_i64_e32 vcc, 0, v[10:11]
	v_ashrrev_i32_e32 v3, 31, v3
	v_and_b32_e32 v1, exec_hi, v1
	v_xor_b32_e32 v11, vcc_hi, v3
	v_and_b32_e32 v2, exec_lo, v2
	v_xor_b32_e32 v3, vcc_lo, v3
	v_and_b32_e32 v1, v1, v11
	v_lshlrev_b32_e32 v11, 29, v0
	v_and_b32_e32 v2, v2, v3
	v_not_b32_e32 v3, v11
	v_cmp_gt_i64_e32 vcc, 0, v[10:11]
	v_ashrrev_i32_e32 v3, 31, v3
	v_xor_b32_e32 v11, vcc_hi, v3
	v_xor_b32_e32 v3, vcc_lo, v3
	v_and_b32_e32 v1, v1, v11
	v_lshlrev_b32_e32 v11, 28, v0
	v_and_b32_e32 v2, v2, v3
	v_not_b32_e32 v3, v11
	v_cmp_gt_i64_e32 vcc, 0, v[10:11]
	v_ashrrev_i32_e32 v3, 31, v3
	v_xor_b32_e32 v11, vcc_hi, v3
	;; [unrolled: 8-line block ×5, first 2 shown]
	v_and_b32_e32 v1, v1, v11
	v_lshlrev_b32_e32 v11, 24, v0
	v_not_b32_e32 v0, v11
	v_xor_b32_e32 v3, vcc_lo, v3
	v_cmp_gt_i64_e32 vcc, 0, v[10:11]
	v_ashrrev_i32_e32 v0, 31, v0
	v_and_b32_e32 v2, v2, v3
	v_xor_b32_e32 v3, vcc_hi, v0
	v_xor_b32_e32 v0, vcc_lo, v0
	v_and_b32_e32 v0, v2, v0
	v_and_b32_e32 v1, v1, v3
	v_mbcnt_lo_u32_b32 v2, v0, 0
	v_mbcnt_hi_u32_b32 v11, v1, v2
	v_cmp_eq_u32_e32 vcc, 0, v11
	v_cmp_ne_u64_e64 s[26:27], 0, v[0:1]
	s_and_b64 s[40:41], s[26:27], vcc
	; wave barrier
	s_and_saveexec_b64 s[26:27], s[40:41]
	s_cbranch_execz .LBB1598_22
; %bb.21:                               ;   in Loop: Header=BB1598_14 Depth=1
	v_bcnt_u32_b32 v0, v0, 0
	v_bcnt_u32_b32 v0, v1, v0
	s_waitcnt lgkmcnt(0)
	v_add_u32_e32 v0, v34, v0
	ds_write_b32 v35, v0
.LBB1598_22:                            ;   in Loop: Header=BB1598_14 Depth=1
	s_or_b64 exec, exec, s[26:27]
	; wave barrier
	s_waitcnt lgkmcnt(0)
	s_barrier
	ds_read2_b64 v[0:3], v12 offset0:2 offset1:3
	s_waitcnt lgkmcnt(0)
	v_add_u32_e32 v36, v1, v0
	v_add3_u32 v3, v36, v2, v3
	s_nop 1
	v_mov_b32_dpp v36, v3 row_shr:1 row_mask:0xf bank_mask:0xf
	v_cndmask_b32_e64 v36, v36, 0, s[0:1]
	v_add_u32_e32 v3, v36, v3
	s_nop 1
	v_mov_b32_dpp v36, v3 row_shr:2 row_mask:0xf bank_mask:0xf
	v_cndmask_b32_e64 v36, 0, v36, s[2:3]
	v_add_u32_e32 v3, v3, v36
	;; [unrolled: 4-line block ×4, first 2 shown]
	s_nop 1
	v_mov_b32_dpp v36, v3 row_bcast:15 row_mask:0xf bank_mask:0xf
	v_cndmask_b32_e64 v36, v36, 0, s[8:9]
	v_add_u32_e32 v3, v3, v36
	s_nop 1
	v_mov_b32_dpp v36, v3 row_bcast:31 row_mask:0xf bank_mask:0xf
	v_cndmask_b32_e64 v36, 0, v36, s[10:11]
	v_add_u32_e32 v3, v3, v36
	s_and_saveexec_b64 s[26:27], s[12:13]
	s_cbranch_execz .LBB1598_24
; %bb.23:                               ;   in Loop: Header=BB1598_14 Depth=1
	ds_write_b32 v16, v3
.LBB1598_24:                            ;   in Loop: Header=BB1598_14 Depth=1
	s_or_b64 exec, exec, s[26:27]
	s_waitcnt lgkmcnt(0)
	s_barrier
	s_and_saveexec_b64 s[26:27], s[14:15]
	s_cbranch_execz .LBB1598_26
; %bb.25:                               ;   in Loop: Header=BB1598_14 Depth=1
	v_add_u32_e32 v36, v12, v14
	ds_read_b32 v37, v36
	s_waitcnt lgkmcnt(0)
	s_nop 0
	v_mov_b32_dpp v38, v37 row_shr:1 row_mask:0xf bank_mask:0xf
	v_cndmask_b32_e64 v38, v38, 0, s[22:23]
	v_add_u32_e32 v37, v38, v37
	s_nop 1
	v_mov_b32_dpp v38, v37 row_shr:2 row_mask:0xf bank_mask:0xf
	v_cndmask_b32_e64 v38, 0, v38, s[24:25]
	v_add_u32_e32 v37, v37, v38
	ds_write_b32 v36, v37
.LBB1598_26:                            ;   in Loop: Header=BB1598_14 Depth=1
	s_or_b64 exec, exec, s[26:27]
	v_mov_b32_e32 v36, 0
	s_waitcnt lgkmcnt(0)
	s_barrier
	s_and_saveexec_b64 s[26:27], s[16:17]
	s_cbranch_execz .LBB1598_28
; %bb.27:                               ;   in Loop: Header=BB1598_14 Depth=1
	ds_read_b32 v36, v17
.LBB1598_28:                            ;   in Loop: Header=BB1598_14 Depth=1
	s_or_b64 exec, exec, s[26:27]
	s_waitcnt lgkmcnt(0)
	v_add_u32_e32 v3, v36, v3
	ds_bpermute_b32 v3, v15, v3
	s_add_i32 s28, s28, 8
	s_cmp_ge_u32 s28, s38
	s_waitcnt lgkmcnt(0)
	v_cndmask_b32_e64 v3, v3, v36, s[18:19]
	v_cndmask_b32_e64 v36, v3, 0, s[20:21]
	v_add_u32_e32 v37, v36, v0
	v_add_u32_e32 v0, v37, v1
	;; [unrolled: 1-line block ×3, first 2 shown]
	ds_write2_b64 v12, v[36:37], v[0:1] offset0:2 offset1:3
	s_waitcnt lgkmcnt(0)
	s_barrier
	ds_read_b32 v0, v26
	ds_read_b32 v1, v29
	ds_read_b32 v2, v32
	ds_read_b32 v3, v35
	v_lshlrev_b32_e32 v26, 2, v27
	s_waitcnt lgkmcnt(3)
	v_lshl_add_u32 v0, v0, 2, v26
	v_lshlrev_b32_e32 v26, 2, v30
	v_lshlrev_b32_e32 v27, 2, v28
	s_waitcnt lgkmcnt(2)
	v_lshlrev_b32_e32 v1, 2, v1
	v_add3_u32 v1, v26, v27, v1
	v_lshlrev_b32_e32 v26, 2, v33
	v_lshlrev_b32_e32 v27, 2, v31
	s_waitcnt lgkmcnt(1)
	v_lshlrev_b32_e32 v2, 2, v2
	v_add3_u32 v28, v26, v27, v2
	;; [unrolled: 5-line block ×3, first 2 shown]
	s_cbranch_scc0 .LBB1598_13
; %bb.29:
                                        ; implicit-def: $vgpr27
                                        ; implicit-def: $vgpr26
                                        ; implicit-def: $vgpr3
                                        ; implicit-def: $vgpr2
                                        ; implicit-def: $sgpr28
.LBB1598_30:
	s_barrier
	ds_write_b32 v0, v25
	ds_write_b32 v1, v24
	ds_write_b32 v28, v23
	ds_write_b32 v11, v22
	v_add_u32_e32 v0, v12, v14
	s_waitcnt lgkmcnt(0)
	s_barrier
	ds_read_b32 v3, v0
	ds_read2st64_b32 v[0:1], v7 offset0:4 offset1:8
	ds_read_b32 v2, v7 offset:3072
	s_add_u32 s0, s30, s36
	s_addc_u32 s1, s31, s37
	s_waitcnt lgkmcnt(2)
	v_xor_b32_e32 v5, 0x80000000, v3
	s_waitcnt lgkmcnt(1)
	v_xor_b32_e32 v4, 0x80000000, v0
	v_xor_b32_e32 v3, 0x80000000, v1
	v_mov_b32_e32 v1, s1
	v_add_co_u32_e64 v0, s[0:1], s0, v7
	s_andn2_b64 vcc, exec, s[34:35]
	v_addc_co_u32_e64 v1, s[0:1], 0, v1, s[0:1]
	s_cbranch_vccnz .LBB1598_32
; %bb.31:
	s_mov_b64 s[0:1], -1
	global_store_dword v[0:1], v5, off
	global_store_dword v[0:1], v4, off offset:1024
	global_store_dword v[0:1], v3, off offset:2048
	s_cbranch_execz .LBB1598_33
	s_branch .LBB1598_40
.LBB1598_32:
	s_mov_b64 s[0:1], 0
.LBB1598_33:
	v_cmp_gt_u32_e32 vcc, s33, v6
	s_and_saveexec_b64 s[0:1], vcc
	s_cbranch_execz .LBB1598_35
; %bb.34:
	global_store_dword v[0:1], v5, off
.LBB1598_35:
	s_or_b64 exec, exec, s[0:1]
	v_add_u32_e32 v5, 0x100, v6
	v_cmp_gt_u32_e32 vcc, s33, v5
	s_and_saveexec_b64 s[0:1], vcc
	s_cbranch_execz .LBB1598_37
; %bb.36:
	global_store_dword v[0:1], v4, off offset:1024
.LBB1598_37:
	s_or_b64 exec, exec, s[0:1]
	v_add_u32_e32 v4, 0x200, v6
	v_cmp_gt_u32_e32 vcc, s33, v4
	s_and_saveexec_b64 s[0:1], vcc
	s_cbranch_execz .LBB1598_39
; %bb.38:
	global_store_dword v[0:1], v3, off offset:2048
.LBB1598_39:
	s_or_b64 exec, exec, s[0:1]
	v_add_u32_e32 v3, 0x300, v6
	v_cmp_gt_u32_e64 s[0:1], s33, v3
.LBB1598_40:
	s_and_saveexec_b64 s[2:3], s[0:1]
	s_cbranch_execnz .LBB1598_42
; %bb.41:
	s_endpgm
.LBB1598_42:
	s_waitcnt lgkmcnt(0)
	v_xor_b32_e32 v2, 0x80000000, v2
	global_store_dword v[0:1], v2, off offset:3072
	s_endpgm
	.section	.rodata,"a",@progbits
	.p2align	6, 0x0
	.amdhsa_kernel _ZN7rocprim17ROCPRIM_400000_NS6detail17trampoline_kernelINS0_13kernel_configILj256ELj4ELj4294967295EEENS1_37radix_sort_block_sort_config_selectorIiNS0_10empty_typeEEEZNS1_21radix_sort_block_sortIS4_Lb0EN6thrust23THRUST_200600_302600_NS6detail15normal_iteratorINSA_10device_ptrIiEEEESF_PS6_SG_NS0_19identity_decomposerEEE10hipError_tT1_T2_T3_T4_jRjT5_jjP12ihipStream_tbEUlT_E_NS1_11comp_targetILNS1_3genE4ELNS1_11target_archE910ELNS1_3gpuE8ELNS1_3repE0EEENS1_44radix_sort_block_sort_config_static_selectorELNS0_4arch9wavefront6targetE1EEEvSJ_
		.amdhsa_group_segment_fixed_size 4112
		.amdhsa_private_segment_fixed_size 0
		.amdhsa_kernarg_size 304
		.amdhsa_user_sgpr_count 6
		.amdhsa_user_sgpr_private_segment_buffer 1
		.amdhsa_user_sgpr_dispatch_ptr 0
		.amdhsa_user_sgpr_queue_ptr 0
		.amdhsa_user_sgpr_kernarg_segment_ptr 1
		.amdhsa_user_sgpr_dispatch_id 0
		.amdhsa_user_sgpr_flat_scratch_init 0
		.amdhsa_user_sgpr_kernarg_preload_length 0
		.amdhsa_user_sgpr_kernarg_preload_offset 0
		.amdhsa_user_sgpr_private_segment_size 0
		.amdhsa_uses_dynamic_stack 0
		.amdhsa_system_sgpr_private_segment_wavefront_offset 0
		.amdhsa_system_sgpr_workgroup_id_x 1
		.amdhsa_system_sgpr_workgroup_id_y 0
		.amdhsa_system_sgpr_workgroup_id_z 0
		.amdhsa_system_sgpr_workgroup_info 0
		.amdhsa_system_vgpr_workitem_id 2
		.amdhsa_next_free_vgpr 39
		.amdhsa_next_free_sgpr 44
		.amdhsa_accum_offset 40
		.amdhsa_reserve_vcc 1
		.amdhsa_reserve_flat_scratch 0
		.amdhsa_float_round_mode_32 0
		.amdhsa_float_round_mode_16_64 0
		.amdhsa_float_denorm_mode_32 3
		.amdhsa_float_denorm_mode_16_64 3
		.amdhsa_dx10_clamp 1
		.amdhsa_ieee_mode 1
		.amdhsa_fp16_overflow 0
		.amdhsa_tg_split 0
		.amdhsa_exception_fp_ieee_invalid_op 0
		.amdhsa_exception_fp_denorm_src 0
		.amdhsa_exception_fp_ieee_div_zero 0
		.amdhsa_exception_fp_ieee_overflow 0
		.amdhsa_exception_fp_ieee_underflow 0
		.amdhsa_exception_fp_ieee_inexact 0
		.amdhsa_exception_int_div_zero 0
	.end_amdhsa_kernel
	.section	.text._ZN7rocprim17ROCPRIM_400000_NS6detail17trampoline_kernelINS0_13kernel_configILj256ELj4ELj4294967295EEENS1_37radix_sort_block_sort_config_selectorIiNS0_10empty_typeEEEZNS1_21radix_sort_block_sortIS4_Lb0EN6thrust23THRUST_200600_302600_NS6detail15normal_iteratorINSA_10device_ptrIiEEEESF_PS6_SG_NS0_19identity_decomposerEEE10hipError_tT1_T2_T3_T4_jRjT5_jjP12ihipStream_tbEUlT_E_NS1_11comp_targetILNS1_3genE4ELNS1_11target_archE910ELNS1_3gpuE8ELNS1_3repE0EEENS1_44radix_sort_block_sort_config_static_selectorELNS0_4arch9wavefront6targetE1EEEvSJ_,"axG",@progbits,_ZN7rocprim17ROCPRIM_400000_NS6detail17trampoline_kernelINS0_13kernel_configILj256ELj4ELj4294967295EEENS1_37radix_sort_block_sort_config_selectorIiNS0_10empty_typeEEEZNS1_21radix_sort_block_sortIS4_Lb0EN6thrust23THRUST_200600_302600_NS6detail15normal_iteratorINSA_10device_ptrIiEEEESF_PS6_SG_NS0_19identity_decomposerEEE10hipError_tT1_T2_T3_T4_jRjT5_jjP12ihipStream_tbEUlT_E_NS1_11comp_targetILNS1_3genE4ELNS1_11target_archE910ELNS1_3gpuE8ELNS1_3repE0EEENS1_44radix_sort_block_sort_config_static_selectorELNS0_4arch9wavefront6targetE1EEEvSJ_,comdat
.Lfunc_end1598:
	.size	_ZN7rocprim17ROCPRIM_400000_NS6detail17trampoline_kernelINS0_13kernel_configILj256ELj4ELj4294967295EEENS1_37radix_sort_block_sort_config_selectorIiNS0_10empty_typeEEEZNS1_21radix_sort_block_sortIS4_Lb0EN6thrust23THRUST_200600_302600_NS6detail15normal_iteratorINSA_10device_ptrIiEEEESF_PS6_SG_NS0_19identity_decomposerEEE10hipError_tT1_T2_T3_T4_jRjT5_jjP12ihipStream_tbEUlT_E_NS1_11comp_targetILNS1_3genE4ELNS1_11target_archE910ELNS1_3gpuE8ELNS1_3repE0EEENS1_44radix_sort_block_sort_config_static_selectorELNS0_4arch9wavefront6targetE1EEEvSJ_, .Lfunc_end1598-_ZN7rocprim17ROCPRIM_400000_NS6detail17trampoline_kernelINS0_13kernel_configILj256ELj4ELj4294967295EEENS1_37radix_sort_block_sort_config_selectorIiNS0_10empty_typeEEEZNS1_21radix_sort_block_sortIS4_Lb0EN6thrust23THRUST_200600_302600_NS6detail15normal_iteratorINSA_10device_ptrIiEEEESF_PS6_SG_NS0_19identity_decomposerEEE10hipError_tT1_T2_T3_T4_jRjT5_jjP12ihipStream_tbEUlT_E_NS1_11comp_targetILNS1_3genE4ELNS1_11target_archE910ELNS1_3gpuE8ELNS1_3repE0EEENS1_44radix_sort_block_sort_config_static_selectorELNS0_4arch9wavefront6targetE1EEEvSJ_
                                        ; -- End function
	.section	.AMDGPU.csdata,"",@progbits
; Kernel info:
; codeLenInByte = 3184
; NumSgprs: 48
; NumVgprs: 39
; NumAgprs: 0
; TotalNumVgprs: 39
; ScratchSize: 0
; MemoryBound: 0
; FloatMode: 240
; IeeeMode: 1
; LDSByteSize: 4112 bytes/workgroup (compile time only)
; SGPRBlocks: 5
; VGPRBlocks: 4
; NumSGPRsForWavesPerEU: 48
; NumVGPRsForWavesPerEU: 39
; AccumOffset: 40
; Occupancy: 8
; WaveLimiterHint : 1
; COMPUTE_PGM_RSRC2:SCRATCH_EN: 0
; COMPUTE_PGM_RSRC2:USER_SGPR: 6
; COMPUTE_PGM_RSRC2:TRAP_HANDLER: 0
; COMPUTE_PGM_RSRC2:TGID_X_EN: 1
; COMPUTE_PGM_RSRC2:TGID_Y_EN: 0
; COMPUTE_PGM_RSRC2:TGID_Z_EN: 0
; COMPUTE_PGM_RSRC2:TIDIG_COMP_CNT: 2
; COMPUTE_PGM_RSRC3_GFX90A:ACCUM_OFFSET: 9
; COMPUTE_PGM_RSRC3_GFX90A:TG_SPLIT: 0
	.section	.text._ZN7rocprim17ROCPRIM_400000_NS6detail17trampoline_kernelINS0_13kernel_configILj256ELj4ELj4294967295EEENS1_37radix_sort_block_sort_config_selectorIiNS0_10empty_typeEEEZNS1_21radix_sort_block_sortIS4_Lb0EN6thrust23THRUST_200600_302600_NS6detail15normal_iteratorINSA_10device_ptrIiEEEESF_PS6_SG_NS0_19identity_decomposerEEE10hipError_tT1_T2_T3_T4_jRjT5_jjP12ihipStream_tbEUlT_E_NS1_11comp_targetILNS1_3genE3ELNS1_11target_archE908ELNS1_3gpuE7ELNS1_3repE0EEENS1_44radix_sort_block_sort_config_static_selectorELNS0_4arch9wavefront6targetE1EEEvSJ_,"axG",@progbits,_ZN7rocprim17ROCPRIM_400000_NS6detail17trampoline_kernelINS0_13kernel_configILj256ELj4ELj4294967295EEENS1_37radix_sort_block_sort_config_selectorIiNS0_10empty_typeEEEZNS1_21radix_sort_block_sortIS4_Lb0EN6thrust23THRUST_200600_302600_NS6detail15normal_iteratorINSA_10device_ptrIiEEEESF_PS6_SG_NS0_19identity_decomposerEEE10hipError_tT1_T2_T3_T4_jRjT5_jjP12ihipStream_tbEUlT_E_NS1_11comp_targetILNS1_3genE3ELNS1_11target_archE908ELNS1_3gpuE7ELNS1_3repE0EEENS1_44radix_sort_block_sort_config_static_selectorELNS0_4arch9wavefront6targetE1EEEvSJ_,comdat
	.protected	_ZN7rocprim17ROCPRIM_400000_NS6detail17trampoline_kernelINS0_13kernel_configILj256ELj4ELj4294967295EEENS1_37radix_sort_block_sort_config_selectorIiNS0_10empty_typeEEEZNS1_21radix_sort_block_sortIS4_Lb0EN6thrust23THRUST_200600_302600_NS6detail15normal_iteratorINSA_10device_ptrIiEEEESF_PS6_SG_NS0_19identity_decomposerEEE10hipError_tT1_T2_T3_T4_jRjT5_jjP12ihipStream_tbEUlT_E_NS1_11comp_targetILNS1_3genE3ELNS1_11target_archE908ELNS1_3gpuE7ELNS1_3repE0EEENS1_44radix_sort_block_sort_config_static_selectorELNS0_4arch9wavefront6targetE1EEEvSJ_ ; -- Begin function _ZN7rocprim17ROCPRIM_400000_NS6detail17trampoline_kernelINS0_13kernel_configILj256ELj4ELj4294967295EEENS1_37radix_sort_block_sort_config_selectorIiNS0_10empty_typeEEEZNS1_21radix_sort_block_sortIS4_Lb0EN6thrust23THRUST_200600_302600_NS6detail15normal_iteratorINSA_10device_ptrIiEEEESF_PS6_SG_NS0_19identity_decomposerEEE10hipError_tT1_T2_T3_T4_jRjT5_jjP12ihipStream_tbEUlT_E_NS1_11comp_targetILNS1_3genE3ELNS1_11target_archE908ELNS1_3gpuE7ELNS1_3repE0EEENS1_44radix_sort_block_sort_config_static_selectorELNS0_4arch9wavefront6targetE1EEEvSJ_
	.globl	_ZN7rocprim17ROCPRIM_400000_NS6detail17trampoline_kernelINS0_13kernel_configILj256ELj4ELj4294967295EEENS1_37radix_sort_block_sort_config_selectorIiNS0_10empty_typeEEEZNS1_21radix_sort_block_sortIS4_Lb0EN6thrust23THRUST_200600_302600_NS6detail15normal_iteratorINSA_10device_ptrIiEEEESF_PS6_SG_NS0_19identity_decomposerEEE10hipError_tT1_T2_T3_T4_jRjT5_jjP12ihipStream_tbEUlT_E_NS1_11comp_targetILNS1_3genE3ELNS1_11target_archE908ELNS1_3gpuE7ELNS1_3repE0EEENS1_44radix_sort_block_sort_config_static_selectorELNS0_4arch9wavefront6targetE1EEEvSJ_
	.p2align	8
	.type	_ZN7rocprim17ROCPRIM_400000_NS6detail17trampoline_kernelINS0_13kernel_configILj256ELj4ELj4294967295EEENS1_37radix_sort_block_sort_config_selectorIiNS0_10empty_typeEEEZNS1_21radix_sort_block_sortIS4_Lb0EN6thrust23THRUST_200600_302600_NS6detail15normal_iteratorINSA_10device_ptrIiEEEESF_PS6_SG_NS0_19identity_decomposerEEE10hipError_tT1_T2_T3_T4_jRjT5_jjP12ihipStream_tbEUlT_E_NS1_11comp_targetILNS1_3genE3ELNS1_11target_archE908ELNS1_3gpuE7ELNS1_3repE0EEENS1_44radix_sort_block_sort_config_static_selectorELNS0_4arch9wavefront6targetE1EEEvSJ_,@function
_ZN7rocprim17ROCPRIM_400000_NS6detail17trampoline_kernelINS0_13kernel_configILj256ELj4ELj4294967295EEENS1_37radix_sort_block_sort_config_selectorIiNS0_10empty_typeEEEZNS1_21radix_sort_block_sortIS4_Lb0EN6thrust23THRUST_200600_302600_NS6detail15normal_iteratorINSA_10device_ptrIiEEEESF_PS6_SG_NS0_19identity_decomposerEEE10hipError_tT1_T2_T3_T4_jRjT5_jjP12ihipStream_tbEUlT_E_NS1_11comp_targetILNS1_3genE3ELNS1_11target_archE908ELNS1_3gpuE7ELNS1_3repE0EEENS1_44radix_sort_block_sort_config_static_selectorELNS0_4arch9wavefront6targetE1EEEvSJ_: ; @_ZN7rocprim17ROCPRIM_400000_NS6detail17trampoline_kernelINS0_13kernel_configILj256ELj4ELj4294967295EEENS1_37radix_sort_block_sort_config_selectorIiNS0_10empty_typeEEEZNS1_21radix_sort_block_sortIS4_Lb0EN6thrust23THRUST_200600_302600_NS6detail15normal_iteratorINSA_10device_ptrIiEEEESF_PS6_SG_NS0_19identity_decomposerEEE10hipError_tT1_T2_T3_T4_jRjT5_jjP12ihipStream_tbEUlT_E_NS1_11comp_targetILNS1_3genE3ELNS1_11target_archE908ELNS1_3gpuE7ELNS1_3repE0EEENS1_44radix_sort_block_sort_config_static_selectorELNS0_4arch9wavefront6targetE1EEEvSJ_
; %bb.0:
	.section	.rodata,"a",@progbits
	.p2align	6, 0x0
	.amdhsa_kernel _ZN7rocprim17ROCPRIM_400000_NS6detail17trampoline_kernelINS0_13kernel_configILj256ELj4ELj4294967295EEENS1_37radix_sort_block_sort_config_selectorIiNS0_10empty_typeEEEZNS1_21radix_sort_block_sortIS4_Lb0EN6thrust23THRUST_200600_302600_NS6detail15normal_iteratorINSA_10device_ptrIiEEEESF_PS6_SG_NS0_19identity_decomposerEEE10hipError_tT1_T2_T3_T4_jRjT5_jjP12ihipStream_tbEUlT_E_NS1_11comp_targetILNS1_3genE3ELNS1_11target_archE908ELNS1_3gpuE7ELNS1_3repE0EEENS1_44radix_sort_block_sort_config_static_selectorELNS0_4arch9wavefront6targetE1EEEvSJ_
		.amdhsa_group_segment_fixed_size 0
		.amdhsa_private_segment_fixed_size 0
		.amdhsa_kernarg_size 48
		.amdhsa_user_sgpr_count 6
		.amdhsa_user_sgpr_private_segment_buffer 1
		.amdhsa_user_sgpr_dispatch_ptr 0
		.amdhsa_user_sgpr_queue_ptr 0
		.amdhsa_user_sgpr_kernarg_segment_ptr 1
		.amdhsa_user_sgpr_dispatch_id 0
		.amdhsa_user_sgpr_flat_scratch_init 0
		.amdhsa_user_sgpr_kernarg_preload_length 0
		.amdhsa_user_sgpr_kernarg_preload_offset 0
		.amdhsa_user_sgpr_private_segment_size 0
		.amdhsa_uses_dynamic_stack 0
		.amdhsa_system_sgpr_private_segment_wavefront_offset 0
		.amdhsa_system_sgpr_workgroup_id_x 1
		.amdhsa_system_sgpr_workgroup_id_y 0
		.amdhsa_system_sgpr_workgroup_id_z 0
		.amdhsa_system_sgpr_workgroup_info 0
		.amdhsa_system_vgpr_workitem_id 0
		.amdhsa_next_free_vgpr 1
		.amdhsa_next_free_sgpr 0
		.amdhsa_accum_offset 4
		.amdhsa_reserve_vcc 0
		.amdhsa_reserve_flat_scratch 0
		.amdhsa_float_round_mode_32 0
		.amdhsa_float_round_mode_16_64 0
		.amdhsa_float_denorm_mode_32 3
		.amdhsa_float_denorm_mode_16_64 3
		.amdhsa_dx10_clamp 1
		.amdhsa_ieee_mode 1
		.amdhsa_fp16_overflow 0
		.amdhsa_tg_split 0
		.amdhsa_exception_fp_ieee_invalid_op 0
		.amdhsa_exception_fp_denorm_src 0
		.amdhsa_exception_fp_ieee_div_zero 0
		.amdhsa_exception_fp_ieee_overflow 0
		.amdhsa_exception_fp_ieee_underflow 0
		.amdhsa_exception_fp_ieee_inexact 0
		.amdhsa_exception_int_div_zero 0
	.end_amdhsa_kernel
	.section	.text._ZN7rocprim17ROCPRIM_400000_NS6detail17trampoline_kernelINS0_13kernel_configILj256ELj4ELj4294967295EEENS1_37radix_sort_block_sort_config_selectorIiNS0_10empty_typeEEEZNS1_21radix_sort_block_sortIS4_Lb0EN6thrust23THRUST_200600_302600_NS6detail15normal_iteratorINSA_10device_ptrIiEEEESF_PS6_SG_NS0_19identity_decomposerEEE10hipError_tT1_T2_T3_T4_jRjT5_jjP12ihipStream_tbEUlT_E_NS1_11comp_targetILNS1_3genE3ELNS1_11target_archE908ELNS1_3gpuE7ELNS1_3repE0EEENS1_44radix_sort_block_sort_config_static_selectorELNS0_4arch9wavefront6targetE1EEEvSJ_,"axG",@progbits,_ZN7rocprim17ROCPRIM_400000_NS6detail17trampoline_kernelINS0_13kernel_configILj256ELj4ELj4294967295EEENS1_37radix_sort_block_sort_config_selectorIiNS0_10empty_typeEEEZNS1_21radix_sort_block_sortIS4_Lb0EN6thrust23THRUST_200600_302600_NS6detail15normal_iteratorINSA_10device_ptrIiEEEESF_PS6_SG_NS0_19identity_decomposerEEE10hipError_tT1_T2_T3_T4_jRjT5_jjP12ihipStream_tbEUlT_E_NS1_11comp_targetILNS1_3genE3ELNS1_11target_archE908ELNS1_3gpuE7ELNS1_3repE0EEENS1_44radix_sort_block_sort_config_static_selectorELNS0_4arch9wavefront6targetE1EEEvSJ_,comdat
.Lfunc_end1599:
	.size	_ZN7rocprim17ROCPRIM_400000_NS6detail17trampoline_kernelINS0_13kernel_configILj256ELj4ELj4294967295EEENS1_37radix_sort_block_sort_config_selectorIiNS0_10empty_typeEEEZNS1_21radix_sort_block_sortIS4_Lb0EN6thrust23THRUST_200600_302600_NS6detail15normal_iteratorINSA_10device_ptrIiEEEESF_PS6_SG_NS0_19identity_decomposerEEE10hipError_tT1_T2_T3_T4_jRjT5_jjP12ihipStream_tbEUlT_E_NS1_11comp_targetILNS1_3genE3ELNS1_11target_archE908ELNS1_3gpuE7ELNS1_3repE0EEENS1_44radix_sort_block_sort_config_static_selectorELNS0_4arch9wavefront6targetE1EEEvSJ_, .Lfunc_end1599-_ZN7rocprim17ROCPRIM_400000_NS6detail17trampoline_kernelINS0_13kernel_configILj256ELj4ELj4294967295EEENS1_37radix_sort_block_sort_config_selectorIiNS0_10empty_typeEEEZNS1_21radix_sort_block_sortIS4_Lb0EN6thrust23THRUST_200600_302600_NS6detail15normal_iteratorINSA_10device_ptrIiEEEESF_PS6_SG_NS0_19identity_decomposerEEE10hipError_tT1_T2_T3_T4_jRjT5_jjP12ihipStream_tbEUlT_E_NS1_11comp_targetILNS1_3genE3ELNS1_11target_archE908ELNS1_3gpuE7ELNS1_3repE0EEENS1_44radix_sort_block_sort_config_static_selectorELNS0_4arch9wavefront6targetE1EEEvSJ_
                                        ; -- End function
	.section	.AMDGPU.csdata,"",@progbits
; Kernel info:
; codeLenInByte = 0
; NumSgprs: 4
; NumVgprs: 0
; NumAgprs: 0
; TotalNumVgprs: 0
; ScratchSize: 0
; MemoryBound: 0
; FloatMode: 240
; IeeeMode: 1
; LDSByteSize: 0 bytes/workgroup (compile time only)
; SGPRBlocks: 0
; VGPRBlocks: 0
; NumSGPRsForWavesPerEU: 4
; NumVGPRsForWavesPerEU: 1
; AccumOffset: 4
; Occupancy: 8
; WaveLimiterHint : 0
; COMPUTE_PGM_RSRC2:SCRATCH_EN: 0
; COMPUTE_PGM_RSRC2:USER_SGPR: 6
; COMPUTE_PGM_RSRC2:TRAP_HANDLER: 0
; COMPUTE_PGM_RSRC2:TGID_X_EN: 1
; COMPUTE_PGM_RSRC2:TGID_Y_EN: 0
; COMPUTE_PGM_RSRC2:TGID_Z_EN: 0
; COMPUTE_PGM_RSRC2:TIDIG_COMP_CNT: 0
; COMPUTE_PGM_RSRC3_GFX90A:ACCUM_OFFSET: 0
; COMPUTE_PGM_RSRC3_GFX90A:TG_SPLIT: 0
	.section	.text._ZN7rocprim17ROCPRIM_400000_NS6detail17trampoline_kernelINS0_13kernel_configILj256ELj4ELj4294967295EEENS1_37radix_sort_block_sort_config_selectorIiNS0_10empty_typeEEEZNS1_21radix_sort_block_sortIS4_Lb0EN6thrust23THRUST_200600_302600_NS6detail15normal_iteratorINSA_10device_ptrIiEEEESF_PS6_SG_NS0_19identity_decomposerEEE10hipError_tT1_T2_T3_T4_jRjT5_jjP12ihipStream_tbEUlT_E_NS1_11comp_targetILNS1_3genE2ELNS1_11target_archE906ELNS1_3gpuE6ELNS1_3repE0EEENS1_44radix_sort_block_sort_config_static_selectorELNS0_4arch9wavefront6targetE1EEEvSJ_,"axG",@progbits,_ZN7rocprim17ROCPRIM_400000_NS6detail17trampoline_kernelINS0_13kernel_configILj256ELj4ELj4294967295EEENS1_37radix_sort_block_sort_config_selectorIiNS0_10empty_typeEEEZNS1_21radix_sort_block_sortIS4_Lb0EN6thrust23THRUST_200600_302600_NS6detail15normal_iteratorINSA_10device_ptrIiEEEESF_PS6_SG_NS0_19identity_decomposerEEE10hipError_tT1_T2_T3_T4_jRjT5_jjP12ihipStream_tbEUlT_E_NS1_11comp_targetILNS1_3genE2ELNS1_11target_archE906ELNS1_3gpuE6ELNS1_3repE0EEENS1_44radix_sort_block_sort_config_static_selectorELNS0_4arch9wavefront6targetE1EEEvSJ_,comdat
	.protected	_ZN7rocprim17ROCPRIM_400000_NS6detail17trampoline_kernelINS0_13kernel_configILj256ELj4ELj4294967295EEENS1_37radix_sort_block_sort_config_selectorIiNS0_10empty_typeEEEZNS1_21radix_sort_block_sortIS4_Lb0EN6thrust23THRUST_200600_302600_NS6detail15normal_iteratorINSA_10device_ptrIiEEEESF_PS6_SG_NS0_19identity_decomposerEEE10hipError_tT1_T2_T3_T4_jRjT5_jjP12ihipStream_tbEUlT_E_NS1_11comp_targetILNS1_3genE2ELNS1_11target_archE906ELNS1_3gpuE6ELNS1_3repE0EEENS1_44radix_sort_block_sort_config_static_selectorELNS0_4arch9wavefront6targetE1EEEvSJ_ ; -- Begin function _ZN7rocprim17ROCPRIM_400000_NS6detail17trampoline_kernelINS0_13kernel_configILj256ELj4ELj4294967295EEENS1_37radix_sort_block_sort_config_selectorIiNS0_10empty_typeEEEZNS1_21radix_sort_block_sortIS4_Lb0EN6thrust23THRUST_200600_302600_NS6detail15normal_iteratorINSA_10device_ptrIiEEEESF_PS6_SG_NS0_19identity_decomposerEEE10hipError_tT1_T2_T3_T4_jRjT5_jjP12ihipStream_tbEUlT_E_NS1_11comp_targetILNS1_3genE2ELNS1_11target_archE906ELNS1_3gpuE6ELNS1_3repE0EEENS1_44radix_sort_block_sort_config_static_selectorELNS0_4arch9wavefront6targetE1EEEvSJ_
	.globl	_ZN7rocprim17ROCPRIM_400000_NS6detail17trampoline_kernelINS0_13kernel_configILj256ELj4ELj4294967295EEENS1_37radix_sort_block_sort_config_selectorIiNS0_10empty_typeEEEZNS1_21radix_sort_block_sortIS4_Lb0EN6thrust23THRUST_200600_302600_NS6detail15normal_iteratorINSA_10device_ptrIiEEEESF_PS6_SG_NS0_19identity_decomposerEEE10hipError_tT1_T2_T3_T4_jRjT5_jjP12ihipStream_tbEUlT_E_NS1_11comp_targetILNS1_3genE2ELNS1_11target_archE906ELNS1_3gpuE6ELNS1_3repE0EEENS1_44radix_sort_block_sort_config_static_selectorELNS0_4arch9wavefront6targetE1EEEvSJ_
	.p2align	8
	.type	_ZN7rocprim17ROCPRIM_400000_NS6detail17trampoline_kernelINS0_13kernel_configILj256ELj4ELj4294967295EEENS1_37radix_sort_block_sort_config_selectorIiNS0_10empty_typeEEEZNS1_21radix_sort_block_sortIS4_Lb0EN6thrust23THRUST_200600_302600_NS6detail15normal_iteratorINSA_10device_ptrIiEEEESF_PS6_SG_NS0_19identity_decomposerEEE10hipError_tT1_T2_T3_T4_jRjT5_jjP12ihipStream_tbEUlT_E_NS1_11comp_targetILNS1_3genE2ELNS1_11target_archE906ELNS1_3gpuE6ELNS1_3repE0EEENS1_44radix_sort_block_sort_config_static_selectorELNS0_4arch9wavefront6targetE1EEEvSJ_,@function
_ZN7rocprim17ROCPRIM_400000_NS6detail17trampoline_kernelINS0_13kernel_configILj256ELj4ELj4294967295EEENS1_37radix_sort_block_sort_config_selectorIiNS0_10empty_typeEEEZNS1_21radix_sort_block_sortIS4_Lb0EN6thrust23THRUST_200600_302600_NS6detail15normal_iteratorINSA_10device_ptrIiEEEESF_PS6_SG_NS0_19identity_decomposerEEE10hipError_tT1_T2_T3_T4_jRjT5_jjP12ihipStream_tbEUlT_E_NS1_11comp_targetILNS1_3genE2ELNS1_11target_archE906ELNS1_3gpuE6ELNS1_3repE0EEENS1_44radix_sort_block_sort_config_static_selectorELNS0_4arch9wavefront6targetE1EEEvSJ_: ; @_ZN7rocprim17ROCPRIM_400000_NS6detail17trampoline_kernelINS0_13kernel_configILj256ELj4ELj4294967295EEENS1_37radix_sort_block_sort_config_selectorIiNS0_10empty_typeEEEZNS1_21radix_sort_block_sortIS4_Lb0EN6thrust23THRUST_200600_302600_NS6detail15normal_iteratorINSA_10device_ptrIiEEEESF_PS6_SG_NS0_19identity_decomposerEEE10hipError_tT1_T2_T3_T4_jRjT5_jjP12ihipStream_tbEUlT_E_NS1_11comp_targetILNS1_3genE2ELNS1_11target_archE906ELNS1_3gpuE6ELNS1_3repE0EEENS1_44radix_sort_block_sort_config_static_selectorELNS0_4arch9wavefront6targetE1EEEvSJ_
; %bb.0:
	.section	.rodata,"a",@progbits
	.p2align	6, 0x0
	.amdhsa_kernel _ZN7rocprim17ROCPRIM_400000_NS6detail17trampoline_kernelINS0_13kernel_configILj256ELj4ELj4294967295EEENS1_37radix_sort_block_sort_config_selectorIiNS0_10empty_typeEEEZNS1_21radix_sort_block_sortIS4_Lb0EN6thrust23THRUST_200600_302600_NS6detail15normal_iteratorINSA_10device_ptrIiEEEESF_PS6_SG_NS0_19identity_decomposerEEE10hipError_tT1_T2_T3_T4_jRjT5_jjP12ihipStream_tbEUlT_E_NS1_11comp_targetILNS1_3genE2ELNS1_11target_archE906ELNS1_3gpuE6ELNS1_3repE0EEENS1_44radix_sort_block_sort_config_static_selectorELNS0_4arch9wavefront6targetE1EEEvSJ_
		.amdhsa_group_segment_fixed_size 0
		.amdhsa_private_segment_fixed_size 0
		.amdhsa_kernarg_size 48
		.amdhsa_user_sgpr_count 6
		.amdhsa_user_sgpr_private_segment_buffer 1
		.amdhsa_user_sgpr_dispatch_ptr 0
		.amdhsa_user_sgpr_queue_ptr 0
		.amdhsa_user_sgpr_kernarg_segment_ptr 1
		.amdhsa_user_sgpr_dispatch_id 0
		.amdhsa_user_sgpr_flat_scratch_init 0
		.amdhsa_user_sgpr_kernarg_preload_length 0
		.amdhsa_user_sgpr_kernarg_preload_offset 0
		.amdhsa_user_sgpr_private_segment_size 0
		.amdhsa_uses_dynamic_stack 0
		.amdhsa_system_sgpr_private_segment_wavefront_offset 0
		.amdhsa_system_sgpr_workgroup_id_x 1
		.amdhsa_system_sgpr_workgroup_id_y 0
		.amdhsa_system_sgpr_workgroup_id_z 0
		.amdhsa_system_sgpr_workgroup_info 0
		.amdhsa_system_vgpr_workitem_id 0
		.amdhsa_next_free_vgpr 1
		.amdhsa_next_free_sgpr 0
		.amdhsa_accum_offset 4
		.amdhsa_reserve_vcc 0
		.amdhsa_reserve_flat_scratch 0
		.amdhsa_float_round_mode_32 0
		.amdhsa_float_round_mode_16_64 0
		.amdhsa_float_denorm_mode_32 3
		.amdhsa_float_denorm_mode_16_64 3
		.amdhsa_dx10_clamp 1
		.amdhsa_ieee_mode 1
		.amdhsa_fp16_overflow 0
		.amdhsa_tg_split 0
		.amdhsa_exception_fp_ieee_invalid_op 0
		.amdhsa_exception_fp_denorm_src 0
		.amdhsa_exception_fp_ieee_div_zero 0
		.amdhsa_exception_fp_ieee_overflow 0
		.amdhsa_exception_fp_ieee_underflow 0
		.amdhsa_exception_fp_ieee_inexact 0
		.amdhsa_exception_int_div_zero 0
	.end_amdhsa_kernel
	.section	.text._ZN7rocprim17ROCPRIM_400000_NS6detail17trampoline_kernelINS0_13kernel_configILj256ELj4ELj4294967295EEENS1_37radix_sort_block_sort_config_selectorIiNS0_10empty_typeEEEZNS1_21radix_sort_block_sortIS4_Lb0EN6thrust23THRUST_200600_302600_NS6detail15normal_iteratorINSA_10device_ptrIiEEEESF_PS6_SG_NS0_19identity_decomposerEEE10hipError_tT1_T2_T3_T4_jRjT5_jjP12ihipStream_tbEUlT_E_NS1_11comp_targetILNS1_3genE2ELNS1_11target_archE906ELNS1_3gpuE6ELNS1_3repE0EEENS1_44radix_sort_block_sort_config_static_selectorELNS0_4arch9wavefront6targetE1EEEvSJ_,"axG",@progbits,_ZN7rocprim17ROCPRIM_400000_NS6detail17trampoline_kernelINS0_13kernel_configILj256ELj4ELj4294967295EEENS1_37radix_sort_block_sort_config_selectorIiNS0_10empty_typeEEEZNS1_21radix_sort_block_sortIS4_Lb0EN6thrust23THRUST_200600_302600_NS6detail15normal_iteratorINSA_10device_ptrIiEEEESF_PS6_SG_NS0_19identity_decomposerEEE10hipError_tT1_T2_T3_T4_jRjT5_jjP12ihipStream_tbEUlT_E_NS1_11comp_targetILNS1_3genE2ELNS1_11target_archE906ELNS1_3gpuE6ELNS1_3repE0EEENS1_44radix_sort_block_sort_config_static_selectorELNS0_4arch9wavefront6targetE1EEEvSJ_,comdat
.Lfunc_end1600:
	.size	_ZN7rocprim17ROCPRIM_400000_NS6detail17trampoline_kernelINS0_13kernel_configILj256ELj4ELj4294967295EEENS1_37radix_sort_block_sort_config_selectorIiNS0_10empty_typeEEEZNS1_21radix_sort_block_sortIS4_Lb0EN6thrust23THRUST_200600_302600_NS6detail15normal_iteratorINSA_10device_ptrIiEEEESF_PS6_SG_NS0_19identity_decomposerEEE10hipError_tT1_T2_T3_T4_jRjT5_jjP12ihipStream_tbEUlT_E_NS1_11comp_targetILNS1_3genE2ELNS1_11target_archE906ELNS1_3gpuE6ELNS1_3repE0EEENS1_44radix_sort_block_sort_config_static_selectorELNS0_4arch9wavefront6targetE1EEEvSJ_, .Lfunc_end1600-_ZN7rocprim17ROCPRIM_400000_NS6detail17trampoline_kernelINS0_13kernel_configILj256ELj4ELj4294967295EEENS1_37radix_sort_block_sort_config_selectorIiNS0_10empty_typeEEEZNS1_21radix_sort_block_sortIS4_Lb0EN6thrust23THRUST_200600_302600_NS6detail15normal_iteratorINSA_10device_ptrIiEEEESF_PS6_SG_NS0_19identity_decomposerEEE10hipError_tT1_T2_T3_T4_jRjT5_jjP12ihipStream_tbEUlT_E_NS1_11comp_targetILNS1_3genE2ELNS1_11target_archE906ELNS1_3gpuE6ELNS1_3repE0EEENS1_44radix_sort_block_sort_config_static_selectorELNS0_4arch9wavefront6targetE1EEEvSJ_
                                        ; -- End function
	.section	.AMDGPU.csdata,"",@progbits
; Kernel info:
; codeLenInByte = 0
; NumSgprs: 4
; NumVgprs: 0
; NumAgprs: 0
; TotalNumVgprs: 0
; ScratchSize: 0
; MemoryBound: 0
; FloatMode: 240
; IeeeMode: 1
; LDSByteSize: 0 bytes/workgroup (compile time only)
; SGPRBlocks: 0
; VGPRBlocks: 0
; NumSGPRsForWavesPerEU: 4
; NumVGPRsForWavesPerEU: 1
; AccumOffset: 4
; Occupancy: 8
; WaveLimiterHint : 0
; COMPUTE_PGM_RSRC2:SCRATCH_EN: 0
; COMPUTE_PGM_RSRC2:USER_SGPR: 6
; COMPUTE_PGM_RSRC2:TRAP_HANDLER: 0
; COMPUTE_PGM_RSRC2:TGID_X_EN: 1
; COMPUTE_PGM_RSRC2:TGID_Y_EN: 0
; COMPUTE_PGM_RSRC2:TGID_Z_EN: 0
; COMPUTE_PGM_RSRC2:TIDIG_COMP_CNT: 0
; COMPUTE_PGM_RSRC3_GFX90A:ACCUM_OFFSET: 0
; COMPUTE_PGM_RSRC3_GFX90A:TG_SPLIT: 0
	.section	.text._ZN7rocprim17ROCPRIM_400000_NS6detail17trampoline_kernelINS0_13kernel_configILj256ELj4ELj4294967295EEENS1_37radix_sort_block_sort_config_selectorIiNS0_10empty_typeEEEZNS1_21radix_sort_block_sortIS4_Lb0EN6thrust23THRUST_200600_302600_NS6detail15normal_iteratorINSA_10device_ptrIiEEEESF_PS6_SG_NS0_19identity_decomposerEEE10hipError_tT1_T2_T3_T4_jRjT5_jjP12ihipStream_tbEUlT_E_NS1_11comp_targetILNS1_3genE10ELNS1_11target_archE1201ELNS1_3gpuE5ELNS1_3repE0EEENS1_44radix_sort_block_sort_config_static_selectorELNS0_4arch9wavefront6targetE1EEEvSJ_,"axG",@progbits,_ZN7rocprim17ROCPRIM_400000_NS6detail17trampoline_kernelINS0_13kernel_configILj256ELj4ELj4294967295EEENS1_37radix_sort_block_sort_config_selectorIiNS0_10empty_typeEEEZNS1_21radix_sort_block_sortIS4_Lb0EN6thrust23THRUST_200600_302600_NS6detail15normal_iteratorINSA_10device_ptrIiEEEESF_PS6_SG_NS0_19identity_decomposerEEE10hipError_tT1_T2_T3_T4_jRjT5_jjP12ihipStream_tbEUlT_E_NS1_11comp_targetILNS1_3genE10ELNS1_11target_archE1201ELNS1_3gpuE5ELNS1_3repE0EEENS1_44radix_sort_block_sort_config_static_selectorELNS0_4arch9wavefront6targetE1EEEvSJ_,comdat
	.protected	_ZN7rocprim17ROCPRIM_400000_NS6detail17trampoline_kernelINS0_13kernel_configILj256ELj4ELj4294967295EEENS1_37radix_sort_block_sort_config_selectorIiNS0_10empty_typeEEEZNS1_21radix_sort_block_sortIS4_Lb0EN6thrust23THRUST_200600_302600_NS6detail15normal_iteratorINSA_10device_ptrIiEEEESF_PS6_SG_NS0_19identity_decomposerEEE10hipError_tT1_T2_T3_T4_jRjT5_jjP12ihipStream_tbEUlT_E_NS1_11comp_targetILNS1_3genE10ELNS1_11target_archE1201ELNS1_3gpuE5ELNS1_3repE0EEENS1_44radix_sort_block_sort_config_static_selectorELNS0_4arch9wavefront6targetE1EEEvSJ_ ; -- Begin function _ZN7rocprim17ROCPRIM_400000_NS6detail17trampoline_kernelINS0_13kernel_configILj256ELj4ELj4294967295EEENS1_37radix_sort_block_sort_config_selectorIiNS0_10empty_typeEEEZNS1_21radix_sort_block_sortIS4_Lb0EN6thrust23THRUST_200600_302600_NS6detail15normal_iteratorINSA_10device_ptrIiEEEESF_PS6_SG_NS0_19identity_decomposerEEE10hipError_tT1_T2_T3_T4_jRjT5_jjP12ihipStream_tbEUlT_E_NS1_11comp_targetILNS1_3genE10ELNS1_11target_archE1201ELNS1_3gpuE5ELNS1_3repE0EEENS1_44radix_sort_block_sort_config_static_selectorELNS0_4arch9wavefront6targetE1EEEvSJ_
	.globl	_ZN7rocprim17ROCPRIM_400000_NS6detail17trampoline_kernelINS0_13kernel_configILj256ELj4ELj4294967295EEENS1_37radix_sort_block_sort_config_selectorIiNS0_10empty_typeEEEZNS1_21radix_sort_block_sortIS4_Lb0EN6thrust23THRUST_200600_302600_NS6detail15normal_iteratorINSA_10device_ptrIiEEEESF_PS6_SG_NS0_19identity_decomposerEEE10hipError_tT1_T2_T3_T4_jRjT5_jjP12ihipStream_tbEUlT_E_NS1_11comp_targetILNS1_3genE10ELNS1_11target_archE1201ELNS1_3gpuE5ELNS1_3repE0EEENS1_44radix_sort_block_sort_config_static_selectorELNS0_4arch9wavefront6targetE1EEEvSJ_
	.p2align	8
	.type	_ZN7rocprim17ROCPRIM_400000_NS6detail17trampoline_kernelINS0_13kernel_configILj256ELj4ELj4294967295EEENS1_37radix_sort_block_sort_config_selectorIiNS0_10empty_typeEEEZNS1_21radix_sort_block_sortIS4_Lb0EN6thrust23THRUST_200600_302600_NS6detail15normal_iteratorINSA_10device_ptrIiEEEESF_PS6_SG_NS0_19identity_decomposerEEE10hipError_tT1_T2_T3_T4_jRjT5_jjP12ihipStream_tbEUlT_E_NS1_11comp_targetILNS1_3genE10ELNS1_11target_archE1201ELNS1_3gpuE5ELNS1_3repE0EEENS1_44radix_sort_block_sort_config_static_selectorELNS0_4arch9wavefront6targetE1EEEvSJ_,@function
_ZN7rocprim17ROCPRIM_400000_NS6detail17trampoline_kernelINS0_13kernel_configILj256ELj4ELj4294967295EEENS1_37radix_sort_block_sort_config_selectorIiNS0_10empty_typeEEEZNS1_21radix_sort_block_sortIS4_Lb0EN6thrust23THRUST_200600_302600_NS6detail15normal_iteratorINSA_10device_ptrIiEEEESF_PS6_SG_NS0_19identity_decomposerEEE10hipError_tT1_T2_T3_T4_jRjT5_jjP12ihipStream_tbEUlT_E_NS1_11comp_targetILNS1_3genE10ELNS1_11target_archE1201ELNS1_3gpuE5ELNS1_3repE0EEENS1_44radix_sort_block_sort_config_static_selectorELNS0_4arch9wavefront6targetE1EEEvSJ_: ; @_ZN7rocprim17ROCPRIM_400000_NS6detail17trampoline_kernelINS0_13kernel_configILj256ELj4ELj4294967295EEENS1_37radix_sort_block_sort_config_selectorIiNS0_10empty_typeEEEZNS1_21radix_sort_block_sortIS4_Lb0EN6thrust23THRUST_200600_302600_NS6detail15normal_iteratorINSA_10device_ptrIiEEEESF_PS6_SG_NS0_19identity_decomposerEEE10hipError_tT1_T2_T3_T4_jRjT5_jjP12ihipStream_tbEUlT_E_NS1_11comp_targetILNS1_3genE10ELNS1_11target_archE1201ELNS1_3gpuE5ELNS1_3repE0EEENS1_44radix_sort_block_sort_config_static_selectorELNS0_4arch9wavefront6targetE1EEEvSJ_
; %bb.0:
	.section	.rodata,"a",@progbits
	.p2align	6, 0x0
	.amdhsa_kernel _ZN7rocprim17ROCPRIM_400000_NS6detail17trampoline_kernelINS0_13kernel_configILj256ELj4ELj4294967295EEENS1_37radix_sort_block_sort_config_selectorIiNS0_10empty_typeEEEZNS1_21radix_sort_block_sortIS4_Lb0EN6thrust23THRUST_200600_302600_NS6detail15normal_iteratorINSA_10device_ptrIiEEEESF_PS6_SG_NS0_19identity_decomposerEEE10hipError_tT1_T2_T3_T4_jRjT5_jjP12ihipStream_tbEUlT_E_NS1_11comp_targetILNS1_3genE10ELNS1_11target_archE1201ELNS1_3gpuE5ELNS1_3repE0EEENS1_44radix_sort_block_sort_config_static_selectorELNS0_4arch9wavefront6targetE1EEEvSJ_
		.amdhsa_group_segment_fixed_size 0
		.amdhsa_private_segment_fixed_size 0
		.amdhsa_kernarg_size 48
		.amdhsa_user_sgpr_count 6
		.amdhsa_user_sgpr_private_segment_buffer 1
		.amdhsa_user_sgpr_dispatch_ptr 0
		.amdhsa_user_sgpr_queue_ptr 0
		.amdhsa_user_sgpr_kernarg_segment_ptr 1
		.amdhsa_user_sgpr_dispatch_id 0
		.amdhsa_user_sgpr_flat_scratch_init 0
		.amdhsa_user_sgpr_kernarg_preload_length 0
		.amdhsa_user_sgpr_kernarg_preload_offset 0
		.amdhsa_user_sgpr_private_segment_size 0
		.amdhsa_uses_dynamic_stack 0
		.amdhsa_system_sgpr_private_segment_wavefront_offset 0
		.amdhsa_system_sgpr_workgroup_id_x 1
		.amdhsa_system_sgpr_workgroup_id_y 0
		.amdhsa_system_sgpr_workgroup_id_z 0
		.amdhsa_system_sgpr_workgroup_info 0
		.amdhsa_system_vgpr_workitem_id 0
		.amdhsa_next_free_vgpr 1
		.amdhsa_next_free_sgpr 0
		.amdhsa_accum_offset 4
		.amdhsa_reserve_vcc 0
		.amdhsa_reserve_flat_scratch 0
		.amdhsa_float_round_mode_32 0
		.amdhsa_float_round_mode_16_64 0
		.amdhsa_float_denorm_mode_32 3
		.amdhsa_float_denorm_mode_16_64 3
		.amdhsa_dx10_clamp 1
		.amdhsa_ieee_mode 1
		.amdhsa_fp16_overflow 0
		.amdhsa_tg_split 0
		.amdhsa_exception_fp_ieee_invalid_op 0
		.amdhsa_exception_fp_denorm_src 0
		.amdhsa_exception_fp_ieee_div_zero 0
		.amdhsa_exception_fp_ieee_overflow 0
		.amdhsa_exception_fp_ieee_underflow 0
		.amdhsa_exception_fp_ieee_inexact 0
		.amdhsa_exception_int_div_zero 0
	.end_amdhsa_kernel
	.section	.text._ZN7rocprim17ROCPRIM_400000_NS6detail17trampoline_kernelINS0_13kernel_configILj256ELj4ELj4294967295EEENS1_37radix_sort_block_sort_config_selectorIiNS0_10empty_typeEEEZNS1_21radix_sort_block_sortIS4_Lb0EN6thrust23THRUST_200600_302600_NS6detail15normal_iteratorINSA_10device_ptrIiEEEESF_PS6_SG_NS0_19identity_decomposerEEE10hipError_tT1_T2_T3_T4_jRjT5_jjP12ihipStream_tbEUlT_E_NS1_11comp_targetILNS1_3genE10ELNS1_11target_archE1201ELNS1_3gpuE5ELNS1_3repE0EEENS1_44radix_sort_block_sort_config_static_selectorELNS0_4arch9wavefront6targetE1EEEvSJ_,"axG",@progbits,_ZN7rocprim17ROCPRIM_400000_NS6detail17trampoline_kernelINS0_13kernel_configILj256ELj4ELj4294967295EEENS1_37radix_sort_block_sort_config_selectorIiNS0_10empty_typeEEEZNS1_21radix_sort_block_sortIS4_Lb0EN6thrust23THRUST_200600_302600_NS6detail15normal_iteratorINSA_10device_ptrIiEEEESF_PS6_SG_NS0_19identity_decomposerEEE10hipError_tT1_T2_T3_T4_jRjT5_jjP12ihipStream_tbEUlT_E_NS1_11comp_targetILNS1_3genE10ELNS1_11target_archE1201ELNS1_3gpuE5ELNS1_3repE0EEENS1_44radix_sort_block_sort_config_static_selectorELNS0_4arch9wavefront6targetE1EEEvSJ_,comdat
.Lfunc_end1601:
	.size	_ZN7rocprim17ROCPRIM_400000_NS6detail17trampoline_kernelINS0_13kernel_configILj256ELj4ELj4294967295EEENS1_37radix_sort_block_sort_config_selectorIiNS0_10empty_typeEEEZNS1_21radix_sort_block_sortIS4_Lb0EN6thrust23THRUST_200600_302600_NS6detail15normal_iteratorINSA_10device_ptrIiEEEESF_PS6_SG_NS0_19identity_decomposerEEE10hipError_tT1_T2_T3_T4_jRjT5_jjP12ihipStream_tbEUlT_E_NS1_11comp_targetILNS1_3genE10ELNS1_11target_archE1201ELNS1_3gpuE5ELNS1_3repE0EEENS1_44radix_sort_block_sort_config_static_selectorELNS0_4arch9wavefront6targetE1EEEvSJ_, .Lfunc_end1601-_ZN7rocprim17ROCPRIM_400000_NS6detail17trampoline_kernelINS0_13kernel_configILj256ELj4ELj4294967295EEENS1_37radix_sort_block_sort_config_selectorIiNS0_10empty_typeEEEZNS1_21radix_sort_block_sortIS4_Lb0EN6thrust23THRUST_200600_302600_NS6detail15normal_iteratorINSA_10device_ptrIiEEEESF_PS6_SG_NS0_19identity_decomposerEEE10hipError_tT1_T2_T3_T4_jRjT5_jjP12ihipStream_tbEUlT_E_NS1_11comp_targetILNS1_3genE10ELNS1_11target_archE1201ELNS1_3gpuE5ELNS1_3repE0EEENS1_44radix_sort_block_sort_config_static_selectorELNS0_4arch9wavefront6targetE1EEEvSJ_
                                        ; -- End function
	.section	.AMDGPU.csdata,"",@progbits
; Kernel info:
; codeLenInByte = 0
; NumSgprs: 4
; NumVgprs: 0
; NumAgprs: 0
; TotalNumVgprs: 0
; ScratchSize: 0
; MemoryBound: 0
; FloatMode: 240
; IeeeMode: 1
; LDSByteSize: 0 bytes/workgroup (compile time only)
; SGPRBlocks: 0
; VGPRBlocks: 0
; NumSGPRsForWavesPerEU: 4
; NumVGPRsForWavesPerEU: 1
; AccumOffset: 4
; Occupancy: 8
; WaveLimiterHint : 0
; COMPUTE_PGM_RSRC2:SCRATCH_EN: 0
; COMPUTE_PGM_RSRC2:USER_SGPR: 6
; COMPUTE_PGM_RSRC2:TRAP_HANDLER: 0
; COMPUTE_PGM_RSRC2:TGID_X_EN: 1
; COMPUTE_PGM_RSRC2:TGID_Y_EN: 0
; COMPUTE_PGM_RSRC2:TGID_Z_EN: 0
; COMPUTE_PGM_RSRC2:TIDIG_COMP_CNT: 0
; COMPUTE_PGM_RSRC3_GFX90A:ACCUM_OFFSET: 0
; COMPUTE_PGM_RSRC3_GFX90A:TG_SPLIT: 0
	.section	.text._ZN7rocprim17ROCPRIM_400000_NS6detail17trampoline_kernelINS0_13kernel_configILj256ELj4ELj4294967295EEENS1_37radix_sort_block_sort_config_selectorIiNS0_10empty_typeEEEZNS1_21radix_sort_block_sortIS4_Lb0EN6thrust23THRUST_200600_302600_NS6detail15normal_iteratorINSA_10device_ptrIiEEEESF_PS6_SG_NS0_19identity_decomposerEEE10hipError_tT1_T2_T3_T4_jRjT5_jjP12ihipStream_tbEUlT_E_NS1_11comp_targetILNS1_3genE10ELNS1_11target_archE1200ELNS1_3gpuE4ELNS1_3repE0EEENS1_44radix_sort_block_sort_config_static_selectorELNS0_4arch9wavefront6targetE1EEEvSJ_,"axG",@progbits,_ZN7rocprim17ROCPRIM_400000_NS6detail17trampoline_kernelINS0_13kernel_configILj256ELj4ELj4294967295EEENS1_37radix_sort_block_sort_config_selectorIiNS0_10empty_typeEEEZNS1_21radix_sort_block_sortIS4_Lb0EN6thrust23THRUST_200600_302600_NS6detail15normal_iteratorINSA_10device_ptrIiEEEESF_PS6_SG_NS0_19identity_decomposerEEE10hipError_tT1_T2_T3_T4_jRjT5_jjP12ihipStream_tbEUlT_E_NS1_11comp_targetILNS1_3genE10ELNS1_11target_archE1200ELNS1_3gpuE4ELNS1_3repE0EEENS1_44radix_sort_block_sort_config_static_selectorELNS0_4arch9wavefront6targetE1EEEvSJ_,comdat
	.protected	_ZN7rocprim17ROCPRIM_400000_NS6detail17trampoline_kernelINS0_13kernel_configILj256ELj4ELj4294967295EEENS1_37radix_sort_block_sort_config_selectorIiNS0_10empty_typeEEEZNS1_21radix_sort_block_sortIS4_Lb0EN6thrust23THRUST_200600_302600_NS6detail15normal_iteratorINSA_10device_ptrIiEEEESF_PS6_SG_NS0_19identity_decomposerEEE10hipError_tT1_T2_T3_T4_jRjT5_jjP12ihipStream_tbEUlT_E_NS1_11comp_targetILNS1_3genE10ELNS1_11target_archE1200ELNS1_3gpuE4ELNS1_3repE0EEENS1_44radix_sort_block_sort_config_static_selectorELNS0_4arch9wavefront6targetE1EEEvSJ_ ; -- Begin function _ZN7rocprim17ROCPRIM_400000_NS6detail17trampoline_kernelINS0_13kernel_configILj256ELj4ELj4294967295EEENS1_37radix_sort_block_sort_config_selectorIiNS0_10empty_typeEEEZNS1_21radix_sort_block_sortIS4_Lb0EN6thrust23THRUST_200600_302600_NS6detail15normal_iteratorINSA_10device_ptrIiEEEESF_PS6_SG_NS0_19identity_decomposerEEE10hipError_tT1_T2_T3_T4_jRjT5_jjP12ihipStream_tbEUlT_E_NS1_11comp_targetILNS1_3genE10ELNS1_11target_archE1200ELNS1_3gpuE4ELNS1_3repE0EEENS1_44radix_sort_block_sort_config_static_selectorELNS0_4arch9wavefront6targetE1EEEvSJ_
	.globl	_ZN7rocprim17ROCPRIM_400000_NS6detail17trampoline_kernelINS0_13kernel_configILj256ELj4ELj4294967295EEENS1_37radix_sort_block_sort_config_selectorIiNS0_10empty_typeEEEZNS1_21radix_sort_block_sortIS4_Lb0EN6thrust23THRUST_200600_302600_NS6detail15normal_iteratorINSA_10device_ptrIiEEEESF_PS6_SG_NS0_19identity_decomposerEEE10hipError_tT1_T2_T3_T4_jRjT5_jjP12ihipStream_tbEUlT_E_NS1_11comp_targetILNS1_3genE10ELNS1_11target_archE1200ELNS1_3gpuE4ELNS1_3repE0EEENS1_44radix_sort_block_sort_config_static_selectorELNS0_4arch9wavefront6targetE1EEEvSJ_
	.p2align	8
	.type	_ZN7rocprim17ROCPRIM_400000_NS6detail17trampoline_kernelINS0_13kernel_configILj256ELj4ELj4294967295EEENS1_37radix_sort_block_sort_config_selectorIiNS0_10empty_typeEEEZNS1_21radix_sort_block_sortIS4_Lb0EN6thrust23THRUST_200600_302600_NS6detail15normal_iteratorINSA_10device_ptrIiEEEESF_PS6_SG_NS0_19identity_decomposerEEE10hipError_tT1_T2_T3_T4_jRjT5_jjP12ihipStream_tbEUlT_E_NS1_11comp_targetILNS1_3genE10ELNS1_11target_archE1200ELNS1_3gpuE4ELNS1_3repE0EEENS1_44radix_sort_block_sort_config_static_selectorELNS0_4arch9wavefront6targetE1EEEvSJ_,@function
_ZN7rocprim17ROCPRIM_400000_NS6detail17trampoline_kernelINS0_13kernel_configILj256ELj4ELj4294967295EEENS1_37radix_sort_block_sort_config_selectorIiNS0_10empty_typeEEEZNS1_21radix_sort_block_sortIS4_Lb0EN6thrust23THRUST_200600_302600_NS6detail15normal_iteratorINSA_10device_ptrIiEEEESF_PS6_SG_NS0_19identity_decomposerEEE10hipError_tT1_T2_T3_T4_jRjT5_jjP12ihipStream_tbEUlT_E_NS1_11comp_targetILNS1_3genE10ELNS1_11target_archE1200ELNS1_3gpuE4ELNS1_3repE0EEENS1_44radix_sort_block_sort_config_static_selectorELNS0_4arch9wavefront6targetE1EEEvSJ_: ; @_ZN7rocprim17ROCPRIM_400000_NS6detail17trampoline_kernelINS0_13kernel_configILj256ELj4ELj4294967295EEENS1_37radix_sort_block_sort_config_selectorIiNS0_10empty_typeEEEZNS1_21radix_sort_block_sortIS4_Lb0EN6thrust23THRUST_200600_302600_NS6detail15normal_iteratorINSA_10device_ptrIiEEEESF_PS6_SG_NS0_19identity_decomposerEEE10hipError_tT1_T2_T3_T4_jRjT5_jjP12ihipStream_tbEUlT_E_NS1_11comp_targetILNS1_3genE10ELNS1_11target_archE1200ELNS1_3gpuE4ELNS1_3repE0EEENS1_44radix_sort_block_sort_config_static_selectorELNS0_4arch9wavefront6targetE1EEEvSJ_
; %bb.0:
	.section	.rodata,"a",@progbits
	.p2align	6, 0x0
	.amdhsa_kernel _ZN7rocprim17ROCPRIM_400000_NS6detail17trampoline_kernelINS0_13kernel_configILj256ELj4ELj4294967295EEENS1_37radix_sort_block_sort_config_selectorIiNS0_10empty_typeEEEZNS1_21radix_sort_block_sortIS4_Lb0EN6thrust23THRUST_200600_302600_NS6detail15normal_iteratorINSA_10device_ptrIiEEEESF_PS6_SG_NS0_19identity_decomposerEEE10hipError_tT1_T2_T3_T4_jRjT5_jjP12ihipStream_tbEUlT_E_NS1_11comp_targetILNS1_3genE10ELNS1_11target_archE1200ELNS1_3gpuE4ELNS1_3repE0EEENS1_44radix_sort_block_sort_config_static_selectorELNS0_4arch9wavefront6targetE1EEEvSJ_
		.amdhsa_group_segment_fixed_size 0
		.amdhsa_private_segment_fixed_size 0
		.amdhsa_kernarg_size 48
		.amdhsa_user_sgpr_count 6
		.amdhsa_user_sgpr_private_segment_buffer 1
		.amdhsa_user_sgpr_dispatch_ptr 0
		.amdhsa_user_sgpr_queue_ptr 0
		.amdhsa_user_sgpr_kernarg_segment_ptr 1
		.amdhsa_user_sgpr_dispatch_id 0
		.amdhsa_user_sgpr_flat_scratch_init 0
		.amdhsa_user_sgpr_kernarg_preload_length 0
		.amdhsa_user_sgpr_kernarg_preload_offset 0
		.amdhsa_user_sgpr_private_segment_size 0
		.amdhsa_uses_dynamic_stack 0
		.amdhsa_system_sgpr_private_segment_wavefront_offset 0
		.amdhsa_system_sgpr_workgroup_id_x 1
		.amdhsa_system_sgpr_workgroup_id_y 0
		.amdhsa_system_sgpr_workgroup_id_z 0
		.amdhsa_system_sgpr_workgroup_info 0
		.amdhsa_system_vgpr_workitem_id 0
		.amdhsa_next_free_vgpr 1
		.amdhsa_next_free_sgpr 0
		.amdhsa_accum_offset 4
		.amdhsa_reserve_vcc 0
		.amdhsa_reserve_flat_scratch 0
		.amdhsa_float_round_mode_32 0
		.amdhsa_float_round_mode_16_64 0
		.amdhsa_float_denorm_mode_32 3
		.amdhsa_float_denorm_mode_16_64 3
		.amdhsa_dx10_clamp 1
		.amdhsa_ieee_mode 1
		.amdhsa_fp16_overflow 0
		.amdhsa_tg_split 0
		.amdhsa_exception_fp_ieee_invalid_op 0
		.amdhsa_exception_fp_denorm_src 0
		.amdhsa_exception_fp_ieee_div_zero 0
		.amdhsa_exception_fp_ieee_overflow 0
		.amdhsa_exception_fp_ieee_underflow 0
		.amdhsa_exception_fp_ieee_inexact 0
		.amdhsa_exception_int_div_zero 0
	.end_amdhsa_kernel
	.section	.text._ZN7rocprim17ROCPRIM_400000_NS6detail17trampoline_kernelINS0_13kernel_configILj256ELj4ELj4294967295EEENS1_37radix_sort_block_sort_config_selectorIiNS0_10empty_typeEEEZNS1_21radix_sort_block_sortIS4_Lb0EN6thrust23THRUST_200600_302600_NS6detail15normal_iteratorINSA_10device_ptrIiEEEESF_PS6_SG_NS0_19identity_decomposerEEE10hipError_tT1_T2_T3_T4_jRjT5_jjP12ihipStream_tbEUlT_E_NS1_11comp_targetILNS1_3genE10ELNS1_11target_archE1200ELNS1_3gpuE4ELNS1_3repE0EEENS1_44radix_sort_block_sort_config_static_selectorELNS0_4arch9wavefront6targetE1EEEvSJ_,"axG",@progbits,_ZN7rocprim17ROCPRIM_400000_NS6detail17trampoline_kernelINS0_13kernel_configILj256ELj4ELj4294967295EEENS1_37radix_sort_block_sort_config_selectorIiNS0_10empty_typeEEEZNS1_21radix_sort_block_sortIS4_Lb0EN6thrust23THRUST_200600_302600_NS6detail15normal_iteratorINSA_10device_ptrIiEEEESF_PS6_SG_NS0_19identity_decomposerEEE10hipError_tT1_T2_T3_T4_jRjT5_jjP12ihipStream_tbEUlT_E_NS1_11comp_targetILNS1_3genE10ELNS1_11target_archE1200ELNS1_3gpuE4ELNS1_3repE0EEENS1_44radix_sort_block_sort_config_static_selectorELNS0_4arch9wavefront6targetE1EEEvSJ_,comdat
.Lfunc_end1602:
	.size	_ZN7rocprim17ROCPRIM_400000_NS6detail17trampoline_kernelINS0_13kernel_configILj256ELj4ELj4294967295EEENS1_37radix_sort_block_sort_config_selectorIiNS0_10empty_typeEEEZNS1_21radix_sort_block_sortIS4_Lb0EN6thrust23THRUST_200600_302600_NS6detail15normal_iteratorINSA_10device_ptrIiEEEESF_PS6_SG_NS0_19identity_decomposerEEE10hipError_tT1_T2_T3_T4_jRjT5_jjP12ihipStream_tbEUlT_E_NS1_11comp_targetILNS1_3genE10ELNS1_11target_archE1200ELNS1_3gpuE4ELNS1_3repE0EEENS1_44radix_sort_block_sort_config_static_selectorELNS0_4arch9wavefront6targetE1EEEvSJ_, .Lfunc_end1602-_ZN7rocprim17ROCPRIM_400000_NS6detail17trampoline_kernelINS0_13kernel_configILj256ELj4ELj4294967295EEENS1_37radix_sort_block_sort_config_selectorIiNS0_10empty_typeEEEZNS1_21radix_sort_block_sortIS4_Lb0EN6thrust23THRUST_200600_302600_NS6detail15normal_iteratorINSA_10device_ptrIiEEEESF_PS6_SG_NS0_19identity_decomposerEEE10hipError_tT1_T2_T3_T4_jRjT5_jjP12ihipStream_tbEUlT_E_NS1_11comp_targetILNS1_3genE10ELNS1_11target_archE1200ELNS1_3gpuE4ELNS1_3repE0EEENS1_44radix_sort_block_sort_config_static_selectorELNS0_4arch9wavefront6targetE1EEEvSJ_
                                        ; -- End function
	.section	.AMDGPU.csdata,"",@progbits
; Kernel info:
; codeLenInByte = 0
; NumSgprs: 4
; NumVgprs: 0
; NumAgprs: 0
; TotalNumVgprs: 0
; ScratchSize: 0
; MemoryBound: 0
; FloatMode: 240
; IeeeMode: 1
; LDSByteSize: 0 bytes/workgroup (compile time only)
; SGPRBlocks: 0
; VGPRBlocks: 0
; NumSGPRsForWavesPerEU: 4
; NumVGPRsForWavesPerEU: 1
; AccumOffset: 4
; Occupancy: 8
; WaveLimiterHint : 0
; COMPUTE_PGM_RSRC2:SCRATCH_EN: 0
; COMPUTE_PGM_RSRC2:USER_SGPR: 6
; COMPUTE_PGM_RSRC2:TRAP_HANDLER: 0
; COMPUTE_PGM_RSRC2:TGID_X_EN: 1
; COMPUTE_PGM_RSRC2:TGID_Y_EN: 0
; COMPUTE_PGM_RSRC2:TGID_Z_EN: 0
; COMPUTE_PGM_RSRC2:TIDIG_COMP_CNT: 0
; COMPUTE_PGM_RSRC3_GFX90A:ACCUM_OFFSET: 0
; COMPUTE_PGM_RSRC3_GFX90A:TG_SPLIT: 0
	.section	.text._ZN7rocprim17ROCPRIM_400000_NS6detail17trampoline_kernelINS0_13kernel_configILj256ELj4ELj4294967295EEENS1_37radix_sort_block_sort_config_selectorIiNS0_10empty_typeEEEZNS1_21radix_sort_block_sortIS4_Lb0EN6thrust23THRUST_200600_302600_NS6detail15normal_iteratorINSA_10device_ptrIiEEEESF_PS6_SG_NS0_19identity_decomposerEEE10hipError_tT1_T2_T3_T4_jRjT5_jjP12ihipStream_tbEUlT_E_NS1_11comp_targetILNS1_3genE9ELNS1_11target_archE1100ELNS1_3gpuE3ELNS1_3repE0EEENS1_44radix_sort_block_sort_config_static_selectorELNS0_4arch9wavefront6targetE1EEEvSJ_,"axG",@progbits,_ZN7rocprim17ROCPRIM_400000_NS6detail17trampoline_kernelINS0_13kernel_configILj256ELj4ELj4294967295EEENS1_37radix_sort_block_sort_config_selectorIiNS0_10empty_typeEEEZNS1_21radix_sort_block_sortIS4_Lb0EN6thrust23THRUST_200600_302600_NS6detail15normal_iteratorINSA_10device_ptrIiEEEESF_PS6_SG_NS0_19identity_decomposerEEE10hipError_tT1_T2_T3_T4_jRjT5_jjP12ihipStream_tbEUlT_E_NS1_11comp_targetILNS1_3genE9ELNS1_11target_archE1100ELNS1_3gpuE3ELNS1_3repE0EEENS1_44radix_sort_block_sort_config_static_selectorELNS0_4arch9wavefront6targetE1EEEvSJ_,comdat
	.protected	_ZN7rocprim17ROCPRIM_400000_NS6detail17trampoline_kernelINS0_13kernel_configILj256ELj4ELj4294967295EEENS1_37radix_sort_block_sort_config_selectorIiNS0_10empty_typeEEEZNS1_21radix_sort_block_sortIS4_Lb0EN6thrust23THRUST_200600_302600_NS6detail15normal_iteratorINSA_10device_ptrIiEEEESF_PS6_SG_NS0_19identity_decomposerEEE10hipError_tT1_T2_T3_T4_jRjT5_jjP12ihipStream_tbEUlT_E_NS1_11comp_targetILNS1_3genE9ELNS1_11target_archE1100ELNS1_3gpuE3ELNS1_3repE0EEENS1_44radix_sort_block_sort_config_static_selectorELNS0_4arch9wavefront6targetE1EEEvSJ_ ; -- Begin function _ZN7rocprim17ROCPRIM_400000_NS6detail17trampoline_kernelINS0_13kernel_configILj256ELj4ELj4294967295EEENS1_37radix_sort_block_sort_config_selectorIiNS0_10empty_typeEEEZNS1_21radix_sort_block_sortIS4_Lb0EN6thrust23THRUST_200600_302600_NS6detail15normal_iteratorINSA_10device_ptrIiEEEESF_PS6_SG_NS0_19identity_decomposerEEE10hipError_tT1_T2_T3_T4_jRjT5_jjP12ihipStream_tbEUlT_E_NS1_11comp_targetILNS1_3genE9ELNS1_11target_archE1100ELNS1_3gpuE3ELNS1_3repE0EEENS1_44radix_sort_block_sort_config_static_selectorELNS0_4arch9wavefront6targetE1EEEvSJ_
	.globl	_ZN7rocprim17ROCPRIM_400000_NS6detail17trampoline_kernelINS0_13kernel_configILj256ELj4ELj4294967295EEENS1_37radix_sort_block_sort_config_selectorIiNS0_10empty_typeEEEZNS1_21radix_sort_block_sortIS4_Lb0EN6thrust23THRUST_200600_302600_NS6detail15normal_iteratorINSA_10device_ptrIiEEEESF_PS6_SG_NS0_19identity_decomposerEEE10hipError_tT1_T2_T3_T4_jRjT5_jjP12ihipStream_tbEUlT_E_NS1_11comp_targetILNS1_3genE9ELNS1_11target_archE1100ELNS1_3gpuE3ELNS1_3repE0EEENS1_44radix_sort_block_sort_config_static_selectorELNS0_4arch9wavefront6targetE1EEEvSJ_
	.p2align	8
	.type	_ZN7rocprim17ROCPRIM_400000_NS6detail17trampoline_kernelINS0_13kernel_configILj256ELj4ELj4294967295EEENS1_37radix_sort_block_sort_config_selectorIiNS0_10empty_typeEEEZNS1_21radix_sort_block_sortIS4_Lb0EN6thrust23THRUST_200600_302600_NS6detail15normal_iteratorINSA_10device_ptrIiEEEESF_PS6_SG_NS0_19identity_decomposerEEE10hipError_tT1_T2_T3_T4_jRjT5_jjP12ihipStream_tbEUlT_E_NS1_11comp_targetILNS1_3genE9ELNS1_11target_archE1100ELNS1_3gpuE3ELNS1_3repE0EEENS1_44radix_sort_block_sort_config_static_selectorELNS0_4arch9wavefront6targetE1EEEvSJ_,@function
_ZN7rocprim17ROCPRIM_400000_NS6detail17trampoline_kernelINS0_13kernel_configILj256ELj4ELj4294967295EEENS1_37radix_sort_block_sort_config_selectorIiNS0_10empty_typeEEEZNS1_21radix_sort_block_sortIS4_Lb0EN6thrust23THRUST_200600_302600_NS6detail15normal_iteratorINSA_10device_ptrIiEEEESF_PS6_SG_NS0_19identity_decomposerEEE10hipError_tT1_T2_T3_T4_jRjT5_jjP12ihipStream_tbEUlT_E_NS1_11comp_targetILNS1_3genE9ELNS1_11target_archE1100ELNS1_3gpuE3ELNS1_3repE0EEENS1_44radix_sort_block_sort_config_static_selectorELNS0_4arch9wavefront6targetE1EEEvSJ_: ; @_ZN7rocprim17ROCPRIM_400000_NS6detail17trampoline_kernelINS0_13kernel_configILj256ELj4ELj4294967295EEENS1_37radix_sort_block_sort_config_selectorIiNS0_10empty_typeEEEZNS1_21radix_sort_block_sortIS4_Lb0EN6thrust23THRUST_200600_302600_NS6detail15normal_iteratorINSA_10device_ptrIiEEEESF_PS6_SG_NS0_19identity_decomposerEEE10hipError_tT1_T2_T3_T4_jRjT5_jjP12ihipStream_tbEUlT_E_NS1_11comp_targetILNS1_3genE9ELNS1_11target_archE1100ELNS1_3gpuE3ELNS1_3repE0EEENS1_44radix_sort_block_sort_config_static_selectorELNS0_4arch9wavefront6targetE1EEEvSJ_
; %bb.0:
	.section	.rodata,"a",@progbits
	.p2align	6, 0x0
	.amdhsa_kernel _ZN7rocprim17ROCPRIM_400000_NS6detail17trampoline_kernelINS0_13kernel_configILj256ELj4ELj4294967295EEENS1_37radix_sort_block_sort_config_selectorIiNS0_10empty_typeEEEZNS1_21radix_sort_block_sortIS4_Lb0EN6thrust23THRUST_200600_302600_NS6detail15normal_iteratorINSA_10device_ptrIiEEEESF_PS6_SG_NS0_19identity_decomposerEEE10hipError_tT1_T2_T3_T4_jRjT5_jjP12ihipStream_tbEUlT_E_NS1_11comp_targetILNS1_3genE9ELNS1_11target_archE1100ELNS1_3gpuE3ELNS1_3repE0EEENS1_44radix_sort_block_sort_config_static_selectorELNS0_4arch9wavefront6targetE1EEEvSJ_
		.amdhsa_group_segment_fixed_size 0
		.amdhsa_private_segment_fixed_size 0
		.amdhsa_kernarg_size 48
		.amdhsa_user_sgpr_count 6
		.amdhsa_user_sgpr_private_segment_buffer 1
		.amdhsa_user_sgpr_dispatch_ptr 0
		.amdhsa_user_sgpr_queue_ptr 0
		.amdhsa_user_sgpr_kernarg_segment_ptr 1
		.amdhsa_user_sgpr_dispatch_id 0
		.amdhsa_user_sgpr_flat_scratch_init 0
		.amdhsa_user_sgpr_kernarg_preload_length 0
		.amdhsa_user_sgpr_kernarg_preload_offset 0
		.amdhsa_user_sgpr_private_segment_size 0
		.amdhsa_uses_dynamic_stack 0
		.amdhsa_system_sgpr_private_segment_wavefront_offset 0
		.amdhsa_system_sgpr_workgroup_id_x 1
		.amdhsa_system_sgpr_workgroup_id_y 0
		.amdhsa_system_sgpr_workgroup_id_z 0
		.amdhsa_system_sgpr_workgroup_info 0
		.amdhsa_system_vgpr_workitem_id 0
		.amdhsa_next_free_vgpr 1
		.amdhsa_next_free_sgpr 0
		.amdhsa_accum_offset 4
		.amdhsa_reserve_vcc 0
		.amdhsa_reserve_flat_scratch 0
		.amdhsa_float_round_mode_32 0
		.amdhsa_float_round_mode_16_64 0
		.amdhsa_float_denorm_mode_32 3
		.amdhsa_float_denorm_mode_16_64 3
		.amdhsa_dx10_clamp 1
		.amdhsa_ieee_mode 1
		.amdhsa_fp16_overflow 0
		.amdhsa_tg_split 0
		.amdhsa_exception_fp_ieee_invalid_op 0
		.amdhsa_exception_fp_denorm_src 0
		.amdhsa_exception_fp_ieee_div_zero 0
		.amdhsa_exception_fp_ieee_overflow 0
		.amdhsa_exception_fp_ieee_underflow 0
		.amdhsa_exception_fp_ieee_inexact 0
		.amdhsa_exception_int_div_zero 0
	.end_amdhsa_kernel
	.section	.text._ZN7rocprim17ROCPRIM_400000_NS6detail17trampoline_kernelINS0_13kernel_configILj256ELj4ELj4294967295EEENS1_37radix_sort_block_sort_config_selectorIiNS0_10empty_typeEEEZNS1_21radix_sort_block_sortIS4_Lb0EN6thrust23THRUST_200600_302600_NS6detail15normal_iteratorINSA_10device_ptrIiEEEESF_PS6_SG_NS0_19identity_decomposerEEE10hipError_tT1_T2_T3_T4_jRjT5_jjP12ihipStream_tbEUlT_E_NS1_11comp_targetILNS1_3genE9ELNS1_11target_archE1100ELNS1_3gpuE3ELNS1_3repE0EEENS1_44radix_sort_block_sort_config_static_selectorELNS0_4arch9wavefront6targetE1EEEvSJ_,"axG",@progbits,_ZN7rocprim17ROCPRIM_400000_NS6detail17trampoline_kernelINS0_13kernel_configILj256ELj4ELj4294967295EEENS1_37radix_sort_block_sort_config_selectorIiNS0_10empty_typeEEEZNS1_21radix_sort_block_sortIS4_Lb0EN6thrust23THRUST_200600_302600_NS6detail15normal_iteratorINSA_10device_ptrIiEEEESF_PS6_SG_NS0_19identity_decomposerEEE10hipError_tT1_T2_T3_T4_jRjT5_jjP12ihipStream_tbEUlT_E_NS1_11comp_targetILNS1_3genE9ELNS1_11target_archE1100ELNS1_3gpuE3ELNS1_3repE0EEENS1_44radix_sort_block_sort_config_static_selectorELNS0_4arch9wavefront6targetE1EEEvSJ_,comdat
.Lfunc_end1603:
	.size	_ZN7rocprim17ROCPRIM_400000_NS6detail17trampoline_kernelINS0_13kernel_configILj256ELj4ELj4294967295EEENS1_37radix_sort_block_sort_config_selectorIiNS0_10empty_typeEEEZNS1_21radix_sort_block_sortIS4_Lb0EN6thrust23THRUST_200600_302600_NS6detail15normal_iteratorINSA_10device_ptrIiEEEESF_PS6_SG_NS0_19identity_decomposerEEE10hipError_tT1_T2_T3_T4_jRjT5_jjP12ihipStream_tbEUlT_E_NS1_11comp_targetILNS1_3genE9ELNS1_11target_archE1100ELNS1_3gpuE3ELNS1_3repE0EEENS1_44radix_sort_block_sort_config_static_selectorELNS0_4arch9wavefront6targetE1EEEvSJ_, .Lfunc_end1603-_ZN7rocprim17ROCPRIM_400000_NS6detail17trampoline_kernelINS0_13kernel_configILj256ELj4ELj4294967295EEENS1_37radix_sort_block_sort_config_selectorIiNS0_10empty_typeEEEZNS1_21radix_sort_block_sortIS4_Lb0EN6thrust23THRUST_200600_302600_NS6detail15normal_iteratorINSA_10device_ptrIiEEEESF_PS6_SG_NS0_19identity_decomposerEEE10hipError_tT1_T2_T3_T4_jRjT5_jjP12ihipStream_tbEUlT_E_NS1_11comp_targetILNS1_3genE9ELNS1_11target_archE1100ELNS1_3gpuE3ELNS1_3repE0EEENS1_44radix_sort_block_sort_config_static_selectorELNS0_4arch9wavefront6targetE1EEEvSJ_
                                        ; -- End function
	.section	.AMDGPU.csdata,"",@progbits
; Kernel info:
; codeLenInByte = 0
; NumSgprs: 4
; NumVgprs: 0
; NumAgprs: 0
; TotalNumVgprs: 0
; ScratchSize: 0
; MemoryBound: 0
; FloatMode: 240
; IeeeMode: 1
; LDSByteSize: 0 bytes/workgroup (compile time only)
; SGPRBlocks: 0
; VGPRBlocks: 0
; NumSGPRsForWavesPerEU: 4
; NumVGPRsForWavesPerEU: 1
; AccumOffset: 4
; Occupancy: 8
; WaveLimiterHint : 0
; COMPUTE_PGM_RSRC2:SCRATCH_EN: 0
; COMPUTE_PGM_RSRC2:USER_SGPR: 6
; COMPUTE_PGM_RSRC2:TRAP_HANDLER: 0
; COMPUTE_PGM_RSRC2:TGID_X_EN: 1
; COMPUTE_PGM_RSRC2:TGID_Y_EN: 0
; COMPUTE_PGM_RSRC2:TGID_Z_EN: 0
; COMPUTE_PGM_RSRC2:TIDIG_COMP_CNT: 0
; COMPUTE_PGM_RSRC3_GFX90A:ACCUM_OFFSET: 0
; COMPUTE_PGM_RSRC3_GFX90A:TG_SPLIT: 0
	.section	.text._ZN7rocprim17ROCPRIM_400000_NS6detail17trampoline_kernelINS0_13kernel_configILj256ELj4ELj4294967295EEENS1_37radix_sort_block_sort_config_selectorIiNS0_10empty_typeEEEZNS1_21radix_sort_block_sortIS4_Lb0EN6thrust23THRUST_200600_302600_NS6detail15normal_iteratorINSA_10device_ptrIiEEEESF_PS6_SG_NS0_19identity_decomposerEEE10hipError_tT1_T2_T3_T4_jRjT5_jjP12ihipStream_tbEUlT_E_NS1_11comp_targetILNS1_3genE8ELNS1_11target_archE1030ELNS1_3gpuE2ELNS1_3repE0EEENS1_44radix_sort_block_sort_config_static_selectorELNS0_4arch9wavefront6targetE1EEEvSJ_,"axG",@progbits,_ZN7rocprim17ROCPRIM_400000_NS6detail17trampoline_kernelINS0_13kernel_configILj256ELj4ELj4294967295EEENS1_37radix_sort_block_sort_config_selectorIiNS0_10empty_typeEEEZNS1_21radix_sort_block_sortIS4_Lb0EN6thrust23THRUST_200600_302600_NS6detail15normal_iteratorINSA_10device_ptrIiEEEESF_PS6_SG_NS0_19identity_decomposerEEE10hipError_tT1_T2_T3_T4_jRjT5_jjP12ihipStream_tbEUlT_E_NS1_11comp_targetILNS1_3genE8ELNS1_11target_archE1030ELNS1_3gpuE2ELNS1_3repE0EEENS1_44radix_sort_block_sort_config_static_selectorELNS0_4arch9wavefront6targetE1EEEvSJ_,comdat
	.protected	_ZN7rocprim17ROCPRIM_400000_NS6detail17trampoline_kernelINS0_13kernel_configILj256ELj4ELj4294967295EEENS1_37radix_sort_block_sort_config_selectorIiNS0_10empty_typeEEEZNS1_21radix_sort_block_sortIS4_Lb0EN6thrust23THRUST_200600_302600_NS6detail15normal_iteratorINSA_10device_ptrIiEEEESF_PS6_SG_NS0_19identity_decomposerEEE10hipError_tT1_T2_T3_T4_jRjT5_jjP12ihipStream_tbEUlT_E_NS1_11comp_targetILNS1_3genE8ELNS1_11target_archE1030ELNS1_3gpuE2ELNS1_3repE0EEENS1_44radix_sort_block_sort_config_static_selectorELNS0_4arch9wavefront6targetE1EEEvSJ_ ; -- Begin function _ZN7rocprim17ROCPRIM_400000_NS6detail17trampoline_kernelINS0_13kernel_configILj256ELj4ELj4294967295EEENS1_37radix_sort_block_sort_config_selectorIiNS0_10empty_typeEEEZNS1_21radix_sort_block_sortIS4_Lb0EN6thrust23THRUST_200600_302600_NS6detail15normal_iteratorINSA_10device_ptrIiEEEESF_PS6_SG_NS0_19identity_decomposerEEE10hipError_tT1_T2_T3_T4_jRjT5_jjP12ihipStream_tbEUlT_E_NS1_11comp_targetILNS1_3genE8ELNS1_11target_archE1030ELNS1_3gpuE2ELNS1_3repE0EEENS1_44radix_sort_block_sort_config_static_selectorELNS0_4arch9wavefront6targetE1EEEvSJ_
	.globl	_ZN7rocprim17ROCPRIM_400000_NS6detail17trampoline_kernelINS0_13kernel_configILj256ELj4ELj4294967295EEENS1_37radix_sort_block_sort_config_selectorIiNS0_10empty_typeEEEZNS1_21radix_sort_block_sortIS4_Lb0EN6thrust23THRUST_200600_302600_NS6detail15normal_iteratorINSA_10device_ptrIiEEEESF_PS6_SG_NS0_19identity_decomposerEEE10hipError_tT1_T2_T3_T4_jRjT5_jjP12ihipStream_tbEUlT_E_NS1_11comp_targetILNS1_3genE8ELNS1_11target_archE1030ELNS1_3gpuE2ELNS1_3repE0EEENS1_44radix_sort_block_sort_config_static_selectorELNS0_4arch9wavefront6targetE1EEEvSJ_
	.p2align	8
	.type	_ZN7rocprim17ROCPRIM_400000_NS6detail17trampoline_kernelINS0_13kernel_configILj256ELj4ELj4294967295EEENS1_37radix_sort_block_sort_config_selectorIiNS0_10empty_typeEEEZNS1_21radix_sort_block_sortIS4_Lb0EN6thrust23THRUST_200600_302600_NS6detail15normal_iteratorINSA_10device_ptrIiEEEESF_PS6_SG_NS0_19identity_decomposerEEE10hipError_tT1_T2_T3_T4_jRjT5_jjP12ihipStream_tbEUlT_E_NS1_11comp_targetILNS1_3genE8ELNS1_11target_archE1030ELNS1_3gpuE2ELNS1_3repE0EEENS1_44radix_sort_block_sort_config_static_selectorELNS0_4arch9wavefront6targetE1EEEvSJ_,@function
_ZN7rocprim17ROCPRIM_400000_NS6detail17trampoline_kernelINS0_13kernel_configILj256ELj4ELj4294967295EEENS1_37radix_sort_block_sort_config_selectorIiNS0_10empty_typeEEEZNS1_21radix_sort_block_sortIS4_Lb0EN6thrust23THRUST_200600_302600_NS6detail15normal_iteratorINSA_10device_ptrIiEEEESF_PS6_SG_NS0_19identity_decomposerEEE10hipError_tT1_T2_T3_T4_jRjT5_jjP12ihipStream_tbEUlT_E_NS1_11comp_targetILNS1_3genE8ELNS1_11target_archE1030ELNS1_3gpuE2ELNS1_3repE0EEENS1_44radix_sort_block_sort_config_static_selectorELNS0_4arch9wavefront6targetE1EEEvSJ_: ; @_ZN7rocprim17ROCPRIM_400000_NS6detail17trampoline_kernelINS0_13kernel_configILj256ELj4ELj4294967295EEENS1_37radix_sort_block_sort_config_selectorIiNS0_10empty_typeEEEZNS1_21radix_sort_block_sortIS4_Lb0EN6thrust23THRUST_200600_302600_NS6detail15normal_iteratorINSA_10device_ptrIiEEEESF_PS6_SG_NS0_19identity_decomposerEEE10hipError_tT1_T2_T3_T4_jRjT5_jjP12ihipStream_tbEUlT_E_NS1_11comp_targetILNS1_3genE8ELNS1_11target_archE1030ELNS1_3gpuE2ELNS1_3repE0EEENS1_44radix_sort_block_sort_config_static_selectorELNS0_4arch9wavefront6targetE1EEEvSJ_
; %bb.0:
	.section	.rodata,"a",@progbits
	.p2align	6, 0x0
	.amdhsa_kernel _ZN7rocprim17ROCPRIM_400000_NS6detail17trampoline_kernelINS0_13kernel_configILj256ELj4ELj4294967295EEENS1_37radix_sort_block_sort_config_selectorIiNS0_10empty_typeEEEZNS1_21radix_sort_block_sortIS4_Lb0EN6thrust23THRUST_200600_302600_NS6detail15normal_iteratorINSA_10device_ptrIiEEEESF_PS6_SG_NS0_19identity_decomposerEEE10hipError_tT1_T2_T3_T4_jRjT5_jjP12ihipStream_tbEUlT_E_NS1_11comp_targetILNS1_3genE8ELNS1_11target_archE1030ELNS1_3gpuE2ELNS1_3repE0EEENS1_44radix_sort_block_sort_config_static_selectorELNS0_4arch9wavefront6targetE1EEEvSJ_
		.amdhsa_group_segment_fixed_size 0
		.amdhsa_private_segment_fixed_size 0
		.amdhsa_kernarg_size 48
		.amdhsa_user_sgpr_count 6
		.amdhsa_user_sgpr_private_segment_buffer 1
		.amdhsa_user_sgpr_dispatch_ptr 0
		.amdhsa_user_sgpr_queue_ptr 0
		.amdhsa_user_sgpr_kernarg_segment_ptr 1
		.amdhsa_user_sgpr_dispatch_id 0
		.amdhsa_user_sgpr_flat_scratch_init 0
		.amdhsa_user_sgpr_kernarg_preload_length 0
		.amdhsa_user_sgpr_kernarg_preload_offset 0
		.amdhsa_user_sgpr_private_segment_size 0
		.amdhsa_uses_dynamic_stack 0
		.amdhsa_system_sgpr_private_segment_wavefront_offset 0
		.amdhsa_system_sgpr_workgroup_id_x 1
		.amdhsa_system_sgpr_workgroup_id_y 0
		.amdhsa_system_sgpr_workgroup_id_z 0
		.amdhsa_system_sgpr_workgroup_info 0
		.amdhsa_system_vgpr_workitem_id 0
		.amdhsa_next_free_vgpr 1
		.amdhsa_next_free_sgpr 0
		.amdhsa_accum_offset 4
		.amdhsa_reserve_vcc 0
		.amdhsa_reserve_flat_scratch 0
		.amdhsa_float_round_mode_32 0
		.amdhsa_float_round_mode_16_64 0
		.amdhsa_float_denorm_mode_32 3
		.amdhsa_float_denorm_mode_16_64 3
		.amdhsa_dx10_clamp 1
		.amdhsa_ieee_mode 1
		.amdhsa_fp16_overflow 0
		.amdhsa_tg_split 0
		.amdhsa_exception_fp_ieee_invalid_op 0
		.amdhsa_exception_fp_denorm_src 0
		.amdhsa_exception_fp_ieee_div_zero 0
		.amdhsa_exception_fp_ieee_overflow 0
		.amdhsa_exception_fp_ieee_underflow 0
		.amdhsa_exception_fp_ieee_inexact 0
		.amdhsa_exception_int_div_zero 0
	.end_amdhsa_kernel
	.section	.text._ZN7rocprim17ROCPRIM_400000_NS6detail17trampoline_kernelINS0_13kernel_configILj256ELj4ELj4294967295EEENS1_37radix_sort_block_sort_config_selectorIiNS0_10empty_typeEEEZNS1_21radix_sort_block_sortIS4_Lb0EN6thrust23THRUST_200600_302600_NS6detail15normal_iteratorINSA_10device_ptrIiEEEESF_PS6_SG_NS0_19identity_decomposerEEE10hipError_tT1_T2_T3_T4_jRjT5_jjP12ihipStream_tbEUlT_E_NS1_11comp_targetILNS1_3genE8ELNS1_11target_archE1030ELNS1_3gpuE2ELNS1_3repE0EEENS1_44radix_sort_block_sort_config_static_selectorELNS0_4arch9wavefront6targetE1EEEvSJ_,"axG",@progbits,_ZN7rocprim17ROCPRIM_400000_NS6detail17trampoline_kernelINS0_13kernel_configILj256ELj4ELj4294967295EEENS1_37radix_sort_block_sort_config_selectorIiNS0_10empty_typeEEEZNS1_21radix_sort_block_sortIS4_Lb0EN6thrust23THRUST_200600_302600_NS6detail15normal_iteratorINSA_10device_ptrIiEEEESF_PS6_SG_NS0_19identity_decomposerEEE10hipError_tT1_T2_T3_T4_jRjT5_jjP12ihipStream_tbEUlT_E_NS1_11comp_targetILNS1_3genE8ELNS1_11target_archE1030ELNS1_3gpuE2ELNS1_3repE0EEENS1_44radix_sort_block_sort_config_static_selectorELNS0_4arch9wavefront6targetE1EEEvSJ_,comdat
.Lfunc_end1604:
	.size	_ZN7rocprim17ROCPRIM_400000_NS6detail17trampoline_kernelINS0_13kernel_configILj256ELj4ELj4294967295EEENS1_37radix_sort_block_sort_config_selectorIiNS0_10empty_typeEEEZNS1_21radix_sort_block_sortIS4_Lb0EN6thrust23THRUST_200600_302600_NS6detail15normal_iteratorINSA_10device_ptrIiEEEESF_PS6_SG_NS0_19identity_decomposerEEE10hipError_tT1_T2_T3_T4_jRjT5_jjP12ihipStream_tbEUlT_E_NS1_11comp_targetILNS1_3genE8ELNS1_11target_archE1030ELNS1_3gpuE2ELNS1_3repE0EEENS1_44radix_sort_block_sort_config_static_selectorELNS0_4arch9wavefront6targetE1EEEvSJ_, .Lfunc_end1604-_ZN7rocprim17ROCPRIM_400000_NS6detail17trampoline_kernelINS0_13kernel_configILj256ELj4ELj4294967295EEENS1_37radix_sort_block_sort_config_selectorIiNS0_10empty_typeEEEZNS1_21radix_sort_block_sortIS4_Lb0EN6thrust23THRUST_200600_302600_NS6detail15normal_iteratorINSA_10device_ptrIiEEEESF_PS6_SG_NS0_19identity_decomposerEEE10hipError_tT1_T2_T3_T4_jRjT5_jjP12ihipStream_tbEUlT_E_NS1_11comp_targetILNS1_3genE8ELNS1_11target_archE1030ELNS1_3gpuE2ELNS1_3repE0EEENS1_44radix_sort_block_sort_config_static_selectorELNS0_4arch9wavefront6targetE1EEEvSJ_
                                        ; -- End function
	.section	.AMDGPU.csdata,"",@progbits
; Kernel info:
; codeLenInByte = 0
; NumSgprs: 4
; NumVgprs: 0
; NumAgprs: 0
; TotalNumVgprs: 0
; ScratchSize: 0
; MemoryBound: 0
; FloatMode: 240
; IeeeMode: 1
; LDSByteSize: 0 bytes/workgroup (compile time only)
; SGPRBlocks: 0
; VGPRBlocks: 0
; NumSGPRsForWavesPerEU: 4
; NumVGPRsForWavesPerEU: 1
; AccumOffset: 4
; Occupancy: 8
; WaveLimiterHint : 0
; COMPUTE_PGM_RSRC2:SCRATCH_EN: 0
; COMPUTE_PGM_RSRC2:USER_SGPR: 6
; COMPUTE_PGM_RSRC2:TRAP_HANDLER: 0
; COMPUTE_PGM_RSRC2:TGID_X_EN: 1
; COMPUTE_PGM_RSRC2:TGID_Y_EN: 0
; COMPUTE_PGM_RSRC2:TGID_Z_EN: 0
; COMPUTE_PGM_RSRC2:TIDIG_COMP_CNT: 0
; COMPUTE_PGM_RSRC3_GFX90A:ACCUM_OFFSET: 0
; COMPUTE_PGM_RSRC3_GFX90A:TG_SPLIT: 0
	.section	.text._ZN7rocprim17ROCPRIM_400000_NS6detail44device_merge_sort_compile_time_verifier_archINS1_11comp_targetILNS1_3genE0ELNS1_11target_archE4294967295ELNS1_3gpuE0ELNS1_3repE0EEES8_NS1_28merge_sort_block_sort_configILj256ELj4ELNS0_20block_sort_algorithmE0EEENS0_14default_configENS1_37merge_sort_block_sort_config_selectorIiNS0_10empty_typeEEENS1_38merge_sort_block_merge_config_selectorIiSE_EEEEvv,"axG",@progbits,_ZN7rocprim17ROCPRIM_400000_NS6detail44device_merge_sort_compile_time_verifier_archINS1_11comp_targetILNS1_3genE0ELNS1_11target_archE4294967295ELNS1_3gpuE0ELNS1_3repE0EEES8_NS1_28merge_sort_block_sort_configILj256ELj4ELNS0_20block_sort_algorithmE0EEENS0_14default_configENS1_37merge_sort_block_sort_config_selectorIiNS0_10empty_typeEEENS1_38merge_sort_block_merge_config_selectorIiSE_EEEEvv,comdat
	.protected	_ZN7rocprim17ROCPRIM_400000_NS6detail44device_merge_sort_compile_time_verifier_archINS1_11comp_targetILNS1_3genE0ELNS1_11target_archE4294967295ELNS1_3gpuE0ELNS1_3repE0EEES8_NS1_28merge_sort_block_sort_configILj256ELj4ELNS0_20block_sort_algorithmE0EEENS0_14default_configENS1_37merge_sort_block_sort_config_selectorIiNS0_10empty_typeEEENS1_38merge_sort_block_merge_config_selectorIiSE_EEEEvv ; -- Begin function _ZN7rocprim17ROCPRIM_400000_NS6detail44device_merge_sort_compile_time_verifier_archINS1_11comp_targetILNS1_3genE0ELNS1_11target_archE4294967295ELNS1_3gpuE0ELNS1_3repE0EEES8_NS1_28merge_sort_block_sort_configILj256ELj4ELNS0_20block_sort_algorithmE0EEENS0_14default_configENS1_37merge_sort_block_sort_config_selectorIiNS0_10empty_typeEEENS1_38merge_sort_block_merge_config_selectorIiSE_EEEEvv
	.globl	_ZN7rocprim17ROCPRIM_400000_NS6detail44device_merge_sort_compile_time_verifier_archINS1_11comp_targetILNS1_3genE0ELNS1_11target_archE4294967295ELNS1_3gpuE0ELNS1_3repE0EEES8_NS1_28merge_sort_block_sort_configILj256ELj4ELNS0_20block_sort_algorithmE0EEENS0_14default_configENS1_37merge_sort_block_sort_config_selectorIiNS0_10empty_typeEEENS1_38merge_sort_block_merge_config_selectorIiSE_EEEEvv
	.p2align	8
	.type	_ZN7rocprim17ROCPRIM_400000_NS6detail44device_merge_sort_compile_time_verifier_archINS1_11comp_targetILNS1_3genE0ELNS1_11target_archE4294967295ELNS1_3gpuE0ELNS1_3repE0EEES8_NS1_28merge_sort_block_sort_configILj256ELj4ELNS0_20block_sort_algorithmE0EEENS0_14default_configENS1_37merge_sort_block_sort_config_selectorIiNS0_10empty_typeEEENS1_38merge_sort_block_merge_config_selectorIiSE_EEEEvv,@function
_ZN7rocprim17ROCPRIM_400000_NS6detail44device_merge_sort_compile_time_verifier_archINS1_11comp_targetILNS1_3genE0ELNS1_11target_archE4294967295ELNS1_3gpuE0ELNS1_3repE0EEES8_NS1_28merge_sort_block_sort_configILj256ELj4ELNS0_20block_sort_algorithmE0EEENS0_14default_configENS1_37merge_sort_block_sort_config_selectorIiNS0_10empty_typeEEENS1_38merge_sort_block_merge_config_selectorIiSE_EEEEvv: ; @_ZN7rocprim17ROCPRIM_400000_NS6detail44device_merge_sort_compile_time_verifier_archINS1_11comp_targetILNS1_3genE0ELNS1_11target_archE4294967295ELNS1_3gpuE0ELNS1_3repE0EEES8_NS1_28merge_sort_block_sort_configILj256ELj4ELNS0_20block_sort_algorithmE0EEENS0_14default_configENS1_37merge_sort_block_sort_config_selectorIiNS0_10empty_typeEEENS1_38merge_sort_block_merge_config_selectorIiSE_EEEEvv
; %bb.0:
	s_endpgm
	.section	.rodata,"a",@progbits
	.p2align	6, 0x0
	.amdhsa_kernel _ZN7rocprim17ROCPRIM_400000_NS6detail44device_merge_sort_compile_time_verifier_archINS1_11comp_targetILNS1_3genE0ELNS1_11target_archE4294967295ELNS1_3gpuE0ELNS1_3repE0EEES8_NS1_28merge_sort_block_sort_configILj256ELj4ELNS0_20block_sort_algorithmE0EEENS0_14default_configENS1_37merge_sort_block_sort_config_selectorIiNS0_10empty_typeEEENS1_38merge_sort_block_merge_config_selectorIiSE_EEEEvv
		.amdhsa_group_segment_fixed_size 0
		.amdhsa_private_segment_fixed_size 0
		.amdhsa_kernarg_size 0
		.amdhsa_user_sgpr_count 4
		.amdhsa_user_sgpr_private_segment_buffer 1
		.amdhsa_user_sgpr_dispatch_ptr 0
		.amdhsa_user_sgpr_queue_ptr 0
		.amdhsa_user_sgpr_kernarg_segment_ptr 0
		.amdhsa_user_sgpr_dispatch_id 0
		.amdhsa_user_sgpr_flat_scratch_init 0
		.amdhsa_user_sgpr_kernarg_preload_length 0
		.amdhsa_user_sgpr_kernarg_preload_offset 0
		.amdhsa_user_sgpr_private_segment_size 0
		.amdhsa_uses_dynamic_stack 0
		.amdhsa_system_sgpr_private_segment_wavefront_offset 0
		.amdhsa_system_sgpr_workgroup_id_x 1
		.amdhsa_system_sgpr_workgroup_id_y 0
		.amdhsa_system_sgpr_workgroup_id_z 0
		.amdhsa_system_sgpr_workgroup_info 0
		.amdhsa_system_vgpr_workitem_id 0
		.amdhsa_next_free_vgpr 1
		.amdhsa_next_free_sgpr 0
		.amdhsa_accum_offset 4
		.amdhsa_reserve_vcc 0
		.amdhsa_reserve_flat_scratch 0
		.amdhsa_float_round_mode_32 0
		.amdhsa_float_round_mode_16_64 0
		.amdhsa_float_denorm_mode_32 3
		.amdhsa_float_denorm_mode_16_64 3
		.amdhsa_dx10_clamp 1
		.amdhsa_ieee_mode 1
		.amdhsa_fp16_overflow 0
		.amdhsa_tg_split 0
		.amdhsa_exception_fp_ieee_invalid_op 0
		.amdhsa_exception_fp_denorm_src 0
		.amdhsa_exception_fp_ieee_div_zero 0
		.amdhsa_exception_fp_ieee_overflow 0
		.amdhsa_exception_fp_ieee_underflow 0
		.amdhsa_exception_fp_ieee_inexact 0
		.amdhsa_exception_int_div_zero 0
	.end_amdhsa_kernel
	.section	.text._ZN7rocprim17ROCPRIM_400000_NS6detail44device_merge_sort_compile_time_verifier_archINS1_11comp_targetILNS1_3genE0ELNS1_11target_archE4294967295ELNS1_3gpuE0ELNS1_3repE0EEES8_NS1_28merge_sort_block_sort_configILj256ELj4ELNS0_20block_sort_algorithmE0EEENS0_14default_configENS1_37merge_sort_block_sort_config_selectorIiNS0_10empty_typeEEENS1_38merge_sort_block_merge_config_selectorIiSE_EEEEvv,"axG",@progbits,_ZN7rocprim17ROCPRIM_400000_NS6detail44device_merge_sort_compile_time_verifier_archINS1_11comp_targetILNS1_3genE0ELNS1_11target_archE4294967295ELNS1_3gpuE0ELNS1_3repE0EEES8_NS1_28merge_sort_block_sort_configILj256ELj4ELNS0_20block_sort_algorithmE0EEENS0_14default_configENS1_37merge_sort_block_sort_config_selectorIiNS0_10empty_typeEEENS1_38merge_sort_block_merge_config_selectorIiSE_EEEEvv,comdat
.Lfunc_end1605:
	.size	_ZN7rocprim17ROCPRIM_400000_NS6detail44device_merge_sort_compile_time_verifier_archINS1_11comp_targetILNS1_3genE0ELNS1_11target_archE4294967295ELNS1_3gpuE0ELNS1_3repE0EEES8_NS1_28merge_sort_block_sort_configILj256ELj4ELNS0_20block_sort_algorithmE0EEENS0_14default_configENS1_37merge_sort_block_sort_config_selectorIiNS0_10empty_typeEEENS1_38merge_sort_block_merge_config_selectorIiSE_EEEEvv, .Lfunc_end1605-_ZN7rocprim17ROCPRIM_400000_NS6detail44device_merge_sort_compile_time_verifier_archINS1_11comp_targetILNS1_3genE0ELNS1_11target_archE4294967295ELNS1_3gpuE0ELNS1_3repE0EEES8_NS1_28merge_sort_block_sort_configILj256ELj4ELNS0_20block_sort_algorithmE0EEENS0_14default_configENS1_37merge_sort_block_sort_config_selectorIiNS0_10empty_typeEEENS1_38merge_sort_block_merge_config_selectorIiSE_EEEEvv
                                        ; -- End function
	.section	.AMDGPU.csdata,"",@progbits
; Kernel info:
; codeLenInByte = 4
; NumSgprs: 4
; NumVgprs: 0
; NumAgprs: 0
; TotalNumVgprs: 0
; ScratchSize: 0
; MemoryBound: 0
; FloatMode: 240
; IeeeMode: 1
; LDSByteSize: 0 bytes/workgroup (compile time only)
; SGPRBlocks: 0
; VGPRBlocks: 0
; NumSGPRsForWavesPerEU: 4
; NumVGPRsForWavesPerEU: 1
; AccumOffset: 4
; Occupancy: 8
; WaveLimiterHint : 0
; COMPUTE_PGM_RSRC2:SCRATCH_EN: 0
; COMPUTE_PGM_RSRC2:USER_SGPR: 4
; COMPUTE_PGM_RSRC2:TRAP_HANDLER: 0
; COMPUTE_PGM_RSRC2:TGID_X_EN: 1
; COMPUTE_PGM_RSRC2:TGID_Y_EN: 0
; COMPUTE_PGM_RSRC2:TGID_Z_EN: 0
; COMPUTE_PGM_RSRC2:TIDIG_COMP_CNT: 0
; COMPUTE_PGM_RSRC3_GFX90A:ACCUM_OFFSET: 0
; COMPUTE_PGM_RSRC3_GFX90A:TG_SPLIT: 0
	.section	.text._ZN7rocprim17ROCPRIM_400000_NS6detail44device_merge_sort_compile_time_verifier_archINS1_11comp_targetILNS1_3genE5ELNS1_11target_archE942ELNS1_3gpuE9ELNS1_3repE0EEES8_NS1_28merge_sort_block_sort_configILj256ELj4ELNS0_20block_sort_algorithmE0EEENS0_14default_configENS1_37merge_sort_block_sort_config_selectorIiNS0_10empty_typeEEENS1_38merge_sort_block_merge_config_selectorIiSE_EEEEvv,"axG",@progbits,_ZN7rocprim17ROCPRIM_400000_NS6detail44device_merge_sort_compile_time_verifier_archINS1_11comp_targetILNS1_3genE5ELNS1_11target_archE942ELNS1_3gpuE9ELNS1_3repE0EEES8_NS1_28merge_sort_block_sort_configILj256ELj4ELNS0_20block_sort_algorithmE0EEENS0_14default_configENS1_37merge_sort_block_sort_config_selectorIiNS0_10empty_typeEEENS1_38merge_sort_block_merge_config_selectorIiSE_EEEEvv,comdat
	.protected	_ZN7rocprim17ROCPRIM_400000_NS6detail44device_merge_sort_compile_time_verifier_archINS1_11comp_targetILNS1_3genE5ELNS1_11target_archE942ELNS1_3gpuE9ELNS1_3repE0EEES8_NS1_28merge_sort_block_sort_configILj256ELj4ELNS0_20block_sort_algorithmE0EEENS0_14default_configENS1_37merge_sort_block_sort_config_selectorIiNS0_10empty_typeEEENS1_38merge_sort_block_merge_config_selectorIiSE_EEEEvv ; -- Begin function _ZN7rocprim17ROCPRIM_400000_NS6detail44device_merge_sort_compile_time_verifier_archINS1_11comp_targetILNS1_3genE5ELNS1_11target_archE942ELNS1_3gpuE9ELNS1_3repE0EEES8_NS1_28merge_sort_block_sort_configILj256ELj4ELNS0_20block_sort_algorithmE0EEENS0_14default_configENS1_37merge_sort_block_sort_config_selectorIiNS0_10empty_typeEEENS1_38merge_sort_block_merge_config_selectorIiSE_EEEEvv
	.globl	_ZN7rocprim17ROCPRIM_400000_NS6detail44device_merge_sort_compile_time_verifier_archINS1_11comp_targetILNS1_3genE5ELNS1_11target_archE942ELNS1_3gpuE9ELNS1_3repE0EEES8_NS1_28merge_sort_block_sort_configILj256ELj4ELNS0_20block_sort_algorithmE0EEENS0_14default_configENS1_37merge_sort_block_sort_config_selectorIiNS0_10empty_typeEEENS1_38merge_sort_block_merge_config_selectorIiSE_EEEEvv
	.p2align	8
	.type	_ZN7rocprim17ROCPRIM_400000_NS6detail44device_merge_sort_compile_time_verifier_archINS1_11comp_targetILNS1_3genE5ELNS1_11target_archE942ELNS1_3gpuE9ELNS1_3repE0EEES8_NS1_28merge_sort_block_sort_configILj256ELj4ELNS0_20block_sort_algorithmE0EEENS0_14default_configENS1_37merge_sort_block_sort_config_selectorIiNS0_10empty_typeEEENS1_38merge_sort_block_merge_config_selectorIiSE_EEEEvv,@function
_ZN7rocprim17ROCPRIM_400000_NS6detail44device_merge_sort_compile_time_verifier_archINS1_11comp_targetILNS1_3genE5ELNS1_11target_archE942ELNS1_3gpuE9ELNS1_3repE0EEES8_NS1_28merge_sort_block_sort_configILj256ELj4ELNS0_20block_sort_algorithmE0EEENS0_14default_configENS1_37merge_sort_block_sort_config_selectorIiNS0_10empty_typeEEENS1_38merge_sort_block_merge_config_selectorIiSE_EEEEvv: ; @_ZN7rocprim17ROCPRIM_400000_NS6detail44device_merge_sort_compile_time_verifier_archINS1_11comp_targetILNS1_3genE5ELNS1_11target_archE942ELNS1_3gpuE9ELNS1_3repE0EEES8_NS1_28merge_sort_block_sort_configILj256ELj4ELNS0_20block_sort_algorithmE0EEENS0_14default_configENS1_37merge_sort_block_sort_config_selectorIiNS0_10empty_typeEEENS1_38merge_sort_block_merge_config_selectorIiSE_EEEEvv
; %bb.0:
	s_endpgm
	.section	.rodata,"a",@progbits
	.p2align	6, 0x0
	.amdhsa_kernel _ZN7rocprim17ROCPRIM_400000_NS6detail44device_merge_sort_compile_time_verifier_archINS1_11comp_targetILNS1_3genE5ELNS1_11target_archE942ELNS1_3gpuE9ELNS1_3repE0EEES8_NS1_28merge_sort_block_sort_configILj256ELj4ELNS0_20block_sort_algorithmE0EEENS0_14default_configENS1_37merge_sort_block_sort_config_selectorIiNS0_10empty_typeEEENS1_38merge_sort_block_merge_config_selectorIiSE_EEEEvv
		.amdhsa_group_segment_fixed_size 0
		.amdhsa_private_segment_fixed_size 0
		.amdhsa_kernarg_size 0
		.amdhsa_user_sgpr_count 4
		.amdhsa_user_sgpr_private_segment_buffer 1
		.amdhsa_user_sgpr_dispatch_ptr 0
		.amdhsa_user_sgpr_queue_ptr 0
		.amdhsa_user_sgpr_kernarg_segment_ptr 0
		.amdhsa_user_sgpr_dispatch_id 0
		.amdhsa_user_sgpr_flat_scratch_init 0
		.amdhsa_user_sgpr_kernarg_preload_length 0
		.amdhsa_user_sgpr_kernarg_preload_offset 0
		.amdhsa_user_sgpr_private_segment_size 0
		.amdhsa_uses_dynamic_stack 0
		.amdhsa_system_sgpr_private_segment_wavefront_offset 0
		.amdhsa_system_sgpr_workgroup_id_x 1
		.amdhsa_system_sgpr_workgroup_id_y 0
		.amdhsa_system_sgpr_workgroup_id_z 0
		.amdhsa_system_sgpr_workgroup_info 0
		.amdhsa_system_vgpr_workitem_id 0
		.amdhsa_next_free_vgpr 1
		.amdhsa_next_free_sgpr 0
		.amdhsa_accum_offset 4
		.amdhsa_reserve_vcc 0
		.amdhsa_reserve_flat_scratch 0
		.amdhsa_float_round_mode_32 0
		.amdhsa_float_round_mode_16_64 0
		.amdhsa_float_denorm_mode_32 3
		.amdhsa_float_denorm_mode_16_64 3
		.amdhsa_dx10_clamp 1
		.amdhsa_ieee_mode 1
		.amdhsa_fp16_overflow 0
		.amdhsa_tg_split 0
		.amdhsa_exception_fp_ieee_invalid_op 0
		.amdhsa_exception_fp_denorm_src 0
		.amdhsa_exception_fp_ieee_div_zero 0
		.amdhsa_exception_fp_ieee_overflow 0
		.amdhsa_exception_fp_ieee_underflow 0
		.amdhsa_exception_fp_ieee_inexact 0
		.amdhsa_exception_int_div_zero 0
	.end_amdhsa_kernel
	.section	.text._ZN7rocprim17ROCPRIM_400000_NS6detail44device_merge_sort_compile_time_verifier_archINS1_11comp_targetILNS1_3genE5ELNS1_11target_archE942ELNS1_3gpuE9ELNS1_3repE0EEES8_NS1_28merge_sort_block_sort_configILj256ELj4ELNS0_20block_sort_algorithmE0EEENS0_14default_configENS1_37merge_sort_block_sort_config_selectorIiNS0_10empty_typeEEENS1_38merge_sort_block_merge_config_selectorIiSE_EEEEvv,"axG",@progbits,_ZN7rocprim17ROCPRIM_400000_NS6detail44device_merge_sort_compile_time_verifier_archINS1_11comp_targetILNS1_3genE5ELNS1_11target_archE942ELNS1_3gpuE9ELNS1_3repE0EEES8_NS1_28merge_sort_block_sort_configILj256ELj4ELNS0_20block_sort_algorithmE0EEENS0_14default_configENS1_37merge_sort_block_sort_config_selectorIiNS0_10empty_typeEEENS1_38merge_sort_block_merge_config_selectorIiSE_EEEEvv,comdat
.Lfunc_end1606:
	.size	_ZN7rocprim17ROCPRIM_400000_NS6detail44device_merge_sort_compile_time_verifier_archINS1_11comp_targetILNS1_3genE5ELNS1_11target_archE942ELNS1_3gpuE9ELNS1_3repE0EEES8_NS1_28merge_sort_block_sort_configILj256ELj4ELNS0_20block_sort_algorithmE0EEENS0_14default_configENS1_37merge_sort_block_sort_config_selectorIiNS0_10empty_typeEEENS1_38merge_sort_block_merge_config_selectorIiSE_EEEEvv, .Lfunc_end1606-_ZN7rocprim17ROCPRIM_400000_NS6detail44device_merge_sort_compile_time_verifier_archINS1_11comp_targetILNS1_3genE5ELNS1_11target_archE942ELNS1_3gpuE9ELNS1_3repE0EEES8_NS1_28merge_sort_block_sort_configILj256ELj4ELNS0_20block_sort_algorithmE0EEENS0_14default_configENS1_37merge_sort_block_sort_config_selectorIiNS0_10empty_typeEEENS1_38merge_sort_block_merge_config_selectorIiSE_EEEEvv
                                        ; -- End function
	.section	.AMDGPU.csdata,"",@progbits
; Kernel info:
; codeLenInByte = 4
; NumSgprs: 4
; NumVgprs: 0
; NumAgprs: 0
; TotalNumVgprs: 0
; ScratchSize: 0
; MemoryBound: 0
; FloatMode: 240
; IeeeMode: 1
; LDSByteSize: 0 bytes/workgroup (compile time only)
; SGPRBlocks: 0
; VGPRBlocks: 0
; NumSGPRsForWavesPerEU: 4
; NumVGPRsForWavesPerEU: 1
; AccumOffset: 4
; Occupancy: 8
; WaveLimiterHint : 0
; COMPUTE_PGM_RSRC2:SCRATCH_EN: 0
; COMPUTE_PGM_RSRC2:USER_SGPR: 4
; COMPUTE_PGM_RSRC2:TRAP_HANDLER: 0
; COMPUTE_PGM_RSRC2:TGID_X_EN: 1
; COMPUTE_PGM_RSRC2:TGID_Y_EN: 0
; COMPUTE_PGM_RSRC2:TGID_Z_EN: 0
; COMPUTE_PGM_RSRC2:TIDIG_COMP_CNT: 0
; COMPUTE_PGM_RSRC3_GFX90A:ACCUM_OFFSET: 0
; COMPUTE_PGM_RSRC3_GFX90A:TG_SPLIT: 0
	.section	.text._ZN7rocprim17ROCPRIM_400000_NS6detail44device_merge_sort_compile_time_verifier_archINS1_11comp_targetILNS1_3genE4ELNS1_11target_archE910ELNS1_3gpuE8ELNS1_3repE0EEES8_NS1_28merge_sort_block_sort_configILj256ELj4ELNS0_20block_sort_algorithmE0EEENS0_14default_configENS1_37merge_sort_block_sort_config_selectorIiNS0_10empty_typeEEENS1_38merge_sort_block_merge_config_selectorIiSE_EEEEvv,"axG",@progbits,_ZN7rocprim17ROCPRIM_400000_NS6detail44device_merge_sort_compile_time_verifier_archINS1_11comp_targetILNS1_3genE4ELNS1_11target_archE910ELNS1_3gpuE8ELNS1_3repE0EEES8_NS1_28merge_sort_block_sort_configILj256ELj4ELNS0_20block_sort_algorithmE0EEENS0_14default_configENS1_37merge_sort_block_sort_config_selectorIiNS0_10empty_typeEEENS1_38merge_sort_block_merge_config_selectorIiSE_EEEEvv,comdat
	.protected	_ZN7rocprim17ROCPRIM_400000_NS6detail44device_merge_sort_compile_time_verifier_archINS1_11comp_targetILNS1_3genE4ELNS1_11target_archE910ELNS1_3gpuE8ELNS1_3repE0EEES8_NS1_28merge_sort_block_sort_configILj256ELj4ELNS0_20block_sort_algorithmE0EEENS0_14default_configENS1_37merge_sort_block_sort_config_selectorIiNS0_10empty_typeEEENS1_38merge_sort_block_merge_config_selectorIiSE_EEEEvv ; -- Begin function _ZN7rocprim17ROCPRIM_400000_NS6detail44device_merge_sort_compile_time_verifier_archINS1_11comp_targetILNS1_3genE4ELNS1_11target_archE910ELNS1_3gpuE8ELNS1_3repE0EEES8_NS1_28merge_sort_block_sort_configILj256ELj4ELNS0_20block_sort_algorithmE0EEENS0_14default_configENS1_37merge_sort_block_sort_config_selectorIiNS0_10empty_typeEEENS1_38merge_sort_block_merge_config_selectorIiSE_EEEEvv
	.globl	_ZN7rocprim17ROCPRIM_400000_NS6detail44device_merge_sort_compile_time_verifier_archINS1_11comp_targetILNS1_3genE4ELNS1_11target_archE910ELNS1_3gpuE8ELNS1_3repE0EEES8_NS1_28merge_sort_block_sort_configILj256ELj4ELNS0_20block_sort_algorithmE0EEENS0_14default_configENS1_37merge_sort_block_sort_config_selectorIiNS0_10empty_typeEEENS1_38merge_sort_block_merge_config_selectorIiSE_EEEEvv
	.p2align	8
	.type	_ZN7rocprim17ROCPRIM_400000_NS6detail44device_merge_sort_compile_time_verifier_archINS1_11comp_targetILNS1_3genE4ELNS1_11target_archE910ELNS1_3gpuE8ELNS1_3repE0EEES8_NS1_28merge_sort_block_sort_configILj256ELj4ELNS0_20block_sort_algorithmE0EEENS0_14default_configENS1_37merge_sort_block_sort_config_selectorIiNS0_10empty_typeEEENS1_38merge_sort_block_merge_config_selectorIiSE_EEEEvv,@function
_ZN7rocprim17ROCPRIM_400000_NS6detail44device_merge_sort_compile_time_verifier_archINS1_11comp_targetILNS1_3genE4ELNS1_11target_archE910ELNS1_3gpuE8ELNS1_3repE0EEES8_NS1_28merge_sort_block_sort_configILj256ELj4ELNS0_20block_sort_algorithmE0EEENS0_14default_configENS1_37merge_sort_block_sort_config_selectorIiNS0_10empty_typeEEENS1_38merge_sort_block_merge_config_selectorIiSE_EEEEvv: ; @_ZN7rocprim17ROCPRIM_400000_NS6detail44device_merge_sort_compile_time_verifier_archINS1_11comp_targetILNS1_3genE4ELNS1_11target_archE910ELNS1_3gpuE8ELNS1_3repE0EEES8_NS1_28merge_sort_block_sort_configILj256ELj4ELNS0_20block_sort_algorithmE0EEENS0_14default_configENS1_37merge_sort_block_sort_config_selectorIiNS0_10empty_typeEEENS1_38merge_sort_block_merge_config_selectorIiSE_EEEEvv
; %bb.0:
	s_endpgm
	.section	.rodata,"a",@progbits
	.p2align	6, 0x0
	.amdhsa_kernel _ZN7rocprim17ROCPRIM_400000_NS6detail44device_merge_sort_compile_time_verifier_archINS1_11comp_targetILNS1_3genE4ELNS1_11target_archE910ELNS1_3gpuE8ELNS1_3repE0EEES8_NS1_28merge_sort_block_sort_configILj256ELj4ELNS0_20block_sort_algorithmE0EEENS0_14default_configENS1_37merge_sort_block_sort_config_selectorIiNS0_10empty_typeEEENS1_38merge_sort_block_merge_config_selectorIiSE_EEEEvv
		.amdhsa_group_segment_fixed_size 0
		.amdhsa_private_segment_fixed_size 0
		.amdhsa_kernarg_size 0
		.amdhsa_user_sgpr_count 4
		.amdhsa_user_sgpr_private_segment_buffer 1
		.amdhsa_user_sgpr_dispatch_ptr 0
		.amdhsa_user_sgpr_queue_ptr 0
		.amdhsa_user_sgpr_kernarg_segment_ptr 0
		.amdhsa_user_sgpr_dispatch_id 0
		.amdhsa_user_sgpr_flat_scratch_init 0
		.amdhsa_user_sgpr_kernarg_preload_length 0
		.amdhsa_user_sgpr_kernarg_preload_offset 0
		.amdhsa_user_sgpr_private_segment_size 0
		.amdhsa_uses_dynamic_stack 0
		.amdhsa_system_sgpr_private_segment_wavefront_offset 0
		.amdhsa_system_sgpr_workgroup_id_x 1
		.amdhsa_system_sgpr_workgroup_id_y 0
		.amdhsa_system_sgpr_workgroup_id_z 0
		.amdhsa_system_sgpr_workgroup_info 0
		.amdhsa_system_vgpr_workitem_id 0
		.amdhsa_next_free_vgpr 1
		.amdhsa_next_free_sgpr 0
		.amdhsa_accum_offset 4
		.amdhsa_reserve_vcc 0
		.amdhsa_reserve_flat_scratch 0
		.amdhsa_float_round_mode_32 0
		.amdhsa_float_round_mode_16_64 0
		.amdhsa_float_denorm_mode_32 3
		.amdhsa_float_denorm_mode_16_64 3
		.amdhsa_dx10_clamp 1
		.amdhsa_ieee_mode 1
		.amdhsa_fp16_overflow 0
		.amdhsa_tg_split 0
		.amdhsa_exception_fp_ieee_invalid_op 0
		.amdhsa_exception_fp_denorm_src 0
		.amdhsa_exception_fp_ieee_div_zero 0
		.amdhsa_exception_fp_ieee_overflow 0
		.amdhsa_exception_fp_ieee_underflow 0
		.amdhsa_exception_fp_ieee_inexact 0
		.amdhsa_exception_int_div_zero 0
	.end_amdhsa_kernel
	.section	.text._ZN7rocprim17ROCPRIM_400000_NS6detail44device_merge_sort_compile_time_verifier_archINS1_11comp_targetILNS1_3genE4ELNS1_11target_archE910ELNS1_3gpuE8ELNS1_3repE0EEES8_NS1_28merge_sort_block_sort_configILj256ELj4ELNS0_20block_sort_algorithmE0EEENS0_14default_configENS1_37merge_sort_block_sort_config_selectorIiNS0_10empty_typeEEENS1_38merge_sort_block_merge_config_selectorIiSE_EEEEvv,"axG",@progbits,_ZN7rocprim17ROCPRIM_400000_NS6detail44device_merge_sort_compile_time_verifier_archINS1_11comp_targetILNS1_3genE4ELNS1_11target_archE910ELNS1_3gpuE8ELNS1_3repE0EEES8_NS1_28merge_sort_block_sort_configILj256ELj4ELNS0_20block_sort_algorithmE0EEENS0_14default_configENS1_37merge_sort_block_sort_config_selectorIiNS0_10empty_typeEEENS1_38merge_sort_block_merge_config_selectorIiSE_EEEEvv,comdat
.Lfunc_end1607:
	.size	_ZN7rocprim17ROCPRIM_400000_NS6detail44device_merge_sort_compile_time_verifier_archINS1_11comp_targetILNS1_3genE4ELNS1_11target_archE910ELNS1_3gpuE8ELNS1_3repE0EEES8_NS1_28merge_sort_block_sort_configILj256ELj4ELNS0_20block_sort_algorithmE0EEENS0_14default_configENS1_37merge_sort_block_sort_config_selectorIiNS0_10empty_typeEEENS1_38merge_sort_block_merge_config_selectorIiSE_EEEEvv, .Lfunc_end1607-_ZN7rocprim17ROCPRIM_400000_NS6detail44device_merge_sort_compile_time_verifier_archINS1_11comp_targetILNS1_3genE4ELNS1_11target_archE910ELNS1_3gpuE8ELNS1_3repE0EEES8_NS1_28merge_sort_block_sort_configILj256ELj4ELNS0_20block_sort_algorithmE0EEENS0_14default_configENS1_37merge_sort_block_sort_config_selectorIiNS0_10empty_typeEEENS1_38merge_sort_block_merge_config_selectorIiSE_EEEEvv
                                        ; -- End function
	.section	.AMDGPU.csdata,"",@progbits
; Kernel info:
; codeLenInByte = 4
; NumSgprs: 4
; NumVgprs: 0
; NumAgprs: 0
; TotalNumVgprs: 0
; ScratchSize: 0
; MemoryBound: 0
; FloatMode: 240
; IeeeMode: 1
; LDSByteSize: 0 bytes/workgroup (compile time only)
; SGPRBlocks: 0
; VGPRBlocks: 0
; NumSGPRsForWavesPerEU: 4
; NumVGPRsForWavesPerEU: 1
; AccumOffset: 4
; Occupancy: 8
; WaveLimiterHint : 0
; COMPUTE_PGM_RSRC2:SCRATCH_EN: 0
; COMPUTE_PGM_RSRC2:USER_SGPR: 4
; COMPUTE_PGM_RSRC2:TRAP_HANDLER: 0
; COMPUTE_PGM_RSRC2:TGID_X_EN: 1
; COMPUTE_PGM_RSRC2:TGID_Y_EN: 0
; COMPUTE_PGM_RSRC2:TGID_Z_EN: 0
; COMPUTE_PGM_RSRC2:TIDIG_COMP_CNT: 0
; COMPUTE_PGM_RSRC3_GFX90A:ACCUM_OFFSET: 0
; COMPUTE_PGM_RSRC3_GFX90A:TG_SPLIT: 0
	.section	.text._ZN7rocprim17ROCPRIM_400000_NS6detail44device_merge_sort_compile_time_verifier_archINS1_11comp_targetILNS1_3genE3ELNS1_11target_archE908ELNS1_3gpuE7ELNS1_3repE0EEES8_NS1_28merge_sort_block_sort_configILj256ELj4ELNS0_20block_sort_algorithmE0EEENS0_14default_configENS1_37merge_sort_block_sort_config_selectorIiNS0_10empty_typeEEENS1_38merge_sort_block_merge_config_selectorIiSE_EEEEvv,"axG",@progbits,_ZN7rocprim17ROCPRIM_400000_NS6detail44device_merge_sort_compile_time_verifier_archINS1_11comp_targetILNS1_3genE3ELNS1_11target_archE908ELNS1_3gpuE7ELNS1_3repE0EEES8_NS1_28merge_sort_block_sort_configILj256ELj4ELNS0_20block_sort_algorithmE0EEENS0_14default_configENS1_37merge_sort_block_sort_config_selectorIiNS0_10empty_typeEEENS1_38merge_sort_block_merge_config_selectorIiSE_EEEEvv,comdat
	.protected	_ZN7rocprim17ROCPRIM_400000_NS6detail44device_merge_sort_compile_time_verifier_archINS1_11comp_targetILNS1_3genE3ELNS1_11target_archE908ELNS1_3gpuE7ELNS1_3repE0EEES8_NS1_28merge_sort_block_sort_configILj256ELj4ELNS0_20block_sort_algorithmE0EEENS0_14default_configENS1_37merge_sort_block_sort_config_selectorIiNS0_10empty_typeEEENS1_38merge_sort_block_merge_config_selectorIiSE_EEEEvv ; -- Begin function _ZN7rocprim17ROCPRIM_400000_NS6detail44device_merge_sort_compile_time_verifier_archINS1_11comp_targetILNS1_3genE3ELNS1_11target_archE908ELNS1_3gpuE7ELNS1_3repE0EEES8_NS1_28merge_sort_block_sort_configILj256ELj4ELNS0_20block_sort_algorithmE0EEENS0_14default_configENS1_37merge_sort_block_sort_config_selectorIiNS0_10empty_typeEEENS1_38merge_sort_block_merge_config_selectorIiSE_EEEEvv
	.globl	_ZN7rocprim17ROCPRIM_400000_NS6detail44device_merge_sort_compile_time_verifier_archINS1_11comp_targetILNS1_3genE3ELNS1_11target_archE908ELNS1_3gpuE7ELNS1_3repE0EEES8_NS1_28merge_sort_block_sort_configILj256ELj4ELNS0_20block_sort_algorithmE0EEENS0_14default_configENS1_37merge_sort_block_sort_config_selectorIiNS0_10empty_typeEEENS1_38merge_sort_block_merge_config_selectorIiSE_EEEEvv
	.p2align	8
	.type	_ZN7rocprim17ROCPRIM_400000_NS6detail44device_merge_sort_compile_time_verifier_archINS1_11comp_targetILNS1_3genE3ELNS1_11target_archE908ELNS1_3gpuE7ELNS1_3repE0EEES8_NS1_28merge_sort_block_sort_configILj256ELj4ELNS0_20block_sort_algorithmE0EEENS0_14default_configENS1_37merge_sort_block_sort_config_selectorIiNS0_10empty_typeEEENS1_38merge_sort_block_merge_config_selectorIiSE_EEEEvv,@function
_ZN7rocprim17ROCPRIM_400000_NS6detail44device_merge_sort_compile_time_verifier_archINS1_11comp_targetILNS1_3genE3ELNS1_11target_archE908ELNS1_3gpuE7ELNS1_3repE0EEES8_NS1_28merge_sort_block_sort_configILj256ELj4ELNS0_20block_sort_algorithmE0EEENS0_14default_configENS1_37merge_sort_block_sort_config_selectorIiNS0_10empty_typeEEENS1_38merge_sort_block_merge_config_selectorIiSE_EEEEvv: ; @_ZN7rocprim17ROCPRIM_400000_NS6detail44device_merge_sort_compile_time_verifier_archINS1_11comp_targetILNS1_3genE3ELNS1_11target_archE908ELNS1_3gpuE7ELNS1_3repE0EEES8_NS1_28merge_sort_block_sort_configILj256ELj4ELNS0_20block_sort_algorithmE0EEENS0_14default_configENS1_37merge_sort_block_sort_config_selectorIiNS0_10empty_typeEEENS1_38merge_sort_block_merge_config_selectorIiSE_EEEEvv
; %bb.0:
	s_endpgm
	.section	.rodata,"a",@progbits
	.p2align	6, 0x0
	.amdhsa_kernel _ZN7rocprim17ROCPRIM_400000_NS6detail44device_merge_sort_compile_time_verifier_archINS1_11comp_targetILNS1_3genE3ELNS1_11target_archE908ELNS1_3gpuE7ELNS1_3repE0EEES8_NS1_28merge_sort_block_sort_configILj256ELj4ELNS0_20block_sort_algorithmE0EEENS0_14default_configENS1_37merge_sort_block_sort_config_selectorIiNS0_10empty_typeEEENS1_38merge_sort_block_merge_config_selectorIiSE_EEEEvv
		.amdhsa_group_segment_fixed_size 0
		.amdhsa_private_segment_fixed_size 0
		.amdhsa_kernarg_size 0
		.amdhsa_user_sgpr_count 4
		.amdhsa_user_sgpr_private_segment_buffer 1
		.amdhsa_user_sgpr_dispatch_ptr 0
		.amdhsa_user_sgpr_queue_ptr 0
		.amdhsa_user_sgpr_kernarg_segment_ptr 0
		.amdhsa_user_sgpr_dispatch_id 0
		.amdhsa_user_sgpr_flat_scratch_init 0
		.amdhsa_user_sgpr_kernarg_preload_length 0
		.amdhsa_user_sgpr_kernarg_preload_offset 0
		.amdhsa_user_sgpr_private_segment_size 0
		.amdhsa_uses_dynamic_stack 0
		.amdhsa_system_sgpr_private_segment_wavefront_offset 0
		.amdhsa_system_sgpr_workgroup_id_x 1
		.amdhsa_system_sgpr_workgroup_id_y 0
		.amdhsa_system_sgpr_workgroup_id_z 0
		.amdhsa_system_sgpr_workgroup_info 0
		.amdhsa_system_vgpr_workitem_id 0
		.amdhsa_next_free_vgpr 1
		.amdhsa_next_free_sgpr 0
		.amdhsa_accum_offset 4
		.amdhsa_reserve_vcc 0
		.amdhsa_reserve_flat_scratch 0
		.amdhsa_float_round_mode_32 0
		.amdhsa_float_round_mode_16_64 0
		.amdhsa_float_denorm_mode_32 3
		.amdhsa_float_denorm_mode_16_64 3
		.amdhsa_dx10_clamp 1
		.amdhsa_ieee_mode 1
		.amdhsa_fp16_overflow 0
		.amdhsa_tg_split 0
		.amdhsa_exception_fp_ieee_invalid_op 0
		.amdhsa_exception_fp_denorm_src 0
		.amdhsa_exception_fp_ieee_div_zero 0
		.amdhsa_exception_fp_ieee_overflow 0
		.amdhsa_exception_fp_ieee_underflow 0
		.amdhsa_exception_fp_ieee_inexact 0
		.amdhsa_exception_int_div_zero 0
	.end_amdhsa_kernel
	.section	.text._ZN7rocprim17ROCPRIM_400000_NS6detail44device_merge_sort_compile_time_verifier_archINS1_11comp_targetILNS1_3genE3ELNS1_11target_archE908ELNS1_3gpuE7ELNS1_3repE0EEES8_NS1_28merge_sort_block_sort_configILj256ELj4ELNS0_20block_sort_algorithmE0EEENS0_14default_configENS1_37merge_sort_block_sort_config_selectorIiNS0_10empty_typeEEENS1_38merge_sort_block_merge_config_selectorIiSE_EEEEvv,"axG",@progbits,_ZN7rocprim17ROCPRIM_400000_NS6detail44device_merge_sort_compile_time_verifier_archINS1_11comp_targetILNS1_3genE3ELNS1_11target_archE908ELNS1_3gpuE7ELNS1_3repE0EEES8_NS1_28merge_sort_block_sort_configILj256ELj4ELNS0_20block_sort_algorithmE0EEENS0_14default_configENS1_37merge_sort_block_sort_config_selectorIiNS0_10empty_typeEEENS1_38merge_sort_block_merge_config_selectorIiSE_EEEEvv,comdat
.Lfunc_end1608:
	.size	_ZN7rocprim17ROCPRIM_400000_NS6detail44device_merge_sort_compile_time_verifier_archINS1_11comp_targetILNS1_3genE3ELNS1_11target_archE908ELNS1_3gpuE7ELNS1_3repE0EEES8_NS1_28merge_sort_block_sort_configILj256ELj4ELNS0_20block_sort_algorithmE0EEENS0_14default_configENS1_37merge_sort_block_sort_config_selectorIiNS0_10empty_typeEEENS1_38merge_sort_block_merge_config_selectorIiSE_EEEEvv, .Lfunc_end1608-_ZN7rocprim17ROCPRIM_400000_NS6detail44device_merge_sort_compile_time_verifier_archINS1_11comp_targetILNS1_3genE3ELNS1_11target_archE908ELNS1_3gpuE7ELNS1_3repE0EEES8_NS1_28merge_sort_block_sort_configILj256ELj4ELNS0_20block_sort_algorithmE0EEENS0_14default_configENS1_37merge_sort_block_sort_config_selectorIiNS0_10empty_typeEEENS1_38merge_sort_block_merge_config_selectorIiSE_EEEEvv
                                        ; -- End function
	.section	.AMDGPU.csdata,"",@progbits
; Kernel info:
; codeLenInByte = 4
; NumSgprs: 4
; NumVgprs: 0
; NumAgprs: 0
; TotalNumVgprs: 0
; ScratchSize: 0
; MemoryBound: 0
; FloatMode: 240
; IeeeMode: 1
; LDSByteSize: 0 bytes/workgroup (compile time only)
; SGPRBlocks: 0
; VGPRBlocks: 0
; NumSGPRsForWavesPerEU: 4
; NumVGPRsForWavesPerEU: 1
; AccumOffset: 4
; Occupancy: 8
; WaveLimiterHint : 0
; COMPUTE_PGM_RSRC2:SCRATCH_EN: 0
; COMPUTE_PGM_RSRC2:USER_SGPR: 4
; COMPUTE_PGM_RSRC2:TRAP_HANDLER: 0
; COMPUTE_PGM_RSRC2:TGID_X_EN: 1
; COMPUTE_PGM_RSRC2:TGID_Y_EN: 0
; COMPUTE_PGM_RSRC2:TGID_Z_EN: 0
; COMPUTE_PGM_RSRC2:TIDIG_COMP_CNT: 0
; COMPUTE_PGM_RSRC3_GFX90A:ACCUM_OFFSET: 0
; COMPUTE_PGM_RSRC3_GFX90A:TG_SPLIT: 0
	.section	.text._ZN7rocprim17ROCPRIM_400000_NS6detail44device_merge_sort_compile_time_verifier_archINS1_11comp_targetILNS1_3genE2ELNS1_11target_archE906ELNS1_3gpuE6ELNS1_3repE0EEES8_NS1_28merge_sort_block_sort_configILj256ELj4ELNS0_20block_sort_algorithmE0EEENS0_14default_configENS1_37merge_sort_block_sort_config_selectorIiNS0_10empty_typeEEENS1_38merge_sort_block_merge_config_selectorIiSE_EEEEvv,"axG",@progbits,_ZN7rocprim17ROCPRIM_400000_NS6detail44device_merge_sort_compile_time_verifier_archINS1_11comp_targetILNS1_3genE2ELNS1_11target_archE906ELNS1_3gpuE6ELNS1_3repE0EEES8_NS1_28merge_sort_block_sort_configILj256ELj4ELNS0_20block_sort_algorithmE0EEENS0_14default_configENS1_37merge_sort_block_sort_config_selectorIiNS0_10empty_typeEEENS1_38merge_sort_block_merge_config_selectorIiSE_EEEEvv,comdat
	.protected	_ZN7rocprim17ROCPRIM_400000_NS6detail44device_merge_sort_compile_time_verifier_archINS1_11comp_targetILNS1_3genE2ELNS1_11target_archE906ELNS1_3gpuE6ELNS1_3repE0EEES8_NS1_28merge_sort_block_sort_configILj256ELj4ELNS0_20block_sort_algorithmE0EEENS0_14default_configENS1_37merge_sort_block_sort_config_selectorIiNS0_10empty_typeEEENS1_38merge_sort_block_merge_config_selectorIiSE_EEEEvv ; -- Begin function _ZN7rocprim17ROCPRIM_400000_NS6detail44device_merge_sort_compile_time_verifier_archINS1_11comp_targetILNS1_3genE2ELNS1_11target_archE906ELNS1_3gpuE6ELNS1_3repE0EEES8_NS1_28merge_sort_block_sort_configILj256ELj4ELNS0_20block_sort_algorithmE0EEENS0_14default_configENS1_37merge_sort_block_sort_config_selectorIiNS0_10empty_typeEEENS1_38merge_sort_block_merge_config_selectorIiSE_EEEEvv
	.globl	_ZN7rocprim17ROCPRIM_400000_NS6detail44device_merge_sort_compile_time_verifier_archINS1_11comp_targetILNS1_3genE2ELNS1_11target_archE906ELNS1_3gpuE6ELNS1_3repE0EEES8_NS1_28merge_sort_block_sort_configILj256ELj4ELNS0_20block_sort_algorithmE0EEENS0_14default_configENS1_37merge_sort_block_sort_config_selectorIiNS0_10empty_typeEEENS1_38merge_sort_block_merge_config_selectorIiSE_EEEEvv
	.p2align	8
	.type	_ZN7rocprim17ROCPRIM_400000_NS6detail44device_merge_sort_compile_time_verifier_archINS1_11comp_targetILNS1_3genE2ELNS1_11target_archE906ELNS1_3gpuE6ELNS1_3repE0EEES8_NS1_28merge_sort_block_sort_configILj256ELj4ELNS0_20block_sort_algorithmE0EEENS0_14default_configENS1_37merge_sort_block_sort_config_selectorIiNS0_10empty_typeEEENS1_38merge_sort_block_merge_config_selectorIiSE_EEEEvv,@function
_ZN7rocprim17ROCPRIM_400000_NS6detail44device_merge_sort_compile_time_verifier_archINS1_11comp_targetILNS1_3genE2ELNS1_11target_archE906ELNS1_3gpuE6ELNS1_3repE0EEES8_NS1_28merge_sort_block_sort_configILj256ELj4ELNS0_20block_sort_algorithmE0EEENS0_14default_configENS1_37merge_sort_block_sort_config_selectorIiNS0_10empty_typeEEENS1_38merge_sort_block_merge_config_selectorIiSE_EEEEvv: ; @_ZN7rocprim17ROCPRIM_400000_NS6detail44device_merge_sort_compile_time_verifier_archINS1_11comp_targetILNS1_3genE2ELNS1_11target_archE906ELNS1_3gpuE6ELNS1_3repE0EEES8_NS1_28merge_sort_block_sort_configILj256ELj4ELNS0_20block_sort_algorithmE0EEENS0_14default_configENS1_37merge_sort_block_sort_config_selectorIiNS0_10empty_typeEEENS1_38merge_sort_block_merge_config_selectorIiSE_EEEEvv
; %bb.0:
	s_endpgm
	.section	.rodata,"a",@progbits
	.p2align	6, 0x0
	.amdhsa_kernel _ZN7rocprim17ROCPRIM_400000_NS6detail44device_merge_sort_compile_time_verifier_archINS1_11comp_targetILNS1_3genE2ELNS1_11target_archE906ELNS1_3gpuE6ELNS1_3repE0EEES8_NS1_28merge_sort_block_sort_configILj256ELj4ELNS0_20block_sort_algorithmE0EEENS0_14default_configENS1_37merge_sort_block_sort_config_selectorIiNS0_10empty_typeEEENS1_38merge_sort_block_merge_config_selectorIiSE_EEEEvv
		.amdhsa_group_segment_fixed_size 0
		.amdhsa_private_segment_fixed_size 0
		.amdhsa_kernarg_size 0
		.amdhsa_user_sgpr_count 4
		.amdhsa_user_sgpr_private_segment_buffer 1
		.amdhsa_user_sgpr_dispatch_ptr 0
		.amdhsa_user_sgpr_queue_ptr 0
		.amdhsa_user_sgpr_kernarg_segment_ptr 0
		.amdhsa_user_sgpr_dispatch_id 0
		.amdhsa_user_sgpr_flat_scratch_init 0
		.amdhsa_user_sgpr_kernarg_preload_length 0
		.amdhsa_user_sgpr_kernarg_preload_offset 0
		.amdhsa_user_sgpr_private_segment_size 0
		.amdhsa_uses_dynamic_stack 0
		.amdhsa_system_sgpr_private_segment_wavefront_offset 0
		.amdhsa_system_sgpr_workgroup_id_x 1
		.amdhsa_system_sgpr_workgroup_id_y 0
		.amdhsa_system_sgpr_workgroup_id_z 0
		.amdhsa_system_sgpr_workgroup_info 0
		.amdhsa_system_vgpr_workitem_id 0
		.amdhsa_next_free_vgpr 1
		.amdhsa_next_free_sgpr 0
		.amdhsa_accum_offset 4
		.amdhsa_reserve_vcc 0
		.amdhsa_reserve_flat_scratch 0
		.amdhsa_float_round_mode_32 0
		.amdhsa_float_round_mode_16_64 0
		.amdhsa_float_denorm_mode_32 3
		.amdhsa_float_denorm_mode_16_64 3
		.amdhsa_dx10_clamp 1
		.amdhsa_ieee_mode 1
		.amdhsa_fp16_overflow 0
		.amdhsa_tg_split 0
		.amdhsa_exception_fp_ieee_invalid_op 0
		.amdhsa_exception_fp_denorm_src 0
		.amdhsa_exception_fp_ieee_div_zero 0
		.amdhsa_exception_fp_ieee_overflow 0
		.amdhsa_exception_fp_ieee_underflow 0
		.amdhsa_exception_fp_ieee_inexact 0
		.amdhsa_exception_int_div_zero 0
	.end_amdhsa_kernel
	.section	.text._ZN7rocprim17ROCPRIM_400000_NS6detail44device_merge_sort_compile_time_verifier_archINS1_11comp_targetILNS1_3genE2ELNS1_11target_archE906ELNS1_3gpuE6ELNS1_3repE0EEES8_NS1_28merge_sort_block_sort_configILj256ELj4ELNS0_20block_sort_algorithmE0EEENS0_14default_configENS1_37merge_sort_block_sort_config_selectorIiNS0_10empty_typeEEENS1_38merge_sort_block_merge_config_selectorIiSE_EEEEvv,"axG",@progbits,_ZN7rocprim17ROCPRIM_400000_NS6detail44device_merge_sort_compile_time_verifier_archINS1_11comp_targetILNS1_3genE2ELNS1_11target_archE906ELNS1_3gpuE6ELNS1_3repE0EEES8_NS1_28merge_sort_block_sort_configILj256ELj4ELNS0_20block_sort_algorithmE0EEENS0_14default_configENS1_37merge_sort_block_sort_config_selectorIiNS0_10empty_typeEEENS1_38merge_sort_block_merge_config_selectorIiSE_EEEEvv,comdat
.Lfunc_end1609:
	.size	_ZN7rocprim17ROCPRIM_400000_NS6detail44device_merge_sort_compile_time_verifier_archINS1_11comp_targetILNS1_3genE2ELNS1_11target_archE906ELNS1_3gpuE6ELNS1_3repE0EEES8_NS1_28merge_sort_block_sort_configILj256ELj4ELNS0_20block_sort_algorithmE0EEENS0_14default_configENS1_37merge_sort_block_sort_config_selectorIiNS0_10empty_typeEEENS1_38merge_sort_block_merge_config_selectorIiSE_EEEEvv, .Lfunc_end1609-_ZN7rocprim17ROCPRIM_400000_NS6detail44device_merge_sort_compile_time_verifier_archINS1_11comp_targetILNS1_3genE2ELNS1_11target_archE906ELNS1_3gpuE6ELNS1_3repE0EEES8_NS1_28merge_sort_block_sort_configILj256ELj4ELNS0_20block_sort_algorithmE0EEENS0_14default_configENS1_37merge_sort_block_sort_config_selectorIiNS0_10empty_typeEEENS1_38merge_sort_block_merge_config_selectorIiSE_EEEEvv
                                        ; -- End function
	.section	.AMDGPU.csdata,"",@progbits
; Kernel info:
; codeLenInByte = 4
; NumSgprs: 4
; NumVgprs: 0
; NumAgprs: 0
; TotalNumVgprs: 0
; ScratchSize: 0
; MemoryBound: 0
; FloatMode: 240
; IeeeMode: 1
; LDSByteSize: 0 bytes/workgroup (compile time only)
; SGPRBlocks: 0
; VGPRBlocks: 0
; NumSGPRsForWavesPerEU: 4
; NumVGPRsForWavesPerEU: 1
; AccumOffset: 4
; Occupancy: 8
; WaveLimiterHint : 0
; COMPUTE_PGM_RSRC2:SCRATCH_EN: 0
; COMPUTE_PGM_RSRC2:USER_SGPR: 4
; COMPUTE_PGM_RSRC2:TRAP_HANDLER: 0
; COMPUTE_PGM_RSRC2:TGID_X_EN: 1
; COMPUTE_PGM_RSRC2:TGID_Y_EN: 0
; COMPUTE_PGM_RSRC2:TGID_Z_EN: 0
; COMPUTE_PGM_RSRC2:TIDIG_COMP_CNT: 0
; COMPUTE_PGM_RSRC3_GFX90A:ACCUM_OFFSET: 0
; COMPUTE_PGM_RSRC3_GFX90A:TG_SPLIT: 0
	.section	.text._ZN7rocprim17ROCPRIM_400000_NS6detail44device_merge_sort_compile_time_verifier_archINS1_11comp_targetILNS1_3genE10ELNS1_11target_archE1201ELNS1_3gpuE5ELNS1_3repE0EEES8_NS1_28merge_sort_block_sort_configILj256ELj4ELNS0_20block_sort_algorithmE0EEENS0_14default_configENS1_37merge_sort_block_sort_config_selectorIiNS0_10empty_typeEEENS1_38merge_sort_block_merge_config_selectorIiSE_EEEEvv,"axG",@progbits,_ZN7rocprim17ROCPRIM_400000_NS6detail44device_merge_sort_compile_time_verifier_archINS1_11comp_targetILNS1_3genE10ELNS1_11target_archE1201ELNS1_3gpuE5ELNS1_3repE0EEES8_NS1_28merge_sort_block_sort_configILj256ELj4ELNS0_20block_sort_algorithmE0EEENS0_14default_configENS1_37merge_sort_block_sort_config_selectorIiNS0_10empty_typeEEENS1_38merge_sort_block_merge_config_selectorIiSE_EEEEvv,comdat
	.protected	_ZN7rocprim17ROCPRIM_400000_NS6detail44device_merge_sort_compile_time_verifier_archINS1_11comp_targetILNS1_3genE10ELNS1_11target_archE1201ELNS1_3gpuE5ELNS1_3repE0EEES8_NS1_28merge_sort_block_sort_configILj256ELj4ELNS0_20block_sort_algorithmE0EEENS0_14default_configENS1_37merge_sort_block_sort_config_selectorIiNS0_10empty_typeEEENS1_38merge_sort_block_merge_config_selectorIiSE_EEEEvv ; -- Begin function _ZN7rocprim17ROCPRIM_400000_NS6detail44device_merge_sort_compile_time_verifier_archINS1_11comp_targetILNS1_3genE10ELNS1_11target_archE1201ELNS1_3gpuE5ELNS1_3repE0EEES8_NS1_28merge_sort_block_sort_configILj256ELj4ELNS0_20block_sort_algorithmE0EEENS0_14default_configENS1_37merge_sort_block_sort_config_selectorIiNS0_10empty_typeEEENS1_38merge_sort_block_merge_config_selectorIiSE_EEEEvv
	.globl	_ZN7rocprim17ROCPRIM_400000_NS6detail44device_merge_sort_compile_time_verifier_archINS1_11comp_targetILNS1_3genE10ELNS1_11target_archE1201ELNS1_3gpuE5ELNS1_3repE0EEES8_NS1_28merge_sort_block_sort_configILj256ELj4ELNS0_20block_sort_algorithmE0EEENS0_14default_configENS1_37merge_sort_block_sort_config_selectorIiNS0_10empty_typeEEENS1_38merge_sort_block_merge_config_selectorIiSE_EEEEvv
	.p2align	8
	.type	_ZN7rocprim17ROCPRIM_400000_NS6detail44device_merge_sort_compile_time_verifier_archINS1_11comp_targetILNS1_3genE10ELNS1_11target_archE1201ELNS1_3gpuE5ELNS1_3repE0EEES8_NS1_28merge_sort_block_sort_configILj256ELj4ELNS0_20block_sort_algorithmE0EEENS0_14default_configENS1_37merge_sort_block_sort_config_selectorIiNS0_10empty_typeEEENS1_38merge_sort_block_merge_config_selectorIiSE_EEEEvv,@function
_ZN7rocprim17ROCPRIM_400000_NS6detail44device_merge_sort_compile_time_verifier_archINS1_11comp_targetILNS1_3genE10ELNS1_11target_archE1201ELNS1_3gpuE5ELNS1_3repE0EEES8_NS1_28merge_sort_block_sort_configILj256ELj4ELNS0_20block_sort_algorithmE0EEENS0_14default_configENS1_37merge_sort_block_sort_config_selectorIiNS0_10empty_typeEEENS1_38merge_sort_block_merge_config_selectorIiSE_EEEEvv: ; @_ZN7rocprim17ROCPRIM_400000_NS6detail44device_merge_sort_compile_time_verifier_archINS1_11comp_targetILNS1_3genE10ELNS1_11target_archE1201ELNS1_3gpuE5ELNS1_3repE0EEES8_NS1_28merge_sort_block_sort_configILj256ELj4ELNS0_20block_sort_algorithmE0EEENS0_14default_configENS1_37merge_sort_block_sort_config_selectorIiNS0_10empty_typeEEENS1_38merge_sort_block_merge_config_selectorIiSE_EEEEvv
; %bb.0:
	s_endpgm
	.section	.rodata,"a",@progbits
	.p2align	6, 0x0
	.amdhsa_kernel _ZN7rocprim17ROCPRIM_400000_NS6detail44device_merge_sort_compile_time_verifier_archINS1_11comp_targetILNS1_3genE10ELNS1_11target_archE1201ELNS1_3gpuE5ELNS1_3repE0EEES8_NS1_28merge_sort_block_sort_configILj256ELj4ELNS0_20block_sort_algorithmE0EEENS0_14default_configENS1_37merge_sort_block_sort_config_selectorIiNS0_10empty_typeEEENS1_38merge_sort_block_merge_config_selectorIiSE_EEEEvv
		.amdhsa_group_segment_fixed_size 0
		.amdhsa_private_segment_fixed_size 0
		.amdhsa_kernarg_size 0
		.amdhsa_user_sgpr_count 4
		.amdhsa_user_sgpr_private_segment_buffer 1
		.amdhsa_user_sgpr_dispatch_ptr 0
		.amdhsa_user_sgpr_queue_ptr 0
		.amdhsa_user_sgpr_kernarg_segment_ptr 0
		.amdhsa_user_sgpr_dispatch_id 0
		.amdhsa_user_sgpr_flat_scratch_init 0
		.amdhsa_user_sgpr_kernarg_preload_length 0
		.amdhsa_user_sgpr_kernarg_preload_offset 0
		.amdhsa_user_sgpr_private_segment_size 0
		.amdhsa_uses_dynamic_stack 0
		.amdhsa_system_sgpr_private_segment_wavefront_offset 0
		.amdhsa_system_sgpr_workgroup_id_x 1
		.amdhsa_system_sgpr_workgroup_id_y 0
		.amdhsa_system_sgpr_workgroup_id_z 0
		.amdhsa_system_sgpr_workgroup_info 0
		.amdhsa_system_vgpr_workitem_id 0
		.amdhsa_next_free_vgpr 1
		.amdhsa_next_free_sgpr 0
		.amdhsa_accum_offset 4
		.amdhsa_reserve_vcc 0
		.amdhsa_reserve_flat_scratch 0
		.amdhsa_float_round_mode_32 0
		.amdhsa_float_round_mode_16_64 0
		.amdhsa_float_denorm_mode_32 3
		.amdhsa_float_denorm_mode_16_64 3
		.amdhsa_dx10_clamp 1
		.amdhsa_ieee_mode 1
		.amdhsa_fp16_overflow 0
		.amdhsa_tg_split 0
		.amdhsa_exception_fp_ieee_invalid_op 0
		.amdhsa_exception_fp_denorm_src 0
		.amdhsa_exception_fp_ieee_div_zero 0
		.amdhsa_exception_fp_ieee_overflow 0
		.amdhsa_exception_fp_ieee_underflow 0
		.amdhsa_exception_fp_ieee_inexact 0
		.amdhsa_exception_int_div_zero 0
	.end_amdhsa_kernel
	.section	.text._ZN7rocprim17ROCPRIM_400000_NS6detail44device_merge_sort_compile_time_verifier_archINS1_11comp_targetILNS1_3genE10ELNS1_11target_archE1201ELNS1_3gpuE5ELNS1_3repE0EEES8_NS1_28merge_sort_block_sort_configILj256ELj4ELNS0_20block_sort_algorithmE0EEENS0_14default_configENS1_37merge_sort_block_sort_config_selectorIiNS0_10empty_typeEEENS1_38merge_sort_block_merge_config_selectorIiSE_EEEEvv,"axG",@progbits,_ZN7rocprim17ROCPRIM_400000_NS6detail44device_merge_sort_compile_time_verifier_archINS1_11comp_targetILNS1_3genE10ELNS1_11target_archE1201ELNS1_3gpuE5ELNS1_3repE0EEES8_NS1_28merge_sort_block_sort_configILj256ELj4ELNS0_20block_sort_algorithmE0EEENS0_14default_configENS1_37merge_sort_block_sort_config_selectorIiNS0_10empty_typeEEENS1_38merge_sort_block_merge_config_selectorIiSE_EEEEvv,comdat
.Lfunc_end1610:
	.size	_ZN7rocprim17ROCPRIM_400000_NS6detail44device_merge_sort_compile_time_verifier_archINS1_11comp_targetILNS1_3genE10ELNS1_11target_archE1201ELNS1_3gpuE5ELNS1_3repE0EEES8_NS1_28merge_sort_block_sort_configILj256ELj4ELNS0_20block_sort_algorithmE0EEENS0_14default_configENS1_37merge_sort_block_sort_config_selectorIiNS0_10empty_typeEEENS1_38merge_sort_block_merge_config_selectorIiSE_EEEEvv, .Lfunc_end1610-_ZN7rocprim17ROCPRIM_400000_NS6detail44device_merge_sort_compile_time_verifier_archINS1_11comp_targetILNS1_3genE10ELNS1_11target_archE1201ELNS1_3gpuE5ELNS1_3repE0EEES8_NS1_28merge_sort_block_sort_configILj256ELj4ELNS0_20block_sort_algorithmE0EEENS0_14default_configENS1_37merge_sort_block_sort_config_selectorIiNS0_10empty_typeEEENS1_38merge_sort_block_merge_config_selectorIiSE_EEEEvv
                                        ; -- End function
	.section	.AMDGPU.csdata,"",@progbits
; Kernel info:
; codeLenInByte = 4
; NumSgprs: 4
; NumVgprs: 0
; NumAgprs: 0
; TotalNumVgprs: 0
; ScratchSize: 0
; MemoryBound: 0
; FloatMode: 240
; IeeeMode: 1
; LDSByteSize: 0 bytes/workgroup (compile time only)
; SGPRBlocks: 0
; VGPRBlocks: 0
; NumSGPRsForWavesPerEU: 4
; NumVGPRsForWavesPerEU: 1
; AccumOffset: 4
; Occupancy: 8
; WaveLimiterHint : 0
; COMPUTE_PGM_RSRC2:SCRATCH_EN: 0
; COMPUTE_PGM_RSRC2:USER_SGPR: 4
; COMPUTE_PGM_RSRC2:TRAP_HANDLER: 0
; COMPUTE_PGM_RSRC2:TGID_X_EN: 1
; COMPUTE_PGM_RSRC2:TGID_Y_EN: 0
; COMPUTE_PGM_RSRC2:TGID_Z_EN: 0
; COMPUTE_PGM_RSRC2:TIDIG_COMP_CNT: 0
; COMPUTE_PGM_RSRC3_GFX90A:ACCUM_OFFSET: 0
; COMPUTE_PGM_RSRC3_GFX90A:TG_SPLIT: 0
	.section	.text._ZN7rocprim17ROCPRIM_400000_NS6detail44device_merge_sort_compile_time_verifier_archINS1_11comp_targetILNS1_3genE10ELNS1_11target_archE1200ELNS1_3gpuE4ELNS1_3repE0EEENS3_ILS4_10ELS5_1201ELS6_5ELS7_0EEENS1_28merge_sort_block_sort_configILj256ELj4ELNS0_20block_sort_algorithmE0EEENS0_14default_configENS1_37merge_sort_block_sort_config_selectorIiNS0_10empty_typeEEENS1_38merge_sort_block_merge_config_selectorIiSF_EEEEvv,"axG",@progbits,_ZN7rocprim17ROCPRIM_400000_NS6detail44device_merge_sort_compile_time_verifier_archINS1_11comp_targetILNS1_3genE10ELNS1_11target_archE1200ELNS1_3gpuE4ELNS1_3repE0EEENS3_ILS4_10ELS5_1201ELS6_5ELS7_0EEENS1_28merge_sort_block_sort_configILj256ELj4ELNS0_20block_sort_algorithmE0EEENS0_14default_configENS1_37merge_sort_block_sort_config_selectorIiNS0_10empty_typeEEENS1_38merge_sort_block_merge_config_selectorIiSF_EEEEvv,comdat
	.protected	_ZN7rocprim17ROCPRIM_400000_NS6detail44device_merge_sort_compile_time_verifier_archINS1_11comp_targetILNS1_3genE10ELNS1_11target_archE1200ELNS1_3gpuE4ELNS1_3repE0EEENS3_ILS4_10ELS5_1201ELS6_5ELS7_0EEENS1_28merge_sort_block_sort_configILj256ELj4ELNS0_20block_sort_algorithmE0EEENS0_14default_configENS1_37merge_sort_block_sort_config_selectorIiNS0_10empty_typeEEENS1_38merge_sort_block_merge_config_selectorIiSF_EEEEvv ; -- Begin function _ZN7rocprim17ROCPRIM_400000_NS6detail44device_merge_sort_compile_time_verifier_archINS1_11comp_targetILNS1_3genE10ELNS1_11target_archE1200ELNS1_3gpuE4ELNS1_3repE0EEENS3_ILS4_10ELS5_1201ELS6_5ELS7_0EEENS1_28merge_sort_block_sort_configILj256ELj4ELNS0_20block_sort_algorithmE0EEENS0_14default_configENS1_37merge_sort_block_sort_config_selectorIiNS0_10empty_typeEEENS1_38merge_sort_block_merge_config_selectorIiSF_EEEEvv
	.globl	_ZN7rocprim17ROCPRIM_400000_NS6detail44device_merge_sort_compile_time_verifier_archINS1_11comp_targetILNS1_3genE10ELNS1_11target_archE1200ELNS1_3gpuE4ELNS1_3repE0EEENS3_ILS4_10ELS5_1201ELS6_5ELS7_0EEENS1_28merge_sort_block_sort_configILj256ELj4ELNS0_20block_sort_algorithmE0EEENS0_14default_configENS1_37merge_sort_block_sort_config_selectorIiNS0_10empty_typeEEENS1_38merge_sort_block_merge_config_selectorIiSF_EEEEvv
	.p2align	8
	.type	_ZN7rocprim17ROCPRIM_400000_NS6detail44device_merge_sort_compile_time_verifier_archINS1_11comp_targetILNS1_3genE10ELNS1_11target_archE1200ELNS1_3gpuE4ELNS1_3repE0EEENS3_ILS4_10ELS5_1201ELS6_5ELS7_0EEENS1_28merge_sort_block_sort_configILj256ELj4ELNS0_20block_sort_algorithmE0EEENS0_14default_configENS1_37merge_sort_block_sort_config_selectorIiNS0_10empty_typeEEENS1_38merge_sort_block_merge_config_selectorIiSF_EEEEvv,@function
_ZN7rocprim17ROCPRIM_400000_NS6detail44device_merge_sort_compile_time_verifier_archINS1_11comp_targetILNS1_3genE10ELNS1_11target_archE1200ELNS1_3gpuE4ELNS1_3repE0EEENS3_ILS4_10ELS5_1201ELS6_5ELS7_0EEENS1_28merge_sort_block_sort_configILj256ELj4ELNS0_20block_sort_algorithmE0EEENS0_14default_configENS1_37merge_sort_block_sort_config_selectorIiNS0_10empty_typeEEENS1_38merge_sort_block_merge_config_selectorIiSF_EEEEvv: ; @_ZN7rocprim17ROCPRIM_400000_NS6detail44device_merge_sort_compile_time_verifier_archINS1_11comp_targetILNS1_3genE10ELNS1_11target_archE1200ELNS1_3gpuE4ELNS1_3repE0EEENS3_ILS4_10ELS5_1201ELS6_5ELS7_0EEENS1_28merge_sort_block_sort_configILj256ELj4ELNS0_20block_sort_algorithmE0EEENS0_14default_configENS1_37merge_sort_block_sort_config_selectorIiNS0_10empty_typeEEENS1_38merge_sort_block_merge_config_selectorIiSF_EEEEvv
; %bb.0:
	s_endpgm
	.section	.rodata,"a",@progbits
	.p2align	6, 0x0
	.amdhsa_kernel _ZN7rocprim17ROCPRIM_400000_NS6detail44device_merge_sort_compile_time_verifier_archINS1_11comp_targetILNS1_3genE10ELNS1_11target_archE1200ELNS1_3gpuE4ELNS1_3repE0EEENS3_ILS4_10ELS5_1201ELS6_5ELS7_0EEENS1_28merge_sort_block_sort_configILj256ELj4ELNS0_20block_sort_algorithmE0EEENS0_14default_configENS1_37merge_sort_block_sort_config_selectorIiNS0_10empty_typeEEENS1_38merge_sort_block_merge_config_selectorIiSF_EEEEvv
		.amdhsa_group_segment_fixed_size 0
		.amdhsa_private_segment_fixed_size 0
		.amdhsa_kernarg_size 0
		.amdhsa_user_sgpr_count 4
		.amdhsa_user_sgpr_private_segment_buffer 1
		.amdhsa_user_sgpr_dispatch_ptr 0
		.amdhsa_user_sgpr_queue_ptr 0
		.amdhsa_user_sgpr_kernarg_segment_ptr 0
		.amdhsa_user_sgpr_dispatch_id 0
		.amdhsa_user_sgpr_flat_scratch_init 0
		.amdhsa_user_sgpr_kernarg_preload_length 0
		.amdhsa_user_sgpr_kernarg_preload_offset 0
		.amdhsa_user_sgpr_private_segment_size 0
		.amdhsa_uses_dynamic_stack 0
		.amdhsa_system_sgpr_private_segment_wavefront_offset 0
		.amdhsa_system_sgpr_workgroup_id_x 1
		.amdhsa_system_sgpr_workgroup_id_y 0
		.amdhsa_system_sgpr_workgroup_id_z 0
		.amdhsa_system_sgpr_workgroup_info 0
		.amdhsa_system_vgpr_workitem_id 0
		.amdhsa_next_free_vgpr 1
		.amdhsa_next_free_sgpr 0
		.amdhsa_accum_offset 4
		.amdhsa_reserve_vcc 0
		.amdhsa_reserve_flat_scratch 0
		.amdhsa_float_round_mode_32 0
		.amdhsa_float_round_mode_16_64 0
		.amdhsa_float_denorm_mode_32 3
		.amdhsa_float_denorm_mode_16_64 3
		.amdhsa_dx10_clamp 1
		.amdhsa_ieee_mode 1
		.amdhsa_fp16_overflow 0
		.amdhsa_tg_split 0
		.amdhsa_exception_fp_ieee_invalid_op 0
		.amdhsa_exception_fp_denorm_src 0
		.amdhsa_exception_fp_ieee_div_zero 0
		.amdhsa_exception_fp_ieee_overflow 0
		.amdhsa_exception_fp_ieee_underflow 0
		.amdhsa_exception_fp_ieee_inexact 0
		.amdhsa_exception_int_div_zero 0
	.end_amdhsa_kernel
	.section	.text._ZN7rocprim17ROCPRIM_400000_NS6detail44device_merge_sort_compile_time_verifier_archINS1_11comp_targetILNS1_3genE10ELNS1_11target_archE1200ELNS1_3gpuE4ELNS1_3repE0EEENS3_ILS4_10ELS5_1201ELS6_5ELS7_0EEENS1_28merge_sort_block_sort_configILj256ELj4ELNS0_20block_sort_algorithmE0EEENS0_14default_configENS1_37merge_sort_block_sort_config_selectorIiNS0_10empty_typeEEENS1_38merge_sort_block_merge_config_selectorIiSF_EEEEvv,"axG",@progbits,_ZN7rocprim17ROCPRIM_400000_NS6detail44device_merge_sort_compile_time_verifier_archINS1_11comp_targetILNS1_3genE10ELNS1_11target_archE1200ELNS1_3gpuE4ELNS1_3repE0EEENS3_ILS4_10ELS5_1201ELS6_5ELS7_0EEENS1_28merge_sort_block_sort_configILj256ELj4ELNS0_20block_sort_algorithmE0EEENS0_14default_configENS1_37merge_sort_block_sort_config_selectorIiNS0_10empty_typeEEENS1_38merge_sort_block_merge_config_selectorIiSF_EEEEvv,comdat
.Lfunc_end1611:
	.size	_ZN7rocprim17ROCPRIM_400000_NS6detail44device_merge_sort_compile_time_verifier_archINS1_11comp_targetILNS1_3genE10ELNS1_11target_archE1200ELNS1_3gpuE4ELNS1_3repE0EEENS3_ILS4_10ELS5_1201ELS6_5ELS7_0EEENS1_28merge_sort_block_sort_configILj256ELj4ELNS0_20block_sort_algorithmE0EEENS0_14default_configENS1_37merge_sort_block_sort_config_selectorIiNS0_10empty_typeEEENS1_38merge_sort_block_merge_config_selectorIiSF_EEEEvv, .Lfunc_end1611-_ZN7rocprim17ROCPRIM_400000_NS6detail44device_merge_sort_compile_time_verifier_archINS1_11comp_targetILNS1_3genE10ELNS1_11target_archE1200ELNS1_3gpuE4ELNS1_3repE0EEENS3_ILS4_10ELS5_1201ELS6_5ELS7_0EEENS1_28merge_sort_block_sort_configILj256ELj4ELNS0_20block_sort_algorithmE0EEENS0_14default_configENS1_37merge_sort_block_sort_config_selectorIiNS0_10empty_typeEEENS1_38merge_sort_block_merge_config_selectorIiSF_EEEEvv
                                        ; -- End function
	.section	.AMDGPU.csdata,"",@progbits
; Kernel info:
; codeLenInByte = 4
; NumSgprs: 4
; NumVgprs: 0
; NumAgprs: 0
; TotalNumVgprs: 0
; ScratchSize: 0
; MemoryBound: 0
; FloatMode: 240
; IeeeMode: 1
; LDSByteSize: 0 bytes/workgroup (compile time only)
; SGPRBlocks: 0
; VGPRBlocks: 0
; NumSGPRsForWavesPerEU: 4
; NumVGPRsForWavesPerEU: 1
; AccumOffset: 4
; Occupancy: 8
; WaveLimiterHint : 0
; COMPUTE_PGM_RSRC2:SCRATCH_EN: 0
; COMPUTE_PGM_RSRC2:USER_SGPR: 4
; COMPUTE_PGM_RSRC2:TRAP_HANDLER: 0
; COMPUTE_PGM_RSRC2:TGID_X_EN: 1
; COMPUTE_PGM_RSRC2:TGID_Y_EN: 0
; COMPUTE_PGM_RSRC2:TGID_Z_EN: 0
; COMPUTE_PGM_RSRC2:TIDIG_COMP_CNT: 0
; COMPUTE_PGM_RSRC3_GFX90A:ACCUM_OFFSET: 0
; COMPUTE_PGM_RSRC3_GFX90A:TG_SPLIT: 0
	.section	.text._ZN7rocprim17ROCPRIM_400000_NS6detail44device_merge_sort_compile_time_verifier_archINS1_11comp_targetILNS1_3genE9ELNS1_11target_archE1100ELNS1_3gpuE3ELNS1_3repE0EEES8_NS1_28merge_sort_block_sort_configILj256ELj4ELNS0_20block_sort_algorithmE0EEENS0_14default_configENS1_37merge_sort_block_sort_config_selectorIiNS0_10empty_typeEEENS1_38merge_sort_block_merge_config_selectorIiSE_EEEEvv,"axG",@progbits,_ZN7rocprim17ROCPRIM_400000_NS6detail44device_merge_sort_compile_time_verifier_archINS1_11comp_targetILNS1_3genE9ELNS1_11target_archE1100ELNS1_3gpuE3ELNS1_3repE0EEES8_NS1_28merge_sort_block_sort_configILj256ELj4ELNS0_20block_sort_algorithmE0EEENS0_14default_configENS1_37merge_sort_block_sort_config_selectorIiNS0_10empty_typeEEENS1_38merge_sort_block_merge_config_selectorIiSE_EEEEvv,comdat
	.protected	_ZN7rocprim17ROCPRIM_400000_NS6detail44device_merge_sort_compile_time_verifier_archINS1_11comp_targetILNS1_3genE9ELNS1_11target_archE1100ELNS1_3gpuE3ELNS1_3repE0EEES8_NS1_28merge_sort_block_sort_configILj256ELj4ELNS0_20block_sort_algorithmE0EEENS0_14default_configENS1_37merge_sort_block_sort_config_selectorIiNS0_10empty_typeEEENS1_38merge_sort_block_merge_config_selectorIiSE_EEEEvv ; -- Begin function _ZN7rocprim17ROCPRIM_400000_NS6detail44device_merge_sort_compile_time_verifier_archINS1_11comp_targetILNS1_3genE9ELNS1_11target_archE1100ELNS1_3gpuE3ELNS1_3repE0EEES8_NS1_28merge_sort_block_sort_configILj256ELj4ELNS0_20block_sort_algorithmE0EEENS0_14default_configENS1_37merge_sort_block_sort_config_selectorIiNS0_10empty_typeEEENS1_38merge_sort_block_merge_config_selectorIiSE_EEEEvv
	.globl	_ZN7rocprim17ROCPRIM_400000_NS6detail44device_merge_sort_compile_time_verifier_archINS1_11comp_targetILNS1_3genE9ELNS1_11target_archE1100ELNS1_3gpuE3ELNS1_3repE0EEES8_NS1_28merge_sort_block_sort_configILj256ELj4ELNS0_20block_sort_algorithmE0EEENS0_14default_configENS1_37merge_sort_block_sort_config_selectorIiNS0_10empty_typeEEENS1_38merge_sort_block_merge_config_selectorIiSE_EEEEvv
	.p2align	8
	.type	_ZN7rocprim17ROCPRIM_400000_NS6detail44device_merge_sort_compile_time_verifier_archINS1_11comp_targetILNS1_3genE9ELNS1_11target_archE1100ELNS1_3gpuE3ELNS1_3repE0EEES8_NS1_28merge_sort_block_sort_configILj256ELj4ELNS0_20block_sort_algorithmE0EEENS0_14default_configENS1_37merge_sort_block_sort_config_selectorIiNS0_10empty_typeEEENS1_38merge_sort_block_merge_config_selectorIiSE_EEEEvv,@function
_ZN7rocprim17ROCPRIM_400000_NS6detail44device_merge_sort_compile_time_verifier_archINS1_11comp_targetILNS1_3genE9ELNS1_11target_archE1100ELNS1_3gpuE3ELNS1_3repE0EEES8_NS1_28merge_sort_block_sort_configILj256ELj4ELNS0_20block_sort_algorithmE0EEENS0_14default_configENS1_37merge_sort_block_sort_config_selectorIiNS0_10empty_typeEEENS1_38merge_sort_block_merge_config_selectorIiSE_EEEEvv: ; @_ZN7rocprim17ROCPRIM_400000_NS6detail44device_merge_sort_compile_time_verifier_archINS1_11comp_targetILNS1_3genE9ELNS1_11target_archE1100ELNS1_3gpuE3ELNS1_3repE0EEES8_NS1_28merge_sort_block_sort_configILj256ELj4ELNS0_20block_sort_algorithmE0EEENS0_14default_configENS1_37merge_sort_block_sort_config_selectorIiNS0_10empty_typeEEENS1_38merge_sort_block_merge_config_selectorIiSE_EEEEvv
; %bb.0:
	s_endpgm
	.section	.rodata,"a",@progbits
	.p2align	6, 0x0
	.amdhsa_kernel _ZN7rocprim17ROCPRIM_400000_NS6detail44device_merge_sort_compile_time_verifier_archINS1_11comp_targetILNS1_3genE9ELNS1_11target_archE1100ELNS1_3gpuE3ELNS1_3repE0EEES8_NS1_28merge_sort_block_sort_configILj256ELj4ELNS0_20block_sort_algorithmE0EEENS0_14default_configENS1_37merge_sort_block_sort_config_selectorIiNS0_10empty_typeEEENS1_38merge_sort_block_merge_config_selectorIiSE_EEEEvv
		.amdhsa_group_segment_fixed_size 0
		.amdhsa_private_segment_fixed_size 0
		.amdhsa_kernarg_size 0
		.amdhsa_user_sgpr_count 4
		.amdhsa_user_sgpr_private_segment_buffer 1
		.amdhsa_user_sgpr_dispatch_ptr 0
		.amdhsa_user_sgpr_queue_ptr 0
		.amdhsa_user_sgpr_kernarg_segment_ptr 0
		.amdhsa_user_sgpr_dispatch_id 0
		.amdhsa_user_sgpr_flat_scratch_init 0
		.amdhsa_user_sgpr_kernarg_preload_length 0
		.amdhsa_user_sgpr_kernarg_preload_offset 0
		.amdhsa_user_sgpr_private_segment_size 0
		.amdhsa_uses_dynamic_stack 0
		.amdhsa_system_sgpr_private_segment_wavefront_offset 0
		.amdhsa_system_sgpr_workgroup_id_x 1
		.amdhsa_system_sgpr_workgroup_id_y 0
		.amdhsa_system_sgpr_workgroup_id_z 0
		.amdhsa_system_sgpr_workgroup_info 0
		.amdhsa_system_vgpr_workitem_id 0
		.amdhsa_next_free_vgpr 1
		.amdhsa_next_free_sgpr 0
		.amdhsa_accum_offset 4
		.amdhsa_reserve_vcc 0
		.amdhsa_reserve_flat_scratch 0
		.amdhsa_float_round_mode_32 0
		.amdhsa_float_round_mode_16_64 0
		.amdhsa_float_denorm_mode_32 3
		.amdhsa_float_denorm_mode_16_64 3
		.amdhsa_dx10_clamp 1
		.amdhsa_ieee_mode 1
		.amdhsa_fp16_overflow 0
		.amdhsa_tg_split 0
		.amdhsa_exception_fp_ieee_invalid_op 0
		.amdhsa_exception_fp_denorm_src 0
		.amdhsa_exception_fp_ieee_div_zero 0
		.amdhsa_exception_fp_ieee_overflow 0
		.amdhsa_exception_fp_ieee_underflow 0
		.amdhsa_exception_fp_ieee_inexact 0
		.amdhsa_exception_int_div_zero 0
	.end_amdhsa_kernel
	.section	.text._ZN7rocprim17ROCPRIM_400000_NS6detail44device_merge_sort_compile_time_verifier_archINS1_11comp_targetILNS1_3genE9ELNS1_11target_archE1100ELNS1_3gpuE3ELNS1_3repE0EEES8_NS1_28merge_sort_block_sort_configILj256ELj4ELNS0_20block_sort_algorithmE0EEENS0_14default_configENS1_37merge_sort_block_sort_config_selectorIiNS0_10empty_typeEEENS1_38merge_sort_block_merge_config_selectorIiSE_EEEEvv,"axG",@progbits,_ZN7rocprim17ROCPRIM_400000_NS6detail44device_merge_sort_compile_time_verifier_archINS1_11comp_targetILNS1_3genE9ELNS1_11target_archE1100ELNS1_3gpuE3ELNS1_3repE0EEES8_NS1_28merge_sort_block_sort_configILj256ELj4ELNS0_20block_sort_algorithmE0EEENS0_14default_configENS1_37merge_sort_block_sort_config_selectorIiNS0_10empty_typeEEENS1_38merge_sort_block_merge_config_selectorIiSE_EEEEvv,comdat
.Lfunc_end1612:
	.size	_ZN7rocprim17ROCPRIM_400000_NS6detail44device_merge_sort_compile_time_verifier_archINS1_11comp_targetILNS1_3genE9ELNS1_11target_archE1100ELNS1_3gpuE3ELNS1_3repE0EEES8_NS1_28merge_sort_block_sort_configILj256ELj4ELNS0_20block_sort_algorithmE0EEENS0_14default_configENS1_37merge_sort_block_sort_config_selectorIiNS0_10empty_typeEEENS1_38merge_sort_block_merge_config_selectorIiSE_EEEEvv, .Lfunc_end1612-_ZN7rocprim17ROCPRIM_400000_NS6detail44device_merge_sort_compile_time_verifier_archINS1_11comp_targetILNS1_3genE9ELNS1_11target_archE1100ELNS1_3gpuE3ELNS1_3repE0EEES8_NS1_28merge_sort_block_sort_configILj256ELj4ELNS0_20block_sort_algorithmE0EEENS0_14default_configENS1_37merge_sort_block_sort_config_selectorIiNS0_10empty_typeEEENS1_38merge_sort_block_merge_config_selectorIiSE_EEEEvv
                                        ; -- End function
	.section	.AMDGPU.csdata,"",@progbits
; Kernel info:
; codeLenInByte = 4
; NumSgprs: 4
; NumVgprs: 0
; NumAgprs: 0
; TotalNumVgprs: 0
; ScratchSize: 0
; MemoryBound: 0
; FloatMode: 240
; IeeeMode: 1
; LDSByteSize: 0 bytes/workgroup (compile time only)
; SGPRBlocks: 0
; VGPRBlocks: 0
; NumSGPRsForWavesPerEU: 4
; NumVGPRsForWavesPerEU: 1
; AccumOffset: 4
; Occupancy: 8
; WaveLimiterHint : 0
; COMPUTE_PGM_RSRC2:SCRATCH_EN: 0
; COMPUTE_PGM_RSRC2:USER_SGPR: 4
; COMPUTE_PGM_RSRC2:TRAP_HANDLER: 0
; COMPUTE_PGM_RSRC2:TGID_X_EN: 1
; COMPUTE_PGM_RSRC2:TGID_Y_EN: 0
; COMPUTE_PGM_RSRC2:TGID_Z_EN: 0
; COMPUTE_PGM_RSRC2:TIDIG_COMP_CNT: 0
; COMPUTE_PGM_RSRC3_GFX90A:ACCUM_OFFSET: 0
; COMPUTE_PGM_RSRC3_GFX90A:TG_SPLIT: 0
	.section	.text._ZN7rocprim17ROCPRIM_400000_NS6detail44device_merge_sort_compile_time_verifier_archINS1_11comp_targetILNS1_3genE8ELNS1_11target_archE1030ELNS1_3gpuE2ELNS1_3repE0EEES8_NS1_28merge_sort_block_sort_configILj256ELj4ELNS0_20block_sort_algorithmE0EEENS0_14default_configENS1_37merge_sort_block_sort_config_selectorIiNS0_10empty_typeEEENS1_38merge_sort_block_merge_config_selectorIiSE_EEEEvv,"axG",@progbits,_ZN7rocprim17ROCPRIM_400000_NS6detail44device_merge_sort_compile_time_verifier_archINS1_11comp_targetILNS1_3genE8ELNS1_11target_archE1030ELNS1_3gpuE2ELNS1_3repE0EEES8_NS1_28merge_sort_block_sort_configILj256ELj4ELNS0_20block_sort_algorithmE0EEENS0_14default_configENS1_37merge_sort_block_sort_config_selectorIiNS0_10empty_typeEEENS1_38merge_sort_block_merge_config_selectorIiSE_EEEEvv,comdat
	.protected	_ZN7rocprim17ROCPRIM_400000_NS6detail44device_merge_sort_compile_time_verifier_archINS1_11comp_targetILNS1_3genE8ELNS1_11target_archE1030ELNS1_3gpuE2ELNS1_3repE0EEES8_NS1_28merge_sort_block_sort_configILj256ELj4ELNS0_20block_sort_algorithmE0EEENS0_14default_configENS1_37merge_sort_block_sort_config_selectorIiNS0_10empty_typeEEENS1_38merge_sort_block_merge_config_selectorIiSE_EEEEvv ; -- Begin function _ZN7rocprim17ROCPRIM_400000_NS6detail44device_merge_sort_compile_time_verifier_archINS1_11comp_targetILNS1_3genE8ELNS1_11target_archE1030ELNS1_3gpuE2ELNS1_3repE0EEES8_NS1_28merge_sort_block_sort_configILj256ELj4ELNS0_20block_sort_algorithmE0EEENS0_14default_configENS1_37merge_sort_block_sort_config_selectorIiNS0_10empty_typeEEENS1_38merge_sort_block_merge_config_selectorIiSE_EEEEvv
	.globl	_ZN7rocprim17ROCPRIM_400000_NS6detail44device_merge_sort_compile_time_verifier_archINS1_11comp_targetILNS1_3genE8ELNS1_11target_archE1030ELNS1_3gpuE2ELNS1_3repE0EEES8_NS1_28merge_sort_block_sort_configILj256ELj4ELNS0_20block_sort_algorithmE0EEENS0_14default_configENS1_37merge_sort_block_sort_config_selectorIiNS0_10empty_typeEEENS1_38merge_sort_block_merge_config_selectorIiSE_EEEEvv
	.p2align	8
	.type	_ZN7rocprim17ROCPRIM_400000_NS6detail44device_merge_sort_compile_time_verifier_archINS1_11comp_targetILNS1_3genE8ELNS1_11target_archE1030ELNS1_3gpuE2ELNS1_3repE0EEES8_NS1_28merge_sort_block_sort_configILj256ELj4ELNS0_20block_sort_algorithmE0EEENS0_14default_configENS1_37merge_sort_block_sort_config_selectorIiNS0_10empty_typeEEENS1_38merge_sort_block_merge_config_selectorIiSE_EEEEvv,@function
_ZN7rocprim17ROCPRIM_400000_NS6detail44device_merge_sort_compile_time_verifier_archINS1_11comp_targetILNS1_3genE8ELNS1_11target_archE1030ELNS1_3gpuE2ELNS1_3repE0EEES8_NS1_28merge_sort_block_sort_configILj256ELj4ELNS0_20block_sort_algorithmE0EEENS0_14default_configENS1_37merge_sort_block_sort_config_selectorIiNS0_10empty_typeEEENS1_38merge_sort_block_merge_config_selectorIiSE_EEEEvv: ; @_ZN7rocprim17ROCPRIM_400000_NS6detail44device_merge_sort_compile_time_verifier_archINS1_11comp_targetILNS1_3genE8ELNS1_11target_archE1030ELNS1_3gpuE2ELNS1_3repE0EEES8_NS1_28merge_sort_block_sort_configILj256ELj4ELNS0_20block_sort_algorithmE0EEENS0_14default_configENS1_37merge_sort_block_sort_config_selectorIiNS0_10empty_typeEEENS1_38merge_sort_block_merge_config_selectorIiSE_EEEEvv
; %bb.0:
	s_endpgm
	.section	.rodata,"a",@progbits
	.p2align	6, 0x0
	.amdhsa_kernel _ZN7rocprim17ROCPRIM_400000_NS6detail44device_merge_sort_compile_time_verifier_archINS1_11comp_targetILNS1_3genE8ELNS1_11target_archE1030ELNS1_3gpuE2ELNS1_3repE0EEES8_NS1_28merge_sort_block_sort_configILj256ELj4ELNS0_20block_sort_algorithmE0EEENS0_14default_configENS1_37merge_sort_block_sort_config_selectorIiNS0_10empty_typeEEENS1_38merge_sort_block_merge_config_selectorIiSE_EEEEvv
		.amdhsa_group_segment_fixed_size 0
		.amdhsa_private_segment_fixed_size 0
		.amdhsa_kernarg_size 0
		.amdhsa_user_sgpr_count 4
		.amdhsa_user_sgpr_private_segment_buffer 1
		.amdhsa_user_sgpr_dispatch_ptr 0
		.amdhsa_user_sgpr_queue_ptr 0
		.amdhsa_user_sgpr_kernarg_segment_ptr 0
		.amdhsa_user_sgpr_dispatch_id 0
		.amdhsa_user_sgpr_flat_scratch_init 0
		.amdhsa_user_sgpr_kernarg_preload_length 0
		.amdhsa_user_sgpr_kernarg_preload_offset 0
		.amdhsa_user_sgpr_private_segment_size 0
		.amdhsa_uses_dynamic_stack 0
		.amdhsa_system_sgpr_private_segment_wavefront_offset 0
		.amdhsa_system_sgpr_workgroup_id_x 1
		.amdhsa_system_sgpr_workgroup_id_y 0
		.amdhsa_system_sgpr_workgroup_id_z 0
		.amdhsa_system_sgpr_workgroup_info 0
		.amdhsa_system_vgpr_workitem_id 0
		.amdhsa_next_free_vgpr 1
		.amdhsa_next_free_sgpr 0
		.amdhsa_accum_offset 4
		.amdhsa_reserve_vcc 0
		.amdhsa_reserve_flat_scratch 0
		.amdhsa_float_round_mode_32 0
		.amdhsa_float_round_mode_16_64 0
		.amdhsa_float_denorm_mode_32 3
		.amdhsa_float_denorm_mode_16_64 3
		.amdhsa_dx10_clamp 1
		.amdhsa_ieee_mode 1
		.amdhsa_fp16_overflow 0
		.amdhsa_tg_split 0
		.amdhsa_exception_fp_ieee_invalid_op 0
		.amdhsa_exception_fp_denorm_src 0
		.amdhsa_exception_fp_ieee_div_zero 0
		.amdhsa_exception_fp_ieee_overflow 0
		.amdhsa_exception_fp_ieee_underflow 0
		.amdhsa_exception_fp_ieee_inexact 0
		.amdhsa_exception_int_div_zero 0
	.end_amdhsa_kernel
	.section	.text._ZN7rocprim17ROCPRIM_400000_NS6detail44device_merge_sort_compile_time_verifier_archINS1_11comp_targetILNS1_3genE8ELNS1_11target_archE1030ELNS1_3gpuE2ELNS1_3repE0EEES8_NS1_28merge_sort_block_sort_configILj256ELj4ELNS0_20block_sort_algorithmE0EEENS0_14default_configENS1_37merge_sort_block_sort_config_selectorIiNS0_10empty_typeEEENS1_38merge_sort_block_merge_config_selectorIiSE_EEEEvv,"axG",@progbits,_ZN7rocprim17ROCPRIM_400000_NS6detail44device_merge_sort_compile_time_verifier_archINS1_11comp_targetILNS1_3genE8ELNS1_11target_archE1030ELNS1_3gpuE2ELNS1_3repE0EEES8_NS1_28merge_sort_block_sort_configILj256ELj4ELNS0_20block_sort_algorithmE0EEENS0_14default_configENS1_37merge_sort_block_sort_config_selectorIiNS0_10empty_typeEEENS1_38merge_sort_block_merge_config_selectorIiSE_EEEEvv,comdat
.Lfunc_end1613:
	.size	_ZN7rocprim17ROCPRIM_400000_NS6detail44device_merge_sort_compile_time_verifier_archINS1_11comp_targetILNS1_3genE8ELNS1_11target_archE1030ELNS1_3gpuE2ELNS1_3repE0EEES8_NS1_28merge_sort_block_sort_configILj256ELj4ELNS0_20block_sort_algorithmE0EEENS0_14default_configENS1_37merge_sort_block_sort_config_selectorIiNS0_10empty_typeEEENS1_38merge_sort_block_merge_config_selectorIiSE_EEEEvv, .Lfunc_end1613-_ZN7rocprim17ROCPRIM_400000_NS6detail44device_merge_sort_compile_time_verifier_archINS1_11comp_targetILNS1_3genE8ELNS1_11target_archE1030ELNS1_3gpuE2ELNS1_3repE0EEES8_NS1_28merge_sort_block_sort_configILj256ELj4ELNS0_20block_sort_algorithmE0EEENS0_14default_configENS1_37merge_sort_block_sort_config_selectorIiNS0_10empty_typeEEENS1_38merge_sort_block_merge_config_selectorIiSE_EEEEvv
                                        ; -- End function
	.section	.AMDGPU.csdata,"",@progbits
; Kernel info:
; codeLenInByte = 4
; NumSgprs: 4
; NumVgprs: 0
; NumAgprs: 0
; TotalNumVgprs: 0
; ScratchSize: 0
; MemoryBound: 0
; FloatMode: 240
; IeeeMode: 1
; LDSByteSize: 0 bytes/workgroup (compile time only)
; SGPRBlocks: 0
; VGPRBlocks: 0
; NumSGPRsForWavesPerEU: 4
; NumVGPRsForWavesPerEU: 1
; AccumOffset: 4
; Occupancy: 8
; WaveLimiterHint : 0
; COMPUTE_PGM_RSRC2:SCRATCH_EN: 0
; COMPUTE_PGM_RSRC2:USER_SGPR: 4
; COMPUTE_PGM_RSRC2:TRAP_HANDLER: 0
; COMPUTE_PGM_RSRC2:TGID_X_EN: 1
; COMPUTE_PGM_RSRC2:TGID_Y_EN: 0
; COMPUTE_PGM_RSRC2:TGID_Z_EN: 0
; COMPUTE_PGM_RSRC2:TIDIG_COMP_CNT: 0
; COMPUTE_PGM_RSRC3_GFX90A:ACCUM_OFFSET: 0
; COMPUTE_PGM_RSRC3_GFX90A:TG_SPLIT: 0
	.section	.text._ZN7rocprim17ROCPRIM_400000_NS6detail17trampoline_kernelINS0_14default_configENS1_38merge_sort_block_merge_config_selectorIiNS0_10empty_typeEEEZZNS1_27merge_sort_block_merge_implIS3_N6thrust23THRUST_200600_302600_NS6detail15normal_iteratorINS9_10device_ptrIiEEEEPS5_jNS1_19radix_merge_compareILb0ELb0EiNS0_19identity_decomposerEEEEE10hipError_tT0_T1_T2_jT3_P12ihipStream_tbPNSt15iterator_traitsISK_E10value_typeEPNSQ_ISL_E10value_typeEPSM_NS1_7vsmem_tEENKUlT_SK_SL_SM_E_clIPiSE_SF_SF_EESJ_SZ_SK_SL_SM_EUlSZ_E_NS1_11comp_targetILNS1_3genE0ELNS1_11target_archE4294967295ELNS1_3gpuE0ELNS1_3repE0EEENS1_48merge_mergepath_partition_config_static_selectorELNS0_4arch9wavefront6targetE1EEEvSL_,"axG",@progbits,_ZN7rocprim17ROCPRIM_400000_NS6detail17trampoline_kernelINS0_14default_configENS1_38merge_sort_block_merge_config_selectorIiNS0_10empty_typeEEEZZNS1_27merge_sort_block_merge_implIS3_N6thrust23THRUST_200600_302600_NS6detail15normal_iteratorINS9_10device_ptrIiEEEEPS5_jNS1_19radix_merge_compareILb0ELb0EiNS0_19identity_decomposerEEEEE10hipError_tT0_T1_T2_jT3_P12ihipStream_tbPNSt15iterator_traitsISK_E10value_typeEPNSQ_ISL_E10value_typeEPSM_NS1_7vsmem_tEENKUlT_SK_SL_SM_E_clIPiSE_SF_SF_EESJ_SZ_SK_SL_SM_EUlSZ_E_NS1_11comp_targetILNS1_3genE0ELNS1_11target_archE4294967295ELNS1_3gpuE0ELNS1_3repE0EEENS1_48merge_mergepath_partition_config_static_selectorELNS0_4arch9wavefront6targetE1EEEvSL_,comdat
	.protected	_ZN7rocprim17ROCPRIM_400000_NS6detail17trampoline_kernelINS0_14default_configENS1_38merge_sort_block_merge_config_selectorIiNS0_10empty_typeEEEZZNS1_27merge_sort_block_merge_implIS3_N6thrust23THRUST_200600_302600_NS6detail15normal_iteratorINS9_10device_ptrIiEEEEPS5_jNS1_19radix_merge_compareILb0ELb0EiNS0_19identity_decomposerEEEEE10hipError_tT0_T1_T2_jT3_P12ihipStream_tbPNSt15iterator_traitsISK_E10value_typeEPNSQ_ISL_E10value_typeEPSM_NS1_7vsmem_tEENKUlT_SK_SL_SM_E_clIPiSE_SF_SF_EESJ_SZ_SK_SL_SM_EUlSZ_E_NS1_11comp_targetILNS1_3genE0ELNS1_11target_archE4294967295ELNS1_3gpuE0ELNS1_3repE0EEENS1_48merge_mergepath_partition_config_static_selectorELNS0_4arch9wavefront6targetE1EEEvSL_ ; -- Begin function _ZN7rocprim17ROCPRIM_400000_NS6detail17trampoline_kernelINS0_14default_configENS1_38merge_sort_block_merge_config_selectorIiNS0_10empty_typeEEEZZNS1_27merge_sort_block_merge_implIS3_N6thrust23THRUST_200600_302600_NS6detail15normal_iteratorINS9_10device_ptrIiEEEEPS5_jNS1_19radix_merge_compareILb0ELb0EiNS0_19identity_decomposerEEEEE10hipError_tT0_T1_T2_jT3_P12ihipStream_tbPNSt15iterator_traitsISK_E10value_typeEPNSQ_ISL_E10value_typeEPSM_NS1_7vsmem_tEENKUlT_SK_SL_SM_E_clIPiSE_SF_SF_EESJ_SZ_SK_SL_SM_EUlSZ_E_NS1_11comp_targetILNS1_3genE0ELNS1_11target_archE4294967295ELNS1_3gpuE0ELNS1_3repE0EEENS1_48merge_mergepath_partition_config_static_selectorELNS0_4arch9wavefront6targetE1EEEvSL_
	.globl	_ZN7rocprim17ROCPRIM_400000_NS6detail17trampoline_kernelINS0_14default_configENS1_38merge_sort_block_merge_config_selectorIiNS0_10empty_typeEEEZZNS1_27merge_sort_block_merge_implIS3_N6thrust23THRUST_200600_302600_NS6detail15normal_iteratorINS9_10device_ptrIiEEEEPS5_jNS1_19radix_merge_compareILb0ELb0EiNS0_19identity_decomposerEEEEE10hipError_tT0_T1_T2_jT3_P12ihipStream_tbPNSt15iterator_traitsISK_E10value_typeEPNSQ_ISL_E10value_typeEPSM_NS1_7vsmem_tEENKUlT_SK_SL_SM_E_clIPiSE_SF_SF_EESJ_SZ_SK_SL_SM_EUlSZ_E_NS1_11comp_targetILNS1_3genE0ELNS1_11target_archE4294967295ELNS1_3gpuE0ELNS1_3repE0EEENS1_48merge_mergepath_partition_config_static_selectorELNS0_4arch9wavefront6targetE1EEEvSL_
	.p2align	8
	.type	_ZN7rocprim17ROCPRIM_400000_NS6detail17trampoline_kernelINS0_14default_configENS1_38merge_sort_block_merge_config_selectorIiNS0_10empty_typeEEEZZNS1_27merge_sort_block_merge_implIS3_N6thrust23THRUST_200600_302600_NS6detail15normal_iteratorINS9_10device_ptrIiEEEEPS5_jNS1_19radix_merge_compareILb0ELb0EiNS0_19identity_decomposerEEEEE10hipError_tT0_T1_T2_jT3_P12ihipStream_tbPNSt15iterator_traitsISK_E10value_typeEPNSQ_ISL_E10value_typeEPSM_NS1_7vsmem_tEENKUlT_SK_SL_SM_E_clIPiSE_SF_SF_EESJ_SZ_SK_SL_SM_EUlSZ_E_NS1_11comp_targetILNS1_3genE0ELNS1_11target_archE4294967295ELNS1_3gpuE0ELNS1_3repE0EEENS1_48merge_mergepath_partition_config_static_selectorELNS0_4arch9wavefront6targetE1EEEvSL_,@function
_ZN7rocprim17ROCPRIM_400000_NS6detail17trampoline_kernelINS0_14default_configENS1_38merge_sort_block_merge_config_selectorIiNS0_10empty_typeEEEZZNS1_27merge_sort_block_merge_implIS3_N6thrust23THRUST_200600_302600_NS6detail15normal_iteratorINS9_10device_ptrIiEEEEPS5_jNS1_19radix_merge_compareILb0ELb0EiNS0_19identity_decomposerEEEEE10hipError_tT0_T1_T2_jT3_P12ihipStream_tbPNSt15iterator_traitsISK_E10value_typeEPNSQ_ISL_E10value_typeEPSM_NS1_7vsmem_tEENKUlT_SK_SL_SM_E_clIPiSE_SF_SF_EESJ_SZ_SK_SL_SM_EUlSZ_E_NS1_11comp_targetILNS1_3genE0ELNS1_11target_archE4294967295ELNS1_3gpuE0ELNS1_3repE0EEENS1_48merge_mergepath_partition_config_static_selectorELNS0_4arch9wavefront6targetE1EEEvSL_: ; @_ZN7rocprim17ROCPRIM_400000_NS6detail17trampoline_kernelINS0_14default_configENS1_38merge_sort_block_merge_config_selectorIiNS0_10empty_typeEEEZZNS1_27merge_sort_block_merge_implIS3_N6thrust23THRUST_200600_302600_NS6detail15normal_iteratorINS9_10device_ptrIiEEEEPS5_jNS1_19radix_merge_compareILb0ELb0EiNS0_19identity_decomposerEEEEE10hipError_tT0_T1_T2_jT3_P12ihipStream_tbPNSt15iterator_traitsISK_E10value_typeEPNSQ_ISL_E10value_typeEPSM_NS1_7vsmem_tEENKUlT_SK_SL_SM_E_clIPiSE_SF_SF_EESJ_SZ_SK_SL_SM_EUlSZ_E_NS1_11comp_targetILNS1_3genE0ELNS1_11target_archE4294967295ELNS1_3gpuE0ELNS1_3repE0EEENS1_48merge_mergepath_partition_config_static_selectorELNS0_4arch9wavefront6targetE1EEEvSL_
; %bb.0:
	.section	.rodata,"a",@progbits
	.p2align	6, 0x0
	.amdhsa_kernel _ZN7rocprim17ROCPRIM_400000_NS6detail17trampoline_kernelINS0_14default_configENS1_38merge_sort_block_merge_config_selectorIiNS0_10empty_typeEEEZZNS1_27merge_sort_block_merge_implIS3_N6thrust23THRUST_200600_302600_NS6detail15normal_iteratorINS9_10device_ptrIiEEEEPS5_jNS1_19radix_merge_compareILb0ELb0EiNS0_19identity_decomposerEEEEE10hipError_tT0_T1_T2_jT3_P12ihipStream_tbPNSt15iterator_traitsISK_E10value_typeEPNSQ_ISL_E10value_typeEPSM_NS1_7vsmem_tEENKUlT_SK_SL_SM_E_clIPiSE_SF_SF_EESJ_SZ_SK_SL_SM_EUlSZ_E_NS1_11comp_targetILNS1_3genE0ELNS1_11target_archE4294967295ELNS1_3gpuE0ELNS1_3repE0EEENS1_48merge_mergepath_partition_config_static_selectorELNS0_4arch9wavefront6targetE1EEEvSL_
		.amdhsa_group_segment_fixed_size 0
		.amdhsa_private_segment_fixed_size 0
		.amdhsa_kernarg_size 40
		.amdhsa_user_sgpr_count 6
		.amdhsa_user_sgpr_private_segment_buffer 1
		.amdhsa_user_sgpr_dispatch_ptr 0
		.amdhsa_user_sgpr_queue_ptr 0
		.amdhsa_user_sgpr_kernarg_segment_ptr 1
		.amdhsa_user_sgpr_dispatch_id 0
		.amdhsa_user_sgpr_flat_scratch_init 0
		.amdhsa_user_sgpr_kernarg_preload_length 0
		.amdhsa_user_sgpr_kernarg_preload_offset 0
		.amdhsa_user_sgpr_private_segment_size 0
		.amdhsa_uses_dynamic_stack 0
		.amdhsa_system_sgpr_private_segment_wavefront_offset 0
		.amdhsa_system_sgpr_workgroup_id_x 1
		.amdhsa_system_sgpr_workgroup_id_y 0
		.amdhsa_system_sgpr_workgroup_id_z 0
		.amdhsa_system_sgpr_workgroup_info 0
		.amdhsa_system_vgpr_workitem_id 0
		.amdhsa_next_free_vgpr 1
		.amdhsa_next_free_sgpr 0
		.amdhsa_accum_offset 4
		.amdhsa_reserve_vcc 0
		.amdhsa_reserve_flat_scratch 0
		.amdhsa_float_round_mode_32 0
		.amdhsa_float_round_mode_16_64 0
		.amdhsa_float_denorm_mode_32 3
		.amdhsa_float_denorm_mode_16_64 3
		.amdhsa_dx10_clamp 1
		.amdhsa_ieee_mode 1
		.amdhsa_fp16_overflow 0
		.amdhsa_tg_split 0
		.amdhsa_exception_fp_ieee_invalid_op 0
		.amdhsa_exception_fp_denorm_src 0
		.amdhsa_exception_fp_ieee_div_zero 0
		.amdhsa_exception_fp_ieee_overflow 0
		.amdhsa_exception_fp_ieee_underflow 0
		.amdhsa_exception_fp_ieee_inexact 0
		.amdhsa_exception_int_div_zero 0
	.end_amdhsa_kernel
	.section	.text._ZN7rocprim17ROCPRIM_400000_NS6detail17trampoline_kernelINS0_14default_configENS1_38merge_sort_block_merge_config_selectorIiNS0_10empty_typeEEEZZNS1_27merge_sort_block_merge_implIS3_N6thrust23THRUST_200600_302600_NS6detail15normal_iteratorINS9_10device_ptrIiEEEEPS5_jNS1_19radix_merge_compareILb0ELb0EiNS0_19identity_decomposerEEEEE10hipError_tT0_T1_T2_jT3_P12ihipStream_tbPNSt15iterator_traitsISK_E10value_typeEPNSQ_ISL_E10value_typeEPSM_NS1_7vsmem_tEENKUlT_SK_SL_SM_E_clIPiSE_SF_SF_EESJ_SZ_SK_SL_SM_EUlSZ_E_NS1_11comp_targetILNS1_3genE0ELNS1_11target_archE4294967295ELNS1_3gpuE0ELNS1_3repE0EEENS1_48merge_mergepath_partition_config_static_selectorELNS0_4arch9wavefront6targetE1EEEvSL_,"axG",@progbits,_ZN7rocprim17ROCPRIM_400000_NS6detail17trampoline_kernelINS0_14default_configENS1_38merge_sort_block_merge_config_selectorIiNS0_10empty_typeEEEZZNS1_27merge_sort_block_merge_implIS3_N6thrust23THRUST_200600_302600_NS6detail15normal_iteratorINS9_10device_ptrIiEEEEPS5_jNS1_19radix_merge_compareILb0ELb0EiNS0_19identity_decomposerEEEEE10hipError_tT0_T1_T2_jT3_P12ihipStream_tbPNSt15iterator_traitsISK_E10value_typeEPNSQ_ISL_E10value_typeEPSM_NS1_7vsmem_tEENKUlT_SK_SL_SM_E_clIPiSE_SF_SF_EESJ_SZ_SK_SL_SM_EUlSZ_E_NS1_11comp_targetILNS1_3genE0ELNS1_11target_archE4294967295ELNS1_3gpuE0ELNS1_3repE0EEENS1_48merge_mergepath_partition_config_static_selectorELNS0_4arch9wavefront6targetE1EEEvSL_,comdat
.Lfunc_end1614:
	.size	_ZN7rocprim17ROCPRIM_400000_NS6detail17trampoline_kernelINS0_14default_configENS1_38merge_sort_block_merge_config_selectorIiNS0_10empty_typeEEEZZNS1_27merge_sort_block_merge_implIS3_N6thrust23THRUST_200600_302600_NS6detail15normal_iteratorINS9_10device_ptrIiEEEEPS5_jNS1_19radix_merge_compareILb0ELb0EiNS0_19identity_decomposerEEEEE10hipError_tT0_T1_T2_jT3_P12ihipStream_tbPNSt15iterator_traitsISK_E10value_typeEPNSQ_ISL_E10value_typeEPSM_NS1_7vsmem_tEENKUlT_SK_SL_SM_E_clIPiSE_SF_SF_EESJ_SZ_SK_SL_SM_EUlSZ_E_NS1_11comp_targetILNS1_3genE0ELNS1_11target_archE4294967295ELNS1_3gpuE0ELNS1_3repE0EEENS1_48merge_mergepath_partition_config_static_selectorELNS0_4arch9wavefront6targetE1EEEvSL_, .Lfunc_end1614-_ZN7rocprim17ROCPRIM_400000_NS6detail17trampoline_kernelINS0_14default_configENS1_38merge_sort_block_merge_config_selectorIiNS0_10empty_typeEEEZZNS1_27merge_sort_block_merge_implIS3_N6thrust23THRUST_200600_302600_NS6detail15normal_iteratorINS9_10device_ptrIiEEEEPS5_jNS1_19radix_merge_compareILb0ELb0EiNS0_19identity_decomposerEEEEE10hipError_tT0_T1_T2_jT3_P12ihipStream_tbPNSt15iterator_traitsISK_E10value_typeEPNSQ_ISL_E10value_typeEPSM_NS1_7vsmem_tEENKUlT_SK_SL_SM_E_clIPiSE_SF_SF_EESJ_SZ_SK_SL_SM_EUlSZ_E_NS1_11comp_targetILNS1_3genE0ELNS1_11target_archE4294967295ELNS1_3gpuE0ELNS1_3repE0EEENS1_48merge_mergepath_partition_config_static_selectorELNS0_4arch9wavefront6targetE1EEEvSL_
                                        ; -- End function
	.section	.AMDGPU.csdata,"",@progbits
; Kernel info:
; codeLenInByte = 0
; NumSgprs: 4
; NumVgprs: 0
; NumAgprs: 0
; TotalNumVgprs: 0
; ScratchSize: 0
; MemoryBound: 0
; FloatMode: 240
; IeeeMode: 1
; LDSByteSize: 0 bytes/workgroup (compile time only)
; SGPRBlocks: 0
; VGPRBlocks: 0
; NumSGPRsForWavesPerEU: 4
; NumVGPRsForWavesPerEU: 1
; AccumOffset: 4
; Occupancy: 8
; WaveLimiterHint : 0
; COMPUTE_PGM_RSRC2:SCRATCH_EN: 0
; COMPUTE_PGM_RSRC2:USER_SGPR: 6
; COMPUTE_PGM_RSRC2:TRAP_HANDLER: 0
; COMPUTE_PGM_RSRC2:TGID_X_EN: 1
; COMPUTE_PGM_RSRC2:TGID_Y_EN: 0
; COMPUTE_PGM_RSRC2:TGID_Z_EN: 0
; COMPUTE_PGM_RSRC2:TIDIG_COMP_CNT: 0
; COMPUTE_PGM_RSRC3_GFX90A:ACCUM_OFFSET: 0
; COMPUTE_PGM_RSRC3_GFX90A:TG_SPLIT: 0
	.section	.text._ZN7rocprim17ROCPRIM_400000_NS6detail17trampoline_kernelINS0_14default_configENS1_38merge_sort_block_merge_config_selectorIiNS0_10empty_typeEEEZZNS1_27merge_sort_block_merge_implIS3_N6thrust23THRUST_200600_302600_NS6detail15normal_iteratorINS9_10device_ptrIiEEEEPS5_jNS1_19radix_merge_compareILb0ELb0EiNS0_19identity_decomposerEEEEE10hipError_tT0_T1_T2_jT3_P12ihipStream_tbPNSt15iterator_traitsISK_E10value_typeEPNSQ_ISL_E10value_typeEPSM_NS1_7vsmem_tEENKUlT_SK_SL_SM_E_clIPiSE_SF_SF_EESJ_SZ_SK_SL_SM_EUlSZ_E_NS1_11comp_targetILNS1_3genE10ELNS1_11target_archE1201ELNS1_3gpuE5ELNS1_3repE0EEENS1_48merge_mergepath_partition_config_static_selectorELNS0_4arch9wavefront6targetE1EEEvSL_,"axG",@progbits,_ZN7rocprim17ROCPRIM_400000_NS6detail17trampoline_kernelINS0_14default_configENS1_38merge_sort_block_merge_config_selectorIiNS0_10empty_typeEEEZZNS1_27merge_sort_block_merge_implIS3_N6thrust23THRUST_200600_302600_NS6detail15normal_iteratorINS9_10device_ptrIiEEEEPS5_jNS1_19radix_merge_compareILb0ELb0EiNS0_19identity_decomposerEEEEE10hipError_tT0_T1_T2_jT3_P12ihipStream_tbPNSt15iterator_traitsISK_E10value_typeEPNSQ_ISL_E10value_typeEPSM_NS1_7vsmem_tEENKUlT_SK_SL_SM_E_clIPiSE_SF_SF_EESJ_SZ_SK_SL_SM_EUlSZ_E_NS1_11comp_targetILNS1_3genE10ELNS1_11target_archE1201ELNS1_3gpuE5ELNS1_3repE0EEENS1_48merge_mergepath_partition_config_static_selectorELNS0_4arch9wavefront6targetE1EEEvSL_,comdat
	.protected	_ZN7rocprim17ROCPRIM_400000_NS6detail17trampoline_kernelINS0_14default_configENS1_38merge_sort_block_merge_config_selectorIiNS0_10empty_typeEEEZZNS1_27merge_sort_block_merge_implIS3_N6thrust23THRUST_200600_302600_NS6detail15normal_iteratorINS9_10device_ptrIiEEEEPS5_jNS1_19radix_merge_compareILb0ELb0EiNS0_19identity_decomposerEEEEE10hipError_tT0_T1_T2_jT3_P12ihipStream_tbPNSt15iterator_traitsISK_E10value_typeEPNSQ_ISL_E10value_typeEPSM_NS1_7vsmem_tEENKUlT_SK_SL_SM_E_clIPiSE_SF_SF_EESJ_SZ_SK_SL_SM_EUlSZ_E_NS1_11comp_targetILNS1_3genE10ELNS1_11target_archE1201ELNS1_3gpuE5ELNS1_3repE0EEENS1_48merge_mergepath_partition_config_static_selectorELNS0_4arch9wavefront6targetE1EEEvSL_ ; -- Begin function _ZN7rocprim17ROCPRIM_400000_NS6detail17trampoline_kernelINS0_14default_configENS1_38merge_sort_block_merge_config_selectorIiNS0_10empty_typeEEEZZNS1_27merge_sort_block_merge_implIS3_N6thrust23THRUST_200600_302600_NS6detail15normal_iteratorINS9_10device_ptrIiEEEEPS5_jNS1_19radix_merge_compareILb0ELb0EiNS0_19identity_decomposerEEEEE10hipError_tT0_T1_T2_jT3_P12ihipStream_tbPNSt15iterator_traitsISK_E10value_typeEPNSQ_ISL_E10value_typeEPSM_NS1_7vsmem_tEENKUlT_SK_SL_SM_E_clIPiSE_SF_SF_EESJ_SZ_SK_SL_SM_EUlSZ_E_NS1_11comp_targetILNS1_3genE10ELNS1_11target_archE1201ELNS1_3gpuE5ELNS1_3repE0EEENS1_48merge_mergepath_partition_config_static_selectorELNS0_4arch9wavefront6targetE1EEEvSL_
	.globl	_ZN7rocprim17ROCPRIM_400000_NS6detail17trampoline_kernelINS0_14default_configENS1_38merge_sort_block_merge_config_selectorIiNS0_10empty_typeEEEZZNS1_27merge_sort_block_merge_implIS3_N6thrust23THRUST_200600_302600_NS6detail15normal_iteratorINS9_10device_ptrIiEEEEPS5_jNS1_19radix_merge_compareILb0ELb0EiNS0_19identity_decomposerEEEEE10hipError_tT0_T1_T2_jT3_P12ihipStream_tbPNSt15iterator_traitsISK_E10value_typeEPNSQ_ISL_E10value_typeEPSM_NS1_7vsmem_tEENKUlT_SK_SL_SM_E_clIPiSE_SF_SF_EESJ_SZ_SK_SL_SM_EUlSZ_E_NS1_11comp_targetILNS1_3genE10ELNS1_11target_archE1201ELNS1_3gpuE5ELNS1_3repE0EEENS1_48merge_mergepath_partition_config_static_selectorELNS0_4arch9wavefront6targetE1EEEvSL_
	.p2align	8
	.type	_ZN7rocprim17ROCPRIM_400000_NS6detail17trampoline_kernelINS0_14default_configENS1_38merge_sort_block_merge_config_selectorIiNS0_10empty_typeEEEZZNS1_27merge_sort_block_merge_implIS3_N6thrust23THRUST_200600_302600_NS6detail15normal_iteratorINS9_10device_ptrIiEEEEPS5_jNS1_19radix_merge_compareILb0ELb0EiNS0_19identity_decomposerEEEEE10hipError_tT0_T1_T2_jT3_P12ihipStream_tbPNSt15iterator_traitsISK_E10value_typeEPNSQ_ISL_E10value_typeEPSM_NS1_7vsmem_tEENKUlT_SK_SL_SM_E_clIPiSE_SF_SF_EESJ_SZ_SK_SL_SM_EUlSZ_E_NS1_11comp_targetILNS1_3genE10ELNS1_11target_archE1201ELNS1_3gpuE5ELNS1_3repE0EEENS1_48merge_mergepath_partition_config_static_selectorELNS0_4arch9wavefront6targetE1EEEvSL_,@function
_ZN7rocprim17ROCPRIM_400000_NS6detail17trampoline_kernelINS0_14default_configENS1_38merge_sort_block_merge_config_selectorIiNS0_10empty_typeEEEZZNS1_27merge_sort_block_merge_implIS3_N6thrust23THRUST_200600_302600_NS6detail15normal_iteratorINS9_10device_ptrIiEEEEPS5_jNS1_19radix_merge_compareILb0ELb0EiNS0_19identity_decomposerEEEEE10hipError_tT0_T1_T2_jT3_P12ihipStream_tbPNSt15iterator_traitsISK_E10value_typeEPNSQ_ISL_E10value_typeEPSM_NS1_7vsmem_tEENKUlT_SK_SL_SM_E_clIPiSE_SF_SF_EESJ_SZ_SK_SL_SM_EUlSZ_E_NS1_11comp_targetILNS1_3genE10ELNS1_11target_archE1201ELNS1_3gpuE5ELNS1_3repE0EEENS1_48merge_mergepath_partition_config_static_selectorELNS0_4arch9wavefront6targetE1EEEvSL_: ; @_ZN7rocprim17ROCPRIM_400000_NS6detail17trampoline_kernelINS0_14default_configENS1_38merge_sort_block_merge_config_selectorIiNS0_10empty_typeEEEZZNS1_27merge_sort_block_merge_implIS3_N6thrust23THRUST_200600_302600_NS6detail15normal_iteratorINS9_10device_ptrIiEEEEPS5_jNS1_19radix_merge_compareILb0ELb0EiNS0_19identity_decomposerEEEEE10hipError_tT0_T1_T2_jT3_P12ihipStream_tbPNSt15iterator_traitsISK_E10value_typeEPNSQ_ISL_E10value_typeEPSM_NS1_7vsmem_tEENKUlT_SK_SL_SM_E_clIPiSE_SF_SF_EESJ_SZ_SK_SL_SM_EUlSZ_E_NS1_11comp_targetILNS1_3genE10ELNS1_11target_archE1201ELNS1_3gpuE5ELNS1_3repE0EEENS1_48merge_mergepath_partition_config_static_selectorELNS0_4arch9wavefront6targetE1EEEvSL_
; %bb.0:
	.section	.rodata,"a",@progbits
	.p2align	6, 0x0
	.amdhsa_kernel _ZN7rocprim17ROCPRIM_400000_NS6detail17trampoline_kernelINS0_14default_configENS1_38merge_sort_block_merge_config_selectorIiNS0_10empty_typeEEEZZNS1_27merge_sort_block_merge_implIS3_N6thrust23THRUST_200600_302600_NS6detail15normal_iteratorINS9_10device_ptrIiEEEEPS5_jNS1_19radix_merge_compareILb0ELb0EiNS0_19identity_decomposerEEEEE10hipError_tT0_T1_T2_jT3_P12ihipStream_tbPNSt15iterator_traitsISK_E10value_typeEPNSQ_ISL_E10value_typeEPSM_NS1_7vsmem_tEENKUlT_SK_SL_SM_E_clIPiSE_SF_SF_EESJ_SZ_SK_SL_SM_EUlSZ_E_NS1_11comp_targetILNS1_3genE10ELNS1_11target_archE1201ELNS1_3gpuE5ELNS1_3repE0EEENS1_48merge_mergepath_partition_config_static_selectorELNS0_4arch9wavefront6targetE1EEEvSL_
		.amdhsa_group_segment_fixed_size 0
		.amdhsa_private_segment_fixed_size 0
		.amdhsa_kernarg_size 40
		.amdhsa_user_sgpr_count 6
		.amdhsa_user_sgpr_private_segment_buffer 1
		.amdhsa_user_sgpr_dispatch_ptr 0
		.amdhsa_user_sgpr_queue_ptr 0
		.amdhsa_user_sgpr_kernarg_segment_ptr 1
		.amdhsa_user_sgpr_dispatch_id 0
		.amdhsa_user_sgpr_flat_scratch_init 0
		.amdhsa_user_sgpr_kernarg_preload_length 0
		.amdhsa_user_sgpr_kernarg_preload_offset 0
		.amdhsa_user_sgpr_private_segment_size 0
		.amdhsa_uses_dynamic_stack 0
		.amdhsa_system_sgpr_private_segment_wavefront_offset 0
		.amdhsa_system_sgpr_workgroup_id_x 1
		.amdhsa_system_sgpr_workgroup_id_y 0
		.amdhsa_system_sgpr_workgroup_id_z 0
		.amdhsa_system_sgpr_workgroup_info 0
		.amdhsa_system_vgpr_workitem_id 0
		.amdhsa_next_free_vgpr 1
		.amdhsa_next_free_sgpr 0
		.amdhsa_accum_offset 4
		.amdhsa_reserve_vcc 0
		.amdhsa_reserve_flat_scratch 0
		.amdhsa_float_round_mode_32 0
		.amdhsa_float_round_mode_16_64 0
		.amdhsa_float_denorm_mode_32 3
		.amdhsa_float_denorm_mode_16_64 3
		.amdhsa_dx10_clamp 1
		.amdhsa_ieee_mode 1
		.amdhsa_fp16_overflow 0
		.amdhsa_tg_split 0
		.amdhsa_exception_fp_ieee_invalid_op 0
		.amdhsa_exception_fp_denorm_src 0
		.amdhsa_exception_fp_ieee_div_zero 0
		.amdhsa_exception_fp_ieee_overflow 0
		.amdhsa_exception_fp_ieee_underflow 0
		.amdhsa_exception_fp_ieee_inexact 0
		.amdhsa_exception_int_div_zero 0
	.end_amdhsa_kernel
	.section	.text._ZN7rocprim17ROCPRIM_400000_NS6detail17trampoline_kernelINS0_14default_configENS1_38merge_sort_block_merge_config_selectorIiNS0_10empty_typeEEEZZNS1_27merge_sort_block_merge_implIS3_N6thrust23THRUST_200600_302600_NS6detail15normal_iteratorINS9_10device_ptrIiEEEEPS5_jNS1_19radix_merge_compareILb0ELb0EiNS0_19identity_decomposerEEEEE10hipError_tT0_T1_T2_jT3_P12ihipStream_tbPNSt15iterator_traitsISK_E10value_typeEPNSQ_ISL_E10value_typeEPSM_NS1_7vsmem_tEENKUlT_SK_SL_SM_E_clIPiSE_SF_SF_EESJ_SZ_SK_SL_SM_EUlSZ_E_NS1_11comp_targetILNS1_3genE10ELNS1_11target_archE1201ELNS1_3gpuE5ELNS1_3repE0EEENS1_48merge_mergepath_partition_config_static_selectorELNS0_4arch9wavefront6targetE1EEEvSL_,"axG",@progbits,_ZN7rocprim17ROCPRIM_400000_NS6detail17trampoline_kernelINS0_14default_configENS1_38merge_sort_block_merge_config_selectorIiNS0_10empty_typeEEEZZNS1_27merge_sort_block_merge_implIS3_N6thrust23THRUST_200600_302600_NS6detail15normal_iteratorINS9_10device_ptrIiEEEEPS5_jNS1_19radix_merge_compareILb0ELb0EiNS0_19identity_decomposerEEEEE10hipError_tT0_T1_T2_jT3_P12ihipStream_tbPNSt15iterator_traitsISK_E10value_typeEPNSQ_ISL_E10value_typeEPSM_NS1_7vsmem_tEENKUlT_SK_SL_SM_E_clIPiSE_SF_SF_EESJ_SZ_SK_SL_SM_EUlSZ_E_NS1_11comp_targetILNS1_3genE10ELNS1_11target_archE1201ELNS1_3gpuE5ELNS1_3repE0EEENS1_48merge_mergepath_partition_config_static_selectorELNS0_4arch9wavefront6targetE1EEEvSL_,comdat
.Lfunc_end1615:
	.size	_ZN7rocprim17ROCPRIM_400000_NS6detail17trampoline_kernelINS0_14default_configENS1_38merge_sort_block_merge_config_selectorIiNS0_10empty_typeEEEZZNS1_27merge_sort_block_merge_implIS3_N6thrust23THRUST_200600_302600_NS6detail15normal_iteratorINS9_10device_ptrIiEEEEPS5_jNS1_19radix_merge_compareILb0ELb0EiNS0_19identity_decomposerEEEEE10hipError_tT0_T1_T2_jT3_P12ihipStream_tbPNSt15iterator_traitsISK_E10value_typeEPNSQ_ISL_E10value_typeEPSM_NS1_7vsmem_tEENKUlT_SK_SL_SM_E_clIPiSE_SF_SF_EESJ_SZ_SK_SL_SM_EUlSZ_E_NS1_11comp_targetILNS1_3genE10ELNS1_11target_archE1201ELNS1_3gpuE5ELNS1_3repE0EEENS1_48merge_mergepath_partition_config_static_selectorELNS0_4arch9wavefront6targetE1EEEvSL_, .Lfunc_end1615-_ZN7rocprim17ROCPRIM_400000_NS6detail17trampoline_kernelINS0_14default_configENS1_38merge_sort_block_merge_config_selectorIiNS0_10empty_typeEEEZZNS1_27merge_sort_block_merge_implIS3_N6thrust23THRUST_200600_302600_NS6detail15normal_iteratorINS9_10device_ptrIiEEEEPS5_jNS1_19radix_merge_compareILb0ELb0EiNS0_19identity_decomposerEEEEE10hipError_tT0_T1_T2_jT3_P12ihipStream_tbPNSt15iterator_traitsISK_E10value_typeEPNSQ_ISL_E10value_typeEPSM_NS1_7vsmem_tEENKUlT_SK_SL_SM_E_clIPiSE_SF_SF_EESJ_SZ_SK_SL_SM_EUlSZ_E_NS1_11comp_targetILNS1_3genE10ELNS1_11target_archE1201ELNS1_3gpuE5ELNS1_3repE0EEENS1_48merge_mergepath_partition_config_static_selectorELNS0_4arch9wavefront6targetE1EEEvSL_
                                        ; -- End function
	.section	.AMDGPU.csdata,"",@progbits
; Kernel info:
; codeLenInByte = 0
; NumSgprs: 4
; NumVgprs: 0
; NumAgprs: 0
; TotalNumVgprs: 0
; ScratchSize: 0
; MemoryBound: 0
; FloatMode: 240
; IeeeMode: 1
; LDSByteSize: 0 bytes/workgroup (compile time only)
; SGPRBlocks: 0
; VGPRBlocks: 0
; NumSGPRsForWavesPerEU: 4
; NumVGPRsForWavesPerEU: 1
; AccumOffset: 4
; Occupancy: 8
; WaveLimiterHint : 0
; COMPUTE_PGM_RSRC2:SCRATCH_EN: 0
; COMPUTE_PGM_RSRC2:USER_SGPR: 6
; COMPUTE_PGM_RSRC2:TRAP_HANDLER: 0
; COMPUTE_PGM_RSRC2:TGID_X_EN: 1
; COMPUTE_PGM_RSRC2:TGID_Y_EN: 0
; COMPUTE_PGM_RSRC2:TGID_Z_EN: 0
; COMPUTE_PGM_RSRC2:TIDIG_COMP_CNT: 0
; COMPUTE_PGM_RSRC3_GFX90A:ACCUM_OFFSET: 0
; COMPUTE_PGM_RSRC3_GFX90A:TG_SPLIT: 0
	.section	.text._ZN7rocprim17ROCPRIM_400000_NS6detail17trampoline_kernelINS0_14default_configENS1_38merge_sort_block_merge_config_selectorIiNS0_10empty_typeEEEZZNS1_27merge_sort_block_merge_implIS3_N6thrust23THRUST_200600_302600_NS6detail15normal_iteratorINS9_10device_ptrIiEEEEPS5_jNS1_19radix_merge_compareILb0ELb0EiNS0_19identity_decomposerEEEEE10hipError_tT0_T1_T2_jT3_P12ihipStream_tbPNSt15iterator_traitsISK_E10value_typeEPNSQ_ISL_E10value_typeEPSM_NS1_7vsmem_tEENKUlT_SK_SL_SM_E_clIPiSE_SF_SF_EESJ_SZ_SK_SL_SM_EUlSZ_E_NS1_11comp_targetILNS1_3genE5ELNS1_11target_archE942ELNS1_3gpuE9ELNS1_3repE0EEENS1_48merge_mergepath_partition_config_static_selectorELNS0_4arch9wavefront6targetE1EEEvSL_,"axG",@progbits,_ZN7rocprim17ROCPRIM_400000_NS6detail17trampoline_kernelINS0_14default_configENS1_38merge_sort_block_merge_config_selectorIiNS0_10empty_typeEEEZZNS1_27merge_sort_block_merge_implIS3_N6thrust23THRUST_200600_302600_NS6detail15normal_iteratorINS9_10device_ptrIiEEEEPS5_jNS1_19radix_merge_compareILb0ELb0EiNS0_19identity_decomposerEEEEE10hipError_tT0_T1_T2_jT3_P12ihipStream_tbPNSt15iterator_traitsISK_E10value_typeEPNSQ_ISL_E10value_typeEPSM_NS1_7vsmem_tEENKUlT_SK_SL_SM_E_clIPiSE_SF_SF_EESJ_SZ_SK_SL_SM_EUlSZ_E_NS1_11comp_targetILNS1_3genE5ELNS1_11target_archE942ELNS1_3gpuE9ELNS1_3repE0EEENS1_48merge_mergepath_partition_config_static_selectorELNS0_4arch9wavefront6targetE1EEEvSL_,comdat
	.protected	_ZN7rocprim17ROCPRIM_400000_NS6detail17trampoline_kernelINS0_14default_configENS1_38merge_sort_block_merge_config_selectorIiNS0_10empty_typeEEEZZNS1_27merge_sort_block_merge_implIS3_N6thrust23THRUST_200600_302600_NS6detail15normal_iteratorINS9_10device_ptrIiEEEEPS5_jNS1_19radix_merge_compareILb0ELb0EiNS0_19identity_decomposerEEEEE10hipError_tT0_T1_T2_jT3_P12ihipStream_tbPNSt15iterator_traitsISK_E10value_typeEPNSQ_ISL_E10value_typeEPSM_NS1_7vsmem_tEENKUlT_SK_SL_SM_E_clIPiSE_SF_SF_EESJ_SZ_SK_SL_SM_EUlSZ_E_NS1_11comp_targetILNS1_3genE5ELNS1_11target_archE942ELNS1_3gpuE9ELNS1_3repE0EEENS1_48merge_mergepath_partition_config_static_selectorELNS0_4arch9wavefront6targetE1EEEvSL_ ; -- Begin function _ZN7rocprim17ROCPRIM_400000_NS6detail17trampoline_kernelINS0_14default_configENS1_38merge_sort_block_merge_config_selectorIiNS0_10empty_typeEEEZZNS1_27merge_sort_block_merge_implIS3_N6thrust23THRUST_200600_302600_NS6detail15normal_iteratorINS9_10device_ptrIiEEEEPS5_jNS1_19radix_merge_compareILb0ELb0EiNS0_19identity_decomposerEEEEE10hipError_tT0_T1_T2_jT3_P12ihipStream_tbPNSt15iterator_traitsISK_E10value_typeEPNSQ_ISL_E10value_typeEPSM_NS1_7vsmem_tEENKUlT_SK_SL_SM_E_clIPiSE_SF_SF_EESJ_SZ_SK_SL_SM_EUlSZ_E_NS1_11comp_targetILNS1_3genE5ELNS1_11target_archE942ELNS1_3gpuE9ELNS1_3repE0EEENS1_48merge_mergepath_partition_config_static_selectorELNS0_4arch9wavefront6targetE1EEEvSL_
	.globl	_ZN7rocprim17ROCPRIM_400000_NS6detail17trampoline_kernelINS0_14default_configENS1_38merge_sort_block_merge_config_selectorIiNS0_10empty_typeEEEZZNS1_27merge_sort_block_merge_implIS3_N6thrust23THRUST_200600_302600_NS6detail15normal_iteratorINS9_10device_ptrIiEEEEPS5_jNS1_19radix_merge_compareILb0ELb0EiNS0_19identity_decomposerEEEEE10hipError_tT0_T1_T2_jT3_P12ihipStream_tbPNSt15iterator_traitsISK_E10value_typeEPNSQ_ISL_E10value_typeEPSM_NS1_7vsmem_tEENKUlT_SK_SL_SM_E_clIPiSE_SF_SF_EESJ_SZ_SK_SL_SM_EUlSZ_E_NS1_11comp_targetILNS1_3genE5ELNS1_11target_archE942ELNS1_3gpuE9ELNS1_3repE0EEENS1_48merge_mergepath_partition_config_static_selectorELNS0_4arch9wavefront6targetE1EEEvSL_
	.p2align	8
	.type	_ZN7rocprim17ROCPRIM_400000_NS6detail17trampoline_kernelINS0_14default_configENS1_38merge_sort_block_merge_config_selectorIiNS0_10empty_typeEEEZZNS1_27merge_sort_block_merge_implIS3_N6thrust23THRUST_200600_302600_NS6detail15normal_iteratorINS9_10device_ptrIiEEEEPS5_jNS1_19radix_merge_compareILb0ELb0EiNS0_19identity_decomposerEEEEE10hipError_tT0_T1_T2_jT3_P12ihipStream_tbPNSt15iterator_traitsISK_E10value_typeEPNSQ_ISL_E10value_typeEPSM_NS1_7vsmem_tEENKUlT_SK_SL_SM_E_clIPiSE_SF_SF_EESJ_SZ_SK_SL_SM_EUlSZ_E_NS1_11comp_targetILNS1_3genE5ELNS1_11target_archE942ELNS1_3gpuE9ELNS1_3repE0EEENS1_48merge_mergepath_partition_config_static_selectorELNS0_4arch9wavefront6targetE1EEEvSL_,@function
_ZN7rocprim17ROCPRIM_400000_NS6detail17trampoline_kernelINS0_14default_configENS1_38merge_sort_block_merge_config_selectorIiNS0_10empty_typeEEEZZNS1_27merge_sort_block_merge_implIS3_N6thrust23THRUST_200600_302600_NS6detail15normal_iteratorINS9_10device_ptrIiEEEEPS5_jNS1_19radix_merge_compareILb0ELb0EiNS0_19identity_decomposerEEEEE10hipError_tT0_T1_T2_jT3_P12ihipStream_tbPNSt15iterator_traitsISK_E10value_typeEPNSQ_ISL_E10value_typeEPSM_NS1_7vsmem_tEENKUlT_SK_SL_SM_E_clIPiSE_SF_SF_EESJ_SZ_SK_SL_SM_EUlSZ_E_NS1_11comp_targetILNS1_3genE5ELNS1_11target_archE942ELNS1_3gpuE9ELNS1_3repE0EEENS1_48merge_mergepath_partition_config_static_selectorELNS0_4arch9wavefront6targetE1EEEvSL_: ; @_ZN7rocprim17ROCPRIM_400000_NS6detail17trampoline_kernelINS0_14default_configENS1_38merge_sort_block_merge_config_selectorIiNS0_10empty_typeEEEZZNS1_27merge_sort_block_merge_implIS3_N6thrust23THRUST_200600_302600_NS6detail15normal_iteratorINS9_10device_ptrIiEEEEPS5_jNS1_19radix_merge_compareILb0ELb0EiNS0_19identity_decomposerEEEEE10hipError_tT0_T1_T2_jT3_P12ihipStream_tbPNSt15iterator_traitsISK_E10value_typeEPNSQ_ISL_E10value_typeEPSM_NS1_7vsmem_tEENKUlT_SK_SL_SM_E_clIPiSE_SF_SF_EESJ_SZ_SK_SL_SM_EUlSZ_E_NS1_11comp_targetILNS1_3genE5ELNS1_11target_archE942ELNS1_3gpuE9ELNS1_3repE0EEENS1_48merge_mergepath_partition_config_static_selectorELNS0_4arch9wavefront6targetE1EEEvSL_
; %bb.0:
	.section	.rodata,"a",@progbits
	.p2align	6, 0x0
	.amdhsa_kernel _ZN7rocprim17ROCPRIM_400000_NS6detail17trampoline_kernelINS0_14default_configENS1_38merge_sort_block_merge_config_selectorIiNS0_10empty_typeEEEZZNS1_27merge_sort_block_merge_implIS3_N6thrust23THRUST_200600_302600_NS6detail15normal_iteratorINS9_10device_ptrIiEEEEPS5_jNS1_19radix_merge_compareILb0ELb0EiNS0_19identity_decomposerEEEEE10hipError_tT0_T1_T2_jT3_P12ihipStream_tbPNSt15iterator_traitsISK_E10value_typeEPNSQ_ISL_E10value_typeEPSM_NS1_7vsmem_tEENKUlT_SK_SL_SM_E_clIPiSE_SF_SF_EESJ_SZ_SK_SL_SM_EUlSZ_E_NS1_11comp_targetILNS1_3genE5ELNS1_11target_archE942ELNS1_3gpuE9ELNS1_3repE0EEENS1_48merge_mergepath_partition_config_static_selectorELNS0_4arch9wavefront6targetE1EEEvSL_
		.amdhsa_group_segment_fixed_size 0
		.amdhsa_private_segment_fixed_size 0
		.amdhsa_kernarg_size 40
		.amdhsa_user_sgpr_count 6
		.amdhsa_user_sgpr_private_segment_buffer 1
		.amdhsa_user_sgpr_dispatch_ptr 0
		.amdhsa_user_sgpr_queue_ptr 0
		.amdhsa_user_sgpr_kernarg_segment_ptr 1
		.amdhsa_user_sgpr_dispatch_id 0
		.amdhsa_user_sgpr_flat_scratch_init 0
		.amdhsa_user_sgpr_kernarg_preload_length 0
		.amdhsa_user_sgpr_kernarg_preload_offset 0
		.amdhsa_user_sgpr_private_segment_size 0
		.amdhsa_uses_dynamic_stack 0
		.amdhsa_system_sgpr_private_segment_wavefront_offset 0
		.amdhsa_system_sgpr_workgroup_id_x 1
		.amdhsa_system_sgpr_workgroup_id_y 0
		.amdhsa_system_sgpr_workgroup_id_z 0
		.amdhsa_system_sgpr_workgroup_info 0
		.amdhsa_system_vgpr_workitem_id 0
		.amdhsa_next_free_vgpr 1
		.amdhsa_next_free_sgpr 0
		.amdhsa_accum_offset 4
		.amdhsa_reserve_vcc 0
		.amdhsa_reserve_flat_scratch 0
		.amdhsa_float_round_mode_32 0
		.amdhsa_float_round_mode_16_64 0
		.amdhsa_float_denorm_mode_32 3
		.amdhsa_float_denorm_mode_16_64 3
		.amdhsa_dx10_clamp 1
		.amdhsa_ieee_mode 1
		.amdhsa_fp16_overflow 0
		.amdhsa_tg_split 0
		.amdhsa_exception_fp_ieee_invalid_op 0
		.amdhsa_exception_fp_denorm_src 0
		.amdhsa_exception_fp_ieee_div_zero 0
		.amdhsa_exception_fp_ieee_overflow 0
		.amdhsa_exception_fp_ieee_underflow 0
		.amdhsa_exception_fp_ieee_inexact 0
		.amdhsa_exception_int_div_zero 0
	.end_amdhsa_kernel
	.section	.text._ZN7rocprim17ROCPRIM_400000_NS6detail17trampoline_kernelINS0_14default_configENS1_38merge_sort_block_merge_config_selectorIiNS0_10empty_typeEEEZZNS1_27merge_sort_block_merge_implIS3_N6thrust23THRUST_200600_302600_NS6detail15normal_iteratorINS9_10device_ptrIiEEEEPS5_jNS1_19radix_merge_compareILb0ELb0EiNS0_19identity_decomposerEEEEE10hipError_tT0_T1_T2_jT3_P12ihipStream_tbPNSt15iterator_traitsISK_E10value_typeEPNSQ_ISL_E10value_typeEPSM_NS1_7vsmem_tEENKUlT_SK_SL_SM_E_clIPiSE_SF_SF_EESJ_SZ_SK_SL_SM_EUlSZ_E_NS1_11comp_targetILNS1_3genE5ELNS1_11target_archE942ELNS1_3gpuE9ELNS1_3repE0EEENS1_48merge_mergepath_partition_config_static_selectorELNS0_4arch9wavefront6targetE1EEEvSL_,"axG",@progbits,_ZN7rocprim17ROCPRIM_400000_NS6detail17trampoline_kernelINS0_14default_configENS1_38merge_sort_block_merge_config_selectorIiNS0_10empty_typeEEEZZNS1_27merge_sort_block_merge_implIS3_N6thrust23THRUST_200600_302600_NS6detail15normal_iteratorINS9_10device_ptrIiEEEEPS5_jNS1_19radix_merge_compareILb0ELb0EiNS0_19identity_decomposerEEEEE10hipError_tT0_T1_T2_jT3_P12ihipStream_tbPNSt15iterator_traitsISK_E10value_typeEPNSQ_ISL_E10value_typeEPSM_NS1_7vsmem_tEENKUlT_SK_SL_SM_E_clIPiSE_SF_SF_EESJ_SZ_SK_SL_SM_EUlSZ_E_NS1_11comp_targetILNS1_3genE5ELNS1_11target_archE942ELNS1_3gpuE9ELNS1_3repE0EEENS1_48merge_mergepath_partition_config_static_selectorELNS0_4arch9wavefront6targetE1EEEvSL_,comdat
.Lfunc_end1616:
	.size	_ZN7rocprim17ROCPRIM_400000_NS6detail17trampoline_kernelINS0_14default_configENS1_38merge_sort_block_merge_config_selectorIiNS0_10empty_typeEEEZZNS1_27merge_sort_block_merge_implIS3_N6thrust23THRUST_200600_302600_NS6detail15normal_iteratorINS9_10device_ptrIiEEEEPS5_jNS1_19radix_merge_compareILb0ELb0EiNS0_19identity_decomposerEEEEE10hipError_tT0_T1_T2_jT3_P12ihipStream_tbPNSt15iterator_traitsISK_E10value_typeEPNSQ_ISL_E10value_typeEPSM_NS1_7vsmem_tEENKUlT_SK_SL_SM_E_clIPiSE_SF_SF_EESJ_SZ_SK_SL_SM_EUlSZ_E_NS1_11comp_targetILNS1_3genE5ELNS1_11target_archE942ELNS1_3gpuE9ELNS1_3repE0EEENS1_48merge_mergepath_partition_config_static_selectorELNS0_4arch9wavefront6targetE1EEEvSL_, .Lfunc_end1616-_ZN7rocprim17ROCPRIM_400000_NS6detail17trampoline_kernelINS0_14default_configENS1_38merge_sort_block_merge_config_selectorIiNS0_10empty_typeEEEZZNS1_27merge_sort_block_merge_implIS3_N6thrust23THRUST_200600_302600_NS6detail15normal_iteratorINS9_10device_ptrIiEEEEPS5_jNS1_19radix_merge_compareILb0ELb0EiNS0_19identity_decomposerEEEEE10hipError_tT0_T1_T2_jT3_P12ihipStream_tbPNSt15iterator_traitsISK_E10value_typeEPNSQ_ISL_E10value_typeEPSM_NS1_7vsmem_tEENKUlT_SK_SL_SM_E_clIPiSE_SF_SF_EESJ_SZ_SK_SL_SM_EUlSZ_E_NS1_11comp_targetILNS1_3genE5ELNS1_11target_archE942ELNS1_3gpuE9ELNS1_3repE0EEENS1_48merge_mergepath_partition_config_static_selectorELNS0_4arch9wavefront6targetE1EEEvSL_
                                        ; -- End function
	.section	.AMDGPU.csdata,"",@progbits
; Kernel info:
; codeLenInByte = 0
; NumSgprs: 4
; NumVgprs: 0
; NumAgprs: 0
; TotalNumVgprs: 0
; ScratchSize: 0
; MemoryBound: 0
; FloatMode: 240
; IeeeMode: 1
; LDSByteSize: 0 bytes/workgroup (compile time only)
; SGPRBlocks: 0
; VGPRBlocks: 0
; NumSGPRsForWavesPerEU: 4
; NumVGPRsForWavesPerEU: 1
; AccumOffset: 4
; Occupancy: 8
; WaveLimiterHint : 0
; COMPUTE_PGM_RSRC2:SCRATCH_EN: 0
; COMPUTE_PGM_RSRC2:USER_SGPR: 6
; COMPUTE_PGM_RSRC2:TRAP_HANDLER: 0
; COMPUTE_PGM_RSRC2:TGID_X_EN: 1
; COMPUTE_PGM_RSRC2:TGID_Y_EN: 0
; COMPUTE_PGM_RSRC2:TGID_Z_EN: 0
; COMPUTE_PGM_RSRC2:TIDIG_COMP_CNT: 0
; COMPUTE_PGM_RSRC3_GFX90A:ACCUM_OFFSET: 0
; COMPUTE_PGM_RSRC3_GFX90A:TG_SPLIT: 0
	.section	.text._ZN7rocprim17ROCPRIM_400000_NS6detail17trampoline_kernelINS0_14default_configENS1_38merge_sort_block_merge_config_selectorIiNS0_10empty_typeEEEZZNS1_27merge_sort_block_merge_implIS3_N6thrust23THRUST_200600_302600_NS6detail15normal_iteratorINS9_10device_ptrIiEEEEPS5_jNS1_19radix_merge_compareILb0ELb0EiNS0_19identity_decomposerEEEEE10hipError_tT0_T1_T2_jT3_P12ihipStream_tbPNSt15iterator_traitsISK_E10value_typeEPNSQ_ISL_E10value_typeEPSM_NS1_7vsmem_tEENKUlT_SK_SL_SM_E_clIPiSE_SF_SF_EESJ_SZ_SK_SL_SM_EUlSZ_E_NS1_11comp_targetILNS1_3genE4ELNS1_11target_archE910ELNS1_3gpuE8ELNS1_3repE0EEENS1_48merge_mergepath_partition_config_static_selectorELNS0_4arch9wavefront6targetE1EEEvSL_,"axG",@progbits,_ZN7rocprim17ROCPRIM_400000_NS6detail17trampoline_kernelINS0_14default_configENS1_38merge_sort_block_merge_config_selectorIiNS0_10empty_typeEEEZZNS1_27merge_sort_block_merge_implIS3_N6thrust23THRUST_200600_302600_NS6detail15normal_iteratorINS9_10device_ptrIiEEEEPS5_jNS1_19radix_merge_compareILb0ELb0EiNS0_19identity_decomposerEEEEE10hipError_tT0_T1_T2_jT3_P12ihipStream_tbPNSt15iterator_traitsISK_E10value_typeEPNSQ_ISL_E10value_typeEPSM_NS1_7vsmem_tEENKUlT_SK_SL_SM_E_clIPiSE_SF_SF_EESJ_SZ_SK_SL_SM_EUlSZ_E_NS1_11comp_targetILNS1_3genE4ELNS1_11target_archE910ELNS1_3gpuE8ELNS1_3repE0EEENS1_48merge_mergepath_partition_config_static_selectorELNS0_4arch9wavefront6targetE1EEEvSL_,comdat
	.protected	_ZN7rocprim17ROCPRIM_400000_NS6detail17trampoline_kernelINS0_14default_configENS1_38merge_sort_block_merge_config_selectorIiNS0_10empty_typeEEEZZNS1_27merge_sort_block_merge_implIS3_N6thrust23THRUST_200600_302600_NS6detail15normal_iteratorINS9_10device_ptrIiEEEEPS5_jNS1_19radix_merge_compareILb0ELb0EiNS0_19identity_decomposerEEEEE10hipError_tT0_T1_T2_jT3_P12ihipStream_tbPNSt15iterator_traitsISK_E10value_typeEPNSQ_ISL_E10value_typeEPSM_NS1_7vsmem_tEENKUlT_SK_SL_SM_E_clIPiSE_SF_SF_EESJ_SZ_SK_SL_SM_EUlSZ_E_NS1_11comp_targetILNS1_3genE4ELNS1_11target_archE910ELNS1_3gpuE8ELNS1_3repE0EEENS1_48merge_mergepath_partition_config_static_selectorELNS0_4arch9wavefront6targetE1EEEvSL_ ; -- Begin function _ZN7rocprim17ROCPRIM_400000_NS6detail17trampoline_kernelINS0_14default_configENS1_38merge_sort_block_merge_config_selectorIiNS0_10empty_typeEEEZZNS1_27merge_sort_block_merge_implIS3_N6thrust23THRUST_200600_302600_NS6detail15normal_iteratorINS9_10device_ptrIiEEEEPS5_jNS1_19radix_merge_compareILb0ELb0EiNS0_19identity_decomposerEEEEE10hipError_tT0_T1_T2_jT3_P12ihipStream_tbPNSt15iterator_traitsISK_E10value_typeEPNSQ_ISL_E10value_typeEPSM_NS1_7vsmem_tEENKUlT_SK_SL_SM_E_clIPiSE_SF_SF_EESJ_SZ_SK_SL_SM_EUlSZ_E_NS1_11comp_targetILNS1_3genE4ELNS1_11target_archE910ELNS1_3gpuE8ELNS1_3repE0EEENS1_48merge_mergepath_partition_config_static_selectorELNS0_4arch9wavefront6targetE1EEEvSL_
	.globl	_ZN7rocprim17ROCPRIM_400000_NS6detail17trampoline_kernelINS0_14default_configENS1_38merge_sort_block_merge_config_selectorIiNS0_10empty_typeEEEZZNS1_27merge_sort_block_merge_implIS3_N6thrust23THRUST_200600_302600_NS6detail15normal_iteratorINS9_10device_ptrIiEEEEPS5_jNS1_19radix_merge_compareILb0ELb0EiNS0_19identity_decomposerEEEEE10hipError_tT0_T1_T2_jT3_P12ihipStream_tbPNSt15iterator_traitsISK_E10value_typeEPNSQ_ISL_E10value_typeEPSM_NS1_7vsmem_tEENKUlT_SK_SL_SM_E_clIPiSE_SF_SF_EESJ_SZ_SK_SL_SM_EUlSZ_E_NS1_11comp_targetILNS1_3genE4ELNS1_11target_archE910ELNS1_3gpuE8ELNS1_3repE0EEENS1_48merge_mergepath_partition_config_static_selectorELNS0_4arch9wavefront6targetE1EEEvSL_
	.p2align	8
	.type	_ZN7rocprim17ROCPRIM_400000_NS6detail17trampoline_kernelINS0_14default_configENS1_38merge_sort_block_merge_config_selectorIiNS0_10empty_typeEEEZZNS1_27merge_sort_block_merge_implIS3_N6thrust23THRUST_200600_302600_NS6detail15normal_iteratorINS9_10device_ptrIiEEEEPS5_jNS1_19radix_merge_compareILb0ELb0EiNS0_19identity_decomposerEEEEE10hipError_tT0_T1_T2_jT3_P12ihipStream_tbPNSt15iterator_traitsISK_E10value_typeEPNSQ_ISL_E10value_typeEPSM_NS1_7vsmem_tEENKUlT_SK_SL_SM_E_clIPiSE_SF_SF_EESJ_SZ_SK_SL_SM_EUlSZ_E_NS1_11comp_targetILNS1_3genE4ELNS1_11target_archE910ELNS1_3gpuE8ELNS1_3repE0EEENS1_48merge_mergepath_partition_config_static_selectorELNS0_4arch9wavefront6targetE1EEEvSL_,@function
_ZN7rocprim17ROCPRIM_400000_NS6detail17trampoline_kernelINS0_14default_configENS1_38merge_sort_block_merge_config_selectorIiNS0_10empty_typeEEEZZNS1_27merge_sort_block_merge_implIS3_N6thrust23THRUST_200600_302600_NS6detail15normal_iteratorINS9_10device_ptrIiEEEEPS5_jNS1_19radix_merge_compareILb0ELb0EiNS0_19identity_decomposerEEEEE10hipError_tT0_T1_T2_jT3_P12ihipStream_tbPNSt15iterator_traitsISK_E10value_typeEPNSQ_ISL_E10value_typeEPSM_NS1_7vsmem_tEENKUlT_SK_SL_SM_E_clIPiSE_SF_SF_EESJ_SZ_SK_SL_SM_EUlSZ_E_NS1_11comp_targetILNS1_3genE4ELNS1_11target_archE910ELNS1_3gpuE8ELNS1_3repE0EEENS1_48merge_mergepath_partition_config_static_selectorELNS0_4arch9wavefront6targetE1EEEvSL_: ; @_ZN7rocprim17ROCPRIM_400000_NS6detail17trampoline_kernelINS0_14default_configENS1_38merge_sort_block_merge_config_selectorIiNS0_10empty_typeEEEZZNS1_27merge_sort_block_merge_implIS3_N6thrust23THRUST_200600_302600_NS6detail15normal_iteratorINS9_10device_ptrIiEEEEPS5_jNS1_19radix_merge_compareILb0ELb0EiNS0_19identity_decomposerEEEEE10hipError_tT0_T1_T2_jT3_P12ihipStream_tbPNSt15iterator_traitsISK_E10value_typeEPNSQ_ISL_E10value_typeEPSM_NS1_7vsmem_tEENKUlT_SK_SL_SM_E_clIPiSE_SF_SF_EESJ_SZ_SK_SL_SM_EUlSZ_E_NS1_11comp_targetILNS1_3genE4ELNS1_11target_archE910ELNS1_3gpuE8ELNS1_3repE0EEENS1_48merge_mergepath_partition_config_static_selectorELNS0_4arch9wavefront6targetE1EEEvSL_
; %bb.0:
	s_load_dword s0, s[4:5], 0x0
	v_lshl_or_b32 v0, s6, 7, v0
	s_waitcnt lgkmcnt(0)
	v_cmp_gt_u32_e32 vcc, s0, v0
	s_and_saveexec_b64 s[0:1], vcc
	s_cbranch_execz .LBB1617_6
; %bb.1:
	s_load_dwordx2 s[2:3], s[4:5], 0x4
	s_load_dwordx2 s[0:1], s[4:5], 0x20
	s_waitcnt lgkmcnt(0)
	s_lshr_b32 s6, s2, 9
	s_and_b32 s6, s6, 0x7ffffe
	s_add_i32 s7, s6, -1
	s_sub_i32 s6, 0, s6
	v_and_b32_e32 v1, s6, v0
	v_lshlrev_b32_e32 v1, 10, v1
	v_min_u32_e32 v2, s3, v1
	v_add_u32_e32 v1, s2, v1
	v_min_u32_e32 v4, s3, v1
	v_add_u32_e32 v1, s2, v4
	v_and_b32_e32 v3, s7, v0
	v_min_u32_e32 v1, s3, v1
	v_sub_u32_e32 v5, v1, v2
	v_lshlrev_b32_e32 v3, 10, v3
	v_min_u32_e32 v6, v5, v3
	v_sub_u32_e32 v3, v4, v2
	v_sub_u32_e32 v1, v1, v4
	v_sub_u32_e64 v1, v6, v1 clamp
	v_min_u32_e32 v7, v6, v3
	v_cmp_lt_u32_e32 vcc, v1, v7
	s_and_saveexec_b64 s[2:3], vcc
	s_cbranch_execz .LBB1617_5
; %bb.2:
	s_load_dwordx2 s[4:5], s[4:5], 0x10
	v_mov_b32_e32 v5, 0
	v_mov_b32_e32 v3, v5
	v_lshlrev_b64 v[8:9], 2, v[2:3]
	v_lshlrev_b64 v[10:11], 2, v[4:5]
	s_waitcnt lgkmcnt(0)
	v_mov_b32_e32 v12, s5
	v_add_co_u32_e32 v3, vcc, s4, v8
	v_addc_co_u32_e32 v8, vcc, v12, v9, vcc
	v_add_co_u32_e32 v9, vcc, s4, v10
	v_addc_co_u32_e32 v10, vcc, v12, v11, vcc
	s_mov_b64 s[4:5], 0
.LBB1617_3:                             ; =>This Inner Loop Header: Depth=1
	v_add_u32_e32 v4, v7, v1
	v_lshrrev_b32_e32 v4, 1, v4
	v_lshlrev_b64 v[14:15], 2, v[4:5]
	v_mov_b32_e32 v13, v5
	v_xad_u32 v12, v4, -1, v6
	v_add_co_u32_e32 v14, vcc, v3, v14
	v_addc_co_u32_e32 v15, vcc, v8, v15, vcc
	v_lshlrev_b64 v[12:13], 2, v[12:13]
	v_add_co_u32_e32 v12, vcc, v9, v12
	v_addc_co_u32_e32 v13, vcc, v10, v13, vcc
	global_load_dword v11, v[14:15], off
	global_load_dword v16, v[12:13], off
	v_add_u32_e32 v12, 1, v4
	s_waitcnt vmcnt(0)
	v_cmp_gt_i32_e32 vcc, v11, v16
	v_cndmask_b32_e32 v7, v7, v4, vcc
	v_cndmask_b32_e32 v1, v12, v1, vcc
	v_cmp_ge_u32_e32 vcc, v1, v7
	s_or_b64 s[4:5], vcc, s[4:5]
	s_andn2_b64 exec, exec, s[4:5]
	s_cbranch_execnz .LBB1617_3
; %bb.4:
	s_or_b64 exec, exec, s[4:5]
.LBB1617_5:
	s_or_b64 exec, exec, s[2:3]
	v_add_u32_e32 v2, v1, v2
	v_mov_b32_e32 v1, 0
	v_lshlrev_b64 v[0:1], 2, v[0:1]
	v_mov_b32_e32 v3, s1
	v_add_co_u32_e32 v0, vcc, s0, v0
	v_addc_co_u32_e32 v1, vcc, v3, v1, vcc
	global_store_dword v[0:1], v2, off
.LBB1617_6:
	s_endpgm
	.section	.rodata,"a",@progbits
	.p2align	6, 0x0
	.amdhsa_kernel _ZN7rocprim17ROCPRIM_400000_NS6detail17trampoline_kernelINS0_14default_configENS1_38merge_sort_block_merge_config_selectorIiNS0_10empty_typeEEEZZNS1_27merge_sort_block_merge_implIS3_N6thrust23THRUST_200600_302600_NS6detail15normal_iteratorINS9_10device_ptrIiEEEEPS5_jNS1_19radix_merge_compareILb0ELb0EiNS0_19identity_decomposerEEEEE10hipError_tT0_T1_T2_jT3_P12ihipStream_tbPNSt15iterator_traitsISK_E10value_typeEPNSQ_ISL_E10value_typeEPSM_NS1_7vsmem_tEENKUlT_SK_SL_SM_E_clIPiSE_SF_SF_EESJ_SZ_SK_SL_SM_EUlSZ_E_NS1_11comp_targetILNS1_3genE4ELNS1_11target_archE910ELNS1_3gpuE8ELNS1_3repE0EEENS1_48merge_mergepath_partition_config_static_selectorELNS0_4arch9wavefront6targetE1EEEvSL_
		.amdhsa_group_segment_fixed_size 0
		.amdhsa_private_segment_fixed_size 0
		.amdhsa_kernarg_size 40
		.amdhsa_user_sgpr_count 6
		.amdhsa_user_sgpr_private_segment_buffer 1
		.amdhsa_user_sgpr_dispatch_ptr 0
		.amdhsa_user_sgpr_queue_ptr 0
		.amdhsa_user_sgpr_kernarg_segment_ptr 1
		.amdhsa_user_sgpr_dispatch_id 0
		.amdhsa_user_sgpr_flat_scratch_init 0
		.amdhsa_user_sgpr_kernarg_preload_length 0
		.amdhsa_user_sgpr_kernarg_preload_offset 0
		.amdhsa_user_sgpr_private_segment_size 0
		.amdhsa_uses_dynamic_stack 0
		.amdhsa_system_sgpr_private_segment_wavefront_offset 0
		.amdhsa_system_sgpr_workgroup_id_x 1
		.amdhsa_system_sgpr_workgroup_id_y 0
		.amdhsa_system_sgpr_workgroup_id_z 0
		.amdhsa_system_sgpr_workgroup_info 0
		.amdhsa_system_vgpr_workitem_id 0
		.amdhsa_next_free_vgpr 17
		.amdhsa_next_free_sgpr 8
		.amdhsa_accum_offset 20
		.amdhsa_reserve_vcc 1
		.amdhsa_reserve_flat_scratch 0
		.amdhsa_float_round_mode_32 0
		.amdhsa_float_round_mode_16_64 0
		.amdhsa_float_denorm_mode_32 3
		.amdhsa_float_denorm_mode_16_64 3
		.amdhsa_dx10_clamp 1
		.amdhsa_ieee_mode 1
		.amdhsa_fp16_overflow 0
		.amdhsa_tg_split 0
		.amdhsa_exception_fp_ieee_invalid_op 0
		.amdhsa_exception_fp_denorm_src 0
		.amdhsa_exception_fp_ieee_div_zero 0
		.amdhsa_exception_fp_ieee_overflow 0
		.amdhsa_exception_fp_ieee_underflow 0
		.amdhsa_exception_fp_ieee_inexact 0
		.amdhsa_exception_int_div_zero 0
	.end_amdhsa_kernel
	.section	.text._ZN7rocprim17ROCPRIM_400000_NS6detail17trampoline_kernelINS0_14default_configENS1_38merge_sort_block_merge_config_selectorIiNS0_10empty_typeEEEZZNS1_27merge_sort_block_merge_implIS3_N6thrust23THRUST_200600_302600_NS6detail15normal_iteratorINS9_10device_ptrIiEEEEPS5_jNS1_19radix_merge_compareILb0ELb0EiNS0_19identity_decomposerEEEEE10hipError_tT0_T1_T2_jT3_P12ihipStream_tbPNSt15iterator_traitsISK_E10value_typeEPNSQ_ISL_E10value_typeEPSM_NS1_7vsmem_tEENKUlT_SK_SL_SM_E_clIPiSE_SF_SF_EESJ_SZ_SK_SL_SM_EUlSZ_E_NS1_11comp_targetILNS1_3genE4ELNS1_11target_archE910ELNS1_3gpuE8ELNS1_3repE0EEENS1_48merge_mergepath_partition_config_static_selectorELNS0_4arch9wavefront6targetE1EEEvSL_,"axG",@progbits,_ZN7rocprim17ROCPRIM_400000_NS6detail17trampoline_kernelINS0_14default_configENS1_38merge_sort_block_merge_config_selectorIiNS0_10empty_typeEEEZZNS1_27merge_sort_block_merge_implIS3_N6thrust23THRUST_200600_302600_NS6detail15normal_iteratorINS9_10device_ptrIiEEEEPS5_jNS1_19radix_merge_compareILb0ELb0EiNS0_19identity_decomposerEEEEE10hipError_tT0_T1_T2_jT3_P12ihipStream_tbPNSt15iterator_traitsISK_E10value_typeEPNSQ_ISL_E10value_typeEPSM_NS1_7vsmem_tEENKUlT_SK_SL_SM_E_clIPiSE_SF_SF_EESJ_SZ_SK_SL_SM_EUlSZ_E_NS1_11comp_targetILNS1_3genE4ELNS1_11target_archE910ELNS1_3gpuE8ELNS1_3repE0EEENS1_48merge_mergepath_partition_config_static_selectorELNS0_4arch9wavefront6targetE1EEEvSL_,comdat
.Lfunc_end1617:
	.size	_ZN7rocprim17ROCPRIM_400000_NS6detail17trampoline_kernelINS0_14default_configENS1_38merge_sort_block_merge_config_selectorIiNS0_10empty_typeEEEZZNS1_27merge_sort_block_merge_implIS3_N6thrust23THRUST_200600_302600_NS6detail15normal_iteratorINS9_10device_ptrIiEEEEPS5_jNS1_19radix_merge_compareILb0ELb0EiNS0_19identity_decomposerEEEEE10hipError_tT0_T1_T2_jT3_P12ihipStream_tbPNSt15iterator_traitsISK_E10value_typeEPNSQ_ISL_E10value_typeEPSM_NS1_7vsmem_tEENKUlT_SK_SL_SM_E_clIPiSE_SF_SF_EESJ_SZ_SK_SL_SM_EUlSZ_E_NS1_11comp_targetILNS1_3genE4ELNS1_11target_archE910ELNS1_3gpuE8ELNS1_3repE0EEENS1_48merge_mergepath_partition_config_static_selectorELNS0_4arch9wavefront6targetE1EEEvSL_, .Lfunc_end1617-_ZN7rocprim17ROCPRIM_400000_NS6detail17trampoline_kernelINS0_14default_configENS1_38merge_sort_block_merge_config_selectorIiNS0_10empty_typeEEEZZNS1_27merge_sort_block_merge_implIS3_N6thrust23THRUST_200600_302600_NS6detail15normal_iteratorINS9_10device_ptrIiEEEEPS5_jNS1_19radix_merge_compareILb0ELb0EiNS0_19identity_decomposerEEEEE10hipError_tT0_T1_T2_jT3_P12ihipStream_tbPNSt15iterator_traitsISK_E10value_typeEPNSQ_ISL_E10value_typeEPSM_NS1_7vsmem_tEENKUlT_SK_SL_SM_E_clIPiSE_SF_SF_EESJ_SZ_SK_SL_SM_EUlSZ_E_NS1_11comp_targetILNS1_3genE4ELNS1_11target_archE910ELNS1_3gpuE8ELNS1_3repE0EEENS1_48merge_mergepath_partition_config_static_selectorELNS0_4arch9wavefront6targetE1EEEvSL_
                                        ; -- End function
	.section	.AMDGPU.csdata,"",@progbits
; Kernel info:
; codeLenInByte = 360
; NumSgprs: 12
; NumVgprs: 17
; NumAgprs: 0
; TotalNumVgprs: 17
; ScratchSize: 0
; MemoryBound: 0
; FloatMode: 240
; IeeeMode: 1
; LDSByteSize: 0 bytes/workgroup (compile time only)
; SGPRBlocks: 1
; VGPRBlocks: 2
; NumSGPRsForWavesPerEU: 12
; NumVGPRsForWavesPerEU: 17
; AccumOffset: 20
; Occupancy: 8
; WaveLimiterHint : 0
; COMPUTE_PGM_RSRC2:SCRATCH_EN: 0
; COMPUTE_PGM_RSRC2:USER_SGPR: 6
; COMPUTE_PGM_RSRC2:TRAP_HANDLER: 0
; COMPUTE_PGM_RSRC2:TGID_X_EN: 1
; COMPUTE_PGM_RSRC2:TGID_Y_EN: 0
; COMPUTE_PGM_RSRC2:TGID_Z_EN: 0
; COMPUTE_PGM_RSRC2:TIDIG_COMP_CNT: 0
; COMPUTE_PGM_RSRC3_GFX90A:ACCUM_OFFSET: 4
; COMPUTE_PGM_RSRC3_GFX90A:TG_SPLIT: 0
	.section	.text._ZN7rocprim17ROCPRIM_400000_NS6detail17trampoline_kernelINS0_14default_configENS1_38merge_sort_block_merge_config_selectorIiNS0_10empty_typeEEEZZNS1_27merge_sort_block_merge_implIS3_N6thrust23THRUST_200600_302600_NS6detail15normal_iteratorINS9_10device_ptrIiEEEEPS5_jNS1_19radix_merge_compareILb0ELb0EiNS0_19identity_decomposerEEEEE10hipError_tT0_T1_T2_jT3_P12ihipStream_tbPNSt15iterator_traitsISK_E10value_typeEPNSQ_ISL_E10value_typeEPSM_NS1_7vsmem_tEENKUlT_SK_SL_SM_E_clIPiSE_SF_SF_EESJ_SZ_SK_SL_SM_EUlSZ_E_NS1_11comp_targetILNS1_3genE3ELNS1_11target_archE908ELNS1_3gpuE7ELNS1_3repE0EEENS1_48merge_mergepath_partition_config_static_selectorELNS0_4arch9wavefront6targetE1EEEvSL_,"axG",@progbits,_ZN7rocprim17ROCPRIM_400000_NS6detail17trampoline_kernelINS0_14default_configENS1_38merge_sort_block_merge_config_selectorIiNS0_10empty_typeEEEZZNS1_27merge_sort_block_merge_implIS3_N6thrust23THRUST_200600_302600_NS6detail15normal_iteratorINS9_10device_ptrIiEEEEPS5_jNS1_19radix_merge_compareILb0ELb0EiNS0_19identity_decomposerEEEEE10hipError_tT0_T1_T2_jT3_P12ihipStream_tbPNSt15iterator_traitsISK_E10value_typeEPNSQ_ISL_E10value_typeEPSM_NS1_7vsmem_tEENKUlT_SK_SL_SM_E_clIPiSE_SF_SF_EESJ_SZ_SK_SL_SM_EUlSZ_E_NS1_11comp_targetILNS1_3genE3ELNS1_11target_archE908ELNS1_3gpuE7ELNS1_3repE0EEENS1_48merge_mergepath_partition_config_static_selectorELNS0_4arch9wavefront6targetE1EEEvSL_,comdat
	.protected	_ZN7rocprim17ROCPRIM_400000_NS6detail17trampoline_kernelINS0_14default_configENS1_38merge_sort_block_merge_config_selectorIiNS0_10empty_typeEEEZZNS1_27merge_sort_block_merge_implIS3_N6thrust23THRUST_200600_302600_NS6detail15normal_iteratorINS9_10device_ptrIiEEEEPS5_jNS1_19radix_merge_compareILb0ELb0EiNS0_19identity_decomposerEEEEE10hipError_tT0_T1_T2_jT3_P12ihipStream_tbPNSt15iterator_traitsISK_E10value_typeEPNSQ_ISL_E10value_typeEPSM_NS1_7vsmem_tEENKUlT_SK_SL_SM_E_clIPiSE_SF_SF_EESJ_SZ_SK_SL_SM_EUlSZ_E_NS1_11comp_targetILNS1_3genE3ELNS1_11target_archE908ELNS1_3gpuE7ELNS1_3repE0EEENS1_48merge_mergepath_partition_config_static_selectorELNS0_4arch9wavefront6targetE1EEEvSL_ ; -- Begin function _ZN7rocprim17ROCPRIM_400000_NS6detail17trampoline_kernelINS0_14default_configENS1_38merge_sort_block_merge_config_selectorIiNS0_10empty_typeEEEZZNS1_27merge_sort_block_merge_implIS3_N6thrust23THRUST_200600_302600_NS6detail15normal_iteratorINS9_10device_ptrIiEEEEPS5_jNS1_19radix_merge_compareILb0ELb0EiNS0_19identity_decomposerEEEEE10hipError_tT0_T1_T2_jT3_P12ihipStream_tbPNSt15iterator_traitsISK_E10value_typeEPNSQ_ISL_E10value_typeEPSM_NS1_7vsmem_tEENKUlT_SK_SL_SM_E_clIPiSE_SF_SF_EESJ_SZ_SK_SL_SM_EUlSZ_E_NS1_11comp_targetILNS1_3genE3ELNS1_11target_archE908ELNS1_3gpuE7ELNS1_3repE0EEENS1_48merge_mergepath_partition_config_static_selectorELNS0_4arch9wavefront6targetE1EEEvSL_
	.globl	_ZN7rocprim17ROCPRIM_400000_NS6detail17trampoline_kernelINS0_14default_configENS1_38merge_sort_block_merge_config_selectorIiNS0_10empty_typeEEEZZNS1_27merge_sort_block_merge_implIS3_N6thrust23THRUST_200600_302600_NS6detail15normal_iteratorINS9_10device_ptrIiEEEEPS5_jNS1_19radix_merge_compareILb0ELb0EiNS0_19identity_decomposerEEEEE10hipError_tT0_T1_T2_jT3_P12ihipStream_tbPNSt15iterator_traitsISK_E10value_typeEPNSQ_ISL_E10value_typeEPSM_NS1_7vsmem_tEENKUlT_SK_SL_SM_E_clIPiSE_SF_SF_EESJ_SZ_SK_SL_SM_EUlSZ_E_NS1_11comp_targetILNS1_3genE3ELNS1_11target_archE908ELNS1_3gpuE7ELNS1_3repE0EEENS1_48merge_mergepath_partition_config_static_selectorELNS0_4arch9wavefront6targetE1EEEvSL_
	.p2align	8
	.type	_ZN7rocprim17ROCPRIM_400000_NS6detail17trampoline_kernelINS0_14default_configENS1_38merge_sort_block_merge_config_selectorIiNS0_10empty_typeEEEZZNS1_27merge_sort_block_merge_implIS3_N6thrust23THRUST_200600_302600_NS6detail15normal_iteratorINS9_10device_ptrIiEEEEPS5_jNS1_19radix_merge_compareILb0ELb0EiNS0_19identity_decomposerEEEEE10hipError_tT0_T1_T2_jT3_P12ihipStream_tbPNSt15iterator_traitsISK_E10value_typeEPNSQ_ISL_E10value_typeEPSM_NS1_7vsmem_tEENKUlT_SK_SL_SM_E_clIPiSE_SF_SF_EESJ_SZ_SK_SL_SM_EUlSZ_E_NS1_11comp_targetILNS1_3genE3ELNS1_11target_archE908ELNS1_3gpuE7ELNS1_3repE0EEENS1_48merge_mergepath_partition_config_static_selectorELNS0_4arch9wavefront6targetE1EEEvSL_,@function
_ZN7rocprim17ROCPRIM_400000_NS6detail17trampoline_kernelINS0_14default_configENS1_38merge_sort_block_merge_config_selectorIiNS0_10empty_typeEEEZZNS1_27merge_sort_block_merge_implIS3_N6thrust23THRUST_200600_302600_NS6detail15normal_iteratorINS9_10device_ptrIiEEEEPS5_jNS1_19radix_merge_compareILb0ELb0EiNS0_19identity_decomposerEEEEE10hipError_tT0_T1_T2_jT3_P12ihipStream_tbPNSt15iterator_traitsISK_E10value_typeEPNSQ_ISL_E10value_typeEPSM_NS1_7vsmem_tEENKUlT_SK_SL_SM_E_clIPiSE_SF_SF_EESJ_SZ_SK_SL_SM_EUlSZ_E_NS1_11comp_targetILNS1_3genE3ELNS1_11target_archE908ELNS1_3gpuE7ELNS1_3repE0EEENS1_48merge_mergepath_partition_config_static_selectorELNS0_4arch9wavefront6targetE1EEEvSL_: ; @_ZN7rocprim17ROCPRIM_400000_NS6detail17trampoline_kernelINS0_14default_configENS1_38merge_sort_block_merge_config_selectorIiNS0_10empty_typeEEEZZNS1_27merge_sort_block_merge_implIS3_N6thrust23THRUST_200600_302600_NS6detail15normal_iteratorINS9_10device_ptrIiEEEEPS5_jNS1_19radix_merge_compareILb0ELb0EiNS0_19identity_decomposerEEEEE10hipError_tT0_T1_T2_jT3_P12ihipStream_tbPNSt15iterator_traitsISK_E10value_typeEPNSQ_ISL_E10value_typeEPSM_NS1_7vsmem_tEENKUlT_SK_SL_SM_E_clIPiSE_SF_SF_EESJ_SZ_SK_SL_SM_EUlSZ_E_NS1_11comp_targetILNS1_3genE3ELNS1_11target_archE908ELNS1_3gpuE7ELNS1_3repE0EEENS1_48merge_mergepath_partition_config_static_selectorELNS0_4arch9wavefront6targetE1EEEvSL_
; %bb.0:
	.section	.rodata,"a",@progbits
	.p2align	6, 0x0
	.amdhsa_kernel _ZN7rocprim17ROCPRIM_400000_NS6detail17trampoline_kernelINS0_14default_configENS1_38merge_sort_block_merge_config_selectorIiNS0_10empty_typeEEEZZNS1_27merge_sort_block_merge_implIS3_N6thrust23THRUST_200600_302600_NS6detail15normal_iteratorINS9_10device_ptrIiEEEEPS5_jNS1_19radix_merge_compareILb0ELb0EiNS0_19identity_decomposerEEEEE10hipError_tT0_T1_T2_jT3_P12ihipStream_tbPNSt15iterator_traitsISK_E10value_typeEPNSQ_ISL_E10value_typeEPSM_NS1_7vsmem_tEENKUlT_SK_SL_SM_E_clIPiSE_SF_SF_EESJ_SZ_SK_SL_SM_EUlSZ_E_NS1_11comp_targetILNS1_3genE3ELNS1_11target_archE908ELNS1_3gpuE7ELNS1_3repE0EEENS1_48merge_mergepath_partition_config_static_selectorELNS0_4arch9wavefront6targetE1EEEvSL_
		.amdhsa_group_segment_fixed_size 0
		.amdhsa_private_segment_fixed_size 0
		.amdhsa_kernarg_size 40
		.amdhsa_user_sgpr_count 6
		.amdhsa_user_sgpr_private_segment_buffer 1
		.amdhsa_user_sgpr_dispatch_ptr 0
		.amdhsa_user_sgpr_queue_ptr 0
		.amdhsa_user_sgpr_kernarg_segment_ptr 1
		.amdhsa_user_sgpr_dispatch_id 0
		.amdhsa_user_sgpr_flat_scratch_init 0
		.amdhsa_user_sgpr_kernarg_preload_length 0
		.amdhsa_user_sgpr_kernarg_preload_offset 0
		.amdhsa_user_sgpr_private_segment_size 0
		.amdhsa_uses_dynamic_stack 0
		.amdhsa_system_sgpr_private_segment_wavefront_offset 0
		.amdhsa_system_sgpr_workgroup_id_x 1
		.amdhsa_system_sgpr_workgroup_id_y 0
		.amdhsa_system_sgpr_workgroup_id_z 0
		.amdhsa_system_sgpr_workgroup_info 0
		.amdhsa_system_vgpr_workitem_id 0
		.amdhsa_next_free_vgpr 1
		.amdhsa_next_free_sgpr 0
		.amdhsa_accum_offset 4
		.amdhsa_reserve_vcc 0
		.amdhsa_reserve_flat_scratch 0
		.amdhsa_float_round_mode_32 0
		.amdhsa_float_round_mode_16_64 0
		.amdhsa_float_denorm_mode_32 3
		.amdhsa_float_denorm_mode_16_64 3
		.amdhsa_dx10_clamp 1
		.amdhsa_ieee_mode 1
		.amdhsa_fp16_overflow 0
		.amdhsa_tg_split 0
		.amdhsa_exception_fp_ieee_invalid_op 0
		.amdhsa_exception_fp_denorm_src 0
		.amdhsa_exception_fp_ieee_div_zero 0
		.amdhsa_exception_fp_ieee_overflow 0
		.amdhsa_exception_fp_ieee_underflow 0
		.amdhsa_exception_fp_ieee_inexact 0
		.amdhsa_exception_int_div_zero 0
	.end_amdhsa_kernel
	.section	.text._ZN7rocprim17ROCPRIM_400000_NS6detail17trampoline_kernelINS0_14default_configENS1_38merge_sort_block_merge_config_selectorIiNS0_10empty_typeEEEZZNS1_27merge_sort_block_merge_implIS3_N6thrust23THRUST_200600_302600_NS6detail15normal_iteratorINS9_10device_ptrIiEEEEPS5_jNS1_19radix_merge_compareILb0ELb0EiNS0_19identity_decomposerEEEEE10hipError_tT0_T1_T2_jT3_P12ihipStream_tbPNSt15iterator_traitsISK_E10value_typeEPNSQ_ISL_E10value_typeEPSM_NS1_7vsmem_tEENKUlT_SK_SL_SM_E_clIPiSE_SF_SF_EESJ_SZ_SK_SL_SM_EUlSZ_E_NS1_11comp_targetILNS1_3genE3ELNS1_11target_archE908ELNS1_3gpuE7ELNS1_3repE0EEENS1_48merge_mergepath_partition_config_static_selectorELNS0_4arch9wavefront6targetE1EEEvSL_,"axG",@progbits,_ZN7rocprim17ROCPRIM_400000_NS6detail17trampoline_kernelINS0_14default_configENS1_38merge_sort_block_merge_config_selectorIiNS0_10empty_typeEEEZZNS1_27merge_sort_block_merge_implIS3_N6thrust23THRUST_200600_302600_NS6detail15normal_iteratorINS9_10device_ptrIiEEEEPS5_jNS1_19radix_merge_compareILb0ELb0EiNS0_19identity_decomposerEEEEE10hipError_tT0_T1_T2_jT3_P12ihipStream_tbPNSt15iterator_traitsISK_E10value_typeEPNSQ_ISL_E10value_typeEPSM_NS1_7vsmem_tEENKUlT_SK_SL_SM_E_clIPiSE_SF_SF_EESJ_SZ_SK_SL_SM_EUlSZ_E_NS1_11comp_targetILNS1_3genE3ELNS1_11target_archE908ELNS1_3gpuE7ELNS1_3repE0EEENS1_48merge_mergepath_partition_config_static_selectorELNS0_4arch9wavefront6targetE1EEEvSL_,comdat
.Lfunc_end1618:
	.size	_ZN7rocprim17ROCPRIM_400000_NS6detail17trampoline_kernelINS0_14default_configENS1_38merge_sort_block_merge_config_selectorIiNS0_10empty_typeEEEZZNS1_27merge_sort_block_merge_implIS3_N6thrust23THRUST_200600_302600_NS6detail15normal_iteratorINS9_10device_ptrIiEEEEPS5_jNS1_19radix_merge_compareILb0ELb0EiNS0_19identity_decomposerEEEEE10hipError_tT0_T1_T2_jT3_P12ihipStream_tbPNSt15iterator_traitsISK_E10value_typeEPNSQ_ISL_E10value_typeEPSM_NS1_7vsmem_tEENKUlT_SK_SL_SM_E_clIPiSE_SF_SF_EESJ_SZ_SK_SL_SM_EUlSZ_E_NS1_11comp_targetILNS1_3genE3ELNS1_11target_archE908ELNS1_3gpuE7ELNS1_3repE0EEENS1_48merge_mergepath_partition_config_static_selectorELNS0_4arch9wavefront6targetE1EEEvSL_, .Lfunc_end1618-_ZN7rocprim17ROCPRIM_400000_NS6detail17trampoline_kernelINS0_14default_configENS1_38merge_sort_block_merge_config_selectorIiNS0_10empty_typeEEEZZNS1_27merge_sort_block_merge_implIS3_N6thrust23THRUST_200600_302600_NS6detail15normal_iteratorINS9_10device_ptrIiEEEEPS5_jNS1_19radix_merge_compareILb0ELb0EiNS0_19identity_decomposerEEEEE10hipError_tT0_T1_T2_jT3_P12ihipStream_tbPNSt15iterator_traitsISK_E10value_typeEPNSQ_ISL_E10value_typeEPSM_NS1_7vsmem_tEENKUlT_SK_SL_SM_E_clIPiSE_SF_SF_EESJ_SZ_SK_SL_SM_EUlSZ_E_NS1_11comp_targetILNS1_3genE3ELNS1_11target_archE908ELNS1_3gpuE7ELNS1_3repE0EEENS1_48merge_mergepath_partition_config_static_selectorELNS0_4arch9wavefront6targetE1EEEvSL_
                                        ; -- End function
	.section	.AMDGPU.csdata,"",@progbits
; Kernel info:
; codeLenInByte = 0
; NumSgprs: 4
; NumVgprs: 0
; NumAgprs: 0
; TotalNumVgprs: 0
; ScratchSize: 0
; MemoryBound: 0
; FloatMode: 240
; IeeeMode: 1
; LDSByteSize: 0 bytes/workgroup (compile time only)
; SGPRBlocks: 0
; VGPRBlocks: 0
; NumSGPRsForWavesPerEU: 4
; NumVGPRsForWavesPerEU: 1
; AccumOffset: 4
; Occupancy: 8
; WaveLimiterHint : 0
; COMPUTE_PGM_RSRC2:SCRATCH_EN: 0
; COMPUTE_PGM_RSRC2:USER_SGPR: 6
; COMPUTE_PGM_RSRC2:TRAP_HANDLER: 0
; COMPUTE_PGM_RSRC2:TGID_X_EN: 1
; COMPUTE_PGM_RSRC2:TGID_Y_EN: 0
; COMPUTE_PGM_RSRC2:TGID_Z_EN: 0
; COMPUTE_PGM_RSRC2:TIDIG_COMP_CNT: 0
; COMPUTE_PGM_RSRC3_GFX90A:ACCUM_OFFSET: 0
; COMPUTE_PGM_RSRC3_GFX90A:TG_SPLIT: 0
	.section	.text._ZN7rocprim17ROCPRIM_400000_NS6detail17trampoline_kernelINS0_14default_configENS1_38merge_sort_block_merge_config_selectorIiNS0_10empty_typeEEEZZNS1_27merge_sort_block_merge_implIS3_N6thrust23THRUST_200600_302600_NS6detail15normal_iteratorINS9_10device_ptrIiEEEEPS5_jNS1_19radix_merge_compareILb0ELb0EiNS0_19identity_decomposerEEEEE10hipError_tT0_T1_T2_jT3_P12ihipStream_tbPNSt15iterator_traitsISK_E10value_typeEPNSQ_ISL_E10value_typeEPSM_NS1_7vsmem_tEENKUlT_SK_SL_SM_E_clIPiSE_SF_SF_EESJ_SZ_SK_SL_SM_EUlSZ_E_NS1_11comp_targetILNS1_3genE2ELNS1_11target_archE906ELNS1_3gpuE6ELNS1_3repE0EEENS1_48merge_mergepath_partition_config_static_selectorELNS0_4arch9wavefront6targetE1EEEvSL_,"axG",@progbits,_ZN7rocprim17ROCPRIM_400000_NS6detail17trampoline_kernelINS0_14default_configENS1_38merge_sort_block_merge_config_selectorIiNS0_10empty_typeEEEZZNS1_27merge_sort_block_merge_implIS3_N6thrust23THRUST_200600_302600_NS6detail15normal_iteratorINS9_10device_ptrIiEEEEPS5_jNS1_19radix_merge_compareILb0ELb0EiNS0_19identity_decomposerEEEEE10hipError_tT0_T1_T2_jT3_P12ihipStream_tbPNSt15iterator_traitsISK_E10value_typeEPNSQ_ISL_E10value_typeEPSM_NS1_7vsmem_tEENKUlT_SK_SL_SM_E_clIPiSE_SF_SF_EESJ_SZ_SK_SL_SM_EUlSZ_E_NS1_11comp_targetILNS1_3genE2ELNS1_11target_archE906ELNS1_3gpuE6ELNS1_3repE0EEENS1_48merge_mergepath_partition_config_static_selectorELNS0_4arch9wavefront6targetE1EEEvSL_,comdat
	.protected	_ZN7rocprim17ROCPRIM_400000_NS6detail17trampoline_kernelINS0_14default_configENS1_38merge_sort_block_merge_config_selectorIiNS0_10empty_typeEEEZZNS1_27merge_sort_block_merge_implIS3_N6thrust23THRUST_200600_302600_NS6detail15normal_iteratorINS9_10device_ptrIiEEEEPS5_jNS1_19radix_merge_compareILb0ELb0EiNS0_19identity_decomposerEEEEE10hipError_tT0_T1_T2_jT3_P12ihipStream_tbPNSt15iterator_traitsISK_E10value_typeEPNSQ_ISL_E10value_typeEPSM_NS1_7vsmem_tEENKUlT_SK_SL_SM_E_clIPiSE_SF_SF_EESJ_SZ_SK_SL_SM_EUlSZ_E_NS1_11comp_targetILNS1_3genE2ELNS1_11target_archE906ELNS1_3gpuE6ELNS1_3repE0EEENS1_48merge_mergepath_partition_config_static_selectorELNS0_4arch9wavefront6targetE1EEEvSL_ ; -- Begin function _ZN7rocprim17ROCPRIM_400000_NS6detail17trampoline_kernelINS0_14default_configENS1_38merge_sort_block_merge_config_selectorIiNS0_10empty_typeEEEZZNS1_27merge_sort_block_merge_implIS3_N6thrust23THRUST_200600_302600_NS6detail15normal_iteratorINS9_10device_ptrIiEEEEPS5_jNS1_19radix_merge_compareILb0ELb0EiNS0_19identity_decomposerEEEEE10hipError_tT0_T1_T2_jT3_P12ihipStream_tbPNSt15iterator_traitsISK_E10value_typeEPNSQ_ISL_E10value_typeEPSM_NS1_7vsmem_tEENKUlT_SK_SL_SM_E_clIPiSE_SF_SF_EESJ_SZ_SK_SL_SM_EUlSZ_E_NS1_11comp_targetILNS1_3genE2ELNS1_11target_archE906ELNS1_3gpuE6ELNS1_3repE0EEENS1_48merge_mergepath_partition_config_static_selectorELNS0_4arch9wavefront6targetE1EEEvSL_
	.globl	_ZN7rocprim17ROCPRIM_400000_NS6detail17trampoline_kernelINS0_14default_configENS1_38merge_sort_block_merge_config_selectorIiNS0_10empty_typeEEEZZNS1_27merge_sort_block_merge_implIS3_N6thrust23THRUST_200600_302600_NS6detail15normal_iteratorINS9_10device_ptrIiEEEEPS5_jNS1_19radix_merge_compareILb0ELb0EiNS0_19identity_decomposerEEEEE10hipError_tT0_T1_T2_jT3_P12ihipStream_tbPNSt15iterator_traitsISK_E10value_typeEPNSQ_ISL_E10value_typeEPSM_NS1_7vsmem_tEENKUlT_SK_SL_SM_E_clIPiSE_SF_SF_EESJ_SZ_SK_SL_SM_EUlSZ_E_NS1_11comp_targetILNS1_3genE2ELNS1_11target_archE906ELNS1_3gpuE6ELNS1_3repE0EEENS1_48merge_mergepath_partition_config_static_selectorELNS0_4arch9wavefront6targetE1EEEvSL_
	.p2align	8
	.type	_ZN7rocprim17ROCPRIM_400000_NS6detail17trampoline_kernelINS0_14default_configENS1_38merge_sort_block_merge_config_selectorIiNS0_10empty_typeEEEZZNS1_27merge_sort_block_merge_implIS3_N6thrust23THRUST_200600_302600_NS6detail15normal_iteratorINS9_10device_ptrIiEEEEPS5_jNS1_19radix_merge_compareILb0ELb0EiNS0_19identity_decomposerEEEEE10hipError_tT0_T1_T2_jT3_P12ihipStream_tbPNSt15iterator_traitsISK_E10value_typeEPNSQ_ISL_E10value_typeEPSM_NS1_7vsmem_tEENKUlT_SK_SL_SM_E_clIPiSE_SF_SF_EESJ_SZ_SK_SL_SM_EUlSZ_E_NS1_11comp_targetILNS1_3genE2ELNS1_11target_archE906ELNS1_3gpuE6ELNS1_3repE0EEENS1_48merge_mergepath_partition_config_static_selectorELNS0_4arch9wavefront6targetE1EEEvSL_,@function
_ZN7rocprim17ROCPRIM_400000_NS6detail17trampoline_kernelINS0_14default_configENS1_38merge_sort_block_merge_config_selectorIiNS0_10empty_typeEEEZZNS1_27merge_sort_block_merge_implIS3_N6thrust23THRUST_200600_302600_NS6detail15normal_iteratorINS9_10device_ptrIiEEEEPS5_jNS1_19radix_merge_compareILb0ELb0EiNS0_19identity_decomposerEEEEE10hipError_tT0_T1_T2_jT3_P12ihipStream_tbPNSt15iterator_traitsISK_E10value_typeEPNSQ_ISL_E10value_typeEPSM_NS1_7vsmem_tEENKUlT_SK_SL_SM_E_clIPiSE_SF_SF_EESJ_SZ_SK_SL_SM_EUlSZ_E_NS1_11comp_targetILNS1_3genE2ELNS1_11target_archE906ELNS1_3gpuE6ELNS1_3repE0EEENS1_48merge_mergepath_partition_config_static_selectorELNS0_4arch9wavefront6targetE1EEEvSL_: ; @_ZN7rocprim17ROCPRIM_400000_NS6detail17trampoline_kernelINS0_14default_configENS1_38merge_sort_block_merge_config_selectorIiNS0_10empty_typeEEEZZNS1_27merge_sort_block_merge_implIS3_N6thrust23THRUST_200600_302600_NS6detail15normal_iteratorINS9_10device_ptrIiEEEEPS5_jNS1_19radix_merge_compareILb0ELb0EiNS0_19identity_decomposerEEEEE10hipError_tT0_T1_T2_jT3_P12ihipStream_tbPNSt15iterator_traitsISK_E10value_typeEPNSQ_ISL_E10value_typeEPSM_NS1_7vsmem_tEENKUlT_SK_SL_SM_E_clIPiSE_SF_SF_EESJ_SZ_SK_SL_SM_EUlSZ_E_NS1_11comp_targetILNS1_3genE2ELNS1_11target_archE906ELNS1_3gpuE6ELNS1_3repE0EEENS1_48merge_mergepath_partition_config_static_selectorELNS0_4arch9wavefront6targetE1EEEvSL_
; %bb.0:
	.section	.rodata,"a",@progbits
	.p2align	6, 0x0
	.amdhsa_kernel _ZN7rocprim17ROCPRIM_400000_NS6detail17trampoline_kernelINS0_14default_configENS1_38merge_sort_block_merge_config_selectorIiNS0_10empty_typeEEEZZNS1_27merge_sort_block_merge_implIS3_N6thrust23THRUST_200600_302600_NS6detail15normal_iteratorINS9_10device_ptrIiEEEEPS5_jNS1_19radix_merge_compareILb0ELb0EiNS0_19identity_decomposerEEEEE10hipError_tT0_T1_T2_jT3_P12ihipStream_tbPNSt15iterator_traitsISK_E10value_typeEPNSQ_ISL_E10value_typeEPSM_NS1_7vsmem_tEENKUlT_SK_SL_SM_E_clIPiSE_SF_SF_EESJ_SZ_SK_SL_SM_EUlSZ_E_NS1_11comp_targetILNS1_3genE2ELNS1_11target_archE906ELNS1_3gpuE6ELNS1_3repE0EEENS1_48merge_mergepath_partition_config_static_selectorELNS0_4arch9wavefront6targetE1EEEvSL_
		.amdhsa_group_segment_fixed_size 0
		.amdhsa_private_segment_fixed_size 0
		.amdhsa_kernarg_size 40
		.amdhsa_user_sgpr_count 6
		.amdhsa_user_sgpr_private_segment_buffer 1
		.amdhsa_user_sgpr_dispatch_ptr 0
		.amdhsa_user_sgpr_queue_ptr 0
		.amdhsa_user_sgpr_kernarg_segment_ptr 1
		.amdhsa_user_sgpr_dispatch_id 0
		.amdhsa_user_sgpr_flat_scratch_init 0
		.amdhsa_user_sgpr_kernarg_preload_length 0
		.amdhsa_user_sgpr_kernarg_preload_offset 0
		.amdhsa_user_sgpr_private_segment_size 0
		.amdhsa_uses_dynamic_stack 0
		.amdhsa_system_sgpr_private_segment_wavefront_offset 0
		.amdhsa_system_sgpr_workgroup_id_x 1
		.amdhsa_system_sgpr_workgroup_id_y 0
		.amdhsa_system_sgpr_workgroup_id_z 0
		.amdhsa_system_sgpr_workgroup_info 0
		.amdhsa_system_vgpr_workitem_id 0
		.amdhsa_next_free_vgpr 1
		.amdhsa_next_free_sgpr 0
		.amdhsa_accum_offset 4
		.amdhsa_reserve_vcc 0
		.amdhsa_reserve_flat_scratch 0
		.amdhsa_float_round_mode_32 0
		.amdhsa_float_round_mode_16_64 0
		.amdhsa_float_denorm_mode_32 3
		.amdhsa_float_denorm_mode_16_64 3
		.amdhsa_dx10_clamp 1
		.amdhsa_ieee_mode 1
		.amdhsa_fp16_overflow 0
		.amdhsa_tg_split 0
		.amdhsa_exception_fp_ieee_invalid_op 0
		.amdhsa_exception_fp_denorm_src 0
		.amdhsa_exception_fp_ieee_div_zero 0
		.amdhsa_exception_fp_ieee_overflow 0
		.amdhsa_exception_fp_ieee_underflow 0
		.amdhsa_exception_fp_ieee_inexact 0
		.amdhsa_exception_int_div_zero 0
	.end_amdhsa_kernel
	.section	.text._ZN7rocprim17ROCPRIM_400000_NS6detail17trampoline_kernelINS0_14default_configENS1_38merge_sort_block_merge_config_selectorIiNS0_10empty_typeEEEZZNS1_27merge_sort_block_merge_implIS3_N6thrust23THRUST_200600_302600_NS6detail15normal_iteratorINS9_10device_ptrIiEEEEPS5_jNS1_19radix_merge_compareILb0ELb0EiNS0_19identity_decomposerEEEEE10hipError_tT0_T1_T2_jT3_P12ihipStream_tbPNSt15iterator_traitsISK_E10value_typeEPNSQ_ISL_E10value_typeEPSM_NS1_7vsmem_tEENKUlT_SK_SL_SM_E_clIPiSE_SF_SF_EESJ_SZ_SK_SL_SM_EUlSZ_E_NS1_11comp_targetILNS1_3genE2ELNS1_11target_archE906ELNS1_3gpuE6ELNS1_3repE0EEENS1_48merge_mergepath_partition_config_static_selectorELNS0_4arch9wavefront6targetE1EEEvSL_,"axG",@progbits,_ZN7rocprim17ROCPRIM_400000_NS6detail17trampoline_kernelINS0_14default_configENS1_38merge_sort_block_merge_config_selectorIiNS0_10empty_typeEEEZZNS1_27merge_sort_block_merge_implIS3_N6thrust23THRUST_200600_302600_NS6detail15normal_iteratorINS9_10device_ptrIiEEEEPS5_jNS1_19radix_merge_compareILb0ELb0EiNS0_19identity_decomposerEEEEE10hipError_tT0_T1_T2_jT3_P12ihipStream_tbPNSt15iterator_traitsISK_E10value_typeEPNSQ_ISL_E10value_typeEPSM_NS1_7vsmem_tEENKUlT_SK_SL_SM_E_clIPiSE_SF_SF_EESJ_SZ_SK_SL_SM_EUlSZ_E_NS1_11comp_targetILNS1_3genE2ELNS1_11target_archE906ELNS1_3gpuE6ELNS1_3repE0EEENS1_48merge_mergepath_partition_config_static_selectorELNS0_4arch9wavefront6targetE1EEEvSL_,comdat
.Lfunc_end1619:
	.size	_ZN7rocprim17ROCPRIM_400000_NS6detail17trampoline_kernelINS0_14default_configENS1_38merge_sort_block_merge_config_selectorIiNS0_10empty_typeEEEZZNS1_27merge_sort_block_merge_implIS3_N6thrust23THRUST_200600_302600_NS6detail15normal_iteratorINS9_10device_ptrIiEEEEPS5_jNS1_19radix_merge_compareILb0ELb0EiNS0_19identity_decomposerEEEEE10hipError_tT0_T1_T2_jT3_P12ihipStream_tbPNSt15iterator_traitsISK_E10value_typeEPNSQ_ISL_E10value_typeEPSM_NS1_7vsmem_tEENKUlT_SK_SL_SM_E_clIPiSE_SF_SF_EESJ_SZ_SK_SL_SM_EUlSZ_E_NS1_11comp_targetILNS1_3genE2ELNS1_11target_archE906ELNS1_3gpuE6ELNS1_3repE0EEENS1_48merge_mergepath_partition_config_static_selectorELNS0_4arch9wavefront6targetE1EEEvSL_, .Lfunc_end1619-_ZN7rocprim17ROCPRIM_400000_NS6detail17trampoline_kernelINS0_14default_configENS1_38merge_sort_block_merge_config_selectorIiNS0_10empty_typeEEEZZNS1_27merge_sort_block_merge_implIS3_N6thrust23THRUST_200600_302600_NS6detail15normal_iteratorINS9_10device_ptrIiEEEEPS5_jNS1_19radix_merge_compareILb0ELb0EiNS0_19identity_decomposerEEEEE10hipError_tT0_T1_T2_jT3_P12ihipStream_tbPNSt15iterator_traitsISK_E10value_typeEPNSQ_ISL_E10value_typeEPSM_NS1_7vsmem_tEENKUlT_SK_SL_SM_E_clIPiSE_SF_SF_EESJ_SZ_SK_SL_SM_EUlSZ_E_NS1_11comp_targetILNS1_3genE2ELNS1_11target_archE906ELNS1_3gpuE6ELNS1_3repE0EEENS1_48merge_mergepath_partition_config_static_selectorELNS0_4arch9wavefront6targetE1EEEvSL_
                                        ; -- End function
	.section	.AMDGPU.csdata,"",@progbits
; Kernel info:
; codeLenInByte = 0
; NumSgprs: 4
; NumVgprs: 0
; NumAgprs: 0
; TotalNumVgprs: 0
; ScratchSize: 0
; MemoryBound: 0
; FloatMode: 240
; IeeeMode: 1
; LDSByteSize: 0 bytes/workgroup (compile time only)
; SGPRBlocks: 0
; VGPRBlocks: 0
; NumSGPRsForWavesPerEU: 4
; NumVGPRsForWavesPerEU: 1
; AccumOffset: 4
; Occupancy: 8
; WaveLimiterHint : 0
; COMPUTE_PGM_RSRC2:SCRATCH_EN: 0
; COMPUTE_PGM_RSRC2:USER_SGPR: 6
; COMPUTE_PGM_RSRC2:TRAP_HANDLER: 0
; COMPUTE_PGM_RSRC2:TGID_X_EN: 1
; COMPUTE_PGM_RSRC2:TGID_Y_EN: 0
; COMPUTE_PGM_RSRC2:TGID_Z_EN: 0
; COMPUTE_PGM_RSRC2:TIDIG_COMP_CNT: 0
; COMPUTE_PGM_RSRC3_GFX90A:ACCUM_OFFSET: 0
; COMPUTE_PGM_RSRC3_GFX90A:TG_SPLIT: 0
	.section	.text._ZN7rocprim17ROCPRIM_400000_NS6detail17trampoline_kernelINS0_14default_configENS1_38merge_sort_block_merge_config_selectorIiNS0_10empty_typeEEEZZNS1_27merge_sort_block_merge_implIS3_N6thrust23THRUST_200600_302600_NS6detail15normal_iteratorINS9_10device_ptrIiEEEEPS5_jNS1_19radix_merge_compareILb0ELb0EiNS0_19identity_decomposerEEEEE10hipError_tT0_T1_T2_jT3_P12ihipStream_tbPNSt15iterator_traitsISK_E10value_typeEPNSQ_ISL_E10value_typeEPSM_NS1_7vsmem_tEENKUlT_SK_SL_SM_E_clIPiSE_SF_SF_EESJ_SZ_SK_SL_SM_EUlSZ_E_NS1_11comp_targetILNS1_3genE9ELNS1_11target_archE1100ELNS1_3gpuE3ELNS1_3repE0EEENS1_48merge_mergepath_partition_config_static_selectorELNS0_4arch9wavefront6targetE1EEEvSL_,"axG",@progbits,_ZN7rocprim17ROCPRIM_400000_NS6detail17trampoline_kernelINS0_14default_configENS1_38merge_sort_block_merge_config_selectorIiNS0_10empty_typeEEEZZNS1_27merge_sort_block_merge_implIS3_N6thrust23THRUST_200600_302600_NS6detail15normal_iteratorINS9_10device_ptrIiEEEEPS5_jNS1_19radix_merge_compareILb0ELb0EiNS0_19identity_decomposerEEEEE10hipError_tT0_T1_T2_jT3_P12ihipStream_tbPNSt15iterator_traitsISK_E10value_typeEPNSQ_ISL_E10value_typeEPSM_NS1_7vsmem_tEENKUlT_SK_SL_SM_E_clIPiSE_SF_SF_EESJ_SZ_SK_SL_SM_EUlSZ_E_NS1_11comp_targetILNS1_3genE9ELNS1_11target_archE1100ELNS1_3gpuE3ELNS1_3repE0EEENS1_48merge_mergepath_partition_config_static_selectorELNS0_4arch9wavefront6targetE1EEEvSL_,comdat
	.protected	_ZN7rocprim17ROCPRIM_400000_NS6detail17trampoline_kernelINS0_14default_configENS1_38merge_sort_block_merge_config_selectorIiNS0_10empty_typeEEEZZNS1_27merge_sort_block_merge_implIS3_N6thrust23THRUST_200600_302600_NS6detail15normal_iteratorINS9_10device_ptrIiEEEEPS5_jNS1_19radix_merge_compareILb0ELb0EiNS0_19identity_decomposerEEEEE10hipError_tT0_T1_T2_jT3_P12ihipStream_tbPNSt15iterator_traitsISK_E10value_typeEPNSQ_ISL_E10value_typeEPSM_NS1_7vsmem_tEENKUlT_SK_SL_SM_E_clIPiSE_SF_SF_EESJ_SZ_SK_SL_SM_EUlSZ_E_NS1_11comp_targetILNS1_3genE9ELNS1_11target_archE1100ELNS1_3gpuE3ELNS1_3repE0EEENS1_48merge_mergepath_partition_config_static_selectorELNS0_4arch9wavefront6targetE1EEEvSL_ ; -- Begin function _ZN7rocprim17ROCPRIM_400000_NS6detail17trampoline_kernelINS0_14default_configENS1_38merge_sort_block_merge_config_selectorIiNS0_10empty_typeEEEZZNS1_27merge_sort_block_merge_implIS3_N6thrust23THRUST_200600_302600_NS6detail15normal_iteratorINS9_10device_ptrIiEEEEPS5_jNS1_19radix_merge_compareILb0ELb0EiNS0_19identity_decomposerEEEEE10hipError_tT0_T1_T2_jT3_P12ihipStream_tbPNSt15iterator_traitsISK_E10value_typeEPNSQ_ISL_E10value_typeEPSM_NS1_7vsmem_tEENKUlT_SK_SL_SM_E_clIPiSE_SF_SF_EESJ_SZ_SK_SL_SM_EUlSZ_E_NS1_11comp_targetILNS1_3genE9ELNS1_11target_archE1100ELNS1_3gpuE3ELNS1_3repE0EEENS1_48merge_mergepath_partition_config_static_selectorELNS0_4arch9wavefront6targetE1EEEvSL_
	.globl	_ZN7rocprim17ROCPRIM_400000_NS6detail17trampoline_kernelINS0_14default_configENS1_38merge_sort_block_merge_config_selectorIiNS0_10empty_typeEEEZZNS1_27merge_sort_block_merge_implIS3_N6thrust23THRUST_200600_302600_NS6detail15normal_iteratorINS9_10device_ptrIiEEEEPS5_jNS1_19radix_merge_compareILb0ELb0EiNS0_19identity_decomposerEEEEE10hipError_tT0_T1_T2_jT3_P12ihipStream_tbPNSt15iterator_traitsISK_E10value_typeEPNSQ_ISL_E10value_typeEPSM_NS1_7vsmem_tEENKUlT_SK_SL_SM_E_clIPiSE_SF_SF_EESJ_SZ_SK_SL_SM_EUlSZ_E_NS1_11comp_targetILNS1_3genE9ELNS1_11target_archE1100ELNS1_3gpuE3ELNS1_3repE0EEENS1_48merge_mergepath_partition_config_static_selectorELNS0_4arch9wavefront6targetE1EEEvSL_
	.p2align	8
	.type	_ZN7rocprim17ROCPRIM_400000_NS6detail17trampoline_kernelINS0_14default_configENS1_38merge_sort_block_merge_config_selectorIiNS0_10empty_typeEEEZZNS1_27merge_sort_block_merge_implIS3_N6thrust23THRUST_200600_302600_NS6detail15normal_iteratorINS9_10device_ptrIiEEEEPS5_jNS1_19radix_merge_compareILb0ELb0EiNS0_19identity_decomposerEEEEE10hipError_tT0_T1_T2_jT3_P12ihipStream_tbPNSt15iterator_traitsISK_E10value_typeEPNSQ_ISL_E10value_typeEPSM_NS1_7vsmem_tEENKUlT_SK_SL_SM_E_clIPiSE_SF_SF_EESJ_SZ_SK_SL_SM_EUlSZ_E_NS1_11comp_targetILNS1_3genE9ELNS1_11target_archE1100ELNS1_3gpuE3ELNS1_3repE0EEENS1_48merge_mergepath_partition_config_static_selectorELNS0_4arch9wavefront6targetE1EEEvSL_,@function
_ZN7rocprim17ROCPRIM_400000_NS6detail17trampoline_kernelINS0_14default_configENS1_38merge_sort_block_merge_config_selectorIiNS0_10empty_typeEEEZZNS1_27merge_sort_block_merge_implIS3_N6thrust23THRUST_200600_302600_NS6detail15normal_iteratorINS9_10device_ptrIiEEEEPS5_jNS1_19radix_merge_compareILb0ELb0EiNS0_19identity_decomposerEEEEE10hipError_tT0_T1_T2_jT3_P12ihipStream_tbPNSt15iterator_traitsISK_E10value_typeEPNSQ_ISL_E10value_typeEPSM_NS1_7vsmem_tEENKUlT_SK_SL_SM_E_clIPiSE_SF_SF_EESJ_SZ_SK_SL_SM_EUlSZ_E_NS1_11comp_targetILNS1_3genE9ELNS1_11target_archE1100ELNS1_3gpuE3ELNS1_3repE0EEENS1_48merge_mergepath_partition_config_static_selectorELNS0_4arch9wavefront6targetE1EEEvSL_: ; @_ZN7rocprim17ROCPRIM_400000_NS6detail17trampoline_kernelINS0_14default_configENS1_38merge_sort_block_merge_config_selectorIiNS0_10empty_typeEEEZZNS1_27merge_sort_block_merge_implIS3_N6thrust23THRUST_200600_302600_NS6detail15normal_iteratorINS9_10device_ptrIiEEEEPS5_jNS1_19radix_merge_compareILb0ELb0EiNS0_19identity_decomposerEEEEE10hipError_tT0_T1_T2_jT3_P12ihipStream_tbPNSt15iterator_traitsISK_E10value_typeEPNSQ_ISL_E10value_typeEPSM_NS1_7vsmem_tEENKUlT_SK_SL_SM_E_clIPiSE_SF_SF_EESJ_SZ_SK_SL_SM_EUlSZ_E_NS1_11comp_targetILNS1_3genE9ELNS1_11target_archE1100ELNS1_3gpuE3ELNS1_3repE0EEENS1_48merge_mergepath_partition_config_static_selectorELNS0_4arch9wavefront6targetE1EEEvSL_
; %bb.0:
	.section	.rodata,"a",@progbits
	.p2align	6, 0x0
	.amdhsa_kernel _ZN7rocprim17ROCPRIM_400000_NS6detail17trampoline_kernelINS0_14default_configENS1_38merge_sort_block_merge_config_selectorIiNS0_10empty_typeEEEZZNS1_27merge_sort_block_merge_implIS3_N6thrust23THRUST_200600_302600_NS6detail15normal_iteratorINS9_10device_ptrIiEEEEPS5_jNS1_19radix_merge_compareILb0ELb0EiNS0_19identity_decomposerEEEEE10hipError_tT0_T1_T2_jT3_P12ihipStream_tbPNSt15iterator_traitsISK_E10value_typeEPNSQ_ISL_E10value_typeEPSM_NS1_7vsmem_tEENKUlT_SK_SL_SM_E_clIPiSE_SF_SF_EESJ_SZ_SK_SL_SM_EUlSZ_E_NS1_11comp_targetILNS1_3genE9ELNS1_11target_archE1100ELNS1_3gpuE3ELNS1_3repE0EEENS1_48merge_mergepath_partition_config_static_selectorELNS0_4arch9wavefront6targetE1EEEvSL_
		.amdhsa_group_segment_fixed_size 0
		.amdhsa_private_segment_fixed_size 0
		.amdhsa_kernarg_size 40
		.amdhsa_user_sgpr_count 6
		.amdhsa_user_sgpr_private_segment_buffer 1
		.amdhsa_user_sgpr_dispatch_ptr 0
		.amdhsa_user_sgpr_queue_ptr 0
		.amdhsa_user_sgpr_kernarg_segment_ptr 1
		.amdhsa_user_sgpr_dispatch_id 0
		.amdhsa_user_sgpr_flat_scratch_init 0
		.amdhsa_user_sgpr_kernarg_preload_length 0
		.amdhsa_user_sgpr_kernarg_preload_offset 0
		.amdhsa_user_sgpr_private_segment_size 0
		.amdhsa_uses_dynamic_stack 0
		.amdhsa_system_sgpr_private_segment_wavefront_offset 0
		.amdhsa_system_sgpr_workgroup_id_x 1
		.amdhsa_system_sgpr_workgroup_id_y 0
		.amdhsa_system_sgpr_workgroup_id_z 0
		.amdhsa_system_sgpr_workgroup_info 0
		.amdhsa_system_vgpr_workitem_id 0
		.amdhsa_next_free_vgpr 1
		.amdhsa_next_free_sgpr 0
		.amdhsa_accum_offset 4
		.amdhsa_reserve_vcc 0
		.amdhsa_reserve_flat_scratch 0
		.amdhsa_float_round_mode_32 0
		.amdhsa_float_round_mode_16_64 0
		.amdhsa_float_denorm_mode_32 3
		.amdhsa_float_denorm_mode_16_64 3
		.amdhsa_dx10_clamp 1
		.amdhsa_ieee_mode 1
		.amdhsa_fp16_overflow 0
		.amdhsa_tg_split 0
		.amdhsa_exception_fp_ieee_invalid_op 0
		.amdhsa_exception_fp_denorm_src 0
		.amdhsa_exception_fp_ieee_div_zero 0
		.amdhsa_exception_fp_ieee_overflow 0
		.amdhsa_exception_fp_ieee_underflow 0
		.amdhsa_exception_fp_ieee_inexact 0
		.amdhsa_exception_int_div_zero 0
	.end_amdhsa_kernel
	.section	.text._ZN7rocprim17ROCPRIM_400000_NS6detail17trampoline_kernelINS0_14default_configENS1_38merge_sort_block_merge_config_selectorIiNS0_10empty_typeEEEZZNS1_27merge_sort_block_merge_implIS3_N6thrust23THRUST_200600_302600_NS6detail15normal_iteratorINS9_10device_ptrIiEEEEPS5_jNS1_19radix_merge_compareILb0ELb0EiNS0_19identity_decomposerEEEEE10hipError_tT0_T1_T2_jT3_P12ihipStream_tbPNSt15iterator_traitsISK_E10value_typeEPNSQ_ISL_E10value_typeEPSM_NS1_7vsmem_tEENKUlT_SK_SL_SM_E_clIPiSE_SF_SF_EESJ_SZ_SK_SL_SM_EUlSZ_E_NS1_11comp_targetILNS1_3genE9ELNS1_11target_archE1100ELNS1_3gpuE3ELNS1_3repE0EEENS1_48merge_mergepath_partition_config_static_selectorELNS0_4arch9wavefront6targetE1EEEvSL_,"axG",@progbits,_ZN7rocprim17ROCPRIM_400000_NS6detail17trampoline_kernelINS0_14default_configENS1_38merge_sort_block_merge_config_selectorIiNS0_10empty_typeEEEZZNS1_27merge_sort_block_merge_implIS3_N6thrust23THRUST_200600_302600_NS6detail15normal_iteratorINS9_10device_ptrIiEEEEPS5_jNS1_19radix_merge_compareILb0ELb0EiNS0_19identity_decomposerEEEEE10hipError_tT0_T1_T2_jT3_P12ihipStream_tbPNSt15iterator_traitsISK_E10value_typeEPNSQ_ISL_E10value_typeEPSM_NS1_7vsmem_tEENKUlT_SK_SL_SM_E_clIPiSE_SF_SF_EESJ_SZ_SK_SL_SM_EUlSZ_E_NS1_11comp_targetILNS1_3genE9ELNS1_11target_archE1100ELNS1_3gpuE3ELNS1_3repE0EEENS1_48merge_mergepath_partition_config_static_selectorELNS0_4arch9wavefront6targetE1EEEvSL_,comdat
.Lfunc_end1620:
	.size	_ZN7rocprim17ROCPRIM_400000_NS6detail17trampoline_kernelINS0_14default_configENS1_38merge_sort_block_merge_config_selectorIiNS0_10empty_typeEEEZZNS1_27merge_sort_block_merge_implIS3_N6thrust23THRUST_200600_302600_NS6detail15normal_iteratorINS9_10device_ptrIiEEEEPS5_jNS1_19radix_merge_compareILb0ELb0EiNS0_19identity_decomposerEEEEE10hipError_tT0_T1_T2_jT3_P12ihipStream_tbPNSt15iterator_traitsISK_E10value_typeEPNSQ_ISL_E10value_typeEPSM_NS1_7vsmem_tEENKUlT_SK_SL_SM_E_clIPiSE_SF_SF_EESJ_SZ_SK_SL_SM_EUlSZ_E_NS1_11comp_targetILNS1_3genE9ELNS1_11target_archE1100ELNS1_3gpuE3ELNS1_3repE0EEENS1_48merge_mergepath_partition_config_static_selectorELNS0_4arch9wavefront6targetE1EEEvSL_, .Lfunc_end1620-_ZN7rocprim17ROCPRIM_400000_NS6detail17trampoline_kernelINS0_14default_configENS1_38merge_sort_block_merge_config_selectorIiNS0_10empty_typeEEEZZNS1_27merge_sort_block_merge_implIS3_N6thrust23THRUST_200600_302600_NS6detail15normal_iteratorINS9_10device_ptrIiEEEEPS5_jNS1_19radix_merge_compareILb0ELb0EiNS0_19identity_decomposerEEEEE10hipError_tT0_T1_T2_jT3_P12ihipStream_tbPNSt15iterator_traitsISK_E10value_typeEPNSQ_ISL_E10value_typeEPSM_NS1_7vsmem_tEENKUlT_SK_SL_SM_E_clIPiSE_SF_SF_EESJ_SZ_SK_SL_SM_EUlSZ_E_NS1_11comp_targetILNS1_3genE9ELNS1_11target_archE1100ELNS1_3gpuE3ELNS1_3repE0EEENS1_48merge_mergepath_partition_config_static_selectorELNS0_4arch9wavefront6targetE1EEEvSL_
                                        ; -- End function
	.section	.AMDGPU.csdata,"",@progbits
; Kernel info:
; codeLenInByte = 0
; NumSgprs: 4
; NumVgprs: 0
; NumAgprs: 0
; TotalNumVgprs: 0
; ScratchSize: 0
; MemoryBound: 0
; FloatMode: 240
; IeeeMode: 1
; LDSByteSize: 0 bytes/workgroup (compile time only)
; SGPRBlocks: 0
; VGPRBlocks: 0
; NumSGPRsForWavesPerEU: 4
; NumVGPRsForWavesPerEU: 1
; AccumOffset: 4
; Occupancy: 8
; WaveLimiterHint : 0
; COMPUTE_PGM_RSRC2:SCRATCH_EN: 0
; COMPUTE_PGM_RSRC2:USER_SGPR: 6
; COMPUTE_PGM_RSRC2:TRAP_HANDLER: 0
; COMPUTE_PGM_RSRC2:TGID_X_EN: 1
; COMPUTE_PGM_RSRC2:TGID_Y_EN: 0
; COMPUTE_PGM_RSRC2:TGID_Z_EN: 0
; COMPUTE_PGM_RSRC2:TIDIG_COMP_CNT: 0
; COMPUTE_PGM_RSRC3_GFX90A:ACCUM_OFFSET: 0
; COMPUTE_PGM_RSRC3_GFX90A:TG_SPLIT: 0
	.section	.text._ZN7rocprim17ROCPRIM_400000_NS6detail17trampoline_kernelINS0_14default_configENS1_38merge_sort_block_merge_config_selectorIiNS0_10empty_typeEEEZZNS1_27merge_sort_block_merge_implIS3_N6thrust23THRUST_200600_302600_NS6detail15normal_iteratorINS9_10device_ptrIiEEEEPS5_jNS1_19radix_merge_compareILb0ELb0EiNS0_19identity_decomposerEEEEE10hipError_tT0_T1_T2_jT3_P12ihipStream_tbPNSt15iterator_traitsISK_E10value_typeEPNSQ_ISL_E10value_typeEPSM_NS1_7vsmem_tEENKUlT_SK_SL_SM_E_clIPiSE_SF_SF_EESJ_SZ_SK_SL_SM_EUlSZ_E_NS1_11comp_targetILNS1_3genE8ELNS1_11target_archE1030ELNS1_3gpuE2ELNS1_3repE0EEENS1_48merge_mergepath_partition_config_static_selectorELNS0_4arch9wavefront6targetE1EEEvSL_,"axG",@progbits,_ZN7rocprim17ROCPRIM_400000_NS6detail17trampoline_kernelINS0_14default_configENS1_38merge_sort_block_merge_config_selectorIiNS0_10empty_typeEEEZZNS1_27merge_sort_block_merge_implIS3_N6thrust23THRUST_200600_302600_NS6detail15normal_iteratorINS9_10device_ptrIiEEEEPS5_jNS1_19radix_merge_compareILb0ELb0EiNS0_19identity_decomposerEEEEE10hipError_tT0_T1_T2_jT3_P12ihipStream_tbPNSt15iterator_traitsISK_E10value_typeEPNSQ_ISL_E10value_typeEPSM_NS1_7vsmem_tEENKUlT_SK_SL_SM_E_clIPiSE_SF_SF_EESJ_SZ_SK_SL_SM_EUlSZ_E_NS1_11comp_targetILNS1_3genE8ELNS1_11target_archE1030ELNS1_3gpuE2ELNS1_3repE0EEENS1_48merge_mergepath_partition_config_static_selectorELNS0_4arch9wavefront6targetE1EEEvSL_,comdat
	.protected	_ZN7rocprim17ROCPRIM_400000_NS6detail17trampoline_kernelINS0_14default_configENS1_38merge_sort_block_merge_config_selectorIiNS0_10empty_typeEEEZZNS1_27merge_sort_block_merge_implIS3_N6thrust23THRUST_200600_302600_NS6detail15normal_iteratorINS9_10device_ptrIiEEEEPS5_jNS1_19radix_merge_compareILb0ELb0EiNS0_19identity_decomposerEEEEE10hipError_tT0_T1_T2_jT3_P12ihipStream_tbPNSt15iterator_traitsISK_E10value_typeEPNSQ_ISL_E10value_typeEPSM_NS1_7vsmem_tEENKUlT_SK_SL_SM_E_clIPiSE_SF_SF_EESJ_SZ_SK_SL_SM_EUlSZ_E_NS1_11comp_targetILNS1_3genE8ELNS1_11target_archE1030ELNS1_3gpuE2ELNS1_3repE0EEENS1_48merge_mergepath_partition_config_static_selectorELNS0_4arch9wavefront6targetE1EEEvSL_ ; -- Begin function _ZN7rocprim17ROCPRIM_400000_NS6detail17trampoline_kernelINS0_14default_configENS1_38merge_sort_block_merge_config_selectorIiNS0_10empty_typeEEEZZNS1_27merge_sort_block_merge_implIS3_N6thrust23THRUST_200600_302600_NS6detail15normal_iteratorINS9_10device_ptrIiEEEEPS5_jNS1_19radix_merge_compareILb0ELb0EiNS0_19identity_decomposerEEEEE10hipError_tT0_T1_T2_jT3_P12ihipStream_tbPNSt15iterator_traitsISK_E10value_typeEPNSQ_ISL_E10value_typeEPSM_NS1_7vsmem_tEENKUlT_SK_SL_SM_E_clIPiSE_SF_SF_EESJ_SZ_SK_SL_SM_EUlSZ_E_NS1_11comp_targetILNS1_3genE8ELNS1_11target_archE1030ELNS1_3gpuE2ELNS1_3repE0EEENS1_48merge_mergepath_partition_config_static_selectorELNS0_4arch9wavefront6targetE1EEEvSL_
	.globl	_ZN7rocprim17ROCPRIM_400000_NS6detail17trampoline_kernelINS0_14default_configENS1_38merge_sort_block_merge_config_selectorIiNS0_10empty_typeEEEZZNS1_27merge_sort_block_merge_implIS3_N6thrust23THRUST_200600_302600_NS6detail15normal_iteratorINS9_10device_ptrIiEEEEPS5_jNS1_19radix_merge_compareILb0ELb0EiNS0_19identity_decomposerEEEEE10hipError_tT0_T1_T2_jT3_P12ihipStream_tbPNSt15iterator_traitsISK_E10value_typeEPNSQ_ISL_E10value_typeEPSM_NS1_7vsmem_tEENKUlT_SK_SL_SM_E_clIPiSE_SF_SF_EESJ_SZ_SK_SL_SM_EUlSZ_E_NS1_11comp_targetILNS1_3genE8ELNS1_11target_archE1030ELNS1_3gpuE2ELNS1_3repE0EEENS1_48merge_mergepath_partition_config_static_selectorELNS0_4arch9wavefront6targetE1EEEvSL_
	.p2align	8
	.type	_ZN7rocprim17ROCPRIM_400000_NS6detail17trampoline_kernelINS0_14default_configENS1_38merge_sort_block_merge_config_selectorIiNS0_10empty_typeEEEZZNS1_27merge_sort_block_merge_implIS3_N6thrust23THRUST_200600_302600_NS6detail15normal_iteratorINS9_10device_ptrIiEEEEPS5_jNS1_19radix_merge_compareILb0ELb0EiNS0_19identity_decomposerEEEEE10hipError_tT0_T1_T2_jT3_P12ihipStream_tbPNSt15iterator_traitsISK_E10value_typeEPNSQ_ISL_E10value_typeEPSM_NS1_7vsmem_tEENKUlT_SK_SL_SM_E_clIPiSE_SF_SF_EESJ_SZ_SK_SL_SM_EUlSZ_E_NS1_11comp_targetILNS1_3genE8ELNS1_11target_archE1030ELNS1_3gpuE2ELNS1_3repE0EEENS1_48merge_mergepath_partition_config_static_selectorELNS0_4arch9wavefront6targetE1EEEvSL_,@function
_ZN7rocprim17ROCPRIM_400000_NS6detail17trampoline_kernelINS0_14default_configENS1_38merge_sort_block_merge_config_selectorIiNS0_10empty_typeEEEZZNS1_27merge_sort_block_merge_implIS3_N6thrust23THRUST_200600_302600_NS6detail15normal_iteratorINS9_10device_ptrIiEEEEPS5_jNS1_19radix_merge_compareILb0ELb0EiNS0_19identity_decomposerEEEEE10hipError_tT0_T1_T2_jT3_P12ihipStream_tbPNSt15iterator_traitsISK_E10value_typeEPNSQ_ISL_E10value_typeEPSM_NS1_7vsmem_tEENKUlT_SK_SL_SM_E_clIPiSE_SF_SF_EESJ_SZ_SK_SL_SM_EUlSZ_E_NS1_11comp_targetILNS1_3genE8ELNS1_11target_archE1030ELNS1_3gpuE2ELNS1_3repE0EEENS1_48merge_mergepath_partition_config_static_selectorELNS0_4arch9wavefront6targetE1EEEvSL_: ; @_ZN7rocprim17ROCPRIM_400000_NS6detail17trampoline_kernelINS0_14default_configENS1_38merge_sort_block_merge_config_selectorIiNS0_10empty_typeEEEZZNS1_27merge_sort_block_merge_implIS3_N6thrust23THRUST_200600_302600_NS6detail15normal_iteratorINS9_10device_ptrIiEEEEPS5_jNS1_19radix_merge_compareILb0ELb0EiNS0_19identity_decomposerEEEEE10hipError_tT0_T1_T2_jT3_P12ihipStream_tbPNSt15iterator_traitsISK_E10value_typeEPNSQ_ISL_E10value_typeEPSM_NS1_7vsmem_tEENKUlT_SK_SL_SM_E_clIPiSE_SF_SF_EESJ_SZ_SK_SL_SM_EUlSZ_E_NS1_11comp_targetILNS1_3genE8ELNS1_11target_archE1030ELNS1_3gpuE2ELNS1_3repE0EEENS1_48merge_mergepath_partition_config_static_selectorELNS0_4arch9wavefront6targetE1EEEvSL_
; %bb.0:
	.section	.rodata,"a",@progbits
	.p2align	6, 0x0
	.amdhsa_kernel _ZN7rocprim17ROCPRIM_400000_NS6detail17trampoline_kernelINS0_14default_configENS1_38merge_sort_block_merge_config_selectorIiNS0_10empty_typeEEEZZNS1_27merge_sort_block_merge_implIS3_N6thrust23THRUST_200600_302600_NS6detail15normal_iteratorINS9_10device_ptrIiEEEEPS5_jNS1_19radix_merge_compareILb0ELb0EiNS0_19identity_decomposerEEEEE10hipError_tT0_T1_T2_jT3_P12ihipStream_tbPNSt15iterator_traitsISK_E10value_typeEPNSQ_ISL_E10value_typeEPSM_NS1_7vsmem_tEENKUlT_SK_SL_SM_E_clIPiSE_SF_SF_EESJ_SZ_SK_SL_SM_EUlSZ_E_NS1_11comp_targetILNS1_3genE8ELNS1_11target_archE1030ELNS1_3gpuE2ELNS1_3repE0EEENS1_48merge_mergepath_partition_config_static_selectorELNS0_4arch9wavefront6targetE1EEEvSL_
		.amdhsa_group_segment_fixed_size 0
		.amdhsa_private_segment_fixed_size 0
		.amdhsa_kernarg_size 40
		.amdhsa_user_sgpr_count 6
		.amdhsa_user_sgpr_private_segment_buffer 1
		.amdhsa_user_sgpr_dispatch_ptr 0
		.amdhsa_user_sgpr_queue_ptr 0
		.amdhsa_user_sgpr_kernarg_segment_ptr 1
		.amdhsa_user_sgpr_dispatch_id 0
		.amdhsa_user_sgpr_flat_scratch_init 0
		.amdhsa_user_sgpr_kernarg_preload_length 0
		.amdhsa_user_sgpr_kernarg_preload_offset 0
		.amdhsa_user_sgpr_private_segment_size 0
		.amdhsa_uses_dynamic_stack 0
		.amdhsa_system_sgpr_private_segment_wavefront_offset 0
		.amdhsa_system_sgpr_workgroup_id_x 1
		.amdhsa_system_sgpr_workgroup_id_y 0
		.amdhsa_system_sgpr_workgroup_id_z 0
		.amdhsa_system_sgpr_workgroup_info 0
		.amdhsa_system_vgpr_workitem_id 0
		.amdhsa_next_free_vgpr 1
		.amdhsa_next_free_sgpr 0
		.amdhsa_accum_offset 4
		.amdhsa_reserve_vcc 0
		.amdhsa_reserve_flat_scratch 0
		.amdhsa_float_round_mode_32 0
		.amdhsa_float_round_mode_16_64 0
		.amdhsa_float_denorm_mode_32 3
		.amdhsa_float_denorm_mode_16_64 3
		.amdhsa_dx10_clamp 1
		.amdhsa_ieee_mode 1
		.amdhsa_fp16_overflow 0
		.amdhsa_tg_split 0
		.amdhsa_exception_fp_ieee_invalid_op 0
		.amdhsa_exception_fp_denorm_src 0
		.amdhsa_exception_fp_ieee_div_zero 0
		.amdhsa_exception_fp_ieee_overflow 0
		.amdhsa_exception_fp_ieee_underflow 0
		.amdhsa_exception_fp_ieee_inexact 0
		.amdhsa_exception_int_div_zero 0
	.end_amdhsa_kernel
	.section	.text._ZN7rocprim17ROCPRIM_400000_NS6detail17trampoline_kernelINS0_14default_configENS1_38merge_sort_block_merge_config_selectorIiNS0_10empty_typeEEEZZNS1_27merge_sort_block_merge_implIS3_N6thrust23THRUST_200600_302600_NS6detail15normal_iteratorINS9_10device_ptrIiEEEEPS5_jNS1_19radix_merge_compareILb0ELb0EiNS0_19identity_decomposerEEEEE10hipError_tT0_T1_T2_jT3_P12ihipStream_tbPNSt15iterator_traitsISK_E10value_typeEPNSQ_ISL_E10value_typeEPSM_NS1_7vsmem_tEENKUlT_SK_SL_SM_E_clIPiSE_SF_SF_EESJ_SZ_SK_SL_SM_EUlSZ_E_NS1_11comp_targetILNS1_3genE8ELNS1_11target_archE1030ELNS1_3gpuE2ELNS1_3repE0EEENS1_48merge_mergepath_partition_config_static_selectorELNS0_4arch9wavefront6targetE1EEEvSL_,"axG",@progbits,_ZN7rocprim17ROCPRIM_400000_NS6detail17trampoline_kernelINS0_14default_configENS1_38merge_sort_block_merge_config_selectorIiNS0_10empty_typeEEEZZNS1_27merge_sort_block_merge_implIS3_N6thrust23THRUST_200600_302600_NS6detail15normal_iteratorINS9_10device_ptrIiEEEEPS5_jNS1_19radix_merge_compareILb0ELb0EiNS0_19identity_decomposerEEEEE10hipError_tT0_T1_T2_jT3_P12ihipStream_tbPNSt15iterator_traitsISK_E10value_typeEPNSQ_ISL_E10value_typeEPSM_NS1_7vsmem_tEENKUlT_SK_SL_SM_E_clIPiSE_SF_SF_EESJ_SZ_SK_SL_SM_EUlSZ_E_NS1_11comp_targetILNS1_3genE8ELNS1_11target_archE1030ELNS1_3gpuE2ELNS1_3repE0EEENS1_48merge_mergepath_partition_config_static_selectorELNS0_4arch9wavefront6targetE1EEEvSL_,comdat
.Lfunc_end1621:
	.size	_ZN7rocprim17ROCPRIM_400000_NS6detail17trampoline_kernelINS0_14default_configENS1_38merge_sort_block_merge_config_selectorIiNS0_10empty_typeEEEZZNS1_27merge_sort_block_merge_implIS3_N6thrust23THRUST_200600_302600_NS6detail15normal_iteratorINS9_10device_ptrIiEEEEPS5_jNS1_19radix_merge_compareILb0ELb0EiNS0_19identity_decomposerEEEEE10hipError_tT0_T1_T2_jT3_P12ihipStream_tbPNSt15iterator_traitsISK_E10value_typeEPNSQ_ISL_E10value_typeEPSM_NS1_7vsmem_tEENKUlT_SK_SL_SM_E_clIPiSE_SF_SF_EESJ_SZ_SK_SL_SM_EUlSZ_E_NS1_11comp_targetILNS1_3genE8ELNS1_11target_archE1030ELNS1_3gpuE2ELNS1_3repE0EEENS1_48merge_mergepath_partition_config_static_selectorELNS0_4arch9wavefront6targetE1EEEvSL_, .Lfunc_end1621-_ZN7rocprim17ROCPRIM_400000_NS6detail17trampoline_kernelINS0_14default_configENS1_38merge_sort_block_merge_config_selectorIiNS0_10empty_typeEEEZZNS1_27merge_sort_block_merge_implIS3_N6thrust23THRUST_200600_302600_NS6detail15normal_iteratorINS9_10device_ptrIiEEEEPS5_jNS1_19radix_merge_compareILb0ELb0EiNS0_19identity_decomposerEEEEE10hipError_tT0_T1_T2_jT3_P12ihipStream_tbPNSt15iterator_traitsISK_E10value_typeEPNSQ_ISL_E10value_typeEPSM_NS1_7vsmem_tEENKUlT_SK_SL_SM_E_clIPiSE_SF_SF_EESJ_SZ_SK_SL_SM_EUlSZ_E_NS1_11comp_targetILNS1_3genE8ELNS1_11target_archE1030ELNS1_3gpuE2ELNS1_3repE0EEENS1_48merge_mergepath_partition_config_static_selectorELNS0_4arch9wavefront6targetE1EEEvSL_
                                        ; -- End function
	.section	.AMDGPU.csdata,"",@progbits
; Kernel info:
; codeLenInByte = 0
; NumSgprs: 4
; NumVgprs: 0
; NumAgprs: 0
; TotalNumVgprs: 0
; ScratchSize: 0
; MemoryBound: 0
; FloatMode: 240
; IeeeMode: 1
; LDSByteSize: 0 bytes/workgroup (compile time only)
; SGPRBlocks: 0
; VGPRBlocks: 0
; NumSGPRsForWavesPerEU: 4
; NumVGPRsForWavesPerEU: 1
; AccumOffset: 4
; Occupancy: 8
; WaveLimiterHint : 0
; COMPUTE_PGM_RSRC2:SCRATCH_EN: 0
; COMPUTE_PGM_RSRC2:USER_SGPR: 6
; COMPUTE_PGM_RSRC2:TRAP_HANDLER: 0
; COMPUTE_PGM_RSRC2:TGID_X_EN: 1
; COMPUTE_PGM_RSRC2:TGID_Y_EN: 0
; COMPUTE_PGM_RSRC2:TGID_Z_EN: 0
; COMPUTE_PGM_RSRC2:TIDIG_COMP_CNT: 0
; COMPUTE_PGM_RSRC3_GFX90A:ACCUM_OFFSET: 0
; COMPUTE_PGM_RSRC3_GFX90A:TG_SPLIT: 0
	.section	.text._ZN7rocprim17ROCPRIM_400000_NS6detail17trampoline_kernelINS0_14default_configENS1_38merge_sort_block_merge_config_selectorIiNS0_10empty_typeEEEZZNS1_27merge_sort_block_merge_implIS3_N6thrust23THRUST_200600_302600_NS6detail15normal_iteratorINS9_10device_ptrIiEEEEPS5_jNS1_19radix_merge_compareILb0ELb0EiNS0_19identity_decomposerEEEEE10hipError_tT0_T1_T2_jT3_P12ihipStream_tbPNSt15iterator_traitsISK_E10value_typeEPNSQ_ISL_E10value_typeEPSM_NS1_7vsmem_tEENKUlT_SK_SL_SM_E_clIPiSE_SF_SF_EESJ_SZ_SK_SL_SM_EUlSZ_E0_NS1_11comp_targetILNS1_3genE0ELNS1_11target_archE4294967295ELNS1_3gpuE0ELNS1_3repE0EEENS1_38merge_mergepath_config_static_selectorELNS0_4arch9wavefront6targetE1EEEvSL_,"axG",@progbits,_ZN7rocprim17ROCPRIM_400000_NS6detail17trampoline_kernelINS0_14default_configENS1_38merge_sort_block_merge_config_selectorIiNS0_10empty_typeEEEZZNS1_27merge_sort_block_merge_implIS3_N6thrust23THRUST_200600_302600_NS6detail15normal_iteratorINS9_10device_ptrIiEEEEPS5_jNS1_19radix_merge_compareILb0ELb0EiNS0_19identity_decomposerEEEEE10hipError_tT0_T1_T2_jT3_P12ihipStream_tbPNSt15iterator_traitsISK_E10value_typeEPNSQ_ISL_E10value_typeEPSM_NS1_7vsmem_tEENKUlT_SK_SL_SM_E_clIPiSE_SF_SF_EESJ_SZ_SK_SL_SM_EUlSZ_E0_NS1_11comp_targetILNS1_3genE0ELNS1_11target_archE4294967295ELNS1_3gpuE0ELNS1_3repE0EEENS1_38merge_mergepath_config_static_selectorELNS0_4arch9wavefront6targetE1EEEvSL_,comdat
	.protected	_ZN7rocprim17ROCPRIM_400000_NS6detail17trampoline_kernelINS0_14default_configENS1_38merge_sort_block_merge_config_selectorIiNS0_10empty_typeEEEZZNS1_27merge_sort_block_merge_implIS3_N6thrust23THRUST_200600_302600_NS6detail15normal_iteratorINS9_10device_ptrIiEEEEPS5_jNS1_19radix_merge_compareILb0ELb0EiNS0_19identity_decomposerEEEEE10hipError_tT0_T1_T2_jT3_P12ihipStream_tbPNSt15iterator_traitsISK_E10value_typeEPNSQ_ISL_E10value_typeEPSM_NS1_7vsmem_tEENKUlT_SK_SL_SM_E_clIPiSE_SF_SF_EESJ_SZ_SK_SL_SM_EUlSZ_E0_NS1_11comp_targetILNS1_3genE0ELNS1_11target_archE4294967295ELNS1_3gpuE0ELNS1_3repE0EEENS1_38merge_mergepath_config_static_selectorELNS0_4arch9wavefront6targetE1EEEvSL_ ; -- Begin function _ZN7rocprim17ROCPRIM_400000_NS6detail17trampoline_kernelINS0_14default_configENS1_38merge_sort_block_merge_config_selectorIiNS0_10empty_typeEEEZZNS1_27merge_sort_block_merge_implIS3_N6thrust23THRUST_200600_302600_NS6detail15normal_iteratorINS9_10device_ptrIiEEEEPS5_jNS1_19radix_merge_compareILb0ELb0EiNS0_19identity_decomposerEEEEE10hipError_tT0_T1_T2_jT3_P12ihipStream_tbPNSt15iterator_traitsISK_E10value_typeEPNSQ_ISL_E10value_typeEPSM_NS1_7vsmem_tEENKUlT_SK_SL_SM_E_clIPiSE_SF_SF_EESJ_SZ_SK_SL_SM_EUlSZ_E0_NS1_11comp_targetILNS1_3genE0ELNS1_11target_archE4294967295ELNS1_3gpuE0ELNS1_3repE0EEENS1_38merge_mergepath_config_static_selectorELNS0_4arch9wavefront6targetE1EEEvSL_
	.globl	_ZN7rocprim17ROCPRIM_400000_NS6detail17trampoline_kernelINS0_14default_configENS1_38merge_sort_block_merge_config_selectorIiNS0_10empty_typeEEEZZNS1_27merge_sort_block_merge_implIS3_N6thrust23THRUST_200600_302600_NS6detail15normal_iteratorINS9_10device_ptrIiEEEEPS5_jNS1_19radix_merge_compareILb0ELb0EiNS0_19identity_decomposerEEEEE10hipError_tT0_T1_T2_jT3_P12ihipStream_tbPNSt15iterator_traitsISK_E10value_typeEPNSQ_ISL_E10value_typeEPSM_NS1_7vsmem_tEENKUlT_SK_SL_SM_E_clIPiSE_SF_SF_EESJ_SZ_SK_SL_SM_EUlSZ_E0_NS1_11comp_targetILNS1_3genE0ELNS1_11target_archE4294967295ELNS1_3gpuE0ELNS1_3repE0EEENS1_38merge_mergepath_config_static_selectorELNS0_4arch9wavefront6targetE1EEEvSL_
	.p2align	8
	.type	_ZN7rocprim17ROCPRIM_400000_NS6detail17trampoline_kernelINS0_14default_configENS1_38merge_sort_block_merge_config_selectorIiNS0_10empty_typeEEEZZNS1_27merge_sort_block_merge_implIS3_N6thrust23THRUST_200600_302600_NS6detail15normal_iteratorINS9_10device_ptrIiEEEEPS5_jNS1_19radix_merge_compareILb0ELb0EiNS0_19identity_decomposerEEEEE10hipError_tT0_T1_T2_jT3_P12ihipStream_tbPNSt15iterator_traitsISK_E10value_typeEPNSQ_ISL_E10value_typeEPSM_NS1_7vsmem_tEENKUlT_SK_SL_SM_E_clIPiSE_SF_SF_EESJ_SZ_SK_SL_SM_EUlSZ_E0_NS1_11comp_targetILNS1_3genE0ELNS1_11target_archE4294967295ELNS1_3gpuE0ELNS1_3repE0EEENS1_38merge_mergepath_config_static_selectorELNS0_4arch9wavefront6targetE1EEEvSL_,@function
_ZN7rocprim17ROCPRIM_400000_NS6detail17trampoline_kernelINS0_14default_configENS1_38merge_sort_block_merge_config_selectorIiNS0_10empty_typeEEEZZNS1_27merge_sort_block_merge_implIS3_N6thrust23THRUST_200600_302600_NS6detail15normal_iteratorINS9_10device_ptrIiEEEEPS5_jNS1_19radix_merge_compareILb0ELb0EiNS0_19identity_decomposerEEEEE10hipError_tT0_T1_T2_jT3_P12ihipStream_tbPNSt15iterator_traitsISK_E10value_typeEPNSQ_ISL_E10value_typeEPSM_NS1_7vsmem_tEENKUlT_SK_SL_SM_E_clIPiSE_SF_SF_EESJ_SZ_SK_SL_SM_EUlSZ_E0_NS1_11comp_targetILNS1_3genE0ELNS1_11target_archE4294967295ELNS1_3gpuE0ELNS1_3repE0EEENS1_38merge_mergepath_config_static_selectorELNS0_4arch9wavefront6targetE1EEEvSL_: ; @_ZN7rocprim17ROCPRIM_400000_NS6detail17trampoline_kernelINS0_14default_configENS1_38merge_sort_block_merge_config_selectorIiNS0_10empty_typeEEEZZNS1_27merge_sort_block_merge_implIS3_N6thrust23THRUST_200600_302600_NS6detail15normal_iteratorINS9_10device_ptrIiEEEEPS5_jNS1_19radix_merge_compareILb0ELb0EiNS0_19identity_decomposerEEEEE10hipError_tT0_T1_T2_jT3_P12ihipStream_tbPNSt15iterator_traitsISK_E10value_typeEPNSQ_ISL_E10value_typeEPSM_NS1_7vsmem_tEENKUlT_SK_SL_SM_E_clIPiSE_SF_SF_EESJ_SZ_SK_SL_SM_EUlSZ_E0_NS1_11comp_targetILNS1_3genE0ELNS1_11target_archE4294967295ELNS1_3gpuE0ELNS1_3repE0EEENS1_38merge_mergepath_config_static_selectorELNS0_4arch9wavefront6targetE1EEEvSL_
; %bb.0:
	.section	.rodata,"a",@progbits
	.p2align	6, 0x0
	.amdhsa_kernel _ZN7rocprim17ROCPRIM_400000_NS6detail17trampoline_kernelINS0_14default_configENS1_38merge_sort_block_merge_config_selectorIiNS0_10empty_typeEEEZZNS1_27merge_sort_block_merge_implIS3_N6thrust23THRUST_200600_302600_NS6detail15normal_iteratorINS9_10device_ptrIiEEEEPS5_jNS1_19radix_merge_compareILb0ELb0EiNS0_19identity_decomposerEEEEE10hipError_tT0_T1_T2_jT3_P12ihipStream_tbPNSt15iterator_traitsISK_E10value_typeEPNSQ_ISL_E10value_typeEPSM_NS1_7vsmem_tEENKUlT_SK_SL_SM_E_clIPiSE_SF_SF_EESJ_SZ_SK_SL_SM_EUlSZ_E0_NS1_11comp_targetILNS1_3genE0ELNS1_11target_archE4294967295ELNS1_3gpuE0ELNS1_3repE0EEENS1_38merge_mergepath_config_static_selectorELNS0_4arch9wavefront6targetE1EEEvSL_
		.amdhsa_group_segment_fixed_size 0
		.amdhsa_private_segment_fixed_size 0
		.amdhsa_kernarg_size 64
		.amdhsa_user_sgpr_count 6
		.amdhsa_user_sgpr_private_segment_buffer 1
		.amdhsa_user_sgpr_dispatch_ptr 0
		.amdhsa_user_sgpr_queue_ptr 0
		.amdhsa_user_sgpr_kernarg_segment_ptr 1
		.amdhsa_user_sgpr_dispatch_id 0
		.amdhsa_user_sgpr_flat_scratch_init 0
		.amdhsa_user_sgpr_kernarg_preload_length 0
		.amdhsa_user_sgpr_kernarg_preload_offset 0
		.amdhsa_user_sgpr_private_segment_size 0
		.amdhsa_uses_dynamic_stack 0
		.amdhsa_system_sgpr_private_segment_wavefront_offset 0
		.amdhsa_system_sgpr_workgroup_id_x 1
		.amdhsa_system_sgpr_workgroup_id_y 0
		.amdhsa_system_sgpr_workgroup_id_z 0
		.amdhsa_system_sgpr_workgroup_info 0
		.amdhsa_system_vgpr_workitem_id 0
		.amdhsa_next_free_vgpr 1
		.amdhsa_next_free_sgpr 0
		.amdhsa_accum_offset 4
		.amdhsa_reserve_vcc 0
		.amdhsa_reserve_flat_scratch 0
		.amdhsa_float_round_mode_32 0
		.amdhsa_float_round_mode_16_64 0
		.amdhsa_float_denorm_mode_32 3
		.amdhsa_float_denorm_mode_16_64 3
		.amdhsa_dx10_clamp 1
		.amdhsa_ieee_mode 1
		.amdhsa_fp16_overflow 0
		.amdhsa_tg_split 0
		.amdhsa_exception_fp_ieee_invalid_op 0
		.amdhsa_exception_fp_denorm_src 0
		.amdhsa_exception_fp_ieee_div_zero 0
		.amdhsa_exception_fp_ieee_overflow 0
		.amdhsa_exception_fp_ieee_underflow 0
		.amdhsa_exception_fp_ieee_inexact 0
		.amdhsa_exception_int_div_zero 0
	.end_amdhsa_kernel
	.section	.text._ZN7rocprim17ROCPRIM_400000_NS6detail17trampoline_kernelINS0_14default_configENS1_38merge_sort_block_merge_config_selectorIiNS0_10empty_typeEEEZZNS1_27merge_sort_block_merge_implIS3_N6thrust23THRUST_200600_302600_NS6detail15normal_iteratorINS9_10device_ptrIiEEEEPS5_jNS1_19radix_merge_compareILb0ELb0EiNS0_19identity_decomposerEEEEE10hipError_tT0_T1_T2_jT3_P12ihipStream_tbPNSt15iterator_traitsISK_E10value_typeEPNSQ_ISL_E10value_typeEPSM_NS1_7vsmem_tEENKUlT_SK_SL_SM_E_clIPiSE_SF_SF_EESJ_SZ_SK_SL_SM_EUlSZ_E0_NS1_11comp_targetILNS1_3genE0ELNS1_11target_archE4294967295ELNS1_3gpuE0ELNS1_3repE0EEENS1_38merge_mergepath_config_static_selectorELNS0_4arch9wavefront6targetE1EEEvSL_,"axG",@progbits,_ZN7rocprim17ROCPRIM_400000_NS6detail17trampoline_kernelINS0_14default_configENS1_38merge_sort_block_merge_config_selectorIiNS0_10empty_typeEEEZZNS1_27merge_sort_block_merge_implIS3_N6thrust23THRUST_200600_302600_NS6detail15normal_iteratorINS9_10device_ptrIiEEEEPS5_jNS1_19radix_merge_compareILb0ELb0EiNS0_19identity_decomposerEEEEE10hipError_tT0_T1_T2_jT3_P12ihipStream_tbPNSt15iterator_traitsISK_E10value_typeEPNSQ_ISL_E10value_typeEPSM_NS1_7vsmem_tEENKUlT_SK_SL_SM_E_clIPiSE_SF_SF_EESJ_SZ_SK_SL_SM_EUlSZ_E0_NS1_11comp_targetILNS1_3genE0ELNS1_11target_archE4294967295ELNS1_3gpuE0ELNS1_3repE0EEENS1_38merge_mergepath_config_static_selectorELNS0_4arch9wavefront6targetE1EEEvSL_,comdat
.Lfunc_end1622:
	.size	_ZN7rocprim17ROCPRIM_400000_NS6detail17trampoline_kernelINS0_14default_configENS1_38merge_sort_block_merge_config_selectorIiNS0_10empty_typeEEEZZNS1_27merge_sort_block_merge_implIS3_N6thrust23THRUST_200600_302600_NS6detail15normal_iteratorINS9_10device_ptrIiEEEEPS5_jNS1_19radix_merge_compareILb0ELb0EiNS0_19identity_decomposerEEEEE10hipError_tT0_T1_T2_jT3_P12ihipStream_tbPNSt15iterator_traitsISK_E10value_typeEPNSQ_ISL_E10value_typeEPSM_NS1_7vsmem_tEENKUlT_SK_SL_SM_E_clIPiSE_SF_SF_EESJ_SZ_SK_SL_SM_EUlSZ_E0_NS1_11comp_targetILNS1_3genE0ELNS1_11target_archE4294967295ELNS1_3gpuE0ELNS1_3repE0EEENS1_38merge_mergepath_config_static_selectorELNS0_4arch9wavefront6targetE1EEEvSL_, .Lfunc_end1622-_ZN7rocprim17ROCPRIM_400000_NS6detail17trampoline_kernelINS0_14default_configENS1_38merge_sort_block_merge_config_selectorIiNS0_10empty_typeEEEZZNS1_27merge_sort_block_merge_implIS3_N6thrust23THRUST_200600_302600_NS6detail15normal_iteratorINS9_10device_ptrIiEEEEPS5_jNS1_19radix_merge_compareILb0ELb0EiNS0_19identity_decomposerEEEEE10hipError_tT0_T1_T2_jT3_P12ihipStream_tbPNSt15iterator_traitsISK_E10value_typeEPNSQ_ISL_E10value_typeEPSM_NS1_7vsmem_tEENKUlT_SK_SL_SM_E_clIPiSE_SF_SF_EESJ_SZ_SK_SL_SM_EUlSZ_E0_NS1_11comp_targetILNS1_3genE0ELNS1_11target_archE4294967295ELNS1_3gpuE0ELNS1_3repE0EEENS1_38merge_mergepath_config_static_selectorELNS0_4arch9wavefront6targetE1EEEvSL_
                                        ; -- End function
	.section	.AMDGPU.csdata,"",@progbits
; Kernel info:
; codeLenInByte = 0
; NumSgprs: 4
; NumVgprs: 0
; NumAgprs: 0
; TotalNumVgprs: 0
; ScratchSize: 0
; MemoryBound: 0
; FloatMode: 240
; IeeeMode: 1
; LDSByteSize: 0 bytes/workgroup (compile time only)
; SGPRBlocks: 0
; VGPRBlocks: 0
; NumSGPRsForWavesPerEU: 4
; NumVGPRsForWavesPerEU: 1
; AccumOffset: 4
; Occupancy: 8
; WaveLimiterHint : 0
; COMPUTE_PGM_RSRC2:SCRATCH_EN: 0
; COMPUTE_PGM_RSRC2:USER_SGPR: 6
; COMPUTE_PGM_RSRC2:TRAP_HANDLER: 0
; COMPUTE_PGM_RSRC2:TGID_X_EN: 1
; COMPUTE_PGM_RSRC2:TGID_Y_EN: 0
; COMPUTE_PGM_RSRC2:TGID_Z_EN: 0
; COMPUTE_PGM_RSRC2:TIDIG_COMP_CNT: 0
; COMPUTE_PGM_RSRC3_GFX90A:ACCUM_OFFSET: 0
; COMPUTE_PGM_RSRC3_GFX90A:TG_SPLIT: 0
	.section	.text._ZN7rocprim17ROCPRIM_400000_NS6detail17trampoline_kernelINS0_14default_configENS1_38merge_sort_block_merge_config_selectorIiNS0_10empty_typeEEEZZNS1_27merge_sort_block_merge_implIS3_N6thrust23THRUST_200600_302600_NS6detail15normal_iteratorINS9_10device_ptrIiEEEEPS5_jNS1_19radix_merge_compareILb0ELb0EiNS0_19identity_decomposerEEEEE10hipError_tT0_T1_T2_jT3_P12ihipStream_tbPNSt15iterator_traitsISK_E10value_typeEPNSQ_ISL_E10value_typeEPSM_NS1_7vsmem_tEENKUlT_SK_SL_SM_E_clIPiSE_SF_SF_EESJ_SZ_SK_SL_SM_EUlSZ_E0_NS1_11comp_targetILNS1_3genE10ELNS1_11target_archE1201ELNS1_3gpuE5ELNS1_3repE0EEENS1_38merge_mergepath_config_static_selectorELNS0_4arch9wavefront6targetE1EEEvSL_,"axG",@progbits,_ZN7rocprim17ROCPRIM_400000_NS6detail17trampoline_kernelINS0_14default_configENS1_38merge_sort_block_merge_config_selectorIiNS0_10empty_typeEEEZZNS1_27merge_sort_block_merge_implIS3_N6thrust23THRUST_200600_302600_NS6detail15normal_iteratorINS9_10device_ptrIiEEEEPS5_jNS1_19radix_merge_compareILb0ELb0EiNS0_19identity_decomposerEEEEE10hipError_tT0_T1_T2_jT3_P12ihipStream_tbPNSt15iterator_traitsISK_E10value_typeEPNSQ_ISL_E10value_typeEPSM_NS1_7vsmem_tEENKUlT_SK_SL_SM_E_clIPiSE_SF_SF_EESJ_SZ_SK_SL_SM_EUlSZ_E0_NS1_11comp_targetILNS1_3genE10ELNS1_11target_archE1201ELNS1_3gpuE5ELNS1_3repE0EEENS1_38merge_mergepath_config_static_selectorELNS0_4arch9wavefront6targetE1EEEvSL_,comdat
	.protected	_ZN7rocprim17ROCPRIM_400000_NS6detail17trampoline_kernelINS0_14default_configENS1_38merge_sort_block_merge_config_selectorIiNS0_10empty_typeEEEZZNS1_27merge_sort_block_merge_implIS3_N6thrust23THRUST_200600_302600_NS6detail15normal_iteratorINS9_10device_ptrIiEEEEPS5_jNS1_19radix_merge_compareILb0ELb0EiNS0_19identity_decomposerEEEEE10hipError_tT0_T1_T2_jT3_P12ihipStream_tbPNSt15iterator_traitsISK_E10value_typeEPNSQ_ISL_E10value_typeEPSM_NS1_7vsmem_tEENKUlT_SK_SL_SM_E_clIPiSE_SF_SF_EESJ_SZ_SK_SL_SM_EUlSZ_E0_NS1_11comp_targetILNS1_3genE10ELNS1_11target_archE1201ELNS1_3gpuE5ELNS1_3repE0EEENS1_38merge_mergepath_config_static_selectorELNS0_4arch9wavefront6targetE1EEEvSL_ ; -- Begin function _ZN7rocprim17ROCPRIM_400000_NS6detail17trampoline_kernelINS0_14default_configENS1_38merge_sort_block_merge_config_selectorIiNS0_10empty_typeEEEZZNS1_27merge_sort_block_merge_implIS3_N6thrust23THRUST_200600_302600_NS6detail15normal_iteratorINS9_10device_ptrIiEEEEPS5_jNS1_19radix_merge_compareILb0ELb0EiNS0_19identity_decomposerEEEEE10hipError_tT0_T1_T2_jT3_P12ihipStream_tbPNSt15iterator_traitsISK_E10value_typeEPNSQ_ISL_E10value_typeEPSM_NS1_7vsmem_tEENKUlT_SK_SL_SM_E_clIPiSE_SF_SF_EESJ_SZ_SK_SL_SM_EUlSZ_E0_NS1_11comp_targetILNS1_3genE10ELNS1_11target_archE1201ELNS1_3gpuE5ELNS1_3repE0EEENS1_38merge_mergepath_config_static_selectorELNS0_4arch9wavefront6targetE1EEEvSL_
	.globl	_ZN7rocprim17ROCPRIM_400000_NS6detail17trampoline_kernelINS0_14default_configENS1_38merge_sort_block_merge_config_selectorIiNS0_10empty_typeEEEZZNS1_27merge_sort_block_merge_implIS3_N6thrust23THRUST_200600_302600_NS6detail15normal_iteratorINS9_10device_ptrIiEEEEPS5_jNS1_19radix_merge_compareILb0ELb0EiNS0_19identity_decomposerEEEEE10hipError_tT0_T1_T2_jT3_P12ihipStream_tbPNSt15iterator_traitsISK_E10value_typeEPNSQ_ISL_E10value_typeEPSM_NS1_7vsmem_tEENKUlT_SK_SL_SM_E_clIPiSE_SF_SF_EESJ_SZ_SK_SL_SM_EUlSZ_E0_NS1_11comp_targetILNS1_3genE10ELNS1_11target_archE1201ELNS1_3gpuE5ELNS1_3repE0EEENS1_38merge_mergepath_config_static_selectorELNS0_4arch9wavefront6targetE1EEEvSL_
	.p2align	8
	.type	_ZN7rocprim17ROCPRIM_400000_NS6detail17trampoline_kernelINS0_14default_configENS1_38merge_sort_block_merge_config_selectorIiNS0_10empty_typeEEEZZNS1_27merge_sort_block_merge_implIS3_N6thrust23THRUST_200600_302600_NS6detail15normal_iteratorINS9_10device_ptrIiEEEEPS5_jNS1_19radix_merge_compareILb0ELb0EiNS0_19identity_decomposerEEEEE10hipError_tT0_T1_T2_jT3_P12ihipStream_tbPNSt15iterator_traitsISK_E10value_typeEPNSQ_ISL_E10value_typeEPSM_NS1_7vsmem_tEENKUlT_SK_SL_SM_E_clIPiSE_SF_SF_EESJ_SZ_SK_SL_SM_EUlSZ_E0_NS1_11comp_targetILNS1_3genE10ELNS1_11target_archE1201ELNS1_3gpuE5ELNS1_3repE0EEENS1_38merge_mergepath_config_static_selectorELNS0_4arch9wavefront6targetE1EEEvSL_,@function
_ZN7rocprim17ROCPRIM_400000_NS6detail17trampoline_kernelINS0_14default_configENS1_38merge_sort_block_merge_config_selectorIiNS0_10empty_typeEEEZZNS1_27merge_sort_block_merge_implIS3_N6thrust23THRUST_200600_302600_NS6detail15normal_iteratorINS9_10device_ptrIiEEEEPS5_jNS1_19radix_merge_compareILb0ELb0EiNS0_19identity_decomposerEEEEE10hipError_tT0_T1_T2_jT3_P12ihipStream_tbPNSt15iterator_traitsISK_E10value_typeEPNSQ_ISL_E10value_typeEPSM_NS1_7vsmem_tEENKUlT_SK_SL_SM_E_clIPiSE_SF_SF_EESJ_SZ_SK_SL_SM_EUlSZ_E0_NS1_11comp_targetILNS1_3genE10ELNS1_11target_archE1201ELNS1_3gpuE5ELNS1_3repE0EEENS1_38merge_mergepath_config_static_selectorELNS0_4arch9wavefront6targetE1EEEvSL_: ; @_ZN7rocprim17ROCPRIM_400000_NS6detail17trampoline_kernelINS0_14default_configENS1_38merge_sort_block_merge_config_selectorIiNS0_10empty_typeEEEZZNS1_27merge_sort_block_merge_implIS3_N6thrust23THRUST_200600_302600_NS6detail15normal_iteratorINS9_10device_ptrIiEEEEPS5_jNS1_19radix_merge_compareILb0ELb0EiNS0_19identity_decomposerEEEEE10hipError_tT0_T1_T2_jT3_P12ihipStream_tbPNSt15iterator_traitsISK_E10value_typeEPNSQ_ISL_E10value_typeEPSM_NS1_7vsmem_tEENKUlT_SK_SL_SM_E_clIPiSE_SF_SF_EESJ_SZ_SK_SL_SM_EUlSZ_E0_NS1_11comp_targetILNS1_3genE10ELNS1_11target_archE1201ELNS1_3gpuE5ELNS1_3repE0EEENS1_38merge_mergepath_config_static_selectorELNS0_4arch9wavefront6targetE1EEEvSL_
; %bb.0:
	.section	.rodata,"a",@progbits
	.p2align	6, 0x0
	.amdhsa_kernel _ZN7rocprim17ROCPRIM_400000_NS6detail17trampoline_kernelINS0_14default_configENS1_38merge_sort_block_merge_config_selectorIiNS0_10empty_typeEEEZZNS1_27merge_sort_block_merge_implIS3_N6thrust23THRUST_200600_302600_NS6detail15normal_iteratorINS9_10device_ptrIiEEEEPS5_jNS1_19radix_merge_compareILb0ELb0EiNS0_19identity_decomposerEEEEE10hipError_tT0_T1_T2_jT3_P12ihipStream_tbPNSt15iterator_traitsISK_E10value_typeEPNSQ_ISL_E10value_typeEPSM_NS1_7vsmem_tEENKUlT_SK_SL_SM_E_clIPiSE_SF_SF_EESJ_SZ_SK_SL_SM_EUlSZ_E0_NS1_11comp_targetILNS1_3genE10ELNS1_11target_archE1201ELNS1_3gpuE5ELNS1_3repE0EEENS1_38merge_mergepath_config_static_selectorELNS0_4arch9wavefront6targetE1EEEvSL_
		.amdhsa_group_segment_fixed_size 0
		.amdhsa_private_segment_fixed_size 0
		.amdhsa_kernarg_size 64
		.amdhsa_user_sgpr_count 6
		.amdhsa_user_sgpr_private_segment_buffer 1
		.amdhsa_user_sgpr_dispatch_ptr 0
		.amdhsa_user_sgpr_queue_ptr 0
		.amdhsa_user_sgpr_kernarg_segment_ptr 1
		.amdhsa_user_sgpr_dispatch_id 0
		.amdhsa_user_sgpr_flat_scratch_init 0
		.amdhsa_user_sgpr_kernarg_preload_length 0
		.amdhsa_user_sgpr_kernarg_preload_offset 0
		.amdhsa_user_sgpr_private_segment_size 0
		.amdhsa_uses_dynamic_stack 0
		.amdhsa_system_sgpr_private_segment_wavefront_offset 0
		.amdhsa_system_sgpr_workgroup_id_x 1
		.amdhsa_system_sgpr_workgroup_id_y 0
		.amdhsa_system_sgpr_workgroup_id_z 0
		.amdhsa_system_sgpr_workgroup_info 0
		.amdhsa_system_vgpr_workitem_id 0
		.amdhsa_next_free_vgpr 1
		.amdhsa_next_free_sgpr 0
		.amdhsa_accum_offset 4
		.amdhsa_reserve_vcc 0
		.amdhsa_reserve_flat_scratch 0
		.amdhsa_float_round_mode_32 0
		.amdhsa_float_round_mode_16_64 0
		.amdhsa_float_denorm_mode_32 3
		.amdhsa_float_denorm_mode_16_64 3
		.amdhsa_dx10_clamp 1
		.amdhsa_ieee_mode 1
		.amdhsa_fp16_overflow 0
		.amdhsa_tg_split 0
		.amdhsa_exception_fp_ieee_invalid_op 0
		.amdhsa_exception_fp_denorm_src 0
		.amdhsa_exception_fp_ieee_div_zero 0
		.amdhsa_exception_fp_ieee_overflow 0
		.amdhsa_exception_fp_ieee_underflow 0
		.amdhsa_exception_fp_ieee_inexact 0
		.amdhsa_exception_int_div_zero 0
	.end_amdhsa_kernel
	.section	.text._ZN7rocprim17ROCPRIM_400000_NS6detail17trampoline_kernelINS0_14default_configENS1_38merge_sort_block_merge_config_selectorIiNS0_10empty_typeEEEZZNS1_27merge_sort_block_merge_implIS3_N6thrust23THRUST_200600_302600_NS6detail15normal_iteratorINS9_10device_ptrIiEEEEPS5_jNS1_19radix_merge_compareILb0ELb0EiNS0_19identity_decomposerEEEEE10hipError_tT0_T1_T2_jT3_P12ihipStream_tbPNSt15iterator_traitsISK_E10value_typeEPNSQ_ISL_E10value_typeEPSM_NS1_7vsmem_tEENKUlT_SK_SL_SM_E_clIPiSE_SF_SF_EESJ_SZ_SK_SL_SM_EUlSZ_E0_NS1_11comp_targetILNS1_3genE10ELNS1_11target_archE1201ELNS1_3gpuE5ELNS1_3repE0EEENS1_38merge_mergepath_config_static_selectorELNS0_4arch9wavefront6targetE1EEEvSL_,"axG",@progbits,_ZN7rocprim17ROCPRIM_400000_NS6detail17trampoline_kernelINS0_14default_configENS1_38merge_sort_block_merge_config_selectorIiNS0_10empty_typeEEEZZNS1_27merge_sort_block_merge_implIS3_N6thrust23THRUST_200600_302600_NS6detail15normal_iteratorINS9_10device_ptrIiEEEEPS5_jNS1_19radix_merge_compareILb0ELb0EiNS0_19identity_decomposerEEEEE10hipError_tT0_T1_T2_jT3_P12ihipStream_tbPNSt15iterator_traitsISK_E10value_typeEPNSQ_ISL_E10value_typeEPSM_NS1_7vsmem_tEENKUlT_SK_SL_SM_E_clIPiSE_SF_SF_EESJ_SZ_SK_SL_SM_EUlSZ_E0_NS1_11comp_targetILNS1_3genE10ELNS1_11target_archE1201ELNS1_3gpuE5ELNS1_3repE0EEENS1_38merge_mergepath_config_static_selectorELNS0_4arch9wavefront6targetE1EEEvSL_,comdat
.Lfunc_end1623:
	.size	_ZN7rocprim17ROCPRIM_400000_NS6detail17trampoline_kernelINS0_14default_configENS1_38merge_sort_block_merge_config_selectorIiNS0_10empty_typeEEEZZNS1_27merge_sort_block_merge_implIS3_N6thrust23THRUST_200600_302600_NS6detail15normal_iteratorINS9_10device_ptrIiEEEEPS5_jNS1_19radix_merge_compareILb0ELb0EiNS0_19identity_decomposerEEEEE10hipError_tT0_T1_T2_jT3_P12ihipStream_tbPNSt15iterator_traitsISK_E10value_typeEPNSQ_ISL_E10value_typeEPSM_NS1_7vsmem_tEENKUlT_SK_SL_SM_E_clIPiSE_SF_SF_EESJ_SZ_SK_SL_SM_EUlSZ_E0_NS1_11comp_targetILNS1_3genE10ELNS1_11target_archE1201ELNS1_3gpuE5ELNS1_3repE0EEENS1_38merge_mergepath_config_static_selectorELNS0_4arch9wavefront6targetE1EEEvSL_, .Lfunc_end1623-_ZN7rocprim17ROCPRIM_400000_NS6detail17trampoline_kernelINS0_14default_configENS1_38merge_sort_block_merge_config_selectorIiNS0_10empty_typeEEEZZNS1_27merge_sort_block_merge_implIS3_N6thrust23THRUST_200600_302600_NS6detail15normal_iteratorINS9_10device_ptrIiEEEEPS5_jNS1_19radix_merge_compareILb0ELb0EiNS0_19identity_decomposerEEEEE10hipError_tT0_T1_T2_jT3_P12ihipStream_tbPNSt15iterator_traitsISK_E10value_typeEPNSQ_ISL_E10value_typeEPSM_NS1_7vsmem_tEENKUlT_SK_SL_SM_E_clIPiSE_SF_SF_EESJ_SZ_SK_SL_SM_EUlSZ_E0_NS1_11comp_targetILNS1_3genE10ELNS1_11target_archE1201ELNS1_3gpuE5ELNS1_3repE0EEENS1_38merge_mergepath_config_static_selectorELNS0_4arch9wavefront6targetE1EEEvSL_
                                        ; -- End function
	.section	.AMDGPU.csdata,"",@progbits
; Kernel info:
; codeLenInByte = 0
; NumSgprs: 4
; NumVgprs: 0
; NumAgprs: 0
; TotalNumVgprs: 0
; ScratchSize: 0
; MemoryBound: 0
; FloatMode: 240
; IeeeMode: 1
; LDSByteSize: 0 bytes/workgroup (compile time only)
; SGPRBlocks: 0
; VGPRBlocks: 0
; NumSGPRsForWavesPerEU: 4
; NumVGPRsForWavesPerEU: 1
; AccumOffset: 4
; Occupancy: 8
; WaveLimiterHint : 0
; COMPUTE_PGM_RSRC2:SCRATCH_EN: 0
; COMPUTE_PGM_RSRC2:USER_SGPR: 6
; COMPUTE_PGM_RSRC2:TRAP_HANDLER: 0
; COMPUTE_PGM_RSRC2:TGID_X_EN: 1
; COMPUTE_PGM_RSRC2:TGID_Y_EN: 0
; COMPUTE_PGM_RSRC2:TGID_Z_EN: 0
; COMPUTE_PGM_RSRC2:TIDIG_COMP_CNT: 0
; COMPUTE_PGM_RSRC3_GFX90A:ACCUM_OFFSET: 0
; COMPUTE_PGM_RSRC3_GFX90A:TG_SPLIT: 0
	.section	.text._ZN7rocprim17ROCPRIM_400000_NS6detail17trampoline_kernelINS0_14default_configENS1_38merge_sort_block_merge_config_selectorIiNS0_10empty_typeEEEZZNS1_27merge_sort_block_merge_implIS3_N6thrust23THRUST_200600_302600_NS6detail15normal_iteratorINS9_10device_ptrIiEEEEPS5_jNS1_19radix_merge_compareILb0ELb0EiNS0_19identity_decomposerEEEEE10hipError_tT0_T1_T2_jT3_P12ihipStream_tbPNSt15iterator_traitsISK_E10value_typeEPNSQ_ISL_E10value_typeEPSM_NS1_7vsmem_tEENKUlT_SK_SL_SM_E_clIPiSE_SF_SF_EESJ_SZ_SK_SL_SM_EUlSZ_E0_NS1_11comp_targetILNS1_3genE5ELNS1_11target_archE942ELNS1_3gpuE9ELNS1_3repE0EEENS1_38merge_mergepath_config_static_selectorELNS0_4arch9wavefront6targetE1EEEvSL_,"axG",@progbits,_ZN7rocprim17ROCPRIM_400000_NS6detail17trampoline_kernelINS0_14default_configENS1_38merge_sort_block_merge_config_selectorIiNS0_10empty_typeEEEZZNS1_27merge_sort_block_merge_implIS3_N6thrust23THRUST_200600_302600_NS6detail15normal_iteratorINS9_10device_ptrIiEEEEPS5_jNS1_19radix_merge_compareILb0ELb0EiNS0_19identity_decomposerEEEEE10hipError_tT0_T1_T2_jT3_P12ihipStream_tbPNSt15iterator_traitsISK_E10value_typeEPNSQ_ISL_E10value_typeEPSM_NS1_7vsmem_tEENKUlT_SK_SL_SM_E_clIPiSE_SF_SF_EESJ_SZ_SK_SL_SM_EUlSZ_E0_NS1_11comp_targetILNS1_3genE5ELNS1_11target_archE942ELNS1_3gpuE9ELNS1_3repE0EEENS1_38merge_mergepath_config_static_selectorELNS0_4arch9wavefront6targetE1EEEvSL_,comdat
	.protected	_ZN7rocprim17ROCPRIM_400000_NS6detail17trampoline_kernelINS0_14default_configENS1_38merge_sort_block_merge_config_selectorIiNS0_10empty_typeEEEZZNS1_27merge_sort_block_merge_implIS3_N6thrust23THRUST_200600_302600_NS6detail15normal_iteratorINS9_10device_ptrIiEEEEPS5_jNS1_19radix_merge_compareILb0ELb0EiNS0_19identity_decomposerEEEEE10hipError_tT0_T1_T2_jT3_P12ihipStream_tbPNSt15iterator_traitsISK_E10value_typeEPNSQ_ISL_E10value_typeEPSM_NS1_7vsmem_tEENKUlT_SK_SL_SM_E_clIPiSE_SF_SF_EESJ_SZ_SK_SL_SM_EUlSZ_E0_NS1_11comp_targetILNS1_3genE5ELNS1_11target_archE942ELNS1_3gpuE9ELNS1_3repE0EEENS1_38merge_mergepath_config_static_selectorELNS0_4arch9wavefront6targetE1EEEvSL_ ; -- Begin function _ZN7rocprim17ROCPRIM_400000_NS6detail17trampoline_kernelINS0_14default_configENS1_38merge_sort_block_merge_config_selectorIiNS0_10empty_typeEEEZZNS1_27merge_sort_block_merge_implIS3_N6thrust23THRUST_200600_302600_NS6detail15normal_iteratorINS9_10device_ptrIiEEEEPS5_jNS1_19radix_merge_compareILb0ELb0EiNS0_19identity_decomposerEEEEE10hipError_tT0_T1_T2_jT3_P12ihipStream_tbPNSt15iterator_traitsISK_E10value_typeEPNSQ_ISL_E10value_typeEPSM_NS1_7vsmem_tEENKUlT_SK_SL_SM_E_clIPiSE_SF_SF_EESJ_SZ_SK_SL_SM_EUlSZ_E0_NS1_11comp_targetILNS1_3genE5ELNS1_11target_archE942ELNS1_3gpuE9ELNS1_3repE0EEENS1_38merge_mergepath_config_static_selectorELNS0_4arch9wavefront6targetE1EEEvSL_
	.globl	_ZN7rocprim17ROCPRIM_400000_NS6detail17trampoline_kernelINS0_14default_configENS1_38merge_sort_block_merge_config_selectorIiNS0_10empty_typeEEEZZNS1_27merge_sort_block_merge_implIS3_N6thrust23THRUST_200600_302600_NS6detail15normal_iteratorINS9_10device_ptrIiEEEEPS5_jNS1_19radix_merge_compareILb0ELb0EiNS0_19identity_decomposerEEEEE10hipError_tT0_T1_T2_jT3_P12ihipStream_tbPNSt15iterator_traitsISK_E10value_typeEPNSQ_ISL_E10value_typeEPSM_NS1_7vsmem_tEENKUlT_SK_SL_SM_E_clIPiSE_SF_SF_EESJ_SZ_SK_SL_SM_EUlSZ_E0_NS1_11comp_targetILNS1_3genE5ELNS1_11target_archE942ELNS1_3gpuE9ELNS1_3repE0EEENS1_38merge_mergepath_config_static_selectorELNS0_4arch9wavefront6targetE1EEEvSL_
	.p2align	8
	.type	_ZN7rocprim17ROCPRIM_400000_NS6detail17trampoline_kernelINS0_14default_configENS1_38merge_sort_block_merge_config_selectorIiNS0_10empty_typeEEEZZNS1_27merge_sort_block_merge_implIS3_N6thrust23THRUST_200600_302600_NS6detail15normal_iteratorINS9_10device_ptrIiEEEEPS5_jNS1_19radix_merge_compareILb0ELb0EiNS0_19identity_decomposerEEEEE10hipError_tT0_T1_T2_jT3_P12ihipStream_tbPNSt15iterator_traitsISK_E10value_typeEPNSQ_ISL_E10value_typeEPSM_NS1_7vsmem_tEENKUlT_SK_SL_SM_E_clIPiSE_SF_SF_EESJ_SZ_SK_SL_SM_EUlSZ_E0_NS1_11comp_targetILNS1_3genE5ELNS1_11target_archE942ELNS1_3gpuE9ELNS1_3repE0EEENS1_38merge_mergepath_config_static_selectorELNS0_4arch9wavefront6targetE1EEEvSL_,@function
_ZN7rocprim17ROCPRIM_400000_NS6detail17trampoline_kernelINS0_14default_configENS1_38merge_sort_block_merge_config_selectorIiNS0_10empty_typeEEEZZNS1_27merge_sort_block_merge_implIS3_N6thrust23THRUST_200600_302600_NS6detail15normal_iteratorINS9_10device_ptrIiEEEEPS5_jNS1_19radix_merge_compareILb0ELb0EiNS0_19identity_decomposerEEEEE10hipError_tT0_T1_T2_jT3_P12ihipStream_tbPNSt15iterator_traitsISK_E10value_typeEPNSQ_ISL_E10value_typeEPSM_NS1_7vsmem_tEENKUlT_SK_SL_SM_E_clIPiSE_SF_SF_EESJ_SZ_SK_SL_SM_EUlSZ_E0_NS1_11comp_targetILNS1_3genE5ELNS1_11target_archE942ELNS1_3gpuE9ELNS1_3repE0EEENS1_38merge_mergepath_config_static_selectorELNS0_4arch9wavefront6targetE1EEEvSL_: ; @_ZN7rocprim17ROCPRIM_400000_NS6detail17trampoline_kernelINS0_14default_configENS1_38merge_sort_block_merge_config_selectorIiNS0_10empty_typeEEEZZNS1_27merge_sort_block_merge_implIS3_N6thrust23THRUST_200600_302600_NS6detail15normal_iteratorINS9_10device_ptrIiEEEEPS5_jNS1_19radix_merge_compareILb0ELb0EiNS0_19identity_decomposerEEEEE10hipError_tT0_T1_T2_jT3_P12ihipStream_tbPNSt15iterator_traitsISK_E10value_typeEPNSQ_ISL_E10value_typeEPSM_NS1_7vsmem_tEENKUlT_SK_SL_SM_E_clIPiSE_SF_SF_EESJ_SZ_SK_SL_SM_EUlSZ_E0_NS1_11comp_targetILNS1_3genE5ELNS1_11target_archE942ELNS1_3gpuE9ELNS1_3repE0EEENS1_38merge_mergepath_config_static_selectorELNS0_4arch9wavefront6targetE1EEEvSL_
; %bb.0:
	.section	.rodata,"a",@progbits
	.p2align	6, 0x0
	.amdhsa_kernel _ZN7rocprim17ROCPRIM_400000_NS6detail17trampoline_kernelINS0_14default_configENS1_38merge_sort_block_merge_config_selectorIiNS0_10empty_typeEEEZZNS1_27merge_sort_block_merge_implIS3_N6thrust23THRUST_200600_302600_NS6detail15normal_iteratorINS9_10device_ptrIiEEEEPS5_jNS1_19radix_merge_compareILb0ELb0EiNS0_19identity_decomposerEEEEE10hipError_tT0_T1_T2_jT3_P12ihipStream_tbPNSt15iterator_traitsISK_E10value_typeEPNSQ_ISL_E10value_typeEPSM_NS1_7vsmem_tEENKUlT_SK_SL_SM_E_clIPiSE_SF_SF_EESJ_SZ_SK_SL_SM_EUlSZ_E0_NS1_11comp_targetILNS1_3genE5ELNS1_11target_archE942ELNS1_3gpuE9ELNS1_3repE0EEENS1_38merge_mergepath_config_static_selectorELNS0_4arch9wavefront6targetE1EEEvSL_
		.amdhsa_group_segment_fixed_size 0
		.amdhsa_private_segment_fixed_size 0
		.amdhsa_kernarg_size 64
		.amdhsa_user_sgpr_count 6
		.amdhsa_user_sgpr_private_segment_buffer 1
		.amdhsa_user_sgpr_dispatch_ptr 0
		.amdhsa_user_sgpr_queue_ptr 0
		.amdhsa_user_sgpr_kernarg_segment_ptr 1
		.amdhsa_user_sgpr_dispatch_id 0
		.amdhsa_user_sgpr_flat_scratch_init 0
		.amdhsa_user_sgpr_kernarg_preload_length 0
		.amdhsa_user_sgpr_kernarg_preload_offset 0
		.amdhsa_user_sgpr_private_segment_size 0
		.amdhsa_uses_dynamic_stack 0
		.amdhsa_system_sgpr_private_segment_wavefront_offset 0
		.amdhsa_system_sgpr_workgroup_id_x 1
		.amdhsa_system_sgpr_workgroup_id_y 0
		.amdhsa_system_sgpr_workgroup_id_z 0
		.amdhsa_system_sgpr_workgroup_info 0
		.amdhsa_system_vgpr_workitem_id 0
		.amdhsa_next_free_vgpr 1
		.amdhsa_next_free_sgpr 0
		.amdhsa_accum_offset 4
		.amdhsa_reserve_vcc 0
		.amdhsa_reserve_flat_scratch 0
		.amdhsa_float_round_mode_32 0
		.amdhsa_float_round_mode_16_64 0
		.amdhsa_float_denorm_mode_32 3
		.amdhsa_float_denorm_mode_16_64 3
		.amdhsa_dx10_clamp 1
		.amdhsa_ieee_mode 1
		.amdhsa_fp16_overflow 0
		.amdhsa_tg_split 0
		.amdhsa_exception_fp_ieee_invalid_op 0
		.amdhsa_exception_fp_denorm_src 0
		.amdhsa_exception_fp_ieee_div_zero 0
		.amdhsa_exception_fp_ieee_overflow 0
		.amdhsa_exception_fp_ieee_underflow 0
		.amdhsa_exception_fp_ieee_inexact 0
		.amdhsa_exception_int_div_zero 0
	.end_amdhsa_kernel
	.section	.text._ZN7rocprim17ROCPRIM_400000_NS6detail17trampoline_kernelINS0_14default_configENS1_38merge_sort_block_merge_config_selectorIiNS0_10empty_typeEEEZZNS1_27merge_sort_block_merge_implIS3_N6thrust23THRUST_200600_302600_NS6detail15normal_iteratorINS9_10device_ptrIiEEEEPS5_jNS1_19radix_merge_compareILb0ELb0EiNS0_19identity_decomposerEEEEE10hipError_tT0_T1_T2_jT3_P12ihipStream_tbPNSt15iterator_traitsISK_E10value_typeEPNSQ_ISL_E10value_typeEPSM_NS1_7vsmem_tEENKUlT_SK_SL_SM_E_clIPiSE_SF_SF_EESJ_SZ_SK_SL_SM_EUlSZ_E0_NS1_11comp_targetILNS1_3genE5ELNS1_11target_archE942ELNS1_3gpuE9ELNS1_3repE0EEENS1_38merge_mergepath_config_static_selectorELNS0_4arch9wavefront6targetE1EEEvSL_,"axG",@progbits,_ZN7rocprim17ROCPRIM_400000_NS6detail17trampoline_kernelINS0_14default_configENS1_38merge_sort_block_merge_config_selectorIiNS0_10empty_typeEEEZZNS1_27merge_sort_block_merge_implIS3_N6thrust23THRUST_200600_302600_NS6detail15normal_iteratorINS9_10device_ptrIiEEEEPS5_jNS1_19radix_merge_compareILb0ELb0EiNS0_19identity_decomposerEEEEE10hipError_tT0_T1_T2_jT3_P12ihipStream_tbPNSt15iterator_traitsISK_E10value_typeEPNSQ_ISL_E10value_typeEPSM_NS1_7vsmem_tEENKUlT_SK_SL_SM_E_clIPiSE_SF_SF_EESJ_SZ_SK_SL_SM_EUlSZ_E0_NS1_11comp_targetILNS1_3genE5ELNS1_11target_archE942ELNS1_3gpuE9ELNS1_3repE0EEENS1_38merge_mergepath_config_static_selectorELNS0_4arch9wavefront6targetE1EEEvSL_,comdat
.Lfunc_end1624:
	.size	_ZN7rocprim17ROCPRIM_400000_NS6detail17trampoline_kernelINS0_14default_configENS1_38merge_sort_block_merge_config_selectorIiNS0_10empty_typeEEEZZNS1_27merge_sort_block_merge_implIS3_N6thrust23THRUST_200600_302600_NS6detail15normal_iteratorINS9_10device_ptrIiEEEEPS5_jNS1_19radix_merge_compareILb0ELb0EiNS0_19identity_decomposerEEEEE10hipError_tT0_T1_T2_jT3_P12ihipStream_tbPNSt15iterator_traitsISK_E10value_typeEPNSQ_ISL_E10value_typeEPSM_NS1_7vsmem_tEENKUlT_SK_SL_SM_E_clIPiSE_SF_SF_EESJ_SZ_SK_SL_SM_EUlSZ_E0_NS1_11comp_targetILNS1_3genE5ELNS1_11target_archE942ELNS1_3gpuE9ELNS1_3repE0EEENS1_38merge_mergepath_config_static_selectorELNS0_4arch9wavefront6targetE1EEEvSL_, .Lfunc_end1624-_ZN7rocprim17ROCPRIM_400000_NS6detail17trampoline_kernelINS0_14default_configENS1_38merge_sort_block_merge_config_selectorIiNS0_10empty_typeEEEZZNS1_27merge_sort_block_merge_implIS3_N6thrust23THRUST_200600_302600_NS6detail15normal_iteratorINS9_10device_ptrIiEEEEPS5_jNS1_19radix_merge_compareILb0ELb0EiNS0_19identity_decomposerEEEEE10hipError_tT0_T1_T2_jT3_P12ihipStream_tbPNSt15iterator_traitsISK_E10value_typeEPNSQ_ISL_E10value_typeEPSM_NS1_7vsmem_tEENKUlT_SK_SL_SM_E_clIPiSE_SF_SF_EESJ_SZ_SK_SL_SM_EUlSZ_E0_NS1_11comp_targetILNS1_3genE5ELNS1_11target_archE942ELNS1_3gpuE9ELNS1_3repE0EEENS1_38merge_mergepath_config_static_selectorELNS0_4arch9wavefront6targetE1EEEvSL_
                                        ; -- End function
	.section	.AMDGPU.csdata,"",@progbits
; Kernel info:
; codeLenInByte = 0
; NumSgprs: 4
; NumVgprs: 0
; NumAgprs: 0
; TotalNumVgprs: 0
; ScratchSize: 0
; MemoryBound: 0
; FloatMode: 240
; IeeeMode: 1
; LDSByteSize: 0 bytes/workgroup (compile time only)
; SGPRBlocks: 0
; VGPRBlocks: 0
; NumSGPRsForWavesPerEU: 4
; NumVGPRsForWavesPerEU: 1
; AccumOffset: 4
; Occupancy: 8
; WaveLimiterHint : 0
; COMPUTE_PGM_RSRC2:SCRATCH_EN: 0
; COMPUTE_PGM_RSRC2:USER_SGPR: 6
; COMPUTE_PGM_RSRC2:TRAP_HANDLER: 0
; COMPUTE_PGM_RSRC2:TGID_X_EN: 1
; COMPUTE_PGM_RSRC2:TGID_Y_EN: 0
; COMPUTE_PGM_RSRC2:TGID_Z_EN: 0
; COMPUTE_PGM_RSRC2:TIDIG_COMP_CNT: 0
; COMPUTE_PGM_RSRC3_GFX90A:ACCUM_OFFSET: 0
; COMPUTE_PGM_RSRC3_GFX90A:TG_SPLIT: 0
	.section	.text._ZN7rocprim17ROCPRIM_400000_NS6detail17trampoline_kernelINS0_14default_configENS1_38merge_sort_block_merge_config_selectorIiNS0_10empty_typeEEEZZNS1_27merge_sort_block_merge_implIS3_N6thrust23THRUST_200600_302600_NS6detail15normal_iteratorINS9_10device_ptrIiEEEEPS5_jNS1_19radix_merge_compareILb0ELb0EiNS0_19identity_decomposerEEEEE10hipError_tT0_T1_T2_jT3_P12ihipStream_tbPNSt15iterator_traitsISK_E10value_typeEPNSQ_ISL_E10value_typeEPSM_NS1_7vsmem_tEENKUlT_SK_SL_SM_E_clIPiSE_SF_SF_EESJ_SZ_SK_SL_SM_EUlSZ_E0_NS1_11comp_targetILNS1_3genE4ELNS1_11target_archE910ELNS1_3gpuE8ELNS1_3repE0EEENS1_38merge_mergepath_config_static_selectorELNS0_4arch9wavefront6targetE1EEEvSL_,"axG",@progbits,_ZN7rocprim17ROCPRIM_400000_NS6detail17trampoline_kernelINS0_14default_configENS1_38merge_sort_block_merge_config_selectorIiNS0_10empty_typeEEEZZNS1_27merge_sort_block_merge_implIS3_N6thrust23THRUST_200600_302600_NS6detail15normal_iteratorINS9_10device_ptrIiEEEEPS5_jNS1_19radix_merge_compareILb0ELb0EiNS0_19identity_decomposerEEEEE10hipError_tT0_T1_T2_jT3_P12ihipStream_tbPNSt15iterator_traitsISK_E10value_typeEPNSQ_ISL_E10value_typeEPSM_NS1_7vsmem_tEENKUlT_SK_SL_SM_E_clIPiSE_SF_SF_EESJ_SZ_SK_SL_SM_EUlSZ_E0_NS1_11comp_targetILNS1_3genE4ELNS1_11target_archE910ELNS1_3gpuE8ELNS1_3repE0EEENS1_38merge_mergepath_config_static_selectorELNS0_4arch9wavefront6targetE1EEEvSL_,comdat
	.protected	_ZN7rocprim17ROCPRIM_400000_NS6detail17trampoline_kernelINS0_14default_configENS1_38merge_sort_block_merge_config_selectorIiNS0_10empty_typeEEEZZNS1_27merge_sort_block_merge_implIS3_N6thrust23THRUST_200600_302600_NS6detail15normal_iteratorINS9_10device_ptrIiEEEEPS5_jNS1_19radix_merge_compareILb0ELb0EiNS0_19identity_decomposerEEEEE10hipError_tT0_T1_T2_jT3_P12ihipStream_tbPNSt15iterator_traitsISK_E10value_typeEPNSQ_ISL_E10value_typeEPSM_NS1_7vsmem_tEENKUlT_SK_SL_SM_E_clIPiSE_SF_SF_EESJ_SZ_SK_SL_SM_EUlSZ_E0_NS1_11comp_targetILNS1_3genE4ELNS1_11target_archE910ELNS1_3gpuE8ELNS1_3repE0EEENS1_38merge_mergepath_config_static_selectorELNS0_4arch9wavefront6targetE1EEEvSL_ ; -- Begin function _ZN7rocprim17ROCPRIM_400000_NS6detail17trampoline_kernelINS0_14default_configENS1_38merge_sort_block_merge_config_selectorIiNS0_10empty_typeEEEZZNS1_27merge_sort_block_merge_implIS3_N6thrust23THRUST_200600_302600_NS6detail15normal_iteratorINS9_10device_ptrIiEEEEPS5_jNS1_19radix_merge_compareILb0ELb0EiNS0_19identity_decomposerEEEEE10hipError_tT0_T1_T2_jT3_P12ihipStream_tbPNSt15iterator_traitsISK_E10value_typeEPNSQ_ISL_E10value_typeEPSM_NS1_7vsmem_tEENKUlT_SK_SL_SM_E_clIPiSE_SF_SF_EESJ_SZ_SK_SL_SM_EUlSZ_E0_NS1_11comp_targetILNS1_3genE4ELNS1_11target_archE910ELNS1_3gpuE8ELNS1_3repE0EEENS1_38merge_mergepath_config_static_selectorELNS0_4arch9wavefront6targetE1EEEvSL_
	.globl	_ZN7rocprim17ROCPRIM_400000_NS6detail17trampoline_kernelINS0_14default_configENS1_38merge_sort_block_merge_config_selectorIiNS0_10empty_typeEEEZZNS1_27merge_sort_block_merge_implIS3_N6thrust23THRUST_200600_302600_NS6detail15normal_iteratorINS9_10device_ptrIiEEEEPS5_jNS1_19radix_merge_compareILb0ELb0EiNS0_19identity_decomposerEEEEE10hipError_tT0_T1_T2_jT3_P12ihipStream_tbPNSt15iterator_traitsISK_E10value_typeEPNSQ_ISL_E10value_typeEPSM_NS1_7vsmem_tEENKUlT_SK_SL_SM_E_clIPiSE_SF_SF_EESJ_SZ_SK_SL_SM_EUlSZ_E0_NS1_11comp_targetILNS1_3genE4ELNS1_11target_archE910ELNS1_3gpuE8ELNS1_3repE0EEENS1_38merge_mergepath_config_static_selectorELNS0_4arch9wavefront6targetE1EEEvSL_
	.p2align	8
	.type	_ZN7rocprim17ROCPRIM_400000_NS6detail17trampoline_kernelINS0_14default_configENS1_38merge_sort_block_merge_config_selectorIiNS0_10empty_typeEEEZZNS1_27merge_sort_block_merge_implIS3_N6thrust23THRUST_200600_302600_NS6detail15normal_iteratorINS9_10device_ptrIiEEEEPS5_jNS1_19radix_merge_compareILb0ELb0EiNS0_19identity_decomposerEEEEE10hipError_tT0_T1_T2_jT3_P12ihipStream_tbPNSt15iterator_traitsISK_E10value_typeEPNSQ_ISL_E10value_typeEPSM_NS1_7vsmem_tEENKUlT_SK_SL_SM_E_clIPiSE_SF_SF_EESJ_SZ_SK_SL_SM_EUlSZ_E0_NS1_11comp_targetILNS1_3genE4ELNS1_11target_archE910ELNS1_3gpuE8ELNS1_3repE0EEENS1_38merge_mergepath_config_static_selectorELNS0_4arch9wavefront6targetE1EEEvSL_,@function
_ZN7rocprim17ROCPRIM_400000_NS6detail17trampoline_kernelINS0_14default_configENS1_38merge_sort_block_merge_config_selectorIiNS0_10empty_typeEEEZZNS1_27merge_sort_block_merge_implIS3_N6thrust23THRUST_200600_302600_NS6detail15normal_iteratorINS9_10device_ptrIiEEEEPS5_jNS1_19radix_merge_compareILb0ELb0EiNS0_19identity_decomposerEEEEE10hipError_tT0_T1_T2_jT3_P12ihipStream_tbPNSt15iterator_traitsISK_E10value_typeEPNSQ_ISL_E10value_typeEPSM_NS1_7vsmem_tEENKUlT_SK_SL_SM_E_clIPiSE_SF_SF_EESJ_SZ_SK_SL_SM_EUlSZ_E0_NS1_11comp_targetILNS1_3genE4ELNS1_11target_archE910ELNS1_3gpuE8ELNS1_3repE0EEENS1_38merge_mergepath_config_static_selectorELNS0_4arch9wavefront6targetE1EEEvSL_: ; @_ZN7rocprim17ROCPRIM_400000_NS6detail17trampoline_kernelINS0_14default_configENS1_38merge_sort_block_merge_config_selectorIiNS0_10empty_typeEEEZZNS1_27merge_sort_block_merge_implIS3_N6thrust23THRUST_200600_302600_NS6detail15normal_iteratorINS9_10device_ptrIiEEEEPS5_jNS1_19radix_merge_compareILb0ELb0EiNS0_19identity_decomposerEEEEE10hipError_tT0_T1_T2_jT3_P12ihipStream_tbPNSt15iterator_traitsISK_E10value_typeEPNSQ_ISL_E10value_typeEPSM_NS1_7vsmem_tEENKUlT_SK_SL_SM_E_clIPiSE_SF_SF_EESJ_SZ_SK_SL_SM_EUlSZ_E0_NS1_11comp_targetILNS1_3genE4ELNS1_11target_archE910ELNS1_3gpuE8ELNS1_3repE0EEENS1_38merge_mergepath_config_static_selectorELNS0_4arch9wavefront6targetE1EEEvSL_
; %bb.0:
	s_load_dwordx2 s[10:11], s[4:5], 0x40
	s_load_dword s3, s[4:5], 0x30
	s_add_u32 s0, s4, 64
	s_addc_u32 s1, s5, 0
	s_waitcnt lgkmcnt(0)
	s_mul_i32 s2, s11, s8
	s_add_i32 s2, s2, s7
	s_mul_i32 s2, s2, s10
	s_add_i32 s2, s2, s6
	s_cmp_ge_u32 s2, s3
	s_cbranch_scc1 .LBB1625_43
; %bb.1:
	s_load_dwordx2 s[14:15], s[4:5], 0x28
	s_load_dwordx2 s[8:9], s[4:5], 0x38
	;; [unrolled: 1-line block ×3, first 2 shown]
	s_mov_b32 s3, 0
	s_mov_b32 s23, s3
	s_waitcnt lgkmcnt(0)
	s_lshr_b32 s17, s14, 10
	s_cmp_lg_u32 s2, s17
	s_cselect_b64 s[18:19], -1, 0
	s_lshl_b64 s[12:13], s[2:3], 2
	s_add_u32 s8, s8, s12
	s_addc_u32 s9, s9, s13
	s_lshr_b32 s7, s15, 9
	s_and_b32 s7, s7, 0x7ffffe
	s_load_dwordx2 s[8:9], s[8:9], 0x0
	s_sub_i32 s7, 0, s7
	s_and_b32 s11, s2, s7
	s_lshl_b32 s12, s11, 10
	s_lshl_b32 s16, s2, 10
	;; [unrolled: 1-line block ×3, first 2 shown]
	s_sub_i32 s13, s16, s12
	s_add_i32 s11, s11, s15
	s_add_i32 s13, s11, s13
	s_waitcnt lgkmcnt(0)
	s_sub_i32 s22, s13, s8
	s_sub_i32 s13, s13, s9
	s_sub_i32 s11, s11, s12
	s_min_u32 s22, s14, s22
	s_addk_i32 s13, 0x400
	s_or_b32 s7, s2, s7
	s_min_u32 s12, s14, s11
	s_add_i32 s11, s11, s15
	s_cmp_eq_u32 s7, -1
	s_cselect_b32 s7, s11, s13
	s_cselect_b32 s9, s12, s9
	s_min_u32 s7, s7, s14
	s_sub_i32 s15, s9, s8
	s_mov_b32 s9, s3
	s_sub_i32 s7, s7, s22
	s_lshl_b64 s[8:9], s[8:9], 2
	s_add_u32 s11, s20, s8
	s_addc_u32 s12, s21, s9
	s_lshl_b64 s[8:9], s[22:23], 2
	s_add_u32 s8, s20, s8
	s_addc_u32 s9, s21, s9
	s_cmp_lt_u32 s6, s10
	v_mov_b32_e32 v15, 0
	s_cselect_b32 s3, 12, 18
	global_load_dword v1, v15, s[0:1] offset:14
	s_add_u32 s0, s0, s3
	s_addc_u32 s1, s1, 0
	global_load_ushort v2, v15, s[0:1]
	s_cmp_eq_u32 s2, s17
	s_waitcnt vmcnt(1)
	v_lshrrev_b32_e32 v3, 16, v1
	v_and_b32_e32 v1, 0xffff, v1
	v_mul_lo_u32 v1, v1, v3
	s_waitcnt vmcnt(0)
	v_mul_lo_u32 v16, v1, v2
	v_add_u32_e32 v12, v16, v0
	v_lshlrev_b32_e32 v1, 2, v0
	v_add_u32_e32 v10, v12, v16
	s_cbranch_scc1 .LBB1625_3
; %bb.2:
	v_mov_b32_e32 v2, s12
	v_add_co_u32_e32 v4, vcc, s11, v1
	v_subrev_u32_e32 v14, s15, v0
	v_addc_co_u32_e32 v5, vcc, 0, v2, vcc
	v_lshlrev_b64 v[2:3], 2, v[14:15]
	v_mov_b32_e32 v6, s9
	v_add_co_u32_e32 v2, vcc, s8, v2
	v_addc_co_u32_e32 v3, vcc, v6, v3, vcc
	v_cmp_gt_u32_e32 vcc, s15, v0
	v_mov_b32_e32 v13, v15
	v_cndmask_b32_e32 v3, v3, v5, vcc
	v_cndmask_b32_e32 v2, v2, v4, vcc
	v_lshlrev_b64 v[4:5], 2, v[12:13]
	global_load_dword v2, v[2:3], off
	v_mov_b32_e32 v3, s12
	v_add_co_u32_e32 v6, vcc, s11, v4
	v_subrev_u32_e32 v14, s15, v12
	v_addc_co_u32_e32 v3, vcc, v3, v5, vcc
	v_lshlrev_b64 v[4:5], 2, v[14:15]
	v_mov_b32_e32 v7, s9
	v_add_co_u32_e32 v4, vcc, s8, v4
	v_addc_co_u32_e32 v5, vcc, v7, v5, vcc
	v_cmp_gt_u32_e32 vcc, s15, v12
	v_cndmask_b32_e32 v5, v5, v3, vcc
	v_cndmask_b32_e32 v4, v4, v6, vcc
	v_mov_b32_e32 v11, v15
	global_load_dword v3, v[4:5], off
	v_lshlrev_b64 v[4:5], 2, v[10:11]
	v_mov_b32_e32 v6, s12
	v_add_co_u32_e32 v7, vcc, s11, v4
	v_subrev_u32_e32 v14, s15, v10
	v_addc_co_u32_e32 v6, vcc, v6, v5, vcc
	v_lshlrev_b64 v[4:5], 2, v[14:15]
	v_mov_b32_e32 v8, s9
	v_add_co_u32_e32 v4, vcc, s8, v4
	v_addc_co_u32_e32 v5, vcc, v8, v5, vcc
	v_cmp_gt_u32_e32 vcc, s15, v10
	v_add_u32_e32 v14, v10, v16
	v_cndmask_b32_e32 v5, v5, v6, vcc
	v_cndmask_b32_e32 v4, v4, v7, vcc
	v_lshlrev_b64 v[6:7], 2, v[14:15]
	global_load_dword v4, v[4:5], off
	v_mov_b32_e32 v5, s12
	v_add_co_u32_e32 v8, vcc, s11, v6
	v_addc_co_u32_e32 v5, vcc, v5, v7, vcc
	v_subrev_u32_e32 v6, s15, v14
	v_mov_b32_e32 v7, v15
	v_lshlrev_b64 v[6:7], 2, v[6:7]
	v_mov_b32_e32 v9, s9
	v_add_co_u32_e32 v6, vcc, s8, v6
	v_addc_co_u32_e32 v7, vcc, v9, v7, vcc
	v_cmp_gt_u32_e32 vcc, s15, v14
	v_cndmask_b32_e32 v7, v7, v5, vcc
	v_cndmask_b32_e32 v6, v6, v8, vcc
	v_add_u32_e32 v14, v14, v16
	global_load_dword v5, v[6:7], off
	v_lshlrev_b64 v[6:7], 2, v[14:15]
	v_mov_b32_e32 v8, s12
	v_add_co_u32_e32 v9, vcc, s11, v6
	v_addc_co_u32_e32 v8, vcc, v8, v7, vcc
	v_subrev_u32_e32 v6, s15, v14
	v_mov_b32_e32 v7, v15
	v_lshlrev_b64 v[6:7], 2, v[6:7]
	v_mov_b32_e32 v11, s9
	v_add_co_u32_e32 v6, vcc, s8, v6
	v_addc_co_u32_e32 v7, vcc, v11, v7, vcc
	v_cmp_gt_u32_e32 vcc, s15, v14
	v_add_u32_e32 v14, v14, v16
	v_cndmask_b32_e32 v7, v7, v8, vcc
	v_cndmask_b32_e32 v6, v6, v9, vcc
	v_lshlrev_b64 v[8:9], 2, v[14:15]
	global_load_dword v6, v[6:7], off
	v_mov_b32_e32 v7, s12
	v_add_co_u32_e32 v11, vcc, s11, v8
	v_addc_co_u32_e32 v7, vcc, v7, v9, vcc
	v_subrev_u32_e32 v8, s15, v14
	v_mov_b32_e32 v9, v15
	v_lshlrev_b64 v[8:9], 2, v[8:9]
	v_mov_b32_e32 v13, s9
	v_add_co_u32_e32 v8, vcc, s8, v8
	v_addc_co_u32_e32 v9, vcc, v13, v9, vcc
	v_cmp_gt_u32_e32 vcc, s15, v14
	v_cndmask_b32_e32 v9, v9, v7, vcc
	v_cndmask_b32_e32 v8, v8, v11, vcc
	v_add_u32_e32 v14, v14, v16
	global_load_dword v7, v[8:9], off
	v_lshlrev_b64 v[8:9], 2, v[14:15]
	v_mov_b32_e32 v11, s12
	v_add_co_u32_e32 v13, vcc, s11, v8
	v_addc_co_u32_e32 v11, vcc, v11, v9, vcc
	v_subrev_u32_e32 v8, s15, v14
	v_mov_b32_e32 v9, v15
	v_lshlrev_b64 v[8:9], 2, v[8:9]
	v_mov_b32_e32 v17, s9
	v_add_co_u32_e32 v8, vcc, s8, v8
	v_addc_co_u32_e32 v9, vcc, v17, v9, vcc
	v_cmp_gt_u32_e32 vcc, s15, v14
	v_add_u32_e32 v14, v14, v16
	v_cndmask_b32_e32 v9, v9, v11, vcc
	v_cndmask_b32_e32 v8, v8, v13, vcc
	v_lshlrev_b64 v[18:19], 2, v[14:15]
	global_load_dword v8, v[8:9], off
	v_mov_b32_e32 v9, s12
	v_add_co_u32_e32 v11, vcc, s11, v18
	v_addc_co_u32_e32 v9, vcc, v9, v19, vcc
	v_cmp_gt_u32_e32 vcc, s15, v14
	v_subrev_u32_e32 v14, s15, v14
	v_lshlrev_b64 v[14:15], 2, v[14:15]
	v_mov_b32_e32 v13, s9
	v_add_co_u32_e64 v14, s[0:1], s8, v14
	v_addc_co_u32_e64 v13, s[0:1], v13, v15, s[0:1]
	v_cndmask_b32_e32 v15, v13, v9, vcc
	v_cndmask_b32_e32 v14, v14, v11, vcc
	global_load_dword v9, v[14:15], off
	s_add_i32 s17, s7, s15
	s_load_dwordx2 s[20:21], s[4:5], 0x10
	s_cbranch_execz .LBB1625_4
	s_branch .LBB1625_19
.LBB1625_3:
                                        ; implicit-def: $vgpr2_vgpr3_vgpr4_vgpr5_vgpr6_vgpr7_vgpr8_vgpr9
                                        ; implicit-def: $sgpr17
	s_load_dwordx2 s[20:21], s[4:5], 0x10
.LBB1625_4:
	s_add_i32 s17, s7, s15
	v_cmp_gt_u32_e32 vcc, s17, v0
                                        ; implicit-def: $vgpr2_vgpr3_vgpr4_vgpr5_vgpr6_vgpr7_vgpr8_vgpr9
	s_and_saveexec_b64 s[0:1], vcc
	s_cbranch_execnz .LBB1625_44
; %bb.5:
	s_or_b64 exec, exec, s[0:1]
	v_cmp_gt_u32_e32 vcc, s17, v12
	s_and_saveexec_b64 s[2:3], vcc
	s_cbranch_execnz .LBB1625_45
.LBB1625_6:
	s_or_b64 exec, exec, s[2:3]
	v_cmp_gt_u32_e32 vcc, s17, v10
	s_and_saveexec_b64 s[0:1], vcc
	s_cbranch_execz .LBB1625_8
.LBB1625_7:
	v_mov_b32_e32 v11, 0
	v_lshlrev_b64 v[12:13], 2, v[10:11]
	s_waitcnt vmcnt(5)
	v_mov_b32_e32 v4, s12
	v_add_co_u32_e32 v14, vcc, s11, v12
	v_addc_co_u32_e32 v4, vcc, v4, v13, vcc
	v_subrev_u32_e32 v12, s15, v10
	v_mov_b32_e32 v13, v11
	v_lshlrev_b64 v[12:13], 2, v[12:13]
	v_mov_b32_e32 v11, s9
	v_add_co_u32_e32 v12, vcc, s8, v12
	v_addc_co_u32_e32 v11, vcc, v11, v13, vcc
	v_cmp_gt_u32_e32 vcc, s15, v10
	v_cndmask_b32_e32 v13, v11, v4, vcc
	v_cndmask_b32_e32 v12, v12, v14, vcc
	global_load_dword v4, v[12:13], off
.LBB1625_8:
	s_or_b64 exec, exec, s[0:1]
	v_add_u32_e32 v10, v10, v16
	v_cmp_gt_u32_e32 vcc, s17, v10
	s_and_saveexec_b64 s[0:1], vcc
	s_cbranch_execz .LBB1625_10
; %bb.9:
	v_mov_b32_e32 v11, 0
	v_lshlrev_b64 v[12:13], 2, v[10:11]
	s_waitcnt vmcnt(4)
	v_mov_b32_e32 v5, s12
	v_add_co_u32_e32 v14, vcc, s11, v12
	v_addc_co_u32_e32 v5, vcc, v5, v13, vcc
	v_subrev_u32_e32 v12, s15, v10
	v_mov_b32_e32 v13, v11
	v_lshlrev_b64 v[12:13], 2, v[12:13]
	v_mov_b32_e32 v11, s9
	v_add_co_u32_e32 v12, vcc, s8, v12
	v_addc_co_u32_e32 v11, vcc, v11, v13, vcc
	v_cmp_gt_u32_e32 vcc, s15, v10
	v_cndmask_b32_e32 v13, v11, v5, vcc
	v_cndmask_b32_e32 v12, v12, v14, vcc
	global_load_dword v5, v[12:13], off
.LBB1625_10:
	s_or_b64 exec, exec, s[0:1]
	v_add_u32_e32 v10, v10, v16
	v_cmp_gt_u32_e32 vcc, s17, v10
	s_and_saveexec_b64 s[0:1], vcc
	s_cbranch_execz .LBB1625_12
; %bb.11:
	v_mov_b32_e32 v11, 0
	v_lshlrev_b64 v[12:13], 2, v[10:11]
	s_waitcnt vmcnt(3)
	v_mov_b32_e32 v6, s12
	v_add_co_u32_e32 v14, vcc, s11, v12
	v_addc_co_u32_e32 v6, vcc, v6, v13, vcc
	v_subrev_u32_e32 v12, s15, v10
	v_mov_b32_e32 v13, v11
	v_lshlrev_b64 v[12:13], 2, v[12:13]
	v_mov_b32_e32 v11, s9
	v_add_co_u32_e32 v12, vcc, s8, v12
	v_addc_co_u32_e32 v11, vcc, v11, v13, vcc
	v_cmp_gt_u32_e32 vcc, s15, v10
	v_cndmask_b32_e32 v13, v11, v6, vcc
	v_cndmask_b32_e32 v12, v12, v14, vcc
	global_load_dword v6, v[12:13], off
.LBB1625_12:
	;; [unrolled: 23-line block ×4, first 2 shown]
	s_or_b64 exec, exec, s[0:1]
	v_add_u32_e32 v10, v10, v16
	v_cmp_gt_u32_e32 vcc, s17, v10
	s_and_saveexec_b64 s[2:3], vcc
	s_cbranch_execz .LBB1625_18
; %bb.17:
	v_mov_b32_e32 v11, 0
	v_lshlrev_b64 v[12:13], 2, v[10:11]
	s_waitcnt vmcnt(0)
	v_mov_b32_e32 v9, s12
	v_add_co_u32_e32 v12, vcc, s11, v12
	v_addc_co_u32_e32 v9, vcc, v9, v13, vcc
	v_cmp_gt_u32_e32 vcc, s15, v10
	v_subrev_u32_e32 v10, s15, v10
	v_lshlrev_b64 v[10:11], 2, v[10:11]
	v_mov_b32_e32 v13, s9
	v_add_co_u32_e64 v10, s[0:1], s8, v10
	v_addc_co_u32_e64 v11, s[0:1], v13, v11, s[0:1]
	v_cndmask_b32_e32 v11, v11, v9, vcc
	v_cndmask_b32_e32 v10, v10, v12, vcc
	global_load_dword v9, v[10:11], off
.LBB1625_18:
	s_or_b64 exec, exec, s[2:3]
.LBB1625_19:
	v_lshlrev_b32_e32 v10, 3, v0
	v_min_u32_e32 v12, s17, v10
	v_sub_u32_e64 v11, v12, s7 clamp
	v_min_u32_e32 v13, s15, v12
	v_cmp_lt_u32_e32 vcc, v11, v13
	s_waitcnt vmcnt(0)
	ds_write2st64_b32 v1, v2, v3 offset1:2
	ds_write2st64_b32 v1, v4, v5 offset0:4 offset1:6
	ds_write2st64_b32 v1, v6, v7 offset0:8 offset1:10
	;; [unrolled: 1-line block ×3, first 2 shown]
	s_waitcnt lgkmcnt(0)
	s_barrier
	s_and_saveexec_b64 s[0:1], vcc
	s_cbranch_execz .LBB1625_23
; %bb.20:
	v_lshlrev_b32_e32 v14, 2, v12
	v_lshl_add_u32 v14, s15, 2, v14
	s_mov_b64 s[2:3], 0
.LBB1625_21:                            ; =>This Inner Loop Header: Depth=1
	v_add_u32_e32 v15, v13, v11
	v_lshrrev_b32_e32 v15, 1, v15
	v_not_b32_e32 v16, v15
	v_lshlrev_b32_e32 v17, 2, v15
	v_lshl_add_u32 v16, v16, 2, v14
	ds_read_b32 v17, v17
	ds_read_b32 v16, v16
	v_add_u32_e32 v18, 1, v15
	s_waitcnt lgkmcnt(0)
	v_cmp_gt_i32_e32 vcc, v17, v16
	v_cndmask_b32_e32 v13, v13, v15, vcc
	v_cndmask_b32_e32 v11, v18, v11, vcc
	v_cmp_ge_u32_e32 vcc, v11, v13
	s_or_b64 s[2:3], vcc, s[2:3]
	s_andn2_b64 exec, exec, s[2:3]
	s_cbranch_execnz .LBB1625_21
; %bb.22:
	s_or_b64 exec, exec, s[2:3]
.LBB1625_23:
	s_or_b64 exec, exec, s[0:1]
	v_sub_u32_e32 v12, v12, v11
	v_add_u32_e32 v12, s15, v12
	v_cmp_ge_u32_e32 vcc, s15, v11
	v_cmp_ge_u32_e64 s[0:1], s17, v12
	s_or_b64 s[0:1], vcc, s[0:1]
	s_and_saveexec_b64 s[22:23], s[0:1]
	s_cbranch_execz .LBB1625_29
; %bb.24:
	v_cmp_gt_u32_e32 vcc, s15, v11
                                        ; implicit-def: $vgpr2
	s_and_saveexec_b64 s[0:1], vcc
	s_cbranch_execz .LBB1625_26
; %bb.25:
	v_lshlrev_b32_e32 v2, 2, v11
	ds_read_b32 v2, v2
.LBB1625_26:
	s_or_b64 exec, exec, s[0:1]
	v_cmp_le_u32_e64 s[0:1], s17, v12
	v_cmp_gt_u32_e64 s[2:3], s17, v12
                                        ; implicit-def: $vgpr3
	s_and_saveexec_b64 s[4:5], s[2:3]
	s_cbranch_execz .LBB1625_28
; %bb.27:
	v_lshlrev_b32_e32 v3, 2, v12
	ds_read_b32 v3, v3
.LBB1625_28:
	s_or_b64 exec, exec, s[4:5]
	s_waitcnt lgkmcnt(0)
	v_cmp_le_i32_e64 s[2:3], v2, v3
	s_and_b64 s[2:3], vcc, s[2:3]
	s_or_b64 vcc, s[0:1], s[2:3]
	v_mov_b32_e32 v5, s17
	v_mov_b32_e32 v6, s15
	v_cndmask_b32_e32 v4, v12, v11, vcc
	v_cndmask_b32_e32 v7, v5, v6, vcc
	v_add_u32_e32 v4, 1, v4
	v_add_u32_e32 v7, -1, v7
	v_min_u32_e32 v7, v4, v7
	v_lshlrev_b32_e32 v7, 2, v7
	ds_read_b32 v7, v7
	v_cndmask_b32_e32 v9, v4, v12, vcc
	v_cndmask_b32_e32 v4, v11, v4, vcc
	v_cmp_gt_u32_e64 s[2:3], s15, v4
	v_cmp_le_u32_e64 s[0:1], s17, v9
	s_waitcnt lgkmcnt(0)
	v_cndmask_b32_e32 v8, v7, v3, vcc
	v_cndmask_b32_e32 v7, v2, v7, vcc
	v_cmp_le_i32_e64 s[4:5], v7, v8
	s_and_b64 s[2:3], s[2:3], s[4:5]
	s_or_b64 s[0:1], s[0:1], s[2:3]
	v_cndmask_b32_e64 v11, v9, v4, s[0:1]
	v_cndmask_b32_e64 v12, v5, v6, s[0:1]
	v_add_u32_e32 v11, 1, v11
	v_add_u32_e32 v12, -1, v12
	v_min_u32_e32 v12, v11, v12
	v_lshlrev_b32_e32 v12, 2, v12
	ds_read_b32 v12, v12
	v_cndmask_b32_e64 v4, v4, v11, s[0:1]
	v_cndmask_b32_e64 v9, v11, v9, s[0:1]
	v_cmp_gt_u32_e64 s[4:5], s15, v4
	v_cmp_le_u32_e64 s[2:3], s17, v9
	s_waitcnt lgkmcnt(0)
	v_cndmask_b32_e64 v13, v12, v8, s[0:1]
	v_cndmask_b32_e64 v12, v7, v12, s[0:1]
	v_cmp_le_i32_e64 s[6:7], v12, v13
	s_and_b64 s[4:5], s[4:5], s[6:7]
	s_or_b64 s[2:3], s[2:3], s[4:5]
	v_cndmask_b32_e64 v11, v9, v4, s[2:3]
	v_cndmask_b32_e64 v14, v5, v6, s[2:3]
	v_add_u32_e32 v11, 1, v11
	v_add_u32_e32 v14, -1, v14
	v_min_u32_e32 v14, v11, v14
	v_lshlrev_b32_e32 v14, 2, v14
	ds_read_b32 v14, v14
	v_cndmask_b32_e64 v4, v4, v11, s[2:3]
	v_cndmask_b32_e64 v9, v11, v9, s[2:3]
	v_cmp_gt_u32_e64 s[6:7], s15, v4
	v_cmp_le_u32_e64 s[4:5], s17, v9
	s_waitcnt lgkmcnt(0)
	v_cndmask_b32_e64 v15, v14, v13, s[2:3]
	v_cndmask_b32_e64 v14, v12, v14, s[2:3]
	;; [unrolled: 17-line block ×4, first 2 shown]
	v_cmp_le_i32_e64 s[12:13], v18, v19
	s_and_b64 s[10:11], s[10:11], s[12:13]
	s_or_b64 s[8:9], s[8:9], s[10:11]
	v_cndmask_b32_e64 v4, v9, v11, s[8:9]
	v_cndmask_b32_e64 v20, v5, v6, s[8:9]
	v_add_u32_e32 v21, 1, v4
	v_add_u32_e32 v4, -1, v20
	v_min_u32_e32 v4, v21, v4
	v_lshlrev_b32_e32 v4, 2, v4
	ds_read_b32 v20, v4
	v_cndmask_b32_e64 v4, v13, v12, s[2:3]
	v_cndmask_b32_e64 v11, v11, v21, s[8:9]
	v_cndmask_b32_e32 v2, v3, v2, vcc
	v_cndmask_b32_e64 v3, v8, v7, s[0:1]
	s_waitcnt lgkmcnt(0)
	v_cndmask_b32_e64 v12, v20, v19, s[8:9]
	v_cndmask_b32_e64 v13, v18, v20, s[8:9]
	;; [unrolled: 1-line block ×3, first 2 shown]
	v_cmp_gt_u32_e64 s[0:1], s15, v11
	v_cmp_le_i32_e64 s[2:3], v13, v12
	v_cmp_le_u32_e32 vcc, s17, v9
	s_and_b64 s[0:1], s[0:1], s[2:3]
	s_or_b64 vcc, vcc, s[0:1]
	v_cndmask_b32_e32 v7, v9, v11, vcc
	v_cndmask_b32_e32 v5, v5, v6, vcc
	v_add_u32_e32 v20, 1, v7
	v_add_u32_e32 v5, -1, v5
	v_min_u32_e32 v5, v20, v5
	v_lshlrev_b32_e32 v5, 2, v5
	ds_read_b32 v21, v5
	v_cndmask_b32_e32 v8, v12, v13, vcc
	v_cndmask_b32_e32 v11, v11, v20, vcc
	v_cndmask_b32_e32 v9, v20, v9, vcc
	v_cmp_gt_u32_e64 s[0:1], s15, v11
	s_waitcnt lgkmcnt(0)
	v_cndmask_b32_e32 v12, v21, v12, vcc
	v_cndmask_b32_e32 v13, v13, v21, vcc
	v_cmp_le_i32_e64 s[2:3], v13, v12
	v_cmp_le_u32_e32 vcc, s17, v9
	s_and_b64 s[0:1], s[0:1], s[2:3]
	s_or_b64 vcc, vcc, s[0:1]
	v_cndmask_b32_e64 v5, v15, v14, s[4:5]
	v_cndmask_b32_e64 v6, v17, v16, s[6:7]
	;; [unrolled: 1-line block ×3, first 2 shown]
	v_cndmask_b32_e32 v9, v12, v13, vcc
.LBB1625_29:
	s_or_b64 exec, exec, s[22:23]
	v_and_b32_e32 v11, 0x7c, v0
	v_lshl_add_u32 v10, v10, 2, v11
	s_barrier
	s_barrier
	ds_write2_b32 v10, v2, v3 offset1:1
	ds_write2_b32 v10, v4, v5 offset0:2 offset1:3
	ds_write2_b32 v10, v6, v7 offset0:4 offset1:5
	;; [unrolled: 1-line block ×3, first 2 shown]
	v_lshrrev_b32_e32 v2, 3, v0
	v_and_b32_e32 v2, 12, v2
	v_or_b32_e32 v10, 0x80, v0
	v_add_u32_e32 v11, v1, v2
	v_lshrrev_b32_e32 v2, 3, v10
	v_and_b32_e32 v2, 28, v2
	v_or_b32_e32 v9, 0x100, v0
	v_add_u32_e32 v12, v1, v2
	;; [unrolled: 4-line block ×5, first 2 shown]
	v_lshrrev_b32_e32 v2, 3, v6
	v_and_b32_e32 v2, 0x5c, v2
	v_or_b32_e32 v5, 0x300, v0
	s_mov_b32 s17, 0
	v_add_u32_e32 v16, v1, v2
	v_lshrrev_b32_e32 v2, 3, v5
	s_lshl_b64 s[0:1], s[16:17], 2
	v_and_b32_e32 v2, 0x6c, v2
	v_or_b32_e32 v4, 0x380, v0
	s_add_u32 s0, s20, s0
	v_add_u32_e32 v17, v1, v2
	v_lshrrev_b32_e32 v2, 3, v4
	s_addc_u32 s1, s21, s1
	v_and_b32_e32 v2, 0x7c, v2
	v_add_u32_e32 v18, v1, v2
	v_mov_b32_e32 v3, s1
	v_add_co_u32_e32 v2, vcc, s0, v1
	v_addc_co_u32_e32 v3, vcc, 0, v3, vcc
	s_and_b64 vcc, exec, s[18:19]
	s_waitcnt lgkmcnt(0)
	s_cbranch_vccz .LBB1625_31
; %bb.30:
	s_barrier
	ds_read_b32 v19, v11
	ds_read_b32 v20, v12 offset:512
	ds_read_b32 v21, v13 offset:1024
	;; [unrolled: 1-line block ×7, first 2 shown]
	s_waitcnt lgkmcnt(7)
	global_store_dword v[2:3], v19, off
	s_waitcnt lgkmcnt(6)
	global_store_dword v[2:3], v20, off offset:512
	s_waitcnt lgkmcnt(5)
	global_store_dword v[2:3], v21, off offset:1024
	;; [unrolled: 2-line block ×6, first 2 shown]
	s_mov_b64 s[0:1], -1
	s_cbranch_execz .LBB1625_32
	s_branch .LBB1625_41
.LBB1625_31:
	s_mov_b64 s[0:1], 0
                                        ; implicit-def: $vgpr1
.LBB1625_32:
	s_barrier
	s_waitcnt lgkmcnt(0)
	ds_read_b32 v21, v12 offset:512
	ds_read_b32 v20, v13 offset:1024
	;; [unrolled: 1-line block ×7, first 2 shown]
	s_sub_i32 s2, s14, s16
	v_cmp_gt_u32_e32 vcc, s2, v0
	s_and_saveexec_b64 s[0:1], vcc
	s_cbranch_execnz .LBB1625_46
; %bb.33:
	s_or_b64 exec, exec, s[0:1]
	v_cmp_gt_u32_e32 vcc, s2, v10
	s_and_saveexec_b64 s[0:1], vcc
	s_cbranch_execnz .LBB1625_47
.LBB1625_34:
	s_or_b64 exec, exec, s[0:1]
	v_cmp_gt_u32_e32 vcc, s2, v9
	s_and_saveexec_b64 s[0:1], vcc
	s_cbranch_execnz .LBB1625_48
.LBB1625_35:
	s_or_b64 exec, exec, s[0:1]
	v_cmp_gt_u32_e32 vcc, s2, v8
	s_and_saveexec_b64 s[0:1], vcc
	s_cbranch_execnz .LBB1625_49
.LBB1625_36:
	s_or_b64 exec, exec, s[0:1]
	v_cmp_gt_u32_e32 vcc, s2, v7
	s_and_saveexec_b64 s[0:1], vcc
	s_cbranch_execnz .LBB1625_50
.LBB1625_37:
	s_or_b64 exec, exec, s[0:1]
	v_cmp_gt_u32_e32 vcc, s2, v6
	s_and_saveexec_b64 s[0:1], vcc
	s_cbranch_execnz .LBB1625_51
.LBB1625_38:
	s_or_b64 exec, exec, s[0:1]
	v_cmp_gt_u32_e32 vcc, s2, v5
	s_and_saveexec_b64 s[0:1], vcc
	s_cbranch_execz .LBB1625_40
.LBB1625_39:
	s_waitcnt lgkmcnt(1)
	global_store_dword v[2:3], v12, off offset:3072
.LBB1625_40:
	s_or_b64 exec, exec, s[0:1]
	v_cmp_gt_u32_e64 s[0:1], s2, v4
.LBB1625_41:
	s_and_saveexec_b64 s[2:3], s[0:1]
	s_cbranch_execz .LBB1625_43
; %bb.42:
	s_waitcnt lgkmcnt(0)
	global_store_dword v[2:3], v1, off offset:3584
.LBB1625_43:
	s_endpgm
.LBB1625_44:
	s_waitcnt vmcnt(7)
	v_mov_b32_e32 v2, s12
	s_waitcnt vmcnt(5)
	v_add_co_u32_e32 v4, vcc, s11, v1
	v_mov_b32_e32 v3, 0
	s_waitcnt vmcnt(4)
	v_addc_co_u32_e32 v5, vcc, 0, v2, vcc
	v_subrev_u32_e32 v2, s15, v0
	v_lshlrev_b64 v[2:3], 2, v[2:3]
	s_waitcnt vmcnt(3)
	v_mov_b32_e32 v6, s9
	v_add_co_u32_e32 v2, vcc, s8, v2
	v_addc_co_u32_e32 v3, vcc, v6, v3, vcc
	v_cmp_gt_u32_e32 vcc, s15, v0
	v_cndmask_b32_e32 v3, v3, v5, vcc
	v_cndmask_b32_e32 v2, v2, v4, vcc
	global_load_dword v2, v[2:3], off
	s_or_b64 exec, exec, s[0:1]
	v_cmp_gt_u32_e32 vcc, s17, v12
	s_and_saveexec_b64 s[2:3], vcc
	s_cbranch_execz .LBB1625_6
.LBB1625_45:
	v_mov_b32_e32 v13, 0
	v_lshlrev_b64 v[14:15], 2, v[12:13]
	s_waitcnt vmcnt(6)
	v_mov_b32_e32 v3, s12
	v_add_co_u32_e32 v11, vcc, s11, v14
	v_addc_co_u32_e32 v3, vcc, v3, v15, vcc
	v_cmp_gt_u32_e32 vcc, s15, v12
	v_subrev_u32_e32 v12, s15, v12
	v_lshlrev_b64 v[12:13], 2, v[12:13]
	v_mov_b32_e32 v14, s9
	v_add_co_u32_e64 v12, s[0:1], s8, v12
	v_addc_co_u32_e64 v13, s[0:1], v14, v13, s[0:1]
	v_cndmask_b32_e32 v13, v13, v3, vcc
	v_cndmask_b32_e32 v12, v12, v11, vcc
	global_load_dword v3, v[12:13], off
	s_or_b64 exec, exec, s[2:3]
	v_cmp_gt_u32_e32 vcc, s17, v10
	s_and_saveexec_b64 s[0:1], vcc
	s_cbranch_execnz .LBB1625_7
	s_branch .LBB1625_8
.LBB1625_46:
	ds_read_b32 v0, v11
	s_waitcnt lgkmcnt(0)
	global_store_dword v[2:3], v0, off
	s_or_b64 exec, exec, s[0:1]
	v_cmp_gt_u32_e32 vcc, s2, v10
	s_and_saveexec_b64 s[0:1], vcc
	s_cbranch_execz .LBB1625_34
.LBB1625_47:
	s_waitcnt lgkmcnt(6)
	global_store_dword v[2:3], v21, off offset:512
	s_or_b64 exec, exec, s[0:1]
	v_cmp_gt_u32_e32 vcc, s2, v9
	s_and_saveexec_b64 s[0:1], vcc
	s_cbranch_execz .LBB1625_35
.LBB1625_48:
	s_waitcnt lgkmcnt(5)
	global_store_dword v[2:3], v20, off offset:1024
	s_or_b64 exec, exec, s[0:1]
	v_cmp_gt_u32_e32 vcc, s2, v8
	s_and_saveexec_b64 s[0:1], vcc
	s_cbranch_execz .LBB1625_36
.LBB1625_49:
	s_waitcnt lgkmcnt(4)
	global_store_dword v[2:3], v19, off offset:1536
	s_or_b64 exec, exec, s[0:1]
	v_cmp_gt_u32_e32 vcc, s2, v7
	s_and_saveexec_b64 s[0:1], vcc
	s_cbranch_execz .LBB1625_37
.LBB1625_50:
	s_waitcnt lgkmcnt(3)
	global_store_dword v[2:3], v14, off offset:2048
	s_or_b64 exec, exec, s[0:1]
	v_cmp_gt_u32_e32 vcc, s2, v6
	s_and_saveexec_b64 s[0:1], vcc
	s_cbranch_execz .LBB1625_38
.LBB1625_51:
	s_waitcnt lgkmcnt(2)
	global_store_dword v[2:3], v13, off offset:2560
	s_or_b64 exec, exec, s[0:1]
	v_cmp_gt_u32_e32 vcc, s2, v5
	s_and_saveexec_b64 s[0:1], vcc
	s_cbranch_execnz .LBB1625_39
	s_branch .LBB1625_40
	.section	.rodata,"a",@progbits
	.p2align	6, 0x0
	.amdhsa_kernel _ZN7rocprim17ROCPRIM_400000_NS6detail17trampoline_kernelINS0_14default_configENS1_38merge_sort_block_merge_config_selectorIiNS0_10empty_typeEEEZZNS1_27merge_sort_block_merge_implIS3_N6thrust23THRUST_200600_302600_NS6detail15normal_iteratorINS9_10device_ptrIiEEEEPS5_jNS1_19radix_merge_compareILb0ELb0EiNS0_19identity_decomposerEEEEE10hipError_tT0_T1_T2_jT3_P12ihipStream_tbPNSt15iterator_traitsISK_E10value_typeEPNSQ_ISL_E10value_typeEPSM_NS1_7vsmem_tEENKUlT_SK_SL_SM_E_clIPiSE_SF_SF_EESJ_SZ_SK_SL_SM_EUlSZ_E0_NS1_11comp_targetILNS1_3genE4ELNS1_11target_archE910ELNS1_3gpuE8ELNS1_3repE0EEENS1_38merge_mergepath_config_static_selectorELNS0_4arch9wavefront6targetE1EEEvSL_
		.amdhsa_group_segment_fixed_size 4224
		.amdhsa_private_segment_fixed_size 0
		.amdhsa_kernarg_size 320
		.amdhsa_user_sgpr_count 6
		.amdhsa_user_sgpr_private_segment_buffer 1
		.amdhsa_user_sgpr_dispatch_ptr 0
		.amdhsa_user_sgpr_queue_ptr 0
		.amdhsa_user_sgpr_kernarg_segment_ptr 1
		.amdhsa_user_sgpr_dispatch_id 0
		.amdhsa_user_sgpr_flat_scratch_init 0
		.amdhsa_user_sgpr_kernarg_preload_length 0
		.amdhsa_user_sgpr_kernarg_preload_offset 0
		.amdhsa_user_sgpr_private_segment_size 0
		.amdhsa_uses_dynamic_stack 0
		.amdhsa_system_sgpr_private_segment_wavefront_offset 0
		.amdhsa_system_sgpr_workgroup_id_x 1
		.amdhsa_system_sgpr_workgroup_id_y 1
		.amdhsa_system_sgpr_workgroup_id_z 1
		.amdhsa_system_sgpr_workgroup_info 0
		.amdhsa_system_vgpr_workitem_id 0
		.amdhsa_next_free_vgpr 26
		.amdhsa_next_free_sgpr 24
		.amdhsa_accum_offset 28
		.amdhsa_reserve_vcc 1
		.amdhsa_reserve_flat_scratch 0
		.amdhsa_float_round_mode_32 0
		.amdhsa_float_round_mode_16_64 0
		.amdhsa_float_denorm_mode_32 3
		.amdhsa_float_denorm_mode_16_64 3
		.amdhsa_dx10_clamp 1
		.amdhsa_ieee_mode 1
		.amdhsa_fp16_overflow 0
		.amdhsa_tg_split 0
		.amdhsa_exception_fp_ieee_invalid_op 0
		.amdhsa_exception_fp_denorm_src 0
		.amdhsa_exception_fp_ieee_div_zero 0
		.amdhsa_exception_fp_ieee_overflow 0
		.amdhsa_exception_fp_ieee_underflow 0
		.amdhsa_exception_fp_ieee_inexact 0
		.amdhsa_exception_int_div_zero 0
	.end_amdhsa_kernel
	.section	.text._ZN7rocprim17ROCPRIM_400000_NS6detail17trampoline_kernelINS0_14default_configENS1_38merge_sort_block_merge_config_selectorIiNS0_10empty_typeEEEZZNS1_27merge_sort_block_merge_implIS3_N6thrust23THRUST_200600_302600_NS6detail15normal_iteratorINS9_10device_ptrIiEEEEPS5_jNS1_19radix_merge_compareILb0ELb0EiNS0_19identity_decomposerEEEEE10hipError_tT0_T1_T2_jT3_P12ihipStream_tbPNSt15iterator_traitsISK_E10value_typeEPNSQ_ISL_E10value_typeEPSM_NS1_7vsmem_tEENKUlT_SK_SL_SM_E_clIPiSE_SF_SF_EESJ_SZ_SK_SL_SM_EUlSZ_E0_NS1_11comp_targetILNS1_3genE4ELNS1_11target_archE910ELNS1_3gpuE8ELNS1_3repE0EEENS1_38merge_mergepath_config_static_selectorELNS0_4arch9wavefront6targetE1EEEvSL_,"axG",@progbits,_ZN7rocprim17ROCPRIM_400000_NS6detail17trampoline_kernelINS0_14default_configENS1_38merge_sort_block_merge_config_selectorIiNS0_10empty_typeEEEZZNS1_27merge_sort_block_merge_implIS3_N6thrust23THRUST_200600_302600_NS6detail15normal_iteratorINS9_10device_ptrIiEEEEPS5_jNS1_19radix_merge_compareILb0ELb0EiNS0_19identity_decomposerEEEEE10hipError_tT0_T1_T2_jT3_P12ihipStream_tbPNSt15iterator_traitsISK_E10value_typeEPNSQ_ISL_E10value_typeEPSM_NS1_7vsmem_tEENKUlT_SK_SL_SM_E_clIPiSE_SF_SF_EESJ_SZ_SK_SL_SM_EUlSZ_E0_NS1_11comp_targetILNS1_3genE4ELNS1_11target_archE910ELNS1_3gpuE8ELNS1_3repE0EEENS1_38merge_mergepath_config_static_selectorELNS0_4arch9wavefront6targetE1EEEvSL_,comdat
.Lfunc_end1625:
	.size	_ZN7rocprim17ROCPRIM_400000_NS6detail17trampoline_kernelINS0_14default_configENS1_38merge_sort_block_merge_config_selectorIiNS0_10empty_typeEEEZZNS1_27merge_sort_block_merge_implIS3_N6thrust23THRUST_200600_302600_NS6detail15normal_iteratorINS9_10device_ptrIiEEEEPS5_jNS1_19radix_merge_compareILb0ELb0EiNS0_19identity_decomposerEEEEE10hipError_tT0_T1_T2_jT3_P12ihipStream_tbPNSt15iterator_traitsISK_E10value_typeEPNSQ_ISL_E10value_typeEPSM_NS1_7vsmem_tEENKUlT_SK_SL_SM_E_clIPiSE_SF_SF_EESJ_SZ_SK_SL_SM_EUlSZ_E0_NS1_11comp_targetILNS1_3genE4ELNS1_11target_archE910ELNS1_3gpuE8ELNS1_3repE0EEENS1_38merge_mergepath_config_static_selectorELNS0_4arch9wavefront6targetE1EEEvSL_, .Lfunc_end1625-_ZN7rocprim17ROCPRIM_400000_NS6detail17trampoline_kernelINS0_14default_configENS1_38merge_sort_block_merge_config_selectorIiNS0_10empty_typeEEEZZNS1_27merge_sort_block_merge_implIS3_N6thrust23THRUST_200600_302600_NS6detail15normal_iteratorINS9_10device_ptrIiEEEEPS5_jNS1_19radix_merge_compareILb0ELb0EiNS0_19identity_decomposerEEEEE10hipError_tT0_T1_T2_jT3_P12ihipStream_tbPNSt15iterator_traitsISK_E10value_typeEPNSQ_ISL_E10value_typeEPSM_NS1_7vsmem_tEENKUlT_SK_SL_SM_E_clIPiSE_SF_SF_EESJ_SZ_SK_SL_SM_EUlSZ_E0_NS1_11comp_targetILNS1_3genE4ELNS1_11target_archE910ELNS1_3gpuE8ELNS1_3repE0EEENS1_38merge_mergepath_config_static_selectorELNS0_4arch9wavefront6targetE1EEEvSL_
                                        ; -- End function
	.section	.AMDGPU.csdata,"",@progbits
; Kernel info:
; codeLenInByte = 3628
; NumSgprs: 28
; NumVgprs: 26
; NumAgprs: 0
; TotalNumVgprs: 26
; ScratchSize: 0
; MemoryBound: 0
; FloatMode: 240
; IeeeMode: 1
; LDSByteSize: 4224 bytes/workgroup (compile time only)
; SGPRBlocks: 3
; VGPRBlocks: 3
; NumSGPRsForWavesPerEU: 28
; NumVGPRsForWavesPerEU: 26
; AccumOffset: 28
; Occupancy: 8
; WaveLimiterHint : 1
; COMPUTE_PGM_RSRC2:SCRATCH_EN: 0
; COMPUTE_PGM_RSRC2:USER_SGPR: 6
; COMPUTE_PGM_RSRC2:TRAP_HANDLER: 0
; COMPUTE_PGM_RSRC2:TGID_X_EN: 1
; COMPUTE_PGM_RSRC2:TGID_Y_EN: 1
; COMPUTE_PGM_RSRC2:TGID_Z_EN: 1
; COMPUTE_PGM_RSRC2:TIDIG_COMP_CNT: 0
; COMPUTE_PGM_RSRC3_GFX90A:ACCUM_OFFSET: 6
; COMPUTE_PGM_RSRC3_GFX90A:TG_SPLIT: 0
	.section	.text._ZN7rocprim17ROCPRIM_400000_NS6detail17trampoline_kernelINS0_14default_configENS1_38merge_sort_block_merge_config_selectorIiNS0_10empty_typeEEEZZNS1_27merge_sort_block_merge_implIS3_N6thrust23THRUST_200600_302600_NS6detail15normal_iteratorINS9_10device_ptrIiEEEEPS5_jNS1_19radix_merge_compareILb0ELb0EiNS0_19identity_decomposerEEEEE10hipError_tT0_T1_T2_jT3_P12ihipStream_tbPNSt15iterator_traitsISK_E10value_typeEPNSQ_ISL_E10value_typeEPSM_NS1_7vsmem_tEENKUlT_SK_SL_SM_E_clIPiSE_SF_SF_EESJ_SZ_SK_SL_SM_EUlSZ_E0_NS1_11comp_targetILNS1_3genE3ELNS1_11target_archE908ELNS1_3gpuE7ELNS1_3repE0EEENS1_38merge_mergepath_config_static_selectorELNS0_4arch9wavefront6targetE1EEEvSL_,"axG",@progbits,_ZN7rocprim17ROCPRIM_400000_NS6detail17trampoline_kernelINS0_14default_configENS1_38merge_sort_block_merge_config_selectorIiNS0_10empty_typeEEEZZNS1_27merge_sort_block_merge_implIS3_N6thrust23THRUST_200600_302600_NS6detail15normal_iteratorINS9_10device_ptrIiEEEEPS5_jNS1_19radix_merge_compareILb0ELb0EiNS0_19identity_decomposerEEEEE10hipError_tT0_T1_T2_jT3_P12ihipStream_tbPNSt15iterator_traitsISK_E10value_typeEPNSQ_ISL_E10value_typeEPSM_NS1_7vsmem_tEENKUlT_SK_SL_SM_E_clIPiSE_SF_SF_EESJ_SZ_SK_SL_SM_EUlSZ_E0_NS1_11comp_targetILNS1_3genE3ELNS1_11target_archE908ELNS1_3gpuE7ELNS1_3repE0EEENS1_38merge_mergepath_config_static_selectorELNS0_4arch9wavefront6targetE1EEEvSL_,comdat
	.protected	_ZN7rocprim17ROCPRIM_400000_NS6detail17trampoline_kernelINS0_14default_configENS1_38merge_sort_block_merge_config_selectorIiNS0_10empty_typeEEEZZNS1_27merge_sort_block_merge_implIS3_N6thrust23THRUST_200600_302600_NS6detail15normal_iteratorINS9_10device_ptrIiEEEEPS5_jNS1_19radix_merge_compareILb0ELb0EiNS0_19identity_decomposerEEEEE10hipError_tT0_T1_T2_jT3_P12ihipStream_tbPNSt15iterator_traitsISK_E10value_typeEPNSQ_ISL_E10value_typeEPSM_NS1_7vsmem_tEENKUlT_SK_SL_SM_E_clIPiSE_SF_SF_EESJ_SZ_SK_SL_SM_EUlSZ_E0_NS1_11comp_targetILNS1_3genE3ELNS1_11target_archE908ELNS1_3gpuE7ELNS1_3repE0EEENS1_38merge_mergepath_config_static_selectorELNS0_4arch9wavefront6targetE1EEEvSL_ ; -- Begin function _ZN7rocprim17ROCPRIM_400000_NS6detail17trampoline_kernelINS0_14default_configENS1_38merge_sort_block_merge_config_selectorIiNS0_10empty_typeEEEZZNS1_27merge_sort_block_merge_implIS3_N6thrust23THRUST_200600_302600_NS6detail15normal_iteratorINS9_10device_ptrIiEEEEPS5_jNS1_19radix_merge_compareILb0ELb0EiNS0_19identity_decomposerEEEEE10hipError_tT0_T1_T2_jT3_P12ihipStream_tbPNSt15iterator_traitsISK_E10value_typeEPNSQ_ISL_E10value_typeEPSM_NS1_7vsmem_tEENKUlT_SK_SL_SM_E_clIPiSE_SF_SF_EESJ_SZ_SK_SL_SM_EUlSZ_E0_NS1_11comp_targetILNS1_3genE3ELNS1_11target_archE908ELNS1_3gpuE7ELNS1_3repE0EEENS1_38merge_mergepath_config_static_selectorELNS0_4arch9wavefront6targetE1EEEvSL_
	.globl	_ZN7rocprim17ROCPRIM_400000_NS6detail17trampoline_kernelINS0_14default_configENS1_38merge_sort_block_merge_config_selectorIiNS0_10empty_typeEEEZZNS1_27merge_sort_block_merge_implIS3_N6thrust23THRUST_200600_302600_NS6detail15normal_iteratorINS9_10device_ptrIiEEEEPS5_jNS1_19radix_merge_compareILb0ELb0EiNS0_19identity_decomposerEEEEE10hipError_tT0_T1_T2_jT3_P12ihipStream_tbPNSt15iterator_traitsISK_E10value_typeEPNSQ_ISL_E10value_typeEPSM_NS1_7vsmem_tEENKUlT_SK_SL_SM_E_clIPiSE_SF_SF_EESJ_SZ_SK_SL_SM_EUlSZ_E0_NS1_11comp_targetILNS1_3genE3ELNS1_11target_archE908ELNS1_3gpuE7ELNS1_3repE0EEENS1_38merge_mergepath_config_static_selectorELNS0_4arch9wavefront6targetE1EEEvSL_
	.p2align	8
	.type	_ZN7rocprim17ROCPRIM_400000_NS6detail17trampoline_kernelINS0_14default_configENS1_38merge_sort_block_merge_config_selectorIiNS0_10empty_typeEEEZZNS1_27merge_sort_block_merge_implIS3_N6thrust23THRUST_200600_302600_NS6detail15normal_iteratorINS9_10device_ptrIiEEEEPS5_jNS1_19radix_merge_compareILb0ELb0EiNS0_19identity_decomposerEEEEE10hipError_tT0_T1_T2_jT3_P12ihipStream_tbPNSt15iterator_traitsISK_E10value_typeEPNSQ_ISL_E10value_typeEPSM_NS1_7vsmem_tEENKUlT_SK_SL_SM_E_clIPiSE_SF_SF_EESJ_SZ_SK_SL_SM_EUlSZ_E0_NS1_11comp_targetILNS1_3genE3ELNS1_11target_archE908ELNS1_3gpuE7ELNS1_3repE0EEENS1_38merge_mergepath_config_static_selectorELNS0_4arch9wavefront6targetE1EEEvSL_,@function
_ZN7rocprim17ROCPRIM_400000_NS6detail17trampoline_kernelINS0_14default_configENS1_38merge_sort_block_merge_config_selectorIiNS0_10empty_typeEEEZZNS1_27merge_sort_block_merge_implIS3_N6thrust23THRUST_200600_302600_NS6detail15normal_iteratorINS9_10device_ptrIiEEEEPS5_jNS1_19radix_merge_compareILb0ELb0EiNS0_19identity_decomposerEEEEE10hipError_tT0_T1_T2_jT3_P12ihipStream_tbPNSt15iterator_traitsISK_E10value_typeEPNSQ_ISL_E10value_typeEPSM_NS1_7vsmem_tEENKUlT_SK_SL_SM_E_clIPiSE_SF_SF_EESJ_SZ_SK_SL_SM_EUlSZ_E0_NS1_11comp_targetILNS1_3genE3ELNS1_11target_archE908ELNS1_3gpuE7ELNS1_3repE0EEENS1_38merge_mergepath_config_static_selectorELNS0_4arch9wavefront6targetE1EEEvSL_: ; @_ZN7rocprim17ROCPRIM_400000_NS6detail17trampoline_kernelINS0_14default_configENS1_38merge_sort_block_merge_config_selectorIiNS0_10empty_typeEEEZZNS1_27merge_sort_block_merge_implIS3_N6thrust23THRUST_200600_302600_NS6detail15normal_iteratorINS9_10device_ptrIiEEEEPS5_jNS1_19radix_merge_compareILb0ELb0EiNS0_19identity_decomposerEEEEE10hipError_tT0_T1_T2_jT3_P12ihipStream_tbPNSt15iterator_traitsISK_E10value_typeEPNSQ_ISL_E10value_typeEPSM_NS1_7vsmem_tEENKUlT_SK_SL_SM_E_clIPiSE_SF_SF_EESJ_SZ_SK_SL_SM_EUlSZ_E0_NS1_11comp_targetILNS1_3genE3ELNS1_11target_archE908ELNS1_3gpuE7ELNS1_3repE0EEENS1_38merge_mergepath_config_static_selectorELNS0_4arch9wavefront6targetE1EEEvSL_
; %bb.0:
	.section	.rodata,"a",@progbits
	.p2align	6, 0x0
	.amdhsa_kernel _ZN7rocprim17ROCPRIM_400000_NS6detail17trampoline_kernelINS0_14default_configENS1_38merge_sort_block_merge_config_selectorIiNS0_10empty_typeEEEZZNS1_27merge_sort_block_merge_implIS3_N6thrust23THRUST_200600_302600_NS6detail15normal_iteratorINS9_10device_ptrIiEEEEPS5_jNS1_19radix_merge_compareILb0ELb0EiNS0_19identity_decomposerEEEEE10hipError_tT0_T1_T2_jT3_P12ihipStream_tbPNSt15iterator_traitsISK_E10value_typeEPNSQ_ISL_E10value_typeEPSM_NS1_7vsmem_tEENKUlT_SK_SL_SM_E_clIPiSE_SF_SF_EESJ_SZ_SK_SL_SM_EUlSZ_E0_NS1_11comp_targetILNS1_3genE3ELNS1_11target_archE908ELNS1_3gpuE7ELNS1_3repE0EEENS1_38merge_mergepath_config_static_selectorELNS0_4arch9wavefront6targetE1EEEvSL_
		.amdhsa_group_segment_fixed_size 0
		.amdhsa_private_segment_fixed_size 0
		.amdhsa_kernarg_size 64
		.amdhsa_user_sgpr_count 6
		.amdhsa_user_sgpr_private_segment_buffer 1
		.amdhsa_user_sgpr_dispatch_ptr 0
		.amdhsa_user_sgpr_queue_ptr 0
		.amdhsa_user_sgpr_kernarg_segment_ptr 1
		.amdhsa_user_sgpr_dispatch_id 0
		.amdhsa_user_sgpr_flat_scratch_init 0
		.amdhsa_user_sgpr_kernarg_preload_length 0
		.amdhsa_user_sgpr_kernarg_preload_offset 0
		.amdhsa_user_sgpr_private_segment_size 0
		.amdhsa_uses_dynamic_stack 0
		.amdhsa_system_sgpr_private_segment_wavefront_offset 0
		.amdhsa_system_sgpr_workgroup_id_x 1
		.amdhsa_system_sgpr_workgroup_id_y 0
		.amdhsa_system_sgpr_workgroup_id_z 0
		.amdhsa_system_sgpr_workgroup_info 0
		.amdhsa_system_vgpr_workitem_id 0
		.amdhsa_next_free_vgpr 1
		.amdhsa_next_free_sgpr 0
		.amdhsa_accum_offset 4
		.amdhsa_reserve_vcc 0
		.amdhsa_reserve_flat_scratch 0
		.amdhsa_float_round_mode_32 0
		.amdhsa_float_round_mode_16_64 0
		.amdhsa_float_denorm_mode_32 3
		.amdhsa_float_denorm_mode_16_64 3
		.amdhsa_dx10_clamp 1
		.amdhsa_ieee_mode 1
		.amdhsa_fp16_overflow 0
		.amdhsa_tg_split 0
		.amdhsa_exception_fp_ieee_invalid_op 0
		.amdhsa_exception_fp_denorm_src 0
		.amdhsa_exception_fp_ieee_div_zero 0
		.amdhsa_exception_fp_ieee_overflow 0
		.amdhsa_exception_fp_ieee_underflow 0
		.amdhsa_exception_fp_ieee_inexact 0
		.amdhsa_exception_int_div_zero 0
	.end_amdhsa_kernel
	.section	.text._ZN7rocprim17ROCPRIM_400000_NS6detail17trampoline_kernelINS0_14default_configENS1_38merge_sort_block_merge_config_selectorIiNS0_10empty_typeEEEZZNS1_27merge_sort_block_merge_implIS3_N6thrust23THRUST_200600_302600_NS6detail15normal_iteratorINS9_10device_ptrIiEEEEPS5_jNS1_19radix_merge_compareILb0ELb0EiNS0_19identity_decomposerEEEEE10hipError_tT0_T1_T2_jT3_P12ihipStream_tbPNSt15iterator_traitsISK_E10value_typeEPNSQ_ISL_E10value_typeEPSM_NS1_7vsmem_tEENKUlT_SK_SL_SM_E_clIPiSE_SF_SF_EESJ_SZ_SK_SL_SM_EUlSZ_E0_NS1_11comp_targetILNS1_3genE3ELNS1_11target_archE908ELNS1_3gpuE7ELNS1_3repE0EEENS1_38merge_mergepath_config_static_selectorELNS0_4arch9wavefront6targetE1EEEvSL_,"axG",@progbits,_ZN7rocprim17ROCPRIM_400000_NS6detail17trampoline_kernelINS0_14default_configENS1_38merge_sort_block_merge_config_selectorIiNS0_10empty_typeEEEZZNS1_27merge_sort_block_merge_implIS3_N6thrust23THRUST_200600_302600_NS6detail15normal_iteratorINS9_10device_ptrIiEEEEPS5_jNS1_19radix_merge_compareILb0ELb0EiNS0_19identity_decomposerEEEEE10hipError_tT0_T1_T2_jT3_P12ihipStream_tbPNSt15iterator_traitsISK_E10value_typeEPNSQ_ISL_E10value_typeEPSM_NS1_7vsmem_tEENKUlT_SK_SL_SM_E_clIPiSE_SF_SF_EESJ_SZ_SK_SL_SM_EUlSZ_E0_NS1_11comp_targetILNS1_3genE3ELNS1_11target_archE908ELNS1_3gpuE7ELNS1_3repE0EEENS1_38merge_mergepath_config_static_selectorELNS0_4arch9wavefront6targetE1EEEvSL_,comdat
.Lfunc_end1626:
	.size	_ZN7rocprim17ROCPRIM_400000_NS6detail17trampoline_kernelINS0_14default_configENS1_38merge_sort_block_merge_config_selectorIiNS0_10empty_typeEEEZZNS1_27merge_sort_block_merge_implIS3_N6thrust23THRUST_200600_302600_NS6detail15normal_iteratorINS9_10device_ptrIiEEEEPS5_jNS1_19radix_merge_compareILb0ELb0EiNS0_19identity_decomposerEEEEE10hipError_tT0_T1_T2_jT3_P12ihipStream_tbPNSt15iterator_traitsISK_E10value_typeEPNSQ_ISL_E10value_typeEPSM_NS1_7vsmem_tEENKUlT_SK_SL_SM_E_clIPiSE_SF_SF_EESJ_SZ_SK_SL_SM_EUlSZ_E0_NS1_11comp_targetILNS1_3genE3ELNS1_11target_archE908ELNS1_3gpuE7ELNS1_3repE0EEENS1_38merge_mergepath_config_static_selectorELNS0_4arch9wavefront6targetE1EEEvSL_, .Lfunc_end1626-_ZN7rocprim17ROCPRIM_400000_NS6detail17trampoline_kernelINS0_14default_configENS1_38merge_sort_block_merge_config_selectorIiNS0_10empty_typeEEEZZNS1_27merge_sort_block_merge_implIS3_N6thrust23THRUST_200600_302600_NS6detail15normal_iteratorINS9_10device_ptrIiEEEEPS5_jNS1_19radix_merge_compareILb0ELb0EiNS0_19identity_decomposerEEEEE10hipError_tT0_T1_T2_jT3_P12ihipStream_tbPNSt15iterator_traitsISK_E10value_typeEPNSQ_ISL_E10value_typeEPSM_NS1_7vsmem_tEENKUlT_SK_SL_SM_E_clIPiSE_SF_SF_EESJ_SZ_SK_SL_SM_EUlSZ_E0_NS1_11comp_targetILNS1_3genE3ELNS1_11target_archE908ELNS1_3gpuE7ELNS1_3repE0EEENS1_38merge_mergepath_config_static_selectorELNS0_4arch9wavefront6targetE1EEEvSL_
                                        ; -- End function
	.section	.AMDGPU.csdata,"",@progbits
; Kernel info:
; codeLenInByte = 0
; NumSgprs: 4
; NumVgprs: 0
; NumAgprs: 0
; TotalNumVgprs: 0
; ScratchSize: 0
; MemoryBound: 0
; FloatMode: 240
; IeeeMode: 1
; LDSByteSize: 0 bytes/workgroup (compile time only)
; SGPRBlocks: 0
; VGPRBlocks: 0
; NumSGPRsForWavesPerEU: 4
; NumVGPRsForWavesPerEU: 1
; AccumOffset: 4
; Occupancy: 8
; WaveLimiterHint : 0
; COMPUTE_PGM_RSRC2:SCRATCH_EN: 0
; COMPUTE_PGM_RSRC2:USER_SGPR: 6
; COMPUTE_PGM_RSRC2:TRAP_HANDLER: 0
; COMPUTE_PGM_RSRC2:TGID_X_EN: 1
; COMPUTE_PGM_RSRC2:TGID_Y_EN: 0
; COMPUTE_PGM_RSRC2:TGID_Z_EN: 0
; COMPUTE_PGM_RSRC2:TIDIG_COMP_CNT: 0
; COMPUTE_PGM_RSRC3_GFX90A:ACCUM_OFFSET: 0
; COMPUTE_PGM_RSRC3_GFX90A:TG_SPLIT: 0
	.section	.text._ZN7rocprim17ROCPRIM_400000_NS6detail17trampoline_kernelINS0_14default_configENS1_38merge_sort_block_merge_config_selectorIiNS0_10empty_typeEEEZZNS1_27merge_sort_block_merge_implIS3_N6thrust23THRUST_200600_302600_NS6detail15normal_iteratorINS9_10device_ptrIiEEEEPS5_jNS1_19radix_merge_compareILb0ELb0EiNS0_19identity_decomposerEEEEE10hipError_tT0_T1_T2_jT3_P12ihipStream_tbPNSt15iterator_traitsISK_E10value_typeEPNSQ_ISL_E10value_typeEPSM_NS1_7vsmem_tEENKUlT_SK_SL_SM_E_clIPiSE_SF_SF_EESJ_SZ_SK_SL_SM_EUlSZ_E0_NS1_11comp_targetILNS1_3genE2ELNS1_11target_archE906ELNS1_3gpuE6ELNS1_3repE0EEENS1_38merge_mergepath_config_static_selectorELNS0_4arch9wavefront6targetE1EEEvSL_,"axG",@progbits,_ZN7rocprim17ROCPRIM_400000_NS6detail17trampoline_kernelINS0_14default_configENS1_38merge_sort_block_merge_config_selectorIiNS0_10empty_typeEEEZZNS1_27merge_sort_block_merge_implIS3_N6thrust23THRUST_200600_302600_NS6detail15normal_iteratorINS9_10device_ptrIiEEEEPS5_jNS1_19radix_merge_compareILb0ELb0EiNS0_19identity_decomposerEEEEE10hipError_tT0_T1_T2_jT3_P12ihipStream_tbPNSt15iterator_traitsISK_E10value_typeEPNSQ_ISL_E10value_typeEPSM_NS1_7vsmem_tEENKUlT_SK_SL_SM_E_clIPiSE_SF_SF_EESJ_SZ_SK_SL_SM_EUlSZ_E0_NS1_11comp_targetILNS1_3genE2ELNS1_11target_archE906ELNS1_3gpuE6ELNS1_3repE0EEENS1_38merge_mergepath_config_static_selectorELNS0_4arch9wavefront6targetE1EEEvSL_,comdat
	.protected	_ZN7rocprim17ROCPRIM_400000_NS6detail17trampoline_kernelINS0_14default_configENS1_38merge_sort_block_merge_config_selectorIiNS0_10empty_typeEEEZZNS1_27merge_sort_block_merge_implIS3_N6thrust23THRUST_200600_302600_NS6detail15normal_iteratorINS9_10device_ptrIiEEEEPS5_jNS1_19radix_merge_compareILb0ELb0EiNS0_19identity_decomposerEEEEE10hipError_tT0_T1_T2_jT3_P12ihipStream_tbPNSt15iterator_traitsISK_E10value_typeEPNSQ_ISL_E10value_typeEPSM_NS1_7vsmem_tEENKUlT_SK_SL_SM_E_clIPiSE_SF_SF_EESJ_SZ_SK_SL_SM_EUlSZ_E0_NS1_11comp_targetILNS1_3genE2ELNS1_11target_archE906ELNS1_3gpuE6ELNS1_3repE0EEENS1_38merge_mergepath_config_static_selectorELNS0_4arch9wavefront6targetE1EEEvSL_ ; -- Begin function _ZN7rocprim17ROCPRIM_400000_NS6detail17trampoline_kernelINS0_14default_configENS1_38merge_sort_block_merge_config_selectorIiNS0_10empty_typeEEEZZNS1_27merge_sort_block_merge_implIS3_N6thrust23THRUST_200600_302600_NS6detail15normal_iteratorINS9_10device_ptrIiEEEEPS5_jNS1_19radix_merge_compareILb0ELb0EiNS0_19identity_decomposerEEEEE10hipError_tT0_T1_T2_jT3_P12ihipStream_tbPNSt15iterator_traitsISK_E10value_typeEPNSQ_ISL_E10value_typeEPSM_NS1_7vsmem_tEENKUlT_SK_SL_SM_E_clIPiSE_SF_SF_EESJ_SZ_SK_SL_SM_EUlSZ_E0_NS1_11comp_targetILNS1_3genE2ELNS1_11target_archE906ELNS1_3gpuE6ELNS1_3repE0EEENS1_38merge_mergepath_config_static_selectorELNS0_4arch9wavefront6targetE1EEEvSL_
	.globl	_ZN7rocprim17ROCPRIM_400000_NS6detail17trampoline_kernelINS0_14default_configENS1_38merge_sort_block_merge_config_selectorIiNS0_10empty_typeEEEZZNS1_27merge_sort_block_merge_implIS3_N6thrust23THRUST_200600_302600_NS6detail15normal_iteratorINS9_10device_ptrIiEEEEPS5_jNS1_19radix_merge_compareILb0ELb0EiNS0_19identity_decomposerEEEEE10hipError_tT0_T1_T2_jT3_P12ihipStream_tbPNSt15iterator_traitsISK_E10value_typeEPNSQ_ISL_E10value_typeEPSM_NS1_7vsmem_tEENKUlT_SK_SL_SM_E_clIPiSE_SF_SF_EESJ_SZ_SK_SL_SM_EUlSZ_E0_NS1_11comp_targetILNS1_3genE2ELNS1_11target_archE906ELNS1_3gpuE6ELNS1_3repE0EEENS1_38merge_mergepath_config_static_selectorELNS0_4arch9wavefront6targetE1EEEvSL_
	.p2align	8
	.type	_ZN7rocprim17ROCPRIM_400000_NS6detail17trampoline_kernelINS0_14default_configENS1_38merge_sort_block_merge_config_selectorIiNS0_10empty_typeEEEZZNS1_27merge_sort_block_merge_implIS3_N6thrust23THRUST_200600_302600_NS6detail15normal_iteratorINS9_10device_ptrIiEEEEPS5_jNS1_19radix_merge_compareILb0ELb0EiNS0_19identity_decomposerEEEEE10hipError_tT0_T1_T2_jT3_P12ihipStream_tbPNSt15iterator_traitsISK_E10value_typeEPNSQ_ISL_E10value_typeEPSM_NS1_7vsmem_tEENKUlT_SK_SL_SM_E_clIPiSE_SF_SF_EESJ_SZ_SK_SL_SM_EUlSZ_E0_NS1_11comp_targetILNS1_3genE2ELNS1_11target_archE906ELNS1_3gpuE6ELNS1_3repE0EEENS1_38merge_mergepath_config_static_selectorELNS0_4arch9wavefront6targetE1EEEvSL_,@function
_ZN7rocprim17ROCPRIM_400000_NS6detail17trampoline_kernelINS0_14default_configENS1_38merge_sort_block_merge_config_selectorIiNS0_10empty_typeEEEZZNS1_27merge_sort_block_merge_implIS3_N6thrust23THRUST_200600_302600_NS6detail15normal_iteratorINS9_10device_ptrIiEEEEPS5_jNS1_19radix_merge_compareILb0ELb0EiNS0_19identity_decomposerEEEEE10hipError_tT0_T1_T2_jT3_P12ihipStream_tbPNSt15iterator_traitsISK_E10value_typeEPNSQ_ISL_E10value_typeEPSM_NS1_7vsmem_tEENKUlT_SK_SL_SM_E_clIPiSE_SF_SF_EESJ_SZ_SK_SL_SM_EUlSZ_E0_NS1_11comp_targetILNS1_3genE2ELNS1_11target_archE906ELNS1_3gpuE6ELNS1_3repE0EEENS1_38merge_mergepath_config_static_selectorELNS0_4arch9wavefront6targetE1EEEvSL_: ; @_ZN7rocprim17ROCPRIM_400000_NS6detail17trampoline_kernelINS0_14default_configENS1_38merge_sort_block_merge_config_selectorIiNS0_10empty_typeEEEZZNS1_27merge_sort_block_merge_implIS3_N6thrust23THRUST_200600_302600_NS6detail15normal_iteratorINS9_10device_ptrIiEEEEPS5_jNS1_19radix_merge_compareILb0ELb0EiNS0_19identity_decomposerEEEEE10hipError_tT0_T1_T2_jT3_P12ihipStream_tbPNSt15iterator_traitsISK_E10value_typeEPNSQ_ISL_E10value_typeEPSM_NS1_7vsmem_tEENKUlT_SK_SL_SM_E_clIPiSE_SF_SF_EESJ_SZ_SK_SL_SM_EUlSZ_E0_NS1_11comp_targetILNS1_3genE2ELNS1_11target_archE906ELNS1_3gpuE6ELNS1_3repE0EEENS1_38merge_mergepath_config_static_selectorELNS0_4arch9wavefront6targetE1EEEvSL_
; %bb.0:
	.section	.rodata,"a",@progbits
	.p2align	6, 0x0
	.amdhsa_kernel _ZN7rocprim17ROCPRIM_400000_NS6detail17trampoline_kernelINS0_14default_configENS1_38merge_sort_block_merge_config_selectorIiNS0_10empty_typeEEEZZNS1_27merge_sort_block_merge_implIS3_N6thrust23THRUST_200600_302600_NS6detail15normal_iteratorINS9_10device_ptrIiEEEEPS5_jNS1_19radix_merge_compareILb0ELb0EiNS0_19identity_decomposerEEEEE10hipError_tT0_T1_T2_jT3_P12ihipStream_tbPNSt15iterator_traitsISK_E10value_typeEPNSQ_ISL_E10value_typeEPSM_NS1_7vsmem_tEENKUlT_SK_SL_SM_E_clIPiSE_SF_SF_EESJ_SZ_SK_SL_SM_EUlSZ_E0_NS1_11comp_targetILNS1_3genE2ELNS1_11target_archE906ELNS1_3gpuE6ELNS1_3repE0EEENS1_38merge_mergepath_config_static_selectorELNS0_4arch9wavefront6targetE1EEEvSL_
		.amdhsa_group_segment_fixed_size 0
		.amdhsa_private_segment_fixed_size 0
		.amdhsa_kernarg_size 64
		.amdhsa_user_sgpr_count 6
		.amdhsa_user_sgpr_private_segment_buffer 1
		.amdhsa_user_sgpr_dispatch_ptr 0
		.amdhsa_user_sgpr_queue_ptr 0
		.amdhsa_user_sgpr_kernarg_segment_ptr 1
		.amdhsa_user_sgpr_dispatch_id 0
		.amdhsa_user_sgpr_flat_scratch_init 0
		.amdhsa_user_sgpr_kernarg_preload_length 0
		.amdhsa_user_sgpr_kernarg_preload_offset 0
		.amdhsa_user_sgpr_private_segment_size 0
		.amdhsa_uses_dynamic_stack 0
		.amdhsa_system_sgpr_private_segment_wavefront_offset 0
		.amdhsa_system_sgpr_workgroup_id_x 1
		.amdhsa_system_sgpr_workgroup_id_y 0
		.amdhsa_system_sgpr_workgroup_id_z 0
		.amdhsa_system_sgpr_workgroup_info 0
		.amdhsa_system_vgpr_workitem_id 0
		.amdhsa_next_free_vgpr 1
		.amdhsa_next_free_sgpr 0
		.amdhsa_accum_offset 4
		.amdhsa_reserve_vcc 0
		.amdhsa_reserve_flat_scratch 0
		.amdhsa_float_round_mode_32 0
		.amdhsa_float_round_mode_16_64 0
		.amdhsa_float_denorm_mode_32 3
		.amdhsa_float_denorm_mode_16_64 3
		.amdhsa_dx10_clamp 1
		.amdhsa_ieee_mode 1
		.amdhsa_fp16_overflow 0
		.amdhsa_tg_split 0
		.amdhsa_exception_fp_ieee_invalid_op 0
		.amdhsa_exception_fp_denorm_src 0
		.amdhsa_exception_fp_ieee_div_zero 0
		.amdhsa_exception_fp_ieee_overflow 0
		.amdhsa_exception_fp_ieee_underflow 0
		.amdhsa_exception_fp_ieee_inexact 0
		.amdhsa_exception_int_div_zero 0
	.end_amdhsa_kernel
	.section	.text._ZN7rocprim17ROCPRIM_400000_NS6detail17trampoline_kernelINS0_14default_configENS1_38merge_sort_block_merge_config_selectorIiNS0_10empty_typeEEEZZNS1_27merge_sort_block_merge_implIS3_N6thrust23THRUST_200600_302600_NS6detail15normal_iteratorINS9_10device_ptrIiEEEEPS5_jNS1_19radix_merge_compareILb0ELb0EiNS0_19identity_decomposerEEEEE10hipError_tT0_T1_T2_jT3_P12ihipStream_tbPNSt15iterator_traitsISK_E10value_typeEPNSQ_ISL_E10value_typeEPSM_NS1_7vsmem_tEENKUlT_SK_SL_SM_E_clIPiSE_SF_SF_EESJ_SZ_SK_SL_SM_EUlSZ_E0_NS1_11comp_targetILNS1_3genE2ELNS1_11target_archE906ELNS1_3gpuE6ELNS1_3repE0EEENS1_38merge_mergepath_config_static_selectorELNS0_4arch9wavefront6targetE1EEEvSL_,"axG",@progbits,_ZN7rocprim17ROCPRIM_400000_NS6detail17trampoline_kernelINS0_14default_configENS1_38merge_sort_block_merge_config_selectorIiNS0_10empty_typeEEEZZNS1_27merge_sort_block_merge_implIS3_N6thrust23THRUST_200600_302600_NS6detail15normal_iteratorINS9_10device_ptrIiEEEEPS5_jNS1_19radix_merge_compareILb0ELb0EiNS0_19identity_decomposerEEEEE10hipError_tT0_T1_T2_jT3_P12ihipStream_tbPNSt15iterator_traitsISK_E10value_typeEPNSQ_ISL_E10value_typeEPSM_NS1_7vsmem_tEENKUlT_SK_SL_SM_E_clIPiSE_SF_SF_EESJ_SZ_SK_SL_SM_EUlSZ_E0_NS1_11comp_targetILNS1_3genE2ELNS1_11target_archE906ELNS1_3gpuE6ELNS1_3repE0EEENS1_38merge_mergepath_config_static_selectorELNS0_4arch9wavefront6targetE1EEEvSL_,comdat
.Lfunc_end1627:
	.size	_ZN7rocprim17ROCPRIM_400000_NS6detail17trampoline_kernelINS0_14default_configENS1_38merge_sort_block_merge_config_selectorIiNS0_10empty_typeEEEZZNS1_27merge_sort_block_merge_implIS3_N6thrust23THRUST_200600_302600_NS6detail15normal_iteratorINS9_10device_ptrIiEEEEPS5_jNS1_19radix_merge_compareILb0ELb0EiNS0_19identity_decomposerEEEEE10hipError_tT0_T1_T2_jT3_P12ihipStream_tbPNSt15iterator_traitsISK_E10value_typeEPNSQ_ISL_E10value_typeEPSM_NS1_7vsmem_tEENKUlT_SK_SL_SM_E_clIPiSE_SF_SF_EESJ_SZ_SK_SL_SM_EUlSZ_E0_NS1_11comp_targetILNS1_3genE2ELNS1_11target_archE906ELNS1_3gpuE6ELNS1_3repE0EEENS1_38merge_mergepath_config_static_selectorELNS0_4arch9wavefront6targetE1EEEvSL_, .Lfunc_end1627-_ZN7rocprim17ROCPRIM_400000_NS6detail17trampoline_kernelINS0_14default_configENS1_38merge_sort_block_merge_config_selectorIiNS0_10empty_typeEEEZZNS1_27merge_sort_block_merge_implIS3_N6thrust23THRUST_200600_302600_NS6detail15normal_iteratorINS9_10device_ptrIiEEEEPS5_jNS1_19radix_merge_compareILb0ELb0EiNS0_19identity_decomposerEEEEE10hipError_tT0_T1_T2_jT3_P12ihipStream_tbPNSt15iterator_traitsISK_E10value_typeEPNSQ_ISL_E10value_typeEPSM_NS1_7vsmem_tEENKUlT_SK_SL_SM_E_clIPiSE_SF_SF_EESJ_SZ_SK_SL_SM_EUlSZ_E0_NS1_11comp_targetILNS1_3genE2ELNS1_11target_archE906ELNS1_3gpuE6ELNS1_3repE0EEENS1_38merge_mergepath_config_static_selectorELNS0_4arch9wavefront6targetE1EEEvSL_
                                        ; -- End function
	.section	.AMDGPU.csdata,"",@progbits
; Kernel info:
; codeLenInByte = 0
; NumSgprs: 4
; NumVgprs: 0
; NumAgprs: 0
; TotalNumVgprs: 0
; ScratchSize: 0
; MemoryBound: 0
; FloatMode: 240
; IeeeMode: 1
; LDSByteSize: 0 bytes/workgroup (compile time only)
; SGPRBlocks: 0
; VGPRBlocks: 0
; NumSGPRsForWavesPerEU: 4
; NumVGPRsForWavesPerEU: 1
; AccumOffset: 4
; Occupancy: 8
; WaveLimiterHint : 0
; COMPUTE_PGM_RSRC2:SCRATCH_EN: 0
; COMPUTE_PGM_RSRC2:USER_SGPR: 6
; COMPUTE_PGM_RSRC2:TRAP_HANDLER: 0
; COMPUTE_PGM_RSRC2:TGID_X_EN: 1
; COMPUTE_PGM_RSRC2:TGID_Y_EN: 0
; COMPUTE_PGM_RSRC2:TGID_Z_EN: 0
; COMPUTE_PGM_RSRC2:TIDIG_COMP_CNT: 0
; COMPUTE_PGM_RSRC3_GFX90A:ACCUM_OFFSET: 0
; COMPUTE_PGM_RSRC3_GFX90A:TG_SPLIT: 0
	.section	.text._ZN7rocprim17ROCPRIM_400000_NS6detail17trampoline_kernelINS0_14default_configENS1_38merge_sort_block_merge_config_selectorIiNS0_10empty_typeEEEZZNS1_27merge_sort_block_merge_implIS3_N6thrust23THRUST_200600_302600_NS6detail15normal_iteratorINS9_10device_ptrIiEEEEPS5_jNS1_19radix_merge_compareILb0ELb0EiNS0_19identity_decomposerEEEEE10hipError_tT0_T1_T2_jT3_P12ihipStream_tbPNSt15iterator_traitsISK_E10value_typeEPNSQ_ISL_E10value_typeEPSM_NS1_7vsmem_tEENKUlT_SK_SL_SM_E_clIPiSE_SF_SF_EESJ_SZ_SK_SL_SM_EUlSZ_E0_NS1_11comp_targetILNS1_3genE9ELNS1_11target_archE1100ELNS1_3gpuE3ELNS1_3repE0EEENS1_38merge_mergepath_config_static_selectorELNS0_4arch9wavefront6targetE1EEEvSL_,"axG",@progbits,_ZN7rocprim17ROCPRIM_400000_NS6detail17trampoline_kernelINS0_14default_configENS1_38merge_sort_block_merge_config_selectorIiNS0_10empty_typeEEEZZNS1_27merge_sort_block_merge_implIS3_N6thrust23THRUST_200600_302600_NS6detail15normal_iteratorINS9_10device_ptrIiEEEEPS5_jNS1_19radix_merge_compareILb0ELb0EiNS0_19identity_decomposerEEEEE10hipError_tT0_T1_T2_jT3_P12ihipStream_tbPNSt15iterator_traitsISK_E10value_typeEPNSQ_ISL_E10value_typeEPSM_NS1_7vsmem_tEENKUlT_SK_SL_SM_E_clIPiSE_SF_SF_EESJ_SZ_SK_SL_SM_EUlSZ_E0_NS1_11comp_targetILNS1_3genE9ELNS1_11target_archE1100ELNS1_3gpuE3ELNS1_3repE0EEENS1_38merge_mergepath_config_static_selectorELNS0_4arch9wavefront6targetE1EEEvSL_,comdat
	.protected	_ZN7rocprim17ROCPRIM_400000_NS6detail17trampoline_kernelINS0_14default_configENS1_38merge_sort_block_merge_config_selectorIiNS0_10empty_typeEEEZZNS1_27merge_sort_block_merge_implIS3_N6thrust23THRUST_200600_302600_NS6detail15normal_iteratorINS9_10device_ptrIiEEEEPS5_jNS1_19radix_merge_compareILb0ELb0EiNS0_19identity_decomposerEEEEE10hipError_tT0_T1_T2_jT3_P12ihipStream_tbPNSt15iterator_traitsISK_E10value_typeEPNSQ_ISL_E10value_typeEPSM_NS1_7vsmem_tEENKUlT_SK_SL_SM_E_clIPiSE_SF_SF_EESJ_SZ_SK_SL_SM_EUlSZ_E0_NS1_11comp_targetILNS1_3genE9ELNS1_11target_archE1100ELNS1_3gpuE3ELNS1_3repE0EEENS1_38merge_mergepath_config_static_selectorELNS0_4arch9wavefront6targetE1EEEvSL_ ; -- Begin function _ZN7rocprim17ROCPRIM_400000_NS6detail17trampoline_kernelINS0_14default_configENS1_38merge_sort_block_merge_config_selectorIiNS0_10empty_typeEEEZZNS1_27merge_sort_block_merge_implIS3_N6thrust23THRUST_200600_302600_NS6detail15normal_iteratorINS9_10device_ptrIiEEEEPS5_jNS1_19radix_merge_compareILb0ELb0EiNS0_19identity_decomposerEEEEE10hipError_tT0_T1_T2_jT3_P12ihipStream_tbPNSt15iterator_traitsISK_E10value_typeEPNSQ_ISL_E10value_typeEPSM_NS1_7vsmem_tEENKUlT_SK_SL_SM_E_clIPiSE_SF_SF_EESJ_SZ_SK_SL_SM_EUlSZ_E0_NS1_11comp_targetILNS1_3genE9ELNS1_11target_archE1100ELNS1_3gpuE3ELNS1_3repE0EEENS1_38merge_mergepath_config_static_selectorELNS0_4arch9wavefront6targetE1EEEvSL_
	.globl	_ZN7rocprim17ROCPRIM_400000_NS6detail17trampoline_kernelINS0_14default_configENS1_38merge_sort_block_merge_config_selectorIiNS0_10empty_typeEEEZZNS1_27merge_sort_block_merge_implIS3_N6thrust23THRUST_200600_302600_NS6detail15normal_iteratorINS9_10device_ptrIiEEEEPS5_jNS1_19radix_merge_compareILb0ELb0EiNS0_19identity_decomposerEEEEE10hipError_tT0_T1_T2_jT3_P12ihipStream_tbPNSt15iterator_traitsISK_E10value_typeEPNSQ_ISL_E10value_typeEPSM_NS1_7vsmem_tEENKUlT_SK_SL_SM_E_clIPiSE_SF_SF_EESJ_SZ_SK_SL_SM_EUlSZ_E0_NS1_11comp_targetILNS1_3genE9ELNS1_11target_archE1100ELNS1_3gpuE3ELNS1_3repE0EEENS1_38merge_mergepath_config_static_selectorELNS0_4arch9wavefront6targetE1EEEvSL_
	.p2align	8
	.type	_ZN7rocprim17ROCPRIM_400000_NS6detail17trampoline_kernelINS0_14default_configENS1_38merge_sort_block_merge_config_selectorIiNS0_10empty_typeEEEZZNS1_27merge_sort_block_merge_implIS3_N6thrust23THRUST_200600_302600_NS6detail15normal_iteratorINS9_10device_ptrIiEEEEPS5_jNS1_19radix_merge_compareILb0ELb0EiNS0_19identity_decomposerEEEEE10hipError_tT0_T1_T2_jT3_P12ihipStream_tbPNSt15iterator_traitsISK_E10value_typeEPNSQ_ISL_E10value_typeEPSM_NS1_7vsmem_tEENKUlT_SK_SL_SM_E_clIPiSE_SF_SF_EESJ_SZ_SK_SL_SM_EUlSZ_E0_NS1_11comp_targetILNS1_3genE9ELNS1_11target_archE1100ELNS1_3gpuE3ELNS1_3repE0EEENS1_38merge_mergepath_config_static_selectorELNS0_4arch9wavefront6targetE1EEEvSL_,@function
_ZN7rocprim17ROCPRIM_400000_NS6detail17trampoline_kernelINS0_14default_configENS1_38merge_sort_block_merge_config_selectorIiNS0_10empty_typeEEEZZNS1_27merge_sort_block_merge_implIS3_N6thrust23THRUST_200600_302600_NS6detail15normal_iteratorINS9_10device_ptrIiEEEEPS5_jNS1_19radix_merge_compareILb0ELb0EiNS0_19identity_decomposerEEEEE10hipError_tT0_T1_T2_jT3_P12ihipStream_tbPNSt15iterator_traitsISK_E10value_typeEPNSQ_ISL_E10value_typeEPSM_NS1_7vsmem_tEENKUlT_SK_SL_SM_E_clIPiSE_SF_SF_EESJ_SZ_SK_SL_SM_EUlSZ_E0_NS1_11comp_targetILNS1_3genE9ELNS1_11target_archE1100ELNS1_3gpuE3ELNS1_3repE0EEENS1_38merge_mergepath_config_static_selectorELNS0_4arch9wavefront6targetE1EEEvSL_: ; @_ZN7rocprim17ROCPRIM_400000_NS6detail17trampoline_kernelINS0_14default_configENS1_38merge_sort_block_merge_config_selectorIiNS0_10empty_typeEEEZZNS1_27merge_sort_block_merge_implIS3_N6thrust23THRUST_200600_302600_NS6detail15normal_iteratorINS9_10device_ptrIiEEEEPS5_jNS1_19radix_merge_compareILb0ELb0EiNS0_19identity_decomposerEEEEE10hipError_tT0_T1_T2_jT3_P12ihipStream_tbPNSt15iterator_traitsISK_E10value_typeEPNSQ_ISL_E10value_typeEPSM_NS1_7vsmem_tEENKUlT_SK_SL_SM_E_clIPiSE_SF_SF_EESJ_SZ_SK_SL_SM_EUlSZ_E0_NS1_11comp_targetILNS1_3genE9ELNS1_11target_archE1100ELNS1_3gpuE3ELNS1_3repE0EEENS1_38merge_mergepath_config_static_selectorELNS0_4arch9wavefront6targetE1EEEvSL_
; %bb.0:
	.section	.rodata,"a",@progbits
	.p2align	6, 0x0
	.amdhsa_kernel _ZN7rocprim17ROCPRIM_400000_NS6detail17trampoline_kernelINS0_14default_configENS1_38merge_sort_block_merge_config_selectorIiNS0_10empty_typeEEEZZNS1_27merge_sort_block_merge_implIS3_N6thrust23THRUST_200600_302600_NS6detail15normal_iteratorINS9_10device_ptrIiEEEEPS5_jNS1_19radix_merge_compareILb0ELb0EiNS0_19identity_decomposerEEEEE10hipError_tT0_T1_T2_jT3_P12ihipStream_tbPNSt15iterator_traitsISK_E10value_typeEPNSQ_ISL_E10value_typeEPSM_NS1_7vsmem_tEENKUlT_SK_SL_SM_E_clIPiSE_SF_SF_EESJ_SZ_SK_SL_SM_EUlSZ_E0_NS1_11comp_targetILNS1_3genE9ELNS1_11target_archE1100ELNS1_3gpuE3ELNS1_3repE0EEENS1_38merge_mergepath_config_static_selectorELNS0_4arch9wavefront6targetE1EEEvSL_
		.amdhsa_group_segment_fixed_size 0
		.amdhsa_private_segment_fixed_size 0
		.amdhsa_kernarg_size 64
		.amdhsa_user_sgpr_count 6
		.amdhsa_user_sgpr_private_segment_buffer 1
		.amdhsa_user_sgpr_dispatch_ptr 0
		.amdhsa_user_sgpr_queue_ptr 0
		.amdhsa_user_sgpr_kernarg_segment_ptr 1
		.amdhsa_user_sgpr_dispatch_id 0
		.amdhsa_user_sgpr_flat_scratch_init 0
		.amdhsa_user_sgpr_kernarg_preload_length 0
		.amdhsa_user_sgpr_kernarg_preload_offset 0
		.amdhsa_user_sgpr_private_segment_size 0
		.amdhsa_uses_dynamic_stack 0
		.amdhsa_system_sgpr_private_segment_wavefront_offset 0
		.amdhsa_system_sgpr_workgroup_id_x 1
		.amdhsa_system_sgpr_workgroup_id_y 0
		.amdhsa_system_sgpr_workgroup_id_z 0
		.amdhsa_system_sgpr_workgroup_info 0
		.amdhsa_system_vgpr_workitem_id 0
		.amdhsa_next_free_vgpr 1
		.amdhsa_next_free_sgpr 0
		.amdhsa_accum_offset 4
		.amdhsa_reserve_vcc 0
		.amdhsa_reserve_flat_scratch 0
		.amdhsa_float_round_mode_32 0
		.amdhsa_float_round_mode_16_64 0
		.amdhsa_float_denorm_mode_32 3
		.amdhsa_float_denorm_mode_16_64 3
		.amdhsa_dx10_clamp 1
		.amdhsa_ieee_mode 1
		.amdhsa_fp16_overflow 0
		.amdhsa_tg_split 0
		.amdhsa_exception_fp_ieee_invalid_op 0
		.amdhsa_exception_fp_denorm_src 0
		.amdhsa_exception_fp_ieee_div_zero 0
		.amdhsa_exception_fp_ieee_overflow 0
		.amdhsa_exception_fp_ieee_underflow 0
		.amdhsa_exception_fp_ieee_inexact 0
		.amdhsa_exception_int_div_zero 0
	.end_amdhsa_kernel
	.section	.text._ZN7rocprim17ROCPRIM_400000_NS6detail17trampoline_kernelINS0_14default_configENS1_38merge_sort_block_merge_config_selectorIiNS0_10empty_typeEEEZZNS1_27merge_sort_block_merge_implIS3_N6thrust23THRUST_200600_302600_NS6detail15normal_iteratorINS9_10device_ptrIiEEEEPS5_jNS1_19radix_merge_compareILb0ELb0EiNS0_19identity_decomposerEEEEE10hipError_tT0_T1_T2_jT3_P12ihipStream_tbPNSt15iterator_traitsISK_E10value_typeEPNSQ_ISL_E10value_typeEPSM_NS1_7vsmem_tEENKUlT_SK_SL_SM_E_clIPiSE_SF_SF_EESJ_SZ_SK_SL_SM_EUlSZ_E0_NS1_11comp_targetILNS1_3genE9ELNS1_11target_archE1100ELNS1_3gpuE3ELNS1_3repE0EEENS1_38merge_mergepath_config_static_selectorELNS0_4arch9wavefront6targetE1EEEvSL_,"axG",@progbits,_ZN7rocprim17ROCPRIM_400000_NS6detail17trampoline_kernelINS0_14default_configENS1_38merge_sort_block_merge_config_selectorIiNS0_10empty_typeEEEZZNS1_27merge_sort_block_merge_implIS3_N6thrust23THRUST_200600_302600_NS6detail15normal_iteratorINS9_10device_ptrIiEEEEPS5_jNS1_19radix_merge_compareILb0ELb0EiNS0_19identity_decomposerEEEEE10hipError_tT0_T1_T2_jT3_P12ihipStream_tbPNSt15iterator_traitsISK_E10value_typeEPNSQ_ISL_E10value_typeEPSM_NS1_7vsmem_tEENKUlT_SK_SL_SM_E_clIPiSE_SF_SF_EESJ_SZ_SK_SL_SM_EUlSZ_E0_NS1_11comp_targetILNS1_3genE9ELNS1_11target_archE1100ELNS1_3gpuE3ELNS1_3repE0EEENS1_38merge_mergepath_config_static_selectorELNS0_4arch9wavefront6targetE1EEEvSL_,comdat
.Lfunc_end1628:
	.size	_ZN7rocprim17ROCPRIM_400000_NS6detail17trampoline_kernelINS0_14default_configENS1_38merge_sort_block_merge_config_selectorIiNS0_10empty_typeEEEZZNS1_27merge_sort_block_merge_implIS3_N6thrust23THRUST_200600_302600_NS6detail15normal_iteratorINS9_10device_ptrIiEEEEPS5_jNS1_19radix_merge_compareILb0ELb0EiNS0_19identity_decomposerEEEEE10hipError_tT0_T1_T2_jT3_P12ihipStream_tbPNSt15iterator_traitsISK_E10value_typeEPNSQ_ISL_E10value_typeEPSM_NS1_7vsmem_tEENKUlT_SK_SL_SM_E_clIPiSE_SF_SF_EESJ_SZ_SK_SL_SM_EUlSZ_E0_NS1_11comp_targetILNS1_3genE9ELNS1_11target_archE1100ELNS1_3gpuE3ELNS1_3repE0EEENS1_38merge_mergepath_config_static_selectorELNS0_4arch9wavefront6targetE1EEEvSL_, .Lfunc_end1628-_ZN7rocprim17ROCPRIM_400000_NS6detail17trampoline_kernelINS0_14default_configENS1_38merge_sort_block_merge_config_selectorIiNS0_10empty_typeEEEZZNS1_27merge_sort_block_merge_implIS3_N6thrust23THRUST_200600_302600_NS6detail15normal_iteratorINS9_10device_ptrIiEEEEPS5_jNS1_19radix_merge_compareILb0ELb0EiNS0_19identity_decomposerEEEEE10hipError_tT0_T1_T2_jT3_P12ihipStream_tbPNSt15iterator_traitsISK_E10value_typeEPNSQ_ISL_E10value_typeEPSM_NS1_7vsmem_tEENKUlT_SK_SL_SM_E_clIPiSE_SF_SF_EESJ_SZ_SK_SL_SM_EUlSZ_E0_NS1_11comp_targetILNS1_3genE9ELNS1_11target_archE1100ELNS1_3gpuE3ELNS1_3repE0EEENS1_38merge_mergepath_config_static_selectorELNS0_4arch9wavefront6targetE1EEEvSL_
                                        ; -- End function
	.section	.AMDGPU.csdata,"",@progbits
; Kernel info:
; codeLenInByte = 0
; NumSgprs: 4
; NumVgprs: 0
; NumAgprs: 0
; TotalNumVgprs: 0
; ScratchSize: 0
; MemoryBound: 0
; FloatMode: 240
; IeeeMode: 1
; LDSByteSize: 0 bytes/workgroup (compile time only)
; SGPRBlocks: 0
; VGPRBlocks: 0
; NumSGPRsForWavesPerEU: 4
; NumVGPRsForWavesPerEU: 1
; AccumOffset: 4
; Occupancy: 8
; WaveLimiterHint : 0
; COMPUTE_PGM_RSRC2:SCRATCH_EN: 0
; COMPUTE_PGM_RSRC2:USER_SGPR: 6
; COMPUTE_PGM_RSRC2:TRAP_HANDLER: 0
; COMPUTE_PGM_RSRC2:TGID_X_EN: 1
; COMPUTE_PGM_RSRC2:TGID_Y_EN: 0
; COMPUTE_PGM_RSRC2:TGID_Z_EN: 0
; COMPUTE_PGM_RSRC2:TIDIG_COMP_CNT: 0
; COMPUTE_PGM_RSRC3_GFX90A:ACCUM_OFFSET: 0
; COMPUTE_PGM_RSRC3_GFX90A:TG_SPLIT: 0
	.section	.text._ZN7rocprim17ROCPRIM_400000_NS6detail17trampoline_kernelINS0_14default_configENS1_38merge_sort_block_merge_config_selectorIiNS0_10empty_typeEEEZZNS1_27merge_sort_block_merge_implIS3_N6thrust23THRUST_200600_302600_NS6detail15normal_iteratorINS9_10device_ptrIiEEEEPS5_jNS1_19radix_merge_compareILb0ELb0EiNS0_19identity_decomposerEEEEE10hipError_tT0_T1_T2_jT3_P12ihipStream_tbPNSt15iterator_traitsISK_E10value_typeEPNSQ_ISL_E10value_typeEPSM_NS1_7vsmem_tEENKUlT_SK_SL_SM_E_clIPiSE_SF_SF_EESJ_SZ_SK_SL_SM_EUlSZ_E0_NS1_11comp_targetILNS1_3genE8ELNS1_11target_archE1030ELNS1_3gpuE2ELNS1_3repE0EEENS1_38merge_mergepath_config_static_selectorELNS0_4arch9wavefront6targetE1EEEvSL_,"axG",@progbits,_ZN7rocprim17ROCPRIM_400000_NS6detail17trampoline_kernelINS0_14default_configENS1_38merge_sort_block_merge_config_selectorIiNS0_10empty_typeEEEZZNS1_27merge_sort_block_merge_implIS3_N6thrust23THRUST_200600_302600_NS6detail15normal_iteratorINS9_10device_ptrIiEEEEPS5_jNS1_19radix_merge_compareILb0ELb0EiNS0_19identity_decomposerEEEEE10hipError_tT0_T1_T2_jT3_P12ihipStream_tbPNSt15iterator_traitsISK_E10value_typeEPNSQ_ISL_E10value_typeEPSM_NS1_7vsmem_tEENKUlT_SK_SL_SM_E_clIPiSE_SF_SF_EESJ_SZ_SK_SL_SM_EUlSZ_E0_NS1_11comp_targetILNS1_3genE8ELNS1_11target_archE1030ELNS1_3gpuE2ELNS1_3repE0EEENS1_38merge_mergepath_config_static_selectorELNS0_4arch9wavefront6targetE1EEEvSL_,comdat
	.protected	_ZN7rocprim17ROCPRIM_400000_NS6detail17trampoline_kernelINS0_14default_configENS1_38merge_sort_block_merge_config_selectorIiNS0_10empty_typeEEEZZNS1_27merge_sort_block_merge_implIS3_N6thrust23THRUST_200600_302600_NS6detail15normal_iteratorINS9_10device_ptrIiEEEEPS5_jNS1_19radix_merge_compareILb0ELb0EiNS0_19identity_decomposerEEEEE10hipError_tT0_T1_T2_jT3_P12ihipStream_tbPNSt15iterator_traitsISK_E10value_typeEPNSQ_ISL_E10value_typeEPSM_NS1_7vsmem_tEENKUlT_SK_SL_SM_E_clIPiSE_SF_SF_EESJ_SZ_SK_SL_SM_EUlSZ_E0_NS1_11comp_targetILNS1_3genE8ELNS1_11target_archE1030ELNS1_3gpuE2ELNS1_3repE0EEENS1_38merge_mergepath_config_static_selectorELNS0_4arch9wavefront6targetE1EEEvSL_ ; -- Begin function _ZN7rocprim17ROCPRIM_400000_NS6detail17trampoline_kernelINS0_14default_configENS1_38merge_sort_block_merge_config_selectorIiNS0_10empty_typeEEEZZNS1_27merge_sort_block_merge_implIS3_N6thrust23THRUST_200600_302600_NS6detail15normal_iteratorINS9_10device_ptrIiEEEEPS5_jNS1_19radix_merge_compareILb0ELb0EiNS0_19identity_decomposerEEEEE10hipError_tT0_T1_T2_jT3_P12ihipStream_tbPNSt15iterator_traitsISK_E10value_typeEPNSQ_ISL_E10value_typeEPSM_NS1_7vsmem_tEENKUlT_SK_SL_SM_E_clIPiSE_SF_SF_EESJ_SZ_SK_SL_SM_EUlSZ_E0_NS1_11comp_targetILNS1_3genE8ELNS1_11target_archE1030ELNS1_3gpuE2ELNS1_3repE0EEENS1_38merge_mergepath_config_static_selectorELNS0_4arch9wavefront6targetE1EEEvSL_
	.globl	_ZN7rocprim17ROCPRIM_400000_NS6detail17trampoline_kernelINS0_14default_configENS1_38merge_sort_block_merge_config_selectorIiNS0_10empty_typeEEEZZNS1_27merge_sort_block_merge_implIS3_N6thrust23THRUST_200600_302600_NS6detail15normal_iteratorINS9_10device_ptrIiEEEEPS5_jNS1_19radix_merge_compareILb0ELb0EiNS0_19identity_decomposerEEEEE10hipError_tT0_T1_T2_jT3_P12ihipStream_tbPNSt15iterator_traitsISK_E10value_typeEPNSQ_ISL_E10value_typeEPSM_NS1_7vsmem_tEENKUlT_SK_SL_SM_E_clIPiSE_SF_SF_EESJ_SZ_SK_SL_SM_EUlSZ_E0_NS1_11comp_targetILNS1_3genE8ELNS1_11target_archE1030ELNS1_3gpuE2ELNS1_3repE0EEENS1_38merge_mergepath_config_static_selectorELNS0_4arch9wavefront6targetE1EEEvSL_
	.p2align	8
	.type	_ZN7rocprim17ROCPRIM_400000_NS6detail17trampoline_kernelINS0_14default_configENS1_38merge_sort_block_merge_config_selectorIiNS0_10empty_typeEEEZZNS1_27merge_sort_block_merge_implIS3_N6thrust23THRUST_200600_302600_NS6detail15normal_iteratorINS9_10device_ptrIiEEEEPS5_jNS1_19radix_merge_compareILb0ELb0EiNS0_19identity_decomposerEEEEE10hipError_tT0_T1_T2_jT3_P12ihipStream_tbPNSt15iterator_traitsISK_E10value_typeEPNSQ_ISL_E10value_typeEPSM_NS1_7vsmem_tEENKUlT_SK_SL_SM_E_clIPiSE_SF_SF_EESJ_SZ_SK_SL_SM_EUlSZ_E0_NS1_11comp_targetILNS1_3genE8ELNS1_11target_archE1030ELNS1_3gpuE2ELNS1_3repE0EEENS1_38merge_mergepath_config_static_selectorELNS0_4arch9wavefront6targetE1EEEvSL_,@function
_ZN7rocprim17ROCPRIM_400000_NS6detail17trampoline_kernelINS0_14default_configENS1_38merge_sort_block_merge_config_selectorIiNS0_10empty_typeEEEZZNS1_27merge_sort_block_merge_implIS3_N6thrust23THRUST_200600_302600_NS6detail15normal_iteratorINS9_10device_ptrIiEEEEPS5_jNS1_19radix_merge_compareILb0ELb0EiNS0_19identity_decomposerEEEEE10hipError_tT0_T1_T2_jT3_P12ihipStream_tbPNSt15iterator_traitsISK_E10value_typeEPNSQ_ISL_E10value_typeEPSM_NS1_7vsmem_tEENKUlT_SK_SL_SM_E_clIPiSE_SF_SF_EESJ_SZ_SK_SL_SM_EUlSZ_E0_NS1_11comp_targetILNS1_3genE8ELNS1_11target_archE1030ELNS1_3gpuE2ELNS1_3repE0EEENS1_38merge_mergepath_config_static_selectorELNS0_4arch9wavefront6targetE1EEEvSL_: ; @_ZN7rocprim17ROCPRIM_400000_NS6detail17trampoline_kernelINS0_14default_configENS1_38merge_sort_block_merge_config_selectorIiNS0_10empty_typeEEEZZNS1_27merge_sort_block_merge_implIS3_N6thrust23THRUST_200600_302600_NS6detail15normal_iteratorINS9_10device_ptrIiEEEEPS5_jNS1_19radix_merge_compareILb0ELb0EiNS0_19identity_decomposerEEEEE10hipError_tT0_T1_T2_jT3_P12ihipStream_tbPNSt15iterator_traitsISK_E10value_typeEPNSQ_ISL_E10value_typeEPSM_NS1_7vsmem_tEENKUlT_SK_SL_SM_E_clIPiSE_SF_SF_EESJ_SZ_SK_SL_SM_EUlSZ_E0_NS1_11comp_targetILNS1_3genE8ELNS1_11target_archE1030ELNS1_3gpuE2ELNS1_3repE0EEENS1_38merge_mergepath_config_static_selectorELNS0_4arch9wavefront6targetE1EEEvSL_
; %bb.0:
	.section	.rodata,"a",@progbits
	.p2align	6, 0x0
	.amdhsa_kernel _ZN7rocprim17ROCPRIM_400000_NS6detail17trampoline_kernelINS0_14default_configENS1_38merge_sort_block_merge_config_selectorIiNS0_10empty_typeEEEZZNS1_27merge_sort_block_merge_implIS3_N6thrust23THRUST_200600_302600_NS6detail15normal_iteratorINS9_10device_ptrIiEEEEPS5_jNS1_19radix_merge_compareILb0ELb0EiNS0_19identity_decomposerEEEEE10hipError_tT0_T1_T2_jT3_P12ihipStream_tbPNSt15iterator_traitsISK_E10value_typeEPNSQ_ISL_E10value_typeEPSM_NS1_7vsmem_tEENKUlT_SK_SL_SM_E_clIPiSE_SF_SF_EESJ_SZ_SK_SL_SM_EUlSZ_E0_NS1_11comp_targetILNS1_3genE8ELNS1_11target_archE1030ELNS1_3gpuE2ELNS1_3repE0EEENS1_38merge_mergepath_config_static_selectorELNS0_4arch9wavefront6targetE1EEEvSL_
		.amdhsa_group_segment_fixed_size 0
		.amdhsa_private_segment_fixed_size 0
		.amdhsa_kernarg_size 64
		.amdhsa_user_sgpr_count 6
		.amdhsa_user_sgpr_private_segment_buffer 1
		.amdhsa_user_sgpr_dispatch_ptr 0
		.amdhsa_user_sgpr_queue_ptr 0
		.amdhsa_user_sgpr_kernarg_segment_ptr 1
		.amdhsa_user_sgpr_dispatch_id 0
		.amdhsa_user_sgpr_flat_scratch_init 0
		.amdhsa_user_sgpr_kernarg_preload_length 0
		.amdhsa_user_sgpr_kernarg_preload_offset 0
		.amdhsa_user_sgpr_private_segment_size 0
		.amdhsa_uses_dynamic_stack 0
		.amdhsa_system_sgpr_private_segment_wavefront_offset 0
		.amdhsa_system_sgpr_workgroup_id_x 1
		.amdhsa_system_sgpr_workgroup_id_y 0
		.amdhsa_system_sgpr_workgroup_id_z 0
		.amdhsa_system_sgpr_workgroup_info 0
		.amdhsa_system_vgpr_workitem_id 0
		.amdhsa_next_free_vgpr 1
		.amdhsa_next_free_sgpr 0
		.amdhsa_accum_offset 4
		.amdhsa_reserve_vcc 0
		.amdhsa_reserve_flat_scratch 0
		.amdhsa_float_round_mode_32 0
		.amdhsa_float_round_mode_16_64 0
		.amdhsa_float_denorm_mode_32 3
		.amdhsa_float_denorm_mode_16_64 3
		.amdhsa_dx10_clamp 1
		.amdhsa_ieee_mode 1
		.amdhsa_fp16_overflow 0
		.amdhsa_tg_split 0
		.amdhsa_exception_fp_ieee_invalid_op 0
		.amdhsa_exception_fp_denorm_src 0
		.amdhsa_exception_fp_ieee_div_zero 0
		.amdhsa_exception_fp_ieee_overflow 0
		.amdhsa_exception_fp_ieee_underflow 0
		.amdhsa_exception_fp_ieee_inexact 0
		.amdhsa_exception_int_div_zero 0
	.end_amdhsa_kernel
	.section	.text._ZN7rocprim17ROCPRIM_400000_NS6detail17trampoline_kernelINS0_14default_configENS1_38merge_sort_block_merge_config_selectorIiNS0_10empty_typeEEEZZNS1_27merge_sort_block_merge_implIS3_N6thrust23THRUST_200600_302600_NS6detail15normal_iteratorINS9_10device_ptrIiEEEEPS5_jNS1_19radix_merge_compareILb0ELb0EiNS0_19identity_decomposerEEEEE10hipError_tT0_T1_T2_jT3_P12ihipStream_tbPNSt15iterator_traitsISK_E10value_typeEPNSQ_ISL_E10value_typeEPSM_NS1_7vsmem_tEENKUlT_SK_SL_SM_E_clIPiSE_SF_SF_EESJ_SZ_SK_SL_SM_EUlSZ_E0_NS1_11comp_targetILNS1_3genE8ELNS1_11target_archE1030ELNS1_3gpuE2ELNS1_3repE0EEENS1_38merge_mergepath_config_static_selectorELNS0_4arch9wavefront6targetE1EEEvSL_,"axG",@progbits,_ZN7rocprim17ROCPRIM_400000_NS6detail17trampoline_kernelINS0_14default_configENS1_38merge_sort_block_merge_config_selectorIiNS0_10empty_typeEEEZZNS1_27merge_sort_block_merge_implIS3_N6thrust23THRUST_200600_302600_NS6detail15normal_iteratorINS9_10device_ptrIiEEEEPS5_jNS1_19radix_merge_compareILb0ELb0EiNS0_19identity_decomposerEEEEE10hipError_tT0_T1_T2_jT3_P12ihipStream_tbPNSt15iterator_traitsISK_E10value_typeEPNSQ_ISL_E10value_typeEPSM_NS1_7vsmem_tEENKUlT_SK_SL_SM_E_clIPiSE_SF_SF_EESJ_SZ_SK_SL_SM_EUlSZ_E0_NS1_11comp_targetILNS1_3genE8ELNS1_11target_archE1030ELNS1_3gpuE2ELNS1_3repE0EEENS1_38merge_mergepath_config_static_selectorELNS0_4arch9wavefront6targetE1EEEvSL_,comdat
.Lfunc_end1629:
	.size	_ZN7rocprim17ROCPRIM_400000_NS6detail17trampoline_kernelINS0_14default_configENS1_38merge_sort_block_merge_config_selectorIiNS0_10empty_typeEEEZZNS1_27merge_sort_block_merge_implIS3_N6thrust23THRUST_200600_302600_NS6detail15normal_iteratorINS9_10device_ptrIiEEEEPS5_jNS1_19radix_merge_compareILb0ELb0EiNS0_19identity_decomposerEEEEE10hipError_tT0_T1_T2_jT3_P12ihipStream_tbPNSt15iterator_traitsISK_E10value_typeEPNSQ_ISL_E10value_typeEPSM_NS1_7vsmem_tEENKUlT_SK_SL_SM_E_clIPiSE_SF_SF_EESJ_SZ_SK_SL_SM_EUlSZ_E0_NS1_11comp_targetILNS1_3genE8ELNS1_11target_archE1030ELNS1_3gpuE2ELNS1_3repE0EEENS1_38merge_mergepath_config_static_selectorELNS0_4arch9wavefront6targetE1EEEvSL_, .Lfunc_end1629-_ZN7rocprim17ROCPRIM_400000_NS6detail17trampoline_kernelINS0_14default_configENS1_38merge_sort_block_merge_config_selectorIiNS0_10empty_typeEEEZZNS1_27merge_sort_block_merge_implIS3_N6thrust23THRUST_200600_302600_NS6detail15normal_iteratorINS9_10device_ptrIiEEEEPS5_jNS1_19radix_merge_compareILb0ELb0EiNS0_19identity_decomposerEEEEE10hipError_tT0_T1_T2_jT3_P12ihipStream_tbPNSt15iterator_traitsISK_E10value_typeEPNSQ_ISL_E10value_typeEPSM_NS1_7vsmem_tEENKUlT_SK_SL_SM_E_clIPiSE_SF_SF_EESJ_SZ_SK_SL_SM_EUlSZ_E0_NS1_11comp_targetILNS1_3genE8ELNS1_11target_archE1030ELNS1_3gpuE2ELNS1_3repE0EEENS1_38merge_mergepath_config_static_selectorELNS0_4arch9wavefront6targetE1EEEvSL_
                                        ; -- End function
	.section	.AMDGPU.csdata,"",@progbits
; Kernel info:
; codeLenInByte = 0
; NumSgprs: 4
; NumVgprs: 0
; NumAgprs: 0
; TotalNumVgprs: 0
; ScratchSize: 0
; MemoryBound: 0
; FloatMode: 240
; IeeeMode: 1
; LDSByteSize: 0 bytes/workgroup (compile time only)
; SGPRBlocks: 0
; VGPRBlocks: 0
; NumSGPRsForWavesPerEU: 4
; NumVGPRsForWavesPerEU: 1
; AccumOffset: 4
; Occupancy: 8
; WaveLimiterHint : 0
; COMPUTE_PGM_RSRC2:SCRATCH_EN: 0
; COMPUTE_PGM_RSRC2:USER_SGPR: 6
; COMPUTE_PGM_RSRC2:TRAP_HANDLER: 0
; COMPUTE_PGM_RSRC2:TGID_X_EN: 1
; COMPUTE_PGM_RSRC2:TGID_Y_EN: 0
; COMPUTE_PGM_RSRC2:TGID_Z_EN: 0
; COMPUTE_PGM_RSRC2:TIDIG_COMP_CNT: 0
; COMPUTE_PGM_RSRC3_GFX90A:ACCUM_OFFSET: 0
; COMPUTE_PGM_RSRC3_GFX90A:TG_SPLIT: 0
	.section	.text._ZN7rocprim17ROCPRIM_400000_NS6detail17trampoline_kernelINS0_14default_configENS1_38merge_sort_block_merge_config_selectorIiNS0_10empty_typeEEEZZNS1_27merge_sort_block_merge_implIS3_N6thrust23THRUST_200600_302600_NS6detail15normal_iteratorINS9_10device_ptrIiEEEEPS5_jNS1_19radix_merge_compareILb0ELb0EiNS0_19identity_decomposerEEEEE10hipError_tT0_T1_T2_jT3_P12ihipStream_tbPNSt15iterator_traitsISK_E10value_typeEPNSQ_ISL_E10value_typeEPSM_NS1_7vsmem_tEENKUlT_SK_SL_SM_E_clIPiSE_SF_SF_EESJ_SZ_SK_SL_SM_EUlSZ_E1_NS1_11comp_targetILNS1_3genE0ELNS1_11target_archE4294967295ELNS1_3gpuE0ELNS1_3repE0EEENS1_36merge_oddeven_config_static_selectorELNS0_4arch9wavefront6targetE1EEEvSL_,"axG",@progbits,_ZN7rocprim17ROCPRIM_400000_NS6detail17trampoline_kernelINS0_14default_configENS1_38merge_sort_block_merge_config_selectorIiNS0_10empty_typeEEEZZNS1_27merge_sort_block_merge_implIS3_N6thrust23THRUST_200600_302600_NS6detail15normal_iteratorINS9_10device_ptrIiEEEEPS5_jNS1_19radix_merge_compareILb0ELb0EiNS0_19identity_decomposerEEEEE10hipError_tT0_T1_T2_jT3_P12ihipStream_tbPNSt15iterator_traitsISK_E10value_typeEPNSQ_ISL_E10value_typeEPSM_NS1_7vsmem_tEENKUlT_SK_SL_SM_E_clIPiSE_SF_SF_EESJ_SZ_SK_SL_SM_EUlSZ_E1_NS1_11comp_targetILNS1_3genE0ELNS1_11target_archE4294967295ELNS1_3gpuE0ELNS1_3repE0EEENS1_36merge_oddeven_config_static_selectorELNS0_4arch9wavefront6targetE1EEEvSL_,comdat
	.protected	_ZN7rocprim17ROCPRIM_400000_NS6detail17trampoline_kernelINS0_14default_configENS1_38merge_sort_block_merge_config_selectorIiNS0_10empty_typeEEEZZNS1_27merge_sort_block_merge_implIS3_N6thrust23THRUST_200600_302600_NS6detail15normal_iteratorINS9_10device_ptrIiEEEEPS5_jNS1_19radix_merge_compareILb0ELb0EiNS0_19identity_decomposerEEEEE10hipError_tT0_T1_T2_jT3_P12ihipStream_tbPNSt15iterator_traitsISK_E10value_typeEPNSQ_ISL_E10value_typeEPSM_NS1_7vsmem_tEENKUlT_SK_SL_SM_E_clIPiSE_SF_SF_EESJ_SZ_SK_SL_SM_EUlSZ_E1_NS1_11comp_targetILNS1_3genE0ELNS1_11target_archE4294967295ELNS1_3gpuE0ELNS1_3repE0EEENS1_36merge_oddeven_config_static_selectorELNS0_4arch9wavefront6targetE1EEEvSL_ ; -- Begin function _ZN7rocprim17ROCPRIM_400000_NS6detail17trampoline_kernelINS0_14default_configENS1_38merge_sort_block_merge_config_selectorIiNS0_10empty_typeEEEZZNS1_27merge_sort_block_merge_implIS3_N6thrust23THRUST_200600_302600_NS6detail15normal_iteratorINS9_10device_ptrIiEEEEPS5_jNS1_19radix_merge_compareILb0ELb0EiNS0_19identity_decomposerEEEEE10hipError_tT0_T1_T2_jT3_P12ihipStream_tbPNSt15iterator_traitsISK_E10value_typeEPNSQ_ISL_E10value_typeEPSM_NS1_7vsmem_tEENKUlT_SK_SL_SM_E_clIPiSE_SF_SF_EESJ_SZ_SK_SL_SM_EUlSZ_E1_NS1_11comp_targetILNS1_3genE0ELNS1_11target_archE4294967295ELNS1_3gpuE0ELNS1_3repE0EEENS1_36merge_oddeven_config_static_selectorELNS0_4arch9wavefront6targetE1EEEvSL_
	.globl	_ZN7rocprim17ROCPRIM_400000_NS6detail17trampoline_kernelINS0_14default_configENS1_38merge_sort_block_merge_config_selectorIiNS0_10empty_typeEEEZZNS1_27merge_sort_block_merge_implIS3_N6thrust23THRUST_200600_302600_NS6detail15normal_iteratorINS9_10device_ptrIiEEEEPS5_jNS1_19radix_merge_compareILb0ELb0EiNS0_19identity_decomposerEEEEE10hipError_tT0_T1_T2_jT3_P12ihipStream_tbPNSt15iterator_traitsISK_E10value_typeEPNSQ_ISL_E10value_typeEPSM_NS1_7vsmem_tEENKUlT_SK_SL_SM_E_clIPiSE_SF_SF_EESJ_SZ_SK_SL_SM_EUlSZ_E1_NS1_11comp_targetILNS1_3genE0ELNS1_11target_archE4294967295ELNS1_3gpuE0ELNS1_3repE0EEENS1_36merge_oddeven_config_static_selectorELNS0_4arch9wavefront6targetE1EEEvSL_
	.p2align	8
	.type	_ZN7rocprim17ROCPRIM_400000_NS6detail17trampoline_kernelINS0_14default_configENS1_38merge_sort_block_merge_config_selectorIiNS0_10empty_typeEEEZZNS1_27merge_sort_block_merge_implIS3_N6thrust23THRUST_200600_302600_NS6detail15normal_iteratorINS9_10device_ptrIiEEEEPS5_jNS1_19radix_merge_compareILb0ELb0EiNS0_19identity_decomposerEEEEE10hipError_tT0_T1_T2_jT3_P12ihipStream_tbPNSt15iterator_traitsISK_E10value_typeEPNSQ_ISL_E10value_typeEPSM_NS1_7vsmem_tEENKUlT_SK_SL_SM_E_clIPiSE_SF_SF_EESJ_SZ_SK_SL_SM_EUlSZ_E1_NS1_11comp_targetILNS1_3genE0ELNS1_11target_archE4294967295ELNS1_3gpuE0ELNS1_3repE0EEENS1_36merge_oddeven_config_static_selectorELNS0_4arch9wavefront6targetE1EEEvSL_,@function
_ZN7rocprim17ROCPRIM_400000_NS6detail17trampoline_kernelINS0_14default_configENS1_38merge_sort_block_merge_config_selectorIiNS0_10empty_typeEEEZZNS1_27merge_sort_block_merge_implIS3_N6thrust23THRUST_200600_302600_NS6detail15normal_iteratorINS9_10device_ptrIiEEEEPS5_jNS1_19radix_merge_compareILb0ELb0EiNS0_19identity_decomposerEEEEE10hipError_tT0_T1_T2_jT3_P12ihipStream_tbPNSt15iterator_traitsISK_E10value_typeEPNSQ_ISL_E10value_typeEPSM_NS1_7vsmem_tEENKUlT_SK_SL_SM_E_clIPiSE_SF_SF_EESJ_SZ_SK_SL_SM_EUlSZ_E1_NS1_11comp_targetILNS1_3genE0ELNS1_11target_archE4294967295ELNS1_3gpuE0ELNS1_3repE0EEENS1_36merge_oddeven_config_static_selectorELNS0_4arch9wavefront6targetE1EEEvSL_: ; @_ZN7rocprim17ROCPRIM_400000_NS6detail17trampoline_kernelINS0_14default_configENS1_38merge_sort_block_merge_config_selectorIiNS0_10empty_typeEEEZZNS1_27merge_sort_block_merge_implIS3_N6thrust23THRUST_200600_302600_NS6detail15normal_iteratorINS9_10device_ptrIiEEEEPS5_jNS1_19radix_merge_compareILb0ELb0EiNS0_19identity_decomposerEEEEE10hipError_tT0_T1_T2_jT3_P12ihipStream_tbPNSt15iterator_traitsISK_E10value_typeEPNSQ_ISL_E10value_typeEPSM_NS1_7vsmem_tEENKUlT_SK_SL_SM_E_clIPiSE_SF_SF_EESJ_SZ_SK_SL_SM_EUlSZ_E1_NS1_11comp_targetILNS1_3genE0ELNS1_11target_archE4294967295ELNS1_3gpuE0ELNS1_3repE0EEENS1_36merge_oddeven_config_static_selectorELNS0_4arch9wavefront6targetE1EEEvSL_
; %bb.0:
	.section	.rodata,"a",@progbits
	.p2align	6, 0x0
	.amdhsa_kernel _ZN7rocprim17ROCPRIM_400000_NS6detail17trampoline_kernelINS0_14default_configENS1_38merge_sort_block_merge_config_selectorIiNS0_10empty_typeEEEZZNS1_27merge_sort_block_merge_implIS3_N6thrust23THRUST_200600_302600_NS6detail15normal_iteratorINS9_10device_ptrIiEEEEPS5_jNS1_19radix_merge_compareILb0ELb0EiNS0_19identity_decomposerEEEEE10hipError_tT0_T1_T2_jT3_P12ihipStream_tbPNSt15iterator_traitsISK_E10value_typeEPNSQ_ISL_E10value_typeEPSM_NS1_7vsmem_tEENKUlT_SK_SL_SM_E_clIPiSE_SF_SF_EESJ_SZ_SK_SL_SM_EUlSZ_E1_NS1_11comp_targetILNS1_3genE0ELNS1_11target_archE4294967295ELNS1_3gpuE0ELNS1_3repE0EEENS1_36merge_oddeven_config_static_selectorELNS0_4arch9wavefront6targetE1EEEvSL_
		.amdhsa_group_segment_fixed_size 0
		.amdhsa_private_segment_fixed_size 0
		.amdhsa_kernarg_size 48
		.amdhsa_user_sgpr_count 6
		.amdhsa_user_sgpr_private_segment_buffer 1
		.amdhsa_user_sgpr_dispatch_ptr 0
		.amdhsa_user_sgpr_queue_ptr 0
		.amdhsa_user_sgpr_kernarg_segment_ptr 1
		.amdhsa_user_sgpr_dispatch_id 0
		.amdhsa_user_sgpr_flat_scratch_init 0
		.amdhsa_user_sgpr_kernarg_preload_length 0
		.amdhsa_user_sgpr_kernarg_preload_offset 0
		.amdhsa_user_sgpr_private_segment_size 0
		.amdhsa_uses_dynamic_stack 0
		.amdhsa_system_sgpr_private_segment_wavefront_offset 0
		.amdhsa_system_sgpr_workgroup_id_x 1
		.amdhsa_system_sgpr_workgroup_id_y 0
		.amdhsa_system_sgpr_workgroup_id_z 0
		.amdhsa_system_sgpr_workgroup_info 0
		.amdhsa_system_vgpr_workitem_id 0
		.amdhsa_next_free_vgpr 1
		.amdhsa_next_free_sgpr 0
		.amdhsa_accum_offset 4
		.amdhsa_reserve_vcc 0
		.amdhsa_reserve_flat_scratch 0
		.amdhsa_float_round_mode_32 0
		.amdhsa_float_round_mode_16_64 0
		.amdhsa_float_denorm_mode_32 3
		.amdhsa_float_denorm_mode_16_64 3
		.amdhsa_dx10_clamp 1
		.amdhsa_ieee_mode 1
		.amdhsa_fp16_overflow 0
		.amdhsa_tg_split 0
		.amdhsa_exception_fp_ieee_invalid_op 0
		.amdhsa_exception_fp_denorm_src 0
		.amdhsa_exception_fp_ieee_div_zero 0
		.amdhsa_exception_fp_ieee_overflow 0
		.amdhsa_exception_fp_ieee_underflow 0
		.amdhsa_exception_fp_ieee_inexact 0
		.amdhsa_exception_int_div_zero 0
	.end_amdhsa_kernel
	.section	.text._ZN7rocprim17ROCPRIM_400000_NS6detail17trampoline_kernelINS0_14default_configENS1_38merge_sort_block_merge_config_selectorIiNS0_10empty_typeEEEZZNS1_27merge_sort_block_merge_implIS3_N6thrust23THRUST_200600_302600_NS6detail15normal_iteratorINS9_10device_ptrIiEEEEPS5_jNS1_19radix_merge_compareILb0ELb0EiNS0_19identity_decomposerEEEEE10hipError_tT0_T1_T2_jT3_P12ihipStream_tbPNSt15iterator_traitsISK_E10value_typeEPNSQ_ISL_E10value_typeEPSM_NS1_7vsmem_tEENKUlT_SK_SL_SM_E_clIPiSE_SF_SF_EESJ_SZ_SK_SL_SM_EUlSZ_E1_NS1_11comp_targetILNS1_3genE0ELNS1_11target_archE4294967295ELNS1_3gpuE0ELNS1_3repE0EEENS1_36merge_oddeven_config_static_selectorELNS0_4arch9wavefront6targetE1EEEvSL_,"axG",@progbits,_ZN7rocprim17ROCPRIM_400000_NS6detail17trampoline_kernelINS0_14default_configENS1_38merge_sort_block_merge_config_selectorIiNS0_10empty_typeEEEZZNS1_27merge_sort_block_merge_implIS3_N6thrust23THRUST_200600_302600_NS6detail15normal_iteratorINS9_10device_ptrIiEEEEPS5_jNS1_19radix_merge_compareILb0ELb0EiNS0_19identity_decomposerEEEEE10hipError_tT0_T1_T2_jT3_P12ihipStream_tbPNSt15iterator_traitsISK_E10value_typeEPNSQ_ISL_E10value_typeEPSM_NS1_7vsmem_tEENKUlT_SK_SL_SM_E_clIPiSE_SF_SF_EESJ_SZ_SK_SL_SM_EUlSZ_E1_NS1_11comp_targetILNS1_3genE0ELNS1_11target_archE4294967295ELNS1_3gpuE0ELNS1_3repE0EEENS1_36merge_oddeven_config_static_selectorELNS0_4arch9wavefront6targetE1EEEvSL_,comdat
.Lfunc_end1630:
	.size	_ZN7rocprim17ROCPRIM_400000_NS6detail17trampoline_kernelINS0_14default_configENS1_38merge_sort_block_merge_config_selectorIiNS0_10empty_typeEEEZZNS1_27merge_sort_block_merge_implIS3_N6thrust23THRUST_200600_302600_NS6detail15normal_iteratorINS9_10device_ptrIiEEEEPS5_jNS1_19radix_merge_compareILb0ELb0EiNS0_19identity_decomposerEEEEE10hipError_tT0_T1_T2_jT3_P12ihipStream_tbPNSt15iterator_traitsISK_E10value_typeEPNSQ_ISL_E10value_typeEPSM_NS1_7vsmem_tEENKUlT_SK_SL_SM_E_clIPiSE_SF_SF_EESJ_SZ_SK_SL_SM_EUlSZ_E1_NS1_11comp_targetILNS1_3genE0ELNS1_11target_archE4294967295ELNS1_3gpuE0ELNS1_3repE0EEENS1_36merge_oddeven_config_static_selectorELNS0_4arch9wavefront6targetE1EEEvSL_, .Lfunc_end1630-_ZN7rocprim17ROCPRIM_400000_NS6detail17trampoline_kernelINS0_14default_configENS1_38merge_sort_block_merge_config_selectorIiNS0_10empty_typeEEEZZNS1_27merge_sort_block_merge_implIS3_N6thrust23THRUST_200600_302600_NS6detail15normal_iteratorINS9_10device_ptrIiEEEEPS5_jNS1_19radix_merge_compareILb0ELb0EiNS0_19identity_decomposerEEEEE10hipError_tT0_T1_T2_jT3_P12ihipStream_tbPNSt15iterator_traitsISK_E10value_typeEPNSQ_ISL_E10value_typeEPSM_NS1_7vsmem_tEENKUlT_SK_SL_SM_E_clIPiSE_SF_SF_EESJ_SZ_SK_SL_SM_EUlSZ_E1_NS1_11comp_targetILNS1_3genE0ELNS1_11target_archE4294967295ELNS1_3gpuE0ELNS1_3repE0EEENS1_36merge_oddeven_config_static_selectorELNS0_4arch9wavefront6targetE1EEEvSL_
                                        ; -- End function
	.section	.AMDGPU.csdata,"",@progbits
; Kernel info:
; codeLenInByte = 0
; NumSgprs: 4
; NumVgprs: 0
; NumAgprs: 0
; TotalNumVgprs: 0
; ScratchSize: 0
; MemoryBound: 0
; FloatMode: 240
; IeeeMode: 1
; LDSByteSize: 0 bytes/workgroup (compile time only)
; SGPRBlocks: 0
; VGPRBlocks: 0
; NumSGPRsForWavesPerEU: 4
; NumVGPRsForWavesPerEU: 1
; AccumOffset: 4
; Occupancy: 8
; WaveLimiterHint : 0
; COMPUTE_PGM_RSRC2:SCRATCH_EN: 0
; COMPUTE_PGM_RSRC2:USER_SGPR: 6
; COMPUTE_PGM_RSRC2:TRAP_HANDLER: 0
; COMPUTE_PGM_RSRC2:TGID_X_EN: 1
; COMPUTE_PGM_RSRC2:TGID_Y_EN: 0
; COMPUTE_PGM_RSRC2:TGID_Z_EN: 0
; COMPUTE_PGM_RSRC2:TIDIG_COMP_CNT: 0
; COMPUTE_PGM_RSRC3_GFX90A:ACCUM_OFFSET: 0
; COMPUTE_PGM_RSRC3_GFX90A:TG_SPLIT: 0
	.section	.text._ZN7rocprim17ROCPRIM_400000_NS6detail17trampoline_kernelINS0_14default_configENS1_38merge_sort_block_merge_config_selectorIiNS0_10empty_typeEEEZZNS1_27merge_sort_block_merge_implIS3_N6thrust23THRUST_200600_302600_NS6detail15normal_iteratorINS9_10device_ptrIiEEEEPS5_jNS1_19radix_merge_compareILb0ELb0EiNS0_19identity_decomposerEEEEE10hipError_tT0_T1_T2_jT3_P12ihipStream_tbPNSt15iterator_traitsISK_E10value_typeEPNSQ_ISL_E10value_typeEPSM_NS1_7vsmem_tEENKUlT_SK_SL_SM_E_clIPiSE_SF_SF_EESJ_SZ_SK_SL_SM_EUlSZ_E1_NS1_11comp_targetILNS1_3genE10ELNS1_11target_archE1201ELNS1_3gpuE5ELNS1_3repE0EEENS1_36merge_oddeven_config_static_selectorELNS0_4arch9wavefront6targetE1EEEvSL_,"axG",@progbits,_ZN7rocprim17ROCPRIM_400000_NS6detail17trampoline_kernelINS0_14default_configENS1_38merge_sort_block_merge_config_selectorIiNS0_10empty_typeEEEZZNS1_27merge_sort_block_merge_implIS3_N6thrust23THRUST_200600_302600_NS6detail15normal_iteratorINS9_10device_ptrIiEEEEPS5_jNS1_19radix_merge_compareILb0ELb0EiNS0_19identity_decomposerEEEEE10hipError_tT0_T1_T2_jT3_P12ihipStream_tbPNSt15iterator_traitsISK_E10value_typeEPNSQ_ISL_E10value_typeEPSM_NS1_7vsmem_tEENKUlT_SK_SL_SM_E_clIPiSE_SF_SF_EESJ_SZ_SK_SL_SM_EUlSZ_E1_NS1_11comp_targetILNS1_3genE10ELNS1_11target_archE1201ELNS1_3gpuE5ELNS1_3repE0EEENS1_36merge_oddeven_config_static_selectorELNS0_4arch9wavefront6targetE1EEEvSL_,comdat
	.protected	_ZN7rocprim17ROCPRIM_400000_NS6detail17trampoline_kernelINS0_14default_configENS1_38merge_sort_block_merge_config_selectorIiNS0_10empty_typeEEEZZNS1_27merge_sort_block_merge_implIS3_N6thrust23THRUST_200600_302600_NS6detail15normal_iteratorINS9_10device_ptrIiEEEEPS5_jNS1_19radix_merge_compareILb0ELb0EiNS0_19identity_decomposerEEEEE10hipError_tT0_T1_T2_jT3_P12ihipStream_tbPNSt15iterator_traitsISK_E10value_typeEPNSQ_ISL_E10value_typeEPSM_NS1_7vsmem_tEENKUlT_SK_SL_SM_E_clIPiSE_SF_SF_EESJ_SZ_SK_SL_SM_EUlSZ_E1_NS1_11comp_targetILNS1_3genE10ELNS1_11target_archE1201ELNS1_3gpuE5ELNS1_3repE0EEENS1_36merge_oddeven_config_static_selectorELNS0_4arch9wavefront6targetE1EEEvSL_ ; -- Begin function _ZN7rocprim17ROCPRIM_400000_NS6detail17trampoline_kernelINS0_14default_configENS1_38merge_sort_block_merge_config_selectorIiNS0_10empty_typeEEEZZNS1_27merge_sort_block_merge_implIS3_N6thrust23THRUST_200600_302600_NS6detail15normal_iteratorINS9_10device_ptrIiEEEEPS5_jNS1_19radix_merge_compareILb0ELb0EiNS0_19identity_decomposerEEEEE10hipError_tT0_T1_T2_jT3_P12ihipStream_tbPNSt15iterator_traitsISK_E10value_typeEPNSQ_ISL_E10value_typeEPSM_NS1_7vsmem_tEENKUlT_SK_SL_SM_E_clIPiSE_SF_SF_EESJ_SZ_SK_SL_SM_EUlSZ_E1_NS1_11comp_targetILNS1_3genE10ELNS1_11target_archE1201ELNS1_3gpuE5ELNS1_3repE0EEENS1_36merge_oddeven_config_static_selectorELNS0_4arch9wavefront6targetE1EEEvSL_
	.globl	_ZN7rocprim17ROCPRIM_400000_NS6detail17trampoline_kernelINS0_14default_configENS1_38merge_sort_block_merge_config_selectorIiNS0_10empty_typeEEEZZNS1_27merge_sort_block_merge_implIS3_N6thrust23THRUST_200600_302600_NS6detail15normal_iteratorINS9_10device_ptrIiEEEEPS5_jNS1_19radix_merge_compareILb0ELb0EiNS0_19identity_decomposerEEEEE10hipError_tT0_T1_T2_jT3_P12ihipStream_tbPNSt15iterator_traitsISK_E10value_typeEPNSQ_ISL_E10value_typeEPSM_NS1_7vsmem_tEENKUlT_SK_SL_SM_E_clIPiSE_SF_SF_EESJ_SZ_SK_SL_SM_EUlSZ_E1_NS1_11comp_targetILNS1_3genE10ELNS1_11target_archE1201ELNS1_3gpuE5ELNS1_3repE0EEENS1_36merge_oddeven_config_static_selectorELNS0_4arch9wavefront6targetE1EEEvSL_
	.p2align	8
	.type	_ZN7rocprim17ROCPRIM_400000_NS6detail17trampoline_kernelINS0_14default_configENS1_38merge_sort_block_merge_config_selectorIiNS0_10empty_typeEEEZZNS1_27merge_sort_block_merge_implIS3_N6thrust23THRUST_200600_302600_NS6detail15normal_iteratorINS9_10device_ptrIiEEEEPS5_jNS1_19radix_merge_compareILb0ELb0EiNS0_19identity_decomposerEEEEE10hipError_tT0_T1_T2_jT3_P12ihipStream_tbPNSt15iterator_traitsISK_E10value_typeEPNSQ_ISL_E10value_typeEPSM_NS1_7vsmem_tEENKUlT_SK_SL_SM_E_clIPiSE_SF_SF_EESJ_SZ_SK_SL_SM_EUlSZ_E1_NS1_11comp_targetILNS1_3genE10ELNS1_11target_archE1201ELNS1_3gpuE5ELNS1_3repE0EEENS1_36merge_oddeven_config_static_selectorELNS0_4arch9wavefront6targetE1EEEvSL_,@function
_ZN7rocprim17ROCPRIM_400000_NS6detail17trampoline_kernelINS0_14default_configENS1_38merge_sort_block_merge_config_selectorIiNS0_10empty_typeEEEZZNS1_27merge_sort_block_merge_implIS3_N6thrust23THRUST_200600_302600_NS6detail15normal_iteratorINS9_10device_ptrIiEEEEPS5_jNS1_19radix_merge_compareILb0ELb0EiNS0_19identity_decomposerEEEEE10hipError_tT0_T1_T2_jT3_P12ihipStream_tbPNSt15iterator_traitsISK_E10value_typeEPNSQ_ISL_E10value_typeEPSM_NS1_7vsmem_tEENKUlT_SK_SL_SM_E_clIPiSE_SF_SF_EESJ_SZ_SK_SL_SM_EUlSZ_E1_NS1_11comp_targetILNS1_3genE10ELNS1_11target_archE1201ELNS1_3gpuE5ELNS1_3repE0EEENS1_36merge_oddeven_config_static_selectorELNS0_4arch9wavefront6targetE1EEEvSL_: ; @_ZN7rocprim17ROCPRIM_400000_NS6detail17trampoline_kernelINS0_14default_configENS1_38merge_sort_block_merge_config_selectorIiNS0_10empty_typeEEEZZNS1_27merge_sort_block_merge_implIS3_N6thrust23THRUST_200600_302600_NS6detail15normal_iteratorINS9_10device_ptrIiEEEEPS5_jNS1_19radix_merge_compareILb0ELb0EiNS0_19identity_decomposerEEEEE10hipError_tT0_T1_T2_jT3_P12ihipStream_tbPNSt15iterator_traitsISK_E10value_typeEPNSQ_ISL_E10value_typeEPSM_NS1_7vsmem_tEENKUlT_SK_SL_SM_E_clIPiSE_SF_SF_EESJ_SZ_SK_SL_SM_EUlSZ_E1_NS1_11comp_targetILNS1_3genE10ELNS1_11target_archE1201ELNS1_3gpuE5ELNS1_3repE0EEENS1_36merge_oddeven_config_static_selectorELNS0_4arch9wavefront6targetE1EEEvSL_
; %bb.0:
	.section	.rodata,"a",@progbits
	.p2align	6, 0x0
	.amdhsa_kernel _ZN7rocprim17ROCPRIM_400000_NS6detail17trampoline_kernelINS0_14default_configENS1_38merge_sort_block_merge_config_selectorIiNS0_10empty_typeEEEZZNS1_27merge_sort_block_merge_implIS3_N6thrust23THRUST_200600_302600_NS6detail15normal_iteratorINS9_10device_ptrIiEEEEPS5_jNS1_19radix_merge_compareILb0ELb0EiNS0_19identity_decomposerEEEEE10hipError_tT0_T1_T2_jT3_P12ihipStream_tbPNSt15iterator_traitsISK_E10value_typeEPNSQ_ISL_E10value_typeEPSM_NS1_7vsmem_tEENKUlT_SK_SL_SM_E_clIPiSE_SF_SF_EESJ_SZ_SK_SL_SM_EUlSZ_E1_NS1_11comp_targetILNS1_3genE10ELNS1_11target_archE1201ELNS1_3gpuE5ELNS1_3repE0EEENS1_36merge_oddeven_config_static_selectorELNS0_4arch9wavefront6targetE1EEEvSL_
		.amdhsa_group_segment_fixed_size 0
		.amdhsa_private_segment_fixed_size 0
		.amdhsa_kernarg_size 48
		.amdhsa_user_sgpr_count 6
		.amdhsa_user_sgpr_private_segment_buffer 1
		.amdhsa_user_sgpr_dispatch_ptr 0
		.amdhsa_user_sgpr_queue_ptr 0
		.amdhsa_user_sgpr_kernarg_segment_ptr 1
		.amdhsa_user_sgpr_dispatch_id 0
		.amdhsa_user_sgpr_flat_scratch_init 0
		.amdhsa_user_sgpr_kernarg_preload_length 0
		.amdhsa_user_sgpr_kernarg_preload_offset 0
		.amdhsa_user_sgpr_private_segment_size 0
		.amdhsa_uses_dynamic_stack 0
		.amdhsa_system_sgpr_private_segment_wavefront_offset 0
		.amdhsa_system_sgpr_workgroup_id_x 1
		.amdhsa_system_sgpr_workgroup_id_y 0
		.amdhsa_system_sgpr_workgroup_id_z 0
		.amdhsa_system_sgpr_workgroup_info 0
		.amdhsa_system_vgpr_workitem_id 0
		.amdhsa_next_free_vgpr 1
		.amdhsa_next_free_sgpr 0
		.amdhsa_accum_offset 4
		.amdhsa_reserve_vcc 0
		.amdhsa_reserve_flat_scratch 0
		.amdhsa_float_round_mode_32 0
		.amdhsa_float_round_mode_16_64 0
		.amdhsa_float_denorm_mode_32 3
		.amdhsa_float_denorm_mode_16_64 3
		.amdhsa_dx10_clamp 1
		.amdhsa_ieee_mode 1
		.amdhsa_fp16_overflow 0
		.amdhsa_tg_split 0
		.amdhsa_exception_fp_ieee_invalid_op 0
		.amdhsa_exception_fp_denorm_src 0
		.amdhsa_exception_fp_ieee_div_zero 0
		.amdhsa_exception_fp_ieee_overflow 0
		.amdhsa_exception_fp_ieee_underflow 0
		.amdhsa_exception_fp_ieee_inexact 0
		.amdhsa_exception_int_div_zero 0
	.end_amdhsa_kernel
	.section	.text._ZN7rocprim17ROCPRIM_400000_NS6detail17trampoline_kernelINS0_14default_configENS1_38merge_sort_block_merge_config_selectorIiNS0_10empty_typeEEEZZNS1_27merge_sort_block_merge_implIS3_N6thrust23THRUST_200600_302600_NS6detail15normal_iteratorINS9_10device_ptrIiEEEEPS5_jNS1_19radix_merge_compareILb0ELb0EiNS0_19identity_decomposerEEEEE10hipError_tT0_T1_T2_jT3_P12ihipStream_tbPNSt15iterator_traitsISK_E10value_typeEPNSQ_ISL_E10value_typeEPSM_NS1_7vsmem_tEENKUlT_SK_SL_SM_E_clIPiSE_SF_SF_EESJ_SZ_SK_SL_SM_EUlSZ_E1_NS1_11comp_targetILNS1_3genE10ELNS1_11target_archE1201ELNS1_3gpuE5ELNS1_3repE0EEENS1_36merge_oddeven_config_static_selectorELNS0_4arch9wavefront6targetE1EEEvSL_,"axG",@progbits,_ZN7rocprim17ROCPRIM_400000_NS6detail17trampoline_kernelINS0_14default_configENS1_38merge_sort_block_merge_config_selectorIiNS0_10empty_typeEEEZZNS1_27merge_sort_block_merge_implIS3_N6thrust23THRUST_200600_302600_NS6detail15normal_iteratorINS9_10device_ptrIiEEEEPS5_jNS1_19radix_merge_compareILb0ELb0EiNS0_19identity_decomposerEEEEE10hipError_tT0_T1_T2_jT3_P12ihipStream_tbPNSt15iterator_traitsISK_E10value_typeEPNSQ_ISL_E10value_typeEPSM_NS1_7vsmem_tEENKUlT_SK_SL_SM_E_clIPiSE_SF_SF_EESJ_SZ_SK_SL_SM_EUlSZ_E1_NS1_11comp_targetILNS1_3genE10ELNS1_11target_archE1201ELNS1_3gpuE5ELNS1_3repE0EEENS1_36merge_oddeven_config_static_selectorELNS0_4arch9wavefront6targetE1EEEvSL_,comdat
.Lfunc_end1631:
	.size	_ZN7rocprim17ROCPRIM_400000_NS6detail17trampoline_kernelINS0_14default_configENS1_38merge_sort_block_merge_config_selectorIiNS0_10empty_typeEEEZZNS1_27merge_sort_block_merge_implIS3_N6thrust23THRUST_200600_302600_NS6detail15normal_iteratorINS9_10device_ptrIiEEEEPS5_jNS1_19radix_merge_compareILb0ELb0EiNS0_19identity_decomposerEEEEE10hipError_tT0_T1_T2_jT3_P12ihipStream_tbPNSt15iterator_traitsISK_E10value_typeEPNSQ_ISL_E10value_typeEPSM_NS1_7vsmem_tEENKUlT_SK_SL_SM_E_clIPiSE_SF_SF_EESJ_SZ_SK_SL_SM_EUlSZ_E1_NS1_11comp_targetILNS1_3genE10ELNS1_11target_archE1201ELNS1_3gpuE5ELNS1_3repE0EEENS1_36merge_oddeven_config_static_selectorELNS0_4arch9wavefront6targetE1EEEvSL_, .Lfunc_end1631-_ZN7rocprim17ROCPRIM_400000_NS6detail17trampoline_kernelINS0_14default_configENS1_38merge_sort_block_merge_config_selectorIiNS0_10empty_typeEEEZZNS1_27merge_sort_block_merge_implIS3_N6thrust23THRUST_200600_302600_NS6detail15normal_iteratorINS9_10device_ptrIiEEEEPS5_jNS1_19radix_merge_compareILb0ELb0EiNS0_19identity_decomposerEEEEE10hipError_tT0_T1_T2_jT3_P12ihipStream_tbPNSt15iterator_traitsISK_E10value_typeEPNSQ_ISL_E10value_typeEPSM_NS1_7vsmem_tEENKUlT_SK_SL_SM_E_clIPiSE_SF_SF_EESJ_SZ_SK_SL_SM_EUlSZ_E1_NS1_11comp_targetILNS1_3genE10ELNS1_11target_archE1201ELNS1_3gpuE5ELNS1_3repE0EEENS1_36merge_oddeven_config_static_selectorELNS0_4arch9wavefront6targetE1EEEvSL_
                                        ; -- End function
	.section	.AMDGPU.csdata,"",@progbits
; Kernel info:
; codeLenInByte = 0
; NumSgprs: 4
; NumVgprs: 0
; NumAgprs: 0
; TotalNumVgprs: 0
; ScratchSize: 0
; MemoryBound: 0
; FloatMode: 240
; IeeeMode: 1
; LDSByteSize: 0 bytes/workgroup (compile time only)
; SGPRBlocks: 0
; VGPRBlocks: 0
; NumSGPRsForWavesPerEU: 4
; NumVGPRsForWavesPerEU: 1
; AccumOffset: 4
; Occupancy: 8
; WaveLimiterHint : 0
; COMPUTE_PGM_RSRC2:SCRATCH_EN: 0
; COMPUTE_PGM_RSRC2:USER_SGPR: 6
; COMPUTE_PGM_RSRC2:TRAP_HANDLER: 0
; COMPUTE_PGM_RSRC2:TGID_X_EN: 1
; COMPUTE_PGM_RSRC2:TGID_Y_EN: 0
; COMPUTE_PGM_RSRC2:TGID_Z_EN: 0
; COMPUTE_PGM_RSRC2:TIDIG_COMP_CNT: 0
; COMPUTE_PGM_RSRC3_GFX90A:ACCUM_OFFSET: 0
; COMPUTE_PGM_RSRC3_GFX90A:TG_SPLIT: 0
	.section	.text._ZN7rocprim17ROCPRIM_400000_NS6detail17trampoline_kernelINS0_14default_configENS1_38merge_sort_block_merge_config_selectorIiNS0_10empty_typeEEEZZNS1_27merge_sort_block_merge_implIS3_N6thrust23THRUST_200600_302600_NS6detail15normal_iteratorINS9_10device_ptrIiEEEEPS5_jNS1_19radix_merge_compareILb0ELb0EiNS0_19identity_decomposerEEEEE10hipError_tT0_T1_T2_jT3_P12ihipStream_tbPNSt15iterator_traitsISK_E10value_typeEPNSQ_ISL_E10value_typeEPSM_NS1_7vsmem_tEENKUlT_SK_SL_SM_E_clIPiSE_SF_SF_EESJ_SZ_SK_SL_SM_EUlSZ_E1_NS1_11comp_targetILNS1_3genE5ELNS1_11target_archE942ELNS1_3gpuE9ELNS1_3repE0EEENS1_36merge_oddeven_config_static_selectorELNS0_4arch9wavefront6targetE1EEEvSL_,"axG",@progbits,_ZN7rocprim17ROCPRIM_400000_NS6detail17trampoline_kernelINS0_14default_configENS1_38merge_sort_block_merge_config_selectorIiNS0_10empty_typeEEEZZNS1_27merge_sort_block_merge_implIS3_N6thrust23THRUST_200600_302600_NS6detail15normal_iteratorINS9_10device_ptrIiEEEEPS5_jNS1_19radix_merge_compareILb0ELb0EiNS0_19identity_decomposerEEEEE10hipError_tT0_T1_T2_jT3_P12ihipStream_tbPNSt15iterator_traitsISK_E10value_typeEPNSQ_ISL_E10value_typeEPSM_NS1_7vsmem_tEENKUlT_SK_SL_SM_E_clIPiSE_SF_SF_EESJ_SZ_SK_SL_SM_EUlSZ_E1_NS1_11comp_targetILNS1_3genE5ELNS1_11target_archE942ELNS1_3gpuE9ELNS1_3repE0EEENS1_36merge_oddeven_config_static_selectorELNS0_4arch9wavefront6targetE1EEEvSL_,comdat
	.protected	_ZN7rocprim17ROCPRIM_400000_NS6detail17trampoline_kernelINS0_14default_configENS1_38merge_sort_block_merge_config_selectorIiNS0_10empty_typeEEEZZNS1_27merge_sort_block_merge_implIS3_N6thrust23THRUST_200600_302600_NS6detail15normal_iteratorINS9_10device_ptrIiEEEEPS5_jNS1_19radix_merge_compareILb0ELb0EiNS0_19identity_decomposerEEEEE10hipError_tT0_T1_T2_jT3_P12ihipStream_tbPNSt15iterator_traitsISK_E10value_typeEPNSQ_ISL_E10value_typeEPSM_NS1_7vsmem_tEENKUlT_SK_SL_SM_E_clIPiSE_SF_SF_EESJ_SZ_SK_SL_SM_EUlSZ_E1_NS1_11comp_targetILNS1_3genE5ELNS1_11target_archE942ELNS1_3gpuE9ELNS1_3repE0EEENS1_36merge_oddeven_config_static_selectorELNS0_4arch9wavefront6targetE1EEEvSL_ ; -- Begin function _ZN7rocprim17ROCPRIM_400000_NS6detail17trampoline_kernelINS0_14default_configENS1_38merge_sort_block_merge_config_selectorIiNS0_10empty_typeEEEZZNS1_27merge_sort_block_merge_implIS3_N6thrust23THRUST_200600_302600_NS6detail15normal_iteratorINS9_10device_ptrIiEEEEPS5_jNS1_19radix_merge_compareILb0ELb0EiNS0_19identity_decomposerEEEEE10hipError_tT0_T1_T2_jT3_P12ihipStream_tbPNSt15iterator_traitsISK_E10value_typeEPNSQ_ISL_E10value_typeEPSM_NS1_7vsmem_tEENKUlT_SK_SL_SM_E_clIPiSE_SF_SF_EESJ_SZ_SK_SL_SM_EUlSZ_E1_NS1_11comp_targetILNS1_3genE5ELNS1_11target_archE942ELNS1_3gpuE9ELNS1_3repE0EEENS1_36merge_oddeven_config_static_selectorELNS0_4arch9wavefront6targetE1EEEvSL_
	.globl	_ZN7rocprim17ROCPRIM_400000_NS6detail17trampoline_kernelINS0_14default_configENS1_38merge_sort_block_merge_config_selectorIiNS0_10empty_typeEEEZZNS1_27merge_sort_block_merge_implIS3_N6thrust23THRUST_200600_302600_NS6detail15normal_iteratorINS9_10device_ptrIiEEEEPS5_jNS1_19radix_merge_compareILb0ELb0EiNS0_19identity_decomposerEEEEE10hipError_tT0_T1_T2_jT3_P12ihipStream_tbPNSt15iterator_traitsISK_E10value_typeEPNSQ_ISL_E10value_typeEPSM_NS1_7vsmem_tEENKUlT_SK_SL_SM_E_clIPiSE_SF_SF_EESJ_SZ_SK_SL_SM_EUlSZ_E1_NS1_11comp_targetILNS1_3genE5ELNS1_11target_archE942ELNS1_3gpuE9ELNS1_3repE0EEENS1_36merge_oddeven_config_static_selectorELNS0_4arch9wavefront6targetE1EEEvSL_
	.p2align	8
	.type	_ZN7rocprim17ROCPRIM_400000_NS6detail17trampoline_kernelINS0_14default_configENS1_38merge_sort_block_merge_config_selectorIiNS0_10empty_typeEEEZZNS1_27merge_sort_block_merge_implIS3_N6thrust23THRUST_200600_302600_NS6detail15normal_iteratorINS9_10device_ptrIiEEEEPS5_jNS1_19radix_merge_compareILb0ELb0EiNS0_19identity_decomposerEEEEE10hipError_tT0_T1_T2_jT3_P12ihipStream_tbPNSt15iterator_traitsISK_E10value_typeEPNSQ_ISL_E10value_typeEPSM_NS1_7vsmem_tEENKUlT_SK_SL_SM_E_clIPiSE_SF_SF_EESJ_SZ_SK_SL_SM_EUlSZ_E1_NS1_11comp_targetILNS1_3genE5ELNS1_11target_archE942ELNS1_3gpuE9ELNS1_3repE0EEENS1_36merge_oddeven_config_static_selectorELNS0_4arch9wavefront6targetE1EEEvSL_,@function
_ZN7rocprim17ROCPRIM_400000_NS6detail17trampoline_kernelINS0_14default_configENS1_38merge_sort_block_merge_config_selectorIiNS0_10empty_typeEEEZZNS1_27merge_sort_block_merge_implIS3_N6thrust23THRUST_200600_302600_NS6detail15normal_iteratorINS9_10device_ptrIiEEEEPS5_jNS1_19radix_merge_compareILb0ELb0EiNS0_19identity_decomposerEEEEE10hipError_tT0_T1_T2_jT3_P12ihipStream_tbPNSt15iterator_traitsISK_E10value_typeEPNSQ_ISL_E10value_typeEPSM_NS1_7vsmem_tEENKUlT_SK_SL_SM_E_clIPiSE_SF_SF_EESJ_SZ_SK_SL_SM_EUlSZ_E1_NS1_11comp_targetILNS1_3genE5ELNS1_11target_archE942ELNS1_3gpuE9ELNS1_3repE0EEENS1_36merge_oddeven_config_static_selectorELNS0_4arch9wavefront6targetE1EEEvSL_: ; @_ZN7rocprim17ROCPRIM_400000_NS6detail17trampoline_kernelINS0_14default_configENS1_38merge_sort_block_merge_config_selectorIiNS0_10empty_typeEEEZZNS1_27merge_sort_block_merge_implIS3_N6thrust23THRUST_200600_302600_NS6detail15normal_iteratorINS9_10device_ptrIiEEEEPS5_jNS1_19radix_merge_compareILb0ELb0EiNS0_19identity_decomposerEEEEE10hipError_tT0_T1_T2_jT3_P12ihipStream_tbPNSt15iterator_traitsISK_E10value_typeEPNSQ_ISL_E10value_typeEPSM_NS1_7vsmem_tEENKUlT_SK_SL_SM_E_clIPiSE_SF_SF_EESJ_SZ_SK_SL_SM_EUlSZ_E1_NS1_11comp_targetILNS1_3genE5ELNS1_11target_archE942ELNS1_3gpuE9ELNS1_3repE0EEENS1_36merge_oddeven_config_static_selectorELNS0_4arch9wavefront6targetE1EEEvSL_
; %bb.0:
	.section	.rodata,"a",@progbits
	.p2align	6, 0x0
	.amdhsa_kernel _ZN7rocprim17ROCPRIM_400000_NS6detail17trampoline_kernelINS0_14default_configENS1_38merge_sort_block_merge_config_selectorIiNS0_10empty_typeEEEZZNS1_27merge_sort_block_merge_implIS3_N6thrust23THRUST_200600_302600_NS6detail15normal_iteratorINS9_10device_ptrIiEEEEPS5_jNS1_19radix_merge_compareILb0ELb0EiNS0_19identity_decomposerEEEEE10hipError_tT0_T1_T2_jT3_P12ihipStream_tbPNSt15iterator_traitsISK_E10value_typeEPNSQ_ISL_E10value_typeEPSM_NS1_7vsmem_tEENKUlT_SK_SL_SM_E_clIPiSE_SF_SF_EESJ_SZ_SK_SL_SM_EUlSZ_E1_NS1_11comp_targetILNS1_3genE5ELNS1_11target_archE942ELNS1_3gpuE9ELNS1_3repE0EEENS1_36merge_oddeven_config_static_selectorELNS0_4arch9wavefront6targetE1EEEvSL_
		.amdhsa_group_segment_fixed_size 0
		.amdhsa_private_segment_fixed_size 0
		.amdhsa_kernarg_size 48
		.amdhsa_user_sgpr_count 6
		.amdhsa_user_sgpr_private_segment_buffer 1
		.amdhsa_user_sgpr_dispatch_ptr 0
		.amdhsa_user_sgpr_queue_ptr 0
		.amdhsa_user_sgpr_kernarg_segment_ptr 1
		.amdhsa_user_sgpr_dispatch_id 0
		.amdhsa_user_sgpr_flat_scratch_init 0
		.amdhsa_user_sgpr_kernarg_preload_length 0
		.amdhsa_user_sgpr_kernarg_preload_offset 0
		.amdhsa_user_sgpr_private_segment_size 0
		.amdhsa_uses_dynamic_stack 0
		.amdhsa_system_sgpr_private_segment_wavefront_offset 0
		.amdhsa_system_sgpr_workgroup_id_x 1
		.amdhsa_system_sgpr_workgroup_id_y 0
		.amdhsa_system_sgpr_workgroup_id_z 0
		.amdhsa_system_sgpr_workgroup_info 0
		.amdhsa_system_vgpr_workitem_id 0
		.amdhsa_next_free_vgpr 1
		.amdhsa_next_free_sgpr 0
		.amdhsa_accum_offset 4
		.amdhsa_reserve_vcc 0
		.amdhsa_reserve_flat_scratch 0
		.amdhsa_float_round_mode_32 0
		.amdhsa_float_round_mode_16_64 0
		.amdhsa_float_denorm_mode_32 3
		.amdhsa_float_denorm_mode_16_64 3
		.amdhsa_dx10_clamp 1
		.amdhsa_ieee_mode 1
		.amdhsa_fp16_overflow 0
		.amdhsa_tg_split 0
		.amdhsa_exception_fp_ieee_invalid_op 0
		.amdhsa_exception_fp_denorm_src 0
		.amdhsa_exception_fp_ieee_div_zero 0
		.amdhsa_exception_fp_ieee_overflow 0
		.amdhsa_exception_fp_ieee_underflow 0
		.amdhsa_exception_fp_ieee_inexact 0
		.amdhsa_exception_int_div_zero 0
	.end_amdhsa_kernel
	.section	.text._ZN7rocprim17ROCPRIM_400000_NS6detail17trampoline_kernelINS0_14default_configENS1_38merge_sort_block_merge_config_selectorIiNS0_10empty_typeEEEZZNS1_27merge_sort_block_merge_implIS3_N6thrust23THRUST_200600_302600_NS6detail15normal_iteratorINS9_10device_ptrIiEEEEPS5_jNS1_19radix_merge_compareILb0ELb0EiNS0_19identity_decomposerEEEEE10hipError_tT0_T1_T2_jT3_P12ihipStream_tbPNSt15iterator_traitsISK_E10value_typeEPNSQ_ISL_E10value_typeEPSM_NS1_7vsmem_tEENKUlT_SK_SL_SM_E_clIPiSE_SF_SF_EESJ_SZ_SK_SL_SM_EUlSZ_E1_NS1_11comp_targetILNS1_3genE5ELNS1_11target_archE942ELNS1_3gpuE9ELNS1_3repE0EEENS1_36merge_oddeven_config_static_selectorELNS0_4arch9wavefront6targetE1EEEvSL_,"axG",@progbits,_ZN7rocprim17ROCPRIM_400000_NS6detail17trampoline_kernelINS0_14default_configENS1_38merge_sort_block_merge_config_selectorIiNS0_10empty_typeEEEZZNS1_27merge_sort_block_merge_implIS3_N6thrust23THRUST_200600_302600_NS6detail15normal_iteratorINS9_10device_ptrIiEEEEPS5_jNS1_19radix_merge_compareILb0ELb0EiNS0_19identity_decomposerEEEEE10hipError_tT0_T1_T2_jT3_P12ihipStream_tbPNSt15iterator_traitsISK_E10value_typeEPNSQ_ISL_E10value_typeEPSM_NS1_7vsmem_tEENKUlT_SK_SL_SM_E_clIPiSE_SF_SF_EESJ_SZ_SK_SL_SM_EUlSZ_E1_NS1_11comp_targetILNS1_3genE5ELNS1_11target_archE942ELNS1_3gpuE9ELNS1_3repE0EEENS1_36merge_oddeven_config_static_selectorELNS0_4arch9wavefront6targetE1EEEvSL_,comdat
.Lfunc_end1632:
	.size	_ZN7rocprim17ROCPRIM_400000_NS6detail17trampoline_kernelINS0_14default_configENS1_38merge_sort_block_merge_config_selectorIiNS0_10empty_typeEEEZZNS1_27merge_sort_block_merge_implIS3_N6thrust23THRUST_200600_302600_NS6detail15normal_iteratorINS9_10device_ptrIiEEEEPS5_jNS1_19radix_merge_compareILb0ELb0EiNS0_19identity_decomposerEEEEE10hipError_tT0_T1_T2_jT3_P12ihipStream_tbPNSt15iterator_traitsISK_E10value_typeEPNSQ_ISL_E10value_typeEPSM_NS1_7vsmem_tEENKUlT_SK_SL_SM_E_clIPiSE_SF_SF_EESJ_SZ_SK_SL_SM_EUlSZ_E1_NS1_11comp_targetILNS1_3genE5ELNS1_11target_archE942ELNS1_3gpuE9ELNS1_3repE0EEENS1_36merge_oddeven_config_static_selectorELNS0_4arch9wavefront6targetE1EEEvSL_, .Lfunc_end1632-_ZN7rocprim17ROCPRIM_400000_NS6detail17trampoline_kernelINS0_14default_configENS1_38merge_sort_block_merge_config_selectorIiNS0_10empty_typeEEEZZNS1_27merge_sort_block_merge_implIS3_N6thrust23THRUST_200600_302600_NS6detail15normal_iteratorINS9_10device_ptrIiEEEEPS5_jNS1_19radix_merge_compareILb0ELb0EiNS0_19identity_decomposerEEEEE10hipError_tT0_T1_T2_jT3_P12ihipStream_tbPNSt15iterator_traitsISK_E10value_typeEPNSQ_ISL_E10value_typeEPSM_NS1_7vsmem_tEENKUlT_SK_SL_SM_E_clIPiSE_SF_SF_EESJ_SZ_SK_SL_SM_EUlSZ_E1_NS1_11comp_targetILNS1_3genE5ELNS1_11target_archE942ELNS1_3gpuE9ELNS1_3repE0EEENS1_36merge_oddeven_config_static_selectorELNS0_4arch9wavefront6targetE1EEEvSL_
                                        ; -- End function
	.section	.AMDGPU.csdata,"",@progbits
; Kernel info:
; codeLenInByte = 0
; NumSgprs: 4
; NumVgprs: 0
; NumAgprs: 0
; TotalNumVgprs: 0
; ScratchSize: 0
; MemoryBound: 0
; FloatMode: 240
; IeeeMode: 1
; LDSByteSize: 0 bytes/workgroup (compile time only)
; SGPRBlocks: 0
; VGPRBlocks: 0
; NumSGPRsForWavesPerEU: 4
; NumVGPRsForWavesPerEU: 1
; AccumOffset: 4
; Occupancy: 8
; WaveLimiterHint : 0
; COMPUTE_PGM_RSRC2:SCRATCH_EN: 0
; COMPUTE_PGM_RSRC2:USER_SGPR: 6
; COMPUTE_PGM_RSRC2:TRAP_HANDLER: 0
; COMPUTE_PGM_RSRC2:TGID_X_EN: 1
; COMPUTE_PGM_RSRC2:TGID_Y_EN: 0
; COMPUTE_PGM_RSRC2:TGID_Z_EN: 0
; COMPUTE_PGM_RSRC2:TIDIG_COMP_CNT: 0
; COMPUTE_PGM_RSRC3_GFX90A:ACCUM_OFFSET: 0
; COMPUTE_PGM_RSRC3_GFX90A:TG_SPLIT: 0
	.section	.text._ZN7rocprim17ROCPRIM_400000_NS6detail17trampoline_kernelINS0_14default_configENS1_38merge_sort_block_merge_config_selectorIiNS0_10empty_typeEEEZZNS1_27merge_sort_block_merge_implIS3_N6thrust23THRUST_200600_302600_NS6detail15normal_iteratorINS9_10device_ptrIiEEEEPS5_jNS1_19radix_merge_compareILb0ELb0EiNS0_19identity_decomposerEEEEE10hipError_tT0_T1_T2_jT3_P12ihipStream_tbPNSt15iterator_traitsISK_E10value_typeEPNSQ_ISL_E10value_typeEPSM_NS1_7vsmem_tEENKUlT_SK_SL_SM_E_clIPiSE_SF_SF_EESJ_SZ_SK_SL_SM_EUlSZ_E1_NS1_11comp_targetILNS1_3genE4ELNS1_11target_archE910ELNS1_3gpuE8ELNS1_3repE0EEENS1_36merge_oddeven_config_static_selectorELNS0_4arch9wavefront6targetE1EEEvSL_,"axG",@progbits,_ZN7rocprim17ROCPRIM_400000_NS6detail17trampoline_kernelINS0_14default_configENS1_38merge_sort_block_merge_config_selectorIiNS0_10empty_typeEEEZZNS1_27merge_sort_block_merge_implIS3_N6thrust23THRUST_200600_302600_NS6detail15normal_iteratorINS9_10device_ptrIiEEEEPS5_jNS1_19radix_merge_compareILb0ELb0EiNS0_19identity_decomposerEEEEE10hipError_tT0_T1_T2_jT3_P12ihipStream_tbPNSt15iterator_traitsISK_E10value_typeEPNSQ_ISL_E10value_typeEPSM_NS1_7vsmem_tEENKUlT_SK_SL_SM_E_clIPiSE_SF_SF_EESJ_SZ_SK_SL_SM_EUlSZ_E1_NS1_11comp_targetILNS1_3genE4ELNS1_11target_archE910ELNS1_3gpuE8ELNS1_3repE0EEENS1_36merge_oddeven_config_static_selectorELNS0_4arch9wavefront6targetE1EEEvSL_,comdat
	.protected	_ZN7rocprim17ROCPRIM_400000_NS6detail17trampoline_kernelINS0_14default_configENS1_38merge_sort_block_merge_config_selectorIiNS0_10empty_typeEEEZZNS1_27merge_sort_block_merge_implIS3_N6thrust23THRUST_200600_302600_NS6detail15normal_iteratorINS9_10device_ptrIiEEEEPS5_jNS1_19radix_merge_compareILb0ELb0EiNS0_19identity_decomposerEEEEE10hipError_tT0_T1_T2_jT3_P12ihipStream_tbPNSt15iterator_traitsISK_E10value_typeEPNSQ_ISL_E10value_typeEPSM_NS1_7vsmem_tEENKUlT_SK_SL_SM_E_clIPiSE_SF_SF_EESJ_SZ_SK_SL_SM_EUlSZ_E1_NS1_11comp_targetILNS1_3genE4ELNS1_11target_archE910ELNS1_3gpuE8ELNS1_3repE0EEENS1_36merge_oddeven_config_static_selectorELNS0_4arch9wavefront6targetE1EEEvSL_ ; -- Begin function _ZN7rocprim17ROCPRIM_400000_NS6detail17trampoline_kernelINS0_14default_configENS1_38merge_sort_block_merge_config_selectorIiNS0_10empty_typeEEEZZNS1_27merge_sort_block_merge_implIS3_N6thrust23THRUST_200600_302600_NS6detail15normal_iteratorINS9_10device_ptrIiEEEEPS5_jNS1_19radix_merge_compareILb0ELb0EiNS0_19identity_decomposerEEEEE10hipError_tT0_T1_T2_jT3_P12ihipStream_tbPNSt15iterator_traitsISK_E10value_typeEPNSQ_ISL_E10value_typeEPSM_NS1_7vsmem_tEENKUlT_SK_SL_SM_E_clIPiSE_SF_SF_EESJ_SZ_SK_SL_SM_EUlSZ_E1_NS1_11comp_targetILNS1_3genE4ELNS1_11target_archE910ELNS1_3gpuE8ELNS1_3repE0EEENS1_36merge_oddeven_config_static_selectorELNS0_4arch9wavefront6targetE1EEEvSL_
	.globl	_ZN7rocprim17ROCPRIM_400000_NS6detail17trampoline_kernelINS0_14default_configENS1_38merge_sort_block_merge_config_selectorIiNS0_10empty_typeEEEZZNS1_27merge_sort_block_merge_implIS3_N6thrust23THRUST_200600_302600_NS6detail15normal_iteratorINS9_10device_ptrIiEEEEPS5_jNS1_19radix_merge_compareILb0ELb0EiNS0_19identity_decomposerEEEEE10hipError_tT0_T1_T2_jT3_P12ihipStream_tbPNSt15iterator_traitsISK_E10value_typeEPNSQ_ISL_E10value_typeEPSM_NS1_7vsmem_tEENKUlT_SK_SL_SM_E_clIPiSE_SF_SF_EESJ_SZ_SK_SL_SM_EUlSZ_E1_NS1_11comp_targetILNS1_3genE4ELNS1_11target_archE910ELNS1_3gpuE8ELNS1_3repE0EEENS1_36merge_oddeven_config_static_selectorELNS0_4arch9wavefront6targetE1EEEvSL_
	.p2align	8
	.type	_ZN7rocprim17ROCPRIM_400000_NS6detail17trampoline_kernelINS0_14default_configENS1_38merge_sort_block_merge_config_selectorIiNS0_10empty_typeEEEZZNS1_27merge_sort_block_merge_implIS3_N6thrust23THRUST_200600_302600_NS6detail15normal_iteratorINS9_10device_ptrIiEEEEPS5_jNS1_19radix_merge_compareILb0ELb0EiNS0_19identity_decomposerEEEEE10hipError_tT0_T1_T2_jT3_P12ihipStream_tbPNSt15iterator_traitsISK_E10value_typeEPNSQ_ISL_E10value_typeEPSM_NS1_7vsmem_tEENKUlT_SK_SL_SM_E_clIPiSE_SF_SF_EESJ_SZ_SK_SL_SM_EUlSZ_E1_NS1_11comp_targetILNS1_3genE4ELNS1_11target_archE910ELNS1_3gpuE8ELNS1_3repE0EEENS1_36merge_oddeven_config_static_selectorELNS0_4arch9wavefront6targetE1EEEvSL_,@function
_ZN7rocprim17ROCPRIM_400000_NS6detail17trampoline_kernelINS0_14default_configENS1_38merge_sort_block_merge_config_selectorIiNS0_10empty_typeEEEZZNS1_27merge_sort_block_merge_implIS3_N6thrust23THRUST_200600_302600_NS6detail15normal_iteratorINS9_10device_ptrIiEEEEPS5_jNS1_19radix_merge_compareILb0ELb0EiNS0_19identity_decomposerEEEEE10hipError_tT0_T1_T2_jT3_P12ihipStream_tbPNSt15iterator_traitsISK_E10value_typeEPNSQ_ISL_E10value_typeEPSM_NS1_7vsmem_tEENKUlT_SK_SL_SM_E_clIPiSE_SF_SF_EESJ_SZ_SK_SL_SM_EUlSZ_E1_NS1_11comp_targetILNS1_3genE4ELNS1_11target_archE910ELNS1_3gpuE8ELNS1_3repE0EEENS1_36merge_oddeven_config_static_selectorELNS0_4arch9wavefront6targetE1EEEvSL_: ; @_ZN7rocprim17ROCPRIM_400000_NS6detail17trampoline_kernelINS0_14default_configENS1_38merge_sort_block_merge_config_selectorIiNS0_10empty_typeEEEZZNS1_27merge_sort_block_merge_implIS3_N6thrust23THRUST_200600_302600_NS6detail15normal_iteratorINS9_10device_ptrIiEEEEPS5_jNS1_19radix_merge_compareILb0ELb0EiNS0_19identity_decomposerEEEEE10hipError_tT0_T1_T2_jT3_P12ihipStream_tbPNSt15iterator_traitsISK_E10value_typeEPNSQ_ISL_E10value_typeEPSM_NS1_7vsmem_tEENKUlT_SK_SL_SM_E_clIPiSE_SF_SF_EESJ_SZ_SK_SL_SM_EUlSZ_E1_NS1_11comp_targetILNS1_3genE4ELNS1_11target_archE910ELNS1_3gpuE8ELNS1_3repE0EEENS1_36merge_oddeven_config_static_selectorELNS0_4arch9wavefront6targetE1EEEvSL_
; %bb.0:
	s_load_dword s18, s[4:5], 0x20
	s_waitcnt lgkmcnt(0)
	s_lshr_b32 s0, s18, 8
	s_cmp_lg_u32 s6, s0
	s_cselect_b64 s[14:15], -1, 0
	s_cmp_eq_u32 s6, s0
	s_cselect_b64 s[12:13], -1, 0
	s_lshl_b32 s16, s6, 8
	s_sub_i32 s0, s18, s16
	v_cmp_gt_u32_e64 s[2:3], s0, v0
	s_or_b64 s[0:1], s[14:15], s[2:3]
	s_and_saveexec_b64 s[8:9], s[0:1]
	s_cbranch_execz .LBB1633_20
; %bb.1:
	s_load_dwordx4 s[8:11], s[4:5], 0x0
	s_load_dword s19, s[4:5], 0x24
	s_mov_b32 s17, 0
	s_lshl_b64 s[0:1], s[16:17], 2
	v_lshlrev_b32_e32 v1, 2, v0
	s_waitcnt lgkmcnt(0)
	s_add_u32 s0, s8, s0
	s_addc_u32 s1, s9, s1
	global_load_dword v2, v1, s[0:1]
	s_lshr_b32 s0, s19, 8
	s_sub_i32 s1, 0, s0
	s_and_b32 s1, s6, s1
	s_and_b32 s0, s1, s0
	s_lshl_b32 s20, s1, 8
	s_sub_i32 s6, 0, s19
	s_cmp_eq_u32 s0, 0
	s_cselect_b64 s[0:1], -1, 0
	s_and_b64 s[4:5], s[0:1], exec
	s_cselect_b32 s17, s19, s6
	s_add_i32 s17, s17, s20
	s_cmp_lt_u32 s17, s18
	v_add_u32_e32 v0, s16, v0
	s_cbranch_scc1 .LBB1633_3
; %bb.2:
	v_cmp_gt_u32_e32 vcc, s18, v0
	s_or_b64 s[4:5], vcc, s[14:15]
	s_and_b64 s[4:5], s[4:5], exec
	s_cbranch_execz .LBB1633_4
	s_branch .LBB1633_18
.LBB1633_3:
	s_mov_b64 s[4:5], 0
.LBB1633_4:
	s_min_u32 s14, s17, s18
	s_add_i32 s6, s14, s19
	s_min_u32 s15, s6, s18
	s_min_u32 s6, s20, s14
	s_add_i32 s20, s20, s14
	v_subrev_u32_e32 v0, s20, v0
	v_add_u32_e32 v3, s6, v0
	s_and_b64 vcc, exec, s[12:13]
	s_cbranch_vccz .LBB1633_12
; %bb.5:
                                        ; implicit-def: $vgpr0
	s_and_saveexec_b64 s[6:7], s[2:3]
	s_cbranch_execz .LBB1633_11
; %bb.6:
	s_cmp_ge_u32 s17, s15
	v_mov_b32_e32 v4, s14
	s_cbranch_scc1 .LBB1633_10
; %bb.7:
	s_mov_b64 s[2:3], 0
	v_mov_b32_e32 v5, s15
	v_mov_b32_e32 v4, s14
	;; [unrolled: 1-line block ×4, first 2 shown]
.LBB1633_8:                             ; =>This Inner Loop Header: Depth=1
	v_add_u32_e32 v0, v4, v5
	v_lshrrev_b32_e32 v0, 1, v0
	v_lshlrev_b64 v[8:9], 2, v[0:1]
	v_add_co_u32_e32 v8, vcc, s8, v8
	v_addc_co_u32_e32 v9, vcc, v6, v9, vcc
	global_load_dword v7, v[8:9], off
	v_add_u32_e32 v8, 1, v0
	s_waitcnt vmcnt(0)
	v_cmp_gt_i32_e32 vcc, v2, v7
	v_cndmask_b32_e64 v9, 0, 1, vcc
	v_cmp_le_i32_e32 vcc, v7, v2
	v_cndmask_b32_e64 v7, 0, 1, vcc
	v_cndmask_b32_e64 v7, v7, v9, s[0:1]
	v_and_b32_e32 v7, 1, v7
	v_cmp_eq_u32_e32 vcc, 1, v7
	v_cndmask_b32_e32 v5, v0, v5, vcc
	v_cndmask_b32_e32 v4, v4, v8, vcc
	v_cmp_ge_u32_e32 vcc, v4, v5
	s_or_b64 s[2:3], vcc, s[2:3]
	s_andn2_b64 exec, exec, s[2:3]
	s_cbranch_execnz .LBB1633_8
; %bb.9:
	s_or_b64 exec, exec, s[2:3]
.LBB1633_10:
	v_add_u32_e32 v0, v4, v3
	s_or_b64 s[4:5], s[4:5], exec
.LBB1633_11:
	s_or_b64 exec, exec, s[6:7]
	s_branch .LBB1633_18
.LBB1633_12:
                                        ; implicit-def: $vgpr0
	s_cbranch_execz .LBB1633_18
; %bb.13:
	s_cmp_ge_u32 s17, s15
	v_mov_b32_e32 v4, s14
	s_cbranch_scc1 .LBB1633_17
; %bb.14:
	s_mov_b64 s[2:3], 0
	v_mov_b32_e32 v5, s15
	v_mov_b32_e32 v4, s14
	;; [unrolled: 1-line block ×4, first 2 shown]
.LBB1633_15:                            ; =>This Inner Loop Header: Depth=1
	v_add_u32_e32 v0, v4, v5
	v_lshrrev_b32_e32 v0, 1, v0
	v_lshlrev_b64 v[8:9], 2, v[0:1]
	v_add_co_u32_e32 v8, vcc, s8, v8
	v_addc_co_u32_e32 v9, vcc, v6, v9, vcc
	global_load_dword v7, v[8:9], off
	v_add_u32_e32 v8, 1, v0
	s_waitcnt vmcnt(0)
	v_cmp_gt_i32_e32 vcc, v2, v7
	v_cndmask_b32_e64 v9, 0, 1, vcc
	v_cmp_le_i32_e32 vcc, v7, v2
	v_cndmask_b32_e64 v7, 0, 1, vcc
	v_cndmask_b32_e64 v7, v7, v9, s[0:1]
	v_and_b32_e32 v7, 1, v7
	v_cmp_eq_u32_e32 vcc, 1, v7
	v_cndmask_b32_e32 v5, v0, v5, vcc
	v_cndmask_b32_e32 v4, v4, v8, vcc
	v_cmp_ge_u32_e32 vcc, v4, v5
	s_or_b64 s[2:3], vcc, s[2:3]
	s_andn2_b64 exec, exec, s[2:3]
	s_cbranch_execnz .LBB1633_15
; %bb.16:
	s_or_b64 exec, exec, s[2:3]
.LBB1633_17:
	v_add_u32_e32 v0, v4, v3
	s_mov_b64 s[4:5], -1
.LBB1633_18:
	s_and_b64 exec, exec, s[4:5]
	s_cbranch_execz .LBB1633_20
; %bb.19:
	v_mov_b32_e32 v1, 0
	v_lshlrev_b64 v[0:1], 2, v[0:1]
	v_mov_b32_e32 v3, s11
	v_add_co_u32_e32 v0, vcc, s10, v0
	v_addc_co_u32_e32 v1, vcc, v3, v1, vcc
	s_waitcnt vmcnt(0)
	global_store_dword v[0:1], v2, off
.LBB1633_20:
	s_endpgm
	.section	.rodata,"a",@progbits
	.p2align	6, 0x0
	.amdhsa_kernel _ZN7rocprim17ROCPRIM_400000_NS6detail17trampoline_kernelINS0_14default_configENS1_38merge_sort_block_merge_config_selectorIiNS0_10empty_typeEEEZZNS1_27merge_sort_block_merge_implIS3_N6thrust23THRUST_200600_302600_NS6detail15normal_iteratorINS9_10device_ptrIiEEEEPS5_jNS1_19radix_merge_compareILb0ELb0EiNS0_19identity_decomposerEEEEE10hipError_tT0_T1_T2_jT3_P12ihipStream_tbPNSt15iterator_traitsISK_E10value_typeEPNSQ_ISL_E10value_typeEPSM_NS1_7vsmem_tEENKUlT_SK_SL_SM_E_clIPiSE_SF_SF_EESJ_SZ_SK_SL_SM_EUlSZ_E1_NS1_11comp_targetILNS1_3genE4ELNS1_11target_archE910ELNS1_3gpuE8ELNS1_3repE0EEENS1_36merge_oddeven_config_static_selectorELNS0_4arch9wavefront6targetE1EEEvSL_
		.amdhsa_group_segment_fixed_size 0
		.amdhsa_private_segment_fixed_size 0
		.amdhsa_kernarg_size 48
		.amdhsa_user_sgpr_count 6
		.amdhsa_user_sgpr_private_segment_buffer 1
		.amdhsa_user_sgpr_dispatch_ptr 0
		.amdhsa_user_sgpr_queue_ptr 0
		.amdhsa_user_sgpr_kernarg_segment_ptr 1
		.amdhsa_user_sgpr_dispatch_id 0
		.amdhsa_user_sgpr_flat_scratch_init 0
		.amdhsa_user_sgpr_kernarg_preload_length 0
		.amdhsa_user_sgpr_kernarg_preload_offset 0
		.amdhsa_user_sgpr_private_segment_size 0
		.amdhsa_uses_dynamic_stack 0
		.amdhsa_system_sgpr_private_segment_wavefront_offset 0
		.amdhsa_system_sgpr_workgroup_id_x 1
		.amdhsa_system_sgpr_workgroup_id_y 0
		.amdhsa_system_sgpr_workgroup_id_z 0
		.amdhsa_system_sgpr_workgroup_info 0
		.amdhsa_system_vgpr_workitem_id 0
		.amdhsa_next_free_vgpr 10
		.amdhsa_next_free_sgpr 21
		.amdhsa_accum_offset 12
		.amdhsa_reserve_vcc 1
		.amdhsa_reserve_flat_scratch 0
		.amdhsa_float_round_mode_32 0
		.amdhsa_float_round_mode_16_64 0
		.amdhsa_float_denorm_mode_32 3
		.amdhsa_float_denorm_mode_16_64 3
		.amdhsa_dx10_clamp 1
		.amdhsa_ieee_mode 1
		.amdhsa_fp16_overflow 0
		.amdhsa_tg_split 0
		.amdhsa_exception_fp_ieee_invalid_op 0
		.amdhsa_exception_fp_denorm_src 0
		.amdhsa_exception_fp_ieee_div_zero 0
		.amdhsa_exception_fp_ieee_overflow 0
		.amdhsa_exception_fp_ieee_underflow 0
		.amdhsa_exception_fp_ieee_inexact 0
		.amdhsa_exception_int_div_zero 0
	.end_amdhsa_kernel
	.section	.text._ZN7rocprim17ROCPRIM_400000_NS6detail17trampoline_kernelINS0_14default_configENS1_38merge_sort_block_merge_config_selectorIiNS0_10empty_typeEEEZZNS1_27merge_sort_block_merge_implIS3_N6thrust23THRUST_200600_302600_NS6detail15normal_iteratorINS9_10device_ptrIiEEEEPS5_jNS1_19radix_merge_compareILb0ELb0EiNS0_19identity_decomposerEEEEE10hipError_tT0_T1_T2_jT3_P12ihipStream_tbPNSt15iterator_traitsISK_E10value_typeEPNSQ_ISL_E10value_typeEPSM_NS1_7vsmem_tEENKUlT_SK_SL_SM_E_clIPiSE_SF_SF_EESJ_SZ_SK_SL_SM_EUlSZ_E1_NS1_11comp_targetILNS1_3genE4ELNS1_11target_archE910ELNS1_3gpuE8ELNS1_3repE0EEENS1_36merge_oddeven_config_static_selectorELNS0_4arch9wavefront6targetE1EEEvSL_,"axG",@progbits,_ZN7rocprim17ROCPRIM_400000_NS6detail17trampoline_kernelINS0_14default_configENS1_38merge_sort_block_merge_config_selectorIiNS0_10empty_typeEEEZZNS1_27merge_sort_block_merge_implIS3_N6thrust23THRUST_200600_302600_NS6detail15normal_iteratorINS9_10device_ptrIiEEEEPS5_jNS1_19radix_merge_compareILb0ELb0EiNS0_19identity_decomposerEEEEE10hipError_tT0_T1_T2_jT3_P12ihipStream_tbPNSt15iterator_traitsISK_E10value_typeEPNSQ_ISL_E10value_typeEPSM_NS1_7vsmem_tEENKUlT_SK_SL_SM_E_clIPiSE_SF_SF_EESJ_SZ_SK_SL_SM_EUlSZ_E1_NS1_11comp_targetILNS1_3genE4ELNS1_11target_archE910ELNS1_3gpuE8ELNS1_3repE0EEENS1_36merge_oddeven_config_static_selectorELNS0_4arch9wavefront6targetE1EEEvSL_,comdat
.Lfunc_end1633:
	.size	_ZN7rocprim17ROCPRIM_400000_NS6detail17trampoline_kernelINS0_14default_configENS1_38merge_sort_block_merge_config_selectorIiNS0_10empty_typeEEEZZNS1_27merge_sort_block_merge_implIS3_N6thrust23THRUST_200600_302600_NS6detail15normal_iteratorINS9_10device_ptrIiEEEEPS5_jNS1_19radix_merge_compareILb0ELb0EiNS0_19identity_decomposerEEEEE10hipError_tT0_T1_T2_jT3_P12ihipStream_tbPNSt15iterator_traitsISK_E10value_typeEPNSQ_ISL_E10value_typeEPSM_NS1_7vsmem_tEENKUlT_SK_SL_SM_E_clIPiSE_SF_SF_EESJ_SZ_SK_SL_SM_EUlSZ_E1_NS1_11comp_targetILNS1_3genE4ELNS1_11target_archE910ELNS1_3gpuE8ELNS1_3repE0EEENS1_36merge_oddeven_config_static_selectorELNS0_4arch9wavefront6targetE1EEEvSL_, .Lfunc_end1633-_ZN7rocprim17ROCPRIM_400000_NS6detail17trampoline_kernelINS0_14default_configENS1_38merge_sort_block_merge_config_selectorIiNS0_10empty_typeEEEZZNS1_27merge_sort_block_merge_implIS3_N6thrust23THRUST_200600_302600_NS6detail15normal_iteratorINS9_10device_ptrIiEEEEPS5_jNS1_19radix_merge_compareILb0ELb0EiNS0_19identity_decomposerEEEEE10hipError_tT0_T1_T2_jT3_P12ihipStream_tbPNSt15iterator_traitsISK_E10value_typeEPNSQ_ISL_E10value_typeEPSM_NS1_7vsmem_tEENKUlT_SK_SL_SM_E_clIPiSE_SF_SF_EESJ_SZ_SK_SL_SM_EUlSZ_E1_NS1_11comp_targetILNS1_3genE4ELNS1_11target_archE910ELNS1_3gpuE8ELNS1_3repE0EEENS1_36merge_oddeven_config_static_selectorELNS0_4arch9wavefront6targetE1EEEvSL_
                                        ; -- End function
	.section	.AMDGPU.csdata,"",@progbits
; Kernel info:
; codeLenInByte = 588
; NumSgprs: 25
; NumVgprs: 10
; NumAgprs: 0
; TotalNumVgprs: 10
; ScratchSize: 0
; MemoryBound: 0
; FloatMode: 240
; IeeeMode: 1
; LDSByteSize: 0 bytes/workgroup (compile time only)
; SGPRBlocks: 3
; VGPRBlocks: 1
; NumSGPRsForWavesPerEU: 25
; NumVGPRsForWavesPerEU: 10
; AccumOffset: 12
; Occupancy: 8
; WaveLimiterHint : 0
; COMPUTE_PGM_RSRC2:SCRATCH_EN: 0
; COMPUTE_PGM_RSRC2:USER_SGPR: 6
; COMPUTE_PGM_RSRC2:TRAP_HANDLER: 0
; COMPUTE_PGM_RSRC2:TGID_X_EN: 1
; COMPUTE_PGM_RSRC2:TGID_Y_EN: 0
; COMPUTE_PGM_RSRC2:TGID_Z_EN: 0
; COMPUTE_PGM_RSRC2:TIDIG_COMP_CNT: 0
; COMPUTE_PGM_RSRC3_GFX90A:ACCUM_OFFSET: 2
; COMPUTE_PGM_RSRC3_GFX90A:TG_SPLIT: 0
	.section	.text._ZN7rocprim17ROCPRIM_400000_NS6detail17trampoline_kernelINS0_14default_configENS1_38merge_sort_block_merge_config_selectorIiNS0_10empty_typeEEEZZNS1_27merge_sort_block_merge_implIS3_N6thrust23THRUST_200600_302600_NS6detail15normal_iteratorINS9_10device_ptrIiEEEEPS5_jNS1_19radix_merge_compareILb0ELb0EiNS0_19identity_decomposerEEEEE10hipError_tT0_T1_T2_jT3_P12ihipStream_tbPNSt15iterator_traitsISK_E10value_typeEPNSQ_ISL_E10value_typeEPSM_NS1_7vsmem_tEENKUlT_SK_SL_SM_E_clIPiSE_SF_SF_EESJ_SZ_SK_SL_SM_EUlSZ_E1_NS1_11comp_targetILNS1_3genE3ELNS1_11target_archE908ELNS1_3gpuE7ELNS1_3repE0EEENS1_36merge_oddeven_config_static_selectorELNS0_4arch9wavefront6targetE1EEEvSL_,"axG",@progbits,_ZN7rocprim17ROCPRIM_400000_NS6detail17trampoline_kernelINS0_14default_configENS1_38merge_sort_block_merge_config_selectorIiNS0_10empty_typeEEEZZNS1_27merge_sort_block_merge_implIS3_N6thrust23THRUST_200600_302600_NS6detail15normal_iteratorINS9_10device_ptrIiEEEEPS5_jNS1_19radix_merge_compareILb0ELb0EiNS0_19identity_decomposerEEEEE10hipError_tT0_T1_T2_jT3_P12ihipStream_tbPNSt15iterator_traitsISK_E10value_typeEPNSQ_ISL_E10value_typeEPSM_NS1_7vsmem_tEENKUlT_SK_SL_SM_E_clIPiSE_SF_SF_EESJ_SZ_SK_SL_SM_EUlSZ_E1_NS1_11comp_targetILNS1_3genE3ELNS1_11target_archE908ELNS1_3gpuE7ELNS1_3repE0EEENS1_36merge_oddeven_config_static_selectorELNS0_4arch9wavefront6targetE1EEEvSL_,comdat
	.protected	_ZN7rocprim17ROCPRIM_400000_NS6detail17trampoline_kernelINS0_14default_configENS1_38merge_sort_block_merge_config_selectorIiNS0_10empty_typeEEEZZNS1_27merge_sort_block_merge_implIS3_N6thrust23THRUST_200600_302600_NS6detail15normal_iteratorINS9_10device_ptrIiEEEEPS5_jNS1_19radix_merge_compareILb0ELb0EiNS0_19identity_decomposerEEEEE10hipError_tT0_T1_T2_jT3_P12ihipStream_tbPNSt15iterator_traitsISK_E10value_typeEPNSQ_ISL_E10value_typeEPSM_NS1_7vsmem_tEENKUlT_SK_SL_SM_E_clIPiSE_SF_SF_EESJ_SZ_SK_SL_SM_EUlSZ_E1_NS1_11comp_targetILNS1_3genE3ELNS1_11target_archE908ELNS1_3gpuE7ELNS1_3repE0EEENS1_36merge_oddeven_config_static_selectorELNS0_4arch9wavefront6targetE1EEEvSL_ ; -- Begin function _ZN7rocprim17ROCPRIM_400000_NS6detail17trampoline_kernelINS0_14default_configENS1_38merge_sort_block_merge_config_selectorIiNS0_10empty_typeEEEZZNS1_27merge_sort_block_merge_implIS3_N6thrust23THRUST_200600_302600_NS6detail15normal_iteratorINS9_10device_ptrIiEEEEPS5_jNS1_19radix_merge_compareILb0ELb0EiNS0_19identity_decomposerEEEEE10hipError_tT0_T1_T2_jT3_P12ihipStream_tbPNSt15iterator_traitsISK_E10value_typeEPNSQ_ISL_E10value_typeEPSM_NS1_7vsmem_tEENKUlT_SK_SL_SM_E_clIPiSE_SF_SF_EESJ_SZ_SK_SL_SM_EUlSZ_E1_NS1_11comp_targetILNS1_3genE3ELNS1_11target_archE908ELNS1_3gpuE7ELNS1_3repE0EEENS1_36merge_oddeven_config_static_selectorELNS0_4arch9wavefront6targetE1EEEvSL_
	.globl	_ZN7rocprim17ROCPRIM_400000_NS6detail17trampoline_kernelINS0_14default_configENS1_38merge_sort_block_merge_config_selectorIiNS0_10empty_typeEEEZZNS1_27merge_sort_block_merge_implIS3_N6thrust23THRUST_200600_302600_NS6detail15normal_iteratorINS9_10device_ptrIiEEEEPS5_jNS1_19radix_merge_compareILb0ELb0EiNS0_19identity_decomposerEEEEE10hipError_tT0_T1_T2_jT3_P12ihipStream_tbPNSt15iterator_traitsISK_E10value_typeEPNSQ_ISL_E10value_typeEPSM_NS1_7vsmem_tEENKUlT_SK_SL_SM_E_clIPiSE_SF_SF_EESJ_SZ_SK_SL_SM_EUlSZ_E1_NS1_11comp_targetILNS1_3genE3ELNS1_11target_archE908ELNS1_3gpuE7ELNS1_3repE0EEENS1_36merge_oddeven_config_static_selectorELNS0_4arch9wavefront6targetE1EEEvSL_
	.p2align	8
	.type	_ZN7rocprim17ROCPRIM_400000_NS6detail17trampoline_kernelINS0_14default_configENS1_38merge_sort_block_merge_config_selectorIiNS0_10empty_typeEEEZZNS1_27merge_sort_block_merge_implIS3_N6thrust23THRUST_200600_302600_NS6detail15normal_iteratorINS9_10device_ptrIiEEEEPS5_jNS1_19radix_merge_compareILb0ELb0EiNS0_19identity_decomposerEEEEE10hipError_tT0_T1_T2_jT3_P12ihipStream_tbPNSt15iterator_traitsISK_E10value_typeEPNSQ_ISL_E10value_typeEPSM_NS1_7vsmem_tEENKUlT_SK_SL_SM_E_clIPiSE_SF_SF_EESJ_SZ_SK_SL_SM_EUlSZ_E1_NS1_11comp_targetILNS1_3genE3ELNS1_11target_archE908ELNS1_3gpuE7ELNS1_3repE0EEENS1_36merge_oddeven_config_static_selectorELNS0_4arch9wavefront6targetE1EEEvSL_,@function
_ZN7rocprim17ROCPRIM_400000_NS6detail17trampoline_kernelINS0_14default_configENS1_38merge_sort_block_merge_config_selectorIiNS0_10empty_typeEEEZZNS1_27merge_sort_block_merge_implIS3_N6thrust23THRUST_200600_302600_NS6detail15normal_iteratorINS9_10device_ptrIiEEEEPS5_jNS1_19radix_merge_compareILb0ELb0EiNS0_19identity_decomposerEEEEE10hipError_tT0_T1_T2_jT3_P12ihipStream_tbPNSt15iterator_traitsISK_E10value_typeEPNSQ_ISL_E10value_typeEPSM_NS1_7vsmem_tEENKUlT_SK_SL_SM_E_clIPiSE_SF_SF_EESJ_SZ_SK_SL_SM_EUlSZ_E1_NS1_11comp_targetILNS1_3genE3ELNS1_11target_archE908ELNS1_3gpuE7ELNS1_3repE0EEENS1_36merge_oddeven_config_static_selectorELNS0_4arch9wavefront6targetE1EEEvSL_: ; @_ZN7rocprim17ROCPRIM_400000_NS6detail17trampoline_kernelINS0_14default_configENS1_38merge_sort_block_merge_config_selectorIiNS0_10empty_typeEEEZZNS1_27merge_sort_block_merge_implIS3_N6thrust23THRUST_200600_302600_NS6detail15normal_iteratorINS9_10device_ptrIiEEEEPS5_jNS1_19radix_merge_compareILb0ELb0EiNS0_19identity_decomposerEEEEE10hipError_tT0_T1_T2_jT3_P12ihipStream_tbPNSt15iterator_traitsISK_E10value_typeEPNSQ_ISL_E10value_typeEPSM_NS1_7vsmem_tEENKUlT_SK_SL_SM_E_clIPiSE_SF_SF_EESJ_SZ_SK_SL_SM_EUlSZ_E1_NS1_11comp_targetILNS1_3genE3ELNS1_11target_archE908ELNS1_3gpuE7ELNS1_3repE0EEENS1_36merge_oddeven_config_static_selectorELNS0_4arch9wavefront6targetE1EEEvSL_
; %bb.0:
	.section	.rodata,"a",@progbits
	.p2align	6, 0x0
	.amdhsa_kernel _ZN7rocprim17ROCPRIM_400000_NS6detail17trampoline_kernelINS0_14default_configENS1_38merge_sort_block_merge_config_selectorIiNS0_10empty_typeEEEZZNS1_27merge_sort_block_merge_implIS3_N6thrust23THRUST_200600_302600_NS6detail15normal_iteratorINS9_10device_ptrIiEEEEPS5_jNS1_19radix_merge_compareILb0ELb0EiNS0_19identity_decomposerEEEEE10hipError_tT0_T1_T2_jT3_P12ihipStream_tbPNSt15iterator_traitsISK_E10value_typeEPNSQ_ISL_E10value_typeEPSM_NS1_7vsmem_tEENKUlT_SK_SL_SM_E_clIPiSE_SF_SF_EESJ_SZ_SK_SL_SM_EUlSZ_E1_NS1_11comp_targetILNS1_3genE3ELNS1_11target_archE908ELNS1_3gpuE7ELNS1_3repE0EEENS1_36merge_oddeven_config_static_selectorELNS0_4arch9wavefront6targetE1EEEvSL_
		.amdhsa_group_segment_fixed_size 0
		.amdhsa_private_segment_fixed_size 0
		.amdhsa_kernarg_size 48
		.amdhsa_user_sgpr_count 6
		.amdhsa_user_sgpr_private_segment_buffer 1
		.amdhsa_user_sgpr_dispatch_ptr 0
		.amdhsa_user_sgpr_queue_ptr 0
		.amdhsa_user_sgpr_kernarg_segment_ptr 1
		.amdhsa_user_sgpr_dispatch_id 0
		.amdhsa_user_sgpr_flat_scratch_init 0
		.amdhsa_user_sgpr_kernarg_preload_length 0
		.amdhsa_user_sgpr_kernarg_preload_offset 0
		.amdhsa_user_sgpr_private_segment_size 0
		.amdhsa_uses_dynamic_stack 0
		.amdhsa_system_sgpr_private_segment_wavefront_offset 0
		.amdhsa_system_sgpr_workgroup_id_x 1
		.amdhsa_system_sgpr_workgroup_id_y 0
		.amdhsa_system_sgpr_workgroup_id_z 0
		.amdhsa_system_sgpr_workgroup_info 0
		.amdhsa_system_vgpr_workitem_id 0
		.amdhsa_next_free_vgpr 1
		.amdhsa_next_free_sgpr 0
		.amdhsa_accum_offset 4
		.amdhsa_reserve_vcc 0
		.amdhsa_reserve_flat_scratch 0
		.amdhsa_float_round_mode_32 0
		.amdhsa_float_round_mode_16_64 0
		.amdhsa_float_denorm_mode_32 3
		.amdhsa_float_denorm_mode_16_64 3
		.amdhsa_dx10_clamp 1
		.amdhsa_ieee_mode 1
		.amdhsa_fp16_overflow 0
		.amdhsa_tg_split 0
		.amdhsa_exception_fp_ieee_invalid_op 0
		.amdhsa_exception_fp_denorm_src 0
		.amdhsa_exception_fp_ieee_div_zero 0
		.amdhsa_exception_fp_ieee_overflow 0
		.amdhsa_exception_fp_ieee_underflow 0
		.amdhsa_exception_fp_ieee_inexact 0
		.amdhsa_exception_int_div_zero 0
	.end_amdhsa_kernel
	.section	.text._ZN7rocprim17ROCPRIM_400000_NS6detail17trampoline_kernelINS0_14default_configENS1_38merge_sort_block_merge_config_selectorIiNS0_10empty_typeEEEZZNS1_27merge_sort_block_merge_implIS3_N6thrust23THRUST_200600_302600_NS6detail15normal_iteratorINS9_10device_ptrIiEEEEPS5_jNS1_19radix_merge_compareILb0ELb0EiNS0_19identity_decomposerEEEEE10hipError_tT0_T1_T2_jT3_P12ihipStream_tbPNSt15iterator_traitsISK_E10value_typeEPNSQ_ISL_E10value_typeEPSM_NS1_7vsmem_tEENKUlT_SK_SL_SM_E_clIPiSE_SF_SF_EESJ_SZ_SK_SL_SM_EUlSZ_E1_NS1_11comp_targetILNS1_3genE3ELNS1_11target_archE908ELNS1_3gpuE7ELNS1_3repE0EEENS1_36merge_oddeven_config_static_selectorELNS0_4arch9wavefront6targetE1EEEvSL_,"axG",@progbits,_ZN7rocprim17ROCPRIM_400000_NS6detail17trampoline_kernelINS0_14default_configENS1_38merge_sort_block_merge_config_selectorIiNS0_10empty_typeEEEZZNS1_27merge_sort_block_merge_implIS3_N6thrust23THRUST_200600_302600_NS6detail15normal_iteratorINS9_10device_ptrIiEEEEPS5_jNS1_19radix_merge_compareILb0ELb0EiNS0_19identity_decomposerEEEEE10hipError_tT0_T1_T2_jT3_P12ihipStream_tbPNSt15iterator_traitsISK_E10value_typeEPNSQ_ISL_E10value_typeEPSM_NS1_7vsmem_tEENKUlT_SK_SL_SM_E_clIPiSE_SF_SF_EESJ_SZ_SK_SL_SM_EUlSZ_E1_NS1_11comp_targetILNS1_3genE3ELNS1_11target_archE908ELNS1_3gpuE7ELNS1_3repE0EEENS1_36merge_oddeven_config_static_selectorELNS0_4arch9wavefront6targetE1EEEvSL_,comdat
.Lfunc_end1634:
	.size	_ZN7rocprim17ROCPRIM_400000_NS6detail17trampoline_kernelINS0_14default_configENS1_38merge_sort_block_merge_config_selectorIiNS0_10empty_typeEEEZZNS1_27merge_sort_block_merge_implIS3_N6thrust23THRUST_200600_302600_NS6detail15normal_iteratorINS9_10device_ptrIiEEEEPS5_jNS1_19radix_merge_compareILb0ELb0EiNS0_19identity_decomposerEEEEE10hipError_tT0_T1_T2_jT3_P12ihipStream_tbPNSt15iterator_traitsISK_E10value_typeEPNSQ_ISL_E10value_typeEPSM_NS1_7vsmem_tEENKUlT_SK_SL_SM_E_clIPiSE_SF_SF_EESJ_SZ_SK_SL_SM_EUlSZ_E1_NS1_11comp_targetILNS1_3genE3ELNS1_11target_archE908ELNS1_3gpuE7ELNS1_3repE0EEENS1_36merge_oddeven_config_static_selectorELNS0_4arch9wavefront6targetE1EEEvSL_, .Lfunc_end1634-_ZN7rocprim17ROCPRIM_400000_NS6detail17trampoline_kernelINS0_14default_configENS1_38merge_sort_block_merge_config_selectorIiNS0_10empty_typeEEEZZNS1_27merge_sort_block_merge_implIS3_N6thrust23THRUST_200600_302600_NS6detail15normal_iteratorINS9_10device_ptrIiEEEEPS5_jNS1_19radix_merge_compareILb0ELb0EiNS0_19identity_decomposerEEEEE10hipError_tT0_T1_T2_jT3_P12ihipStream_tbPNSt15iterator_traitsISK_E10value_typeEPNSQ_ISL_E10value_typeEPSM_NS1_7vsmem_tEENKUlT_SK_SL_SM_E_clIPiSE_SF_SF_EESJ_SZ_SK_SL_SM_EUlSZ_E1_NS1_11comp_targetILNS1_3genE3ELNS1_11target_archE908ELNS1_3gpuE7ELNS1_3repE0EEENS1_36merge_oddeven_config_static_selectorELNS0_4arch9wavefront6targetE1EEEvSL_
                                        ; -- End function
	.section	.AMDGPU.csdata,"",@progbits
; Kernel info:
; codeLenInByte = 0
; NumSgprs: 4
; NumVgprs: 0
; NumAgprs: 0
; TotalNumVgprs: 0
; ScratchSize: 0
; MemoryBound: 0
; FloatMode: 240
; IeeeMode: 1
; LDSByteSize: 0 bytes/workgroup (compile time only)
; SGPRBlocks: 0
; VGPRBlocks: 0
; NumSGPRsForWavesPerEU: 4
; NumVGPRsForWavesPerEU: 1
; AccumOffset: 4
; Occupancy: 8
; WaveLimiterHint : 0
; COMPUTE_PGM_RSRC2:SCRATCH_EN: 0
; COMPUTE_PGM_RSRC2:USER_SGPR: 6
; COMPUTE_PGM_RSRC2:TRAP_HANDLER: 0
; COMPUTE_PGM_RSRC2:TGID_X_EN: 1
; COMPUTE_PGM_RSRC2:TGID_Y_EN: 0
; COMPUTE_PGM_RSRC2:TGID_Z_EN: 0
; COMPUTE_PGM_RSRC2:TIDIG_COMP_CNT: 0
; COMPUTE_PGM_RSRC3_GFX90A:ACCUM_OFFSET: 0
; COMPUTE_PGM_RSRC3_GFX90A:TG_SPLIT: 0
	.section	.text._ZN7rocprim17ROCPRIM_400000_NS6detail17trampoline_kernelINS0_14default_configENS1_38merge_sort_block_merge_config_selectorIiNS0_10empty_typeEEEZZNS1_27merge_sort_block_merge_implIS3_N6thrust23THRUST_200600_302600_NS6detail15normal_iteratorINS9_10device_ptrIiEEEEPS5_jNS1_19radix_merge_compareILb0ELb0EiNS0_19identity_decomposerEEEEE10hipError_tT0_T1_T2_jT3_P12ihipStream_tbPNSt15iterator_traitsISK_E10value_typeEPNSQ_ISL_E10value_typeEPSM_NS1_7vsmem_tEENKUlT_SK_SL_SM_E_clIPiSE_SF_SF_EESJ_SZ_SK_SL_SM_EUlSZ_E1_NS1_11comp_targetILNS1_3genE2ELNS1_11target_archE906ELNS1_3gpuE6ELNS1_3repE0EEENS1_36merge_oddeven_config_static_selectorELNS0_4arch9wavefront6targetE1EEEvSL_,"axG",@progbits,_ZN7rocprim17ROCPRIM_400000_NS6detail17trampoline_kernelINS0_14default_configENS1_38merge_sort_block_merge_config_selectorIiNS0_10empty_typeEEEZZNS1_27merge_sort_block_merge_implIS3_N6thrust23THRUST_200600_302600_NS6detail15normal_iteratorINS9_10device_ptrIiEEEEPS5_jNS1_19radix_merge_compareILb0ELb0EiNS0_19identity_decomposerEEEEE10hipError_tT0_T1_T2_jT3_P12ihipStream_tbPNSt15iterator_traitsISK_E10value_typeEPNSQ_ISL_E10value_typeEPSM_NS1_7vsmem_tEENKUlT_SK_SL_SM_E_clIPiSE_SF_SF_EESJ_SZ_SK_SL_SM_EUlSZ_E1_NS1_11comp_targetILNS1_3genE2ELNS1_11target_archE906ELNS1_3gpuE6ELNS1_3repE0EEENS1_36merge_oddeven_config_static_selectorELNS0_4arch9wavefront6targetE1EEEvSL_,comdat
	.protected	_ZN7rocprim17ROCPRIM_400000_NS6detail17trampoline_kernelINS0_14default_configENS1_38merge_sort_block_merge_config_selectorIiNS0_10empty_typeEEEZZNS1_27merge_sort_block_merge_implIS3_N6thrust23THRUST_200600_302600_NS6detail15normal_iteratorINS9_10device_ptrIiEEEEPS5_jNS1_19radix_merge_compareILb0ELb0EiNS0_19identity_decomposerEEEEE10hipError_tT0_T1_T2_jT3_P12ihipStream_tbPNSt15iterator_traitsISK_E10value_typeEPNSQ_ISL_E10value_typeEPSM_NS1_7vsmem_tEENKUlT_SK_SL_SM_E_clIPiSE_SF_SF_EESJ_SZ_SK_SL_SM_EUlSZ_E1_NS1_11comp_targetILNS1_3genE2ELNS1_11target_archE906ELNS1_3gpuE6ELNS1_3repE0EEENS1_36merge_oddeven_config_static_selectorELNS0_4arch9wavefront6targetE1EEEvSL_ ; -- Begin function _ZN7rocprim17ROCPRIM_400000_NS6detail17trampoline_kernelINS0_14default_configENS1_38merge_sort_block_merge_config_selectorIiNS0_10empty_typeEEEZZNS1_27merge_sort_block_merge_implIS3_N6thrust23THRUST_200600_302600_NS6detail15normal_iteratorINS9_10device_ptrIiEEEEPS5_jNS1_19radix_merge_compareILb0ELb0EiNS0_19identity_decomposerEEEEE10hipError_tT0_T1_T2_jT3_P12ihipStream_tbPNSt15iterator_traitsISK_E10value_typeEPNSQ_ISL_E10value_typeEPSM_NS1_7vsmem_tEENKUlT_SK_SL_SM_E_clIPiSE_SF_SF_EESJ_SZ_SK_SL_SM_EUlSZ_E1_NS1_11comp_targetILNS1_3genE2ELNS1_11target_archE906ELNS1_3gpuE6ELNS1_3repE0EEENS1_36merge_oddeven_config_static_selectorELNS0_4arch9wavefront6targetE1EEEvSL_
	.globl	_ZN7rocprim17ROCPRIM_400000_NS6detail17trampoline_kernelINS0_14default_configENS1_38merge_sort_block_merge_config_selectorIiNS0_10empty_typeEEEZZNS1_27merge_sort_block_merge_implIS3_N6thrust23THRUST_200600_302600_NS6detail15normal_iteratorINS9_10device_ptrIiEEEEPS5_jNS1_19radix_merge_compareILb0ELb0EiNS0_19identity_decomposerEEEEE10hipError_tT0_T1_T2_jT3_P12ihipStream_tbPNSt15iterator_traitsISK_E10value_typeEPNSQ_ISL_E10value_typeEPSM_NS1_7vsmem_tEENKUlT_SK_SL_SM_E_clIPiSE_SF_SF_EESJ_SZ_SK_SL_SM_EUlSZ_E1_NS1_11comp_targetILNS1_3genE2ELNS1_11target_archE906ELNS1_3gpuE6ELNS1_3repE0EEENS1_36merge_oddeven_config_static_selectorELNS0_4arch9wavefront6targetE1EEEvSL_
	.p2align	8
	.type	_ZN7rocprim17ROCPRIM_400000_NS6detail17trampoline_kernelINS0_14default_configENS1_38merge_sort_block_merge_config_selectorIiNS0_10empty_typeEEEZZNS1_27merge_sort_block_merge_implIS3_N6thrust23THRUST_200600_302600_NS6detail15normal_iteratorINS9_10device_ptrIiEEEEPS5_jNS1_19radix_merge_compareILb0ELb0EiNS0_19identity_decomposerEEEEE10hipError_tT0_T1_T2_jT3_P12ihipStream_tbPNSt15iterator_traitsISK_E10value_typeEPNSQ_ISL_E10value_typeEPSM_NS1_7vsmem_tEENKUlT_SK_SL_SM_E_clIPiSE_SF_SF_EESJ_SZ_SK_SL_SM_EUlSZ_E1_NS1_11comp_targetILNS1_3genE2ELNS1_11target_archE906ELNS1_3gpuE6ELNS1_3repE0EEENS1_36merge_oddeven_config_static_selectorELNS0_4arch9wavefront6targetE1EEEvSL_,@function
_ZN7rocprim17ROCPRIM_400000_NS6detail17trampoline_kernelINS0_14default_configENS1_38merge_sort_block_merge_config_selectorIiNS0_10empty_typeEEEZZNS1_27merge_sort_block_merge_implIS3_N6thrust23THRUST_200600_302600_NS6detail15normal_iteratorINS9_10device_ptrIiEEEEPS5_jNS1_19radix_merge_compareILb0ELb0EiNS0_19identity_decomposerEEEEE10hipError_tT0_T1_T2_jT3_P12ihipStream_tbPNSt15iterator_traitsISK_E10value_typeEPNSQ_ISL_E10value_typeEPSM_NS1_7vsmem_tEENKUlT_SK_SL_SM_E_clIPiSE_SF_SF_EESJ_SZ_SK_SL_SM_EUlSZ_E1_NS1_11comp_targetILNS1_3genE2ELNS1_11target_archE906ELNS1_3gpuE6ELNS1_3repE0EEENS1_36merge_oddeven_config_static_selectorELNS0_4arch9wavefront6targetE1EEEvSL_: ; @_ZN7rocprim17ROCPRIM_400000_NS6detail17trampoline_kernelINS0_14default_configENS1_38merge_sort_block_merge_config_selectorIiNS0_10empty_typeEEEZZNS1_27merge_sort_block_merge_implIS3_N6thrust23THRUST_200600_302600_NS6detail15normal_iteratorINS9_10device_ptrIiEEEEPS5_jNS1_19radix_merge_compareILb0ELb0EiNS0_19identity_decomposerEEEEE10hipError_tT0_T1_T2_jT3_P12ihipStream_tbPNSt15iterator_traitsISK_E10value_typeEPNSQ_ISL_E10value_typeEPSM_NS1_7vsmem_tEENKUlT_SK_SL_SM_E_clIPiSE_SF_SF_EESJ_SZ_SK_SL_SM_EUlSZ_E1_NS1_11comp_targetILNS1_3genE2ELNS1_11target_archE906ELNS1_3gpuE6ELNS1_3repE0EEENS1_36merge_oddeven_config_static_selectorELNS0_4arch9wavefront6targetE1EEEvSL_
; %bb.0:
	.section	.rodata,"a",@progbits
	.p2align	6, 0x0
	.amdhsa_kernel _ZN7rocprim17ROCPRIM_400000_NS6detail17trampoline_kernelINS0_14default_configENS1_38merge_sort_block_merge_config_selectorIiNS0_10empty_typeEEEZZNS1_27merge_sort_block_merge_implIS3_N6thrust23THRUST_200600_302600_NS6detail15normal_iteratorINS9_10device_ptrIiEEEEPS5_jNS1_19radix_merge_compareILb0ELb0EiNS0_19identity_decomposerEEEEE10hipError_tT0_T1_T2_jT3_P12ihipStream_tbPNSt15iterator_traitsISK_E10value_typeEPNSQ_ISL_E10value_typeEPSM_NS1_7vsmem_tEENKUlT_SK_SL_SM_E_clIPiSE_SF_SF_EESJ_SZ_SK_SL_SM_EUlSZ_E1_NS1_11comp_targetILNS1_3genE2ELNS1_11target_archE906ELNS1_3gpuE6ELNS1_3repE0EEENS1_36merge_oddeven_config_static_selectorELNS0_4arch9wavefront6targetE1EEEvSL_
		.amdhsa_group_segment_fixed_size 0
		.amdhsa_private_segment_fixed_size 0
		.amdhsa_kernarg_size 48
		.amdhsa_user_sgpr_count 6
		.amdhsa_user_sgpr_private_segment_buffer 1
		.amdhsa_user_sgpr_dispatch_ptr 0
		.amdhsa_user_sgpr_queue_ptr 0
		.amdhsa_user_sgpr_kernarg_segment_ptr 1
		.amdhsa_user_sgpr_dispatch_id 0
		.amdhsa_user_sgpr_flat_scratch_init 0
		.amdhsa_user_sgpr_kernarg_preload_length 0
		.amdhsa_user_sgpr_kernarg_preload_offset 0
		.amdhsa_user_sgpr_private_segment_size 0
		.amdhsa_uses_dynamic_stack 0
		.amdhsa_system_sgpr_private_segment_wavefront_offset 0
		.amdhsa_system_sgpr_workgroup_id_x 1
		.amdhsa_system_sgpr_workgroup_id_y 0
		.amdhsa_system_sgpr_workgroup_id_z 0
		.amdhsa_system_sgpr_workgroup_info 0
		.amdhsa_system_vgpr_workitem_id 0
		.amdhsa_next_free_vgpr 1
		.amdhsa_next_free_sgpr 0
		.amdhsa_accum_offset 4
		.amdhsa_reserve_vcc 0
		.amdhsa_reserve_flat_scratch 0
		.amdhsa_float_round_mode_32 0
		.amdhsa_float_round_mode_16_64 0
		.amdhsa_float_denorm_mode_32 3
		.amdhsa_float_denorm_mode_16_64 3
		.amdhsa_dx10_clamp 1
		.amdhsa_ieee_mode 1
		.amdhsa_fp16_overflow 0
		.amdhsa_tg_split 0
		.amdhsa_exception_fp_ieee_invalid_op 0
		.amdhsa_exception_fp_denorm_src 0
		.amdhsa_exception_fp_ieee_div_zero 0
		.amdhsa_exception_fp_ieee_overflow 0
		.amdhsa_exception_fp_ieee_underflow 0
		.amdhsa_exception_fp_ieee_inexact 0
		.amdhsa_exception_int_div_zero 0
	.end_amdhsa_kernel
	.section	.text._ZN7rocprim17ROCPRIM_400000_NS6detail17trampoline_kernelINS0_14default_configENS1_38merge_sort_block_merge_config_selectorIiNS0_10empty_typeEEEZZNS1_27merge_sort_block_merge_implIS3_N6thrust23THRUST_200600_302600_NS6detail15normal_iteratorINS9_10device_ptrIiEEEEPS5_jNS1_19radix_merge_compareILb0ELb0EiNS0_19identity_decomposerEEEEE10hipError_tT0_T1_T2_jT3_P12ihipStream_tbPNSt15iterator_traitsISK_E10value_typeEPNSQ_ISL_E10value_typeEPSM_NS1_7vsmem_tEENKUlT_SK_SL_SM_E_clIPiSE_SF_SF_EESJ_SZ_SK_SL_SM_EUlSZ_E1_NS1_11comp_targetILNS1_3genE2ELNS1_11target_archE906ELNS1_3gpuE6ELNS1_3repE0EEENS1_36merge_oddeven_config_static_selectorELNS0_4arch9wavefront6targetE1EEEvSL_,"axG",@progbits,_ZN7rocprim17ROCPRIM_400000_NS6detail17trampoline_kernelINS0_14default_configENS1_38merge_sort_block_merge_config_selectorIiNS0_10empty_typeEEEZZNS1_27merge_sort_block_merge_implIS3_N6thrust23THRUST_200600_302600_NS6detail15normal_iteratorINS9_10device_ptrIiEEEEPS5_jNS1_19radix_merge_compareILb0ELb0EiNS0_19identity_decomposerEEEEE10hipError_tT0_T1_T2_jT3_P12ihipStream_tbPNSt15iterator_traitsISK_E10value_typeEPNSQ_ISL_E10value_typeEPSM_NS1_7vsmem_tEENKUlT_SK_SL_SM_E_clIPiSE_SF_SF_EESJ_SZ_SK_SL_SM_EUlSZ_E1_NS1_11comp_targetILNS1_3genE2ELNS1_11target_archE906ELNS1_3gpuE6ELNS1_3repE0EEENS1_36merge_oddeven_config_static_selectorELNS0_4arch9wavefront6targetE1EEEvSL_,comdat
.Lfunc_end1635:
	.size	_ZN7rocprim17ROCPRIM_400000_NS6detail17trampoline_kernelINS0_14default_configENS1_38merge_sort_block_merge_config_selectorIiNS0_10empty_typeEEEZZNS1_27merge_sort_block_merge_implIS3_N6thrust23THRUST_200600_302600_NS6detail15normal_iteratorINS9_10device_ptrIiEEEEPS5_jNS1_19radix_merge_compareILb0ELb0EiNS0_19identity_decomposerEEEEE10hipError_tT0_T1_T2_jT3_P12ihipStream_tbPNSt15iterator_traitsISK_E10value_typeEPNSQ_ISL_E10value_typeEPSM_NS1_7vsmem_tEENKUlT_SK_SL_SM_E_clIPiSE_SF_SF_EESJ_SZ_SK_SL_SM_EUlSZ_E1_NS1_11comp_targetILNS1_3genE2ELNS1_11target_archE906ELNS1_3gpuE6ELNS1_3repE0EEENS1_36merge_oddeven_config_static_selectorELNS0_4arch9wavefront6targetE1EEEvSL_, .Lfunc_end1635-_ZN7rocprim17ROCPRIM_400000_NS6detail17trampoline_kernelINS0_14default_configENS1_38merge_sort_block_merge_config_selectorIiNS0_10empty_typeEEEZZNS1_27merge_sort_block_merge_implIS3_N6thrust23THRUST_200600_302600_NS6detail15normal_iteratorINS9_10device_ptrIiEEEEPS5_jNS1_19radix_merge_compareILb0ELb0EiNS0_19identity_decomposerEEEEE10hipError_tT0_T1_T2_jT3_P12ihipStream_tbPNSt15iterator_traitsISK_E10value_typeEPNSQ_ISL_E10value_typeEPSM_NS1_7vsmem_tEENKUlT_SK_SL_SM_E_clIPiSE_SF_SF_EESJ_SZ_SK_SL_SM_EUlSZ_E1_NS1_11comp_targetILNS1_3genE2ELNS1_11target_archE906ELNS1_3gpuE6ELNS1_3repE0EEENS1_36merge_oddeven_config_static_selectorELNS0_4arch9wavefront6targetE1EEEvSL_
                                        ; -- End function
	.section	.AMDGPU.csdata,"",@progbits
; Kernel info:
; codeLenInByte = 0
; NumSgprs: 4
; NumVgprs: 0
; NumAgprs: 0
; TotalNumVgprs: 0
; ScratchSize: 0
; MemoryBound: 0
; FloatMode: 240
; IeeeMode: 1
; LDSByteSize: 0 bytes/workgroup (compile time only)
; SGPRBlocks: 0
; VGPRBlocks: 0
; NumSGPRsForWavesPerEU: 4
; NumVGPRsForWavesPerEU: 1
; AccumOffset: 4
; Occupancy: 8
; WaveLimiterHint : 0
; COMPUTE_PGM_RSRC2:SCRATCH_EN: 0
; COMPUTE_PGM_RSRC2:USER_SGPR: 6
; COMPUTE_PGM_RSRC2:TRAP_HANDLER: 0
; COMPUTE_PGM_RSRC2:TGID_X_EN: 1
; COMPUTE_PGM_RSRC2:TGID_Y_EN: 0
; COMPUTE_PGM_RSRC2:TGID_Z_EN: 0
; COMPUTE_PGM_RSRC2:TIDIG_COMP_CNT: 0
; COMPUTE_PGM_RSRC3_GFX90A:ACCUM_OFFSET: 0
; COMPUTE_PGM_RSRC3_GFX90A:TG_SPLIT: 0
	.section	.text._ZN7rocprim17ROCPRIM_400000_NS6detail17trampoline_kernelINS0_14default_configENS1_38merge_sort_block_merge_config_selectorIiNS0_10empty_typeEEEZZNS1_27merge_sort_block_merge_implIS3_N6thrust23THRUST_200600_302600_NS6detail15normal_iteratorINS9_10device_ptrIiEEEEPS5_jNS1_19radix_merge_compareILb0ELb0EiNS0_19identity_decomposerEEEEE10hipError_tT0_T1_T2_jT3_P12ihipStream_tbPNSt15iterator_traitsISK_E10value_typeEPNSQ_ISL_E10value_typeEPSM_NS1_7vsmem_tEENKUlT_SK_SL_SM_E_clIPiSE_SF_SF_EESJ_SZ_SK_SL_SM_EUlSZ_E1_NS1_11comp_targetILNS1_3genE9ELNS1_11target_archE1100ELNS1_3gpuE3ELNS1_3repE0EEENS1_36merge_oddeven_config_static_selectorELNS0_4arch9wavefront6targetE1EEEvSL_,"axG",@progbits,_ZN7rocprim17ROCPRIM_400000_NS6detail17trampoline_kernelINS0_14default_configENS1_38merge_sort_block_merge_config_selectorIiNS0_10empty_typeEEEZZNS1_27merge_sort_block_merge_implIS3_N6thrust23THRUST_200600_302600_NS6detail15normal_iteratorINS9_10device_ptrIiEEEEPS5_jNS1_19radix_merge_compareILb0ELb0EiNS0_19identity_decomposerEEEEE10hipError_tT0_T1_T2_jT3_P12ihipStream_tbPNSt15iterator_traitsISK_E10value_typeEPNSQ_ISL_E10value_typeEPSM_NS1_7vsmem_tEENKUlT_SK_SL_SM_E_clIPiSE_SF_SF_EESJ_SZ_SK_SL_SM_EUlSZ_E1_NS1_11comp_targetILNS1_3genE9ELNS1_11target_archE1100ELNS1_3gpuE3ELNS1_3repE0EEENS1_36merge_oddeven_config_static_selectorELNS0_4arch9wavefront6targetE1EEEvSL_,comdat
	.protected	_ZN7rocprim17ROCPRIM_400000_NS6detail17trampoline_kernelINS0_14default_configENS1_38merge_sort_block_merge_config_selectorIiNS0_10empty_typeEEEZZNS1_27merge_sort_block_merge_implIS3_N6thrust23THRUST_200600_302600_NS6detail15normal_iteratorINS9_10device_ptrIiEEEEPS5_jNS1_19radix_merge_compareILb0ELb0EiNS0_19identity_decomposerEEEEE10hipError_tT0_T1_T2_jT3_P12ihipStream_tbPNSt15iterator_traitsISK_E10value_typeEPNSQ_ISL_E10value_typeEPSM_NS1_7vsmem_tEENKUlT_SK_SL_SM_E_clIPiSE_SF_SF_EESJ_SZ_SK_SL_SM_EUlSZ_E1_NS1_11comp_targetILNS1_3genE9ELNS1_11target_archE1100ELNS1_3gpuE3ELNS1_3repE0EEENS1_36merge_oddeven_config_static_selectorELNS0_4arch9wavefront6targetE1EEEvSL_ ; -- Begin function _ZN7rocprim17ROCPRIM_400000_NS6detail17trampoline_kernelINS0_14default_configENS1_38merge_sort_block_merge_config_selectorIiNS0_10empty_typeEEEZZNS1_27merge_sort_block_merge_implIS3_N6thrust23THRUST_200600_302600_NS6detail15normal_iteratorINS9_10device_ptrIiEEEEPS5_jNS1_19radix_merge_compareILb0ELb0EiNS0_19identity_decomposerEEEEE10hipError_tT0_T1_T2_jT3_P12ihipStream_tbPNSt15iterator_traitsISK_E10value_typeEPNSQ_ISL_E10value_typeEPSM_NS1_7vsmem_tEENKUlT_SK_SL_SM_E_clIPiSE_SF_SF_EESJ_SZ_SK_SL_SM_EUlSZ_E1_NS1_11comp_targetILNS1_3genE9ELNS1_11target_archE1100ELNS1_3gpuE3ELNS1_3repE0EEENS1_36merge_oddeven_config_static_selectorELNS0_4arch9wavefront6targetE1EEEvSL_
	.globl	_ZN7rocprim17ROCPRIM_400000_NS6detail17trampoline_kernelINS0_14default_configENS1_38merge_sort_block_merge_config_selectorIiNS0_10empty_typeEEEZZNS1_27merge_sort_block_merge_implIS3_N6thrust23THRUST_200600_302600_NS6detail15normal_iteratorINS9_10device_ptrIiEEEEPS5_jNS1_19radix_merge_compareILb0ELb0EiNS0_19identity_decomposerEEEEE10hipError_tT0_T1_T2_jT3_P12ihipStream_tbPNSt15iterator_traitsISK_E10value_typeEPNSQ_ISL_E10value_typeEPSM_NS1_7vsmem_tEENKUlT_SK_SL_SM_E_clIPiSE_SF_SF_EESJ_SZ_SK_SL_SM_EUlSZ_E1_NS1_11comp_targetILNS1_3genE9ELNS1_11target_archE1100ELNS1_3gpuE3ELNS1_3repE0EEENS1_36merge_oddeven_config_static_selectorELNS0_4arch9wavefront6targetE1EEEvSL_
	.p2align	8
	.type	_ZN7rocprim17ROCPRIM_400000_NS6detail17trampoline_kernelINS0_14default_configENS1_38merge_sort_block_merge_config_selectorIiNS0_10empty_typeEEEZZNS1_27merge_sort_block_merge_implIS3_N6thrust23THRUST_200600_302600_NS6detail15normal_iteratorINS9_10device_ptrIiEEEEPS5_jNS1_19radix_merge_compareILb0ELb0EiNS0_19identity_decomposerEEEEE10hipError_tT0_T1_T2_jT3_P12ihipStream_tbPNSt15iterator_traitsISK_E10value_typeEPNSQ_ISL_E10value_typeEPSM_NS1_7vsmem_tEENKUlT_SK_SL_SM_E_clIPiSE_SF_SF_EESJ_SZ_SK_SL_SM_EUlSZ_E1_NS1_11comp_targetILNS1_3genE9ELNS1_11target_archE1100ELNS1_3gpuE3ELNS1_3repE0EEENS1_36merge_oddeven_config_static_selectorELNS0_4arch9wavefront6targetE1EEEvSL_,@function
_ZN7rocprim17ROCPRIM_400000_NS6detail17trampoline_kernelINS0_14default_configENS1_38merge_sort_block_merge_config_selectorIiNS0_10empty_typeEEEZZNS1_27merge_sort_block_merge_implIS3_N6thrust23THRUST_200600_302600_NS6detail15normal_iteratorINS9_10device_ptrIiEEEEPS5_jNS1_19radix_merge_compareILb0ELb0EiNS0_19identity_decomposerEEEEE10hipError_tT0_T1_T2_jT3_P12ihipStream_tbPNSt15iterator_traitsISK_E10value_typeEPNSQ_ISL_E10value_typeEPSM_NS1_7vsmem_tEENKUlT_SK_SL_SM_E_clIPiSE_SF_SF_EESJ_SZ_SK_SL_SM_EUlSZ_E1_NS1_11comp_targetILNS1_3genE9ELNS1_11target_archE1100ELNS1_3gpuE3ELNS1_3repE0EEENS1_36merge_oddeven_config_static_selectorELNS0_4arch9wavefront6targetE1EEEvSL_: ; @_ZN7rocprim17ROCPRIM_400000_NS6detail17trampoline_kernelINS0_14default_configENS1_38merge_sort_block_merge_config_selectorIiNS0_10empty_typeEEEZZNS1_27merge_sort_block_merge_implIS3_N6thrust23THRUST_200600_302600_NS6detail15normal_iteratorINS9_10device_ptrIiEEEEPS5_jNS1_19radix_merge_compareILb0ELb0EiNS0_19identity_decomposerEEEEE10hipError_tT0_T1_T2_jT3_P12ihipStream_tbPNSt15iterator_traitsISK_E10value_typeEPNSQ_ISL_E10value_typeEPSM_NS1_7vsmem_tEENKUlT_SK_SL_SM_E_clIPiSE_SF_SF_EESJ_SZ_SK_SL_SM_EUlSZ_E1_NS1_11comp_targetILNS1_3genE9ELNS1_11target_archE1100ELNS1_3gpuE3ELNS1_3repE0EEENS1_36merge_oddeven_config_static_selectorELNS0_4arch9wavefront6targetE1EEEvSL_
; %bb.0:
	.section	.rodata,"a",@progbits
	.p2align	6, 0x0
	.amdhsa_kernel _ZN7rocprim17ROCPRIM_400000_NS6detail17trampoline_kernelINS0_14default_configENS1_38merge_sort_block_merge_config_selectorIiNS0_10empty_typeEEEZZNS1_27merge_sort_block_merge_implIS3_N6thrust23THRUST_200600_302600_NS6detail15normal_iteratorINS9_10device_ptrIiEEEEPS5_jNS1_19radix_merge_compareILb0ELb0EiNS0_19identity_decomposerEEEEE10hipError_tT0_T1_T2_jT3_P12ihipStream_tbPNSt15iterator_traitsISK_E10value_typeEPNSQ_ISL_E10value_typeEPSM_NS1_7vsmem_tEENKUlT_SK_SL_SM_E_clIPiSE_SF_SF_EESJ_SZ_SK_SL_SM_EUlSZ_E1_NS1_11comp_targetILNS1_3genE9ELNS1_11target_archE1100ELNS1_3gpuE3ELNS1_3repE0EEENS1_36merge_oddeven_config_static_selectorELNS0_4arch9wavefront6targetE1EEEvSL_
		.amdhsa_group_segment_fixed_size 0
		.amdhsa_private_segment_fixed_size 0
		.amdhsa_kernarg_size 48
		.amdhsa_user_sgpr_count 6
		.amdhsa_user_sgpr_private_segment_buffer 1
		.amdhsa_user_sgpr_dispatch_ptr 0
		.amdhsa_user_sgpr_queue_ptr 0
		.amdhsa_user_sgpr_kernarg_segment_ptr 1
		.amdhsa_user_sgpr_dispatch_id 0
		.amdhsa_user_sgpr_flat_scratch_init 0
		.amdhsa_user_sgpr_kernarg_preload_length 0
		.amdhsa_user_sgpr_kernarg_preload_offset 0
		.amdhsa_user_sgpr_private_segment_size 0
		.amdhsa_uses_dynamic_stack 0
		.amdhsa_system_sgpr_private_segment_wavefront_offset 0
		.amdhsa_system_sgpr_workgroup_id_x 1
		.amdhsa_system_sgpr_workgroup_id_y 0
		.amdhsa_system_sgpr_workgroup_id_z 0
		.amdhsa_system_sgpr_workgroup_info 0
		.amdhsa_system_vgpr_workitem_id 0
		.amdhsa_next_free_vgpr 1
		.amdhsa_next_free_sgpr 0
		.amdhsa_accum_offset 4
		.amdhsa_reserve_vcc 0
		.amdhsa_reserve_flat_scratch 0
		.amdhsa_float_round_mode_32 0
		.amdhsa_float_round_mode_16_64 0
		.amdhsa_float_denorm_mode_32 3
		.amdhsa_float_denorm_mode_16_64 3
		.amdhsa_dx10_clamp 1
		.amdhsa_ieee_mode 1
		.amdhsa_fp16_overflow 0
		.amdhsa_tg_split 0
		.amdhsa_exception_fp_ieee_invalid_op 0
		.amdhsa_exception_fp_denorm_src 0
		.amdhsa_exception_fp_ieee_div_zero 0
		.amdhsa_exception_fp_ieee_overflow 0
		.amdhsa_exception_fp_ieee_underflow 0
		.amdhsa_exception_fp_ieee_inexact 0
		.amdhsa_exception_int_div_zero 0
	.end_amdhsa_kernel
	.section	.text._ZN7rocprim17ROCPRIM_400000_NS6detail17trampoline_kernelINS0_14default_configENS1_38merge_sort_block_merge_config_selectorIiNS0_10empty_typeEEEZZNS1_27merge_sort_block_merge_implIS3_N6thrust23THRUST_200600_302600_NS6detail15normal_iteratorINS9_10device_ptrIiEEEEPS5_jNS1_19radix_merge_compareILb0ELb0EiNS0_19identity_decomposerEEEEE10hipError_tT0_T1_T2_jT3_P12ihipStream_tbPNSt15iterator_traitsISK_E10value_typeEPNSQ_ISL_E10value_typeEPSM_NS1_7vsmem_tEENKUlT_SK_SL_SM_E_clIPiSE_SF_SF_EESJ_SZ_SK_SL_SM_EUlSZ_E1_NS1_11comp_targetILNS1_3genE9ELNS1_11target_archE1100ELNS1_3gpuE3ELNS1_3repE0EEENS1_36merge_oddeven_config_static_selectorELNS0_4arch9wavefront6targetE1EEEvSL_,"axG",@progbits,_ZN7rocprim17ROCPRIM_400000_NS6detail17trampoline_kernelINS0_14default_configENS1_38merge_sort_block_merge_config_selectorIiNS0_10empty_typeEEEZZNS1_27merge_sort_block_merge_implIS3_N6thrust23THRUST_200600_302600_NS6detail15normal_iteratorINS9_10device_ptrIiEEEEPS5_jNS1_19radix_merge_compareILb0ELb0EiNS0_19identity_decomposerEEEEE10hipError_tT0_T1_T2_jT3_P12ihipStream_tbPNSt15iterator_traitsISK_E10value_typeEPNSQ_ISL_E10value_typeEPSM_NS1_7vsmem_tEENKUlT_SK_SL_SM_E_clIPiSE_SF_SF_EESJ_SZ_SK_SL_SM_EUlSZ_E1_NS1_11comp_targetILNS1_3genE9ELNS1_11target_archE1100ELNS1_3gpuE3ELNS1_3repE0EEENS1_36merge_oddeven_config_static_selectorELNS0_4arch9wavefront6targetE1EEEvSL_,comdat
.Lfunc_end1636:
	.size	_ZN7rocprim17ROCPRIM_400000_NS6detail17trampoline_kernelINS0_14default_configENS1_38merge_sort_block_merge_config_selectorIiNS0_10empty_typeEEEZZNS1_27merge_sort_block_merge_implIS3_N6thrust23THRUST_200600_302600_NS6detail15normal_iteratorINS9_10device_ptrIiEEEEPS5_jNS1_19radix_merge_compareILb0ELb0EiNS0_19identity_decomposerEEEEE10hipError_tT0_T1_T2_jT3_P12ihipStream_tbPNSt15iterator_traitsISK_E10value_typeEPNSQ_ISL_E10value_typeEPSM_NS1_7vsmem_tEENKUlT_SK_SL_SM_E_clIPiSE_SF_SF_EESJ_SZ_SK_SL_SM_EUlSZ_E1_NS1_11comp_targetILNS1_3genE9ELNS1_11target_archE1100ELNS1_3gpuE3ELNS1_3repE0EEENS1_36merge_oddeven_config_static_selectorELNS0_4arch9wavefront6targetE1EEEvSL_, .Lfunc_end1636-_ZN7rocprim17ROCPRIM_400000_NS6detail17trampoline_kernelINS0_14default_configENS1_38merge_sort_block_merge_config_selectorIiNS0_10empty_typeEEEZZNS1_27merge_sort_block_merge_implIS3_N6thrust23THRUST_200600_302600_NS6detail15normal_iteratorINS9_10device_ptrIiEEEEPS5_jNS1_19radix_merge_compareILb0ELb0EiNS0_19identity_decomposerEEEEE10hipError_tT0_T1_T2_jT3_P12ihipStream_tbPNSt15iterator_traitsISK_E10value_typeEPNSQ_ISL_E10value_typeEPSM_NS1_7vsmem_tEENKUlT_SK_SL_SM_E_clIPiSE_SF_SF_EESJ_SZ_SK_SL_SM_EUlSZ_E1_NS1_11comp_targetILNS1_3genE9ELNS1_11target_archE1100ELNS1_3gpuE3ELNS1_3repE0EEENS1_36merge_oddeven_config_static_selectorELNS0_4arch9wavefront6targetE1EEEvSL_
                                        ; -- End function
	.section	.AMDGPU.csdata,"",@progbits
; Kernel info:
; codeLenInByte = 0
; NumSgprs: 4
; NumVgprs: 0
; NumAgprs: 0
; TotalNumVgprs: 0
; ScratchSize: 0
; MemoryBound: 0
; FloatMode: 240
; IeeeMode: 1
; LDSByteSize: 0 bytes/workgroup (compile time only)
; SGPRBlocks: 0
; VGPRBlocks: 0
; NumSGPRsForWavesPerEU: 4
; NumVGPRsForWavesPerEU: 1
; AccumOffset: 4
; Occupancy: 8
; WaveLimiterHint : 0
; COMPUTE_PGM_RSRC2:SCRATCH_EN: 0
; COMPUTE_PGM_RSRC2:USER_SGPR: 6
; COMPUTE_PGM_RSRC2:TRAP_HANDLER: 0
; COMPUTE_PGM_RSRC2:TGID_X_EN: 1
; COMPUTE_PGM_RSRC2:TGID_Y_EN: 0
; COMPUTE_PGM_RSRC2:TGID_Z_EN: 0
; COMPUTE_PGM_RSRC2:TIDIG_COMP_CNT: 0
; COMPUTE_PGM_RSRC3_GFX90A:ACCUM_OFFSET: 0
; COMPUTE_PGM_RSRC3_GFX90A:TG_SPLIT: 0
	.section	.text._ZN7rocprim17ROCPRIM_400000_NS6detail17trampoline_kernelINS0_14default_configENS1_38merge_sort_block_merge_config_selectorIiNS0_10empty_typeEEEZZNS1_27merge_sort_block_merge_implIS3_N6thrust23THRUST_200600_302600_NS6detail15normal_iteratorINS9_10device_ptrIiEEEEPS5_jNS1_19radix_merge_compareILb0ELb0EiNS0_19identity_decomposerEEEEE10hipError_tT0_T1_T2_jT3_P12ihipStream_tbPNSt15iterator_traitsISK_E10value_typeEPNSQ_ISL_E10value_typeEPSM_NS1_7vsmem_tEENKUlT_SK_SL_SM_E_clIPiSE_SF_SF_EESJ_SZ_SK_SL_SM_EUlSZ_E1_NS1_11comp_targetILNS1_3genE8ELNS1_11target_archE1030ELNS1_3gpuE2ELNS1_3repE0EEENS1_36merge_oddeven_config_static_selectorELNS0_4arch9wavefront6targetE1EEEvSL_,"axG",@progbits,_ZN7rocprim17ROCPRIM_400000_NS6detail17trampoline_kernelINS0_14default_configENS1_38merge_sort_block_merge_config_selectorIiNS0_10empty_typeEEEZZNS1_27merge_sort_block_merge_implIS3_N6thrust23THRUST_200600_302600_NS6detail15normal_iteratorINS9_10device_ptrIiEEEEPS5_jNS1_19radix_merge_compareILb0ELb0EiNS0_19identity_decomposerEEEEE10hipError_tT0_T1_T2_jT3_P12ihipStream_tbPNSt15iterator_traitsISK_E10value_typeEPNSQ_ISL_E10value_typeEPSM_NS1_7vsmem_tEENKUlT_SK_SL_SM_E_clIPiSE_SF_SF_EESJ_SZ_SK_SL_SM_EUlSZ_E1_NS1_11comp_targetILNS1_3genE8ELNS1_11target_archE1030ELNS1_3gpuE2ELNS1_3repE0EEENS1_36merge_oddeven_config_static_selectorELNS0_4arch9wavefront6targetE1EEEvSL_,comdat
	.protected	_ZN7rocprim17ROCPRIM_400000_NS6detail17trampoline_kernelINS0_14default_configENS1_38merge_sort_block_merge_config_selectorIiNS0_10empty_typeEEEZZNS1_27merge_sort_block_merge_implIS3_N6thrust23THRUST_200600_302600_NS6detail15normal_iteratorINS9_10device_ptrIiEEEEPS5_jNS1_19radix_merge_compareILb0ELb0EiNS0_19identity_decomposerEEEEE10hipError_tT0_T1_T2_jT3_P12ihipStream_tbPNSt15iterator_traitsISK_E10value_typeEPNSQ_ISL_E10value_typeEPSM_NS1_7vsmem_tEENKUlT_SK_SL_SM_E_clIPiSE_SF_SF_EESJ_SZ_SK_SL_SM_EUlSZ_E1_NS1_11comp_targetILNS1_3genE8ELNS1_11target_archE1030ELNS1_3gpuE2ELNS1_3repE0EEENS1_36merge_oddeven_config_static_selectorELNS0_4arch9wavefront6targetE1EEEvSL_ ; -- Begin function _ZN7rocprim17ROCPRIM_400000_NS6detail17trampoline_kernelINS0_14default_configENS1_38merge_sort_block_merge_config_selectorIiNS0_10empty_typeEEEZZNS1_27merge_sort_block_merge_implIS3_N6thrust23THRUST_200600_302600_NS6detail15normal_iteratorINS9_10device_ptrIiEEEEPS5_jNS1_19radix_merge_compareILb0ELb0EiNS0_19identity_decomposerEEEEE10hipError_tT0_T1_T2_jT3_P12ihipStream_tbPNSt15iterator_traitsISK_E10value_typeEPNSQ_ISL_E10value_typeEPSM_NS1_7vsmem_tEENKUlT_SK_SL_SM_E_clIPiSE_SF_SF_EESJ_SZ_SK_SL_SM_EUlSZ_E1_NS1_11comp_targetILNS1_3genE8ELNS1_11target_archE1030ELNS1_3gpuE2ELNS1_3repE0EEENS1_36merge_oddeven_config_static_selectorELNS0_4arch9wavefront6targetE1EEEvSL_
	.globl	_ZN7rocprim17ROCPRIM_400000_NS6detail17trampoline_kernelINS0_14default_configENS1_38merge_sort_block_merge_config_selectorIiNS0_10empty_typeEEEZZNS1_27merge_sort_block_merge_implIS3_N6thrust23THRUST_200600_302600_NS6detail15normal_iteratorINS9_10device_ptrIiEEEEPS5_jNS1_19radix_merge_compareILb0ELb0EiNS0_19identity_decomposerEEEEE10hipError_tT0_T1_T2_jT3_P12ihipStream_tbPNSt15iterator_traitsISK_E10value_typeEPNSQ_ISL_E10value_typeEPSM_NS1_7vsmem_tEENKUlT_SK_SL_SM_E_clIPiSE_SF_SF_EESJ_SZ_SK_SL_SM_EUlSZ_E1_NS1_11comp_targetILNS1_3genE8ELNS1_11target_archE1030ELNS1_3gpuE2ELNS1_3repE0EEENS1_36merge_oddeven_config_static_selectorELNS0_4arch9wavefront6targetE1EEEvSL_
	.p2align	8
	.type	_ZN7rocprim17ROCPRIM_400000_NS6detail17trampoline_kernelINS0_14default_configENS1_38merge_sort_block_merge_config_selectorIiNS0_10empty_typeEEEZZNS1_27merge_sort_block_merge_implIS3_N6thrust23THRUST_200600_302600_NS6detail15normal_iteratorINS9_10device_ptrIiEEEEPS5_jNS1_19radix_merge_compareILb0ELb0EiNS0_19identity_decomposerEEEEE10hipError_tT0_T1_T2_jT3_P12ihipStream_tbPNSt15iterator_traitsISK_E10value_typeEPNSQ_ISL_E10value_typeEPSM_NS1_7vsmem_tEENKUlT_SK_SL_SM_E_clIPiSE_SF_SF_EESJ_SZ_SK_SL_SM_EUlSZ_E1_NS1_11comp_targetILNS1_3genE8ELNS1_11target_archE1030ELNS1_3gpuE2ELNS1_3repE0EEENS1_36merge_oddeven_config_static_selectorELNS0_4arch9wavefront6targetE1EEEvSL_,@function
_ZN7rocprim17ROCPRIM_400000_NS6detail17trampoline_kernelINS0_14default_configENS1_38merge_sort_block_merge_config_selectorIiNS0_10empty_typeEEEZZNS1_27merge_sort_block_merge_implIS3_N6thrust23THRUST_200600_302600_NS6detail15normal_iteratorINS9_10device_ptrIiEEEEPS5_jNS1_19radix_merge_compareILb0ELb0EiNS0_19identity_decomposerEEEEE10hipError_tT0_T1_T2_jT3_P12ihipStream_tbPNSt15iterator_traitsISK_E10value_typeEPNSQ_ISL_E10value_typeEPSM_NS1_7vsmem_tEENKUlT_SK_SL_SM_E_clIPiSE_SF_SF_EESJ_SZ_SK_SL_SM_EUlSZ_E1_NS1_11comp_targetILNS1_3genE8ELNS1_11target_archE1030ELNS1_3gpuE2ELNS1_3repE0EEENS1_36merge_oddeven_config_static_selectorELNS0_4arch9wavefront6targetE1EEEvSL_: ; @_ZN7rocprim17ROCPRIM_400000_NS6detail17trampoline_kernelINS0_14default_configENS1_38merge_sort_block_merge_config_selectorIiNS0_10empty_typeEEEZZNS1_27merge_sort_block_merge_implIS3_N6thrust23THRUST_200600_302600_NS6detail15normal_iteratorINS9_10device_ptrIiEEEEPS5_jNS1_19radix_merge_compareILb0ELb0EiNS0_19identity_decomposerEEEEE10hipError_tT0_T1_T2_jT3_P12ihipStream_tbPNSt15iterator_traitsISK_E10value_typeEPNSQ_ISL_E10value_typeEPSM_NS1_7vsmem_tEENKUlT_SK_SL_SM_E_clIPiSE_SF_SF_EESJ_SZ_SK_SL_SM_EUlSZ_E1_NS1_11comp_targetILNS1_3genE8ELNS1_11target_archE1030ELNS1_3gpuE2ELNS1_3repE0EEENS1_36merge_oddeven_config_static_selectorELNS0_4arch9wavefront6targetE1EEEvSL_
; %bb.0:
	.section	.rodata,"a",@progbits
	.p2align	6, 0x0
	.amdhsa_kernel _ZN7rocprim17ROCPRIM_400000_NS6detail17trampoline_kernelINS0_14default_configENS1_38merge_sort_block_merge_config_selectorIiNS0_10empty_typeEEEZZNS1_27merge_sort_block_merge_implIS3_N6thrust23THRUST_200600_302600_NS6detail15normal_iteratorINS9_10device_ptrIiEEEEPS5_jNS1_19radix_merge_compareILb0ELb0EiNS0_19identity_decomposerEEEEE10hipError_tT0_T1_T2_jT3_P12ihipStream_tbPNSt15iterator_traitsISK_E10value_typeEPNSQ_ISL_E10value_typeEPSM_NS1_7vsmem_tEENKUlT_SK_SL_SM_E_clIPiSE_SF_SF_EESJ_SZ_SK_SL_SM_EUlSZ_E1_NS1_11comp_targetILNS1_3genE8ELNS1_11target_archE1030ELNS1_3gpuE2ELNS1_3repE0EEENS1_36merge_oddeven_config_static_selectorELNS0_4arch9wavefront6targetE1EEEvSL_
		.amdhsa_group_segment_fixed_size 0
		.amdhsa_private_segment_fixed_size 0
		.amdhsa_kernarg_size 48
		.amdhsa_user_sgpr_count 6
		.amdhsa_user_sgpr_private_segment_buffer 1
		.amdhsa_user_sgpr_dispatch_ptr 0
		.amdhsa_user_sgpr_queue_ptr 0
		.amdhsa_user_sgpr_kernarg_segment_ptr 1
		.amdhsa_user_sgpr_dispatch_id 0
		.amdhsa_user_sgpr_flat_scratch_init 0
		.amdhsa_user_sgpr_kernarg_preload_length 0
		.amdhsa_user_sgpr_kernarg_preload_offset 0
		.amdhsa_user_sgpr_private_segment_size 0
		.amdhsa_uses_dynamic_stack 0
		.amdhsa_system_sgpr_private_segment_wavefront_offset 0
		.amdhsa_system_sgpr_workgroup_id_x 1
		.amdhsa_system_sgpr_workgroup_id_y 0
		.amdhsa_system_sgpr_workgroup_id_z 0
		.amdhsa_system_sgpr_workgroup_info 0
		.amdhsa_system_vgpr_workitem_id 0
		.amdhsa_next_free_vgpr 1
		.amdhsa_next_free_sgpr 0
		.amdhsa_accum_offset 4
		.amdhsa_reserve_vcc 0
		.amdhsa_reserve_flat_scratch 0
		.amdhsa_float_round_mode_32 0
		.amdhsa_float_round_mode_16_64 0
		.amdhsa_float_denorm_mode_32 3
		.amdhsa_float_denorm_mode_16_64 3
		.amdhsa_dx10_clamp 1
		.amdhsa_ieee_mode 1
		.amdhsa_fp16_overflow 0
		.amdhsa_tg_split 0
		.amdhsa_exception_fp_ieee_invalid_op 0
		.amdhsa_exception_fp_denorm_src 0
		.amdhsa_exception_fp_ieee_div_zero 0
		.amdhsa_exception_fp_ieee_overflow 0
		.amdhsa_exception_fp_ieee_underflow 0
		.amdhsa_exception_fp_ieee_inexact 0
		.amdhsa_exception_int_div_zero 0
	.end_amdhsa_kernel
	.section	.text._ZN7rocprim17ROCPRIM_400000_NS6detail17trampoline_kernelINS0_14default_configENS1_38merge_sort_block_merge_config_selectorIiNS0_10empty_typeEEEZZNS1_27merge_sort_block_merge_implIS3_N6thrust23THRUST_200600_302600_NS6detail15normal_iteratorINS9_10device_ptrIiEEEEPS5_jNS1_19radix_merge_compareILb0ELb0EiNS0_19identity_decomposerEEEEE10hipError_tT0_T1_T2_jT3_P12ihipStream_tbPNSt15iterator_traitsISK_E10value_typeEPNSQ_ISL_E10value_typeEPSM_NS1_7vsmem_tEENKUlT_SK_SL_SM_E_clIPiSE_SF_SF_EESJ_SZ_SK_SL_SM_EUlSZ_E1_NS1_11comp_targetILNS1_3genE8ELNS1_11target_archE1030ELNS1_3gpuE2ELNS1_3repE0EEENS1_36merge_oddeven_config_static_selectorELNS0_4arch9wavefront6targetE1EEEvSL_,"axG",@progbits,_ZN7rocprim17ROCPRIM_400000_NS6detail17trampoline_kernelINS0_14default_configENS1_38merge_sort_block_merge_config_selectorIiNS0_10empty_typeEEEZZNS1_27merge_sort_block_merge_implIS3_N6thrust23THRUST_200600_302600_NS6detail15normal_iteratorINS9_10device_ptrIiEEEEPS5_jNS1_19radix_merge_compareILb0ELb0EiNS0_19identity_decomposerEEEEE10hipError_tT0_T1_T2_jT3_P12ihipStream_tbPNSt15iterator_traitsISK_E10value_typeEPNSQ_ISL_E10value_typeEPSM_NS1_7vsmem_tEENKUlT_SK_SL_SM_E_clIPiSE_SF_SF_EESJ_SZ_SK_SL_SM_EUlSZ_E1_NS1_11comp_targetILNS1_3genE8ELNS1_11target_archE1030ELNS1_3gpuE2ELNS1_3repE0EEENS1_36merge_oddeven_config_static_selectorELNS0_4arch9wavefront6targetE1EEEvSL_,comdat
.Lfunc_end1637:
	.size	_ZN7rocprim17ROCPRIM_400000_NS6detail17trampoline_kernelINS0_14default_configENS1_38merge_sort_block_merge_config_selectorIiNS0_10empty_typeEEEZZNS1_27merge_sort_block_merge_implIS3_N6thrust23THRUST_200600_302600_NS6detail15normal_iteratorINS9_10device_ptrIiEEEEPS5_jNS1_19radix_merge_compareILb0ELb0EiNS0_19identity_decomposerEEEEE10hipError_tT0_T1_T2_jT3_P12ihipStream_tbPNSt15iterator_traitsISK_E10value_typeEPNSQ_ISL_E10value_typeEPSM_NS1_7vsmem_tEENKUlT_SK_SL_SM_E_clIPiSE_SF_SF_EESJ_SZ_SK_SL_SM_EUlSZ_E1_NS1_11comp_targetILNS1_3genE8ELNS1_11target_archE1030ELNS1_3gpuE2ELNS1_3repE0EEENS1_36merge_oddeven_config_static_selectorELNS0_4arch9wavefront6targetE1EEEvSL_, .Lfunc_end1637-_ZN7rocprim17ROCPRIM_400000_NS6detail17trampoline_kernelINS0_14default_configENS1_38merge_sort_block_merge_config_selectorIiNS0_10empty_typeEEEZZNS1_27merge_sort_block_merge_implIS3_N6thrust23THRUST_200600_302600_NS6detail15normal_iteratorINS9_10device_ptrIiEEEEPS5_jNS1_19radix_merge_compareILb0ELb0EiNS0_19identity_decomposerEEEEE10hipError_tT0_T1_T2_jT3_P12ihipStream_tbPNSt15iterator_traitsISK_E10value_typeEPNSQ_ISL_E10value_typeEPSM_NS1_7vsmem_tEENKUlT_SK_SL_SM_E_clIPiSE_SF_SF_EESJ_SZ_SK_SL_SM_EUlSZ_E1_NS1_11comp_targetILNS1_3genE8ELNS1_11target_archE1030ELNS1_3gpuE2ELNS1_3repE0EEENS1_36merge_oddeven_config_static_selectorELNS0_4arch9wavefront6targetE1EEEvSL_
                                        ; -- End function
	.section	.AMDGPU.csdata,"",@progbits
; Kernel info:
; codeLenInByte = 0
; NumSgprs: 4
; NumVgprs: 0
; NumAgprs: 0
; TotalNumVgprs: 0
; ScratchSize: 0
; MemoryBound: 0
; FloatMode: 240
; IeeeMode: 1
; LDSByteSize: 0 bytes/workgroup (compile time only)
; SGPRBlocks: 0
; VGPRBlocks: 0
; NumSGPRsForWavesPerEU: 4
; NumVGPRsForWavesPerEU: 1
; AccumOffset: 4
; Occupancy: 8
; WaveLimiterHint : 0
; COMPUTE_PGM_RSRC2:SCRATCH_EN: 0
; COMPUTE_PGM_RSRC2:USER_SGPR: 6
; COMPUTE_PGM_RSRC2:TRAP_HANDLER: 0
; COMPUTE_PGM_RSRC2:TGID_X_EN: 1
; COMPUTE_PGM_RSRC2:TGID_Y_EN: 0
; COMPUTE_PGM_RSRC2:TGID_Z_EN: 0
; COMPUTE_PGM_RSRC2:TIDIG_COMP_CNT: 0
; COMPUTE_PGM_RSRC3_GFX90A:ACCUM_OFFSET: 0
; COMPUTE_PGM_RSRC3_GFX90A:TG_SPLIT: 0
	.section	.text._ZN7rocprim17ROCPRIM_400000_NS6detail17trampoline_kernelINS0_14default_configENS1_38merge_sort_block_merge_config_selectorIiNS0_10empty_typeEEEZZNS1_27merge_sort_block_merge_implIS3_N6thrust23THRUST_200600_302600_NS6detail15normal_iteratorINS9_10device_ptrIiEEEEPS5_jNS1_19radix_merge_compareILb0ELb0EiNS0_19identity_decomposerEEEEE10hipError_tT0_T1_T2_jT3_P12ihipStream_tbPNSt15iterator_traitsISK_E10value_typeEPNSQ_ISL_E10value_typeEPSM_NS1_7vsmem_tEENKUlT_SK_SL_SM_E_clISE_PiSF_SF_EESJ_SZ_SK_SL_SM_EUlSZ_E_NS1_11comp_targetILNS1_3genE0ELNS1_11target_archE4294967295ELNS1_3gpuE0ELNS1_3repE0EEENS1_48merge_mergepath_partition_config_static_selectorELNS0_4arch9wavefront6targetE1EEEvSL_,"axG",@progbits,_ZN7rocprim17ROCPRIM_400000_NS6detail17trampoline_kernelINS0_14default_configENS1_38merge_sort_block_merge_config_selectorIiNS0_10empty_typeEEEZZNS1_27merge_sort_block_merge_implIS3_N6thrust23THRUST_200600_302600_NS6detail15normal_iteratorINS9_10device_ptrIiEEEEPS5_jNS1_19radix_merge_compareILb0ELb0EiNS0_19identity_decomposerEEEEE10hipError_tT0_T1_T2_jT3_P12ihipStream_tbPNSt15iterator_traitsISK_E10value_typeEPNSQ_ISL_E10value_typeEPSM_NS1_7vsmem_tEENKUlT_SK_SL_SM_E_clISE_PiSF_SF_EESJ_SZ_SK_SL_SM_EUlSZ_E_NS1_11comp_targetILNS1_3genE0ELNS1_11target_archE4294967295ELNS1_3gpuE0ELNS1_3repE0EEENS1_48merge_mergepath_partition_config_static_selectorELNS0_4arch9wavefront6targetE1EEEvSL_,comdat
	.protected	_ZN7rocprim17ROCPRIM_400000_NS6detail17trampoline_kernelINS0_14default_configENS1_38merge_sort_block_merge_config_selectorIiNS0_10empty_typeEEEZZNS1_27merge_sort_block_merge_implIS3_N6thrust23THRUST_200600_302600_NS6detail15normal_iteratorINS9_10device_ptrIiEEEEPS5_jNS1_19radix_merge_compareILb0ELb0EiNS0_19identity_decomposerEEEEE10hipError_tT0_T1_T2_jT3_P12ihipStream_tbPNSt15iterator_traitsISK_E10value_typeEPNSQ_ISL_E10value_typeEPSM_NS1_7vsmem_tEENKUlT_SK_SL_SM_E_clISE_PiSF_SF_EESJ_SZ_SK_SL_SM_EUlSZ_E_NS1_11comp_targetILNS1_3genE0ELNS1_11target_archE4294967295ELNS1_3gpuE0ELNS1_3repE0EEENS1_48merge_mergepath_partition_config_static_selectorELNS0_4arch9wavefront6targetE1EEEvSL_ ; -- Begin function _ZN7rocprim17ROCPRIM_400000_NS6detail17trampoline_kernelINS0_14default_configENS1_38merge_sort_block_merge_config_selectorIiNS0_10empty_typeEEEZZNS1_27merge_sort_block_merge_implIS3_N6thrust23THRUST_200600_302600_NS6detail15normal_iteratorINS9_10device_ptrIiEEEEPS5_jNS1_19radix_merge_compareILb0ELb0EiNS0_19identity_decomposerEEEEE10hipError_tT0_T1_T2_jT3_P12ihipStream_tbPNSt15iterator_traitsISK_E10value_typeEPNSQ_ISL_E10value_typeEPSM_NS1_7vsmem_tEENKUlT_SK_SL_SM_E_clISE_PiSF_SF_EESJ_SZ_SK_SL_SM_EUlSZ_E_NS1_11comp_targetILNS1_3genE0ELNS1_11target_archE4294967295ELNS1_3gpuE0ELNS1_3repE0EEENS1_48merge_mergepath_partition_config_static_selectorELNS0_4arch9wavefront6targetE1EEEvSL_
	.globl	_ZN7rocprim17ROCPRIM_400000_NS6detail17trampoline_kernelINS0_14default_configENS1_38merge_sort_block_merge_config_selectorIiNS0_10empty_typeEEEZZNS1_27merge_sort_block_merge_implIS3_N6thrust23THRUST_200600_302600_NS6detail15normal_iteratorINS9_10device_ptrIiEEEEPS5_jNS1_19radix_merge_compareILb0ELb0EiNS0_19identity_decomposerEEEEE10hipError_tT0_T1_T2_jT3_P12ihipStream_tbPNSt15iterator_traitsISK_E10value_typeEPNSQ_ISL_E10value_typeEPSM_NS1_7vsmem_tEENKUlT_SK_SL_SM_E_clISE_PiSF_SF_EESJ_SZ_SK_SL_SM_EUlSZ_E_NS1_11comp_targetILNS1_3genE0ELNS1_11target_archE4294967295ELNS1_3gpuE0ELNS1_3repE0EEENS1_48merge_mergepath_partition_config_static_selectorELNS0_4arch9wavefront6targetE1EEEvSL_
	.p2align	8
	.type	_ZN7rocprim17ROCPRIM_400000_NS6detail17trampoline_kernelINS0_14default_configENS1_38merge_sort_block_merge_config_selectorIiNS0_10empty_typeEEEZZNS1_27merge_sort_block_merge_implIS3_N6thrust23THRUST_200600_302600_NS6detail15normal_iteratorINS9_10device_ptrIiEEEEPS5_jNS1_19radix_merge_compareILb0ELb0EiNS0_19identity_decomposerEEEEE10hipError_tT0_T1_T2_jT3_P12ihipStream_tbPNSt15iterator_traitsISK_E10value_typeEPNSQ_ISL_E10value_typeEPSM_NS1_7vsmem_tEENKUlT_SK_SL_SM_E_clISE_PiSF_SF_EESJ_SZ_SK_SL_SM_EUlSZ_E_NS1_11comp_targetILNS1_3genE0ELNS1_11target_archE4294967295ELNS1_3gpuE0ELNS1_3repE0EEENS1_48merge_mergepath_partition_config_static_selectorELNS0_4arch9wavefront6targetE1EEEvSL_,@function
_ZN7rocprim17ROCPRIM_400000_NS6detail17trampoline_kernelINS0_14default_configENS1_38merge_sort_block_merge_config_selectorIiNS0_10empty_typeEEEZZNS1_27merge_sort_block_merge_implIS3_N6thrust23THRUST_200600_302600_NS6detail15normal_iteratorINS9_10device_ptrIiEEEEPS5_jNS1_19radix_merge_compareILb0ELb0EiNS0_19identity_decomposerEEEEE10hipError_tT0_T1_T2_jT3_P12ihipStream_tbPNSt15iterator_traitsISK_E10value_typeEPNSQ_ISL_E10value_typeEPSM_NS1_7vsmem_tEENKUlT_SK_SL_SM_E_clISE_PiSF_SF_EESJ_SZ_SK_SL_SM_EUlSZ_E_NS1_11comp_targetILNS1_3genE0ELNS1_11target_archE4294967295ELNS1_3gpuE0ELNS1_3repE0EEENS1_48merge_mergepath_partition_config_static_selectorELNS0_4arch9wavefront6targetE1EEEvSL_: ; @_ZN7rocprim17ROCPRIM_400000_NS6detail17trampoline_kernelINS0_14default_configENS1_38merge_sort_block_merge_config_selectorIiNS0_10empty_typeEEEZZNS1_27merge_sort_block_merge_implIS3_N6thrust23THRUST_200600_302600_NS6detail15normal_iteratorINS9_10device_ptrIiEEEEPS5_jNS1_19radix_merge_compareILb0ELb0EiNS0_19identity_decomposerEEEEE10hipError_tT0_T1_T2_jT3_P12ihipStream_tbPNSt15iterator_traitsISK_E10value_typeEPNSQ_ISL_E10value_typeEPSM_NS1_7vsmem_tEENKUlT_SK_SL_SM_E_clISE_PiSF_SF_EESJ_SZ_SK_SL_SM_EUlSZ_E_NS1_11comp_targetILNS1_3genE0ELNS1_11target_archE4294967295ELNS1_3gpuE0ELNS1_3repE0EEENS1_48merge_mergepath_partition_config_static_selectorELNS0_4arch9wavefront6targetE1EEEvSL_
; %bb.0:
	.section	.rodata,"a",@progbits
	.p2align	6, 0x0
	.amdhsa_kernel _ZN7rocprim17ROCPRIM_400000_NS6detail17trampoline_kernelINS0_14default_configENS1_38merge_sort_block_merge_config_selectorIiNS0_10empty_typeEEEZZNS1_27merge_sort_block_merge_implIS3_N6thrust23THRUST_200600_302600_NS6detail15normal_iteratorINS9_10device_ptrIiEEEEPS5_jNS1_19radix_merge_compareILb0ELb0EiNS0_19identity_decomposerEEEEE10hipError_tT0_T1_T2_jT3_P12ihipStream_tbPNSt15iterator_traitsISK_E10value_typeEPNSQ_ISL_E10value_typeEPSM_NS1_7vsmem_tEENKUlT_SK_SL_SM_E_clISE_PiSF_SF_EESJ_SZ_SK_SL_SM_EUlSZ_E_NS1_11comp_targetILNS1_3genE0ELNS1_11target_archE4294967295ELNS1_3gpuE0ELNS1_3repE0EEENS1_48merge_mergepath_partition_config_static_selectorELNS0_4arch9wavefront6targetE1EEEvSL_
		.amdhsa_group_segment_fixed_size 0
		.amdhsa_private_segment_fixed_size 0
		.amdhsa_kernarg_size 40
		.amdhsa_user_sgpr_count 6
		.amdhsa_user_sgpr_private_segment_buffer 1
		.amdhsa_user_sgpr_dispatch_ptr 0
		.amdhsa_user_sgpr_queue_ptr 0
		.amdhsa_user_sgpr_kernarg_segment_ptr 1
		.amdhsa_user_sgpr_dispatch_id 0
		.amdhsa_user_sgpr_flat_scratch_init 0
		.amdhsa_user_sgpr_kernarg_preload_length 0
		.amdhsa_user_sgpr_kernarg_preload_offset 0
		.amdhsa_user_sgpr_private_segment_size 0
		.amdhsa_uses_dynamic_stack 0
		.amdhsa_system_sgpr_private_segment_wavefront_offset 0
		.amdhsa_system_sgpr_workgroup_id_x 1
		.amdhsa_system_sgpr_workgroup_id_y 0
		.amdhsa_system_sgpr_workgroup_id_z 0
		.amdhsa_system_sgpr_workgroup_info 0
		.amdhsa_system_vgpr_workitem_id 0
		.amdhsa_next_free_vgpr 1
		.amdhsa_next_free_sgpr 0
		.amdhsa_accum_offset 4
		.amdhsa_reserve_vcc 0
		.amdhsa_reserve_flat_scratch 0
		.amdhsa_float_round_mode_32 0
		.amdhsa_float_round_mode_16_64 0
		.amdhsa_float_denorm_mode_32 3
		.amdhsa_float_denorm_mode_16_64 3
		.amdhsa_dx10_clamp 1
		.amdhsa_ieee_mode 1
		.amdhsa_fp16_overflow 0
		.amdhsa_tg_split 0
		.amdhsa_exception_fp_ieee_invalid_op 0
		.amdhsa_exception_fp_denorm_src 0
		.amdhsa_exception_fp_ieee_div_zero 0
		.amdhsa_exception_fp_ieee_overflow 0
		.amdhsa_exception_fp_ieee_underflow 0
		.amdhsa_exception_fp_ieee_inexact 0
		.amdhsa_exception_int_div_zero 0
	.end_amdhsa_kernel
	.section	.text._ZN7rocprim17ROCPRIM_400000_NS6detail17trampoline_kernelINS0_14default_configENS1_38merge_sort_block_merge_config_selectorIiNS0_10empty_typeEEEZZNS1_27merge_sort_block_merge_implIS3_N6thrust23THRUST_200600_302600_NS6detail15normal_iteratorINS9_10device_ptrIiEEEEPS5_jNS1_19radix_merge_compareILb0ELb0EiNS0_19identity_decomposerEEEEE10hipError_tT0_T1_T2_jT3_P12ihipStream_tbPNSt15iterator_traitsISK_E10value_typeEPNSQ_ISL_E10value_typeEPSM_NS1_7vsmem_tEENKUlT_SK_SL_SM_E_clISE_PiSF_SF_EESJ_SZ_SK_SL_SM_EUlSZ_E_NS1_11comp_targetILNS1_3genE0ELNS1_11target_archE4294967295ELNS1_3gpuE0ELNS1_3repE0EEENS1_48merge_mergepath_partition_config_static_selectorELNS0_4arch9wavefront6targetE1EEEvSL_,"axG",@progbits,_ZN7rocprim17ROCPRIM_400000_NS6detail17trampoline_kernelINS0_14default_configENS1_38merge_sort_block_merge_config_selectorIiNS0_10empty_typeEEEZZNS1_27merge_sort_block_merge_implIS3_N6thrust23THRUST_200600_302600_NS6detail15normal_iteratorINS9_10device_ptrIiEEEEPS5_jNS1_19radix_merge_compareILb0ELb0EiNS0_19identity_decomposerEEEEE10hipError_tT0_T1_T2_jT3_P12ihipStream_tbPNSt15iterator_traitsISK_E10value_typeEPNSQ_ISL_E10value_typeEPSM_NS1_7vsmem_tEENKUlT_SK_SL_SM_E_clISE_PiSF_SF_EESJ_SZ_SK_SL_SM_EUlSZ_E_NS1_11comp_targetILNS1_3genE0ELNS1_11target_archE4294967295ELNS1_3gpuE0ELNS1_3repE0EEENS1_48merge_mergepath_partition_config_static_selectorELNS0_4arch9wavefront6targetE1EEEvSL_,comdat
.Lfunc_end1638:
	.size	_ZN7rocprim17ROCPRIM_400000_NS6detail17trampoline_kernelINS0_14default_configENS1_38merge_sort_block_merge_config_selectorIiNS0_10empty_typeEEEZZNS1_27merge_sort_block_merge_implIS3_N6thrust23THRUST_200600_302600_NS6detail15normal_iteratorINS9_10device_ptrIiEEEEPS5_jNS1_19radix_merge_compareILb0ELb0EiNS0_19identity_decomposerEEEEE10hipError_tT0_T1_T2_jT3_P12ihipStream_tbPNSt15iterator_traitsISK_E10value_typeEPNSQ_ISL_E10value_typeEPSM_NS1_7vsmem_tEENKUlT_SK_SL_SM_E_clISE_PiSF_SF_EESJ_SZ_SK_SL_SM_EUlSZ_E_NS1_11comp_targetILNS1_3genE0ELNS1_11target_archE4294967295ELNS1_3gpuE0ELNS1_3repE0EEENS1_48merge_mergepath_partition_config_static_selectorELNS0_4arch9wavefront6targetE1EEEvSL_, .Lfunc_end1638-_ZN7rocprim17ROCPRIM_400000_NS6detail17trampoline_kernelINS0_14default_configENS1_38merge_sort_block_merge_config_selectorIiNS0_10empty_typeEEEZZNS1_27merge_sort_block_merge_implIS3_N6thrust23THRUST_200600_302600_NS6detail15normal_iteratorINS9_10device_ptrIiEEEEPS5_jNS1_19radix_merge_compareILb0ELb0EiNS0_19identity_decomposerEEEEE10hipError_tT0_T1_T2_jT3_P12ihipStream_tbPNSt15iterator_traitsISK_E10value_typeEPNSQ_ISL_E10value_typeEPSM_NS1_7vsmem_tEENKUlT_SK_SL_SM_E_clISE_PiSF_SF_EESJ_SZ_SK_SL_SM_EUlSZ_E_NS1_11comp_targetILNS1_3genE0ELNS1_11target_archE4294967295ELNS1_3gpuE0ELNS1_3repE0EEENS1_48merge_mergepath_partition_config_static_selectorELNS0_4arch9wavefront6targetE1EEEvSL_
                                        ; -- End function
	.section	.AMDGPU.csdata,"",@progbits
; Kernel info:
; codeLenInByte = 0
; NumSgprs: 4
; NumVgprs: 0
; NumAgprs: 0
; TotalNumVgprs: 0
; ScratchSize: 0
; MemoryBound: 0
; FloatMode: 240
; IeeeMode: 1
; LDSByteSize: 0 bytes/workgroup (compile time only)
; SGPRBlocks: 0
; VGPRBlocks: 0
; NumSGPRsForWavesPerEU: 4
; NumVGPRsForWavesPerEU: 1
; AccumOffset: 4
; Occupancy: 8
; WaveLimiterHint : 0
; COMPUTE_PGM_RSRC2:SCRATCH_EN: 0
; COMPUTE_PGM_RSRC2:USER_SGPR: 6
; COMPUTE_PGM_RSRC2:TRAP_HANDLER: 0
; COMPUTE_PGM_RSRC2:TGID_X_EN: 1
; COMPUTE_PGM_RSRC2:TGID_Y_EN: 0
; COMPUTE_PGM_RSRC2:TGID_Z_EN: 0
; COMPUTE_PGM_RSRC2:TIDIG_COMP_CNT: 0
; COMPUTE_PGM_RSRC3_GFX90A:ACCUM_OFFSET: 0
; COMPUTE_PGM_RSRC3_GFX90A:TG_SPLIT: 0
	.section	.text._ZN7rocprim17ROCPRIM_400000_NS6detail17trampoline_kernelINS0_14default_configENS1_38merge_sort_block_merge_config_selectorIiNS0_10empty_typeEEEZZNS1_27merge_sort_block_merge_implIS3_N6thrust23THRUST_200600_302600_NS6detail15normal_iteratorINS9_10device_ptrIiEEEEPS5_jNS1_19radix_merge_compareILb0ELb0EiNS0_19identity_decomposerEEEEE10hipError_tT0_T1_T2_jT3_P12ihipStream_tbPNSt15iterator_traitsISK_E10value_typeEPNSQ_ISL_E10value_typeEPSM_NS1_7vsmem_tEENKUlT_SK_SL_SM_E_clISE_PiSF_SF_EESJ_SZ_SK_SL_SM_EUlSZ_E_NS1_11comp_targetILNS1_3genE10ELNS1_11target_archE1201ELNS1_3gpuE5ELNS1_3repE0EEENS1_48merge_mergepath_partition_config_static_selectorELNS0_4arch9wavefront6targetE1EEEvSL_,"axG",@progbits,_ZN7rocprim17ROCPRIM_400000_NS6detail17trampoline_kernelINS0_14default_configENS1_38merge_sort_block_merge_config_selectorIiNS0_10empty_typeEEEZZNS1_27merge_sort_block_merge_implIS3_N6thrust23THRUST_200600_302600_NS6detail15normal_iteratorINS9_10device_ptrIiEEEEPS5_jNS1_19radix_merge_compareILb0ELb0EiNS0_19identity_decomposerEEEEE10hipError_tT0_T1_T2_jT3_P12ihipStream_tbPNSt15iterator_traitsISK_E10value_typeEPNSQ_ISL_E10value_typeEPSM_NS1_7vsmem_tEENKUlT_SK_SL_SM_E_clISE_PiSF_SF_EESJ_SZ_SK_SL_SM_EUlSZ_E_NS1_11comp_targetILNS1_3genE10ELNS1_11target_archE1201ELNS1_3gpuE5ELNS1_3repE0EEENS1_48merge_mergepath_partition_config_static_selectorELNS0_4arch9wavefront6targetE1EEEvSL_,comdat
	.protected	_ZN7rocprim17ROCPRIM_400000_NS6detail17trampoline_kernelINS0_14default_configENS1_38merge_sort_block_merge_config_selectorIiNS0_10empty_typeEEEZZNS1_27merge_sort_block_merge_implIS3_N6thrust23THRUST_200600_302600_NS6detail15normal_iteratorINS9_10device_ptrIiEEEEPS5_jNS1_19radix_merge_compareILb0ELb0EiNS0_19identity_decomposerEEEEE10hipError_tT0_T1_T2_jT3_P12ihipStream_tbPNSt15iterator_traitsISK_E10value_typeEPNSQ_ISL_E10value_typeEPSM_NS1_7vsmem_tEENKUlT_SK_SL_SM_E_clISE_PiSF_SF_EESJ_SZ_SK_SL_SM_EUlSZ_E_NS1_11comp_targetILNS1_3genE10ELNS1_11target_archE1201ELNS1_3gpuE5ELNS1_3repE0EEENS1_48merge_mergepath_partition_config_static_selectorELNS0_4arch9wavefront6targetE1EEEvSL_ ; -- Begin function _ZN7rocprim17ROCPRIM_400000_NS6detail17trampoline_kernelINS0_14default_configENS1_38merge_sort_block_merge_config_selectorIiNS0_10empty_typeEEEZZNS1_27merge_sort_block_merge_implIS3_N6thrust23THRUST_200600_302600_NS6detail15normal_iteratorINS9_10device_ptrIiEEEEPS5_jNS1_19radix_merge_compareILb0ELb0EiNS0_19identity_decomposerEEEEE10hipError_tT0_T1_T2_jT3_P12ihipStream_tbPNSt15iterator_traitsISK_E10value_typeEPNSQ_ISL_E10value_typeEPSM_NS1_7vsmem_tEENKUlT_SK_SL_SM_E_clISE_PiSF_SF_EESJ_SZ_SK_SL_SM_EUlSZ_E_NS1_11comp_targetILNS1_3genE10ELNS1_11target_archE1201ELNS1_3gpuE5ELNS1_3repE0EEENS1_48merge_mergepath_partition_config_static_selectorELNS0_4arch9wavefront6targetE1EEEvSL_
	.globl	_ZN7rocprim17ROCPRIM_400000_NS6detail17trampoline_kernelINS0_14default_configENS1_38merge_sort_block_merge_config_selectorIiNS0_10empty_typeEEEZZNS1_27merge_sort_block_merge_implIS3_N6thrust23THRUST_200600_302600_NS6detail15normal_iteratorINS9_10device_ptrIiEEEEPS5_jNS1_19radix_merge_compareILb0ELb0EiNS0_19identity_decomposerEEEEE10hipError_tT0_T1_T2_jT3_P12ihipStream_tbPNSt15iterator_traitsISK_E10value_typeEPNSQ_ISL_E10value_typeEPSM_NS1_7vsmem_tEENKUlT_SK_SL_SM_E_clISE_PiSF_SF_EESJ_SZ_SK_SL_SM_EUlSZ_E_NS1_11comp_targetILNS1_3genE10ELNS1_11target_archE1201ELNS1_3gpuE5ELNS1_3repE0EEENS1_48merge_mergepath_partition_config_static_selectorELNS0_4arch9wavefront6targetE1EEEvSL_
	.p2align	8
	.type	_ZN7rocprim17ROCPRIM_400000_NS6detail17trampoline_kernelINS0_14default_configENS1_38merge_sort_block_merge_config_selectorIiNS0_10empty_typeEEEZZNS1_27merge_sort_block_merge_implIS3_N6thrust23THRUST_200600_302600_NS6detail15normal_iteratorINS9_10device_ptrIiEEEEPS5_jNS1_19radix_merge_compareILb0ELb0EiNS0_19identity_decomposerEEEEE10hipError_tT0_T1_T2_jT3_P12ihipStream_tbPNSt15iterator_traitsISK_E10value_typeEPNSQ_ISL_E10value_typeEPSM_NS1_7vsmem_tEENKUlT_SK_SL_SM_E_clISE_PiSF_SF_EESJ_SZ_SK_SL_SM_EUlSZ_E_NS1_11comp_targetILNS1_3genE10ELNS1_11target_archE1201ELNS1_3gpuE5ELNS1_3repE0EEENS1_48merge_mergepath_partition_config_static_selectorELNS0_4arch9wavefront6targetE1EEEvSL_,@function
_ZN7rocprim17ROCPRIM_400000_NS6detail17trampoline_kernelINS0_14default_configENS1_38merge_sort_block_merge_config_selectorIiNS0_10empty_typeEEEZZNS1_27merge_sort_block_merge_implIS3_N6thrust23THRUST_200600_302600_NS6detail15normal_iteratorINS9_10device_ptrIiEEEEPS5_jNS1_19radix_merge_compareILb0ELb0EiNS0_19identity_decomposerEEEEE10hipError_tT0_T1_T2_jT3_P12ihipStream_tbPNSt15iterator_traitsISK_E10value_typeEPNSQ_ISL_E10value_typeEPSM_NS1_7vsmem_tEENKUlT_SK_SL_SM_E_clISE_PiSF_SF_EESJ_SZ_SK_SL_SM_EUlSZ_E_NS1_11comp_targetILNS1_3genE10ELNS1_11target_archE1201ELNS1_3gpuE5ELNS1_3repE0EEENS1_48merge_mergepath_partition_config_static_selectorELNS0_4arch9wavefront6targetE1EEEvSL_: ; @_ZN7rocprim17ROCPRIM_400000_NS6detail17trampoline_kernelINS0_14default_configENS1_38merge_sort_block_merge_config_selectorIiNS0_10empty_typeEEEZZNS1_27merge_sort_block_merge_implIS3_N6thrust23THRUST_200600_302600_NS6detail15normal_iteratorINS9_10device_ptrIiEEEEPS5_jNS1_19radix_merge_compareILb0ELb0EiNS0_19identity_decomposerEEEEE10hipError_tT0_T1_T2_jT3_P12ihipStream_tbPNSt15iterator_traitsISK_E10value_typeEPNSQ_ISL_E10value_typeEPSM_NS1_7vsmem_tEENKUlT_SK_SL_SM_E_clISE_PiSF_SF_EESJ_SZ_SK_SL_SM_EUlSZ_E_NS1_11comp_targetILNS1_3genE10ELNS1_11target_archE1201ELNS1_3gpuE5ELNS1_3repE0EEENS1_48merge_mergepath_partition_config_static_selectorELNS0_4arch9wavefront6targetE1EEEvSL_
; %bb.0:
	.section	.rodata,"a",@progbits
	.p2align	6, 0x0
	.amdhsa_kernel _ZN7rocprim17ROCPRIM_400000_NS6detail17trampoline_kernelINS0_14default_configENS1_38merge_sort_block_merge_config_selectorIiNS0_10empty_typeEEEZZNS1_27merge_sort_block_merge_implIS3_N6thrust23THRUST_200600_302600_NS6detail15normal_iteratorINS9_10device_ptrIiEEEEPS5_jNS1_19radix_merge_compareILb0ELb0EiNS0_19identity_decomposerEEEEE10hipError_tT0_T1_T2_jT3_P12ihipStream_tbPNSt15iterator_traitsISK_E10value_typeEPNSQ_ISL_E10value_typeEPSM_NS1_7vsmem_tEENKUlT_SK_SL_SM_E_clISE_PiSF_SF_EESJ_SZ_SK_SL_SM_EUlSZ_E_NS1_11comp_targetILNS1_3genE10ELNS1_11target_archE1201ELNS1_3gpuE5ELNS1_3repE0EEENS1_48merge_mergepath_partition_config_static_selectorELNS0_4arch9wavefront6targetE1EEEvSL_
		.amdhsa_group_segment_fixed_size 0
		.amdhsa_private_segment_fixed_size 0
		.amdhsa_kernarg_size 40
		.amdhsa_user_sgpr_count 6
		.amdhsa_user_sgpr_private_segment_buffer 1
		.amdhsa_user_sgpr_dispatch_ptr 0
		.amdhsa_user_sgpr_queue_ptr 0
		.amdhsa_user_sgpr_kernarg_segment_ptr 1
		.amdhsa_user_sgpr_dispatch_id 0
		.amdhsa_user_sgpr_flat_scratch_init 0
		.amdhsa_user_sgpr_kernarg_preload_length 0
		.amdhsa_user_sgpr_kernarg_preload_offset 0
		.amdhsa_user_sgpr_private_segment_size 0
		.amdhsa_uses_dynamic_stack 0
		.amdhsa_system_sgpr_private_segment_wavefront_offset 0
		.amdhsa_system_sgpr_workgroup_id_x 1
		.amdhsa_system_sgpr_workgroup_id_y 0
		.amdhsa_system_sgpr_workgroup_id_z 0
		.amdhsa_system_sgpr_workgroup_info 0
		.amdhsa_system_vgpr_workitem_id 0
		.amdhsa_next_free_vgpr 1
		.amdhsa_next_free_sgpr 0
		.amdhsa_accum_offset 4
		.amdhsa_reserve_vcc 0
		.amdhsa_reserve_flat_scratch 0
		.amdhsa_float_round_mode_32 0
		.amdhsa_float_round_mode_16_64 0
		.amdhsa_float_denorm_mode_32 3
		.amdhsa_float_denorm_mode_16_64 3
		.amdhsa_dx10_clamp 1
		.amdhsa_ieee_mode 1
		.amdhsa_fp16_overflow 0
		.amdhsa_tg_split 0
		.amdhsa_exception_fp_ieee_invalid_op 0
		.amdhsa_exception_fp_denorm_src 0
		.amdhsa_exception_fp_ieee_div_zero 0
		.amdhsa_exception_fp_ieee_overflow 0
		.amdhsa_exception_fp_ieee_underflow 0
		.amdhsa_exception_fp_ieee_inexact 0
		.amdhsa_exception_int_div_zero 0
	.end_amdhsa_kernel
	.section	.text._ZN7rocprim17ROCPRIM_400000_NS6detail17trampoline_kernelINS0_14default_configENS1_38merge_sort_block_merge_config_selectorIiNS0_10empty_typeEEEZZNS1_27merge_sort_block_merge_implIS3_N6thrust23THRUST_200600_302600_NS6detail15normal_iteratorINS9_10device_ptrIiEEEEPS5_jNS1_19radix_merge_compareILb0ELb0EiNS0_19identity_decomposerEEEEE10hipError_tT0_T1_T2_jT3_P12ihipStream_tbPNSt15iterator_traitsISK_E10value_typeEPNSQ_ISL_E10value_typeEPSM_NS1_7vsmem_tEENKUlT_SK_SL_SM_E_clISE_PiSF_SF_EESJ_SZ_SK_SL_SM_EUlSZ_E_NS1_11comp_targetILNS1_3genE10ELNS1_11target_archE1201ELNS1_3gpuE5ELNS1_3repE0EEENS1_48merge_mergepath_partition_config_static_selectorELNS0_4arch9wavefront6targetE1EEEvSL_,"axG",@progbits,_ZN7rocprim17ROCPRIM_400000_NS6detail17trampoline_kernelINS0_14default_configENS1_38merge_sort_block_merge_config_selectorIiNS0_10empty_typeEEEZZNS1_27merge_sort_block_merge_implIS3_N6thrust23THRUST_200600_302600_NS6detail15normal_iteratorINS9_10device_ptrIiEEEEPS5_jNS1_19radix_merge_compareILb0ELb0EiNS0_19identity_decomposerEEEEE10hipError_tT0_T1_T2_jT3_P12ihipStream_tbPNSt15iterator_traitsISK_E10value_typeEPNSQ_ISL_E10value_typeEPSM_NS1_7vsmem_tEENKUlT_SK_SL_SM_E_clISE_PiSF_SF_EESJ_SZ_SK_SL_SM_EUlSZ_E_NS1_11comp_targetILNS1_3genE10ELNS1_11target_archE1201ELNS1_3gpuE5ELNS1_3repE0EEENS1_48merge_mergepath_partition_config_static_selectorELNS0_4arch9wavefront6targetE1EEEvSL_,comdat
.Lfunc_end1639:
	.size	_ZN7rocprim17ROCPRIM_400000_NS6detail17trampoline_kernelINS0_14default_configENS1_38merge_sort_block_merge_config_selectorIiNS0_10empty_typeEEEZZNS1_27merge_sort_block_merge_implIS3_N6thrust23THRUST_200600_302600_NS6detail15normal_iteratorINS9_10device_ptrIiEEEEPS5_jNS1_19radix_merge_compareILb0ELb0EiNS0_19identity_decomposerEEEEE10hipError_tT0_T1_T2_jT3_P12ihipStream_tbPNSt15iterator_traitsISK_E10value_typeEPNSQ_ISL_E10value_typeEPSM_NS1_7vsmem_tEENKUlT_SK_SL_SM_E_clISE_PiSF_SF_EESJ_SZ_SK_SL_SM_EUlSZ_E_NS1_11comp_targetILNS1_3genE10ELNS1_11target_archE1201ELNS1_3gpuE5ELNS1_3repE0EEENS1_48merge_mergepath_partition_config_static_selectorELNS0_4arch9wavefront6targetE1EEEvSL_, .Lfunc_end1639-_ZN7rocprim17ROCPRIM_400000_NS6detail17trampoline_kernelINS0_14default_configENS1_38merge_sort_block_merge_config_selectorIiNS0_10empty_typeEEEZZNS1_27merge_sort_block_merge_implIS3_N6thrust23THRUST_200600_302600_NS6detail15normal_iteratorINS9_10device_ptrIiEEEEPS5_jNS1_19radix_merge_compareILb0ELb0EiNS0_19identity_decomposerEEEEE10hipError_tT0_T1_T2_jT3_P12ihipStream_tbPNSt15iterator_traitsISK_E10value_typeEPNSQ_ISL_E10value_typeEPSM_NS1_7vsmem_tEENKUlT_SK_SL_SM_E_clISE_PiSF_SF_EESJ_SZ_SK_SL_SM_EUlSZ_E_NS1_11comp_targetILNS1_3genE10ELNS1_11target_archE1201ELNS1_3gpuE5ELNS1_3repE0EEENS1_48merge_mergepath_partition_config_static_selectorELNS0_4arch9wavefront6targetE1EEEvSL_
                                        ; -- End function
	.section	.AMDGPU.csdata,"",@progbits
; Kernel info:
; codeLenInByte = 0
; NumSgprs: 4
; NumVgprs: 0
; NumAgprs: 0
; TotalNumVgprs: 0
; ScratchSize: 0
; MemoryBound: 0
; FloatMode: 240
; IeeeMode: 1
; LDSByteSize: 0 bytes/workgroup (compile time only)
; SGPRBlocks: 0
; VGPRBlocks: 0
; NumSGPRsForWavesPerEU: 4
; NumVGPRsForWavesPerEU: 1
; AccumOffset: 4
; Occupancy: 8
; WaveLimiterHint : 0
; COMPUTE_PGM_RSRC2:SCRATCH_EN: 0
; COMPUTE_PGM_RSRC2:USER_SGPR: 6
; COMPUTE_PGM_RSRC2:TRAP_HANDLER: 0
; COMPUTE_PGM_RSRC2:TGID_X_EN: 1
; COMPUTE_PGM_RSRC2:TGID_Y_EN: 0
; COMPUTE_PGM_RSRC2:TGID_Z_EN: 0
; COMPUTE_PGM_RSRC2:TIDIG_COMP_CNT: 0
; COMPUTE_PGM_RSRC3_GFX90A:ACCUM_OFFSET: 0
; COMPUTE_PGM_RSRC3_GFX90A:TG_SPLIT: 0
	.section	.text._ZN7rocprim17ROCPRIM_400000_NS6detail17trampoline_kernelINS0_14default_configENS1_38merge_sort_block_merge_config_selectorIiNS0_10empty_typeEEEZZNS1_27merge_sort_block_merge_implIS3_N6thrust23THRUST_200600_302600_NS6detail15normal_iteratorINS9_10device_ptrIiEEEEPS5_jNS1_19radix_merge_compareILb0ELb0EiNS0_19identity_decomposerEEEEE10hipError_tT0_T1_T2_jT3_P12ihipStream_tbPNSt15iterator_traitsISK_E10value_typeEPNSQ_ISL_E10value_typeEPSM_NS1_7vsmem_tEENKUlT_SK_SL_SM_E_clISE_PiSF_SF_EESJ_SZ_SK_SL_SM_EUlSZ_E_NS1_11comp_targetILNS1_3genE5ELNS1_11target_archE942ELNS1_3gpuE9ELNS1_3repE0EEENS1_48merge_mergepath_partition_config_static_selectorELNS0_4arch9wavefront6targetE1EEEvSL_,"axG",@progbits,_ZN7rocprim17ROCPRIM_400000_NS6detail17trampoline_kernelINS0_14default_configENS1_38merge_sort_block_merge_config_selectorIiNS0_10empty_typeEEEZZNS1_27merge_sort_block_merge_implIS3_N6thrust23THRUST_200600_302600_NS6detail15normal_iteratorINS9_10device_ptrIiEEEEPS5_jNS1_19radix_merge_compareILb0ELb0EiNS0_19identity_decomposerEEEEE10hipError_tT0_T1_T2_jT3_P12ihipStream_tbPNSt15iterator_traitsISK_E10value_typeEPNSQ_ISL_E10value_typeEPSM_NS1_7vsmem_tEENKUlT_SK_SL_SM_E_clISE_PiSF_SF_EESJ_SZ_SK_SL_SM_EUlSZ_E_NS1_11comp_targetILNS1_3genE5ELNS1_11target_archE942ELNS1_3gpuE9ELNS1_3repE0EEENS1_48merge_mergepath_partition_config_static_selectorELNS0_4arch9wavefront6targetE1EEEvSL_,comdat
	.protected	_ZN7rocprim17ROCPRIM_400000_NS6detail17trampoline_kernelINS0_14default_configENS1_38merge_sort_block_merge_config_selectorIiNS0_10empty_typeEEEZZNS1_27merge_sort_block_merge_implIS3_N6thrust23THRUST_200600_302600_NS6detail15normal_iteratorINS9_10device_ptrIiEEEEPS5_jNS1_19radix_merge_compareILb0ELb0EiNS0_19identity_decomposerEEEEE10hipError_tT0_T1_T2_jT3_P12ihipStream_tbPNSt15iterator_traitsISK_E10value_typeEPNSQ_ISL_E10value_typeEPSM_NS1_7vsmem_tEENKUlT_SK_SL_SM_E_clISE_PiSF_SF_EESJ_SZ_SK_SL_SM_EUlSZ_E_NS1_11comp_targetILNS1_3genE5ELNS1_11target_archE942ELNS1_3gpuE9ELNS1_3repE0EEENS1_48merge_mergepath_partition_config_static_selectorELNS0_4arch9wavefront6targetE1EEEvSL_ ; -- Begin function _ZN7rocprim17ROCPRIM_400000_NS6detail17trampoline_kernelINS0_14default_configENS1_38merge_sort_block_merge_config_selectorIiNS0_10empty_typeEEEZZNS1_27merge_sort_block_merge_implIS3_N6thrust23THRUST_200600_302600_NS6detail15normal_iteratorINS9_10device_ptrIiEEEEPS5_jNS1_19radix_merge_compareILb0ELb0EiNS0_19identity_decomposerEEEEE10hipError_tT0_T1_T2_jT3_P12ihipStream_tbPNSt15iterator_traitsISK_E10value_typeEPNSQ_ISL_E10value_typeEPSM_NS1_7vsmem_tEENKUlT_SK_SL_SM_E_clISE_PiSF_SF_EESJ_SZ_SK_SL_SM_EUlSZ_E_NS1_11comp_targetILNS1_3genE5ELNS1_11target_archE942ELNS1_3gpuE9ELNS1_3repE0EEENS1_48merge_mergepath_partition_config_static_selectorELNS0_4arch9wavefront6targetE1EEEvSL_
	.globl	_ZN7rocprim17ROCPRIM_400000_NS6detail17trampoline_kernelINS0_14default_configENS1_38merge_sort_block_merge_config_selectorIiNS0_10empty_typeEEEZZNS1_27merge_sort_block_merge_implIS3_N6thrust23THRUST_200600_302600_NS6detail15normal_iteratorINS9_10device_ptrIiEEEEPS5_jNS1_19radix_merge_compareILb0ELb0EiNS0_19identity_decomposerEEEEE10hipError_tT0_T1_T2_jT3_P12ihipStream_tbPNSt15iterator_traitsISK_E10value_typeEPNSQ_ISL_E10value_typeEPSM_NS1_7vsmem_tEENKUlT_SK_SL_SM_E_clISE_PiSF_SF_EESJ_SZ_SK_SL_SM_EUlSZ_E_NS1_11comp_targetILNS1_3genE5ELNS1_11target_archE942ELNS1_3gpuE9ELNS1_3repE0EEENS1_48merge_mergepath_partition_config_static_selectorELNS0_4arch9wavefront6targetE1EEEvSL_
	.p2align	8
	.type	_ZN7rocprim17ROCPRIM_400000_NS6detail17trampoline_kernelINS0_14default_configENS1_38merge_sort_block_merge_config_selectorIiNS0_10empty_typeEEEZZNS1_27merge_sort_block_merge_implIS3_N6thrust23THRUST_200600_302600_NS6detail15normal_iteratorINS9_10device_ptrIiEEEEPS5_jNS1_19radix_merge_compareILb0ELb0EiNS0_19identity_decomposerEEEEE10hipError_tT0_T1_T2_jT3_P12ihipStream_tbPNSt15iterator_traitsISK_E10value_typeEPNSQ_ISL_E10value_typeEPSM_NS1_7vsmem_tEENKUlT_SK_SL_SM_E_clISE_PiSF_SF_EESJ_SZ_SK_SL_SM_EUlSZ_E_NS1_11comp_targetILNS1_3genE5ELNS1_11target_archE942ELNS1_3gpuE9ELNS1_3repE0EEENS1_48merge_mergepath_partition_config_static_selectorELNS0_4arch9wavefront6targetE1EEEvSL_,@function
_ZN7rocprim17ROCPRIM_400000_NS6detail17trampoline_kernelINS0_14default_configENS1_38merge_sort_block_merge_config_selectorIiNS0_10empty_typeEEEZZNS1_27merge_sort_block_merge_implIS3_N6thrust23THRUST_200600_302600_NS6detail15normal_iteratorINS9_10device_ptrIiEEEEPS5_jNS1_19radix_merge_compareILb0ELb0EiNS0_19identity_decomposerEEEEE10hipError_tT0_T1_T2_jT3_P12ihipStream_tbPNSt15iterator_traitsISK_E10value_typeEPNSQ_ISL_E10value_typeEPSM_NS1_7vsmem_tEENKUlT_SK_SL_SM_E_clISE_PiSF_SF_EESJ_SZ_SK_SL_SM_EUlSZ_E_NS1_11comp_targetILNS1_3genE5ELNS1_11target_archE942ELNS1_3gpuE9ELNS1_3repE0EEENS1_48merge_mergepath_partition_config_static_selectorELNS0_4arch9wavefront6targetE1EEEvSL_: ; @_ZN7rocprim17ROCPRIM_400000_NS6detail17trampoline_kernelINS0_14default_configENS1_38merge_sort_block_merge_config_selectorIiNS0_10empty_typeEEEZZNS1_27merge_sort_block_merge_implIS3_N6thrust23THRUST_200600_302600_NS6detail15normal_iteratorINS9_10device_ptrIiEEEEPS5_jNS1_19radix_merge_compareILb0ELb0EiNS0_19identity_decomposerEEEEE10hipError_tT0_T1_T2_jT3_P12ihipStream_tbPNSt15iterator_traitsISK_E10value_typeEPNSQ_ISL_E10value_typeEPSM_NS1_7vsmem_tEENKUlT_SK_SL_SM_E_clISE_PiSF_SF_EESJ_SZ_SK_SL_SM_EUlSZ_E_NS1_11comp_targetILNS1_3genE5ELNS1_11target_archE942ELNS1_3gpuE9ELNS1_3repE0EEENS1_48merge_mergepath_partition_config_static_selectorELNS0_4arch9wavefront6targetE1EEEvSL_
; %bb.0:
	.section	.rodata,"a",@progbits
	.p2align	6, 0x0
	.amdhsa_kernel _ZN7rocprim17ROCPRIM_400000_NS6detail17trampoline_kernelINS0_14default_configENS1_38merge_sort_block_merge_config_selectorIiNS0_10empty_typeEEEZZNS1_27merge_sort_block_merge_implIS3_N6thrust23THRUST_200600_302600_NS6detail15normal_iteratorINS9_10device_ptrIiEEEEPS5_jNS1_19radix_merge_compareILb0ELb0EiNS0_19identity_decomposerEEEEE10hipError_tT0_T1_T2_jT3_P12ihipStream_tbPNSt15iterator_traitsISK_E10value_typeEPNSQ_ISL_E10value_typeEPSM_NS1_7vsmem_tEENKUlT_SK_SL_SM_E_clISE_PiSF_SF_EESJ_SZ_SK_SL_SM_EUlSZ_E_NS1_11comp_targetILNS1_3genE5ELNS1_11target_archE942ELNS1_3gpuE9ELNS1_3repE0EEENS1_48merge_mergepath_partition_config_static_selectorELNS0_4arch9wavefront6targetE1EEEvSL_
		.amdhsa_group_segment_fixed_size 0
		.amdhsa_private_segment_fixed_size 0
		.amdhsa_kernarg_size 40
		.amdhsa_user_sgpr_count 6
		.amdhsa_user_sgpr_private_segment_buffer 1
		.amdhsa_user_sgpr_dispatch_ptr 0
		.amdhsa_user_sgpr_queue_ptr 0
		.amdhsa_user_sgpr_kernarg_segment_ptr 1
		.amdhsa_user_sgpr_dispatch_id 0
		.amdhsa_user_sgpr_flat_scratch_init 0
		.amdhsa_user_sgpr_kernarg_preload_length 0
		.amdhsa_user_sgpr_kernarg_preload_offset 0
		.amdhsa_user_sgpr_private_segment_size 0
		.amdhsa_uses_dynamic_stack 0
		.amdhsa_system_sgpr_private_segment_wavefront_offset 0
		.amdhsa_system_sgpr_workgroup_id_x 1
		.amdhsa_system_sgpr_workgroup_id_y 0
		.amdhsa_system_sgpr_workgroup_id_z 0
		.amdhsa_system_sgpr_workgroup_info 0
		.amdhsa_system_vgpr_workitem_id 0
		.amdhsa_next_free_vgpr 1
		.amdhsa_next_free_sgpr 0
		.amdhsa_accum_offset 4
		.amdhsa_reserve_vcc 0
		.amdhsa_reserve_flat_scratch 0
		.amdhsa_float_round_mode_32 0
		.amdhsa_float_round_mode_16_64 0
		.amdhsa_float_denorm_mode_32 3
		.amdhsa_float_denorm_mode_16_64 3
		.amdhsa_dx10_clamp 1
		.amdhsa_ieee_mode 1
		.amdhsa_fp16_overflow 0
		.amdhsa_tg_split 0
		.amdhsa_exception_fp_ieee_invalid_op 0
		.amdhsa_exception_fp_denorm_src 0
		.amdhsa_exception_fp_ieee_div_zero 0
		.amdhsa_exception_fp_ieee_overflow 0
		.amdhsa_exception_fp_ieee_underflow 0
		.amdhsa_exception_fp_ieee_inexact 0
		.amdhsa_exception_int_div_zero 0
	.end_amdhsa_kernel
	.section	.text._ZN7rocprim17ROCPRIM_400000_NS6detail17trampoline_kernelINS0_14default_configENS1_38merge_sort_block_merge_config_selectorIiNS0_10empty_typeEEEZZNS1_27merge_sort_block_merge_implIS3_N6thrust23THRUST_200600_302600_NS6detail15normal_iteratorINS9_10device_ptrIiEEEEPS5_jNS1_19radix_merge_compareILb0ELb0EiNS0_19identity_decomposerEEEEE10hipError_tT0_T1_T2_jT3_P12ihipStream_tbPNSt15iterator_traitsISK_E10value_typeEPNSQ_ISL_E10value_typeEPSM_NS1_7vsmem_tEENKUlT_SK_SL_SM_E_clISE_PiSF_SF_EESJ_SZ_SK_SL_SM_EUlSZ_E_NS1_11comp_targetILNS1_3genE5ELNS1_11target_archE942ELNS1_3gpuE9ELNS1_3repE0EEENS1_48merge_mergepath_partition_config_static_selectorELNS0_4arch9wavefront6targetE1EEEvSL_,"axG",@progbits,_ZN7rocprim17ROCPRIM_400000_NS6detail17trampoline_kernelINS0_14default_configENS1_38merge_sort_block_merge_config_selectorIiNS0_10empty_typeEEEZZNS1_27merge_sort_block_merge_implIS3_N6thrust23THRUST_200600_302600_NS6detail15normal_iteratorINS9_10device_ptrIiEEEEPS5_jNS1_19radix_merge_compareILb0ELb0EiNS0_19identity_decomposerEEEEE10hipError_tT0_T1_T2_jT3_P12ihipStream_tbPNSt15iterator_traitsISK_E10value_typeEPNSQ_ISL_E10value_typeEPSM_NS1_7vsmem_tEENKUlT_SK_SL_SM_E_clISE_PiSF_SF_EESJ_SZ_SK_SL_SM_EUlSZ_E_NS1_11comp_targetILNS1_3genE5ELNS1_11target_archE942ELNS1_3gpuE9ELNS1_3repE0EEENS1_48merge_mergepath_partition_config_static_selectorELNS0_4arch9wavefront6targetE1EEEvSL_,comdat
.Lfunc_end1640:
	.size	_ZN7rocprim17ROCPRIM_400000_NS6detail17trampoline_kernelINS0_14default_configENS1_38merge_sort_block_merge_config_selectorIiNS0_10empty_typeEEEZZNS1_27merge_sort_block_merge_implIS3_N6thrust23THRUST_200600_302600_NS6detail15normal_iteratorINS9_10device_ptrIiEEEEPS5_jNS1_19radix_merge_compareILb0ELb0EiNS0_19identity_decomposerEEEEE10hipError_tT0_T1_T2_jT3_P12ihipStream_tbPNSt15iterator_traitsISK_E10value_typeEPNSQ_ISL_E10value_typeEPSM_NS1_7vsmem_tEENKUlT_SK_SL_SM_E_clISE_PiSF_SF_EESJ_SZ_SK_SL_SM_EUlSZ_E_NS1_11comp_targetILNS1_3genE5ELNS1_11target_archE942ELNS1_3gpuE9ELNS1_3repE0EEENS1_48merge_mergepath_partition_config_static_selectorELNS0_4arch9wavefront6targetE1EEEvSL_, .Lfunc_end1640-_ZN7rocprim17ROCPRIM_400000_NS6detail17trampoline_kernelINS0_14default_configENS1_38merge_sort_block_merge_config_selectorIiNS0_10empty_typeEEEZZNS1_27merge_sort_block_merge_implIS3_N6thrust23THRUST_200600_302600_NS6detail15normal_iteratorINS9_10device_ptrIiEEEEPS5_jNS1_19radix_merge_compareILb0ELb0EiNS0_19identity_decomposerEEEEE10hipError_tT0_T1_T2_jT3_P12ihipStream_tbPNSt15iterator_traitsISK_E10value_typeEPNSQ_ISL_E10value_typeEPSM_NS1_7vsmem_tEENKUlT_SK_SL_SM_E_clISE_PiSF_SF_EESJ_SZ_SK_SL_SM_EUlSZ_E_NS1_11comp_targetILNS1_3genE5ELNS1_11target_archE942ELNS1_3gpuE9ELNS1_3repE0EEENS1_48merge_mergepath_partition_config_static_selectorELNS0_4arch9wavefront6targetE1EEEvSL_
                                        ; -- End function
	.section	.AMDGPU.csdata,"",@progbits
; Kernel info:
; codeLenInByte = 0
; NumSgprs: 4
; NumVgprs: 0
; NumAgprs: 0
; TotalNumVgprs: 0
; ScratchSize: 0
; MemoryBound: 0
; FloatMode: 240
; IeeeMode: 1
; LDSByteSize: 0 bytes/workgroup (compile time only)
; SGPRBlocks: 0
; VGPRBlocks: 0
; NumSGPRsForWavesPerEU: 4
; NumVGPRsForWavesPerEU: 1
; AccumOffset: 4
; Occupancy: 8
; WaveLimiterHint : 0
; COMPUTE_PGM_RSRC2:SCRATCH_EN: 0
; COMPUTE_PGM_RSRC2:USER_SGPR: 6
; COMPUTE_PGM_RSRC2:TRAP_HANDLER: 0
; COMPUTE_PGM_RSRC2:TGID_X_EN: 1
; COMPUTE_PGM_RSRC2:TGID_Y_EN: 0
; COMPUTE_PGM_RSRC2:TGID_Z_EN: 0
; COMPUTE_PGM_RSRC2:TIDIG_COMP_CNT: 0
; COMPUTE_PGM_RSRC3_GFX90A:ACCUM_OFFSET: 0
; COMPUTE_PGM_RSRC3_GFX90A:TG_SPLIT: 0
	.section	.text._ZN7rocprim17ROCPRIM_400000_NS6detail17trampoline_kernelINS0_14default_configENS1_38merge_sort_block_merge_config_selectorIiNS0_10empty_typeEEEZZNS1_27merge_sort_block_merge_implIS3_N6thrust23THRUST_200600_302600_NS6detail15normal_iteratorINS9_10device_ptrIiEEEEPS5_jNS1_19radix_merge_compareILb0ELb0EiNS0_19identity_decomposerEEEEE10hipError_tT0_T1_T2_jT3_P12ihipStream_tbPNSt15iterator_traitsISK_E10value_typeEPNSQ_ISL_E10value_typeEPSM_NS1_7vsmem_tEENKUlT_SK_SL_SM_E_clISE_PiSF_SF_EESJ_SZ_SK_SL_SM_EUlSZ_E_NS1_11comp_targetILNS1_3genE4ELNS1_11target_archE910ELNS1_3gpuE8ELNS1_3repE0EEENS1_48merge_mergepath_partition_config_static_selectorELNS0_4arch9wavefront6targetE1EEEvSL_,"axG",@progbits,_ZN7rocprim17ROCPRIM_400000_NS6detail17trampoline_kernelINS0_14default_configENS1_38merge_sort_block_merge_config_selectorIiNS0_10empty_typeEEEZZNS1_27merge_sort_block_merge_implIS3_N6thrust23THRUST_200600_302600_NS6detail15normal_iteratorINS9_10device_ptrIiEEEEPS5_jNS1_19radix_merge_compareILb0ELb0EiNS0_19identity_decomposerEEEEE10hipError_tT0_T1_T2_jT3_P12ihipStream_tbPNSt15iterator_traitsISK_E10value_typeEPNSQ_ISL_E10value_typeEPSM_NS1_7vsmem_tEENKUlT_SK_SL_SM_E_clISE_PiSF_SF_EESJ_SZ_SK_SL_SM_EUlSZ_E_NS1_11comp_targetILNS1_3genE4ELNS1_11target_archE910ELNS1_3gpuE8ELNS1_3repE0EEENS1_48merge_mergepath_partition_config_static_selectorELNS0_4arch9wavefront6targetE1EEEvSL_,comdat
	.protected	_ZN7rocprim17ROCPRIM_400000_NS6detail17trampoline_kernelINS0_14default_configENS1_38merge_sort_block_merge_config_selectorIiNS0_10empty_typeEEEZZNS1_27merge_sort_block_merge_implIS3_N6thrust23THRUST_200600_302600_NS6detail15normal_iteratorINS9_10device_ptrIiEEEEPS5_jNS1_19radix_merge_compareILb0ELb0EiNS0_19identity_decomposerEEEEE10hipError_tT0_T1_T2_jT3_P12ihipStream_tbPNSt15iterator_traitsISK_E10value_typeEPNSQ_ISL_E10value_typeEPSM_NS1_7vsmem_tEENKUlT_SK_SL_SM_E_clISE_PiSF_SF_EESJ_SZ_SK_SL_SM_EUlSZ_E_NS1_11comp_targetILNS1_3genE4ELNS1_11target_archE910ELNS1_3gpuE8ELNS1_3repE0EEENS1_48merge_mergepath_partition_config_static_selectorELNS0_4arch9wavefront6targetE1EEEvSL_ ; -- Begin function _ZN7rocprim17ROCPRIM_400000_NS6detail17trampoline_kernelINS0_14default_configENS1_38merge_sort_block_merge_config_selectorIiNS0_10empty_typeEEEZZNS1_27merge_sort_block_merge_implIS3_N6thrust23THRUST_200600_302600_NS6detail15normal_iteratorINS9_10device_ptrIiEEEEPS5_jNS1_19radix_merge_compareILb0ELb0EiNS0_19identity_decomposerEEEEE10hipError_tT0_T1_T2_jT3_P12ihipStream_tbPNSt15iterator_traitsISK_E10value_typeEPNSQ_ISL_E10value_typeEPSM_NS1_7vsmem_tEENKUlT_SK_SL_SM_E_clISE_PiSF_SF_EESJ_SZ_SK_SL_SM_EUlSZ_E_NS1_11comp_targetILNS1_3genE4ELNS1_11target_archE910ELNS1_3gpuE8ELNS1_3repE0EEENS1_48merge_mergepath_partition_config_static_selectorELNS0_4arch9wavefront6targetE1EEEvSL_
	.globl	_ZN7rocprim17ROCPRIM_400000_NS6detail17trampoline_kernelINS0_14default_configENS1_38merge_sort_block_merge_config_selectorIiNS0_10empty_typeEEEZZNS1_27merge_sort_block_merge_implIS3_N6thrust23THRUST_200600_302600_NS6detail15normal_iteratorINS9_10device_ptrIiEEEEPS5_jNS1_19radix_merge_compareILb0ELb0EiNS0_19identity_decomposerEEEEE10hipError_tT0_T1_T2_jT3_P12ihipStream_tbPNSt15iterator_traitsISK_E10value_typeEPNSQ_ISL_E10value_typeEPSM_NS1_7vsmem_tEENKUlT_SK_SL_SM_E_clISE_PiSF_SF_EESJ_SZ_SK_SL_SM_EUlSZ_E_NS1_11comp_targetILNS1_3genE4ELNS1_11target_archE910ELNS1_3gpuE8ELNS1_3repE0EEENS1_48merge_mergepath_partition_config_static_selectorELNS0_4arch9wavefront6targetE1EEEvSL_
	.p2align	8
	.type	_ZN7rocprim17ROCPRIM_400000_NS6detail17trampoline_kernelINS0_14default_configENS1_38merge_sort_block_merge_config_selectorIiNS0_10empty_typeEEEZZNS1_27merge_sort_block_merge_implIS3_N6thrust23THRUST_200600_302600_NS6detail15normal_iteratorINS9_10device_ptrIiEEEEPS5_jNS1_19radix_merge_compareILb0ELb0EiNS0_19identity_decomposerEEEEE10hipError_tT0_T1_T2_jT3_P12ihipStream_tbPNSt15iterator_traitsISK_E10value_typeEPNSQ_ISL_E10value_typeEPSM_NS1_7vsmem_tEENKUlT_SK_SL_SM_E_clISE_PiSF_SF_EESJ_SZ_SK_SL_SM_EUlSZ_E_NS1_11comp_targetILNS1_3genE4ELNS1_11target_archE910ELNS1_3gpuE8ELNS1_3repE0EEENS1_48merge_mergepath_partition_config_static_selectorELNS0_4arch9wavefront6targetE1EEEvSL_,@function
_ZN7rocprim17ROCPRIM_400000_NS6detail17trampoline_kernelINS0_14default_configENS1_38merge_sort_block_merge_config_selectorIiNS0_10empty_typeEEEZZNS1_27merge_sort_block_merge_implIS3_N6thrust23THRUST_200600_302600_NS6detail15normal_iteratorINS9_10device_ptrIiEEEEPS5_jNS1_19radix_merge_compareILb0ELb0EiNS0_19identity_decomposerEEEEE10hipError_tT0_T1_T2_jT3_P12ihipStream_tbPNSt15iterator_traitsISK_E10value_typeEPNSQ_ISL_E10value_typeEPSM_NS1_7vsmem_tEENKUlT_SK_SL_SM_E_clISE_PiSF_SF_EESJ_SZ_SK_SL_SM_EUlSZ_E_NS1_11comp_targetILNS1_3genE4ELNS1_11target_archE910ELNS1_3gpuE8ELNS1_3repE0EEENS1_48merge_mergepath_partition_config_static_selectorELNS0_4arch9wavefront6targetE1EEEvSL_: ; @_ZN7rocprim17ROCPRIM_400000_NS6detail17trampoline_kernelINS0_14default_configENS1_38merge_sort_block_merge_config_selectorIiNS0_10empty_typeEEEZZNS1_27merge_sort_block_merge_implIS3_N6thrust23THRUST_200600_302600_NS6detail15normal_iteratorINS9_10device_ptrIiEEEEPS5_jNS1_19radix_merge_compareILb0ELb0EiNS0_19identity_decomposerEEEEE10hipError_tT0_T1_T2_jT3_P12ihipStream_tbPNSt15iterator_traitsISK_E10value_typeEPNSQ_ISL_E10value_typeEPSM_NS1_7vsmem_tEENKUlT_SK_SL_SM_E_clISE_PiSF_SF_EESJ_SZ_SK_SL_SM_EUlSZ_E_NS1_11comp_targetILNS1_3genE4ELNS1_11target_archE910ELNS1_3gpuE8ELNS1_3repE0EEENS1_48merge_mergepath_partition_config_static_selectorELNS0_4arch9wavefront6targetE1EEEvSL_
; %bb.0:
	s_load_dword s0, s[4:5], 0x0
	v_lshl_or_b32 v0, s6, 7, v0
	s_waitcnt lgkmcnt(0)
	v_cmp_gt_u32_e32 vcc, s0, v0
	s_and_saveexec_b64 s[0:1], vcc
	s_cbranch_execz .LBB1641_6
; %bb.1:
	s_load_dwordx2 s[2:3], s[4:5], 0x4
	s_load_dwordx2 s[0:1], s[4:5], 0x20
	s_waitcnt lgkmcnt(0)
	s_lshr_b32 s6, s2, 9
	s_and_b32 s6, s6, 0x7ffffe
	s_add_i32 s7, s6, -1
	s_sub_i32 s6, 0, s6
	v_and_b32_e32 v1, s6, v0
	v_lshlrev_b32_e32 v1, 10, v1
	v_min_u32_e32 v2, s3, v1
	v_add_u32_e32 v1, s2, v1
	v_min_u32_e32 v4, s3, v1
	v_add_u32_e32 v1, s2, v4
	v_and_b32_e32 v3, s7, v0
	v_min_u32_e32 v1, s3, v1
	v_sub_u32_e32 v5, v1, v2
	v_lshlrev_b32_e32 v3, 10, v3
	v_min_u32_e32 v6, v5, v3
	v_sub_u32_e32 v3, v4, v2
	v_sub_u32_e32 v1, v1, v4
	v_sub_u32_e64 v1, v6, v1 clamp
	v_min_u32_e32 v7, v6, v3
	v_cmp_lt_u32_e32 vcc, v1, v7
	s_and_saveexec_b64 s[2:3], vcc
	s_cbranch_execz .LBB1641_5
; %bb.2:
	s_load_dwordx2 s[4:5], s[4:5], 0x10
	v_mov_b32_e32 v5, 0
	v_mov_b32_e32 v3, v5
	v_lshlrev_b64 v[8:9], 2, v[2:3]
	v_lshlrev_b64 v[10:11], 2, v[4:5]
	s_waitcnt lgkmcnt(0)
	v_mov_b32_e32 v12, s5
	v_add_co_u32_e32 v3, vcc, s4, v8
	v_addc_co_u32_e32 v8, vcc, v12, v9, vcc
	v_add_co_u32_e32 v9, vcc, s4, v10
	v_addc_co_u32_e32 v10, vcc, v12, v11, vcc
	s_mov_b64 s[4:5], 0
.LBB1641_3:                             ; =>This Inner Loop Header: Depth=1
	v_add_u32_e32 v4, v7, v1
	v_lshrrev_b32_e32 v4, 1, v4
	v_lshlrev_b64 v[14:15], 2, v[4:5]
	v_mov_b32_e32 v13, v5
	v_xad_u32 v12, v4, -1, v6
	v_add_co_u32_e32 v14, vcc, v3, v14
	v_addc_co_u32_e32 v15, vcc, v8, v15, vcc
	v_lshlrev_b64 v[12:13], 2, v[12:13]
	v_add_co_u32_e32 v12, vcc, v9, v12
	v_addc_co_u32_e32 v13, vcc, v10, v13, vcc
	flat_load_dword v11, v[14:15]
	flat_load_dword v16, v[12:13]
	v_add_u32_e32 v12, 1, v4
	s_waitcnt vmcnt(0) lgkmcnt(0)
	v_cmp_gt_i32_e32 vcc, v11, v16
	v_cndmask_b32_e32 v7, v7, v4, vcc
	v_cndmask_b32_e32 v1, v12, v1, vcc
	v_cmp_ge_u32_e32 vcc, v1, v7
	s_or_b64 s[4:5], vcc, s[4:5]
	s_andn2_b64 exec, exec, s[4:5]
	s_cbranch_execnz .LBB1641_3
; %bb.4:
	s_or_b64 exec, exec, s[4:5]
.LBB1641_5:
	s_or_b64 exec, exec, s[2:3]
	v_add_u32_e32 v2, v1, v2
	v_mov_b32_e32 v1, 0
	v_lshlrev_b64 v[0:1], 2, v[0:1]
	v_mov_b32_e32 v3, s1
	v_add_co_u32_e32 v0, vcc, s0, v0
	v_addc_co_u32_e32 v1, vcc, v3, v1, vcc
	global_store_dword v[0:1], v2, off
.LBB1641_6:
	s_endpgm
	.section	.rodata,"a",@progbits
	.p2align	6, 0x0
	.amdhsa_kernel _ZN7rocprim17ROCPRIM_400000_NS6detail17trampoline_kernelINS0_14default_configENS1_38merge_sort_block_merge_config_selectorIiNS0_10empty_typeEEEZZNS1_27merge_sort_block_merge_implIS3_N6thrust23THRUST_200600_302600_NS6detail15normal_iteratorINS9_10device_ptrIiEEEEPS5_jNS1_19radix_merge_compareILb0ELb0EiNS0_19identity_decomposerEEEEE10hipError_tT0_T1_T2_jT3_P12ihipStream_tbPNSt15iterator_traitsISK_E10value_typeEPNSQ_ISL_E10value_typeEPSM_NS1_7vsmem_tEENKUlT_SK_SL_SM_E_clISE_PiSF_SF_EESJ_SZ_SK_SL_SM_EUlSZ_E_NS1_11comp_targetILNS1_3genE4ELNS1_11target_archE910ELNS1_3gpuE8ELNS1_3repE0EEENS1_48merge_mergepath_partition_config_static_selectorELNS0_4arch9wavefront6targetE1EEEvSL_
		.amdhsa_group_segment_fixed_size 0
		.amdhsa_private_segment_fixed_size 0
		.amdhsa_kernarg_size 40
		.amdhsa_user_sgpr_count 6
		.amdhsa_user_sgpr_private_segment_buffer 1
		.amdhsa_user_sgpr_dispatch_ptr 0
		.amdhsa_user_sgpr_queue_ptr 0
		.amdhsa_user_sgpr_kernarg_segment_ptr 1
		.amdhsa_user_sgpr_dispatch_id 0
		.amdhsa_user_sgpr_flat_scratch_init 0
		.amdhsa_user_sgpr_kernarg_preload_length 0
		.amdhsa_user_sgpr_kernarg_preload_offset 0
		.amdhsa_user_sgpr_private_segment_size 0
		.amdhsa_uses_dynamic_stack 0
		.amdhsa_system_sgpr_private_segment_wavefront_offset 0
		.amdhsa_system_sgpr_workgroup_id_x 1
		.amdhsa_system_sgpr_workgroup_id_y 0
		.amdhsa_system_sgpr_workgroup_id_z 0
		.amdhsa_system_sgpr_workgroup_info 0
		.amdhsa_system_vgpr_workitem_id 0
		.amdhsa_next_free_vgpr 17
		.amdhsa_next_free_sgpr 8
		.amdhsa_accum_offset 20
		.amdhsa_reserve_vcc 1
		.amdhsa_reserve_flat_scratch 0
		.amdhsa_float_round_mode_32 0
		.amdhsa_float_round_mode_16_64 0
		.amdhsa_float_denorm_mode_32 3
		.amdhsa_float_denorm_mode_16_64 3
		.amdhsa_dx10_clamp 1
		.amdhsa_ieee_mode 1
		.amdhsa_fp16_overflow 0
		.amdhsa_tg_split 0
		.amdhsa_exception_fp_ieee_invalid_op 0
		.amdhsa_exception_fp_denorm_src 0
		.amdhsa_exception_fp_ieee_div_zero 0
		.amdhsa_exception_fp_ieee_overflow 0
		.amdhsa_exception_fp_ieee_underflow 0
		.amdhsa_exception_fp_ieee_inexact 0
		.amdhsa_exception_int_div_zero 0
	.end_amdhsa_kernel
	.section	.text._ZN7rocprim17ROCPRIM_400000_NS6detail17trampoline_kernelINS0_14default_configENS1_38merge_sort_block_merge_config_selectorIiNS0_10empty_typeEEEZZNS1_27merge_sort_block_merge_implIS3_N6thrust23THRUST_200600_302600_NS6detail15normal_iteratorINS9_10device_ptrIiEEEEPS5_jNS1_19radix_merge_compareILb0ELb0EiNS0_19identity_decomposerEEEEE10hipError_tT0_T1_T2_jT3_P12ihipStream_tbPNSt15iterator_traitsISK_E10value_typeEPNSQ_ISL_E10value_typeEPSM_NS1_7vsmem_tEENKUlT_SK_SL_SM_E_clISE_PiSF_SF_EESJ_SZ_SK_SL_SM_EUlSZ_E_NS1_11comp_targetILNS1_3genE4ELNS1_11target_archE910ELNS1_3gpuE8ELNS1_3repE0EEENS1_48merge_mergepath_partition_config_static_selectorELNS0_4arch9wavefront6targetE1EEEvSL_,"axG",@progbits,_ZN7rocprim17ROCPRIM_400000_NS6detail17trampoline_kernelINS0_14default_configENS1_38merge_sort_block_merge_config_selectorIiNS0_10empty_typeEEEZZNS1_27merge_sort_block_merge_implIS3_N6thrust23THRUST_200600_302600_NS6detail15normal_iteratorINS9_10device_ptrIiEEEEPS5_jNS1_19radix_merge_compareILb0ELb0EiNS0_19identity_decomposerEEEEE10hipError_tT0_T1_T2_jT3_P12ihipStream_tbPNSt15iterator_traitsISK_E10value_typeEPNSQ_ISL_E10value_typeEPSM_NS1_7vsmem_tEENKUlT_SK_SL_SM_E_clISE_PiSF_SF_EESJ_SZ_SK_SL_SM_EUlSZ_E_NS1_11comp_targetILNS1_3genE4ELNS1_11target_archE910ELNS1_3gpuE8ELNS1_3repE0EEENS1_48merge_mergepath_partition_config_static_selectorELNS0_4arch9wavefront6targetE1EEEvSL_,comdat
.Lfunc_end1641:
	.size	_ZN7rocprim17ROCPRIM_400000_NS6detail17trampoline_kernelINS0_14default_configENS1_38merge_sort_block_merge_config_selectorIiNS0_10empty_typeEEEZZNS1_27merge_sort_block_merge_implIS3_N6thrust23THRUST_200600_302600_NS6detail15normal_iteratorINS9_10device_ptrIiEEEEPS5_jNS1_19radix_merge_compareILb0ELb0EiNS0_19identity_decomposerEEEEE10hipError_tT0_T1_T2_jT3_P12ihipStream_tbPNSt15iterator_traitsISK_E10value_typeEPNSQ_ISL_E10value_typeEPSM_NS1_7vsmem_tEENKUlT_SK_SL_SM_E_clISE_PiSF_SF_EESJ_SZ_SK_SL_SM_EUlSZ_E_NS1_11comp_targetILNS1_3genE4ELNS1_11target_archE910ELNS1_3gpuE8ELNS1_3repE0EEENS1_48merge_mergepath_partition_config_static_selectorELNS0_4arch9wavefront6targetE1EEEvSL_, .Lfunc_end1641-_ZN7rocprim17ROCPRIM_400000_NS6detail17trampoline_kernelINS0_14default_configENS1_38merge_sort_block_merge_config_selectorIiNS0_10empty_typeEEEZZNS1_27merge_sort_block_merge_implIS3_N6thrust23THRUST_200600_302600_NS6detail15normal_iteratorINS9_10device_ptrIiEEEEPS5_jNS1_19radix_merge_compareILb0ELb0EiNS0_19identity_decomposerEEEEE10hipError_tT0_T1_T2_jT3_P12ihipStream_tbPNSt15iterator_traitsISK_E10value_typeEPNSQ_ISL_E10value_typeEPSM_NS1_7vsmem_tEENKUlT_SK_SL_SM_E_clISE_PiSF_SF_EESJ_SZ_SK_SL_SM_EUlSZ_E_NS1_11comp_targetILNS1_3genE4ELNS1_11target_archE910ELNS1_3gpuE8ELNS1_3repE0EEENS1_48merge_mergepath_partition_config_static_selectorELNS0_4arch9wavefront6targetE1EEEvSL_
                                        ; -- End function
	.section	.AMDGPU.csdata,"",@progbits
; Kernel info:
; codeLenInByte = 360
; NumSgprs: 12
; NumVgprs: 17
; NumAgprs: 0
; TotalNumVgprs: 17
; ScratchSize: 0
; MemoryBound: 0
; FloatMode: 240
; IeeeMode: 1
; LDSByteSize: 0 bytes/workgroup (compile time only)
; SGPRBlocks: 1
; VGPRBlocks: 2
; NumSGPRsForWavesPerEU: 12
; NumVGPRsForWavesPerEU: 17
; AccumOffset: 20
; Occupancy: 8
; WaveLimiterHint : 0
; COMPUTE_PGM_RSRC2:SCRATCH_EN: 0
; COMPUTE_PGM_RSRC2:USER_SGPR: 6
; COMPUTE_PGM_RSRC2:TRAP_HANDLER: 0
; COMPUTE_PGM_RSRC2:TGID_X_EN: 1
; COMPUTE_PGM_RSRC2:TGID_Y_EN: 0
; COMPUTE_PGM_RSRC2:TGID_Z_EN: 0
; COMPUTE_PGM_RSRC2:TIDIG_COMP_CNT: 0
; COMPUTE_PGM_RSRC3_GFX90A:ACCUM_OFFSET: 4
; COMPUTE_PGM_RSRC3_GFX90A:TG_SPLIT: 0
	.section	.text._ZN7rocprim17ROCPRIM_400000_NS6detail17trampoline_kernelINS0_14default_configENS1_38merge_sort_block_merge_config_selectorIiNS0_10empty_typeEEEZZNS1_27merge_sort_block_merge_implIS3_N6thrust23THRUST_200600_302600_NS6detail15normal_iteratorINS9_10device_ptrIiEEEEPS5_jNS1_19radix_merge_compareILb0ELb0EiNS0_19identity_decomposerEEEEE10hipError_tT0_T1_T2_jT3_P12ihipStream_tbPNSt15iterator_traitsISK_E10value_typeEPNSQ_ISL_E10value_typeEPSM_NS1_7vsmem_tEENKUlT_SK_SL_SM_E_clISE_PiSF_SF_EESJ_SZ_SK_SL_SM_EUlSZ_E_NS1_11comp_targetILNS1_3genE3ELNS1_11target_archE908ELNS1_3gpuE7ELNS1_3repE0EEENS1_48merge_mergepath_partition_config_static_selectorELNS0_4arch9wavefront6targetE1EEEvSL_,"axG",@progbits,_ZN7rocprim17ROCPRIM_400000_NS6detail17trampoline_kernelINS0_14default_configENS1_38merge_sort_block_merge_config_selectorIiNS0_10empty_typeEEEZZNS1_27merge_sort_block_merge_implIS3_N6thrust23THRUST_200600_302600_NS6detail15normal_iteratorINS9_10device_ptrIiEEEEPS5_jNS1_19radix_merge_compareILb0ELb0EiNS0_19identity_decomposerEEEEE10hipError_tT0_T1_T2_jT3_P12ihipStream_tbPNSt15iterator_traitsISK_E10value_typeEPNSQ_ISL_E10value_typeEPSM_NS1_7vsmem_tEENKUlT_SK_SL_SM_E_clISE_PiSF_SF_EESJ_SZ_SK_SL_SM_EUlSZ_E_NS1_11comp_targetILNS1_3genE3ELNS1_11target_archE908ELNS1_3gpuE7ELNS1_3repE0EEENS1_48merge_mergepath_partition_config_static_selectorELNS0_4arch9wavefront6targetE1EEEvSL_,comdat
	.protected	_ZN7rocprim17ROCPRIM_400000_NS6detail17trampoline_kernelINS0_14default_configENS1_38merge_sort_block_merge_config_selectorIiNS0_10empty_typeEEEZZNS1_27merge_sort_block_merge_implIS3_N6thrust23THRUST_200600_302600_NS6detail15normal_iteratorINS9_10device_ptrIiEEEEPS5_jNS1_19radix_merge_compareILb0ELb0EiNS0_19identity_decomposerEEEEE10hipError_tT0_T1_T2_jT3_P12ihipStream_tbPNSt15iterator_traitsISK_E10value_typeEPNSQ_ISL_E10value_typeEPSM_NS1_7vsmem_tEENKUlT_SK_SL_SM_E_clISE_PiSF_SF_EESJ_SZ_SK_SL_SM_EUlSZ_E_NS1_11comp_targetILNS1_3genE3ELNS1_11target_archE908ELNS1_3gpuE7ELNS1_3repE0EEENS1_48merge_mergepath_partition_config_static_selectorELNS0_4arch9wavefront6targetE1EEEvSL_ ; -- Begin function _ZN7rocprim17ROCPRIM_400000_NS6detail17trampoline_kernelINS0_14default_configENS1_38merge_sort_block_merge_config_selectorIiNS0_10empty_typeEEEZZNS1_27merge_sort_block_merge_implIS3_N6thrust23THRUST_200600_302600_NS6detail15normal_iteratorINS9_10device_ptrIiEEEEPS5_jNS1_19radix_merge_compareILb0ELb0EiNS0_19identity_decomposerEEEEE10hipError_tT0_T1_T2_jT3_P12ihipStream_tbPNSt15iterator_traitsISK_E10value_typeEPNSQ_ISL_E10value_typeEPSM_NS1_7vsmem_tEENKUlT_SK_SL_SM_E_clISE_PiSF_SF_EESJ_SZ_SK_SL_SM_EUlSZ_E_NS1_11comp_targetILNS1_3genE3ELNS1_11target_archE908ELNS1_3gpuE7ELNS1_3repE0EEENS1_48merge_mergepath_partition_config_static_selectorELNS0_4arch9wavefront6targetE1EEEvSL_
	.globl	_ZN7rocprim17ROCPRIM_400000_NS6detail17trampoline_kernelINS0_14default_configENS1_38merge_sort_block_merge_config_selectorIiNS0_10empty_typeEEEZZNS1_27merge_sort_block_merge_implIS3_N6thrust23THRUST_200600_302600_NS6detail15normal_iteratorINS9_10device_ptrIiEEEEPS5_jNS1_19radix_merge_compareILb0ELb0EiNS0_19identity_decomposerEEEEE10hipError_tT0_T1_T2_jT3_P12ihipStream_tbPNSt15iterator_traitsISK_E10value_typeEPNSQ_ISL_E10value_typeEPSM_NS1_7vsmem_tEENKUlT_SK_SL_SM_E_clISE_PiSF_SF_EESJ_SZ_SK_SL_SM_EUlSZ_E_NS1_11comp_targetILNS1_3genE3ELNS1_11target_archE908ELNS1_3gpuE7ELNS1_3repE0EEENS1_48merge_mergepath_partition_config_static_selectorELNS0_4arch9wavefront6targetE1EEEvSL_
	.p2align	8
	.type	_ZN7rocprim17ROCPRIM_400000_NS6detail17trampoline_kernelINS0_14default_configENS1_38merge_sort_block_merge_config_selectorIiNS0_10empty_typeEEEZZNS1_27merge_sort_block_merge_implIS3_N6thrust23THRUST_200600_302600_NS6detail15normal_iteratorINS9_10device_ptrIiEEEEPS5_jNS1_19radix_merge_compareILb0ELb0EiNS0_19identity_decomposerEEEEE10hipError_tT0_T1_T2_jT3_P12ihipStream_tbPNSt15iterator_traitsISK_E10value_typeEPNSQ_ISL_E10value_typeEPSM_NS1_7vsmem_tEENKUlT_SK_SL_SM_E_clISE_PiSF_SF_EESJ_SZ_SK_SL_SM_EUlSZ_E_NS1_11comp_targetILNS1_3genE3ELNS1_11target_archE908ELNS1_3gpuE7ELNS1_3repE0EEENS1_48merge_mergepath_partition_config_static_selectorELNS0_4arch9wavefront6targetE1EEEvSL_,@function
_ZN7rocprim17ROCPRIM_400000_NS6detail17trampoline_kernelINS0_14default_configENS1_38merge_sort_block_merge_config_selectorIiNS0_10empty_typeEEEZZNS1_27merge_sort_block_merge_implIS3_N6thrust23THRUST_200600_302600_NS6detail15normal_iteratorINS9_10device_ptrIiEEEEPS5_jNS1_19radix_merge_compareILb0ELb0EiNS0_19identity_decomposerEEEEE10hipError_tT0_T1_T2_jT3_P12ihipStream_tbPNSt15iterator_traitsISK_E10value_typeEPNSQ_ISL_E10value_typeEPSM_NS1_7vsmem_tEENKUlT_SK_SL_SM_E_clISE_PiSF_SF_EESJ_SZ_SK_SL_SM_EUlSZ_E_NS1_11comp_targetILNS1_3genE3ELNS1_11target_archE908ELNS1_3gpuE7ELNS1_3repE0EEENS1_48merge_mergepath_partition_config_static_selectorELNS0_4arch9wavefront6targetE1EEEvSL_: ; @_ZN7rocprim17ROCPRIM_400000_NS6detail17trampoline_kernelINS0_14default_configENS1_38merge_sort_block_merge_config_selectorIiNS0_10empty_typeEEEZZNS1_27merge_sort_block_merge_implIS3_N6thrust23THRUST_200600_302600_NS6detail15normal_iteratorINS9_10device_ptrIiEEEEPS5_jNS1_19radix_merge_compareILb0ELb0EiNS0_19identity_decomposerEEEEE10hipError_tT0_T1_T2_jT3_P12ihipStream_tbPNSt15iterator_traitsISK_E10value_typeEPNSQ_ISL_E10value_typeEPSM_NS1_7vsmem_tEENKUlT_SK_SL_SM_E_clISE_PiSF_SF_EESJ_SZ_SK_SL_SM_EUlSZ_E_NS1_11comp_targetILNS1_3genE3ELNS1_11target_archE908ELNS1_3gpuE7ELNS1_3repE0EEENS1_48merge_mergepath_partition_config_static_selectorELNS0_4arch9wavefront6targetE1EEEvSL_
; %bb.0:
	.section	.rodata,"a",@progbits
	.p2align	6, 0x0
	.amdhsa_kernel _ZN7rocprim17ROCPRIM_400000_NS6detail17trampoline_kernelINS0_14default_configENS1_38merge_sort_block_merge_config_selectorIiNS0_10empty_typeEEEZZNS1_27merge_sort_block_merge_implIS3_N6thrust23THRUST_200600_302600_NS6detail15normal_iteratorINS9_10device_ptrIiEEEEPS5_jNS1_19radix_merge_compareILb0ELb0EiNS0_19identity_decomposerEEEEE10hipError_tT0_T1_T2_jT3_P12ihipStream_tbPNSt15iterator_traitsISK_E10value_typeEPNSQ_ISL_E10value_typeEPSM_NS1_7vsmem_tEENKUlT_SK_SL_SM_E_clISE_PiSF_SF_EESJ_SZ_SK_SL_SM_EUlSZ_E_NS1_11comp_targetILNS1_3genE3ELNS1_11target_archE908ELNS1_3gpuE7ELNS1_3repE0EEENS1_48merge_mergepath_partition_config_static_selectorELNS0_4arch9wavefront6targetE1EEEvSL_
		.amdhsa_group_segment_fixed_size 0
		.amdhsa_private_segment_fixed_size 0
		.amdhsa_kernarg_size 40
		.amdhsa_user_sgpr_count 6
		.amdhsa_user_sgpr_private_segment_buffer 1
		.amdhsa_user_sgpr_dispatch_ptr 0
		.amdhsa_user_sgpr_queue_ptr 0
		.amdhsa_user_sgpr_kernarg_segment_ptr 1
		.amdhsa_user_sgpr_dispatch_id 0
		.amdhsa_user_sgpr_flat_scratch_init 0
		.amdhsa_user_sgpr_kernarg_preload_length 0
		.amdhsa_user_sgpr_kernarg_preload_offset 0
		.amdhsa_user_sgpr_private_segment_size 0
		.amdhsa_uses_dynamic_stack 0
		.amdhsa_system_sgpr_private_segment_wavefront_offset 0
		.amdhsa_system_sgpr_workgroup_id_x 1
		.amdhsa_system_sgpr_workgroup_id_y 0
		.amdhsa_system_sgpr_workgroup_id_z 0
		.amdhsa_system_sgpr_workgroup_info 0
		.amdhsa_system_vgpr_workitem_id 0
		.amdhsa_next_free_vgpr 1
		.amdhsa_next_free_sgpr 0
		.amdhsa_accum_offset 4
		.amdhsa_reserve_vcc 0
		.amdhsa_reserve_flat_scratch 0
		.amdhsa_float_round_mode_32 0
		.amdhsa_float_round_mode_16_64 0
		.amdhsa_float_denorm_mode_32 3
		.amdhsa_float_denorm_mode_16_64 3
		.amdhsa_dx10_clamp 1
		.amdhsa_ieee_mode 1
		.amdhsa_fp16_overflow 0
		.amdhsa_tg_split 0
		.amdhsa_exception_fp_ieee_invalid_op 0
		.amdhsa_exception_fp_denorm_src 0
		.amdhsa_exception_fp_ieee_div_zero 0
		.amdhsa_exception_fp_ieee_overflow 0
		.amdhsa_exception_fp_ieee_underflow 0
		.amdhsa_exception_fp_ieee_inexact 0
		.amdhsa_exception_int_div_zero 0
	.end_amdhsa_kernel
	.section	.text._ZN7rocprim17ROCPRIM_400000_NS6detail17trampoline_kernelINS0_14default_configENS1_38merge_sort_block_merge_config_selectorIiNS0_10empty_typeEEEZZNS1_27merge_sort_block_merge_implIS3_N6thrust23THRUST_200600_302600_NS6detail15normal_iteratorINS9_10device_ptrIiEEEEPS5_jNS1_19radix_merge_compareILb0ELb0EiNS0_19identity_decomposerEEEEE10hipError_tT0_T1_T2_jT3_P12ihipStream_tbPNSt15iterator_traitsISK_E10value_typeEPNSQ_ISL_E10value_typeEPSM_NS1_7vsmem_tEENKUlT_SK_SL_SM_E_clISE_PiSF_SF_EESJ_SZ_SK_SL_SM_EUlSZ_E_NS1_11comp_targetILNS1_3genE3ELNS1_11target_archE908ELNS1_3gpuE7ELNS1_3repE0EEENS1_48merge_mergepath_partition_config_static_selectorELNS0_4arch9wavefront6targetE1EEEvSL_,"axG",@progbits,_ZN7rocprim17ROCPRIM_400000_NS6detail17trampoline_kernelINS0_14default_configENS1_38merge_sort_block_merge_config_selectorIiNS0_10empty_typeEEEZZNS1_27merge_sort_block_merge_implIS3_N6thrust23THRUST_200600_302600_NS6detail15normal_iteratorINS9_10device_ptrIiEEEEPS5_jNS1_19radix_merge_compareILb0ELb0EiNS0_19identity_decomposerEEEEE10hipError_tT0_T1_T2_jT3_P12ihipStream_tbPNSt15iterator_traitsISK_E10value_typeEPNSQ_ISL_E10value_typeEPSM_NS1_7vsmem_tEENKUlT_SK_SL_SM_E_clISE_PiSF_SF_EESJ_SZ_SK_SL_SM_EUlSZ_E_NS1_11comp_targetILNS1_3genE3ELNS1_11target_archE908ELNS1_3gpuE7ELNS1_3repE0EEENS1_48merge_mergepath_partition_config_static_selectorELNS0_4arch9wavefront6targetE1EEEvSL_,comdat
.Lfunc_end1642:
	.size	_ZN7rocprim17ROCPRIM_400000_NS6detail17trampoline_kernelINS0_14default_configENS1_38merge_sort_block_merge_config_selectorIiNS0_10empty_typeEEEZZNS1_27merge_sort_block_merge_implIS3_N6thrust23THRUST_200600_302600_NS6detail15normal_iteratorINS9_10device_ptrIiEEEEPS5_jNS1_19radix_merge_compareILb0ELb0EiNS0_19identity_decomposerEEEEE10hipError_tT0_T1_T2_jT3_P12ihipStream_tbPNSt15iterator_traitsISK_E10value_typeEPNSQ_ISL_E10value_typeEPSM_NS1_7vsmem_tEENKUlT_SK_SL_SM_E_clISE_PiSF_SF_EESJ_SZ_SK_SL_SM_EUlSZ_E_NS1_11comp_targetILNS1_3genE3ELNS1_11target_archE908ELNS1_3gpuE7ELNS1_3repE0EEENS1_48merge_mergepath_partition_config_static_selectorELNS0_4arch9wavefront6targetE1EEEvSL_, .Lfunc_end1642-_ZN7rocprim17ROCPRIM_400000_NS6detail17trampoline_kernelINS0_14default_configENS1_38merge_sort_block_merge_config_selectorIiNS0_10empty_typeEEEZZNS1_27merge_sort_block_merge_implIS3_N6thrust23THRUST_200600_302600_NS6detail15normal_iteratorINS9_10device_ptrIiEEEEPS5_jNS1_19radix_merge_compareILb0ELb0EiNS0_19identity_decomposerEEEEE10hipError_tT0_T1_T2_jT3_P12ihipStream_tbPNSt15iterator_traitsISK_E10value_typeEPNSQ_ISL_E10value_typeEPSM_NS1_7vsmem_tEENKUlT_SK_SL_SM_E_clISE_PiSF_SF_EESJ_SZ_SK_SL_SM_EUlSZ_E_NS1_11comp_targetILNS1_3genE3ELNS1_11target_archE908ELNS1_3gpuE7ELNS1_3repE0EEENS1_48merge_mergepath_partition_config_static_selectorELNS0_4arch9wavefront6targetE1EEEvSL_
                                        ; -- End function
	.section	.AMDGPU.csdata,"",@progbits
; Kernel info:
; codeLenInByte = 0
; NumSgprs: 4
; NumVgprs: 0
; NumAgprs: 0
; TotalNumVgprs: 0
; ScratchSize: 0
; MemoryBound: 0
; FloatMode: 240
; IeeeMode: 1
; LDSByteSize: 0 bytes/workgroup (compile time only)
; SGPRBlocks: 0
; VGPRBlocks: 0
; NumSGPRsForWavesPerEU: 4
; NumVGPRsForWavesPerEU: 1
; AccumOffset: 4
; Occupancy: 8
; WaveLimiterHint : 0
; COMPUTE_PGM_RSRC2:SCRATCH_EN: 0
; COMPUTE_PGM_RSRC2:USER_SGPR: 6
; COMPUTE_PGM_RSRC2:TRAP_HANDLER: 0
; COMPUTE_PGM_RSRC2:TGID_X_EN: 1
; COMPUTE_PGM_RSRC2:TGID_Y_EN: 0
; COMPUTE_PGM_RSRC2:TGID_Z_EN: 0
; COMPUTE_PGM_RSRC2:TIDIG_COMP_CNT: 0
; COMPUTE_PGM_RSRC3_GFX90A:ACCUM_OFFSET: 0
; COMPUTE_PGM_RSRC3_GFX90A:TG_SPLIT: 0
	.section	.text._ZN7rocprim17ROCPRIM_400000_NS6detail17trampoline_kernelINS0_14default_configENS1_38merge_sort_block_merge_config_selectorIiNS0_10empty_typeEEEZZNS1_27merge_sort_block_merge_implIS3_N6thrust23THRUST_200600_302600_NS6detail15normal_iteratorINS9_10device_ptrIiEEEEPS5_jNS1_19radix_merge_compareILb0ELb0EiNS0_19identity_decomposerEEEEE10hipError_tT0_T1_T2_jT3_P12ihipStream_tbPNSt15iterator_traitsISK_E10value_typeEPNSQ_ISL_E10value_typeEPSM_NS1_7vsmem_tEENKUlT_SK_SL_SM_E_clISE_PiSF_SF_EESJ_SZ_SK_SL_SM_EUlSZ_E_NS1_11comp_targetILNS1_3genE2ELNS1_11target_archE906ELNS1_3gpuE6ELNS1_3repE0EEENS1_48merge_mergepath_partition_config_static_selectorELNS0_4arch9wavefront6targetE1EEEvSL_,"axG",@progbits,_ZN7rocprim17ROCPRIM_400000_NS6detail17trampoline_kernelINS0_14default_configENS1_38merge_sort_block_merge_config_selectorIiNS0_10empty_typeEEEZZNS1_27merge_sort_block_merge_implIS3_N6thrust23THRUST_200600_302600_NS6detail15normal_iteratorINS9_10device_ptrIiEEEEPS5_jNS1_19radix_merge_compareILb0ELb0EiNS0_19identity_decomposerEEEEE10hipError_tT0_T1_T2_jT3_P12ihipStream_tbPNSt15iterator_traitsISK_E10value_typeEPNSQ_ISL_E10value_typeEPSM_NS1_7vsmem_tEENKUlT_SK_SL_SM_E_clISE_PiSF_SF_EESJ_SZ_SK_SL_SM_EUlSZ_E_NS1_11comp_targetILNS1_3genE2ELNS1_11target_archE906ELNS1_3gpuE6ELNS1_3repE0EEENS1_48merge_mergepath_partition_config_static_selectorELNS0_4arch9wavefront6targetE1EEEvSL_,comdat
	.protected	_ZN7rocprim17ROCPRIM_400000_NS6detail17trampoline_kernelINS0_14default_configENS1_38merge_sort_block_merge_config_selectorIiNS0_10empty_typeEEEZZNS1_27merge_sort_block_merge_implIS3_N6thrust23THRUST_200600_302600_NS6detail15normal_iteratorINS9_10device_ptrIiEEEEPS5_jNS1_19radix_merge_compareILb0ELb0EiNS0_19identity_decomposerEEEEE10hipError_tT0_T1_T2_jT3_P12ihipStream_tbPNSt15iterator_traitsISK_E10value_typeEPNSQ_ISL_E10value_typeEPSM_NS1_7vsmem_tEENKUlT_SK_SL_SM_E_clISE_PiSF_SF_EESJ_SZ_SK_SL_SM_EUlSZ_E_NS1_11comp_targetILNS1_3genE2ELNS1_11target_archE906ELNS1_3gpuE6ELNS1_3repE0EEENS1_48merge_mergepath_partition_config_static_selectorELNS0_4arch9wavefront6targetE1EEEvSL_ ; -- Begin function _ZN7rocprim17ROCPRIM_400000_NS6detail17trampoline_kernelINS0_14default_configENS1_38merge_sort_block_merge_config_selectorIiNS0_10empty_typeEEEZZNS1_27merge_sort_block_merge_implIS3_N6thrust23THRUST_200600_302600_NS6detail15normal_iteratorINS9_10device_ptrIiEEEEPS5_jNS1_19radix_merge_compareILb0ELb0EiNS0_19identity_decomposerEEEEE10hipError_tT0_T1_T2_jT3_P12ihipStream_tbPNSt15iterator_traitsISK_E10value_typeEPNSQ_ISL_E10value_typeEPSM_NS1_7vsmem_tEENKUlT_SK_SL_SM_E_clISE_PiSF_SF_EESJ_SZ_SK_SL_SM_EUlSZ_E_NS1_11comp_targetILNS1_3genE2ELNS1_11target_archE906ELNS1_3gpuE6ELNS1_3repE0EEENS1_48merge_mergepath_partition_config_static_selectorELNS0_4arch9wavefront6targetE1EEEvSL_
	.globl	_ZN7rocprim17ROCPRIM_400000_NS6detail17trampoline_kernelINS0_14default_configENS1_38merge_sort_block_merge_config_selectorIiNS0_10empty_typeEEEZZNS1_27merge_sort_block_merge_implIS3_N6thrust23THRUST_200600_302600_NS6detail15normal_iteratorINS9_10device_ptrIiEEEEPS5_jNS1_19radix_merge_compareILb0ELb0EiNS0_19identity_decomposerEEEEE10hipError_tT0_T1_T2_jT3_P12ihipStream_tbPNSt15iterator_traitsISK_E10value_typeEPNSQ_ISL_E10value_typeEPSM_NS1_7vsmem_tEENKUlT_SK_SL_SM_E_clISE_PiSF_SF_EESJ_SZ_SK_SL_SM_EUlSZ_E_NS1_11comp_targetILNS1_3genE2ELNS1_11target_archE906ELNS1_3gpuE6ELNS1_3repE0EEENS1_48merge_mergepath_partition_config_static_selectorELNS0_4arch9wavefront6targetE1EEEvSL_
	.p2align	8
	.type	_ZN7rocprim17ROCPRIM_400000_NS6detail17trampoline_kernelINS0_14default_configENS1_38merge_sort_block_merge_config_selectorIiNS0_10empty_typeEEEZZNS1_27merge_sort_block_merge_implIS3_N6thrust23THRUST_200600_302600_NS6detail15normal_iteratorINS9_10device_ptrIiEEEEPS5_jNS1_19radix_merge_compareILb0ELb0EiNS0_19identity_decomposerEEEEE10hipError_tT0_T1_T2_jT3_P12ihipStream_tbPNSt15iterator_traitsISK_E10value_typeEPNSQ_ISL_E10value_typeEPSM_NS1_7vsmem_tEENKUlT_SK_SL_SM_E_clISE_PiSF_SF_EESJ_SZ_SK_SL_SM_EUlSZ_E_NS1_11comp_targetILNS1_3genE2ELNS1_11target_archE906ELNS1_3gpuE6ELNS1_3repE0EEENS1_48merge_mergepath_partition_config_static_selectorELNS0_4arch9wavefront6targetE1EEEvSL_,@function
_ZN7rocprim17ROCPRIM_400000_NS6detail17trampoline_kernelINS0_14default_configENS1_38merge_sort_block_merge_config_selectorIiNS0_10empty_typeEEEZZNS1_27merge_sort_block_merge_implIS3_N6thrust23THRUST_200600_302600_NS6detail15normal_iteratorINS9_10device_ptrIiEEEEPS5_jNS1_19radix_merge_compareILb0ELb0EiNS0_19identity_decomposerEEEEE10hipError_tT0_T1_T2_jT3_P12ihipStream_tbPNSt15iterator_traitsISK_E10value_typeEPNSQ_ISL_E10value_typeEPSM_NS1_7vsmem_tEENKUlT_SK_SL_SM_E_clISE_PiSF_SF_EESJ_SZ_SK_SL_SM_EUlSZ_E_NS1_11comp_targetILNS1_3genE2ELNS1_11target_archE906ELNS1_3gpuE6ELNS1_3repE0EEENS1_48merge_mergepath_partition_config_static_selectorELNS0_4arch9wavefront6targetE1EEEvSL_: ; @_ZN7rocprim17ROCPRIM_400000_NS6detail17trampoline_kernelINS0_14default_configENS1_38merge_sort_block_merge_config_selectorIiNS0_10empty_typeEEEZZNS1_27merge_sort_block_merge_implIS3_N6thrust23THRUST_200600_302600_NS6detail15normal_iteratorINS9_10device_ptrIiEEEEPS5_jNS1_19radix_merge_compareILb0ELb0EiNS0_19identity_decomposerEEEEE10hipError_tT0_T1_T2_jT3_P12ihipStream_tbPNSt15iterator_traitsISK_E10value_typeEPNSQ_ISL_E10value_typeEPSM_NS1_7vsmem_tEENKUlT_SK_SL_SM_E_clISE_PiSF_SF_EESJ_SZ_SK_SL_SM_EUlSZ_E_NS1_11comp_targetILNS1_3genE2ELNS1_11target_archE906ELNS1_3gpuE6ELNS1_3repE0EEENS1_48merge_mergepath_partition_config_static_selectorELNS0_4arch9wavefront6targetE1EEEvSL_
; %bb.0:
	.section	.rodata,"a",@progbits
	.p2align	6, 0x0
	.amdhsa_kernel _ZN7rocprim17ROCPRIM_400000_NS6detail17trampoline_kernelINS0_14default_configENS1_38merge_sort_block_merge_config_selectorIiNS0_10empty_typeEEEZZNS1_27merge_sort_block_merge_implIS3_N6thrust23THRUST_200600_302600_NS6detail15normal_iteratorINS9_10device_ptrIiEEEEPS5_jNS1_19radix_merge_compareILb0ELb0EiNS0_19identity_decomposerEEEEE10hipError_tT0_T1_T2_jT3_P12ihipStream_tbPNSt15iterator_traitsISK_E10value_typeEPNSQ_ISL_E10value_typeEPSM_NS1_7vsmem_tEENKUlT_SK_SL_SM_E_clISE_PiSF_SF_EESJ_SZ_SK_SL_SM_EUlSZ_E_NS1_11comp_targetILNS1_3genE2ELNS1_11target_archE906ELNS1_3gpuE6ELNS1_3repE0EEENS1_48merge_mergepath_partition_config_static_selectorELNS0_4arch9wavefront6targetE1EEEvSL_
		.amdhsa_group_segment_fixed_size 0
		.amdhsa_private_segment_fixed_size 0
		.amdhsa_kernarg_size 40
		.amdhsa_user_sgpr_count 6
		.amdhsa_user_sgpr_private_segment_buffer 1
		.amdhsa_user_sgpr_dispatch_ptr 0
		.amdhsa_user_sgpr_queue_ptr 0
		.amdhsa_user_sgpr_kernarg_segment_ptr 1
		.amdhsa_user_sgpr_dispatch_id 0
		.amdhsa_user_sgpr_flat_scratch_init 0
		.amdhsa_user_sgpr_kernarg_preload_length 0
		.amdhsa_user_sgpr_kernarg_preload_offset 0
		.amdhsa_user_sgpr_private_segment_size 0
		.amdhsa_uses_dynamic_stack 0
		.amdhsa_system_sgpr_private_segment_wavefront_offset 0
		.amdhsa_system_sgpr_workgroup_id_x 1
		.amdhsa_system_sgpr_workgroup_id_y 0
		.amdhsa_system_sgpr_workgroup_id_z 0
		.amdhsa_system_sgpr_workgroup_info 0
		.amdhsa_system_vgpr_workitem_id 0
		.amdhsa_next_free_vgpr 1
		.amdhsa_next_free_sgpr 0
		.amdhsa_accum_offset 4
		.amdhsa_reserve_vcc 0
		.amdhsa_reserve_flat_scratch 0
		.amdhsa_float_round_mode_32 0
		.amdhsa_float_round_mode_16_64 0
		.amdhsa_float_denorm_mode_32 3
		.amdhsa_float_denorm_mode_16_64 3
		.amdhsa_dx10_clamp 1
		.amdhsa_ieee_mode 1
		.amdhsa_fp16_overflow 0
		.amdhsa_tg_split 0
		.amdhsa_exception_fp_ieee_invalid_op 0
		.amdhsa_exception_fp_denorm_src 0
		.amdhsa_exception_fp_ieee_div_zero 0
		.amdhsa_exception_fp_ieee_overflow 0
		.amdhsa_exception_fp_ieee_underflow 0
		.amdhsa_exception_fp_ieee_inexact 0
		.amdhsa_exception_int_div_zero 0
	.end_amdhsa_kernel
	.section	.text._ZN7rocprim17ROCPRIM_400000_NS6detail17trampoline_kernelINS0_14default_configENS1_38merge_sort_block_merge_config_selectorIiNS0_10empty_typeEEEZZNS1_27merge_sort_block_merge_implIS3_N6thrust23THRUST_200600_302600_NS6detail15normal_iteratorINS9_10device_ptrIiEEEEPS5_jNS1_19radix_merge_compareILb0ELb0EiNS0_19identity_decomposerEEEEE10hipError_tT0_T1_T2_jT3_P12ihipStream_tbPNSt15iterator_traitsISK_E10value_typeEPNSQ_ISL_E10value_typeEPSM_NS1_7vsmem_tEENKUlT_SK_SL_SM_E_clISE_PiSF_SF_EESJ_SZ_SK_SL_SM_EUlSZ_E_NS1_11comp_targetILNS1_3genE2ELNS1_11target_archE906ELNS1_3gpuE6ELNS1_3repE0EEENS1_48merge_mergepath_partition_config_static_selectorELNS0_4arch9wavefront6targetE1EEEvSL_,"axG",@progbits,_ZN7rocprim17ROCPRIM_400000_NS6detail17trampoline_kernelINS0_14default_configENS1_38merge_sort_block_merge_config_selectorIiNS0_10empty_typeEEEZZNS1_27merge_sort_block_merge_implIS3_N6thrust23THRUST_200600_302600_NS6detail15normal_iteratorINS9_10device_ptrIiEEEEPS5_jNS1_19radix_merge_compareILb0ELb0EiNS0_19identity_decomposerEEEEE10hipError_tT0_T1_T2_jT3_P12ihipStream_tbPNSt15iterator_traitsISK_E10value_typeEPNSQ_ISL_E10value_typeEPSM_NS1_7vsmem_tEENKUlT_SK_SL_SM_E_clISE_PiSF_SF_EESJ_SZ_SK_SL_SM_EUlSZ_E_NS1_11comp_targetILNS1_3genE2ELNS1_11target_archE906ELNS1_3gpuE6ELNS1_3repE0EEENS1_48merge_mergepath_partition_config_static_selectorELNS0_4arch9wavefront6targetE1EEEvSL_,comdat
.Lfunc_end1643:
	.size	_ZN7rocprim17ROCPRIM_400000_NS6detail17trampoline_kernelINS0_14default_configENS1_38merge_sort_block_merge_config_selectorIiNS0_10empty_typeEEEZZNS1_27merge_sort_block_merge_implIS3_N6thrust23THRUST_200600_302600_NS6detail15normal_iteratorINS9_10device_ptrIiEEEEPS5_jNS1_19radix_merge_compareILb0ELb0EiNS0_19identity_decomposerEEEEE10hipError_tT0_T1_T2_jT3_P12ihipStream_tbPNSt15iterator_traitsISK_E10value_typeEPNSQ_ISL_E10value_typeEPSM_NS1_7vsmem_tEENKUlT_SK_SL_SM_E_clISE_PiSF_SF_EESJ_SZ_SK_SL_SM_EUlSZ_E_NS1_11comp_targetILNS1_3genE2ELNS1_11target_archE906ELNS1_3gpuE6ELNS1_3repE0EEENS1_48merge_mergepath_partition_config_static_selectorELNS0_4arch9wavefront6targetE1EEEvSL_, .Lfunc_end1643-_ZN7rocprim17ROCPRIM_400000_NS6detail17trampoline_kernelINS0_14default_configENS1_38merge_sort_block_merge_config_selectorIiNS0_10empty_typeEEEZZNS1_27merge_sort_block_merge_implIS3_N6thrust23THRUST_200600_302600_NS6detail15normal_iteratorINS9_10device_ptrIiEEEEPS5_jNS1_19radix_merge_compareILb0ELb0EiNS0_19identity_decomposerEEEEE10hipError_tT0_T1_T2_jT3_P12ihipStream_tbPNSt15iterator_traitsISK_E10value_typeEPNSQ_ISL_E10value_typeEPSM_NS1_7vsmem_tEENKUlT_SK_SL_SM_E_clISE_PiSF_SF_EESJ_SZ_SK_SL_SM_EUlSZ_E_NS1_11comp_targetILNS1_3genE2ELNS1_11target_archE906ELNS1_3gpuE6ELNS1_3repE0EEENS1_48merge_mergepath_partition_config_static_selectorELNS0_4arch9wavefront6targetE1EEEvSL_
                                        ; -- End function
	.section	.AMDGPU.csdata,"",@progbits
; Kernel info:
; codeLenInByte = 0
; NumSgprs: 4
; NumVgprs: 0
; NumAgprs: 0
; TotalNumVgprs: 0
; ScratchSize: 0
; MemoryBound: 0
; FloatMode: 240
; IeeeMode: 1
; LDSByteSize: 0 bytes/workgroup (compile time only)
; SGPRBlocks: 0
; VGPRBlocks: 0
; NumSGPRsForWavesPerEU: 4
; NumVGPRsForWavesPerEU: 1
; AccumOffset: 4
; Occupancy: 8
; WaveLimiterHint : 0
; COMPUTE_PGM_RSRC2:SCRATCH_EN: 0
; COMPUTE_PGM_RSRC2:USER_SGPR: 6
; COMPUTE_PGM_RSRC2:TRAP_HANDLER: 0
; COMPUTE_PGM_RSRC2:TGID_X_EN: 1
; COMPUTE_PGM_RSRC2:TGID_Y_EN: 0
; COMPUTE_PGM_RSRC2:TGID_Z_EN: 0
; COMPUTE_PGM_RSRC2:TIDIG_COMP_CNT: 0
; COMPUTE_PGM_RSRC3_GFX90A:ACCUM_OFFSET: 0
; COMPUTE_PGM_RSRC3_GFX90A:TG_SPLIT: 0
	.section	.text._ZN7rocprim17ROCPRIM_400000_NS6detail17trampoline_kernelINS0_14default_configENS1_38merge_sort_block_merge_config_selectorIiNS0_10empty_typeEEEZZNS1_27merge_sort_block_merge_implIS3_N6thrust23THRUST_200600_302600_NS6detail15normal_iteratorINS9_10device_ptrIiEEEEPS5_jNS1_19radix_merge_compareILb0ELb0EiNS0_19identity_decomposerEEEEE10hipError_tT0_T1_T2_jT3_P12ihipStream_tbPNSt15iterator_traitsISK_E10value_typeEPNSQ_ISL_E10value_typeEPSM_NS1_7vsmem_tEENKUlT_SK_SL_SM_E_clISE_PiSF_SF_EESJ_SZ_SK_SL_SM_EUlSZ_E_NS1_11comp_targetILNS1_3genE9ELNS1_11target_archE1100ELNS1_3gpuE3ELNS1_3repE0EEENS1_48merge_mergepath_partition_config_static_selectorELNS0_4arch9wavefront6targetE1EEEvSL_,"axG",@progbits,_ZN7rocprim17ROCPRIM_400000_NS6detail17trampoline_kernelINS0_14default_configENS1_38merge_sort_block_merge_config_selectorIiNS0_10empty_typeEEEZZNS1_27merge_sort_block_merge_implIS3_N6thrust23THRUST_200600_302600_NS6detail15normal_iteratorINS9_10device_ptrIiEEEEPS5_jNS1_19radix_merge_compareILb0ELb0EiNS0_19identity_decomposerEEEEE10hipError_tT0_T1_T2_jT3_P12ihipStream_tbPNSt15iterator_traitsISK_E10value_typeEPNSQ_ISL_E10value_typeEPSM_NS1_7vsmem_tEENKUlT_SK_SL_SM_E_clISE_PiSF_SF_EESJ_SZ_SK_SL_SM_EUlSZ_E_NS1_11comp_targetILNS1_3genE9ELNS1_11target_archE1100ELNS1_3gpuE3ELNS1_3repE0EEENS1_48merge_mergepath_partition_config_static_selectorELNS0_4arch9wavefront6targetE1EEEvSL_,comdat
	.protected	_ZN7rocprim17ROCPRIM_400000_NS6detail17trampoline_kernelINS0_14default_configENS1_38merge_sort_block_merge_config_selectorIiNS0_10empty_typeEEEZZNS1_27merge_sort_block_merge_implIS3_N6thrust23THRUST_200600_302600_NS6detail15normal_iteratorINS9_10device_ptrIiEEEEPS5_jNS1_19radix_merge_compareILb0ELb0EiNS0_19identity_decomposerEEEEE10hipError_tT0_T1_T2_jT3_P12ihipStream_tbPNSt15iterator_traitsISK_E10value_typeEPNSQ_ISL_E10value_typeEPSM_NS1_7vsmem_tEENKUlT_SK_SL_SM_E_clISE_PiSF_SF_EESJ_SZ_SK_SL_SM_EUlSZ_E_NS1_11comp_targetILNS1_3genE9ELNS1_11target_archE1100ELNS1_3gpuE3ELNS1_3repE0EEENS1_48merge_mergepath_partition_config_static_selectorELNS0_4arch9wavefront6targetE1EEEvSL_ ; -- Begin function _ZN7rocprim17ROCPRIM_400000_NS6detail17trampoline_kernelINS0_14default_configENS1_38merge_sort_block_merge_config_selectorIiNS0_10empty_typeEEEZZNS1_27merge_sort_block_merge_implIS3_N6thrust23THRUST_200600_302600_NS6detail15normal_iteratorINS9_10device_ptrIiEEEEPS5_jNS1_19radix_merge_compareILb0ELb0EiNS0_19identity_decomposerEEEEE10hipError_tT0_T1_T2_jT3_P12ihipStream_tbPNSt15iterator_traitsISK_E10value_typeEPNSQ_ISL_E10value_typeEPSM_NS1_7vsmem_tEENKUlT_SK_SL_SM_E_clISE_PiSF_SF_EESJ_SZ_SK_SL_SM_EUlSZ_E_NS1_11comp_targetILNS1_3genE9ELNS1_11target_archE1100ELNS1_3gpuE3ELNS1_3repE0EEENS1_48merge_mergepath_partition_config_static_selectorELNS0_4arch9wavefront6targetE1EEEvSL_
	.globl	_ZN7rocprim17ROCPRIM_400000_NS6detail17trampoline_kernelINS0_14default_configENS1_38merge_sort_block_merge_config_selectorIiNS0_10empty_typeEEEZZNS1_27merge_sort_block_merge_implIS3_N6thrust23THRUST_200600_302600_NS6detail15normal_iteratorINS9_10device_ptrIiEEEEPS5_jNS1_19radix_merge_compareILb0ELb0EiNS0_19identity_decomposerEEEEE10hipError_tT0_T1_T2_jT3_P12ihipStream_tbPNSt15iterator_traitsISK_E10value_typeEPNSQ_ISL_E10value_typeEPSM_NS1_7vsmem_tEENKUlT_SK_SL_SM_E_clISE_PiSF_SF_EESJ_SZ_SK_SL_SM_EUlSZ_E_NS1_11comp_targetILNS1_3genE9ELNS1_11target_archE1100ELNS1_3gpuE3ELNS1_3repE0EEENS1_48merge_mergepath_partition_config_static_selectorELNS0_4arch9wavefront6targetE1EEEvSL_
	.p2align	8
	.type	_ZN7rocprim17ROCPRIM_400000_NS6detail17trampoline_kernelINS0_14default_configENS1_38merge_sort_block_merge_config_selectorIiNS0_10empty_typeEEEZZNS1_27merge_sort_block_merge_implIS3_N6thrust23THRUST_200600_302600_NS6detail15normal_iteratorINS9_10device_ptrIiEEEEPS5_jNS1_19radix_merge_compareILb0ELb0EiNS0_19identity_decomposerEEEEE10hipError_tT0_T1_T2_jT3_P12ihipStream_tbPNSt15iterator_traitsISK_E10value_typeEPNSQ_ISL_E10value_typeEPSM_NS1_7vsmem_tEENKUlT_SK_SL_SM_E_clISE_PiSF_SF_EESJ_SZ_SK_SL_SM_EUlSZ_E_NS1_11comp_targetILNS1_3genE9ELNS1_11target_archE1100ELNS1_3gpuE3ELNS1_3repE0EEENS1_48merge_mergepath_partition_config_static_selectorELNS0_4arch9wavefront6targetE1EEEvSL_,@function
_ZN7rocprim17ROCPRIM_400000_NS6detail17trampoline_kernelINS0_14default_configENS1_38merge_sort_block_merge_config_selectorIiNS0_10empty_typeEEEZZNS1_27merge_sort_block_merge_implIS3_N6thrust23THRUST_200600_302600_NS6detail15normal_iteratorINS9_10device_ptrIiEEEEPS5_jNS1_19radix_merge_compareILb0ELb0EiNS0_19identity_decomposerEEEEE10hipError_tT0_T1_T2_jT3_P12ihipStream_tbPNSt15iterator_traitsISK_E10value_typeEPNSQ_ISL_E10value_typeEPSM_NS1_7vsmem_tEENKUlT_SK_SL_SM_E_clISE_PiSF_SF_EESJ_SZ_SK_SL_SM_EUlSZ_E_NS1_11comp_targetILNS1_3genE9ELNS1_11target_archE1100ELNS1_3gpuE3ELNS1_3repE0EEENS1_48merge_mergepath_partition_config_static_selectorELNS0_4arch9wavefront6targetE1EEEvSL_: ; @_ZN7rocprim17ROCPRIM_400000_NS6detail17trampoline_kernelINS0_14default_configENS1_38merge_sort_block_merge_config_selectorIiNS0_10empty_typeEEEZZNS1_27merge_sort_block_merge_implIS3_N6thrust23THRUST_200600_302600_NS6detail15normal_iteratorINS9_10device_ptrIiEEEEPS5_jNS1_19radix_merge_compareILb0ELb0EiNS0_19identity_decomposerEEEEE10hipError_tT0_T1_T2_jT3_P12ihipStream_tbPNSt15iterator_traitsISK_E10value_typeEPNSQ_ISL_E10value_typeEPSM_NS1_7vsmem_tEENKUlT_SK_SL_SM_E_clISE_PiSF_SF_EESJ_SZ_SK_SL_SM_EUlSZ_E_NS1_11comp_targetILNS1_3genE9ELNS1_11target_archE1100ELNS1_3gpuE3ELNS1_3repE0EEENS1_48merge_mergepath_partition_config_static_selectorELNS0_4arch9wavefront6targetE1EEEvSL_
; %bb.0:
	.section	.rodata,"a",@progbits
	.p2align	6, 0x0
	.amdhsa_kernel _ZN7rocprim17ROCPRIM_400000_NS6detail17trampoline_kernelINS0_14default_configENS1_38merge_sort_block_merge_config_selectorIiNS0_10empty_typeEEEZZNS1_27merge_sort_block_merge_implIS3_N6thrust23THRUST_200600_302600_NS6detail15normal_iteratorINS9_10device_ptrIiEEEEPS5_jNS1_19radix_merge_compareILb0ELb0EiNS0_19identity_decomposerEEEEE10hipError_tT0_T1_T2_jT3_P12ihipStream_tbPNSt15iterator_traitsISK_E10value_typeEPNSQ_ISL_E10value_typeEPSM_NS1_7vsmem_tEENKUlT_SK_SL_SM_E_clISE_PiSF_SF_EESJ_SZ_SK_SL_SM_EUlSZ_E_NS1_11comp_targetILNS1_3genE9ELNS1_11target_archE1100ELNS1_3gpuE3ELNS1_3repE0EEENS1_48merge_mergepath_partition_config_static_selectorELNS0_4arch9wavefront6targetE1EEEvSL_
		.amdhsa_group_segment_fixed_size 0
		.amdhsa_private_segment_fixed_size 0
		.amdhsa_kernarg_size 40
		.amdhsa_user_sgpr_count 6
		.amdhsa_user_sgpr_private_segment_buffer 1
		.amdhsa_user_sgpr_dispatch_ptr 0
		.amdhsa_user_sgpr_queue_ptr 0
		.amdhsa_user_sgpr_kernarg_segment_ptr 1
		.amdhsa_user_sgpr_dispatch_id 0
		.amdhsa_user_sgpr_flat_scratch_init 0
		.amdhsa_user_sgpr_kernarg_preload_length 0
		.amdhsa_user_sgpr_kernarg_preload_offset 0
		.amdhsa_user_sgpr_private_segment_size 0
		.amdhsa_uses_dynamic_stack 0
		.amdhsa_system_sgpr_private_segment_wavefront_offset 0
		.amdhsa_system_sgpr_workgroup_id_x 1
		.amdhsa_system_sgpr_workgroup_id_y 0
		.amdhsa_system_sgpr_workgroup_id_z 0
		.amdhsa_system_sgpr_workgroup_info 0
		.amdhsa_system_vgpr_workitem_id 0
		.amdhsa_next_free_vgpr 1
		.amdhsa_next_free_sgpr 0
		.amdhsa_accum_offset 4
		.amdhsa_reserve_vcc 0
		.amdhsa_reserve_flat_scratch 0
		.amdhsa_float_round_mode_32 0
		.amdhsa_float_round_mode_16_64 0
		.amdhsa_float_denorm_mode_32 3
		.amdhsa_float_denorm_mode_16_64 3
		.amdhsa_dx10_clamp 1
		.amdhsa_ieee_mode 1
		.amdhsa_fp16_overflow 0
		.amdhsa_tg_split 0
		.amdhsa_exception_fp_ieee_invalid_op 0
		.amdhsa_exception_fp_denorm_src 0
		.amdhsa_exception_fp_ieee_div_zero 0
		.amdhsa_exception_fp_ieee_overflow 0
		.amdhsa_exception_fp_ieee_underflow 0
		.amdhsa_exception_fp_ieee_inexact 0
		.amdhsa_exception_int_div_zero 0
	.end_amdhsa_kernel
	.section	.text._ZN7rocprim17ROCPRIM_400000_NS6detail17trampoline_kernelINS0_14default_configENS1_38merge_sort_block_merge_config_selectorIiNS0_10empty_typeEEEZZNS1_27merge_sort_block_merge_implIS3_N6thrust23THRUST_200600_302600_NS6detail15normal_iteratorINS9_10device_ptrIiEEEEPS5_jNS1_19radix_merge_compareILb0ELb0EiNS0_19identity_decomposerEEEEE10hipError_tT0_T1_T2_jT3_P12ihipStream_tbPNSt15iterator_traitsISK_E10value_typeEPNSQ_ISL_E10value_typeEPSM_NS1_7vsmem_tEENKUlT_SK_SL_SM_E_clISE_PiSF_SF_EESJ_SZ_SK_SL_SM_EUlSZ_E_NS1_11comp_targetILNS1_3genE9ELNS1_11target_archE1100ELNS1_3gpuE3ELNS1_3repE0EEENS1_48merge_mergepath_partition_config_static_selectorELNS0_4arch9wavefront6targetE1EEEvSL_,"axG",@progbits,_ZN7rocprim17ROCPRIM_400000_NS6detail17trampoline_kernelINS0_14default_configENS1_38merge_sort_block_merge_config_selectorIiNS0_10empty_typeEEEZZNS1_27merge_sort_block_merge_implIS3_N6thrust23THRUST_200600_302600_NS6detail15normal_iteratorINS9_10device_ptrIiEEEEPS5_jNS1_19radix_merge_compareILb0ELb0EiNS0_19identity_decomposerEEEEE10hipError_tT0_T1_T2_jT3_P12ihipStream_tbPNSt15iterator_traitsISK_E10value_typeEPNSQ_ISL_E10value_typeEPSM_NS1_7vsmem_tEENKUlT_SK_SL_SM_E_clISE_PiSF_SF_EESJ_SZ_SK_SL_SM_EUlSZ_E_NS1_11comp_targetILNS1_3genE9ELNS1_11target_archE1100ELNS1_3gpuE3ELNS1_3repE0EEENS1_48merge_mergepath_partition_config_static_selectorELNS0_4arch9wavefront6targetE1EEEvSL_,comdat
.Lfunc_end1644:
	.size	_ZN7rocprim17ROCPRIM_400000_NS6detail17trampoline_kernelINS0_14default_configENS1_38merge_sort_block_merge_config_selectorIiNS0_10empty_typeEEEZZNS1_27merge_sort_block_merge_implIS3_N6thrust23THRUST_200600_302600_NS6detail15normal_iteratorINS9_10device_ptrIiEEEEPS5_jNS1_19radix_merge_compareILb0ELb0EiNS0_19identity_decomposerEEEEE10hipError_tT0_T1_T2_jT3_P12ihipStream_tbPNSt15iterator_traitsISK_E10value_typeEPNSQ_ISL_E10value_typeEPSM_NS1_7vsmem_tEENKUlT_SK_SL_SM_E_clISE_PiSF_SF_EESJ_SZ_SK_SL_SM_EUlSZ_E_NS1_11comp_targetILNS1_3genE9ELNS1_11target_archE1100ELNS1_3gpuE3ELNS1_3repE0EEENS1_48merge_mergepath_partition_config_static_selectorELNS0_4arch9wavefront6targetE1EEEvSL_, .Lfunc_end1644-_ZN7rocprim17ROCPRIM_400000_NS6detail17trampoline_kernelINS0_14default_configENS1_38merge_sort_block_merge_config_selectorIiNS0_10empty_typeEEEZZNS1_27merge_sort_block_merge_implIS3_N6thrust23THRUST_200600_302600_NS6detail15normal_iteratorINS9_10device_ptrIiEEEEPS5_jNS1_19radix_merge_compareILb0ELb0EiNS0_19identity_decomposerEEEEE10hipError_tT0_T1_T2_jT3_P12ihipStream_tbPNSt15iterator_traitsISK_E10value_typeEPNSQ_ISL_E10value_typeEPSM_NS1_7vsmem_tEENKUlT_SK_SL_SM_E_clISE_PiSF_SF_EESJ_SZ_SK_SL_SM_EUlSZ_E_NS1_11comp_targetILNS1_3genE9ELNS1_11target_archE1100ELNS1_3gpuE3ELNS1_3repE0EEENS1_48merge_mergepath_partition_config_static_selectorELNS0_4arch9wavefront6targetE1EEEvSL_
                                        ; -- End function
	.section	.AMDGPU.csdata,"",@progbits
; Kernel info:
; codeLenInByte = 0
; NumSgprs: 4
; NumVgprs: 0
; NumAgprs: 0
; TotalNumVgprs: 0
; ScratchSize: 0
; MemoryBound: 0
; FloatMode: 240
; IeeeMode: 1
; LDSByteSize: 0 bytes/workgroup (compile time only)
; SGPRBlocks: 0
; VGPRBlocks: 0
; NumSGPRsForWavesPerEU: 4
; NumVGPRsForWavesPerEU: 1
; AccumOffset: 4
; Occupancy: 8
; WaveLimiterHint : 0
; COMPUTE_PGM_RSRC2:SCRATCH_EN: 0
; COMPUTE_PGM_RSRC2:USER_SGPR: 6
; COMPUTE_PGM_RSRC2:TRAP_HANDLER: 0
; COMPUTE_PGM_RSRC2:TGID_X_EN: 1
; COMPUTE_PGM_RSRC2:TGID_Y_EN: 0
; COMPUTE_PGM_RSRC2:TGID_Z_EN: 0
; COMPUTE_PGM_RSRC2:TIDIG_COMP_CNT: 0
; COMPUTE_PGM_RSRC3_GFX90A:ACCUM_OFFSET: 0
; COMPUTE_PGM_RSRC3_GFX90A:TG_SPLIT: 0
	.section	.text._ZN7rocprim17ROCPRIM_400000_NS6detail17trampoline_kernelINS0_14default_configENS1_38merge_sort_block_merge_config_selectorIiNS0_10empty_typeEEEZZNS1_27merge_sort_block_merge_implIS3_N6thrust23THRUST_200600_302600_NS6detail15normal_iteratorINS9_10device_ptrIiEEEEPS5_jNS1_19radix_merge_compareILb0ELb0EiNS0_19identity_decomposerEEEEE10hipError_tT0_T1_T2_jT3_P12ihipStream_tbPNSt15iterator_traitsISK_E10value_typeEPNSQ_ISL_E10value_typeEPSM_NS1_7vsmem_tEENKUlT_SK_SL_SM_E_clISE_PiSF_SF_EESJ_SZ_SK_SL_SM_EUlSZ_E_NS1_11comp_targetILNS1_3genE8ELNS1_11target_archE1030ELNS1_3gpuE2ELNS1_3repE0EEENS1_48merge_mergepath_partition_config_static_selectorELNS0_4arch9wavefront6targetE1EEEvSL_,"axG",@progbits,_ZN7rocprim17ROCPRIM_400000_NS6detail17trampoline_kernelINS0_14default_configENS1_38merge_sort_block_merge_config_selectorIiNS0_10empty_typeEEEZZNS1_27merge_sort_block_merge_implIS3_N6thrust23THRUST_200600_302600_NS6detail15normal_iteratorINS9_10device_ptrIiEEEEPS5_jNS1_19radix_merge_compareILb0ELb0EiNS0_19identity_decomposerEEEEE10hipError_tT0_T1_T2_jT3_P12ihipStream_tbPNSt15iterator_traitsISK_E10value_typeEPNSQ_ISL_E10value_typeEPSM_NS1_7vsmem_tEENKUlT_SK_SL_SM_E_clISE_PiSF_SF_EESJ_SZ_SK_SL_SM_EUlSZ_E_NS1_11comp_targetILNS1_3genE8ELNS1_11target_archE1030ELNS1_3gpuE2ELNS1_3repE0EEENS1_48merge_mergepath_partition_config_static_selectorELNS0_4arch9wavefront6targetE1EEEvSL_,comdat
	.protected	_ZN7rocprim17ROCPRIM_400000_NS6detail17trampoline_kernelINS0_14default_configENS1_38merge_sort_block_merge_config_selectorIiNS0_10empty_typeEEEZZNS1_27merge_sort_block_merge_implIS3_N6thrust23THRUST_200600_302600_NS6detail15normal_iteratorINS9_10device_ptrIiEEEEPS5_jNS1_19radix_merge_compareILb0ELb0EiNS0_19identity_decomposerEEEEE10hipError_tT0_T1_T2_jT3_P12ihipStream_tbPNSt15iterator_traitsISK_E10value_typeEPNSQ_ISL_E10value_typeEPSM_NS1_7vsmem_tEENKUlT_SK_SL_SM_E_clISE_PiSF_SF_EESJ_SZ_SK_SL_SM_EUlSZ_E_NS1_11comp_targetILNS1_3genE8ELNS1_11target_archE1030ELNS1_3gpuE2ELNS1_3repE0EEENS1_48merge_mergepath_partition_config_static_selectorELNS0_4arch9wavefront6targetE1EEEvSL_ ; -- Begin function _ZN7rocprim17ROCPRIM_400000_NS6detail17trampoline_kernelINS0_14default_configENS1_38merge_sort_block_merge_config_selectorIiNS0_10empty_typeEEEZZNS1_27merge_sort_block_merge_implIS3_N6thrust23THRUST_200600_302600_NS6detail15normal_iteratorINS9_10device_ptrIiEEEEPS5_jNS1_19radix_merge_compareILb0ELb0EiNS0_19identity_decomposerEEEEE10hipError_tT0_T1_T2_jT3_P12ihipStream_tbPNSt15iterator_traitsISK_E10value_typeEPNSQ_ISL_E10value_typeEPSM_NS1_7vsmem_tEENKUlT_SK_SL_SM_E_clISE_PiSF_SF_EESJ_SZ_SK_SL_SM_EUlSZ_E_NS1_11comp_targetILNS1_3genE8ELNS1_11target_archE1030ELNS1_3gpuE2ELNS1_3repE0EEENS1_48merge_mergepath_partition_config_static_selectorELNS0_4arch9wavefront6targetE1EEEvSL_
	.globl	_ZN7rocprim17ROCPRIM_400000_NS6detail17trampoline_kernelINS0_14default_configENS1_38merge_sort_block_merge_config_selectorIiNS0_10empty_typeEEEZZNS1_27merge_sort_block_merge_implIS3_N6thrust23THRUST_200600_302600_NS6detail15normal_iteratorINS9_10device_ptrIiEEEEPS5_jNS1_19radix_merge_compareILb0ELb0EiNS0_19identity_decomposerEEEEE10hipError_tT0_T1_T2_jT3_P12ihipStream_tbPNSt15iterator_traitsISK_E10value_typeEPNSQ_ISL_E10value_typeEPSM_NS1_7vsmem_tEENKUlT_SK_SL_SM_E_clISE_PiSF_SF_EESJ_SZ_SK_SL_SM_EUlSZ_E_NS1_11comp_targetILNS1_3genE8ELNS1_11target_archE1030ELNS1_3gpuE2ELNS1_3repE0EEENS1_48merge_mergepath_partition_config_static_selectorELNS0_4arch9wavefront6targetE1EEEvSL_
	.p2align	8
	.type	_ZN7rocprim17ROCPRIM_400000_NS6detail17trampoline_kernelINS0_14default_configENS1_38merge_sort_block_merge_config_selectorIiNS0_10empty_typeEEEZZNS1_27merge_sort_block_merge_implIS3_N6thrust23THRUST_200600_302600_NS6detail15normal_iteratorINS9_10device_ptrIiEEEEPS5_jNS1_19radix_merge_compareILb0ELb0EiNS0_19identity_decomposerEEEEE10hipError_tT0_T1_T2_jT3_P12ihipStream_tbPNSt15iterator_traitsISK_E10value_typeEPNSQ_ISL_E10value_typeEPSM_NS1_7vsmem_tEENKUlT_SK_SL_SM_E_clISE_PiSF_SF_EESJ_SZ_SK_SL_SM_EUlSZ_E_NS1_11comp_targetILNS1_3genE8ELNS1_11target_archE1030ELNS1_3gpuE2ELNS1_3repE0EEENS1_48merge_mergepath_partition_config_static_selectorELNS0_4arch9wavefront6targetE1EEEvSL_,@function
_ZN7rocprim17ROCPRIM_400000_NS6detail17trampoline_kernelINS0_14default_configENS1_38merge_sort_block_merge_config_selectorIiNS0_10empty_typeEEEZZNS1_27merge_sort_block_merge_implIS3_N6thrust23THRUST_200600_302600_NS6detail15normal_iteratorINS9_10device_ptrIiEEEEPS5_jNS1_19radix_merge_compareILb0ELb0EiNS0_19identity_decomposerEEEEE10hipError_tT0_T1_T2_jT3_P12ihipStream_tbPNSt15iterator_traitsISK_E10value_typeEPNSQ_ISL_E10value_typeEPSM_NS1_7vsmem_tEENKUlT_SK_SL_SM_E_clISE_PiSF_SF_EESJ_SZ_SK_SL_SM_EUlSZ_E_NS1_11comp_targetILNS1_3genE8ELNS1_11target_archE1030ELNS1_3gpuE2ELNS1_3repE0EEENS1_48merge_mergepath_partition_config_static_selectorELNS0_4arch9wavefront6targetE1EEEvSL_: ; @_ZN7rocprim17ROCPRIM_400000_NS6detail17trampoline_kernelINS0_14default_configENS1_38merge_sort_block_merge_config_selectorIiNS0_10empty_typeEEEZZNS1_27merge_sort_block_merge_implIS3_N6thrust23THRUST_200600_302600_NS6detail15normal_iteratorINS9_10device_ptrIiEEEEPS5_jNS1_19radix_merge_compareILb0ELb0EiNS0_19identity_decomposerEEEEE10hipError_tT0_T1_T2_jT3_P12ihipStream_tbPNSt15iterator_traitsISK_E10value_typeEPNSQ_ISL_E10value_typeEPSM_NS1_7vsmem_tEENKUlT_SK_SL_SM_E_clISE_PiSF_SF_EESJ_SZ_SK_SL_SM_EUlSZ_E_NS1_11comp_targetILNS1_3genE8ELNS1_11target_archE1030ELNS1_3gpuE2ELNS1_3repE0EEENS1_48merge_mergepath_partition_config_static_selectorELNS0_4arch9wavefront6targetE1EEEvSL_
; %bb.0:
	.section	.rodata,"a",@progbits
	.p2align	6, 0x0
	.amdhsa_kernel _ZN7rocprim17ROCPRIM_400000_NS6detail17trampoline_kernelINS0_14default_configENS1_38merge_sort_block_merge_config_selectorIiNS0_10empty_typeEEEZZNS1_27merge_sort_block_merge_implIS3_N6thrust23THRUST_200600_302600_NS6detail15normal_iteratorINS9_10device_ptrIiEEEEPS5_jNS1_19radix_merge_compareILb0ELb0EiNS0_19identity_decomposerEEEEE10hipError_tT0_T1_T2_jT3_P12ihipStream_tbPNSt15iterator_traitsISK_E10value_typeEPNSQ_ISL_E10value_typeEPSM_NS1_7vsmem_tEENKUlT_SK_SL_SM_E_clISE_PiSF_SF_EESJ_SZ_SK_SL_SM_EUlSZ_E_NS1_11comp_targetILNS1_3genE8ELNS1_11target_archE1030ELNS1_3gpuE2ELNS1_3repE0EEENS1_48merge_mergepath_partition_config_static_selectorELNS0_4arch9wavefront6targetE1EEEvSL_
		.amdhsa_group_segment_fixed_size 0
		.amdhsa_private_segment_fixed_size 0
		.amdhsa_kernarg_size 40
		.amdhsa_user_sgpr_count 6
		.amdhsa_user_sgpr_private_segment_buffer 1
		.amdhsa_user_sgpr_dispatch_ptr 0
		.amdhsa_user_sgpr_queue_ptr 0
		.amdhsa_user_sgpr_kernarg_segment_ptr 1
		.amdhsa_user_sgpr_dispatch_id 0
		.amdhsa_user_sgpr_flat_scratch_init 0
		.amdhsa_user_sgpr_kernarg_preload_length 0
		.amdhsa_user_sgpr_kernarg_preload_offset 0
		.amdhsa_user_sgpr_private_segment_size 0
		.amdhsa_uses_dynamic_stack 0
		.amdhsa_system_sgpr_private_segment_wavefront_offset 0
		.amdhsa_system_sgpr_workgroup_id_x 1
		.amdhsa_system_sgpr_workgroup_id_y 0
		.amdhsa_system_sgpr_workgroup_id_z 0
		.amdhsa_system_sgpr_workgroup_info 0
		.amdhsa_system_vgpr_workitem_id 0
		.amdhsa_next_free_vgpr 1
		.amdhsa_next_free_sgpr 0
		.amdhsa_accum_offset 4
		.amdhsa_reserve_vcc 0
		.amdhsa_reserve_flat_scratch 0
		.amdhsa_float_round_mode_32 0
		.amdhsa_float_round_mode_16_64 0
		.amdhsa_float_denorm_mode_32 3
		.amdhsa_float_denorm_mode_16_64 3
		.amdhsa_dx10_clamp 1
		.amdhsa_ieee_mode 1
		.amdhsa_fp16_overflow 0
		.amdhsa_tg_split 0
		.amdhsa_exception_fp_ieee_invalid_op 0
		.amdhsa_exception_fp_denorm_src 0
		.amdhsa_exception_fp_ieee_div_zero 0
		.amdhsa_exception_fp_ieee_overflow 0
		.amdhsa_exception_fp_ieee_underflow 0
		.amdhsa_exception_fp_ieee_inexact 0
		.amdhsa_exception_int_div_zero 0
	.end_amdhsa_kernel
	.section	.text._ZN7rocprim17ROCPRIM_400000_NS6detail17trampoline_kernelINS0_14default_configENS1_38merge_sort_block_merge_config_selectorIiNS0_10empty_typeEEEZZNS1_27merge_sort_block_merge_implIS3_N6thrust23THRUST_200600_302600_NS6detail15normal_iteratorINS9_10device_ptrIiEEEEPS5_jNS1_19radix_merge_compareILb0ELb0EiNS0_19identity_decomposerEEEEE10hipError_tT0_T1_T2_jT3_P12ihipStream_tbPNSt15iterator_traitsISK_E10value_typeEPNSQ_ISL_E10value_typeEPSM_NS1_7vsmem_tEENKUlT_SK_SL_SM_E_clISE_PiSF_SF_EESJ_SZ_SK_SL_SM_EUlSZ_E_NS1_11comp_targetILNS1_3genE8ELNS1_11target_archE1030ELNS1_3gpuE2ELNS1_3repE0EEENS1_48merge_mergepath_partition_config_static_selectorELNS0_4arch9wavefront6targetE1EEEvSL_,"axG",@progbits,_ZN7rocprim17ROCPRIM_400000_NS6detail17trampoline_kernelINS0_14default_configENS1_38merge_sort_block_merge_config_selectorIiNS0_10empty_typeEEEZZNS1_27merge_sort_block_merge_implIS3_N6thrust23THRUST_200600_302600_NS6detail15normal_iteratorINS9_10device_ptrIiEEEEPS5_jNS1_19radix_merge_compareILb0ELb0EiNS0_19identity_decomposerEEEEE10hipError_tT0_T1_T2_jT3_P12ihipStream_tbPNSt15iterator_traitsISK_E10value_typeEPNSQ_ISL_E10value_typeEPSM_NS1_7vsmem_tEENKUlT_SK_SL_SM_E_clISE_PiSF_SF_EESJ_SZ_SK_SL_SM_EUlSZ_E_NS1_11comp_targetILNS1_3genE8ELNS1_11target_archE1030ELNS1_3gpuE2ELNS1_3repE0EEENS1_48merge_mergepath_partition_config_static_selectorELNS0_4arch9wavefront6targetE1EEEvSL_,comdat
.Lfunc_end1645:
	.size	_ZN7rocprim17ROCPRIM_400000_NS6detail17trampoline_kernelINS0_14default_configENS1_38merge_sort_block_merge_config_selectorIiNS0_10empty_typeEEEZZNS1_27merge_sort_block_merge_implIS3_N6thrust23THRUST_200600_302600_NS6detail15normal_iteratorINS9_10device_ptrIiEEEEPS5_jNS1_19radix_merge_compareILb0ELb0EiNS0_19identity_decomposerEEEEE10hipError_tT0_T1_T2_jT3_P12ihipStream_tbPNSt15iterator_traitsISK_E10value_typeEPNSQ_ISL_E10value_typeEPSM_NS1_7vsmem_tEENKUlT_SK_SL_SM_E_clISE_PiSF_SF_EESJ_SZ_SK_SL_SM_EUlSZ_E_NS1_11comp_targetILNS1_3genE8ELNS1_11target_archE1030ELNS1_3gpuE2ELNS1_3repE0EEENS1_48merge_mergepath_partition_config_static_selectorELNS0_4arch9wavefront6targetE1EEEvSL_, .Lfunc_end1645-_ZN7rocprim17ROCPRIM_400000_NS6detail17trampoline_kernelINS0_14default_configENS1_38merge_sort_block_merge_config_selectorIiNS0_10empty_typeEEEZZNS1_27merge_sort_block_merge_implIS3_N6thrust23THRUST_200600_302600_NS6detail15normal_iteratorINS9_10device_ptrIiEEEEPS5_jNS1_19radix_merge_compareILb0ELb0EiNS0_19identity_decomposerEEEEE10hipError_tT0_T1_T2_jT3_P12ihipStream_tbPNSt15iterator_traitsISK_E10value_typeEPNSQ_ISL_E10value_typeEPSM_NS1_7vsmem_tEENKUlT_SK_SL_SM_E_clISE_PiSF_SF_EESJ_SZ_SK_SL_SM_EUlSZ_E_NS1_11comp_targetILNS1_3genE8ELNS1_11target_archE1030ELNS1_3gpuE2ELNS1_3repE0EEENS1_48merge_mergepath_partition_config_static_selectorELNS0_4arch9wavefront6targetE1EEEvSL_
                                        ; -- End function
	.section	.AMDGPU.csdata,"",@progbits
; Kernel info:
; codeLenInByte = 0
; NumSgprs: 4
; NumVgprs: 0
; NumAgprs: 0
; TotalNumVgprs: 0
; ScratchSize: 0
; MemoryBound: 0
; FloatMode: 240
; IeeeMode: 1
; LDSByteSize: 0 bytes/workgroup (compile time only)
; SGPRBlocks: 0
; VGPRBlocks: 0
; NumSGPRsForWavesPerEU: 4
; NumVGPRsForWavesPerEU: 1
; AccumOffset: 4
; Occupancy: 8
; WaveLimiterHint : 0
; COMPUTE_PGM_RSRC2:SCRATCH_EN: 0
; COMPUTE_PGM_RSRC2:USER_SGPR: 6
; COMPUTE_PGM_RSRC2:TRAP_HANDLER: 0
; COMPUTE_PGM_RSRC2:TGID_X_EN: 1
; COMPUTE_PGM_RSRC2:TGID_Y_EN: 0
; COMPUTE_PGM_RSRC2:TGID_Z_EN: 0
; COMPUTE_PGM_RSRC2:TIDIG_COMP_CNT: 0
; COMPUTE_PGM_RSRC3_GFX90A:ACCUM_OFFSET: 0
; COMPUTE_PGM_RSRC3_GFX90A:TG_SPLIT: 0
	.section	.text._ZN7rocprim17ROCPRIM_400000_NS6detail17trampoline_kernelINS0_14default_configENS1_38merge_sort_block_merge_config_selectorIiNS0_10empty_typeEEEZZNS1_27merge_sort_block_merge_implIS3_N6thrust23THRUST_200600_302600_NS6detail15normal_iteratorINS9_10device_ptrIiEEEEPS5_jNS1_19radix_merge_compareILb0ELb0EiNS0_19identity_decomposerEEEEE10hipError_tT0_T1_T2_jT3_P12ihipStream_tbPNSt15iterator_traitsISK_E10value_typeEPNSQ_ISL_E10value_typeEPSM_NS1_7vsmem_tEENKUlT_SK_SL_SM_E_clISE_PiSF_SF_EESJ_SZ_SK_SL_SM_EUlSZ_E0_NS1_11comp_targetILNS1_3genE0ELNS1_11target_archE4294967295ELNS1_3gpuE0ELNS1_3repE0EEENS1_38merge_mergepath_config_static_selectorELNS0_4arch9wavefront6targetE1EEEvSL_,"axG",@progbits,_ZN7rocprim17ROCPRIM_400000_NS6detail17trampoline_kernelINS0_14default_configENS1_38merge_sort_block_merge_config_selectorIiNS0_10empty_typeEEEZZNS1_27merge_sort_block_merge_implIS3_N6thrust23THRUST_200600_302600_NS6detail15normal_iteratorINS9_10device_ptrIiEEEEPS5_jNS1_19radix_merge_compareILb0ELb0EiNS0_19identity_decomposerEEEEE10hipError_tT0_T1_T2_jT3_P12ihipStream_tbPNSt15iterator_traitsISK_E10value_typeEPNSQ_ISL_E10value_typeEPSM_NS1_7vsmem_tEENKUlT_SK_SL_SM_E_clISE_PiSF_SF_EESJ_SZ_SK_SL_SM_EUlSZ_E0_NS1_11comp_targetILNS1_3genE0ELNS1_11target_archE4294967295ELNS1_3gpuE0ELNS1_3repE0EEENS1_38merge_mergepath_config_static_selectorELNS0_4arch9wavefront6targetE1EEEvSL_,comdat
	.protected	_ZN7rocprim17ROCPRIM_400000_NS6detail17trampoline_kernelINS0_14default_configENS1_38merge_sort_block_merge_config_selectorIiNS0_10empty_typeEEEZZNS1_27merge_sort_block_merge_implIS3_N6thrust23THRUST_200600_302600_NS6detail15normal_iteratorINS9_10device_ptrIiEEEEPS5_jNS1_19radix_merge_compareILb0ELb0EiNS0_19identity_decomposerEEEEE10hipError_tT0_T1_T2_jT3_P12ihipStream_tbPNSt15iterator_traitsISK_E10value_typeEPNSQ_ISL_E10value_typeEPSM_NS1_7vsmem_tEENKUlT_SK_SL_SM_E_clISE_PiSF_SF_EESJ_SZ_SK_SL_SM_EUlSZ_E0_NS1_11comp_targetILNS1_3genE0ELNS1_11target_archE4294967295ELNS1_3gpuE0ELNS1_3repE0EEENS1_38merge_mergepath_config_static_selectorELNS0_4arch9wavefront6targetE1EEEvSL_ ; -- Begin function _ZN7rocprim17ROCPRIM_400000_NS6detail17trampoline_kernelINS0_14default_configENS1_38merge_sort_block_merge_config_selectorIiNS0_10empty_typeEEEZZNS1_27merge_sort_block_merge_implIS3_N6thrust23THRUST_200600_302600_NS6detail15normal_iteratorINS9_10device_ptrIiEEEEPS5_jNS1_19radix_merge_compareILb0ELb0EiNS0_19identity_decomposerEEEEE10hipError_tT0_T1_T2_jT3_P12ihipStream_tbPNSt15iterator_traitsISK_E10value_typeEPNSQ_ISL_E10value_typeEPSM_NS1_7vsmem_tEENKUlT_SK_SL_SM_E_clISE_PiSF_SF_EESJ_SZ_SK_SL_SM_EUlSZ_E0_NS1_11comp_targetILNS1_3genE0ELNS1_11target_archE4294967295ELNS1_3gpuE0ELNS1_3repE0EEENS1_38merge_mergepath_config_static_selectorELNS0_4arch9wavefront6targetE1EEEvSL_
	.globl	_ZN7rocprim17ROCPRIM_400000_NS6detail17trampoline_kernelINS0_14default_configENS1_38merge_sort_block_merge_config_selectorIiNS0_10empty_typeEEEZZNS1_27merge_sort_block_merge_implIS3_N6thrust23THRUST_200600_302600_NS6detail15normal_iteratorINS9_10device_ptrIiEEEEPS5_jNS1_19radix_merge_compareILb0ELb0EiNS0_19identity_decomposerEEEEE10hipError_tT0_T1_T2_jT3_P12ihipStream_tbPNSt15iterator_traitsISK_E10value_typeEPNSQ_ISL_E10value_typeEPSM_NS1_7vsmem_tEENKUlT_SK_SL_SM_E_clISE_PiSF_SF_EESJ_SZ_SK_SL_SM_EUlSZ_E0_NS1_11comp_targetILNS1_3genE0ELNS1_11target_archE4294967295ELNS1_3gpuE0ELNS1_3repE0EEENS1_38merge_mergepath_config_static_selectorELNS0_4arch9wavefront6targetE1EEEvSL_
	.p2align	8
	.type	_ZN7rocprim17ROCPRIM_400000_NS6detail17trampoline_kernelINS0_14default_configENS1_38merge_sort_block_merge_config_selectorIiNS0_10empty_typeEEEZZNS1_27merge_sort_block_merge_implIS3_N6thrust23THRUST_200600_302600_NS6detail15normal_iteratorINS9_10device_ptrIiEEEEPS5_jNS1_19radix_merge_compareILb0ELb0EiNS0_19identity_decomposerEEEEE10hipError_tT0_T1_T2_jT3_P12ihipStream_tbPNSt15iterator_traitsISK_E10value_typeEPNSQ_ISL_E10value_typeEPSM_NS1_7vsmem_tEENKUlT_SK_SL_SM_E_clISE_PiSF_SF_EESJ_SZ_SK_SL_SM_EUlSZ_E0_NS1_11comp_targetILNS1_3genE0ELNS1_11target_archE4294967295ELNS1_3gpuE0ELNS1_3repE0EEENS1_38merge_mergepath_config_static_selectorELNS0_4arch9wavefront6targetE1EEEvSL_,@function
_ZN7rocprim17ROCPRIM_400000_NS6detail17trampoline_kernelINS0_14default_configENS1_38merge_sort_block_merge_config_selectorIiNS0_10empty_typeEEEZZNS1_27merge_sort_block_merge_implIS3_N6thrust23THRUST_200600_302600_NS6detail15normal_iteratorINS9_10device_ptrIiEEEEPS5_jNS1_19radix_merge_compareILb0ELb0EiNS0_19identity_decomposerEEEEE10hipError_tT0_T1_T2_jT3_P12ihipStream_tbPNSt15iterator_traitsISK_E10value_typeEPNSQ_ISL_E10value_typeEPSM_NS1_7vsmem_tEENKUlT_SK_SL_SM_E_clISE_PiSF_SF_EESJ_SZ_SK_SL_SM_EUlSZ_E0_NS1_11comp_targetILNS1_3genE0ELNS1_11target_archE4294967295ELNS1_3gpuE0ELNS1_3repE0EEENS1_38merge_mergepath_config_static_selectorELNS0_4arch9wavefront6targetE1EEEvSL_: ; @_ZN7rocprim17ROCPRIM_400000_NS6detail17trampoline_kernelINS0_14default_configENS1_38merge_sort_block_merge_config_selectorIiNS0_10empty_typeEEEZZNS1_27merge_sort_block_merge_implIS3_N6thrust23THRUST_200600_302600_NS6detail15normal_iteratorINS9_10device_ptrIiEEEEPS5_jNS1_19radix_merge_compareILb0ELb0EiNS0_19identity_decomposerEEEEE10hipError_tT0_T1_T2_jT3_P12ihipStream_tbPNSt15iterator_traitsISK_E10value_typeEPNSQ_ISL_E10value_typeEPSM_NS1_7vsmem_tEENKUlT_SK_SL_SM_E_clISE_PiSF_SF_EESJ_SZ_SK_SL_SM_EUlSZ_E0_NS1_11comp_targetILNS1_3genE0ELNS1_11target_archE4294967295ELNS1_3gpuE0ELNS1_3repE0EEENS1_38merge_mergepath_config_static_selectorELNS0_4arch9wavefront6targetE1EEEvSL_
; %bb.0:
	.section	.rodata,"a",@progbits
	.p2align	6, 0x0
	.amdhsa_kernel _ZN7rocprim17ROCPRIM_400000_NS6detail17trampoline_kernelINS0_14default_configENS1_38merge_sort_block_merge_config_selectorIiNS0_10empty_typeEEEZZNS1_27merge_sort_block_merge_implIS3_N6thrust23THRUST_200600_302600_NS6detail15normal_iteratorINS9_10device_ptrIiEEEEPS5_jNS1_19radix_merge_compareILb0ELb0EiNS0_19identity_decomposerEEEEE10hipError_tT0_T1_T2_jT3_P12ihipStream_tbPNSt15iterator_traitsISK_E10value_typeEPNSQ_ISL_E10value_typeEPSM_NS1_7vsmem_tEENKUlT_SK_SL_SM_E_clISE_PiSF_SF_EESJ_SZ_SK_SL_SM_EUlSZ_E0_NS1_11comp_targetILNS1_3genE0ELNS1_11target_archE4294967295ELNS1_3gpuE0ELNS1_3repE0EEENS1_38merge_mergepath_config_static_selectorELNS0_4arch9wavefront6targetE1EEEvSL_
		.amdhsa_group_segment_fixed_size 0
		.amdhsa_private_segment_fixed_size 0
		.amdhsa_kernarg_size 64
		.amdhsa_user_sgpr_count 6
		.amdhsa_user_sgpr_private_segment_buffer 1
		.amdhsa_user_sgpr_dispatch_ptr 0
		.amdhsa_user_sgpr_queue_ptr 0
		.amdhsa_user_sgpr_kernarg_segment_ptr 1
		.amdhsa_user_sgpr_dispatch_id 0
		.amdhsa_user_sgpr_flat_scratch_init 0
		.amdhsa_user_sgpr_kernarg_preload_length 0
		.amdhsa_user_sgpr_kernarg_preload_offset 0
		.amdhsa_user_sgpr_private_segment_size 0
		.amdhsa_uses_dynamic_stack 0
		.amdhsa_system_sgpr_private_segment_wavefront_offset 0
		.amdhsa_system_sgpr_workgroup_id_x 1
		.amdhsa_system_sgpr_workgroup_id_y 0
		.amdhsa_system_sgpr_workgroup_id_z 0
		.amdhsa_system_sgpr_workgroup_info 0
		.amdhsa_system_vgpr_workitem_id 0
		.amdhsa_next_free_vgpr 1
		.amdhsa_next_free_sgpr 0
		.amdhsa_accum_offset 4
		.amdhsa_reserve_vcc 0
		.amdhsa_reserve_flat_scratch 0
		.amdhsa_float_round_mode_32 0
		.amdhsa_float_round_mode_16_64 0
		.amdhsa_float_denorm_mode_32 3
		.amdhsa_float_denorm_mode_16_64 3
		.amdhsa_dx10_clamp 1
		.amdhsa_ieee_mode 1
		.amdhsa_fp16_overflow 0
		.amdhsa_tg_split 0
		.amdhsa_exception_fp_ieee_invalid_op 0
		.amdhsa_exception_fp_denorm_src 0
		.amdhsa_exception_fp_ieee_div_zero 0
		.amdhsa_exception_fp_ieee_overflow 0
		.amdhsa_exception_fp_ieee_underflow 0
		.amdhsa_exception_fp_ieee_inexact 0
		.amdhsa_exception_int_div_zero 0
	.end_amdhsa_kernel
	.section	.text._ZN7rocprim17ROCPRIM_400000_NS6detail17trampoline_kernelINS0_14default_configENS1_38merge_sort_block_merge_config_selectorIiNS0_10empty_typeEEEZZNS1_27merge_sort_block_merge_implIS3_N6thrust23THRUST_200600_302600_NS6detail15normal_iteratorINS9_10device_ptrIiEEEEPS5_jNS1_19radix_merge_compareILb0ELb0EiNS0_19identity_decomposerEEEEE10hipError_tT0_T1_T2_jT3_P12ihipStream_tbPNSt15iterator_traitsISK_E10value_typeEPNSQ_ISL_E10value_typeEPSM_NS1_7vsmem_tEENKUlT_SK_SL_SM_E_clISE_PiSF_SF_EESJ_SZ_SK_SL_SM_EUlSZ_E0_NS1_11comp_targetILNS1_3genE0ELNS1_11target_archE4294967295ELNS1_3gpuE0ELNS1_3repE0EEENS1_38merge_mergepath_config_static_selectorELNS0_4arch9wavefront6targetE1EEEvSL_,"axG",@progbits,_ZN7rocprim17ROCPRIM_400000_NS6detail17trampoline_kernelINS0_14default_configENS1_38merge_sort_block_merge_config_selectorIiNS0_10empty_typeEEEZZNS1_27merge_sort_block_merge_implIS3_N6thrust23THRUST_200600_302600_NS6detail15normal_iteratorINS9_10device_ptrIiEEEEPS5_jNS1_19radix_merge_compareILb0ELb0EiNS0_19identity_decomposerEEEEE10hipError_tT0_T1_T2_jT3_P12ihipStream_tbPNSt15iterator_traitsISK_E10value_typeEPNSQ_ISL_E10value_typeEPSM_NS1_7vsmem_tEENKUlT_SK_SL_SM_E_clISE_PiSF_SF_EESJ_SZ_SK_SL_SM_EUlSZ_E0_NS1_11comp_targetILNS1_3genE0ELNS1_11target_archE4294967295ELNS1_3gpuE0ELNS1_3repE0EEENS1_38merge_mergepath_config_static_selectorELNS0_4arch9wavefront6targetE1EEEvSL_,comdat
.Lfunc_end1646:
	.size	_ZN7rocprim17ROCPRIM_400000_NS6detail17trampoline_kernelINS0_14default_configENS1_38merge_sort_block_merge_config_selectorIiNS0_10empty_typeEEEZZNS1_27merge_sort_block_merge_implIS3_N6thrust23THRUST_200600_302600_NS6detail15normal_iteratorINS9_10device_ptrIiEEEEPS5_jNS1_19radix_merge_compareILb0ELb0EiNS0_19identity_decomposerEEEEE10hipError_tT0_T1_T2_jT3_P12ihipStream_tbPNSt15iterator_traitsISK_E10value_typeEPNSQ_ISL_E10value_typeEPSM_NS1_7vsmem_tEENKUlT_SK_SL_SM_E_clISE_PiSF_SF_EESJ_SZ_SK_SL_SM_EUlSZ_E0_NS1_11comp_targetILNS1_3genE0ELNS1_11target_archE4294967295ELNS1_3gpuE0ELNS1_3repE0EEENS1_38merge_mergepath_config_static_selectorELNS0_4arch9wavefront6targetE1EEEvSL_, .Lfunc_end1646-_ZN7rocprim17ROCPRIM_400000_NS6detail17trampoline_kernelINS0_14default_configENS1_38merge_sort_block_merge_config_selectorIiNS0_10empty_typeEEEZZNS1_27merge_sort_block_merge_implIS3_N6thrust23THRUST_200600_302600_NS6detail15normal_iteratorINS9_10device_ptrIiEEEEPS5_jNS1_19radix_merge_compareILb0ELb0EiNS0_19identity_decomposerEEEEE10hipError_tT0_T1_T2_jT3_P12ihipStream_tbPNSt15iterator_traitsISK_E10value_typeEPNSQ_ISL_E10value_typeEPSM_NS1_7vsmem_tEENKUlT_SK_SL_SM_E_clISE_PiSF_SF_EESJ_SZ_SK_SL_SM_EUlSZ_E0_NS1_11comp_targetILNS1_3genE0ELNS1_11target_archE4294967295ELNS1_3gpuE0ELNS1_3repE0EEENS1_38merge_mergepath_config_static_selectorELNS0_4arch9wavefront6targetE1EEEvSL_
                                        ; -- End function
	.section	.AMDGPU.csdata,"",@progbits
; Kernel info:
; codeLenInByte = 0
; NumSgprs: 4
; NumVgprs: 0
; NumAgprs: 0
; TotalNumVgprs: 0
; ScratchSize: 0
; MemoryBound: 0
; FloatMode: 240
; IeeeMode: 1
; LDSByteSize: 0 bytes/workgroup (compile time only)
; SGPRBlocks: 0
; VGPRBlocks: 0
; NumSGPRsForWavesPerEU: 4
; NumVGPRsForWavesPerEU: 1
; AccumOffset: 4
; Occupancy: 8
; WaveLimiterHint : 0
; COMPUTE_PGM_RSRC2:SCRATCH_EN: 0
; COMPUTE_PGM_RSRC2:USER_SGPR: 6
; COMPUTE_PGM_RSRC2:TRAP_HANDLER: 0
; COMPUTE_PGM_RSRC2:TGID_X_EN: 1
; COMPUTE_PGM_RSRC2:TGID_Y_EN: 0
; COMPUTE_PGM_RSRC2:TGID_Z_EN: 0
; COMPUTE_PGM_RSRC2:TIDIG_COMP_CNT: 0
; COMPUTE_PGM_RSRC3_GFX90A:ACCUM_OFFSET: 0
; COMPUTE_PGM_RSRC3_GFX90A:TG_SPLIT: 0
	.section	.text._ZN7rocprim17ROCPRIM_400000_NS6detail17trampoline_kernelINS0_14default_configENS1_38merge_sort_block_merge_config_selectorIiNS0_10empty_typeEEEZZNS1_27merge_sort_block_merge_implIS3_N6thrust23THRUST_200600_302600_NS6detail15normal_iteratorINS9_10device_ptrIiEEEEPS5_jNS1_19radix_merge_compareILb0ELb0EiNS0_19identity_decomposerEEEEE10hipError_tT0_T1_T2_jT3_P12ihipStream_tbPNSt15iterator_traitsISK_E10value_typeEPNSQ_ISL_E10value_typeEPSM_NS1_7vsmem_tEENKUlT_SK_SL_SM_E_clISE_PiSF_SF_EESJ_SZ_SK_SL_SM_EUlSZ_E0_NS1_11comp_targetILNS1_3genE10ELNS1_11target_archE1201ELNS1_3gpuE5ELNS1_3repE0EEENS1_38merge_mergepath_config_static_selectorELNS0_4arch9wavefront6targetE1EEEvSL_,"axG",@progbits,_ZN7rocprim17ROCPRIM_400000_NS6detail17trampoline_kernelINS0_14default_configENS1_38merge_sort_block_merge_config_selectorIiNS0_10empty_typeEEEZZNS1_27merge_sort_block_merge_implIS3_N6thrust23THRUST_200600_302600_NS6detail15normal_iteratorINS9_10device_ptrIiEEEEPS5_jNS1_19radix_merge_compareILb0ELb0EiNS0_19identity_decomposerEEEEE10hipError_tT0_T1_T2_jT3_P12ihipStream_tbPNSt15iterator_traitsISK_E10value_typeEPNSQ_ISL_E10value_typeEPSM_NS1_7vsmem_tEENKUlT_SK_SL_SM_E_clISE_PiSF_SF_EESJ_SZ_SK_SL_SM_EUlSZ_E0_NS1_11comp_targetILNS1_3genE10ELNS1_11target_archE1201ELNS1_3gpuE5ELNS1_3repE0EEENS1_38merge_mergepath_config_static_selectorELNS0_4arch9wavefront6targetE1EEEvSL_,comdat
	.protected	_ZN7rocprim17ROCPRIM_400000_NS6detail17trampoline_kernelINS0_14default_configENS1_38merge_sort_block_merge_config_selectorIiNS0_10empty_typeEEEZZNS1_27merge_sort_block_merge_implIS3_N6thrust23THRUST_200600_302600_NS6detail15normal_iteratorINS9_10device_ptrIiEEEEPS5_jNS1_19radix_merge_compareILb0ELb0EiNS0_19identity_decomposerEEEEE10hipError_tT0_T1_T2_jT3_P12ihipStream_tbPNSt15iterator_traitsISK_E10value_typeEPNSQ_ISL_E10value_typeEPSM_NS1_7vsmem_tEENKUlT_SK_SL_SM_E_clISE_PiSF_SF_EESJ_SZ_SK_SL_SM_EUlSZ_E0_NS1_11comp_targetILNS1_3genE10ELNS1_11target_archE1201ELNS1_3gpuE5ELNS1_3repE0EEENS1_38merge_mergepath_config_static_selectorELNS0_4arch9wavefront6targetE1EEEvSL_ ; -- Begin function _ZN7rocprim17ROCPRIM_400000_NS6detail17trampoline_kernelINS0_14default_configENS1_38merge_sort_block_merge_config_selectorIiNS0_10empty_typeEEEZZNS1_27merge_sort_block_merge_implIS3_N6thrust23THRUST_200600_302600_NS6detail15normal_iteratorINS9_10device_ptrIiEEEEPS5_jNS1_19radix_merge_compareILb0ELb0EiNS0_19identity_decomposerEEEEE10hipError_tT0_T1_T2_jT3_P12ihipStream_tbPNSt15iterator_traitsISK_E10value_typeEPNSQ_ISL_E10value_typeEPSM_NS1_7vsmem_tEENKUlT_SK_SL_SM_E_clISE_PiSF_SF_EESJ_SZ_SK_SL_SM_EUlSZ_E0_NS1_11comp_targetILNS1_3genE10ELNS1_11target_archE1201ELNS1_3gpuE5ELNS1_3repE0EEENS1_38merge_mergepath_config_static_selectorELNS0_4arch9wavefront6targetE1EEEvSL_
	.globl	_ZN7rocprim17ROCPRIM_400000_NS6detail17trampoline_kernelINS0_14default_configENS1_38merge_sort_block_merge_config_selectorIiNS0_10empty_typeEEEZZNS1_27merge_sort_block_merge_implIS3_N6thrust23THRUST_200600_302600_NS6detail15normal_iteratorINS9_10device_ptrIiEEEEPS5_jNS1_19radix_merge_compareILb0ELb0EiNS0_19identity_decomposerEEEEE10hipError_tT0_T1_T2_jT3_P12ihipStream_tbPNSt15iterator_traitsISK_E10value_typeEPNSQ_ISL_E10value_typeEPSM_NS1_7vsmem_tEENKUlT_SK_SL_SM_E_clISE_PiSF_SF_EESJ_SZ_SK_SL_SM_EUlSZ_E0_NS1_11comp_targetILNS1_3genE10ELNS1_11target_archE1201ELNS1_3gpuE5ELNS1_3repE0EEENS1_38merge_mergepath_config_static_selectorELNS0_4arch9wavefront6targetE1EEEvSL_
	.p2align	8
	.type	_ZN7rocprim17ROCPRIM_400000_NS6detail17trampoline_kernelINS0_14default_configENS1_38merge_sort_block_merge_config_selectorIiNS0_10empty_typeEEEZZNS1_27merge_sort_block_merge_implIS3_N6thrust23THRUST_200600_302600_NS6detail15normal_iteratorINS9_10device_ptrIiEEEEPS5_jNS1_19radix_merge_compareILb0ELb0EiNS0_19identity_decomposerEEEEE10hipError_tT0_T1_T2_jT3_P12ihipStream_tbPNSt15iterator_traitsISK_E10value_typeEPNSQ_ISL_E10value_typeEPSM_NS1_7vsmem_tEENKUlT_SK_SL_SM_E_clISE_PiSF_SF_EESJ_SZ_SK_SL_SM_EUlSZ_E0_NS1_11comp_targetILNS1_3genE10ELNS1_11target_archE1201ELNS1_3gpuE5ELNS1_3repE0EEENS1_38merge_mergepath_config_static_selectorELNS0_4arch9wavefront6targetE1EEEvSL_,@function
_ZN7rocprim17ROCPRIM_400000_NS6detail17trampoline_kernelINS0_14default_configENS1_38merge_sort_block_merge_config_selectorIiNS0_10empty_typeEEEZZNS1_27merge_sort_block_merge_implIS3_N6thrust23THRUST_200600_302600_NS6detail15normal_iteratorINS9_10device_ptrIiEEEEPS5_jNS1_19radix_merge_compareILb0ELb0EiNS0_19identity_decomposerEEEEE10hipError_tT0_T1_T2_jT3_P12ihipStream_tbPNSt15iterator_traitsISK_E10value_typeEPNSQ_ISL_E10value_typeEPSM_NS1_7vsmem_tEENKUlT_SK_SL_SM_E_clISE_PiSF_SF_EESJ_SZ_SK_SL_SM_EUlSZ_E0_NS1_11comp_targetILNS1_3genE10ELNS1_11target_archE1201ELNS1_3gpuE5ELNS1_3repE0EEENS1_38merge_mergepath_config_static_selectorELNS0_4arch9wavefront6targetE1EEEvSL_: ; @_ZN7rocprim17ROCPRIM_400000_NS6detail17trampoline_kernelINS0_14default_configENS1_38merge_sort_block_merge_config_selectorIiNS0_10empty_typeEEEZZNS1_27merge_sort_block_merge_implIS3_N6thrust23THRUST_200600_302600_NS6detail15normal_iteratorINS9_10device_ptrIiEEEEPS5_jNS1_19radix_merge_compareILb0ELb0EiNS0_19identity_decomposerEEEEE10hipError_tT0_T1_T2_jT3_P12ihipStream_tbPNSt15iterator_traitsISK_E10value_typeEPNSQ_ISL_E10value_typeEPSM_NS1_7vsmem_tEENKUlT_SK_SL_SM_E_clISE_PiSF_SF_EESJ_SZ_SK_SL_SM_EUlSZ_E0_NS1_11comp_targetILNS1_3genE10ELNS1_11target_archE1201ELNS1_3gpuE5ELNS1_3repE0EEENS1_38merge_mergepath_config_static_selectorELNS0_4arch9wavefront6targetE1EEEvSL_
; %bb.0:
	.section	.rodata,"a",@progbits
	.p2align	6, 0x0
	.amdhsa_kernel _ZN7rocprim17ROCPRIM_400000_NS6detail17trampoline_kernelINS0_14default_configENS1_38merge_sort_block_merge_config_selectorIiNS0_10empty_typeEEEZZNS1_27merge_sort_block_merge_implIS3_N6thrust23THRUST_200600_302600_NS6detail15normal_iteratorINS9_10device_ptrIiEEEEPS5_jNS1_19radix_merge_compareILb0ELb0EiNS0_19identity_decomposerEEEEE10hipError_tT0_T1_T2_jT3_P12ihipStream_tbPNSt15iterator_traitsISK_E10value_typeEPNSQ_ISL_E10value_typeEPSM_NS1_7vsmem_tEENKUlT_SK_SL_SM_E_clISE_PiSF_SF_EESJ_SZ_SK_SL_SM_EUlSZ_E0_NS1_11comp_targetILNS1_3genE10ELNS1_11target_archE1201ELNS1_3gpuE5ELNS1_3repE0EEENS1_38merge_mergepath_config_static_selectorELNS0_4arch9wavefront6targetE1EEEvSL_
		.amdhsa_group_segment_fixed_size 0
		.amdhsa_private_segment_fixed_size 0
		.amdhsa_kernarg_size 64
		.amdhsa_user_sgpr_count 6
		.amdhsa_user_sgpr_private_segment_buffer 1
		.amdhsa_user_sgpr_dispatch_ptr 0
		.amdhsa_user_sgpr_queue_ptr 0
		.amdhsa_user_sgpr_kernarg_segment_ptr 1
		.amdhsa_user_sgpr_dispatch_id 0
		.amdhsa_user_sgpr_flat_scratch_init 0
		.amdhsa_user_sgpr_kernarg_preload_length 0
		.amdhsa_user_sgpr_kernarg_preload_offset 0
		.amdhsa_user_sgpr_private_segment_size 0
		.amdhsa_uses_dynamic_stack 0
		.amdhsa_system_sgpr_private_segment_wavefront_offset 0
		.amdhsa_system_sgpr_workgroup_id_x 1
		.amdhsa_system_sgpr_workgroup_id_y 0
		.amdhsa_system_sgpr_workgroup_id_z 0
		.amdhsa_system_sgpr_workgroup_info 0
		.amdhsa_system_vgpr_workitem_id 0
		.amdhsa_next_free_vgpr 1
		.amdhsa_next_free_sgpr 0
		.amdhsa_accum_offset 4
		.amdhsa_reserve_vcc 0
		.amdhsa_reserve_flat_scratch 0
		.amdhsa_float_round_mode_32 0
		.amdhsa_float_round_mode_16_64 0
		.amdhsa_float_denorm_mode_32 3
		.amdhsa_float_denorm_mode_16_64 3
		.amdhsa_dx10_clamp 1
		.amdhsa_ieee_mode 1
		.amdhsa_fp16_overflow 0
		.amdhsa_tg_split 0
		.amdhsa_exception_fp_ieee_invalid_op 0
		.amdhsa_exception_fp_denorm_src 0
		.amdhsa_exception_fp_ieee_div_zero 0
		.amdhsa_exception_fp_ieee_overflow 0
		.amdhsa_exception_fp_ieee_underflow 0
		.amdhsa_exception_fp_ieee_inexact 0
		.amdhsa_exception_int_div_zero 0
	.end_amdhsa_kernel
	.section	.text._ZN7rocprim17ROCPRIM_400000_NS6detail17trampoline_kernelINS0_14default_configENS1_38merge_sort_block_merge_config_selectorIiNS0_10empty_typeEEEZZNS1_27merge_sort_block_merge_implIS3_N6thrust23THRUST_200600_302600_NS6detail15normal_iteratorINS9_10device_ptrIiEEEEPS5_jNS1_19radix_merge_compareILb0ELb0EiNS0_19identity_decomposerEEEEE10hipError_tT0_T1_T2_jT3_P12ihipStream_tbPNSt15iterator_traitsISK_E10value_typeEPNSQ_ISL_E10value_typeEPSM_NS1_7vsmem_tEENKUlT_SK_SL_SM_E_clISE_PiSF_SF_EESJ_SZ_SK_SL_SM_EUlSZ_E0_NS1_11comp_targetILNS1_3genE10ELNS1_11target_archE1201ELNS1_3gpuE5ELNS1_3repE0EEENS1_38merge_mergepath_config_static_selectorELNS0_4arch9wavefront6targetE1EEEvSL_,"axG",@progbits,_ZN7rocprim17ROCPRIM_400000_NS6detail17trampoline_kernelINS0_14default_configENS1_38merge_sort_block_merge_config_selectorIiNS0_10empty_typeEEEZZNS1_27merge_sort_block_merge_implIS3_N6thrust23THRUST_200600_302600_NS6detail15normal_iteratorINS9_10device_ptrIiEEEEPS5_jNS1_19radix_merge_compareILb0ELb0EiNS0_19identity_decomposerEEEEE10hipError_tT0_T1_T2_jT3_P12ihipStream_tbPNSt15iterator_traitsISK_E10value_typeEPNSQ_ISL_E10value_typeEPSM_NS1_7vsmem_tEENKUlT_SK_SL_SM_E_clISE_PiSF_SF_EESJ_SZ_SK_SL_SM_EUlSZ_E0_NS1_11comp_targetILNS1_3genE10ELNS1_11target_archE1201ELNS1_3gpuE5ELNS1_3repE0EEENS1_38merge_mergepath_config_static_selectorELNS0_4arch9wavefront6targetE1EEEvSL_,comdat
.Lfunc_end1647:
	.size	_ZN7rocprim17ROCPRIM_400000_NS6detail17trampoline_kernelINS0_14default_configENS1_38merge_sort_block_merge_config_selectorIiNS0_10empty_typeEEEZZNS1_27merge_sort_block_merge_implIS3_N6thrust23THRUST_200600_302600_NS6detail15normal_iteratorINS9_10device_ptrIiEEEEPS5_jNS1_19radix_merge_compareILb0ELb0EiNS0_19identity_decomposerEEEEE10hipError_tT0_T1_T2_jT3_P12ihipStream_tbPNSt15iterator_traitsISK_E10value_typeEPNSQ_ISL_E10value_typeEPSM_NS1_7vsmem_tEENKUlT_SK_SL_SM_E_clISE_PiSF_SF_EESJ_SZ_SK_SL_SM_EUlSZ_E0_NS1_11comp_targetILNS1_3genE10ELNS1_11target_archE1201ELNS1_3gpuE5ELNS1_3repE0EEENS1_38merge_mergepath_config_static_selectorELNS0_4arch9wavefront6targetE1EEEvSL_, .Lfunc_end1647-_ZN7rocprim17ROCPRIM_400000_NS6detail17trampoline_kernelINS0_14default_configENS1_38merge_sort_block_merge_config_selectorIiNS0_10empty_typeEEEZZNS1_27merge_sort_block_merge_implIS3_N6thrust23THRUST_200600_302600_NS6detail15normal_iteratorINS9_10device_ptrIiEEEEPS5_jNS1_19radix_merge_compareILb0ELb0EiNS0_19identity_decomposerEEEEE10hipError_tT0_T1_T2_jT3_P12ihipStream_tbPNSt15iterator_traitsISK_E10value_typeEPNSQ_ISL_E10value_typeEPSM_NS1_7vsmem_tEENKUlT_SK_SL_SM_E_clISE_PiSF_SF_EESJ_SZ_SK_SL_SM_EUlSZ_E0_NS1_11comp_targetILNS1_3genE10ELNS1_11target_archE1201ELNS1_3gpuE5ELNS1_3repE0EEENS1_38merge_mergepath_config_static_selectorELNS0_4arch9wavefront6targetE1EEEvSL_
                                        ; -- End function
	.section	.AMDGPU.csdata,"",@progbits
; Kernel info:
; codeLenInByte = 0
; NumSgprs: 4
; NumVgprs: 0
; NumAgprs: 0
; TotalNumVgprs: 0
; ScratchSize: 0
; MemoryBound: 0
; FloatMode: 240
; IeeeMode: 1
; LDSByteSize: 0 bytes/workgroup (compile time only)
; SGPRBlocks: 0
; VGPRBlocks: 0
; NumSGPRsForWavesPerEU: 4
; NumVGPRsForWavesPerEU: 1
; AccumOffset: 4
; Occupancy: 8
; WaveLimiterHint : 0
; COMPUTE_PGM_RSRC2:SCRATCH_EN: 0
; COMPUTE_PGM_RSRC2:USER_SGPR: 6
; COMPUTE_PGM_RSRC2:TRAP_HANDLER: 0
; COMPUTE_PGM_RSRC2:TGID_X_EN: 1
; COMPUTE_PGM_RSRC2:TGID_Y_EN: 0
; COMPUTE_PGM_RSRC2:TGID_Z_EN: 0
; COMPUTE_PGM_RSRC2:TIDIG_COMP_CNT: 0
; COMPUTE_PGM_RSRC3_GFX90A:ACCUM_OFFSET: 0
; COMPUTE_PGM_RSRC3_GFX90A:TG_SPLIT: 0
	.section	.text._ZN7rocprim17ROCPRIM_400000_NS6detail17trampoline_kernelINS0_14default_configENS1_38merge_sort_block_merge_config_selectorIiNS0_10empty_typeEEEZZNS1_27merge_sort_block_merge_implIS3_N6thrust23THRUST_200600_302600_NS6detail15normal_iteratorINS9_10device_ptrIiEEEEPS5_jNS1_19radix_merge_compareILb0ELb0EiNS0_19identity_decomposerEEEEE10hipError_tT0_T1_T2_jT3_P12ihipStream_tbPNSt15iterator_traitsISK_E10value_typeEPNSQ_ISL_E10value_typeEPSM_NS1_7vsmem_tEENKUlT_SK_SL_SM_E_clISE_PiSF_SF_EESJ_SZ_SK_SL_SM_EUlSZ_E0_NS1_11comp_targetILNS1_3genE5ELNS1_11target_archE942ELNS1_3gpuE9ELNS1_3repE0EEENS1_38merge_mergepath_config_static_selectorELNS0_4arch9wavefront6targetE1EEEvSL_,"axG",@progbits,_ZN7rocprim17ROCPRIM_400000_NS6detail17trampoline_kernelINS0_14default_configENS1_38merge_sort_block_merge_config_selectorIiNS0_10empty_typeEEEZZNS1_27merge_sort_block_merge_implIS3_N6thrust23THRUST_200600_302600_NS6detail15normal_iteratorINS9_10device_ptrIiEEEEPS5_jNS1_19radix_merge_compareILb0ELb0EiNS0_19identity_decomposerEEEEE10hipError_tT0_T1_T2_jT3_P12ihipStream_tbPNSt15iterator_traitsISK_E10value_typeEPNSQ_ISL_E10value_typeEPSM_NS1_7vsmem_tEENKUlT_SK_SL_SM_E_clISE_PiSF_SF_EESJ_SZ_SK_SL_SM_EUlSZ_E0_NS1_11comp_targetILNS1_3genE5ELNS1_11target_archE942ELNS1_3gpuE9ELNS1_3repE0EEENS1_38merge_mergepath_config_static_selectorELNS0_4arch9wavefront6targetE1EEEvSL_,comdat
	.protected	_ZN7rocprim17ROCPRIM_400000_NS6detail17trampoline_kernelINS0_14default_configENS1_38merge_sort_block_merge_config_selectorIiNS0_10empty_typeEEEZZNS1_27merge_sort_block_merge_implIS3_N6thrust23THRUST_200600_302600_NS6detail15normal_iteratorINS9_10device_ptrIiEEEEPS5_jNS1_19radix_merge_compareILb0ELb0EiNS0_19identity_decomposerEEEEE10hipError_tT0_T1_T2_jT3_P12ihipStream_tbPNSt15iterator_traitsISK_E10value_typeEPNSQ_ISL_E10value_typeEPSM_NS1_7vsmem_tEENKUlT_SK_SL_SM_E_clISE_PiSF_SF_EESJ_SZ_SK_SL_SM_EUlSZ_E0_NS1_11comp_targetILNS1_3genE5ELNS1_11target_archE942ELNS1_3gpuE9ELNS1_3repE0EEENS1_38merge_mergepath_config_static_selectorELNS0_4arch9wavefront6targetE1EEEvSL_ ; -- Begin function _ZN7rocprim17ROCPRIM_400000_NS6detail17trampoline_kernelINS0_14default_configENS1_38merge_sort_block_merge_config_selectorIiNS0_10empty_typeEEEZZNS1_27merge_sort_block_merge_implIS3_N6thrust23THRUST_200600_302600_NS6detail15normal_iteratorINS9_10device_ptrIiEEEEPS5_jNS1_19radix_merge_compareILb0ELb0EiNS0_19identity_decomposerEEEEE10hipError_tT0_T1_T2_jT3_P12ihipStream_tbPNSt15iterator_traitsISK_E10value_typeEPNSQ_ISL_E10value_typeEPSM_NS1_7vsmem_tEENKUlT_SK_SL_SM_E_clISE_PiSF_SF_EESJ_SZ_SK_SL_SM_EUlSZ_E0_NS1_11comp_targetILNS1_3genE5ELNS1_11target_archE942ELNS1_3gpuE9ELNS1_3repE0EEENS1_38merge_mergepath_config_static_selectorELNS0_4arch9wavefront6targetE1EEEvSL_
	.globl	_ZN7rocprim17ROCPRIM_400000_NS6detail17trampoline_kernelINS0_14default_configENS1_38merge_sort_block_merge_config_selectorIiNS0_10empty_typeEEEZZNS1_27merge_sort_block_merge_implIS3_N6thrust23THRUST_200600_302600_NS6detail15normal_iteratorINS9_10device_ptrIiEEEEPS5_jNS1_19radix_merge_compareILb0ELb0EiNS0_19identity_decomposerEEEEE10hipError_tT0_T1_T2_jT3_P12ihipStream_tbPNSt15iterator_traitsISK_E10value_typeEPNSQ_ISL_E10value_typeEPSM_NS1_7vsmem_tEENKUlT_SK_SL_SM_E_clISE_PiSF_SF_EESJ_SZ_SK_SL_SM_EUlSZ_E0_NS1_11comp_targetILNS1_3genE5ELNS1_11target_archE942ELNS1_3gpuE9ELNS1_3repE0EEENS1_38merge_mergepath_config_static_selectorELNS0_4arch9wavefront6targetE1EEEvSL_
	.p2align	8
	.type	_ZN7rocprim17ROCPRIM_400000_NS6detail17trampoline_kernelINS0_14default_configENS1_38merge_sort_block_merge_config_selectorIiNS0_10empty_typeEEEZZNS1_27merge_sort_block_merge_implIS3_N6thrust23THRUST_200600_302600_NS6detail15normal_iteratorINS9_10device_ptrIiEEEEPS5_jNS1_19radix_merge_compareILb0ELb0EiNS0_19identity_decomposerEEEEE10hipError_tT0_T1_T2_jT3_P12ihipStream_tbPNSt15iterator_traitsISK_E10value_typeEPNSQ_ISL_E10value_typeEPSM_NS1_7vsmem_tEENKUlT_SK_SL_SM_E_clISE_PiSF_SF_EESJ_SZ_SK_SL_SM_EUlSZ_E0_NS1_11comp_targetILNS1_3genE5ELNS1_11target_archE942ELNS1_3gpuE9ELNS1_3repE0EEENS1_38merge_mergepath_config_static_selectorELNS0_4arch9wavefront6targetE1EEEvSL_,@function
_ZN7rocprim17ROCPRIM_400000_NS6detail17trampoline_kernelINS0_14default_configENS1_38merge_sort_block_merge_config_selectorIiNS0_10empty_typeEEEZZNS1_27merge_sort_block_merge_implIS3_N6thrust23THRUST_200600_302600_NS6detail15normal_iteratorINS9_10device_ptrIiEEEEPS5_jNS1_19radix_merge_compareILb0ELb0EiNS0_19identity_decomposerEEEEE10hipError_tT0_T1_T2_jT3_P12ihipStream_tbPNSt15iterator_traitsISK_E10value_typeEPNSQ_ISL_E10value_typeEPSM_NS1_7vsmem_tEENKUlT_SK_SL_SM_E_clISE_PiSF_SF_EESJ_SZ_SK_SL_SM_EUlSZ_E0_NS1_11comp_targetILNS1_3genE5ELNS1_11target_archE942ELNS1_3gpuE9ELNS1_3repE0EEENS1_38merge_mergepath_config_static_selectorELNS0_4arch9wavefront6targetE1EEEvSL_: ; @_ZN7rocprim17ROCPRIM_400000_NS6detail17trampoline_kernelINS0_14default_configENS1_38merge_sort_block_merge_config_selectorIiNS0_10empty_typeEEEZZNS1_27merge_sort_block_merge_implIS3_N6thrust23THRUST_200600_302600_NS6detail15normal_iteratorINS9_10device_ptrIiEEEEPS5_jNS1_19radix_merge_compareILb0ELb0EiNS0_19identity_decomposerEEEEE10hipError_tT0_T1_T2_jT3_P12ihipStream_tbPNSt15iterator_traitsISK_E10value_typeEPNSQ_ISL_E10value_typeEPSM_NS1_7vsmem_tEENKUlT_SK_SL_SM_E_clISE_PiSF_SF_EESJ_SZ_SK_SL_SM_EUlSZ_E0_NS1_11comp_targetILNS1_3genE5ELNS1_11target_archE942ELNS1_3gpuE9ELNS1_3repE0EEENS1_38merge_mergepath_config_static_selectorELNS0_4arch9wavefront6targetE1EEEvSL_
; %bb.0:
	.section	.rodata,"a",@progbits
	.p2align	6, 0x0
	.amdhsa_kernel _ZN7rocprim17ROCPRIM_400000_NS6detail17trampoline_kernelINS0_14default_configENS1_38merge_sort_block_merge_config_selectorIiNS0_10empty_typeEEEZZNS1_27merge_sort_block_merge_implIS3_N6thrust23THRUST_200600_302600_NS6detail15normal_iteratorINS9_10device_ptrIiEEEEPS5_jNS1_19radix_merge_compareILb0ELb0EiNS0_19identity_decomposerEEEEE10hipError_tT0_T1_T2_jT3_P12ihipStream_tbPNSt15iterator_traitsISK_E10value_typeEPNSQ_ISL_E10value_typeEPSM_NS1_7vsmem_tEENKUlT_SK_SL_SM_E_clISE_PiSF_SF_EESJ_SZ_SK_SL_SM_EUlSZ_E0_NS1_11comp_targetILNS1_3genE5ELNS1_11target_archE942ELNS1_3gpuE9ELNS1_3repE0EEENS1_38merge_mergepath_config_static_selectorELNS0_4arch9wavefront6targetE1EEEvSL_
		.amdhsa_group_segment_fixed_size 0
		.amdhsa_private_segment_fixed_size 0
		.amdhsa_kernarg_size 64
		.amdhsa_user_sgpr_count 6
		.amdhsa_user_sgpr_private_segment_buffer 1
		.amdhsa_user_sgpr_dispatch_ptr 0
		.amdhsa_user_sgpr_queue_ptr 0
		.amdhsa_user_sgpr_kernarg_segment_ptr 1
		.amdhsa_user_sgpr_dispatch_id 0
		.amdhsa_user_sgpr_flat_scratch_init 0
		.amdhsa_user_sgpr_kernarg_preload_length 0
		.amdhsa_user_sgpr_kernarg_preload_offset 0
		.amdhsa_user_sgpr_private_segment_size 0
		.amdhsa_uses_dynamic_stack 0
		.amdhsa_system_sgpr_private_segment_wavefront_offset 0
		.amdhsa_system_sgpr_workgroup_id_x 1
		.amdhsa_system_sgpr_workgroup_id_y 0
		.amdhsa_system_sgpr_workgroup_id_z 0
		.amdhsa_system_sgpr_workgroup_info 0
		.amdhsa_system_vgpr_workitem_id 0
		.amdhsa_next_free_vgpr 1
		.amdhsa_next_free_sgpr 0
		.amdhsa_accum_offset 4
		.amdhsa_reserve_vcc 0
		.amdhsa_reserve_flat_scratch 0
		.amdhsa_float_round_mode_32 0
		.amdhsa_float_round_mode_16_64 0
		.amdhsa_float_denorm_mode_32 3
		.amdhsa_float_denorm_mode_16_64 3
		.amdhsa_dx10_clamp 1
		.amdhsa_ieee_mode 1
		.amdhsa_fp16_overflow 0
		.amdhsa_tg_split 0
		.amdhsa_exception_fp_ieee_invalid_op 0
		.amdhsa_exception_fp_denorm_src 0
		.amdhsa_exception_fp_ieee_div_zero 0
		.amdhsa_exception_fp_ieee_overflow 0
		.amdhsa_exception_fp_ieee_underflow 0
		.amdhsa_exception_fp_ieee_inexact 0
		.amdhsa_exception_int_div_zero 0
	.end_amdhsa_kernel
	.section	.text._ZN7rocprim17ROCPRIM_400000_NS6detail17trampoline_kernelINS0_14default_configENS1_38merge_sort_block_merge_config_selectorIiNS0_10empty_typeEEEZZNS1_27merge_sort_block_merge_implIS3_N6thrust23THRUST_200600_302600_NS6detail15normal_iteratorINS9_10device_ptrIiEEEEPS5_jNS1_19radix_merge_compareILb0ELb0EiNS0_19identity_decomposerEEEEE10hipError_tT0_T1_T2_jT3_P12ihipStream_tbPNSt15iterator_traitsISK_E10value_typeEPNSQ_ISL_E10value_typeEPSM_NS1_7vsmem_tEENKUlT_SK_SL_SM_E_clISE_PiSF_SF_EESJ_SZ_SK_SL_SM_EUlSZ_E0_NS1_11comp_targetILNS1_3genE5ELNS1_11target_archE942ELNS1_3gpuE9ELNS1_3repE0EEENS1_38merge_mergepath_config_static_selectorELNS0_4arch9wavefront6targetE1EEEvSL_,"axG",@progbits,_ZN7rocprim17ROCPRIM_400000_NS6detail17trampoline_kernelINS0_14default_configENS1_38merge_sort_block_merge_config_selectorIiNS0_10empty_typeEEEZZNS1_27merge_sort_block_merge_implIS3_N6thrust23THRUST_200600_302600_NS6detail15normal_iteratorINS9_10device_ptrIiEEEEPS5_jNS1_19radix_merge_compareILb0ELb0EiNS0_19identity_decomposerEEEEE10hipError_tT0_T1_T2_jT3_P12ihipStream_tbPNSt15iterator_traitsISK_E10value_typeEPNSQ_ISL_E10value_typeEPSM_NS1_7vsmem_tEENKUlT_SK_SL_SM_E_clISE_PiSF_SF_EESJ_SZ_SK_SL_SM_EUlSZ_E0_NS1_11comp_targetILNS1_3genE5ELNS1_11target_archE942ELNS1_3gpuE9ELNS1_3repE0EEENS1_38merge_mergepath_config_static_selectorELNS0_4arch9wavefront6targetE1EEEvSL_,comdat
.Lfunc_end1648:
	.size	_ZN7rocprim17ROCPRIM_400000_NS6detail17trampoline_kernelINS0_14default_configENS1_38merge_sort_block_merge_config_selectorIiNS0_10empty_typeEEEZZNS1_27merge_sort_block_merge_implIS3_N6thrust23THRUST_200600_302600_NS6detail15normal_iteratorINS9_10device_ptrIiEEEEPS5_jNS1_19radix_merge_compareILb0ELb0EiNS0_19identity_decomposerEEEEE10hipError_tT0_T1_T2_jT3_P12ihipStream_tbPNSt15iterator_traitsISK_E10value_typeEPNSQ_ISL_E10value_typeEPSM_NS1_7vsmem_tEENKUlT_SK_SL_SM_E_clISE_PiSF_SF_EESJ_SZ_SK_SL_SM_EUlSZ_E0_NS1_11comp_targetILNS1_3genE5ELNS1_11target_archE942ELNS1_3gpuE9ELNS1_3repE0EEENS1_38merge_mergepath_config_static_selectorELNS0_4arch9wavefront6targetE1EEEvSL_, .Lfunc_end1648-_ZN7rocprim17ROCPRIM_400000_NS6detail17trampoline_kernelINS0_14default_configENS1_38merge_sort_block_merge_config_selectorIiNS0_10empty_typeEEEZZNS1_27merge_sort_block_merge_implIS3_N6thrust23THRUST_200600_302600_NS6detail15normal_iteratorINS9_10device_ptrIiEEEEPS5_jNS1_19radix_merge_compareILb0ELb0EiNS0_19identity_decomposerEEEEE10hipError_tT0_T1_T2_jT3_P12ihipStream_tbPNSt15iterator_traitsISK_E10value_typeEPNSQ_ISL_E10value_typeEPSM_NS1_7vsmem_tEENKUlT_SK_SL_SM_E_clISE_PiSF_SF_EESJ_SZ_SK_SL_SM_EUlSZ_E0_NS1_11comp_targetILNS1_3genE5ELNS1_11target_archE942ELNS1_3gpuE9ELNS1_3repE0EEENS1_38merge_mergepath_config_static_selectorELNS0_4arch9wavefront6targetE1EEEvSL_
                                        ; -- End function
	.section	.AMDGPU.csdata,"",@progbits
; Kernel info:
; codeLenInByte = 0
; NumSgprs: 4
; NumVgprs: 0
; NumAgprs: 0
; TotalNumVgprs: 0
; ScratchSize: 0
; MemoryBound: 0
; FloatMode: 240
; IeeeMode: 1
; LDSByteSize: 0 bytes/workgroup (compile time only)
; SGPRBlocks: 0
; VGPRBlocks: 0
; NumSGPRsForWavesPerEU: 4
; NumVGPRsForWavesPerEU: 1
; AccumOffset: 4
; Occupancy: 8
; WaveLimiterHint : 0
; COMPUTE_PGM_RSRC2:SCRATCH_EN: 0
; COMPUTE_PGM_RSRC2:USER_SGPR: 6
; COMPUTE_PGM_RSRC2:TRAP_HANDLER: 0
; COMPUTE_PGM_RSRC2:TGID_X_EN: 1
; COMPUTE_PGM_RSRC2:TGID_Y_EN: 0
; COMPUTE_PGM_RSRC2:TGID_Z_EN: 0
; COMPUTE_PGM_RSRC2:TIDIG_COMP_CNT: 0
; COMPUTE_PGM_RSRC3_GFX90A:ACCUM_OFFSET: 0
; COMPUTE_PGM_RSRC3_GFX90A:TG_SPLIT: 0
	.section	.text._ZN7rocprim17ROCPRIM_400000_NS6detail17trampoline_kernelINS0_14default_configENS1_38merge_sort_block_merge_config_selectorIiNS0_10empty_typeEEEZZNS1_27merge_sort_block_merge_implIS3_N6thrust23THRUST_200600_302600_NS6detail15normal_iteratorINS9_10device_ptrIiEEEEPS5_jNS1_19radix_merge_compareILb0ELb0EiNS0_19identity_decomposerEEEEE10hipError_tT0_T1_T2_jT3_P12ihipStream_tbPNSt15iterator_traitsISK_E10value_typeEPNSQ_ISL_E10value_typeEPSM_NS1_7vsmem_tEENKUlT_SK_SL_SM_E_clISE_PiSF_SF_EESJ_SZ_SK_SL_SM_EUlSZ_E0_NS1_11comp_targetILNS1_3genE4ELNS1_11target_archE910ELNS1_3gpuE8ELNS1_3repE0EEENS1_38merge_mergepath_config_static_selectorELNS0_4arch9wavefront6targetE1EEEvSL_,"axG",@progbits,_ZN7rocprim17ROCPRIM_400000_NS6detail17trampoline_kernelINS0_14default_configENS1_38merge_sort_block_merge_config_selectorIiNS0_10empty_typeEEEZZNS1_27merge_sort_block_merge_implIS3_N6thrust23THRUST_200600_302600_NS6detail15normal_iteratorINS9_10device_ptrIiEEEEPS5_jNS1_19radix_merge_compareILb0ELb0EiNS0_19identity_decomposerEEEEE10hipError_tT0_T1_T2_jT3_P12ihipStream_tbPNSt15iterator_traitsISK_E10value_typeEPNSQ_ISL_E10value_typeEPSM_NS1_7vsmem_tEENKUlT_SK_SL_SM_E_clISE_PiSF_SF_EESJ_SZ_SK_SL_SM_EUlSZ_E0_NS1_11comp_targetILNS1_3genE4ELNS1_11target_archE910ELNS1_3gpuE8ELNS1_3repE0EEENS1_38merge_mergepath_config_static_selectorELNS0_4arch9wavefront6targetE1EEEvSL_,comdat
	.protected	_ZN7rocprim17ROCPRIM_400000_NS6detail17trampoline_kernelINS0_14default_configENS1_38merge_sort_block_merge_config_selectorIiNS0_10empty_typeEEEZZNS1_27merge_sort_block_merge_implIS3_N6thrust23THRUST_200600_302600_NS6detail15normal_iteratorINS9_10device_ptrIiEEEEPS5_jNS1_19radix_merge_compareILb0ELb0EiNS0_19identity_decomposerEEEEE10hipError_tT0_T1_T2_jT3_P12ihipStream_tbPNSt15iterator_traitsISK_E10value_typeEPNSQ_ISL_E10value_typeEPSM_NS1_7vsmem_tEENKUlT_SK_SL_SM_E_clISE_PiSF_SF_EESJ_SZ_SK_SL_SM_EUlSZ_E0_NS1_11comp_targetILNS1_3genE4ELNS1_11target_archE910ELNS1_3gpuE8ELNS1_3repE0EEENS1_38merge_mergepath_config_static_selectorELNS0_4arch9wavefront6targetE1EEEvSL_ ; -- Begin function _ZN7rocprim17ROCPRIM_400000_NS6detail17trampoline_kernelINS0_14default_configENS1_38merge_sort_block_merge_config_selectorIiNS0_10empty_typeEEEZZNS1_27merge_sort_block_merge_implIS3_N6thrust23THRUST_200600_302600_NS6detail15normal_iteratorINS9_10device_ptrIiEEEEPS5_jNS1_19radix_merge_compareILb0ELb0EiNS0_19identity_decomposerEEEEE10hipError_tT0_T1_T2_jT3_P12ihipStream_tbPNSt15iterator_traitsISK_E10value_typeEPNSQ_ISL_E10value_typeEPSM_NS1_7vsmem_tEENKUlT_SK_SL_SM_E_clISE_PiSF_SF_EESJ_SZ_SK_SL_SM_EUlSZ_E0_NS1_11comp_targetILNS1_3genE4ELNS1_11target_archE910ELNS1_3gpuE8ELNS1_3repE0EEENS1_38merge_mergepath_config_static_selectorELNS0_4arch9wavefront6targetE1EEEvSL_
	.globl	_ZN7rocprim17ROCPRIM_400000_NS6detail17trampoline_kernelINS0_14default_configENS1_38merge_sort_block_merge_config_selectorIiNS0_10empty_typeEEEZZNS1_27merge_sort_block_merge_implIS3_N6thrust23THRUST_200600_302600_NS6detail15normal_iteratorINS9_10device_ptrIiEEEEPS5_jNS1_19radix_merge_compareILb0ELb0EiNS0_19identity_decomposerEEEEE10hipError_tT0_T1_T2_jT3_P12ihipStream_tbPNSt15iterator_traitsISK_E10value_typeEPNSQ_ISL_E10value_typeEPSM_NS1_7vsmem_tEENKUlT_SK_SL_SM_E_clISE_PiSF_SF_EESJ_SZ_SK_SL_SM_EUlSZ_E0_NS1_11comp_targetILNS1_3genE4ELNS1_11target_archE910ELNS1_3gpuE8ELNS1_3repE0EEENS1_38merge_mergepath_config_static_selectorELNS0_4arch9wavefront6targetE1EEEvSL_
	.p2align	8
	.type	_ZN7rocprim17ROCPRIM_400000_NS6detail17trampoline_kernelINS0_14default_configENS1_38merge_sort_block_merge_config_selectorIiNS0_10empty_typeEEEZZNS1_27merge_sort_block_merge_implIS3_N6thrust23THRUST_200600_302600_NS6detail15normal_iteratorINS9_10device_ptrIiEEEEPS5_jNS1_19radix_merge_compareILb0ELb0EiNS0_19identity_decomposerEEEEE10hipError_tT0_T1_T2_jT3_P12ihipStream_tbPNSt15iterator_traitsISK_E10value_typeEPNSQ_ISL_E10value_typeEPSM_NS1_7vsmem_tEENKUlT_SK_SL_SM_E_clISE_PiSF_SF_EESJ_SZ_SK_SL_SM_EUlSZ_E0_NS1_11comp_targetILNS1_3genE4ELNS1_11target_archE910ELNS1_3gpuE8ELNS1_3repE0EEENS1_38merge_mergepath_config_static_selectorELNS0_4arch9wavefront6targetE1EEEvSL_,@function
_ZN7rocprim17ROCPRIM_400000_NS6detail17trampoline_kernelINS0_14default_configENS1_38merge_sort_block_merge_config_selectorIiNS0_10empty_typeEEEZZNS1_27merge_sort_block_merge_implIS3_N6thrust23THRUST_200600_302600_NS6detail15normal_iteratorINS9_10device_ptrIiEEEEPS5_jNS1_19radix_merge_compareILb0ELb0EiNS0_19identity_decomposerEEEEE10hipError_tT0_T1_T2_jT3_P12ihipStream_tbPNSt15iterator_traitsISK_E10value_typeEPNSQ_ISL_E10value_typeEPSM_NS1_7vsmem_tEENKUlT_SK_SL_SM_E_clISE_PiSF_SF_EESJ_SZ_SK_SL_SM_EUlSZ_E0_NS1_11comp_targetILNS1_3genE4ELNS1_11target_archE910ELNS1_3gpuE8ELNS1_3repE0EEENS1_38merge_mergepath_config_static_selectorELNS0_4arch9wavefront6targetE1EEEvSL_: ; @_ZN7rocprim17ROCPRIM_400000_NS6detail17trampoline_kernelINS0_14default_configENS1_38merge_sort_block_merge_config_selectorIiNS0_10empty_typeEEEZZNS1_27merge_sort_block_merge_implIS3_N6thrust23THRUST_200600_302600_NS6detail15normal_iteratorINS9_10device_ptrIiEEEEPS5_jNS1_19radix_merge_compareILb0ELb0EiNS0_19identity_decomposerEEEEE10hipError_tT0_T1_T2_jT3_P12ihipStream_tbPNSt15iterator_traitsISK_E10value_typeEPNSQ_ISL_E10value_typeEPSM_NS1_7vsmem_tEENKUlT_SK_SL_SM_E_clISE_PiSF_SF_EESJ_SZ_SK_SL_SM_EUlSZ_E0_NS1_11comp_targetILNS1_3genE4ELNS1_11target_archE910ELNS1_3gpuE8ELNS1_3repE0EEENS1_38merge_mergepath_config_static_selectorELNS0_4arch9wavefront6targetE1EEEvSL_
; %bb.0:
	s_load_dwordx2 s[10:11], s[4:5], 0x40
	s_load_dword s3, s[4:5], 0x30
	s_add_u32 s0, s4, 64
	s_addc_u32 s1, s5, 0
	s_waitcnt lgkmcnt(0)
	s_mul_i32 s2, s11, s8
	s_add_i32 s2, s2, s7
	s_mul_i32 s2, s2, s10
	s_add_i32 s2, s2, s6
	s_cmp_ge_u32 s2, s3
	s_cbranch_scc1 .LBB1649_43
; %bb.1:
	s_load_dwordx2 s[14:15], s[4:5], 0x28
	s_load_dwordx2 s[8:9], s[4:5], 0x38
	;; [unrolled: 1-line block ×3, first 2 shown]
	s_mov_b32 s3, 0
	v_mov_b32_e32 v9, 0
	s_waitcnt lgkmcnt(0)
	s_lshr_b32 s22, s14, 10
	s_cmp_lg_u32 s2, s22
	s_cselect_b64 s[18:19], -1, 0
	s_lshl_b64 s[16:17], s[2:3], 2
	s_add_u32 s8, s8, s16
	s_addc_u32 s9, s9, s17
	s_lshr_b32 s7, s15, 9
	s_and_b32 s7, s7, 0x7ffffe
	s_load_dwordx2 s[8:9], s[8:9], 0x0
	s_sub_i32 s7, 0, s7
	s_and_b32 s11, s2, s7
	s_lshl_b32 s17, s11, 10
	s_lshl_b32 s16, s2, 10
	;; [unrolled: 1-line block ×3, first 2 shown]
	s_sub_i32 s20, s16, s17
	s_add_i32 s11, s11, s15
	s_add_i32 s21, s11, s20
	s_waitcnt lgkmcnt(0)
	s_sub_i32 s20, s21, s8
	s_sub_i32 s21, s21, s9
	;; [unrolled: 1-line block ×3, first 2 shown]
	s_min_u32 s20, s14, s20
	s_addk_i32 s21, 0x400
	s_or_b32 s7, s2, s7
	s_min_u32 s17, s14, s11
	s_add_i32 s11, s11, s15
	s_cmp_eq_u32 s7, -1
	s_cselect_b32 s7, s11, s21
	s_cselect_b32 s9, s17, s9
	s_min_u32 s7, s7, s14
	s_sub_i32 s15, s9, s8
	s_mov_b32 s9, s3
	s_sub_i32 s7, s7, s20
	s_lshl_b64 s[8:9], s[8:9], 2
	s_add_u32 s8, s12, s8
	s_mov_b32 s21, s3
	s_addc_u32 s9, s13, s9
	s_lshl_b64 s[20:21], s[20:21], 2
	s_add_u32 s11, s12, s20
	s_addc_u32 s12, s13, s21
	s_cmp_lt_u32 s6, s10
	s_cselect_b32 s3, 12, 18
	global_load_dword v1, v9, s[0:1] offset:14
	s_add_u32 s0, s0, s3
	s_addc_u32 s1, s1, 0
	global_load_ushort v2, v9, s[0:1]
	s_cmp_eq_u32 s2, s22
	s_waitcnt vmcnt(1)
	v_lshrrev_b32_e32 v3, 16, v1
	v_and_b32_e32 v1, 0xffff, v1
	v_mul_lo_u32 v1, v1, v3
	s_waitcnt vmcnt(0)
	v_mul_lo_u32 v15, v1, v2
	v_add_u32_e32 v12, v15, v0
	v_lshlrev_b32_e32 v1, 2, v0
	v_add_u32_e32 v10, v12, v15
	s_cbranch_scc1 .LBB1649_3
; %bb.2:
	v_subrev_u32_e32 v8, s15, v0
	v_lshlrev_b64 v[2:3], 2, v[8:9]
	v_mov_b32_e32 v4, s12
	v_add_co_u32_e32 v2, vcc, s11, v2
	v_addc_co_u32_e32 v3, vcc, v4, v3, vcc
	v_mov_b32_e32 v4, s9
	v_add_co_u32_e32 v5, vcc, s8, v1
	v_addc_co_u32_e32 v4, vcc, 0, v4, vcc
	v_cmp_gt_u32_e32 vcc, s15, v0
	v_subrev_u32_e32 v8, s15, v12
	v_cndmask_b32_e32 v3, v3, v4, vcc
	v_cndmask_b32_e32 v2, v2, v5, vcc
	v_lshlrev_b64 v[4:5], 2, v[8:9]
	global_load_dword v2, v[2:3], off
	v_mov_b32_e32 v3, s12
	v_add_co_u32_e32 v6, vcc, s11, v4
	v_mov_b32_e32 v13, v9
	v_addc_co_u32_e32 v3, vcc, v3, v5, vcc
	v_lshlrev_b64 v[4:5], 2, v[12:13]
	v_mov_b32_e32 v7, s9
	v_add_co_u32_e32 v4, vcc, s8, v4
	v_addc_co_u32_e32 v5, vcc, v7, v5, vcc
	v_cmp_gt_u32_e32 vcc, s15, v12
	v_cndmask_b32_e32 v5, v3, v5, vcc
	v_cndmask_b32_e32 v4, v6, v4, vcc
	v_subrev_u32_e32 v8, s15, v10
	global_load_dword v3, v[4:5], off
	v_lshlrev_b64 v[4:5], 2, v[8:9]
	v_mov_b32_e32 v6, s12
	v_add_co_u32_e32 v7, vcc, s11, v4
	v_mov_b32_e32 v11, v9
	v_addc_co_u32_e32 v6, vcc, v6, v5, vcc
	v_lshlrev_b64 v[4:5], 2, v[10:11]
	v_mov_b32_e32 v8, s9
	v_add_co_u32_e32 v4, vcc, s8, v4
	v_addc_co_u32_e32 v5, vcc, v8, v5, vcc
	v_cmp_gt_u32_e32 vcc, s15, v10
	v_cndmask_b32_e32 v5, v6, v5, vcc
	v_add_u32_e32 v6, v10, v15
	v_subrev_u32_e32 v8, s15, v6
	v_cndmask_b32_e32 v4, v7, v4, vcc
	v_lshlrev_b64 v[16:17], 2, v[8:9]
	global_load_dword v4, v[4:5], off
	v_mov_b32_e32 v5, s12
	v_add_co_u32_e32 v8, vcc, s11, v16
	v_mov_b32_e32 v7, v9
	v_addc_co_u32_e32 v5, vcc, v5, v17, vcc
	v_lshlrev_b64 v[16:17], 2, v[6:7]
	v_mov_b32_e32 v7, s9
	v_add_co_u32_e32 v11, vcc, s8, v16
	v_addc_co_u32_e32 v7, vcc, v7, v17, vcc
	v_cmp_gt_u32_e32 vcc, s15, v6
	v_cndmask_b32_e32 v17, v5, v7, vcc
	v_cndmask_b32_e32 v16, v8, v11, vcc
	global_load_dword v5, v[16:17], off
	v_add_u32_e32 v16, v6, v15
	v_subrev_u32_e32 v8, s15, v16
	v_lshlrev_b64 v[6:7], 2, v[8:9]
	v_mov_b32_e32 v8, s12
	v_add_co_u32_e32 v11, vcc, s11, v6
	v_mov_b32_e32 v17, v9
	v_addc_co_u32_e32 v8, vcc, v8, v7, vcc
	v_lshlrev_b64 v[6:7], 2, v[16:17]
	v_mov_b32_e32 v13, s9
	v_add_co_u32_e32 v6, vcc, s8, v6
	v_addc_co_u32_e32 v7, vcc, v13, v7, vcc
	v_cmp_gt_u32_e32 vcc, s15, v16
	v_add_u32_e32 v16, v16, v15
	v_cndmask_b32_e32 v7, v8, v7, vcc
	v_subrev_u32_e32 v8, s15, v16
	v_cndmask_b32_e32 v6, v11, v6, vcc
	v_lshlrev_b64 v[18:19], 2, v[8:9]
	global_load_dword v6, v[6:7], off
	v_mov_b32_e32 v7, s12
	v_add_co_u32_e32 v8, vcc, s11, v18
	v_addc_co_u32_e32 v7, vcc, v7, v19, vcc
	v_lshlrev_b64 v[18:19], 2, v[16:17]
	v_mov_b32_e32 v11, s9
	v_add_co_u32_e32 v13, vcc, s8, v18
	v_addc_co_u32_e32 v11, vcc, v11, v19, vcc
	v_cmp_gt_u32_e32 vcc, s15, v16
	v_add_u32_e32 v16, v16, v15
	v_cndmask_b32_e32 v19, v7, v11, vcc
	v_cndmask_b32_e32 v18, v8, v13, vcc
	v_subrev_u32_e32 v8, s15, v16
	global_load_dword v7, v[18:19], off
	v_lshlrev_b64 v[18:19], 2, v[8:9]
	v_mov_b32_e32 v8, s12
	v_add_co_u32_e32 v11, vcc, s11, v18
	v_addc_co_u32_e32 v13, vcc, v8, v19, vcc
	v_lshlrev_b64 v[8:9], 2, v[16:17]
	v_mov_b32_e32 v14, s9
	v_add_co_u32_e32 v8, vcc, s8, v8
	v_addc_co_u32_e32 v9, vcc, v14, v9, vcc
	v_cmp_gt_u32_e32 vcc, s15, v16
	v_cndmask_b32_e32 v9, v13, v9, vcc
	v_cndmask_b32_e32 v8, v11, v8, vcc
	global_load_dword v8, v[8:9], off
	v_add_u32_e32 v14, v16, v15
	s_add_i32 s6, s7, s15
	s_mov_b64 s[0:1], -1
	s_cbranch_execz .LBB1649_4
	s_branch .LBB1649_17
.LBB1649_3:
	s_mov_b64 s[0:1], 0
                                        ; implicit-def: $vgpr14
                                        ; implicit-def: $vgpr2_vgpr3_vgpr4_vgpr5_vgpr6_vgpr7_vgpr8_vgpr9
                                        ; implicit-def: $sgpr6
.LBB1649_4:
	s_add_i32 s6, s7, s15
	v_cmp_gt_u32_e32 vcc, s6, v0
                                        ; implicit-def: $vgpr2_vgpr3_vgpr4_vgpr5_vgpr6_vgpr7_vgpr8_vgpr9
	s_and_saveexec_b64 s[0:1], vcc
	s_cbranch_execnz .LBB1649_44
; %bb.5:
	s_or_b64 exec, exec, s[0:1]
	v_cmp_gt_u32_e32 vcc, s6, v12
	s_and_saveexec_b64 s[2:3], vcc
	s_cbranch_execnz .LBB1649_45
.LBB1649_6:
	s_or_b64 exec, exec, s[2:3]
	v_cmp_gt_u32_e32 vcc, s6, v10
	s_and_saveexec_b64 s[0:1], vcc
	s_cbranch_execz .LBB1649_8
.LBB1649_7:
	v_mov_b32_e32 v11, 0
	v_lshlrev_b64 v[12:13], 2, v[10:11]
	s_waitcnt vmcnt(4)
	v_mov_b32_e32 v4, s9
	v_add_co_u32_e32 v14, vcc, s8, v12
	v_addc_co_u32_e32 v4, vcc, v4, v13, vcc
	v_subrev_u32_e32 v12, s15, v10
	v_mov_b32_e32 v13, v11
	v_lshlrev_b64 v[12:13], 2, v[12:13]
	v_mov_b32_e32 v11, s12
	v_add_co_u32_e32 v12, vcc, s11, v12
	v_addc_co_u32_e32 v11, vcc, v11, v13, vcc
	v_cmp_gt_u32_e32 vcc, s15, v10
	v_cndmask_b32_e32 v13, v11, v4, vcc
	v_cndmask_b32_e32 v12, v12, v14, vcc
	global_load_dword v4, v[12:13], off
.LBB1649_8:
	s_or_b64 exec, exec, s[0:1]
	v_add_u32_e32 v10, v10, v15
	v_cmp_gt_u32_e32 vcc, s6, v10
	s_and_saveexec_b64 s[0:1], vcc
	s_cbranch_execz .LBB1649_10
; %bb.9:
	v_mov_b32_e32 v11, 0
	v_lshlrev_b64 v[12:13], 2, v[10:11]
	s_waitcnt vmcnt(3)
	v_mov_b32_e32 v5, s9
	v_add_co_u32_e32 v14, vcc, s8, v12
	v_addc_co_u32_e32 v5, vcc, v5, v13, vcc
	v_subrev_u32_e32 v12, s15, v10
	v_mov_b32_e32 v13, v11
	v_lshlrev_b64 v[12:13], 2, v[12:13]
	v_mov_b32_e32 v11, s12
	v_add_co_u32_e32 v12, vcc, s11, v12
	v_addc_co_u32_e32 v11, vcc, v11, v13, vcc
	v_cmp_gt_u32_e32 vcc, s15, v10
	v_cndmask_b32_e32 v13, v11, v5, vcc
	v_cndmask_b32_e32 v12, v12, v14, vcc
	global_load_dword v5, v[12:13], off
.LBB1649_10:
	s_or_b64 exec, exec, s[0:1]
	v_add_u32_e32 v10, v10, v15
	v_cmp_gt_u32_e32 vcc, s6, v10
	s_and_saveexec_b64 s[0:1], vcc
	s_cbranch_execz .LBB1649_12
; %bb.11:
	v_mov_b32_e32 v11, 0
	v_lshlrev_b64 v[12:13], 2, v[10:11]
	s_waitcnt vmcnt(2)
	v_mov_b32_e32 v6, s9
	v_add_co_u32_e32 v14, vcc, s8, v12
	v_addc_co_u32_e32 v6, vcc, v6, v13, vcc
	v_subrev_u32_e32 v12, s15, v10
	v_mov_b32_e32 v13, v11
	v_lshlrev_b64 v[12:13], 2, v[12:13]
	v_mov_b32_e32 v11, s12
	v_add_co_u32_e32 v12, vcc, s11, v12
	v_addc_co_u32_e32 v11, vcc, v11, v13, vcc
	v_cmp_gt_u32_e32 vcc, s15, v10
	v_cndmask_b32_e32 v13, v11, v6, vcc
	v_cndmask_b32_e32 v12, v12, v14, vcc
	global_load_dword v6, v[12:13], off
.LBB1649_12:
	;; [unrolled: 23-line block ×4, first 2 shown]
	s_or_b64 exec, exec, s[0:1]
	v_add_u32_e32 v14, v10, v15
	v_cmp_gt_u32_e64 s[0:1], s6, v14
.LBB1649_17:
	v_mov_b32_e32 v11, s6
	s_and_saveexec_b64 s[2:3], s[0:1]
	s_cbranch_execz .LBB1649_19
; %bb.18:
	v_subrev_u32_e32 v10, s15, v14
	v_mov_b32_e32 v11, 0
	v_lshlrev_b64 v[12:13], 2, v[10:11]
	v_mov_b32_e32 v9, s12
	v_add_co_u32_e32 v12, vcc, s11, v12
	v_mov_b32_e32 v15, v11
	v_addc_co_u32_e32 v9, vcc, v9, v13, vcc
	v_lshlrev_b64 v[10:11], 2, v[14:15]
	v_mov_b32_e32 v13, s9
	v_add_co_u32_e32 v10, vcc, s8, v10
	v_addc_co_u32_e32 v11, vcc, v13, v11, vcc
	v_cmp_gt_u32_e32 vcc, s15, v14
	v_cndmask_b32_e32 v11, v9, v11, vcc
	v_cndmask_b32_e32 v10, v12, v10, vcc
	global_load_dword v9, v[10:11], off
	v_mov_b32_e32 v11, s6
.LBB1649_19:
	s_or_b64 exec, exec, s[2:3]
	s_load_dwordx2 s[20:21], s[4:5], 0x10
	v_lshlrev_b32_e32 v10, 3, v0
	v_min_u32_e32 v13, v11, v10
	v_sub_u32_e64 v12, v13, s7 clamp
	v_min_u32_e32 v14, s15, v13
	v_cmp_lt_u32_e32 vcc, v12, v14
	s_waitcnt vmcnt(0)
	ds_write2st64_b32 v1, v2, v3 offset1:2
	ds_write2st64_b32 v1, v4, v5 offset0:4 offset1:6
	ds_write2st64_b32 v1, v6, v7 offset0:8 offset1:10
	;; [unrolled: 1-line block ×3, first 2 shown]
	s_waitcnt lgkmcnt(0)
	s_barrier
	s_and_saveexec_b64 s[0:1], vcc
	s_cbranch_execz .LBB1649_23
; %bb.20:
	v_lshlrev_b32_e32 v15, 2, v13
	v_lshl_add_u32 v15, s15, 2, v15
	s_mov_b64 s[2:3], 0
.LBB1649_21:                            ; =>This Inner Loop Header: Depth=1
	v_add_u32_e32 v16, v14, v12
	v_lshrrev_b32_e32 v16, 1, v16
	v_not_b32_e32 v17, v16
	v_lshlrev_b32_e32 v18, 2, v16
	v_lshl_add_u32 v17, v17, 2, v15
	ds_read_b32 v18, v18
	ds_read_b32 v17, v17
	v_add_u32_e32 v19, 1, v16
	s_waitcnt lgkmcnt(0)
	v_cmp_gt_i32_e32 vcc, v18, v17
	v_cndmask_b32_e32 v14, v14, v16, vcc
	v_cndmask_b32_e32 v12, v19, v12, vcc
	v_cmp_ge_u32_e32 vcc, v12, v14
	s_or_b64 s[2:3], vcc, s[2:3]
	s_andn2_b64 exec, exec, s[2:3]
	s_cbranch_execnz .LBB1649_21
; %bb.22:
	s_or_b64 exec, exec, s[2:3]
.LBB1649_23:
	s_or_b64 exec, exec, s[0:1]
	v_sub_u32_e32 v13, v13, v12
	v_add_u32_e32 v13, s15, v13
	v_cmp_ge_u32_e32 vcc, s15, v12
	v_cmp_le_u32_e64 s[0:1], v13, v11
	s_or_b64 s[0:1], vcc, s[0:1]
	s_and_saveexec_b64 s[22:23], s[0:1]
	s_cbranch_execz .LBB1649_29
; %bb.24:
	v_cmp_gt_u32_e32 vcc, s15, v12
                                        ; implicit-def: $vgpr2
	s_and_saveexec_b64 s[0:1], vcc
	s_cbranch_execz .LBB1649_26
; %bb.25:
	v_lshlrev_b32_e32 v2, 2, v12
	ds_read_b32 v2, v2
.LBB1649_26:
	s_or_b64 exec, exec, s[0:1]
	v_cmp_ge_u32_e64 s[0:1], v13, v11
	v_cmp_lt_u32_e64 s[2:3], v13, v11
                                        ; implicit-def: $vgpr3
	s_and_saveexec_b64 s[4:5], s[2:3]
	s_cbranch_execz .LBB1649_28
; %bb.27:
	v_lshlrev_b32_e32 v3, 2, v13
	ds_read_b32 v3, v3
.LBB1649_28:
	s_or_b64 exec, exec, s[4:5]
	s_waitcnt lgkmcnt(0)
	v_cmp_le_i32_e64 s[2:3], v2, v3
	s_and_b64 s[2:3], vcc, s[2:3]
	s_or_b64 vcc, s[0:1], s[2:3]
	v_mov_b32_e32 v5, s15
	v_cndmask_b32_e32 v4, v13, v12, vcc
	v_cndmask_b32_e32 v6, v11, v5, vcc
	v_add_u32_e32 v4, 1, v4
	v_add_u32_e32 v6, -1, v6
	v_min_u32_e32 v6, v4, v6
	v_lshlrev_b32_e32 v6, 2, v6
	ds_read_b32 v6, v6
	v_cndmask_b32_e32 v8, v4, v13, vcc
	v_cndmask_b32_e32 v4, v12, v4, vcc
	v_cmp_gt_u32_e64 s[2:3], s15, v4
	v_cmp_ge_u32_e64 s[0:1], v8, v11
	s_waitcnt lgkmcnt(0)
	v_cndmask_b32_e32 v7, v6, v3, vcc
	v_cndmask_b32_e32 v6, v2, v6, vcc
	v_cmp_le_i32_e64 s[4:5], v6, v7
	s_and_b64 s[2:3], s[2:3], s[4:5]
	s_or_b64 s[0:1], s[0:1], s[2:3]
	v_cndmask_b32_e64 v9, v8, v4, s[0:1]
	v_cndmask_b32_e64 v12, v11, v5, s[0:1]
	v_add_u32_e32 v9, 1, v9
	v_add_u32_e32 v12, -1, v12
	v_min_u32_e32 v12, v9, v12
	v_lshlrev_b32_e32 v12, 2, v12
	ds_read_b32 v12, v12
	v_cndmask_b32_e64 v4, v4, v9, s[0:1]
	v_cndmask_b32_e64 v8, v9, v8, s[0:1]
	v_cmp_gt_u32_e64 s[4:5], s15, v4
	v_cmp_ge_u32_e64 s[2:3], v8, v11
	s_waitcnt lgkmcnt(0)
	v_cndmask_b32_e64 v13, v12, v7, s[0:1]
	v_cndmask_b32_e64 v12, v6, v12, s[0:1]
	v_cmp_le_i32_e64 s[6:7], v12, v13
	s_and_b64 s[4:5], s[4:5], s[6:7]
	s_or_b64 s[2:3], s[2:3], s[4:5]
	v_cndmask_b32_e64 v9, v8, v4, s[2:3]
	v_cndmask_b32_e64 v14, v11, v5, s[2:3]
	v_add_u32_e32 v9, 1, v9
	v_add_u32_e32 v14, -1, v14
	v_min_u32_e32 v14, v9, v14
	v_lshlrev_b32_e32 v14, 2, v14
	ds_read_b32 v14, v14
	v_cndmask_b32_e64 v4, v4, v9, s[2:3]
	v_cndmask_b32_e64 v8, v9, v8, s[2:3]
	v_cmp_gt_u32_e64 s[6:7], s15, v4
	v_cmp_ge_u32_e64 s[4:5], v8, v11
	s_waitcnt lgkmcnt(0)
	v_cndmask_b32_e64 v15, v14, v13, s[2:3]
	v_cndmask_b32_e64 v14, v12, v14, s[2:3]
	;; [unrolled: 17-line block ×4, first 2 shown]
	v_cmp_le_i32_e64 s[12:13], v18, v19
	s_and_b64 s[10:11], s[10:11], s[12:13]
	s_or_b64 s[8:9], s[8:9], s[10:11]
	v_cndmask_b32_e64 v4, v8, v9, s[8:9]
	v_cndmask_b32_e64 v20, v11, v5, s[8:9]
	v_add_u32_e32 v21, 1, v4
	v_add_u32_e32 v4, -1, v20
	v_min_u32_e32 v4, v21, v4
	v_lshlrev_b32_e32 v4, 2, v4
	ds_read_b32 v20, v4
	v_cndmask_b32_e64 v4, v13, v12, s[2:3]
	v_cndmask_b32_e64 v9, v9, v21, s[8:9]
	v_cndmask_b32_e32 v2, v3, v2, vcc
	v_cndmask_b32_e64 v3, v7, v6, s[0:1]
	s_waitcnt lgkmcnt(0)
	v_cndmask_b32_e64 v12, v20, v19, s[8:9]
	v_cndmask_b32_e64 v13, v18, v20, s[8:9]
	;; [unrolled: 1-line block ×3, first 2 shown]
	v_cmp_gt_u32_e64 s[0:1], s15, v9
	v_cmp_le_i32_e64 s[2:3], v13, v12
	v_cmp_ge_u32_e32 vcc, v20, v11
	s_and_b64 s[0:1], s[0:1], s[2:3]
	s_or_b64 vcc, vcc, s[0:1]
	v_cndmask_b32_e32 v6, v20, v9, vcc
	v_cndmask_b32_e32 v5, v11, v5, vcc
	v_add_u32_e32 v21, 1, v6
	v_add_u32_e32 v5, -1, v5
	v_min_u32_e32 v5, v21, v5
	v_lshlrev_b32_e32 v5, 2, v5
	ds_read_b32 v22, v5
	v_cndmask_b32_e32 v8, v12, v13, vcc
	v_cndmask_b32_e32 v9, v9, v21, vcc
	v_cndmask_b32_e64 v5, v15, v14, s[4:5]
	v_cndmask_b32_e32 v14, v21, v20, vcc
	s_waitcnt lgkmcnt(0)
	v_cndmask_b32_e32 v12, v22, v12, vcc
	v_cndmask_b32_e32 v13, v13, v22, vcc
	v_cmp_gt_u32_e64 s[0:1], s15, v9
	v_cmp_le_i32_e64 s[2:3], v13, v12
	v_cmp_ge_u32_e32 vcc, v14, v11
	s_and_b64 s[0:1], s[0:1], s[2:3]
	s_or_b64 vcc, vcc, s[0:1]
	v_cndmask_b32_e64 v6, v17, v16, s[6:7]
	v_cndmask_b32_e64 v7, v19, v18, s[8:9]
	v_cndmask_b32_e32 v9, v12, v13, vcc
.LBB1649_29:
	s_or_b64 exec, exec, s[22:23]
	v_and_b32_e32 v11, 0x7c, v0
	v_lshl_add_u32 v10, v10, 2, v11
	s_barrier
	s_barrier
	ds_write2_b32 v10, v2, v3 offset1:1
	ds_write2_b32 v10, v4, v5 offset0:2 offset1:3
	ds_write2_b32 v10, v6, v7 offset0:4 offset1:5
	;; [unrolled: 1-line block ×3, first 2 shown]
	v_lshrrev_b32_e32 v2, 3, v0
	v_and_b32_e32 v2, 12, v2
	v_or_b32_e32 v10, 0x80, v0
	v_add_u32_e32 v11, v1, v2
	v_lshrrev_b32_e32 v2, 3, v10
	v_and_b32_e32 v2, 28, v2
	v_or_b32_e32 v9, 0x100, v0
	v_add_u32_e32 v12, v1, v2
	v_lshrrev_b32_e32 v2, 3, v9
	v_and_b32_e32 v2, 44, v2
	v_or_b32_e32 v8, 0x180, v0
	v_add_u32_e32 v13, v1, v2
	v_lshrrev_b32_e32 v2, 3, v8
	v_and_b32_e32 v2, 60, v2
	v_or_b32_e32 v7, 0x200, v0
	v_add_u32_e32 v14, v1, v2
	v_lshrrev_b32_e32 v2, 3, v7
	v_and_b32_e32 v2, 0x4c, v2
	v_or_b32_e32 v6, 0x280, v0
	v_add_u32_e32 v15, v1, v2
	v_lshrrev_b32_e32 v2, 3, v6
	v_and_b32_e32 v2, 0x5c, v2
	v_or_b32_e32 v5, 0x300, v0
	s_mov_b32 s17, 0
	v_add_u32_e32 v16, v1, v2
	v_lshrrev_b32_e32 v2, 3, v5
	s_lshl_b64 s[0:1], s[16:17], 2
	v_and_b32_e32 v2, 0x6c, v2
	v_or_b32_e32 v4, 0x380, v0
	s_add_u32 s0, s20, s0
	v_add_u32_e32 v17, v1, v2
	v_lshrrev_b32_e32 v2, 3, v4
	s_addc_u32 s1, s21, s1
	v_and_b32_e32 v2, 0x7c, v2
	v_add_u32_e32 v18, v1, v2
	v_mov_b32_e32 v3, s1
	v_add_co_u32_e32 v2, vcc, s0, v1
	v_addc_co_u32_e32 v3, vcc, 0, v3, vcc
	s_and_b64 vcc, exec, s[18:19]
	s_waitcnt lgkmcnt(0)
	s_cbranch_vccz .LBB1649_31
; %bb.30:
	s_barrier
	ds_read_b32 v19, v11
	ds_read_b32 v20, v12 offset:512
	ds_read_b32 v21, v13 offset:1024
	ds_read_b32 v22, v14 offset:1536
	ds_read_b32 v23, v15 offset:2048
	ds_read_b32 v24, v16 offset:2560
	ds_read_b32 v25, v17 offset:3072
	ds_read_b32 v1, v18 offset:3584
	s_waitcnt lgkmcnt(7)
	global_store_dword v[2:3], v19, off
	s_waitcnt lgkmcnt(6)
	global_store_dword v[2:3], v20, off offset:512
	s_waitcnt lgkmcnt(5)
	global_store_dword v[2:3], v21, off offset:1024
	;; [unrolled: 2-line block ×6, first 2 shown]
	s_mov_b64 s[0:1], -1
	s_cbranch_execz .LBB1649_32
	s_branch .LBB1649_41
.LBB1649_31:
	s_mov_b64 s[0:1], 0
                                        ; implicit-def: $vgpr1
.LBB1649_32:
	s_barrier
	s_waitcnt lgkmcnt(0)
	ds_read_b32 v21, v12 offset:512
	ds_read_b32 v20, v13 offset:1024
	;; [unrolled: 1-line block ×7, first 2 shown]
	s_sub_i32 s2, s14, s16
	v_cmp_gt_u32_e32 vcc, s2, v0
	s_and_saveexec_b64 s[0:1], vcc
	s_cbranch_execnz .LBB1649_46
; %bb.33:
	s_or_b64 exec, exec, s[0:1]
	v_cmp_gt_u32_e32 vcc, s2, v10
	s_and_saveexec_b64 s[0:1], vcc
	s_cbranch_execnz .LBB1649_47
.LBB1649_34:
	s_or_b64 exec, exec, s[0:1]
	v_cmp_gt_u32_e32 vcc, s2, v9
	s_and_saveexec_b64 s[0:1], vcc
	s_cbranch_execnz .LBB1649_48
.LBB1649_35:
	s_or_b64 exec, exec, s[0:1]
	v_cmp_gt_u32_e32 vcc, s2, v8
	s_and_saveexec_b64 s[0:1], vcc
	s_cbranch_execnz .LBB1649_49
.LBB1649_36:
	s_or_b64 exec, exec, s[0:1]
	v_cmp_gt_u32_e32 vcc, s2, v7
	s_and_saveexec_b64 s[0:1], vcc
	s_cbranch_execnz .LBB1649_50
.LBB1649_37:
	s_or_b64 exec, exec, s[0:1]
	v_cmp_gt_u32_e32 vcc, s2, v6
	s_and_saveexec_b64 s[0:1], vcc
	s_cbranch_execnz .LBB1649_51
.LBB1649_38:
	s_or_b64 exec, exec, s[0:1]
	v_cmp_gt_u32_e32 vcc, s2, v5
	s_and_saveexec_b64 s[0:1], vcc
	s_cbranch_execz .LBB1649_40
.LBB1649_39:
	s_waitcnt lgkmcnt(1)
	global_store_dword v[2:3], v12, off offset:3072
.LBB1649_40:
	s_or_b64 exec, exec, s[0:1]
	v_cmp_gt_u32_e64 s[0:1], s2, v4
.LBB1649_41:
	s_and_saveexec_b64 s[2:3], s[0:1]
	s_cbranch_execz .LBB1649_43
; %bb.42:
	s_waitcnt lgkmcnt(0)
	global_store_dword v[2:3], v1, off offset:3584
.LBB1649_43:
	s_endpgm
.LBB1649_44:
	s_waitcnt vmcnt(6)
	v_mov_b32_e32 v2, s9
	s_waitcnt vmcnt(4)
	v_add_co_u32_e32 v4, vcc, s8, v1
	v_mov_b32_e32 v3, 0
	s_waitcnt vmcnt(3)
	v_addc_co_u32_e32 v5, vcc, 0, v2, vcc
	v_subrev_u32_e32 v2, s15, v0
	v_lshlrev_b64 v[2:3], 2, v[2:3]
	s_waitcnt vmcnt(2)
	v_mov_b32_e32 v6, s12
	v_add_co_u32_e32 v2, vcc, s11, v2
	v_addc_co_u32_e32 v3, vcc, v6, v3, vcc
	v_cmp_gt_u32_e32 vcc, s15, v0
	v_cndmask_b32_e32 v3, v3, v5, vcc
	v_cndmask_b32_e32 v2, v2, v4, vcc
	global_load_dword v2, v[2:3], off
	s_or_b64 exec, exec, s[0:1]
	v_cmp_gt_u32_e32 vcc, s6, v12
	s_and_saveexec_b64 s[2:3], vcc
	s_cbranch_execz .LBB1649_6
.LBB1649_45:
	v_mov_b32_e32 v13, 0
	v_lshlrev_b64 v[16:17], 2, v[12:13]
	s_waitcnt vmcnt(5)
	v_mov_b32_e32 v3, s9
	v_add_co_u32_e32 v11, vcc, s8, v16
	v_addc_co_u32_e32 v3, vcc, v3, v17, vcc
	v_cmp_gt_u32_e32 vcc, s15, v12
	v_subrev_u32_e32 v12, s15, v12
	v_lshlrev_b64 v[12:13], 2, v[12:13]
	v_mov_b32_e32 v14, s12
	v_add_co_u32_e64 v12, s[0:1], s11, v12
	v_addc_co_u32_e64 v13, s[0:1], v14, v13, s[0:1]
	v_cndmask_b32_e32 v13, v13, v3, vcc
	v_cndmask_b32_e32 v12, v12, v11, vcc
	global_load_dword v3, v[12:13], off
	s_or_b64 exec, exec, s[2:3]
	v_cmp_gt_u32_e32 vcc, s6, v10
	s_and_saveexec_b64 s[0:1], vcc
	s_cbranch_execnz .LBB1649_7
	s_branch .LBB1649_8
.LBB1649_46:
	ds_read_b32 v0, v11
	s_waitcnt lgkmcnt(0)
	global_store_dword v[2:3], v0, off
	s_or_b64 exec, exec, s[0:1]
	v_cmp_gt_u32_e32 vcc, s2, v10
	s_and_saveexec_b64 s[0:1], vcc
	s_cbranch_execz .LBB1649_34
.LBB1649_47:
	s_waitcnt lgkmcnt(6)
	global_store_dword v[2:3], v21, off offset:512
	s_or_b64 exec, exec, s[0:1]
	v_cmp_gt_u32_e32 vcc, s2, v9
	s_and_saveexec_b64 s[0:1], vcc
	s_cbranch_execz .LBB1649_35
.LBB1649_48:
	s_waitcnt lgkmcnt(5)
	global_store_dword v[2:3], v20, off offset:1024
	s_or_b64 exec, exec, s[0:1]
	v_cmp_gt_u32_e32 vcc, s2, v8
	s_and_saveexec_b64 s[0:1], vcc
	s_cbranch_execz .LBB1649_36
.LBB1649_49:
	s_waitcnt lgkmcnt(4)
	global_store_dword v[2:3], v19, off offset:1536
	s_or_b64 exec, exec, s[0:1]
	v_cmp_gt_u32_e32 vcc, s2, v7
	s_and_saveexec_b64 s[0:1], vcc
	s_cbranch_execz .LBB1649_37
.LBB1649_50:
	s_waitcnt lgkmcnt(3)
	global_store_dword v[2:3], v14, off offset:2048
	s_or_b64 exec, exec, s[0:1]
	v_cmp_gt_u32_e32 vcc, s2, v6
	s_and_saveexec_b64 s[0:1], vcc
	s_cbranch_execz .LBB1649_38
.LBB1649_51:
	s_waitcnt lgkmcnt(2)
	global_store_dword v[2:3], v13, off offset:2560
	s_or_b64 exec, exec, s[0:1]
	v_cmp_gt_u32_e32 vcc, s2, v5
	s_and_saveexec_b64 s[0:1], vcc
	s_cbranch_execnz .LBB1649_39
	s_branch .LBB1649_40
	.section	.rodata,"a",@progbits
	.p2align	6, 0x0
	.amdhsa_kernel _ZN7rocprim17ROCPRIM_400000_NS6detail17trampoline_kernelINS0_14default_configENS1_38merge_sort_block_merge_config_selectorIiNS0_10empty_typeEEEZZNS1_27merge_sort_block_merge_implIS3_N6thrust23THRUST_200600_302600_NS6detail15normal_iteratorINS9_10device_ptrIiEEEEPS5_jNS1_19radix_merge_compareILb0ELb0EiNS0_19identity_decomposerEEEEE10hipError_tT0_T1_T2_jT3_P12ihipStream_tbPNSt15iterator_traitsISK_E10value_typeEPNSQ_ISL_E10value_typeEPSM_NS1_7vsmem_tEENKUlT_SK_SL_SM_E_clISE_PiSF_SF_EESJ_SZ_SK_SL_SM_EUlSZ_E0_NS1_11comp_targetILNS1_3genE4ELNS1_11target_archE910ELNS1_3gpuE8ELNS1_3repE0EEENS1_38merge_mergepath_config_static_selectorELNS0_4arch9wavefront6targetE1EEEvSL_
		.amdhsa_group_segment_fixed_size 4224
		.amdhsa_private_segment_fixed_size 0
		.amdhsa_kernarg_size 320
		.amdhsa_user_sgpr_count 6
		.amdhsa_user_sgpr_private_segment_buffer 1
		.amdhsa_user_sgpr_dispatch_ptr 0
		.amdhsa_user_sgpr_queue_ptr 0
		.amdhsa_user_sgpr_kernarg_segment_ptr 1
		.amdhsa_user_sgpr_dispatch_id 0
		.amdhsa_user_sgpr_flat_scratch_init 0
		.amdhsa_user_sgpr_kernarg_preload_length 0
		.amdhsa_user_sgpr_kernarg_preload_offset 0
		.amdhsa_user_sgpr_private_segment_size 0
		.amdhsa_uses_dynamic_stack 0
		.amdhsa_system_sgpr_private_segment_wavefront_offset 0
		.amdhsa_system_sgpr_workgroup_id_x 1
		.amdhsa_system_sgpr_workgroup_id_y 1
		.amdhsa_system_sgpr_workgroup_id_z 1
		.amdhsa_system_sgpr_workgroup_info 0
		.amdhsa_system_vgpr_workitem_id 0
		.amdhsa_next_free_vgpr 26
		.amdhsa_next_free_sgpr 24
		.amdhsa_accum_offset 28
		.amdhsa_reserve_vcc 1
		.amdhsa_reserve_flat_scratch 0
		.amdhsa_float_round_mode_32 0
		.amdhsa_float_round_mode_16_64 0
		.amdhsa_float_denorm_mode_32 3
		.amdhsa_float_denorm_mode_16_64 3
		.amdhsa_dx10_clamp 1
		.amdhsa_ieee_mode 1
		.amdhsa_fp16_overflow 0
		.amdhsa_tg_split 0
		.amdhsa_exception_fp_ieee_invalid_op 0
		.amdhsa_exception_fp_denorm_src 0
		.amdhsa_exception_fp_ieee_div_zero 0
		.amdhsa_exception_fp_ieee_overflow 0
		.amdhsa_exception_fp_ieee_underflow 0
		.amdhsa_exception_fp_ieee_inexact 0
		.amdhsa_exception_int_div_zero 0
	.end_amdhsa_kernel
	.section	.text._ZN7rocprim17ROCPRIM_400000_NS6detail17trampoline_kernelINS0_14default_configENS1_38merge_sort_block_merge_config_selectorIiNS0_10empty_typeEEEZZNS1_27merge_sort_block_merge_implIS3_N6thrust23THRUST_200600_302600_NS6detail15normal_iteratorINS9_10device_ptrIiEEEEPS5_jNS1_19radix_merge_compareILb0ELb0EiNS0_19identity_decomposerEEEEE10hipError_tT0_T1_T2_jT3_P12ihipStream_tbPNSt15iterator_traitsISK_E10value_typeEPNSQ_ISL_E10value_typeEPSM_NS1_7vsmem_tEENKUlT_SK_SL_SM_E_clISE_PiSF_SF_EESJ_SZ_SK_SL_SM_EUlSZ_E0_NS1_11comp_targetILNS1_3genE4ELNS1_11target_archE910ELNS1_3gpuE8ELNS1_3repE0EEENS1_38merge_mergepath_config_static_selectorELNS0_4arch9wavefront6targetE1EEEvSL_,"axG",@progbits,_ZN7rocprim17ROCPRIM_400000_NS6detail17trampoline_kernelINS0_14default_configENS1_38merge_sort_block_merge_config_selectorIiNS0_10empty_typeEEEZZNS1_27merge_sort_block_merge_implIS3_N6thrust23THRUST_200600_302600_NS6detail15normal_iteratorINS9_10device_ptrIiEEEEPS5_jNS1_19radix_merge_compareILb0ELb0EiNS0_19identity_decomposerEEEEE10hipError_tT0_T1_T2_jT3_P12ihipStream_tbPNSt15iterator_traitsISK_E10value_typeEPNSQ_ISL_E10value_typeEPSM_NS1_7vsmem_tEENKUlT_SK_SL_SM_E_clISE_PiSF_SF_EESJ_SZ_SK_SL_SM_EUlSZ_E0_NS1_11comp_targetILNS1_3genE4ELNS1_11target_archE910ELNS1_3gpuE8ELNS1_3repE0EEENS1_38merge_mergepath_config_static_selectorELNS0_4arch9wavefront6targetE1EEEvSL_,comdat
.Lfunc_end1649:
	.size	_ZN7rocprim17ROCPRIM_400000_NS6detail17trampoline_kernelINS0_14default_configENS1_38merge_sort_block_merge_config_selectorIiNS0_10empty_typeEEEZZNS1_27merge_sort_block_merge_implIS3_N6thrust23THRUST_200600_302600_NS6detail15normal_iteratorINS9_10device_ptrIiEEEEPS5_jNS1_19radix_merge_compareILb0ELb0EiNS0_19identity_decomposerEEEEE10hipError_tT0_T1_T2_jT3_P12ihipStream_tbPNSt15iterator_traitsISK_E10value_typeEPNSQ_ISL_E10value_typeEPSM_NS1_7vsmem_tEENKUlT_SK_SL_SM_E_clISE_PiSF_SF_EESJ_SZ_SK_SL_SM_EUlSZ_E0_NS1_11comp_targetILNS1_3genE4ELNS1_11target_archE910ELNS1_3gpuE8ELNS1_3repE0EEENS1_38merge_mergepath_config_static_selectorELNS0_4arch9wavefront6targetE1EEEvSL_, .Lfunc_end1649-_ZN7rocprim17ROCPRIM_400000_NS6detail17trampoline_kernelINS0_14default_configENS1_38merge_sort_block_merge_config_selectorIiNS0_10empty_typeEEEZZNS1_27merge_sort_block_merge_implIS3_N6thrust23THRUST_200600_302600_NS6detail15normal_iteratorINS9_10device_ptrIiEEEEPS5_jNS1_19radix_merge_compareILb0ELb0EiNS0_19identity_decomposerEEEEE10hipError_tT0_T1_T2_jT3_P12ihipStream_tbPNSt15iterator_traitsISK_E10value_typeEPNSQ_ISL_E10value_typeEPSM_NS1_7vsmem_tEENKUlT_SK_SL_SM_E_clISE_PiSF_SF_EESJ_SZ_SK_SL_SM_EUlSZ_E0_NS1_11comp_targetILNS1_3genE4ELNS1_11target_archE910ELNS1_3gpuE8ELNS1_3repE0EEENS1_38merge_mergepath_config_static_selectorELNS0_4arch9wavefront6targetE1EEEvSL_
                                        ; -- End function
	.section	.AMDGPU.csdata,"",@progbits
; Kernel info:
; codeLenInByte = 3548
; NumSgprs: 28
; NumVgprs: 26
; NumAgprs: 0
; TotalNumVgprs: 26
; ScratchSize: 0
; MemoryBound: 0
; FloatMode: 240
; IeeeMode: 1
; LDSByteSize: 4224 bytes/workgroup (compile time only)
; SGPRBlocks: 3
; VGPRBlocks: 3
; NumSGPRsForWavesPerEU: 28
; NumVGPRsForWavesPerEU: 26
; AccumOffset: 28
; Occupancy: 8
; WaveLimiterHint : 1
; COMPUTE_PGM_RSRC2:SCRATCH_EN: 0
; COMPUTE_PGM_RSRC2:USER_SGPR: 6
; COMPUTE_PGM_RSRC2:TRAP_HANDLER: 0
; COMPUTE_PGM_RSRC2:TGID_X_EN: 1
; COMPUTE_PGM_RSRC2:TGID_Y_EN: 1
; COMPUTE_PGM_RSRC2:TGID_Z_EN: 1
; COMPUTE_PGM_RSRC2:TIDIG_COMP_CNT: 0
; COMPUTE_PGM_RSRC3_GFX90A:ACCUM_OFFSET: 6
; COMPUTE_PGM_RSRC3_GFX90A:TG_SPLIT: 0
	.section	.text._ZN7rocprim17ROCPRIM_400000_NS6detail17trampoline_kernelINS0_14default_configENS1_38merge_sort_block_merge_config_selectorIiNS0_10empty_typeEEEZZNS1_27merge_sort_block_merge_implIS3_N6thrust23THRUST_200600_302600_NS6detail15normal_iteratorINS9_10device_ptrIiEEEEPS5_jNS1_19radix_merge_compareILb0ELb0EiNS0_19identity_decomposerEEEEE10hipError_tT0_T1_T2_jT3_P12ihipStream_tbPNSt15iterator_traitsISK_E10value_typeEPNSQ_ISL_E10value_typeEPSM_NS1_7vsmem_tEENKUlT_SK_SL_SM_E_clISE_PiSF_SF_EESJ_SZ_SK_SL_SM_EUlSZ_E0_NS1_11comp_targetILNS1_3genE3ELNS1_11target_archE908ELNS1_3gpuE7ELNS1_3repE0EEENS1_38merge_mergepath_config_static_selectorELNS0_4arch9wavefront6targetE1EEEvSL_,"axG",@progbits,_ZN7rocprim17ROCPRIM_400000_NS6detail17trampoline_kernelINS0_14default_configENS1_38merge_sort_block_merge_config_selectorIiNS0_10empty_typeEEEZZNS1_27merge_sort_block_merge_implIS3_N6thrust23THRUST_200600_302600_NS6detail15normal_iteratorINS9_10device_ptrIiEEEEPS5_jNS1_19radix_merge_compareILb0ELb0EiNS0_19identity_decomposerEEEEE10hipError_tT0_T1_T2_jT3_P12ihipStream_tbPNSt15iterator_traitsISK_E10value_typeEPNSQ_ISL_E10value_typeEPSM_NS1_7vsmem_tEENKUlT_SK_SL_SM_E_clISE_PiSF_SF_EESJ_SZ_SK_SL_SM_EUlSZ_E0_NS1_11comp_targetILNS1_3genE3ELNS1_11target_archE908ELNS1_3gpuE7ELNS1_3repE0EEENS1_38merge_mergepath_config_static_selectorELNS0_4arch9wavefront6targetE1EEEvSL_,comdat
	.protected	_ZN7rocprim17ROCPRIM_400000_NS6detail17trampoline_kernelINS0_14default_configENS1_38merge_sort_block_merge_config_selectorIiNS0_10empty_typeEEEZZNS1_27merge_sort_block_merge_implIS3_N6thrust23THRUST_200600_302600_NS6detail15normal_iteratorINS9_10device_ptrIiEEEEPS5_jNS1_19radix_merge_compareILb0ELb0EiNS0_19identity_decomposerEEEEE10hipError_tT0_T1_T2_jT3_P12ihipStream_tbPNSt15iterator_traitsISK_E10value_typeEPNSQ_ISL_E10value_typeEPSM_NS1_7vsmem_tEENKUlT_SK_SL_SM_E_clISE_PiSF_SF_EESJ_SZ_SK_SL_SM_EUlSZ_E0_NS1_11comp_targetILNS1_3genE3ELNS1_11target_archE908ELNS1_3gpuE7ELNS1_3repE0EEENS1_38merge_mergepath_config_static_selectorELNS0_4arch9wavefront6targetE1EEEvSL_ ; -- Begin function _ZN7rocprim17ROCPRIM_400000_NS6detail17trampoline_kernelINS0_14default_configENS1_38merge_sort_block_merge_config_selectorIiNS0_10empty_typeEEEZZNS1_27merge_sort_block_merge_implIS3_N6thrust23THRUST_200600_302600_NS6detail15normal_iteratorINS9_10device_ptrIiEEEEPS5_jNS1_19radix_merge_compareILb0ELb0EiNS0_19identity_decomposerEEEEE10hipError_tT0_T1_T2_jT3_P12ihipStream_tbPNSt15iterator_traitsISK_E10value_typeEPNSQ_ISL_E10value_typeEPSM_NS1_7vsmem_tEENKUlT_SK_SL_SM_E_clISE_PiSF_SF_EESJ_SZ_SK_SL_SM_EUlSZ_E0_NS1_11comp_targetILNS1_3genE3ELNS1_11target_archE908ELNS1_3gpuE7ELNS1_3repE0EEENS1_38merge_mergepath_config_static_selectorELNS0_4arch9wavefront6targetE1EEEvSL_
	.globl	_ZN7rocprim17ROCPRIM_400000_NS6detail17trampoline_kernelINS0_14default_configENS1_38merge_sort_block_merge_config_selectorIiNS0_10empty_typeEEEZZNS1_27merge_sort_block_merge_implIS3_N6thrust23THRUST_200600_302600_NS6detail15normal_iteratorINS9_10device_ptrIiEEEEPS5_jNS1_19radix_merge_compareILb0ELb0EiNS0_19identity_decomposerEEEEE10hipError_tT0_T1_T2_jT3_P12ihipStream_tbPNSt15iterator_traitsISK_E10value_typeEPNSQ_ISL_E10value_typeEPSM_NS1_7vsmem_tEENKUlT_SK_SL_SM_E_clISE_PiSF_SF_EESJ_SZ_SK_SL_SM_EUlSZ_E0_NS1_11comp_targetILNS1_3genE3ELNS1_11target_archE908ELNS1_3gpuE7ELNS1_3repE0EEENS1_38merge_mergepath_config_static_selectorELNS0_4arch9wavefront6targetE1EEEvSL_
	.p2align	8
	.type	_ZN7rocprim17ROCPRIM_400000_NS6detail17trampoline_kernelINS0_14default_configENS1_38merge_sort_block_merge_config_selectorIiNS0_10empty_typeEEEZZNS1_27merge_sort_block_merge_implIS3_N6thrust23THRUST_200600_302600_NS6detail15normal_iteratorINS9_10device_ptrIiEEEEPS5_jNS1_19radix_merge_compareILb0ELb0EiNS0_19identity_decomposerEEEEE10hipError_tT0_T1_T2_jT3_P12ihipStream_tbPNSt15iterator_traitsISK_E10value_typeEPNSQ_ISL_E10value_typeEPSM_NS1_7vsmem_tEENKUlT_SK_SL_SM_E_clISE_PiSF_SF_EESJ_SZ_SK_SL_SM_EUlSZ_E0_NS1_11comp_targetILNS1_3genE3ELNS1_11target_archE908ELNS1_3gpuE7ELNS1_3repE0EEENS1_38merge_mergepath_config_static_selectorELNS0_4arch9wavefront6targetE1EEEvSL_,@function
_ZN7rocprim17ROCPRIM_400000_NS6detail17trampoline_kernelINS0_14default_configENS1_38merge_sort_block_merge_config_selectorIiNS0_10empty_typeEEEZZNS1_27merge_sort_block_merge_implIS3_N6thrust23THRUST_200600_302600_NS6detail15normal_iteratorINS9_10device_ptrIiEEEEPS5_jNS1_19radix_merge_compareILb0ELb0EiNS0_19identity_decomposerEEEEE10hipError_tT0_T1_T2_jT3_P12ihipStream_tbPNSt15iterator_traitsISK_E10value_typeEPNSQ_ISL_E10value_typeEPSM_NS1_7vsmem_tEENKUlT_SK_SL_SM_E_clISE_PiSF_SF_EESJ_SZ_SK_SL_SM_EUlSZ_E0_NS1_11comp_targetILNS1_3genE3ELNS1_11target_archE908ELNS1_3gpuE7ELNS1_3repE0EEENS1_38merge_mergepath_config_static_selectorELNS0_4arch9wavefront6targetE1EEEvSL_: ; @_ZN7rocprim17ROCPRIM_400000_NS6detail17trampoline_kernelINS0_14default_configENS1_38merge_sort_block_merge_config_selectorIiNS0_10empty_typeEEEZZNS1_27merge_sort_block_merge_implIS3_N6thrust23THRUST_200600_302600_NS6detail15normal_iteratorINS9_10device_ptrIiEEEEPS5_jNS1_19radix_merge_compareILb0ELb0EiNS0_19identity_decomposerEEEEE10hipError_tT0_T1_T2_jT3_P12ihipStream_tbPNSt15iterator_traitsISK_E10value_typeEPNSQ_ISL_E10value_typeEPSM_NS1_7vsmem_tEENKUlT_SK_SL_SM_E_clISE_PiSF_SF_EESJ_SZ_SK_SL_SM_EUlSZ_E0_NS1_11comp_targetILNS1_3genE3ELNS1_11target_archE908ELNS1_3gpuE7ELNS1_3repE0EEENS1_38merge_mergepath_config_static_selectorELNS0_4arch9wavefront6targetE1EEEvSL_
; %bb.0:
	.section	.rodata,"a",@progbits
	.p2align	6, 0x0
	.amdhsa_kernel _ZN7rocprim17ROCPRIM_400000_NS6detail17trampoline_kernelINS0_14default_configENS1_38merge_sort_block_merge_config_selectorIiNS0_10empty_typeEEEZZNS1_27merge_sort_block_merge_implIS3_N6thrust23THRUST_200600_302600_NS6detail15normal_iteratorINS9_10device_ptrIiEEEEPS5_jNS1_19radix_merge_compareILb0ELb0EiNS0_19identity_decomposerEEEEE10hipError_tT0_T1_T2_jT3_P12ihipStream_tbPNSt15iterator_traitsISK_E10value_typeEPNSQ_ISL_E10value_typeEPSM_NS1_7vsmem_tEENKUlT_SK_SL_SM_E_clISE_PiSF_SF_EESJ_SZ_SK_SL_SM_EUlSZ_E0_NS1_11comp_targetILNS1_3genE3ELNS1_11target_archE908ELNS1_3gpuE7ELNS1_3repE0EEENS1_38merge_mergepath_config_static_selectorELNS0_4arch9wavefront6targetE1EEEvSL_
		.amdhsa_group_segment_fixed_size 0
		.amdhsa_private_segment_fixed_size 0
		.amdhsa_kernarg_size 64
		.amdhsa_user_sgpr_count 6
		.amdhsa_user_sgpr_private_segment_buffer 1
		.amdhsa_user_sgpr_dispatch_ptr 0
		.amdhsa_user_sgpr_queue_ptr 0
		.amdhsa_user_sgpr_kernarg_segment_ptr 1
		.amdhsa_user_sgpr_dispatch_id 0
		.amdhsa_user_sgpr_flat_scratch_init 0
		.amdhsa_user_sgpr_kernarg_preload_length 0
		.amdhsa_user_sgpr_kernarg_preload_offset 0
		.amdhsa_user_sgpr_private_segment_size 0
		.amdhsa_uses_dynamic_stack 0
		.amdhsa_system_sgpr_private_segment_wavefront_offset 0
		.amdhsa_system_sgpr_workgroup_id_x 1
		.amdhsa_system_sgpr_workgroup_id_y 0
		.amdhsa_system_sgpr_workgroup_id_z 0
		.amdhsa_system_sgpr_workgroup_info 0
		.amdhsa_system_vgpr_workitem_id 0
		.amdhsa_next_free_vgpr 1
		.amdhsa_next_free_sgpr 0
		.amdhsa_accum_offset 4
		.amdhsa_reserve_vcc 0
		.amdhsa_reserve_flat_scratch 0
		.amdhsa_float_round_mode_32 0
		.amdhsa_float_round_mode_16_64 0
		.amdhsa_float_denorm_mode_32 3
		.amdhsa_float_denorm_mode_16_64 3
		.amdhsa_dx10_clamp 1
		.amdhsa_ieee_mode 1
		.amdhsa_fp16_overflow 0
		.amdhsa_tg_split 0
		.amdhsa_exception_fp_ieee_invalid_op 0
		.amdhsa_exception_fp_denorm_src 0
		.amdhsa_exception_fp_ieee_div_zero 0
		.amdhsa_exception_fp_ieee_overflow 0
		.amdhsa_exception_fp_ieee_underflow 0
		.amdhsa_exception_fp_ieee_inexact 0
		.amdhsa_exception_int_div_zero 0
	.end_amdhsa_kernel
	.section	.text._ZN7rocprim17ROCPRIM_400000_NS6detail17trampoline_kernelINS0_14default_configENS1_38merge_sort_block_merge_config_selectorIiNS0_10empty_typeEEEZZNS1_27merge_sort_block_merge_implIS3_N6thrust23THRUST_200600_302600_NS6detail15normal_iteratorINS9_10device_ptrIiEEEEPS5_jNS1_19radix_merge_compareILb0ELb0EiNS0_19identity_decomposerEEEEE10hipError_tT0_T1_T2_jT3_P12ihipStream_tbPNSt15iterator_traitsISK_E10value_typeEPNSQ_ISL_E10value_typeEPSM_NS1_7vsmem_tEENKUlT_SK_SL_SM_E_clISE_PiSF_SF_EESJ_SZ_SK_SL_SM_EUlSZ_E0_NS1_11comp_targetILNS1_3genE3ELNS1_11target_archE908ELNS1_3gpuE7ELNS1_3repE0EEENS1_38merge_mergepath_config_static_selectorELNS0_4arch9wavefront6targetE1EEEvSL_,"axG",@progbits,_ZN7rocprim17ROCPRIM_400000_NS6detail17trampoline_kernelINS0_14default_configENS1_38merge_sort_block_merge_config_selectorIiNS0_10empty_typeEEEZZNS1_27merge_sort_block_merge_implIS3_N6thrust23THRUST_200600_302600_NS6detail15normal_iteratorINS9_10device_ptrIiEEEEPS5_jNS1_19radix_merge_compareILb0ELb0EiNS0_19identity_decomposerEEEEE10hipError_tT0_T1_T2_jT3_P12ihipStream_tbPNSt15iterator_traitsISK_E10value_typeEPNSQ_ISL_E10value_typeEPSM_NS1_7vsmem_tEENKUlT_SK_SL_SM_E_clISE_PiSF_SF_EESJ_SZ_SK_SL_SM_EUlSZ_E0_NS1_11comp_targetILNS1_3genE3ELNS1_11target_archE908ELNS1_3gpuE7ELNS1_3repE0EEENS1_38merge_mergepath_config_static_selectorELNS0_4arch9wavefront6targetE1EEEvSL_,comdat
.Lfunc_end1650:
	.size	_ZN7rocprim17ROCPRIM_400000_NS6detail17trampoline_kernelINS0_14default_configENS1_38merge_sort_block_merge_config_selectorIiNS0_10empty_typeEEEZZNS1_27merge_sort_block_merge_implIS3_N6thrust23THRUST_200600_302600_NS6detail15normal_iteratorINS9_10device_ptrIiEEEEPS5_jNS1_19radix_merge_compareILb0ELb0EiNS0_19identity_decomposerEEEEE10hipError_tT0_T1_T2_jT3_P12ihipStream_tbPNSt15iterator_traitsISK_E10value_typeEPNSQ_ISL_E10value_typeEPSM_NS1_7vsmem_tEENKUlT_SK_SL_SM_E_clISE_PiSF_SF_EESJ_SZ_SK_SL_SM_EUlSZ_E0_NS1_11comp_targetILNS1_3genE3ELNS1_11target_archE908ELNS1_3gpuE7ELNS1_3repE0EEENS1_38merge_mergepath_config_static_selectorELNS0_4arch9wavefront6targetE1EEEvSL_, .Lfunc_end1650-_ZN7rocprim17ROCPRIM_400000_NS6detail17trampoline_kernelINS0_14default_configENS1_38merge_sort_block_merge_config_selectorIiNS0_10empty_typeEEEZZNS1_27merge_sort_block_merge_implIS3_N6thrust23THRUST_200600_302600_NS6detail15normal_iteratorINS9_10device_ptrIiEEEEPS5_jNS1_19radix_merge_compareILb0ELb0EiNS0_19identity_decomposerEEEEE10hipError_tT0_T1_T2_jT3_P12ihipStream_tbPNSt15iterator_traitsISK_E10value_typeEPNSQ_ISL_E10value_typeEPSM_NS1_7vsmem_tEENKUlT_SK_SL_SM_E_clISE_PiSF_SF_EESJ_SZ_SK_SL_SM_EUlSZ_E0_NS1_11comp_targetILNS1_3genE3ELNS1_11target_archE908ELNS1_3gpuE7ELNS1_3repE0EEENS1_38merge_mergepath_config_static_selectorELNS0_4arch9wavefront6targetE1EEEvSL_
                                        ; -- End function
	.section	.AMDGPU.csdata,"",@progbits
; Kernel info:
; codeLenInByte = 0
; NumSgprs: 4
; NumVgprs: 0
; NumAgprs: 0
; TotalNumVgprs: 0
; ScratchSize: 0
; MemoryBound: 0
; FloatMode: 240
; IeeeMode: 1
; LDSByteSize: 0 bytes/workgroup (compile time only)
; SGPRBlocks: 0
; VGPRBlocks: 0
; NumSGPRsForWavesPerEU: 4
; NumVGPRsForWavesPerEU: 1
; AccumOffset: 4
; Occupancy: 8
; WaveLimiterHint : 0
; COMPUTE_PGM_RSRC2:SCRATCH_EN: 0
; COMPUTE_PGM_RSRC2:USER_SGPR: 6
; COMPUTE_PGM_RSRC2:TRAP_HANDLER: 0
; COMPUTE_PGM_RSRC2:TGID_X_EN: 1
; COMPUTE_PGM_RSRC2:TGID_Y_EN: 0
; COMPUTE_PGM_RSRC2:TGID_Z_EN: 0
; COMPUTE_PGM_RSRC2:TIDIG_COMP_CNT: 0
; COMPUTE_PGM_RSRC3_GFX90A:ACCUM_OFFSET: 0
; COMPUTE_PGM_RSRC3_GFX90A:TG_SPLIT: 0
	.section	.text._ZN7rocprim17ROCPRIM_400000_NS6detail17trampoline_kernelINS0_14default_configENS1_38merge_sort_block_merge_config_selectorIiNS0_10empty_typeEEEZZNS1_27merge_sort_block_merge_implIS3_N6thrust23THRUST_200600_302600_NS6detail15normal_iteratorINS9_10device_ptrIiEEEEPS5_jNS1_19radix_merge_compareILb0ELb0EiNS0_19identity_decomposerEEEEE10hipError_tT0_T1_T2_jT3_P12ihipStream_tbPNSt15iterator_traitsISK_E10value_typeEPNSQ_ISL_E10value_typeEPSM_NS1_7vsmem_tEENKUlT_SK_SL_SM_E_clISE_PiSF_SF_EESJ_SZ_SK_SL_SM_EUlSZ_E0_NS1_11comp_targetILNS1_3genE2ELNS1_11target_archE906ELNS1_3gpuE6ELNS1_3repE0EEENS1_38merge_mergepath_config_static_selectorELNS0_4arch9wavefront6targetE1EEEvSL_,"axG",@progbits,_ZN7rocprim17ROCPRIM_400000_NS6detail17trampoline_kernelINS0_14default_configENS1_38merge_sort_block_merge_config_selectorIiNS0_10empty_typeEEEZZNS1_27merge_sort_block_merge_implIS3_N6thrust23THRUST_200600_302600_NS6detail15normal_iteratorINS9_10device_ptrIiEEEEPS5_jNS1_19radix_merge_compareILb0ELb0EiNS0_19identity_decomposerEEEEE10hipError_tT0_T1_T2_jT3_P12ihipStream_tbPNSt15iterator_traitsISK_E10value_typeEPNSQ_ISL_E10value_typeEPSM_NS1_7vsmem_tEENKUlT_SK_SL_SM_E_clISE_PiSF_SF_EESJ_SZ_SK_SL_SM_EUlSZ_E0_NS1_11comp_targetILNS1_3genE2ELNS1_11target_archE906ELNS1_3gpuE6ELNS1_3repE0EEENS1_38merge_mergepath_config_static_selectorELNS0_4arch9wavefront6targetE1EEEvSL_,comdat
	.protected	_ZN7rocprim17ROCPRIM_400000_NS6detail17trampoline_kernelINS0_14default_configENS1_38merge_sort_block_merge_config_selectorIiNS0_10empty_typeEEEZZNS1_27merge_sort_block_merge_implIS3_N6thrust23THRUST_200600_302600_NS6detail15normal_iteratorINS9_10device_ptrIiEEEEPS5_jNS1_19radix_merge_compareILb0ELb0EiNS0_19identity_decomposerEEEEE10hipError_tT0_T1_T2_jT3_P12ihipStream_tbPNSt15iterator_traitsISK_E10value_typeEPNSQ_ISL_E10value_typeEPSM_NS1_7vsmem_tEENKUlT_SK_SL_SM_E_clISE_PiSF_SF_EESJ_SZ_SK_SL_SM_EUlSZ_E0_NS1_11comp_targetILNS1_3genE2ELNS1_11target_archE906ELNS1_3gpuE6ELNS1_3repE0EEENS1_38merge_mergepath_config_static_selectorELNS0_4arch9wavefront6targetE1EEEvSL_ ; -- Begin function _ZN7rocprim17ROCPRIM_400000_NS6detail17trampoline_kernelINS0_14default_configENS1_38merge_sort_block_merge_config_selectorIiNS0_10empty_typeEEEZZNS1_27merge_sort_block_merge_implIS3_N6thrust23THRUST_200600_302600_NS6detail15normal_iteratorINS9_10device_ptrIiEEEEPS5_jNS1_19radix_merge_compareILb0ELb0EiNS0_19identity_decomposerEEEEE10hipError_tT0_T1_T2_jT3_P12ihipStream_tbPNSt15iterator_traitsISK_E10value_typeEPNSQ_ISL_E10value_typeEPSM_NS1_7vsmem_tEENKUlT_SK_SL_SM_E_clISE_PiSF_SF_EESJ_SZ_SK_SL_SM_EUlSZ_E0_NS1_11comp_targetILNS1_3genE2ELNS1_11target_archE906ELNS1_3gpuE6ELNS1_3repE0EEENS1_38merge_mergepath_config_static_selectorELNS0_4arch9wavefront6targetE1EEEvSL_
	.globl	_ZN7rocprim17ROCPRIM_400000_NS6detail17trampoline_kernelINS0_14default_configENS1_38merge_sort_block_merge_config_selectorIiNS0_10empty_typeEEEZZNS1_27merge_sort_block_merge_implIS3_N6thrust23THRUST_200600_302600_NS6detail15normal_iteratorINS9_10device_ptrIiEEEEPS5_jNS1_19radix_merge_compareILb0ELb0EiNS0_19identity_decomposerEEEEE10hipError_tT0_T1_T2_jT3_P12ihipStream_tbPNSt15iterator_traitsISK_E10value_typeEPNSQ_ISL_E10value_typeEPSM_NS1_7vsmem_tEENKUlT_SK_SL_SM_E_clISE_PiSF_SF_EESJ_SZ_SK_SL_SM_EUlSZ_E0_NS1_11comp_targetILNS1_3genE2ELNS1_11target_archE906ELNS1_3gpuE6ELNS1_3repE0EEENS1_38merge_mergepath_config_static_selectorELNS0_4arch9wavefront6targetE1EEEvSL_
	.p2align	8
	.type	_ZN7rocprim17ROCPRIM_400000_NS6detail17trampoline_kernelINS0_14default_configENS1_38merge_sort_block_merge_config_selectorIiNS0_10empty_typeEEEZZNS1_27merge_sort_block_merge_implIS3_N6thrust23THRUST_200600_302600_NS6detail15normal_iteratorINS9_10device_ptrIiEEEEPS5_jNS1_19radix_merge_compareILb0ELb0EiNS0_19identity_decomposerEEEEE10hipError_tT0_T1_T2_jT3_P12ihipStream_tbPNSt15iterator_traitsISK_E10value_typeEPNSQ_ISL_E10value_typeEPSM_NS1_7vsmem_tEENKUlT_SK_SL_SM_E_clISE_PiSF_SF_EESJ_SZ_SK_SL_SM_EUlSZ_E0_NS1_11comp_targetILNS1_3genE2ELNS1_11target_archE906ELNS1_3gpuE6ELNS1_3repE0EEENS1_38merge_mergepath_config_static_selectorELNS0_4arch9wavefront6targetE1EEEvSL_,@function
_ZN7rocprim17ROCPRIM_400000_NS6detail17trampoline_kernelINS0_14default_configENS1_38merge_sort_block_merge_config_selectorIiNS0_10empty_typeEEEZZNS1_27merge_sort_block_merge_implIS3_N6thrust23THRUST_200600_302600_NS6detail15normal_iteratorINS9_10device_ptrIiEEEEPS5_jNS1_19radix_merge_compareILb0ELb0EiNS0_19identity_decomposerEEEEE10hipError_tT0_T1_T2_jT3_P12ihipStream_tbPNSt15iterator_traitsISK_E10value_typeEPNSQ_ISL_E10value_typeEPSM_NS1_7vsmem_tEENKUlT_SK_SL_SM_E_clISE_PiSF_SF_EESJ_SZ_SK_SL_SM_EUlSZ_E0_NS1_11comp_targetILNS1_3genE2ELNS1_11target_archE906ELNS1_3gpuE6ELNS1_3repE0EEENS1_38merge_mergepath_config_static_selectorELNS0_4arch9wavefront6targetE1EEEvSL_: ; @_ZN7rocprim17ROCPRIM_400000_NS6detail17trampoline_kernelINS0_14default_configENS1_38merge_sort_block_merge_config_selectorIiNS0_10empty_typeEEEZZNS1_27merge_sort_block_merge_implIS3_N6thrust23THRUST_200600_302600_NS6detail15normal_iteratorINS9_10device_ptrIiEEEEPS5_jNS1_19radix_merge_compareILb0ELb0EiNS0_19identity_decomposerEEEEE10hipError_tT0_T1_T2_jT3_P12ihipStream_tbPNSt15iterator_traitsISK_E10value_typeEPNSQ_ISL_E10value_typeEPSM_NS1_7vsmem_tEENKUlT_SK_SL_SM_E_clISE_PiSF_SF_EESJ_SZ_SK_SL_SM_EUlSZ_E0_NS1_11comp_targetILNS1_3genE2ELNS1_11target_archE906ELNS1_3gpuE6ELNS1_3repE0EEENS1_38merge_mergepath_config_static_selectorELNS0_4arch9wavefront6targetE1EEEvSL_
; %bb.0:
	.section	.rodata,"a",@progbits
	.p2align	6, 0x0
	.amdhsa_kernel _ZN7rocprim17ROCPRIM_400000_NS6detail17trampoline_kernelINS0_14default_configENS1_38merge_sort_block_merge_config_selectorIiNS0_10empty_typeEEEZZNS1_27merge_sort_block_merge_implIS3_N6thrust23THRUST_200600_302600_NS6detail15normal_iteratorINS9_10device_ptrIiEEEEPS5_jNS1_19radix_merge_compareILb0ELb0EiNS0_19identity_decomposerEEEEE10hipError_tT0_T1_T2_jT3_P12ihipStream_tbPNSt15iterator_traitsISK_E10value_typeEPNSQ_ISL_E10value_typeEPSM_NS1_7vsmem_tEENKUlT_SK_SL_SM_E_clISE_PiSF_SF_EESJ_SZ_SK_SL_SM_EUlSZ_E0_NS1_11comp_targetILNS1_3genE2ELNS1_11target_archE906ELNS1_3gpuE6ELNS1_3repE0EEENS1_38merge_mergepath_config_static_selectorELNS0_4arch9wavefront6targetE1EEEvSL_
		.amdhsa_group_segment_fixed_size 0
		.amdhsa_private_segment_fixed_size 0
		.amdhsa_kernarg_size 64
		.amdhsa_user_sgpr_count 6
		.amdhsa_user_sgpr_private_segment_buffer 1
		.amdhsa_user_sgpr_dispatch_ptr 0
		.amdhsa_user_sgpr_queue_ptr 0
		.amdhsa_user_sgpr_kernarg_segment_ptr 1
		.amdhsa_user_sgpr_dispatch_id 0
		.amdhsa_user_sgpr_flat_scratch_init 0
		.amdhsa_user_sgpr_kernarg_preload_length 0
		.amdhsa_user_sgpr_kernarg_preload_offset 0
		.amdhsa_user_sgpr_private_segment_size 0
		.amdhsa_uses_dynamic_stack 0
		.amdhsa_system_sgpr_private_segment_wavefront_offset 0
		.amdhsa_system_sgpr_workgroup_id_x 1
		.amdhsa_system_sgpr_workgroup_id_y 0
		.amdhsa_system_sgpr_workgroup_id_z 0
		.amdhsa_system_sgpr_workgroup_info 0
		.amdhsa_system_vgpr_workitem_id 0
		.amdhsa_next_free_vgpr 1
		.amdhsa_next_free_sgpr 0
		.amdhsa_accum_offset 4
		.amdhsa_reserve_vcc 0
		.amdhsa_reserve_flat_scratch 0
		.amdhsa_float_round_mode_32 0
		.amdhsa_float_round_mode_16_64 0
		.amdhsa_float_denorm_mode_32 3
		.amdhsa_float_denorm_mode_16_64 3
		.amdhsa_dx10_clamp 1
		.amdhsa_ieee_mode 1
		.amdhsa_fp16_overflow 0
		.amdhsa_tg_split 0
		.amdhsa_exception_fp_ieee_invalid_op 0
		.amdhsa_exception_fp_denorm_src 0
		.amdhsa_exception_fp_ieee_div_zero 0
		.amdhsa_exception_fp_ieee_overflow 0
		.amdhsa_exception_fp_ieee_underflow 0
		.amdhsa_exception_fp_ieee_inexact 0
		.amdhsa_exception_int_div_zero 0
	.end_amdhsa_kernel
	.section	.text._ZN7rocprim17ROCPRIM_400000_NS6detail17trampoline_kernelINS0_14default_configENS1_38merge_sort_block_merge_config_selectorIiNS0_10empty_typeEEEZZNS1_27merge_sort_block_merge_implIS3_N6thrust23THRUST_200600_302600_NS6detail15normal_iteratorINS9_10device_ptrIiEEEEPS5_jNS1_19radix_merge_compareILb0ELb0EiNS0_19identity_decomposerEEEEE10hipError_tT0_T1_T2_jT3_P12ihipStream_tbPNSt15iterator_traitsISK_E10value_typeEPNSQ_ISL_E10value_typeEPSM_NS1_7vsmem_tEENKUlT_SK_SL_SM_E_clISE_PiSF_SF_EESJ_SZ_SK_SL_SM_EUlSZ_E0_NS1_11comp_targetILNS1_3genE2ELNS1_11target_archE906ELNS1_3gpuE6ELNS1_3repE0EEENS1_38merge_mergepath_config_static_selectorELNS0_4arch9wavefront6targetE1EEEvSL_,"axG",@progbits,_ZN7rocprim17ROCPRIM_400000_NS6detail17trampoline_kernelINS0_14default_configENS1_38merge_sort_block_merge_config_selectorIiNS0_10empty_typeEEEZZNS1_27merge_sort_block_merge_implIS3_N6thrust23THRUST_200600_302600_NS6detail15normal_iteratorINS9_10device_ptrIiEEEEPS5_jNS1_19radix_merge_compareILb0ELb0EiNS0_19identity_decomposerEEEEE10hipError_tT0_T1_T2_jT3_P12ihipStream_tbPNSt15iterator_traitsISK_E10value_typeEPNSQ_ISL_E10value_typeEPSM_NS1_7vsmem_tEENKUlT_SK_SL_SM_E_clISE_PiSF_SF_EESJ_SZ_SK_SL_SM_EUlSZ_E0_NS1_11comp_targetILNS1_3genE2ELNS1_11target_archE906ELNS1_3gpuE6ELNS1_3repE0EEENS1_38merge_mergepath_config_static_selectorELNS0_4arch9wavefront6targetE1EEEvSL_,comdat
.Lfunc_end1651:
	.size	_ZN7rocprim17ROCPRIM_400000_NS6detail17trampoline_kernelINS0_14default_configENS1_38merge_sort_block_merge_config_selectorIiNS0_10empty_typeEEEZZNS1_27merge_sort_block_merge_implIS3_N6thrust23THRUST_200600_302600_NS6detail15normal_iteratorINS9_10device_ptrIiEEEEPS5_jNS1_19radix_merge_compareILb0ELb0EiNS0_19identity_decomposerEEEEE10hipError_tT0_T1_T2_jT3_P12ihipStream_tbPNSt15iterator_traitsISK_E10value_typeEPNSQ_ISL_E10value_typeEPSM_NS1_7vsmem_tEENKUlT_SK_SL_SM_E_clISE_PiSF_SF_EESJ_SZ_SK_SL_SM_EUlSZ_E0_NS1_11comp_targetILNS1_3genE2ELNS1_11target_archE906ELNS1_3gpuE6ELNS1_3repE0EEENS1_38merge_mergepath_config_static_selectorELNS0_4arch9wavefront6targetE1EEEvSL_, .Lfunc_end1651-_ZN7rocprim17ROCPRIM_400000_NS6detail17trampoline_kernelINS0_14default_configENS1_38merge_sort_block_merge_config_selectorIiNS0_10empty_typeEEEZZNS1_27merge_sort_block_merge_implIS3_N6thrust23THRUST_200600_302600_NS6detail15normal_iteratorINS9_10device_ptrIiEEEEPS5_jNS1_19radix_merge_compareILb0ELb0EiNS0_19identity_decomposerEEEEE10hipError_tT0_T1_T2_jT3_P12ihipStream_tbPNSt15iterator_traitsISK_E10value_typeEPNSQ_ISL_E10value_typeEPSM_NS1_7vsmem_tEENKUlT_SK_SL_SM_E_clISE_PiSF_SF_EESJ_SZ_SK_SL_SM_EUlSZ_E0_NS1_11comp_targetILNS1_3genE2ELNS1_11target_archE906ELNS1_3gpuE6ELNS1_3repE0EEENS1_38merge_mergepath_config_static_selectorELNS0_4arch9wavefront6targetE1EEEvSL_
                                        ; -- End function
	.section	.AMDGPU.csdata,"",@progbits
; Kernel info:
; codeLenInByte = 0
; NumSgprs: 4
; NumVgprs: 0
; NumAgprs: 0
; TotalNumVgprs: 0
; ScratchSize: 0
; MemoryBound: 0
; FloatMode: 240
; IeeeMode: 1
; LDSByteSize: 0 bytes/workgroup (compile time only)
; SGPRBlocks: 0
; VGPRBlocks: 0
; NumSGPRsForWavesPerEU: 4
; NumVGPRsForWavesPerEU: 1
; AccumOffset: 4
; Occupancy: 8
; WaveLimiterHint : 0
; COMPUTE_PGM_RSRC2:SCRATCH_EN: 0
; COMPUTE_PGM_RSRC2:USER_SGPR: 6
; COMPUTE_PGM_RSRC2:TRAP_HANDLER: 0
; COMPUTE_PGM_RSRC2:TGID_X_EN: 1
; COMPUTE_PGM_RSRC2:TGID_Y_EN: 0
; COMPUTE_PGM_RSRC2:TGID_Z_EN: 0
; COMPUTE_PGM_RSRC2:TIDIG_COMP_CNT: 0
; COMPUTE_PGM_RSRC3_GFX90A:ACCUM_OFFSET: 0
; COMPUTE_PGM_RSRC3_GFX90A:TG_SPLIT: 0
	.section	.text._ZN7rocprim17ROCPRIM_400000_NS6detail17trampoline_kernelINS0_14default_configENS1_38merge_sort_block_merge_config_selectorIiNS0_10empty_typeEEEZZNS1_27merge_sort_block_merge_implIS3_N6thrust23THRUST_200600_302600_NS6detail15normal_iteratorINS9_10device_ptrIiEEEEPS5_jNS1_19radix_merge_compareILb0ELb0EiNS0_19identity_decomposerEEEEE10hipError_tT0_T1_T2_jT3_P12ihipStream_tbPNSt15iterator_traitsISK_E10value_typeEPNSQ_ISL_E10value_typeEPSM_NS1_7vsmem_tEENKUlT_SK_SL_SM_E_clISE_PiSF_SF_EESJ_SZ_SK_SL_SM_EUlSZ_E0_NS1_11comp_targetILNS1_3genE9ELNS1_11target_archE1100ELNS1_3gpuE3ELNS1_3repE0EEENS1_38merge_mergepath_config_static_selectorELNS0_4arch9wavefront6targetE1EEEvSL_,"axG",@progbits,_ZN7rocprim17ROCPRIM_400000_NS6detail17trampoline_kernelINS0_14default_configENS1_38merge_sort_block_merge_config_selectorIiNS0_10empty_typeEEEZZNS1_27merge_sort_block_merge_implIS3_N6thrust23THRUST_200600_302600_NS6detail15normal_iteratorINS9_10device_ptrIiEEEEPS5_jNS1_19radix_merge_compareILb0ELb0EiNS0_19identity_decomposerEEEEE10hipError_tT0_T1_T2_jT3_P12ihipStream_tbPNSt15iterator_traitsISK_E10value_typeEPNSQ_ISL_E10value_typeEPSM_NS1_7vsmem_tEENKUlT_SK_SL_SM_E_clISE_PiSF_SF_EESJ_SZ_SK_SL_SM_EUlSZ_E0_NS1_11comp_targetILNS1_3genE9ELNS1_11target_archE1100ELNS1_3gpuE3ELNS1_3repE0EEENS1_38merge_mergepath_config_static_selectorELNS0_4arch9wavefront6targetE1EEEvSL_,comdat
	.protected	_ZN7rocprim17ROCPRIM_400000_NS6detail17trampoline_kernelINS0_14default_configENS1_38merge_sort_block_merge_config_selectorIiNS0_10empty_typeEEEZZNS1_27merge_sort_block_merge_implIS3_N6thrust23THRUST_200600_302600_NS6detail15normal_iteratorINS9_10device_ptrIiEEEEPS5_jNS1_19radix_merge_compareILb0ELb0EiNS0_19identity_decomposerEEEEE10hipError_tT0_T1_T2_jT3_P12ihipStream_tbPNSt15iterator_traitsISK_E10value_typeEPNSQ_ISL_E10value_typeEPSM_NS1_7vsmem_tEENKUlT_SK_SL_SM_E_clISE_PiSF_SF_EESJ_SZ_SK_SL_SM_EUlSZ_E0_NS1_11comp_targetILNS1_3genE9ELNS1_11target_archE1100ELNS1_3gpuE3ELNS1_3repE0EEENS1_38merge_mergepath_config_static_selectorELNS0_4arch9wavefront6targetE1EEEvSL_ ; -- Begin function _ZN7rocprim17ROCPRIM_400000_NS6detail17trampoline_kernelINS0_14default_configENS1_38merge_sort_block_merge_config_selectorIiNS0_10empty_typeEEEZZNS1_27merge_sort_block_merge_implIS3_N6thrust23THRUST_200600_302600_NS6detail15normal_iteratorINS9_10device_ptrIiEEEEPS5_jNS1_19radix_merge_compareILb0ELb0EiNS0_19identity_decomposerEEEEE10hipError_tT0_T1_T2_jT3_P12ihipStream_tbPNSt15iterator_traitsISK_E10value_typeEPNSQ_ISL_E10value_typeEPSM_NS1_7vsmem_tEENKUlT_SK_SL_SM_E_clISE_PiSF_SF_EESJ_SZ_SK_SL_SM_EUlSZ_E0_NS1_11comp_targetILNS1_3genE9ELNS1_11target_archE1100ELNS1_3gpuE3ELNS1_3repE0EEENS1_38merge_mergepath_config_static_selectorELNS0_4arch9wavefront6targetE1EEEvSL_
	.globl	_ZN7rocprim17ROCPRIM_400000_NS6detail17trampoline_kernelINS0_14default_configENS1_38merge_sort_block_merge_config_selectorIiNS0_10empty_typeEEEZZNS1_27merge_sort_block_merge_implIS3_N6thrust23THRUST_200600_302600_NS6detail15normal_iteratorINS9_10device_ptrIiEEEEPS5_jNS1_19radix_merge_compareILb0ELb0EiNS0_19identity_decomposerEEEEE10hipError_tT0_T1_T2_jT3_P12ihipStream_tbPNSt15iterator_traitsISK_E10value_typeEPNSQ_ISL_E10value_typeEPSM_NS1_7vsmem_tEENKUlT_SK_SL_SM_E_clISE_PiSF_SF_EESJ_SZ_SK_SL_SM_EUlSZ_E0_NS1_11comp_targetILNS1_3genE9ELNS1_11target_archE1100ELNS1_3gpuE3ELNS1_3repE0EEENS1_38merge_mergepath_config_static_selectorELNS0_4arch9wavefront6targetE1EEEvSL_
	.p2align	8
	.type	_ZN7rocprim17ROCPRIM_400000_NS6detail17trampoline_kernelINS0_14default_configENS1_38merge_sort_block_merge_config_selectorIiNS0_10empty_typeEEEZZNS1_27merge_sort_block_merge_implIS3_N6thrust23THRUST_200600_302600_NS6detail15normal_iteratorINS9_10device_ptrIiEEEEPS5_jNS1_19radix_merge_compareILb0ELb0EiNS0_19identity_decomposerEEEEE10hipError_tT0_T1_T2_jT3_P12ihipStream_tbPNSt15iterator_traitsISK_E10value_typeEPNSQ_ISL_E10value_typeEPSM_NS1_7vsmem_tEENKUlT_SK_SL_SM_E_clISE_PiSF_SF_EESJ_SZ_SK_SL_SM_EUlSZ_E0_NS1_11comp_targetILNS1_3genE9ELNS1_11target_archE1100ELNS1_3gpuE3ELNS1_3repE0EEENS1_38merge_mergepath_config_static_selectorELNS0_4arch9wavefront6targetE1EEEvSL_,@function
_ZN7rocprim17ROCPRIM_400000_NS6detail17trampoline_kernelINS0_14default_configENS1_38merge_sort_block_merge_config_selectorIiNS0_10empty_typeEEEZZNS1_27merge_sort_block_merge_implIS3_N6thrust23THRUST_200600_302600_NS6detail15normal_iteratorINS9_10device_ptrIiEEEEPS5_jNS1_19radix_merge_compareILb0ELb0EiNS0_19identity_decomposerEEEEE10hipError_tT0_T1_T2_jT3_P12ihipStream_tbPNSt15iterator_traitsISK_E10value_typeEPNSQ_ISL_E10value_typeEPSM_NS1_7vsmem_tEENKUlT_SK_SL_SM_E_clISE_PiSF_SF_EESJ_SZ_SK_SL_SM_EUlSZ_E0_NS1_11comp_targetILNS1_3genE9ELNS1_11target_archE1100ELNS1_3gpuE3ELNS1_3repE0EEENS1_38merge_mergepath_config_static_selectorELNS0_4arch9wavefront6targetE1EEEvSL_: ; @_ZN7rocprim17ROCPRIM_400000_NS6detail17trampoline_kernelINS0_14default_configENS1_38merge_sort_block_merge_config_selectorIiNS0_10empty_typeEEEZZNS1_27merge_sort_block_merge_implIS3_N6thrust23THRUST_200600_302600_NS6detail15normal_iteratorINS9_10device_ptrIiEEEEPS5_jNS1_19radix_merge_compareILb0ELb0EiNS0_19identity_decomposerEEEEE10hipError_tT0_T1_T2_jT3_P12ihipStream_tbPNSt15iterator_traitsISK_E10value_typeEPNSQ_ISL_E10value_typeEPSM_NS1_7vsmem_tEENKUlT_SK_SL_SM_E_clISE_PiSF_SF_EESJ_SZ_SK_SL_SM_EUlSZ_E0_NS1_11comp_targetILNS1_3genE9ELNS1_11target_archE1100ELNS1_3gpuE3ELNS1_3repE0EEENS1_38merge_mergepath_config_static_selectorELNS0_4arch9wavefront6targetE1EEEvSL_
; %bb.0:
	.section	.rodata,"a",@progbits
	.p2align	6, 0x0
	.amdhsa_kernel _ZN7rocprim17ROCPRIM_400000_NS6detail17trampoline_kernelINS0_14default_configENS1_38merge_sort_block_merge_config_selectorIiNS0_10empty_typeEEEZZNS1_27merge_sort_block_merge_implIS3_N6thrust23THRUST_200600_302600_NS6detail15normal_iteratorINS9_10device_ptrIiEEEEPS5_jNS1_19radix_merge_compareILb0ELb0EiNS0_19identity_decomposerEEEEE10hipError_tT0_T1_T2_jT3_P12ihipStream_tbPNSt15iterator_traitsISK_E10value_typeEPNSQ_ISL_E10value_typeEPSM_NS1_7vsmem_tEENKUlT_SK_SL_SM_E_clISE_PiSF_SF_EESJ_SZ_SK_SL_SM_EUlSZ_E0_NS1_11comp_targetILNS1_3genE9ELNS1_11target_archE1100ELNS1_3gpuE3ELNS1_3repE0EEENS1_38merge_mergepath_config_static_selectorELNS0_4arch9wavefront6targetE1EEEvSL_
		.amdhsa_group_segment_fixed_size 0
		.amdhsa_private_segment_fixed_size 0
		.amdhsa_kernarg_size 64
		.amdhsa_user_sgpr_count 6
		.amdhsa_user_sgpr_private_segment_buffer 1
		.amdhsa_user_sgpr_dispatch_ptr 0
		.amdhsa_user_sgpr_queue_ptr 0
		.amdhsa_user_sgpr_kernarg_segment_ptr 1
		.amdhsa_user_sgpr_dispatch_id 0
		.amdhsa_user_sgpr_flat_scratch_init 0
		.amdhsa_user_sgpr_kernarg_preload_length 0
		.amdhsa_user_sgpr_kernarg_preload_offset 0
		.amdhsa_user_sgpr_private_segment_size 0
		.amdhsa_uses_dynamic_stack 0
		.amdhsa_system_sgpr_private_segment_wavefront_offset 0
		.amdhsa_system_sgpr_workgroup_id_x 1
		.amdhsa_system_sgpr_workgroup_id_y 0
		.amdhsa_system_sgpr_workgroup_id_z 0
		.amdhsa_system_sgpr_workgroup_info 0
		.amdhsa_system_vgpr_workitem_id 0
		.amdhsa_next_free_vgpr 1
		.amdhsa_next_free_sgpr 0
		.amdhsa_accum_offset 4
		.amdhsa_reserve_vcc 0
		.amdhsa_reserve_flat_scratch 0
		.amdhsa_float_round_mode_32 0
		.amdhsa_float_round_mode_16_64 0
		.amdhsa_float_denorm_mode_32 3
		.amdhsa_float_denorm_mode_16_64 3
		.amdhsa_dx10_clamp 1
		.amdhsa_ieee_mode 1
		.amdhsa_fp16_overflow 0
		.amdhsa_tg_split 0
		.amdhsa_exception_fp_ieee_invalid_op 0
		.amdhsa_exception_fp_denorm_src 0
		.amdhsa_exception_fp_ieee_div_zero 0
		.amdhsa_exception_fp_ieee_overflow 0
		.amdhsa_exception_fp_ieee_underflow 0
		.amdhsa_exception_fp_ieee_inexact 0
		.amdhsa_exception_int_div_zero 0
	.end_amdhsa_kernel
	.section	.text._ZN7rocprim17ROCPRIM_400000_NS6detail17trampoline_kernelINS0_14default_configENS1_38merge_sort_block_merge_config_selectorIiNS0_10empty_typeEEEZZNS1_27merge_sort_block_merge_implIS3_N6thrust23THRUST_200600_302600_NS6detail15normal_iteratorINS9_10device_ptrIiEEEEPS5_jNS1_19radix_merge_compareILb0ELb0EiNS0_19identity_decomposerEEEEE10hipError_tT0_T1_T2_jT3_P12ihipStream_tbPNSt15iterator_traitsISK_E10value_typeEPNSQ_ISL_E10value_typeEPSM_NS1_7vsmem_tEENKUlT_SK_SL_SM_E_clISE_PiSF_SF_EESJ_SZ_SK_SL_SM_EUlSZ_E0_NS1_11comp_targetILNS1_3genE9ELNS1_11target_archE1100ELNS1_3gpuE3ELNS1_3repE0EEENS1_38merge_mergepath_config_static_selectorELNS0_4arch9wavefront6targetE1EEEvSL_,"axG",@progbits,_ZN7rocprim17ROCPRIM_400000_NS6detail17trampoline_kernelINS0_14default_configENS1_38merge_sort_block_merge_config_selectorIiNS0_10empty_typeEEEZZNS1_27merge_sort_block_merge_implIS3_N6thrust23THRUST_200600_302600_NS6detail15normal_iteratorINS9_10device_ptrIiEEEEPS5_jNS1_19radix_merge_compareILb0ELb0EiNS0_19identity_decomposerEEEEE10hipError_tT0_T1_T2_jT3_P12ihipStream_tbPNSt15iterator_traitsISK_E10value_typeEPNSQ_ISL_E10value_typeEPSM_NS1_7vsmem_tEENKUlT_SK_SL_SM_E_clISE_PiSF_SF_EESJ_SZ_SK_SL_SM_EUlSZ_E0_NS1_11comp_targetILNS1_3genE9ELNS1_11target_archE1100ELNS1_3gpuE3ELNS1_3repE0EEENS1_38merge_mergepath_config_static_selectorELNS0_4arch9wavefront6targetE1EEEvSL_,comdat
.Lfunc_end1652:
	.size	_ZN7rocprim17ROCPRIM_400000_NS6detail17trampoline_kernelINS0_14default_configENS1_38merge_sort_block_merge_config_selectorIiNS0_10empty_typeEEEZZNS1_27merge_sort_block_merge_implIS3_N6thrust23THRUST_200600_302600_NS6detail15normal_iteratorINS9_10device_ptrIiEEEEPS5_jNS1_19radix_merge_compareILb0ELb0EiNS0_19identity_decomposerEEEEE10hipError_tT0_T1_T2_jT3_P12ihipStream_tbPNSt15iterator_traitsISK_E10value_typeEPNSQ_ISL_E10value_typeEPSM_NS1_7vsmem_tEENKUlT_SK_SL_SM_E_clISE_PiSF_SF_EESJ_SZ_SK_SL_SM_EUlSZ_E0_NS1_11comp_targetILNS1_3genE9ELNS1_11target_archE1100ELNS1_3gpuE3ELNS1_3repE0EEENS1_38merge_mergepath_config_static_selectorELNS0_4arch9wavefront6targetE1EEEvSL_, .Lfunc_end1652-_ZN7rocprim17ROCPRIM_400000_NS6detail17trampoline_kernelINS0_14default_configENS1_38merge_sort_block_merge_config_selectorIiNS0_10empty_typeEEEZZNS1_27merge_sort_block_merge_implIS3_N6thrust23THRUST_200600_302600_NS6detail15normal_iteratorINS9_10device_ptrIiEEEEPS5_jNS1_19radix_merge_compareILb0ELb0EiNS0_19identity_decomposerEEEEE10hipError_tT0_T1_T2_jT3_P12ihipStream_tbPNSt15iterator_traitsISK_E10value_typeEPNSQ_ISL_E10value_typeEPSM_NS1_7vsmem_tEENKUlT_SK_SL_SM_E_clISE_PiSF_SF_EESJ_SZ_SK_SL_SM_EUlSZ_E0_NS1_11comp_targetILNS1_3genE9ELNS1_11target_archE1100ELNS1_3gpuE3ELNS1_3repE0EEENS1_38merge_mergepath_config_static_selectorELNS0_4arch9wavefront6targetE1EEEvSL_
                                        ; -- End function
	.section	.AMDGPU.csdata,"",@progbits
; Kernel info:
; codeLenInByte = 0
; NumSgprs: 4
; NumVgprs: 0
; NumAgprs: 0
; TotalNumVgprs: 0
; ScratchSize: 0
; MemoryBound: 0
; FloatMode: 240
; IeeeMode: 1
; LDSByteSize: 0 bytes/workgroup (compile time only)
; SGPRBlocks: 0
; VGPRBlocks: 0
; NumSGPRsForWavesPerEU: 4
; NumVGPRsForWavesPerEU: 1
; AccumOffset: 4
; Occupancy: 8
; WaveLimiterHint : 0
; COMPUTE_PGM_RSRC2:SCRATCH_EN: 0
; COMPUTE_PGM_RSRC2:USER_SGPR: 6
; COMPUTE_PGM_RSRC2:TRAP_HANDLER: 0
; COMPUTE_PGM_RSRC2:TGID_X_EN: 1
; COMPUTE_PGM_RSRC2:TGID_Y_EN: 0
; COMPUTE_PGM_RSRC2:TGID_Z_EN: 0
; COMPUTE_PGM_RSRC2:TIDIG_COMP_CNT: 0
; COMPUTE_PGM_RSRC3_GFX90A:ACCUM_OFFSET: 0
; COMPUTE_PGM_RSRC3_GFX90A:TG_SPLIT: 0
	.section	.text._ZN7rocprim17ROCPRIM_400000_NS6detail17trampoline_kernelINS0_14default_configENS1_38merge_sort_block_merge_config_selectorIiNS0_10empty_typeEEEZZNS1_27merge_sort_block_merge_implIS3_N6thrust23THRUST_200600_302600_NS6detail15normal_iteratorINS9_10device_ptrIiEEEEPS5_jNS1_19radix_merge_compareILb0ELb0EiNS0_19identity_decomposerEEEEE10hipError_tT0_T1_T2_jT3_P12ihipStream_tbPNSt15iterator_traitsISK_E10value_typeEPNSQ_ISL_E10value_typeEPSM_NS1_7vsmem_tEENKUlT_SK_SL_SM_E_clISE_PiSF_SF_EESJ_SZ_SK_SL_SM_EUlSZ_E0_NS1_11comp_targetILNS1_3genE8ELNS1_11target_archE1030ELNS1_3gpuE2ELNS1_3repE0EEENS1_38merge_mergepath_config_static_selectorELNS0_4arch9wavefront6targetE1EEEvSL_,"axG",@progbits,_ZN7rocprim17ROCPRIM_400000_NS6detail17trampoline_kernelINS0_14default_configENS1_38merge_sort_block_merge_config_selectorIiNS0_10empty_typeEEEZZNS1_27merge_sort_block_merge_implIS3_N6thrust23THRUST_200600_302600_NS6detail15normal_iteratorINS9_10device_ptrIiEEEEPS5_jNS1_19radix_merge_compareILb0ELb0EiNS0_19identity_decomposerEEEEE10hipError_tT0_T1_T2_jT3_P12ihipStream_tbPNSt15iterator_traitsISK_E10value_typeEPNSQ_ISL_E10value_typeEPSM_NS1_7vsmem_tEENKUlT_SK_SL_SM_E_clISE_PiSF_SF_EESJ_SZ_SK_SL_SM_EUlSZ_E0_NS1_11comp_targetILNS1_3genE8ELNS1_11target_archE1030ELNS1_3gpuE2ELNS1_3repE0EEENS1_38merge_mergepath_config_static_selectorELNS0_4arch9wavefront6targetE1EEEvSL_,comdat
	.protected	_ZN7rocprim17ROCPRIM_400000_NS6detail17trampoline_kernelINS0_14default_configENS1_38merge_sort_block_merge_config_selectorIiNS0_10empty_typeEEEZZNS1_27merge_sort_block_merge_implIS3_N6thrust23THRUST_200600_302600_NS6detail15normal_iteratorINS9_10device_ptrIiEEEEPS5_jNS1_19radix_merge_compareILb0ELb0EiNS0_19identity_decomposerEEEEE10hipError_tT0_T1_T2_jT3_P12ihipStream_tbPNSt15iterator_traitsISK_E10value_typeEPNSQ_ISL_E10value_typeEPSM_NS1_7vsmem_tEENKUlT_SK_SL_SM_E_clISE_PiSF_SF_EESJ_SZ_SK_SL_SM_EUlSZ_E0_NS1_11comp_targetILNS1_3genE8ELNS1_11target_archE1030ELNS1_3gpuE2ELNS1_3repE0EEENS1_38merge_mergepath_config_static_selectorELNS0_4arch9wavefront6targetE1EEEvSL_ ; -- Begin function _ZN7rocprim17ROCPRIM_400000_NS6detail17trampoline_kernelINS0_14default_configENS1_38merge_sort_block_merge_config_selectorIiNS0_10empty_typeEEEZZNS1_27merge_sort_block_merge_implIS3_N6thrust23THRUST_200600_302600_NS6detail15normal_iteratorINS9_10device_ptrIiEEEEPS5_jNS1_19radix_merge_compareILb0ELb0EiNS0_19identity_decomposerEEEEE10hipError_tT0_T1_T2_jT3_P12ihipStream_tbPNSt15iterator_traitsISK_E10value_typeEPNSQ_ISL_E10value_typeEPSM_NS1_7vsmem_tEENKUlT_SK_SL_SM_E_clISE_PiSF_SF_EESJ_SZ_SK_SL_SM_EUlSZ_E0_NS1_11comp_targetILNS1_3genE8ELNS1_11target_archE1030ELNS1_3gpuE2ELNS1_3repE0EEENS1_38merge_mergepath_config_static_selectorELNS0_4arch9wavefront6targetE1EEEvSL_
	.globl	_ZN7rocprim17ROCPRIM_400000_NS6detail17trampoline_kernelINS0_14default_configENS1_38merge_sort_block_merge_config_selectorIiNS0_10empty_typeEEEZZNS1_27merge_sort_block_merge_implIS3_N6thrust23THRUST_200600_302600_NS6detail15normal_iteratorINS9_10device_ptrIiEEEEPS5_jNS1_19radix_merge_compareILb0ELb0EiNS0_19identity_decomposerEEEEE10hipError_tT0_T1_T2_jT3_P12ihipStream_tbPNSt15iterator_traitsISK_E10value_typeEPNSQ_ISL_E10value_typeEPSM_NS1_7vsmem_tEENKUlT_SK_SL_SM_E_clISE_PiSF_SF_EESJ_SZ_SK_SL_SM_EUlSZ_E0_NS1_11comp_targetILNS1_3genE8ELNS1_11target_archE1030ELNS1_3gpuE2ELNS1_3repE0EEENS1_38merge_mergepath_config_static_selectorELNS0_4arch9wavefront6targetE1EEEvSL_
	.p2align	8
	.type	_ZN7rocprim17ROCPRIM_400000_NS6detail17trampoline_kernelINS0_14default_configENS1_38merge_sort_block_merge_config_selectorIiNS0_10empty_typeEEEZZNS1_27merge_sort_block_merge_implIS3_N6thrust23THRUST_200600_302600_NS6detail15normal_iteratorINS9_10device_ptrIiEEEEPS5_jNS1_19radix_merge_compareILb0ELb0EiNS0_19identity_decomposerEEEEE10hipError_tT0_T1_T2_jT3_P12ihipStream_tbPNSt15iterator_traitsISK_E10value_typeEPNSQ_ISL_E10value_typeEPSM_NS1_7vsmem_tEENKUlT_SK_SL_SM_E_clISE_PiSF_SF_EESJ_SZ_SK_SL_SM_EUlSZ_E0_NS1_11comp_targetILNS1_3genE8ELNS1_11target_archE1030ELNS1_3gpuE2ELNS1_3repE0EEENS1_38merge_mergepath_config_static_selectorELNS0_4arch9wavefront6targetE1EEEvSL_,@function
_ZN7rocprim17ROCPRIM_400000_NS6detail17trampoline_kernelINS0_14default_configENS1_38merge_sort_block_merge_config_selectorIiNS0_10empty_typeEEEZZNS1_27merge_sort_block_merge_implIS3_N6thrust23THRUST_200600_302600_NS6detail15normal_iteratorINS9_10device_ptrIiEEEEPS5_jNS1_19radix_merge_compareILb0ELb0EiNS0_19identity_decomposerEEEEE10hipError_tT0_T1_T2_jT3_P12ihipStream_tbPNSt15iterator_traitsISK_E10value_typeEPNSQ_ISL_E10value_typeEPSM_NS1_7vsmem_tEENKUlT_SK_SL_SM_E_clISE_PiSF_SF_EESJ_SZ_SK_SL_SM_EUlSZ_E0_NS1_11comp_targetILNS1_3genE8ELNS1_11target_archE1030ELNS1_3gpuE2ELNS1_3repE0EEENS1_38merge_mergepath_config_static_selectorELNS0_4arch9wavefront6targetE1EEEvSL_: ; @_ZN7rocprim17ROCPRIM_400000_NS6detail17trampoline_kernelINS0_14default_configENS1_38merge_sort_block_merge_config_selectorIiNS0_10empty_typeEEEZZNS1_27merge_sort_block_merge_implIS3_N6thrust23THRUST_200600_302600_NS6detail15normal_iteratorINS9_10device_ptrIiEEEEPS5_jNS1_19radix_merge_compareILb0ELb0EiNS0_19identity_decomposerEEEEE10hipError_tT0_T1_T2_jT3_P12ihipStream_tbPNSt15iterator_traitsISK_E10value_typeEPNSQ_ISL_E10value_typeEPSM_NS1_7vsmem_tEENKUlT_SK_SL_SM_E_clISE_PiSF_SF_EESJ_SZ_SK_SL_SM_EUlSZ_E0_NS1_11comp_targetILNS1_3genE8ELNS1_11target_archE1030ELNS1_3gpuE2ELNS1_3repE0EEENS1_38merge_mergepath_config_static_selectorELNS0_4arch9wavefront6targetE1EEEvSL_
; %bb.0:
	.section	.rodata,"a",@progbits
	.p2align	6, 0x0
	.amdhsa_kernel _ZN7rocprim17ROCPRIM_400000_NS6detail17trampoline_kernelINS0_14default_configENS1_38merge_sort_block_merge_config_selectorIiNS0_10empty_typeEEEZZNS1_27merge_sort_block_merge_implIS3_N6thrust23THRUST_200600_302600_NS6detail15normal_iteratorINS9_10device_ptrIiEEEEPS5_jNS1_19radix_merge_compareILb0ELb0EiNS0_19identity_decomposerEEEEE10hipError_tT0_T1_T2_jT3_P12ihipStream_tbPNSt15iterator_traitsISK_E10value_typeEPNSQ_ISL_E10value_typeEPSM_NS1_7vsmem_tEENKUlT_SK_SL_SM_E_clISE_PiSF_SF_EESJ_SZ_SK_SL_SM_EUlSZ_E0_NS1_11comp_targetILNS1_3genE8ELNS1_11target_archE1030ELNS1_3gpuE2ELNS1_3repE0EEENS1_38merge_mergepath_config_static_selectorELNS0_4arch9wavefront6targetE1EEEvSL_
		.amdhsa_group_segment_fixed_size 0
		.amdhsa_private_segment_fixed_size 0
		.amdhsa_kernarg_size 64
		.amdhsa_user_sgpr_count 6
		.amdhsa_user_sgpr_private_segment_buffer 1
		.amdhsa_user_sgpr_dispatch_ptr 0
		.amdhsa_user_sgpr_queue_ptr 0
		.amdhsa_user_sgpr_kernarg_segment_ptr 1
		.amdhsa_user_sgpr_dispatch_id 0
		.amdhsa_user_sgpr_flat_scratch_init 0
		.amdhsa_user_sgpr_kernarg_preload_length 0
		.amdhsa_user_sgpr_kernarg_preload_offset 0
		.amdhsa_user_sgpr_private_segment_size 0
		.amdhsa_uses_dynamic_stack 0
		.amdhsa_system_sgpr_private_segment_wavefront_offset 0
		.amdhsa_system_sgpr_workgroup_id_x 1
		.amdhsa_system_sgpr_workgroup_id_y 0
		.amdhsa_system_sgpr_workgroup_id_z 0
		.amdhsa_system_sgpr_workgroup_info 0
		.amdhsa_system_vgpr_workitem_id 0
		.amdhsa_next_free_vgpr 1
		.amdhsa_next_free_sgpr 0
		.amdhsa_accum_offset 4
		.amdhsa_reserve_vcc 0
		.amdhsa_reserve_flat_scratch 0
		.amdhsa_float_round_mode_32 0
		.amdhsa_float_round_mode_16_64 0
		.amdhsa_float_denorm_mode_32 3
		.amdhsa_float_denorm_mode_16_64 3
		.amdhsa_dx10_clamp 1
		.amdhsa_ieee_mode 1
		.amdhsa_fp16_overflow 0
		.amdhsa_tg_split 0
		.amdhsa_exception_fp_ieee_invalid_op 0
		.amdhsa_exception_fp_denorm_src 0
		.amdhsa_exception_fp_ieee_div_zero 0
		.amdhsa_exception_fp_ieee_overflow 0
		.amdhsa_exception_fp_ieee_underflow 0
		.amdhsa_exception_fp_ieee_inexact 0
		.amdhsa_exception_int_div_zero 0
	.end_amdhsa_kernel
	.section	.text._ZN7rocprim17ROCPRIM_400000_NS6detail17trampoline_kernelINS0_14default_configENS1_38merge_sort_block_merge_config_selectorIiNS0_10empty_typeEEEZZNS1_27merge_sort_block_merge_implIS3_N6thrust23THRUST_200600_302600_NS6detail15normal_iteratorINS9_10device_ptrIiEEEEPS5_jNS1_19radix_merge_compareILb0ELb0EiNS0_19identity_decomposerEEEEE10hipError_tT0_T1_T2_jT3_P12ihipStream_tbPNSt15iterator_traitsISK_E10value_typeEPNSQ_ISL_E10value_typeEPSM_NS1_7vsmem_tEENKUlT_SK_SL_SM_E_clISE_PiSF_SF_EESJ_SZ_SK_SL_SM_EUlSZ_E0_NS1_11comp_targetILNS1_3genE8ELNS1_11target_archE1030ELNS1_3gpuE2ELNS1_3repE0EEENS1_38merge_mergepath_config_static_selectorELNS0_4arch9wavefront6targetE1EEEvSL_,"axG",@progbits,_ZN7rocprim17ROCPRIM_400000_NS6detail17trampoline_kernelINS0_14default_configENS1_38merge_sort_block_merge_config_selectorIiNS0_10empty_typeEEEZZNS1_27merge_sort_block_merge_implIS3_N6thrust23THRUST_200600_302600_NS6detail15normal_iteratorINS9_10device_ptrIiEEEEPS5_jNS1_19radix_merge_compareILb0ELb0EiNS0_19identity_decomposerEEEEE10hipError_tT0_T1_T2_jT3_P12ihipStream_tbPNSt15iterator_traitsISK_E10value_typeEPNSQ_ISL_E10value_typeEPSM_NS1_7vsmem_tEENKUlT_SK_SL_SM_E_clISE_PiSF_SF_EESJ_SZ_SK_SL_SM_EUlSZ_E0_NS1_11comp_targetILNS1_3genE8ELNS1_11target_archE1030ELNS1_3gpuE2ELNS1_3repE0EEENS1_38merge_mergepath_config_static_selectorELNS0_4arch9wavefront6targetE1EEEvSL_,comdat
.Lfunc_end1653:
	.size	_ZN7rocprim17ROCPRIM_400000_NS6detail17trampoline_kernelINS0_14default_configENS1_38merge_sort_block_merge_config_selectorIiNS0_10empty_typeEEEZZNS1_27merge_sort_block_merge_implIS3_N6thrust23THRUST_200600_302600_NS6detail15normal_iteratorINS9_10device_ptrIiEEEEPS5_jNS1_19radix_merge_compareILb0ELb0EiNS0_19identity_decomposerEEEEE10hipError_tT0_T1_T2_jT3_P12ihipStream_tbPNSt15iterator_traitsISK_E10value_typeEPNSQ_ISL_E10value_typeEPSM_NS1_7vsmem_tEENKUlT_SK_SL_SM_E_clISE_PiSF_SF_EESJ_SZ_SK_SL_SM_EUlSZ_E0_NS1_11comp_targetILNS1_3genE8ELNS1_11target_archE1030ELNS1_3gpuE2ELNS1_3repE0EEENS1_38merge_mergepath_config_static_selectorELNS0_4arch9wavefront6targetE1EEEvSL_, .Lfunc_end1653-_ZN7rocprim17ROCPRIM_400000_NS6detail17trampoline_kernelINS0_14default_configENS1_38merge_sort_block_merge_config_selectorIiNS0_10empty_typeEEEZZNS1_27merge_sort_block_merge_implIS3_N6thrust23THRUST_200600_302600_NS6detail15normal_iteratorINS9_10device_ptrIiEEEEPS5_jNS1_19radix_merge_compareILb0ELb0EiNS0_19identity_decomposerEEEEE10hipError_tT0_T1_T2_jT3_P12ihipStream_tbPNSt15iterator_traitsISK_E10value_typeEPNSQ_ISL_E10value_typeEPSM_NS1_7vsmem_tEENKUlT_SK_SL_SM_E_clISE_PiSF_SF_EESJ_SZ_SK_SL_SM_EUlSZ_E0_NS1_11comp_targetILNS1_3genE8ELNS1_11target_archE1030ELNS1_3gpuE2ELNS1_3repE0EEENS1_38merge_mergepath_config_static_selectorELNS0_4arch9wavefront6targetE1EEEvSL_
                                        ; -- End function
	.section	.AMDGPU.csdata,"",@progbits
; Kernel info:
; codeLenInByte = 0
; NumSgprs: 4
; NumVgprs: 0
; NumAgprs: 0
; TotalNumVgprs: 0
; ScratchSize: 0
; MemoryBound: 0
; FloatMode: 240
; IeeeMode: 1
; LDSByteSize: 0 bytes/workgroup (compile time only)
; SGPRBlocks: 0
; VGPRBlocks: 0
; NumSGPRsForWavesPerEU: 4
; NumVGPRsForWavesPerEU: 1
; AccumOffset: 4
; Occupancy: 8
; WaveLimiterHint : 0
; COMPUTE_PGM_RSRC2:SCRATCH_EN: 0
; COMPUTE_PGM_RSRC2:USER_SGPR: 6
; COMPUTE_PGM_RSRC2:TRAP_HANDLER: 0
; COMPUTE_PGM_RSRC2:TGID_X_EN: 1
; COMPUTE_PGM_RSRC2:TGID_Y_EN: 0
; COMPUTE_PGM_RSRC2:TGID_Z_EN: 0
; COMPUTE_PGM_RSRC2:TIDIG_COMP_CNT: 0
; COMPUTE_PGM_RSRC3_GFX90A:ACCUM_OFFSET: 0
; COMPUTE_PGM_RSRC3_GFX90A:TG_SPLIT: 0
	.section	.text._ZN7rocprim17ROCPRIM_400000_NS6detail17trampoline_kernelINS0_14default_configENS1_38merge_sort_block_merge_config_selectorIiNS0_10empty_typeEEEZZNS1_27merge_sort_block_merge_implIS3_N6thrust23THRUST_200600_302600_NS6detail15normal_iteratorINS9_10device_ptrIiEEEEPS5_jNS1_19radix_merge_compareILb0ELb0EiNS0_19identity_decomposerEEEEE10hipError_tT0_T1_T2_jT3_P12ihipStream_tbPNSt15iterator_traitsISK_E10value_typeEPNSQ_ISL_E10value_typeEPSM_NS1_7vsmem_tEENKUlT_SK_SL_SM_E_clISE_PiSF_SF_EESJ_SZ_SK_SL_SM_EUlSZ_E1_NS1_11comp_targetILNS1_3genE0ELNS1_11target_archE4294967295ELNS1_3gpuE0ELNS1_3repE0EEENS1_36merge_oddeven_config_static_selectorELNS0_4arch9wavefront6targetE1EEEvSL_,"axG",@progbits,_ZN7rocprim17ROCPRIM_400000_NS6detail17trampoline_kernelINS0_14default_configENS1_38merge_sort_block_merge_config_selectorIiNS0_10empty_typeEEEZZNS1_27merge_sort_block_merge_implIS3_N6thrust23THRUST_200600_302600_NS6detail15normal_iteratorINS9_10device_ptrIiEEEEPS5_jNS1_19radix_merge_compareILb0ELb0EiNS0_19identity_decomposerEEEEE10hipError_tT0_T1_T2_jT3_P12ihipStream_tbPNSt15iterator_traitsISK_E10value_typeEPNSQ_ISL_E10value_typeEPSM_NS1_7vsmem_tEENKUlT_SK_SL_SM_E_clISE_PiSF_SF_EESJ_SZ_SK_SL_SM_EUlSZ_E1_NS1_11comp_targetILNS1_3genE0ELNS1_11target_archE4294967295ELNS1_3gpuE0ELNS1_3repE0EEENS1_36merge_oddeven_config_static_selectorELNS0_4arch9wavefront6targetE1EEEvSL_,comdat
	.protected	_ZN7rocprim17ROCPRIM_400000_NS6detail17trampoline_kernelINS0_14default_configENS1_38merge_sort_block_merge_config_selectorIiNS0_10empty_typeEEEZZNS1_27merge_sort_block_merge_implIS3_N6thrust23THRUST_200600_302600_NS6detail15normal_iteratorINS9_10device_ptrIiEEEEPS5_jNS1_19radix_merge_compareILb0ELb0EiNS0_19identity_decomposerEEEEE10hipError_tT0_T1_T2_jT3_P12ihipStream_tbPNSt15iterator_traitsISK_E10value_typeEPNSQ_ISL_E10value_typeEPSM_NS1_7vsmem_tEENKUlT_SK_SL_SM_E_clISE_PiSF_SF_EESJ_SZ_SK_SL_SM_EUlSZ_E1_NS1_11comp_targetILNS1_3genE0ELNS1_11target_archE4294967295ELNS1_3gpuE0ELNS1_3repE0EEENS1_36merge_oddeven_config_static_selectorELNS0_4arch9wavefront6targetE1EEEvSL_ ; -- Begin function _ZN7rocprim17ROCPRIM_400000_NS6detail17trampoline_kernelINS0_14default_configENS1_38merge_sort_block_merge_config_selectorIiNS0_10empty_typeEEEZZNS1_27merge_sort_block_merge_implIS3_N6thrust23THRUST_200600_302600_NS6detail15normal_iteratorINS9_10device_ptrIiEEEEPS5_jNS1_19radix_merge_compareILb0ELb0EiNS0_19identity_decomposerEEEEE10hipError_tT0_T1_T2_jT3_P12ihipStream_tbPNSt15iterator_traitsISK_E10value_typeEPNSQ_ISL_E10value_typeEPSM_NS1_7vsmem_tEENKUlT_SK_SL_SM_E_clISE_PiSF_SF_EESJ_SZ_SK_SL_SM_EUlSZ_E1_NS1_11comp_targetILNS1_3genE0ELNS1_11target_archE4294967295ELNS1_3gpuE0ELNS1_3repE0EEENS1_36merge_oddeven_config_static_selectorELNS0_4arch9wavefront6targetE1EEEvSL_
	.globl	_ZN7rocprim17ROCPRIM_400000_NS6detail17trampoline_kernelINS0_14default_configENS1_38merge_sort_block_merge_config_selectorIiNS0_10empty_typeEEEZZNS1_27merge_sort_block_merge_implIS3_N6thrust23THRUST_200600_302600_NS6detail15normal_iteratorINS9_10device_ptrIiEEEEPS5_jNS1_19radix_merge_compareILb0ELb0EiNS0_19identity_decomposerEEEEE10hipError_tT0_T1_T2_jT3_P12ihipStream_tbPNSt15iterator_traitsISK_E10value_typeEPNSQ_ISL_E10value_typeEPSM_NS1_7vsmem_tEENKUlT_SK_SL_SM_E_clISE_PiSF_SF_EESJ_SZ_SK_SL_SM_EUlSZ_E1_NS1_11comp_targetILNS1_3genE0ELNS1_11target_archE4294967295ELNS1_3gpuE0ELNS1_3repE0EEENS1_36merge_oddeven_config_static_selectorELNS0_4arch9wavefront6targetE1EEEvSL_
	.p2align	8
	.type	_ZN7rocprim17ROCPRIM_400000_NS6detail17trampoline_kernelINS0_14default_configENS1_38merge_sort_block_merge_config_selectorIiNS0_10empty_typeEEEZZNS1_27merge_sort_block_merge_implIS3_N6thrust23THRUST_200600_302600_NS6detail15normal_iteratorINS9_10device_ptrIiEEEEPS5_jNS1_19radix_merge_compareILb0ELb0EiNS0_19identity_decomposerEEEEE10hipError_tT0_T1_T2_jT3_P12ihipStream_tbPNSt15iterator_traitsISK_E10value_typeEPNSQ_ISL_E10value_typeEPSM_NS1_7vsmem_tEENKUlT_SK_SL_SM_E_clISE_PiSF_SF_EESJ_SZ_SK_SL_SM_EUlSZ_E1_NS1_11comp_targetILNS1_3genE0ELNS1_11target_archE4294967295ELNS1_3gpuE0ELNS1_3repE0EEENS1_36merge_oddeven_config_static_selectorELNS0_4arch9wavefront6targetE1EEEvSL_,@function
_ZN7rocprim17ROCPRIM_400000_NS6detail17trampoline_kernelINS0_14default_configENS1_38merge_sort_block_merge_config_selectorIiNS0_10empty_typeEEEZZNS1_27merge_sort_block_merge_implIS3_N6thrust23THRUST_200600_302600_NS6detail15normal_iteratorINS9_10device_ptrIiEEEEPS5_jNS1_19radix_merge_compareILb0ELb0EiNS0_19identity_decomposerEEEEE10hipError_tT0_T1_T2_jT3_P12ihipStream_tbPNSt15iterator_traitsISK_E10value_typeEPNSQ_ISL_E10value_typeEPSM_NS1_7vsmem_tEENKUlT_SK_SL_SM_E_clISE_PiSF_SF_EESJ_SZ_SK_SL_SM_EUlSZ_E1_NS1_11comp_targetILNS1_3genE0ELNS1_11target_archE4294967295ELNS1_3gpuE0ELNS1_3repE0EEENS1_36merge_oddeven_config_static_selectorELNS0_4arch9wavefront6targetE1EEEvSL_: ; @_ZN7rocprim17ROCPRIM_400000_NS6detail17trampoline_kernelINS0_14default_configENS1_38merge_sort_block_merge_config_selectorIiNS0_10empty_typeEEEZZNS1_27merge_sort_block_merge_implIS3_N6thrust23THRUST_200600_302600_NS6detail15normal_iteratorINS9_10device_ptrIiEEEEPS5_jNS1_19radix_merge_compareILb0ELb0EiNS0_19identity_decomposerEEEEE10hipError_tT0_T1_T2_jT3_P12ihipStream_tbPNSt15iterator_traitsISK_E10value_typeEPNSQ_ISL_E10value_typeEPSM_NS1_7vsmem_tEENKUlT_SK_SL_SM_E_clISE_PiSF_SF_EESJ_SZ_SK_SL_SM_EUlSZ_E1_NS1_11comp_targetILNS1_3genE0ELNS1_11target_archE4294967295ELNS1_3gpuE0ELNS1_3repE0EEENS1_36merge_oddeven_config_static_selectorELNS0_4arch9wavefront6targetE1EEEvSL_
; %bb.0:
	.section	.rodata,"a",@progbits
	.p2align	6, 0x0
	.amdhsa_kernel _ZN7rocprim17ROCPRIM_400000_NS6detail17trampoline_kernelINS0_14default_configENS1_38merge_sort_block_merge_config_selectorIiNS0_10empty_typeEEEZZNS1_27merge_sort_block_merge_implIS3_N6thrust23THRUST_200600_302600_NS6detail15normal_iteratorINS9_10device_ptrIiEEEEPS5_jNS1_19radix_merge_compareILb0ELb0EiNS0_19identity_decomposerEEEEE10hipError_tT0_T1_T2_jT3_P12ihipStream_tbPNSt15iterator_traitsISK_E10value_typeEPNSQ_ISL_E10value_typeEPSM_NS1_7vsmem_tEENKUlT_SK_SL_SM_E_clISE_PiSF_SF_EESJ_SZ_SK_SL_SM_EUlSZ_E1_NS1_11comp_targetILNS1_3genE0ELNS1_11target_archE4294967295ELNS1_3gpuE0ELNS1_3repE0EEENS1_36merge_oddeven_config_static_selectorELNS0_4arch9wavefront6targetE1EEEvSL_
		.amdhsa_group_segment_fixed_size 0
		.amdhsa_private_segment_fixed_size 0
		.amdhsa_kernarg_size 48
		.amdhsa_user_sgpr_count 6
		.amdhsa_user_sgpr_private_segment_buffer 1
		.amdhsa_user_sgpr_dispatch_ptr 0
		.amdhsa_user_sgpr_queue_ptr 0
		.amdhsa_user_sgpr_kernarg_segment_ptr 1
		.amdhsa_user_sgpr_dispatch_id 0
		.amdhsa_user_sgpr_flat_scratch_init 0
		.amdhsa_user_sgpr_kernarg_preload_length 0
		.amdhsa_user_sgpr_kernarg_preload_offset 0
		.amdhsa_user_sgpr_private_segment_size 0
		.amdhsa_uses_dynamic_stack 0
		.amdhsa_system_sgpr_private_segment_wavefront_offset 0
		.amdhsa_system_sgpr_workgroup_id_x 1
		.amdhsa_system_sgpr_workgroup_id_y 0
		.amdhsa_system_sgpr_workgroup_id_z 0
		.amdhsa_system_sgpr_workgroup_info 0
		.amdhsa_system_vgpr_workitem_id 0
		.amdhsa_next_free_vgpr 1
		.amdhsa_next_free_sgpr 0
		.amdhsa_accum_offset 4
		.amdhsa_reserve_vcc 0
		.amdhsa_reserve_flat_scratch 0
		.amdhsa_float_round_mode_32 0
		.amdhsa_float_round_mode_16_64 0
		.amdhsa_float_denorm_mode_32 3
		.amdhsa_float_denorm_mode_16_64 3
		.amdhsa_dx10_clamp 1
		.amdhsa_ieee_mode 1
		.amdhsa_fp16_overflow 0
		.amdhsa_tg_split 0
		.amdhsa_exception_fp_ieee_invalid_op 0
		.amdhsa_exception_fp_denorm_src 0
		.amdhsa_exception_fp_ieee_div_zero 0
		.amdhsa_exception_fp_ieee_overflow 0
		.amdhsa_exception_fp_ieee_underflow 0
		.amdhsa_exception_fp_ieee_inexact 0
		.amdhsa_exception_int_div_zero 0
	.end_amdhsa_kernel
	.section	.text._ZN7rocprim17ROCPRIM_400000_NS6detail17trampoline_kernelINS0_14default_configENS1_38merge_sort_block_merge_config_selectorIiNS0_10empty_typeEEEZZNS1_27merge_sort_block_merge_implIS3_N6thrust23THRUST_200600_302600_NS6detail15normal_iteratorINS9_10device_ptrIiEEEEPS5_jNS1_19radix_merge_compareILb0ELb0EiNS0_19identity_decomposerEEEEE10hipError_tT0_T1_T2_jT3_P12ihipStream_tbPNSt15iterator_traitsISK_E10value_typeEPNSQ_ISL_E10value_typeEPSM_NS1_7vsmem_tEENKUlT_SK_SL_SM_E_clISE_PiSF_SF_EESJ_SZ_SK_SL_SM_EUlSZ_E1_NS1_11comp_targetILNS1_3genE0ELNS1_11target_archE4294967295ELNS1_3gpuE0ELNS1_3repE0EEENS1_36merge_oddeven_config_static_selectorELNS0_4arch9wavefront6targetE1EEEvSL_,"axG",@progbits,_ZN7rocprim17ROCPRIM_400000_NS6detail17trampoline_kernelINS0_14default_configENS1_38merge_sort_block_merge_config_selectorIiNS0_10empty_typeEEEZZNS1_27merge_sort_block_merge_implIS3_N6thrust23THRUST_200600_302600_NS6detail15normal_iteratorINS9_10device_ptrIiEEEEPS5_jNS1_19radix_merge_compareILb0ELb0EiNS0_19identity_decomposerEEEEE10hipError_tT0_T1_T2_jT3_P12ihipStream_tbPNSt15iterator_traitsISK_E10value_typeEPNSQ_ISL_E10value_typeEPSM_NS1_7vsmem_tEENKUlT_SK_SL_SM_E_clISE_PiSF_SF_EESJ_SZ_SK_SL_SM_EUlSZ_E1_NS1_11comp_targetILNS1_3genE0ELNS1_11target_archE4294967295ELNS1_3gpuE0ELNS1_3repE0EEENS1_36merge_oddeven_config_static_selectorELNS0_4arch9wavefront6targetE1EEEvSL_,comdat
.Lfunc_end1654:
	.size	_ZN7rocprim17ROCPRIM_400000_NS6detail17trampoline_kernelINS0_14default_configENS1_38merge_sort_block_merge_config_selectorIiNS0_10empty_typeEEEZZNS1_27merge_sort_block_merge_implIS3_N6thrust23THRUST_200600_302600_NS6detail15normal_iteratorINS9_10device_ptrIiEEEEPS5_jNS1_19radix_merge_compareILb0ELb0EiNS0_19identity_decomposerEEEEE10hipError_tT0_T1_T2_jT3_P12ihipStream_tbPNSt15iterator_traitsISK_E10value_typeEPNSQ_ISL_E10value_typeEPSM_NS1_7vsmem_tEENKUlT_SK_SL_SM_E_clISE_PiSF_SF_EESJ_SZ_SK_SL_SM_EUlSZ_E1_NS1_11comp_targetILNS1_3genE0ELNS1_11target_archE4294967295ELNS1_3gpuE0ELNS1_3repE0EEENS1_36merge_oddeven_config_static_selectorELNS0_4arch9wavefront6targetE1EEEvSL_, .Lfunc_end1654-_ZN7rocprim17ROCPRIM_400000_NS6detail17trampoline_kernelINS0_14default_configENS1_38merge_sort_block_merge_config_selectorIiNS0_10empty_typeEEEZZNS1_27merge_sort_block_merge_implIS3_N6thrust23THRUST_200600_302600_NS6detail15normal_iteratorINS9_10device_ptrIiEEEEPS5_jNS1_19radix_merge_compareILb0ELb0EiNS0_19identity_decomposerEEEEE10hipError_tT0_T1_T2_jT3_P12ihipStream_tbPNSt15iterator_traitsISK_E10value_typeEPNSQ_ISL_E10value_typeEPSM_NS1_7vsmem_tEENKUlT_SK_SL_SM_E_clISE_PiSF_SF_EESJ_SZ_SK_SL_SM_EUlSZ_E1_NS1_11comp_targetILNS1_3genE0ELNS1_11target_archE4294967295ELNS1_3gpuE0ELNS1_3repE0EEENS1_36merge_oddeven_config_static_selectorELNS0_4arch9wavefront6targetE1EEEvSL_
                                        ; -- End function
	.section	.AMDGPU.csdata,"",@progbits
; Kernel info:
; codeLenInByte = 0
; NumSgprs: 4
; NumVgprs: 0
; NumAgprs: 0
; TotalNumVgprs: 0
; ScratchSize: 0
; MemoryBound: 0
; FloatMode: 240
; IeeeMode: 1
; LDSByteSize: 0 bytes/workgroup (compile time only)
; SGPRBlocks: 0
; VGPRBlocks: 0
; NumSGPRsForWavesPerEU: 4
; NumVGPRsForWavesPerEU: 1
; AccumOffset: 4
; Occupancy: 8
; WaveLimiterHint : 0
; COMPUTE_PGM_RSRC2:SCRATCH_EN: 0
; COMPUTE_PGM_RSRC2:USER_SGPR: 6
; COMPUTE_PGM_RSRC2:TRAP_HANDLER: 0
; COMPUTE_PGM_RSRC2:TGID_X_EN: 1
; COMPUTE_PGM_RSRC2:TGID_Y_EN: 0
; COMPUTE_PGM_RSRC2:TGID_Z_EN: 0
; COMPUTE_PGM_RSRC2:TIDIG_COMP_CNT: 0
; COMPUTE_PGM_RSRC3_GFX90A:ACCUM_OFFSET: 0
; COMPUTE_PGM_RSRC3_GFX90A:TG_SPLIT: 0
	.section	.text._ZN7rocprim17ROCPRIM_400000_NS6detail17trampoline_kernelINS0_14default_configENS1_38merge_sort_block_merge_config_selectorIiNS0_10empty_typeEEEZZNS1_27merge_sort_block_merge_implIS3_N6thrust23THRUST_200600_302600_NS6detail15normal_iteratorINS9_10device_ptrIiEEEEPS5_jNS1_19radix_merge_compareILb0ELb0EiNS0_19identity_decomposerEEEEE10hipError_tT0_T1_T2_jT3_P12ihipStream_tbPNSt15iterator_traitsISK_E10value_typeEPNSQ_ISL_E10value_typeEPSM_NS1_7vsmem_tEENKUlT_SK_SL_SM_E_clISE_PiSF_SF_EESJ_SZ_SK_SL_SM_EUlSZ_E1_NS1_11comp_targetILNS1_3genE10ELNS1_11target_archE1201ELNS1_3gpuE5ELNS1_3repE0EEENS1_36merge_oddeven_config_static_selectorELNS0_4arch9wavefront6targetE1EEEvSL_,"axG",@progbits,_ZN7rocprim17ROCPRIM_400000_NS6detail17trampoline_kernelINS0_14default_configENS1_38merge_sort_block_merge_config_selectorIiNS0_10empty_typeEEEZZNS1_27merge_sort_block_merge_implIS3_N6thrust23THRUST_200600_302600_NS6detail15normal_iteratorINS9_10device_ptrIiEEEEPS5_jNS1_19radix_merge_compareILb0ELb0EiNS0_19identity_decomposerEEEEE10hipError_tT0_T1_T2_jT3_P12ihipStream_tbPNSt15iterator_traitsISK_E10value_typeEPNSQ_ISL_E10value_typeEPSM_NS1_7vsmem_tEENKUlT_SK_SL_SM_E_clISE_PiSF_SF_EESJ_SZ_SK_SL_SM_EUlSZ_E1_NS1_11comp_targetILNS1_3genE10ELNS1_11target_archE1201ELNS1_3gpuE5ELNS1_3repE0EEENS1_36merge_oddeven_config_static_selectorELNS0_4arch9wavefront6targetE1EEEvSL_,comdat
	.protected	_ZN7rocprim17ROCPRIM_400000_NS6detail17trampoline_kernelINS0_14default_configENS1_38merge_sort_block_merge_config_selectorIiNS0_10empty_typeEEEZZNS1_27merge_sort_block_merge_implIS3_N6thrust23THRUST_200600_302600_NS6detail15normal_iteratorINS9_10device_ptrIiEEEEPS5_jNS1_19radix_merge_compareILb0ELb0EiNS0_19identity_decomposerEEEEE10hipError_tT0_T1_T2_jT3_P12ihipStream_tbPNSt15iterator_traitsISK_E10value_typeEPNSQ_ISL_E10value_typeEPSM_NS1_7vsmem_tEENKUlT_SK_SL_SM_E_clISE_PiSF_SF_EESJ_SZ_SK_SL_SM_EUlSZ_E1_NS1_11comp_targetILNS1_3genE10ELNS1_11target_archE1201ELNS1_3gpuE5ELNS1_3repE0EEENS1_36merge_oddeven_config_static_selectorELNS0_4arch9wavefront6targetE1EEEvSL_ ; -- Begin function _ZN7rocprim17ROCPRIM_400000_NS6detail17trampoline_kernelINS0_14default_configENS1_38merge_sort_block_merge_config_selectorIiNS0_10empty_typeEEEZZNS1_27merge_sort_block_merge_implIS3_N6thrust23THRUST_200600_302600_NS6detail15normal_iteratorINS9_10device_ptrIiEEEEPS5_jNS1_19radix_merge_compareILb0ELb0EiNS0_19identity_decomposerEEEEE10hipError_tT0_T1_T2_jT3_P12ihipStream_tbPNSt15iterator_traitsISK_E10value_typeEPNSQ_ISL_E10value_typeEPSM_NS1_7vsmem_tEENKUlT_SK_SL_SM_E_clISE_PiSF_SF_EESJ_SZ_SK_SL_SM_EUlSZ_E1_NS1_11comp_targetILNS1_3genE10ELNS1_11target_archE1201ELNS1_3gpuE5ELNS1_3repE0EEENS1_36merge_oddeven_config_static_selectorELNS0_4arch9wavefront6targetE1EEEvSL_
	.globl	_ZN7rocprim17ROCPRIM_400000_NS6detail17trampoline_kernelINS0_14default_configENS1_38merge_sort_block_merge_config_selectorIiNS0_10empty_typeEEEZZNS1_27merge_sort_block_merge_implIS3_N6thrust23THRUST_200600_302600_NS6detail15normal_iteratorINS9_10device_ptrIiEEEEPS5_jNS1_19radix_merge_compareILb0ELb0EiNS0_19identity_decomposerEEEEE10hipError_tT0_T1_T2_jT3_P12ihipStream_tbPNSt15iterator_traitsISK_E10value_typeEPNSQ_ISL_E10value_typeEPSM_NS1_7vsmem_tEENKUlT_SK_SL_SM_E_clISE_PiSF_SF_EESJ_SZ_SK_SL_SM_EUlSZ_E1_NS1_11comp_targetILNS1_3genE10ELNS1_11target_archE1201ELNS1_3gpuE5ELNS1_3repE0EEENS1_36merge_oddeven_config_static_selectorELNS0_4arch9wavefront6targetE1EEEvSL_
	.p2align	8
	.type	_ZN7rocprim17ROCPRIM_400000_NS6detail17trampoline_kernelINS0_14default_configENS1_38merge_sort_block_merge_config_selectorIiNS0_10empty_typeEEEZZNS1_27merge_sort_block_merge_implIS3_N6thrust23THRUST_200600_302600_NS6detail15normal_iteratorINS9_10device_ptrIiEEEEPS5_jNS1_19radix_merge_compareILb0ELb0EiNS0_19identity_decomposerEEEEE10hipError_tT0_T1_T2_jT3_P12ihipStream_tbPNSt15iterator_traitsISK_E10value_typeEPNSQ_ISL_E10value_typeEPSM_NS1_7vsmem_tEENKUlT_SK_SL_SM_E_clISE_PiSF_SF_EESJ_SZ_SK_SL_SM_EUlSZ_E1_NS1_11comp_targetILNS1_3genE10ELNS1_11target_archE1201ELNS1_3gpuE5ELNS1_3repE0EEENS1_36merge_oddeven_config_static_selectorELNS0_4arch9wavefront6targetE1EEEvSL_,@function
_ZN7rocprim17ROCPRIM_400000_NS6detail17trampoline_kernelINS0_14default_configENS1_38merge_sort_block_merge_config_selectorIiNS0_10empty_typeEEEZZNS1_27merge_sort_block_merge_implIS3_N6thrust23THRUST_200600_302600_NS6detail15normal_iteratorINS9_10device_ptrIiEEEEPS5_jNS1_19radix_merge_compareILb0ELb0EiNS0_19identity_decomposerEEEEE10hipError_tT0_T1_T2_jT3_P12ihipStream_tbPNSt15iterator_traitsISK_E10value_typeEPNSQ_ISL_E10value_typeEPSM_NS1_7vsmem_tEENKUlT_SK_SL_SM_E_clISE_PiSF_SF_EESJ_SZ_SK_SL_SM_EUlSZ_E1_NS1_11comp_targetILNS1_3genE10ELNS1_11target_archE1201ELNS1_3gpuE5ELNS1_3repE0EEENS1_36merge_oddeven_config_static_selectorELNS0_4arch9wavefront6targetE1EEEvSL_: ; @_ZN7rocprim17ROCPRIM_400000_NS6detail17trampoline_kernelINS0_14default_configENS1_38merge_sort_block_merge_config_selectorIiNS0_10empty_typeEEEZZNS1_27merge_sort_block_merge_implIS3_N6thrust23THRUST_200600_302600_NS6detail15normal_iteratorINS9_10device_ptrIiEEEEPS5_jNS1_19radix_merge_compareILb0ELb0EiNS0_19identity_decomposerEEEEE10hipError_tT0_T1_T2_jT3_P12ihipStream_tbPNSt15iterator_traitsISK_E10value_typeEPNSQ_ISL_E10value_typeEPSM_NS1_7vsmem_tEENKUlT_SK_SL_SM_E_clISE_PiSF_SF_EESJ_SZ_SK_SL_SM_EUlSZ_E1_NS1_11comp_targetILNS1_3genE10ELNS1_11target_archE1201ELNS1_3gpuE5ELNS1_3repE0EEENS1_36merge_oddeven_config_static_selectorELNS0_4arch9wavefront6targetE1EEEvSL_
; %bb.0:
	.section	.rodata,"a",@progbits
	.p2align	6, 0x0
	.amdhsa_kernel _ZN7rocprim17ROCPRIM_400000_NS6detail17trampoline_kernelINS0_14default_configENS1_38merge_sort_block_merge_config_selectorIiNS0_10empty_typeEEEZZNS1_27merge_sort_block_merge_implIS3_N6thrust23THRUST_200600_302600_NS6detail15normal_iteratorINS9_10device_ptrIiEEEEPS5_jNS1_19radix_merge_compareILb0ELb0EiNS0_19identity_decomposerEEEEE10hipError_tT0_T1_T2_jT3_P12ihipStream_tbPNSt15iterator_traitsISK_E10value_typeEPNSQ_ISL_E10value_typeEPSM_NS1_7vsmem_tEENKUlT_SK_SL_SM_E_clISE_PiSF_SF_EESJ_SZ_SK_SL_SM_EUlSZ_E1_NS1_11comp_targetILNS1_3genE10ELNS1_11target_archE1201ELNS1_3gpuE5ELNS1_3repE0EEENS1_36merge_oddeven_config_static_selectorELNS0_4arch9wavefront6targetE1EEEvSL_
		.amdhsa_group_segment_fixed_size 0
		.amdhsa_private_segment_fixed_size 0
		.amdhsa_kernarg_size 48
		.amdhsa_user_sgpr_count 6
		.amdhsa_user_sgpr_private_segment_buffer 1
		.amdhsa_user_sgpr_dispatch_ptr 0
		.amdhsa_user_sgpr_queue_ptr 0
		.amdhsa_user_sgpr_kernarg_segment_ptr 1
		.amdhsa_user_sgpr_dispatch_id 0
		.amdhsa_user_sgpr_flat_scratch_init 0
		.amdhsa_user_sgpr_kernarg_preload_length 0
		.amdhsa_user_sgpr_kernarg_preload_offset 0
		.amdhsa_user_sgpr_private_segment_size 0
		.amdhsa_uses_dynamic_stack 0
		.amdhsa_system_sgpr_private_segment_wavefront_offset 0
		.amdhsa_system_sgpr_workgroup_id_x 1
		.amdhsa_system_sgpr_workgroup_id_y 0
		.amdhsa_system_sgpr_workgroup_id_z 0
		.amdhsa_system_sgpr_workgroup_info 0
		.amdhsa_system_vgpr_workitem_id 0
		.amdhsa_next_free_vgpr 1
		.amdhsa_next_free_sgpr 0
		.amdhsa_accum_offset 4
		.amdhsa_reserve_vcc 0
		.amdhsa_reserve_flat_scratch 0
		.amdhsa_float_round_mode_32 0
		.amdhsa_float_round_mode_16_64 0
		.amdhsa_float_denorm_mode_32 3
		.amdhsa_float_denorm_mode_16_64 3
		.amdhsa_dx10_clamp 1
		.amdhsa_ieee_mode 1
		.amdhsa_fp16_overflow 0
		.amdhsa_tg_split 0
		.amdhsa_exception_fp_ieee_invalid_op 0
		.amdhsa_exception_fp_denorm_src 0
		.amdhsa_exception_fp_ieee_div_zero 0
		.amdhsa_exception_fp_ieee_overflow 0
		.amdhsa_exception_fp_ieee_underflow 0
		.amdhsa_exception_fp_ieee_inexact 0
		.amdhsa_exception_int_div_zero 0
	.end_amdhsa_kernel
	.section	.text._ZN7rocprim17ROCPRIM_400000_NS6detail17trampoline_kernelINS0_14default_configENS1_38merge_sort_block_merge_config_selectorIiNS0_10empty_typeEEEZZNS1_27merge_sort_block_merge_implIS3_N6thrust23THRUST_200600_302600_NS6detail15normal_iteratorINS9_10device_ptrIiEEEEPS5_jNS1_19radix_merge_compareILb0ELb0EiNS0_19identity_decomposerEEEEE10hipError_tT0_T1_T2_jT3_P12ihipStream_tbPNSt15iterator_traitsISK_E10value_typeEPNSQ_ISL_E10value_typeEPSM_NS1_7vsmem_tEENKUlT_SK_SL_SM_E_clISE_PiSF_SF_EESJ_SZ_SK_SL_SM_EUlSZ_E1_NS1_11comp_targetILNS1_3genE10ELNS1_11target_archE1201ELNS1_3gpuE5ELNS1_3repE0EEENS1_36merge_oddeven_config_static_selectorELNS0_4arch9wavefront6targetE1EEEvSL_,"axG",@progbits,_ZN7rocprim17ROCPRIM_400000_NS6detail17trampoline_kernelINS0_14default_configENS1_38merge_sort_block_merge_config_selectorIiNS0_10empty_typeEEEZZNS1_27merge_sort_block_merge_implIS3_N6thrust23THRUST_200600_302600_NS6detail15normal_iteratorINS9_10device_ptrIiEEEEPS5_jNS1_19radix_merge_compareILb0ELb0EiNS0_19identity_decomposerEEEEE10hipError_tT0_T1_T2_jT3_P12ihipStream_tbPNSt15iterator_traitsISK_E10value_typeEPNSQ_ISL_E10value_typeEPSM_NS1_7vsmem_tEENKUlT_SK_SL_SM_E_clISE_PiSF_SF_EESJ_SZ_SK_SL_SM_EUlSZ_E1_NS1_11comp_targetILNS1_3genE10ELNS1_11target_archE1201ELNS1_3gpuE5ELNS1_3repE0EEENS1_36merge_oddeven_config_static_selectorELNS0_4arch9wavefront6targetE1EEEvSL_,comdat
.Lfunc_end1655:
	.size	_ZN7rocprim17ROCPRIM_400000_NS6detail17trampoline_kernelINS0_14default_configENS1_38merge_sort_block_merge_config_selectorIiNS0_10empty_typeEEEZZNS1_27merge_sort_block_merge_implIS3_N6thrust23THRUST_200600_302600_NS6detail15normal_iteratorINS9_10device_ptrIiEEEEPS5_jNS1_19radix_merge_compareILb0ELb0EiNS0_19identity_decomposerEEEEE10hipError_tT0_T1_T2_jT3_P12ihipStream_tbPNSt15iterator_traitsISK_E10value_typeEPNSQ_ISL_E10value_typeEPSM_NS1_7vsmem_tEENKUlT_SK_SL_SM_E_clISE_PiSF_SF_EESJ_SZ_SK_SL_SM_EUlSZ_E1_NS1_11comp_targetILNS1_3genE10ELNS1_11target_archE1201ELNS1_3gpuE5ELNS1_3repE0EEENS1_36merge_oddeven_config_static_selectorELNS0_4arch9wavefront6targetE1EEEvSL_, .Lfunc_end1655-_ZN7rocprim17ROCPRIM_400000_NS6detail17trampoline_kernelINS0_14default_configENS1_38merge_sort_block_merge_config_selectorIiNS0_10empty_typeEEEZZNS1_27merge_sort_block_merge_implIS3_N6thrust23THRUST_200600_302600_NS6detail15normal_iteratorINS9_10device_ptrIiEEEEPS5_jNS1_19radix_merge_compareILb0ELb0EiNS0_19identity_decomposerEEEEE10hipError_tT0_T1_T2_jT3_P12ihipStream_tbPNSt15iterator_traitsISK_E10value_typeEPNSQ_ISL_E10value_typeEPSM_NS1_7vsmem_tEENKUlT_SK_SL_SM_E_clISE_PiSF_SF_EESJ_SZ_SK_SL_SM_EUlSZ_E1_NS1_11comp_targetILNS1_3genE10ELNS1_11target_archE1201ELNS1_3gpuE5ELNS1_3repE0EEENS1_36merge_oddeven_config_static_selectorELNS0_4arch9wavefront6targetE1EEEvSL_
                                        ; -- End function
	.section	.AMDGPU.csdata,"",@progbits
; Kernel info:
; codeLenInByte = 0
; NumSgprs: 4
; NumVgprs: 0
; NumAgprs: 0
; TotalNumVgprs: 0
; ScratchSize: 0
; MemoryBound: 0
; FloatMode: 240
; IeeeMode: 1
; LDSByteSize: 0 bytes/workgroup (compile time only)
; SGPRBlocks: 0
; VGPRBlocks: 0
; NumSGPRsForWavesPerEU: 4
; NumVGPRsForWavesPerEU: 1
; AccumOffset: 4
; Occupancy: 8
; WaveLimiterHint : 0
; COMPUTE_PGM_RSRC2:SCRATCH_EN: 0
; COMPUTE_PGM_RSRC2:USER_SGPR: 6
; COMPUTE_PGM_RSRC2:TRAP_HANDLER: 0
; COMPUTE_PGM_RSRC2:TGID_X_EN: 1
; COMPUTE_PGM_RSRC2:TGID_Y_EN: 0
; COMPUTE_PGM_RSRC2:TGID_Z_EN: 0
; COMPUTE_PGM_RSRC2:TIDIG_COMP_CNT: 0
; COMPUTE_PGM_RSRC3_GFX90A:ACCUM_OFFSET: 0
; COMPUTE_PGM_RSRC3_GFX90A:TG_SPLIT: 0
	.section	.text._ZN7rocprim17ROCPRIM_400000_NS6detail17trampoline_kernelINS0_14default_configENS1_38merge_sort_block_merge_config_selectorIiNS0_10empty_typeEEEZZNS1_27merge_sort_block_merge_implIS3_N6thrust23THRUST_200600_302600_NS6detail15normal_iteratorINS9_10device_ptrIiEEEEPS5_jNS1_19radix_merge_compareILb0ELb0EiNS0_19identity_decomposerEEEEE10hipError_tT0_T1_T2_jT3_P12ihipStream_tbPNSt15iterator_traitsISK_E10value_typeEPNSQ_ISL_E10value_typeEPSM_NS1_7vsmem_tEENKUlT_SK_SL_SM_E_clISE_PiSF_SF_EESJ_SZ_SK_SL_SM_EUlSZ_E1_NS1_11comp_targetILNS1_3genE5ELNS1_11target_archE942ELNS1_3gpuE9ELNS1_3repE0EEENS1_36merge_oddeven_config_static_selectorELNS0_4arch9wavefront6targetE1EEEvSL_,"axG",@progbits,_ZN7rocprim17ROCPRIM_400000_NS6detail17trampoline_kernelINS0_14default_configENS1_38merge_sort_block_merge_config_selectorIiNS0_10empty_typeEEEZZNS1_27merge_sort_block_merge_implIS3_N6thrust23THRUST_200600_302600_NS6detail15normal_iteratorINS9_10device_ptrIiEEEEPS5_jNS1_19radix_merge_compareILb0ELb0EiNS0_19identity_decomposerEEEEE10hipError_tT0_T1_T2_jT3_P12ihipStream_tbPNSt15iterator_traitsISK_E10value_typeEPNSQ_ISL_E10value_typeEPSM_NS1_7vsmem_tEENKUlT_SK_SL_SM_E_clISE_PiSF_SF_EESJ_SZ_SK_SL_SM_EUlSZ_E1_NS1_11comp_targetILNS1_3genE5ELNS1_11target_archE942ELNS1_3gpuE9ELNS1_3repE0EEENS1_36merge_oddeven_config_static_selectorELNS0_4arch9wavefront6targetE1EEEvSL_,comdat
	.protected	_ZN7rocprim17ROCPRIM_400000_NS6detail17trampoline_kernelINS0_14default_configENS1_38merge_sort_block_merge_config_selectorIiNS0_10empty_typeEEEZZNS1_27merge_sort_block_merge_implIS3_N6thrust23THRUST_200600_302600_NS6detail15normal_iteratorINS9_10device_ptrIiEEEEPS5_jNS1_19radix_merge_compareILb0ELb0EiNS0_19identity_decomposerEEEEE10hipError_tT0_T1_T2_jT3_P12ihipStream_tbPNSt15iterator_traitsISK_E10value_typeEPNSQ_ISL_E10value_typeEPSM_NS1_7vsmem_tEENKUlT_SK_SL_SM_E_clISE_PiSF_SF_EESJ_SZ_SK_SL_SM_EUlSZ_E1_NS1_11comp_targetILNS1_3genE5ELNS1_11target_archE942ELNS1_3gpuE9ELNS1_3repE0EEENS1_36merge_oddeven_config_static_selectorELNS0_4arch9wavefront6targetE1EEEvSL_ ; -- Begin function _ZN7rocprim17ROCPRIM_400000_NS6detail17trampoline_kernelINS0_14default_configENS1_38merge_sort_block_merge_config_selectorIiNS0_10empty_typeEEEZZNS1_27merge_sort_block_merge_implIS3_N6thrust23THRUST_200600_302600_NS6detail15normal_iteratorINS9_10device_ptrIiEEEEPS5_jNS1_19radix_merge_compareILb0ELb0EiNS0_19identity_decomposerEEEEE10hipError_tT0_T1_T2_jT3_P12ihipStream_tbPNSt15iterator_traitsISK_E10value_typeEPNSQ_ISL_E10value_typeEPSM_NS1_7vsmem_tEENKUlT_SK_SL_SM_E_clISE_PiSF_SF_EESJ_SZ_SK_SL_SM_EUlSZ_E1_NS1_11comp_targetILNS1_3genE5ELNS1_11target_archE942ELNS1_3gpuE9ELNS1_3repE0EEENS1_36merge_oddeven_config_static_selectorELNS0_4arch9wavefront6targetE1EEEvSL_
	.globl	_ZN7rocprim17ROCPRIM_400000_NS6detail17trampoline_kernelINS0_14default_configENS1_38merge_sort_block_merge_config_selectorIiNS0_10empty_typeEEEZZNS1_27merge_sort_block_merge_implIS3_N6thrust23THRUST_200600_302600_NS6detail15normal_iteratorINS9_10device_ptrIiEEEEPS5_jNS1_19radix_merge_compareILb0ELb0EiNS0_19identity_decomposerEEEEE10hipError_tT0_T1_T2_jT3_P12ihipStream_tbPNSt15iterator_traitsISK_E10value_typeEPNSQ_ISL_E10value_typeEPSM_NS1_7vsmem_tEENKUlT_SK_SL_SM_E_clISE_PiSF_SF_EESJ_SZ_SK_SL_SM_EUlSZ_E1_NS1_11comp_targetILNS1_3genE5ELNS1_11target_archE942ELNS1_3gpuE9ELNS1_3repE0EEENS1_36merge_oddeven_config_static_selectorELNS0_4arch9wavefront6targetE1EEEvSL_
	.p2align	8
	.type	_ZN7rocprim17ROCPRIM_400000_NS6detail17trampoline_kernelINS0_14default_configENS1_38merge_sort_block_merge_config_selectorIiNS0_10empty_typeEEEZZNS1_27merge_sort_block_merge_implIS3_N6thrust23THRUST_200600_302600_NS6detail15normal_iteratorINS9_10device_ptrIiEEEEPS5_jNS1_19radix_merge_compareILb0ELb0EiNS0_19identity_decomposerEEEEE10hipError_tT0_T1_T2_jT3_P12ihipStream_tbPNSt15iterator_traitsISK_E10value_typeEPNSQ_ISL_E10value_typeEPSM_NS1_7vsmem_tEENKUlT_SK_SL_SM_E_clISE_PiSF_SF_EESJ_SZ_SK_SL_SM_EUlSZ_E1_NS1_11comp_targetILNS1_3genE5ELNS1_11target_archE942ELNS1_3gpuE9ELNS1_3repE0EEENS1_36merge_oddeven_config_static_selectorELNS0_4arch9wavefront6targetE1EEEvSL_,@function
_ZN7rocprim17ROCPRIM_400000_NS6detail17trampoline_kernelINS0_14default_configENS1_38merge_sort_block_merge_config_selectorIiNS0_10empty_typeEEEZZNS1_27merge_sort_block_merge_implIS3_N6thrust23THRUST_200600_302600_NS6detail15normal_iteratorINS9_10device_ptrIiEEEEPS5_jNS1_19radix_merge_compareILb0ELb0EiNS0_19identity_decomposerEEEEE10hipError_tT0_T1_T2_jT3_P12ihipStream_tbPNSt15iterator_traitsISK_E10value_typeEPNSQ_ISL_E10value_typeEPSM_NS1_7vsmem_tEENKUlT_SK_SL_SM_E_clISE_PiSF_SF_EESJ_SZ_SK_SL_SM_EUlSZ_E1_NS1_11comp_targetILNS1_3genE5ELNS1_11target_archE942ELNS1_3gpuE9ELNS1_3repE0EEENS1_36merge_oddeven_config_static_selectorELNS0_4arch9wavefront6targetE1EEEvSL_: ; @_ZN7rocprim17ROCPRIM_400000_NS6detail17trampoline_kernelINS0_14default_configENS1_38merge_sort_block_merge_config_selectorIiNS0_10empty_typeEEEZZNS1_27merge_sort_block_merge_implIS3_N6thrust23THRUST_200600_302600_NS6detail15normal_iteratorINS9_10device_ptrIiEEEEPS5_jNS1_19radix_merge_compareILb0ELb0EiNS0_19identity_decomposerEEEEE10hipError_tT0_T1_T2_jT3_P12ihipStream_tbPNSt15iterator_traitsISK_E10value_typeEPNSQ_ISL_E10value_typeEPSM_NS1_7vsmem_tEENKUlT_SK_SL_SM_E_clISE_PiSF_SF_EESJ_SZ_SK_SL_SM_EUlSZ_E1_NS1_11comp_targetILNS1_3genE5ELNS1_11target_archE942ELNS1_3gpuE9ELNS1_3repE0EEENS1_36merge_oddeven_config_static_selectorELNS0_4arch9wavefront6targetE1EEEvSL_
; %bb.0:
	.section	.rodata,"a",@progbits
	.p2align	6, 0x0
	.amdhsa_kernel _ZN7rocprim17ROCPRIM_400000_NS6detail17trampoline_kernelINS0_14default_configENS1_38merge_sort_block_merge_config_selectorIiNS0_10empty_typeEEEZZNS1_27merge_sort_block_merge_implIS3_N6thrust23THRUST_200600_302600_NS6detail15normal_iteratorINS9_10device_ptrIiEEEEPS5_jNS1_19radix_merge_compareILb0ELb0EiNS0_19identity_decomposerEEEEE10hipError_tT0_T1_T2_jT3_P12ihipStream_tbPNSt15iterator_traitsISK_E10value_typeEPNSQ_ISL_E10value_typeEPSM_NS1_7vsmem_tEENKUlT_SK_SL_SM_E_clISE_PiSF_SF_EESJ_SZ_SK_SL_SM_EUlSZ_E1_NS1_11comp_targetILNS1_3genE5ELNS1_11target_archE942ELNS1_3gpuE9ELNS1_3repE0EEENS1_36merge_oddeven_config_static_selectorELNS0_4arch9wavefront6targetE1EEEvSL_
		.amdhsa_group_segment_fixed_size 0
		.amdhsa_private_segment_fixed_size 0
		.amdhsa_kernarg_size 48
		.amdhsa_user_sgpr_count 6
		.amdhsa_user_sgpr_private_segment_buffer 1
		.amdhsa_user_sgpr_dispatch_ptr 0
		.amdhsa_user_sgpr_queue_ptr 0
		.amdhsa_user_sgpr_kernarg_segment_ptr 1
		.amdhsa_user_sgpr_dispatch_id 0
		.amdhsa_user_sgpr_flat_scratch_init 0
		.amdhsa_user_sgpr_kernarg_preload_length 0
		.amdhsa_user_sgpr_kernarg_preload_offset 0
		.amdhsa_user_sgpr_private_segment_size 0
		.amdhsa_uses_dynamic_stack 0
		.amdhsa_system_sgpr_private_segment_wavefront_offset 0
		.amdhsa_system_sgpr_workgroup_id_x 1
		.amdhsa_system_sgpr_workgroup_id_y 0
		.amdhsa_system_sgpr_workgroup_id_z 0
		.amdhsa_system_sgpr_workgroup_info 0
		.amdhsa_system_vgpr_workitem_id 0
		.amdhsa_next_free_vgpr 1
		.amdhsa_next_free_sgpr 0
		.amdhsa_accum_offset 4
		.amdhsa_reserve_vcc 0
		.amdhsa_reserve_flat_scratch 0
		.amdhsa_float_round_mode_32 0
		.amdhsa_float_round_mode_16_64 0
		.amdhsa_float_denorm_mode_32 3
		.amdhsa_float_denorm_mode_16_64 3
		.amdhsa_dx10_clamp 1
		.amdhsa_ieee_mode 1
		.amdhsa_fp16_overflow 0
		.amdhsa_tg_split 0
		.amdhsa_exception_fp_ieee_invalid_op 0
		.amdhsa_exception_fp_denorm_src 0
		.amdhsa_exception_fp_ieee_div_zero 0
		.amdhsa_exception_fp_ieee_overflow 0
		.amdhsa_exception_fp_ieee_underflow 0
		.amdhsa_exception_fp_ieee_inexact 0
		.amdhsa_exception_int_div_zero 0
	.end_amdhsa_kernel
	.section	.text._ZN7rocprim17ROCPRIM_400000_NS6detail17trampoline_kernelINS0_14default_configENS1_38merge_sort_block_merge_config_selectorIiNS0_10empty_typeEEEZZNS1_27merge_sort_block_merge_implIS3_N6thrust23THRUST_200600_302600_NS6detail15normal_iteratorINS9_10device_ptrIiEEEEPS5_jNS1_19radix_merge_compareILb0ELb0EiNS0_19identity_decomposerEEEEE10hipError_tT0_T1_T2_jT3_P12ihipStream_tbPNSt15iterator_traitsISK_E10value_typeEPNSQ_ISL_E10value_typeEPSM_NS1_7vsmem_tEENKUlT_SK_SL_SM_E_clISE_PiSF_SF_EESJ_SZ_SK_SL_SM_EUlSZ_E1_NS1_11comp_targetILNS1_3genE5ELNS1_11target_archE942ELNS1_3gpuE9ELNS1_3repE0EEENS1_36merge_oddeven_config_static_selectorELNS0_4arch9wavefront6targetE1EEEvSL_,"axG",@progbits,_ZN7rocprim17ROCPRIM_400000_NS6detail17trampoline_kernelINS0_14default_configENS1_38merge_sort_block_merge_config_selectorIiNS0_10empty_typeEEEZZNS1_27merge_sort_block_merge_implIS3_N6thrust23THRUST_200600_302600_NS6detail15normal_iteratorINS9_10device_ptrIiEEEEPS5_jNS1_19radix_merge_compareILb0ELb0EiNS0_19identity_decomposerEEEEE10hipError_tT0_T1_T2_jT3_P12ihipStream_tbPNSt15iterator_traitsISK_E10value_typeEPNSQ_ISL_E10value_typeEPSM_NS1_7vsmem_tEENKUlT_SK_SL_SM_E_clISE_PiSF_SF_EESJ_SZ_SK_SL_SM_EUlSZ_E1_NS1_11comp_targetILNS1_3genE5ELNS1_11target_archE942ELNS1_3gpuE9ELNS1_3repE0EEENS1_36merge_oddeven_config_static_selectorELNS0_4arch9wavefront6targetE1EEEvSL_,comdat
.Lfunc_end1656:
	.size	_ZN7rocprim17ROCPRIM_400000_NS6detail17trampoline_kernelINS0_14default_configENS1_38merge_sort_block_merge_config_selectorIiNS0_10empty_typeEEEZZNS1_27merge_sort_block_merge_implIS3_N6thrust23THRUST_200600_302600_NS6detail15normal_iteratorINS9_10device_ptrIiEEEEPS5_jNS1_19radix_merge_compareILb0ELb0EiNS0_19identity_decomposerEEEEE10hipError_tT0_T1_T2_jT3_P12ihipStream_tbPNSt15iterator_traitsISK_E10value_typeEPNSQ_ISL_E10value_typeEPSM_NS1_7vsmem_tEENKUlT_SK_SL_SM_E_clISE_PiSF_SF_EESJ_SZ_SK_SL_SM_EUlSZ_E1_NS1_11comp_targetILNS1_3genE5ELNS1_11target_archE942ELNS1_3gpuE9ELNS1_3repE0EEENS1_36merge_oddeven_config_static_selectorELNS0_4arch9wavefront6targetE1EEEvSL_, .Lfunc_end1656-_ZN7rocprim17ROCPRIM_400000_NS6detail17trampoline_kernelINS0_14default_configENS1_38merge_sort_block_merge_config_selectorIiNS0_10empty_typeEEEZZNS1_27merge_sort_block_merge_implIS3_N6thrust23THRUST_200600_302600_NS6detail15normal_iteratorINS9_10device_ptrIiEEEEPS5_jNS1_19radix_merge_compareILb0ELb0EiNS0_19identity_decomposerEEEEE10hipError_tT0_T1_T2_jT3_P12ihipStream_tbPNSt15iterator_traitsISK_E10value_typeEPNSQ_ISL_E10value_typeEPSM_NS1_7vsmem_tEENKUlT_SK_SL_SM_E_clISE_PiSF_SF_EESJ_SZ_SK_SL_SM_EUlSZ_E1_NS1_11comp_targetILNS1_3genE5ELNS1_11target_archE942ELNS1_3gpuE9ELNS1_3repE0EEENS1_36merge_oddeven_config_static_selectorELNS0_4arch9wavefront6targetE1EEEvSL_
                                        ; -- End function
	.section	.AMDGPU.csdata,"",@progbits
; Kernel info:
; codeLenInByte = 0
; NumSgprs: 4
; NumVgprs: 0
; NumAgprs: 0
; TotalNumVgprs: 0
; ScratchSize: 0
; MemoryBound: 0
; FloatMode: 240
; IeeeMode: 1
; LDSByteSize: 0 bytes/workgroup (compile time only)
; SGPRBlocks: 0
; VGPRBlocks: 0
; NumSGPRsForWavesPerEU: 4
; NumVGPRsForWavesPerEU: 1
; AccumOffset: 4
; Occupancy: 8
; WaveLimiterHint : 0
; COMPUTE_PGM_RSRC2:SCRATCH_EN: 0
; COMPUTE_PGM_RSRC2:USER_SGPR: 6
; COMPUTE_PGM_RSRC2:TRAP_HANDLER: 0
; COMPUTE_PGM_RSRC2:TGID_X_EN: 1
; COMPUTE_PGM_RSRC2:TGID_Y_EN: 0
; COMPUTE_PGM_RSRC2:TGID_Z_EN: 0
; COMPUTE_PGM_RSRC2:TIDIG_COMP_CNT: 0
; COMPUTE_PGM_RSRC3_GFX90A:ACCUM_OFFSET: 0
; COMPUTE_PGM_RSRC3_GFX90A:TG_SPLIT: 0
	.section	.text._ZN7rocprim17ROCPRIM_400000_NS6detail17trampoline_kernelINS0_14default_configENS1_38merge_sort_block_merge_config_selectorIiNS0_10empty_typeEEEZZNS1_27merge_sort_block_merge_implIS3_N6thrust23THRUST_200600_302600_NS6detail15normal_iteratorINS9_10device_ptrIiEEEEPS5_jNS1_19radix_merge_compareILb0ELb0EiNS0_19identity_decomposerEEEEE10hipError_tT0_T1_T2_jT3_P12ihipStream_tbPNSt15iterator_traitsISK_E10value_typeEPNSQ_ISL_E10value_typeEPSM_NS1_7vsmem_tEENKUlT_SK_SL_SM_E_clISE_PiSF_SF_EESJ_SZ_SK_SL_SM_EUlSZ_E1_NS1_11comp_targetILNS1_3genE4ELNS1_11target_archE910ELNS1_3gpuE8ELNS1_3repE0EEENS1_36merge_oddeven_config_static_selectorELNS0_4arch9wavefront6targetE1EEEvSL_,"axG",@progbits,_ZN7rocprim17ROCPRIM_400000_NS6detail17trampoline_kernelINS0_14default_configENS1_38merge_sort_block_merge_config_selectorIiNS0_10empty_typeEEEZZNS1_27merge_sort_block_merge_implIS3_N6thrust23THRUST_200600_302600_NS6detail15normal_iteratorINS9_10device_ptrIiEEEEPS5_jNS1_19radix_merge_compareILb0ELb0EiNS0_19identity_decomposerEEEEE10hipError_tT0_T1_T2_jT3_P12ihipStream_tbPNSt15iterator_traitsISK_E10value_typeEPNSQ_ISL_E10value_typeEPSM_NS1_7vsmem_tEENKUlT_SK_SL_SM_E_clISE_PiSF_SF_EESJ_SZ_SK_SL_SM_EUlSZ_E1_NS1_11comp_targetILNS1_3genE4ELNS1_11target_archE910ELNS1_3gpuE8ELNS1_3repE0EEENS1_36merge_oddeven_config_static_selectorELNS0_4arch9wavefront6targetE1EEEvSL_,comdat
	.protected	_ZN7rocprim17ROCPRIM_400000_NS6detail17trampoline_kernelINS0_14default_configENS1_38merge_sort_block_merge_config_selectorIiNS0_10empty_typeEEEZZNS1_27merge_sort_block_merge_implIS3_N6thrust23THRUST_200600_302600_NS6detail15normal_iteratorINS9_10device_ptrIiEEEEPS5_jNS1_19radix_merge_compareILb0ELb0EiNS0_19identity_decomposerEEEEE10hipError_tT0_T1_T2_jT3_P12ihipStream_tbPNSt15iterator_traitsISK_E10value_typeEPNSQ_ISL_E10value_typeEPSM_NS1_7vsmem_tEENKUlT_SK_SL_SM_E_clISE_PiSF_SF_EESJ_SZ_SK_SL_SM_EUlSZ_E1_NS1_11comp_targetILNS1_3genE4ELNS1_11target_archE910ELNS1_3gpuE8ELNS1_3repE0EEENS1_36merge_oddeven_config_static_selectorELNS0_4arch9wavefront6targetE1EEEvSL_ ; -- Begin function _ZN7rocprim17ROCPRIM_400000_NS6detail17trampoline_kernelINS0_14default_configENS1_38merge_sort_block_merge_config_selectorIiNS0_10empty_typeEEEZZNS1_27merge_sort_block_merge_implIS3_N6thrust23THRUST_200600_302600_NS6detail15normal_iteratorINS9_10device_ptrIiEEEEPS5_jNS1_19radix_merge_compareILb0ELb0EiNS0_19identity_decomposerEEEEE10hipError_tT0_T1_T2_jT3_P12ihipStream_tbPNSt15iterator_traitsISK_E10value_typeEPNSQ_ISL_E10value_typeEPSM_NS1_7vsmem_tEENKUlT_SK_SL_SM_E_clISE_PiSF_SF_EESJ_SZ_SK_SL_SM_EUlSZ_E1_NS1_11comp_targetILNS1_3genE4ELNS1_11target_archE910ELNS1_3gpuE8ELNS1_3repE0EEENS1_36merge_oddeven_config_static_selectorELNS0_4arch9wavefront6targetE1EEEvSL_
	.globl	_ZN7rocprim17ROCPRIM_400000_NS6detail17trampoline_kernelINS0_14default_configENS1_38merge_sort_block_merge_config_selectorIiNS0_10empty_typeEEEZZNS1_27merge_sort_block_merge_implIS3_N6thrust23THRUST_200600_302600_NS6detail15normal_iteratorINS9_10device_ptrIiEEEEPS5_jNS1_19radix_merge_compareILb0ELb0EiNS0_19identity_decomposerEEEEE10hipError_tT0_T1_T2_jT3_P12ihipStream_tbPNSt15iterator_traitsISK_E10value_typeEPNSQ_ISL_E10value_typeEPSM_NS1_7vsmem_tEENKUlT_SK_SL_SM_E_clISE_PiSF_SF_EESJ_SZ_SK_SL_SM_EUlSZ_E1_NS1_11comp_targetILNS1_3genE4ELNS1_11target_archE910ELNS1_3gpuE8ELNS1_3repE0EEENS1_36merge_oddeven_config_static_selectorELNS0_4arch9wavefront6targetE1EEEvSL_
	.p2align	8
	.type	_ZN7rocprim17ROCPRIM_400000_NS6detail17trampoline_kernelINS0_14default_configENS1_38merge_sort_block_merge_config_selectorIiNS0_10empty_typeEEEZZNS1_27merge_sort_block_merge_implIS3_N6thrust23THRUST_200600_302600_NS6detail15normal_iteratorINS9_10device_ptrIiEEEEPS5_jNS1_19radix_merge_compareILb0ELb0EiNS0_19identity_decomposerEEEEE10hipError_tT0_T1_T2_jT3_P12ihipStream_tbPNSt15iterator_traitsISK_E10value_typeEPNSQ_ISL_E10value_typeEPSM_NS1_7vsmem_tEENKUlT_SK_SL_SM_E_clISE_PiSF_SF_EESJ_SZ_SK_SL_SM_EUlSZ_E1_NS1_11comp_targetILNS1_3genE4ELNS1_11target_archE910ELNS1_3gpuE8ELNS1_3repE0EEENS1_36merge_oddeven_config_static_selectorELNS0_4arch9wavefront6targetE1EEEvSL_,@function
_ZN7rocprim17ROCPRIM_400000_NS6detail17trampoline_kernelINS0_14default_configENS1_38merge_sort_block_merge_config_selectorIiNS0_10empty_typeEEEZZNS1_27merge_sort_block_merge_implIS3_N6thrust23THRUST_200600_302600_NS6detail15normal_iteratorINS9_10device_ptrIiEEEEPS5_jNS1_19radix_merge_compareILb0ELb0EiNS0_19identity_decomposerEEEEE10hipError_tT0_T1_T2_jT3_P12ihipStream_tbPNSt15iterator_traitsISK_E10value_typeEPNSQ_ISL_E10value_typeEPSM_NS1_7vsmem_tEENKUlT_SK_SL_SM_E_clISE_PiSF_SF_EESJ_SZ_SK_SL_SM_EUlSZ_E1_NS1_11comp_targetILNS1_3genE4ELNS1_11target_archE910ELNS1_3gpuE8ELNS1_3repE0EEENS1_36merge_oddeven_config_static_selectorELNS0_4arch9wavefront6targetE1EEEvSL_: ; @_ZN7rocprim17ROCPRIM_400000_NS6detail17trampoline_kernelINS0_14default_configENS1_38merge_sort_block_merge_config_selectorIiNS0_10empty_typeEEEZZNS1_27merge_sort_block_merge_implIS3_N6thrust23THRUST_200600_302600_NS6detail15normal_iteratorINS9_10device_ptrIiEEEEPS5_jNS1_19radix_merge_compareILb0ELb0EiNS0_19identity_decomposerEEEEE10hipError_tT0_T1_T2_jT3_P12ihipStream_tbPNSt15iterator_traitsISK_E10value_typeEPNSQ_ISL_E10value_typeEPSM_NS1_7vsmem_tEENKUlT_SK_SL_SM_E_clISE_PiSF_SF_EESJ_SZ_SK_SL_SM_EUlSZ_E1_NS1_11comp_targetILNS1_3genE4ELNS1_11target_archE910ELNS1_3gpuE8ELNS1_3repE0EEENS1_36merge_oddeven_config_static_selectorELNS0_4arch9wavefront6targetE1EEEvSL_
; %bb.0:
	s_load_dword s18, s[4:5], 0x20
	s_waitcnt lgkmcnt(0)
	s_lshr_b32 s0, s18, 8
	s_cmp_lg_u32 s6, s0
	s_cselect_b64 s[14:15], -1, 0
	s_cmp_eq_u32 s6, s0
	s_cselect_b64 s[12:13], -1, 0
	s_lshl_b32 s16, s6, 8
	s_sub_i32 s0, s18, s16
	v_cmp_gt_u32_e64 s[2:3], s0, v0
	s_or_b64 s[0:1], s[14:15], s[2:3]
	s_and_saveexec_b64 s[8:9], s[0:1]
	s_cbranch_execz .LBB1657_20
; %bb.1:
	s_load_dwordx4 s[8:11], s[4:5], 0x0
	s_load_dword s19, s[4:5], 0x24
	s_mov_b32 s17, 0
	s_lshl_b64 s[0:1], s[16:17], 2
	v_lshlrev_b32_e32 v1, 2, v0
	s_waitcnt lgkmcnt(0)
	s_add_u32 s0, s8, s0
	s_addc_u32 s1, s9, s1
	global_load_dword v2, v1, s[0:1]
	s_lshr_b32 s0, s19, 8
	s_sub_i32 s1, 0, s0
	s_and_b32 s1, s6, s1
	s_and_b32 s0, s1, s0
	s_lshl_b32 s20, s1, 8
	s_sub_i32 s6, 0, s19
	s_cmp_eq_u32 s0, 0
	s_cselect_b64 s[0:1], -1, 0
	s_and_b64 s[4:5], s[0:1], exec
	s_cselect_b32 s17, s19, s6
	s_add_i32 s17, s17, s20
	s_cmp_lt_u32 s17, s18
	v_add_u32_e32 v0, s16, v0
	s_cbranch_scc1 .LBB1657_3
; %bb.2:
	v_cmp_gt_u32_e32 vcc, s18, v0
	s_or_b64 s[4:5], vcc, s[14:15]
	s_and_b64 s[4:5], s[4:5], exec
	s_cbranch_execz .LBB1657_4
	s_branch .LBB1657_18
.LBB1657_3:
	s_mov_b64 s[4:5], 0
.LBB1657_4:
	s_min_u32 s14, s17, s18
	s_add_i32 s6, s14, s19
	s_min_u32 s15, s6, s18
	s_min_u32 s6, s20, s14
	s_add_i32 s20, s20, s14
	v_subrev_u32_e32 v0, s20, v0
	v_add_u32_e32 v3, s6, v0
	s_and_b64 vcc, exec, s[12:13]
	s_cbranch_vccz .LBB1657_12
; %bb.5:
                                        ; implicit-def: $vgpr0
	s_and_saveexec_b64 s[6:7], s[2:3]
	s_cbranch_execz .LBB1657_11
; %bb.6:
	s_cmp_ge_u32 s17, s15
	v_mov_b32_e32 v4, s14
	s_cbranch_scc1 .LBB1657_10
; %bb.7:
	s_mov_b64 s[2:3], 0
	v_mov_b32_e32 v5, s15
	v_mov_b32_e32 v4, s14
	v_mov_b32_e32 v1, 0
	v_mov_b32_e32 v6, s9
.LBB1657_8:                             ; =>This Inner Loop Header: Depth=1
	v_add_u32_e32 v0, v4, v5
	v_lshrrev_b32_e32 v0, 1, v0
	v_lshlrev_b64 v[8:9], 2, v[0:1]
	v_add_co_u32_e32 v8, vcc, s8, v8
	v_addc_co_u32_e32 v9, vcc, v6, v9, vcc
	global_load_dword v7, v[8:9], off
	v_add_u32_e32 v8, 1, v0
	s_waitcnt vmcnt(0)
	v_cmp_gt_i32_e32 vcc, v2, v7
	v_cndmask_b32_e64 v9, 0, 1, vcc
	v_cmp_le_i32_e32 vcc, v7, v2
	v_cndmask_b32_e64 v7, 0, 1, vcc
	v_cndmask_b32_e64 v7, v7, v9, s[0:1]
	v_and_b32_e32 v7, 1, v7
	v_cmp_eq_u32_e32 vcc, 1, v7
	v_cndmask_b32_e32 v5, v0, v5, vcc
	v_cndmask_b32_e32 v4, v4, v8, vcc
	v_cmp_ge_u32_e32 vcc, v4, v5
	s_or_b64 s[2:3], vcc, s[2:3]
	s_andn2_b64 exec, exec, s[2:3]
	s_cbranch_execnz .LBB1657_8
; %bb.9:
	s_or_b64 exec, exec, s[2:3]
.LBB1657_10:
	v_add_u32_e32 v0, v4, v3
	s_or_b64 s[4:5], s[4:5], exec
.LBB1657_11:
	s_or_b64 exec, exec, s[6:7]
	s_branch .LBB1657_18
.LBB1657_12:
                                        ; implicit-def: $vgpr0
	s_cbranch_execz .LBB1657_18
; %bb.13:
	s_cmp_ge_u32 s17, s15
	v_mov_b32_e32 v4, s14
	s_cbranch_scc1 .LBB1657_17
; %bb.14:
	s_mov_b64 s[2:3], 0
	v_mov_b32_e32 v5, s15
	v_mov_b32_e32 v4, s14
	;; [unrolled: 1-line block ×4, first 2 shown]
.LBB1657_15:                            ; =>This Inner Loop Header: Depth=1
	v_add_u32_e32 v0, v4, v5
	v_lshrrev_b32_e32 v0, 1, v0
	v_lshlrev_b64 v[8:9], 2, v[0:1]
	v_add_co_u32_e32 v8, vcc, s8, v8
	v_addc_co_u32_e32 v9, vcc, v6, v9, vcc
	global_load_dword v7, v[8:9], off
	v_add_u32_e32 v8, 1, v0
	s_waitcnt vmcnt(0)
	v_cmp_gt_i32_e32 vcc, v2, v7
	v_cndmask_b32_e64 v9, 0, 1, vcc
	v_cmp_le_i32_e32 vcc, v7, v2
	v_cndmask_b32_e64 v7, 0, 1, vcc
	v_cndmask_b32_e64 v7, v7, v9, s[0:1]
	v_and_b32_e32 v7, 1, v7
	v_cmp_eq_u32_e32 vcc, 1, v7
	v_cndmask_b32_e32 v5, v0, v5, vcc
	v_cndmask_b32_e32 v4, v4, v8, vcc
	v_cmp_ge_u32_e32 vcc, v4, v5
	s_or_b64 s[2:3], vcc, s[2:3]
	s_andn2_b64 exec, exec, s[2:3]
	s_cbranch_execnz .LBB1657_15
; %bb.16:
	s_or_b64 exec, exec, s[2:3]
.LBB1657_17:
	v_add_u32_e32 v0, v4, v3
	s_mov_b64 s[4:5], -1
.LBB1657_18:
	s_and_b64 exec, exec, s[4:5]
	s_cbranch_execz .LBB1657_20
; %bb.19:
	v_mov_b32_e32 v1, 0
	v_lshlrev_b64 v[0:1], 2, v[0:1]
	v_mov_b32_e32 v3, s11
	v_add_co_u32_e32 v0, vcc, s10, v0
	v_addc_co_u32_e32 v1, vcc, v3, v1, vcc
	s_waitcnt vmcnt(0)
	global_store_dword v[0:1], v2, off
.LBB1657_20:
	s_endpgm
	.section	.rodata,"a",@progbits
	.p2align	6, 0x0
	.amdhsa_kernel _ZN7rocprim17ROCPRIM_400000_NS6detail17trampoline_kernelINS0_14default_configENS1_38merge_sort_block_merge_config_selectorIiNS0_10empty_typeEEEZZNS1_27merge_sort_block_merge_implIS3_N6thrust23THRUST_200600_302600_NS6detail15normal_iteratorINS9_10device_ptrIiEEEEPS5_jNS1_19radix_merge_compareILb0ELb0EiNS0_19identity_decomposerEEEEE10hipError_tT0_T1_T2_jT3_P12ihipStream_tbPNSt15iterator_traitsISK_E10value_typeEPNSQ_ISL_E10value_typeEPSM_NS1_7vsmem_tEENKUlT_SK_SL_SM_E_clISE_PiSF_SF_EESJ_SZ_SK_SL_SM_EUlSZ_E1_NS1_11comp_targetILNS1_3genE4ELNS1_11target_archE910ELNS1_3gpuE8ELNS1_3repE0EEENS1_36merge_oddeven_config_static_selectorELNS0_4arch9wavefront6targetE1EEEvSL_
		.amdhsa_group_segment_fixed_size 0
		.amdhsa_private_segment_fixed_size 0
		.amdhsa_kernarg_size 48
		.amdhsa_user_sgpr_count 6
		.amdhsa_user_sgpr_private_segment_buffer 1
		.amdhsa_user_sgpr_dispatch_ptr 0
		.amdhsa_user_sgpr_queue_ptr 0
		.amdhsa_user_sgpr_kernarg_segment_ptr 1
		.amdhsa_user_sgpr_dispatch_id 0
		.amdhsa_user_sgpr_flat_scratch_init 0
		.amdhsa_user_sgpr_kernarg_preload_length 0
		.amdhsa_user_sgpr_kernarg_preload_offset 0
		.amdhsa_user_sgpr_private_segment_size 0
		.amdhsa_uses_dynamic_stack 0
		.amdhsa_system_sgpr_private_segment_wavefront_offset 0
		.amdhsa_system_sgpr_workgroup_id_x 1
		.amdhsa_system_sgpr_workgroup_id_y 0
		.amdhsa_system_sgpr_workgroup_id_z 0
		.amdhsa_system_sgpr_workgroup_info 0
		.amdhsa_system_vgpr_workitem_id 0
		.amdhsa_next_free_vgpr 10
		.amdhsa_next_free_sgpr 21
		.amdhsa_accum_offset 12
		.amdhsa_reserve_vcc 1
		.amdhsa_reserve_flat_scratch 0
		.amdhsa_float_round_mode_32 0
		.amdhsa_float_round_mode_16_64 0
		.amdhsa_float_denorm_mode_32 3
		.amdhsa_float_denorm_mode_16_64 3
		.amdhsa_dx10_clamp 1
		.amdhsa_ieee_mode 1
		.amdhsa_fp16_overflow 0
		.amdhsa_tg_split 0
		.amdhsa_exception_fp_ieee_invalid_op 0
		.amdhsa_exception_fp_denorm_src 0
		.amdhsa_exception_fp_ieee_div_zero 0
		.amdhsa_exception_fp_ieee_overflow 0
		.amdhsa_exception_fp_ieee_underflow 0
		.amdhsa_exception_fp_ieee_inexact 0
		.amdhsa_exception_int_div_zero 0
	.end_amdhsa_kernel
	.section	.text._ZN7rocprim17ROCPRIM_400000_NS6detail17trampoline_kernelINS0_14default_configENS1_38merge_sort_block_merge_config_selectorIiNS0_10empty_typeEEEZZNS1_27merge_sort_block_merge_implIS3_N6thrust23THRUST_200600_302600_NS6detail15normal_iteratorINS9_10device_ptrIiEEEEPS5_jNS1_19radix_merge_compareILb0ELb0EiNS0_19identity_decomposerEEEEE10hipError_tT0_T1_T2_jT3_P12ihipStream_tbPNSt15iterator_traitsISK_E10value_typeEPNSQ_ISL_E10value_typeEPSM_NS1_7vsmem_tEENKUlT_SK_SL_SM_E_clISE_PiSF_SF_EESJ_SZ_SK_SL_SM_EUlSZ_E1_NS1_11comp_targetILNS1_3genE4ELNS1_11target_archE910ELNS1_3gpuE8ELNS1_3repE0EEENS1_36merge_oddeven_config_static_selectorELNS0_4arch9wavefront6targetE1EEEvSL_,"axG",@progbits,_ZN7rocprim17ROCPRIM_400000_NS6detail17trampoline_kernelINS0_14default_configENS1_38merge_sort_block_merge_config_selectorIiNS0_10empty_typeEEEZZNS1_27merge_sort_block_merge_implIS3_N6thrust23THRUST_200600_302600_NS6detail15normal_iteratorINS9_10device_ptrIiEEEEPS5_jNS1_19radix_merge_compareILb0ELb0EiNS0_19identity_decomposerEEEEE10hipError_tT0_T1_T2_jT3_P12ihipStream_tbPNSt15iterator_traitsISK_E10value_typeEPNSQ_ISL_E10value_typeEPSM_NS1_7vsmem_tEENKUlT_SK_SL_SM_E_clISE_PiSF_SF_EESJ_SZ_SK_SL_SM_EUlSZ_E1_NS1_11comp_targetILNS1_3genE4ELNS1_11target_archE910ELNS1_3gpuE8ELNS1_3repE0EEENS1_36merge_oddeven_config_static_selectorELNS0_4arch9wavefront6targetE1EEEvSL_,comdat
.Lfunc_end1657:
	.size	_ZN7rocprim17ROCPRIM_400000_NS6detail17trampoline_kernelINS0_14default_configENS1_38merge_sort_block_merge_config_selectorIiNS0_10empty_typeEEEZZNS1_27merge_sort_block_merge_implIS3_N6thrust23THRUST_200600_302600_NS6detail15normal_iteratorINS9_10device_ptrIiEEEEPS5_jNS1_19radix_merge_compareILb0ELb0EiNS0_19identity_decomposerEEEEE10hipError_tT0_T1_T2_jT3_P12ihipStream_tbPNSt15iterator_traitsISK_E10value_typeEPNSQ_ISL_E10value_typeEPSM_NS1_7vsmem_tEENKUlT_SK_SL_SM_E_clISE_PiSF_SF_EESJ_SZ_SK_SL_SM_EUlSZ_E1_NS1_11comp_targetILNS1_3genE4ELNS1_11target_archE910ELNS1_3gpuE8ELNS1_3repE0EEENS1_36merge_oddeven_config_static_selectorELNS0_4arch9wavefront6targetE1EEEvSL_, .Lfunc_end1657-_ZN7rocprim17ROCPRIM_400000_NS6detail17trampoline_kernelINS0_14default_configENS1_38merge_sort_block_merge_config_selectorIiNS0_10empty_typeEEEZZNS1_27merge_sort_block_merge_implIS3_N6thrust23THRUST_200600_302600_NS6detail15normal_iteratorINS9_10device_ptrIiEEEEPS5_jNS1_19radix_merge_compareILb0ELb0EiNS0_19identity_decomposerEEEEE10hipError_tT0_T1_T2_jT3_P12ihipStream_tbPNSt15iterator_traitsISK_E10value_typeEPNSQ_ISL_E10value_typeEPSM_NS1_7vsmem_tEENKUlT_SK_SL_SM_E_clISE_PiSF_SF_EESJ_SZ_SK_SL_SM_EUlSZ_E1_NS1_11comp_targetILNS1_3genE4ELNS1_11target_archE910ELNS1_3gpuE8ELNS1_3repE0EEENS1_36merge_oddeven_config_static_selectorELNS0_4arch9wavefront6targetE1EEEvSL_
                                        ; -- End function
	.section	.AMDGPU.csdata,"",@progbits
; Kernel info:
; codeLenInByte = 588
; NumSgprs: 25
; NumVgprs: 10
; NumAgprs: 0
; TotalNumVgprs: 10
; ScratchSize: 0
; MemoryBound: 0
; FloatMode: 240
; IeeeMode: 1
; LDSByteSize: 0 bytes/workgroup (compile time only)
; SGPRBlocks: 3
; VGPRBlocks: 1
; NumSGPRsForWavesPerEU: 25
; NumVGPRsForWavesPerEU: 10
; AccumOffset: 12
; Occupancy: 8
; WaveLimiterHint : 0
; COMPUTE_PGM_RSRC2:SCRATCH_EN: 0
; COMPUTE_PGM_RSRC2:USER_SGPR: 6
; COMPUTE_PGM_RSRC2:TRAP_HANDLER: 0
; COMPUTE_PGM_RSRC2:TGID_X_EN: 1
; COMPUTE_PGM_RSRC2:TGID_Y_EN: 0
; COMPUTE_PGM_RSRC2:TGID_Z_EN: 0
; COMPUTE_PGM_RSRC2:TIDIG_COMP_CNT: 0
; COMPUTE_PGM_RSRC3_GFX90A:ACCUM_OFFSET: 2
; COMPUTE_PGM_RSRC3_GFX90A:TG_SPLIT: 0
	.section	.text._ZN7rocprim17ROCPRIM_400000_NS6detail17trampoline_kernelINS0_14default_configENS1_38merge_sort_block_merge_config_selectorIiNS0_10empty_typeEEEZZNS1_27merge_sort_block_merge_implIS3_N6thrust23THRUST_200600_302600_NS6detail15normal_iteratorINS9_10device_ptrIiEEEEPS5_jNS1_19radix_merge_compareILb0ELb0EiNS0_19identity_decomposerEEEEE10hipError_tT0_T1_T2_jT3_P12ihipStream_tbPNSt15iterator_traitsISK_E10value_typeEPNSQ_ISL_E10value_typeEPSM_NS1_7vsmem_tEENKUlT_SK_SL_SM_E_clISE_PiSF_SF_EESJ_SZ_SK_SL_SM_EUlSZ_E1_NS1_11comp_targetILNS1_3genE3ELNS1_11target_archE908ELNS1_3gpuE7ELNS1_3repE0EEENS1_36merge_oddeven_config_static_selectorELNS0_4arch9wavefront6targetE1EEEvSL_,"axG",@progbits,_ZN7rocprim17ROCPRIM_400000_NS6detail17trampoline_kernelINS0_14default_configENS1_38merge_sort_block_merge_config_selectorIiNS0_10empty_typeEEEZZNS1_27merge_sort_block_merge_implIS3_N6thrust23THRUST_200600_302600_NS6detail15normal_iteratorINS9_10device_ptrIiEEEEPS5_jNS1_19radix_merge_compareILb0ELb0EiNS0_19identity_decomposerEEEEE10hipError_tT0_T1_T2_jT3_P12ihipStream_tbPNSt15iterator_traitsISK_E10value_typeEPNSQ_ISL_E10value_typeEPSM_NS1_7vsmem_tEENKUlT_SK_SL_SM_E_clISE_PiSF_SF_EESJ_SZ_SK_SL_SM_EUlSZ_E1_NS1_11comp_targetILNS1_3genE3ELNS1_11target_archE908ELNS1_3gpuE7ELNS1_3repE0EEENS1_36merge_oddeven_config_static_selectorELNS0_4arch9wavefront6targetE1EEEvSL_,comdat
	.protected	_ZN7rocprim17ROCPRIM_400000_NS6detail17trampoline_kernelINS0_14default_configENS1_38merge_sort_block_merge_config_selectorIiNS0_10empty_typeEEEZZNS1_27merge_sort_block_merge_implIS3_N6thrust23THRUST_200600_302600_NS6detail15normal_iteratorINS9_10device_ptrIiEEEEPS5_jNS1_19radix_merge_compareILb0ELb0EiNS0_19identity_decomposerEEEEE10hipError_tT0_T1_T2_jT3_P12ihipStream_tbPNSt15iterator_traitsISK_E10value_typeEPNSQ_ISL_E10value_typeEPSM_NS1_7vsmem_tEENKUlT_SK_SL_SM_E_clISE_PiSF_SF_EESJ_SZ_SK_SL_SM_EUlSZ_E1_NS1_11comp_targetILNS1_3genE3ELNS1_11target_archE908ELNS1_3gpuE7ELNS1_3repE0EEENS1_36merge_oddeven_config_static_selectorELNS0_4arch9wavefront6targetE1EEEvSL_ ; -- Begin function _ZN7rocprim17ROCPRIM_400000_NS6detail17trampoline_kernelINS0_14default_configENS1_38merge_sort_block_merge_config_selectorIiNS0_10empty_typeEEEZZNS1_27merge_sort_block_merge_implIS3_N6thrust23THRUST_200600_302600_NS6detail15normal_iteratorINS9_10device_ptrIiEEEEPS5_jNS1_19radix_merge_compareILb0ELb0EiNS0_19identity_decomposerEEEEE10hipError_tT0_T1_T2_jT3_P12ihipStream_tbPNSt15iterator_traitsISK_E10value_typeEPNSQ_ISL_E10value_typeEPSM_NS1_7vsmem_tEENKUlT_SK_SL_SM_E_clISE_PiSF_SF_EESJ_SZ_SK_SL_SM_EUlSZ_E1_NS1_11comp_targetILNS1_3genE3ELNS1_11target_archE908ELNS1_3gpuE7ELNS1_3repE0EEENS1_36merge_oddeven_config_static_selectorELNS0_4arch9wavefront6targetE1EEEvSL_
	.globl	_ZN7rocprim17ROCPRIM_400000_NS6detail17trampoline_kernelINS0_14default_configENS1_38merge_sort_block_merge_config_selectorIiNS0_10empty_typeEEEZZNS1_27merge_sort_block_merge_implIS3_N6thrust23THRUST_200600_302600_NS6detail15normal_iteratorINS9_10device_ptrIiEEEEPS5_jNS1_19radix_merge_compareILb0ELb0EiNS0_19identity_decomposerEEEEE10hipError_tT0_T1_T2_jT3_P12ihipStream_tbPNSt15iterator_traitsISK_E10value_typeEPNSQ_ISL_E10value_typeEPSM_NS1_7vsmem_tEENKUlT_SK_SL_SM_E_clISE_PiSF_SF_EESJ_SZ_SK_SL_SM_EUlSZ_E1_NS1_11comp_targetILNS1_3genE3ELNS1_11target_archE908ELNS1_3gpuE7ELNS1_3repE0EEENS1_36merge_oddeven_config_static_selectorELNS0_4arch9wavefront6targetE1EEEvSL_
	.p2align	8
	.type	_ZN7rocprim17ROCPRIM_400000_NS6detail17trampoline_kernelINS0_14default_configENS1_38merge_sort_block_merge_config_selectorIiNS0_10empty_typeEEEZZNS1_27merge_sort_block_merge_implIS3_N6thrust23THRUST_200600_302600_NS6detail15normal_iteratorINS9_10device_ptrIiEEEEPS5_jNS1_19radix_merge_compareILb0ELb0EiNS0_19identity_decomposerEEEEE10hipError_tT0_T1_T2_jT3_P12ihipStream_tbPNSt15iterator_traitsISK_E10value_typeEPNSQ_ISL_E10value_typeEPSM_NS1_7vsmem_tEENKUlT_SK_SL_SM_E_clISE_PiSF_SF_EESJ_SZ_SK_SL_SM_EUlSZ_E1_NS1_11comp_targetILNS1_3genE3ELNS1_11target_archE908ELNS1_3gpuE7ELNS1_3repE0EEENS1_36merge_oddeven_config_static_selectorELNS0_4arch9wavefront6targetE1EEEvSL_,@function
_ZN7rocprim17ROCPRIM_400000_NS6detail17trampoline_kernelINS0_14default_configENS1_38merge_sort_block_merge_config_selectorIiNS0_10empty_typeEEEZZNS1_27merge_sort_block_merge_implIS3_N6thrust23THRUST_200600_302600_NS6detail15normal_iteratorINS9_10device_ptrIiEEEEPS5_jNS1_19radix_merge_compareILb0ELb0EiNS0_19identity_decomposerEEEEE10hipError_tT0_T1_T2_jT3_P12ihipStream_tbPNSt15iterator_traitsISK_E10value_typeEPNSQ_ISL_E10value_typeEPSM_NS1_7vsmem_tEENKUlT_SK_SL_SM_E_clISE_PiSF_SF_EESJ_SZ_SK_SL_SM_EUlSZ_E1_NS1_11comp_targetILNS1_3genE3ELNS1_11target_archE908ELNS1_3gpuE7ELNS1_3repE0EEENS1_36merge_oddeven_config_static_selectorELNS0_4arch9wavefront6targetE1EEEvSL_: ; @_ZN7rocprim17ROCPRIM_400000_NS6detail17trampoline_kernelINS0_14default_configENS1_38merge_sort_block_merge_config_selectorIiNS0_10empty_typeEEEZZNS1_27merge_sort_block_merge_implIS3_N6thrust23THRUST_200600_302600_NS6detail15normal_iteratorINS9_10device_ptrIiEEEEPS5_jNS1_19radix_merge_compareILb0ELb0EiNS0_19identity_decomposerEEEEE10hipError_tT0_T1_T2_jT3_P12ihipStream_tbPNSt15iterator_traitsISK_E10value_typeEPNSQ_ISL_E10value_typeEPSM_NS1_7vsmem_tEENKUlT_SK_SL_SM_E_clISE_PiSF_SF_EESJ_SZ_SK_SL_SM_EUlSZ_E1_NS1_11comp_targetILNS1_3genE3ELNS1_11target_archE908ELNS1_3gpuE7ELNS1_3repE0EEENS1_36merge_oddeven_config_static_selectorELNS0_4arch9wavefront6targetE1EEEvSL_
; %bb.0:
	.section	.rodata,"a",@progbits
	.p2align	6, 0x0
	.amdhsa_kernel _ZN7rocprim17ROCPRIM_400000_NS6detail17trampoline_kernelINS0_14default_configENS1_38merge_sort_block_merge_config_selectorIiNS0_10empty_typeEEEZZNS1_27merge_sort_block_merge_implIS3_N6thrust23THRUST_200600_302600_NS6detail15normal_iteratorINS9_10device_ptrIiEEEEPS5_jNS1_19radix_merge_compareILb0ELb0EiNS0_19identity_decomposerEEEEE10hipError_tT0_T1_T2_jT3_P12ihipStream_tbPNSt15iterator_traitsISK_E10value_typeEPNSQ_ISL_E10value_typeEPSM_NS1_7vsmem_tEENKUlT_SK_SL_SM_E_clISE_PiSF_SF_EESJ_SZ_SK_SL_SM_EUlSZ_E1_NS1_11comp_targetILNS1_3genE3ELNS1_11target_archE908ELNS1_3gpuE7ELNS1_3repE0EEENS1_36merge_oddeven_config_static_selectorELNS0_4arch9wavefront6targetE1EEEvSL_
		.amdhsa_group_segment_fixed_size 0
		.amdhsa_private_segment_fixed_size 0
		.amdhsa_kernarg_size 48
		.amdhsa_user_sgpr_count 6
		.amdhsa_user_sgpr_private_segment_buffer 1
		.amdhsa_user_sgpr_dispatch_ptr 0
		.amdhsa_user_sgpr_queue_ptr 0
		.amdhsa_user_sgpr_kernarg_segment_ptr 1
		.amdhsa_user_sgpr_dispatch_id 0
		.amdhsa_user_sgpr_flat_scratch_init 0
		.amdhsa_user_sgpr_kernarg_preload_length 0
		.amdhsa_user_sgpr_kernarg_preload_offset 0
		.amdhsa_user_sgpr_private_segment_size 0
		.amdhsa_uses_dynamic_stack 0
		.amdhsa_system_sgpr_private_segment_wavefront_offset 0
		.amdhsa_system_sgpr_workgroup_id_x 1
		.amdhsa_system_sgpr_workgroup_id_y 0
		.amdhsa_system_sgpr_workgroup_id_z 0
		.amdhsa_system_sgpr_workgroup_info 0
		.amdhsa_system_vgpr_workitem_id 0
		.amdhsa_next_free_vgpr 1
		.amdhsa_next_free_sgpr 0
		.amdhsa_accum_offset 4
		.amdhsa_reserve_vcc 0
		.amdhsa_reserve_flat_scratch 0
		.amdhsa_float_round_mode_32 0
		.amdhsa_float_round_mode_16_64 0
		.amdhsa_float_denorm_mode_32 3
		.amdhsa_float_denorm_mode_16_64 3
		.amdhsa_dx10_clamp 1
		.amdhsa_ieee_mode 1
		.amdhsa_fp16_overflow 0
		.amdhsa_tg_split 0
		.amdhsa_exception_fp_ieee_invalid_op 0
		.amdhsa_exception_fp_denorm_src 0
		.amdhsa_exception_fp_ieee_div_zero 0
		.amdhsa_exception_fp_ieee_overflow 0
		.amdhsa_exception_fp_ieee_underflow 0
		.amdhsa_exception_fp_ieee_inexact 0
		.amdhsa_exception_int_div_zero 0
	.end_amdhsa_kernel
	.section	.text._ZN7rocprim17ROCPRIM_400000_NS6detail17trampoline_kernelINS0_14default_configENS1_38merge_sort_block_merge_config_selectorIiNS0_10empty_typeEEEZZNS1_27merge_sort_block_merge_implIS3_N6thrust23THRUST_200600_302600_NS6detail15normal_iteratorINS9_10device_ptrIiEEEEPS5_jNS1_19radix_merge_compareILb0ELb0EiNS0_19identity_decomposerEEEEE10hipError_tT0_T1_T2_jT3_P12ihipStream_tbPNSt15iterator_traitsISK_E10value_typeEPNSQ_ISL_E10value_typeEPSM_NS1_7vsmem_tEENKUlT_SK_SL_SM_E_clISE_PiSF_SF_EESJ_SZ_SK_SL_SM_EUlSZ_E1_NS1_11comp_targetILNS1_3genE3ELNS1_11target_archE908ELNS1_3gpuE7ELNS1_3repE0EEENS1_36merge_oddeven_config_static_selectorELNS0_4arch9wavefront6targetE1EEEvSL_,"axG",@progbits,_ZN7rocprim17ROCPRIM_400000_NS6detail17trampoline_kernelINS0_14default_configENS1_38merge_sort_block_merge_config_selectorIiNS0_10empty_typeEEEZZNS1_27merge_sort_block_merge_implIS3_N6thrust23THRUST_200600_302600_NS6detail15normal_iteratorINS9_10device_ptrIiEEEEPS5_jNS1_19radix_merge_compareILb0ELb0EiNS0_19identity_decomposerEEEEE10hipError_tT0_T1_T2_jT3_P12ihipStream_tbPNSt15iterator_traitsISK_E10value_typeEPNSQ_ISL_E10value_typeEPSM_NS1_7vsmem_tEENKUlT_SK_SL_SM_E_clISE_PiSF_SF_EESJ_SZ_SK_SL_SM_EUlSZ_E1_NS1_11comp_targetILNS1_3genE3ELNS1_11target_archE908ELNS1_3gpuE7ELNS1_3repE0EEENS1_36merge_oddeven_config_static_selectorELNS0_4arch9wavefront6targetE1EEEvSL_,comdat
.Lfunc_end1658:
	.size	_ZN7rocprim17ROCPRIM_400000_NS6detail17trampoline_kernelINS0_14default_configENS1_38merge_sort_block_merge_config_selectorIiNS0_10empty_typeEEEZZNS1_27merge_sort_block_merge_implIS3_N6thrust23THRUST_200600_302600_NS6detail15normal_iteratorINS9_10device_ptrIiEEEEPS5_jNS1_19radix_merge_compareILb0ELb0EiNS0_19identity_decomposerEEEEE10hipError_tT0_T1_T2_jT3_P12ihipStream_tbPNSt15iterator_traitsISK_E10value_typeEPNSQ_ISL_E10value_typeEPSM_NS1_7vsmem_tEENKUlT_SK_SL_SM_E_clISE_PiSF_SF_EESJ_SZ_SK_SL_SM_EUlSZ_E1_NS1_11comp_targetILNS1_3genE3ELNS1_11target_archE908ELNS1_3gpuE7ELNS1_3repE0EEENS1_36merge_oddeven_config_static_selectorELNS0_4arch9wavefront6targetE1EEEvSL_, .Lfunc_end1658-_ZN7rocprim17ROCPRIM_400000_NS6detail17trampoline_kernelINS0_14default_configENS1_38merge_sort_block_merge_config_selectorIiNS0_10empty_typeEEEZZNS1_27merge_sort_block_merge_implIS3_N6thrust23THRUST_200600_302600_NS6detail15normal_iteratorINS9_10device_ptrIiEEEEPS5_jNS1_19radix_merge_compareILb0ELb0EiNS0_19identity_decomposerEEEEE10hipError_tT0_T1_T2_jT3_P12ihipStream_tbPNSt15iterator_traitsISK_E10value_typeEPNSQ_ISL_E10value_typeEPSM_NS1_7vsmem_tEENKUlT_SK_SL_SM_E_clISE_PiSF_SF_EESJ_SZ_SK_SL_SM_EUlSZ_E1_NS1_11comp_targetILNS1_3genE3ELNS1_11target_archE908ELNS1_3gpuE7ELNS1_3repE0EEENS1_36merge_oddeven_config_static_selectorELNS0_4arch9wavefront6targetE1EEEvSL_
                                        ; -- End function
	.section	.AMDGPU.csdata,"",@progbits
; Kernel info:
; codeLenInByte = 0
; NumSgprs: 4
; NumVgprs: 0
; NumAgprs: 0
; TotalNumVgprs: 0
; ScratchSize: 0
; MemoryBound: 0
; FloatMode: 240
; IeeeMode: 1
; LDSByteSize: 0 bytes/workgroup (compile time only)
; SGPRBlocks: 0
; VGPRBlocks: 0
; NumSGPRsForWavesPerEU: 4
; NumVGPRsForWavesPerEU: 1
; AccumOffset: 4
; Occupancy: 8
; WaveLimiterHint : 0
; COMPUTE_PGM_RSRC2:SCRATCH_EN: 0
; COMPUTE_PGM_RSRC2:USER_SGPR: 6
; COMPUTE_PGM_RSRC2:TRAP_HANDLER: 0
; COMPUTE_PGM_RSRC2:TGID_X_EN: 1
; COMPUTE_PGM_RSRC2:TGID_Y_EN: 0
; COMPUTE_PGM_RSRC2:TGID_Z_EN: 0
; COMPUTE_PGM_RSRC2:TIDIG_COMP_CNT: 0
; COMPUTE_PGM_RSRC3_GFX90A:ACCUM_OFFSET: 0
; COMPUTE_PGM_RSRC3_GFX90A:TG_SPLIT: 0
	.section	.text._ZN7rocprim17ROCPRIM_400000_NS6detail17trampoline_kernelINS0_14default_configENS1_38merge_sort_block_merge_config_selectorIiNS0_10empty_typeEEEZZNS1_27merge_sort_block_merge_implIS3_N6thrust23THRUST_200600_302600_NS6detail15normal_iteratorINS9_10device_ptrIiEEEEPS5_jNS1_19radix_merge_compareILb0ELb0EiNS0_19identity_decomposerEEEEE10hipError_tT0_T1_T2_jT3_P12ihipStream_tbPNSt15iterator_traitsISK_E10value_typeEPNSQ_ISL_E10value_typeEPSM_NS1_7vsmem_tEENKUlT_SK_SL_SM_E_clISE_PiSF_SF_EESJ_SZ_SK_SL_SM_EUlSZ_E1_NS1_11comp_targetILNS1_3genE2ELNS1_11target_archE906ELNS1_3gpuE6ELNS1_3repE0EEENS1_36merge_oddeven_config_static_selectorELNS0_4arch9wavefront6targetE1EEEvSL_,"axG",@progbits,_ZN7rocprim17ROCPRIM_400000_NS6detail17trampoline_kernelINS0_14default_configENS1_38merge_sort_block_merge_config_selectorIiNS0_10empty_typeEEEZZNS1_27merge_sort_block_merge_implIS3_N6thrust23THRUST_200600_302600_NS6detail15normal_iteratorINS9_10device_ptrIiEEEEPS5_jNS1_19radix_merge_compareILb0ELb0EiNS0_19identity_decomposerEEEEE10hipError_tT0_T1_T2_jT3_P12ihipStream_tbPNSt15iterator_traitsISK_E10value_typeEPNSQ_ISL_E10value_typeEPSM_NS1_7vsmem_tEENKUlT_SK_SL_SM_E_clISE_PiSF_SF_EESJ_SZ_SK_SL_SM_EUlSZ_E1_NS1_11comp_targetILNS1_3genE2ELNS1_11target_archE906ELNS1_3gpuE6ELNS1_3repE0EEENS1_36merge_oddeven_config_static_selectorELNS0_4arch9wavefront6targetE1EEEvSL_,comdat
	.protected	_ZN7rocprim17ROCPRIM_400000_NS6detail17trampoline_kernelINS0_14default_configENS1_38merge_sort_block_merge_config_selectorIiNS0_10empty_typeEEEZZNS1_27merge_sort_block_merge_implIS3_N6thrust23THRUST_200600_302600_NS6detail15normal_iteratorINS9_10device_ptrIiEEEEPS5_jNS1_19radix_merge_compareILb0ELb0EiNS0_19identity_decomposerEEEEE10hipError_tT0_T1_T2_jT3_P12ihipStream_tbPNSt15iterator_traitsISK_E10value_typeEPNSQ_ISL_E10value_typeEPSM_NS1_7vsmem_tEENKUlT_SK_SL_SM_E_clISE_PiSF_SF_EESJ_SZ_SK_SL_SM_EUlSZ_E1_NS1_11comp_targetILNS1_3genE2ELNS1_11target_archE906ELNS1_3gpuE6ELNS1_3repE0EEENS1_36merge_oddeven_config_static_selectorELNS0_4arch9wavefront6targetE1EEEvSL_ ; -- Begin function _ZN7rocprim17ROCPRIM_400000_NS6detail17trampoline_kernelINS0_14default_configENS1_38merge_sort_block_merge_config_selectorIiNS0_10empty_typeEEEZZNS1_27merge_sort_block_merge_implIS3_N6thrust23THRUST_200600_302600_NS6detail15normal_iteratorINS9_10device_ptrIiEEEEPS5_jNS1_19radix_merge_compareILb0ELb0EiNS0_19identity_decomposerEEEEE10hipError_tT0_T1_T2_jT3_P12ihipStream_tbPNSt15iterator_traitsISK_E10value_typeEPNSQ_ISL_E10value_typeEPSM_NS1_7vsmem_tEENKUlT_SK_SL_SM_E_clISE_PiSF_SF_EESJ_SZ_SK_SL_SM_EUlSZ_E1_NS1_11comp_targetILNS1_3genE2ELNS1_11target_archE906ELNS1_3gpuE6ELNS1_3repE0EEENS1_36merge_oddeven_config_static_selectorELNS0_4arch9wavefront6targetE1EEEvSL_
	.globl	_ZN7rocprim17ROCPRIM_400000_NS6detail17trampoline_kernelINS0_14default_configENS1_38merge_sort_block_merge_config_selectorIiNS0_10empty_typeEEEZZNS1_27merge_sort_block_merge_implIS3_N6thrust23THRUST_200600_302600_NS6detail15normal_iteratorINS9_10device_ptrIiEEEEPS5_jNS1_19radix_merge_compareILb0ELb0EiNS0_19identity_decomposerEEEEE10hipError_tT0_T1_T2_jT3_P12ihipStream_tbPNSt15iterator_traitsISK_E10value_typeEPNSQ_ISL_E10value_typeEPSM_NS1_7vsmem_tEENKUlT_SK_SL_SM_E_clISE_PiSF_SF_EESJ_SZ_SK_SL_SM_EUlSZ_E1_NS1_11comp_targetILNS1_3genE2ELNS1_11target_archE906ELNS1_3gpuE6ELNS1_3repE0EEENS1_36merge_oddeven_config_static_selectorELNS0_4arch9wavefront6targetE1EEEvSL_
	.p2align	8
	.type	_ZN7rocprim17ROCPRIM_400000_NS6detail17trampoline_kernelINS0_14default_configENS1_38merge_sort_block_merge_config_selectorIiNS0_10empty_typeEEEZZNS1_27merge_sort_block_merge_implIS3_N6thrust23THRUST_200600_302600_NS6detail15normal_iteratorINS9_10device_ptrIiEEEEPS5_jNS1_19radix_merge_compareILb0ELb0EiNS0_19identity_decomposerEEEEE10hipError_tT0_T1_T2_jT3_P12ihipStream_tbPNSt15iterator_traitsISK_E10value_typeEPNSQ_ISL_E10value_typeEPSM_NS1_7vsmem_tEENKUlT_SK_SL_SM_E_clISE_PiSF_SF_EESJ_SZ_SK_SL_SM_EUlSZ_E1_NS1_11comp_targetILNS1_3genE2ELNS1_11target_archE906ELNS1_3gpuE6ELNS1_3repE0EEENS1_36merge_oddeven_config_static_selectorELNS0_4arch9wavefront6targetE1EEEvSL_,@function
_ZN7rocprim17ROCPRIM_400000_NS6detail17trampoline_kernelINS0_14default_configENS1_38merge_sort_block_merge_config_selectorIiNS0_10empty_typeEEEZZNS1_27merge_sort_block_merge_implIS3_N6thrust23THRUST_200600_302600_NS6detail15normal_iteratorINS9_10device_ptrIiEEEEPS5_jNS1_19radix_merge_compareILb0ELb0EiNS0_19identity_decomposerEEEEE10hipError_tT0_T1_T2_jT3_P12ihipStream_tbPNSt15iterator_traitsISK_E10value_typeEPNSQ_ISL_E10value_typeEPSM_NS1_7vsmem_tEENKUlT_SK_SL_SM_E_clISE_PiSF_SF_EESJ_SZ_SK_SL_SM_EUlSZ_E1_NS1_11comp_targetILNS1_3genE2ELNS1_11target_archE906ELNS1_3gpuE6ELNS1_3repE0EEENS1_36merge_oddeven_config_static_selectorELNS0_4arch9wavefront6targetE1EEEvSL_: ; @_ZN7rocprim17ROCPRIM_400000_NS6detail17trampoline_kernelINS0_14default_configENS1_38merge_sort_block_merge_config_selectorIiNS0_10empty_typeEEEZZNS1_27merge_sort_block_merge_implIS3_N6thrust23THRUST_200600_302600_NS6detail15normal_iteratorINS9_10device_ptrIiEEEEPS5_jNS1_19radix_merge_compareILb0ELb0EiNS0_19identity_decomposerEEEEE10hipError_tT0_T1_T2_jT3_P12ihipStream_tbPNSt15iterator_traitsISK_E10value_typeEPNSQ_ISL_E10value_typeEPSM_NS1_7vsmem_tEENKUlT_SK_SL_SM_E_clISE_PiSF_SF_EESJ_SZ_SK_SL_SM_EUlSZ_E1_NS1_11comp_targetILNS1_3genE2ELNS1_11target_archE906ELNS1_3gpuE6ELNS1_3repE0EEENS1_36merge_oddeven_config_static_selectorELNS0_4arch9wavefront6targetE1EEEvSL_
; %bb.0:
	.section	.rodata,"a",@progbits
	.p2align	6, 0x0
	.amdhsa_kernel _ZN7rocprim17ROCPRIM_400000_NS6detail17trampoline_kernelINS0_14default_configENS1_38merge_sort_block_merge_config_selectorIiNS0_10empty_typeEEEZZNS1_27merge_sort_block_merge_implIS3_N6thrust23THRUST_200600_302600_NS6detail15normal_iteratorINS9_10device_ptrIiEEEEPS5_jNS1_19radix_merge_compareILb0ELb0EiNS0_19identity_decomposerEEEEE10hipError_tT0_T1_T2_jT3_P12ihipStream_tbPNSt15iterator_traitsISK_E10value_typeEPNSQ_ISL_E10value_typeEPSM_NS1_7vsmem_tEENKUlT_SK_SL_SM_E_clISE_PiSF_SF_EESJ_SZ_SK_SL_SM_EUlSZ_E1_NS1_11comp_targetILNS1_3genE2ELNS1_11target_archE906ELNS1_3gpuE6ELNS1_3repE0EEENS1_36merge_oddeven_config_static_selectorELNS0_4arch9wavefront6targetE1EEEvSL_
		.amdhsa_group_segment_fixed_size 0
		.amdhsa_private_segment_fixed_size 0
		.amdhsa_kernarg_size 48
		.amdhsa_user_sgpr_count 6
		.amdhsa_user_sgpr_private_segment_buffer 1
		.amdhsa_user_sgpr_dispatch_ptr 0
		.amdhsa_user_sgpr_queue_ptr 0
		.amdhsa_user_sgpr_kernarg_segment_ptr 1
		.amdhsa_user_sgpr_dispatch_id 0
		.amdhsa_user_sgpr_flat_scratch_init 0
		.amdhsa_user_sgpr_kernarg_preload_length 0
		.amdhsa_user_sgpr_kernarg_preload_offset 0
		.amdhsa_user_sgpr_private_segment_size 0
		.amdhsa_uses_dynamic_stack 0
		.amdhsa_system_sgpr_private_segment_wavefront_offset 0
		.amdhsa_system_sgpr_workgroup_id_x 1
		.amdhsa_system_sgpr_workgroup_id_y 0
		.amdhsa_system_sgpr_workgroup_id_z 0
		.amdhsa_system_sgpr_workgroup_info 0
		.amdhsa_system_vgpr_workitem_id 0
		.amdhsa_next_free_vgpr 1
		.amdhsa_next_free_sgpr 0
		.amdhsa_accum_offset 4
		.amdhsa_reserve_vcc 0
		.amdhsa_reserve_flat_scratch 0
		.amdhsa_float_round_mode_32 0
		.amdhsa_float_round_mode_16_64 0
		.amdhsa_float_denorm_mode_32 3
		.amdhsa_float_denorm_mode_16_64 3
		.amdhsa_dx10_clamp 1
		.amdhsa_ieee_mode 1
		.amdhsa_fp16_overflow 0
		.amdhsa_tg_split 0
		.amdhsa_exception_fp_ieee_invalid_op 0
		.amdhsa_exception_fp_denorm_src 0
		.amdhsa_exception_fp_ieee_div_zero 0
		.amdhsa_exception_fp_ieee_overflow 0
		.amdhsa_exception_fp_ieee_underflow 0
		.amdhsa_exception_fp_ieee_inexact 0
		.amdhsa_exception_int_div_zero 0
	.end_amdhsa_kernel
	.section	.text._ZN7rocprim17ROCPRIM_400000_NS6detail17trampoline_kernelINS0_14default_configENS1_38merge_sort_block_merge_config_selectorIiNS0_10empty_typeEEEZZNS1_27merge_sort_block_merge_implIS3_N6thrust23THRUST_200600_302600_NS6detail15normal_iteratorINS9_10device_ptrIiEEEEPS5_jNS1_19radix_merge_compareILb0ELb0EiNS0_19identity_decomposerEEEEE10hipError_tT0_T1_T2_jT3_P12ihipStream_tbPNSt15iterator_traitsISK_E10value_typeEPNSQ_ISL_E10value_typeEPSM_NS1_7vsmem_tEENKUlT_SK_SL_SM_E_clISE_PiSF_SF_EESJ_SZ_SK_SL_SM_EUlSZ_E1_NS1_11comp_targetILNS1_3genE2ELNS1_11target_archE906ELNS1_3gpuE6ELNS1_3repE0EEENS1_36merge_oddeven_config_static_selectorELNS0_4arch9wavefront6targetE1EEEvSL_,"axG",@progbits,_ZN7rocprim17ROCPRIM_400000_NS6detail17trampoline_kernelINS0_14default_configENS1_38merge_sort_block_merge_config_selectorIiNS0_10empty_typeEEEZZNS1_27merge_sort_block_merge_implIS3_N6thrust23THRUST_200600_302600_NS6detail15normal_iteratorINS9_10device_ptrIiEEEEPS5_jNS1_19radix_merge_compareILb0ELb0EiNS0_19identity_decomposerEEEEE10hipError_tT0_T1_T2_jT3_P12ihipStream_tbPNSt15iterator_traitsISK_E10value_typeEPNSQ_ISL_E10value_typeEPSM_NS1_7vsmem_tEENKUlT_SK_SL_SM_E_clISE_PiSF_SF_EESJ_SZ_SK_SL_SM_EUlSZ_E1_NS1_11comp_targetILNS1_3genE2ELNS1_11target_archE906ELNS1_3gpuE6ELNS1_3repE0EEENS1_36merge_oddeven_config_static_selectorELNS0_4arch9wavefront6targetE1EEEvSL_,comdat
.Lfunc_end1659:
	.size	_ZN7rocprim17ROCPRIM_400000_NS6detail17trampoline_kernelINS0_14default_configENS1_38merge_sort_block_merge_config_selectorIiNS0_10empty_typeEEEZZNS1_27merge_sort_block_merge_implIS3_N6thrust23THRUST_200600_302600_NS6detail15normal_iteratorINS9_10device_ptrIiEEEEPS5_jNS1_19radix_merge_compareILb0ELb0EiNS0_19identity_decomposerEEEEE10hipError_tT0_T1_T2_jT3_P12ihipStream_tbPNSt15iterator_traitsISK_E10value_typeEPNSQ_ISL_E10value_typeEPSM_NS1_7vsmem_tEENKUlT_SK_SL_SM_E_clISE_PiSF_SF_EESJ_SZ_SK_SL_SM_EUlSZ_E1_NS1_11comp_targetILNS1_3genE2ELNS1_11target_archE906ELNS1_3gpuE6ELNS1_3repE0EEENS1_36merge_oddeven_config_static_selectorELNS0_4arch9wavefront6targetE1EEEvSL_, .Lfunc_end1659-_ZN7rocprim17ROCPRIM_400000_NS6detail17trampoline_kernelINS0_14default_configENS1_38merge_sort_block_merge_config_selectorIiNS0_10empty_typeEEEZZNS1_27merge_sort_block_merge_implIS3_N6thrust23THRUST_200600_302600_NS6detail15normal_iteratorINS9_10device_ptrIiEEEEPS5_jNS1_19radix_merge_compareILb0ELb0EiNS0_19identity_decomposerEEEEE10hipError_tT0_T1_T2_jT3_P12ihipStream_tbPNSt15iterator_traitsISK_E10value_typeEPNSQ_ISL_E10value_typeEPSM_NS1_7vsmem_tEENKUlT_SK_SL_SM_E_clISE_PiSF_SF_EESJ_SZ_SK_SL_SM_EUlSZ_E1_NS1_11comp_targetILNS1_3genE2ELNS1_11target_archE906ELNS1_3gpuE6ELNS1_3repE0EEENS1_36merge_oddeven_config_static_selectorELNS0_4arch9wavefront6targetE1EEEvSL_
                                        ; -- End function
	.section	.AMDGPU.csdata,"",@progbits
; Kernel info:
; codeLenInByte = 0
; NumSgprs: 4
; NumVgprs: 0
; NumAgprs: 0
; TotalNumVgprs: 0
; ScratchSize: 0
; MemoryBound: 0
; FloatMode: 240
; IeeeMode: 1
; LDSByteSize: 0 bytes/workgroup (compile time only)
; SGPRBlocks: 0
; VGPRBlocks: 0
; NumSGPRsForWavesPerEU: 4
; NumVGPRsForWavesPerEU: 1
; AccumOffset: 4
; Occupancy: 8
; WaveLimiterHint : 0
; COMPUTE_PGM_RSRC2:SCRATCH_EN: 0
; COMPUTE_PGM_RSRC2:USER_SGPR: 6
; COMPUTE_PGM_RSRC2:TRAP_HANDLER: 0
; COMPUTE_PGM_RSRC2:TGID_X_EN: 1
; COMPUTE_PGM_RSRC2:TGID_Y_EN: 0
; COMPUTE_PGM_RSRC2:TGID_Z_EN: 0
; COMPUTE_PGM_RSRC2:TIDIG_COMP_CNT: 0
; COMPUTE_PGM_RSRC3_GFX90A:ACCUM_OFFSET: 0
; COMPUTE_PGM_RSRC3_GFX90A:TG_SPLIT: 0
	.section	.text._ZN7rocprim17ROCPRIM_400000_NS6detail17trampoline_kernelINS0_14default_configENS1_38merge_sort_block_merge_config_selectorIiNS0_10empty_typeEEEZZNS1_27merge_sort_block_merge_implIS3_N6thrust23THRUST_200600_302600_NS6detail15normal_iteratorINS9_10device_ptrIiEEEEPS5_jNS1_19radix_merge_compareILb0ELb0EiNS0_19identity_decomposerEEEEE10hipError_tT0_T1_T2_jT3_P12ihipStream_tbPNSt15iterator_traitsISK_E10value_typeEPNSQ_ISL_E10value_typeEPSM_NS1_7vsmem_tEENKUlT_SK_SL_SM_E_clISE_PiSF_SF_EESJ_SZ_SK_SL_SM_EUlSZ_E1_NS1_11comp_targetILNS1_3genE9ELNS1_11target_archE1100ELNS1_3gpuE3ELNS1_3repE0EEENS1_36merge_oddeven_config_static_selectorELNS0_4arch9wavefront6targetE1EEEvSL_,"axG",@progbits,_ZN7rocprim17ROCPRIM_400000_NS6detail17trampoline_kernelINS0_14default_configENS1_38merge_sort_block_merge_config_selectorIiNS0_10empty_typeEEEZZNS1_27merge_sort_block_merge_implIS3_N6thrust23THRUST_200600_302600_NS6detail15normal_iteratorINS9_10device_ptrIiEEEEPS5_jNS1_19radix_merge_compareILb0ELb0EiNS0_19identity_decomposerEEEEE10hipError_tT0_T1_T2_jT3_P12ihipStream_tbPNSt15iterator_traitsISK_E10value_typeEPNSQ_ISL_E10value_typeEPSM_NS1_7vsmem_tEENKUlT_SK_SL_SM_E_clISE_PiSF_SF_EESJ_SZ_SK_SL_SM_EUlSZ_E1_NS1_11comp_targetILNS1_3genE9ELNS1_11target_archE1100ELNS1_3gpuE3ELNS1_3repE0EEENS1_36merge_oddeven_config_static_selectorELNS0_4arch9wavefront6targetE1EEEvSL_,comdat
	.protected	_ZN7rocprim17ROCPRIM_400000_NS6detail17trampoline_kernelINS0_14default_configENS1_38merge_sort_block_merge_config_selectorIiNS0_10empty_typeEEEZZNS1_27merge_sort_block_merge_implIS3_N6thrust23THRUST_200600_302600_NS6detail15normal_iteratorINS9_10device_ptrIiEEEEPS5_jNS1_19radix_merge_compareILb0ELb0EiNS0_19identity_decomposerEEEEE10hipError_tT0_T1_T2_jT3_P12ihipStream_tbPNSt15iterator_traitsISK_E10value_typeEPNSQ_ISL_E10value_typeEPSM_NS1_7vsmem_tEENKUlT_SK_SL_SM_E_clISE_PiSF_SF_EESJ_SZ_SK_SL_SM_EUlSZ_E1_NS1_11comp_targetILNS1_3genE9ELNS1_11target_archE1100ELNS1_3gpuE3ELNS1_3repE0EEENS1_36merge_oddeven_config_static_selectorELNS0_4arch9wavefront6targetE1EEEvSL_ ; -- Begin function _ZN7rocprim17ROCPRIM_400000_NS6detail17trampoline_kernelINS0_14default_configENS1_38merge_sort_block_merge_config_selectorIiNS0_10empty_typeEEEZZNS1_27merge_sort_block_merge_implIS3_N6thrust23THRUST_200600_302600_NS6detail15normal_iteratorINS9_10device_ptrIiEEEEPS5_jNS1_19radix_merge_compareILb0ELb0EiNS0_19identity_decomposerEEEEE10hipError_tT0_T1_T2_jT3_P12ihipStream_tbPNSt15iterator_traitsISK_E10value_typeEPNSQ_ISL_E10value_typeEPSM_NS1_7vsmem_tEENKUlT_SK_SL_SM_E_clISE_PiSF_SF_EESJ_SZ_SK_SL_SM_EUlSZ_E1_NS1_11comp_targetILNS1_3genE9ELNS1_11target_archE1100ELNS1_3gpuE3ELNS1_3repE0EEENS1_36merge_oddeven_config_static_selectorELNS0_4arch9wavefront6targetE1EEEvSL_
	.globl	_ZN7rocprim17ROCPRIM_400000_NS6detail17trampoline_kernelINS0_14default_configENS1_38merge_sort_block_merge_config_selectorIiNS0_10empty_typeEEEZZNS1_27merge_sort_block_merge_implIS3_N6thrust23THRUST_200600_302600_NS6detail15normal_iteratorINS9_10device_ptrIiEEEEPS5_jNS1_19radix_merge_compareILb0ELb0EiNS0_19identity_decomposerEEEEE10hipError_tT0_T1_T2_jT3_P12ihipStream_tbPNSt15iterator_traitsISK_E10value_typeEPNSQ_ISL_E10value_typeEPSM_NS1_7vsmem_tEENKUlT_SK_SL_SM_E_clISE_PiSF_SF_EESJ_SZ_SK_SL_SM_EUlSZ_E1_NS1_11comp_targetILNS1_3genE9ELNS1_11target_archE1100ELNS1_3gpuE3ELNS1_3repE0EEENS1_36merge_oddeven_config_static_selectorELNS0_4arch9wavefront6targetE1EEEvSL_
	.p2align	8
	.type	_ZN7rocprim17ROCPRIM_400000_NS6detail17trampoline_kernelINS0_14default_configENS1_38merge_sort_block_merge_config_selectorIiNS0_10empty_typeEEEZZNS1_27merge_sort_block_merge_implIS3_N6thrust23THRUST_200600_302600_NS6detail15normal_iteratorINS9_10device_ptrIiEEEEPS5_jNS1_19radix_merge_compareILb0ELb0EiNS0_19identity_decomposerEEEEE10hipError_tT0_T1_T2_jT3_P12ihipStream_tbPNSt15iterator_traitsISK_E10value_typeEPNSQ_ISL_E10value_typeEPSM_NS1_7vsmem_tEENKUlT_SK_SL_SM_E_clISE_PiSF_SF_EESJ_SZ_SK_SL_SM_EUlSZ_E1_NS1_11comp_targetILNS1_3genE9ELNS1_11target_archE1100ELNS1_3gpuE3ELNS1_3repE0EEENS1_36merge_oddeven_config_static_selectorELNS0_4arch9wavefront6targetE1EEEvSL_,@function
_ZN7rocprim17ROCPRIM_400000_NS6detail17trampoline_kernelINS0_14default_configENS1_38merge_sort_block_merge_config_selectorIiNS0_10empty_typeEEEZZNS1_27merge_sort_block_merge_implIS3_N6thrust23THRUST_200600_302600_NS6detail15normal_iteratorINS9_10device_ptrIiEEEEPS5_jNS1_19radix_merge_compareILb0ELb0EiNS0_19identity_decomposerEEEEE10hipError_tT0_T1_T2_jT3_P12ihipStream_tbPNSt15iterator_traitsISK_E10value_typeEPNSQ_ISL_E10value_typeEPSM_NS1_7vsmem_tEENKUlT_SK_SL_SM_E_clISE_PiSF_SF_EESJ_SZ_SK_SL_SM_EUlSZ_E1_NS1_11comp_targetILNS1_3genE9ELNS1_11target_archE1100ELNS1_3gpuE3ELNS1_3repE0EEENS1_36merge_oddeven_config_static_selectorELNS0_4arch9wavefront6targetE1EEEvSL_: ; @_ZN7rocprim17ROCPRIM_400000_NS6detail17trampoline_kernelINS0_14default_configENS1_38merge_sort_block_merge_config_selectorIiNS0_10empty_typeEEEZZNS1_27merge_sort_block_merge_implIS3_N6thrust23THRUST_200600_302600_NS6detail15normal_iteratorINS9_10device_ptrIiEEEEPS5_jNS1_19radix_merge_compareILb0ELb0EiNS0_19identity_decomposerEEEEE10hipError_tT0_T1_T2_jT3_P12ihipStream_tbPNSt15iterator_traitsISK_E10value_typeEPNSQ_ISL_E10value_typeEPSM_NS1_7vsmem_tEENKUlT_SK_SL_SM_E_clISE_PiSF_SF_EESJ_SZ_SK_SL_SM_EUlSZ_E1_NS1_11comp_targetILNS1_3genE9ELNS1_11target_archE1100ELNS1_3gpuE3ELNS1_3repE0EEENS1_36merge_oddeven_config_static_selectorELNS0_4arch9wavefront6targetE1EEEvSL_
; %bb.0:
	.section	.rodata,"a",@progbits
	.p2align	6, 0x0
	.amdhsa_kernel _ZN7rocprim17ROCPRIM_400000_NS6detail17trampoline_kernelINS0_14default_configENS1_38merge_sort_block_merge_config_selectorIiNS0_10empty_typeEEEZZNS1_27merge_sort_block_merge_implIS3_N6thrust23THRUST_200600_302600_NS6detail15normal_iteratorINS9_10device_ptrIiEEEEPS5_jNS1_19radix_merge_compareILb0ELb0EiNS0_19identity_decomposerEEEEE10hipError_tT0_T1_T2_jT3_P12ihipStream_tbPNSt15iterator_traitsISK_E10value_typeEPNSQ_ISL_E10value_typeEPSM_NS1_7vsmem_tEENKUlT_SK_SL_SM_E_clISE_PiSF_SF_EESJ_SZ_SK_SL_SM_EUlSZ_E1_NS1_11comp_targetILNS1_3genE9ELNS1_11target_archE1100ELNS1_3gpuE3ELNS1_3repE0EEENS1_36merge_oddeven_config_static_selectorELNS0_4arch9wavefront6targetE1EEEvSL_
		.amdhsa_group_segment_fixed_size 0
		.amdhsa_private_segment_fixed_size 0
		.amdhsa_kernarg_size 48
		.amdhsa_user_sgpr_count 6
		.amdhsa_user_sgpr_private_segment_buffer 1
		.amdhsa_user_sgpr_dispatch_ptr 0
		.amdhsa_user_sgpr_queue_ptr 0
		.amdhsa_user_sgpr_kernarg_segment_ptr 1
		.amdhsa_user_sgpr_dispatch_id 0
		.amdhsa_user_sgpr_flat_scratch_init 0
		.amdhsa_user_sgpr_kernarg_preload_length 0
		.amdhsa_user_sgpr_kernarg_preload_offset 0
		.amdhsa_user_sgpr_private_segment_size 0
		.amdhsa_uses_dynamic_stack 0
		.amdhsa_system_sgpr_private_segment_wavefront_offset 0
		.amdhsa_system_sgpr_workgroup_id_x 1
		.amdhsa_system_sgpr_workgroup_id_y 0
		.amdhsa_system_sgpr_workgroup_id_z 0
		.amdhsa_system_sgpr_workgroup_info 0
		.amdhsa_system_vgpr_workitem_id 0
		.amdhsa_next_free_vgpr 1
		.amdhsa_next_free_sgpr 0
		.amdhsa_accum_offset 4
		.amdhsa_reserve_vcc 0
		.amdhsa_reserve_flat_scratch 0
		.amdhsa_float_round_mode_32 0
		.amdhsa_float_round_mode_16_64 0
		.amdhsa_float_denorm_mode_32 3
		.amdhsa_float_denorm_mode_16_64 3
		.amdhsa_dx10_clamp 1
		.amdhsa_ieee_mode 1
		.amdhsa_fp16_overflow 0
		.amdhsa_tg_split 0
		.amdhsa_exception_fp_ieee_invalid_op 0
		.amdhsa_exception_fp_denorm_src 0
		.amdhsa_exception_fp_ieee_div_zero 0
		.amdhsa_exception_fp_ieee_overflow 0
		.amdhsa_exception_fp_ieee_underflow 0
		.amdhsa_exception_fp_ieee_inexact 0
		.amdhsa_exception_int_div_zero 0
	.end_amdhsa_kernel
	.section	.text._ZN7rocprim17ROCPRIM_400000_NS6detail17trampoline_kernelINS0_14default_configENS1_38merge_sort_block_merge_config_selectorIiNS0_10empty_typeEEEZZNS1_27merge_sort_block_merge_implIS3_N6thrust23THRUST_200600_302600_NS6detail15normal_iteratorINS9_10device_ptrIiEEEEPS5_jNS1_19radix_merge_compareILb0ELb0EiNS0_19identity_decomposerEEEEE10hipError_tT0_T1_T2_jT3_P12ihipStream_tbPNSt15iterator_traitsISK_E10value_typeEPNSQ_ISL_E10value_typeEPSM_NS1_7vsmem_tEENKUlT_SK_SL_SM_E_clISE_PiSF_SF_EESJ_SZ_SK_SL_SM_EUlSZ_E1_NS1_11comp_targetILNS1_3genE9ELNS1_11target_archE1100ELNS1_3gpuE3ELNS1_3repE0EEENS1_36merge_oddeven_config_static_selectorELNS0_4arch9wavefront6targetE1EEEvSL_,"axG",@progbits,_ZN7rocprim17ROCPRIM_400000_NS6detail17trampoline_kernelINS0_14default_configENS1_38merge_sort_block_merge_config_selectorIiNS0_10empty_typeEEEZZNS1_27merge_sort_block_merge_implIS3_N6thrust23THRUST_200600_302600_NS6detail15normal_iteratorINS9_10device_ptrIiEEEEPS5_jNS1_19radix_merge_compareILb0ELb0EiNS0_19identity_decomposerEEEEE10hipError_tT0_T1_T2_jT3_P12ihipStream_tbPNSt15iterator_traitsISK_E10value_typeEPNSQ_ISL_E10value_typeEPSM_NS1_7vsmem_tEENKUlT_SK_SL_SM_E_clISE_PiSF_SF_EESJ_SZ_SK_SL_SM_EUlSZ_E1_NS1_11comp_targetILNS1_3genE9ELNS1_11target_archE1100ELNS1_3gpuE3ELNS1_3repE0EEENS1_36merge_oddeven_config_static_selectorELNS0_4arch9wavefront6targetE1EEEvSL_,comdat
.Lfunc_end1660:
	.size	_ZN7rocprim17ROCPRIM_400000_NS6detail17trampoline_kernelINS0_14default_configENS1_38merge_sort_block_merge_config_selectorIiNS0_10empty_typeEEEZZNS1_27merge_sort_block_merge_implIS3_N6thrust23THRUST_200600_302600_NS6detail15normal_iteratorINS9_10device_ptrIiEEEEPS5_jNS1_19radix_merge_compareILb0ELb0EiNS0_19identity_decomposerEEEEE10hipError_tT0_T1_T2_jT3_P12ihipStream_tbPNSt15iterator_traitsISK_E10value_typeEPNSQ_ISL_E10value_typeEPSM_NS1_7vsmem_tEENKUlT_SK_SL_SM_E_clISE_PiSF_SF_EESJ_SZ_SK_SL_SM_EUlSZ_E1_NS1_11comp_targetILNS1_3genE9ELNS1_11target_archE1100ELNS1_3gpuE3ELNS1_3repE0EEENS1_36merge_oddeven_config_static_selectorELNS0_4arch9wavefront6targetE1EEEvSL_, .Lfunc_end1660-_ZN7rocprim17ROCPRIM_400000_NS6detail17trampoline_kernelINS0_14default_configENS1_38merge_sort_block_merge_config_selectorIiNS0_10empty_typeEEEZZNS1_27merge_sort_block_merge_implIS3_N6thrust23THRUST_200600_302600_NS6detail15normal_iteratorINS9_10device_ptrIiEEEEPS5_jNS1_19radix_merge_compareILb0ELb0EiNS0_19identity_decomposerEEEEE10hipError_tT0_T1_T2_jT3_P12ihipStream_tbPNSt15iterator_traitsISK_E10value_typeEPNSQ_ISL_E10value_typeEPSM_NS1_7vsmem_tEENKUlT_SK_SL_SM_E_clISE_PiSF_SF_EESJ_SZ_SK_SL_SM_EUlSZ_E1_NS1_11comp_targetILNS1_3genE9ELNS1_11target_archE1100ELNS1_3gpuE3ELNS1_3repE0EEENS1_36merge_oddeven_config_static_selectorELNS0_4arch9wavefront6targetE1EEEvSL_
                                        ; -- End function
	.section	.AMDGPU.csdata,"",@progbits
; Kernel info:
; codeLenInByte = 0
; NumSgprs: 4
; NumVgprs: 0
; NumAgprs: 0
; TotalNumVgprs: 0
; ScratchSize: 0
; MemoryBound: 0
; FloatMode: 240
; IeeeMode: 1
; LDSByteSize: 0 bytes/workgroup (compile time only)
; SGPRBlocks: 0
; VGPRBlocks: 0
; NumSGPRsForWavesPerEU: 4
; NumVGPRsForWavesPerEU: 1
; AccumOffset: 4
; Occupancy: 8
; WaveLimiterHint : 0
; COMPUTE_PGM_RSRC2:SCRATCH_EN: 0
; COMPUTE_PGM_RSRC2:USER_SGPR: 6
; COMPUTE_PGM_RSRC2:TRAP_HANDLER: 0
; COMPUTE_PGM_RSRC2:TGID_X_EN: 1
; COMPUTE_PGM_RSRC2:TGID_Y_EN: 0
; COMPUTE_PGM_RSRC2:TGID_Z_EN: 0
; COMPUTE_PGM_RSRC2:TIDIG_COMP_CNT: 0
; COMPUTE_PGM_RSRC3_GFX90A:ACCUM_OFFSET: 0
; COMPUTE_PGM_RSRC3_GFX90A:TG_SPLIT: 0
	.section	.text._ZN7rocprim17ROCPRIM_400000_NS6detail17trampoline_kernelINS0_14default_configENS1_38merge_sort_block_merge_config_selectorIiNS0_10empty_typeEEEZZNS1_27merge_sort_block_merge_implIS3_N6thrust23THRUST_200600_302600_NS6detail15normal_iteratorINS9_10device_ptrIiEEEEPS5_jNS1_19radix_merge_compareILb0ELb0EiNS0_19identity_decomposerEEEEE10hipError_tT0_T1_T2_jT3_P12ihipStream_tbPNSt15iterator_traitsISK_E10value_typeEPNSQ_ISL_E10value_typeEPSM_NS1_7vsmem_tEENKUlT_SK_SL_SM_E_clISE_PiSF_SF_EESJ_SZ_SK_SL_SM_EUlSZ_E1_NS1_11comp_targetILNS1_3genE8ELNS1_11target_archE1030ELNS1_3gpuE2ELNS1_3repE0EEENS1_36merge_oddeven_config_static_selectorELNS0_4arch9wavefront6targetE1EEEvSL_,"axG",@progbits,_ZN7rocprim17ROCPRIM_400000_NS6detail17trampoline_kernelINS0_14default_configENS1_38merge_sort_block_merge_config_selectorIiNS0_10empty_typeEEEZZNS1_27merge_sort_block_merge_implIS3_N6thrust23THRUST_200600_302600_NS6detail15normal_iteratorINS9_10device_ptrIiEEEEPS5_jNS1_19radix_merge_compareILb0ELb0EiNS0_19identity_decomposerEEEEE10hipError_tT0_T1_T2_jT3_P12ihipStream_tbPNSt15iterator_traitsISK_E10value_typeEPNSQ_ISL_E10value_typeEPSM_NS1_7vsmem_tEENKUlT_SK_SL_SM_E_clISE_PiSF_SF_EESJ_SZ_SK_SL_SM_EUlSZ_E1_NS1_11comp_targetILNS1_3genE8ELNS1_11target_archE1030ELNS1_3gpuE2ELNS1_3repE0EEENS1_36merge_oddeven_config_static_selectorELNS0_4arch9wavefront6targetE1EEEvSL_,comdat
	.protected	_ZN7rocprim17ROCPRIM_400000_NS6detail17trampoline_kernelINS0_14default_configENS1_38merge_sort_block_merge_config_selectorIiNS0_10empty_typeEEEZZNS1_27merge_sort_block_merge_implIS3_N6thrust23THRUST_200600_302600_NS6detail15normal_iteratorINS9_10device_ptrIiEEEEPS5_jNS1_19radix_merge_compareILb0ELb0EiNS0_19identity_decomposerEEEEE10hipError_tT0_T1_T2_jT3_P12ihipStream_tbPNSt15iterator_traitsISK_E10value_typeEPNSQ_ISL_E10value_typeEPSM_NS1_7vsmem_tEENKUlT_SK_SL_SM_E_clISE_PiSF_SF_EESJ_SZ_SK_SL_SM_EUlSZ_E1_NS1_11comp_targetILNS1_3genE8ELNS1_11target_archE1030ELNS1_3gpuE2ELNS1_3repE0EEENS1_36merge_oddeven_config_static_selectorELNS0_4arch9wavefront6targetE1EEEvSL_ ; -- Begin function _ZN7rocprim17ROCPRIM_400000_NS6detail17trampoline_kernelINS0_14default_configENS1_38merge_sort_block_merge_config_selectorIiNS0_10empty_typeEEEZZNS1_27merge_sort_block_merge_implIS3_N6thrust23THRUST_200600_302600_NS6detail15normal_iteratorINS9_10device_ptrIiEEEEPS5_jNS1_19radix_merge_compareILb0ELb0EiNS0_19identity_decomposerEEEEE10hipError_tT0_T1_T2_jT3_P12ihipStream_tbPNSt15iterator_traitsISK_E10value_typeEPNSQ_ISL_E10value_typeEPSM_NS1_7vsmem_tEENKUlT_SK_SL_SM_E_clISE_PiSF_SF_EESJ_SZ_SK_SL_SM_EUlSZ_E1_NS1_11comp_targetILNS1_3genE8ELNS1_11target_archE1030ELNS1_3gpuE2ELNS1_3repE0EEENS1_36merge_oddeven_config_static_selectorELNS0_4arch9wavefront6targetE1EEEvSL_
	.globl	_ZN7rocprim17ROCPRIM_400000_NS6detail17trampoline_kernelINS0_14default_configENS1_38merge_sort_block_merge_config_selectorIiNS0_10empty_typeEEEZZNS1_27merge_sort_block_merge_implIS3_N6thrust23THRUST_200600_302600_NS6detail15normal_iteratorINS9_10device_ptrIiEEEEPS5_jNS1_19radix_merge_compareILb0ELb0EiNS0_19identity_decomposerEEEEE10hipError_tT0_T1_T2_jT3_P12ihipStream_tbPNSt15iterator_traitsISK_E10value_typeEPNSQ_ISL_E10value_typeEPSM_NS1_7vsmem_tEENKUlT_SK_SL_SM_E_clISE_PiSF_SF_EESJ_SZ_SK_SL_SM_EUlSZ_E1_NS1_11comp_targetILNS1_3genE8ELNS1_11target_archE1030ELNS1_3gpuE2ELNS1_3repE0EEENS1_36merge_oddeven_config_static_selectorELNS0_4arch9wavefront6targetE1EEEvSL_
	.p2align	8
	.type	_ZN7rocprim17ROCPRIM_400000_NS6detail17trampoline_kernelINS0_14default_configENS1_38merge_sort_block_merge_config_selectorIiNS0_10empty_typeEEEZZNS1_27merge_sort_block_merge_implIS3_N6thrust23THRUST_200600_302600_NS6detail15normal_iteratorINS9_10device_ptrIiEEEEPS5_jNS1_19radix_merge_compareILb0ELb0EiNS0_19identity_decomposerEEEEE10hipError_tT0_T1_T2_jT3_P12ihipStream_tbPNSt15iterator_traitsISK_E10value_typeEPNSQ_ISL_E10value_typeEPSM_NS1_7vsmem_tEENKUlT_SK_SL_SM_E_clISE_PiSF_SF_EESJ_SZ_SK_SL_SM_EUlSZ_E1_NS1_11comp_targetILNS1_3genE8ELNS1_11target_archE1030ELNS1_3gpuE2ELNS1_3repE0EEENS1_36merge_oddeven_config_static_selectorELNS0_4arch9wavefront6targetE1EEEvSL_,@function
_ZN7rocprim17ROCPRIM_400000_NS6detail17trampoline_kernelINS0_14default_configENS1_38merge_sort_block_merge_config_selectorIiNS0_10empty_typeEEEZZNS1_27merge_sort_block_merge_implIS3_N6thrust23THRUST_200600_302600_NS6detail15normal_iteratorINS9_10device_ptrIiEEEEPS5_jNS1_19radix_merge_compareILb0ELb0EiNS0_19identity_decomposerEEEEE10hipError_tT0_T1_T2_jT3_P12ihipStream_tbPNSt15iterator_traitsISK_E10value_typeEPNSQ_ISL_E10value_typeEPSM_NS1_7vsmem_tEENKUlT_SK_SL_SM_E_clISE_PiSF_SF_EESJ_SZ_SK_SL_SM_EUlSZ_E1_NS1_11comp_targetILNS1_3genE8ELNS1_11target_archE1030ELNS1_3gpuE2ELNS1_3repE0EEENS1_36merge_oddeven_config_static_selectorELNS0_4arch9wavefront6targetE1EEEvSL_: ; @_ZN7rocprim17ROCPRIM_400000_NS6detail17trampoline_kernelINS0_14default_configENS1_38merge_sort_block_merge_config_selectorIiNS0_10empty_typeEEEZZNS1_27merge_sort_block_merge_implIS3_N6thrust23THRUST_200600_302600_NS6detail15normal_iteratorINS9_10device_ptrIiEEEEPS5_jNS1_19radix_merge_compareILb0ELb0EiNS0_19identity_decomposerEEEEE10hipError_tT0_T1_T2_jT3_P12ihipStream_tbPNSt15iterator_traitsISK_E10value_typeEPNSQ_ISL_E10value_typeEPSM_NS1_7vsmem_tEENKUlT_SK_SL_SM_E_clISE_PiSF_SF_EESJ_SZ_SK_SL_SM_EUlSZ_E1_NS1_11comp_targetILNS1_3genE8ELNS1_11target_archE1030ELNS1_3gpuE2ELNS1_3repE0EEENS1_36merge_oddeven_config_static_selectorELNS0_4arch9wavefront6targetE1EEEvSL_
; %bb.0:
	.section	.rodata,"a",@progbits
	.p2align	6, 0x0
	.amdhsa_kernel _ZN7rocprim17ROCPRIM_400000_NS6detail17trampoline_kernelINS0_14default_configENS1_38merge_sort_block_merge_config_selectorIiNS0_10empty_typeEEEZZNS1_27merge_sort_block_merge_implIS3_N6thrust23THRUST_200600_302600_NS6detail15normal_iteratorINS9_10device_ptrIiEEEEPS5_jNS1_19radix_merge_compareILb0ELb0EiNS0_19identity_decomposerEEEEE10hipError_tT0_T1_T2_jT3_P12ihipStream_tbPNSt15iterator_traitsISK_E10value_typeEPNSQ_ISL_E10value_typeEPSM_NS1_7vsmem_tEENKUlT_SK_SL_SM_E_clISE_PiSF_SF_EESJ_SZ_SK_SL_SM_EUlSZ_E1_NS1_11comp_targetILNS1_3genE8ELNS1_11target_archE1030ELNS1_3gpuE2ELNS1_3repE0EEENS1_36merge_oddeven_config_static_selectorELNS0_4arch9wavefront6targetE1EEEvSL_
		.amdhsa_group_segment_fixed_size 0
		.amdhsa_private_segment_fixed_size 0
		.amdhsa_kernarg_size 48
		.amdhsa_user_sgpr_count 6
		.amdhsa_user_sgpr_private_segment_buffer 1
		.amdhsa_user_sgpr_dispatch_ptr 0
		.amdhsa_user_sgpr_queue_ptr 0
		.amdhsa_user_sgpr_kernarg_segment_ptr 1
		.amdhsa_user_sgpr_dispatch_id 0
		.amdhsa_user_sgpr_flat_scratch_init 0
		.amdhsa_user_sgpr_kernarg_preload_length 0
		.amdhsa_user_sgpr_kernarg_preload_offset 0
		.amdhsa_user_sgpr_private_segment_size 0
		.amdhsa_uses_dynamic_stack 0
		.amdhsa_system_sgpr_private_segment_wavefront_offset 0
		.amdhsa_system_sgpr_workgroup_id_x 1
		.amdhsa_system_sgpr_workgroup_id_y 0
		.amdhsa_system_sgpr_workgroup_id_z 0
		.amdhsa_system_sgpr_workgroup_info 0
		.amdhsa_system_vgpr_workitem_id 0
		.amdhsa_next_free_vgpr 1
		.amdhsa_next_free_sgpr 0
		.amdhsa_accum_offset 4
		.amdhsa_reserve_vcc 0
		.amdhsa_reserve_flat_scratch 0
		.amdhsa_float_round_mode_32 0
		.amdhsa_float_round_mode_16_64 0
		.amdhsa_float_denorm_mode_32 3
		.amdhsa_float_denorm_mode_16_64 3
		.amdhsa_dx10_clamp 1
		.amdhsa_ieee_mode 1
		.amdhsa_fp16_overflow 0
		.amdhsa_tg_split 0
		.amdhsa_exception_fp_ieee_invalid_op 0
		.amdhsa_exception_fp_denorm_src 0
		.amdhsa_exception_fp_ieee_div_zero 0
		.amdhsa_exception_fp_ieee_overflow 0
		.amdhsa_exception_fp_ieee_underflow 0
		.amdhsa_exception_fp_ieee_inexact 0
		.amdhsa_exception_int_div_zero 0
	.end_amdhsa_kernel
	.section	.text._ZN7rocprim17ROCPRIM_400000_NS6detail17trampoline_kernelINS0_14default_configENS1_38merge_sort_block_merge_config_selectorIiNS0_10empty_typeEEEZZNS1_27merge_sort_block_merge_implIS3_N6thrust23THRUST_200600_302600_NS6detail15normal_iteratorINS9_10device_ptrIiEEEEPS5_jNS1_19radix_merge_compareILb0ELb0EiNS0_19identity_decomposerEEEEE10hipError_tT0_T1_T2_jT3_P12ihipStream_tbPNSt15iterator_traitsISK_E10value_typeEPNSQ_ISL_E10value_typeEPSM_NS1_7vsmem_tEENKUlT_SK_SL_SM_E_clISE_PiSF_SF_EESJ_SZ_SK_SL_SM_EUlSZ_E1_NS1_11comp_targetILNS1_3genE8ELNS1_11target_archE1030ELNS1_3gpuE2ELNS1_3repE0EEENS1_36merge_oddeven_config_static_selectorELNS0_4arch9wavefront6targetE1EEEvSL_,"axG",@progbits,_ZN7rocprim17ROCPRIM_400000_NS6detail17trampoline_kernelINS0_14default_configENS1_38merge_sort_block_merge_config_selectorIiNS0_10empty_typeEEEZZNS1_27merge_sort_block_merge_implIS3_N6thrust23THRUST_200600_302600_NS6detail15normal_iteratorINS9_10device_ptrIiEEEEPS5_jNS1_19radix_merge_compareILb0ELb0EiNS0_19identity_decomposerEEEEE10hipError_tT0_T1_T2_jT3_P12ihipStream_tbPNSt15iterator_traitsISK_E10value_typeEPNSQ_ISL_E10value_typeEPSM_NS1_7vsmem_tEENKUlT_SK_SL_SM_E_clISE_PiSF_SF_EESJ_SZ_SK_SL_SM_EUlSZ_E1_NS1_11comp_targetILNS1_3genE8ELNS1_11target_archE1030ELNS1_3gpuE2ELNS1_3repE0EEENS1_36merge_oddeven_config_static_selectorELNS0_4arch9wavefront6targetE1EEEvSL_,comdat
.Lfunc_end1661:
	.size	_ZN7rocprim17ROCPRIM_400000_NS6detail17trampoline_kernelINS0_14default_configENS1_38merge_sort_block_merge_config_selectorIiNS0_10empty_typeEEEZZNS1_27merge_sort_block_merge_implIS3_N6thrust23THRUST_200600_302600_NS6detail15normal_iteratorINS9_10device_ptrIiEEEEPS5_jNS1_19radix_merge_compareILb0ELb0EiNS0_19identity_decomposerEEEEE10hipError_tT0_T1_T2_jT3_P12ihipStream_tbPNSt15iterator_traitsISK_E10value_typeEPNSQ_ISL_E10value_typeEPSM_NS1_7vsmem_tEENKUlT_SK_SL_SM_E_clISE_PiSF_SF_EESJ_SZ_SK_SL_SM_EUlSZ_E1_NS1_11comp_targetILNS1_3genE8ELNS1_11target_archE1030ELNS1_3gpuE2ELNS1_3repE0EEENS1_36merge_oddeven_config_static_selectorELNS0_4arch9wavefront6targetE1EEEvSL_, .Lfunc_end1661-_ZN7rocprim17ROCPRIM_400000_NS6detail17trampoline_kernelINS0_14default_configENS1_38merge_sort_block_merge_config_selectorIiNS0_10empty_typeEEEZZNS1_27merge_sort_block_merge_implIS3_N6thrust23THRUST_200600_302600_NS6detail15normal_iteratorINS9_10device_ptrIiEEEEPS5_jNS1_19radix_merge_compareILb0ELb0EiNS0_19identity_decomposerEEEEE10hipError_tT0_T1_T2_jT3_P12ihipStream_tbPNSt15iterator_traitsISK_E10value_typeEPNSQ_ISL_E10value_typeEPSM_NS1_7vsmem_tEENKUlT_SK_SL_SM_E_clISE_PiSF_SF_EESJ_SZ_SK_SL_SM_EUlSZ_E1_NS1_11comp_targetILNS1_3genE8ELNS1_11target_archE1030ELNS1_3gpuE2ELNS1_3repE0EEENS1_36merge_oddeven_config_static_selectorELNS0_4arch9wavefront6targetE1EEEvSL_
                                        ; -- End function
	.section	.AMDGPU.csdata,"",@progbits
; Kernel info:
; codeLenInByte = 0
; NumSgprs: 4
; NumVgprs: 0
; NumAgprs: 0
; TotalNumVgprs: 0
; ScratchSize: 0
; MemoryBound: 0
; FloatMode: 240
; IeeeMode: 1
; LDSByteSize: 0 bytes/workgroup (compile time only)
; SGPRBlocks: 0
; VGPRBlocks: 0
; NumSGPRsForWavesPerEU: 4
; NumVGPRsForWavesPerEU: 1
; AccumOffset: 4
; Occupancy: 8
; WaveLimiterHint : 0
; COMPUTE_PGM_RSRC2:SCRATCH_EN: 0
; COMPUTE_PGM_RSRC2:USER_SGPR: 6
; COMPUTE_PGM_RSRC2:TRAP_HANDLER: 0
; COMPUTE_PGM_RSRC2:TGID_X_EN: 1
; COMPUTE_PGM_RSRC2:TGID_Y_EN: 0
; COMPUTE_PGM_RSRC2:TGID_Z_EN: 0
; COMPUTE_PGM_RSRC2:TIDIG_COMP_CNT: 0
; COMPUTE_PGM_RSRC3_GFX90A:ACCUM_OFFSET: 0
; COMPUTE_PGM_RSRC3_GFX90A:TG_SPLIT: 0
	.section	.text._ZN7rocprim17ROCPRIM_400000_NS6detail17trampoline_kernelINS0_14default_configENS1_25transform_config_selectorIiLb0EEEZNS1_14transform_implILb0ES3_S5_PiN6thrust23THRUST_200600_302600_NS6detail15normal_iteratorINS9_10device_ptrIiEEEENS0_8identityIiEEEE10hipError_tT2_T3_mT4_P12ihipStream_tbEUlT_E_NS1_11comp_targetILNS1_3genE0ELNS1_11target_archE4294967295ELNS1_3gpuE0ELNS1_3repE0EEENS1_30default_config_static_selectorELNS0_4arch9wavefront6targetE1EEEvT1_,"axG",@progbits,_ZN7rocprim17ROCPRIM_400000_NS6detail17trampoline_kernelINS0_14default_configENS1_25transform_config_selectorIiLb0EEEZNS1_14transform_implILb0ES3_S5_PiN6thrust23THRUST_200600_302600_NS6detail15normal_iteratorINS9_10device_ptrIiEEEENS0_8identityIiEEEE10hipError_tT2_T3_mT4_P12ihipStream_tbEUlT_E_NS1_11comp_targetILNS1_3genE0ELNS1_11target_archE4294967295ELNS1_3gpuE0ELNS1_3repE0EEENS1_30default_config_static_selectorELNS0_4arch9wavefront6targetE1EEEvT1_,comdat
	.protected	_ZN7rocprim17ROCPRIM_400000_NS6detail17trampoline_kernelINS0_14default_configENS1_25transform_config_selectorIiLb0EEEZNS1_14transform_implILb0ES3_S5_PiN6thrust23THRUST_200600_302600_NS6detail15normal_iteratorINS9_10device_ptrIiEEEENS0_8identityIiEEEE10hipError_tT2_T3_mT4_P12ihipStream_tbEUlT_E_NS1_11comp_targetILNS1_3genE0ELNS1_11target_archE4294967295ELNS1_3gpuE0ELNS1_3repE0EEENS1_30default_config_static_selectorELNS0_4arch9wavefront6targetE1EEEvT1_ ; -- Begin function _ZN7rocprim17ROCPRIM_400000_NS6detail17trampoline_kernelINS0_14default_configENS1_25transform_config_selectorIiLb0EEEZNS1_14transform_implILb0ES3_S5_PiN6thrust23THRUST_200600_302600_NS6detail15normal_iteratorINS9_10device_ptrIiEEEENS0_8identityIiEEEE10hipError_tT2_T3_mT4_P12ihipStream_tbEUlT_E_NS1_11comp_targetILNS1_3genE0ELNS1_11target_archE4294967295ELNS1_3gpuE0ELNS1_3repE0EEENS1_30default_config_static_selectorELNS0_4arch9wavefront6targetE1EEEvT1_
	.globl	_ZN7rocprim17ROCPRIM_400000_NS6detail17trampoline_kernelINS0_14default_configENS1_25transform_config_selectorIiLb0EEEZNS1_14transform_implILb0ES3_S5_PiN6thrust23THRUST_200600_302600_NS6detail15normal_iteratorINS9_10device_ptrIiEEEENS0_8identityIiEEEE10hipError_tT2_T3_mT4_P12ihipStream_tbEUlT_E_NS1_11comp_targetILNS1_3genE0ELNS1_11target_archE4294967295ELNS1_3gpuE0ELNS1_3repE0EEENS1_30default_config_static_selectorELNS0_4arch9wavefront6targetE1EEEvT1_
	.p2align	8
	.type	_ZN7rocprim17ROCPRIM_400000_NS6detail17trampoline_kernelINS0_14default_configENS1_25transform_config_selectorIiLb0EEEZNS1_14transform_implILb0ES3_S5_PiN6thrust23THRUST_200600_302600_NS6detail15normal_iteratorINS9_10device_ptrIiEEEENS0_8identityIiEEEE10hipError_tT2_T3_mT4_P12ihipStream_tbEUlT_E_NS1_11comp_targetILNS1_3genE0ELNS1_11target_archE4294967295ELNS1_3gpuE0ELNS1_3repE0EEENS1_30default_config_static_selectorELNS0_4arch9wavefront6targetE1EEEvT1_,@function
_ZN7rocprim17ROCPRIM_400000_NS6detail17trampoline_kernelINS0_14default_configENS1_25transform_config_selectorIiLb0EEEZNS1_14transform_implILb0ES3_S5_PiN6thrust23THRUST_200600_302600_NS6detail15normal_iteratorINS9_10device_ptrIiEEEENS0_8identityIiEEEE10hipError_tT2_T3_mT4_P12ihipStream_tbEUlT_E_NS1_11comp_targetILNS1_3genE0ELNS1_11target_archE4294967295ELNS1_3gpuE0ELNS1_3repE0EEENS1_30default_config_static_selectorELNS0_4arch9wavefront6targetE1EEEvT1_: ; @_ZN7rocprim17ROCPRIM_400000_NS6detail17trampoline_kernelINS0_14default_configENS1_25transform_config_selectorIiLb0EEEZNS1_14transform_implILb0ES3_S5_PiN6thrust23THRUST_200600_302600_NS6detail15normal_iteratorINS9_10device_ptrIiEEEENS0_8identityIiEEEE10hipError_tT2_T3_mT4_P12ihipStream_tbEUlT_E_NS1_11comp_targetILNS1_3genE0ELNS1_11target_archE4294967295ELNS1_3gpuE0ELNS1_3repE0EEENS1_30default_config_static_selectorELNS0_4arch9wavefront6targetE1EEEvT1_
; %bb.0:
	.section	.rodata,"a",@progbits
	.p2align	6, 0x0
	.amdhsa_kernel _ZN7rocprim17ROCPRIM_400000_NS6detail17trampoline_kernelINS0_14default_configENS1_25transform_config_selectorIiLb0EEEZNS1_14transform_implILb0ES3_S5_PiN6thrust23THRUST_200600_302600_NS6detail15normal_iteratorINS9_10device_ptrIiEEEENS0_8identityIiEEEE10hipError_tT2_T3_mT4_P12ihipStream_tbEUlT_E_NS1_11comp_targetILNS1_3genE0ELNS1_11target_archE4294967295ELNS1_3gpuE0ELNS1_3repE0EEENS1_30default_config_static_selectorELNS0_4arch9wavefront6targetE1EEEvT1_
		.amdhsa_group_segment_fixed_size 0
		.amdhsa_private_segment_fixed_size 0
		.amdhsa_kernarg_size 40
		.amdhsa_user_sgpr_count 6
		.amdhsa_user_sgpr_private_segment_buffer 1
		.amdhsa_user_sgpr_dispatch_ptr 0
		.amdhsa_user_sgpr_queue_ptr 0
		.amdhsa_user_sgpr_kernarg_segment_ptr 1
		.amdhsa_user_sgpr_dispatch_id 0
		.amdhsa_user_sgpr_flat_scratch_init 0
		.amdhsa_user_sgpr_kernarg_preload_length 0
		.amdhsa_user_sgpr_kernarg_preload_offset 0
		.amdhsa_user_sgpr_private_segment_size 0
		.amdhsa_uses_dynamic_stack 0
		.amdhsa_system_sgpr_private_segment_wavefront_offset 0
		.amdhsa_system_sgpr_workgroup_id_x 1
		.amdhsa_system_sgpr_workgroup_id_y 0
		.amdhsa_system_sgpr_workgroup_id_z 0
		.amdhsa_system_sgpr_workgroup_info 0
		.amdhsa_system_vgpr_workitem_id 0
		.amdhsa_next_free_vgpr 1
		.amdhsa_next_free_sgpr 0
		.amdhsa_accum_offset 4
		.amdhsa_reserve_vcc 0
		.amdhsa_reserve_flat_scratch 0
		.amdhsa_float_round_mode_32 0
		.amdhsa_float_round_mode_16_64 0
		.amdhsa_float_denorm_mode_32 3
		.amdhsa_float_denorm_mode_16_64 3
		.amdhsa_dx10_clamp 1
		.amdhsa_ieee_mode 1
		.amdhsa_fp16_overflow 0
		.amdhsa_tg_split 0
		.amdhsa_exception_fp_ieee_invalid_op 0
		.amdhsa_exception_fp_denorm_src 0
		.amdhsa_exception_fp_ieee_div_zero 0
		.amdhsa_exception_fp_ieee_overflow 0
		.amdhsa_exception_fp_ieee_underflow 0
		.amdhsa_exception_fp_ieee_inexact 0
		.amdhsa_exception_int_div_zero 0
	.end_amdhsa_kernel
	.section	.text._ZN7rocprim17ROCPRIM_400000_NS6detail17trampoline_kernelINS0_14default_configENS1_25transform_config_selectorIiLb0EEEZNS1_14transform_implILb0ES3_S5_PiN6thrust23THRUST_200600_302600_NS6detail15normal_iteratorINS9_10device_ptrIiEEEENS0_8identityIiEEEE10hipError_tT2_T3_mT4_P12ihipStream_tbEUlT_E_NS1_11comp_targetILNS1_3genE0ELNS1_11target_archE4294967295ELNS1_3gpuE0ELNS1_3repE0EEENS1_30default_config_static_selectorELNS0_4arch9wavefront6targetE1EEEvT1_,"axG",@progbits,_ZN7rocprim17ROCPRIM_400000_NS6detail17trampoline_kernelINS0_14default_configENS1_25transform_config_selectorIiLb0EEEZNS1_14transform_implILb0ES3_S5_PiN6thrust23THRUST_200600_302600_NS6detail15normal_iteratorINS9_10device_ptrIiEEEENS0_8identityIiEEEE10hipError_tT2_T3_mT4_P12ihipStream_tbEUlT_E_NS1_11comp_targetILNS1_3genE0ELNS1_11target_archE4294967295ELNS1_3gpuE0ELNS1_3repE0EEENS1_30default_config_static_selectorELNS0_4arch9wavefront6targetE1EEEvT1_,comdat
.Lfunc_end1662:
	.size	_ZN7rocprim17ROCPRIM_400000_NS6detail17trampoline_kernelINS0_14default_configENS1_25transform_config_selectorIiLb0EEEZNS1_14transform_implILb0ES3_S5_PiN6thrust23THRUST_200600_302600_NS6detail15normal_iteratorINS9_10device_ptrIiEEEENS0_8identityIiEEEE10hipError_tT2_T3_mT4_P12ihipStream_tbEUlT_E_NS1_11comp_targetILNS1_3genE0ELNS1_11target_archE4294967295ELNS1_3gpuE0ELNS1_3repE0EEENS1_30default_config_static_selectorELNS0_4arch9wavefront6targetE1EEEvT1_, .Lfunc_end1662-_ZN7rocprim17ROCPRIM_400000_NS6detail17trampoline_kernelINS0_14default_configENS1_25transform_config_selectorIiLb0EEEZNS1_14transform_implILb0ES3_S5_PiN6thrust23THRUST_200600_302600_NS6detail15normal_iteratorINS9_10device_ptrIiEEEENS0_8identityIiEEEE10hipError_tT2_T3_mT4_P12ihipStream_tbEUlT_E_NS1_11comp_targetILNS1_3genE0ELNS1_11target_archE4294967295ELNS1_3gpuE0ELNS1_3repE0EEENS1_30default_config_static_selectorELNS0_4arch9wavefront6targetE1EEEvT1_
                                        ; -- End function
	.section	.AMDGPU.csdata,"",@progbits
; Kernel info:
; codeLenInByte = 0
; NumSgprs: 4
; NumVgprs: 0
; NumAgprs: 0
; TotalNumVgprs: 0
; ScratchSize: 0
; MemoryBound: 0
; FloatMode: 240
; IeeeMode: 1
; LDSByteSize: 0 bytes/workgroup (compile time only)
; SGPRBlocks: 0
; VGPRBlocks: 0
; NumSGPRsForWavesPerEU: 4
; NumVGPRsForWavesPerEU: 1
; AccumOffset: 4
; Occupancy: 8
; WaveLimiterHint : 0
; COMPUTE_PGM_RSRC2:SCRATCH_EN: 0
; COMPUTE_PGM_RSRC2:USER_SGPR: 6
; COMPUTE_PGM_RSRC2:TRAP_HANDLER: 0
; COMPUTE_PGM_RSRC2:TGID_X_EN: 1
; COMPUTE_PGM_RSRC2:TGID_Y_EN: 0
; COMPUTE_PGM_RSRC2:TGID_Z_EN: 0
; COMPUTE_PGM_RSRC2:TIDIG_COMP_CNT: 0
; COMPUTE_PGM_RSRC3_GFX90A:ACCUM_OFFSET: 0
; COMPUTE_PGM_RSRC3_GFX90A:TG_SPLIT: 0
	.section	.text._ZN7rocprim17ROCPRIM_400000_NS6detail17trampoline_kernelINS0_14default_configENS1_25transform_config_selectorIiLb0EEEZNS1_14transform_implILb0ES3_S5_PiN6thrust23THRUST_200600_302600_NS6detail15normal_iteratorINS9_10device_ptrIiEEEENS0_8identityIiEEEE10hipError_tT2_T3_mT4_P12ihipStream_tbEUlT_E_NS1_11comp_targetILNS1_3genE5ELNS1_11target_archE942ELNS1_3gpuE9ELNS1_3repE0EEENS1_30default_config_static_selectorELNS0_4arch9wavefront6targetE1EEEvT1_,"axG",@progbits,_ZN7rocprim17ROCPRIM_400000_NS6detail17trampoline_kernelINS0_14default_configENS1_25transform_config_selectorIiLb0EEEZNS1_14transform_implILb0ES3_S5_PiN6thrust23THRUST_200600_302600_NS6detail15normal_iteratorINS9_10device_ptrIiEEEENS0_8identityIiEEEE10hipError_tT2_T3_mT4_P12ihipStream_tbEUlT_E_NS1_11comp_targetILNS1_3genE5ELNS1_11target_archE942ELNS1_3gpuE9ELNS1_3repE0EEENS1_30default_config_static_selectorELNS0_4arch9wavefront6targetE1EEEvT1_,comdat
	.protected	_ZN7rocprim17ROCPRIM_400000_NS6detail17trampoline_kernelINS0_14default_configENS1_25transform_config_selectorIiLb0EEEZNS1_14transform_implILb0ES3_S5_PiN6thrust23THRUST_200600_302600_NS6detail15normal_iteratorINS9_10device_ptrIiEEEENS0_8identityIiEEEE10hipError_tT2_T3_mT4_P12ihipStream_tbEUlT_E_NS1_11comp_targetILNS1_3genE5ELNS1_11target_archE942ELNS1_3gpuE9ELNS1_3repE0EEENS1_30default_config_static_selectorELNS0_4arch9wavefront6targetE1EEEvT1_ ; -- Begin function _ZN7rocprim17ROCPRIM_400000_NS6detail17trampoline_kernelINS0_14default_configENS1_25transform_config_selectorIiLb0EEEZNS1_14transform_implILb0ES3_S5_PiN6thrust23THRUST_200600_302600_NS6detail15normal_iteratorINS9_10device_ptrIiEEEENS0_8identityIiEEEE10hipError_tT2_T3_mT4_P12ihipStream_tbEUlT_E_NS1_11comp_targetILNS1_3genE5ELNS1_11target_archE942ELNS1_3gpuE9ELNS1_3repE0EEENS1_30default_config_static_selectorELNS0_4arch9wavefront6targetE1EEEvT1_
	.globl	_ZN7rocprim17ROCPRIM_400000_NS6detail17trampoline_kernelINS0_14default_configENS1_25transform_config_selectorIiLb0EEEZNS1_14transform_implILb0ES3_S5_PiN6thrust23THRUST_200600_302600_NS6detail15normal_iteratorINS9_10device_ptrIiEEEENS0_8identityIiEEEE10hipError_tT2_T3_mT4_P12ihipStream_tbEUlT_E_NS1_11comp_targetILNS1_3genE5ELNS1_11target_archE942ELNS1_3gpuE9ELNS1_3repE0EEENS1_30default_config_static_selectorELNS0_4arch9wavefront6targetE1EEEvT1_
	.p2align	8
	.type	_ZN7rocprim17ROCPRIM_400000_NS6detail17trampoline_kernelINS0_14default_configENS1_25transform_config_selectorIiLb0EEEZNS1_14transform_implILb0ES3_S5_PiN6thrust23THRUST_200600_302600_NS6detail15normal_iteratorINS9_10device_ptrIiEEEENS0_8identityIiEEEE10hipError_tT2_T3_mT4_P12ihipStream_tbEUlT_E_NS1_11comp_targetILNS1_3genE5ELNS1_11target_archE942ELNS1_3gpuE9ELNS1_3repE0EEENS1_30default_config_static_selectorELNS0_4arch9wavefront6targetE1EEEvT1_,@function
_ZN7rocprim17ROCPRIM_400000_NS6detail17trampoline_kernelINS0_14default_configENS1_25transform_config_selectorIiLb0EEEZNS1_14transform_implILb0ES3_S5_PiN6thrust23THRUST_200600_302600_NS6detail15normal_iteratorINS9_10device_ptrIiEEEENS0_8identityIiEEEE10hipError_tT2_T3_mT4_P12ihipStream_tbEUlT_E_NS1_11comp_targetILNS1_3genE5ELNS1_11target_archE942ELNS1_3gpuE9ELNS1_3repE0EEENS1_30default_config_static_selectorELNS0_4arch9wavefront6targetE1EEEvT1_: ; @_ZN7rocprim17ROCPRIM_400000_NS6detail17trampoline_kernelINS0_14default_configENS1_25transform_config_selectorIiLb0EEEZNS1_14transform_implILb0ES3_S5_PiN6thrust23THRUST_200600_302600_NS6detail15normal_iteratorINS9_10device_ptrIiEEEENS0_8identityIiEEEE10hipError_tT2_T3_mT4_P12ihipStream_tbEUlT_E_NS1_11comp_targetILNS1_3genE5ELNS1_11target_archE942ELNS1_3gpuE9ELNS1_3repE0EEENS1_30default_config_static_selectorELNS0_4arch9wavefront6targetE1EEEvT1_
; %bb.0:
	.section	.rodata,"a",@progbits
	.p2align	6, 0x0
	.amdhsa_kernel _ZN7rocprim17ROCPRIM_400000_NS6detail17trampoline_kernelINS0_14default_configENS1_25transform_config_selectorIiLb0EEEZNS1_14transform_implILb0ES3_S5_PiN6thrust23THRUST_200600_302600_NS6detail15normal_iteratorINS9_10device_ptrIiEEEENS0_8identityIiEEEE10hipError_tT2_T3_mT4_P12ihipStream_tbEUlT_E_NS1_11comp_targetILNS1_3genE5ELNS1_11target_archE942ELNS1_3gpuE9ELNS1_3repE0EEENS1_30default_config_static_selectorELNS0_4arch9wavefront6targetE1EEEvT1_
		.amdhsa_group_segment_fixed_size 0
		.amdhsa_private_segment_fixed_size 0
		.amdhsa_kernarg_size 40
		.amdhsa_user_sgpr_count 6
		.amdhsa_user_sgpr_private_segment_buffer 1
		.amdhsa_user_sgpr_dispatch_ptr 0
		.amdhsa_user_sgpr_queue_ptr 0
		.amdhsa_user_sgpr_kernarg_segment_ptr 1
		.amdhsa_user_sgpr_dispatch_id 0
		.amdhsa_user_sgpr_flat_scratch_init 0
		.amdhsa_user_sgpr_kernarg_preload_length 0
		.amdhsa_user_sgpr_kernarg_preload_offset 0
		.amdhsa_user_sgpr_private_segment_size 0
		.amdhsa_uses_dynamic_stack 0
		.amdhsa_system_sgpr_private_segment_wavefront_offset 0
		.amdhsa_system_sgpr_workgroup_id_x 1
		.amdhsa_system_sgpr_workgroup_id_y 0
		.amdhsa_system_sgpr_workgroup_id_z 0
		.amdhsa_system_sgpr_workgroup_info 0
		.amdhsa_system_vgpr_workitem_id 0
		.amdhsa_next_free_vgpr 1
		.amdhsa_next_free_sgpr 0
		.amdhsa_accum_offset 4
		.amdhsa_reserve_vcc 0
		.amdhsa_reserve_flat_scratch 0
		.amdhsa_float_round_mode_32 0
		.amdhsa_float_round_mode_16_64 0
		.amdhsa_float_denorm_mode_32 3
		.amdhsa_float_denorm_mode_16_64 3
		.amdhsa_dx10_clamp 1
		.amdhsa_ieee_mode 1
		.amdhsa_fp16_overflow 0
		.amdhsa_tg_split 0
		.amdhsa_exception_fp_ieee_invalid_op 0
		.amdhsa_exception_fp_denorm_src 0
		.amdhsa_exception_fp_ieee_div_zero 0
		.amdhsa_exception_fp_ieee_overflow 0
		.amdhsa_exception_fp_ieee_underflow 0
		.amdhsa_exception_fp_ieee_inexact 0
		.amdhsa_exception_int_div_zero 0
	.end_amdhsa_kernel
	.section	.text._ZN7rocprim17ROCPRIM_400000_NS6detail17trampoline_kernelINS0_14default_configENS1_25transform_config_selectorIiLb0EEEZNS1_14transform_implILb0ES3_S5_PiN6thrust23THRUST_200600_302600_NS6detail15normal_iteratorINS9_10device_ptrIiEEEENS0_8identityIiEEEE10hipError_tT2_T3_mT4_P12ihipStream_tbEUlT_E_NS1_11comp_targetILNS1_3genE5ELNS1_11target_archE942ELNS1_3gpuE9ELNS1_3repE0EEENS1_30default_config_static_selectorELNS0_4arch9wavefront6targetE1EEEvT1_,"axG",@progbits,_ZN7rocprim17ROCPRIM_400000_NS6detail17trampoline_kernelINS0_14default_configENS1_25transform_config_selectorIiLb0EEEZNS1_14transform_implILb0ES3_S5_PiN6thrust23THRUST_200600_302600_NS6detail15normal_iteratorINS9_10device_ptrIiEEEENS0_8identityIiEEEE10hipError_tT2_T3_mT4_P12ihipStream_tbEUlT_E_NS1_11comp_targetILNS1_3genE5ELNS1_11target_archE942ELNS1_3gpuE9ELNS1_3repE0EEENS1_30default_config_static_selectorELNS0_4arch9wavefront6targetE1EEEvT1_,comdat
.Lfunc_end1663:
	.size	_ZN7rocprim17ROCPRIM_400000_NS6detail17trampoline_kernelINS0_14default_configENS1_25transform_config_selectorIiLb0EEEZNS1_14transform_implILb0ES3_S5_PiN6thrust23THRUST_200600_302600_NS6detail15normal_iteratorINS9_10device_ptrIiEEEENS0_8identityIiEEEE10hipError_tT2_T3_mT4_P12ihipStream_tbEUlT_E_NS1_11comp_targetILNS1_3genE5ELNS1_11target_archE942ELNS1_3gpuE9ELNS1_3repE0EEENS1_30default_config_static_selectorELNS0_4arch9wavefront6targetE1EEEvT1_, .Lfunc_end1663-_ZN7rocprim17ROCPRIM_400000_NS6detail17trampoline_kernelINS0_14default_configENS1_25transform_config_selectorIiLb0EEEZNS1_14transform_implILb0ES3_S5_PiN6thrust23THRUST_200600_302600_NS6detail15normal_iteratorINS9_10device_ptrIiEEEENS0_8identityIiEEEE10hipError_tT2_T3_mT4_P12ihipStream_tbEUlT_E_NS1_11comp_targetILNS1_3genE5ELNS1_11target_archE942ELNS1_3gpuE9ELNS1_3repE0EEENS1_30default_config_static_selectorELNS0_4arch9wavefront6targetE1EEEvT1_
                                        ; -- End function
	.section	.AMDGPU.csdata,"",@progbits
; Kernel info:
; codeLenInByte = 0
; NumSgprs: 4
; NumVgprs: 0
; NumAgprs: 0
; TotalNumVgprs: 0
; ScratchSize: 0
; MemoryBound: 0
; FloatMode: 240
; IeeeMode: 1
; LDSByteSize: 0 bytes/workgroup (compile time only)
; SGPRBlocks: 0
; VGPRBlocks: 0
; NumSGPRsForWavesPerEU: 4
; NumVGPRsForWavesPerEU: 1
; AccumOffset: 4
; Occupancy: 8
; WaveLimiterHint : 0
; COMPUTE_PGM_RSRC2:SCRATCH_EN: 0
; COMPUTE_PGM_RSRC2:USER_SGPR: 6
; COMPUTE_PGM_RSRC2:TRAP_HANDLER: 0
; COMPUTE_PGM_RSRC2:TGID_X_EN: 1
; COMPUTE_PGM_RSRC2:TGID_Y_EN: 0
; COMPUTE_PGM_RSRC2:TGID_Z_EN: 0
; COMPUTE_PGM_RSRC2:TIDIG_COMP_CNT: 0
; COMPUTE_PGM_RSRC3_GFX90A:ACCUM_OFFSET: 0
; COMPUTE_PGM_RSRC3_GFX90A:TG_SPLIT: 0
	.section	.text._ZN7rocprim17ROCPRIM_400000_NS6detail17trampoline_kernelINS0_14default_configENS1_25transform_config_selectorIiLb0EEEZNS1_14transform_implILb0ES3_S5_PiN6thrust23THRUST_200600_302600_NS6detail15normal_iteratorINS9_10device_ptrIiEEEENS0_8identityIiEEEE10hipError_tT2_T3_mT4_P12ihipStream_tbEUlT_E_NS1_11comp_targetILNS1_3genE4ELNS1_11target_archE910ELNS1_3gpuE8ELNS1_3repE0EEENS1_30default_config_static_selectorELNS0_4arch9wavefront6targetE1EEEvT1_,"axG",@progbits,_ZN7rocprim17ROCPRIM_400000_NS6detail17trampoline_kernelINS0_14default_configENS1_25transform_config_selectorIiLb0EEEZNS1_14transform_implILb0ES3_S5_PiN6thrust23THRUST_200600_302600_NS6detail15normal_iteratorINS9_10device_ptrIiEEEENS0_8identityIiEEEE10hipError_tT2_T3_mT4_P12ihipStream_tbEUlT_E_NS1_11comp_targetILNS1_3genE4ELNS1_11target_archE910ELNS1_3gpuE8ELNS1_3repE0EEENS1_30default_config_static_selectorELNS0_4arch9wavefront6targetE1EEEvT1_,comdat
	.protected	_ZN7rocprim17ROCPRIM_400000_NS6detail17trampoline_kernelINS0_14default_configENS1_25transform_config_selectorIiLb0EEEZNS1_14transform_implILb0ES3_S5_PiN6thrust23THRUST_200600_302600_NS6detail15normal_iteratorINS9_10device_ptrIiEEEENS0_8identityIiEEEE10hipError_tT2_T3_mT4_P12ihipStream_tbEUlT_E_NS1_11comp_targetILNS1_3genE4ELNS1_11target_archE910ELNS1_3gpuE8ELNS1_3repE0EEENS1_30default_config_static_selectorELNS0_4arch9wavefront6targetE1EEEvT1_ ; -- Begin function _ZN7rocprim17ROCPRIM_400000_NS6detail17trampoline_kernelINS0_14default_configENS1_25transform_config_selectorIiLb0EEEZNS1_14transform_implILb0ES3_S5_PiN6thrust23THRUST_200600_302600_NS6detail15normal_iteratorINS9_10device_ptrIiEEEENS0_8identityIiEEEE10hipError_tT2_T3_mT4_P12ihipStream_tbEUlT_E_NS1_11comp_targetILNS1_3genE4ELNS1_11target_archE910ELNS1_3gpuE8ELNS1_3repE0EEENS1_30default_config_static_selectorELNS0_4arch9wavefront6targetE1EEEvT1_
	.globl	_ZN7rocprim17ROCPRIM_400000_NS6detail17trampoline_kernelINS0_14default_configENS1_25transform_config_selectorIiLb0EEEZNS1_14transform_implILb0ES3_S5_PiN6thrust23THRUST_200600_302600_NS6detail15normal_iteratorINS9_10device_ptrIiEEEENS0_8identityIiEEEE10hipError_tT2_T3_mT4_P12ihipStream_tbEUlT_E_NS1_11comp_targetILNS1_3genE4ELNS1_11target_archE910ELNS1_3gpuE8ELNS1_3repE0EEENS1_30default_config_static_selectorELNS0_4arch9wavefront6targetE1EEEvT1_
	.p2align	8
	.type	_ZN7rocprim17ROCPRIM_400000_NS6detail17trampoline_kernelINS0_14default_configENS1_25transform_config_selectorIiLb0EEEZNS1_14transform_implILb0ES3_S5_PiN6thrust23THRUST_200600_302600_NS6detail15normal_iteratorINS9_10device_ptrIiEEEENS0_8identityIiEEEE10hipError_tT2_T3_mT4_P12ihipStream_tbEUlT_E_NS1_11comp_targetILNS1_3genE4ELNS1_11target_archE910ELNS1_3gpuE8ELNS1_3repE0EEENS1_30default_config_static_selectorELNS0_4arch9wavefront6targetE1EEEvT1_,@function
_ZN7rocprim17ROCPRIM_400000_NS6detail17trampoline_kernelINS0_14default_configENS1_25transform_config_selectorIiLb0EEEZNS1_14transform_implILb0ES3_S5_PiN6thrust23THRUST_200600_302600_NS6detail15normal_iteratorINS9_10device_ptrIiEEEENS0_8identityIiEEEE10hipError_tT2_T3_mT4_P12ihipStream_tbEUlT_E_NS1_11comp_targetILNS1_3genE4ELNS1_11target_archE910ELNS1_3gpuE8ELNS1_3repE0EEENS1_30default_config_static_selectorELNS0_4arch9wavefront6targetE1EEEvT1_: ; @_ZN7rocprim17ROCPRIM_400000_NS6detail17trampoline_kernelINS0_14default_configENS1_25transform_config_selectorIiLb0EEEZNS1_14transform_implILb0ES3_S5_PiN6thrust23THRUST_200600_302600_NS6detail15normal_iteratorINS9_10device_ptrIiEEEENS0_8identityIiEEEE10hipError_tT2_T3_mT4_P12ihipStream_tbEUlT_E_NS1_11comp_targetILNS1_3genE4ELNS1_11target_archE910ELNS1_3gpuE8ELNS1_3repE0EEENS1_30default_config_static_selectorELNS0_4arch9wavefront6targetE1EEEvT1_
; %bb.0:
	s_load_dwordx8 s[8:15], s[4:5], 0x0
	s_load_dword s2, s[4:5], 0x28
	v_lshlrev_b32_e32 v1, 2, v0
	s_waitcnt lgkmcnt(0)
	s_lshl_b64 s[0:1], s[10:11], 2
	s_add_u32 s4, s8, s0
	s_addc_u32 s5, s9, s1
	s_add_u32 s10, s14, s0
	s_addc_u32 s11, s15, s1
	s_lshl_b32 s0, s6, 11
	s_mov_b32 s1, 0
	s_add_i32 s7, s2, -1
	s_lshl_b64 s[2:3], s[0:1], 2
	s_add_u32 s8, s4, s2
	s_addc_u32 s9, s5, s3
	s_cmp_lg_u32 s6, s7
	s_cbranch_scc0 .LBB1664_2
; %bb.1:
	v_mov_b32_e32 v2, s9
	v_add_co_u32_e32 v3, vcc, s8, v1
	v_addc_co_u32_e32 v4, vcc, 0, v2, vcc
	v_add_co_u32_e32 v2, vcc, 0x1000, v3
	global_load_dword v6, v1, s[8:9]
	v_addc_co_u32_e32 v3, vcc, 0, v4, vcc
	global_load_dword v3, v[2:3], off
	s_add_u32 s1, s10, s2
	s_addc_u32 s4, s11, s3
	v_mov_b32_e32 v2, s4
	v_add_co_u32_e32 v4, vcc, s1, v1
	v_addc_co_u32_e32 v5, vcc, 0, v2, vcc
	s_mov_b64 s[4:5], -1
	s_waitcnt vmcnt(1)
	flat_store_dword v[4:5], v6
	s_cbranch_execz .LBB1664_3
	s_branch .LBB1664_12
.LBB1664_2:
	s_mov_b64 s[4:5], 0
                                        ; implicit-def: $vgpr3
                                        ; implicit-def: $vgpr4_vgpr5
.LBB1664_3:
	s_sub_i32 s6, s12, s0
	v_cmp_gt_u32_e32 vcc, s6, v0
                                        ; implicit-def: $vgpr2_vgpr3
	s_and_saveexec_b64 s[0:1], vcc
	s_cbranch_execz .LBB1664_5
; %bb.4:
	global_load_dword v2, v1, s[8:9]
.LBB1664_5:
	s_or_b64 exec, exec, s[0:1]
	v_or_b32_e32 v0, 0x400, v0
	v_cmp_gt_u32_e64 s[0:1], s6, v0
	s_and_saveexec_b64 s[6:7], s[0:1]
	s_cbranch_execz .LBB1664_7
; %bb.6:
	v_lshlrev_b32_e32 v0, 2, v0
	global_load_dword v3, v0, s[8:9]
.LBB1664_7:
	s_or_b64 exec, exec, s[6:7]
	s_add_u32 s2, s10, s2
	s_addc_u32 s3, s11, s3
	v_mov_b32_e32 v0, s3
	v_add_co_u32_e64 v4, s[2:3], s2, v1
	v_addc_co_u32_e64 v5, s[2:3], 0, v0, s[2:3]
	s_and_saveexec_b64 s[2:3], vcc
	s_cbranch_execz .LBB1664_9
; %bb.8:
	s_waitcnt vmcnt(0)
	flat_store_dword v[4:5], v2
.LBB1664_9:
	s_or_b64 exec, exec, s[2:3]
	s_and_saveexec_b64 s[2:3], s[0:1]
; %bb.10:
	s_or_b64 s[4:5], s[4:5], exec
; %bb.11:
	s_or_b64 exec, exec, s[2:3]
.LBB1664_12:
	s_and_saveexec_b64 s[0:1], s[4:5]
	s_cbranch_execnz .LBB1664_14
; %bb.13:
	s_endpgm
.LBB1664_14:
	v_add_co_u32_e32 v0, vcc, 0x1000, v4
	v_addc_co_u32_e32 v1, vcc, 0, v5, vcc
	s_waitcnt vmcnt(0)
	flat_store_dword v[0:1], v3
	s_endpgm
	.section	.rodata,"a",@progbits
	.p2align	6, 0x0
	.amdhsa_kernel _ZN7rocprim17ROCPRIM_400000_NS6detail17trampoline_kernelINS0_14default_configENS1_25transform_config_selectorIiLb0EEEZNS1_14transform_implILb0ES3_S5_PiN6thrust23THRUST_200600_302600_NS6detail15normal_iteratorINS9_10device_ptrIiEEEENS0_8identityIiEEEE10hipError_tT2_T3_mT4_P12ihipStream_tbEUlT_E_NS1_11comp_targetILNS1_3genE4ELNS1_11target_archE910ELNS1_3gpuE8ELNS1_3repE0EEENS1_30default_config_static_selectorELNS0_4arch9wavefront6targetE1EEEvT1_
		.amdhsa_group_segment_fixed_size 0
		.amdhsa_private_segment_fixed_size 0
		.amdhsa_kernarg_size 296
		.amdhsa_user_sgpr_count 6
		.amdhsa_user_sgpr_private_segment_buffer 1
		.amdhsa_user_sgpr_dispatch_ptr 0
		.amdhsa_user_sgpr_queue_ptr 0
		.amdhsa_user_sgpr_kernarg_segment_ptr 1
		.amdhsa_user_sgpr_dispatch_id 0
		.amdhsa_user_sgpr_flat_scratch_init 0
		.amdhsa_user_sgpr_kernarg_preload_length 0
		.amdhsa_user_sgpr_kernarg_preload_offset 0
		.amdhsa_user_sgpr_private_segment_size 0
		.amdhsa_uses_dynamic_stack 0
		.amdhsa_system_sgpr_private_segment_wavefront_offset 0
		.amdhsa_system_sgpr_workgroup_id_x 1
		.amdhsa_system_sgpr_workgroup_id_y 0
		.amdhsa_system_sgpr_workgroup_id_z 0
		.amdhsa_system_sgpr_workgroup_info 0
		.amdhsa_system_vgpr_workitem_id 0
		.amdhsa_next_free_vgpr 7
		.amdhsa_next_free_sgpr 16
		.amdhsa_accum_offset 8
		.amdhsa_reserve_vcc 1
		.amdhsa_reserve_flat_scratch 0
		.amdhsa_float_round_mode_32 0
		.amdhsa_float_round_mode_16_64 0
		.amdhsa_float_denorm_mode_32 3
		.amdhsa_float_denorm_mode_16_64 3
		.amdhsa_dx10_clamp 1
		.amdhsa_ieee_mode 1
		.amdhsa_fp16_overflow 0
		.amdhsa_tg_split 0
		.amdhsa_exception_fp_ieee_invalid_op 0
		.amdhsa_exception_fp_denorm_src 0
		.amdhsa_exception_fp_ieee_div_zero 0
		.amdhsa_exception_fp_ieee_overflow 0
		.amdhsa_exception_fp_ieee_underflow 0
		.amdhsa_exception_fp_ieee_inexact 0
		.amdhsa_exception_int_div_zero 0
	.end_amdhsa_kernel
	.section	.text._ZN7rocprim17ROCPRIM_400000_NS6detail17trampoline_kernelINS0_14default_configENS1_25transform_config_selectorIiLb0EEEZNS1_14transform_implILb0ES3_S5_PiN6thrust23THRUST_200600_302600_NS6detail15normal_iteratorINS9_10device_ptrIiEEEENS0_8identityIiEEEE10hipError_tT2_T3_mT4_P12ihipStream_tbEUlT_E_NS1_11comp_targetILNS1_3genE4ELNS1_11target_archE910ELNS1_3gpuE8ELNS1_3repE0EEENS1_30default_config_static_selectorELNS0_4arch9wavefront6targetE1EEEvT1_,"axG",@progbits,_ZN7rocprim17ROCPRIM_400000_NS6detail17trampoline_kernelINS0_14default_configENS1_25transform_config_selectorIiLb0EEEZNS1_14transform_implILb0ES3_S5_PiN6thrust23THRUST_200600_302600_NS6detail15normal_iteratorINS9_10device_ptrIiEEEENS0_8identityIiEEEE10hipError_tT2_T3_mT4_P12ihipStream_tbEUlT_E_NS1_11comp_targetILNS1_3genE4ELNS1_11target_archE910ELNS1_3gpuE8ELNS1_3repE0EEENS1_30default_config_static_selectorELNS0_4arch9wavefront6targetE1EEEvT1_,comdat
.Lfunc_end1664:
	.size	_ZN7rocprim17ROCPRIM_400000_NS6detail17trampoline_kernelINS0_14default_configENS1_25transform_config_selectorIiLb0EEEZNS1_14transform_implILb0ES3_S5_PiN6thrust23THRUST_200600_302600_NS6detail15normal_iteratorINS9_10device_ptrIiEEEENS0_8identityIiEEEE10hipError_tT2_T3_mT4_P12ihipStream_tbEUlT_E_NS1_11comp_targetILNS1_3genE4ELNS1_11target_archE910ELNS1_3gpuE8ELNS1_3repE0EEENS1_30default_config_static_selectorELNS0_4arch9wavefront6targetE1EEEvT1_, .Lfunc_end1664-_ZN7rocprim17ROCPRIM_400000_NS6detail17trampoline_kernelINS0_14default_configENS1_25transform_config_selectorIiLb0EEEZNS1_14transform_implILb0ES3_S5_PiN6thrust23THRUST_200600_302600_NS6detail15normal_iteratorINS9_10device_ptrIiEEEENS0_8identityIiEEEE10hipError_tT2_T3_mT4_P12ihipStream_tbEUlT_E_NS1_11comp_targetILNS1_3genE4ELNS1_11target_archE910ELNS1_3gpuE8ELNS1_3repE0EEENS1_30default_config_static_selectorELNS0_4arch9wavefront6targetE1EEEvT1_
                                        ; -- End function
	.section	.AMDGPU.csdata,"",@progbits
; Kernel info:
; codeLenInByte = 336
; NumSgprs: 20
; NumVgprs: 7
; NumAgprs: 0
; TotalNumVgprs: 7
; ScratchSize: 0
; MemoryBound: 0
; FloatMode: 240
; IeeeMode: 1
; LDSByteSize: 0 bytes/workgroup (compile time only)
; SGPRBlocks: 2
; VGPRBlocks: 0
; NumSGPRsForWavesPerEU: 20
; NumVGPRsForWavesPerEU: 7
; AccumOffset: 8
; Occupancy: 8
; WaveLimiterHint : 1
; COMPUTE_PGM_RSRC2:SCRATCH_EN: 0
; COMPUTE_PGM_RSRC2:USER_SGPR: 6
; COMPUTE_PGM_RSRC2:TRAP_HANDLER: 0
; COMPUTE_PGM_RSRC2:TGID_X_EN: 1
; COMPUTE_PGM_RSRC2:TGID_Y_EN: 0
; COMPUTE_PGM_RSRC2:TGID_Z_EN: 0
; COMPUTE_PGM_RSRC2:TIDIG_COMP_CNT: 0
; COMPUTE_PGM_RSRC3_GFX90A:ACCUM_OFFSET: 1
; COMPUTE_PGM_RSRC3_GFX90A:TG_SPLIT: 0
	.section	.text._ZN7rocprim17ROCPRIM_400000_NS6detail17trampoline_kernelINS0_14default_configENS1_25transform_config_selectorIiLb0EEEZNS1_14transform_implILb0ES3_S5_PiN6thrust23THRUST_200600_302600_NS6detail15normal_iteratorINS9_10device_ptrIiEEEENS0_8identityIiEEEE10hipError_tT2_T3_mT4_P12ihipStream_tbEUlT_E_NS1_11comp_targetILNS1_3genE3ELNS1_11target_archE908ELNS1_3gpuE7ELNS1_3repE0EEENS1_30default_config_static_selectorELNS0_4arch9wavefront6targetE1EEEvT1_,"axG",@progbits,_ZN7rocprim17ROCPRIM_400000_NS6detail17trampoline_kernelINS0_14default_configENS1_25transform_config_selectorIiLb0EEEZNS1_14transform_implILb0ES3_S5_PiN6thrust23THRUST_200600_302600_NS6detail15normal_iteratorINS9_10device_ptrIiEEEENS0_8identityIiEEEE10hipError_tT2_T3_mT4_P12ihipStream_tbEUlT_E_NS1_11comp_targetILNS1_3genE3ELNS1_11target_archE908ELNS1_3gpuE7ELNS1_3repE0EEENS1_30default_config_static_selectorELNS0_4arch9wavefront6targetE1EEEvT1_,comdat
	.protected	_ZN7rocprim17ROCPRIM_400000_NS6detail17trampoline_kernelINS0_14default_configENS1_25transform_config_selectorIiLb0EEEZNS1_14transform_implILb0ES3_S5_PiN6thrust23THRUST_200600_302600_NS6detail15normal_iteratorINS9_10device_ptrIiEEEENS0_8identityIiEEEE10hipError_tT2_T3_mT4_P12ihipStream_tbEUlT_E_NS1_11comp_targetILNS1_3genE3ELNS1_11target_archE908ELNS1_3gpuE7ELNS1_3repE0EEENS1_30default_config_static_selectorELNS0_4arch9wavefront6targetE1EEEvT1_ ; -- Begin function _ZN7rocprim17ROCPRIM_400000_NS6detail17trampoline_kernelINS0_14default_configENS1_25transform_config_selectorIiLb0EEEZNS1_14transform_implILb0ES3_S5_PiN6thrust23THRUST_200600_302600_NS6detail15normal_iteratorINS9_10device_ptrIiEEEENS0_8identityIiEEEE10hipError_tT2_T3_mT4_P12ihipStream_tbEUlT_E_NS1_11comp_targetILNS1_3genE3ELNS1_11target_archE908ELNS1_3gpuE7ELNS1_3repE0EEENS1_30default_config_static_selectorELNS0_4arch9wavefront6targetE1EEEvT1_
	.globl	_ZN7rocprim17ROCPRIM_400000_NS6detail17trampoline_kernelINS0_14default_configENS1_25transform_config_selectorIiLb0EEEZNS1_14transform_implILb0ES3_S5_PiN6thrust23THRUST_200600_302600_NS6detail15normal_iteratorINS9_10device_ptrIiEEEENS0_8identityIiEEEE10hipError_tT2_T3_mT4_P12ihipStream_tbEUlT_E_NS1_11comp_targetILNS1_3genE3ELNS1_11target_archE908ELNS1_3gpuE7ELNS1_3repE0EEENS1_30default_config_static_selectorELNS0_4arch9wavefront6targetE1EEEvT1_
	.p2align	8
	.type	_ZN7rocprim17ROCPRIM_400000_NS6detail17trampoline_kernelINS0_14default_configENS1_25transform_config_selectorIiLb0EEEZNS1_14transform_implILb0ES3_S5_PiN6thrust23THRUST_200600_302600_NS6detail15normal_iteratorINS9_10device_ptrIiEEEENS0_8identityIiEEEE10hipError_tT2_T3_mT4_P12ihipStream_tbEUlT_E_NS1_11comp_targetILNS1_3genE3ELNS1_11target_archE908ELNS1_3gpuE7ELNS1_3repE0EEENS1_30default_config_static_selectorELNS0_4arch9wavefront6targetE1EEEvT1_,@function
_ZN7rocprim17ROCPRIM_400000_NS6detail17trampoline_kernelINS0_14default_configENS1_25transform_config_selectorIiLb0EEEZNS1_14transform_implILb0ES3_S5_PiN6thrust23THRUST_200600_302600_NS6detail15normal_iteratorINS9_10device_ptrIiEEEENS0_8identityIiEEEE10hipError_tT2_T3_mT4_P12ihipStream_tbEUlT_E_NS1_11comp_targetILNS1_3genE3ELNS1_11target_archE908ELNS1_3gpuE7ELNS1_3repE0EEENS1_30default_config_static_selectorELNS0_4arch9wavefront6targetE1EEEvT1_: ; @_ZN7rocprim17ROCPRIM_400000_NS6detail17trampoline_kernelINS0_14default_configENS1_25transform_config_selectorIiLb0EEEZNS1_14transform_implILb0ES3_S5_PiN6thrust23THRUST_200600_302600_NS6detail15normal_iteratorINS9_10device_ptrIiEEEENS0_8identityIiEEEE10hipError_tT2_T3_mT4_P12ihipStream_tbEUlT_E_NS1_11comp_targetILNS1_3genE3ELNS1_11target_archE908ELNS1_3gpuE7ELNS1_3repE0EEENS1_30default_config_static_selectorELNS0_4arch9wavefront6targetE1EEEvT1_
; %bb.0:
	.section	.rodata,"a",@progbits
	.p2align	6, 0x0
	.amdhsa_kernel _ZN7rocprim17ROCPRIM_400000_NS6detail17trampoline_kernelINS0_14default_configENS1_25transform_config_selectorIiLb0EEEZNS1_14transform_implILb0ES3_S5_PiN6thrust23THRUST_200600_302600_NS6detail15normal_iteratorINS9_10device_ptrIiEEEENS0_8identityIiEEEE10hipError_tT2_T3_mT4_P12ihipStream_tbEUlT_E_NS1_11comp_targetILNS1_3genE3ELNS1_11target_archE908ELNS1_3gpuE7ELNS1_3repE0EEENS1_30default_config_static_selectorELNS0_4arch9wavefront6targetE1EEEvT1_
		.amdhsa_group_segment_fixed_size 0
		.amdhsa_private_segment_fixed_size 0
		.amdhsa_kernarg_size 40
		.amdhsa_user_sgpr_count 6
		.amdhsa_user_sgpr_private_segment_buffer 1
		.amdhsa_user_sgpr_dispatch_ptr 0
		.amdhsa_user_sgpr_queue_ptr 0
		.amdhsa_user_sgpr_kernarg_segment_ptr 1
		.amdhsa_user_sgpr_dispatch_id 0
		.amdhsa_user_sgpr_flat_scratch_init 0
		.amdhsa_user_sgpr_kernarg_preload_length 0
		.amdhsa_user_sgpr_kernarg_preload_offset 0
		.amdhsa_user_sgpr_private_segment_size 0
		.amdhsa_uses_dynamic_stack 0
		.amdhsa_system_sgpr_private_segment_wavefront_offset 0
		.amdhsa_system_sgpr_workgroup_id_x 1
		.amdhsa_system_sgpr_workgroup_id_y 0
		.amdhsa_system_sgpr_workgroup_id_z 0
		.amdhsa_system_sgpr_workgroup_info 0
		.amdhsa_system_vgpr_workitem_id 0
		.amdhsa_next_free_vgpr 1
		.amdhsa_next_free_sgpr 0
		.amdhsa_accum_offset 4
		.amdhsa_reserve_vcc 0
		.amdhsa_reserve_flat_scratch 0
		.amdhsa_float_round_mode_32 0
		.amdhsa_float_round_mode_16_64 0
		.amdhsa_float_denorm_mode_32 3
		.amdhsa_float_denorm_mode_16_64 3
		.amdhsa_dx10_clamp 1
		.amdhsa_ieee_mode 1
		.amdhsa_fp16_overflow 0
		.amdhsa_tg_split 0
		.amdhsa_exception_fp_ieee_invalid_op 0
		.amdhsa_exception_fp_denorm_src 0
		.amdhsa_exception_fp_ieee_div_zero 0
		.amdhsa_exception_fp_ieee_overflow 0
		.amdhsa_exception_fp_ieee_underflow 0
		.amdhsa_exception_fp_ieee_inexact 0
		.amdhsa_exception_int_div_zero 0
	.end_amdhsa_kernel
	.section	.text._ZN7rocprim17ROCPRIM_400000_NS6detail17trampoline_kernelINS0_14default_configENS1_25transform_config_selectorIiLb0EEEZNS1_14transform_implILb0ES3_S5_PiN6thrust23THRUST_200600_302600_NS6detail15normal_iteratorINS9_10device_ptrIiEEEENS0_8identityIiEEEE10hipError_tT2_T3_mT4_P12ihipStream_tbEUlT_E_NS1_11comp_targetILNS1_3genE3ELNS1_11target_archE908ELNS1_3gpuE7ELNS1_3repE0EEENS1_30default_config_static_selectorELNS0_4arch9wavefront6targetE1EEEvT1_,"axG",@progbits,_ZN7rocprim17ROCPRIM_400000_NS6detail17trampoline_kernelINS0_14default_configENS1_25transform_config_selectorIiLb0EEEZNS1_14transform_implILb0ES3_S5_PiN6thrust23THRUST_200600_302600_NS6detail15normal_iteratorINS9_10device_ptrIiEEEENS0_8identityIiEEEE10hipError_tT2_T3_mT4_P12ihipStream_tbEUlT_E_NS1_11comp_targetILNS1_3genE3ELNS1_11target_archE908ELNS1_3gpuE7ELNS1_3repE0EEENS1_30default_config_static_selectorELNS0_4arch9wavefront6targetE1EEEvT1_,comdat
.Lfunc_end1665:
	.size	_ZN7rocprim17ROCPRIM_400000_NS6detail17trampoline_kernelINS0_14default_configENS1_25transform_config_selectorIiLb0EEEZNS1_14transform_implILb0ES3_S5_PiN6thrust23THRUST_200600_302600_NS6detail15normal_iteratorINS9_10device_ptrIiEEEENS0_8identityIiEEEE10hipError_tT2_T3_mT4_P12ihipStream_tbEUlT_E_NS1_11comp_targetILNS1_3genE3ELNS1_11target_archE908ELNS1_3gpuE7ELNS1_3repE0EEENS1_30default_config_static_selectorELNS0_4arch9wavefront6targetE1EEEvT1_, .Lfunc_end1665-_ZN7rocprim17ROCPRIM_400000_NS6detail17trampoline_kernelINS0_14default_configENS1_25transform_config_selectorIiLb0EEEZNS1_14transform_implILb0ES3_S5_PiN6thrust23THRUST_200600_302600_NS6detail15normal_iteratorINS9_10device_ptrIiEEEENS0_8identityIiEEEE10hipError_tT2_T3_mT4_P12ihipStream_tbEUlT_E_NS1_11comp_targetILNS1_3genE3ELNS1_11target_archE908ELNS1_3gpuE7ELNS1_3repE0EEENS1_30default_config_static_selectorELNS0_4arch9wavefront6targetE1EEEvT1_
                                        ; -- End function
	.section	.AMDGPU.csdata,"",@progbits
; Kernel info:
; codeLenInByte = 0
; NumSgprs: 4
; NumVgprs: 0
; NumAgprs: 0
; TotalNumVgprs: 0
; ScratchSize: 0
; MemoryBound: 0
; FloatMode: 240
; IeeeMode: 1
; LDSByteSize: 0 bytes/workgroup (compile time only)
; SGPRBlocks: 0
; VGPRBlocks: 0
; NumSGPRsForWavesPerEU: 4
; NumVGPRsForWavesPerEU: 1
; AccumOffset: 4
; Occupancy: 8
; WaveLimiterHint : 0
; COMPUTE_PGM_RSRC2:SCRATCH_EN: 0
; COMPUTE_PGM_RSRC2:USER_SGPR: 6
; COMPUTE_PGM_RSRC2:TRAP_HANDLER: 0
; COMPUTE_PGM_RSRC2:TGID_X_EN: 1
; COMPUTE_PGM_RSRC2:TGID_Y_EN: 0
; COMPUTE_PGM_RSRC2:TGID_Z_EN: 0
; COMPUTE_PGM_RSRC2:TIDIG_COMP_CNT: 0
; COMPUTE_PGM_RSRC3_GFX90A:ACCUM_OFFSET: 0
; COMPUTE_PGM_RSRC3_GFX90A:TG_SPLIT: 0
	.section	.text._ZN7rocprim17ROCPRIM_400000_NS6detail17trampoline_kernelINS0_14default_configENS1_25transform_config_selectorIiLb0EEEZNS1_14transform_implILb0ES3_S5_PiN6thrust23THRUST_200600_302600_NS6detail15normal_iteratorINS9_10device_ptrIiEEEENS0_8identityIiEEEE10hipError_tT2_T3_mT4_P12ihipStream_tbEUlT_E_NS1_11comp_targetILNS1_3genE2ELNS1_11target_archE906ELNS1_3gpuE6ELNS1_3repE0EEENS1_30default_config_static_selectorELNS0_4arch9wavefront6targetE1EEEvT1_,"axG",@progbits,_ZN7rocprim17ROCPRIM_400000_NS6detail17trampoline_kernelINS0_14default_configENS1_25transform_config_selectorIiLb0EEEZNS1_14transform_implILb0ES3_S5_PiN6thrust23THRUST_200600_302600_NS6detail15normal_iteratorINS9_10device_ptrIiEEEENS0_8identityIiEEEE10hipError_tT2_T3_mT4_P12ihipStream_tbEUlT_E_NS1_11comp_targetILNS1_3genE2ELNS1_11target_archE906ELNS1_3gpuE6ELNS1_3repE0EEENS1_30default_config_static_selectorELNS0_4arch9wavefront6targetE1EEEvT1_,comdat
	.protected	_ZN7rocprim17ROCPRIM_400000_NS6detail17trampoline_kernelINS0_14default_configENS1_25transform_config_selectorIiLb0EEEZNS1_14transform_implILb0ES3_S5_PiN6thrust23THRUST_200600_302600_NS6detail15normal_iteratorINS9_10device_ptrIiEEEENS0_8identityIiEEEE10hipError_tT2_T3_mT4_P12ihipStream_tbEUlT_E_NS1_11comp_targetILNS1_3genE2ELNS1_11target_archE906ELNS1_3gpuE6ELNS1_3repE0EEENS1_30default_config_static_selectorELNS0_4arch9wavefront6targetE1EEEvT1_ ; -- Begin function _ZN7rocprim17ROCPRIM_400000_NS6detail17trampoline_kernelINS0_14default_configENS1_25transform_config_selectorIiLb0EEEZNS1_14transform_implILb0ES3_S5_PiN6thrust23THRUST_200600_302600_NS6detail15normal_iteratorINS9_10device_ptrIiEEEENS0_8identityIiEEEE10hipError_tT2_T3_mT4_P12ihipStream_tbEUlT_E_NS1_11comp_targetILNS1_3genE2ELNS1_11target_archE906ELNS1_3gpuE6ELNS1_3repE0EEENS1_30default_config_static_selectorELNS0_4arch9wavefront6targetE1EEEvT1_
	.globl	_ZN7rocprim17ROCPRIM_400000_NS6detail17trampoline_kernelINS0_14default_configENS1_25transform_config_selectorIiLb0EEEZNS1_14transform_implILb0ES3_S5_PiN6thrust23THRUST_200600_302600_NS6detail15normal_iteratorINS9_10device_ptrIiEEEENS0_8identityIiEEEE10hipError_tT2_T3_mT4_P12ihipStream_tbEUlT_E_NS1_11comp_targetILNS1_3genE2ELNS1_11target_archE906ELNS1_3gpuE6ELNS1_3repE0EEENS1_30default_config_static_selectorELNS0_4arch9wavefront6targetE1EEEvT1_
	.p2align	8
	.type	_ZN7rocprim17ROCPRIM_400000_NS6detail17trampoline_kernelINS0_14default_configENS1_25transform_config_selectorIiLb0EEEZNS1_14transform_implILb0ES3_S5_PiN6thrust23THRUST_200600_302600_NS6detail15normal_iteratorINS9_10device_ptrIiEEEENS0_8identityIiEEEE10hipError_tT2_T3_mT4_P12ihipStream_tbEUlT_E_NS1_11comp_targetILNS1_3genE2ELNS1_11target_archE906ELNS1_3gpuE6ELNS1_3repE0EEENS1_30default_config_static_selectorELNS0_4arch9wavefront6targetE1EEEvT1_,@function
_ZN7rocprim17ROCPRIM_400000_NS6detail17trampoline_kernelINS0_14default_configENS1_25transform_config_selectorIiLb0EEEZNS1_14transform_implILb0ES3_S5_PiN6thrust23THRUST_200600_302600_NS6detail15normal_iteratorINS9_10device_ptrIiEEEENS0_8identityIiEEEE10hipError_tT2_T3_mT4_P12ihipStream_tbEUlT_E_NS1_11comp_targetILNS1_3genE2ELNS1_11target_archE906ELNS1_3gpuE6ELNS1_3repE0EEENS1_30default_config_static_selectorELNS0_4arch9wavefront6targetE1EEEvT1_: ; @_ZN7rocprim17ROCPRIM_400000_NS6detail17trampoline_kernelINS0_14default_configENS1_25transform_config_selectorIiLb0EEEZNS1_14transform_implILb0ES3_S5_PiN6thrust23THRUST_200600_302600_NS6detail15normal_iteratorINS9_10device_ptrIiEEEENS0_8identityIiEEEE10hipError_tT2_T3_mT4_P12ihipStream_tbEUlT_E_NS1_11comp_targetILNS1_3genE2ELNS1_11target_archE906ELNS1_3gpuE6ELNS1_3repE0EEENS1_30default_config_static_selectorELNS0_4arch9wavefront6targetE1EEEvT1_
; %bb.0:
	.section	.rodata,"a",@progbits
	.p2align	6, 0x0
	.amdhsa_kernel _ZN7rocprim17ROCPRIM_400000_NS6detail17trampoline_kernelINS0_14default_configENS1_25transform_config_selectorIiLb0EEEZNS1_14transform_implILb0ES3_S5_PiN6thrust23THRUST_200600_302600_NS6detail15normal_iteratorINS9_10device_ptrIiEEEENS0_8identityIiEEEE10hipError_tT2_T3_mT4_P12ihipStream_tbEUlT_E_NS1_11comp_targetILNS1_3genE2ELNS1_11target_archE906ELNS1_3gpuE6ELNS1_3repE0EEENS1_30default_config_static_selectorELNS0_4arch9wavefront6targetE1EEEvT1_
		.amdhsa_group_segment_fixed_size 0
		.amdhsa_private_segment_fixed_size 0
		.amdhsa_kernarg_size 40
		.amdhsa_user_sgpr_count 6
		.amdhsa_user_sgpr_private_segment_buffer 1
		.amdhsa_user_sgpr_dispatch_ptr 0
		.amdhsa_user_sgpr_queue_ptr 0
		.amdhsa_user_sgpr_kernarg_segment_ptr 1
		.amdhsa_user_sgpr_dispatch_id 0
		.amdhsa_user_sgpr_flat_scratch_init 0
		.amdhsa_user_sgpr_kernarg_preload_length 0
		.amdhsa_user_sgpr_kernarg_preload_offset 0
		.amdhsa_user_sgpr_private_segment_size 0
		.amdhsa_uses_dynamic_stack 0
		.amdhsa_system_sgpr_private_segment_wavefront_offset 0
		.amdhsa_system_sgpr_workgroup_id_x 1
		.amdhsa_system_sgpr_workgroup_id_y 0
		.amdhsa_system_sgpr_workgroup_id_z 0
		.amdhsa_system_sgpr_workgroup_info 0
		.amdhsa_system_vgpr_workitem_id 0
		.amdhsa_next_free_vgpr 1
		.amdhsa_next_free_sgpr 0
		.amdhsa_accum_offset 4
		.amdhsa_reserve_vcc 0
		.amdhsa_reserve_flat_scratch 0
		.amdhsa_float_round_mode_32 0
		.amdhsa_float_round_mode_16_64 0
		.amdhsa_float_denorm_mode_32 3
		.amdhsa_float_denorm_mode_16_64 3
		.amdhsa_dx10_clamp 1
		.amdhsa_ieee_mode 1
		.amdhsa_fp16_overflow 0
		.amdhsa_tg_split 0
		.amdhsa_exception_fp_ieee_invalid_op 0
		.amdhsa_exception_fp_denorm_src 0
		.amdhsa_exception_fp_ieee_div_zero 0
		.amdhsa_exception_fp_ieee_overflow 0
		.amdhsa_exception_fp_ieee_underflow 0
		.amdhsa_exception_fp_ieee_inexact 0
		.amdhsa_exception_int_div_zero 0
	.end_amdhsa_kernel
	.section	.text._ZN7rocprim17ROCPRIM_400000_NS6detail17trampoline_kernelINS0_14default_configENS1_25transform_config_selectorIiLb0EEEZNS1_14transform_implILb0ES3_S5_PiN6thrust23THRUST_200600_302600_NS6detail15normal_iteratorINS9_10device_ptrIiEEEENS0_8identityIiEEEE10hipError_tT2_T3_mT4_P12ihipStream_tbEUlT_E_NS1_11comp_targetILNS1_3genE2ELNS1_11target_archE906ELNS1_3gpuE6ELNS1_3repE0EEENS1_30default_config_static_selectorELNS0_4arch9wavefront6targetE1EEEvT1_,"axG",@progbits,_ZN7rocprim17ROCPRIM_400000_NS6detail17trampoline_kernelINS0_14default_configENS1_25transform_config_selectorIiLb0EEEZNS1_14transform_implILb0ES3_S5_PiN6thrust23THRUST_200600_302600_NS6detail15normal_iteratorINS9_10device_ptrIiEEEENS0_8identityIiEEEE10hipError_tT2_T3_mT4_P12ihipStream_tbEUlT_E_NS1_11comp_targetILNS1_3genE2ELNS1_11target_archE906ELNS1_3gpuE6ELNS1_3repE0EEENS1_30default_config_static_selectorELNS0_4arch9wavefront6targetE1EEEvT1_,comdat
.Lfunc_end1666:
	.size	_ZN7rocprim17ROCPRIM_400000_NS6detail17trampoline_kernelINS0_14default_configENS1_25transform_config_selectorIiLb0EEEZNS1_14transform_implILb0ES3_S5_PiN6thrust23THRUST_200600_302600_NS6detail15normal_iteratorINS9_10device_ptrIiEEEENS0_8identityIiEEEE10hipError_tT2_T3_mT4_P12ihipStream_tbEUlT_E_NS1_11comp_targetILNS1_3genE2ELNS1_11target_archE906ELNS1_3gpuE6ELNS1_3repE0EEENS1_30default_config_static_selectorELNS0_4arch9wavefront6targetE1EEEvT1_, .Lfunc_end1666-_ZN7rocprim17ROCPRIM_400000_NS6detail17trampoline_kernelINS0_14default_configENS1_25transform_config_selectorIiLb0EEEZNS1_14transform_implILb0ES3_S5_PiN6thrust23THRUST_200600_302600_NS6detail15normal_iteratorINS9_10device_ptrIiEEEENS0_8identityIiEEEE10hipError_tT2_T3_mT4_P12ihipStream_tbEUlT_E_NS1_11comp_targetILNS1_3genE2ELNS1_11target_archE906ELNS1_3gpuE6ELNS1_3repE0EEENS1_30default_config_static_selectorELNS0_4arch9wavefront6targetE1EEEvT1_
                                        ; -- End function
	.section	.AMDGPU.csdata,"",@progbits
; Kernel info:
; codeLenInByte = 0
; NumSgprs: 4
; NumVgprs: 0
; NumAgprs: 0
; TotalNumVgprs: 0
; ScratchSize: 0
; MemoryBound: 0
; FloatMode: 240
; IeeeMode: 1
; LDSByteSize: 0 bytes/workgroup (compile time only)
; SGPRBlocks: 0
; VGPRBlocks: 0
; NumSGPRsForWavesPerEU: 4
; NumVGPRsForWavesPerEU: 1
; AccumOffset: 4
; Occupancy: 8
; WaveLimiterHint : 0
; COMPUTE_PGM_RSRC2:SCRATCH_EN: 0
; COMPUTE_PGM_RSRC2:USER_SGPR: 6
; COMPUTE_PGM_RSRC2:TRAP_HANDLER: 0
; COMPUTE_PGM_RSRC2:TGID_X_EN: 1
; COMPUTE_PGM_RSRC2:TGID_Y_EN: 0
; COMPUTE_PGM_RSRC2:TGID_Z_EN: 0
; COMPUTE_PGM_RSRC2:TIDIG_COMP_CNT: 0
; COMPUTE_PGM_RSRC3_GFX90A:ACCUM_OFFSET: 0
; COMPUTE_PGM_RSRC3_GFX90A:TG_SPLIT: 0
	.section	.text._ZN7rocprim17ROCPRIM_400000_NS6detail17trampoline_kernelINS0_14default_configENS1_25transform_config_selectorIiLb0EEEZNS1_14transform_implILb0ES3_S5_PiN6thrust23THRUST_200600_302600_NS6detail15normal_iteratorINS9_10device_ptrIiEEEENS0_8identityIiEEEE10hipError_tT2_T3_mT4_P12ihipStream_tbEUlT_E_NS1_11comp_targetILNS1_3genE10ELNS1_11target_archE1201ELNS1_3gpuE5ELNS1_3repE0EEENS1_30default_config_static_selectorELNS0_4arch9wavefront6targetE1EEEvT1_,"axG",@progbits,_ZN7rocprim17ROCPRIM_400000_NS6detail17trampoline_kernelINS0_14default_configENS1_25transform_config_selectorIiLb0EEEZNS1_14transform_implILb0ES3_S5_PiN6thrust23THRUST_200600_302600_NS6detail15normal_iteratorINS9_10device_ptrIiEEEENS0_8identityIiEEEE10hipError_tT2_T3_mT4_P12ihipStream_tbEUlT_E_NS1_11comp_targetILNS1_3genE10ELNS1_11target_archE1201ELNS1_3gpuE5ELNS1_3repE0EEENS1_30default_config_static_selectorELNS0_4arch9wavefront6targetE1EEEvT1_,comdat
	.protected	_ZN7rocprim17ROCPRIM_400000_NS6detail17trampoline_kernelINS0_14default_configENS1_25transform_config_selectorIiLb0EEEZNS1_14transform_implILb0ES3_S5_PiN6thrust23THRUST_200600_302600_NS6detail15normal_iteratorINS9_10device_ptrIiEEEENS0_8identityIiEEEE10hipError_tT2_T3_mT4_P12ihipStream_tbEUlT_E_NS1_11comp_targetILNS1_3genE10ELNS1_11target_archE1201ELNS1_3gpuE5ELNS1_3repE0EEENS1_30default_config_static_selectorELNS0_4arch9wavefront6targetE1EEEvT1_ ; -- Begin function _ZN7rocprim17ROCPRIM_400000_NS6detail17trampoline_kernelINS0_14default_configENS1_25transform_config_selectorIiLb0EEEZNS1_14transform_implILb0ES3_S5_PiN6thrust23THRUST_200600_302600_NS6detail15normal_iteratorINS9_10device_ptrIiEEEENS0_8identityIiEEEE10hipError_tT2_T3_mT4_P12ihipStream_tbEUlT_E_NS1_11comp_targetILNS1_3genE10ELNS1_11target_archE1201ELNS1_3gpuE5ELNS1_3repE0EEENS1_30default_config_static_selectorELNS0_4arch9wavefront6targetE1EEEvT1_
	.globl	_ZN7rocprim17ROCPRIM_400000_NS6detail17trampoline_kernelINS0_14default_configENS1_25transform_config_selectorIiLb0EEEZNS1_14transform_implILb0ES3_S5_PiN6thrust23THRUST_200600_302600_NS6detail15normal_iteratorINS9_10device_ptrIiEEEENS0_8identityIiEEEE10hipError_tT2_T3_mT4_P12ihipStream_tbEUlT_E_NS1_11comp_targetILNS1_3genE10ELNS1_11target_archE1201ELNS1_3gpuE5ELNS1_3repE0EEENS1_30default_config_static_selectorELNS0_4arch9wavefront6targetE1EEEvT1_
	.p2align	8
	.type	_ZN7rocprim17ROCPRIM_400000_NS6detail17trampoline_kernelINS0_14default_configENS1_25transform_config_selectorIiLb0EEEZNS1_14transform_implILb0ES3_S5_PiN6thrust23THRUST_200600_302600_NS6detail15normal_iteratorINS9_10device_ptrIiEEEENS0_8identityIiEEEE10hipError_tT2_T3_mT4_P12ihipStream_tbEUlT_E_NS1_11comp_targetILNS1_3genE10ELNS1_11target_archE1201ELNS1_3gpuE5ELNS1_3repE0EEENS1_30default_config_static_selectorELNS0_4arch9wavefront6targetE1EEEvT1_,@function
_ZN7rocprim17ROCPRIM_400000_NS6detail17trampoline_kernelINS0_14default_configENS1_25transform_config_selectorIiLb0EEEZNS1_14transform_implILb0ES3_S5_PiN6thrust23THRUST_200600_302600_NS6detail15normal_iteratorINS9_10device_ptrIiEEEENS0_8identityIiEEEE10hipError_tT2_T3_mT4_P12ihipStream_tbEUlT_E_NS1_11comp_targetILNS1_3genE10ELNS1_11target_archE1201ELNS1_3gpuE5ELNS1_3repE0EEENS1_30default_config_static_selectorELNS0_4arch9wavefront6targetE1EEEvT1_: ; @_ZN7rocprim17ROCPRIM_400000_NS6detail17trampoline_kernelINS0_14default_configENS1_25transform_config_selectorIiLb0EEEZNS1_14transform_implILb0ES3_S5_PiN6thrust23THRUST_200600_302600_NS6detail15normal_iteratorINS9_10device_ptrIiEEEENS0_8identityIiEEEE10hipError_tT2_T3_mT4_P12ihipStream_tbEUlT_E_NS1_11comp_targetILNS1_3genE10ELNS1_11target_archE1201ELNS1_3gpuE5ELNS1_3repE0EEENS1_30default_config_static_selectorELNS0_4arch9wavefront6targetE1EEEvT1_
; %bb.0:
	.section	.rodata,"a",@progbits
	.p2align	6, 0x0
	.amdhsa_kernel _ZN7rocprim17ROCPRIM_400000_NS6detail17trampoline_kernelINS0_14default_configENS1_25transform_config_selectorIiLb0EEEZNS1_14transform_implILb0ES3_S5_PiN6thrust23THRUST_200600_302600_NS6detail15normal_iteratorINS9_10device_ptrIiEEEENS0_8identityIiEEEE10hipError_tT2_T3_mT4_P12ihipStream_tbEUlT_E_NS1_11comp_targetILNS1_3genE10ELNS1_11target_archE1201ELNS1_3gpuE5ELNS1_3repE0EEENS1_30default_config_static_selectorELNS0_4arch9wavefront6targetE1EEEvT1_
		.amdhsa_group_segment_fixed_size 0
		.amdhsa_private_segment_fixed_size 0
		.amdhsa_kernarg_size 40
		.amdhsa_user_sgpr_count 6
		.amdhsa_user_sgpr_private_segment_buffer 1
		.amdhsa_user_sgpr_dispatch_ptr 0
		.amdhsa_user_sgpr_queue_ptr 0
		.amdhsa_user_sgpr_kernarg_segment_ptr 1
		.amdhsa_user_sgpr_dispatch_id 0
		.amdhsa_user_sgpr_flat_scratch_init 0
		.amdhsa_user_sgpr_kernarg_preload_length 0
		.amdhsa_user_sgpr_kernarg_preload_offset 0
		.amdhsa_user_sgpr_private_segment_size 0
		.amdhsa_uses_dynamic_stack 0
		.amdhsa_system_sgpr_private_segment_wavefront_offset 0
		.amdhsa_system_sgpr_workgroup_id_x 1
		.amdhsa_system_sgpr_workgroup_id_y 0
		.amdhsa_system_sgpr_workgroup_id_z 0
		.amdhsa_system_sgpr_workgroup_info 0
		.amdhsa_system_vgpr_workitem_id 0
		.amdhsa_next_free_vgpr 1
		.amdhsa_next_free_sgpr 0
		.amdhsa_accum_offset 4
		.amdhsa_reserve_vcc 0
		.amdhsa_reserve_flat_scratch 0
		.amdhsa_float_round_mode_32 0
		.amdhsa_float_round_mode_16_64 0
		.amdhsa_float_denorm_mode_32 3
		.amdhsa_float_denorm_mode_16_64 3
		.amdhsa_dx10_clamp 1
		.amdhsa_ieee_mode 1
		.amdhsa_fp16_overflow 0
		.amdhsa_tg_split 0
		.amdhsa_exception_fp_ieee_invalid_op 0
		.amdhsa_exception_fp_denorm_src 0
		.amdhsa_exception_fp_ieee_div_zero 0
		.amdhsa_exception_fp_ieee_overflow 0
		.amdhsa_exception_fp_ieee_underflow 0
		.amdhsa_exception_fp_ieee_inexact 0
		.amdhsa_exception_int_div_zero 0
	.end_amdhsa_kernel
	.section	.text._ZN7rocprim17ROCPRIM_400000_NS6detail17trampoline_kernelINS0_14default_configENS1_25transform_config_selectorIiLb0EEEZNS1_14transform_implILb0ES3_S5_PiN6thrust23THRUST_200600_302600_NS6detail15normal_iteratorINS9_10device_ptrIiEEEENS0_8identityIiEEEE10hipError_tT2_T3_mT4_P12ihipStream_tbEUlT_E_NS1_11comp_targetILNS1_3genE10ELNS1_11target_archE1201ELNS1_3gpuE5ELNS1_3repE0EEENS1_30default_config_static_selectorELNS0_4arch9wavefront6targetE1EEEvT1_,"axG",@progbits,_ZN7rocprim17ROCPRIM_400000_NS6detail17trampoline_kernelINS0_14default_configENS1_25transform_config_selectorIiLb0EEEZNS1_14transform_implILb0ES3_S5_PiN6thrust23THRUST_200600_302600_NS6detail15normal_iteratorINS9_10device_ptrIiEEEENS0_8identityIiEEEE10hipError_tT2_T3_mT4_P12ihipStream_tbEUlT_E_NS1_11comp_targetILNS1_3genE10ELNS1_11target_archE1201ELNS1_3gpuE5ELNS1_3repE0EEENS1_30default_config_static_selectorELNS0_4arch9wavefront6targetE1EEEvT1_,comdat
.Lfunc_end1667:
	.size	_ZN7rocprim17ROCPRIM_400000_NS6detail17trampoline_kernelINS0_14default_configENS1_25transform_config_selectorIiLb0EEEZNS1_14transform_implILb0ES3_S5_PiN6thrust23THRUST_200600_302600_NS6detail15normal_iteratorINS9_10device_ptrIiEEEENS0_8identityIiEEEE10hipError_tT2_T3_mT4_P12ihipStream_tbEUlT_E_NS1_11comp_targetILNS1_3genE10ELNS1_11target_archE1201ELNS1_3gpuE5ELNS1_3repE0EEENS1_30default_config_static_selectorELNS0_4arch9wavefront6targetE1EEEvT1_, .Lfunc_end1667-_ZN7rocprim17ROCPRIM_400000_NS6detail17trampoline_kernelINS0_14default_configENS1_25transform_config_selectorIiLb0EEEZNS1_14transform_implILb0ES3_S5_PiN6thrust23THRUST_200600_302600_NS6detail15normal_iteratorINS9_10device_ptrIiEEEENS0_8identityIiEEEE10hipError_tT2_T3_mT4_P12ihipStream_tbEUlT_E_NS1_11comp_targetILNS1_3genE10ELNS1_11target_archE1201ELNS1_3gpuE5ELNS1_3repE0EEENS1_30default_config_static_selectorELNS0_4arch9wavefront6targetE1EEEvT1_
                                        ; -- End function
	.section	.AMDGPU.csdata,"",@progbits
; Kernel info:
; codeLenInByte = 0
; NumSgprs: 4
; NumVgprs: 0
; NumAgprs: 0
; TotalNumVgprs: 0
; ScratchSize: 0
; MemoryBound: 0
; FloatMode: 240
; IeeeMode: 1
; LDSByteSize: 0 bytes/workgroup (compile time only)
; SGPRBlocks: 0
; VGPRBlocks: 0
; NumSGPRsForWavesPerEU: 4
; NumVGPRsForWavesPerEU: 1
; AccumOffset: 4
; Occupancy: 8
; WaveLimiterHint : 0
; COMPUTE_PGM_RSRC2:SCRATCH_EN: 0
; COMPUTE_PGM_RSRC2:USER_SGPR: 6
; COMPUTE_PGM_RSRC2:TRAP_HANDLER: 0
; COMPUTE_PGM_RSRC2:TGID_X_EN: 1
; COMPUTE_PGM_RSRC2:TGID_Y_EN: 0
; COMPUTE_PGM_RSRC2:TGID_Z_EN: 0
; COMPUTE_PGM_RSRC2:TIDIG_COMP_CNT: 0
; COMPUTE_PGM_RSRC3_GFX90A:ACCUM_OFFSET: 0
; COMPUTE_PGM_RSRC3_GFX90A:TG_SPLIT: 0
	.section	.text._ZN7rocprim17ROCPRIM_400000_NS6detail17trampoline_kernelINS0_14default_configENS1_25transform_config_selectorIiLb0EEEZNS1_14transform_implILb0ES3_S5_PiN6thrust23THRUST_200600_302600_NS6detail15normal_iteratorINS9_10device_ptrIiEEEENS0_8identityIiEEEE10hipError_tT2_T3_mT4_P12ihipStream_tbEUlT_E_NS1_11comp_targetILNS1_3genE10ELNS1_11target_archE1200ELNS1_3gpuE4ELNS1_3repE0EEENS1_30default_config_static_selectorELNS0_4arch9wavefront6targetE1EEEvT1_,"axG",@progbits,_ZN7rocprim17ROCPRIM_400000_NS6detail17trampoline_kernelINS0_14default_configENS1_25transform_config_selectorIiLb0EEEZNS1_14transform_implILb0ES3_S5_PiN6thrust23THRUST_200600_302600_NS6detail15normal_iteratorINS9_10device_ptrIiEEEENS0_8identityIiEEEE10hipError_tT2_T3_mT4_P12ihipStream_tbEUlT_E_NS1_11comp_targetILNS1_3genE10ELNS1_11target_archE1200ELNS1_3gpuE4ELNS1_3repE0EEENS1_30default_config_static_selectorELNS0_4arch9wavefront6targetE1EEEvT1_,comdat
	.protected	_ZN7rocprim17ROCPRIM_400000_NS6detail17trampoline_kernelINS0_14default_configENS1_25transform_config_selectorIiLb0EEEZNS1_14transform_implILb0ES3_S5_PiN6thrust23THRUST_200600_302600_NS6detail15normal_iteratorINS9_10device_ptrIiEEEENS0_8identityIiEEEE10hipError_tT2_T3_mT4_P12ihipStream_tbEUlT_E_NS1_11comp_targetILNS1_3genE10ELNS1_11target_archE1200ELNS1_3gpuE4ELNS1_3repE0EEENS1_30default_config_static_selectorELNS0_4arch9wavefront6targetE1EEEvT1_ ; -- Begin function _ZN7rocprim17ROCPRIM_400000_NS6detail17trampoline_kernelINS0_14default_configENS1_25transform_config_selectorIiLb0EEEZNS1_14transform_implILb0ES3_S5_PiN6thrust23THRUST_200600_302600_NS6detail15normal_iteratorINS9_10device_ptrIiEEEENS0_8identityIiEEEE10hipError_tT2_T3_mT4_P12ihipStream_tbEUlT_E_NS1_11comp_targetILNS1_3genE10ELNS1_11target_archE1200ELNS1_3gpuE4ELNS1_3repE0EEENS1_30default_config_static_selectorELNS0_4arch9wavefront6targetE1EEEvT1_
	.globl	_ZN7rocprim17ROCPRIM_400000_NS6detail17trampoline_kernelINS0_14default_configENS1_25transform_config_selectorIiLb0EEEZNS1_14transform_implILb0ES3_S5_PiN6thrust23THRUST_200600_302600_NS6detail15normal_iteratorINS9_10device_ptrIiEEEENS0_8identityIiEEEE10hipError_tT2_T3_mT4_P12ihipStream_tbEUlT_E_NS1_11comp_targetILNS1_3genE10ELNS1_11target_archE1200ELNS1_3gpuE4ELNS1_3repE0EEENS1_30default_config_static_selectorELNS0_4arch9wavefront6targetE1EEEvT1_
	.p2align	8
	.type	_ZN7rocprim17ROCPRIM_400000_NS6detail17trampoline_kernelINS0_14default_configENS1_25transform_config_selectorIiLb0EEEZNS1_14transform_implILb0ES3_S5_PiN6thrust23THRUST_200600_302600_NS6detail15normal_iteratorINS9_10device_ptrIiEEEENS0_8identityIiEEEE10hipError_tT2_T3_mT4_P12ihipStream_tbEUlT_E_NS1_11comp_targetILNS1_3genE10ELNS1_11target_archE1200ELNS1_3gpuE4ELNS1_3repE0EEENS1_30default_config_static_selectorELNS0_4arch9wavefront6targetE1EEEvT1_,@function
_ZN7rocprim17ROCPRIM_400000_NS6detail17trampoline_kernelINS0_14default_configENS1_25transform_config_selectorIiLb0EEEZNS1_14transform_implILb0ES3_S5_PiN6thrust23THRUST_200600_302600_NS6detail15normal_iteratorINS9_10device_ptrIiEEEENS0_8identityIiEEEE10hipError_tT2_T3_mT4_P12ihipStream_tbEUlT_E_NS1_11comp_targetILNS1_3genE10ELNS1_11target_archE1200ELNS1_3gpuE4ELNS1_3repE0EEENS1_30default_config_static_selectorELNS0_4arch9wavefront6targetE1EEEvT1_: ; @_ZN7rocprim17ROCPRIM_400000_NS6detail17trampoline_kernelINS0_14default_configENS1_25transform_config_selectorIiLb0EEEZNS1_14transform_implILb0ES3_S5_PiN6thrust23THRUST_200600_302600_NS6detail15normal_iteratorINS9_10device_ptrIiEEEENS0_8identityIiEEEE10hipError_tT2_T3_mT4_P12ihipStream_tbEUlT_E_NS1_11comp_targetILNS1_3genE10ELNS1_11target_archE1200ELNS1_3gpuE4ELNS1_3repE0EEENS1_30default_config_static_selectorELNS0_4arch9wavefront6targetE1EEEvT1_
; %bb.0:
	.section	.rodata,"a",@progbits
	.p2align	6, 0x0
	.amdhsa_kernel _ZN7rocprim17ROCPRIM_400000_NS6detail17trampoline_kernelINS0_14default_configENS1_25transform_config_selectorIiLb0EEEZNS1_14transform_implILb0ES3_S5_PiN6thrust23THRUST_200600_302600_NS6detail15normal_iteratorINS9_10device_ptrIiEEEENS0_8identityIiEEEE10hipError_tT2_T3_mT4_P12ihipStream_tbEUlT_E_NS1_11comp_targetILNS1_3genE10ELNS1_11target_archE1200ELNS1_3gpuE4ELNS1_3repE0EEENS1_30default_config_static_selectorELNS0_4arch9wavefront6targetE1EEEvT1_
		.amdhsa_group_segment_fixed_size 0
		.amdhsa_private_segment_fixed_size 0
		.amdhsa_kernarg_size 40
		.amdhsa_user_sgpr_count 6
		.amdhsa_user_sgpr_private_segment_buffer 1
		.amdhsa_user_sgpr_dispatch_ptr 0
		.amdhsa_user_sgpr_queue_ptr 0
		.amdhsa_user_sgpr_kernarg_segment_ptr 1
		.amdhsa_user_sgpr_dispatch_id 0
		.amdhsa_user_sgpr_flat_scratch_init 0
		.amdhsa_user_sgpr_kernarg_preload_length 0
		.amdhsa_user_sgpr_kernarg_preload_offset 0
		.amdhsa_user_sgpr_private_segment_size 0
		.amdhsa_uses_dynamic_stack 0
		.amdhsa_system_sgpr_private_segment_wavefront_offset 0
		.amdhsa_system_sgpr_workgroup_id_x 1
		.amdhsa_system_sgpr_workgroup_id_y 0
		.amdhsa_system_sgpr_workgroup_id_z 0
		.amdhsa_system_sgpr_workgroup_info 0
		.amdhsa_system_vgpr_workitem_id 0
		.amdhsa_next_free_vgpr 1
		.amdhsa_next_free_sgpr 0
		.amdhsa_accum_offset 4
		.amdhsa_reserve_vcc 0
		.amdhsa_reserve_flat_scratch 0
		.amdhsa_float_round_mode_32 0
		.amdhsa_float_round_mode_16_64 0
		.amdhsa_float_denorm_mode_32 3
		.amdhsa_float_denorm_mode_16_64 3
		.amdhsa_dx10_clamp 1
		.amdhsa_ieee_mode 1
		.amdhsa_fp16_overflow 0
		.amdhsa_tg_split 0
		.amdhsa_exception_fp_ieee_invalid_op 0
		.amdhsa_exception_fp_denorm_src 0
		.amdhsa_exception_fp_ieee_div_zero 0
		.amdhsa_exception_fp_ieee_overflow 0
		.amdhsa_exception_fp_ieee_underflow 0
		.amdhsa_exception_fp_ieee_inexact 0
		.amdhsa_exception_int_div_zero 0
	.end_amdhsa_kernel
	.section	.text._ZN7rocprim17ROCPRIM_400000_NS6detail17trampoline_kernelINS0_14default_configENS1_25transform_config_selectorIiLb0EEEZNS1_14transform_implILb0ES3_S5_PiN6thrust23THRUST_200600_302600_NS6detail15normal_iteratorINS9_10device_ptrIiEEEENS0_8identityIiEEEE10hipError_tT2_T3_mT4_P12ihipStream_tbEUlT_E_NS1_11comp_targetILNS1_3genE10ELNS1_11target_archE1200ELNS1_3gpuE4ELNS1_3repE0EEENS1_30default_config_static_selectorELNS0_4arch9wavefront6targetE1EEEvT1_,"axG",@progbits,_ZN7rocprim17ROCPRIM_400000_NS6detail17trampoline_kernelINS0_14default_configENS1_25transform_config_selectorIiLb0EEEZNS1_14transform_implILb0ES3_S5_PiN6thrust23THRUST_200600_302600_NS6detail15normal_iteratorINS9_10device_ptrIiEEEENS0_8identityIiEEEE10hipError_tT2_T3_mT4_P12ihipStream_tbEUlT_E_NS1_11comp_targetILNS1_3genE10ELNS1_11target_archE1200ELNS1_3gpuE4ELNS1_3repE0EEENS1_30default_config_static_selectorELNS0_4arch9wavefront6targetE1EEEvT1_,comdat
.Lfunc_end1668:
	.size	_ZN7rocprim17ROCPRIM_400000_NS6detail17trampoline_kernelINS0_14default_configENS1_25transform_config_selectorIiLb0EEEZNS1_14transform_implILb0ES3_S5_PiN6thrust23THRUST_200600_302600_NS6detail15normal_iteratorINS9_10device_ptrIiEEEENS0_8identityIiEEEE10hipError_tT2_T3_mT4_P12ihipStream_tbEUlT_E_NS1_11comp_targetILNS1_3genE10ELNS1_11target_archE1200ELNS1_3gpuE4ELNS1_3repE0EEENS1_30default_config_static_selectorELNS0_4arch9wavefront6targetE1EEEvT1_, .Lfunc_end1668-_ZN7rocprim17ROCPRIM_400000_NS6detail17trampoline_kernelINS0_14default_configENS1_25transform_config_selectorIiLb0EEEZNS1_14transform_implILb0ES3_S5_PiN6thrust23THRUST_200600_302600_NS6detail15normal_iteratorINS9_10device_ptrIiEEEENS0_8identityIiEEEE10hipError_tT2_T3_mT4_P12ihipStream_tbEUlT_E_NS1_11comp_targetILNS1_3genE10ELNS1_11target_archE1200ELNS1_3gpuE4ELNS1_3repE0EEENS1_30default_config_static_selectorELNS0_4arch9wavefront6targetE1EEEvT1_
                                        ; -- End function
	.section	.AMDGPU.csdata,"",@progbits
; Kernel info:
; codeLenInByte = 0
; NumSgprs: 4
; NumVgprs: 0
; NumAgprs: 0
; TotalNumVgprs: 0
; ScratchSize: 0
; MemoryBound: 0
; FloatMode: 240
; IeeeMode: 1
; LDSByteSize: 0 bytes/workgroup (compile time only)
; SGPRBlocks: 0
; VGPRBlocks: 0
; NumSGPRsForWavesPerEU: 4
; NumVGPRsForWavesPerEU: 1
; AccumOffset: 4
; Occupancy: 8
; WaveLimiterHint : 0
; COMPUTE_PGM_RSRC2:SCRATCH_EN: 0
; COMPUTE_PGM_RSRC2:USER_SGPR: 6
; COMPUTE_PGM_RSRC2:TRAP_HANDLER: 0
; COMPUTE_PGM_RSRC2:TGID_X_EN: 1
; COMPUTE_PGM_RSRC2:TGID_Y_EN: 0
; COMPUTE_PGM_RSRC2:TGID_Z_EN: 0
; COMPUTE_PGM_RSRC2:TIDIG_COMP_CNT: 0
; COMPUTE_PGM_RSRC3_GFX90A:ACCUM_OFFSET: 0
; COMPUTE_PGM_RSRC3_GFX90A:TG_SPLIT: 0
	.section	.text._ZN7rocprim17ROCPRIM_400000_NS6detail17trampoline_kernelINS0_14default_configENS1_25transform_config_selectorIiLb0EEEZNS1_14transform_implILb0ES3_S5_PiN6thrust23THRUST_200600_302600_NS6detail15normal_iteratorINS9_10device_ptrIiEEEENS0_8identityIiEEEE10hipError_tT2_T3_mT4_P12ihipStream_tbEUlT_E_NS1_11comp_targetILNS1_3genE9ELNS1_11target_archE1100ELNS1_3gpuE3ELNS1_3repE0EEENS1_30default_config_static_selectorELNS0_4arch9wavefront6targetE1EEEvT1_,"axG",@progbits,_ZN7rocprim17ROCPRIM_400000_NS6detail17trampoline_kernelINS0_14default_configENS1_25transform_config_selectorIiLb0EEEZNS1_14transform_implILb0ES3_S5_PiN6thrust23THRUST_200600_302600_NS6detail15normal_iteratorINS9_10device_ptrIiEEEENS0_8identityIiEEEE10hipError_tT2_T3_mT4_P12ihipStream_tbEUlT_E_NS1_11comp_targetILNS1_3genE9ELNS1_11target_archE1100ELNS1_3gpuE3ELNS1_3repE0EEENS1_30default_config_static_selectorELNS0_4arch9wavefront6targetE1EEEvT1_,comdat
	.protected	_ZN7rocprim17ROCPRIM_400000_NS6detail17trampoline_kernelINS0_14default_configENS1_25transform_config_selectorIiLb0EEEZNS1_14transform_implILb0ES3_S5_PiN6thrust23THRUST_200600_302600_NS6detail15normal_iteratorINS9_10device_ptrIiEEEENS0_8identityIiEEEE10hipError_tT2_T3_mT4_P12ihipStream_tbEUlT_E_NS1_11comp_targetILNS1_3genE9ELNS1_11target_archE1100ELNS1_3gpuE3ELNS1_3repE0EEENS1_30default_config_static_selectorELNS0_4arch9wavefront6targetE1EEEvT1_ ; -- Begin function _ZN7rocprim17ROCPRIM_400000_NS6detail17trampoline_kernelINS0_14default_configENS1_25transform_config_selectorIiLb0EEEZNS1_14transform_implILb0ES3_S5_PiN6thrust23THRUST_200600_302600_NS6detail15normal_iteratorINS9_10device_ptrIiEEEENS0_8identityIiEEEE10hipError_tT2_T3_mT4_P12ihipStream_tbEUlT_E_NS1_11comp_targetILNS1_3genE9ELNS1_11target_archE1100ELNS1_3gpuE3ELNS1_3repE0EEENS1_30default_config_static_selectorELNS0_4arch9wavefront6targetE1EEEvT1_
	.globl	_ZN7rocprim17ROCPRIM_400000_NS6detail17trampoline_kernelINS0_14default_configENS1_25transform_config_selectorIiLb0EEEZNS1_14transform_implILb0ES3_S5_PiN6thrust23THRUST_200600_302600_NS6detail15normal_iteratorINS9_10device_ptrIiEEEENS0_8identityIiEEEE10hipError_tT2_T3_mT4_P12ihipStream_tbEUlT_E_NS1_11comp_targetILNS1_3genE9ELNS1_11target_archE1100ELNS1_3gpuE3ELNS1_3repE0EEENS1_30default_config_static_selectorELNS0_4arch9wavefront6targetE1EEEvT1_
	.p2align	8
	.type	_ZN7rocprim17ROCPRIM_400000_NS6detail17trampoline_kernelINS0_14default_configENS1_25transform_config_selectorIiLb0EEEZNS1_14transform_implILb0ES3_S5_PiN6thrust23THRUST_200600_302600_NS6detail15normal_iteratorINS9_10device_ptrIiEEEENS0_8identityIiEEEE10hipError_tT2_T3_mT4_P12ihipStream_tbEUlT_E_NS1_11comp_targetILNS1_3genE9ELNS1_11target_archE1100ELNS1_3gpuE3ELNS1_3repE0EEENS1_30default_config_static_selectorELNS0_4arch9wavefront6targetE1EEEvT1_,@function
_ZN7rocprim17ROCPRIM_400000_NS6detail17trampoline_kernelINS0_14default_configENS1_25transform_config_selectorIiLb0EEEZNS1_14transform_implILb0ES3_S5_PiN6thrust23THRUST_200600_302600_NS6detail15normal_iteratorINS9_10device_ptrIiEEEENS0_8identityIiEEEE10hipError_tT2_T3_mT4_P12ihipStream_tbEUlT_E_NS1_11comp_targetILNS1_3genE9ELNS1_11target_archE1100ELNS1_3gpuE3ELNS1_3repE0EEENS1_30default_config_static_selectorELNS0_4arch9wavefront6targetE1EEEvT1_: ; @_ZN7rocprim17ROCPRIM_400000_NS6detail17trampoline_kernelINS0_14default_configENS1_25transform_config_selectorIiLb0EEEZNS1_14transform_implILb0ES3_S5_PiN6thrust23THRUST_200600_302600_NS6detail15normal_iteratorINS9_10device_ptrIiEEEENS0_8identityIiEEEE10hipError_tT2_T3_mT4_P12ihipStream_tbEUlT_E_NS1_11comp_targetILNS1_3genE9ELNS1_11target_archE1100ELNS1_3gpuE3ELNS1_3repE0EEENS1_30default_config_static_selectorELNS0_4arch9wavefront6targetE1EEEvT1_
; %bb.0:
	.section	.rodata,"a",@progbits
	.p2align	6, 0x0
	.amdhsa_kernel _ZN7rocprim17ROCPRIM_400000_NS6detail17trampoline_kernelINS0_14default_configENS1_25transform_config_selectorIiLb0EEEZNS1_14transform_implILb0ES3_S5_PiN6thrust23THRUST_200600_302600_NS6detail15normal_iteratorINS9_10device_ptrIiEEEENS0_8identityIiEEEE10hipError_tT2_T3_mT4_P12ihipStream_tbEUlT_E_NS1_11comp_targetILNS1_3genE9ELNS1_11target_archE1100ELNS1_3gpuE3ELNS1_3repE0EEENS1_30default_config_static_selectorELNS0_4arch9wavefront6targetE1EEEvT1_
		.amdhsa_group_segment_fixed_size 0
		.amdhsa_private_segment_fixed_size 0
		.amdhsa_kernarg_size 40
		.amdhsa_user_sgpr_count 6
		.amdhsa_user_sgpr_private_segment_buffer 1
		.amdhsa_user_sgpr_dispatch_ptr 0
		.amdhsa_user_sgpr_queue_ptr 0
		.amdhsa_user_sgpr_kernarg_segment_ptr 1
		.amdhsa_user_sgpr_dispatch_id 0
		.amdhsa_user_sgpr_flat_scratch_init 0
		.amdhsa_user_sgpr_kernarg_preload_length 0
		.amdhsa_user_sgpr_kernarg_preload_offset 0
		.amdhsa_user_sgpr_private_segment_size 0
		.amdhsa_uses_dynamic_stack 0
		.amdhsa_system_sgpr_private_segment_wavefront_offset 0
		.amdhsa_system_sgpr_workgroup_id_x 1
		.amdhsa_system_sgpr_workgroup_id_y 0
		.amdhsa_system_sgpr_workgroup_id_z 0
		.amdhsa_system_sgpr_workgroup_info 0
		.amdhsa_system_vgpr_workitem_id 0
		.amdhsa_next_free_vgpr 1
		.amdhsa_next_free_sgpr 0
		.amdhsa_accum_offset 4
		.amdhsa_reserve_vcc 0
		.amdhsa_reserve_flat_scratch 0
		.amdhsa_float_round_mode_32 0
		.amdhsa_float_round_mode_16_64 0
		.amdhsa_float_denorm_mode_32 3
		.amdhsa_float_denorm_mode_16_64 3
		.amdhsa_dx10_clamp 1
		.amdhsa_ieee_mode 1
		.amdhsa_fp16_overflow 0
		.amdhsa_tg_split 0
		.amdhsa_exception_fp_ieee_invalid_op 0
		.amdhsa_exception_fp_denorm_src 0
		.amdhsa_exception_fp_ieee_div_zero 0
		.amdhsa_exception_fp_ieee_overflow 0
		.amdhsa_exception_fp_ieee_underflow 0
		.amdhsa_exception_fp_ieee_inexact 0
		.amdhsa_exception_int_div_zero 0
	.end_amdhsa_kernel
	.section	.text._ZN7rocprim17ROCPRIM_400000_NS6detail17trampoline_kernelINS0_14default_configENS1_25transform_config_selectorIiLb0EEEZNS1_14transform_implILb0ES3_S5_PiN6thrust23THRUST_200600_302600_NS6detail15normal_iteratorINS9_10device_ptrIiEEEENS0_8identityIiEEEE10hipError_tT2_T3_mT4_P12ihipStream_tbEUlT_E_NS1_11comp_targetILNS1_3genE9ELNS1_11target_archE1100ELNS1_3gpuE3ELNS1_3repE0EEENS1_30default_config_static_selectorELNS0_4arch9wavefront6targetE1EEEvT1_,"axG",@progbits,_ZN7rocprim17ROCPRIM_400000_NS6detail17trampoline_kernelINS0_14default_configENS1_25transform_config_selectorIiLb0EEEZNS1_14transform_implILb0ES3_S5_PiN6thrust23THRUST_200600_302600_NS6detail15normal_iteratorINS9_10device_ptrIiEEEENS0_8identityIiEEEE10hipError_tT2_T3_mT4_P12ihipStream_tbEUlT_E_NS1_11comp_targetILNS1_3genE9ELNS1_11target_archE1100ELNS1_3gpuE3ELNS1_3repE0EEENS1_30default_config_static_selectorELNS0_4arch9wavefront6targetE1EEEvT1_,comdat
.Lfunc_end1669:
	.size	_ZN7rocprim17ROCPRIM_400000_NS6detail17trampoline_kernelINS0_14default_configENS1_25transform_config_selectorIiLb0EEEZNS1_14transform_implILb0ES3_S5_PiN6thrust23THRUST_200600_302600_NS6detail15normal_iteratorINS9_10device_ptrIiEEEENS0_8identityIiEEEE10hipError_tT2_T3_mT4_P12ihipStream_tbEUlT_E_NS1_11comp_targetILNS1_3genE9ELNS1_11target_archE1100ELNS1_3gpuE3ELNS1_3repE0EEENS1_30default_config_static_selectorELNS0_4arch9wavefront6targetE1EEEvT1_, .Lfunc_end1669-_ZN7rocprim17ROCPRIM_400000_NS6detail17trampoline_kernelINS0_14default_configENS1_25transform_config_selectorIiLb0EEEZNS1_14transform_implILb0ES3_S5_PiN6thrust23THRUST_200600_302600_NS6detail15normal_iteratorINS9_10device_ptrIiEEEENS0_8identityIiEEEE10hipError_tT2_T3_mT4_P12ihipStream_tbEUlT_E_NS1_11comp_targetILNS1_3genE9ELNS1_11target_archE1100ELNS1_3gpuE3ELNS1_3repE0EEENS1_30default_config_static_selectorELNS0_4arch9wavefront6targetE1EEEvT1_
                                        ; -- End function
	.section	.AMDGPU.csdata,"",@progbits
; Kernel info:
; codeLenInByte = 0
; NumSgprs: 4
; NumVgprs: 0
; NumAgprs: 0
; TotalNumVgprs: 0
; ScratchSize: 0
; MemoryBound: 0
; FloatMode: 240
; IeeeMode: 1
; LDSByteSize: 0 bytes/workgroup (compile time only)
; SGPRBlocks: 0
; VGPRBlocks: 0
; NumSGPRsForWavesPerEU: 4
; NumVGPRsForWavesPerEU: 1
; AccumOffset: 4
; Occupancy: 8
; WaveLimiterHint : 0
; COMPUTE_PGM_RSRC2:SCRATCH_EN: 0
; COMPUTE_PGM_RSRC2:USER_SGPR: 6
; COMPUTE_PGM_RSRC2:TRAP_HANDLER: 0
; COMPUTE_PGM_RSRC2:TGID_X_EN: 1
; COMPUTE_PGM_RSRC2:TGID_Y_EN: 0
; COMPUTE_PGM_RSRC2:TGID_Z_EN: 0
; COMPUTE_PGM_RSRC2:TIDIG_COMP_CNT: 0
; COMPUTE_PGM_RSRC3_GFX90A:ACCUM_OFFSET: 0
; COMPUTE_PGM_RSRC3_GFX90A:TG_SPLIT: 0
	.section	.text._ZN7rocprim17ROCPRIM_400000_NS6detail17trampoline_kernelINS0_14default_configENS1_25transform_config_selectorIiLb0EEEZNS1_14transform_implILb0ES3_S5_PiN6thrust23THRUST_200600_302600_NS6detail15normal_iteratorINS9_10device_ptrIiEEEENS0_8identityIiEEEE10hipError_tT2_T3_mT4_P12ihipStream_tbEUlT_E_NS1_11comp_targetILNS1_3genE8ELNS1_11target_archE1030ELNS1_3gpuE2ELNS1_3repE0EEENS1_30default_config_static_selectorELNS0_4arch9wavefront6targetE1EEEvT1_,"axG",@progbits,_ZN7rocprim17ROCPRIM_400000_NS6detail17trampoline_kernelINS0_14default_configENS1_25transform_config_selectorIiLb0EEEZNS1_14transform_implILb0ES3_S5_PiN6thrust23THRUST_200600_302600_NS6detail15normal_iteratorINS9_10device_ptrIiEEEENS0_8identityIiEEEE10hipError_tT2_T3_mT4_P12ihipStream_tbEUlT_E_NS1_11comp_targetILNS1_3genE8ELNS1_11target_archE1030ELNS1_3gpuE2ELNS1_3repE0EEENS1_30default_config_static_selectorELNS0_4arch9wavefront6targetE1EEEvT1_,comdat
	.protected	_ZN7rocprim17ROCPRIM_400000_NS6detail17trampoline_kernelINS0_14default_configENS1_25transform_config_selectorIiLb0EEEZNS1_14transform_implILb0ES3_S5_PiN6thrust23THRUST_200600_302600_NS6detail15normal_iteratorINS9_10device_ptrIiEEEENS0_8identityIiEEEE10hipError_tT2_T3_mT4_P12ihipStream_tbEUlT_E_NS1_11comp_targetILNS1_3genE8ELNS1_11target_archE1030ELNS1_3gpuE2ELNS1_3repE0EEENS1_30default_config_static_selectorELNS0_4arch9wavefront6targetE1EEEvT1_ ; -- Begin function _ZN7rocprim17ROCPRIM_400000_NS6detail17trampoline_kernelINS0_14default_configENS1_25transform_config_selectorIiLb0EEEZNS1_14transform_implILb0ES3_S5_PiN6thrust23THRUST_200600_302600_NS6detail15normal_iteratorINS9_10device_ptrIiEEEENS0_8identityIiEEEE10hipError_tT2_T3_mT4_P12ihipStream_tbEUlT_E_NS1_11comp_targetILNS1_3genE8ELNS1_11target_archE1030ELNS1_3gpuE2ELNS1_3repE0EEENS1_30default_config_static_selectorELNS0_4arch9wavefront6targetE1EEEvT1_
	.globl	_ZN7rocprim17ROCPRIM_400000_NS6detail17trampoline_kernelINS0_14default_configENS1_25transform_config_selectorIiLb0EEEZNS1_14transform_implILb0ES3_S5_PiN6thrust23THRUST_200600_302600_NS6detail15normal_iteratorINS9_10device_ptrIiEEEENS0_8identityIiEEEE10hipError_tT2_T3_mT4_P12ihipStream_tbEUlT_E_NS1_11comp_targetILNS1_3genE8ELNS1_11target_archE1030ELNS1_3gpuE2ELNS1_3repE0EEENS1_30default_config_static_selectorELNS0_4arch9wavefront6targetE1EEEvT1_
	.p2align	8
	.type	_ZN7rocprim17ROCPRIM_400000_NS6detail17trampoline_kernelINS0_14default_configENS1_25transform_config_selectorIiLb0EEEZNS1_14transform_implILb0ES3_S5_PiN6thrust23THRUST_200600_302600_NS6detail15normal_iteratorINS9_10device_ptrIiEEEENS0_8identityIiEEEE10hipError_tT2_T3_mT4_P12ihipStream_tbEUlT_E_NS1_11comp_targetILNS1_3genE8ELNS1_11target_archE1030ELNS1_3gpuE2ELNS1_3repE0EEENS1_30default_config_static_selectorELNS0_4arch9wavefront6targetE1EEEvT1_,@function
_ZN7rocprim17ROCPRIM_400000_NS6detail17trampoline_kernelINS0_14default_configENS1_25transform_config_selectorIiLb0EEEZNS1_14transform_implILb0ES3_S5_PiN6thrust23THRUST_200600_302600_NS6detail15normal_iteratorINS9_10device_ptrIiEEEENS0_8identityIiEEEE10hipError_tT2_T3_mT4_P12ihipStream_tbEUlT_E_NS1_11comp_targetILNS1_3genE8ELNS1_11target_archE1030ELNS1_3gpuE2ELNS1_3repE0EEENS1_30default_config_static_selectorELNS0_4arch9wavefront6targetE1EEEvT1_: ; @_ZN7rocprim17ROCPRIM_400000_NS6detail17trampoline_kernelINS0_14default_configENS1_25transform_config_selectorIiLb0EEEZNS1_14transform_implILb0ES3_S5_PiN6thrust23THRUST_200600_302600_NS6detail15normal_iteratorINS9_10device_ptrIiEEEENS0_8identityIiEEEE10hipError_tT2_T3_mT4_P12ihipStream_tbEUlT_E_NS1_11comp_targetILNS1_3genE8ELNS1_11target_archE1030ELNS1_3gpuE2ELNS1_3repE0EEENS1_30default_config_static_selectorELNS0_4arch9wavefront6targetE1EEEvT1_
; %bb.0:
	.section	.rodata,"a",@progbits
	.p2align	6, 0x0
	.amdhsa_kernel _ZN7rocprim17ROCPRIM_400000_NS6detail17trampoline_kernelINS0_14default_configENS1_25transform_config_selectorIiLb0EEEZNS1_14transform_implILb0ES3_S5_PiN6thrust23THRUST_200600_302600_NS6detail15normal_iteratorINS9_10device_ptrIiEEEENS0_8identityIiEEEE10hipError_tT2_T3_mT4_P12ihipStream_tbEUlT_E_NS1_11comp_targetILNS1_3genE8ELNS1_11target_archE1030ELNS1_3gpuE2ELNS1_3repE0EEENS1_30default_config_static_selectorELNS0_4arch9wavefront6targetE1EEEvT1_
		.amdhsa_group_segment_fixed_size 0
		.amdhsa_private_segment_fixed_size 0
		.amdhsa_kernarg_size 40
		.amdhsa_user_sgpr_count 6
		.amdhsa_user_sgpr_private_segment_buffer 1
		.amdhsa_user_sgpr_dispatch_ptr 0
		.amdhsa_user_sgpr_queue_ptr 0
		.amdhsa_user_sgpr_kernarg_segment_ptr 1
		.amdhsa_user_sgpr_dispatch_id 0
		.amdhsa_user_sgpr_flat_scratch_init 0
		.amdhsa_user_sgpr_kernarg_preload_length 0
		.amdhsa_user_sgpr_kernarg_preload_offset 0
		.amdhsa_user_sgpr_private_segment_size 0
		.amdhsa_uses_dynamic_stack 0
		.amdhsa_system_sgpr_private_segment_wavefront_offset 0
		.amdhsa_system_sgpr_workgroup_id_x 1
		.amdhsa_system_sgpr_workgroup_id_y 0
		.amdhsa_system_sgpr_workgroup_id_z 0
		.amdhsa_system_sgpr_workgroup_info 0
		.amdhsa_system_vgpr_workitem_id 0
		.amdhsa_next_free_vgpr 1
		.amdhsa_next_free_sgpr 0
		.amdhsa_accum_offset 4
		.amdhsa_reserve_vcc 0
		.amdhsa_reserve_flat_scratch 0
		.amdhsa_float_round_mode_32 0
		.amdhsa_float_round_mode_16_64 0
		.amdhsa_float_denorm_mode_32 3
		.amdhsa_float_denorm_mode_16_64 3
		.amdhsa_dx10_clamp 1
		.amdhsa_ieee_mode 1
		.amdhsa_fp16_overflow 0
		.amdhsa_tg_split 0
		.amdhsa_exception_fp_ieee_invalid_op 0
		.amdhsa_exception_fp_denorm_src 0
		.amdhsa_exception_fp_ieee_div_zero 0
		.amdhsa_exception_fp_ieee_overflow 0
		.amdhsa_exception_fp_ieee_underflow 0
		.amdhsa_exception_fp_ieee_inexact 0
		.amdhsa_exception_int_div_zero 0
	.end_amdhsa_kernel
	.section	.text._ZN7rocprim17ROCPRIM_400000_NS6detail17trampoline_kernelINS0_14default_configENS1_25transform_config_selectorIiLb0EEEZNS1_14transform_implILb0ES3_S5_PiN6thrust23THRUST_200600_302600_NS6detail15normal_iteratorINS9_10device_ptrIiEEEENS0_8identityIiEEEE10hipError_tT2_T3_mT4_P12ihipStream_tbEUlT_E_NS1_11comp_targetILNS1_3genE8ELNS1_11target_archE1030ELNS1_3gpuE2ELNS1_3repE0EEENS1_30default_config_static_selectorELNS0_4arch9wavefront6targetE1EEEvT1_,"axG",@progbits,_ZN7rocprim17ROCPRIM_400000_NS6detail17trampoline_kernelINS0_14default_configENS1_25transform_config_selectorIiLb0EEEZNS1_14transform_implILb0ES3_S5_PiN6thrust23THRUST_200600_302600_NS6detail15normal_iteratorINS9_10device_ptrIiEEEENS0_8identityIiEEEE10hipError_tT2_T3_mT4_P12ihipStream_tbEUlT_E_NS1_11comp_targetILNS1_3genE8ELNS1_11target_archE1030ELNS1_3gpuE2ELNS1_3repE0EEENS1_30default_config_static_selectorELNS0_4arch9wavefront6targetE1EEEvT1_,comdat
.Lfunc_end1670:
	.size	_ZN7rocprim17ROCPRIM_400000_NS6detail17trampoline_kernelINS0_14default_configENS1_25transform_config_selectorIiLb0EEEZNS1_14transform_implILb0ES3_S5_PiN6thrust23THRUST_200600_302600_NS6detail15normal_iteratorINS9_10device_ptrIiEEEENS0_8identityIiEEEE10hipError_tT2_T3_mT4_P12ihipStream_tbEUlT_E_NS1_11comp_targetILNS1_3genE8ELNS1_11target_archE1030ELNS1_3gpuE2ELNS1_3repE0EEENS1_30default_config_static_selectorELNS0_4arch9wavefront6targetE1EEEvT1_, .Lfunc_end1670-_ZN7rocprim17ROCPRIM_400000_NS6detail17trampoline_kernelINS0_14default_configENS1_25transform_config_selectorIiLb0EEEZNS1_14transform_implILb0ES3_S5_PiN6thrust23THRUST_200600_302600_NS6detail15normal_iteratorINS9_10device_ptrIiEEEENS0_8identityIiEEEE10hipError_tT2_T3_mT4_P12ihipStream_tbEUlT_E_NS1_11comp_targetILNS1_3genE8ELNS1_11target_archE1030ELNS1_3gpuE2ELNS1_3repE0EEENS1_30default_config_static_selectorELNS0_4arch9wavefront6targetE1EEEvT1_
                                        ; -- End function
	.section	.AMDGPU.csdata,"",@progbits
; Kernel info:
; codeLenInByte = 0
; NumSgprs: 4
; NumVgprs: 0
; NumAgprs: 0
; TotalNumVgprs: 0
; ScratchSize: 0
; MemoryBound: 0
; FloatMode: 240
; IeeeMode: 1
; LDSByteSize: 0 bytes/workgroup (compile time only)
; SGPRBlocks: 0
; VGPRBlocks: 0
; NumSGPRsForWavesPerEU: 4
; NumVGPRsForWavesPerEU: 1
; AccumOffset: 4
; Occupancy: 8
; WaveLimiterHint : 0
; COMPUTE_PGM_RSRC2:SCRATCH_EN: 0
; COMPUTE_PGM_RSRC2:USER_SGPR: 6
; COMPUTE_PGM_RSRC2:TRAP_HANDLER: 0
; COMPUTE_PGM_RSRC2:TGID_X_EN: 1
; COMPUTE_PGM_RSRC2:TGID_Y_EN: 0
; COMPUTE_PGM_RSRC2:TGID_Z_EN: 0
; COMPUTE_PGM_RSRC2:TIDIG_COMP_CNT: 0
; COMPUTE_PGM_RSRC3_GFX90A:ACCUM_OFFSET: 0
; COMPUTE_PGM_RSRC3_GFX90A:TG_SPLIT: 0
	.section	.text._ZN7rocprim17ROCPRIM_400000_NS6detail17trampoline_kernelINS0_14default_configENS1_38merge_sort_block_merge_config_selectorIiNS0_10empty_typeEEEZZNS1_27merge_sort_block_merge_implIS3_N6thrust23THRUST_200600_302600_NS6detail15normal_iteratorINS9_10device_ptrIiEEEEPS5_jNS1_19radix_merge_compareILb0ELb1EiNS0_19identity_decomposerEEEEE10hipError_tT0_T1_T2_jT3_P12ihipStream_tbPNSt15iterator_traitsISK_E10value_typeEPNSQ_ISL_E10value_typeEPSM_NS1_7vsmem_tEENKUlT_SK_SL_SM_E_clIPiSE_SF_SF_EESJ_SZ_SK_SL_SM_EUlSZ_E_NS1_11comp_targetILNS1_3genE0ELNS1_11target_archE4294967295ELNS1_3gpuE0ELNS1_3repE0EEENS1_48merge_mergepath_partition_config_static_selectorELNS0_4arch9wavefront6targetE1EEEvSL_,"axG",@progbits,_ZN7rocprim17ROCPRIM_400000_NS6detail17trampoline_kernelINS0_14default_configENS1_38merge_sort_block_merge_config_selectorIiNS0_10empty_typeEEEZZNS1_27merge_sort_block_merge_implIS3_N6thrust23THRUST_200600_302600_NS6detail15normal_iteratorINS9_10device_ptrIiEEEEPS5_jNS1_19radix_merge_compareILb0ELb1EiNS0_19identity_decomposerEEEEE10hipError_tT0_T1_T2_jT3_P12ihipStream_tbPNSt15iterator_traitsISK_E10value_typeEPNSQ_ISL_E10value_typeEPSM_NS1_7vsmem_tEENKUlT_SK_SL_SM_E_clIPiSE_SF_SF_EESJ_SZ_SK_SL_SM_EUlSZ_E_NS1_11comp_targetILNS1_3genE0ELNS1_11target_archE4294967295ELNS1_3gpuE0ELNS1_3repE0EEENS1_48merge_mergepath_partition_config_static_selectorELNS0_4arch9wavefront6targetE1EEEvSL_,comdat
	.protected	_ZN7rocprim17ROCPRIM_400000_NS6detail17trampoline_kernelINS0_14default_configENS1_38merge_sort_block_merge_config_selectorIiNS0_10empty_typeEEEZZNS1_27merge_sort_block_merge_implIS3_N6thrust23THRUST_200600_302600_NS6detail15normal_iteratorINS9_10device_ptrIiEEEEPS5_jNS1_19radix_merge_compareILb0ELb1EiNS0_19identity_decomposerEEEEE10hipError_tT0_T1_T2_jT3_P12ihipStream_tbPNSt15iterator_traitsISK_E10value_typeEPNSQ_ISL_E10value_typeEPSM_NS1_7vsmem_tEENKUlT_SK_SL_SM_E_clIPiSE_SF_SF_EESJ_SZ_SK_SL_SM_EUlSZ_E_NS1_11comp_targetILNS1_3genE0ELNS1_11target_archE4294967295ELNS1_3gpuE0ELNS1_3repE0EEENS1_48merge_mergepath_partition_config_static_selectorELNS0_4arch9wavefront6targetE1EEEvSL_ ; -- Begin function _ZN7rocprim17ROCPRIM_400000_NS6detail17trampoline_kernelINS0_14default_configENS1_38merge_sort_block_merge_config_selectorIiNS0_10empty_typeEEEZZNS1_27merge_sort_block_merge_implIS3_N6thrust23THRUST_200600_302600_NS6detail15normal_iteratorINS9_10device_ptrIiEEEEPS5_jNS1_19radix_merge_compareILb0ELb1EiNS0_19identity_decomposerEEEEE10hipError_tT0_T1_T2_jT3_P12ihipStream_tbPNSt15iterator_traitsISK_E10value_typeEPNSQ_ISL_E10value_typeEPSM_NS1_7vsmem_tEENKUlT_SK_SL_SM_E_clIPiSE_SF_SF_EESJ_SZ_SK_SL_SM_EUlSZ_E_NS1_11comp_targetILNS1_3genE0ELNS1_11target_archE4294967295ELNS1_3gpuE0ELNS1_3repE0EEENS1_48merge_mergepath_partition_config_static_selectorELNS0_4arch9wavefront6targetE1EEEvSL_
	.globl	_ZN7rocprim17ROCPRIM_400000_NS6detail17trampoline_kernelINS0_14default_configENS1_38merge_sort_block_merge_config_selectorIiNS0_10empty_typeEEEZZNS1_27merge_sort_block_merge_implIS3_N6thrust23THRUST_200600_302600_NS6detail15normal_iteratorINS9_10device_ptrIiEEEEPS5_jNS1_19radix_merge_compareILb0ELb1EiNS0_19identity_decomposerEEEEE10hipError_tT0_T1_T2_jT3_P12ihipStream_tbPNSt15iterator_traitsISK_E10value_typeEPNSQ_ISL_E10value_typeEPSM_NS1_7vsmem_tEENKUlT_SK_SL_SM_E_clIPiSE_SF_SF_EESJ_SZ_SK_SL_SM_EUlSZ_E_NS1_11comp_targetILNS1_3genE0ELNS1_11target_archE4294967295ELNS1_3gpuE0ELNS1_3repE0EEENS1_48merge_mergepath_partition_config_static_selectorELNS0_4arch9wavefront6targetE1EEEvSL_
	.p2align	8
	.type	_ZN7rocprim17ROCPRIM_400000_NS6detail17trampoline_kernelINS0_14default_configENS1_38merge_sort_block_merge_config_selectorIiNS0_10empty_typeEEEZZNS1_27merge_sort_block_merge_implIS3_N6thrust23THRUST_200600_302600_NS6detail15normal_iteratorINS9_10device_ptrIiEEEEPS5_jNS1_19radix_merge_compareILb0ELb1EiNS0_19identity_decomposerEEEEE10hipError_tT0_T1_T2_jT3_P12ihipStream_tbPNSt15iterator_traitsISK_E10value_typeEPNSQ_ISL_E10value_typeEPSM_NS1_7vsmem_tEENKUlT_SK_SL_SM_E_clIPiSE_SF_SF_EESJ_SZ_SK_SL_SM_EUlSZ_E_NS1_11comp_targetILNS1_3genE0ELNS1_11target_archE4294967295ELNS1_3gpuE0ELNS1_3repE0EEENS1_48merge_mergepath_partition_config_static_selectorELNS0_4arch9wavefront6targetE1EEEvSL_,@function
_ZN7rocprim17ROCPRIM_400000_NS6detail17trampoline_kernelINS0_14default_configENS1_38merge_sort_block_merge_config_selectorIiNS0_10empty_typeEEEZZNS1_27merge_sort_block_merge_implIS3_N6thrust23THRUST_200600_302600_NS6detail15normal_iteratorINS9_10device_ptrIiEEEEPS5_jNS1_19radix_merge_compareILb0ELb1EiNS0_19identity_decomposerEEEEE10hipError_tT0_T1_T2_jT3_P12ihipStream_tbPNSt15iterator_traitsISK_E10value_typeEPNSQ_ISL_E10value_typeEPSM_NS1_7vsmem_tEENKUlT_SK_SL_SM_E_clIPiSE_SF_SF_EESJ_SZ_SK_SL_SM_EUlSZ_E_NS1_11comp_targetILNS1_3genE0ELNS1_11target_archE4294967295ELNS1_3gpuE0ELNS1_3repE0EEENS1_48merge_mergepath_partition_config_static_selectorELNS0_4arch9wavefront6targetE1EEEvSL_: ; @_ZN7rocprim17ROCPRIM_400000_NS6detail17trampoline_kernelINS0_14default_configENS1_38merge_sort_block_merge_config_selectorIiNS0_10empty_typeEEEZZNS1_27merge_sort_block_merge_implIS3_N6thrust23THRUST_200600_302600_NS6detail15normal_iteratorINS9_10device_ptrIiEEEEPS5_jNS1_19radix_merge_compareILb0ELb1EiNS0_19identity_decomposerEEEEE10hipError_tT0_T1_T2_jT3_P12ihipStream_tbPNSt15iterator_traitsISK_E10value_typeEPNSQ_ISL_E10value_typeEPSM_NS1_7vsmem_tEENKUlT_SK_SL_SM_E_clIPiSE_SF_SF_EESJ_SZ_SK_SL_SM_EUlSZ_E_NS1_11comp_targetILNS1_3genE0ELNS1_11target_archE4294967295ELNS1_3gpuE0ELNS1_3repE0EEENS1_48merge_mergepath_partition_config_static_selectorELNS0_4arch9wavefront6targetE1EEEvSL_
; %bb.0:
	.section	.rodata,"a",@progbits
	.p2align	6, 0x0
	.amdhsa_kernel _ZN7rocprim17ROCPRIM_400000_NS6detail17trampoline_kernelINS0_14default_configENS1_38merge_sort_block_merge_config_selectorIiNS0_10empty_typeEEEZZNS1_27merge_sort_block_merge_implIS3_N6thrust23THRUST_200600_302600_NS6detail15normal_iteratorINS9_10device_ptrIiEEEEPS5_jNS1_19radix_merge_compareILb0ELb1EiNS0_19identity_decomposerEEEEE10hipError_tT0_T1_T2_jT3_P12ihipStream_tbPNSt15iterator_traitsISK_E10value_typeEPNSQ_ISL_E10value_typeEPSM_NS1_7vsmem_tEENKUlT_SK_SL_SM_E_clIPiSE_SF_SF_EESJ_SZ_SK_SL_SM_EUlSZ_E_NS1_11comp_targetILNS1_3genE0ELNS1_11target_archE4294967295ELNS1_3gpuE0ELNS1_3repE0EEENS1_48merge_mergepath_partition_config_static_selectorELNS0_4arch9wavefront6targetE1EEEvSL_
		.amdhsa_group_segment_fixed_size 0
		.amdhsa_private_segment_fixed_size 0
		.amdhsa_kernarg_size 40
		.amdhsa_user_sgpr_count 6
		.amdhsa_user_sgpr_private_segment_buffer 1
		.amdhsa_user_sgpr_dispatch_ptr 0
		.amdhsa_user_sgpr_queue_ptr 0
		.amdhsa_user_sgpr_kernarg_segment_ptr 1
		.amdhsa_user_sgpr_dispatch_id 0
		.amdhsa_user_sgpr_flat_scratch_init 0
		.amdhsa_user_sgpr_kernarg_preload_length 0
		.amdhsa_user_sgpr_kernarg_preload_offset 0
		.amdhsa_user_sgpr_private_segment_size 0
		.amdhsa_uses_dynamic_stack 0
		.amdhsa_system_sgpr_private_segment_wavefront_offset 0
		.amdhsa_system_sgpr_workgroup_id_x 1
		.amdhsa_system_sgpr_workgroup_id_y 0
		.amdhsa_system_sgpr_workgroup_id_z 0
		.amdhsa_system_sgpr_workgroup_info 0
		.amdhsa_system_vgpr_workitem_id 0
		.amdhsa_next_free_vgpr 1
		.amdhsa_next_free_sgpr 0
		.amdhsa_accum_offset 4
		.amdhsa_reserve_vcc 0
		.amdhsa_reserve_flat_scratch 0
		.amdhsa_float_round_mode_32 0
		.amdhsa_float_round_mode_16_64 0
		.amdhsa_float_denorm_mode_32 3
		.amdhsa_float_denorm_mode_16_64 3
		.amdhsa_dx10_clamp 1
		.amdhsa_ieee_mode 1
		.amdhsa_fp16_overflow 0
		.amdhsa_tg_split 0
		.amdhsa_exception_fp_ieee_invalid_op 0
		.amdhsa_exception_fp_denorm_src 0
		.amdhsa_exception_fp_ieee_div_zero 0
		.amdhsa_exception_fp_ieee_overflow 0
		.amdhsa_exception_fp_ieee_underflow 0
		.amdhsa_exception_fp_ieee_inexact 0
		.amdhsa_exception_int_div_zero 0
	.end_amdhsa_kernel
	.section	.text._ZN7rocprim17ROCPRIM_400000_NS6detail17trampoline_kernelINS0_14default_configENS1_38merge_sort_block_merge_config_selectorIiNS0_10empty_typeEEEZZNS1_27merge_sort_block_merge_implIS3_N6thrust23THRUST_200600_302600_NS6detail15normal_iteratorINS9_10device_ptrIiEEEEPS5_jNS1_19radix_merge_compareILb0ELb1EiNS0_19identity_decomposerEEEEE10hipError_tT0_T1_T2_jT3_P12ihipStream_tbPNSt15iterator_traitsISK_E10value_typeEPNSQ_ISL_E10value_typeEPSM_NS1_7vsmem_tEENKUlT_SK_SL_SM_E_clIPiSE_SF_SF_EESJ_SZ_SK_SL_SM_EUlSZ_E_NS1_11comp_targetILNS1_3genE0ELNS1_11target_archE4294967295ELNS1_3gpuE0ELNS1_3repE0EEENS1_48merge_mergepath_partition_config_static_selectorELNS0_4arch9wavefront6targetE1EEEvSL_,"axG",@progbits,_ZN7rocprim17ROCPRIM_400000_NS6detail17trampoline_kernelINS0_14default_configENS1_38merge_sort_block_merge_config_selectorIiNS0_10empty_typeEEEZZNS1_27merge_sort_block_merge_implIS3_N6thrust23THRUST_200600_302600_NS6detail15normal_iteratorINS9_10device_ptrIiEEEEPS5_jNS1_19radix_merge_compareILb0ELb1EiNS0_19identity_decomposerEEEEE10hipError_tT0_T1_T2_jT3_P12ihipStream_tbPNSt15iterator_traitsISK_E10value_typeEPNSQ_ISL_E10value_typeEPSM_NS1_7vsmem_tEENKUlT_SK_SL_SM_E_clIPiSE_SF_SF_EESJ_SZ_SK_SL_SM_EUlSZ_E_NS1_11comp_targetILNS1_3genE0ELNS1_11target_archE4294967295ELNS1_3gpuE0ELNS1_3repE0EEENS1_48merge_mergepath_partition_config_static_selectorELNS0_4arch9wavefront6targetE1EEEvSL_,comdat
.Lfunc_end1671:
	.size	_ZN7rocprim17ROCPRIM_400000_NS6detail17trampoline_kernelINS0_14default_configENS1_38merge_sort_block_merge_config_selectorIiNS0_10empty_typeEEEZZNS1_27merge_sort_block_merge_implIS3_N6thrust23THRUST_200600_302600_NS6detail15normal_iteratorINS9_10device_ptrIiEEEEPS5_jNS1_19radix_merge_compareILb0ELb1EiNS0_19identity_decomposerEEEEE10hipError_tT0_T1_T2_jT3_P12ihipStream_tbPNSt15iterator_traitsISK_E10value_typeEPNSQ_ISL_E10value_typeEPSM_NS1_7vsmem_tEENKUlT_SK_SL_SM_E_clIPiSE_SF_SF_EESJ_SZ_SK_SL_SM_EUlSZ_E_NS1_11comp_targetILNS1_3genE0ELNS1_11target_archE4294967295ELNS1_3gpuE0ELNS1_3repE0EEENS1_48merge_mergepath_partition_config_static_selectorELNS0_4arch9wavefront6targetE1EEEvSL_, .Lfunc_end1671-_ZN7rocprim17ROCPRIM_400000_NS6detail17trampoline_kernelINS0_14default_configENS1_38merge_sort_block_merge_config_selectorIiNS0_10empty_typeEEEZZNS1_27merge_sort_block_merge_implIS3_N6thrust23THRUST_200600_302600_NS6detail15normal_iteratorINS9_10device_ptrIiEEEEPS5_jNS1_19radix_merge_compareILb0ELb1EiNS0_19identity_decomposerEEEEE10hipError_tT0_T1_T2_jT3_P12ihipStream_tbPNSt15iterator_traitsISK_E10value_typeEPNSQ_ISL_E10value_typeEPSM_NS1_7vsmem_tEENKUlT_SK_SL_SM_E_clIPiSE_SF_SF_EESJ_SZ_SK_SL_SM_EUlSZ_E_NS1_11comp_targetILNS1_3genE0ELNS1_11target_archE4294967295ELNS1_3gpuE0ELNS1_3repE0EEENS1_48merge_mergepath_partition_config_static_selectorELNS0_4arch9wavefront6targetE1EEEvSL_
                                        ; -- End function
	.section	.AMDGPU.csdata,"",@progbits
; Kernel info:
; codeLenInByte = 0
; NumSgprs: 4
; NumVgprs: 0
; NumAgprs: 0
; TotalNumVgprs: 0
; ScratchSize: 0
; MemoryBound: 0
; FloatMode: 240
; IeeeMode: 1
; LDSByteSize: 0 bytes/workgroup (compile time only)
; SGPRBlocks: 0
; VGPRBlocks: 0
; NumSGPRsForWavesPerEU: 4
; NumVGPRsForWavesPerEU: 1
; AccumOffset: 4
; Occupancy: 8
; WaveLimiterHint : 0
; COMPUTE_PGM_RSRC2:SCRATCH_EN: 0
; COMPUTE_PGM_RSRC2:USER_SGPR: 6
; COMPUTE_PGM_RSRC2:TRAP_HANDLER: 0
; COMPUTE_PGM_RSRC2:TGID_X_EN: 1
; COMPUTE_PGM_RSRC2:TGID_Y_EN: 0
; COMPUTE_PGM_RSRC2:TGID_Z_EN: 0
; COMPUTE_PGM_RSRC2:TIDIG_COMP_CNT: 0
; COMPUTE_PGM_RSRC3_GFX90A:ACCUM_OFFSET: 0
; COMPUTE_PGM_RSRC3_GFX90A:TG_SPLIT: 0
	.section	.text._ZN7rocprim17ROCPRIM_400000_NS6detail17trampoline_kernelINS0_14default_configENS1_38merge_sort_block_merge_config_selectorIiNS0_10empty_typeEEEZZNS1_27merge_sort_block_merge_implIS3_N6thrust23THRUST_200600_302600_NS6detail15normal_iteratorINS9_10device_ptrIiEEEEPS5_jNS1_19radix_merge_compareILb0ELb1EiNS0_19identity_decomposerEEEEE10hipError_tT0_T1_T2_jT3_P12ihipStream_tbPNSt15iterator_traitsISK_E10value_typeEPNSQ_ISL_E10value_typeEPSM_NS1_7vsmem_tEENKUlT_SK_SL_SM_E_clIPiSE_SF_SF_EESJ_SZ_SK_SL_SM_EUlSZ_E_NS1_11comp_targetILNS1_3genE10ELNS1_11target_archE1201ELNS1_3gpuE5ELNS1_3repE0EEENS1_48merge_mergepath_partition_config_static_selectorELNS0_4arch9wavefront6targetE1EEEvSL_,"axG",@progbits,_ZN7rocprim17ROCPRIM_400000_NS6detail17trampoline_kernelINS0_14default_configENS1_38merge_sort_block_merge_config_selectorIiNS0_10empty_typeEEEZZNS1_27merge_sort_block_merge_implIS3_N6thrust23THRUST_200600_302600_NS6detail15normal_iteratorINS9_10device_ptrIiEEEEPS5_jNS1_19radix_merge_compareILb0ELb1EiNS0_19identity_decomposerEEEEE10hipError_tT0_T1_T2_jT3_P12ihipStream_tbPNSt15iterator_traitsISK_E10value_typeEPNSQ_ISL_E10value_typeEPSM_NS1_7vsmem_tEENKUlT_SK_SL_SM_E_clIPiSE_SF_SF_EESJ_SZ_SK_SL_SM_EUlSZ_E_NS1_11comp_targetILNS1_3genE10ELNS1_11target_archE1201ELNS1_3gpuE5ELNS1_3repE0EEENS1_48merge_mergepath_partition_config_static_selectorELNS0_4arch9wavefront6targetE1EEEvSL_,comdat
	.protected	_ZN7rocprim17ROCPRIM_400000_NS6detail17trampoline_kernelINS0_14default_configENS1_38merge_sort_block_merge_config_selectorIiNS0_10empty_typeEEEZZNS1_27merge_sort_block_merge_implIS3_N6thrust23THRUST_200600_302600_NS6detail15normal_iteratorINS9_10device_ptrIiEEEEPS5_jNS1_19radix_merge_compareILb0ELb1EiNS0_19identity_decomposerEEEEE10hipError_tT0_T1_T2_jT3_P12ihipStream_tbPNSt15iterator_traitsISK_E10value_typeEPNSQ_ISL_E10value_typeEPSM_NS1_7vsmem_tEENKUlT_SK_SL_SM_E_clIPiSE_SF_SF_EESJ_SZ_SK_SL_SM_EUlSZ_E_NS1_11comp_targetILNS1_3genE10ELNS1_11target_archE1201ELNS1_3gpuE5ELNS1_3repE0EEENS1_48merge_mergepath_partition_config_static_selectorELNS0_4arch9wavefront6targetE1EEEvSL_ ; -- Begin function _ZN7rocprim17ROCPRIM_400000_NS6detail17trampoline_kernelINS0_14default_configENS1_38merge_sort_block_merge_config_selectorIiNS0_10empty_typeEEEZZNS1_27merge_sort_block_merge_implIS3_N6thrust23THRUST_200600_302600_NS6detail15normal_iteratorINS9_10device_ptrIiEEEEPS5_jNS1_19radix_merge_compareILb0ELb1EiNS0_19identity_decomposerEEEEE10hipError_tT0_T1_T2_jT3_P12ihipStream_tbPNSt15iterator_traitsISK_E10value_typeEPNSQ_ISL_E10value_typeEPSM_NS1_7vsmem_tEENKUlT_SK_SL_SM_E_clIPiSE_SF_SF_EESJ_SZ_SK_SL_SM_EUlSZ_E_NS1_11comp_targetILNS1_3genE10ELNS1_11target_archE1201ELNS1_3gpuE5ELNS1_3repE0EEENS1_48merge_mergepath_partition_config_static_selectorELNS0_4arch9wavefront6targetE1EEEvSL_
	.globl	_ZN7rocprim17ROCPRIM_400000_NS6detail17trampoline_kernelINS0_14default_configENS1_38merge_sort_block_merge_config_selectorIiNS0_10empty_typeEEEZZNS1_27merge_sort_block_merge_implIS3_N6thrust23THRUST_200600_302600_NS6detail15normal_iteratorINS9_10device_ptrIiEEEEPS5_jNS1_19radix_merge_compareILb0ELb1EiNS0_19identity_decomposerEEEEE10hipError_tT0_T1_T2_jT3_P12ihipStream_tbPNSt15iterator_traitsISK_E10value_typeEPNSQ_ISL_E10value_typeEPSM_NS1_7vsmem_tEENKUlT_SK_SL_SM_E_clIPiSE_SF_SF_EESJ_SZ_SK_SL_SM_EUlSZ_E_NS1_11comp_targetILNS1_3genE10ELNS1_11target_archE1201ELNS1_3gpuE5ELNS1_3repE0EEENS1_48merge_mergepath_partition_config_static_selectorELNS0_4arch9wavefront6targetE1EEEvSL_
	.p2align	8
	.type	_ZN7rocprim17ROCPRIM_400000_NS6detail17trampoline_kernelINS0_14default_configENS1_38merge_sort_block_merge_config_selectorIiNS0_10empty_typeEEEZZNS1_27merge_sort_block_merge_implIS3_N6thrust23THRUST_200600_302600_NS6detail15normal_iteratorINS9_10device_ptrIiEEEEPS5_jNS1_19radix_merge_compareILb0ELb1EiNS0_19identity_decomposerEEEEE10hipError_tT0_T1_T2_jT3_P12ihipStream_tbPNSt15iterator_traitsISK_E10value_typeEPNSQ_ISL_E10value_typeEPSM_NS1_7vsmem_tEENKUlT_SK_SL_SM_E_clIPiSE_SF_SF_EESJ_SZ_SK_SL_SM_EUlSZ_E_NS1_11comp_targetILNS1_3genE10ELNS1_11target_archE1201ELNS1_3gpuE5ELNS1_3repE0EEENS1_48merge_mergepath_partition_config_static_selectorELNS0_4arch9wavefront6targetE1EEEvSL_,@function
_ZN7rocprim17ROCPRIM_400000_NS6detail17trampoline_kernelINS0_14default_configENS1_38merge_sort_block_merge_config_selectorIiNS0_10empty_typeEEEZZNS1_27merge_sort_block_merge_implIS3_N6thrust23THRUST_200600_302600_NS6detail15normal_iteratorINS9_10device_ptrIiEEEEPS5_jNS1_19radix_merge_compareILb0ELb1EiNS0_19identity_decomposerEEEEE10hipError_tT0_T1_T2_jT3_P12ihipStream_tbPNSt15iterator_traitsISK_E10value_typeEPNSQ_ISL_E10value_typeEPSM_NS1_7vsmem_tEENKUlT_SK_SL_SM_E_clIPiSE_SF_SF_EESJ_SZ_SK_SL_SM_EUlSZ_E_NS1_11comp_targetILNS1_3genE10ELNS1_11target_archE1201ELNS1_3gpuE5ELNS1_3repE0EEENS1_48merge_mergepath_partition_config_static_selectorELNS0_4arch9wavefront6targetE1EEEvSL_: ; @_ZN7rocprim17ROCPRIM_400000_NS6detail17trampoline_kernelINS0_14default_configENS1_38merge_sort_block_merge_config_selectorIiNS0_10empty_typeEEEZZNS1_27merge_sort_block_merge_implIS3_N6thrust23THRUST_200600_302600_NS6detail15normal_iteratorINS9_10device_ptrIiEEEEPS5_jNS1_19radix_merge_compareILb0ELb1EiNS0_19identity_decomposerEEEEE10hipError_tT0_T1_T2_jT3_P12ihipStream_tbPNSt15iterator_traitsISK_E10value_typeEPNSQ_ISL_E10value_typeEPSM_NS1_7vsmem_tEENKUlT_SK_SL_SM_E_clIPiSE_SF_SF_EESJ_SZ_SK_SL_SM_EUlSZ_E_NS1_11comp_targetILNS1_3genE10ELNS1_11target_archE1201ELNS1_3gpuE5ELNS1_3repE0EEENS1_48merge_mergepath_partition_config_static_selectorELNS0_4arch9wavefront6targetE1EEEvSL_
; %bb.0:
	.section	.rodata,"a",@progbits
	.p2align	6, 0x0
	.amdhsa_kernel _ZN7rocprim17ROCPRIM_400000_NS6detail17trampoline_kernelINS0_14default_configENS1_38merge_sort_block_merge_config_selectorIiNS0_10empty_typeEEEZZNS1_27merge_sort_block_merge_implIS3_N6thrust23THRUST_200600_302600_NS6detail15normal_iteratorINS9_10device_ptrIiEEEEPS5_jNS1_19radix_merge_compareILb0ELb1EiNS0_19identity_decomposerEEEEE10hipError_tT0_T1_T2_jT3_P12ihipStream_tbPNSt15iterator_traitsISK_E10value_typeEPNSQ_ISL_E10value_typeEPSM_NS1_7vsmem_tEENKUlT_SK_SL_SM_E_clIPiSE_SF_SF_EESJ_SZ_SK_SL_SM_EUlSZ_E_NS1_11comp_targetILNS1_3genE10ELNS1_11target_archE1201ELNS1_3gpuE5ELNS1_3repE0EEENS1_48merge_mergepath_partition_config_static_selectorELNS0_4arch9wavefront6targetE1EEEvSL_
		.amdhsa_group_segment_fixed_size 0
		.amdhsa_private_segment_fixed_size 0
		.amdhsa_kernarg_size 40
		.amdhsa_user_sgpr_count 6
		.amdhsa_user_sgpr_private_segment_buffer 1
		.amdhsa_user_sgpr_dispatch_ptr 0
		.amdhsa_user_sgpr_queue_ptr 0
		.amdhsa_user_sgpr_kernarg_segment_ptr 1
		.amdhsa_user_sgpr_dispatch_id 0
		.amdhsa_user_sgpr_flat_scratch_init 0
		.amdhsa_user_sgpr_kernarg_preload_length 0
		.amdhsa_user_sgpr_kernarg_preload_offset 0
		.amdhsa_user_sgpr_private_segment_size 0
		.amdhsa_uses_dynamic_stack 0
		.amdhsa_system_sgpr_private_segment_wavefront_offset 0
		.amdhsa_system_sgpr_workgroup_id_x 1
		.amdhsa_system_sgpr_workgroup_id_y 0
		.amdhsa_system_sgpr_workgroup_id_z 0
		.amdhsa_system_sgpr_workgroup_info 0
		.amdhsa_system_vgpr_workitem_id 0
		.amdhsa_next_free_vgpr 1
		.amdhsa_next_free_sgpr 0
		.amdhsa_accum_offset 4
		.amdhsa_reserve_vcc 0
		.amdhsa_reserve_flat_scratch 0
		.amdhsa_float_round_mode_32 0
		.amdhsa_float_round_mode_16_64 0
		.amdhsa_float_denorm_mode_32 3
		.amdhsa_float_denorm_mode_16_64 3
		.amdhsa_dx10_clamp 1
		.amdhsa_ieee_mode 1
		.amdhsa_fp16_overflow 0
		.amdhsa_tg_split 0
		.amdhsa_exception_fp_ieee_invalid_op 0
		.amdhsa_exception_fp_denorm_src 0
		.amdhsa_exception_fp_ieee_div_zero 0
		.amdhsa_exception_fp_ieee_overflow 0
		.amdhsa_exception_fp_ieee_underflow 0
		.amdhsa_exception_fp_ieee_inexact 0
		.amdhsa_exception_int_div_zero 0
	.end_amdhsa_kernel
	.section	.text._ZN7rocprim17ROCPRIM_400000_NS6detail17trampoline_kernelINS0_14default_configENS1_38merge_sort_block_merge_config_selectorIiNS0_10empty_typeEEEZZNS1_27merge_sort_block_merge_implIS3_N6thrust23THRUST_200600_302600_NS6detail15normal_iteratorINS9_10device_ptrIiEEEEPS5_jNS1_19radix_merge_compareILb0ELb1EiNS0_19identity_decomposerEEEEE10hipError_tT0_T1_T2_jT3_P12ihipStream_tbPNSt15iterator_traitsISK_E10value_typeEPNSQ_ISL_E10value_typeEPSM_NS1_7vsmem_tEENKUlT_SK_SL_SM_E_clIPiSE_SF_SF_EESJ_SZ_SK_SL_SM_EUlSZ_E_NS1_11comp_targetILNS1_3genE10ELNS1_11target_archE1201ELNS1_3gpuE5ELNS1_3repE0EEENS1_48merge_mergepath_partition_config_static_selectorELNS0_4arch9wavefront6targetE1EEEvSL_,"axG",@progbits,_ZN7rocprim17ROCPRIM_400000_NS6detail17trampoline_kernelINS0_14default_configENS1_38merge_sort_block_merge_config_selectorIiNS0_10empty_typeEEEZZNS1_27merge_sort_block_merge_implIS3_N6thrust23THRUST_200600_302600_NS6detail15normal_iteratorINS9_10device_ptrIiEEEEPS5_jNS1_19radix_merge_compareILb0ELb1EiNS0_19identity_decomposerEEEEE10hipError_tT0_T1_T2_jT3_P12ihipStream_tbPNSt15iterator_traitsISK_E10value_typeEPNSQ_ISL_E10value_typeEPSM_NS1_7vsmem_tEENKUlT_SK_SL_SM_E_clIPiSE_SF_SF_EESJ_SZ_SK_SL_SM_EUlSZ_E_NS1_11comp_targetILNS1_3genE10ELNS1_11target_archE1201ELNS1_3gpuE5ELNS1_3repE0EEENS1_48merge_mergepath_partition_config_static_selectorELNS0_4arch9wavefront6targetE1EEEvSL_,comdat
.Lfunc_end1672:
	.size	_ZN7rocprim17ROCPRIM_400000_NS6detail17trampoline_kernelINS0_14default_configENS1_38merge_sort_block_merge_config_selectorIiNS0_10empty_typeEEEZZNS1_27merge_sort_block_merge_implIS3_N6thrust23THRUST_200600_302600_NS6detail15normal_iteratorINS9_10device_ptrIiEEEEPS5_jNS1_19radix_merge_compareILb0ELb1EiNS0_19identity_decomposerEEEEE10hipError_tT0_T1_T2_jT3_P12ihipStream_tbPNSt15iterator_traitsISK_E10value_typeEPNSQ_ISL_E10value_typeEPSM_NS1_7vsmem_tEENKUlT_SK_SL_SM_E_clIPiSE_SF_SF_EESJ_SZ_SK_SL_SM_EUlSZ_E_NS1_11comp_targetILNS1_3genE10ELNS1_11target_archE1201ELNS1_3gpuE5ELNS1_3repE0EEENS1_48merge_mergepath_partition_config_static_selectorELNS0_4arch9wavefront6targetE1EEEvSL_, .Lfunc_end1672-_ZN7rocprim17ROCPRIM_400000_NS6detail17trampoline_kernelINS0_14default_configENS1_38merge_sort_block_merge_config_selectorIiNS0_10empty_typeEEEZZNS1_27merge_sort_block_merge_implIS3_N6thrust23THRUST_200600_302600_NS6detail15normal_iteratorINS9_10device_ptrIiEEEEPS5_jNS1_19radix_merge_compareILb0ELb1EiNS0_19identity_decomposerEEEEE10hipError_tT0_T1_T2_jT3_P12ihipStream_tbPNSt15iterator_traitsISK_E10value_typeEPNSQ_ISL_E10value_typeEPSM_NS1_7vsmem_tEENKUlT_SK_SL_SM_E_clIPiSE_SF_SF_EESJ_SZ_SK_SL_SM_EUlSZ_E_NS1_11comp_targetILNS1_3genE10ELNS1_11target_archE1201ELNS1_3gpuE5ELNS1_3repE0EEENS1_48merge_mergepath_partition_config_static_selectorELNS0_4arch9wavefront6targetE1EEEvSL_
                                        ; -- End function
	.section	.AMDGPU.csdata,"",@progbits
; Kernel info:
; codeLenInByte = 0
; NumSgprs: 4
; NumVgprs: 0
; NumAgprs: 0
; TotalNumVgprs: 0
; ScratchSize: 0
; MemoryBound: 0
; FloatMode: 240
; IeeeMode: 1
; LDSByteSize: 0 bytes/workgroup (compile time only)
; SGPRBlocks: 0
; VGPRBlocks: 0
; NumSGPRsForWavesPerEU: 4
; NumVGPRsForWavesPerEU: 1
; AccumOffset: 4
; Occupancy: 8
; WaveLimiterHint : 0
; COMPUTE_PGM_RSRC2:SCRATCH_EN: 0
; COMPUTE_PGM_RSRC2:USER_SGPR: 6
; COMPUTE_PGM_RSRC2:TRAP_HANDLER: 0
; COMPUTE_PGM_RSRC2:TGID_X_EN: 1
; COMPUTE_PGM_RSRC2:TGID_Y_EN: 0
; COMPUTE_PGM_RSRC2:TGID_Z_EN: 0
; COMPUTE_PGM_RSRC2:TIDIG_COMP_CNT: 0
; COMPUTE_PGM_RSRC3_GFX90A:ACCUM_OFFSET: 0
; COMPUTE_PGM_RSRC3_GFX90A:TG_SPLIT: 0
	.section	.text._ZN7rocprim17ROCPRIM_400000_NS6detail17trampoline_kernelINS0_14default_configENS1_38merge_sort_block_merge_config_selectorIiNS0_10empty_typeEEEZZNS1_27merge_sort_block_merge_implIS3_N6thrust23THRUST_200600_302600_NS6detail15normal_iteratorINS9_10device_ptrIiEEEEPS5_jNS1_19radix_merge_compareILb0ELb1EiNS0_19identity_decomposerEEEEE10hipError_tT0_T1_T2_jT3_P12ihipStream_tbPNSt15iterator_traitsISK_E10value_typeEPNSQ_ISL_E10value_typeEPSM_NS1_7vsmem_tEENKUlT_SK_SL_SM_E_clIPiSE_SF_SF_EESJ_SZ_SK_SL_SM_EUlSZ_E_NS1_11comp_targetILNS1_3genE5ELNS1_11target_archE942ELNS1_3gpuE9ELNS1_3repE0EEENS1_48merge_mergepath_partition_config_static_selectorELNS0_4arch9wavefront6targetE1EEEvSL_,"axG",@progbits,_ZN7rocprim17ROCPRIM_400000_NS6detail17trampoline_kernelINS0_14default_configENS1_38merge_sort_block_merge_config_selectorIiNS0_10empty_typeEEEZZNS1_27merge_sort_block_merge_implIS3_N6thrust23THRUST_200600_302600_NS6detail15normal_iteratorINS9_10device_ptrIiEEEEPS5_jNS1_19radix_merge_compareILb0ELb1EiNS0_19identity_decomposerEEEEE10hipError_tT0_T1_T2_jT3_P12ihipStream_tbPNSt15iterator_traitsISK_E10value_typeEPNSQ_ISL_E10value_typeEPSM_NS1_7vsmem_tEENKUlT_SK_SL_SM_E_clIPiSE_SF_SF_EESJ_SZ_SK_SL_SM_EUlSZ_E_NS1_11comp_targetILNS1_3genE5ELNS1_11target_archE942ELNS1_3gpuE9ELNS1_3repE0EEENS1_48merge_mergepath_partition_config_static_selectorELNS0_4arch9wavefront6targetE1EEEvSL_,comdat
	.protected	_ZN7rocprim17ROCPRIM_400000_NS6detail17trampoline_kernelINS0_14default_configENS1_38merge_sort_block_merge_config_selectorIiNS0_10empty_typeEEEZZNS1_27merge_sort_block_merge_implIS3_N6thrust23THRUST_200600_302600_NS6detail15normal_iteratorINS9_10device_ptrIiEEEEPS5_jNS1_19radix_merge_compareILb0ELb1EiNS0_19identity_decomposerEEEEE10hipError_tT0_T1_T2_jT3_P12ihipStream_tbPNSt15iterator_traitsISK_E10value_typeEPNSQ_ISL_E10value_typeEPSM_NS1_7vsmem_tEENKUlT_SK_SL_SM_E_clIPiSE_SF_SF_EESJ_SZ_SK_SL_SM_EUlSZ_E_NS1_11comp_targetILNS1_3genE5ELNS1_11target_archE942ELNS1_3gpuE9ELNS1_3repE0EEENS1_48merge_mergepath_partition_config_static_selectorELNS0_4arch9wavefront6targetE1EEEvSL_ ; -- Begin function _ZN7rocprim17ROCPRIM_400000_NS6detail17trampoline_kernelINS0_14default_configENS1_38merge_sort_block_merge_config_selectorIiNS0_10empty_typeEEEZZNS1_27merge_sort_block_merge_implIS3_N6thrust23THRUST_200600_302600_NS6detail15normal_iteratorINS9_10device_ptrIiEEEEPS5_jNS1_19radix_merge_compareILb0ELb1EiNS0_19identity_decomposerEEEEE10hipError_tT0_T1_T2_jT3_P12ihipStream_tbPNSt15iterator_traitsISK_E10value_typeEPNSQ_ISL_E10value_typeEPSM_NS1_7vsmem_tEENKUlT_SK_SL_SM_E_clIPiSE_SF_SF_EESJ_SZ_SK_SL_SM_EUlSZ_E_NS1_11comp_targetILNS1_3genE5ELNS1_11target_archE942ELNS1_3gpuE9ELNS1_3repE0EEENS1_48merge_mergepath_partition_config_static_selectorELNS0_4arch9wavefront6targetE1EEEvSL_
	.globl	_ZN7rocprim17ROCPRIM_400000_NS6detail17trampoline_kernelINS0_14default_configENS1_38merge_sort_block_merge_config_selectorIiNS0_10empty_typeEEEZZNS1_27merge_sort_block_merge_implIS3_N6thrust23THRUST_200600_302600_NS6detail15normal_iteratorINS9_10device_ptrIiEEEEPS5_jNS1_19radix_merge_compareILb0ELb1EiNS0_19identity_decomposerEEEEE10hipError_tT0_T1_T2_jT3_P12ihipStream_tbPNSt15iterator_traitsISK_E10value_typeEPNSQ_ISL_E10value_typeEPSM_NS1_7vsmem_tEENKUlT_SK_SL_SM_E_clIPiSE_SF_SF_EESJ_SZ_SK_SL_SM_EUlSZ_E_NS1_11comp_targetILNS1_3genE5ELNS1_11target_archE942ELNS1_3gpuE9ELNS1_3repE0EEENS1_48merge_mergepath_partition_config_static_selectorELNS0_4arch9wavefront6targetE1EEEvSL_
	.p2align	8
	.type	_ZN7rocprim17ROCPRIM_400000_NS6detail17trampoline_kernelINS0_14default_configENS1_38merge_sort_block_merge_config_selectorIiNS0_10empty_typeEEEZZNS1_27merge_sort_block_merge_implIS3_N6thrust23THRUST_200600_302600_NS6detail15normal_iteratorINS9_10device_ptrIiEEEEPS5_jNS1_19radix_merge_compareILb0ELb1EiNS0_19identity_decomposerEEEEE10hipError_tT0_T1_T2_jT3_P12ihipStream_tbPNSt15iterator_traitsISK_E10value_typeEPNSQ_ISL_E10value_typeEPSM_NS1_7vsmem_tEENKUlT_SK_SL_SM_E_clIPiSE_SF_SF_EESJ_SZ_SK_SL_SM_EUlSZ_E_NS1_11comp_targetILNS1_3genE5ELNS1_11target_archE942ELNS1_3gpuE9ELNS1_3repE0EEENS1_48merge_mergepath_partition_config_static_selectorELNS0_4arch9wavefront6targetE1EEEvSL_,@function
_ZN7rocprim17ROCPRIM_400000_NS6detail17trampoline_kernelINS0_14default_configENS1_38merge_sort_block_merge_config_selectorIiNS0_10empty_typeEEEZZNS1_27merge_sort_block_merge_implIS3_N6thrust23THRUST_200600_302600_NS6detail15normal_iteratorINS9_10device_ptrIiEEEEPS5_jNS1_19radix_merge_compareILb0ELb1EiNS0_19identity_decomposerEEEEE10hipError_tT0_T1_T2_jT3_P12ihipStream_tbPNSt15iterator_traitsISK_E10value_typeEPNSQ_ISL_E10value_typeEPSM_NS1_7vsmem_tEENKUlT_SK_SL_SM_E_clIPiSE_SF_SF_EESJ_SZ_SK_SL_SM_EUlSZ_E_NS1_11comp_targetILNS1_3genE5ELNS1_11target_archE942ELNS1_3gpuE9ELNS1_3repE0EEENS1_48merge_mergepath_partition_config_static_selectorELNS0_4arch9wavefront6targetE1EEEvSL_: ; @_ZN7rocprim17ROCPRIM_400000_NS6detail17trampoline_kernelINS0_14default_configENS1_38merge_sort_block_merge_config_selectorIiNS0_10empty_typeEEEZZNS1_27merge_sort_block_merge_implIS3_N6thrust23THRUST_200600_302600_NS6detail15normal_iteratorINS9_10device_ptrIiEEEEPS5_jNS1_19radix_merge_compareILb0ELb1EiNS0_19identity_decomposerEEEEE10hipError_tT0_T1_T2_jT3_P12ihipStream_tbPNSt15iterator_traitsISK_E10value_typeEPNSQ_ISL_E10value_typeEPSM_NS1_7vsmem_tEENKUlT_SK_SL_SM_E_clIPiSE_SF_SF_EESJ_SZ_SK_SL_SM_EUlSZ_E_NS1_11comp_targetILNS1_3genE5ELNS1_11target_archE942ELNS1_3gpuE9ELNS1_3repE0EEENS1_48merge_mergepath_partition_config_static_selectorELNS0_4arch9wavefront6targetE1EEEvSL_
; %bb.0:
	.section	.rodata,"a",@progbits
	.p2align	6, 0x0
	.amdhsa_kernel _ZN7rocprim17ROCPRIM_400000_NS6detail17trampoline_kernelINS0_14default_configENS1_38merge_sort_block_merge_config_selectorIiNS0_10empty_typeEEEZZNS1_27merge_sort_block_merge_implIS3_N6thrust23THRUST_200600_302600_NS6detail15normal_iteratorINS9_10device_ptrIiEEEEPS5_jNS1_19radix_merge_compareILb0ELb1EiNS0_19identity_decomposerEEEEE10hipError_tT0_T1_T2_jT3_P12ihipStream_tbPNSt15iterator_traitsISK_E10value_typeEPNSQ_ISL_E10value_typeEPSM_NS1_7vsmem_tEENKUlT_SK_SL_SM_E_clIPiSE_SF_SF_EESJ_SZ_SK_SL_SM_EUlSZ_E_NS1_11comp_targetILNS1_3genE5ELNS1_11target_archE942ELNS1_3gpuE9ELNS1_3repE0EEENS1_48merge_mergepath_partition_config_static_selectorELNS0_4arch9wavefront6targetE1EEEvSL_
		.amdhsa_group_segment_fixed_size 0
		.amdhsa_private_segment_fixed_size 0
		.amdhsa_kernarg_size 40
		.amdhsa_user_sgpr_count 6
		.amdhsa_user_sgpr_private_segment_buffer 1
		.amdhsa_user_sgpr_dispatch_ptr 0
		.amdhsa_user_sgpr_queue_ptr 0
		.amdhsa_user_sgpr_kernarg_segment_ptr 1
		.amdhsa_user_sgpr_dispatch_id 0
		.amdhsa_user_sgpr_flat_scratch_init 0
		.amdhsa_user_sgpr_kernarg_preload_length 0
		.amdhsa_user_sgpr_kernarg_preload_offset 0
		.amdhsa_user_sgpr_private_segment_size 0
		.amdhsa_uses_dynamic_stack 0
		.amdhsa_system_sgpr_private_segment_wavefront_offset 0
		.amdhsa_system_sgpr_workgroup_id_x 1
		.amdhsa_system_sgpr_workgroup_id_y 0
		.amdhsa_system_sgpr_workgroup_id_z 0
		.amdhsa_system_sgpr_workgroup_info 0
		.amdhsa_system_vgpr_workitem_id 0
		.amdhsa_next_free_vgpr 1
		.amdhsa_next_free_sgpr 0
		.amdhsa_accum_offset 4
		.amdhsa_reserve_vcc 0
		.amdhsa_reserve_flat_scratch 0
		.amdhsa_float_round_mode_32 0
		.amdhsa_float_round_mode_16_64 0
		.amdhsa_float_denorm_mode_32 3
		.amdhsa_float_denorm_mode_16_64 3
		.amdhsa_dx10_clamp 1
		.amdhsa_ieee_mode 1
		.amdhsa_fp16_overflow 0
		.amdhsa_tg_split 0
		.amdhsa_exception_fp_ieee_invalid_op 0
		.amdhsa_exception_fp_denorm_src 0
		.amdhsa_exception_fp_ieee_div_zero 0
		.amdhsa_exception_fp_ieee_overflow 0
		.amdhsa_exception_fp_ieee_underflow 0
		.amdhsa_exception_fp_ieee_inexact 0
		.amdhsa_exception_int_div_zero 0
	.end_amdhsa_kernel
	.section	.text._ZN7rocprim17ROCPRIM_400000_NS6detail17trampoline_kernelINS0_14default_configENS1_38merge_sort_block_merge_config_selectorIiNS0_10empty_typeEEEZZNS1_27merge_sort_block_merge_implIS3_N6thrust23THRUST_200600_302600_NS6detail15normal_iteratorINS9_10device_ptrIiEEEEPS5_jNS1_19radix_merge_compareILb0ELb1EiNS0_19identity_decomposerEEEEE10hipError_tT0_T1_T2_jT3_P12ihipStream_tbPNSt15iterator_traitsISK_E10value_typeEPNSQ_ISL_E10value_typeEPSM_NS1_7vsmem_tEENKUlT_SK_SL_SM_E_clIPiSE_SF_SF_EESJ_SZ_SK_SL_SM_EUlSZ_E_NS1_11comp_targetILNS1_3genE5ELNS1_11target_archE942ELNS1_3gpuE9ELNS1_3repE0EEENS1_48merge_mergepath_partition_config_static_selectorELNS0_4arch9wavefront6targetE1EEEvSL_,"axG",@progbits,_ZN7rocprim17ROCPRIM_400000_NS6detail17trampoline_kernelINS0_14default_configENS1_38merge_sort_block_merge_config_selectorIiNS0_10empty_typeEEEZZNS1_27merge_sort_block_merge_implIS3_N6thrust23THRUST_200600_302600_NS6detail15normal_iteratorINS9_10device_ptrIiEEEEPS5_jNS1_19radix_merge_compareILb0ELb1EiNS0_19identity_decomposerEEEEE10hipError_tT0_T1_T2_jT3_P12ihipStream_tbPNSt15iterator_traitsISK_E10value_typeEPNSQ_ISL_E10value_typeEPSM_NS1_7vsmem_tEENKUlT_SK_SL_SM_E_clIPiSE_SF_SF_EESJ_SZ_SK_SL_SM_EUlSZ_E_NS1_11comp_targetILNS1_3genE5ELNS1_11target_archE942ELNS1_3gpuE9ELNS1_3repE0EEENS1_48merge_mergepath_partition_config_static_selectorELNS0_4arch9wavefront6targetE1EEEvSL_,comdat
.Lfunc_end1673:
	.size	_ZN7rocprim17ROCPRIM_400000_NS6detail17trampoline_kernelINS0_14default_configENS1_38merge_sort_block_merge_config_selectorIiNS0_10empty_typeEEEZZNS1_27merge_sort_block_merge_implIS3_N6thrust23THRUST_200600_302600_NS6detail15normal_iteratorINS9_10device_ptrIiEEEEPS5_jNS1_19radix_merge_compareILb0ELb1EiNS0_19identity_decomposerEEEEE10hipError_tT0_T1_T2_jT3_P12ihipStream_tbPNSt15iterator_traitsISK_E10value_typeEPNSQ_ISL_E10value_typeEPSM_NS1_7vsmem_tEENKUlT_SK_SL_SM_E_clIPiSE_SF_SF_EESJ_SZ_SK_SL_SM_EUlSZ_E_NS1_11comp_targetILNS1_3genE5ELNS1_11target_archE942ELNS1_3gpuE9ELNS1_3repE0EEENS1_48merge_mergepath_partition_config_static_selectorELNS0_4arch9wavefront6targetE1EEEvSL_, .Lfunc_end1673-_ZN7rocprim17ROCPRIM_400000_NS6detail17trampoline_kernelINS0_14default_configENS1_38merge_sort_block_merge_config_selectorIiNS0_10empty_typeEEEZZNS1_27merge_sort_block_merge_implIS3_N6thrust23THRUST_200600_302600_NS6detail15normal_iteratorINS9_10device_ptrIiEEEEPS5_jNS1_19radix_merge_compareILb0ELb1EiNS0_19identity_decomposerEEEEE10hipError_tT0_T1_T2_jT3_P12ihipStream_tbPNSt15iterator_traitsISK_E10value_typeEPNSQ_ISL_E10value_typeEPSM_NS1_7vsmem_tEENKUlT_SK_SL_SM_E_clIPiSE_SF_SF_EESJ_SZ_SK_SL_SM_EUlSZ_E_NS1_11comp_targetILNS1_3genE5ELNS1_11target_archE942ELNS1_3gpuE9ELNS1_3repE0EEENS1_48merge_mergepath_partition_config_static_selectorELNS0_4arch9wavefront6targetE1EEEvSL_
                                        ; -- End function
	.section	.AMDGPU.csdata,"",@progbits
; Kernel info:
; codeLenInByte = 0
; NumSgprs: 4
; NumVgprs: 0
; NumAgprs: 0
; TotalNumVgprs: 0
; ScratchSize: 0
; MemoryBound: 0
; FloatMode: 240
; IeeeMode: 1
; LDSByteSize: 0 bytes/workgroup (compile time only)
; SGPRBlocks: 0
; VGPRBlocks: 0
; NumSGPRsForWavesPerEU: 4
; NumVGPRsForWavesPerEU: 1
; AccumOffset: 4
; Occupancy: 8
; WaveLimiterHint : 0
; COMPUTE_PGM_RSRC2:SCRATCH_EN: 0
; COMPUTE_PGM_RSRC2:USER_SGPR: 6
; COMPUTE_PGM_RSRC2:TRAP_HANDLER: 0
; COMPUTE_PGM_RSRC2:TGID_X_EN: 1
; COMPUTE_PGM_RSRC2:TGID_Y_EN: 0
; COMPUTE_PGM_RSRC2:TGID_Z_EN: 0
; COMPUTE_PGM_RSRC2:TIDIG_COMP_CNT: 0
; COMPUTE_PGM_RSRC3_GFX90A:ACCUM_OFFSET: 0
; COMPUTE_PGM_RSRC3_GFX90A:TG_SPLIT: 0
	.section	.text._ZN7rocprim17ROCPRIM_400000_NS6detail17trampoline_kernelINS0_14default_configENS1_38merge_sort_block_merge_config_selectorIiNS0_10empty_typeEEEZZNS1_27merge_sort_block_merge_implIS3_N6thrust23THRUST_200600_302600_NS6detail15normal_iteratorINS9_10device_ptrIiEEEEPS5_jNS1_19radix_merge_compareILb0ELb1EiNS0_19identity_decomposerEEEEE10hipError_tT0_T1_T2_jT3_P12ihipStream_tbPNSt15iterator_traitsISK_E10value_typeEPNSQ_ISL_E10value_typeEPSM_NS1_7vsmem_tEENKUlT_SK_SL_SM_E_clIPiSE_SF_SF_EESJ_SZ_SK_SL_SM_EUlSZ_E_NS1_11comp_targetILNS1_3genE4ELNS1_11target_archE910ELNS1_3gpuE8ELNS1_3repE0EEENS1_48merge_mergepath_partition_config_static_selectorELNS0_4arch9wavefront6targetE1EEEvSL_,"axG",@progbits,_ZN7rocprim17ROCPRIM_400000_NS6detail17trampoline_kernelINS0_14default_configENS1_38merge_sort_block_merge_config_selectorIiNS0_10empty_typeEEEZZNS1_27merge_sort_block_merge_implIS3_N6thrust23THRUST_200600_302600_NS6detail15normal_iteratorINS9_10device_ptrIiEEEEPS5_jNS1_19radix_merge_compareILb0ELb1EiNS0_19identity_decomposerEEEEE10hipError_tT0_T1_T2_jT3_P12ihipStream_tbPNSt15iterator_traitsISK_E10value_typeEPNSQ_ISL_E10value_typeEPSM_NS1_7vsmem_tEENKUlT_SK_SL_SM_E_clIPiSE_SF_SF_EESJ_SZ_SK_SL_SM_EUlSZ_E_NS1_11comp_targetILNS1_3genE4ELNS1_11target_archE910ELNS1_3gpuE8ELNS1_3repE0EEENS1_48merge_mergepath_partition_config_static_selectorELNS0_4arch9wavefront6targetE1EEEvSL_,comdat
	.protected	_ZN7rocprim17ROCPRIM_400000_NS6detail17trampoline_kernelINS0_14default_configENS1_38merge_sort_block_merge_config_selectorIiNS0_10empty_typeEEEZZNS1_27merge_sort_block_merge_implIS3_N6thrust23THRUST_200600_302600_NS6detail15normal_iteratorINS9_10device_ptrIiEEEEPS5_jNS1_19radix_merge_compareILb0ELb1EiNS0_19identity_decomposerEEEEE10hipError_tT0_T1_T2_jT3_P12ihipStream_tbPNSt15iterator_traitsISK_E10value_typeEPNSQ_ISL_E10value_typeEPSM_NS1_7vsmem_tEENKUlT_SK_SL_SM_E_clIPiSE_SF_SF_EESJ_SZ_SK_SL_SM_EUlSZ_E_NS1_11comp_targetILNS1_3genE4ELNS1_11target_archE910ELNS1_3gpuE8ELNS1_3repE0EEENS1_48merge_mergepath_partition_config_static_selectorELNS0_4arch9wavefront6targetE1EEEvSL_ ; -- Begin function _ZN7rocprim17ROCPRIM_400000_NS6detail17trampoline_kernelINS0_14default_configENS1_38merge_sort_block_merge_config_selectorIiNS0_10empty_typeEEEZZNS1_27merge_sort_block_merge_implIS3_N6thrust23THRUST_200600_302600_NS6detail15normal_iteratorINS9_10device_ptrIiEEEEPS5_jNS1_19radix_merge_compareILb0ELb1EiNS0_19identity_decomposerEEEEE10hipError_tT0_T1_T2_jT3_P12ihipStream_tbPNSt15iterator_traitsISK_E10value_typeEPNSQ_ISL_E10value_typeEPSM_NS1_7vsmem_tEENKUlT_SK_SL_SM_E_clIPiSE_SF_SF_EESJ_SZ_SK_SL_SM_EUlSZ_E_NS1_11comp_targetILNS1_3genE4ELNS1_11target_archE910ELNS1_3gpuE8ELNS1_3repE0EEENS1_48merge_mergepath_partition_config_static_selectorELNS0_4arch9wavefront6targetE1EEEvSL_
	.globl	_ZN7rocprim17ROCPRIM_400000_NS6detail17trampoline_kernelINS0_14default_configENS1_38merge_sort_block_merge_config_selectorIiNS0_10empty_typeEEEZZNS1_27merge_sort_block_merge_implIS3_N6thrust23THRUST_200600_302600_NS6detail15normal_iteratorINS9_10device_ptrIiEEEEPS5_jNS1_19radix_merge_compareILb0ELb1EiNS0_19identity_decomposerEEEEE10hipError_tT0_T1_T2_jT3_P12ihipStream_tbPNSt15iterator_traitsISK_E10value_typeEPNSQ_ISL_E10value_typeEPSM_NS1_7vsmem_tEENKUlT_SK_SL_SM_E_clIPiSE_SF_SF_EESJ_SZ_SK_SL_SM_EUlSZ_E_NS1_11comp_targetILNS1_3genE4ELNS1_11target_archE910ELNS1_3gpuE8ELNS1_3repE0EEENS1_48merge_mergepath_partition_config_static_selectorELNS0_4arch9wavefront6targetE1EEEvSL_
	.p2align	8
	.type	_ZN7rocprim17ROCPRIM_400000_NS6detail17trampoline_kernelINS0_14default_configENS1_38merge_sort_block_merge_config_selectorIiNS0_10empty_typeEEEZZNS1_27merge_sort_block_merge_implIS3_N6thrust23THRUST_200600_302600_NS6detail15normal_iteratorINS9_10device_ptrIiEEEEPS5_jNS1_19radix_merge_compareILb0ELb1EiNS0_19identity_decomposerEEEEE10hipError_tT0_T1_T2_jT3_P12ihipStream_tbPNSt15iterator_traitsISK_E10value_typeEPNSQ_ISL_E10value_typeEPSM_NS1_7vsmem_tEENKUlT_SK_SL_SM_E_clIPiSE_SF_SF_EESJ_SZ_SK_SL_SM_EUlSZ_E_NS1_11comp_targetILNS1_3genE4ELNS1_11target_archE910ELNS1_3gpuE8ELNS1_3repE0EEENS1_48merge_mergepath_partition_config_static_selectorELNS0_4arch9wavefront6targetE1EEEvSL_,@function
_ZN7rocprim17ROCPRIM_400000_NS6detail17trampoline_kernelINS0_14default_configENS1_38merge_sort_block_merge_config_selectorIiNS0_10empty_typeEEEZZNS1_27merge_sort_block_merge_implIS3_N6thrust23THRUST_200600_302600_NS6detail15normal_iteratorINS9_10device_ptrIiEEEEPS5_jNS1_19radix_merge_compareILb0ELb1EiNS0_19identity_decomposerEEEEE10hipError_tT0_T1_T2_jT3_P12ihipStream_tbPNSt15iterator_traitsISK_E10value_typeEPNSQ_ISL_E10value_typeEPSM_NS1_7vsmem_tEENKUlT_SK_SL_SM_E_clIPiSE_SF_SF_EESJ_SZ_SK_SL_SM_EUlSZ_E_NS1_11comp_targetILNS1_3genE4ELNS1_11target_archE910ELNS1_3gpuE8ELNS1_3repE0EEENS1_48merge_mergepath_partition_config_static_selectorELNS0_4arch9wavefront6targetE1EEEvSL_: ; @_ZN7rocprim17ROCPRIM_400000_NS6detail17trampoline_kernelINS0_14default_configENS1_38merge_sort_block_merge_config_selectorIiNS0_10empty_typeEEEZZNS1_27merge_sort_block_merge_implIS3_N6thrust23THRUST_200600_302600_NS6detail15normal_iteratorINS9_10device_ptrIiEEEEPS5_jNS1_19radix_merge_compareILb0ELb1EiNS0_19identity_decomposerEEEEE10hipError_tT0_T1_T2_jT3_P12ihipStream_tbPNSt15iterator_traitsISK_E10value_typeEPNSQ_ISL_E10value_typeEPSM_NS1_7vsmem_tEENKUlT_SK_SL_SM_E_clIPiSE_SF_SF_EESJ_SZ_SK_SL_SM_EUlSZ_E_NS1_11comp_targetILNS1_3genE4ELNS1_11target_archE910ELNS1_3gpuE8ELNS1_3repE0EEENS1_48merge_mergepath_partition_config_static_selectorELNS0_4arch9wavefront6targetE1EEEvSL_
; %bb.0:
	s_load_dword s0, s[4:5], 0x0
	v_lshl_or_b32 v0, s6, 7, v0
	s_waitcnt lgkmcnt(0)
	v_cmp_gt_u32_e32 vcc, s0, v0
	s_and_saveexec_b64 s[0:1], vcc
	s_cbranch_execz .LBB1674_6
; %bb.1:
	s_load_dwordx2 s[2:3], s[4:5], 0x4
	s_load_dwordx2 s[0:1], s[4:5], 0x20
	s_waitcnt lgkmcnt(0)
	s_lshr_b32 s6, s2, 9
	s_and_b32 s6, s6, 0x7ffffe
	s_add_i32 s7, s6, -1
	s_sub_i32 s6, 0, s6
	v_and_b32_e32 v1, s6, v0
	v_lshlrev_b32_e32 v1, 10, v1
	v_min_u32_e32 v2, s3, v1
	v_add_u32_e32 v1, s2, v1
	v_min_u32_e32 v4, s3, v1
	v_add_u32_e32 v1, s2, v4
	v_and_b32_e32 v3, s7, v0
	v_min_u32_e32 v1, s3, v1
	v_sub_u32_e32 v5, v1, v2
	v_lshlrev_b32_e32 v3, 10, v3
	v_min_u32_e32 v6, v5, v3
	v_sub_u32_e32 v3, v4, v2
	v_sub_u32_e32 v1, v1, v4
	v_sub_u32_e64 v1, v6, v1 clamp
	v_min_u32_e32 v7, v6, v3
	v_cmp_lt_u32_e32 vcc, v1, v7
	s_and_saveexec_b64 s[2:3], vcc
	s_cbranch_execz .LBB1674_5
; %bb.2:
	s_load_dwordx2 s[8:9], s[4:5], 0x10
	s_load_dword s6, s[4:5], 0x18
	v_mov_b32_e32 v5, 0
	v_mov_b32_e32 v3, v5
	v_lshlrev_b64 v[8:9], 2, v[2:3]
	s_waitcnt lgkmcnt(0)
	v_mov_b32_e32 v12, s9
	v_add_co_u32_e32 v3, vcc, s8, v8
	v_addc_co_u32_e32 v8, vcc, v12, v9, vcc
	v_lshlrev_b64 v[10:11], 2, v[4:5]
	v_add_co_u32_e32 v9, vcc, s8, v10
	v_addc_co_u32_e32 v10, vcc, v12, v11, vcc
	s_mov_b64 s[4:5], 0
.LBB1674_3:                             ; =>This Inner Loop Header: Depth=1
	v_add_u32_e32 v4, v7, v1
	v_lshrrev_b32_e32 v4, 1, v4
	v_lshlrev_b64 v[14:15], 2, v[4:5]
	v_mov_b32_e32 v13, v5
	v_xad_u32 v12, v4, -1, v6
	v_add_co_u32_e32 v14, vcc, v3, v14
	v_addc_co_u32_e32 v15, vcc, v8, v15, vcc
	v_lshlrev_b64 v[12:13], 2, v[12:13]
	v_add_co_u32_e32 v12, vcc, v9, v12
	v_addc_co_u32_e32 v13, vcc, v10, v13, vcc
	global_load_dword v11, v[14:15], off
	global_load_dword v16, v[12:13], off
	v_add_u32_e32 v12, 1, v4
	s_waitcnt vmcnt(1)
	v_and_b32_e32 v11, s6, v11
	s_waitcnt vmcnt(0)
	v_and_b32_e32 v13, s6, v16
	v_cmp_gt_i32_e32 vcc, v11, v13
	v_cndmask_b32_e32 v7, v7, v4, vcc
	v_cndmask_b32_e32 v1, v12, v1, vcc
	v_cmp_ge_u32_e32 vcc, v1, v7
	s_or_b64 s[4:5], vcc, s[4:5]
	s_andn2_b64 exec, exec, s[4:5]
	s_cbranch_execnz .LBB1674_3
; %bb.4:
	s_or_b64 exec, exec, s[4:5]
.LBB1674_5:
	s_or_b64 exec, exec, s[2:3]
	v_add_u32_e32 v2, v1, v2
	v_mov_b32_e32 v1, 0
	v_lshlrev_b64 v[0:1], 2, v[0:1]
	v_mov_b32_e32 v3, s1
	v_add_co_u32_e32 v0, vcc, s0, v0
	v_addc_co_u32_e32 v1, vcc, v3, v1, vcc
	global_store_dword v[0:1], v2, off
.LBB1674_6:
	s_endpgm
	.section	.rodata,"a",@progbits
	.p2align	6, 0x0
	.amdhsa_kernel _ZN7rocprim17ROCPRIM_400000_NS6detail17trampoline_kernelINS0_14default_configENS1_38merge_sort_block_merge_config_selectorIiNS0_10empty_typeEEEZZNS1_27merge_sort_block_merge_implIS3_N6thrust23THRUST_200600_302600_NS6detail15normal_iteratorINS9_10device_ptrIiEEEEPS5_jNS1_19radix_merge_compareILb0ELb1EiNS0_19identity_decomposerEEEEE10hipError_tT0_T1_T2_jT3_P12ihipStream_tbPNSt15iterator_traitsISK_E10value_typeEPNSQ_ISL_E10value_typeEPSM_NS1_7vsmem_tEENKUlT_SK_SL_SM_E_clIPiSE_SF_SF_EESJ_SZ_SK_SL_SM_EUlSZ_E_NS1_11comp_targetILNS1_3genE4ELNS1_11target_archE910ELNS1_3gpuE8ELNS1_3repE0EEENS1_48merge_mergepath_partition_config_static_selectorELNS0_4arch9wavefront6targetE1EEEvSL_
		.amdhsa_group_segment_fixed_size 0
		.amdhsa_private_segment_fixed_size 0
		.amdhsa_kernarg_size 40
		.amdhsa_user_sgpr_count 6
		.amdhsa_user_sgpr_private_segment_buffer 1
		.amdhsa_user_sgpr_dispatch_ptr 0
		.amdhsa_user_sgpr_queue_ptr 0
		.amdhsa_user_sgpr_kernarg_segment_ptr 1
		.amdhsa_user_sgpr_dispatch_id 0
		.amdhsa_user_sgpr_flat_scratch_init 0
		.amdhsa_user_sgpr_kernarg_preload_length 0
		.amdhsa_user_sgpr_kernarg_preload_offset 0
		.amdhsa_user_sgpr_private_segment_size 0
		.amdhsa_uses_dynamic_stack 0
		.amdhsa_system_sgpr_private_segment_wavefront_offset 0
		.amdhsa_system_sgpr_workgroup_id_x 1
		.amdhsa_system_sgpr_workgroup_id_y 0
		.amdhsa_system_sgpr_workgroup_id_z 0
		.amdhsa_system_sgpr_workgroup_info 0
		.amdhsa_system_vgpr_workitem_id 0
		.amdhsa_next_free_vgpr 17
		.amdhsa_next_free_sgpr 10
		.amdhsa_accum_offset 20
		.amdhsa_reserve_vcc 1
		.amdhsa_reserve_flat_scratch 0
		.amdhsa_float_round_mode_32 0
		.amdhsa_float_round_mode_16_64 0
		.amdhsa_float_denorm_mode_32 3
		.amdhsa_float_denorm_mode_16_64 3
		.amdhsa_dx10_clamp 1
		.amdhsa_ieee_mode 1
		.amdhsa_fp16_overflow 0
		.amdhsa_tg_split 0
		.amdhsa_exception_fp_ieee_invalid_op 0
		.amdhsa_exception_fp_denorm_src 0
		.amdhsa_exception_fp_ieee_div_zero 0
		.amdhsa_exception_fp_ieee_overflow 0
		.amdhsa_exception_fp_ieee_underflow 0
		.amdhsa_exception_fp_ieee_inexact 0
		.amdhsa_exception_int_div_zero 0
	.end_amdhsa_kernel
	.section	.text._ZN7rocprim17ROCPRIM_400000_NS6detail17trampoline_kernelINS0_14default_configENS1_38merge_sort_block_merge_config_selectorIiNS0_10empty_typeEEEZZNS1_27merge_sort_block_merge_implIS3_N6thrust23THRUST_200600_302600_NS6detail15normal_iteratorINS9_10device_ptrIiEEEEPS5_jNS1_19radix_merge_compareILb0ELb1EiNS0_19identity_decomposerEEEEE10hipError_tT0_T1_T2_jT3_P12ihipStream_tbPNSt15iterator_traitsISK_E10value_typeEPNSQ_ISL_E10value_typeEPSM_NS1_7vsmem_tEENKUlT_SK_SL_SM_E_clIPiSE_SF_SF_EESJ_SZ_SK_SL_SM_EUlSZ_E_NS1_11comp_targetILNS1_3genE4ELNS1_11target_archE910ELNS1_3gpuE8ELNS1_3repE0EEENS1_48merge_mergepath_partition_config_static_selectorELNS0_4arch9wavefront6targetE1EEEvSL_,"axG",@progbits,_ZN7rocprim17ROCPRIM_400000_NS6detail17trampoline_kernelINS0_14default_configENS1_38merge_sort_block_merge_config_selectorIiNS0_10empty_typeEEEZZNS1_27merge_sort_block_merge_implIS3_N6thrust23THRUST_200600_302600_NS6detail15normal_iteratorINS9_10device_ptrIiEEEEPS5_jNS1_19radix_merge_compareILb0ELb1EiNS0_19identity_decomposerEEEEE10hipError_tT0_T1_T2_jT3_P12ihipStream_tbPNSt15iterator_traitsISK_E10value_typeEPNSQ_ISL_E10value_typeEPSM_NS1_7vsmem_tEENKUlT_SK_SL_SM_E_clIPiSE_SF_SF_EESJ_SZ_SK_SL_SM_EUlSZ_E_NS1_11comp_targetILNS1_3genE4ELNS1_11target_archE910ELNS1_3gpuE8ELNS1_3repE0EEENS1_48merge_mergepath_partition_config_static_selectorELNS0_4arch9wavefront6targetE1EEEvSL_,comdat
.Lfunc_end1674:
	.size	_ZN7rocprim17ROCPRIM_400000_NS6detail17trampoline_kernelINS0_14default_configENS1_38merge_sort_block_merge_config_selectorIiNS0_10empty_typeEEEZZNS1_27merge_sort_block_merge_implIS3_N6thrust23THRUST_200600_302600_NS6detail15normal_iteratorINS9_10device_ptrIiEEEEPS5_jNS1_19radix_merge_compareILb0ELb1EiNS0_19identity_decomposerEEEEE10hipError_tT0_T1_T2_jT3_P12ihipStream_tbPNSt15iterator_traitsISK_E10value_typeEPNSQ_ISL_E10value_typeEPSM_NS1_7vsmem_tEENKUlT_SK_SL_SM_E_clIPiSE_SF_SF_EESJ_SZ_SK_SL_SM_EUlSZ_E_NS1_11comp_targetILNS1_3genE4ELNS1_11target_archE910ELNS1_3gpuE8ELNS1_3repE0EEENS1_48merge_mergepath_partition_config_static_selectorELNS0_4arch9wavefront6targetE1EEEvSL_, .Lfunc_end1674-_ZN7rocprim17ROCPRIM_400000_NS6detail17trampoline_kernelINS0_14default_configENS1_38merge_sort_block_merge_config_selectorIiNS0_10empty_typeEEEZZNS1_27merge_sort_block_merge_implIS3_N6thrust23THRUST_200600_302600_NS6detail15normal_iteratorINS9_10device_ptrIiEEEEPS5_jNS1_19radix_merge_compareILb0ELb1EiNS0_19identity_decomposerEEEEE10hipError_tT0_T1_T2_jT3_P12ihipStream_tbPNSt15iterator_traitsISK_E10value_typeEPNSQ_ISL_E10value_typeEPSM_NS1_7vsmem_tEENKUlT_SK_SL_SM_E_clIPiSE_SF_SF_EESJ_SZ_SK_SL_SM_EUlSZ_E_NS1_11comp_targetILNS1_3genE4ELNS1_11target_archE910ELNS1_3gpuE8ELNS1_3repE0EEENS1_48merge_mergepath_partition_config_static_selectorELNS0_4arch9wavefront6targetE1EEEvSL_
                                        ; -- End function
	.section	.AMDGPU.csdata,"",@progbits
; Kernel info:
; codeLenInByte = 380
; NumSgprs: 14
; NumVgprs: 17
; NumAgprs: 0
; TotalNumVgprs: 17
; ScratchSize: 0
; MemoryBound: 0
; FloatMode: 240
; IeeeMode: 1
; LDSByteSize: 0 bytes/workgroup (compile time only)
; SGPRBlocks: 1
; VGPRBlocks: 2
; NumSGPRsForWavesPerEU: 14
; NumVGPRsForWavesPerEU: 17
; AccumOffset: 20
; Occupancy: 8
; WaveLimiterHint : 0
; COMPUTE_PGM_RSRC2:SCRATCH_EN: 0
; COMPUTE_PGM_RSRC2:USER_SGPR: 6
; COMPUTE_PGM_RSRC2:TRAP_HANDLER: 0
; COMPUTE_PGM_RSRC2:TGID_X_EN: 1
; COMPUTE_PGM_RSRC2:TGID_Y_EN: 0
; COMPUTE_PGM_RSRC2:TGID_Z_EN: 0
; COMPUTE_PGM_RSRC2:TIDIG_COMP_CNT: 0
; COMPUTE_PGM_RSRC3_GFX90A:ACCUM_OFFSET: 4
; COMPUTE_PGM_RSRC3_GFX90A:TG_SPLIT: 0
	.section	.text._ZN7rocprim17ROCPRIM_400000_NS6detail17trampoline_kernelINS0_14default_configENS1_38merge_sort_block_merge_config_selectorIiNS0_10empty_typeEEEZZNS1_27merge_sort_block_merge_implIS3_N6thrust23THRUST_200600_302600_NS6detail15normal_iteratorINS9_10device_ptrIiEEEEPS5_jNS1_19radix_merge_compareILb0ELb1EiNS0_19identity_decomposerEEEEE10hipError_tT0_T1_T2_jT3_P12ihipStream_tbPNSt15iterator_traitsISK_E10value_typeEPNSQ_ISL_E10value_typeEPSM_NS1_7vsmem_tEENKUlT_SK_SL_SM_E_clIPiSE_SF_SF_EESJ_SZ_SK_SL_SM_EUlSZ_E_NS1_11comp_targetILNS1_3genE3ELNS1_11target_archE908ELNS1_3gpuE7ELNS1_3repE0EEENS1_48merge_mergepath_partition_config_static_selectorELNS0_4arch9wavefront6targetE1EEEvSL_,"axG",@progbits,_ZN7rocprim17ROCPRIM_400000_NS6detail17trampoline_kernelINS0_14default_configENS1_38merge_sort_block_merge_config_selectorIiNS0_10empty_typeEEEZZNS1_27merge_sort_block_merge_implIS3_N6thrust23THRUST_200600_302600_NS6detail15normal_iteratorINS9_10device_ptrIiEEEEPS5_jNS1_19radix_merge_compareILb0ELb1EiNS0_19identity_decomposerEEEEE10hipError_tT0_T1_T2_jT3_P12ihipStream_tbPNSt15iterator_traitsISK_E10value_typeEPNSQ_ISL_E10value_typeEPSM_NS1_7vsmem_tEENKUlT_SK_SL_SM_E_clIPiSE_SF_SF_EESJ_SZ_SK_SL_SM_EUlSZ_E_NS1_11comp_targetILNS1_3genE3ELNS1_11target_archE908ELNS1_3gpuE7ELNS1_3repE0EEENS1_48merge_mergepath_partition_config_static_selectorELNS0_4arch9wavefront6targetE1EEEvSL_,comdat
	.protected	_ZN7rocprim17ROCPRIM_400000_NS6detail17trampoline_kernelINS0_14default_configENS1_38merge_sort_block_merge_config_selectorIiNS0_10empty_typeEEEZZNS1_27merge_sort_block_merge_implIS3_N6thrust23THRUST_200600_302600_NS6detail15normal_iteratorINS9_10device_ptrIiEEEEPS5_jNS1_19radix_merge_compareILb0ELb1EiNS0_19identity_decomposerEEEEE10hipError_tT0_T1_T2_jT3_P12ihipStream_tbPNSt15iterator_traitsISK_E10value_typeEPNSQ_ISL_E10value_typeEPSM_NS1_7vsmem_tEENKUlT_SK_SL_SM_E_clIPiSE_SF_SF_EESJ_SZ_SK_SL_SM_EUlSZ_E_NS1_11comp_targetILNS1_3genE3ELNS1_11target_archE908ELNS1_3gpuE7ELNS1_3repE0EEENS1_48merge_mergepath_partition_config_static_selectorELNS0_4arch9wavefront6targetE1EEEvSL_ ; -- Begin function _ZN7rocprim17ROCPRIM_400000_NS6detail17trampoline_kernelINS0_14default_configENS1_38merge_sort_block_merge_config_selectorIiNS0_10empty_typeEEEZZNS1_27merge_sort_block_merge_implIS3_N6thrust23THRUST_200600_302600_NS6detail15normal_iteratorINS9_10device_ptrIiEEEEPS5_jNS1_19radix_merge_compareILb0ELb1EiNS0_19identity_decomposerEEEEE10hipError_tT0_T1_T2_jT3_P12ihipStream_tbPNSt15iterator_traitsISK_E10value_typeEPNSQ_ISL_E10value_typeEPSM_NS1_7vsmem_tEENKUlT_SK_SL_SM_E_clIPiSE_SF_SF_EESJ_SZ_SK_SL_SM_EUlSZ_E_NS1_11comp_targetILNS1_3genE3ELNS1_11target_archE908ELNS1_3gpuE7ELNS1_3repE0EEENS1_48merge_mergepath_partition_config_static_selectorELNS0_4arch9wavefront6targetE1EEEvSL_
	.globl	_ZN7rocprim17ROCPRIM_400000_NS6detail17trampoline_kernelINS0_14default_configENS1_38merge_sort_block_merge_config_selectorIiNS0_10empty_typeEEEZZNS1_27merge_sort_block_merge_implIS3_N6thrust23THRUST_200600_302600_NS6detail15normal_iteratorINS9_10device_ptrIiEEEEPS5_jNS1_19radix_merge_compareILb0ELb1EiNS0_19identity_decomposerEEEEE10hipError_tT0_T1_T2_jT3_P12ihipStream_tbPNSt15iterator_traitsISK_E10value_typeEPNSQ_ISL_E10value_typeEPSM_NS1_7vsmem_tEENKUlT_SK_SL_SM_E_clIPiSE_SF_SF_EESJ_SZ_SK_SL_SM_EUlSZ_E_NS1_11comp_targetILNS1_3genE3ELNS1_11target_archE908ELNS1_3gpuE7ELNS1_3repE0EEENS1_48merge_mergepath_partition_config_static_selectorELNS0_4arch9wavefront6targetE1EEEvSL_
	.p2align	8
	.type	_ZN7rocprim17ROCPRIM_400000_NS6detail17trampoline_kernelINS0_14default_configENS1_38merge_sort_block_merge_config_selectorIiNS0_10empty_typeEEEZZNS1_27merge_sort_block_merge_implIS3_N6thrust23THRUST_200600_302600_NS6detail15normal_iteratorINS9_10device_ptrIiEEEEPS5_jNS1_19radix_merge_compareILb0ELb1EiNS0_19identity_decomposerEEEEE10hipError_tT0_T1_T2_jT3_P12ihipStream_tbPNSt15iterator_traitsISK_E10value_typeEPNSQ_ISL_E10value_typeEPSM_NS1_7vsmem_tEENKUlT_SK_SL_SM_E_clIPiSE_SF_SF_EESJ_SZ_SK_SL_SM_EUlSZ_E_NS1_11comp_targetILNS1_3genE3ELNS1_11target_archE908ELNS1_3gpuE7ELNS1_3repE0EEENS1_48merge_mergepath_partition_config_static_selectorELNS0_4arch9wavefront6targetE1EEEvSL_,@function
_ZN7rocprim17ROCPRIM_400000_NS6detail17trampoline_kernelINS0_14default_configENS1_38merge_sort_block_merge_config_selectorIiNS0_10empty_typeEEEZZNS1_27merge_sort_block_merge_implIS3_N6thrust23THRUST_200600_302600_NS6detail15normal_iteratorINS9_10device_ptrIiEEEEPS5_jNS1_19radix_merge_compareILb0ELb1EiNS0_19identity_decomposerEEEEE10hipError_tT0_T1_T2_jT3_P12ihipStream_tbPNSt15iterator_traitsISK_E10value_typeEPNSQ_ISL_E10value_typeEPSM_NS1_7vsmem_tEENKUlT_SK_SL_SM_E_clIPiSE_SF_SF_EESJ_SZ_SK_SL_SM_EUlSZ_E_NS1_11comp_targetILNS1_3genE3ELNS1_11target_archE908ELNS1_3gpuE7ELNS1_3repE0EEENS1_48merge_mergepath_partition_config_static_selectorELNS0_4arch9wavefront6targetE1EEEvSL_: ; @_ZN7rocprim17ROCPRIM_400000_NS6detail17trampoline_kernelINS0_14default_configENS1_38merge_sort_block_merge_config_selectorIiNS0_10empty_typeEEEZZNS1_27merge_sort_block_merge_implIS3_N6thrust23THRUST_200600_302600_NS6detail15normal_iteratorINS9_10device_ptrIiEEEEPS5_jNS1_19radix_merge_compareILb0ELb1EiNS0_19identity_decomposerEEEEE10hipError_tT0_T1_T2_jT3_P12ihipStream_tbPNSt15iterator_traitsISK_E10value_typeEPNSQ_ISL_E10value_typeEPSM_NS1_7vsmem_tEENKUlT_SK_SL_SM_E_clIPiSE_SF_SF_EESJ_SZ_SK_SL_SM_EUlSZ_E_NS1_11comp_targetILNS1_3genE3ELNS1_11target_archE908ELNS1_3gpuE7ELNS1_3repE0EEENS1_48merge_mergepath_partition_config_static_selectorELNS0_4arch9wavefront6targetE1EEEvSL_
; %bb.0:
	.section	.rodata,"a",@progbits
	.p2align	6, 0x0
	.amdhsa_kernel _ZN7rocprim17ROCPRIM_400000_NS6detail17trampoline_kernelINS0_14default_configENS1_38merge_sort_block_merge_config_selectorIiNS0_10empty_typeEEEZZNS1_27merge_sort_block_merge_implIS3_N6thrust23THRUST_200600_302600_NS6detail15normal_iteratorINS9_10device_ptrIiEEEEPS5_jNS1_19radix_merge_compareILb0ELb1EiNS0_19identity_decomposerEEEEE10hipError_tT0_T1_T2_jT3_P12ihipStream_tbPNSt15iterator_traitsISK_E10value_typeEPNSQ_ISL_E10value_typeEPSM_NS1_7vsmem_tEENKUlT_SK_SL_SM_E_clIPiSE_SF_SF_EESJ_SZ_SK_SL_SM_EUlSZ_E_NS1_11comp_targetILNS1_3genE3ELNS1_11target_archE908ELNS1_3gpuE7ELNS1_3repE0EEENS1_48merge_mergepath_partition_config_static_selectorELNS0_4arch9wavefront6targetE1EEEvSL_
		.amdhsa_group_segment_fixed_size 0
		.amdhsa_private_segment_fixed_size 0
		.amdhsa_kernarg_size 40
		.amdhsa_user_sgpr_count 6
		.amdhsa_user_sgpr_private_segment_buffer 1
		.amdhsa_user_sgpr_dispatch_ptr 0
		.amdhsa_user_sgpr_queue_ptr 0
		.amdhsa_user_sgpr_kernarg_segment_ptr 1
		.amdhsa_user_sgpr_dispatch_id 0
		.amdhsa_user_sgpr_flat_scratch_init 0
		.amdhsa_user_sgpr_kernarg_preload_length 0
		.amdhsa_user_sgpr_kernarg_preload_offset 0
		.amdhsa_user_sgpr_private_segment_size 0
		.amdhsa_uses_dynamic_stack 0
		.amdhsa_system_sgpr_private_segment_wavefront_offset 0
		.amdhsa_system_sgpr_workgroup_id_x 1
		.amdhsa_system_sgpr_workgroup_id_y 0
		.amdhsa_system_sgpr_workgroup_id_z 0
		.amdhsa_system_sgpr_workgroup_info 0
		.amdhsa_system_vgpr_workitem_id 0
		.amdhsa_next_free_vgpr 1
		.amdhsa_next_free_sgpr 0
		.amdhsa_accum_offset 4
		.amdhsa_reserve_vcc 0
		.amdhsa_reserve_flat_scratch 0
		.amdhsa_float_round_mode_32 0
		.amdhsa_float_round_mode_16_64 0
		.amdhsa_float_denorm_mode_32 3
		.amdhsa_float_denorm_mode_16_64 3
		.amdhsa_dx10_clamp 1
		.amdhsa_ieee_mode 1
		.amdhsa_fp16_overflow 0
		.amdhsa_tg_split 0
		.amdhsa_exception_fp_ieee_invalid_op 0
		.amdhsa_exception_fp_denorm_src 0
		.amdhsa_exception_fp_ieee_div_zero 0
		.amdhsa_exception_fp_ieee_overflow 0
		.amdhsa_exception_fp_ieee_underflow 0
		.amdhsa_exception_fp_ieee_inexact 0
		.amdhsa_exception_int_div_zero 0
	.end_amdhsa_kernel
	.section	.text._ZN7rocprim17ROCPRIM_400000_NS6detail17trampoline_kernelINS0_14default_configENS1_38merge_sort_block_merge_config_selectorIiNS0_10empty_typeEEEZZNS1_27merge_sort_block_merge_implIS3_N6thrust23THRUST_200600_302600_NS6detail15normal_iteratorINS9_10device_ptrIiEEEEPS5_jNS1_19radix_merge_compareILb0ELb1EiNS0_19identity_decomposerEEEEE10hipError_tT0_T1_T2_jT3_P12ihipStream_tbPNSt15iterator_traitsISK_E10value_typeEPNSQ_ISL_E10value_typeEPSM_NS1_7vsmem_tEENKUlT_SK_SL_SM_E_clIPiSE_SF_SF_EESJ_SZ_SK_SL_SM_EUlSZ_E_NS1_11comp_targetILNS1_3genE3ELNS1_11target_archE908ELNS1_3gpuE7ELNS1_3repE0EEENS1_48merge_mergepath_partition_config_static_selectorELNS0_4arch9wavefront6targetE1EEEvSL_,"axG",@progbits,_ZN7rocprim17ROCPRIM_400000_NS6detail17trampoline_kernelINS0_14default_configENS1_38merge_sort_block_merge_config_selectorIiNS0_10empty_typeEEEZZNS1_27merge_sort_block_merge_implIS3_N6thrust23THRUST_200600_302600_NS6detail15normal_iteratorINS9_10device_ptrIiEEEEPS5_jNS1_19radix_merge_compareILb0ELb1EiNS0_19identity_decomposerEEEEE10hipError_tT0_T1_T2_jT3_P12ihipStream_tbPNSt15iterator_traitsISK_E10value_typeEPNSQ_ISL_E10value_typeEPSM_NS1_7vsmem_tEENKUlT_SK_SL_SM_E_clIPiSE_SF_SF_EESJ_SZ_SK_SL_SM_EUlSZ_E_NS1_11comp_targetILNS1_3genE3ELNS1_11target_archE908ELNS1_3gpuE7ELNS1_3repE0EEENS1_48merge_mergepath_partition_config_static_selectorELNS0_4arch9wavefront6targetE1EEEvSL_,comdat
.Lfunc_end1675:
	.size	_ZN7rocprim17ROCPRIM_400000_NS6detail17trampoline_kernelINS0_14default_configENS1_38merge_sort_block_merge_config_selectorIiNS0_10empty_typeEEEZZNS1_27merge_sort_block_merge_implIS3_N6thrust23THRUST_200600_302600_NS6detail15normal_iteratorINS9_10device_ptrIiEEEEPS5_jNS1_19radix_merge_compareILb0ELb1EiNS0_19identity_decomposerEEEEE10hipError_tT0_T1_T2_jT3_P12ihipStream_tbPNSt15iterator_traitsISK_E10value_typeEPNSQ_ISL_E10value_typeEPSM_NS1_7vsmem_tEENKUlT_SK_SL_SM_E_clIPiSE_SF_SF_EESJ_SZ_SK_SL_SM_EUlSZ_E_NS1_11comp_targetILNS1_3genE3ELNS1_11target_archE908ELNS1_3gpuE7ELNS1_3repE0EEENS1_48merge_mergepath_partition_config_static_selectorELNS0_4arch9wavefront6targetE1EEEvSL_, .Lfunc_end1675-_ZN7rocprim17ROCPRIM_400000_NS6detail17trampoline_kernelINS0_14default_configENS1_38merge_sort_block_merge_config_selectorIiNS0_10empty_typeEEEZZNS1_27merge_sort_block_merge_implIS3_N6thrust23THRUST_200600_302600_NS6detail15normal_iteratorINS9_10device_ptrIiEEEEPS5_jNS1_19radix_merge_compareILb0ELb1EiNS0_19identity_decomposerEEEEE10hipError_tT0_T1_T2_jT3_P12ihipStream_tbPNSt15iterator_traitsISK_E10value_typeEPNSQ_ISL_E10value_typeEPSM_NS1_7vsmem_tEENKUlT_SK_SL_SM_E_clIPiSE_SF_SF_EESJ_SZ_SK_SL_SM_EUlSZ_E_NS1_11comp_targetILNS1_3genE3ELNS1_11target_archE908ELNS1_3gpuE7ELNS1_3repE0EEENS1_48merge_mergepath_partition_config_static_selectorELNS0_4arch9wavefront6targetE1EEEvSL_
                                        ; -- End function
	.section	.AMDGPU.csdata,"",@progbits
; Kernel info:
; codeLenInByte = 0
; NumSgprs: 4
; NumVgprs: 0
; NumAgprs: 0
; TotalNumVgprs: 0
; ScratchSize: 0
; MemoryBound: 0
; FloatMode: 240
; IeeeMode: 1
; LDSByteSize: 0 bytes/workgroup (compile time only)
; SGPRBlocks: 0
; VGPRBlocks: 0
; NumSGPRsForWavesPerEU: 4
; NumVGPRsForWavesPerEU: 1
; AccumOffset: 4
; Occupancy: 8
; WaveLimiterHint : 0
; COMPUTE_PGM_RSRC2:SCRATCH_EN: 0
; COMPUTE_PGM_RSRC2:USER_SGPR: 6
; COMPUTE_PGM_RSRC2:TRAP_HANDLER: 0
; COMPUTE_PGM_RSRC2:TGID_X_EN: 1
; COMPUTE_PGM_RSRC2:TGID_Y_EN: 0
; COMPUTE_PGM_RSRC2:TGID_Z_EN: 0
; COMPUTE_PGM_RSRC2:TIDIG_COMP_CNT: 0
; COMPUTE_PGM_RSRC3_GFX90A:ACCUM_OFFSET: 0
; COMPUTE_PGM_RSRC3_GFX90A:TG_SPLIT: 0
	.section	.text._ZN7rocprim17ROCPRIM_400000_NS6detail17trampoline_kernelINS0_14default_configENS1_38merge_sort_block_merge_config_selectorIiNS0_10empty_typeEEEZZNS1_27merge_sort_block_merge_implIS3_N6thrust23THRUST_200600_302600_NS6detail15normal_iteratorINS9_10device_ptrIiEEEEPS5_jNS1_19radix_merge_compareILb0ELb1EiNS0_19identity_decomposerEEEEE10hipError_tT0_T1_T2_jT3_P12ihipStream_tbPNSt15iterator_traitsISK_E10value_typeEPNSQ_ISL_E10value_typeEPSM_NS1_7vsmem_tEENKUlT_SK_SL_SM_E_clIPiSE_SF_SF_EESJ_SZ_SK_SL_SM_EUlSZ_E_NS1_11comp_targetILNS1_3genE2ELNS1_11target_archE906ELNS1_3gpuE6ELNS1_3repE0EEENS1_48merge_mergepath_partition_config_static_selectorELNS0_4arch9wavefront6targetE1EEEvSL_,"axG",@progbits,_ZN7rocprim17ROCPRIM_400000_NS6detail17trampoline_kernelINS0_14default_configENS1_38merge_sort_block_merge_config_selectorIiNS0_10empty_typeEEEZZNS1_27merge_sort_block_merge_implIS3_N6thrust23THRUST_200600_302600_NS6detail15normal_iteratorINS9_10device_ptrIiEEEEPS5_jNS1_19radix_merge_compareILb0ELb1EiNS0_19identity_decomposerEEEEE10hipError_tT0_T1_T2_jT3_P12ihipStream_tbPNSt15iterator_traitsISK_E10value_typeEPNSQ_ISL_E10value_typeEPSM_NS1_7vsmem_tEENKUlT_SK_SL_SM_E_clIPiSE_SF_SF_EESJ_SZ_SK_SL_SM_EUlSZ_E_NS1_11comp_targetILNS1_3genE2ELNS1_11target_archE906ELNS1_3gpuE6ELNS1_3repE0EEENS1_48merge_mergepath_partition_config_static_selectorELNS0_4arch9wavefront6targetE1EEEvSL_,comdat
	.protected	_ZN7rocprim17ROCPRIM_400000_NS6detail17trampoline_kernelINS0_14default_configENS1_38merge_sort_block_merge_config_selectorIiNS0_10empty_typeEEEZZNS1_27merge_sort_block_merge_implIS3_N6thrust23THRUST_200600_302600_NS6detail15normal_iteratorINS9_10device_ptrIiEEEEPS5_jNS1_19radix_merge_compareILb0ELb1EiNS0_19identity_decomposerEEEEE10hipError_tT0_T1_T2_jT3_P12ihipStream_tbPNSt15iterator_traitsISK_E10value_typeEPNSQ_ISL_E10value_typeEPSM_NS1_7vsmem_tEENKUlT_SK_SL_SM_E_clIPiSE_SF_SF_EESJ_SZ_SK_SL_SM_EUlSZ_E_NS1_11comp_targetILNS1_3genE2ELNS1_11target_archE906ELNS1_3gpuE6ELNS1_3repE0EEENS1_48merge_mergepath_partition_config_static_selectorELNS0_4arch9wavefront6targetE1EEEvSL_ ; -- Begin function _ZN7rocprim17ROCPRIM_400000_NS6detail17trampoline_kernelINS0_14default_configENS1_38merge_sort_block_merge_config_selectorIiNS0_10empty_typeEEEZZNS1_27merge_sort_block_merge_implIS3_N6thrust23THRUST_200600_302600_NS6detail15normal_iteratorINS9_10device_ptrIiEEEEPS5_jNS1_19radix_merge_compareILb0ELb1EiNS0_19identity_decomposerEEEEE10hipError_tT0_T1_T2_jT3_P12ihipStream_tbPNSt15iterator_traitsISK_E10value_typeEPNSQ_ISL_E10value_typeEPSM_NS1_7vsmem_tEENKUlT_SK_SL_SM_E_clIPiSE_SF_SF_EESJ_SZ_SK_SL_SM_EUlSZ_E_NS1_11comp_targetILNS1_3genE2ELNS1_11target_archE906ELNS1_3gpuE6ELNS1_3repE0EEENS1_48merge_mergepath_partition_config_static_selectorELNS0_4arch9wavefront6targetE1EEEvSL_
	.globl	_ZN7rocprim17ROCPRIM_400000_NS6detail17trampoline_kernelINS0_14default_configENS1_38merge_sort_block_merge_config_selectorIiNS0_10empty_typeEEEZZNS1_27merge_sort_block_merge_implIS3_N6thrust23THRUST_200600_302600_NS6detail15normal_iteratorINS9_10device_ptrIiEEEEPS5_jNS1_19radix_merge_compareILb0ELb1EiNS0_19identity_decomposerEEEEE10hipError_tT0_T1_T2_jT3_P12ihipStream_tbPNSt15iterator_traitsISK_E10value_typeEPNSQ_ISL_E10value_typeEPSM_NS1_7vsmem_tEENKUlT_SK_SL_SM_E_clIPiSE_SF_SF_EESJ_SZ_SK_SL_SM_EUlSZ_E_NS1_11comp_targetILNS1_3genE2ELNS1_11target_archE906ELNS1_3gpuE6ELNS1_3repE0EEENS1_48merge_mergepath_partition_config_static_selectorELNS0_4arch9wavefront6targetE1EEEvSL_
	.p2align	8
	.type	_ZN7rocprim17ROCPRIM_400000_NS6detail17trampoline_kernelINS0_14default_configENS1_38merge_sort_block_merge_config_selectorIiNS0_10empty_typeEEEZZNS1_27merge_sort_block_merge_implIS3_N6thrust23THRUST_200600_302600_NS6detail15normal_iteratorINS9_10device_ptrIiEEEEPS5_jNS1_19radix_merge_compareILb0ELb1EiNS0_19identity_decomposerEEEEE10hipError_tT0_T1_T2_jT3_P12ihipStream_tbPNSt15iterator_traitsISK_E10value_typeEPNSQ_ISL_E10value_typeEPSM_NS1_7vsmem_tEENKUlT_SK_SL_SM_E_clIPiSE_SF_SF_EESJ_SZ_SK_SL_SM_EUlSZ_E_NS1_11comp_targetILNS1_3genE2ELNS1_11target_archE906ELNS1_3gpuE6ELNS1_3repE0EEENS1_48merge_mergepath_partition_config_static_selectorELNS0_4arch9wavefront6targetE1EEEvSL_,@function
_ZN7rocprim17ROCPRIM_400000_NS6detail17trampoline_kernelINS0_14default_configENS1_38merge_sort_block_merge_config_selectorIiNS0_10empty_typeEEEZZNS1_27merge_sort_block_merge_implIS3_N6thrust23THRUST_200600_302600_NS6detail15normal_iteratorINS9_10device_ptrIiEEEEPS5_jNS1_19radix_merge_compareILb0ELb1EiNS0_19identity_decomposerEEEEE10hipError_tT0_T1_T2_jT3_P12ihipStream_tbPNSt15iterator_traitsISK_E10value_typeEPNSQ_ISL_E10value_typeEPSM_NS1_7vsmem_tEENKUlT_SK_SL_SM_E_clIPiSE_SF_SF_EESJ_SZ_SK_SL_SM_EUlSZ_E_NS1_11comp_targetILNS1_3genE2ELNS1_11target_archE906ELNS1_3gpuE6ELNS1_3repE0EEENS1_48merge_mergepath_partition_config_static_selectorELNS0_4arch9wavefront6targetE1EEEvSL_: ; @_ZN7rocprim17ROCPRIM_400000_NS6detail17trampoline_kernelINS0_14default_configENS1_38merge_sort_block_merge_config_selectorIiNS0_10empty_typeEEEZZNS1_27merge_sort_block_merge_implIS3_N6thrust23THRUST_200600_302600_NS6detail15normal_iteratorINS9_10device_ptrIiEEEEPS5_jNS1_19radix_merge_compareILb0ELb1EiNS0_19identity_decomposerEEEEE10hipError_tT0_T1_T2_jT3_P12ihipStream_tbPNSt15iterator_traitsISK_E10value_typeEPNSQ_ISL_E10value_typeEPSM_NS1_7vsmem_tEENKUlT_SK_SL_SM_E_clIPiSE_SF_SF_EESJ_SZ_SK_SL_SM_EUlSZ_E_NS1_11comp_targetILNS1_3genE2ELNS1_11target_archE906ELNS1_3gpuE6ELNS1_3repE0EEENS1_48merge_mergepath_partition_config_static_selectorELNS0_4arch9wavefront6targetE1EEEvSL_
; %bb.0:
	.section	.rodata,"a",@progbits
	.p2align	6, 0x0
	.amdhsa_kernel _ZN7rocprim17ROCPRIM_400000_NS6detail17trampoline_kernelINS0_14default_configENS1_38merge_sort_block_merge_config_selectorIiNS0_10empty_typeEEEZZNS1_27merge_sort_block_merge_implIS3_N6thrust23THRUST_200600_302600_NS6detail15normal_iteratorINS9_10device_ptrIiEEEEPS5_jNS1_19radix_merge_compareILb0ELb1EiNS0_19identity_decomposerEEEEE10hipError_tT0_T1_T2_jT3_P12ihipStream_tbPNSt15iterator_traitsISK_E10value_typeEPNSQ_ISL_E10value_typeEPSM_NS1_7vsmem_tEENKUlT_SK_SL_SM_E_clIPiSE_SF_SF_EESJ_SZ_SK_SL_SM_EUlSZ_E_NS1_11comp_targetILNS1_3genE2ELNS1_11target_archE906ELNS1_3gpuE6ELNS1_3repE0EEENS1_48merge_mergepath_partition_config_static_selectorELNS0_4arch9wavefront6targetE1EEEvSL_
		.amdhsa_group_segment_fixed_size 0
		.amdhsa_private_segment_fixed_size 0
		.amdhsa_kernarg_size 40
		.amdhsa_user_sgpr_count 6
		.amdhsa_user_sgpr_private_segment_buffer 1
		.amdhsa_user_sgpr_dispatch_ptr 0
		.amdhsa_user_sgpr_queue_ptr 0
		.amdhsa_user_sgpr_kernarg_segment_ptr 1
		.amdhsa_user_sgpr_dispatch_id 0
		.amdhsa_user_sgpr_flat_scratch_init 0
		.amdhsa_user_sgpr_kernarg_preload_length 0
		.amdhsa_user_sgpr_kernarg_preload_offset 0
		.amdhsa_user_sgpr_private_segment_size 0
		.amdhsa_uses_dynamic_stack 0
		.amdhsa_system_sgpr_private_segment_wavefront_offset 0
		.amdhsa_system_sgpr_workgroup_id_x 1
		.amdhsa_system_sgpr_workgroup_id_y 0
		.amdhsa_system_sgpr_workgroup_id_z 0
		.amdhsa_system_sgpr_workgroup_info 0
		.amdhsa_system_vgpr_workitem_id 0
		.amdhsa_next_free_vgpr 1
		.amdhsa_next_free_sgpr 0
		.amdhsa_accum_offset 4
		.amdhsa_reserve_vcc 0
		.amdhsa_reserve_flat_scratch 0
		.amdhsa_float_round_mode_32 0
		.amdhsa_float_round_mode_16_64 0
		.amdhsa_float_denorm_mode_32 3
		.amdhsa_float_denorm_mode_16_64 3
		.amdhsa_dx10_clamp 1
		.amdhsa_ieee_mode 1
		.amdhsa_fp16_overflow 0
		.amdhsa_tg_split 0
		.amdhsa_exception_fp_ieee_invalid_op 0
		.amdhsa_exception_fp_denorm_src 0
		.amdhsa_exception_fp_ieee_div_zero 0
		.amdhsa_exception_fp_ieee_overflow 0
		.amdhsa_exception_fp_ieee_underflow 0
		.amdhsa_exception_fp_ieee_inexact 0
		.amdhsa_exception_int_div_zero 0
	.end_amdhsa_kernel
	.section	.text._ZN7rocprim17ROCPRIM_400000_NS6detail17trampoline_kernelINS0_14default_configENS1_38merge_sort_block_merge_config_selectorIiNS0_10empty_typeEEEZZNS1_27merge_sort_block_merge_implIS3_N6thrust23THRUST_200600_302600_NS6detail15normal_iteratorINS9_10device_ptrIiEEEEPS5_jNS1_19radix_merge_compareILb0ELb1EiNS0_19identity_decomposerEEEEE10hipError_tT0_T1_T2_jT3_P12ihipStream_tbPNSt15iterator_traitsISK_E10value_typeEPNSQ_ISL_E10value_typeEPSM_NS1_7vsmem_tEENKUlT_SK_SL_SM_E_clIPiSE_SF_SF_EESJ_SZ_SK_SL_SM_EUlSZ_E_NS1_11comp_targetILNS1_3genE2ELNS1_11target_archE906ELNS1_3gpuE6ELNS1_3repE0EEENS1_48merge_mergepath_partition_config_static_selectorELNS0_4arch9wavefront6targetE1EEEvSL_,"axG",@progbits,_ZN7rocprim17ROCPRIM_400000_NS6detail17trampoline_kernelINS0_14default_configENS1_38merge_sort_block_merge_config_selectorIiNS0_10empty_typeEEEZZNS1_27merge_sort_block_merge_implIS3_N6thrust23THRUST_200600_302600_NS6detail15normal_iteratorINS9_10device_ptrIiEEEEPS5_jNS1_19radix_merge_compareILb0ELb1EiNS0_19identity_decomposerEEEEE10hipError_tT0_T1_T2_jT3_P12ihipStream_tbPNSt15iterator_traitsISK_E10value_typeEPNSQ_ISL_E10value_typeEPSM_NS1_7vsmem_tEENKUlT_SK_SL_SM_E_clIPiSE_SF_SF_EESJ_SZ_SK_SL_SM_EUlSZ_E_NS1_11comp_targetILNS1_3genE2ELNS1_11target_archE906ELNS1_3gpuE6ELNS1_3repE0EEENS1_48merge_mergepath_partition_config_static_selectorELNS0_4arch9wavefront6targetE1EEEvSL_,comdat
.Lfunc_end1676:
	.size	_ZN7rocprim17ROCPRIM_400000_NS6detail17trampoline_kernelINS0_14default_configENS1_38merge_sort_block_merge_config_selectorIiNS0_10empty_typeEEEZZNS1_27merge_sort_block_merge_implIS3_N6thrust23THRUST_200600_302600_NS6detail15normal_iteratorINS9_10device_ptrIiEEEEPS5_jNS1_19radix_merge_compareILb0ELb1EiNS0_19identity_decomposerEEEEE10hipError_tT0_T1_T2_jT3_P12ihipStream_tbPNSt15iterator_traitsISK_E10value_typeEPNSQ_ISL_E10value_typeEPSM_NS1_7vsmem_tEENKUlT_SK_SL_SM_E_clIPiSE_SF_SF_EESJ_SZ_SK_SL_SM_EUlSZ_E_NS1_11comp_targetILNS1_3genE2ELNS1_11target_archE906ELNS1_3gpuE6ELNS1_3repE0EEENS1_48merge_mergepath_partition_config_static_selectorELNS0_4arch9wavefront6targetE1EEEvSL_, .Lfunc_end1676-_ZN7rocprim17ROCPRIM_400000_NS6detail17trampoline_kernelINS0_14default_configENS1_38merge_sort_block_merge_config_selectorIiNS0_10empty_typeEEEZZNS1_27merge_sort_block_merge_implIS3_N6thrust23THRUST_200600_302600_NS6detail15normal_iteratorINS9_10device_ptrIiEEEEPS5_jNS1_19radix_merge_compareILb0ELb1EiNS0_19identity_decomposerEEEEE10hipError_tT0_T1_T2_jT3_P12ihipStream_tbPNSt15iterator_traitsISK_E10value_typeEPNSQ_ISL_E10value_typeEPSM_NS1_7vsmem_tEENKUlT_SK_SL_SM_E_clIPiSE_SF_SF_EESJ_SZ_SK_SL_SM_EUlSZ_E_NS1_11comp_targetILNS1_3genE2ELNS1_11target_archE906ELNS1_3gpuE6ELNS1_3repE0EEENS1_48merge_mergepath_partition_config_static_selectorELNS0_4arch9wavefront6targetE1EEEvSL_
                                        ; -- End function
	.section	.AMDGPU.csdata,"",@progbits
; Kernel info:
; codeLenInByte = 0
; NumSgprs: 4
; NumVgprs: 0
; NumAgprs: 0
; TotalNumVgprs: 0
; ScratchSize: 0
; MemoryBound: 0
; FloatMode: 240
; IeeeMode: 1
; LDSByteSize: 0 bytes/workgroup (compile time only)
; SGPRBlocks: 0
; VGPRBlocks: 0
; NumSGPRsForWavesPerEU: 4
; NumVGPRsForWavesPerEU: 1
; AccumOffset: 4
; Occupancy: 8
; WaveLimiterHint : 0
; COMPUTE_PGM_RSRC2:SCRATCH_EN: 0
; COMPUTE_PGM_RSRC2:USER_SGPR: 6
; COMPUTE_PGM_RSRC2:TRAP_HANDLER: 0
; COMPUTE_PGM_RSRC2:TGID_X_EN: 1
; COMPUTE_PGM_RSRC2:TGID_Y_EN: 0
; COMPUTE_PGM_RSRC2:TGID_Z_EN: 0
; COMPUTE_PGM_RSRC2:TIDIG_COMP_CNT: 0
; COMPUTE_PGM_RSRC3_GFX90A:ACCUM_OFFSET: 0
; COMPUTE_PGM_RSRC3_GFX90A:TG_SPLIT: 0
	.section	.text._ZN7rocprim17ROCPRIM_400000_NS6detail17trampoline_kernelINS0_14default_configENS1_38merge_sort_block_merge_config_selectorIiNS0_10empty_typeEEEZZNS1_27merge_sort_block_merge_implIS3_N6thrust23THRUST_200600_302600_NS6detail15normal_iteratorINS9_10device_ptrIiEEEEPS5_jNS1_19radix_merge_compareILb0ELb1EiNS0_19identity_decomposerEEEEE10hipError_tT0_T1_T2_jT3_P12ihipStream_tbPNSt15iterator_traitsISK_E10value_typeEPNSQ_ISL_E10value_typeEPSM_NS1_7vsmem_tEENKUlT_SK_SL_SM_E_clIPiSE_SF_SF_EESJ_SZ_SK_SL_SM_EUlSZ_E_NS1_11comp_targetILNS1_3genE9ELNS1_11target_archE1100ELNS1_3gpuE3ELNS1_3repE0EEENS1_48merge_mergepath_partition_config_static_selectorELNS0_4arch9wavefront6targetE1EEEvSL_,"axG",@progbits,_ZN7rocprim17ROCPRIM_400000_NS6detail17trampoline_kernelINS0_14default_configENS1_38merge_sort_block_merge_config_selectorIiNS0_10empty_typeEEEZZNS1_27merge_sort_block_merge_implIS3_N6thrust23THRUST_200600_302600_NS6detail15normal_iteratorINS9_10device_ptrIiEEEEPS5_jNS1_19radix_merge_compareILb0ELb1EiNS0_19identity_decomposerEEEEE10hipError_tT0_T1_T2_jT3_P12ihipStream_tbPNSt15iterator_traitsISK_E10value_typeEPNSQ_ISL_E10value_typeEPSM_NS1_7vsmem_tEENKUlT_SK_SL_SM_E_clIPiSE_SF_SF_EESJ_SZ_SK_SL_SM_EUlSZ_E_NS1_11comp_targetILNS1_3genE9ELNS1_11target_archE1100ELNS1_3gpuE3ELNS1_3repE0EEENS1_48merge_mergepath_partition_config_static_selectorELNS0_4arch9wavefront6targetE1EEEvSL_,comdat
	.protected	_ZN7rocprim17ROCPRIM_400000_NS6detail17trampoline_kernelINS0_14default_configENS1_38merge_sort_block_merge_config_selectorIiNS0_10empty_typeEEEZZNS1_27merge_sort_block_merge_implIS3_N6thrust23THRUST_200600_302600_NS6detail15normal_iteratorINS9_10device_ptrIiEEEEPS5_jNS1_19radix_merge_compareILb0ELb1EiNS0_19identity_decomposerEEEEE10hipError_tT0_T1_T2_jT3_P12ihipStream_tbPNSt15iterator_traitsISK_E10value_typeEPNSQ_ISL_E10value_typeEPSM_NS1_7vsmem_tEENKUlT_SK_SL_SM_E_clIPiSE_SF_SF_EESJ_SZ_SK_SL_SM_EUlSZ_E_NS1_11comp_targetILNS1_3genE9ELNS1_11target_archE1100ELNS1_3gpuE3ELNS1_3repE0EEENS1_48merge_mergepath_partition_config_static_selectorELNS0_4arch9wavefront6targetE1EEEvSL_ ; -- Begin function _ZN7rocprim17ROCPRIM_400000_NS6detail17trampoline_kernelINS0_14default_configENS1_38merge_sort_block_merge_config_selectorIiNS0_10empty_typeEEEZZNS1_27merge_sort_block_merge_implIS3_N6thrust23THRUST_200600_302600_NS6detail15normal_iteratorINS9_10device_ptrIiEEEEPS5_jNS1_19radix_merge_compareILb0ELb1EiNS0_19identity_decomposerEEEEE10hipError_tT0_T1_T2_jT3_P12ihipStream_tbPNSt15iterator_traitsISK_E10value_typeEPNSQ_ISL_E10value_typeEPSM_NS1_7vsmem_tEENKUlT_SK_SL_SM_E_clIPiSE_SF_SF_EESJ_SZ_SK_SL_SM_EUlSZ_E_NS1_11comp_targetILNS1_3genE9ELNS1_11target_archE1100ELNS1_3gpuE3ELNS1_3repE0EEENS1_48merge_mergepath_partition_config_static_selectorELNS0_4arch9wavefront6targetE1EEEvSL_
	.globl	_ZN7rocprim17ROCPRIM_400000_NS6detail17trampoline_kernelINS0_14default_configENS1_38merge_sort_block_merge_config_selectorIiNS0_10empty_typeEEEZZNS1_27merge_sort_block_merge_implIS3_N6thrust23THRUST_200600_302600_NS6detail15normal_iteratorINS9_10device_ptrIiEEEEPS5_jNS1_19radix_merge_compareILb0ELb1EiNS0_19identity_decomposerEEEEE10hipError_tT0_T1_T2_jT3_P12ihipStream_tbPNSt15iterator_traitsISK_E10value_typeEPNSQ_ISL_E10value_typeEPSM_NS1_7vsmem_tEENKUlT_SK_SL_SM_E_clIPiSE_SF_SF_EESJ_SZ_SK_SL_SM_EUlSZ_E_NS1_11comp_targetILNS1_3genE9ELNS1_11target_archE1100ELNS1_3gpuE3ELNS1_3repE0EEENS1_48merge_mergepath_partition_config_static_selectorELNS0_4arch9wavefront6targetE1EEEvSL_
	.p2align	8
	.type	_ZN7rocprim17ROCPRIM_400000_NS6detail17trampoline_kernelINS0_14default_configENS1_38merge_sort_block_merge_config_selectorIiNS0_10empty_typeEEEZZNS1_27merge_sort_block_merge_implIS3_N6thrust23THRUST_200600_302600_NS6detail15normal_iteratorINS9_10device_ptrIiEEEEPS5_jNS1_19radix_merge_compareILb0ELb1EiNS0_19identity_decomposerEEEEE10hipError_tT0_T1_T2_jT3_P12ihipStream_tbPNSt15iterator_traitsISK_E10value_typeEPNSQ_ISL_E10value_typeEPSM_NS1_7vsmem_tEENKUlT_SK_SL_SM_E_clIPiSE_SF_SF_EESJ_SZ_SK_SL_SM_EUlSZ_E_NS1_11comp_targetILNS1_3genE9ELNS1_11target_archE1100ELNS1_3gpuE3ELNS1_3repE0EEENS1_48merge_mergepath_partition_config_static_selectorELNS0_4arch9wavefront6targetE1EEEvSL_,@function
_ZN7rocprim17ROCPRIM_400000_NS6detail17trampoline_kernelINS0_14default_configENS1_38merge_sort_block_merge_config_selectorIiNS0_10empty_typeEEEZZNS1_27merge_sort_block_merge_implIS3_N6thrust23THRUST_200600_302600_NS6detail15normal_iteratorINS9_10device_ptrIiEEEEPS5_jNS1_19radix_merge_compareILb0ELb1EiNS0_19identity_decomposerEEEEE10hipError_tT0_T1_T2_jT3_P12ihipStream_tbPNSt15iterator_traitsISK_E10value_typeEPNSQ_ISL_E10value_typeEPSM_NS1_7vsmem_tEENKUlT_SK_SL_SM_E_clIPiSE_SF_SF_EESJ_SZ_SK_SL_SM_EUlSZ_E_NS1_11comp_targetILNS1_3genE9ELNS1_11target_archE1100ELNS1_3gpuE3ELNS1_3repE0EEENS1_48merge_mergepath_partition_config_static_selectorELNS0_4arch9wavefront6targetE1EEEvSL_: ; @_ZN7rocprim17ROCPRIM_400000_NS6detail17trampoline_kernelINS0_14default_configENS1_38merge_sort_block_merge_config_selectorIiNS0_10empty_typeEEEZZNS1_27merge_sort_block_merge_implIS3_N6thrust23THRUST_200600_302600_NS6detail15normal_iteratorINS9_10device_ptrIiEEEEPS5_jNS1_19radix_merge_compareILb0ELb1EiNS0_19identity_decomposerEEEEE10hipError_tT0_T1_T2_jT3_P12ihipStream_tbPNSt15iterator_traitsISK_E10value_typeEPNSQ_ISL_E10value_typeEPSM_NS1_7vsmem_tEENKUlT_SK_SL_SM_E_clIPiSE_SF_SF_EESJ_SZ_SK_SL_SM_EUlSZ_E_NS1_11comp_targetILNS1_3genE9ELNS1_11target_archE1100ELNS1_3gpuE3ELNS1_3repE0EEENS1_48merge_mergepath_partition_config_static_selectorELNS0_4arch9wavefront6targetE1EEEvSL_
; %bb.0:
	.section	.rodata,"a",@progbits
	.p2align	6, 0x0
	.amdhsa_kernel _ZN7rocprim17ROCPRIM_400000_NS6detail17trampoline_kernelINS0_14default_configENS1_38merge_sort_block_merge_config_selectorIiNS0_10empty_typeEEEZZNS1_27merge_sort_block_merge_implIS3_N6thrust23THRUST_200600_302600_NS6detail15normal_iteratorINS9_10device_ptrIiEEEEPS5_jNS1_19radix_merge_compareILb0ELb1EiNS0_19identity_decomposerEEEEE10hipError_tT0_T1_T2_jT3_P12ihipStream_tbPNSt15iterator_traitsISK_E10value_typeEPNSQ_ISL_E10value_typeEPSM_NS1_7vsmem_tEENKUlT_SK_SL_SM_E_clIPiSE_SF_SF_EESJ_SZ_SK_SL_SM_EUlSZ_E_NS1_11comp_targetILNS1_3genE9ELNS1_11target_archE1100ELNS1_3gpuE3ELNS1_3repE0EEENS1_48merge_mergepath_partition_config_static_selectorELNS0_4arch9wavefront6targetE1EEEvSL_
		.amdhsa_group_segment_fixed_size 0
		.amdhsa_private_segment_fixed_size 0
		.amdhsa_kernarg_size 40
		.amdhsa_user_sgpr_count 6
		.amdhsa_user_sgpr_private_segment_buffer 1
		.amdhsa_user_sgpr_dispatch_ptr 0
		.amdhsa_user_sgpr_queue_ptr 0
		.amdhsa_user_sgpr_kernarg_segment_ptr 1
		.amdhsa_user_sgpr_dispatch_id 0
		.amdhsa_user_sgpr_flat_scratch_init 0
		.amdhsa_user_sgpr_kernarg_preload_length 0
		.amdhsa_user_sgpr_kernarg_preload_offset 0
		.amdhsa_user_sgpr_private_segment_size 0
		.amdhsa_uses_dynamic_stack 0
		.amdhsa_system_sgpr_private_segment_wavefront_offset 0
		.amdhsa_system_sgpr_workgroup_id_x 1
		.amdhsa_system_sgpr_workgroup_id_y 0
		.amdhsa_system_sgpr_workgroup_id_z 0
		.amdhsa_system_sgpr_workgroup_info 0
		.amdhsa_system_vgpr_workitem_id 0
		.amdhsa_next_free_vgpr 1
		.amdhsa_next_free_sgpr 0
		.amdhsa_accum_offset 4
		.amdhsa_reserve_vcc 0
		.amdhsa_reserve_flat_scratch 0
		.amdhsa_float_round_mode_32 0
		.amdhsa_float_round_mode_16_64 0
		.amdhsa_float_denorm_mode_32 3
		.amdhsa_float_denorm_mode_16_64 3
		.amdhsa_dx10_clamp 1
		.amdhsa_ieee_mode 1
		.amdhsa_fp16_overflow 0
		.amdhsa_tg_split 0
		.amdhsa_exception_fp_ieee_invalid_op 0
		.amdhsa_exception_fp_denorm_src 0
		.amdhsa_exception_fp_ieee_div_zero 0
		.amdhsa_exception_fp_ieee_overflow 0
		.amdhsa_exception_fp_ieee_underflow 0
		.amdhsa_exception_fp_ieee_inexact 0
		.amdhsa_exception_int_div_zero 0
	.end_amdhsa_kernel
	.section	.text._ZN7rocprim17ROCPRIM_400000_NS6detail17trampoline_kernelINS0_14default_configENS1_38merge_sort_block_merge_config_selectorIiNS0_10empty_typeEEEZZNS1_27merge_sort_block_merge_implIS3_N6thrust23THRUST_200600_302600_NS6detail15normal_iteratorINS9_10device_ptrIiEEEEPS5_jNS1_19radix_merge_compareILb0ELb1EiNS0_19identity_decomposerEEEEE10hipError_tT0_T1_T2_jT3_P12ihipStream_tbPNSt15iterator_traitsISK_E10value_typeEPNSQ_ISL_E10value_typeEPSM_NS1_7vsmem_tEENKUlT_SK_SL_SM_E_clIPiSE_SF_SF_EESJ_SZ_SK_SL_SM_EUlSZ_E_NS1_11comp_targetILNS1_3genE9ELNS1_11target_archE1100ELNS1_3gpuE3ELNS1_3repE0EEENS1_48merge_mergepath_partition_config_static_selectorELNS0_4arch9wavefront6targetE1EEEvSL_,"axG",@progbits,_ZN7rocprim17ROCPRIM_400000_NS6detail17trampoline_kernelINS0_14default_configENS1_38merge_sort_block_merge_config_selectorIiNS0_10empty_typeEEEZZNS1_27merge_sort_block_merge_implIS3_N6thrust23THRUST_200600_302600_NS6detail15normal_iteratorINS9_10device_ptrIiEEEEPS5_jNS1_19radix_merge_compareILb0ELb1EiNS0_19identity_decomposerEEEEE10hipError_tT0_T1_T2_jT3_P12ihipStream_tbPNSt15iterator_traitsISK_E10value_typeEPNSQ_ISL_E10value_typeEPSM_NS1_7vsmem_tEENKUlT_SK_SL_SM_E_clIPiSE_SF_SF_EESJ_SZ_SK_SL_SM_EUlSZ_E_NS1_11comp_targetILNS1_3genE9ELNS1_11target_archE1100ELNS1_3gpuE3ELNS1_3repE0EEENS1_48merge_mergepath_partition_config_static_selectorELNS0_4arch9wavefront6targetE1EEEvSL_,comdat
.Lfunc_end1677:
	.size	_ZN7rocprim17ROCPRIM_400000_NS6detail17trampoline_kernelINS0_14default_configENS1_38merge_sort_block_merge_config_selectorIiNS0_10empty_typeEEEZZNS1_27merge_sort_block_merge_implIS3_N6thrust23THRUST_200600_302600_NS6detail15normal_iteratorINS9_10device_ptrIiEEEEPS5_jNS1_19radix_merge_compareILb0ELb1EiNS0_19identity_decomposerEEEEE10hipError_tT0_T1_T2_jT3_P12ihipStream_tbPNSt15iterator_traitsISK_E10value_typeEPNSQ_ISL_E10value_typeEPSM_NS1_7vsmem_tEENKUlT_SK_SL_SM_E_clIPiSE_SF_SF_EESJ_SZ_SK_SL_SM_EUlSZ_E_NS1_11comp_targetILNS1_3genE9ELNS1_11target_archE1100ELNS1_3gpuE3ELNS1_3repE0EEENS1_48merge_mergepath_partition_config_static_selectorELNS0_4arch9wavefront6targetE1EEEvSL_, .Lfunc_end1677-_ZN7rocprim17ROCPRIM_400000_NS6detail17trampoline_kernelINS0_14default_configENS1_38merge_sort_block_merge_config_selectorIiNS0_10empty_typeEEEZZNS1_27merge_sort_block_merge_implIS3_N6thrust23THRUST_200600_302600_NS6detail15normal_iteratorINS9_10device_ptrIiEEEEPS5_jNS1_19radix_merge_compareILb0ELb1EiNS0_19identity_decomposerEEEEE10hipError_tT0_T1_T2_jT3_P12ihipStream_tbPNSt15iterator_traitsISK_E10value_typeEPNSQ_ISL_E10value_typeEPSM_NS1_7vsmem_tEENKUlT_SK_SL_SM_E_clIPiSE_SF_SF_EESJ_SZ_SK_SL_SM_EUlSZ_E_NS1_11comp_targetILNS1_3genE9ELNS1_11target_archE1100ELNS1_3gpuE3ELNS1_3repE0EEENS1_48merge_mergepath_partition_config_static_selectorELNS0_4arch9wavefront6targetE1EEEvSL_
                                        ; -- End function
	.section	.AMDGPU.csdata,"",@progbits
; Kernel info:
; codeLenInByte = 0
; NumSgprs: 4
; NumVgprs: 0
; NumAgprs: 0
; TotalNumVgprs: 0
; ScratchSize: 0
; MemoryBound: 0
; FloatMode: 240
; IeeeMode: 1
; LDSByteSize: 0 bytes/workgroup (compile time only)
; SGPRBlocks: 0
; VGPRBlocks: 0
; NumSGPRsForWavesPerEU: 4
; NumVGPRsForWavesPerEU: 1
; AccumOffset: 4
; Occupancy: 8
; WaveLimiterHint : 0
; COMPUTE_PGM_RSRC2:SCRATCH_EN: 0
; COMPUTE_PGM_RSRC2:USER_SGPR: 6
; COMPUTE_PGM_RSRC2:TRAP_HANDLER: 0
; COMPUTE_PGM_RSRC2:TGID_X_EN: 1
; COMPUTE_PGM_RSRC2:TGID_Y_EN: 0
; COMPUTE_PGM_RSRC2:TGID_Z_EN: 0
; COMPUTE_PGM_RSRC2:TIDIG_COMP_CNT: 0
; COMPUTE_PGM_RSRC3_GFX90A:ACCUM_OFFSET: 0
; COMPUTE_PGM_RSRC3_GFX90A:TG_SPLIT: 0
	.section	.text._ZN7rocprim17ROCPRIM_400000_NS6detail17trampoline_kernelINS0_14default_configENS1_38merge_sort_block_merge_config_selectorIiNS0_10empty_typeEEEZZNS1_27merge_sort_block_merge_implIS3_N6thrust23THRUST_200600_302600_NS6detail15normal_iteratorINS9_10device_ptrIiEEEEPS5_jNS1_19radix_merge_compareILb0ELb1EiNS0_19identity_decomposerEEEEE10hipError_tT0_T1_T2_jT3_P12ihipStream_tbPNSt15iterator_traitsISK_E10value_typeEPNSQ_ISL_E10value_typeEPSM_NS1_7vsmem_tEENKUlT_SK_SL_SM_E_clIPiSE_SF_SF_EESJ_SZ_SK_SL_SM_EUlSZ_E_NS1_11comp_targetILNS1_3genE8ELNS1_11target_archE1030ELNS1_3gpuE2ELNS1_3repE0EEENS1_48merge_mergepath_partition_config_static_selectorELNS0_4arch9wavefront6targetE1EEEvSL_,"axG",@progbits,_ZN7rocprim17ROCPRIM_400000_NS6detail17trampoline_kernelINS0_14default_configENS1_38merge_sort_block_merge_config_selectorIiNS0_10empty_typeEEEZZNS1_27merge_sort_block_merge_implIS3_N6thrust23THRUST_200600_302600_NS6detail15normal_iteratorINS9_10device_ptrIiEEEEPS5_jNS1_19radix_merge_compareILb0ELb1EiNS0_19identity_decomposerEEEEE10hipError_tT0_T1_T2_jT3_P12ihipStream_tbPNSt15iterator_traitsISK_E10value_typeEPNSQ_ISL_E10value_typeEPSM_NS1_7vsmem_tEENKUlT_SK_SL_SM_E_clIPiSE_SF_SF_EESJ_SZ_SK_SL_SM_EUlSZ_E_NS1_11comp_targetILNS1_3genE8ELNS1_11target_archE1030ELNS1_3gpuE2ELNS1_3repE0EEENS1_48merge_mergepath_partition_config_static_selectorELNS0_4arch9wavefront6targetE1EEEvSL_,comdat
	.protected	_ZN7rocprim17ROCPRIM_400000_NS6detail17trampoline_kernelINS0_14default_configENS1_38merge_sort_block_merge_config_selectorIiNS0_10empty_typeEEEZZNS1_27merge_sort_block_merge_implIS3_N6thrust23THRUST_200600_302600_NS6detail15normal_iteratorINS9_10device_ptrIiEEEEPS5_jNS1_19radix_merge_compareILb0ELb1EiNS0_19identity_decomposerEEEEE10hipError_tT0_T1_T2_jT3_P12ihipStream_tbPNSt15iterator_traitsISK_E10value_typeEPNSQ_ISL_E10value_typeEPSM_NS1_7vsmem_tEENKUlT_SK_SL_SM_E_clIPiSE_SF_SF_EESJ_SZ_SK_SL_SM_EUlSZ_E_NS1_11comp_targetILNS1_3genE8ELNS1_11target_archE1030ELNS1_3gpuE2ELNS1_3repE0EEENS1_48merge_mergepath_partition_config_static_selectorELNS0_4arch9wavefront6targetE1EEEvSL_ ; -- Begin function _ZN7rocprim17ROCPRIM_400000_NS6detail17trampoline_kernelINS0_14default_configENS1_38merge_sort_block_merge_config_selectorIiNS0_10empty_typeEEEZZNS1_27merge_sort_block_merge_implIS3_N6thrust23THRUST_200600_302600_NS6detail15normal_iteratorINS9_10device_ptrIiEEEEPS5_jNS1_19radix_merge_compareILb0ELb1EiNS0_19identity_decomposerEEEEE10hipError_tT0_T1_T2_jT3_P12ihipStream_tbPNSt15iterator_traitsISK_E10value_typeEPNSQ_ISL_E10value_typeEPSM_NS1_7vsmem_tEENKUlT_SK_SL_SM_E_clIPiSE_SF_SF_EESJ_SZ_SK_SL_SM_EUlSZ_E_NS1_11comp_targetILNS1_3genE8ELNS1_11target_archE1030ELNS1_3gpuE2ELNS1_3repE0EEENS1_48merge_mergepath_partition_config_static_selectorELNS0_4arch9wavefront6targetE1EEEvSL_
	.globl	_ZN7rocprim17ROCPRIM_400000_NS6detail17trampoline_kernelINS0_14default_configENS1_38merge_sort_block_merge_config_selectorIiNS0_10empty_typeEEEZZNS1_27merge_sort_block_merge_implIS3_N6thrust23THRUST_200600_302600_NS6detail15normal_iteratorINS9_10device_ptrIiEEEEPS5_jNS1_19radix_merge_compareILb0ELb1EiNS0_19identity_decomposerEEEEE10hipError_tT0_T1_T2_jT3_P12ihipStream_tbPNSt15iterator_traitsISK_E10value_typeEPNSQ_ISL_E10value_typeEPSM_NS1_7vsmem_tEENKUlT_SK_SL_SM_E_clIPiSE_SF_SF_EESJ_SZ_SK_SL_SM_EUlSZ_E_NS1_11comp_targetILNS1_3genE8ELNS1_11target_archE1030ELNS1_3gpuE2ELNS1_3repE0EEENS1_48merge_mergepath_partition_config_static_selectorELNS0_4arch9wavefront6targetE1EEEvSL_
	.p2align	8
	.type	_ZN7rocprim17ROCPRIM_400000_NS6detail17trampoline_kernelINS0_14default_configENS1_38merge_sort_block_merge_config_selectorIiNS0_10empty_typeEEEZZNS1_27merge_sort_block_merge_implIS3_N6thrust23THRUST_200600_302600_NS6detail15normal_iteratorINS9_10device_ptrIiEEEEPS5_jNS1_19radix_merge_compareILb0ELb1EiNS0_19identity_decomposerEEEEE10hipError_tT0_T1_T2_jT3_P12ihipStream_tbPNSt15iterator_traitsISK_E10value_typeEPNSQ_ISL_E10value_typeEPSM_NS1_7vsmem_tEENKUlT_SK_SL_SM_E_clIPiSE_SF_SF_EESJ_SZ_SK_SL_SM_EUlSZ_E_NS1_11comp_targetILNS1_3genE8ELNS1_11target_archE1030ELNS1_3gpuE2ELNS1_3repE0EEENS1_48merge_mergepath_partition_config_static_selectorELNS0_4arch9wavefront6targetE1EEEvSL_,@function
_ZN7rocprim17ROCPRIM_400000_NS6detail17trampoline_kernelINS0_14default_configENS1_38merge_sort_block_merge_config_selectorIiNS0_10empty_typeEEEZZNS1_27merge_sort_block_merge_implIS3_N6thrust23THRUST_200600_302600_NS6detail15normal_iteratorINS9_10device_ptrIiEEEEPS5_jNS1_19radix_merge_compareILb0ELb1EiNS0_19identity_decomposerEEEEE10hipError_tT0_T1_T2_jT3_P12ihipStream_tbPNSt15iterator_traitsISK_E10value_typeEPNSQ_ISL_E10value_typeEPSM_NS1_7vsmem_tEENKUlT_SK_SL_SM_E_clIPiSE_SF_SF_EESJ_SZ_SK_SL_SM_EUlSZ_E_NS1_11comp_targetILNS1_3genE8ELNS1_11target_archE1030ELNS1_3gpuE2ELNS1_3repE0EEENS1_48merge_mergepath_partition_config_static_selectorELNS0_4arch9wavefront6targetE1EEEvSL_: ; @_ZN7rocprim17ROCPRIM_400000_NS6detail17trampoline_kernelINS0_14default_configENS1_38merge_sort_block_merge_config_selectorIiNS0_10empty_typeEEEZZNS1_27merge_sort_block_merge_implIS3_N6thrust23THRUST_200600_302600_NS6detail15normal_iteratorINS9_10device_ptrIiEEEEPS5_jNS1_19radix_merge_compareILb0ELb1EiNS0_19identity_decomposerEEEEE10hipError_tT0_T1_T2_jT3_P12ihipStream_tbPNSt15iterator_traitsISK_E10value_typeEPNSQ_ISL_E10value_typeEPSM_NS1_7vsmem_tEENKUlT_SK_SL_SM_E_clIPiSE_SF_SF_EESJ_SZ_SK_SL_SM_EUlSZ_E_NS1_11comp_targetILNS1_3genE8ELNS1_11target_archE1030ELNS1_3gpuE2ELNS1_3repE0EEENS1_48merge_mergepath_partition_config_static_selectorELNS0_4arch9wavefront6targetE1EEEvSL_
; %bb.0:
	.section	.rodata,"a",@progbits
	.p2align	6, 0x0
	.amdhsa_kernel _ZN7rocprim17ROCPRIM_400000_NS6detail17trampoline_kernelINS0_14default_configENS1_38merge_sort_block_merge_config_selectorIiNS0_10empty_typeEEEZZNS1_27merge_sort_block_merge_implIS3_N6thrust23THRUST_200600_302600_NS6detail15normal_iteratorINS9_10device_ptrIiEEEEPS5_jNS1_19radix_merge_compareILb0ELb1EiNS0_19identity_decomposerEEEEE10hipError_tT0_T1_T2_jT3_P12ihipStream_tbPNSt15iterator_traitsISK_E10value_typeEPNSQ_ISL_E10value_typeEPSM_NS1_7vsmem_tEENKUlT_SK_SL_SM_E_clIPiSE_SF_SF_EESJ_SZ_SK_SL_SM_EUlSZ_E_NS1_11comp_targetILNS1_3genE8ELNS1_11target_archE1030ELNS1_3gpuE2ELNS1_3repE0EEENS1_48merge_mergepath_partition_config_static_selectorELNS0_4arch9wavefront6targetE1EEEvSL_
		.amdhsa_group_segment_fixed_size 0
		.amdhsa_private_segment_fixed_size 0
		.amdhsa_kernarg_size 40
		.amdhsa_user_sgpr_count 6
		.amdhsa_user_sgpr_private_segment_buffer 1
		.amdhsa_user_sgpr_dispatch_ptr 0
		.amdhsa_user_sgpr_queue_ptr 0
		.amdhsa_user_sgpr_kernarg_segment_ptr 1
		.amdhsa_user_sgpr_dispatch_id 0
		.amdhsa_user_sgpr_flat_scratch_init 0
		.amdhsa_user_sgpr_kernarg_preload_length 0
		.amdhsa_user_sgpr_kernarg_preload_offset 0
		.amdhsa_user_sgpr_private_segment_size 0
		.amdhsa_uses_dynamic_stack 0
		.amdhsa_system_sgpr_private_segment_wavefront_offset 0
		.amdhsa_system_sgpr_workgroup_id_x 1
		.amdhsa_system_sgpr_workgroup_id_y 0
		.amdhsa_system_sgpr_workgroup_id_z 0
		.amdhsa_system_sgpr_workgroup_info 0
		.amdhsa_system_vgpr_workitem_id 0
		.amdhsa_next_free_vgpr 1
		.amdhsa_next_free_sgpr 0
		.amdhsa_accum_offset 4
		.amdhsa_reserve_vcc 0
		.amdhsa_reserve_flat_scratch 0
		.amdhsa_float_round_mode_32 0
		.amdhsa_float_round_mode_16_64 0
		.amdhsa_float_denorm_mode_32 3
		.amdhsa_float_denorm_mode_16_64 3
		.amdhsa_dx10_clamp 1
		.amdhsa_ieee_mode 1
		.amdhsa_fp16_overflow 0
		.amdhsa_tg_split 0
		.amdhsa_exception_fp_ieee_invalid_op 0
		.amdhsa_exception_fp_denorm_src 0
		.amdhsa_exception_fp_ieee_div_zero 0
		.amdhsa_exception_fp_ieee_overflow 0
		.amdhsa_exception_fp_ieee_underflow 0
		.amdhsa_exception_fp_ieee_inexact 0
		.amdhsa_exception_int_div_zero 0
	.end_amdhsa_kernel
	.section	.text._ZN7rocprim17ROCPRIM_400000_NS6detail17trampoline_kernelINS0_14default_configENS1_38merge_sort_block_merge_config_selectorIiNS0_10empty_typeEEEZZNS1_27merge_sort_block_merge_implIS3_N6thrust23THRUST_200600_302600_NS6detail15normal_iteratorINS9_10device_ptrIiEEEEPS5_jNS1_19radix_merge_compareILb0ELb1EiNS0_19identity_decomposerEEEEE10hipError_tT0_T1_T2_jT3_P12ihipStream_tbPNSt15iterator_traitsISK_E10value_typeEPNSQ_ISL_E10value_typeEPSM_NS1_7vsmem_tEENKUlT_SK_SL_SM_E_clIPiSE_SF_SF_EESJ_SZ_SK_SL_SM_EUlSZ_E_NS1_11comp_targetILNS1_3genE8ELNS1_11target_archE1030ELNS1_3gpuE2ELNS1_3repE0EEENS1_48merge_mergepath_partition_config_static_selectorELNS0_4arch9wavefront6targetE1EEEvSL_,"axG",@progbits,_ZN7rocprim17ROCPRIM_400000_NS6detail17trampoline_kernelINS0_14default_configENS1_38merge_sort_block_merge_config_selectorIiNS0_10empty_typeEEEZZNS1_27merge_sort_block_merge_implIS3_N6thrust23THRUST_200600_302600_NS6detail15normal_iteratorINS9_10device_ptrIiEEEEPS5_jNS1_19radix_merge_compareILb0ELb1EiNS0_19identity_decomposerEEEEE10hipError_tT0_T1_T2_jT3_P12ihipStream_tbPNSt15iterator_traitsISK_E10value_typeEPNSQ_ISL_E10value_typeEPSM_NS1_7vsmem_tEENKUlT_SK_SL_SM_E_clIPiSE_SF_SF_EESJ_SZ_SK_SL_SM_EUlSZ_E_NS1_11comp_targetILNS1_3genE8ELNS1_11target_archE1030ELNS1_3gpuE2ELNS1_3repE0EEENS1_48merge_mergepath_partition_config_static_selectorELNS0_4arch9wavefront6targetE1EEEvSL_,comdat
.Lfunc_end1678:
	.size	_ZN7rocprim17ROCPRIM_400000_NS6detail17trampoline_kernelINS0_14default_configENS1_38merge_sort_block_merge_config_selectorIiNS0_10empty_typeEEEZZNS1_27merge_sort_block_merge_implIS3_N6thrust23THRUST_200600_302600_NS6detail15normal_iteratorINS9_10device_ptrIiEEEEPS5_jNS1_19radix_merge_compareILb0ELb1EiNS0_19identity_decomposerEEEEE10hipError_tT0_T1_T2_jT3_P12ihipStream_tbPNSt15iterator_traitsISK_E10value_typeEPNSQ_ISL_E10value_typeEPSM_NS1_7vsmem_tEENKUlT_SK_SL_SM_E_clIPiSE_SF_SF_EESJ_SZ_SK_SL_SM_EUlSZ_E_NS1_11comp_targetILNS1_3genE8ELNS1_11target_archE1030ELNS1_3gpuE2ELNS1_3repE0EEENS1_48merge_mergepath_partition_config_static_selectorELNS0_4arch9wavefront6targetE1EEEvSL_, .Lfunc_end1678-_ZN7rocprim17ROCPRIM_400000_NS6detail17trampoline_kernelINS0_14default_configENS1_38merge_sort_block_merge_config_selectorIiNS0_10empty_typeEEEZZNS1_27merge_sort_block_merge_implIS3_N6thrust23THRUST_200600_302600_NS6detail15normal_iteratorINS9_10device_ptrIiEEEEPS5_jNS1_19radix_merge_compareILb0ELb1EiNS0_19identity_decomposerEEEEE10hipError_tT0_T1_T2_jT3_P12ihipStream_tbPNSt15iterator_traitsISK_E10value_typeEPNSQ_ISL_E10value_typeEPSM_NS1_7vsmem_tEENKUlT_SK_SL_SM_E_clIPiSE_SF_SF_EESJ_SZ_SK_SL_SM_EUlSZ_E_NS1_11comp_targetILNS1_3genE8ELNS1_11target_archE1030ELNS1_3gpuE2ELNS1_3repE0EEENS1_48merge_mergepath_partition_config_static_selectorELNS0_4arch9wavefront6targetE1EEEvSL_
                                        ; -- End function
	.section	.AMDGPU.csdata,"",@progbits
; Kernel info:
; codeLenInByte = 0
; NumSgprs: 4
; NumVgprs: 0
; NumAgprs: 0
; TotalNumVgprs: 0
; ScratchSize: 0
; MemoryBound: 0
; FloatMode: 240
; IeeeMode: 1
; LDSByteSize: 0 bytes/workgroup (compile time only)
; SGPRBlocks: 0
; VGPRBlocks: 0
; NumSGPRsForWavesPerEU: 4
; NumVGPRsForWavesPerEU: 1
; AccumOffset: 4
; Occupancy: 8
; WaveLimiterHint : 0
; COMPUTE_PGM_RSRC2:SCRATCH_EN: 0
; COMPUTE_PGM_RSRC2:USER_SGPR: 6
; COMPUTE_PGM_RSRC2:TRAP_HANDLER: 0
; COMPUTE_PGM_RSRC2:TGID_X_EN: 1
; COMPUTE_PGM_RSRC2:TGID_Y_EN: 0
; COMPUTE_PGM_RSRC2:TGID_Z_EN: 0
; COMPUTE_PGM_RSRC2:TIDIG_COMP_CNT: 0
; COMPUTE_PGM_RSRC3_GFX90A:ACCUM_OFFSET: 0
; COMPUTE_PGM_RSRC3_GFX90A:TG_SPLIT: 0
	.section	.text._ZN7rocprim17ROCPRIM_400000_NS6detail17trampoline_kernelINS0_14default_configENS1_38merge_sort_block_merge_config_selectorIiNS0_10empty_typeEEEZZNS1_27merge_sort_block_merge_implIS3_N6thrust23THRUST_200600_302600_NS6detail15normal_iteratorINS9_10device_ptrIiEEEEPS5_jNS1_19radix_merge_compareILb0ELb1EiNS0_19identity_decomposerEEEEE10hipError_tT0_T1_T2_jT3_P12ihipStream_tbPNSt15iterator_traitsISK_E10value_typeEPNSQ_ISL_E10value_typeEPSM_NS1_7vsmem_tEENKUlT_SK_SL_SM_E_clIPiSE_SF_SF_EESJ_SZ_SK_SL_SM_EUlSZ_E0_NS1_11comp_targetILNS1_3genE0ELNS1_11target_archE4294967295ELNS1_3gpuE0ELNS1_3repE0EEENS1_38merge_mergepath_config_static_selectorELNS0_4arch9wavefront6targetE1EEEvSL_,"axG",@progbits,_ZN7rocprim17ROCPRIM_400000_NS6detail17trampoline_kernelINS0_14default_configENS1_38merge_sort_block_merge_config_selectorIiNS0_10empty_typeEEEZZNS1_27merge_sort_block_merge_implIS3_N6thrust23THRUST_200600_302600_NS6detail15normal_iteratorINS9_10device_ptrIiEEEEPS5_jNS1_19radix_merge_compareILb0ELb1EiNS0_19identity_decomposerEEEEE10hipError_tT0_T1_T2_jT3_P12ihipStream_tbPNSt15iterator_traitsISK_E10value_typeEPNSQ_ISL_E10value_typeEPSM_NS1_7vsmem_tEENKUlT_SK_SL_SM_E_clIPiSE_SF_SF_EESJ_SZ_SK_SL_SM_EUlSZ_E0_NS1_11comp_targetILNS1_3genE0ELNS1_11target_archE4294967295ELNS1_3gpuE0ELNS1_3repE0EEENS1_38merge_mergepath_config_static_selectorELNS0_4arch9wavefront6targetE1EEEvSL_,comdat
	.protected	_ZN7rocprim17ROCPRIM_400000_NS6detail17trampoline_kernelINS0_14default_configENS1_38merge_sort_block_merge_config_selectorIiNS0_10empty_typeEEEZZNS1_27merge_sort_block_merge_implIS3_N6thrust23THRUST_200600_302600_NS6detail15normal_iteratorINS9_10device_ptrIiEEEEPS5_jNS1_19radix_merge_compareILb0ELb1EiNS0_19identity_decomposerEEEEE10hipError_tT0_T1_T2_jT3_P12ihipStream_tbPNSt15iterator_traitsISK_E10value_typeEPNSQ_ISL_E10value_typeEPSM_NS1_7vsmem_tEENKUlT_SK_SL_SM_E_clIPiSE_SF_SF_EESJ_SZ_SK_SL_SM_EUlSZ_E0_NS1_11comp_targetILNS1_3genE0ELNS1_11target_archE4294967295ELNS1_3gpuE0ELNS1_3repE0EEENS1_38merge_mergepath_config_static_selectorELNS0_4arch9wavefront6targetE1EEEvSL_ ; -- Begin function _ZN7rocprim17ROCPRIM_400000_NS6detail17trampoline_kernelINS0_14default_configENS1_38merge_sort_block_merge_config_selectorIiNS0_10empty_typeEEEZZNS1_27merge_sort_block_merge_implIS3_N6thrust23THRUST_200600_302600_NS6detail15normal_iteratorINS9_10device_ptrIiEEEEPS5_jNS1_19radix_merge_compareILb0ELb1EiNS0_19identity_decomposerEEEEE10hipError_tT0_T1_T2_jT3_P12ihipStream_tbPNSt15iterator_traitsISK_E10value_typeEPNSQ_ISL_E10value_typeEPSM_NS1_7vsmem_tEENKUlT_SK_SL_SM_E_clIPiSE_SF_SF_EESJ_SZ_SK_SL_SM_EUlSZ_E0_NS1_11comp_targetILNS1_3genE0ELNS1_11target_archE4294967295ELNS1_3gpuE0ELNS1_3repE0EEENS1_38merge_mergepath_config_static_selectorELNS0_4arch9wavefront6targetE1EEEvSL_
	.globl	_ZN7rocprim17ROCPRIM_400000_NS6detail17trampoline_kernelINS0_14default_configENS1_38merge_sort_block_merge_config_selectorIiNS0_10empty_typeEEEZZNS1_27merge_sort_block_merge_implIS3_N6thrust23THRUST_200600_302600_NS6detail15normal_iteratorINS9_10device_ptrIiEEEEPS5_jNS1_19radix_merge_compareILb0ELb1EiNS0_19identity_decomposerEEEEE10hipError_tT0_T1_T2_jT3_P12ihipStream_tbPNSt15iterator_traitsISK_E10value_typeEPNSQ_ISL_E10value_typeEPSM_NS1_7vsmem_tEENKUlT_SK_SL_SM_E_clIPiSE_SF_SF_EESJ_SZ_SK_SL_SM_EUlSZ_E0_NS1_11comp_targetILNS1_3genE0ELNS1_11target_archE4294967295ELNS1_3gpuE0ELNS1_3repE0EEENS1_38merge_mergepath_config_static_selectorELNS0_4arch9wavefront6targetE1EEEvSL_
	.p2align	8
	.type	_ZN7rocprim17ROCPRIM_400000_NS6detail17trampoline_kernelINS0_14default_configENS1_38merge_sort_block_merge_config_selectorIiNS0_10empty_typeEEEZZNS1_27merge_sort_block_merge_implIS3_N6thrust23THRUST_200600_302600_NS6detail15normal_iteratorINS9_10device_ptrIiEEEEPS5_jNS1_19radix_merge_compareILb0ELb1EiNS0_19identity_decomposerEEEEE10hipError_tT0_T1_T2_jT3_P12ihipStream_tbPNSt15iterator_traitsISK_E10value_typeEPNSQ_ISL_E10value_typeEPSM_NS1_7vsmem_tEENKUlT_SK_SL_SM_E_clIPiSE_SF_SF_EESJ_SZ_SK_SL_SM_EUlSZ_E0_NS1_11comp_targetILNS1_3genE0ELNS1_11target_archE4294967295ELNS1_3gpuE0ELNS1_3repE0EEENS1_38merge_mergepath_config_static_selectorELNS0_4arch9wavefront6targetE1EEEvSL_,@function
_ZN7rocprim17ROCPRIM_400000_NS6detail17trampoline_kernelINS0_14default_configENS1_38merge_sort_block_merge_config_selectorIiNS0_10empty_typeEEEZZNS1_27merge_sort_block_merge_implIS3_N6thrust23THRUST_200600_302600_NS6detail15normal_iteratorINS9_10device_ptrIiEEEEPS5_jNS1_19radix_merge_compareILb0ELb1EiNS0_19identity_decomposerEEEEE10hipError_tT0_T1_T2_jT3_P12ihipStream_tbPNSt15iterator_traitsISK_E10value_typeEPNSQ_ISL_E10value_typeEPSM_NS1_7vsmem_tEENKUlT_SK_SL_SM_E_clIPiSE_SF_SF_EESJ_SZ_SK_SL_SM_EUlSZ_E0_NS1_11comp_targetILNS1_3genE0ELNS1_11target_archE4294967295ELNS1_3gpuE0ELNS1_3repE0EEENS1_38merge_mergepath_config_static_selectorELNS0_4arch9wavefront6targetE1EEEvSL_: ; @_ZN7rocprim17ROCPRIM_400000_NS6detail17trampoline_kernelINS0_14default_configENS1_38merge_sort_block_merge_config_selectorIiNS0_10empty_typeEEEZZNS1_27merge_sort_block_merge_implIS3_N6thrust23THRUST_200600_302600_NS6detail15normal_iteratorINS9_10device_ptrIiEEEEPS5_jNS1_19radix_merge_compareILb0ELb1EiNS0_19identity_decomposerEEEEE10hipError_tT0_T1_T2_jT3_P12ihipStream_tbPNSt15iterator_traitsISK_E10value_typeEPNSQ_ISL_E10value_typeEPSM_NS1_7vsmem_tEENKUlT_SK_SL_SM_E_clIPiSE_SF_SF_EESJ_SZ_SK_SL_SM_EUlSZ_E0_NS1_11comp_targetILNS1_3genE0ELNS1_11target_archE4294967295ELNS1_3gpuE0ELNS1_3repE0EEENS1_38merge_mergepath_config_static_selectorELNS0_4arch9wavefront6targetE1EEEvSL_
; %bb.0:
	.section	.rodata,"a",@progbits
	.p2align	6, 0x0
	.amdhsa_kernel _ZN7rocprim17ROCPRIM_400000_NS6detail17trampoline_kernelINS0_14default_configENS1_38merge_sort_block_merge_config_selectorIiNS0_10empty_typeEEEZZNS1_27merge_sort_block_merge_implIS3_N6thrust23THRUST_200600_302600_NS6detail15normal_iteratorINS9_10device_ptrIiEEEEPS5_jNS1_19radix_merge_compareILb0ELb1EiNS0_19identity_decomposerEEEEE10hipError_tT0_T1_T2_jT3_P12ihipStream_tbPNSt15iterator_traitsISK_E10value_typeEPNSQ_ISL_E10value_typeEPSM_NS1_7vsmem_tEENKUlT_SK_SL_SM_E_clIPiSE_SF_SF_EESJ_SZ_SK_SL_SM_EUlSZ_E0_NS1_11comp_targetILNS1_3genE0ELNS1_11target_archE4294967295ELNS1_3gpuE0ELNS1_3repE0EEENS1_38merge_mergepath_config_static_selectorELNS0_4arch9wavefront6targetE1EEEvSL_
		.amdhsa_group_segment_fixed_size 0
		.amdhsa_private_segment_fixed_size 0
		.amdhsa_kernarg_size 64
		.amdhsa_user_sgpr_count 6
		.amdhsa_user_sgpr_private_segment_buffer 1
		.amdhsa_user_sgpr_dispatch_ptr 0
		.amdhsa_user_sgpr_queue_ptr 0
		.amdhsa_user_sgpr_kernarg_segment_ptr 1
		.amdhsa_user_sgpr_dispatch_id 0
		.amdhsa_user_sgpr_flat_scratch_init 0
		.amdhsa_user_sgpr_kernarg_preload_length 0
		.amdhsa_user_sgpr_kernarg_preload_offset 0
		.amdhsa_user_sgpr_private_segment_size 0
		.amdhsa_uses_dynamic_stack 0
		.amdhsa_system_sgpr_private_segment_wavefront_offset 0
		.amdhsa_system_sgpr_workgroup_id_x 1
		.amdhsa_system_sgpr_workgroup_id_y 0
		.amdhsa_system_sgpr_workgroup_id_z 0
		.amdhsa_system_sgpr_workgroup_info 0
		.amdhsa_system_vgpr_workitem_id 0
		.amdhsa_next_free_vgpr 1
		.amdhsa_next_free_sgpr 0
		.amdhsa_accum_offset 4
		.amdhsa_reserve_vcc 0
		.amdhsa_reserve_flat_scratch 0
		.amdhsa_float_round_mode_32 0
		.amdhsa_float_round_mode_16_64 0
		.amdhsa_float_denorm_mode_32 3
		.amdhsa_float_denorm_mode_16_64 3
		.amdhsa_dx10_clamp 1
		.amdhsa_ieee_mode 1
		.amdhsa_fp16_overflow 0
		.amdhsa_tg_split 0
		.amdhsa_exception_fp_ieee_invalid_op 0
		.amdhsa_exception_fp_denorm_src 0
		.amdhsa_exception_fp_ieee_div_zero 0
		.amdhsa_exception_fp_ieee_overflow 0
		.amdhsa_exception_fp_ieee_underflow 0
		.amdhsa_exception_fp_ieee_inexact 0
		.amdhsa_exception_int_div_zero 0
	.end_amdhsa_kernel
	.section	.text._ZN7rocprim17ROCPRIM_400000_NS6detail17trampoline_kernelINS0_14default_configENS1_38merge_sort_block_merge_config_selectorIiNS0_10empty_typeEEEZZNS1_27merge_sort_block_merge_implIS3_N6thrust23THRUST_200600_302600_NS6detail15normal_iteratorINS9_10device_ptrIiEEEEPS5_jNS1_19radix_merge_compareILb0ELb1EiNS0_19identity_decomposerEEEEE10hipError_tT0_T1_T2_jT3_P12ihipStream_tbPNSt15iterator_traitsISK_E10value_typeEPNSQ_ISL_E10value_typeEPSM_NS1_7vsmem_tEENKUlT_SK_SL_SM_E_clIPiSE_SF_SF_EESJ_SZ_SK_SL_SM_EUlSZ_E0_NS1_11comp_targetILNS1_3genE0ELNS1_11target_archE4294967295ELNS1_3gpuE0ELNS1_3repE0EEENS1_38merge_mergepath_config_static_selectorELNS0_4arch9wavefront6targetE1EEEvSL_,"axG",@progbits,_ZN7rocprim17ROCPRIM_400000_NS6detail17trampoline_kernelINS0_14default_configENS1_38merge_sort_block_merge_config_selectorIiNS0_10empty_typeEEEZZNS1_27merge_sort_block_merge_implIS3_N6thrust23THRUST_200600_302600_NS6detail15normal_iteratorINS9_10device_ptrIiEEEEPS5_jNS1_19radix_merge_compareILb0ELb1EiNS0_19identity_decomposerEEEEE10hipError_tT0_T1_T2_jT3_P12ihipStream_tbPNSt15iterator_traitsISK_E10value_typeEPNSQ_ISL_E10value_typeEPSM_NS1_7vsmem_tEENKUlT_SK_SL_SM_E_clIPiSE_SF_SF_EESJ_SZ_SK_SL_SM_EUlSZ_E0_NS1_11comp_targetILNS1_3genE0ELNS1_11target_archE4294967295ELNS1_3gpuE0ELNS1_3repE0EEENS1_38merge_mergepath_config_static_selectorELNS0_4arch9wavefront6targetE1EEEvSL_,comdat
.Lfunc_end1679:
	.size	_ZN7rocprim17ROCPRIM_400000_NS6detail17trampoline_kernelINS0_14default_configENS1_38merge_sort_block_merge_config_selectorIiNS0_10empty_typeEEEZZNS1_27merge_sort_block_merge_implIS3_N6thrust23THRUST_200600_302600_NS6detail15normal_iteratorINS9_10device_ptrIiEEEEPS5_jNS1_19radix_merge_compareILb0ELb1EiNS0_19identity_decomposerEEEEE10hipError_tT0_T1_T2_jT3_P12ihipStream_tbPNSt15iterator_traitsISK_E10value_typeEPNSQ_ISL_E10value_typeEPSM_NS1_7vsmem_tEENKUlT_SK_SL_SM_E_clIPiSE_SF_SF_EESJ_SZ_SK_SL_SM_EUlSZ_E0_NS1_11comp_targetILNS1_3genE0ELNS1_11target_archE4294967295ELNS1_3gpuE0ELNS1_3repE0EEENS1_38merge_mergepath_config_static_selectorELNS0_4arch9wavefront6targetE1EEEvSL_, .Lfunc_end1679-_ZN7rocprim17ROCPRIM_400000_NS6detail17trampoline_kernelINS0_14default_configENS1_38merge_sort_block_merge_config_selectorIiNS0_10empty_typeEEEZZNS1_27merge_sort_block_merge_implIS3_N6thrust23THRUST_200600_302600_NS6detail15normal_iteratorINS9_10device_ptrIiEEEEPS5_jNS1_19radix_merge_compareILb0ELb1EiNS0_19identity_decomposerEEEEE10hipError_tT0_T1_T2_jT3_P12ihipStream_tbPNSt15iterator_traitsISK_E10value_typeEPNSQ_ISL_E10value_typeEPSM_NS1_7vsmem_tEENKUlT_SK_SL_SM_E_clIPiSE_SF_SF_EESJ_SZ_SK_SL_SM_EUlSZ_E0_NS1_11comp_targetILNS1_3genE0ELNS1_11target_archE4294967295ELNS1_3gpuE0ELNS1_3repE0EEENS1_38merge_mergepath_config_static_selectorELNS0_4arch9wavefront6targetE1EEEvSL_
                                        ; -- End function
	.section	.AMDGPU.csdata,"",@progbits
; Kernel info:
; codeLenInByte = 0
; NumSgprs: 4
; NumVgprs: 0
; NumAgprs: 0
; TotalNumVgprs: 0
; ScratchSize: 0
; MemoryBound: 0
; FloatMode: 240
; IeeeMode: 1
; LDSByteSize: 0 bytes/workgroup (compile time only)
; SGPRBlocks: 0
; VGPRBlocks: 0
; NumSGPRsForWavesPerEU: 4
; NumVGPRsForWavesPerEU: 1
; AccumOffset: 4
; Occupancy: 8
; WaveLimiterHint : 0
; COMPUTE_PGM_RSRC2:SCRATCH_EN: 0
; COMPUTE_PGM_RSRC2:USER_SGPR: 6
; COMPUTE_PGM_RSRC2:TRAP_HANDLER: 0
; COMPUTE_PGM_RSRC2:TGID_X_EN: 1
; COMPUTE_PGM_RSRC2:TGID_Y_EN: 0
; COMPUTE_PGM_RSRC2:TGID_Z_EN: 0
; COMPUTE_PGM_RSRC2:TIDIG_COMP_CNT: 0
; COMPUTE_PGM_RSRC3_GFX90A:ACCUM_OFFSET: 0
; COMPUTE_PGM_RSRC3_GFX90A:TG_SPLIT: 0
	.section	.text._ZN7rocprim17ROCPRIM_400000_NS6detail17trampoline_kernelINS0_14default_configENS1_38merge_sort_block_merge_config_selectorIiNS0_10empty_typeEEEZZNS1_27merge_sort_block_merge_implIS3_N6thrust23THRUST_200600_302600_NS6detail15normal_iteratorINS9_10device_ptrIiEEEEPS5_jNS1_19radix_merge_compareILb0ELb1EiNS0_19identity_decomposerEEEEE10hipError_tT0_T1_T2_jT3_P12ihipStream_tbPNSt15iterator_traitsISK_E10value_typeEPNSQ_ISL_E10value_typeEPSM_NS1_7vsmem_tEENKUlT_SK_SL_SM_E_clIPiSE_SF_SF_EESJ_SZ_SK_SL_SM_EUlSZ_E0_NS1_11comp_targetILNS1_3genE10ELNS1_11target_archE1201ELNS1_3gpuE5ELNS1_3repE0EEENS1_38merge_mergepath_config_static_selectorELNS0_4arch9wavefront6targetE1EEEvSL_,"axG",@progbits,_ZN7rocprim17ROCPRIM_400000_NS6detail17trampoline_kernelINS0_14default_configENS1_38merge_sort_block_merge_config_selectorIiNS0_10empty_typeEEEZZNS1_27merge_sort_block_merge_implIS3_N6thrust23THRUST_200600_302600_NS6detail15normal_iteratorINS9_10device_ptrIiEEEEPS5_jNS1_19radix_merge_compareILb0ELb1EiNS0_19identity_decomposerEEEEE10hipError_tT0_T1_T2_jT3_P12ihipStream_tbPNSt15iterator_traitsISK_E10value_typeEPNSQ_ISL_E10value_typeEPSM_NS1_7vsmem_tEENKUlT_SK_SL_SM_E_clIPiSE_SF_SF_EESJ_SZ_SK_SL_SM_EUlSZ_E0_NS1_11comp_targetILNS1_3genE10ELNS1_11target_archE1201ELNS1_3gpuE5ELNS1_3repE0EEENS1_38merge_mergepath_config_static_selectorELNS0_4arch9wavefront6targetE1EEEvSL_,comdat
	.protected	_ZN7rocprim17ROCPRIM_400000_NS6detail17trampoline_kernelINS0_14default_configENS1_38merge_sort_block_merge_config_selectorIiNS0_10empty_typeEEEZZNS1_27merge_sort_block_merge_implIS3_N6thrust23THRUST_200600_302600_NS6detail15normal_iteratorINS9_10device_ptrIiEEEEPS5_jNS1_19radix_merge_compareILb0ELb1EiNS0_19identity_decomposerEEEEE10hipError_tT0_T1_T2_jT3_P12ihipStream_tbPNSt15iterator_traitsISK_E10value_typeEPNSQ_ISL_E10value_typeEPSM_NS1_7vsmem_tEENKUlT_SK_SL_SM_E_clIPiSE_SF_SF_EESJ_SZ_SK_SL_SM_EUlSZ_E0_NS1_11comp_targetILNS1_3genE10ELNS1_11target_archE1201ELNS1_3gpuE5ELNS1_3repE0EEENS1_38merge_mergepath_config_static_selectorELNS0_4arch9wavefront6targetE1EEEvSL_ ; -- Begin function _ZN7rocprim17ROCPRIM_400000_NS6detail17trampoline_kernelINS0_14default_configENS1_38merge_sort_block_merge_config_selectorIiNS0_10empty_typeEEEZZNS1_27merge_sort_block_merge_implIS3_N6thrust23THRUST_200600_302600_NS6detail15normal_iteratorINS9_10device_ptrIiEEEEPS5_jNS1_19radix_merge_compareILb0ELb1EiNS0_19identity_decomposerEEEEE10hipError_tT0_T1_T2_jT3_P12ihipStream_tbPNSt15iterator_traitsISK_E10value_typeEPNSQ_ISL_E10value_typeEPSM_NS1_7vsmem_tEENKUlT_SK_SL_SM_E_clIPiSE_SF_SF_EESJ_SZ_SK_SL_SM_EUlSZ_E0_NS1_11comp_targetILNS1_3genE10ELNS1_11target_archE1201ELNS1_3gpuE5ELNS1_3repE0EEENS1_38merge_mergepath_config_static_selectorELNS0_4arch9wavefront6targetE1EEEvSL_
	.globl	_ZN7rocprim17ROCPRIM_400000_NS6detail17trampoline_kernelINS0_14default_configENS1_38merge_sort_block_merge_config_selectorIiNS0_10empty_typeEEEZZNS1_27merge_sort_block_merge_implIS3_N6thrust23THRUST_200600_302600_NS6detail15normal_iteratorINS9_10device_ptrIiEEEEPS5_jNS1_19radix_merge_compareILb0ELb1EiNS0_19identity_decomposerEEEEE10hipError_tT0_T1_T2_jT3_P12ihipStream_tbPNSt15iterator_traitsISK_E10value_typeEPNSQ_ISL_E10value_typeEPSM_NS1_7vsmem_tEENKUlT_SK_SL_SM_E_clIPiSE_SF_SF_EESJ_SZ_SK_SL_SM_EUlSZ_E0_NS1_11comp_targetILNS1_3genE10ELNS1_11target_archE1201ELNS1_3gpuE5ELNS1_3repE0EEENS1_38merge_mergepath_config_static_selectorELNS0_4arch9wavefront6targetE1EEEvSL_
	.p2align	8
	.type	_ZN7rocprim17ROCPRIM_400000_NS6detail17trampoline_kernelINS0_14default_configENS1_38merge_sort_block_merge_config_selectorIiNS0_10empty_typeEEEZZNS1_27merge_sort_block_merge_implIS3_N6thrust23THRUST_200600_302600_NS6detail15normal_iteratorINS9_10device_ptrIiEEEEPS5_jNS1_19radix_merge_compareILb0ELb1EiNS0_19identity_decomposerEEEEE10hipError_tT0_T1_T2_jT3_P12ihipStream_tbPNSt15iterator_traitsISK_E10value_typeEPNSQ_ISL_E10value_typeEPSM_NS1_7vsmem_tEENKUlT_SK_SL_SM_E_clIPiSE_SF_SF_EESJ_SZ_SK_SL_SM_EUlSZ_E0_NS1_11comp_targetILNS1_3genE10ELNS1_11target_archE1201ELNS1_3gpuE5ELNS1_3repE0EEENS1_38merge_mergepath_config_static_selectorELNS0_4arch9wavefront6targetE1EEEvSL_,@function
_ZN7rocprim17ROCPRIM_400000_NS6detail17trampoline_kernelINS0_14default_configENS1_38merge_sort_block_merge_config_selectorIiNS0_10empty_typeEEEZZNS1_27merge_sort_block_merge_implIS3_N6thrust23THRUST_200600_302600_NS6detail15normal_iteratorINS9_10device_ptrIiEEEEPS5_jNS1_19radix_merge_compareILb0ELb1EiNS0_19identity_decomposerEEEEE10hipError_tT0_T1_T2_jT3_P12ihipStream_tbPNSt15iterator_traitsISK_E10value_typeEPNSQ_ISL_E10value_typeEPSM_NS1_7vsmem_tEENKUlT_SK_SL_SM_E_clIPiSE_SF_SF_EESJ_SZ_SK_SL_SM_EUlSZ_E0_NS1_11comp_targetILNS1_3genE10ELNS1_11target_archE1201ELNS1_3gpuE5ELNS1_3repE0EEENS1_38merge_mergepath_config_static_selectorELNS0_4arch9wavefront6targetE1EEEvSL_: ; @_ZN7rocprim17ROCPRIM_400000_NS6detail17trampoline_kernelINS0_14default_configENS1_38merge_sort_block_merge_config_selectorIiNS0_10empty_typeEEEZZNS1_27merge_sort_block_merge_implIS3_N6thrust23THRUST_200600_302600_NS6detail15normal_iteratorINS9_10device_ptrIiEEEEPS5_jNS1_19radix_merge_compareILb0ELb1EiNS0_19identity_decomposerEEEEE10hipError_tT0_T1_T2_jT3_P12ihipStream_tbPNSt15iterator_traitsISK_E10value_typeEPNSQ_ISL_E10value_typeEPSM_NS1_7vsmem_tEENKUlT_SK_SL_SM_E_clIPiSE_SF_SF_EESJ_SZ_SK_SL_SM_EUlSZ_E0_NS1_11comp_targetILNS1_3genE10ELNS1_11target_archE1201ELNS1_3gpuE5ELNS1_3repE0EEENS1_38merge_mergepath_config_static_selectorELNS0_4arch9wavefront6targetE1EEEvSL_
; %bb.0:
	.section	.rodata,"a",@progbits
	.p2align	6, 0x0
	.amdhsa_kernel _ZN7rocprim17ROCPRIM_400000_NS6detail17trampoline_kernelINS0_14default_configENS1_38merge_sort_block_merge_config_selectorIiNS0_10empty_typeEEEZZNS1_27merge_sort_block_merge_implIS3_N6thrust23THRUST_200600_302600_NS6detail15normal_iteratorINS9_10device_ptrIiEEEEPS5_jNS1_19radix_merge_compareILb0ELb1EiNS0_19identity_decomposerEEEEE10hipError_tT0_T1_T2_jT3_P12ihipStream_tbPNSt15iterator_traitsISK_E10value_typeEPNSQ_ISL_E10value_typeEPSM_NS1_7vsmem_tEENKUlT_SK_SL_SM_E_clIPiSE_SF_SF_EESJ_SZ_SK_SL_SM_EUlSZ_E0_NS1_11comp_targetILNS1_3genE10ELNS1_11target_archE1201ELNS1_3gpuE5ELNS1_3repE0EEENS1_38merge_mergepath_config_static_selectorELNS0_4arch9wavefront6targetE1EEEvSL_
		.amdhsa_group_segment_fixed_size 0
		.amdhsa_private_segment_fixed_size 0
		.amdhsa_kernarg_size 64
		.amdhsa_user_sgpr_count 6
		.amdhsa_user_sgpr_private_segment_buffer 1
		.amdhsa_user_sgpr_dispatch_ptr 0
		.amdhsa_user_sgpr_queue_ptr 0
		.amdhsa_user_sgpr_kernarg_segment_ptr 1
		.amdhsa_user_sgpr_dispatch_id 0
		.amdhsa_user_sgpr_flat_scratch_init 0
		.amdhsa_user_sgpr_kernarg_preload_length 0
		.amdhsa_user_sgpr_kernarg_preload_offset 0
		.amdhsa_user_sgpr_private_segment_size 0
		.amdhsa_uses_dynamic_stack 0
		.amdhsa_system_sgpr_private_segment_wavefront_offset 0
		.amdhsa_system_sgpr_workgroup_id_x 1
		.amdhsa_system_sgpr_workgroup_id_y 0
		.amdhsa_system_sgpr_workgroup_id_z 0
		.amdhsa_system_sgpr_workgroup_info 0
		.amdhsa_system_vgpr_workitem_id 0
		.amdhsa_next_free_vgpr 1
		.amdhsa_next_free_sgpr 0
		.amdhsa_accum_offset 4
		.amdhsa_reserve_vcc 0
		.amdhsa_reserve_flat_scratch 0
		.amdhsa_float_round_mode_32 0
		.amdhsa_float_round_mode_16_64 0
		.amdhsa_float_denorm_mode_32 3
		.amdhsa_float_denorm_mode_16_64 3
		.amdhsa_dx10_clamp 1
		.amdhsa_ieee_mode 1
		.amdhsa_fp16_overflow 0
		.amdhsa_tg_split 0
		.amdhsa_exception_fp_ieee_invalid_op 0
		.amdhsa_exception_fp_denorm_src 0
		.amdhsa_exception_fp_ieee_div_zero 0
		.amdhsa_exception_fp_ieee_overflow 0
		.amdhsa_exception_fp_ieee_underflow 0
		.amdhsa_exception_fp_ieee_inexact 0
		.amdhsa_exception_int_div_zero 0
	.end_amdhsa_kernel
	.section	.text._ZN7rocprim17ROCPRIM_400000_NS6detail17trampoline_kernelINS0_14default_configENS1_38merge_sort_block_merge_config_selectorIiNS0_10empty_typeEEEZZNS1_27merge_sort_block_merge_implIS3_N6thrust23THRUST_200600_302600_NS6detail15normal_iteratorINS9_10device_ptrIiEEEEPS5_jNS1_19radix_merge_compareILb0ELb1EiNS0_19identity_decomposerEEEEE10hipError_tT0_T1_T2_jT3_P12ihipStream_tbPNSt15iterator_traitsISK_E10value_typeEPNSQ_ISL_E10value_typeEPSM_NS1_7vsmem_tEENKUlT_SK_SL_SM_E_clIPiSE_SF_SF_EESJ_SZ_SK_SL_SM_EUlSZ_E0_NS1_11comp_targetILNS1_3genE10ELNS1_11target_archE1201ELNS1_3gpuE5ELNS1_3repE0EEENS1_38merge_mergepath_config_static_selectorELNS0_4arch9wavefront6targetE1EEEvSL_,"axG",@progbits,_ZN7rocprim17ROCPRIM_400000_NS6detail17trampoline_kernelINS0_14default_configENS1_38merge_sort_block_merge_config_selectorIiNS0_10empty_typeEEEZZNS1_27merge_sort_block_merge_implIS3_N6thrust23THRUST_200600_302600_NS6detail15normal_iteratorINS9_10device_ptrIiEEEEPS5_jNS1_19radix_merge_compareILb0ELb1EiNS0_19identity_decomposerEEEEE10hipError_tT0_T1_T2_jT3_P12ihipStream_tbPNSt15iterator_traitsISK_E10value_typeEPNSQ_ISL_E10value_typeEPSM_NS1_7vsmem_tEENKUlT_SK_SL_SM_E_clIPiSE_SF_SF_EESJ_SZ_SK_SL_SM_EUlSZ_E0_NS1_11comp_targetILNS1_3genE10ELNS1_11target_archE1201ELNS1_3gpuE5ELNS1_3repE0EEENS1_38merge_mergepath_config_static_selectorELNS0_4arch9wavefront6targetE1EEEvSL_,comdat
.Lfunc_end1680:
	.size	_ZN7rocprim17ROCPRIM_400000_NS6detail17trampoline_kernelINS0_14default_configENS1_38merge_sort_block_merge_config_selectorIiNS0_10empty_typeEEEZZNS1_27merge_sort_block_merge_implIS3_N6thrust23THRUST_200600_302600_NS6detail15normal_iteratorINS9_10device_ptrIiEEEEPS5_jNS1_19radix_merge_compareILb0ELb1EiNS0_19identity_decomposerEEEEE10hipError_tT0_T1_T2_jT3_P12ihipStream_tbPNSt15iterator_traitsISK_E10value_typeEPNSQ_ISL_E10value_typeEPSM_NS1_7vsmem_tEENKUlT_SK_SL_SM_E_clIPiSE_SF_SF_EESJ_SZ_SK_SL_SM_EUlSZ_E0_NS1_11comp_targetILNS1_3genE10ELNS1_11target_archE1201ELNS1_3gpuE5ELNS1_3repE0EEENS1_38merge_mergepath_config_static_selectorELNS0_4arch9wavefront6targetE1EEEvSL_, .Lfunc_end1680-_ZN7rocprim17ROCPRIM_400000_NS6detail17trampoline_kernelINS0_14default_configENS1_38merge_sort_block_merge_config_selectorIiNS0_10empty_typeEEEZZNS1_27merge_sort_block_merge_implIS3_N6thrust23THRUST_200600_302600_NS6detail15normal_iteratorINS9_10device_ptrIiEEEEPS5_jNS1_19radix_merge_compareILb0ELb1EiNS0_19identity_decomposerEEEEE10hipError_tT0_T1_T2_jT3_P12ihipStream_tbPNSt15iterator_traitsISK_E10value_typeEPNSQ_ISL_E10value_typeEPSM_NS1_7vsmem_tEENKUlT_SK_SL_SM_E_clIPiSE_SF_SF_EESJ_SZ_SK_SL_SM_EUlSZ_E0_NS1_11comp_targetILNS1_3genE10ELNS1_11target_archE1201ELNS1_3gpuE5ELNS1_3repE0EEENS1_38merge_mergepath_config_static_selectorELNS0_4arch9wavefront6targetE1EEEvSL_
                                        ; -- End function
	.section	.AMDGPU.csdata,"",@progbits
; Kernel info:
; codeLenInByte = 0
; NumSgprs: 4
; NumVgprs: 0
; NumAgprs: 0
; TotalNumVgprs: 0
; ScratchSize: 0
; MemoryBound: 0
; FloatMode: 240
; IeeeMode: 1
; LDSByteSize: 0 bytes/workgroup (compile time only)
; SGPRBlocks: 0
; VGPRBlocks: 0
; NumSGPRsForWavesPerEU: 4
; NumVGPRsForWavesPerEU: 1
; AccumOffset: 4
; Occupancy: 8
; WaveLimiterHint : 0
; COMPUTE_PGM_RSRC2:SCRATCH_EN: 0
; COMPUTE_PGM_RSRC2:USER_SGPR: 6
; COMPUTE_PGM_RSRC2:TRAP_HANDLER: 0
; COMPUTE_PGM_RSRC2:TGID_X_EN: 1
; COMPUTE_PGM_RSRC2:TGID_Y_EN: 0
; COMPUTE_PGM_RSRC2:TGID_Z_EN: 0
; COMPUTE_PGM_RSRC2:TIDIG_COMP_CNT: 0
; COMPUTE_PGM_RSRC3_GFX90A:ACCUM_OFFSET: 0
; COMPUTE_PGM_RSRC3_GFX90A:TG_SPLIT: 0
	.section	.text._ZN7rocprim17ROCPRIM_400000_NS6detail17trampoline_kernelINS0_14default_configENS1_38merge_sort_block_merge_config_selectorIiNS0_10empty_typeEEEZZNS1_27merge_sort_block_merge_implIS3_N6thrust23THRUST_200600_302600_NS6detail15normal_iteratorINS9_10device_ptrIiEEEEPS5_jNS1_19radix_merge_compareILb0ELb1EiNS0_19identity_decomposerEEEEE10hipError_tT0_T1_T2_jT3_P12ihipStream_tbPNSt15iterator_traitsISK_E10value_typeEPNSQ_ISL_E10value_typeEPSM_NS1_7vsmem_tEENKUlT_SK_SL_SM_E_clIPiSE_SF_SF_EESJ_SZ_SK_SL_SM_EUlSZ_E0_NS1_11comp_targetILNS1_3genE5ELNS1_11target_archE942ELNS1_3gpuE9ELNS1_3repE0EEENS1_38merge_mergepath_config_static_selectorELNS0_4arch9wavefront6targetE1EEEvSL_,"axG",@progbits,_ZN7rocprim17ROCPRIM_400000_NS6detail17trampoline_kernelINS0_14default_configENS1_38merge_sort_block_merge_config_selectorIiNS0_10empty_typeEEEZZNS1_27merge_sort_block_merge_implIS3_N6thrust23THRUST_200600_302600_NS6detail15normal_iteratorINS9_10device_ptrIiEEEEPS5_jNS1_19radix_merge_compareILb0ELb1EiNS0_19identity_decomposerEEEEE10hipError_tT0_T1_T2_jT3_P12ihipStream_tbPNSt15iterator_traitsISK_E10value_typeEPNSQ_ISL_E10value_typeEPSM_NS1_7vsmem_tEENKUlT_SK_SL_SM_E_clIPiSE_SF_SF_EESJ_SZ_SK_SL_SM_EUlSZ_E0_NS1_11comp_targetILNS1_3genE5ELNS1_11target_archE942ELNS1_3gpuE9ELNS1_3repE0EEENS1_38merge_mergepath_config_static_selectorELNS0_4arch9wavefront6targetE1EEEvSL_,comdat
	.protected	_ZN7rocprim17ROCPRIM_400000_NS6detail17trampoline_kernelINS0_14default_configENS1_38merge_sort_block_merge_config_selectorIiNS0_10empty_typeEEEZZNS1_27merge_sort_block_merge_implIS3_N6thrust23THRUST_200600_302600_NS6detail15normal_iteratorINS9_10device_ptrIiEEEEPS5_jNS1_19radix_merge_compareILb0ELb1EiNS0_19identity_decomposerEEEEE10hipError_tT0_T1_T2_jT3_P12ihipStream_tbPNSt15iterator_traitsISK_E10value_typeEPNSQ_ISL_E10value_typeEPSM_NS1_7vsmem_tEENKUlT_SK_SL_SM_E_clIPiSE_SF_SF_EESJ_SZ_SK_SL_SM_EUlSZ_E0_NS1_11comp_targetILNS1_3genE5ELNS1_11target_archE942ELNS1_3gpuE9ELNS1_3repE0EEENS1_38merge_mergepath_config_static_selectorELNS0_4arch9wavefront6targetE1EEEvSL_ ; -- Begin function _ZN7rocprim17ROCPRIM_400000_NS6detail17trampoline_kernelINS0_14default_configENS1_38merge_sort_block_merge_config_selectorIiNS0_10empty_typeEEEZZNS1_27merge_sort_block_merge_implIS3_N6thrust23THRUST_200600_302600_NS6detail15normal_iteratorINS9_10device_ptrIiEEEEPS5_jNS1_19radix_merge_compareILb0ELb1EiNS0_19identity_decomposerEEEEE10hipError_tT0_T1_T2_jT3_P12ihipStream_tbPNSt15iterator_traitsISK_E10value_typeEPNSQ_ISL_E10value_typeEPSM_NS1_7vsmem_tEENKUlT_SK_SL_SM_E_clIPiSE_SF_SF_EESJ_SZ_SK_SL_SM_EUlSZ_E0_NS1_11comp_targetILNS1_3genE5ELNS1_11target_archE942ELNS1_3gpuE9ELNS1_3repE0EEENS1_38merge_mergepath_config_static_selectorELNS0_4arch9wavefront6targetE1EEEvSL_
	.globl	_ZN7rocprim17ROCPRIM_400000_NS6detail17trampoline_kernelINS0_14default_configENS1_38merge_sort_block_merge_config_selectorIiNS0_10empty_typeEEEZZNS1_27merge_sort_block_merge_implIS3_N6thrust23THRUST_200600_302600_NS6detail15normal_iteratorINS9_10device_ptrIiEEEEPS5_jNS1_19radix_merge_compareILb0ELb1EiNS0_19identity_decomposerEEEEE10hipError_tT0_T1_T2_jT3_P12ihipStream_tbPNSt15iterator_traitsISK_E10value_typeEPNSQ_ISL_E10value_typeEPSM_NS1_7vsmem_tEENKUlT_SK_SL_SM_E_clIPiSE_SF_SF_EESJ_SZ_SK_SL_SM_EUlSZ_E0_NS1_11comp_targetILNS1_3genE5ELNS1_11target_archE942ELNS1_3gpuE9ELNS1_3repE0EEENS1_38merge_mergepath_config_static_selectorELNS0_4arch9wavefront6targetE1EEEvSL_
	.p2align	8
	.type	_ZN7rocprim17ROCPRIM_400000_NS6detail17trampoline_kernelINS0_14default_configENS1_38merge_sort_block_merge_config_selectorIiNS0_10empty_typeEEEZZNS1_27merge_sort_block_merge_implIS3_N6thrust23THRUST_200600_302600_NS6detail15normal_iteratorINS9_10device_ptrIiEEEEPS5_jNS1_19radix_merge_compareILb0ELb1EiNS0_19identity_decomposerEEEEE10hipError_tT0_T1_T2_jT3_P12ihipStream_tbPNSt15iterator_traitsISK_E10value_typeEPNSQ_ISL_E10value_typeEPSM_NS1_7vsmem_tEENKUlT_SK_SL_SM_E_clIPiSE_SF_SF_EESJ_SZ_SK_SL_SM_EUlSZ_E0_NS1_11comp_targetILNS1_3genE5ELNS1_11target_archE942ELNS1_3gpuE9ELNS1_3repE0EEENS1_38merge_mergepath_config_static_selectorELNS0_4arch9wavefront6targetE1EEEvSL_,@function
_ZN7rocprim17ROCPRIM_400000_NS6detail17trampoline_kernelINS0_14default_configENS1_38merge_sort_block_merge_config_selectorIiNS0_10empty_typeEEEZZNS1_27merge_sort_block_merge_implIS3_N6thrust23THRUST_200600_302600_NS6detail15normal_iteratorINS9_10device_ptrIiEEEEPS5_jNS1_19radix_merge_compareILb0ELb1EiNS0_19identity_decomposerEEEEE10hipError_tT0_T1_T2_jT3_P12ihipStream_tbPNSt15iterator_traitsISK_E10value_typeEPNSQ_ISL_E10value_typeEPSM_NS1_7vsmem_tEENKUlT_SK_SL_SM_E_clIPiSE_SF_SF_EESJ_SZ_SK_SL_SM_EUlSZ_E0_NS1_11comp_targetILNS1_3genE5ELNS1_11target_archE942ELNS1_3gpuE9ELNS1_3repE0EEENS1_38merge_mergepath_config_static_selectorELNS0_4arch9wavefront6targetE1EEEvSL_: ; @_ZN7rocprim17ROCPRIM_400000_NS6detail17trampoline_kernelINS0_14default_configENS1_38merge_sort_block_merge_config_selectorIiNS0_10empty_typeEEEZZNS1_27merge_sort_block_merge_implIS3_N6thrust23THRUST_200600_302600_NS6detail15normal_iteratorINS9_10device_ptrIiEEEEPS5_jNS1_19radix_merge_compareILb0ELb1EiNS0_19identity_decomposerEEEEE10hipError_tT0_T1_T2_jT3_P12ihipStream_tbPNSt15iterator_traitsISK_E10value_typeEPNSQ_ISL_E10value_typeEPSM_NS1_7vsmem_tEENKUlT_SK_SL_SM_E_clIPiSE_SF_SF_EESJ_SZ_SK_SL_SM_EUlSZ_E0_NS1_11comp_targetILNS1_3genE5ELNS1_11target_archE942ELNS1_3gpuE9ELNS1_3repE0EEENS1_38merge_mergepath_config_static_selectorELNS0_4arch9wavefront6targetE1EEEvSL_
; %bb.0:
	.section	.rodata,"a",@progbits
	.p2align	6, 0x0
	.amdhsa_kernel _ZN7rocprim17ROCPRIM_400000_NS6detail17trampoline_kernelINS0_14default_configENS1_38merge_sort_block_merge_config_selectorIiNS0_10empty_typeEEEZZNS1_27merge_sort_block_merge_implIS3_N6thrust23THRUST_200600_302600_NS6detail15normal_iteratorINS9_10device_ptrIiEEEEPS5_jNS1_19radix_merge_compareILb0ELb1EiNS0_19identity_decomposerEEEEE10hipError_tT0_T1_T2_jT3_P12ihipStream_tbPNSt15iterator_traitsISK_E10value_typeEPNSQ_ISL_E10value_typeEPSM_NS1_7vsmem_tEENKUlT_SK_SL_SM_E_clIPiSE_SF_SF_EESJ_SZ_SK_SL_SM_EUlSZ_E0_NS1_11comp_targetILNS1_3genE5ELNS1_11target_archE942ELNS1_3gpuE9ELNS1_3repE0EEENS1_38merge_mergepath_config_static_selectorELNS0_4arch9wavefront6targetE1EEEvSL_
		.amdhsa_group_segment_fixed_size 0
		.amdhsa_private_segment_fixed_size 0
		.amdhsa_kernarg_size 64
		.amdhsa_user_sgpr_count 6
		.amdhsa_user_sgpr_private_segment_buffer 1
		.amdhsa_user_sgpr_dispatch_ptr 0
		.amdhsa_user_sgpr_queue_ptr 0
		.amdhsa_user_sgpr_kernarg_segment_ptr 1
		.amdhsa_user_sgpr_dispatch_id 0
		.amdhsa_user_sgpr_flat_scratch_init 0
		.amdhsa_user_sgpr_kernarg_preload_length 0
		.amdhsa_user_sgpr_kernarg_preload_offset 0
		.amdhsa_user_sgpr_private_segment_size 0
		.amdhsa_uses_dynamic_stack 0
		.amdhsa_system_sgpr_private_segment_wavefront_offset 0
		.amdhsa_system_sgpr_workgroup_id_x 1
		.amdhsa_system_sgpr_workgroup_id_y 0
		.amdhsa_system_sgpr_workgroup_id_z 0
		.amdhsa_system_sgpr_workgroup_info 0
		.amdhsa_system_vgpr_workitem_id 0
		.amdhsa_next_free_vgpr 1
		.amdhsa_next_free_sgpr 0
		.amdhsa_accum_offset 4
		.amdhsa_reserve_vcc 0
		.amdhsa_reserve_flat_scratch 0
		.amdhsa_float_round_mode_32 0
		.amdhsa_float_round_mode_16_64 0
		.amdhsa_float_denorm_mode_32 3
		.amdhsa_float_denorm_mode_16_64 3
		.amdhsa_dx10_clamp 1
		.amdhsa_ieee_mode 1
		.amdhsa_fp16_overflow 0
		.amdhsa_tg_split 0
		.amdhsa_exception_fp_ieee_invalid_op 0
		.amdhsa_exception_fp_denorm_src 0
		.amdhsa_exception_fp_ieee_div_zero 0
		.amdhsa_exception_fp_ieee_overflow 0
		.amdhsa_exception_fp_ieee_underflow 0
		.amdhsa_exception_fp_ieee_inexact 0
		.amdhsa_exception_int_div_zero 0
	.end_amdhsa_kernel
	.section	.text._ZN7rocprim17ROCPRIM_400000_NS6detail17trampoline_kernelINS0_14default_configENS1_38merge_sort_block_merge_config_selectorIiNS0_10empty_typeEEEZZNS1_27merge_sort_block_merge_implIS3_N6thrust23THRUST_200600_302600_NS6detail15normal_iteratorINS9_10device_ptrIiEEEEPS5_jNS1_19radix_merge_compareILb0ELb1EiNS0_19identity_decomposerEEEEE10hipError_tT0_T1_T2_jT3_P12ihipStream_tbPNSt15iterator_traitsISK_E10value_typeEPNSQ_ISL_E10value_typeEPSM_NS1_7vsmem_tEENKUlT_SK_SL_SM_E_clIPiSE_SF_SF_EESJ_SZ_SK_SL_SM_EUlSZ_E0_NS1_11comp_targetILNS1_3genE5ELNS1_11target_archE942ELNS1_3gpuE9ELNS1_3repE0EEENS1_38merge_mergepath_config_static_selectorELNS0_4arch9wavefront6targetE1EEEvSL_,"axG",@progbits,_ZN7rocprim17ROCPRIM_400000_NS6detail17trampoline_kernelINS0_14default_configENS1_38merge_sort_block_merge_config_selectorIiNS0_10empty_typeEEEZZNS1_27merge_sort_block_merge_implIS3_N6thrust23THRUST_200600_302600_NS6detail15normal_iteratorINS9_10device_ptrIiEEEEPS5_jNS1_19radix_merge_compareILb0ELb1EiNS0_19identity_decomposerEEEEE10hipError_tT0_T1_T2_jT3_P12ihipStream_tbPNSt15iterator_traitsISK_E10value_typeEPNSQ_ISL_E10value_typeEPSM_NS1_7vsmem_tEENKUlT_SK_SL_SM_E_clIPiSE_SF_SF_EESJ_SZ_SK_SL_SM_EUlSZ_E0_NS1_11comp_targetILNS1_3genE5ELNS1_11target_archE942ELNS1_3gpuE9ELNS1_3repE0EEENS1_38merge_mergepath_config_static_selectorELNS0_4arch9wavefront6targetE1EEEvSL_,comdat
.Lfunc_end1681:
	.size	_ZN7rocprim17ROCPRIM_400000_NS6detail17trampoline_kernelINS0_14default_configENS1_38merge_sort_block_merge_config_selectorIiNS0_10empty_typeEEEZZNS1_27merge_sort_block_merge_implIS3_N6thrust23THRUST_200600_302600_NS6detail15normal_iteratorINS9_10device_ptrIiEEEEPS5_jNS1_19radix_merge_compareILb0ELb1EiNS0_19identity_decomposerEEEEE10hipError_tT0_T1_T2_jT3_P12ihipStream_tbPNSt15iterator_traitsISK_E10value_typeEPNSQ_ISL_E10value_typeEPSM_NS1_7vsmem_tEENKUlT_SK_SL_SM_E_clIPiSE_SF_SF_EESJ_SZ_SK_SL_SM_EUlSZ_E0_NS1_11comp_targetILNS1_3genE5ELNS1_11target_archE942ELNS1_3gpuE9ELNS1_3repE0EEENS1_38merge_mergepath_config_static_selectorELNS0_4arch9wavefront6targetE1EEEvSL_, .Lfunc_end1681-_ZN7rocprim17ROCPRIM_400000_NS6detail17trampoline_kernelINS0_14default_configENS1_38merge_sort_block_merge_config_selectorIiNS0_10empty_typeEEEZZNS1_27merge_sort_block_merge_implIS3_N6thrust23THRUST_200600_302600_NS6detail15normal_iteratorINS9_10device_ptrIiEEEEPS5_jNS1_19radix_merge_compareILb0ELb1EiNS0_19identity_decomposerEEEEE10hipError_tT0_T1_T2_jT3_P12ihipStream_tbPNSt15iterator_traitsISK_E10value_typeEPNSQ_ISL_E10value_typeEPSM_NS1_7vsmem_tEENKUlT_SK_SL_SM_E_clIPiSE_SF_SF_EESJ_SZ_SK_SL_SM_EUlSZ_E0_NS1_11comp_targetILNS1_3genE5ELNS1_11target_archE942ELNS1_3gpuE9ELNS1_3repE0EEENS1_38merge_mergepath_config_static_selectorELNS0_4arch9wavefront6targetE1EEEvSL_
                                        ; -- End function
	.section	.AMDGPU.csdata,"",@progbits
; Kernel info:
; codeLenInByte = 0
; NumSgprs: 4
; NumVgprs: 0
; NumAgprs: 0
; TotalNumVgprs: 0
; ScratchSize: 0
; MemoryBound: 0
; FloatMode: 240
; IeeeMode: 1
; LDSByteSize: 0 bytes/workgroup (compile time only)
; SGPRBlocks: 0
; VGPRBlocks: 0
; NumSGPRsForWavesPerEU: 4
; NumVGPRsForWavesPerEU: 1
; AccumOffset: 4
; Occupancy: 8
; WaveLimiterHint : 0
; COMPUTE_PGM_RSRC2:SCRATCH_EN: 0
; COMPUTE_PGM_RSRC2:USER_SGPR: 6
; COMPUTE_PGM_RSRC2:TRAP_HANDLER: 0
; COMPUTE_PGM_RSRC2:TGID_X_EN: 1
; COMPUTE_PGM_RSRC2:TGID_Y_EN: 0
; COMPUTE_PGM_RSRC2:TGID_Z_EN: 0
; COMPUTE_PGM_RSRC2:TIDIG_COMP_CNT: 0
; COMPUTE_PGM_RSRC3_GFX90A:ACCUM_OFFSET: 0
; COMPUTE_PGM_RSRC3_GFX90A:TG_SPLIT: 0
	.section	.text._ZN7rocprim17ROCPRIM_400000_NS6detail17trampoline_kernelINS0_14default_configENS1_38merge_sort_block_merge_config_selectorIiNS0_10empty_typeEEEZZNS1_27merge_sort_block_merge_implIS3_N6thrust23THRUST_200600_302600_NS6detail15normal_iteratorINS9_10device_ptrIiEEEEPS5_jNS1_19radix_merge_compareILb0ELb1EiNS0_19identity_decomposerEEEEE10hipError_tT0_T1_T2_jT3_P12ihipStream_tbPNSt15iterator_traitsISK_E10value_typeEPNSQ_ISL_E10value_typeEPSM_NS1_7vsmem_tEENKUlT_SK_SL_SM_E_clIPiSE_SF_SF_EESJ_SZ_SK_SL_SM_EUlSZ_E0_NS1_11comp_targetILNS1_3genE4ELNS1_11target_archE910ELNS1_3gpuE8ELNS1_3repE0EEENS1_38merge_mergepath_config_static_selectorELNS0_4arch9wavefront6targetE1EEEvSL_,"axG",@progbits,_ZN7rocprim17ROCPRIM_400000_NS6detail17trampoline_kernelINS0_14default_configENS1_38merge_sort_block_merge_config_selectorIiNS0_10empty_typeEEEZZNS1_27merge_sort_block_merge_implIS3_N6thrust23THRUST_200600_302600_NS6detail15normal_iteratorINS9_10device_ptrIiEEEEPS5_jNS1_19radix_merge_compareILb0ELb1EiNS0_19identity_decomposerEEEEE10hipError_tT0_T1_T2_jT3_P12ihipStream_tbPNSt15iterator_traitsISK_E10value_typeEPNSQ_ISL_E10value_typeEPSM_NS1_7vsmem_tEENKUlT_SK_SL_SM_E_clIPiSE_SF_SF_EESJ_SZ_SK_SL_SM_EUlSZ_E0_NS1_11comp_targetILNS1_3genE4ELNS1_11target_archE910ELNS1_3gpuE8ELNS1_3repE0EEENS1_38merge_mergepath_config_static_selectorELNS0_4arch9wavefront6targetE1EEEvSL_,comdat
	.protected	_ZN7rocprim17ROCPRIM_400000_NS6detail17trampoline_kernelINS0_14default_configENS1_38merge_sort_block_merge_config_selectorIiNS0_10empty_typeEEEZZNS1_27merge_sort_block_merge_implIS3_N6thrust23THRUST_200600_302600_NS6detail15normal_iteratorINS9_10device_ptrIiEEEEPS5_jNS1_19radix_merge_compareILb0ELb1EiNS0_19identity_decomposerEEEEE10hipError_tT0_T1_T2_jT3_P12ihipStream_tbPNSt15iterator_traitsISK_E10value_typeEPNSQ_ISL_E10value_typeEPSM_NS1_7vsmem_tEENKUlT_SK_SL_SM_E_clIPiSE_SF_SF_EESJ_SZ_SK_SL_SM_EUlSZ_E0_NS1_11comp_targetILNS1_3genE4ELNS1_11target_archE910ELNS1_3gpuE8ELNS1_3repE0EEENS1_38merge_mergepath_config_static_selectorELNS0_4arch9wavefront6targetE1EEEvSL_ ; -- Begin function _ZN7rocprim17ROCPRIM_400000_NS6detail17trampoline_kernelINS0_14default_configENS1_38merge_sort_block_merge_config_selectorIiNS0_10empty_typeEEEZZNS1_27merge_sort_block_merge_implIS3_N6thrust23THRUST_200600_302600_NS6detail15normal_iteratorINS9_10device_ptrIiEEEEPS5_jNS1_19radix_merge_compareILb0ELb1EiNS0_19identity_decomposerEEEEE10hipError_tT0_T1_T2_jT3_P12ihipStream_tbPNSt15iterator_traitsISK_E10value_typeEPNSQ_ISL_E10value_typeEPSM_NS1_7vsmem_tEENKUlT_SK_SL_SM_E_clIPiSE_SF_SF_EESJ_SZ_SK_SL_SM_EUlSZ_E0_NS1_11comp_targetILNS1_3genE4ELNS1_11target_archE910ELNS1_3gpuE8ELNS1_3repE0EEENS1_38merge_mergepath_config_static_selectorELNS0_4arch9wavefront6targetE1EEEvSL_
	.globl	_ZN7rocprim17ROCPRIM_400000_NS6detail17trampoline_kernelINS0_14default_configENS1_38merge_sort_block_merge_config_selectorIiNS0_10empty_typeEEEZZNS1_27merge_sort_block_merge_implIS3_N6thrust23THRUST_200600_302600_NS6detail15normal_iteratorINS9_10device_ptrIiEEEEPS5_jNS1_19radix_merge_compareILb0ELb1EiNS0_19identity_decomposerEEEEE10hipError_tT0_T1_T2_jT3_P12ihipStream_tbPNSt15iterator_traitsISK_E10value_typeEPNSQ_ISL_E10value_typeEPSM_NS1_7vsmem_tEENKUlT_SK_SL_SM_E_clIPiSE_SF_SF_EESJ_SZ_SK_SL_SM_EUlSZ_E0_NS1_11comp_targetILNS1_3genE4ELNS1_11target_archE910ELNS1_3gpuE8ELNS1_3repE0EEENS1_38merge_mergepath_config_static_selectorELNS0_4arch9wavefront6targetE1EEEvSL_
	.p2align	8
	.type	_ZN7rocprim17ROCPRIM_400000_NS6detail17trampoline_kernelINS0_14default_configENS1_38merge_sort_block_merge_config_selectorIiNS0_10empty_typeEEEZZNS1_27merge_sort_block_merge_implIS3_N6thrust23THRUST_200600_302600_NS6detail15normal_iteratorINS9_10device_ptrIiEEEEPS5_jNS1_19radix_merge_compareILb0ELb1EiNS0_19identity_decomposerEEEEE10hipError_tT0_T1_T2_jT3_P12ihipStream_tbPNSt15iterator_traitsISK_E10value_typeEPNSQ_ISL_E10value_typeEPSM_NS1_7vsmem_tEENKUlT_SK_SL_SM_E_clIPiSE_SF_SF_EESJ_SZ_SK_SL_SM_EUlSZ_E0_NS1_11comp_targetILNS1_3genE4ELNS1_11target_archE910ELNS1_3gpuE8ELNS1_3repE0EEENS1_38merge_mergepath_config_static_selectorELNS0_4arch9wavefront6targetE1EEEvSL_,@function
_ZN7rocprim17ROCPRIM_400000_NS6detail17trampoline_kernelINS0_14default_configENS1_38merge_sort_block_merge_config_selectorIiNS0_10empty_typeEEEZZNS1_27merge_sort_block_merge_implIS3_N6thrust23THRUST_200600_302600_NS6detail15normal_iteratorINS9_10device_ptrIiEEEEPS5_jNS1_19radix_merge_compareILb0ELb1EiNS0_19identity_decomposerEEEEE10hipError_tT0_T1_T2_jT3_P12ihipStream_tbPNSt15iterator_traitsISK_E10value_typeEPNSQ_ISL_E10value_typeEPSM_NS1_7vsmem_tEENKUlT_SK_SL_SM_E_clIPiSE_SF_SF_EESJ_SZ_SK_SL_SM_EUlSZ_E0_NS1_11comp_targetILNS1_3genE4ELNS1_11target_archE910ELNS1_3gpuE8ELNS1_3repE0EEENS1_38merge_mergepath_config_static_selectorELNS0_4arch9wavefront6targetE1EEEvSL_: ; @_ZN7rocprim17ROCPRIM_400000_NS6detail17trampoline_kernelINS0_14default_configENS1_38merge_sort_block_merge_config_selectorIiNS0_10empty_typeEEEZZNS1_27merge_sort_block_merge_implIS3_N6thrust23THRUST_200600_302600_NS6detail15normal_iteratorINS9_10device_ptrIiEEEEPS5_jNS1_19radix_merge_compareILb0ELb1EiNS0_19identity_decomposerEEEEE10hipError_tT0_T1_T2_jT3_P12ihipStream_tbPNSt15iterator_traitsISK_E10value_typeEPNSQ_ISL_E10value_typeEPSM_NS1_7vsmem_tEENKUlT_SK_SL_SM_E_clIPiSE_SF_SF_EESJ_SZ_SK_SL_SM_EUlSZ_E0_NS1_11comp_targetILNS1_3genE4ELNS1_11target_archE910ELNS1_3gpuE8ELNS1_3repE0EEENS1_38merge_mergepath_config_static_selectorELNS0_4arch9wavefront6targetE1EEEvSL_
; %bb.0:
	s_load_dwordx2 s[10:11], s[4:5], 0x40
	s_load_dwordx2 s[16:17], s[4:5], 0x30
	s_add_u32 s0, s4, 64
	s_addc_u32 s1, s5, 0
	s_waitcnt lgkmcnt(0)
	s_mul_i32 s2, s11, s8
	s_add_i32 s2, s2, s7
	s_mul_i32 s2, s2, s10
	s_add_i32 s2, s2, s6
	s_cmp_ge_u32 s2, s16
	s_cbranch_scc1 .LBB1682_43
; %bb.1:
	s_load_dwordx2 s[14:15], s[4:5], 0x28
	s_load_dwordx2 s[8:9], s[4:5], 0x38
	;; [unrolled: 1-line block ×3, first 2 shown]
	s_mov_b32 s3, 0
	s_mov_b32 s23, s3
	s_waitcnt lgkmcnt(0)
	s_lshr_b32 s24, s14, 10
	s_cmp_lg_u32 s2, s24
	s_cselect_b64 s[18:19], -1, 0
	s_lshl_b64 s[12:13], s[2:3], 2
	s_add_u32 s8, s8, s12
	s_addc_u32 s9, s9, s13
	s_lshr_b32 s7, s15, 9
	s_and_b32 s7, s7, 0x7ffffe
	s_load_dwordx2 s[8:9], s[8:9], 0x0
	s_sub_i32 s7, 0, s7
	s_and_b32 s11, s2, s7
	s_lshl_b32 s12, s11, 10
	s_lshl_b32 s16, s2, 10
	;; [unrolled: 1-line block ×3, first 2 shown]
	s_sub_i32 s13, s16, s12
	s_add_i32 s11, s11, s15
	s_add_i32 s13, s11, s13
	s_waitcnt lgkmcnt(0)
	s_sub_i32 s22, s13, s8
	s_sub_i32 s13, s13, s9
	;; [unrolled: 1-line block ×3, first 2 shown]
	s_min_u32 s22, s14, s22
	s_addk_i32 s13, 0x400
	s_or_b32 s7, s2, s7
	s_min_u32 s12, s14, s11
	s_add_i32 s11, s11, s15
	s_cmp_eq_u32 s7, -1
	s_cselect_b32 s7, s11, s13
	s_cselect_b32 s9, s12, s9
	s_min_u32 s7, s7, s14
	s_sub_i32 s15, s9, s8
	s_mov_b32 s9, s3
	s_sub_i32 s7, s7, s22
	s_lshl_b64 s[8:9], s[8:9], 2
	s_add_u32 s11, s20, s8
	s_addc_u32 s12, s21, s9
	s_lshl_b64 s[8:9], s[22:23], 2
	s_add_u32 s8, s20, s8
	s_addc_u32 s9, s21, s9
	s_cmp_lt_u32 s6, s10
	v_mov_b32_e32 v15, 0
	s_cselect_b32 s3, 12, 18
	global_load_dword v1, v15, s[0:1] offset:14
	s_add_u32 s0, s0, s3
	s_addc_u32 s1, s1, 0
	global_load_ushort v2, v15, s[0:1]
	s_cmp_eq_u32 s2, s24
	s_waitcnt vmcnt(1)
	v_lshrrev_b32_e32 v3, 16, v1
	v_and_b32_e32 v1, 0xffff, v1
	v_mul_lo_u32 v1, v1, v3
	s_waitcnt vmcnt(0)
	v_mul_lo_u32 v16, v1, v2
	v_add_u32_e32 v12, v16, v0
	v_lshlrev_b32_e32 v1, 2, v0
	v_add_u32_e32 v10, v12, v16
	s_cbranch_scc1 .LBB1682_3
; %bb.2:
	v_mov_b32_e32 v2, s12
	v_add_co_u32_e32 v4, vcc, s11, v1
	v_subrev_u32_e32 v14, s15, v0
	v_addc_co_u32_e32 v5, vcc, 0, v2, vcc
	v_lshlrev_b64 v[2:3], 2, v[14:15]
	v_mov_b32_e32 v6, s9
	v_add_co_u32_e32 v2, vcc, s8, v2
	v_addc_co_u32_e32 v3, vcc, v6, v3, vcc
	v_cmp_gt_u32_e32 vcc, s15, v0
	v_mov_b32_e32 v13, v15
	v_cndmask_b32_e32 v3, v3, v5, vcc
	v_cndmask_b32_e32 v2, v2, v4, vcc
	v_lshlrev_b64 v[4:5], 2, v[12:13]
	global_load_dword v2, v[2:3], off
	v_mov_b32_e32 v3, s12
	v_add_co_u32_e32 v6, vcc, s11, v4
	v_subrev_u32_e32 v14, s15, v12
	v_addc_co_u32_e32 v3, vcc, v3, v5, vcc
	v_lshlrev_b64 v[4:5], 2, v[14:15]
	v_mov_b32_e32 v7, s9
	v_add_co_u32_e32 v4, vcc, s8, v4
	v_addc_co_u32_e32 v5, vcc, v7, v5, vcc
	v_cmp_gt_u32_e32 vcc, s15, v12
	v_cndmask_b32_e32 v5, v5, v3, vcc
	v_cndmask_b32_e32 v4, v4, v6, vcc
	v_mov_b32_e32 v11, v15
	global_load_dword v3, v[4:5], off
	v_lshlrev_b64 v[4:5], 2, v[10:11]
	v_mov_b32_e32 v6, s12
	v_add_co_u32_e32 v7, vcc, s11, v4
	v_subrev_u32_e32 v14, s15, v10
	v_addc_co_u32_e32 v6, vcc, v6, v5, vcc
	v_lshlrev_b64 v[4:5], 2, v[14:15]
	v_mov_b32_e32 v8, s9
	v_add_co_u32_e32 v4, vcc, s8, v4
	v_addc_co_u32_e32 v5, vcc, v8, v5, vcc
	v_cmp_gt_u32_e32 vcc, s15, v10
	v_add_u32_e32 v14, v10, v16
	v_cndmask_b32_e32 v5, v5, v6, vcc
	v_cndmask_b32_e32 v4, v4, v7, vcc
	v_lshlrev_b64 v[6:7], 2, v[14:15]
	global_load_dword v4, v[4:5], off
	v_mov_b32_e32 v5, s12
	v_add_co_u32_e32 v8, vcc, s11, v6
	v_addc_co_u32_e32 v5, vcc, v5, v7, vcc
	v_subrev_u32_e32 v6, s15, v14
	v_mov_b32_e32 v7, v15
	v_lshlrev_b64 v[6:7], 2, v[6:7]
	v_mov_b32_e32 v9, s9
	v_add_co_u32_e32 v6, vcc, s8, v6
	v_addc_co_u32_e32 v7, vcc, v9, v7, vcc
	v_cmp_gt_u32_e32 vcc, s15, v14
	v_cndmask_b32_e32 v7, v7, v5, vcc
	v_cndmask_b32_e32 v6, v6, v8, vcc
	v_add_u32_e32 v14, v14, v16
	global_load_dword v5, v[6:7], off
	v_lshlrev_b64 v[6:7], 2, v[14:15]
	v_mov_b32_e32 v8, s12
	v_add_co_u32_e32 v9, vcc, s11, v6
	v_addc_co_u32_e32 v8, vcc, v8, v7, vcc
	v_subrev_u32_e32 v6, s15, v14
	v_mov_b32_e32 v7, v15
	v_lshlrev_b64 v[6:7], 2, v[6:7]
	v_mov_b32_e32 v11, s9
	v_add_co_u32_e32 v6, vcc, s8, v6
	v_addc_co_u32_e32 v7, vcc, v11, v7, vcc
	v_cmp_gt_u32_e32 vcc, s15, v14
	v_add_u32_e32 v14, v14, v16
	v_cndmask_b32_e32 v7, v7, v8, vcc
	v_cndmask_b32_e32 v6, v6, v9, vcc
	v_lshlrev_b64 v[8:9], 2, v[14:15]
	global_load_dword v6, v[6:7], off
	v_mov_b32_e32 v7, s12
	v_add_co_u32_e32 v11, vcc, s11, v8
	v_addc_co_u32_e32 v7, vcc, v7, v9, vcc
	v_subrev_u32_e32 v8, s15, v14
	v_mov_b32_e32 v9, v15
	v_lshlrev_b64 v[8:9], 2, v[8:9]
	v_mov_b32_e32 v13, s9
	v_add_co_u32_e32 v8, vcc, s8, v8
	v_addc_co_u32_e32 v9, vcc, v13, v9, vcc
	v_cmp_gt_u32_e32 vcc, s15, v14
	v_cndmask_b32_e32 v9, v9, v7, vcc
	v_cndmask_b32_e32 v8, v8, v11, vcc
	v_add_u32_e32 v14, v14, v16
	global_load_dword v7, v[8:9], off
	v_lshlrev_b64 v[8:9], 2, v[14:15]
	v_mov_b32_e32 v11, s12
	v_add_co_u32_e32 v13, vcc, s11, v8
	v_addc_co_u32_e32 v11, vcc, v11, v9, vcc
	v_subrev_u32_e32 v8, s15, v14
	v_mov_b32_e32 v9, v15
	v_lshlrev_b64 v[8:9], 2, v[8:9]
	v_mov_b32_e32 v17, s9
	v_add_co_u32_e32 v8, vcc, s8, v8
	v_addc_co_u32_e32 v9, vcc, v17, v9, vcc
	v_cmp_gt_u32_e32 vcc, s15, v14
	v_add_u32_e32 v14, v14, v16
	v_cndmask_b32_e32 v9, v9, v11, vcc
	v_cndmask_b32_e32 v8, v8, v13, vcc
	v_lshlrev_b64 v[18:19], 2, v[14:15]
	global_load_dword v8, v[8:9], off
	v_mov_b32_e32 v9, s12
	v_add_co_u32_e32 v11, vcc, s11, v18
	v_addc_co_u32_e32 v9, vcc, v9, v19, vcc
	v_cmp_gt_u32_e32 vcc, s15, v14
	v_subrev_u32_e32 v14, s15, v14
	v_lshlrev_b64 v[14:15], 2, v[14:15]
	v_mov_b32_e32 v13, s9
	v_add_co_u32_e64 v14, s[0:1], s8, v14
	v_addc_co_u32_e64 v13, s[0:1], v13, v15, s[0:1]
	v_cndmask_b32_e32 v15, v13, v9, vcc
	v_cndmask_b32_e32 v14, v14, v11, vcc
	global_load_dword v9, v[14:15], off
	s_add_i32 s24, s7, s15
	s_load_dwordx2 s[20:21], s[4:5], 0x10
	s_cbranch_execz .LBB1682_4
	s_branch .LBB1682_19
.LBB1682_3:
                                        ; implicit-def: $vgpr2_vgpr3_vgpr4_vgpr5_vgpr6_vgpr7_vgpr8_vgpr9
                                        ; implicit-def: $sgpr24
	s_load_dwordx2 s[20:21], s[4:5], 0x10
.LBB1682_4:
	s_add_i32 s24, s7, s15
	v_cmp_gt_u32_e32 vcc, s24, v0
                                        ; implicit-def: $vgpr2_vgpr3_vgpr4_vgpr5_vgpr6_vgpr7_vgpr8_vgpr9
	s_and_saveexec_b64 s[0:1], vcc
	s_cbranch_execnz .LBB1682_44
; %bb.5:
	s_or_b64 exec, exec, s[0:1]
	v_cmp_gt_u32_e32 vcc, s24, v12
	s_and_saveexec_b64 s[2:3], vcc
	s_cbranch_execnz .LBB1682_45
.LBB1682_6:
	s_or_b64 exec, exec, s[2:3]
	v_cmp_gt_u32_e32 vcc, s24, v10
	s_and_saveexec_b64 s[0:1], vcc
	s_cbranch_execz .LBB1682_8
.LBB1682_7:
	v_mov_b32_e32 v11, 0
	v_lshlrev_b64 v[12:13], 2, v[10:11]
	s_waitcnt vmcnt(5)
	v_mov_b32_e32 v4, s12
	v_add_co_u32_e32 v14, vcc, s11, v12
	v_addc_co_u32_e32 v4, vcc, v4, v13, vcc
	v_subrev_u32_e32 v12, s15, v10
	v_mov_b32_e32 v13, v11
	v_lshlrev_b64 v[12:13], 2, v[12:13]
	v_mov_b32_e32 v11, s9
	v_add_co_u32_e32 v12, vcc, s8, v12
	v_addc_co_u32_e32 v11, vcc, v11, v13, vcc
	v_cmp_gt_u32_e32 vcc, s15, v10
	v_cndmask_b32_e32 v13, v11, v4, vcc
	v_cndmask_b32_e32 v12, v12, v14, vcc
	global_load_dword v4, v[12:13], off
.LBB1682_8:
	s_or_b64 exec, exec, s[0:1]
	v_add_u32_e32 v10, v10, v16
	v_cmp_gt_u32_e32 vcc, s24, v10
	s_and_saveexec_b64 s[0:1], vcc
	s_cbranch_execz .LBB1682_10
; %bb.9:
	v_mov_b32_e32 v11, 0
	v_lshlrev_b64 v[12:13], 2, v[10:11]
	s_waitcnt vmcnt(4)
	v_mov_b32_e32 v5, s12
	v_add_co_u32_e32 v14, vcc, s11, v12
	v_addc_co_u32_e32 v5, vcc, v5, v13, vcc
	v_subrev_u32_e32 v12, s15, v10
	v_mov_b32_e32 v13, v11
	v_lshlrev_b64 v[12:13], 2, v[12:13]
	v_mov_b32_e32 v11, s9
	v_add_co_u32_e32 v12, vcc, s8, v12
	v_addc_co_u32_e32 v11, vcc, v11, v13, vcc
	v_cmp_gt_u32_e32 vcc, s15, v10
	v_cndmask_b32_e32 v13, v11, v5, vcc
	v_cndmask_b32_e32 v12, v12, v14, vcc
	global_load_dword v5, v[12:13], off
.LBB1682_10:
	s_or_b64 exec, exec, s[0:1]
	v_add_u32_e32 v10, v10, v16
	v_cmp_gt_u32_e32 vcc, s24, v10
	s_and_saveexec_b64 s[0:1], vcc
	s_cbranch_execz .LBB1682_12
; %bb.11:
	v_mov_b32_e32 v11, 0
	v_lshlrev_b64 v[12:13], 2, v[10:11]
	s_waitcnt vmcnt(3)
	v_mov_b32_e32 v6, s12
	v_add_co_u32_e32 v14, vcc, s11, v12
	v_addc_co_u32_e32 v6, vcc, v6, v13, vcc
	v_subrev_u32_e32 v12, s15, v10
	v_mov_b32_e32 v13, v11
	v_lshlrev_b64 v[12:13], 2, v[12:13]
	v_mov_b32_e32 v11, s9
	v_add_co_u32_e32 v12, vcc, s8, v12
	v_addc_co_u32_e32 v11, vcc, v11, v13, vcc
	v_cmp_gt_u32_e32 vcc, s15, v10
	v_cndmask_b32_e32 v13, v11, v6, vcc
	v_cndmask_b32_e32 v12, v12, v14, vcc
	global_load_dword v6, v[12:13], off
.LBB1682_12:
	;; [unrolled: 23-line block ×4, first 2 shown]
	s_or_b64 exec, exec, s[0:1]
	v_add_u32_e32 v10, v10, v16
	v_cmp_gt_u32_e32 vcc, s24, v10
	s_and_saveexec_b64 s[2:3], vcc
	s_cbranch_execz .LBB1682_18
; %bb.17:
	v_mov_b32_e32 v11, 0
	v_lshlrev_b64 v[12:13], 2, v[10:11]
	s_waitcnt vmcnt(0)
	v_mov_b32_e32 v9, s12
	v_add_co_u32_e32 v12, vcc, s11, v12
	v_addc_co_u32_e32 v9, vcc, v9, v13, vcc
	v_cmp_gt_u32_e32 vcc, s15, v10
	v_subrev_u32_e32 v10, s15, v10
	v_lshlrev_b64 v[10:11], 2, v[10:11]
	v_mov_b32_e32 v13, s9
	v_add_co_u32_e64 v10, s[0:1], s8, v10
	v_addc_co_u32_e64 v11, s[0:1], v13, v11, s[0:1]
	v_cndmask_b32_e32 v11, v11, v9, vcc
	v_cndmask_b32_e32 v10, v10, v12, vcc
	global_load_dword v9, v[10:11], off
.LBB1682_18:
	s_or_b64 exec, exec, s[2:3]
.LBB1682_19:
	v_lshlrev_b32_e32 v10, 3, v0
	v_min_u32_e32 v12, s24, v10
	v_sub_u32_e64 v11, v12, s7 clamp
	v_min_u32_e32 v13, s15, v12
	v_cmp_lt_u32_e32 vcc, v11, v13
	s_waitcnt vmcnt(0)
	ds_write2st64_b32 v1, v2, v3 offset1:2
	ds_write2st64_b32 v1, v4, v5 offset0:4 offset1:6
	ds_write2st64_b32 v1, v6, v7 offset0:8 offset1:10
	;; [unrolled: 1-line block ×3, first 2 shown]
	s_waitcnt lgkmcnt(0)
	s_barrier
	s_and_saveexec_b64 s[0:1], vcc
	s_cbranch_execz .LBB1682_23
; %bb.20:
	v_lshlrev_b32_e32 v14, 2, v12
	v_lshl_add_u32 v14, s15, 2, v14
	s_mov_b64 s[2:3], 0
.LBB1682_21:                            ; =>This Inner Loop Header: Depth=1
	v_add_u32_e32 v15, v13, v11
	v_lshrrev_b32_e32 v15, 1, v15
	v_not_b32_e32 v16, v15
	v_lshlrev_b32_e32 v17, 2, v15
	v_lshl_add_u32 v16, v16, 2, v14
	ds_read_b32 v17, v17
	ds_read_b32 v16, v16
	v_add_u32_e32 v18, 1, v15
	s_waitcnt lgkmcnt(1)
	v_and_b32_e32 v17, s17, v17
	s_waitcnt lgkmcnt(0)
	v_and_b32_e32 v16, s17, v16
	v_cmp_gt_i32_e32 vcc, v17, v16
	v_cndmask_b32_e32 v13, v13, v15, vcc
	v_cndmask_b32_e32 v11, v18, v11, vcc
	v_cmp_ge_u32_e32 vcc, v11, v13
	s_or_b64 s[2:3], vcc, s[2:3]
	s_andn2_b64 exec, exec, s[2:3]
	s_cbranch_execnz .LBB1682_21
; %bb.22:
	s_or_b64 exec, exec, s[2:3]
.LBB1682_23:
	s_or_b64 exec, exec, s[0:1]
	v_sub_u32_e32 v12, v12, v11
	v_add_u32_e32 v12, s15, v12
	v_cmp_ge_u32_e32 vcc, s15, v11
	v_cmp_ge_u32_e64 s[0:1], s24, v12
	s_or_b64 s[0:1], vcc, s[0:1]
	s_and_saveexec_b64 s[22:23], s[0:1]
	s_cbranch_execz .LBB1682_29
; %bb.24:
	v_cmp_gt_u32_e32 vcc, s15, v11
                                        ; implicit-def: $vgpr2
	s_and_saveexec_b64 s[0:1], vcc
	s_cbranch_execz .LBB1682_26
; %bb.25:
	v_lshlrev_b32_e32 v2, 2, v11
	ds_read_b32 v2, v2
.LBB1682_26:
	s_or_b64 exec, exec, s[0:1]
	v_cmp_le_u32_e64 s[0:1], s24, v12
	v_cmp_gt_u32_e64 s[2:3], s24, v12
                                        ; implicit-def: $vgpr3
	s_and_saveexec_b64 s[4:5], s[2:3]
	s_cbranch_execz .LBB1682_28
; %bb.27:
	v_lshlrev_b32_e32 v3, 2, v12
	ds_read_b32 v3, v3
.LBB1682_28:
	s_or_b64 exec, exec, s[4:5]
	s_waitcnt lgkmcnt(0)
	v_and_b32_e32 v4, s17, v3
	v_and_b32_e32 v5, s17, v2
	v_cmp_le_i32_e64 s[2:3], v5, v4
	s_and_b64 s[2:3], vcc, s[2:3]
	s_or_b64 vcc, s[0:1], s[2:3]
	v_mov_b32_e32 v5, s24
	v_mov_b32_e32 v6, s15
	v_cndmask_b32_e32 v4, v12, v11, vcc
	v_cndmask_b32_e32 v7, v5, v6, vcc
	v_add_u32_e32 v4, 1, v4
	v_add_u32_e32 v7, -1, v7
	v_min_u32_e32 v7, v4, v7
	v_lshlrev_b32_e32 v7, 2, v7
	ds_read_b32 v7, v7
	v_cndmask_b32_e32 v9, v4, v12, vcc
	v_cndmask_b32_e32 v4, v11, v4, vcc
	v_cmp_gt_u32_e64 s[2:3], s15, v4
	v_cmp_le_u32_e64 s[0:1], s24, v9
	s_waitcnt lgkmcnt(0)
	v_cndmask_b32_e32 v8, v7, v3, vcc
	v_cndmask_b32_e32 v7, v2, v7, vcc
	v_and_b32_e32 v11, s17, v8
	v_and_b32_e32 v12, s17, v7
	v_cmp_le_i32_e64 s[4:5], v12, v11
	s_and_b64 s[2:3], s[2:3], s[4:5]
	s_or_b64 s[0:1], s[0:1], s[2:3]
	v_cndmask_b32_e64 v11, v9, v4, s[0:1]
	v_cndmask_b32_e64 v12, v5, v6, s[0:1]
	v_add_u32_e32 v11, 1, v11
	v_add_u32_e32 v12, -1, v12
	v_min_u32_e32 v12, v11, v12
	v_lshlrev_b32_e32 v12, 2, v12
	ds_read_b32 v12, v12
	v_cndmask_b32_e64 v9, v11, v9, s[0:1]
	v_cndmask_b32_e64 v4, v4, v11, s[0:1]
	v_cmp_gt_u32_e64 s[4:5], s15, v4
	v_cmp_le_u32_e64 s[2:3], s24, v9
	s_waitcnt lgkmcnt(0)
	v_cndmask_b32_e64 v13, v12, v8, s[0:1]
	v_cndmask_b32_e64 v12, v7, v12, s[0:1]
	v_and_b32_e32 v11, s17, v13
	v_and_b32_e32 v14, s17, v12
	v_cmp_le_i32_e64 s[6:7], v14, v11
	s_and_b64 s[4:5], s[4:5], s[6:7]
	s_or_b64 s[2:3], s[2:3], s[4:5]
	v_cndmask_b32_e64 v11, v9, v4, s[2:3]
	v_cndmask_b32_e64 v14, v5, v6, s[2:3]
	v_add_u32_e32 v11, 1, v11
	v_add_u32_e32 v14, -1, v14
	v_min_u32_e32 v14, v11, v14
	v_lshlrev_b32_e32 v14, 2, v14
	ds_read_b32 v14, v14
	v_cndmask_b32_e64 v9, v11, v9, s[2:3]
	v_cndmask_b32_e64 v4, v4, v11, s[2:3]
	v_cmp_gt_u32_e64 s[6:7], s15, v4
	v_cmp_le_u32_e64 s[4:5], s24, v9
	s_waitcnt lgkmcnt(0)
	v_cndmask_b32_e64 v15, v14, v13, s[2:3]
	v_cndmask_b32_e64 v14, v12, v14, s[2:3]
	;; [unrolled: 19-line block ×4, first 2 shown]
	v_and_b32_e32 v4, s17, v19
	v_and_b32_e32 v20, s17, v18
	v_cmp_le_i32_e64 s[12:13], v20, v4
	s_and_b64 s[10:11], s[10:11], s[12:13]
	s_or_b64 s[8:9], s[8:9], s[10:11]
	v_cndmask_b32_e64 v4, v9, v11, s[8:9]
	v_cndmask_b32_e64 v20, v5, v6, s[8:9]
	v_add_u32_e32 v21, 1, v4
	v_add_u32_e32 v4, -1, v20
	v_min_u32_e32 v4, v21, v4
	v_lshlrev_b32_e32 v4, 2, v4
	ds_read_b32 v20, v4
	v_cndmask_b32_e64 v4, v13, v12, s[2:3]
	v_cndmask_b32_e32 v2, v3, v2, vcc
	v_cndmask_b32_e64 v3, v8, v7, s[0:1]
	v_cndmask_b32_e64 v11, v11, v21, s[8:9]
	s_waitcnt lgkmcnt(0)
	v_cndmask_b32_e64 v12, v20, v19, s[8:9]
	v_cndmask_b32_e64 v13, v18, v20, s[8:9]
	v_and_b32_e32 v7, s17, v12
	v_and_b32_e32 v8, s17, v13
	v_cndmask_b32_e64 v9, v21, v9, s[8:9]
	v_cmp_gt_u32_e64 s[0:1], s15, v11
	v_cmp_le_i32_e64 s[2:3], v8, v7
	v_cmp_le_u32_e32 vcc, s24, v9
	s_and_b64 s[0:1], s[0:1], s[2:3]
	s_or_b64 vcc, vcc, s[0:1]
	v_cndmask_b32_e32 v7, v9, v11, vcc
	v_cndmask_b32_e32 v5, v5, v6, vcc
	v_add_u32_e32 v20, 1, v7
	v_add_u32_e32 v5, -1, v5
	v_min_u32_e32 v5, v20, v5
	v_lshlrev_b32_e32 v5, 2, v5
	ds_read_b32 v21, v5
	v_cndmask_b32_e32 v8, v12, v13, vcc
	v_cndmask_b32_e32 v9, v20, v9, vcc
	;; [unrolled: 1-line block ×3, first 2 shown]
	v_cmp_gt_u32_e64 s[0:1], s15, v11
	s_waitcnt lgkmcnt(0)
	v_cndmask_b32_e32 v12, v21, v12, vcc
	v_cndmask_b32_e32 v13, v13, v21, vcc
	v_cmp_le_u32_e32 vcc, s24, v9
	v_and_b32_e32 v9, s17, v12
	v_and_b32_e32 v11, s17, v13
	v_cmp_le_i32_e64 s[2:3], v11, v9
	s_and_b64 s[0:1], s[0:1], s[2:3]
	s_or_b64 vcc, vcc, s[0:1]
	v_cndmask_b32_e64 v5, v15, v14, s[4:5]
	v_cndmask_b32_e64 v6, v17, v16, s[6:7]
	;; [unrolled: 1-line block ×3, first 2 shown]
	v_cndmask_b32_e32 v9, v12, v13, vcc
.LBB1682_29:
	s_or_b64 exec, exec, s[22:23]
	v_and_b32_e32 v11, 0x7c, v0
	v_lshl_add_u32 v10, v10, 2, v11
	s_barrier
	s_barrier
	ds_write2_b32 v10, v2, v3 offset1:1
	ds_write2_b32 v10, v4, v5 offset0:2 offset1:3
	ds_write2_b32 v10, v6, v7 offset0:4 offset1:5
	;; [unrolled: 1-line block ×3, first 2 shown]
	v_lshrrev_b32_e32 v2, 3, v0
	v_and_b32_e32 v2, 12, v2
	v_or_b32_e32 v10, 0x80, v0
	v_add_u32_e32 v11, v1, v2
	v_lshrrev_b32_e32 v2, 3, v10
	v_and_b32_e32 v2, 28, v2
	v_or_b32_e32 v9, 0x100, v0
	v_add_u32_e32 v12, v1, v2
	;; [unrolled: 4-line block ×5, first 2 shown]
	v_lshrrev_b32_e32 v2, 3, v6
	v_and_b32_e32 v2, 0x5c, v2
	v_or_b32_e32 v5, 0x300, v0
	s_mov_b32 s17, 0
	v_add_u32_e32 v16, v1, v2
	v_lshrrev_b32_e32 v2, 3, v5
	s_lshl_b64 s[0:1], s[16:17], 2
	v_and_b32_e32 v2, 0x6c, v2
	v_or_b32_e32 v4, 0x380, v0
	s_add_u32 s0, s20, s0
	v_add_u32_e32 v17, v1, v2
	v_lshrrev_b32_e32 v2, 3, v4
	s_addc_u32 s1, s21, s1
	v_and_b32_e32 v2, 0x7c, v2
	v_add_u32_e32 v18, v1, v2
	v_mov_b32_e32 v3, s1
	v_add_co_u32_e32 v2, vcc, s0, v1
	v_addc_co_u32_e32 v3, vcc, 0, v3, vcc
	s_and_b64 vcc, exec, s[18:19]
	s_waitcnt lgkmcnt(0)
	s_cbranch_vccz .LBB1682_31
; %bb.30:
	s_barrier
	ds_read_b32 v19, v11
	ds_read_b32 v20, v12 offset:512
	ds_read_b32 v21, v13 offset:1024
	;; [unrolled: 1-line block ×7, first 2 shown]
	s_waitcnt lgkmcnt(7)
	global_store_dword v[2:3], v19, off
	s_waitcnt lgkmcnt(6)
	global_store_dword v[2:3], v20, off offset:512
	s_waitcnt lgkmcnt(5)
	global_store_dword v[2:3], v21, off offset:1024
	;; [unrolled: 2-line block ×6, first 2 shown]
	s_mov_b64 s[0:1], -1
	s_cbranch_execz .LBB1682_32
	s_branch .LBB1682_41
.LBB1682_31:
	s_mov_b64 s[0:1], 0
                                        ; implicit-def: $vgpr1
.LBB1682_32:
	s_barrier
	s_waitcnt lgkmcnt(0)
	ds_read_b32 v21, v12 offset:512
	ds_read_b32 v20, v13 offset:1024
	;; [unrolled: 1-line block ×7, first 2 shown]
	s_sub_i32 s2, s14, s16
	v_cmp_gt_u32_e32 vcc, s2, v0
	s_and_saveexec_b64 s[0:1], vcc
	s_cbranch_execnz .LBB1682_46
; %bb.33:
	s_or_b64 exec, exec, s[0:1]
	v_cmp_gt_u32_e32 vcc, s2, v10
	s_and_saveexec_b64 s[0:1], vcc
	s_cbranch_execnz .LBB1682_47
.LBB1682_34:
	s_or_b64 exec, exec, s[0:1]
	v_cmp_gt_u32_e32 vcc, s2, v9
	s_and_saveexec_b64 s[0:1], vcc
	s_cbranch_execnz .LBB1682_48
.LBB1682_35:
	s_or_b64 exec, exec, s[0:1]
	v_cmp_gt_u32_e32 vcc, s2, v8
	s_and_saveexec_b64 s[0:1], vcc
	s_cbranch_execnz .LBB1682_49
.LBB1682_36:
	s_or_b64 exec, exec, s[0:1]
	v_cmp_gt_u32_e32 vcc, s2, v7
	s_and_saveexec_b64 s[0:1], vcc
	s_cbranch_execnz .LBB1682_50
.LBB1682_37:
	s_or_b64 exec, exec, s[0:1]
	v_cmp_gt_u32_e32 vcc, s2, v6
	s_and_saveexec_b64 s[0:1], vcc
	s_cbranch_execnz .LBB1682_51
.LBB1682_38:
	s_or_b64 exec, exec, s[0:1]
	v_cmp_gt_u32_e32 vcc, s2, v5
	s_and_saveexec_b64 s[0:1], vcc
	s_cbranch_execz .LBB1682_40
.LBB1682_39:
	s_waitcnt lgkmcnt(1)
	global_store_dword v[2:3], v12, off offset:3072
.LBB1682_40:
	s_or_b64 exec, exec, s[0:1]
	v_cmp_gt_u32_e64 s[0:1], s2, v4
.LBB1682_41:
	s_and_saveexec_b64 s[2:3], s[0:1]
	s_cbranch_execz .LBB1682_43
; %bb.42:
	s_waitcnt lgkmcnt(0)
	global_store_dword v[2:3], v1, off offset:3584
.LBB1682_43:
	s_endpgm
.LBB1682_44:
	s_waitcnt vmcnt(7)
	v_mov_b32_e32 v2, s12
	s_waitcnt vmcnt(5)
	v_add_co_u32_e32 v4, vcc, s11, v1
	v_mov_b32_e32 v3, 0
	s_waitcnt vmcnt(4)
	v_addc_co_u32_e32 v5, vcc, 0, v2, vcc
	v_subrev_u32_e32 v2, s15, v0
	v_lshlrev_b64 v[2:3], 2, v[2:3]
	s_waitcnt vmcnt(3)
	v_mov_b32_e32 v6, s9
	v_add_co_u32_e32 v2, vcc, s8, v2
	v_addc_co_u32_e32 v3, vcc, v6, v3, vcc
	v_cmp_gt_u32_e32 vcc, s15, v0
	v_cndmask_b32_e32 v3, v3, v5, vcc
	v_cndmask_b32_e32 v2, v2, v4, vcc
	global_load_dword v2, v[2:3], off
	s_or_b64 exec, exec, s[0:1]
	v_cmp_gt_u32_e32 vcc, s24, v12
	s_and_saveexec_b64 s[2:3], vcc
	s_cbranch_execz .LBB1682_6
.LBB1682_45:
	v_mov_b32_e32 v13, 0
	v_lshlrev_b64 v[14:15], 2, v[12:13]
	s_waitcnt vmcnt(6)
	v_mov_b32_e32 v3, s12
	v_add_co_u32_e32 v11, vcc, s11, v14
	v_addc_co_u32_e32 v3, vcc, v3, v15, vcc
	v_cmp_gt_u32_e32 vcc, s15, v12
	v_subrev_u32_e32 v12, s15, v12
	v_lshlrev_b64 v[12:13], 2, v[12:13]
	v_mov_b32_e32 v14, s9
	v_add_co_u32_e64 v12, s[0:1], s8, v12
	v_addc_co_u32_e64 v13, s[0:1], v14, v13, s[0:1]
	v_cndmask_b32_e32 v13, v13, v3, vcc
	v_cndmask_b32_e32 v12, v12, v11, vcc
	global_load_dword v3, v[12:13], off
	s_or_b64 exec, exec, s[2:3]
	v_cmp_gt_u32_e32 vcc, s24, v10
	s_and_saveexec_b64 s[0:1], vcc
	s_cbranch_execnz .LBB1682_7
	s_branch .LBB1682_8
.LBB1682_46:
	ds_read_b32 v0, v11
	s_waitcnt lgkmcnt(0)
	global_store_dword v[2:3], v0, off
	s_or_b64 exec, exec, s[0:1]
	v_cmp_gt_u32_e32 vcc, s2, v10
	s_and_saveexec_b64 s[0:1], vcc
	s_cbranch_execz .LBB1682_34
.LBB1682_47:
	s_waitcnt lgkmcnt(6)
	global_store_dword v[2:3], v21, off offset:512
	s_or_b64 exec, exec, s[0:1]
	v_cmp_gt_u32_e32 vcc, s2, v9
	s_and_saveexec_b64 s[0:1], vcc
	s_cbranch_execz .LBB1682_35
.LBB1682_48:
	s_waitcnt lgkmcnt(5)
	global_store_dword v[2:3], v20, off offset:1024
	s_or_b64 exec, exec, s[0:1]
	v_cmp_gt_u32_e32 vcc, s2, v8
	s_and_saveexec_b64 s[0:1], vcc
	s_cbranch_execz .LBB1682_36
.LBB1682_49:
	s_waitcnt lgkmcnt(4)
	global_store_dword v[2:3], v19, off offset:1536
	s_or_b64 exec, exec, s[0:1]
	v_cmp_gt_u32_e32 vcc, s2, v7
	s_and_saveexec_b64 s[0:1], vcc
	s_cbranch_execz .LBB1682_37
.LBB1682_50:
	s_waitcnt lgkmcnt(3)
	global_store_dword v[2:3], v14, off offset:2048
	s_or_b64 exec, exec, s[0:1]
	v_cmp_gt_u32_e32 vcc, s2, v6
	s_and_saveexec_b64 s[0:1], vcc
	s_cbranch_execz .LBB1682_38
.LBB1682_51:
	s_waitcnt lgkmcnt(2)
	global_store_dword v[2:3], v13, off offset:2560
	s_or_b64 exec, exec, s[0:1]
	v_cmp_gt_u32_e32 vcc, s2, v5
	s_and_saveexec_b64 s[0:1], vcc
	s_cbranch_execnz .LBB1682_39
	s_branch .LBB1682_40
	.section	.rodata,"a",@progbits
	.p2align	6, 0x0
	.amdhsa_kernel _ZN7rocprim17ROCPRIM_400000_NS6detail17trampoline_kernelINS0_14default_configENS1_38merge_sort_block_merge_config_selectorIiNS0_10empty_typeEEEZZNS1_27merge_sort_block_merge_implIS3_N6thrust23THRUST_200600_302600_NS6detail15normal_iteratorINS9_10device_ptrIiEEEEPS5_jNS1_19radix_merge_compareILb0ELb1EiNS0_19identity_decomposerEEEEE10hipError_tT0_T1_T2_jT3_P12ihipStream_tbPNSt15iterator_traitsISK_E10value_typeEPNSQ_ISL_E10value_typeEPSM_NS1_7vsmem_tEENKUlT_SK_SL_SM_E_clIPiSE_SF_SF_EESJ_SZ_SK_SL_SM_EUlSZ_E0_NS1_11comp_targetILNS1_3genE4ELNS1_11target_archE910ELNS1_3gpuE8ELNS1_3repE0EEENS1_38merge_mergepath_config_static_selectorELNS0_4arch9wavefront6targetE1EEEvSL_
		.amdhsa_group_segment_fixed_size 4224
		.amdhsa_private_segment_fixed_size 0
		.amdhsa_kernarg_size 320
		.amdhsa_user_sgpr_count 6
		.amdhsa_user_sgpr_private_segment_buffer 1
		.amdhsa_user_sgpr_dispatch_ptr 0
		.amdhsa_user_sgpr_queue_ptr 0
		.amdhsa_user_sgpr_kernarg_segment_ptr 1
		.amdhsa_user_sgpr_dispatch_id 0
		.amdhsa_user_sgpr_flat_scratch_init 0
		.amdhsa_user_sgpr_kernarg_preload_length 0
		.amdhsa_user_sgpr_kernarg_preload_offset 0
		.amdhsa_user_sgpr_private_segment_size 0
		.amdhsa_uses_dynamic_stack 0
		.amdhsa_system_sgpr_private_segment_wavefront_offset 0
		.amdhsa_system_sgpr_workgroup_id_x 1
		.amdhsa_system_sgpr_workgroup_id_y 1
		.amdhsa_system_sgpr_workgroup_id_z 1
		.amdhsa_system_sgpr_workgroup_info 0
		.amdhsa_system_vgpr_workitem_id 0
		.amdhsa_next_free_vgpr 26
		.amdhsa_next_free_sgpr 25
		.amdhsa_accum_offset 28
		.amdhsa_reserve_vcc 1
		.amdhsa_reserve_flat_scratch 0
		.amdhsa_float_round_mode_32 0
		.amdhsa_float_round_mode_16_64 0
		.amdhsa_float_denorm_mode_32 3
		.amdhsa_float_denorm_mode_16_64 3
		.amdhsa_dx10_clamp 1
		.amdhsa_ieee_mode 1
		.amdhsa_fp16_overflow 0
		.amdhsa_tg_split 0
		.amdhsa_exception_fp_ieee_invalid_op 0
		.amdhsa_exception_fp_denorm_src 0
		.amdhsa_exception_fp_ieee_div_zero 0
		.amdhsa_exception_fp_ieee_overflow 0
		.amdhsa_exception_fp_ieee_underflow 0
		.amdhsa_exception_fp_ieee_inexact 0
		.amdhsa_exception_int_div_zero 0
	.end_amdhsa_kernel
	.section	.text._ZN7rocprim17ROCPRIM_400000_NS6detail17trampoline_kernelINS0_14default_configENS1_38merge_sort_block_merge_config_selectorIiNS0_10empty_typeEEEZZNS1_27merge_sort_block_merge_implIS3_N6thrust23THRUST_200600_302600_NS6detail15normal_iteratorINS9_10device_ptrIiEEEEPS5_jNS1_19radix_merge_compareILb0ELb1EiNS0_19identity_decomposerEEEEE10hipError_tT0_T1_T2_jT3_P12ihipStream_tbPNSt15iterator_traitsISK_E10value_typeEPNSQ_ISL_E10value_typeEPSM_NS1_7vsmem_tEENKUlT_SK_SL_SM_E_clIPiSE_SF_SF_EESJ_SZ_SK_SL_SM_EUlSZ_E0_NS1_11comp_targetILNS1_3genE4ELNS1_11target_archE910ELNS1_3gpuE8ELNS1_3repE0EEENS1_38merge_mergepath_config_static_selectorELNS0_4arch9wavefront6targetE1EEEvSL_,"axG",@progbits,_ZN7rocprim17ROCPRIM_400000_NS6detail17trampoline_kernelINS0_14default_configENS1_38merge_sort_block_merge_config_selectorIiNS0_10empty_typeEEEZZNS1_27merge_sort_block_merge_implIS3_N6thrust23THRUST_200600_302600_NS6detail15normal_iteratorINS9_10device_ptrIiEEEEPS5_jNS1_19radix_merge_compareILb0ELb1EiNS0_19identity_decomposerEEEEE10hipError_tT0_T1_T2_jT3_P12ihipStream_tbPNSt15iterator_traitsISK_E10value_typeEPNSQ_ISL_E10value_typeEPSM_NS1_7vsmem_tEENKUlT_SK_SL_SM_E_clIPiSE_SF_SF_EESJ_SZ_SK_SL_SM_EUlSZ_E0_NS1_11comp_targetILNS1_3genE4ELNS1_11target_archE910ELNS1_3gpuE8ELNS1_3repE0EEENS1_38merge_mergepath_config_static_selectorELNS0_4arch9wavefront6targetE1EEEvSL_,comdat
.Lfunc_end1682:
	.size	_ZN7rocprim17ROCPRIM_400000_NS6detail17trampoline_kernelINS0_14default_configENS1_38merge_sort_block_merge_config_selectorIiNS0_10empty_typeEEEZZNS1_27merge_sort_block_merge_implIS3_N6thrust23THRUST_200600_302600_NS6detail15normal_iteratorINS9_10device_ptrIiEEEEPS5_jNS1_19radix_merge_compareILb0ELb1EiNS0_19identity_decomposerEEEEE10hipError_tT0_T1_T2_jT3_P12ihipStream_tbPNSt15iterator_traitsISK_E10value_typeEPNSQ_ISL_E10value_typeEPSM_NS1_7vsmem_tEENKUlT_SK_SL_SM_E_clIPiSE_SF_SF_EESJ_SZ_SK_SL_SM_EUlSZ_E0_NS1_11comp_targetILNS1_3genE4ELNS1_11target_archE910ELNS1_3gpuE8ELNS1_3repE0EEENS1_38merge_mergepath_config_static_selectorELNS0_4arch9wavefront6targetE1EEEvSL_, .Lfunc_end1682-_ZN7rocprim17ROCPRIM_400000_NS6detail17trampoline_kernelINS0_14default_configENS1_38merge_sort_block_merge_config_selectorIiNS0_10empty_typeEEEZZNS1_27merge_sort_block_merge_implIS3_N6thrust23THRUST_200600_302600_NS6detail15normal_iteratorINS9_10device_ptrIiEEEEPS5_jNS1_19radix_merge_compareILb0ELb1EiNS0_19identity_decomposerEEEEE10hipError_tT0_T1_T2_jT3_P12ihipStream_tbPNSt15iterator_traitsISK_E10value_typeEPNSQ_ISL_E10value_typeEPSM_NS1_7vsmem_tEENKUlT_SK_SL_SM_E_clIPiSE_SF_SF_EESJ_SZ_SK_SL_SM_EUlSZ_E0_NS1_11comp_targetILNS1_3genE4ELNS1_11target_archE910ELNS1_3gpuE8ELNS1_3repE0EEENS1_38merge_mergepath_config_static_selectorELNS0_4arch9wavefront6targetE1EEEvSL_
                                        ; -- End function
	.section	.AMDGPU.csdata,"",@progbits
; Kernel info:
; codeLenInByte = 3704
; NumSgprs: 29
; NumVgprs: 26
; NumAgprs: 0
; TotalNumVgprs: 26
; ScratchSize: 0
; MemoryBound: 0
; FloatMode: 240
; IeeeMode: 1
; LDSByteSize: 4224 bytes/workgroup (compile time only)
; SGPRBlocks: 3
; VGPRBlocks: 3
; NumSGPRsForWavesPerEU: 29
; NumVGPRsForWavesPerEU: 26
; AccumOffset: 28
; Occupancy: 8
; WaveLimiterHint : 1
; COMPUTE_PGM_RSRC2:SCRATCH_EN: 0
; COMPUTE_PGM_RSRC2:USER_SGPR: 6
; COMPUTE_PGM_RSRC2:TRAP_HANDLER: 0
; COMPUTE_PGM_RSRC2:TGID_X_EN: 1
; COMPUTE_PGM_RSRC2:TGID_Y_EN: 1
; COMPUTE_PGM_RSRC2:TGID_Z_EN: 1
; COMPUTE_PGM_RSRC2:TIDIG_COMP_CNT: 0
; COMPUTE_PGM_RSRC3_GFX90A:ACCUM_OFFSET: 6
; COMPUTE_PGM_RSRC3_GFX90A:TG_SPLIT: 0
	.section	.text._ZN7rocprim17ROCPRIM_400000_NS6detail17trampoline_kernelINS0_14default_configENS1_38merge_sort_block_merge_config_selectorIiNS0_10empty_typeEEEZZNS1_27merge_sort_block_merge_implIS3_N6thrust23THRUST_200600_302600_NS6detail15normal_iteratorINS9_10device_ptrIiEEEEPS5_jNS1_19radix_merge_compareILb0ELb1EiNS0_19identity_decomposerEEEEE10hipError_tT0_T1_T2_jT3_P12ihipStream_tbPNSt15iterator_traitsISK_E10value_typeEPNSQ_ISL_E10value_typeEPSM_NS1_7vsmem_tEENKUlT_SK_SL_SM_E_clIPiSE_SF_SF_EESJ_SZ_SK_SL_SM_EUlSZ_E0_NS1_11comp_targetILNS1_3genE3ELNS1_11target_archE908ELNS1_3gpuE7ELNS1_3repE0EEENS1_38merge_mergepath_config_static_selectorELNS0_4arch9wavefront6targetE1EEEvSL_,"axG",@progbits,_ZN7rocprim17ROCPRIM_400000_NS6detail17trampoline_kernelINS0_14default_configENS1_38merge_sort_block_merge_config_selectorIiNS0_10empty_typeEEEZZNS1_27merge_sort_block_merge_implIS3_N6thrust23THRUST_200600_302600_NS6detail15normal_iteratorINS9_10device_ptrIiEEEEPS5_jNS1_19radix_merge_compareILb0ELb1EiNS0_19identity_decomposerEEEEE10hipError_tT0_T1_T2_jT3_P12ihipStream_tbPNSt15iterator_traitsISK_E10value_typeEPNSQ_ISL_E10value_typeEPSM_NS1_7vsmem_tEENKUlT_SK_SL_SM_E_clIPiSE_SF_SF_EESJ_SZ_SK_SL_SM_EUlSZ_E0_NS1_11comp_targetILNS1_3genE3ELNS1_11target_archE908ELNS1_3gpuE7ELNS1_3repE0EEENS1_38merge_mergepath_config_static_selectorELNS0_4arch9wavefront6targetE1EEEvSL_,comdat
	.protected	_ZN7rocprim17ROCPRIM_400000_NS6detail17trampoline_kernelINS0_14default_configENS1_38merge_sort_block_merge_config_selectorIiNS0_10empty_typeEEEZZNS1_27merge_sort_block_merge_implIS3_N6thrust23THRUST_200600_302600_NS6detail15normal_iteratorINS9_10device_ptrIiEEEEPS5_jNS1_19radix_merge_compareILb0ELb1EiNS0_19identity_decomposerEEEEE10hipError_tT0_T1_T2_jT3_P12ihipStream_tbPNSt15iterator_traitsISK_E10value_typeEPNSQ_ISL_E10value_typeEPSM_NS1_7vsmem_tEENKUlT_SK_SL_SM_E_clIPiSE_SF_SF_EESJ_SZ_SK_SL_SM_EUlSZ_E0_NS1_11comp_targetILNS1_3genE3ELNS1_11target_archE908ELNS1_3gpuE7ELNS1_3repE0EEENS1_38merge_mergepath_config_static_selectorELNS0_4arch9wavefront6targetE1EEEvSL_ ; -- Begin function _ZN7rocprim17ROCPRIM_400000_NS6detail17trampoline_kernelINS0_14default_configENS1_38merge_sort_block_merge_config_selectorIiNS0_10empty_typeEEEZZNS1_27merge_sort_block_merge_implIS3_N6thrust23THRUST_200600_302600_NS6detail15normal_iteratorINS9_10device_ptrIiEEEEPS5_jNS1_19radix_merge_compareILb0ELb1EiNS0_19identity_decomposerEEEEE10hipError_tT0_T1_T2_jT3_P12ihipStream_tbPNSt15iterator_traitsISK_E10value_typeEPNSQ_ISL_E10value_typeEPSM_NS1_7vsmem_tEENKUlT_SK_SL_SM_E_clIPiSE_SF_SF_EESJ_SZ_SK_SL_SM_EUlSZ_E0_NS1_11comp_targetILNS1_3genE3ELNS1_11target_archE908ELNS1_3gpuE7ELNS1_3repE0EEENS1_38merge_mergepath_config_static_selectorELNS0_4arch9wavefront6targetE1EEEvSL_
	.globl	_ZN7rocprim17ROCPRIM_400000_NS6detail17trampoline_kernelINS0_14default_configENS1_38merge_sort_block_merge_config_selectorIiNS0_10empty_typeEEEZZNS1_27merge_sort_block_merge_implIS3_N6thrust23THRUST_200600_302600_NS6detail15normal_iteratorINS9_10device_ptrIiEEEEPS5_jNS1_19radix_merge_compareILb0ELb1EiNS0_19identity_decomposerEEEEE10hipError_tT0_T1_T2_jT3_P12ihipStream_tbPNSt15iterator_traitsISK_E10value_typeEPNSQ_ISL_E10value_typeEPSM_NS1_7vsmem_tEENKUlT_SK_SL_SM_E_clIPiSE_SF_SF_EESJ_SZ_SK_SL_SM_EUlSZ_E0_NS1_11comp_targetILNS1_3genE3ELNS1_11target_archE908ELNS1_3gpuE7ELNS1_3repE0EEENS1_38merge_mergepath_config_static_selectorELNS0_4arch9wavefront6targetE1EEEvSL_
	.p2align	8
	.type	_ZN7rocprim17ROCPRIM_400000_NS6detail17trampoline_kernelINS0_14default_configENS1_38merge_sort_block_merge_config_selectorIiNS0_10empty_typeEEEZZNS1_27merge_sort_block_merge_implIS3_N6thrust23THRUST_200600_302600_NS6detail15normal_iteratorINS9_10device_ptrIiEEEEPS5_jNS1_19radix_merge_compareILb0ELb1EiNS0_19identity_decomposerEEEEE10hipError_tT0_T1_T2_jT3_P12ihipStream_tbPNSt15iterator_traitsISK_E10value_typeEPNSQ_ISL_E10value_typeEPSM_NS1_7vsmem_tEENKUlT_SK_SL_SM_E_clIPiSE_SF_SF_EESJ_SZ_SK_SL_SM_EUlSZ_E0_NS1_11comp_targetILNS1_3genE3ELNS1_11target_archE908ELNS1_3gpuE7ELNS1_3repE0EEENS1_38merge_mergepath_config_static_selectorELNS0_4arch9wavefront6targetE1EEEvSL_,@function
_ZN7rocprim17ROCPRIM_400000_NS6detail17trampoline_kernelINS0_14default_configENS1_38merge_sort_block_merge_config_selectorIiNS0_10empty_typeEEEZZNS1_27merge_sort_block_merge_implIS3_N6thrust23THRUST_200600_302600_NS6detail15normal_iteratorINS9_10device_ptrIiEEEEPS5_jNS1_19radix_merge_compareILb0ELb1EiNS0_19identity_decomposerEEEEE10hipError_tT0_T1_T2_jT3_P12ihipStream_tbPNSt15iterator_traitsISK_E10value_typeEPNSQ_ISL_E10value_typeEPSM_NS1_7vsmem_tEENKUlT_SK_SL_SM_E_clIPiSE_SF_SF_EESJ_SZ_SK_SL_SM_EUlSZ_E0_NS1_11comp_targetILNS1_3genE3ELNS1_11target_archE908ELNS1_3gpuE7ELNS1_3repE0EEENS1_38merge_mergepath_config_static_selectorELNS0_4arch9wavefront6targetE1EEEvSL_: ; @_ZN7rocprim17ROCPRIM_400000_NS6detail17trampoline_kernelINS0_14default_configENS1_38merge_sort_block_merge_config_selectorIiNS0_10empty_typeEEEZZNS1_27merge_sort_block_merge_implIS3_N6thrust23THRUST_200600_302600_NS6detail15normal_iteratorINS9_10device_ptrIiEEEEPS5_jNS1_19radix_merge_compareILb0ELb1EiNS0_19identity_decomposerEEEEE10hipError_tT0_T1_T2_jT3_P12ihipStream_tbPNSt15iterator_traitsISK_E10value_typeEPNSQ_ISL_E10value_typeEPSM_NS1_7vsmem_tEENKUlT_SK_SL_SM_E_clIPiSE_SF_SF_EESJ_SZ_SK_SL_SM_EUlSZ_E0_NS1_11comp_targetILNS1_3genE3ELNS1_11target_archE908ELNS1_3gpuE7ELNS1_3repE0EEENS1_38merge_mergepath_config_static_selectorELNS0_4arch9wavefront6targetE1EEEvSL_
; %bb.0:
	.section	.rodata,"a",@progbits
	.p2align	6, 0x0
	.amdhsa_kernel _ZN7rocprim17ROCPRIM_400000_NS6detail17trampoline_kernelINS0_14default_configENS1_38merge_sort_block_merge_config_selectorIiNS0_10empty_typeEEEZZNS1_27merge_sort_block_merge_implIS3_N6thrust23THRUST_200600_302600_NS6detail15normal_iteratorINS9_10device_ptrIiEEEEPS5_jNS1_19radix_merge_compareILb0ELb1EiNS0_19identity_decomposerEEEEE10hipError_tT0_T1_T2_jT3_P12ihipStream_tbPNSt15iterator_traitsISK_E10value_typeEPNSQ_ISL_E10value_typeEPSM_NS1_7vsmem_tEENKUlT_SK_SL_SM_E_clIPiSE_SF_SF_EESJ_SZ_SK_SL_SM_EUlSZ_E0_NS1_11comp_targetILNS1_3genE3ELNS1_11target_archE908ELNS1_3gpuE7ELNS1_3repE0EEENS1_38merge_mergepath_config_static_selectorELNS0_4arch9wavefront6targetE1EEEvSL_
		.amdhsa_group_segment_fixed_size 0
		.amdhsa_private_segment_fixed_size 0
		.amdhsa_kernarg_size 64
		.amdhsa_user_sgpr_count 6
		.amdhsa_user_sgpr_private_segment_buffer 1
		.amdhsa_user_sgpr_dispatch_ptr 0
		.amdhsa_user_sgpr_queue_ptr 0
		.amdhsa_user_sgpr_kernarg_segment_ptr 1
		.amdhsa_user_sgpr_dispatch_id 0
		.amdhsa_user_sgpr_flat_scratch_init 0
		.amdhsa_user_sgpr_kernarg_preload_length 0
		.amdhsa_user_sgpr_kernarg_preload_offset 0
		.amdhsa_user_sgpr_private_segment_size 0
		.amdhsa_uses_dynamic_stack 0
		.amdhsa_system_sgpr_private_segment_wavefront_offset 0
		.amdhsa_system_sgpr_workgroup_id_x 1
		.amdhsa_system_sgpr_workgroup_id_y 0
		.amdhsa_system_sgpr_workgroup_id_z 0
		.amdhsa_system_sgpr_workgroup_info 0
		.amdhsa_system_vgpr_workitem_id 0
		.amdhsa_next_free_vgpr 1
		.amdhsa_next_free_sgpr 0
		.amdhsa_accum_offset 4
		.amdhsa_reserve_vcc 0
		.amdhsa_reserve_flat_scratch 0
		.amdhsa_float_round_mode_32 0
		.amdhsa_float_round_mode_16_64 0
		.amdhsa_float_denorm_mode_32 3
		.amdhsa_float_denorm_mode_16_64 3
		.amdhsa_dx10_clamp 1
		.amdhsa_ieee_mode 1
		.amdhsa_fp16_overflow 0
		.amdhsa_tg_split 0
		.amdhsa_exception_fp_ieee_invalid_op 0
		.amdhsa_exception_fp_denorm_src 0
		.amdhsa_exception_fp_ieee_div_zero 0
		.amdhsa_exception_fp_ieee_overflow 0
		.amdhsa_exception_fp_ieee_underflow 0
		.amdhsa_exception_fp_ieee_inexact 0
		.amdhsa_exception_int_div_zero 0
	.end_amdhsa_kernel
	.section	.text._ZN7rocprim17ROCPRIM_400000_NS6detail17trampoline_kernelINS0_14default_configENS1_38merge_sort_block_merge_config_selectorIiNS0_10empty_typeEEEZZNS1_27merge_sort_block_merge_implIS3_N6thrust23THRUST_200600_302600_NS6detail15normal_iteratorINS9_10device_ptrIiEEEEPS5_jNS1_19radix_merge_compareILb0ELb1EiNS0_19identity_decomposerEEEEE10hipError_tT0_T1_T2_jT3_P12ihipStream_tbPNSt15iterator_traitsISK_E10value_typeEPNSQ_ISL_E10value_typeEPSM_NS1_7vsmem_tEENKUlT_SK_SL_SM_E_clIPiSE_SF_SF_EESJ_SZ_SK_SL_SM_EUlSZ_E0_NS1_11comp_targetILNS1_3genE3ELNS1_11target_archE908ELNS1_3gpuE7ELNS1_3repE0EEENS1_38merge_mergepath_config_static_selectorELNS0_4arch9wavefront6targetE1EEEvSL_,"axG",@progbits,_ZN7rocprim17ROCPRIM_400000_NS6detail17trampoline_kernelINS0_14default_configENS1_38merge_sort_block_merge_config_selectorIiNS0_10empty_typeEEEZZNS1_27merge_sort_block_merge_implIS3_N6thrust23THRUST_200600_302600_NS6detail15normal_iteratorINS9_10device_ptrIiEEEEPS5_jNS1_19radix_merge_compareILb0ELb1EiNS0_19identity_decomposerEEEEE10hipError_tT0_T1_T2_jT3_P12ihipStream_tbPNSt15iterator_traitsISK_E10value_typeEPNSQ_ISL_E10value_typeEPSM_NS1_7vsmem_tEENKUlT_SK_SL_SM_E_clIPiSE_SF_SF_EESJ_SZ_SK_SL_SM_EUlSZ_E0_NS1_11comp_targetILNS1_3genE3ELNS1_11target_archE908ELNS1_3gpuE7ELNS1_3repE0EEENS1_38merge_mergepath_config_static_selectorELNS0_4arch9wavefront6targetE1EEEvSL_,comdat
.Lfunc_end1683:
	.size	_ZN7rocprim17ROCPRIM_400000_NS6detail17trampoline_kernelINS0_14default_configENS1_38merge_sort_block_merge_config_selectorIiNS0_10empty_typeEEEZZNS1_27merge_sort_block_merge_implIS3_N6thrust23THRUST_200600_302600_NS6detail15normal_iteratorINS9_10device_ptrIiEEEEPS5_jNS1_19radix_merge_compareILb0ELb1EiNS0_19identity_decomposerEEEEE10hipError_tT0_T1_T2_jT3_P12ihipStream_tbPNSt15iterator_traitsISK_E10value_typeEPNSQ_ISL_E10value_typeEPSM_NS1_7vsmem_tEENKUlT_SK_SL_SM_E_clIPiSE_SF_SF_EESJ_SZ_SK_SL_SM_EUlSZ_E0_NS1_11comp_targetILNS1_3genE3ELNS1_11target_archE908ELNS1_3gpuE7ELNS1_3repE0EEENS1_38merge_mergepath_config_static_selectorELNS0_4arch9wavefront6targetE1EEEvSL_, .Lfunc_end1683-_ZN7rocprim17ROCPRIM_400000_NS6detail17trampoline_kernelINS0_14default_configENS1_38merge_sort_block_merge_config_selectorIiNS0_10empty_typeEEEZZNS1_27merge_sort_block_merge_implIS3_N6thrust23THRUST_200600_302600_NS6detail15normal_iteratorINS9_10device_ptrIiEEEEPS5_jNS1_19radix_merge_compareILb0ELb1EiNS0_19identity_decomposerEEEEE10hipError_tT0_T1_T2_jT3_P12ihipStream_tbPNSt15iterator_traitsISK_E10value_typeEPNSQ_ISL_E10value_typeEPSM_NS1_7vsmem_tEENKUlT_SK_SL_SM_E_clIPiSE_SF_SF_EESJ_SZ_SK_SL_SM_EUlSZ_E0_NS1_11comp_targetILNS1_3genE3ELNS1_11target_archE908ELNS1_3gpuE7ELNS1_3repE0EEENS1_38merge_mergepath_config_static_selectorELNS0_4arch9wavefront6targetE1EEEvSL_
                                        ; -- End function
	.section	.AMDGPU.csdata,"",@progbits
; Kernel info:
; codeLenInByte = 0
; NumSgprs: 4
; NumVgprs: 0
; NumAgprs: 0
; TotalNumVgprs: 0
; ScratchSize: 0
; MemoryBound: 0
; FloatMode: 240
; IeeeMode: 1
; LDSByteSize: 0 bytes/workgroup (compile time only)
; SGPRBlocks: 0
; VGPRBlocks: 0
; NumSGPRsForWavesPerEU: 4
; NumVGPRsForWavesPerEU: 1
; AccumOffset: 4
; Occupancy: 8
; WaveLimiterHint : 0
; COMPUTE_PGM_RSRC2:SCRATCH_EN: 0
; COMPUTE_PGM_RSRC2:USER_SGPR: 6
; COMPUTE_PGM_RSRC2:TRAP_HANDLER: 0
; COMPUTE_PGM_RSRC2:TGID_X_EN: 1
; COMPUTE_PGM_RSRC2:TGID_Y_EN: 0
; COMPUTE_PGM_RSRC2:TGID_Z_EN: 0
; COMPUTE_PGM_RSRC2:TIDIG_COMP_CNT: 0
; COMPUTE_PGM_RSRC3_GFX90A:ACCUM_OFFSET: 0
; COMPUTE_PGM_RSRC3_GFX90A:TG_SPLIT: 0
	.section	.text._ZN7rocprim17ROCPRIM_400000_NS6detail17trampoline_kernelINS0_14default_configENS1_38merge_sort_block_merge_config_selectorIiNS0_10empty_typeEEEZZNS1_27merge_sort_block_merge_implIS3_N6thrust23THRUST_200600_302600_NS6detail15normal_iteratorINS9_10device_ptrIiEEEEPS5_jNS1_19radix_merge_compareILb0ELb1EiNS0_19identity_decomposerEEEEE10hipError_tT0_T1_T2_jT3_P12ihipStream_tbPNSt15iterator_traitsISK_E10value_typeEPNSQ_ISL_E10value_typeEPSM_NS1_7vsmem_tEENKUlT_SK_SL_SM_E_clIPiSE_SF_SF_EESJ_SZ_SK_SL_SM_EUlSZ_E0_NS1_11comp_targetILNS1_3genE2ELNS1_11target_archE906ELNS1_3gpuE6ELNS1_3repE0EEENS1_38merge_mergepath_config_static_selectorELNS0_4arch9wavefront6targetE1EEEvSL_,"axG",@progbits,_ZN7rocprim17ROCPRIM_400000_NS6detail17trampoline_kernelINS0_14default_configENS1_38merge_sort_block_merge_config_selectorIiNS0_10empty_typeEEEZZNS1_27merge_sort_block_merge_implIS3_N6thrust23THRUST_200600_302600_NS6detail15normal_iteratorINS9_10device_ptrIiEEEEPS5_jNS1_19radix_merge_compareILb0ELb1EiNS0_19identity_decomposerEEEEE10hipError_tT0_T1_T2_jT3_P12ihipStream_tbPNSt15iterator_traitsISK_E10value_typeEPNSQ_ISL_E10value_typeEPSM_NS1_7vsmem_tEENKUlT_SK_SL_SM_E_clIPiSE_SF_SF_EESJ_SZ_SK_SL_SM_EUlSZ_E0_NS1_11comp_targetILNS1_3genE2ELNS1_11target_archE906ELNS1_3gpuE6ELNS1_3repE0EEENS1_38merge_mergepath_config_static_selectorELNS0_4arch9wavefront6targetE1EEEvSL_,comdat
	.protected	_ZN7rocprim17ROCPRIM_400000_NS6detail17trampoline_kernelINS0_14default_configENS1_38merge_sort_block_merge_config_selectorIiNS0_10empty_typeEEEZZNS1_27merge_sort_block_merge_implIS3_N6thrust23THRUST_200600_302600_NS6detail15normal_iteratorINS9_10device_ptrIiEEEEPS5_jNS1_19radix_merge_compareILb0ELb1EiNS0_19identity_decomposerEEEEE10hipError_tT0_T1_T2_jT3_P12ihipStream_tbPNSt15iterator_traitsISK_E10value_typeEPNSQ_ISL_E10value_typeEPSM_NS1_7vsmem_tEENKUlT_SK_SL_SM_E_clIPiSE_SF_SF_EESJ_SZ_SK_SL_SM_EUlSZ_E0_NS1_11comp_targetILNS1_3genE2ELNS1_11target_archE906ELNS1_3gpuE6ELNS1_3repE0EEENS1_38merge_mergepath_config_static_selectorELNS0_4arch9wavefront6targetE1EEEvSL_ ; -- Begin function _ZN7rocprim17ROCPRIM_400000_NS6detail17trampoline_kernelINS0_14default_configENS1_38merge_sort_block_merge_config_selectorIiNS0_10empty_typeEEEZZNS1_27merge_sort_block_merge_implIS3_N6thrust23THRUST_200600_302600_NS6detail15normal_iteratorINS9_10device_ptrIiEEEEPS5_jNS1_19radix_merge_compareILb0ELb1EiNS0_19identity_decomposerEEEEE10hipError_tT0_T1_T2_jT3_P12ihipStream_tbPNSt15iterator_traitsISK_E10value_typeEPNSQ_ISL_E10value_typeEPSM_NS1_7vsmem_tEENKUlT_SK_SL_SM_E_clIPiSE_SF_SF_EESJ_SZ_SK_SL_SM_EUlSZ_E0_NS1_11comp_targetILNS1_3genE2ELNS1_11target_archE906ELNS1_3gpuE6ELNS1_3repE0EEENS1_38merge_mergepath_config_static_selectorELNS0_4arch9wavefront6targetE1EEEvSL_
	.globl	_ZN7rocprim17ROCPRIM_400000_NS6detail17trampoline_kernelINS0_14default_configENS1_38merge_sort_block_merge_config_selectorIiNS0_10empty_typeEEEZZNS1_27merge_sort_block_merge_implIS3_N6thrust23THRUST_200600_302600_NS6detail15normal_iteratorINS9_10device_ptrIiEEEEPS5_jNS1_19radix_merge_compareILb0ELb1EiNS0_19identity_decomposerEEEEE10hipError_tT0_T1_T2_jT3_P12ihipStream_tbPNSt15iterator_traitsISK_E10value_typeEPNSQ_ISL_E10value_typeEPSM_NS1_7vsmem_tEENKUlT_SK_SL_SM_E_clIPiSE_SF_SF_EESJ_SZ_SK_SL_SM_EUlSZ_E0_NS1_11comp_targetILNS1_3genE2ELNS1_11target_archE906ELNS1_3gpuE6ELNS1_3repE0EEENS1_38merge_mergepath_config_static_selectorELNS0_4arch9wavefront6targetE1EEEvSL_
	.p2align	8
	.type	_ZN7rocprim17ROCPRIM_400000_NS6detail17trampoline_kernelINS0_14default_configENS1_38merge_sort_block_merge_config_selectorIiNS0_10empty_typeEEEZZNS1_27merge_sort_block_merge_implIS3_N6thrust23THRUST_200600_302600_NS6detail15normal_iteratorINS9_10device_ptrIiEEEEPS5_jNS1_19radix_merge_compareILb0ELb1EiNS0_19identity_decomposerEEEEE10hipError_tT0_T1_T2_jT3_P12ihipStream_tbPNSt15iterator_traitsISK_E10value_typeEPNSQ_ISL_E10value_typeEPSM_NS1_7vsmem_tEENKUlT_SK_SL_SM_E_clIPiSE_SF_SF_EESJ_SZ_SK_SL_SM_EUlSZ_E0_NS1_11comp_targetILNS1_3genE2ELNS1_11target_archE906ELNS1_3gpuE6ELNS1_3repE0EEENS1_38merge_mergepath_config_static_selectorELNS0_4arch9wavefront6targetE1EEEvSL_,@function
_ZN7rocprim17ROCPRIM_400000_NS6detail17trampoline_kernelINS0_14default_configENS1_38merge_sort_block_merge_config_selectorIiNS0_10empty_typeEEEZZNS1_27merge_sort_block_merge_implIS3_N6thrust23THRUST_200600_302600_NS6detail15normal_iteratorINS9_10device_ptrIiEEEEPS5_jNS1_19radix_merge_compareILb0ELb1EiNS0_19identity_decomposerEEEEE10hipError_tT0_T1_T2_jT3_P12ihipStream_tbPNSt15iterator_traitsISK_E10value_typeEPNSQ_ISL_E10value_typeEPSM_NS1_7vsmem_tEENKUlT_SK_SL_SM_E_clIPiSE_SF_SF_EESJ_SZ_SK_SL_SM_EUlSZ_E0_NS1_11comp_targetILNS1_3genE2ELNS1_11target_archE906ELNS1_3gpuE6ELNS1_3repE0EEENS1_38merge_mergepath_config_static_selectorELNS0_4arch9wavefront6targetE1EEEvSL_: ; @_ZN7rocprim17ROCPRIM_400000_NS6detail17trampoline_kernelINS0_14default_configENS1_38merge_sort_block_merge_config_selectorIiNS0_10empty_typeEEEZZNS1_27merge_sort_block_merge_implIS3_N6thrust23THRUST_200600_302600_NS6detail15normal_iteratorINS9_10device_ptrIiEEEEPS5_jNS1_19radix_merge_compareILb0ELb1EiNS0_19identity_decomposerEEEEE10hipError_tT0_T1_T2_jT3_P12ihipStream_tbPNSt15iterator_traitsISK_E10value_typeEPNSQ_ISL_E10value_typeEPSM_NS1_7vsmem_tEENKUlT_SK_SL_SM_E_clIPiSE_SF_SF_EESJ_SZ_SK_SL_SM_EUlSZ_E0_NS1_11comp_targetILNS1_3genE2ELNS1_11target_archE906ELNS1_3gpuE6ELNS1_3repE0EEENS1_38merge_mergepath_config_static_selectorELNS0_4arch9wavefront6targetE1EEEvSL_
; %bb.0:
	.section	.rodata,"a",@progbits
	.p2align	6, 0x0
	.amdhsa_kernel _ZN7rocprim17ROCPRIM_400000_NS6detail17trampoline_kernelINS0_14default_configENS1_38merge_sort_block_merge_config_selectorIiNS0_10empty_typeEEEZZNS1_27merge_sort_block_merge_implIS3_N6thrust23THRUST_200600_302600_NS6detail15normal_iteratorINS9_10device_ptrIiEEEEPS5_jNS1_19radix_merge_compareILb0ELb1EiNS0_19identity_decomposerEEEEE10hipError_tT0_T1_T2_jT3_P12ihipStream_tbPNSt15iterator_traitsISK_E10value_typeEPNSQ_ISL_E10value_typeEPSM_NS1_7vsmem_tEENKUlT_SK_SL_SM_E_clIPiSE_SF_SF_EESJ_SZ_SK_SL_SM_EUlSZ_E0_NS1_11comp_targetILNS1_3genE2ELNS1_11target_archE906ELNS1_3gpuE6ELNS1_3repE0EEENS1_38merge_mergepath_config_static_selectorELNS0_4arch9wavefront6targetE1EEEvSL_
		.amdhsa_group_segment_fixed_size 0
		.amdhsa_private_segment_fixed_size 0
		.amdhsa_kernarg_size 64
		.amdhsa_user_sgpr_count 6
		.amdhsa_user_sgpr_private_segment_buffer 1
		.amdhsa_user_sgpr_dispatch_ptr 0
		.amdhsa_user_sgpr_queue_ptr 0
		.amdhsa_user_sgpr_kernarg_segment_ptr 1
		.amdhsa_user_sgpr_dispatch_id 0
		.amdhsa_user_sgpr_flat_scratch_init 0
		.amdhsa_user_sgpr_kernarg_preload_length 0
		.amdhsa_user_sgpr_kernarg_preload_offset 0
		.amdhsa_user_sgpr_private_segment_size 0
		.amdhsa_uses_dynamic_stack 0
		.amdhsa_system_sgpr_private_segment_wavefront_offset 0
		.amdhsa_system_sgpr_workgroup_id_x 1
		.amdhsa_system_sgpr_workgroup_id_y 0
		.amdhsa_system_sgpr_workgroup_id_z 0
		.amdhsa_system_sgpr_workgroup_info 0
		.amdhsa_system_vgpr_workitem_id 0
		.amdhsa_next_free_vgpr 1
		.amdhsa_next_free_sgpr 0
		.amdhsa_accum_offset 4
		.amdhsa_reserve_vcc 0
		.amdhsa_reserve_flat_scratch 0
		.amdhsa_float_round_mode_32 0
		.amdhsa_float_round_mode_16_64 0
		.amdhsa_float_denorm_mode_32 3
		.amdhsa_float_denorm_mode_16_64 3
		.amdhsa_dx10_clamp 1
		.amdhsa_ieee_mode 1
		.amdhsa_fp16_overflow 0
		.amdhsa_tg_split 0
		.amdhsa_exception_fp_ieee_invalid_op 0
		.amdhsa_exception_fp_denorm_src 0
		.amdhsa_exception_fp_ieee_div_zero 0
		.amdhsa_exception_fp_ieee_overflow 0
		.amdhsa_exception_fp_ieee_underflow 0
		.amdhsa_exception_fp_ieee_inexact 0
		.amdhsa_exception_int_div_zero 0
	.end_amdhsa_kernel
	.section	.text._ZN7rocprim17ROCPRIM_400000_NS6detail17trampoline_kernelINS0_14default_configENS1_38merge_sort_block_merge_config_selectorIiNS0_10empty_typeEEEZZNS1_27merge_sort_block_merge_implIS3_N6thrust23THRUST_200600_302600_NS6detail15normal_iteratorINS9_10device_ptrIiEEEEPS5_jNS1_19radix_merge_compareILb0ELb1EiNS0_19identity_decomposerEEEEE10hipError_tT0_T1_T2_jT3_P12ihipStream_tbPNSt15iterator_traitsISK_E10value_typeEPNSQ_ISL_E10value_typeEPSM_NS1_7vsmem_tEENKUlT_SK_SL_SM_E_clIPiSE_SF_SF_EESJ_SZ_SK_SL_SM_EUlSZ_E0_NS1_11comp_targetILNS1_3genE2ELNS1_11target_archE906ELNS1_3gpuE6ELNS1_3repE0EEENS1_38merge_mergepath_config_static_selectorELNS0_4arch9wavefront6targetE1EEEvSL_,"axG",@progbits,_ZN7rocprim17ROCPRIM_400000_NS6detail17trampoline_kernelINS0_14default_configENS1_38merge_sort_block_merge_config_selectorIiNS0_10empty_typeEEEZZNS1_27merge_sort_block_merge_implIS3_N6thrust23THRUST_200600_302600_NS6detail15normal_iteratorINS9_10device_ptrIiEEEEPS5_jNS1_19radix_merge_compareILb0ELb1EiNS0_19identity_decomposerEEEEE10hipError_tT0_T1_T2_jT3_P12ihipStream_tbPNSt15iterator_traitsISK_E10value_typeEPNSQ_ISL_E10value_typeEPSM_NS1_7vsmem_tEENKUlT_SK_SL_SM_E_clIPiSE_SF_SF_EESJ_SZ_SK_SL_SM_EUlSZ_E0_NS1_11comp_targetILNS1_3genE2ELNS1_11target_archE906ELNS1_3gpuE6ELNS1_3repE0EEENS1_38merge_mergepath_config_static_selectorELNS0_4arch9wavefront6targetE1EEEvSL_,comdat
.Lfunc_end1684:
	.size	_ZN7rocprim17ROCPRIM_400000_NS6detail17trampoline_kernelINS0_14default_configENS1_38merge_sort_block_merge_config_selectorIiNS0_10empty_typeEEEZZNS1_27merge_sort_block_merge_implIS3_N6thrust23THRUST_200600_302600_NS6detail15normal_iteratorINS9_10device_ptrIiEEEEPS5_jNS1_19radix_merge_compareILb0ELb1EiNS0_19identity_decomposerEEEEE10hipError_tT0_T1_T2_jT3_P12ihipStream_tbPNSt15iterator_traitsISK_E10value_typeEPNSQ_ISL_E10value_typeEPSM_NS1_7vsmem_tEENKUlT_SK_SL_SM_E_clIPiSE_SF_SF_EESJ_SZ_SK_SL_SM_EUlSZ_E0_NS1_11comp_targetILNS1_3genE2ELNS1_11target_archE906ELNS1_3gpuE6ELNS1_3repE0EEENS1_38merge_mergepath_config_static_selectorELNS0_4arch9wavefront6targetE1EEEvSL_, .Lfunc_end1684-_ZN7rocprim17ROCPRIM_400000_NS6detail17trampoline_kernelINS0_14default_configENS1_38merge_sort_block_merge_config_selectorIiNS0_10empty_typeEEEZZNS1_27merge_sort_block_merge_implIS3_N6thrust23THRUST_200600_302600_NS6detail15normal_iteratorINS9_10device_ptrIiEEEEPS5_jNS1_19radix_merge_compareILb0ELb1EiNS0_19identity_decomposerEEEEE10hipError_tT0_T1_T2_jT3_P12ihipStream_tbPNSt15iterator_traitsISK_E10value_typeEPNSQ_ISL_E10value_typeEPSM_NS1_7vsmem_tEENKUlT_SK_SL_SM_E_clIPiSE_SF_SF_EESJ_SZ_SK_SL_SM_EUlSZ_E0_NS1_11comp_targetILNS1_3genE2ELNS1_11target_archE906ELNS1_3gpuE6ELNS1_3repE0EEENS1_38merge_mergepath_config_static_selectorELNS0_4arch9wavefront6targetE1EEEvSL_
                                        ; -- End function
	.section	.AMDGPU.csdata,"",@progbits
; Kernel info:
; codeLenInByte = 0
; NumSgprs: 4
; NumVgprs: 0
; NumAgprs: 0
; TotalNumVgprs: 0
; ScratchSize: 0
; MemoryBound: 0
; FloatMode: 240
; IeeeMode: 1
; LDSByteSize: 0 bytes/workgroup (compile time only)
; SGPRBlocks: 0
; VGPRBlocks: 0
; NumSGPRsForWavesPerEU: 4
; NumVGPRsForWavesPerEU: 1
; AccumOffset: 4
; Occupancy: 8
; WaveLimiterHint : 0
; COMPUTE_PGM_RSRC2:SCRATCH_EN: 0
; COMPUTE_PGM_RSRC2:USER_SGPR: 6
; COMPUTE_PGM_RSRC2:TRAP_HANDLER: 0
; COMPUTE_PGM_RSRC2:TGID_X_EN: 1
; COMPUTE_PGM_RSRC2:TGID_Y_EN: 0
; COMPUTE_PGM_RSRC2:TGID_Z_EN: 0
; COMPUTE_PGM_RSRC2:TIDIG_COMP_CNT: 0
; COMPUTE_PGM_RSRC3_GFX90A:ACCUM_OFFSET: 0
; COMPUTE_PGM_RSRC3_GFX90A:TG_SPLIT: 0
	.section	.text._ZN7rocprim17ROCPRIM_400000_NS6detail17trampoline_kernelINS0_14default_configENS1_38merge_sort_block_merge_config_selectorIiNS0_10empty_typeEEEZZNS1_27merge_sort_block_merge_implIS3_N6thrust23THRUST_200600_302600_NS6detail15normal_iteratorINS9_10device_ptrIiEEEEPS5_jNS1_19radix_merge_compareILb0ELb1EiNS0_19identity_decomposerEEEEE10hipError_tT0_T1_T2_jT3_P12ihipStream_tbPNSt15iterator_traitsISK_E10value_typeEPNSQ_ISL_E10value_typeEPSM_NS1_7vsmem_tEENKUlT_SK_SL_SM_E_clIPiSE_SF_SF_EESJ_SZ_SK_SL_SM_EUlSZ_E0_NS1_11comp_targetILNS1_3genE9ELNS1_11target_archE1100ELNS1_3gpuE3ELNS1_3repE0EEENS1_38merge_mergepath_config_static_selectorELNS0_4arch9wavefront6targetE1EEEvSL_,"axG",@progbits,_ZN7rocprim17ROCPRIM_400000_NS6detail17trampoline_kernelINS0_14default_configENS1_38merge_sort_block_merge_config_selectorIiNS0_10empty_typeEEEZZNS1_27merge_sort_block_merge_implIS3_N6thrust23THRUST_200600_302600_NS6detail15normal_iteratorINS9_10device_ptrIiEEEEPS5_jNS1_19radix_merge_compareILb0ELb1EiNS0_19identity_decomposerEEEEE10hipError_tT0_T1_T2_jT3_P12ihipStream_tbPNSt15iterator_traitsISK_E10value_typeEPNSQ_ISL_E10value_typeEPSM_NS1_7vsmem_tEENKUlT_SK_SL_SM_E_clIPiSE_SF_SF_EESJ_SZ_SK_SL_SM_EUlSZ_E0_NS1_11comp_targetILNS1_3genE9ELNS1_11target_archE1100ELNS1_3gpuE3ELNS1_3repE0EEENS1_38merge_mergepath_config_static_selectorELNS0_4arch9wavefront6targetE1EEEvSL_,comdat
	.protected	_ZN7rocprim17ROCPRIM_400000_NS6detail17trampoline_kernelINS0_14default_configENS1_38merge_sort_block_merge_config_selectorIiNS0_10empty_typeEEEZZNS1_27merge_sort_block_merge_implIS3_N6thrust23THRUST_200600_302600_NS6detail15normal_iteratorINS9_10device_ptrIiEEEEPS5_jNS1_19radix_merge_compareILb0ELb1EiNS0_19identity_decomposerEEEEE10hipError_tT0_T1_T2_jT3_P12ihipStream_tbPNSt15iterator_traitsISK_E10value_typeEPNSQ_ISL_E10value_typeEPSM_NS1_7vsmem_tEENKUlT_SK_SL_SM_E_clIPiSE_SF_SF_EESJ_SZ_SK_SL_SM_EUlSZ_E0_NS1_11comp_targetILNS1_3genE9ELNS1_11target_archE1100ELNS1_3gpuE3ELNS1_3repE0EEENS1_38merge_mergepath_config_static_selectorELNS0_4arch9wavefront6targetE1EEEvSL_ ; -- Begin function _ZN7rocprim17ROCPRIM_400000_NS6detail17trampoline_kernelINS0_14default_configENS1_38merge_sort_block_merge_config_selectorIiNS0_10empty_typeEEEZZNS1_27merge_sort_block_merge_implIS3_N6thrust23THRUST_200600_302600_NS6detail15normal_iteratorINS9_10device_ptrIiEEEEPS5_jNS1_19radix_merge_compareILb0ELb1EiNS0_19identity_decomposerEEEEE10hipError_tT0_T1_T2_jT3_P12ihipStream_tbPNSt15iterator_traitsISK_E10value_typeEPNSQ_ISL_E10value_typeEPSM_NS1_7vsmem_tEENKUlT_SK_SL_SM_E_clIPiSE_SF_SF_EESJ_SZ_SK_SL_SM_EUlSZ_E0_NS1_11comp_targetILNS1_3genE9ELNS1_11target_archE1100ELNS1_3gpuE3ELNS1_3repE0EEENS1_38merge_mergepath_config_static_selectorELNS0_4arch9wavefront6targetE1EEEvSL_
	.globl	_ZN7rocprim17ROCPRIM_400000_NS6detail17trampoline_kernelINS0_14default_configENS1_38merge_sort_block_merge_config_selectorIiNS0_10empty_typeEEEZZNS1_27merge_sort_block_merge_implIS3_N6thrust23THRUST_200600_302600_NS6detail15normal_iteratorINS9_10device_ptrIiEEEEPS5_jNS1_19radix_merge_compareILb0ELb1EiNS0_19identity_decomposerEEEEE10hipError_tT0_T1_T2_jT3_P12ihipStream_tbPNSt15iterator_traitsISK_E10value_typeEPNSQ_ISL_E10value_typeEPSM_NS1_7vsmem_tEENKUlT_SK_SL_SM_E_clIPiSE_SF_SF_EESJ_SZ_SK_SL_SM_EUlSZ_E0_NS1_11comp_targetILNS1_3genE9ELNS1_11target_archE1100ELNS1_3gpuE3ELNS1_3repE0EEENS1_38merge_mergepath_config_static_selectorELNS0_4arch9wavefront6targetE1EEEvSL_
	.p2align	8
	.type	_ZN7rocprim17ROCPRIM_400000_NS6detail17trampoline_kernelINS0_14default_configENS1_38merge_sort_block_merge_config_selectorIiNS0_10empty_typeEEEZZNS1_27merge_sort_block_merge_implIS3_N6thrust23THRUST_200600_302600_NS6detail15normal_iteratorINS9_10device_ptrIiEEEEPS5_jNS1_19radix_merge_compareILb0ELb1EiNS0_19identity_decomposerEEEEE10hipError_tT0_T1_T2_jT3_P12ihipStream_tbPNSt15iterator_traitsISK_E10value_typeEPNSQ_ISL_E10value_typeEPSM_NS1_7vsmem_tEENKUlT_SK_SL_SM_E_clIPiSE_SF_SF_EESJ_SZ_SK_SL_SM_EUlSZ_E0_NS1_11comp_targetILNS1_3genE9ELNS1_11target_archE1100ELNS1_3gpuE3ELNS1_3repE0EEENS1_38merge_mergepath_config_static_selectorELNS0_4arch9wavefront6targetE1EEEvSL_,@function
_ZN7rocprim17ROCPRIM_400000_NS6detail17trampoline_kernelINS0_14default_configENS1_38merge_sort_block_merge_config_selectorIiNS0_10empty_typeEEEZZNS1_27merge_sort_block_merge_implIS3_N6thrust23THRUST_200600_302600_NS6detail15normal_iteratorINS9_10device_ptrIiEEEEPS5_jNS1_19radix_merge_compareILb0ELb1EiNS0_19identity_decomposerEEEEE10hipError_tT0_T1_T2_jT3_P12ihipStream_tbPNSt15iterator_traitsISK_E10value_typeEPNSQ_ISL_E10value_typeEPSM_NS1_7vsmem_tEENKUlT_SK_SL_SM_E_clIPiSE_SF_SF_EESJ_SZ_SK_SL_SM_EUlSZ_E0_NS1_11comp_targetILNS1_3genE9ELNS1_11target_archE1100ELNS1_3gpuE3ELNS1_3repE0EEENS1_38merge_mergepath_config_static_selectorELNS0_4arch9wavefront6targetE1EEEvSL_: ; @_ZN7rocprim17ROCPRIM_400000_NS6detail17trampoline_kernelINS0_14default_configENS1_38merge_sort_block_merge_config_selectorIiNS0_10empty_typeEEEZZNS1_27merge_sort_block_merge_implIS3_N6thrust23THRUST_200600_302600_NS6detail15normal_iteratorINS9_10device_ptrIiEEEEPS5_jNS1_19radix_merge_compareILb0ELb1EiNS0_19identity_decomposerEEEEE10hipError_tT0_T1_T2_jT3_P12ihipStream_tbPNSt15iterator_traitsISK_E10value_typeEPNSQ_ISL_E10value_typeEPSM_NS1_7vsmem_tEENKUlT_SK_SL_SM_E_clIPiSE_SF_SF_EESJ_SZ_SK_SL_SM_EUlSZ_E0_NS1_11comp_targetILNS1_3genE9ELNS1_11target_archE1100ELNS1_3gpuE3ELNS1_3repE0EEENS1_38merge_mergepath_config_static_selectorELNS0_4arch9wavefront6targetE1EEEvSL_
; %bb.0:
	.section	.rodata,"a",@progbits
	.p2align	6, 0x0
	.amdhsa_kernel _ZN7rocprim17ROCPRIM_400000_NS6detail17trampoline_kernelINS0_14default_configENS1_38merge_sort_block_merge_config_selectorIiNS0_10empty_typeEEEZZNS1_27merge_sort_block_merge_implIS3_N6thrust23THRUST_200600_302600_NS6detail15normal_iteratorINS9_10device_ptrIiEEEEPS5_jNS1_19radix_merge_compareILb0ELb1EiNS0_19identity_decomposerEEEEE10hipError_tT0_T1_T2_jT3_P12ihipStream_tbPNSt15iterator_traitsISK_E10value_typeEPNSQ_ISL_E10value_typeEPSM_NS1_7vsmem_tEENKUlT_SK_SL_SM_E_clIPiSE_SF_SF_EESJ_SZ_SK_SL_SM_EUlSZ_E0_NS1_11comp_targetILNS1_3genE9ELNS1_11target_archE1100ELNS1_3gpuE3ELNS1_3repE0EEENS1_38merge_mergepath_config_static_selectorELNS0_4arch9wavefront6targetE1EEEvSL_
		.amdhsa_group_segment_fixed_size 0
		.amdhsa_private_segment_fixed_size 0
		.amdhsa_kernarg_size 64
		.amdhsa_user_sgpr_count 6
		.amdhsa_user_sgpr_private_segment_buffer 1
		.amdhsa_user_sgpr_dispatch_ptr 0
		.amdhsa_user_sgpr_queue_ptr 0
		.amdhsa_user_sgpr_kernarg_segment_ptr 1
		.amdhsa_user_sgpr_dispatch_id 0
		.amdhsa_user_sgpr_flat_scratch_init 0
		.amdhsa_user_sgpr_kernarg_preload_length 0
		.amdhsa_user_sgpr_kernarg_preload_offset 0
		.amdhsa_user_sgpr_private_segment_size 0
		.amdhsa_uses_dynamic_stack 0
		.amdhsa_system_sgpr_private_segment_wavefront_offset 0
		.amdhsa_system_sgpr_workgroup_id_x 1
		.amdhsa_system_sgpr_workgroup_id_y 0
		.amdhsa_system_sgpr_workgroup_id_z 0
		.amdhsa_system_sgpr_workgroup_info 0
		.amdhsa_system_vgpr_workitem_id 0
		.amdhsa_next_free_vgpr 1
		.amdhsa_next_free_sgpr 0
		.amdhsa_accum_offset 4
		.amdhsa_reserve_vcc 0
		.amdhsa_reserve_flat_scratch 0
		.amdhsa_float_round_mode_32 0
		.amdhsa_float_round_mode_16_64 0
		.amdhsa_float_denorm_mode_32 3
		.amdhsa_float_denorm_mode_16_64 3
		.amdhsa_dx10_clamp 1
		.amdhsa_ieee_mode 1
		.amdhsa_fp16_overflow 0
		.amdhsa_tg_split 0
		.amdhsa_exception_fp_ieee_invalid_op 0
		.amdhsa_exception_fp_denorm_src 0
		.amdhsa_exception_fp_ieee_div_zero 0
		.amdhsa_exception_fp_ieee_overflow 0
		.amdhsa_exception_fp_ieee_underflow 0
		.amdhsa_exception_fp_ieee_inexact 0
		.amdhsa_exception_int_div_zero 0
	.end_amdhsa_kernel
	.section	.text._ZN7rocprim17ROCPRIM_400000_NS6detail17trampoline_kernelINS0_14default_configENS1_38merge_sort_block_merge_config_selectorIiNS0_10empty_typeEEEZZNS1_27merge_sort_block_merge_implIS3_N6thrust23THRUST_200600_302600_NS6detail15normal_iteratorINS9_10device_ptrIiEEEEPS5_jNS1_19radix_merge_compareILb0ELb1EiNS0_19identity_decomposerEEEEE10hipError_tT0_T1_T2_jT3_P12ihipStream_tbPNSt15iterator_traitsISK_E10value_typeEPNSQ_ISL_E10value_typeEPSM_NS1_7vsmem_tEENKUlT_SK_SL_SM_E_clIPiSE_SF_SF_EESJ_SZ_SK_SL_SM_EUlSZ_E0_NS1_11comp_targetILNS1_3genE9ELNS1_11target_archE1100ELNS1_3gpuE3ELNS1_3repE0EEENS1_38merge_mergepath_config_static_selectorELNS0_4arch9wavefront6targetE1EEEvSL_,"axG",@progbits,_ZN7rocprim17ROCPRIM_400000_NS6detail17trampoline_kernelINS0_14default_configENS1_38merge_sort_block_merge_config_selectorIiNS0_10empty_typeEEEZZNS1_27merge_sort_block_merge_implIS3_N6thrust23THRUST_200600_302600_NS6detail15normal_iteratorINS9_10device_ptrIiEEEEPS5_jNS1_19radix_merge_compareILb0ELb1EiNS0_19identity_decomposerEEEEE10hipError_tT0_T1_T2_jT3_P12ihipStream_tbPNSt15iterator_traitsISK_E10value_typeEPNSQ_ISL_E10value_typeEPSM_NS1_7vsmem_tEENKUlT_SK_SL_SM_E_clIPiSE_SF_SF_EESJ_SZ_SK_SL_SM_EUlSZ_E0_NS1_11comp_targetILNS1_3genE9ELNS1_11target_archE1100ELNS1_3gpuE3ELNS1_3repE0EEENS1_38merge_mergepath_config_static_selectorELNS0_4arch9wavefront6targetE1EEEvSL_,comdat
.Lfunc_end1685:
	.size	_ZN7rocprim17ROCPRIM_400000_NS6detail17trampoline_kernelINS0_14default_configENS1_38merge_sort_block_merge_config_selectorIiNS0_10empty_typeEEEZZNS1_27merge_sort_block_merge_implIS3_N6thrust23THRUST_200600_302600_NS6detail15normal_iteratorINS9_10device_ptrIiEEEEPS5_jNS1_19radix_merge_compareILb0ELb1EiNS0_19identity_decomposerEEEEE10hipError_tT0_T1_T2_jT3_P12ihipStream_tbPNSt15iterator_traitsISK_E10value_typeEPNSQ_ISL_E10value_typeEPSM_NS1_7vsmem_tEENKUlT_SK_SL_SM_E_clIPiSE_SF_SF_EESJ_SZ_SK_SL_SM_EUlSZ_E0_NS1_11comp_targetILNS1_3genE9ELNS1_11target_archE1100ELNS1_3gpuE3ELNS1_3repE0EEENS1_38merge_mergepath_config_static_selectorELNS0_4arch9wavefront6targetE1EEEvSL_, .Lfunc_end1685-_ZN7rocprim17ROCPRIM_400000_NS6detail17trampoline_kernelINS0_14default_configENS1_38merge_sort_block_merge_config_selectorIiNS0_10empty_typeEEEZZNS1_27merge_sort_block_merge_implIS3_N6thrust23THRUST_200600_302600_NS6detail15normal_iteratorINS9_10device_ptrIiEEEEPS5_jNS1_19radix_merge_compareILb0ELb1EiNS0_19identity_decomposerEEEEE10hipError_tT0_T1_T2_jT3_P12ihipStream_tbPNSt15iterator_traitsISK_E10value_typeEPNSQ_ISL_E10value_typeEPSM_NS1_7vsmem_tEENKUlT_SK_SL_SM_E_clIPiSE_SF_SF_EESJ_SZ_SK_SL_SM_EUlSZ_E0_NS1_11comp_targetILNS1_3genE9ELNS1_11target_archE1100ELNS1_3gpuE3ELNS1_3repE0EEENS1_38merge_mergepath_config_static_selectorELNS0_4arch9wavefront6targetE1EEEvSL_
                                        ; -- End function
	.section	.AMDGPU.csdata,"",@progbits
; Kernel info:
; codeLenInByte = 0
; NumSgprs: 4
; NumVgprs: 0
; NumAgprs: 0
; TotalNumVgprs: 0
; ScratchSize: 0
; MemoryBound: 0
; FloatMode: 240
; IeeeMode: 1
; LDSByteSize: 0 bytes/workgroup (compile time only)
; SGPRBlocks: 0
; VGPRBlocks: 0
; NumSGPRsForWavesPerEU: 4
; NumVGPRsForWavesPerEU: 1
; AccumOffset: 4
; Occupancy: 8
; WaveLimiterHint : 0
; COMPUTE_PGM_RSRC2:SCRATCH_EN: 0
; COMPUTE_PGM_RSRC2:USER_SGPR: 6
; COMPUTE_PGM_RSRC2:TRAP_HANDLER: 0
; COMPUTE_PGM_RSRC2:TGID_X_EN: 1
; COMPUTE_PGM_RSRC2:TGID_Y_EN: 0
; COMPUTE_PGM_RSRC2:TGID_Z_EN: 0
; COMPUTE_PGM_RSRC2:TIDIG_COMP_CNT: 0
; COMPUTE_PGM_RSRC3_GFX90A:ACCUM_OFFSET: 0
; COMPUTE_PGM_RSRC3_GFX90A:TG_SPLIT: 0
	.section	.text._ZN7rocprim17ROCPRIM_400000_NS6detail17trampoline_kernelINS0_14default_configENS1_38merge_sort_block_merge_config_selectorIiNS0_10empty_typeEEEZZNS1_27merge_sort_block_merge_implIS3_N6thrust23THRUST_200600_302600_NS6detail15normal_iteratorINS9_10device_ptrIiEEEEPS5_jNS1_19radix_merge_compareILb0ELb1EiNS0_19identity_decomposerEEEEE10hipError_tT0_T1_T2_jT3_P12ihipStream_tbPNSt15iterator_traitsISK_E10value_typeEPNSQ_ISL_E10value_typeEPSM_NS1_7vsmem_tEENKUlT_SK_SL_SM_E_clIPiSE_SF_SF_EESJ_SZ_SK_SL_SM_EUlSZ_E0_NS1_11comp_targetILNS1_3genE8ELNS1_11target_archE1030ELNS1_3gpuE2ELNS1_3repE0EEENS1_38merge_mergepath_config_static_selectorELNS0_4arch9wavefront6targetE1EEEvSL_,"axG",@progbits,_ZN7rocprim17ROCPRIM_400000_NS6detail17trampoline_kernelINS0_14default_configENS1_38merge_sort_block_merge_config_selectorIiNS0_10empty_typeEEEZZNS1_27merge_sort_block_merge_implIS3_N6thrust23THRUST_200600_302600_NS6detail15normal_iteratorINS9_10device_ptrIiEEEEPS5_jNS1_19radix_merge_compareILb0ELb1EiNS0_19identity_decomposerEEEEE10hipError_tT0_T1_T2_jT3_P12ihipStream_tbPNSt15iterator_traitsISK_E10value_typeEPNSQ_ISL_E10value_typeEPSM_NS1_7vsmem_tEENKUlT_SK_SL_SM_E_clIPiSE_SF_SF_EESJ_SZ_SK_SL_SM_EUlSZ_E0_NS1_11comp_targetILNS1_3genE8ELNS1_11target_archE1030ELNS1_3gpuE2ELNS1_3repE0EEENS1_38merge_mergepath_config_static_selectorELNS0_4arch9wavefront6targetE1EEEvSL_,comdat
	.protected	_ZN7rocprim17ROCPRIM_400000_NS6detail17trampoline_kernelINS0_14default_configENS1_38merge_sort_block_merge_config_selectorIiNS0_10empty_typeEEEZZNS1_27merge_sort_block_merge_implIS3_N6thrust23THRUST_200600_302600_NS6detail15normal_iteratorINS9_10device_ptrIiEEEEPS5_jNS1_19radix_merge_compareILb0ELb1EiNS0_19identity_decomposerEEEEE10hipError_tT0_T1_T2_jT3_P12ihipStream_tbPNSt15iterator_traitsISK_E10value_typeEPNSQ_ISL_E10value_typeEPSM_NS1_7vsmem_tEENKUlT_SK_SL_SM_E_clIPiSE_SF_SF_EESJ_SZ_SK_SL_SM_EUlSZ_E0_NS1_11comp_targetILNS1_3genE8ELNS1_11target_archE1030ELNS1_3gpuE2ELNS1_3repE0EEENS1_38merge_mergepath_config_static_selectorELNS0_4arch9wavefront6targetE1EEEvSL_ ; -- Begin function _ZN7rocprim17ROCPRIM_400000_NS6detail17trampoline_kernelINS0_14default_configENS1_38merge_sort_block_merge_config_selectorIiNS0_10empty_typeEEEZZNS1_27merge_sort_block_merge_implIS3_N6thrust23THRUST_200600_302600_NS6detail15normal_iteratorINS9_10device_ptrIiEEEEPS5_jNS1_19radix_merge_compareILb0ELb1EiNS0_19identity_decomposerEEEEE10hipError_tT0_T1_T2_jT3_P12ihipStream_tbPNSt15iterator_traitsISK_E10value_typeEPNSQ_ISL_E10value_typeEPSM_NS1_7vsmem_tEENKUlT_SK_SL_SM_E_clIPiSE_SF_SF_EESJ_SZ_SK_SL_SM_EUlSZ_E0_NS1_11comp_targetILNS1_3genE8ELNS1_11target_archE1030ELNS1_3gpuE2ELNS1_3repE0EEENS1_38merge_mergepath_config_static_selectorELNS0_4arch9wavefront6targetE1EEEvSL_
	.globl	_ZN7rocprim17ROCPRIM_400000_NS6detail17trampoline_kernelINS0_14default_configENS1_38merge_sort_block_merge_config_selectorIiNS0_10empty_typeEEEZZNS1_27merge_sort_block_merge_implIS3_N6thrust23THRUST_200600_302600_NS6detail15normal_iteratorINS9_10device_ptrIiEEEEPS5_jNS1_19radix_merge_compareILb0ELb1EiNS0_19identity_decomposerEEEEE10hipError_tT0_T1_T2_jT3_P12ihipStream_tbPNSt15iterator_traitsISK_E10value_typeEPNSQ_ISL_E10value_typeEPSM_NS1_7vsmem_tEENKUlT_SK_SL_SM_E_clIPiSE_SF_SF_EESJ_SZ_SK_SL_SM_EUlSZ_E0_NS1_11comp_targetILNS1_3genE8ELNS1_11target_archE1030ELNS1_3gpuE2ELNS1_3repE0EEENS1_38merge_mergepath_config_static_selectorELNS0_4arch9wavefront6targetE1EEEvSL_
	.p2align	8
	.type	_ZN7rocprim17ROCPRIM_400000_NS6detail17trampoline_kernelINS0_14default_configENS1_38merge_sort_block_merge_config_selectorIiNS0_10empty_typeEEEZZNS1_27merge_sort_block_merge_implIS3_N6thrust23THRUST_200600_302600_NS6detail15normal_iteratorINS9_10device_ptrIiEEEEPS5_jNS1_19radix_merge_compareILb0ELb1EiNS0_19identity_decomposerEEEEE10hipError_tT0_T1_T2_jT3_P12ihipStream_tbPNSt15iterator_traitsISK_E10value_typeEPNSQ_ISL_E10value_typeEPSM_NS1_7vsmem_tEENKUlT_SK_SL_SM_E_clIPiSE_SF_SF_EESJ_SZ_SK_SL_SM_EUlSZ_E0_NS1_11comp_targetILNS1_3genE8ELNS1_11target_archE1030ELNS1_3gpuE2ELNS1_3repE0EEENS1_38merge_mergepath_config_static_selectorELNS0_4arch9wavefront6targetE1EEEvSL_,@function
_ZN7rocprim17ROCPRIM_400000_NS6detail17trampoline_kernelINS0_14default_configENS1_38merge_sort_block_merge_config_selectorIiNS0_10empty_typeEEEZZNS1_27merge_sort_block_merge_implIS3_N6thrust23THRUST_200600_302600_NS6detail15normal_iteratorINS9_10device_ptrIiEEEEPS5_jNS1_19radix_merge_compareILb0ELb1EiNS0_19identity_decomposerEEEEE10hipError_tT0_T1_T2_jT3_P12ihipStream_tbPNSt15iterator_traitsISK_E10value_typeEPNSQ_ISL_E10value_typeEPSM_NS1_7vsmem_tEENKUlT_SK_SL_SM_E_clIPiSE_SF_SF_EESJ_SZ_SK_SL_SM_EUlSZ_E0_NS1_11comp_targetILNS1_3genE8ELNS1_11target_archE1030ELNS1_3gpuE2ELNS1_3repE0EEENS1_38merge_mergepath_config_static_selectorELNS0_4arch9wavefront6targetE1EEEvSL_: ; @_ZN7rocprim17ROCPRIM_400000_NS6detail17trampoline_kernelINS0_14default_configENS1_38merge_sort_block_merge_config_selectorIiNS0_10empty_typeEEEZZNS1_27merge_sort_block_merge_implIS3_N6thrust23THRUST_200600_302600_NS6detail15normal_iteratorINS9_10device_ptrIiEEEEPS5_jNS1_19radix_merge_compareILb0ELb1EiNS0_19identity_decomposerEEEEE10hipError_tT0_T1_T2_jT3_P12ihipStream_tbPNSt15iterator_traitsISK_E10value_typeEPNSQ_ISL_E10value_typeEPSM_NS1_7vsmem_tEENKUlT_SK_SL_SM_E_clIPiSE_SF_SF_EESJ_SZ_SK_SL_SM_EUlSZ_E0_NS1_11comp_targetILNS1_3genE8ELNS1_11target_archE1030ELNS1_3gpuE2ELNS1_3repE0EEENS1_38merge_mergepath_config_static_selectorELNS0_4arch9wavefront6targetE1EEEvSL_
; %bb.0:
	.section	.rodata,"a",@progbits
	.p2align	6, 0x0
	.amdhsa_kernel _ZN7rocprim17ROCPRIM_400000_NS6detail17trampoline_kernelINS0_14default_configENS1_38merge_sort_block_merge_config_selectorIiNS0_10empty_typeEEEZZNS1_27merge_sort_block_merge_implIS3_N6thrust23THRUST_200600_302600_NS6detail15normal_iteratorINS9_10device_ptrIiEEEEPS5_jNS1_19radix_merge_compareILb0ELb1EiNS0_19identity_decomposerEEEEE10hipError_tT0_T1_T2_jT3_P12ihipStream_tbPNSt15iterator_traitsISK_E10value_typeEPNSQ_ISL_E10value_typeEPSM_NS1_7vsmem_tEENKUlT_SK_SL_SM_E_clIPiSE_SF_SF_EESJ_SZ_SK_SL_SM_EUlSZ_E0_NS1_11comp_targetILNS1_3genE8ELNS1_11target_archE1030ELNS1_3gpuE2ELNS1_3repE0EEENS1_38merge_mergepath_config_static_selectorELNS0_4arch9wavefront6targetE1EEEvSL_
		.amdhsa_group_segment_fixed_size 0
		.amdhsa_private_segment_fixed_size 0
		.amdhsa_kernarg_size 64
		.amdhsa_user_sgpr_count 6
		.amdhsa_user_sgpr_private_segment_buffer 1
		.amdhsa_user_sgpr_dispatch_ptr 0
		.amdhsa_user_sgpr_queue_ptr 0
		.amdhsa_user_sgpr_kernarg_segment_ptr 1
		.amdhsa_user_sgpr_dispatch_id 0
		.amdhsa_user_sgpr_flat_scratch_init 0
		.amdhsa_user_sgpr_kernarg_preload_length 0
		.amdhsa_user_sgpr_kernarg_preload_offset 0
		.amdhsa_user_sgpr_private_segment_size 0
		.amdhsa_uses_dynamic_stack 0
		.amdhsa_system_sgpr_private_segment_wavefront_offset 0
		.amdhsa_system_sgpr_workgroup_id_x 1
		.amdhsa_system_sgpr_workgroup_id_y 0
		.amdhsa_system_sgpr_workgroup_id_z 0
		.amdhsa_system_sgpr_workgroup_info 0
		.amdhsa_system_vgpr_workitem_id 0
		.amdhsa_next_free_vgpr 1
		.amdhsa_next_free_sgpr 0
		.amdhsa_accum_offset 4
		.amdhsa_reserve_vcc 0
		.amdhsa_reserve_flat_scratch 0
		.amdhsa_float_round_mode_32 0
		.amdhsa_float_round_mode_16_64 0
		.amdhsa_float_denorm_mode_32 3
		.amdhsa_float_denorm_mode_16_64 3
		.amdhsa_dx10_clamp 1
		.amdhsa_ieee_mode 1
		.amdhsa_fp16_overflow 0
		.amdhsa_tg_split 0
		.amdhsa_exception_fp_ieee_invalid_op 0
		.amdhsa_exception_fp_denorm_src 0
		.amdhsa_exception_fp_ieee_div_zero 0
		.amdhsa_exception_fp_ieee_overflow 0
		.amdhsa_exception_fp_ieee_underflow 0
		.amdhsa_exception_fp_ieee_inexact 0
		.amdhsa_exception_int_div_zero 0
	.end_amdhsa_kernel
	.section	.text._ZN7rocprim17ROCPRIM_400000_NS6detail17trampoline_kernelINS0_14default_configENS1_38merge_sort_block_merge_config_selectorIiNS0_10empty_typeEEEZZNS1_27merge_sort_block_merge_implIS3_N6thrust23THRUST_200600_302600_NS6detail15normal_iteratorINS9_10device_ptrIiEEEEPS5_jNS1_19radix_merge_compareILb0ELb1EiNS0_19identity_decomposerEEEEE10hipError_tT0_T1_T2_jT3_P12ihipStream_tbPNSt15iterator_traitsISK_E10value_typeEPNSQ_ISL_E10value_typeEPSM_NS1_7vsmem_tEENKUlT_SK_SL_SM_E_clIPiSE_SF_SF_EESJ_SZ_SK_SL_SM_EUlSZ_E0_NS1_11comp_targetILNS1_3genE8ELNS1_11target_archE1030ELNS1_3gpuE2ELNS1_3repE0EEENS1_38merge_mergepath_config_static_selectorELNS0_4arch9wavefront6targetE1EEEvSL_,"axG",@progbits,_ZN7rocprim17ROCPRIM_400000_NS6detail17trampoline_kernelINS0_14default_configENS1_38merge_sort_block_merge_config_selectorIiNS0_10empty_typeEEEZZNS1_27merge_sort_block_merge_implIS3_N6thrust23THRUST_200600_302600_NS6detail15normal_iteratorINS9_10device_ptrIiEEEEPS5_jNS1_19radix_merge_compareILb0ELb1EiNS0_19identity_decomposerEEEEE10hipError_tT0_T1_T2_jT3_P12ihipStream_tbPNSt15iterator_traitsISK_E10value_typeEPNSQ_ISL_E10value_typeEPSM_NS1_7vsmem_tEENKUlT_SK_SL_SM_E_clIPiSE_SF_SF_EESJ_SZ_SK_SL_SM_EUlSZ_E0_NS1_11comp_targetILNS1_3genE8ELNS1_11target_archE1030ELNS1_3gpuE2ELNS1_3repE0EEENS1_38merge_mergepath_config_static_selectorELNS0_4arch9wavefront6targetE1EEEvSL_,comdat
.Lfunc_end1686:
	.size	_ZN7rocprim17ROCPRIM_400000_NS6detail17trampoline_kernelINS0_14default_configENS1_38merge_sort_block_merge_config_selectorIiNS0_10empty_typeEEEZZNS1_27merge_sort_block_merge_implIS3_N6thrust23THRUST_200600_302600_NS6detail15normal_iteratorINS9_10device_ptrIiEEEEPS5_jNS1_19radix_merge_compareILb0ELb1EiNS0_19identity_decomposerEEEEE10hipError_tT0_T1_T2_jT3_P12ihipStream_tbPNSt15iterator_traitsISK_E10value_typeEPNSQ_ISL_E10value_typeEPSM_NS1_7vsmem_tEENKUlT_SK_SL_SM_E_clIPiSE_SF_SF_EESJ_SZ_SK_SL_SM_EUlSZ_E0_NS1_11comp_targetILNS1_3genE8ELNS1_11target_archE1030ELNS1_3gpuE2ELNS1_3repE0EEENS1_38merge_mergepath_config_static_selectorELNS0_4arch9wavefront6targetE1EEEvSL_, .Lfunc_end1686-_ZN7rocprim17ROCPRIM_400000_NS6detail17trampoline_kernelINS0_14default_configENS1_38merge_sort_block_merge_config_selectorIiNS0_10empty_typeEEEZZNS1_27merge_sort_block_merge_implIS3_N6thrust23THRUST_200600_302600_NS6detail15normal_iteratorINS9_10device_ptrIiEEEEPS5_jNS1_19radix_merge_compareILb0ELb1EiNS0_19identity_decomposerEEEEE10hipError_tT0_T1_T2_jT3_P12ihipStream_tbPNSt15iterator_traitsISK_E10value_typeEPNSQ_ISL_E10value_typeEPSM_NS1_7vsmem_tEENKUlT_SK_SL_SM_E_clIPiSE_SF_SF_EESJ_SZ_SK_SL_SM_EUlSZ_E0_NS1_11comp_targetILNS1_3genE8ELNS1_11target_archE1030ELNS1_3gpuE2ELNS1_3repE0EEENS1_38merge_mergepath_config_static_selectorELNS0_4arch9wavefront6targetE1EEEvSL_
                                        ; -- End function
	.section	.AMDGPU.csdata,"",@progbits
; Kernel info:
; codeLenInByte = 0
; NumSgprs: 4
; NumVgprs: 0
; NumAgprs: 0
; TotalNumVgprs: 0
; ScratchSize: 0
; MemoryBound: 0
; FloatMode: 240
; IeeeMode: 1
; LDSByteSize: 0 bytes/workgroup (compile time only)
; SGPRBlocks: 0
; VGPRBlocks: 0
; NumSGPRsForWavesPerEU: 4
; NumVGPRsForWavesPerEU: 1
; AccumOffset: 4
; Occupancy: 8
; WaveLimiterHint : 0
; COMPUTE_PGM_RSRC2:SCRATCH_EN: 0
; COMPUTE_PGM_RSRC2:USER_SGPR: 6
; COMPUTE_PGM_RSRC2:TRAP_HANDLER: 0
; COMPUTE_PGM_RSRC2:TGID_X_EN: 1
; COMPUTE_PGM_RSRC2:TGID_Y_EN: 0
; COMPUTE_PGM_RSRC2:TGID_Z_EN: 0
; COMPUTE_PGM_RSRC2:TIDIG_COMP_CNT: 0
; COMPUTE_PGM_RSRC3_GFX90A:ACCUM_OFFSET: 0
; COMPUTE_PGM_RSRC3_GFX90A:TG_SPLIT: 0
	.section	.text._ZN7rocprim17ROCPRIM_400000_NS6detail17trampoline_kernelINS0_14default_configENS1_38merge_sort_block_merge_config_selectorIiNS0_10empty_typeEEEZZNS1_27merge_sort_block_merge_implIS3_N6thrust23THRUST_200600_302600_NS6detail15normal_iteratorINS9_10device_ptrIiEEEEPS5_jNS1_19radix_merge_compareILb0ELb1EiNS0_19identity_decomposerEEEEE10hipError_tT0_T1_T2_jT3_P12ihipStream_tbPNSt15iterator_traitsISK_E10value_typeEPNSQ_ISL_E10value_typeEPSM_NS1_7vsmem_tEENKUlT_SK_SL_SM_E_clIPiSE_SF_SF_EESJ_SZ_SK_SL_SM_EUlSZ_E1_NS1_11comp_targetILNS1_3genE0ELNS1_11target_archE4294967295ELNS1_3gpuE0ELNS1_3repE0EEENS1_36merge_oddeven_config_static_selectorELNS0_4arch9wavefront6targetE1EEEvSL_,"axG",@progbits,_ZN7rocprim17ROCPRIM_400000_NS6detail17trampoline_kernelINS0_14default_configENS1_38merge_sort_block_merge_config_selectorIiNS0_10empty_typeEEEZZNS1_27merge_sort_block_merge_implIS3_N6thrust23THRUST_200600_302600_NS6detail15normal_iteratorINS9_10device_ptrIiEEEEPS5_jNS1_19radix_merge_compareILb0ELb1EiNS0_19identity_decomposerEEEEE10hipError_tT0_T1_T2_jT3_P12ihipStream_tbPNSt15iterator_traitsISK_E10value_typeEPNSQ_ISL_E10value_typeEPSM_NS1_7vsmem_tEENKUlT_SK_SL_SM_E_clIPiSE_SF_SF_EESJ_SZ_SK_SL_SM_EUlSZ_E1_NS1_11comp_targetILNS1_3genE0ELNS1_11target_archE4294967295ELNS1_3gpuE0ELNS1_3repE0EEENS1_36merge_oddeven_config_static_selectorELNS0_4arch9wavefront6targetE1EEEvSL_,comdat
	.protected	_ZN7rocprim17ROCPRIM_400000_NS6detail17trampoline_kernelINS0_14default_configENS1_38merge_sort_block_merge_config_selectorIiNS0_10empty_typeEEEZZNS1_27merge_sort_block_merge_implIS3_N6thrust23THRUST_200600_302600_NS6detail15normal_iteratorINS9_10device_ptrIiEEEEPS5_jNS1_19radix_merge_compareILb0ELb1EiNS0_19identity_decomposerEEEEE10hipError_tT0_T1_T2_jT3_P12ihipStream_tbPNSt15iterator_traitsISK_E10value_typeEPNSQ_ISL_E10value_typeEPSM_NS1_7vsmem_tEENKUlT_SK_SL_SM_E_clIPiSE_SF_SF_EESJ_SZ_SK_SL_SM_EUlSZ_E1_NS1_11comp_targetILNS1_3genE0ELNS1_11target_archE4294967295ELNS1_3gpuE0ELNS1_3repE0EEENS1_36merge_oddeven_config_static_selectorELNS0_4arch9wavefront6targetE1EEEvSL_ ; -- Begin function _ZN7rocprim17ROCPRIM_400000_NS6detail17trampoline_kernelINS0_14default_configENS1_38merge_sort_block_merge_config_selectorIiNS0_10empty_typeEEEZZNS1_27merge_sort_block_merge_implIS3_N6thrust23THRUST_200600_302600_NS6detail15normal_iteratorINS9_10device_ptrIiEEEEPS5_jNS1_19radix_merge_compareILb0ELb1EiNS0_19identity_decomposerEEEEE10hipError_tT0_T1_T2_jT3_P12ihipStream_tbPNSt15iterator_traitsISK_E10value_typeEPNSQ_ISL_E10value_typeEPSM_NS1_7vsmem_tEENKUlT_SK_SL_SM_E_clIPiSE_SF_SF_EESJ_SZ_SK_SL_SM_EUlSZ_E1_NS1_11comp_targetILNS1_3genE0ELNS1_11target_archE4294967295ELNS1_3gpuE0ELNS1_3repE0EEENS1_36merge_oddeven_config_static_selectorELNS0_4arch9wavefront6targetE1EEEvSL_
	.globl	_ZN7rocprim17ROCPRIM_400000_NS6detail17trampoline_kernelINS0_14default_configENS1_38merge_sort_block_merge_config_selectorIiNS0_10empty_typeEEEZZNS1_27merge_sort_block_merge_implIS3_N6thrust23THRUST_200600_302600_NS6detail15normal_iteratorINS9_10device_ptrIiEEEEPS5_jNS1_19radix_merge_compareILb0ELb1EiNS0_19identity_decomposerEEEEE10hipError_tT0_T1_T2_jT3_P12ihipStream_tbPNSt15iterator_traitsISK_E10value_typeEPNSQ_ISL_E10value_typeEPSM_NS1_7vsmem_tEENKUlT_SK_SL_SM_E_clIPiSE_SF_SF_EESJ_SZ_SK_SL_SM_EUlSZ_E1_NS1_11comp_targetILNS1_3genE0ELNS1_11target_archE4294967295ELNS1_3gpuE0ELNS1_3repE0EEENS1_36merge_oddeven_config_static_selectorELNS0_4arch9wavefront6targetE1EEEvSL_
	.p2align	8
	.type	_ZN7rocprim17ROCPRIM_400000_NS6detail17trampoline_kernelINS0_14default_configENS1_38merge_sort_block_merge_config_selectorIiNS0_10empty_typeEEEZZNS1_27merge_sort_block_merge_implIS3_N6thrust23THRUST_200600_302600_NS6detail15normal_iteratorINS9_10device_ptrIiEEEEPS5_jNS1_19radix_merge_compareILb0ELb1EiNS0_19identity_decomposerEEEEE10hipError_tT0_T1_T2_jT3_P12ihipStream_tbPNSt15iterator_traitsISK_E10value_typeEPNSQ_ISL_E10value_typeEPSM_NS1_7vsmem_tEENKUlT_SK_SL_SM_E_clIPiSE_SF_SF_EESJ_SZ_SK_SL_SM_EUlSZ_E1_NS1_11comp_targetILNS1_3genE0ELNS1_11target_archE4294967295ELNS1_3gpuE0ELNS1_3repE0EEENS1_36merge_oddeven_config_static_selectorELNS0_4arch9wavefront6targetE1EEEvSL_,@function
_ZN7rocprim17ROCPRIM_400000_NS6detail17trampoline_kernelINS0_14default_configENS1_38merge_sort_block_merge_config_selectorIiNS0_10empty_typeEEEZZNS1_27merge_sort_block_merge_implIS3_N6thrust23THRUST_200600_302600_NS6detail15normal_iteratorINS9_10device_ptrIiEEEEPS5_jNS1_19radix_merge_compareILb0ELb1EiNS0_19identity_decomposerEEEEE10hipError_tT0_T1_T2_jT3_P12ihipStream_tbPNSt15iterator_traitsISK_E10value_typeEPNSQ_ISL_E10value_typeEPSM_NS1_7vsmem_tEENKUlT_SK_SL_SM_E_clIPiSE_SF_SF_EESJ_SZ_SK_SL_SM_EUlSZ_E1_NS1_11comp_targetILNS1_3genE0ELNS1_11target_archE4294967295ELNS1_3gpuE0ELNS1_3repE0EEENS1_36merge_oddeven_config_static_selectorELNS0_4arch9wavefront6targetE1EEEvSL_: ; @_ZN7rocprim17ROCPRIM_400000_NS6detail17trampoline_kernelINS0_14default_configENS1_38merge_sort_block_merge_config_selectorIiNS0_10empty_typeEEEZZNS1_27merge_sort_block_merge_implIS3_N6thrust23THRUST_200600_302600_NS6detail15normal_iteratorINS9_10device_ptrIiEEEEPS5_jNS1_19radix_merge_compareILb0ELb1EiNS0_19identity_decomposerEEEEE10hipError_tT0_T1_T2_jT3_P12ihipStream_tbPNSt15iterator_traitsISK_E10value_typeEPNSQ_ISL_E10value_typeEPSM_NS1_7vsmem_tEENKUlT_SK_SL_SM_E_clIPiSE_SF_SF_EESJ_SZ_SK_SL_SM_EUlSZ_E1_NS1_11comp_targetILNS1_3genE0ELNS1_11target_archE4294967295ELNS1_3gpuE0ELNS1_3repE0EEENS1_36merge_oddeven_config_static_selectorELNS0_4arch9wavefront6targetE1EEEvSL_
; %bb.0:
	.section	.rodata,"a",@progbits
	.p2align	6, 0x0
	.amdhsa_kernel _ZN7rocprim17ROCPRIM_400000_NS6detail17trampoline_kernelINS0_14default_configENS1_38merge_sort_block_merge_config_selectorIiNS0_10empty_typeEEEZZNS1_27merge_sort_block_merge_implIS3_N6thrust23THRUST_200600_302600_NS6detail15normal_iteratorINS9_10device_ptrIiEEEEPS5_jNS1_19radix_merge_compareILb0ELb1EiNS0_19identity_decomposerEEEEE10hipError_tT0_T1_T2_jT3_P12ihipStream_tbPNSt15iterator_traitsISK_E10value_typeEPNSQ_ISL_E10value_typeEPSM_NS1_7vsmem_tEENKUlT_SK_SL_SM_E_clIPiSE_SF_SF_EESJ_SZ_SK_SL_SM_EUlSZ_E1_NS1_11comp_targetILNS1_3genE0ELNS1_11target_archE4294967295ELNS1_3gpuE0ELNS1_3repE0EEENS1_36merge_oddeven_config_static_selectorELNS0_4arch9wavefront6targetE1EEEvSL_
		.amdhsa_group_segment_fixed_size 0
		.amdhsa_private_segment_fixed_size 0
		.amdhsa_kernarg_size 48
		.amdhsa_user_sgpr_count 6
		.amdhsa_user_sgpr_private_segment_buffer 1
		.amdhsa_user_sgpr_dispatch_ptr 0
		.amdhsa_user_sgpr_queue_ptr 0
		.amdhsa_user_sgpr_kernarg_segment_ptr 1
		.amdhsa_user_sgpr_dispatch_id 0
		.amdhsa_user_sgpr_flat_scratch_init 0
		.amdhsa_user_sgpr_kernarg_preload_length 0
		.amdhsa_user_sgpr_kernarg_preload_offset 0
		.amdhsa_user_sgpr_private_segment_size 0
		.amdhsa_uses_dynamic_stack 0
		.amdhsa_system_sgpr_private_segment_wavefront_offset 0
		.amdhsa_system_sgpr_workgroup_id_x 1
		.amdhsa_system_sgpr_workgroup_id_y 0
		.amdhsa_system_sgpr_workgroup_id_z 0
		.amdhsa_system_sgpr_workgroup_info 0
		.amdhsa_system_vgpr_workitem_id 0
		.amdhsa_next_free_vgpr 1
		.amdhsa_next_free_sgpr 0
		.amdhsa_accum_offset 4
		.amdhsa_reserve_vcc 0
		.amdhsa_reserve_flat_scratch 0
		.amdhsa_float_round_mode_32 0
		.amdhsa_float_round_mode_16_64 0
		.amdhsa_float_denorm_mode_32 3
		.amdhsa_float_denorm_mode_16_64 3
		.amdhsa_dx10_clamp 1
		.amdhsa_ieee_mode 1
		.amdhsa_fp16_overflow 0
		.amdhsa_tg_split 0
		.amdhsa_exception_fp_ieee_invalid_op 0
		.amdhsa_exception_fp_denorm_src 0
		.amdhsa_exception_fp_ieee_div_zero 0
		.amdhsa_exception_fp_ieee_overflow 0
		.amdhsa_exception_fp_ieee_underflow 0
		.amdhsa_exception_fp_ieee_inexact 0
		.amdhsa_exception_int_div_zero 0
	.end_amdhsa_kernel
	.section	.text._ZN7rocprim17ROCPRIM_400000_NS6detail17trampoline_kernelINS0_14default_configENS1_38merge_sort_block_merge_config_selectorIiNS0_10empty_typeEEEZZNS1_27merge_sort_block_merge_implIS3_N6thrust23THRUST_200600_302600_NS6detail15normal_iteratorINS9_10device_ptrIiEEEEPS5_jNS1_19radix_merge_compareILb0ELb1EiNS0_19identity_decomposerEEEEE10hipError_tT0_T1_T2_jT3_P12ihipStream_tbPNSt15iterator_traitsISK_E10value_typeEPNSQ_ISL_E10value_typeEPSM_NS1_7vsmem_tEENKUlT_SK_SL_SM_E_clIPiSE_SF_SF_EESJ_SZ_SK_SL_SM_EUlSZ_E1_NS1_11comp_targetILNS1_3genE0ELNS1_11target_archE4294967295ELNS1_3gpuE0ELNS1_3repE0EEENS1_36merge_oddeven_config_static_selectorELNS0_4arch9wavefront6targetE1EEEvSL_,"axG",@progbits,_ZN7rocprim17ROCPRIM_400000_NS6detail17trampoline_kernelINS0_14default_configENS1_38merge_sort_block_merge_config_selectorIiNS0_10empty_typeEEEZZNS1_27merge_sort_block_merge_implIS3_N6thrust23THRUST_200600_302600_NS6detail15normal_iteratorINS9_10device_ptrIiEEEEPS5_jNS1_19radix_merge_compareILb0ELb1EiNS0_19identity_decomposerEEEEE10hipError_tT0_T1_T2_jT3_P12ihipStream_tbPNSt15iterator_traitsISK_E10value_typeEPNSQ_ISL_E10value_typeEPSM_NS1_7vsmem_tEENKUlT_SK_SL_SM_E_clIPiSE_SF_SF_EESJ_SZ_SK_SL_SM_EUlSZ_E1_NS1_11comp_targetILNS1_3genE0ELNS1_11target_archE4294967295ELNS1_3gpuE0ELNS1_3repE0EEENS1_36merge_oddeven_config_static_selectorELNS0_4arch9wavefront6targetE1EEEvSL_,comdat
.Lfunc_end1687:
	.size	_ZN7rocprim17ROCPRIM_400000_NS6detail17trampoline_kernelINS0_14default_configENS1_38merge_sort_block_merge_config_selectorIiNS0_10empty_typeEEEZZNS1_27merge_sort_block_merge_implIS3_N6thrust23THRUST_200600_302600_NS6detail15normal_iteratorINS9_10device_ptrIiEEEEPS5_jNS1_19radix_merge_compareILb0ELb1EiNS0_19identity_decomposerEEEEE10hipError_tT0_T1_T2_jT3_P12ihipStream_tbPNSt15iterator_traitsISK_E10value_typeEPNSQ_ISL_E10value_typeEPSM_NS1_7vsmem_tEENKUlT_SK_SL_SM_E_clIPiSE_SF_SF_EESJ_SZ_SK_SL_SM_EUlSZ_E1_NS1_11comp_targetILNS1_3genE0ELNS1_11target_archE4294967295ELNS1_3gpuE0ELNS1_3repE0EEENS1_36merge_oddeven_config_static_selectorELNS0_4arch9wavefront6targetE1EEEvSL_, .Lfunc_end1687-_ZN7rocprim17ROCPRIM_400000_NS6detail17trampoline_kernelINS0_14default_configENS1_38merge_sort_block_merge_config_selectorIiNS0_10empty_typeEEEZZNS1_27merge_sort_block_merge_implIS3_N6thrust23THRUST_200600_302600_NS6detail15normal_iteratorINS9_10device_ptrIiEEEEPS5_jNS1_19radix_merge_compareILb0ELb1EiNS0_19identity_decomposerEEEEE10hipError_tT0_T1_T2_jT3_P12ihipStream_tbPNSt15iterator_traitsISK_E10value_typeEPNSQ_ISL_E10value_typeEPSM_NS1_7vsmem_tEENKUlT_SK_SL_SM_E_clIPiSE_SF_SF_EESJ_SZ_SK_SL_SM_EUlSZ_E1_NS1_11comp_targetILNS1_3genE0ELNS1_11target_archE4294967295ELNS1_3gpuE0ELNS1_3repE0EEENS1_36merge_oddeven_config_static_selectorELNS0_4arch9wavefront6targetE1EEEvSL_
                                        ; -- End function
	.section	.AMDGPU.csdata,"",@progbits
; Kernel info:
; codeLenInByte = 0
; NumSgprs: 4
; NumVgprs: 0
; NumAgprs: 0
; TotalNumVgprs: 0
; ScratchSize: 0
; MemoryBound: 0
; FloatMode: 240
; IeeeMode: 1
; LDSByteSize: 0 bytes/workgroup (compile time only)
; SGPRBlocks: 0
; VGPRBlocks: 0
; NumSGPRsForWavesPerEU: 4
; NumVGPRsForWavesPerEU: 1
; AccumOffset: 4
; Occupancy: 8
; WaveLimiterHint : 0
; COMPUTE_PGM_RSRC2:SCRATCH_EN: 0
; COMPUTE_PGM_RSRC2:USER_SGPR: 6
; COMPUTE_PGM_RSRC2:TRAP_HANDLER: 0
; COMPUTE_PGM_RSRC2:TGID_X_EN: 1
; COMPUTE_PGM_RSRC2:TGID_Y_EN: 0
; COMPUTE_PGM_RSRC2:TGID_Z_EN: 0
; COMPUTE_PGM_RSRC2:TIDIG_COMP_CNT: 0
; COMPUTE_PGM_RSRC3_GFX90A:ACCUM_OFFSET: 0
; COMPUTE_PGM_RSRC3_GFX90A:TG_SPLIT: 0
	.section	.text._ZN7rocprim17ROCPRIM_400000_NS6detail17trampoline_kernelINS0_14default_configENS1_38merge_sort_block_merge_config_selectorIiNS0_10empty_typeEEEZZNS1_27merge_sort_block_merge_implIS3_N6thrust23THRUST_200600_302600_NS6detail15normal_iteratorINS9_10device_ptrIiEEEEPS5_jNS1_19radix_merge_compareILb0ELb1EiNS0_19identity_decomposerEEEEE10hipError_tT0_T1_T2_jT3_P12ihipStream_tbPNSt15iterator_traitsISK_E10value_typeEPNSQ_ISL_E10value_typeEPSM_NS1_7vsmem_tEENKUlT_SK_SL_SM_E_clIPiSE_SF_SF_EESJ_SZ_SK_SL_SM_EUlSZ_E1_NS1_11comp_targetILNS1_3genE10ELNS1_11target_archE1201ELNS1_3gpuE5ELNS1_3repE0EEENS1_36merge_oddeven_config_static_selectorELNS0_4arch9wavefront6targetE1EEEvSL_,"axG",@progbits,_ZN7rocprim17ROCPRIM_400000_NS6detail17trampoline_kernelINS0_14default_configENS1_38merge_sort_block_merge_config_selectorIiNS0_10empty_typeEEEZZNS1_27merge_sort_block_merge_implIS3_N6thrust23THRUST_200600_302600_NS6detail15normal_iteratorINS9_10device_ptrIiEEEEPS5_jNS1_19radix_merge_compareILb0ELb1EiNS0_19identity_decomposerEEEEE10hipError_tT0_T1_T2_jT3_P12ihipStream_tbPNSt15iterator_traitsISK_E10value_typeEPNSQ_ISL_E10value_typeEPSM_NS1_7vsmem_tEENKUlT_SK_SL_SM_E_clIPiSE_SF_SF_EESJ_SZ_SK_SL_SM_EUlSZ_E1_NS1_11comp_targetILNS1_3genE10ELNS1_11target_archE1201ELNS1_3gpuE5ELNS1_3repE0EEENS1_36merge_oddeven_config_static_selectorELNS0_4arch9wavefront6targetE1EEEvSL_,comdat
	.protected	_ZN7rocprim17ROCPRIM_400000_NS6detail17trampoline_kernelINS0_14default_configENS1_38merge_sort_block_merge_config_selectorIiNS0_10empty_typeEEEZZNS1_27merge_sort_block_merge_implIS3_N6thrust23THRUST_200600_302600_NS6detail15normal_iteratorINS9_10device_ptrIiEEEEPS5_jNS1_19radix_merge_compareILb0ELb1EiNS0_19identity_decomposerEEEEE10hipError_tT0_T1_T2_jT3_P12ihipStream_tbPNSt15iterator_traitsISK_E10value_typeEPNSQ_ISL_E10value_typeEPSM_NS1_7vsmem_tEENKUlT_SK_SL_SM_E_clIPiSE_SF_SF_EESJ_SZ_SK_SL_SM_EUlSZ_E1_NS1_11comp_targetILNS1_3genE10ELNS1_11target_archE1201ELNS1_3gpuE5ELNS1_3repE0EEENS1_36merge_oddeven_config_static_selectorELNS0_4arch9wavefront6targetE1EEEvSL_ ; -- Begin function _ZN7rocprim17ROCPRIM_400000_NS6detail17trampoline_kernelINS0_14default_configENS1_38merge_sort_block_merge_config_selectorIiNS0_10empty_typeEEEZZNS1_27merge_sort_block_merge_implIS3_N6thrust23THRUST_200600_302600_NS6detail15normal_iteratorINS9_10device_ptrIiEEEEPS5_jNS1_19radix_merge_compareILb0ELb1EiNS0_19identity_decomposerEEEEE10hipError_tT0_T1_T2_jT3_P12ihipStream_tbPNSt15iterator_traitsISK_E10value_typeEPNSQ_ISL_E10value_typeEPSM_NS1_7vsmem_tEENKUlT_SK_SL_SM_E_clIPiSE_SF_SF_EESJ_SZ_SK_SL_SM_EUlSZ_E1_NS1_11comp_targetILNS1_3genE10ELNS1_11target_archE1201ELNS1_3gpuE5ELNS1_3repE0EEENS1_36merge_oddeven_config_static_selectorELNS0_4arch9wavefront6targetE1EEEvSL_
	.globl	_ZN7rocprim17ROCPRIM_400000_NS6detail17trampoline_kernelINS0_14default_configENS1_38merge_sort_block_merge_config_selectorIiNS0_10empty_typeEEEZZNS1_27merge_sort_block_merge_implIS3_N6thrust23THRUST_200600_302600_NS6detail15normal_iteratorINS9_10device_ptrIiEEEEPS5_jNS1_19radix_merge_compareILb0ELb1EiNS0_19identity_decomposerEEEEE10hipError_tT0_T1_T2_jT3_P12ihipStream_tbPNSt15iterator_traitsISK_E10value_typeEPNSQ_ISL_E10value_typeEPSM_NS1_7vsmem_tEENKUlT_SK_SL_SM_E_clIPiSE_SF_SF_EESJ_SZ_SK_SL_SM_EUlSZ_E1_NS1_11comp_targetILNS1_3genE10ELNS1_11target_archE1201ELNS1_3gpuE5ELNS1_3repE0EEENS1_36merge_oddeven_config_static_selectorELNS0_4arch9wavefront6targetE1EEEvSL_
	.p2align	8
	.type	_ZN7rocprim17ROCPRIM_400000_NS6detail17trampoline_kernelINS0_14default_configENS1_38merge_sort_block_merge_config_selectorIiNS0_10empty_typeEEEZZNS1_27merge_sort_block_merge_implIS3_N6thrust23THRUST_200600_302600_NS6detail15normal_iteratorINS9_10device_ptrIiEEEEPS5_jNS1_19radix_merge_compareILb0ELb1EiNS0_19identity_decomposerEEEEE10hipError_tT0_T1_T2_jT3_P12ihipStream_tbPNSt15iterator_traitsISK_E10value_typeEPNSQ_ISL_E10value_typeEPSM_NS1_7vsmem_tEENKUlT_SK_SL_SM_E_clIPiSE_SF_SF_EESJ_SZ_SK_SL_SM_EUlSZ_E1_NS1_11comp_targetILNS1_3genE10ELNS1_11target_archE1201ELNS1_3gpuE5ELNS1_3repE0EEENS1_36merge_oddeven_config_static_selectorELNS0_4arch9wavefront6targetE1EEEvSL_,@function
_ZN7rocprim17ROCPRIM_400000_NS6detail17trampoline_kernelINS0_14default_configENS1_38merge_sort_block_merge_config_selectorIiNS0_10empty_typeEEEZZNS1_27merge_sort_block_merge_implIS3_N6thrust23THRUST_200600_302600_NS6detail15normal_iteratorINS9_10device_ptrIiEEEEPS5_jNS1_19radix_merge_compareILb0ELb1EiNS0_19identity_decomposerEEEEE10hipError_tT0_T1_T2_jT3_P12ihipStream_tbPNSt15iterator_traitsISK_E10value_typeEPNSQ_ISL_E10value_typeEPSM_NS1_7vsmem_tEENKUlT_SK_SL_SM_E_clIPiSE_SF_SF_EESJ_SZ_SK_SL_SM_EUlSZ_E1_NS1_11comp_targetILNS1_3genE10ELNS1_11target_archE1201ELNS1_3gpuE5ELNS1_3repE0EEENS1_36merge_oddeven_config_static_selectorELNS0_4arch9wavefront6targetE1EEEvSL_: ; @_ZN7rocprim17ROCPRIM_400000_NS6detail17trampoline_kernelINS0_14default_configENS1_38merge_sort_block_merge_config_selectorIiNS0_10empty_typeEEEZZNS1_27merge_sort_block_merge_implIS3_N6thrust23THRUST_200600_302600_NS6detail15normal_iteratorINS9_10device_ptrIiEEEEPS5_jNS1_19radix_merge_compareILb0ELb1EiNS0_19identity_decomposerEEEEE10hipError_tT0_T1_T2_jT3_P12ihipStream_tbPNSt15iterator_traitsISK_E10value_typeEPNSQ_ISL_E10value_typeEPSM_NS1_7vsmem_tEENKUlT_SK_SL_SM_E_clIPiSE_SF_SF_EESJ_SZ_SK_SL_SM_EUlSZ_E1_NS1_11comp_targetILNS1_3genE10ELNS1_11target_archE1201ELNS1_3gpuE5ELNS1_3repE0EEENS1_36merge_oddeven_config_static_selectorELNS0_4arch9wavefront6targetE1EEEvSL_
; %bb.0:
	.section	.rodata,"a",@progbits
	.p2align	6, 0x0
	.amdhsa_kernel _ZN7rocprim17ROCPRIM_400000_NS6detail17trampoline_kernelINS0_14default_configENS1_38merge_sort_block_merge_config_selectorIiNS0_10empty_typeEEEZZNS1_27merge_sort_block_merge_implIS3_N6thrust23THRUST_200600_302600_NS6detail15normal_iteratorINS9_10device_ptrIiEEEEPS5_jNS1_19radix_merge_compareILb0ELb1EiNS0_19identity_decomposerEEEEE10hipError_tT0_T1_T2_jT3_P12ihipStream_tbPNSt15iterator_traitsISK_E10value_typeEPNSQ_ISL_E10value_typeEPSM_NS1_7vsmem_tEENKUlT_SK_SL_SM_E_clIPiSE_SF_SF_EESJ_SZ_SK_SL_SM_EUlSZ_E1_NS1_11comp_targetILNS1_3genE10ELNS1_11target_archE1201ELNS1_3gpuE5ELNS1_3repE0EEENS1_36merge_oddeven_config_static_selectorELNS0_4arch9wavefront6targetE1EEEvSL_
		.amdhsa_group_segment_fixed_size 0
		.amdhsa_private_segment_fixed_size 0
		.amdhsa_kernarg_size 48
		.amdhsa_user_sgpr_count 6
		.amdhsa_user_sgpr_private_segment_buffer 1
		.amdhsa_user_sgpr_dispatch_ptr 0
		.amdhsa_user_sgpr_queue_ptr 0
		.amdhsa_user_sgpr_kernarg_segment_ptr 1
		.amdhsa_user_sgpr_dispatch_id 0
		.amdhsa_user_sgpr_flat_scratch_init 0
		.amdhsa_user_sgpr_kernarg_preload_length 0
		.amdhsa_user_sgpr_kernarg_preload_offset 0
		.amdhsa_user_sgpr_private_segment_size 0
		.amdhsa_uses_dynamic_stack 0
		.amdhsa_system_sgpr_private_segment_wavefront_offset 0
		.amdhsa_system_sgpr_workgroup_id_x 1
		.amdhsa_system_sgpr_workgroup_id_y 0
		.amdhsa_system_sgpr_workgroup_id_z 0
		.amdhsa_system_sgpr_workgroup_info 0
		.amdhsa_system_vgpr_workitem_id 0
		.amdhsa_next_free_vgpr 1
		.amdhsa_next_free_sgpr 0
		.amdhsa_accum_offset 4
		.amdhsa_reserve_vcc 0
		.amdhsa_reserve_flat_scratch 0
		.amdhsa_float_round_mode_32 0
		.amdhsa_float_round_mode_16_64 0
		.amdhsa_float_denorm_mode_32 3
		.amdhsa_float_denorm_mode_16_64 3
		.amdhsa_dx10_clamp 1
		.amdhsa_ieee_mode 1
		.amdhsa_fp16_overflow 0
		.amdhsa_tg_split 0
		.amdhsa_exception_fp_ieee_invalid_op 0
		.amdhsa_exception_fp_denorm_src 0
		.amdhsa_exception_fp_ieee_div_zero 0
		.amdhsa_exception_fp_ieee_overflow 0
		.amdhsa_exception_fp_ieee_underflow 0
		.amdhsa_exception_fp_ieee_inexact 0
		.amdhsa_exception_int_div_zero 0
	.end_amdhsa_kernel
	.section	.text._ZN7rocprim17ROCPRIM_400000_NS6detail17trampoline_kernelINS0_14default_configENS1_38merge_sort_block_merge_config_selectorIiNS0_10empty_typeEEEZZNS1_27merge_sort_block_merge_implIS3_N6thrust23THRUST_200600_302600_NS6detail15normal_iteratorINS9_10device_ptrIiEEEEPS5_jNS1_19radix_merge_compareILb0ELb1EiNS0_19identity_decomposerEEEEE10hipError_tT0_T1_T2_jT3_P12ihipStream_tbPNSt15iterator_traitsISK_E10value_typeEPNSQ_ISL_E10value_typeEPSM_NS1_7vsmem_tEENKUlT_SK_SL_SM_E_clIPiSE_SF_SF_EESJ_SZ_SK_SL_SM_EUlSZ_E1_NS1_11comp_targetILNS1_3genE10ELNS1_11target_archE1201ELNS1_3gpuE5ELNS1_3repE0EEENS1_36merge_oddeven_config_static_selectorELNS0_4arch9wavefront6targetE1EEEvSL_,"axG",@progbits,_ZN7rocprim17ROCPRIM_400000_NS6detail17trampoline_kernelINS0_14default_configENS1_38merge_sort_block_merge_config_selectorIiNS0_10empty_typeEEEZZNS1_27merge_sort_block_merge_implIS3_N6thrust23THRUST_200600_302600_NS6detail15normal_iteratorINS9_10device_ptrIiEEEEPS5_jNS1_19radix_merge_compareILb0ELb1EiNS0_19identity_decomposerEEEEE10hipError_tT0_T1_T2_jT3_P12ihipStream_tbPNSt15iterator_traitsISK_E10value_typeEPNSQ_ISL_E10value_typeEPSM_NS1_7vsmem_tEENKUlT_SK_SL_SM_E_clIPiSE_SF_SF_EESJ_SZ_SK_SL_SM_EUlSZ_E1_NS1_11comp_targetILNS1_3genE10ELNS1_11target_archE1201ELNS1_3gpuE5ELNS1_3repE0EEENS1_36merge_oddeven_config_static_selectorELNS0_4arch9wavefront6targetE1EEEvSL_,comdat
.Lfunc_end1688:
	.size	_ZN7rocprim17ROCPRIM_400000_NS6detail17trampoline_kernelINS0_14default_configENS1_38merge_sort_block_merge_config_selectorIiNS0_10empty_typeEEEZZNS1_27merge_sort_block_merge_implIS3_N6thrust23THRUST_200600_302600_NS6detail15normal_iteratorINS9_10device_ptrIiEEEEPS5_jNS1_19radix_merge_compareILb0ELb1EiNS0_19identity_decomposerEEEEE10hipError_tT0_T1_T2_jT3_P12ihipStream_tbPNSt15iterator_traitsISK_E10value_typeEPNSQ_ISL_E10value_typeEPSM_NS1_7vsmem_tEENKUlT_SK_SL_SM_E_clIPiSE_SF_SF_EESJ_SZ_SK_SL_SM_EUlSZ_E1_NS1_11comp_targetILNS1_3genE10ELNS1_11target_archE1201ELNS1_3gpuE5ELNS1_3repE0EEENS1_36merge_oddeven_config_static_selectorELNS0_4arch9wavefront6targetE1EEEvSL_, .Lfunc_end1688-_ZN7rocprim17ROCPRIM_400000_NS6detail17trampoline_kernelINS0_14default_configENS1_38merge_sort_block_merge_config_selectorIiNS0_10empty_typeEEEZZNS1_27merge_sort_block_merge_implIS3_N6thrust23THRUST_200600_302600_NS6detail15normal_iteratorINS9_10device_ptrIiEEEEPS5_jNS1_19radix_merge_compareILb0ELb1EiNS0_19identity_decomposerEEEEE10hipError_tT0_T1_T2_jT3_P12ihipStream_tbPNSt15iterator_traitsISK_E10value_typeEPNSQ_ISL_E10value_typeEPSM_NS1_7vsmem_tEENKUlT_SK_SL_SM_E_clIPiSE_SF_SF_EESJ_SZ_SK_SL_SM_EUlSZ_E1_NS1_11comp_targetILNS1_3genE10ELNS1_11target_archE1201ELNS1_3gpuE5ELNS1_3repE0EEENS1_36merge_oddeven_config_static_selectorELNS0_4arch9wavefront6targetE1EEEvSL_
                                        ; -- End function
	.section	.AMDGPU.csdata,"",@progbits
; Kernel info:
; codeLenInByte = 0
; NumSgprs: 4
; NumVgprs: 0
; NumAgprs: 0
; TotalNumVgprs: 0
; ScratchSize: 0
; MemoryBound: 0
; FloatMode: 240
; IeeeMode: 1
; LDSByteSize: 0 bytes/workgroup (compile time only)
; SGPRBlocks: 0
; VGPRBlocks: 0
; NumSGPRsForWavesPerEU: 4
; NumVGPRsForWavesPerEU: 1
; AccumOffset: 4
; Occupancy: 8
; WaveLimiterHint : 0
; COMPUTE_PGM_RSRC2:SCRATCH_EN: 0
; COMPUTE_PGM_RSRC2:USER_SGPR: 6
; COMPUTE_PGM_RSRC2:TRAP_HANDLER: 0
; COMPUTE_PGM_RSRC2:TGID_X_EN: 1
; COMPUTE_PGM_RSRC2:TGID_Y_EN: 0
; COMPUTE_PGM_RSRC2:TGID_Z_EN: 0
; COMPUTE_PGM_RSRC2:TIDIG_COMP_CNT: 0
; COMPUTE_PGM_RSRC3_GFX90A:ACCUM_OFFSET: 0
; COMPUTE_PGM_RSRC3_GFX90A:TG_SPLIT: 0
	.section	.text._ZN7rocprim17ROCPRIM_400000_NS6detail17trampoline_kernelINS0_14default_configENS1_38merge_sort_block_merge_config_selectorIiNS0_10empty_typeEEEZZNS1_27merge_sort_block_merge_implIS3_N6thrust23THRUST_200600_302600_NS6detail15normal_iteratorINS9_10device_ptrIiEEEEPS5_jNS1_19radix_merge_compareILb0ELb1EiNS0_19identity_decomposerEEEEE10hipError_tT0_T1_T2_jT3_P12ihipStream_tbPNSt15iterator_traitsISK_E10value_typeEPNSQ_ISL_E10value_typeEPSM_NS1_7vsmem_tEENKUlT_SK_SL_SM_E_clIPiSE_SF_SF_EESJ_SZ_SK_SL_SM_EUlSZ_E1_NS1_11comp_targetILNS1_3genE5ELNS1_11target_archE942ELNS1_3gpuE9ELNS1_3repE0EEENS1_36merge_oddeven_config_static_selectorELNS0_4arch9wavefront6targetE1EEEvSL_,"axG",@progbits,_ZN7rocprim17ROCPRIM_400000_NS6detail17trampoline_kernelINS0_14default_configENS1_38merge_sort_block_merge_config_selectorIiNS0_10empty_typeEEEZZNS1_27merge_sort_block_merge_implIS3_N6thrust23THRUST_200600_302600_NS6detail15normal_iteratorINS9_10device_ptrIiEEEEPS5_jNS1_19radix_merge_compareILb0ELb1EiNS0_19identity_decomposerEEEEE10hipError_tT0_T1_T2_jT3_P12ihipStream_tbPNSt15iterator_traitsISK_E10value_typeEPNSQ_ISL_E10value_typeEPSM_NS1_7vsmem_tEENKUlT_SK_SL_SM_E_clIPiSE_SF_SF_EESJ_SZ_SK_SL_SM_EUlSZ_E1_NS1_11comp_targetILNS1_3genE5ELNS1_11target_archE942ELNS1_3gpuE9ELNS1_3repE0EEENS1_36merge_oddeven_config_static_selectorELNS0_4arch9wavefront6targetE1EEEvSL_,comdat
	.protected	_ZN7rocprim17ROCPRIM_400000_NS6detail17trampoline_kernelINS0_14default_configENS1_38merge_sort_block_merge_config_selectorIiNS0_10empty_typeEEEZZNS1_27merge_sort_block_merge_implIS3_N6thrust23THRUST_200600_302600_NS6detail15normal_iteratorINS9_10device_ptrIiEEEEPS5_jNS1_19radix_merge_compareILb0ELb1EiNS0_19identity_decomposerEEEEE10hipError_tT0_T1_T2_jT3_P12ihipStream_tbPNSt15iterator_traitsISK_E10value_typeEPNSQ_ISL_E10value_typeEPSM_NS1_7vsmem_tEENKUlT_SK_SL_SM_E_clIPiSE_SF_SF_EESJ_SZ_SK_SL_SM_EUlSZ_E1_NS1_11comp_targetILNS1_3genE5ELNS1_11target_archE942ELNS1_3gpuE9ELNS1_3repE0EEENS1_36merge_oddeven_config_static_selectorELNS0_4arch9wavefront6targetE1EEEvSL_ ; -- Begin function _ZN7rocprim17ROCPRIM_400000_NS6detail17trampoline_kernelINS0_14default_configENS1_38merge_sort_block_merge_config_selectorIiNS0_10empty_typeEEEZZNS1_27merge_sort_block_merge_implIS3_N6thrust23THRUST_200600_302600_NS6detail15normal_iteratorINS9_10device_ptrIiEEEEPS5_jNS1_19radix_merge_compareILb0ELb1EiNS0_19identity_decomposerEEEEE10hipError_tT0_T1_T2_jT3_P12ihipStream_tbPNSt15iterator_traitsISK_E10value_typeEPNSQ_ISL_E10value_typeEPSM_NS1_7vsmem_tEENKUlT_SK_SL_SM_E_clIPiSE_SF_SF_EESJ_SZ_SK_SL_SM_EUlSZ_E1_NS1_11comp_targetILNS1_3genE5ELNS1_11target_archE942ELNS1_3gpuE9ELNS1_3repE0EEENS1_36merge_oddeven_config_static_selectorELNS0_4arch9wavefront6targetE1EEEvSL_
	.globl	_ZN7rocprim17ROCPRIM_400000_NS6detail17trampoline_kernelINS0_14default_configENS1_38merge_sort_block_merge_config_selectorIiNS0_10empty_typeEEEZZNS1_27merge_sort_block_merge_implIS3_N6thrust23THRUST_200600_302600_NS6detail15normal_iteratorINS9_10device_ptrIiEEEEPS5_jNS1_19radix_merge_compareILb0ELb1EiNS0_19identity_decomposerEEEEE10hipError_tT0_T1_T2_jT3_P12ihipStream_tbPNSt15iterator_traitsISK_E10value_typeEPNSQ_ISL_E10value_typeEPSM_NS1_7vsmem_tEENKUlT_SK_SL_SM_E_clIPiSE_SF_SF_EESJ_SZ_SK_SL_SM_EUlSZ_E1_NS1_11comp_targetILNS1_3genE5ELNS1_11target_archE942ELNS1_3gpuE9ELNS1_3repE0EEENS1_36merge_oddeven_config_static_selectorELNS0_4arch9wavefront6targetE1EEEvSL_
	.p2align	8
	.type	_ZN7rocprim17ROCPRIM_400000_NS6detail17trampoline_kernelINS0_14default_configENS1_38merge_sort_block_merge_config_selectorIiNS0_10empty_typeEEEZZNS1_27merge_sort_block_merge_implIS3_N6thrust23THRUST_200600_302600_NS6detail15normal_iteratorINS9_10device_ptrIiEEEEPS5_jNS1_19radix_merge_compareILb0ELb1EiNS0_19identity_decomposerEEEEE10hipError_tT0_T1_T2_jT3_P12ihipStream_tbPNSt15iterator_traitsISK_E10value_typeEPNSQ_ISL_E10value_typeEPSM_NS1_7vsmem_tEENKUlT_SK_SL_SM_E_clIPiSE_SF_SF_EESJ_SZ_SK_SL_SM_EUlSZ_E1_NS1_11comp_targetILNS1_3genE5ELNS1_11target_archE942ELNS1_3gpuE9ELNS1_3repE0EEENS1_36merge_oddeven_config_static_selectorELNS0_4arch9wavefront6targetE1EEEvSL_,@function
_ZN7rocprim17ROCPRIM_400000_NS6detail17trampoline_kernelINS0_14default_configENS1_38merge_sort_block_merge_config_selectorIiNS0_10empty_typeEEEZZNS1_27merge_sort_block_merge_implIS3_N6thrust23THRUST_200600_302600_NS6detail15normal_iteratorINS9_10device_ptrIiEEEEPS5_jNS1_19radix_merge_compareILb0ELb1EiNS0_19identity_decomposerEEEEE10hipError_tT0_T1_T2_jT3_P12ihipStream_tbPNSt15iterator_traitsISK_E10value_typeEPNSQ_ISL_E10value_typeEPSM_NS1_7vsmem_tEENKUlT_SK_SL_SM_E_clIPiSE_SF_SF_EESJ_SZ_SK_SL_SM_EUlSZ_E1_NS1_11comp_targetILNS1_3genE5ELNS1_11target_archE942ELNS1_3gpuE9ELNS1_3repE0EEENS1_36merge_oddeven_config_static_selectorELNS0_4arch9wavefront6targetE1EEEvSL_: ; @_ZN7rocprim17ROCPRIM_400000_NS6detail17trampoline_kernelINS0_14default_configENS1_38merge_sort_block_merge_config_selectorIiNS0_10empty_typeEEEZZNS1_27merge_sort_block_merge_implIS3_N6thrust23THRUST_200600_302600_NS6detail15normal_iteratorINS9_10device_ptrIiEEEEPS5_jNS1_19radix_merge_compareILb0ELb1EiNS0_19identity_decomposerEEEEE10hipError_tT0_T1_T2_jT3_P12ihipStream_tbPNSt15iterator_traitsISK_E10value_typeEPNSQ_ISL_E10value_typeEPSM_NS1_7vsmem_tEENKUlT_SK_SL_SM_E_clIPiSE_SF_SF_EESJ_SZ_SK_SL_SM_EUlSZ_E1_NS1_11comp_targetILNS1_3genE5ELNS1_11target_archE942ELNS1_3gpuE9ELNS1_3repE0EEENS1_36merge_oddeven_config_static_selectorELNS0_4arch9wavefront6targetE1EEEvSL_
; %bb.0:
	.section	.rodata,"a",@progbits
	.p2align	6, 0x0
	.amdhsa_kernel _ZN7rocprim17ROCPRIM_400000_NS6detail17trampoline_kernelINS0_14default_configENS1_38merge_sort_block_merge_config_selectorIiNS0_10empty_typeEEEZZNS1_27merge_sort_block_merge_implIS3_N6thrust23THRUST_200600_302600_NS6detail15normal_iteratorINS9_10device_ptrIiEEEEPS5_jNS1_19radix_merge_compareILb0ELb1EiNS0_19identity_decomposerEEEEE10hipError_tT0_T1_T2_jT3_P12ihipStream_tbPNSt15iterator_traitsISK_E10value_typeEPNSQ_ISL_E10value_typeEPSM_NS1_7vsmem_tEENKUlT_SK_SL_SM_E_clIPiSE_SF_SF_EESJ_SZ_SK_SL_SM_EUlSZ_E1_NS1_11comp_targetILNS1_3genE5ELNS1_11target_archE942ELNS1_3gpuE9ELNS1_3repE0EEENS1_36merge_oddeven_config_static_selectorELNS0_4arch9wavefront6targetE1EEEvSL_
		.amdhsa_group_segment_fixed_size 0
		.amdhsa_private_segment_fixed_size 0
		.amdhsa_kernarg_size 48
		.amdhsa_user_sgpr_count 6
		.amdhsa_user_sgpr_private_segment_buffer 1
		.amdhsa_user_sgpr_dispatch_ptr 0
		.amdhsa_user_sgpr_queue_ptr 0
		.amdhsa_user_sgpr_kernarg_segment_ptr 1
		.amdhsa_user_sgpr_dispatch_id 0
		.amdhsa_user_sgpr_flat_scratch_init 0
		.amdhsa_user_sgpr_kernarg_preload_length 0
		.amdhsa_user_sgpr_kernarg_preload_offset 0
		.amdhsa_user_sgpr_private_segment_size 0
		.amdhsa_uses_dynamic_stack 0
		.amdhsa_system_sgpr_private_segment_wavefront_offset 0
		.amdhsa_system_sgpr_workgroup_id_x 1
		.amdhsa_system_sgpr_workgroup_id_y 0
		.amdhsa_system_sgpr_workgroup_id_z 0
		.amdhsa_system_sgpr_workgroup_info 0
		.amdhsa_system_vgpr_workitem_id 0
		.amdhsa_next_free_vgpr 1
		.amdhsa_next_free_sgpr 0
		.amdhsa_accum_offset 4
		.amdhsa_reserve_vcc 0
		.amdhsa_reserve_flat_scratch 0
		.amdhsa_float_round_mode_32 0
		.amdhsa_float_round_mode_16_64 0
		.amdhsa_float_denorm_mode_32 3
		.amdhsa_float_denorm_mode_16_64 3
		.amdhsa_dx10_clamp 1
		.amdhsa_ieee_mode 1
		.amdhsa_fp16_overflow 0
		.amdhsa_tg_split 0
		.amdhsa_exception_fp_ieee_invalid_op 0
		.amdhsa_exception_fp_denorm_src 0
		.amdhsa_exception_fp_ieee_div_zero 0
		.amdhsa_exception_fp_ieee_overflow 0
		.amdhsa_exception_fp_ieee_underflow 0
		.amdhsa_exception_fp_ieee_inexact 0
		.amdhsa_exception_int_div_zero 0
	.end_amdhsa_kernel
	.section	.text._ZN7rocprim17ROCPRIM_400000_NS6detail17trampoline_kernelINS0_14default_configENS1_38merge_sort_block_merge_config_selectorIiNS0_10empty_typeEEEZZNS1_27merge_sort_block_merge_implIS3_N6thrust23THRUST_200600_302600_NS6detail15normal_iteratorINS9_10device_ptrIiEEEEPS5_jNS1_19radix_merge_compareILb0ELb1EiNS0_19identity_decomposerEEEEE10hipError_tT0_T1_T2_jT3_P12ihipStream_tbPNSt15iterator_traitsISK_E10value_typeEPNSQ_ISL_E10value_typeEPSM_NS1_7vsmem_tEENKUlT_SK_SL_SM_E_clIPiSE_SF_SF_EESJ_SZ_SK_SL_SM_EUlSZ_E1_NS1_11comp_targetILNS1_3genE5ELNS1_11target_archE942ELNS1_3gpuE9ELNS1_3repE0EEENS1_36merge_oddeven_config_static_selectorELNS0_4arch9wavefront6targetE1EEEvSL_,"axG",@progbits,_ZN7rocprim17ROCPRIM_400000_NS6detail17trampoline_kernelINS0_14default_configENS1_38merge_sort_block_merge_config_selectorIiNS0_10empty_typeEEEZZNS1_27merge_sort_block_merge_implIS3_N6thrust23THRUST_200600_302600_NS6detail15normal_iteratorINS9_10device_ptrIiEEEEPS5_jNS1_19radix_merge_compareILb0ELb1EiNS0_19identity_decomposerEEEEE10hipError_tT0_T1_T2_jT3_P12ihipStream_tbPNSt15iterator_traitsISK_E10value_typeEPNSQ_ISL_E10value_typeEPSM_NS1_7vsmem_tEENKUlT_SK_SL_SM_E_clIPiSE_SF_SF_EESJ_SZ_SK_SL_SM_EUlSZ_E1_NS1_11comp_targetILNS1_3genE5ELNS1_11target_archE942ELNS1_3gpuE9ELNS1_3repE0EEENS1_36merge_oddeven_config_static_selectorELNS0_4arch9wavefront6targetE1EEEvSL_,comdat
.Lfunc_end1689:
	.size	_ZN7rocprim17ROCPRIM_400000_NS6detail17trampoline_kernelINS0_14default_configENS1_38merge_sort_block_merge_config_selectorIiNS0_10empty_typeEEEZZNS1_27merge_sort_block_merge_implIS3_N6thrust23THRUST_200600_302600_NS6detail15normal_iteratorINS9_10device_ptrIiEEEEPS5_jNS1_19radix_merge_compareILb0ELb1EiNS0_19identity_decomposerEEEEE10hipError_tT0_T1_T2_jT3_P12ihipStream_tbPNSt15iterator_traitsISK_E10value_typeEPNSQ_ISL_E10value_typeEPSM_NS1_7vsmem_tEENKUlT_SK_SL_SM_E_clIPiSE_SF_SF_EESJ_SZ_SK_SL_SM_EUlSZ_E1_NS1_11comp_targetILNS1_3genE5ELNS1_11target_archE942ELNS1_3gpuE9ELNS1_3repE0EEENS1_36merge_oddeven_config_static_selectorELNS0_4arch9wavefront6targetE1EEEvSL_, .Lfunc_end1689-_ZN7rocprim17ROCPRIM_400000_NS6detail17trampoline_kernelINS0_14default_configENS1_38merge_sort_block_merge_config_selectorIiNS0_10empty_typeEEEZZNS1_27merge_sort_block_merge_implIS3_N6thrust23THRUST_200600_302600_NS6detail15normal_iteratorINS9_10device_ptrIiEEEEPS5_jNS1_19radix_merge_compareILb0ELb1EiNS0_19identity_decomposerEEEEE10hipError_tT0_T1_T2_jT3_P12ihipStream_tbPNSt15iterator_traitsISK_E10value_typeEPNSQ_ISL_E10value_typeEPSM_NS1_7vsmem_tEENKUlT_SK_SL_SM_E_clIPiSE_SF_SF_EESJ_SZ_SK_SL_SM_EUlSZ_E1_NS1_11comp_targetILNS1_3genE5ELNS1_11target_archE942ELNS1_3gpuE9ELNS1_3repE0EEENS1_36merge_oddeven_config_static_selectorELNS0_4arch9wavefront6targetE1EEEvSL_
                                        ; -- End function
	.section	.AMDGPU.csdata,"",@progbits
; Kernel info:
; codeLenInByte = 0
; NumSgprs: 4
; NumVgprs: 0
; NumAgprs: 0
; TotalNumVgprs: 0
; ScratchSize: 0
; MemoryBound: 0
; FloatMode: 240
; IeeeMode: 1
; LDSByteSize: 0 bytes/workgroup (compile time only)
; SGPRBlocks: 0
; VGPRBlocks: 0
; NumSGPRsForWavesPerEU: 4
; NumVGPRsForWavesPerEU: 1
; AccumOffset: 4
; Occupancy: 8
; WaveLimiterHint : 0
; COMPUTE_PGM_RSRC2:SCRATCH_EN: 0
; COMPUTE_PGM_RSRC2:USER_SGPR: 6
; COMPUTE_PGM_RSRC2:TRAP_HANDLER: 0
; COMPUTE_PGM_RSRC2:TGID_X_EN: 1
; COMPUTE_PGM_RSRC2:TGID_Y_EN: 0
; COMPUTE_PGM_RSRC2:TGID_Z_EN: 0
; COMPUTE_PGM_RSRC2:TIDIG_COMP_CNT: 0
; COMPUTE_PGM_RSRC3_GFX90A:ACCUM_OFFSET: 0
; COMPUTE_PGM_RSRC3_GFX90A:TG_SPLIT: 0
	.section	.text._ZN7rocprim17ROCPRIM_400000_NS6detail17trampoline_kernelINS0_14default_configENS1_38merge_sort_block_merge_config_selectorIiNS0_10empty_typeEEEZZNS1_27merge_sort_block_merge_implIS3_N6thrust23THRUST_200600_302600_NS6detail15normal_iteratorINS9_10device_ptrIiEEEEPS5_jNS1_19radix_merge_compareILb0ELb1EiNS0_19identity_decomposerEEEEE10hipError_tT0_T1_T2_jT3_P12ihipStream_tbPNSt15iterator_traitsISK_E10value_typeEPNSQ_ISL_E10value_typeEPSM_NS1_7vsmem_tEENKUlT_SK_SL_SM_E_clIPiSE_SF_SF_EESJ_SZ_SK_SL_SM_EUlSZ_E1_NS1_11comp_targetILNS1_3genE4ELNS1_11target_archE910ELNS1_3gpuE8ELNS1_3repE0EEENS1_36merge_oddeven_config_static_selectorELNS0_4arch9wavefront6targetE1EEEvSL_,"axG",@progbits,_ZN7rocprim17ROCPRIM_400000_NS6detail17trampoline_kernelINS0_14default_configENS1_38merge_sort_block_merge_config_selectorIiNS0_10empty_typeEEEZZNS1_27merge_sort_block_merge_implIS3_N6thrust23THRUST_200600_302600_NS6detail15normal_iteratorINS9_10device_ptrIiEEEEPS5_jNS1_19radix_merge_compareILb0ELb1EiNS0_19identity_decomposerEEEEE10hipError_tT0_T1_T2_jT3_P12ihipStream_tbPNSt15iterator_traitsISK_E10value_typeEPNSQ_ISL_E10value_typeEPSM_NS1_7vsmem_tEENKUlT_SK_SL_SM_E_clIPiSE_SF_SF_EESJ_SZ_SK_SL_SM_EUlSZ_E1_NS1_11comp_targetILNS1_3genE4ELNS1_11target_archE910ELNS1_3gpuE8ELNS1_3repE0EEENS1_36merge_oddeven_config_static_selectorELNS0_4arch9wavefront6targetE1EEEvSL_,comdat
	.protected	_ZN7rocprim17ROCPRIM_400000_NS6detail17trampoline_kernelINS0_14default_configENS1_38merge_sort_block_merge_config_selectorIiNS0_10empty_typeEEEZZNS1_27merge_sort_block_merge_implIS3_N6thrust23THRUST_200600_302600_NS6detail15normal_iteratorINS9_10device_ptrIiEEEEPS5_jNS1_19radix_merge_compareILb0ELb1EiNS0_19identity_decomposerEEEEE10hipError_tT0_T1_T2_jT3_P12ihipStream_tbPNSt15iterator_traitsISK_E10value_typeEPNSQ_ISL_E10value_typeEPSM_NS1_7vsmem_tEENKUlT_SK_SL_SM_E_clIPiSE_SF_SF_EESJ_SZ_SK_SL_SM_EUlSZ_E1_NS1_11comp_targetILNS1_3genE4ELNS1_11target_archE910ELNS1_3gpuE8ELNS1_3repE0EEENS1_36merge_oddeven_config_static_selectorELNS0_4arch9wavefront6targetE1EEEvSL_ ; -- Begin function _ZN7rocprim17ROCPRIM_400000_NS6detail17trampoline_kernelINS0_14default_configENS1_38merge_sort_block_merge_config_selectorIiNS0_10empty_typeEEEZZNS1_27merge_sort_block_merge_implIS3_N6thrust23THRUST_200600_302600_NS6detail15normal_iteratorINS9_10device_ptrIiEEEEPS5_jNS1_19radix_merge_compareILb0ELb1EiNS0_19identity_decomposerEEEEE10hipError_tT0_T1_T2_jT3_P12ihipStream_tbPNSt15iterator_traitsISK_E10value_typeEPNSQ_ISL_E10value_typeEPSM_NS1_7vsmem_tEENKUlT_SK_SL_SM_E_clIPiSE_SF_SF_EESJ_SZ_SK_SL_SM_EUlSZ_E1_NS1_11comp_targetILNS1_3genE4ELNS1_11target_archE910ELNS1_3gpuE8ELNS1_3repE0EEENS1_36merge_oddeven_config_static_selectorELNS0_4arch9wavefront6targetE1EEEvSL_
	.globl	_ZN7rocprim17ROCPRIM_400000_NS6detail17trampoline_kernelINS0_14default_configENS1_38merge_sort_block_merge_config_selectorIiNS0_10empty_typeEEEZZNS1_27merge_sort_block_merge_implIS3_N6thrust23THRUST_200600_302600_NS6detail15normal_iteratorINS9_10device_ptrIiEEEEPS5_jNS1_19radix_merge_compareILb0ELb1EiNS0_19identity_decomposerEEEEE10hipError_tT0_T1_T2_jT3_P12ihipStream_tbPNSt15iterator_traitsISK_E10value_typeEPNSQ_ISL_E10value_typeEPSM_NS1_7vsmem_tEENKUlT_SK_SL_SM_E_clIPiSE_SF_SF_EESJ_SZ_SK_SL_SM_EUlSZ_E1_NS1_11comp_targetILNS1_3genE4ELNS1_11target_archE910ELNS1_3gpuE8ELNS1_3repE0EEENS1_36merge_oddeven_config_static_selectorELNS0_4arch9wavefront6targetE1EEEvSL_
	.p2align	8
	.type	_ZN7rocprim17ROCPRIM_400000_NS6detail17trampoline_kernelINS0_14default_configENS1_38merge_sort_block_merge_config_selectorIiNS0_10empty_typeEEEZZNS1_27merge_sort_block_merge_implIS3_N6thrust23THRUST_200600_302600_NS6detail15normal_iteratorINS9_10device_ptrIiEEEEPS5_jNS1_19radix_merge_compareILb0ELb1EiNS0_19identity_decomposerEEEEE10hipError_tT0_T1_T2_jT3_P12ihipStream_tbPNSt15iterator_traitsISK_E10value_typeEPNSQ_ISL_E10value_typeEPSM_NS1_7vsmem_tEENKUlT_SK_SL_SM_E_clIPiSE_SF_SF_EESJ_SZ_SK_SL_SM_EUlSZ_E1_NS1_11comp_targetILNS1_3genE4ELNS1_11target_archE910ELNS1_3gpuE8ELNS1_3repE0EEENS1_36merge_oddeven_config_static_selectorELNS0_4arch9wavefront6targetE1EEEvSL_,@function
_ZN7rocprim17ROCPRIM_400000_NS6detail17trampoline_kernelINS0_14default_configENS1_38merge_sort_block_merge_config_selectorIiNS0_10empty_typeEEEZZNS1_27merge_sort_block_merge_implIS3_N6thrust23THRUST_200600_302600_NS6detail15normal_iteratorINS9_10device_ptrIiEEEEPS5_jNS1_19radix_merge_compareILb0ELb1EiNS0_19identity_decomposerEEEEE10hipError_tT0_T1_T2_jT3_P12ihipStream_tbPNSt15iterator_traitsISK_E10value_typeEPNSQ_ISL_E10value_typeEPSM_NS1_7vsmem_tEENKUlT_SK_SL_SM_E_clIPiSE_SF_SF_EESJ_SZ_SK_SL_SM_EUlSZ_E1_NS1_11comp_targetILNS1_3genE4ELNS1_11target_archE910ELNS1_3gpuE8ELNS1_3repE0EEENS1_36merge_oddeven_config_static_selectorELNS0_4arch9wavefront6targetE1EEEvSL_: ; @_ZN7rocprim17ROCPRIM_400000_NS6detail17trampoline_kernelINS0_14default_configENS1_38merge_sort_block_merge_config_selectorIiNS0_10empty_typeEEEZZNS1_27merge_sort_block_merge_implIS3_N6thrust23THRUST_200600_302600_NS6detail15normal_iteratorINS9_10device_ptrIiEEEEPS5_jNS1_19radix_merge_compareILb0ELb1EiNS0_19identity_decomposerEEEEE10hipError_tT0_T1_T2_jT3_P12ihipStream_tbPNSt15iterator_traitsISK_E10value_typeEPNSQ_ISL_E10value_typeEPSM_NS1_7vsmem_tEENKUlT_SK_SL_SM_E_clIPiSE_SF_SF_EESJ_SZ_SK_SL_SM_EUlSZ_E1_NS1_11comp_targetILNS1_3genE4ELNS1_11target_archE910ELNS1_3gpuE8ELNS1_3repE0EEENS1_36merge_oddeven_config_static_selectorELNS0_4arch9wavefront6targetE1EEEvSL_
; %bb.0:
	s_load_dword s18, s[4:5], 0x20
	s_waitcnt lgkmcnt(0)
	s_lshr_b32 s0, s18, 8
	s_cmp_lg_u32 s6, s0
	s_cselect_b64 s[14:15], -1, 0
	s_cmp_eq_u32 s6, s0
	s_cselect_b64 s[12:13], -1, 0
	s_lshl_b32 s16, s6, 8
	s_sub_i32 s0, s18, s16
	v_cmp_gt_u32_e64 s[2:3], s0, v0
	s_or_b64 s[0:1], s[14:15], s[2:3]
	s_and_saveexec_b64 s[8:9], s[0:1]
	s_cbranch_execz .LBB1690_20
; %bb.1:
	s_load_dwordx4 s[8:11], s[4:5], 0x0
	s_load_dword s19, s[4:5], 0x24
	s_mov_b32 s17, 0
	s_lshl_b64 s[0:1], s[16:17], 2
	v_lshlrev_b32_e32 v1, 2, v0
	s_waitcnt lgkmcnt(0)
	s_add_u32 s0, s8, s0
	s_addc_u32 s1, s9, s1
	global_load_dword v2, v1, s[0:1]
	s_lshr_b32 s0, s19, 8
	s_sub_i32 s1, 0, s0
	s_and_b32 s1, s6, s1
	s_and_b32 s0, s1, s0
	s_lshl_b32 s20, s1, 8
	s_sub_i32 s17, 0, s19
	s_cmp_eq_u32 s0, 0
	s_cselect_b64 s[0:1], -1, 0
	s_and_b64 s[6:7], s[0:1], exec
	s_cselect_b32 s17, s19, s17
	s_add_i32 s17, s17, s20
	s_cmp_lt_u32 s17, s18
	v_add_u32_e32 v0, s16, v0
	s_cbranch_scc1 .LBB1690_3
; %bb.2:
	v_cmp_gt_u32_e32 vcc, s18, v0
	s_or_b64 s[6:7], vcc, s[14:15]
	s_and_b64 s[6:7], s[6:7], exec
	s_cbranch_execz .LBB1690_4
	s_branch .LBB1690_18
.LBB1690_3:
	s_mov_b64 s[6:7], 0
.LBB1690_4:
	s_load_dword s14, s[4:5], 0x28
	s_min_u32 s15, s17, s18
	s_add_i32 s4, s15, s19
	s_min_u32 s16, s4, s18
	s_min_u32 s4, s20, s15
	s_add_i32 s20, s20, s15
	v_subrev_u32_e32 v0, s20, v0
	v_add_u32_e32 v3, s4, v0
	s_and_b64 vcc, exec, s[12:13]
	s_cbranch_vccz .LBB1690_12
; %bb.5:
                                        ; implicit-def: $vgpr0
	s_and_saveexec_b64 s[4:5], s[2:3]
	s_cbranch_execz .LBB1690_11
; %bb.6:
	s_cmp_ge_u32 s17, s16
	v_mov_b32_e32 v4, s15
	s_cbranch_scc1 .LBB1690_10
; %bb.7:
	s_waitcnt vmcnt(0) lgkmcnt(0)
	v_and_b32_e32 v5, s14, v2
	s_mov_b64 s[2:3], 0
	v_mov_b32_e32 v6, s16
	v_mov_b32_e32 v4, s15
	;; [unrolled: 1-line block ×4, first 2 shown]
.LBB1690_8:                             ; =>This Inner Loop Header: Depth=1
	v_add_u32_e32 v0, v4, v6
	v_lshrrev_b32_e32 v0, 1, v0
	v_lshlrev_b64 v[8:9], 2, v[0:1]
	v_add_co_u32_e32 v8, vcc, s8, v8
	v_addc_co_u32_e32 v9, vcc, v7, v9, vcc
	global_load_dword v8, v[8:9], off
	v_add_u32_e32 v9, 1, v0
	s_waitcnt vmcnt(0)
	v_and_b32_e32 v8, s14, v8
	v_cmp_gt_i32_e32 vcc, v5, v8
	v_cndmask_b32_e64 v10, 0, 1, vcc
	v_cmp_le_i32_e32 vcc, v8, v5
	v_cndmask_b32_e64 v8, 0, 1, vcc
	v_cndmask_b32_e64 v8, v8, v10, s[0:1]
	v_and_b32_e32 v8, 1, v8
	v_cmp_eq_u32_e32 vcc, 1, v8
	v_cndmask_b32_e32 v6, v0, v6, vcc
	v_cndmask_b32_e32 v4, v4, v9, vcc
	v_cmp_ge_u32_e32 vcc, v4, v6
	s_or_b64 s[2:3], vcc, s[2:3]
	s_andn2_b64 exec, exec, s[2:3]
	s_cbranch_execnz .LBB1690_8
; %bb.9:
	s_or_b64 exec, exec, s[2:3]
.LBB1690_10:
	v_add_u32_e32 v0, v4, v3
	s_or_b64 s[6:7], s[6:7], exec
.LBB1690_11:
	s_or_b64 exec, exec, s[4:5]
	s_branch .LBB1690_18
.LBB1690_12:
                                        ; implicit-def: $vgpr0
	s_cbranch_execz .LBB1690_18
; %bb.13:
	s_cmp_ge_u32 s17, s16
	v_mov_b32_e32 v4, s15
	s_cbranch_scc1 .LBB1690_17
; %bb.14:
	s_waitcnt vmcnt(0) lgkmcnt(0)
	v_and_b32_e32 v5, s14, v2
	s_mov_b64 s[2:3], 0
	v_mov_b32_e32 v6, s16
	v_mov_b32_e32 v4, s15
	;; [unrolled: 1-line block ×4, first 2 shown]
.LBB1690_15:                            ; =>This Inner Loop Header: Depth=1
	v_add_u32_e32 v0, v4, v6
	v_lshrrev_b32_e32 v0, 1, v0
	v_lshlrev_b64 v[8:9], 2, v[0:1]
	v_add_co_u32_e32 v8, vcc, s8, v8
	v_addc_co_u32_e32 v9, vcc, v7, v9, vcc
	global_load_dword v8, v[8:9], off
	v_add_u32_e32 v9, 1, v0
	s_waitcnt vmcnt(0)
	v_and_b32_e32 v8, s14, v8
	v_cmp_gt_i32_e32 vcc, v5, v8
	v_cndmask_b32_e64 v10, 0, 1, vcc
	v_cmp_le_i32_e32 vcc, v8, v5
	v_cndmask_b32_e64 v8, 0, 1, vcc
	v_cndmask_b32_e64 v8, v8, v10, s[0:1]
	v_and_b32_e32 v8, 1, v8
	v_cmp_eq_u32_e32 vcc, 1, v8
	v_cndmask_b32_e32 v6, v0, v6, vcc
	v_cndmask_b32_e32 v4, v4, v9, vcc
	v_cmp_ge_u32_e32 vcc, v4, v6
	s_or_b64 s[2:3], vcc, s[2:3]
	s_andn2_b64 exec, exec, s[2:3]
	s_cbranch_execnz .LBB1690_15
; %bb.16:
	s_or_b64 exec, exec, s[2:3]
.LBB1690_17:
	v_add_u32_e32 v0, v4, v3
	s_mov_b64 s[6:7], -1
.LBB1690_18:
	s_and_b64 exec, exec, s[6:7]
	s_cbranch_execz .LBB1690_20
; %bb.19:
	v_mov_b32_e32 v1, 0
	v_lshlrev_b64 v[0:1], 2, v[0:1]
	v_mov_b32_e32 v3, s11
	v_add_co_u32_e32 v0, vcc, s10, v0
	v_addc_co_u32_e32 v1, vcc, v3, v1, vcc
	s_waitcnt vmcnt(0)
	global_store_dword v[0:1], v2, off
.LBB1690_20:
	s_endpgm
	.section	.rodata,"a",@progbits
	.p2align	6, 0x0
	.amdhsa_kernel _ZN7rocprim17ROCPRIM_400000_NS6detail17trampoline_kernelINS0_14default_configENS1_38merge_sort_block_merge_config_selectorIiNS0_10empty_typeEEEZZNS1_27merge_sort_block_merge_implIS3_N6thrust23THRUST_200600_302600_NS6detail15normal_iteratorINS9_10device_ptrIiEEEEPS5_jNS1_19radix_merge_compareILb0ELb1EiNS0_19identity_decomposerEEEEE10hipError_tT0_T1_T2_jT3_P12ihipStream_tbPNSt15iterator_traitsISK_E10value_typeEPNSQ_ISL_E10value_typeEPSM_NS1_7vsmem_tEENKUlT_SK_SL_SM_E_clIPiSE_SF_SF_EESJ_SZ_SK_SL_SM_EUlSZ_E1_NS1_11comp_targetILNS1_3genE4ELNS1_11target_archE910ELNS1_3gpuE8ELNS1_3repE0EEENS1_36merge_oddeven_config_static_selectorELNS0_4arch9wavefront6targetE1EEEvSL_
		.amdhsa_group_segment_fixed_size 0
		.amdhsa_private_segment_fixed_size 0
		.amdhsa_kernarg_size 48
		.amdhsa_user_sgpr_count 6
		.amdhsa_user_sgpr_private_segment_buffer 1
		.amdhsa_user_sgpr_dispatch_ptr 0
		.amdhsa_user_sgpr_queue_ptr 0
		.amdhsa_user_sgpr_kernarg_segment_ptr 1
		.amdhsa_user_sgpr_dispatch_id 0
		.amdhsa_user_sgpr_flat_scratch_init 0
		.amdhsa_user_sgpr_kernarg_preload_length 0
		.amdhsa_user_sgpr_kernarg_preload_offset 0
		.amdhsa_user_sgpr_private_segment_size 0
		.amdhsa_uses_dynamic_stack 0
		.amdhsa_system_sgpr_private_segment_wavefront_offset 0
		.amdhsa_system_sgpr_workgroup_id_x 1
		.amdhsa_system_sgpr_workgroup_id_y 0
		.amdhsa_system_sgpr_workgroup_id_z 0
		.amdhsa_system_sgpr_workgroup_info 0
		.amdhsa_system_vgpr_workitem_id 0
		.amdhsa_next_free_vgpr 11
		.amdhsa_next_free_sgpr 21
		.amdhsa_accum_offset 12
		.amdhsa_reserve_vcc 1
		.amdhsa_reserve_flat_scratch 0
		.amdhsa_float_round_mode_32 0
		.amdhsa_float_round_mode_16_64 0
		.amdhsa_float_denorm_mode_32 3
		.amdhsa_float_denorm_mode_16_64 3
		.amdhsa_dx10_clamp 1
		.amdhsa_ieee_mode 1
		.amdhsa_fp16_overflow 0
		.amdhsa_tg_split 0
		.amdhsa_exception_fp_ieee_invalid_op 0
		.amdhsa_exception_fp_denorm_src 0
		.amdhsa_exception_fp_ieee_div_zero 0
		.amdhsa_exception_fp_ieee_overflow 0
		.amdhsa_exception_fp_ieee_underflow 0
		.amdhsa_exception_fp_ieee_inexact 0
		.amdhsa_exception_int_div_zero 0
	.end_amdhsa_kernel
	.section	.text._ZN7rocprim17ROCPRIM_400000_NS6detail17trampoline_kernelINS0_14default_configENS1_38merge_sort_block_merge_config_selectorIiNS0_10empty_typeEEEZZNS1_27merge_sort_block_merge_implIS3_N6thrust23THRUST_200600_302600_NS6detail15normal_iteratorINS9_10device_ptrIiEEEEPS5_jNS1_19radix_merge_compareILb0ELb1EiNS0_19identity_decomposerEEEEE10hipError_tT0_T1_T2_jT3_P12ihipStream_tbPNSt15iterator_traitsISK_E10value_typeEPNSQ_ISL_E10value_typeEPSM_NS1_7vsmem_tEENKUlT_SK_SL_SM_E_clIPiSE_SF_SF_EESJ_SZ_SK_SL_SM_EUlSZ_E1_NS1_11comp_targetILNS1_3genE4ELNS1_11target_archE910ELNS1_3gpuE8ELNS1_3repE0EEENS1_36merge_oddeven_config_static_selectorELNS0_4arch9wavefront6targetE1EEEvSL_,"axG",@progbits,_ZN7rocprim17ROCPRIM_400000_NS6detail17trampoline_kernelINS0_14default_configENS1_38merge_sort_block_merge_config_selectorIiNS0_10empty_typeEEEZZNS1_27merge_sort_block_merge_implIS3_N6thrust23THRUST_200600_302600_NS6detail15normal_iteratorINS9_10device_ptrIiEEEEPS5_jNS1_19radix_merge_compareILb0ELb1EiNS0_19identity_decomposerEEEEE10hipError_tT0_T1_T2_jT3_P12ihipStream_tbPNSt15iterator_traitsISK_E10value_typeEPNSQ_ISL_E10value_typeEPSM_NS1_7vsmem_tEENKUlT_SK_SL_SM_E_clIPiSE_SF_SF_EESJ_SZ_SK_SL_SM_EUlSZ_E1_NS1_11comp_targetILNS1_3genE4ELNS1_11target_archE910ELNS1_3gpuE8ELNS1_3repE0EEENS1_36merge_oddeven_config_static_selectorELNS0_4arch9wavefront6targetE1EEEvSL_,comdat
.Lfunc_end1690:
	.size	_ZN7rocprim17ROCPRIM_400000_NS6detail17trampoline_kernelINS0_14default_configENS1_38merge_sort_block_merge_config_selectorIiNS0_10empty_typeEEEZZNS1_27merge_sort_block_merge_implIS3_N6thrust23THRUST_200600_302600_NS6detail15normal_iteratorINS9_10device_ptrIiEEEEPS5_jNS1_19radix_merge_compareILb0ELb1EiNS0_19identity_decomposerEEEEE10hipError_tT0_T1_T2_jT3_P12ihipStream_tbPNSt15iterator_traitsISK_E10value_typeEPNSQ_ISL_E10value_typeEPSM_NS1_7vsmem_tEENKUlT_SK_SL_SM_E_clIPiSE_SF_SF_EESJ_SZ_SK_SL_SM_EUlSZ_E1_NS1_11comp_targetILNS1_3genE4ELNS1_11target_archE910ELNS1_3gpuE8ELNS1_3repE0EEENS1_36merge_oddeven_config_static_selectorELNS0_4arch9wavefront6targetE1EEEvSL_, .Lfunc_end1690-_ZN7rocprim17ROCPRIM_400000_NS6detail17trampoline_kernelINS0_14default_configENS1_38merge_sort_block_merge_config_selectorIiNS0_10empty_typeEEEZZNS1_27merge_sort_block_merge_implIS3_N6thrust23THRUST_200600_302600_NS6detail15normal_iteratorINS9_10device_ptrIiEEEEPS5_jNS1_19radix_merge_compareILb0ELb1EiNS0_19identity_decomposerEEEEE10hipError_tT0_T1_T2_jT3_P12ihipStream_tbPNSt15iterator_traitsISK_E10value_typeEPNSQ_ISL_E10value_typeEPSM_NS1_7vsmem_tEENKUlT_SK_SL_SM_E_clIPiSE_SF_SF_EESJ_SZ_SK_SL_SM_EUlSZ_E1_NS1_11comp_targetILNS1_3genE4ELNS1_11target_archE910ELNS1_3gpuE8ELNS1_3repE0EEENS1_36merge_oddeven_config_static_selectorELNS0_4arch9wavefront6targetE1EEEvSL_
                                        ; -- End function
	.section	.AMDGPU.csdata,"",@progbits
; Kernel info:
; codeLenInByte = 620
; NumSgprs: 25
; NumVgprs: 11
; NumAgprs: 0
; TotalNumVgprs: 11
; ScratchSize: 0
; MemoryBound: 0
; FloatMode: 240
; IeeeMode: 1
; LDSByteSize: 0 bytes/workgroup (compile time only)
; SGPRBlocks: 3
; VGPRBlocks: 1
; NumSGPRsForWavesPerEU: 25
; NumVGPRsForWavesPerEU: 11
; AccumOffset: 12
; Occupancy: 8
; WaveLimiterHint : 0
; COMPUTE_PGM_RSRC2:SCRATCH_EN: 0
; COMPUTE_PGM_RSRC2:USER_SGPR: 6
; COMPUTE_PGM_RSRC2:TRAP_HANDLER: 0
; COMPUTE_PGM_RSRC2:TGID_X_EN: 1
; COMPUTE_PGM_RSRC2:TGID_Y_EN: 0
; COMPUTE_PGM_RSRC2:TGID_Z_EN: 0
; COMPUTE_PGM_RSRC2:TIDIG_COMP_CNT: 0
; COMPUTE_PGM_RSRC3_GFX90A:ACCUM_OFFSET: 2
; COMPUTE_PGM_RSRC3_GFX90A:TG_SPLIT: 0
	.section	.text._ZN7rocprim17ROCPRIM_400000_NS6detail17trampoline_kernelINS0_14default_configENS1_38merge_sort_block_merge_config_selectorIiNS0_10empty_typeEEEZZNS1_27merge_sort_block_merge_implIS3_N6thrust23THRUST_200600_302600_NS6detail15normal_iteratorINS9_10device_ptrIiEEEEPS5_jNS1_19radix_merge_compareILb0ELb1EiNS0_19identity_decomposerEEEEE10hipError_tT0_T1_T2_jT3_P12ihipStream_tbPNSt15iterator_traitsISK_E10value_typeEPNSQ_ISL_E10value_typeEPSM_NS1_7vsmem_tEENKUlT_SK_SL_SM_E_clIPiSE_SF_SF_EESJ_SZ_SK_SL_SM_EUlSZ_E1_NS1_11comp_targetILNS1_3genE3ELNS1_11target_archE908ELNS1_3gpuE7ELNS1_3repE0EEENS1_36merge_oddeven_config_static_selectorELNS0_4arch9wavefront6targetE1EEEvSL_,"axG",@progbits,_ZN7rocprim17ROCPRIM_400000_NS6detail17trampoline_kernelINS0_14default_configENS1_38merge_sort_block_merge_config_selectorIiNS0_10empty_typeEEEZZNS1_27merge_sort_block_merge_implIS3_N6thrust23THRUST_200600_302600_NS6detail15normal_iteratorINS9_10device_ptrIiEEEEPS5_jNS1_19radix_merge_compareILb0ELb1EiNS0_19identity_decomposerEEEEE10hipError_tT0_T1_T2_jT3_P12ihipStream_tbPNSt15iterator_traitsISK_E10value_typeEPNSQ_ISL_E10value_typeEPSM_NS1_7vsmem_tEENKUlT_SK_SL_SM_E_clIPiSE_SF_SF_EESJ_SZ_SK_SL_SM_EUlSZ_E1_NS1_11comp_targetILNS1_3genE3ELNS1_11target_archE908ELNS1_3gpuE7ELNS1_3repE0EEENS1_36merge_oddeven_config_static_selectorELNS0_4arch9wavefront6targetE1EEEvSL_,comdat
	.protected	_ZN7rocprim17ROCPRIM_400000_NS6detail17trampoline_kernelINS0_14default_configENS1_38merge_sort_block_merge_config_selectorIiNS0_10empty_typeEEEZZNS1_27merge_sort_block_merge_implIS3_N6thrust23THRUST_200600_302600_NS6detail15normal_iteratorINS9_10device_ptrIiEEEEPS5_jNS1_19radix_merge_compareILb0ELb1EiNS0_19identity_decomposerEEEEE10hipError_tT0_T1_T2_jT3_P12ihipStream_tbPNSt15iterator_traitsISK_E10value_typeEPNSQ_ISL_E10value_typeEPSM_NS1_7vsmem_tEENKUlT_SK_SL_SM_E_clIPiSE_SF_SF_EESJ_SZ_SK_SL_SM_EUlSZ_E1_NS1_11comp_targetILNS1_3genE3ELNS1_11target_archE908ELNS1_3gpuE7ELNS1_3repE0EEENS1_36merge_oddeven_config_static_selectorELNS0_4arch9wavefront6targetE1EEEvSL_ ; -- Begin function _ZN7rocprim17ROCPRIM_400000_NS6detail17trampoline_kernelINS0_14default_configENS1_38merge_sort_block_merge_config_selectorIiNS0_10empty_typeEEEZZNS1_27merge_sort_block_merge_implIS3_N6thrust23THRUST_200600_302600_NS6detail15normal_iteratorINS9_10device_ptrIiEEEEPS5_jNS1_19radix_merge_compareILb0ELb1EiNS0_19identity_decomposerEEEEE10hipError_tT0_T1_T2_jT3_P12ihipStream_tbPNSt15iterator_traitsISK_E10value_typeEPNSQ_ISL_E10value_typeEPSM_NS1_7vsmem_tEENKUlT_SK_SL_SM_E_clIPiSE_SF_SF_EESJ_SZ_SK_SL_SM_EUlSZ_E1_NS1_11comp_targetILNS1_3genE3ELNS1_11target_archE908ELNS1_3gpuE7ELNS1_3repE0EEENS1_36merge_oddeven_config_static_selectorELNS0_4arch9wavefront6targetE1EEEvSL_
	.globl	_ZN7rocprim17ROCPRIM_400000_NS6detail17trampoline_kernelINS0_14default_configENS1_38merge_sort_block_merge_config_selectorIiNS0_10empty_typeEEEZZNS1_27merge_sort_block_merge_implIS3_N6thrust23THRUST_200600_302600_NS6detail15normal_iteratorINS9_10device_ptrIiEEEEPS5_jNS1_19radix_merge_compareILb0ELb1EiNS0_19identity_decomposerEEEEE10hipError_tT0_T1_T2_jT3_P12ihipStream_tbPNSt15iterator_traitsISK_E10value_typeEPNSQ_ISL_E10value_typeEPSM_NS1_7vsmem_tEENKUlT_SK_SL_SM_E_clIPiSE_SF_SF_EESJ_SZ_SK_SL_SM_EUlSZ_E1_NS1_11comp_targetILNS1_3genE3ELNS1_11target_archE908ELNS1_3gpuE7ELNS1_3repE0EEENS1_36merge_oddeven_config_static_selectorELNS0_4arch9wavefront6targetE1EEEvSL_
	.p2align	8
	.type	_ZN7rocprim17ROCPRIM_400000_NS6detail17trampoline_kernelINS0_14default_configENS1_38merge_sort_block_merge_config_selectorIiNS0_10empty_typeEEEZZNS1_27merge_sort_block_merge_implIS3_N6thrust23THRUST_200600_302600_NS6detail15normal_iteratorINS9_10device_ptrIiEEEEPS5_jNS1_19radix_merge_compareILb0ELb1EiNS0_19identity_decomposerEEEEE10hipError_tT0_T1_T2_jT3_P12ihipStream_tbPNSt15iterator_traitsISK_E10value_typeEPNSQ_ISL_E10value_typeEPSM_NS1_7vsmem_tEENKUlT_SK_SL_SM_E_clIPiSE_SF_SF_EESJ_SZ_SK_SL_SM_EUlSZ_E1_NS1_11comp_targetILNS1_3genE3ELNS1_11target_archE908ELNS1_3gpuE7ELNS1_3repE0EEENS1_36merge_oddeven_config_static_selectorELNS0_4arch9wavefront6targetE1EEEvSL_,@function
_ZN7rocprim17ROCPRIM_400000_NS6detail17trampoline_kernelINS0_14default_configENS1_38merge_sort_block_merge_config_selectorIiNS0_10empty_typeEEEZZNS1_27merge_sort_block_merge_implIS3_N6thrust23THRUST_200600_302600_NS6detail15normal_iteratorINS9_10device_ptrIiEEEEPS5_jNS1_19radix_merge_compareILb0ELb1EiNS0_19identity_decomposerEEEEE10hipError_tT0_T1_T2_jT3_P12ihipStream_tbPNSt15iterator_traitsISK_E10value_typeEPNSQ_ISL_E10value_typeEPSM_NS1_7vsmem_tEENKUlT_SK_SL_SM_E_clIPiSE_SF_SF_EESJ_SZ_SK_SL_SM_EUlSZ_E1_NS1_11comp_targetILNS1_3genE3ELNS1_11target_archE908ELNS1_3gpuE7ELNS1_3repE0EEENS1_36merge_oddeven_config_static_selectorELNS0_4arch9wavefront6targetE1EEEvSL_: ; @_ZN7rocprim17ROCPRIM_400000_NS6detail17trampoline_kernelINS0_14default_configENS1_38merge_sort_block_merge_config_selectorIiNS0_10empty_typeEEEZZNS1_27merge_sort_block_merge_implIS3_N6thrust23THRUST_200600_302600_NS6detail15normal_iteratorINS9_10device_ptrIiEEEEPS5_jNS1_19radix_merge_compareILb0ELb1EiNS0_19identity_decomposerEEEEE10hipError_tT0_T1_T2_jT3_P12ihipStream_tbPNSt15iterator_traitsISK_E10value_typeEPNSQ_ISL_E10value_typeEPSM_NS1_7vsmem_tEENKUlT_SK_SL_SM_E_clIPiSE_SF_SF_EESJ_SZ_SK_SL_SM_EUlSZ_E1_NS1_11comp_targetILNS1_3genE3ELNS1_11target_archE908ELNS1_3gpuE7ELNS1_3repE0EEENS1_36merge_oddeven_config_static_selectorELNS0_4arch9wavefront6targetE1EEEvSL_
; %bb.0:
	.section	.rodata,"a",@progbits
	.p2align	6, 0x0
	.amdhsa_kernel _ZN7rocprim17ROCPRIM_400000_NS6detail17trampoline_kernelINS0_14default_configENS1_38merge_sort_block_merge_config_selectorIiNS0_10empty_typeEEEZZNS1_27merge_sort_block_merge_implIS3_N6thrust23THRUST_200600_302600_NS6detail15normal_iteratorINS9_10device_ptrIiEEEEPS5_jNS1_19radix_merge_compareILb0ELb1EiNS0_19identity_decomposerEEEEE10hipError_tT0_T1_T2_jT3_P12ihipStream_tbPNSt15iterator_traitsISK_E10value_typeEPNSQ_ISL_E10value_typeEPSM_NS1_7vsmem_tEENKUlT_SK_SL_SM_E_clIPiSE_SF_SF_EESJ_SZ_SK_SL_SM_EUlSZ_E1_NS1_11comp_targetILNS1_3genE3ELNS1_11target_archE908ELNS1_3gpuE7ELNS1_3repE0EEENS1_36merge_oddeven_config_static_selectorELNS0_4arch9wavefront6targetE1EEEvSL_
		.amdhsa_group_segment_fixed_size 0
		.amdhsa_private_segment_fixed_size 0
		.amdhsa_kernarg_size 48
		.amdhsa_user_sgpr_count 6
		.amdhsa_user_sgpr_private_segment_buffer 1
		.amdhsa_user_sgpr_dispatch_ptr 0
		.amdhsa_user_sgpr_queue_ptr 0
		.amdhsa_user_sgpr_kernarg_segment_ptr 1
		.amdhsa_user_sgpr_dispatch_id 0
		.amdhsa_user_sgpr_flat_scratch_init 0
		.amdhsa_user_sgpr_kernarg_preload_length 0
		.amdhsa_user_sgpr_kernarg_preload_offset 0
		.amdhsa_user_sgpr_private_segment_size 0
		.amdhsa_uses_dynamic_stack 0
		.amdhsa_system_sgpr_private_segment_wavefront_offset 0
		.amdhsa_system_sgpr_workgroup_id_x 1
		.amdhsa_system_sgpr_workgroup_id_y 0
		.amdhsa_system_sgpr_workgroup_id_z 0
		.amdhsa_system_sgpr_workgroup_info 0
		.amdhsa_system_vgpr_workitem_id 0
		.amdhsa_next_free_vgpr 1
		.amdhsa_next_free_sgpr 0
		.amdhsa_accum_offset 4
		.amdhsa_reserve_vcc 0
		.amdhsa_reserve_flat_scratch 0
		.amdhsa_float_round_mode_32 0
		.amdhsa_float_round_mode_16_64 0
		.amdhsa_float_denorm_mode_32 3
		.amdhsa_float_denorm_mode_16_64 3
		.amdhsa_dx10_clamp 1
		.amdhsa_ieee_mode 1
		.amdhsa_fp16_overflow 0
		.amdhsa_tg_split 0
		.amdhsa_exception_fp_ieee_invalid_op 0
		.amdhsa_exception_fp_denorm_src 0
		.amdhsa_exception_fp_ieee_div_zero 0
		.amdhsa_exception_fp_ieee_overflow 0
		.amdhsa_exception_fp_ieee_underflow 0
		.amdhsa_exception_fp_ieee_inexact 0
		.amdhsa_exception_int_div_zero 0
	.end_amdhsa_kernel
	.section	.text._ZN7rocprim17ROCPRIM_400000_NS6detail17trampoline_kernelINS0_14default_configENS1_38merge_sort_block_merge_config_selectorIiNS0_10empty_typeEEEZZNS1_27merge_sort_block_merge_implIS3_N6thrust23THRUST_200600_302600_NS6detail15normal_iteratorINS9_10device_ptrIiEEEEPS5_jNS1_19radix_merge_compareILb0ELb1EiNS0_19identity_decomposerEEEEE10hipError_tT0_T1_T2_jT3_P12ihipStream_tbPNSt15iterator_traitsISK_E10value_typeEPNSQ_ISL_E10value_typeEPSM_NS1_7vsmem_tEENKUlT_SK_SL_SM_E_clIPiSE_SF_SF_EESJ_SZ_SK_SL_SM_EUlSZ_E1_NS1_11comp_targetILNS1_3genE3ELNS1_11target_archE908ELNS1_3gpuE7ELNS1_3repE0EEENS1_36merge_oddeven_config_static_selectorELNS0_4arch9wavefront6targetE1EEEvSL_,"axG",@progbits,_ZN7rocprim17ROCPRIM_400000_NS6detail17trampoline_kernelINS0_14default_configENS1_38merge_sort_block_merge_config_selectorIiNS0_10empty_typeEEEZZNS1_27merge_sort_block_merge_implIS3_N6thrust23THRUST_200600_302600_NS6detail15normal_iteratorINS9_10device_ptrIiEEEEPS5_jNS1_19radix_merge_compareILb0ELb1EiNS0_19identity_decomposerEEEEE10hipError_tT0_T1_T2_jT3_P12ihipStream_tbPNSt15iterator_traitsISK_E10value_typeEPNSQ_ISL_E10value_typeEPSM_NS1_7vsmem_tEENKUlT_SK_SL_SM_E_clIPiSE_SF_SF_EESJ_SZ_SK_SL_SM_EUlSZ_E1_NS1_11comp_targetILNS1_3genE3ELNS1_11target_archE908ELNS1_3gpuE7ELNS1_3repE0EEENS1_36merge_oddeven_config_static_selectorELNS0_4arch9wavefront6targetE1EEEvSL_,comdat
.Lfunc_end1691:
	.size	_ZN7rocprim17ROCPRIM_400000_NS6detail17trampoline_kernelINS0_14default_configENS1_38merge_sort_block_merge_config_selectorIiNS0_10empty_typeEEEZZNS1_27merge_sort_block_merge_implIS3_N6thrust23THRUST_200600_302600_NS6detail15normal_iteratorINS9_10device_ptrIiEEEEPS5_jNS1_19radix_merge_compareILb0ELb1EiNS0_19identity_decomposerEEEEE10hipError_tT0_T1_T2_jT3_P12ihipStream_tbPNSt15iterator_traitsISK_E10value_typeEPNSQ_ISL_E10value_typeEPSM_NS1_7vsmem_tEENKUlT_SK_SL_SM_E_clIPiSE_SF_SF_EESJ_SZ_SK_SL_SM_EUlSZ_E1_NS1_11comp_targetILNS1_3genE3ELNS1_11target_archE908ELNS1_3gpuE7ELNS1_3repE0EEENS1_36merge_oddeven_config_static_selectorELNS0_4arch9wavefront6targetE1EEEvSL_, .Lfunc_end1691-_ZN7rocprim17ROCPRIM_400000_NS6detail17trampoline_kernelINS0_14default_configENS1_38merge_sort_block_merge_config_selectorIiNS0_10empty_typeEEEZZNS1_27merge_sort_block_merge_implIS3_N6thrust23THRUST_200600_302600_NS6detail15normal_iteratorINS9_10device_ptrIiEEEEPS5_jNS1_19radix_merge_compareILb0ELb1EiNS0_19identity_decomposerEEEEE10hipError_tT0_T1_T2_jT3_P12ihipStream_tbPNSt15iterator_traitsISK_E10value_typeEPNSQ_ISL_E10value_typeEPSM_NS1_7vsmem_tEENKUlT_SK_SL_SM_E_clIPiSE_SF_SF_EESJ_SZ_SK_SL_SM_EUlSZ_E1_NS1_11comp_targetILNS1_3genE3ELNS1_11target_archE908ELNS1_3gpuE7ELNS1_3repE0EEENS1_36merge_oddeven_config_static_selectorELNS0_4arch9wavefront6targetE1EEEvSL_
                                        ; -- End function
	.section	.AMDGPU.csdata,"",@progbits
; Kernel info:
; codeLenInByte = 0
; NumSgprs: 4
; NumVgprs: 0
; NumAgprs: 0
; TotalNumVgprs: 0
; ScratchSize: 0
; MemoryBound: 0
; FloatMode: 240
; IeeeMode: 1
; LDSByteSize: 0 bytes/workgroup (compile time only)
; SGPRBlocks: 0
; VGPRBlocks: 0
; NumSGPRsForWavesPerEU: 4
; NumVGPRsForWavesPerEU: 1
; AccumOffset: 4
; Occupancy: 8
; WaveLimiterHint : 0
; COMPUTE_PGM_RSRC2:SCRATCH_EN: 0
; COMPUTE_PGM_RSRC2:USER_SGPR: 6
; COMPUTE_PGM_RSRC2:TRAP_HANDLER: 0
; COMPUTE_PGM_RSRC2:TGID_X_EN: 1
; COMPUTE_PGM_RSRC2:TGID_Y_EN: 0
; COMPUTE_PGM_RSRC2:TGID_Z_EN: 0
; COMPUTE_PGM_RSRC2:TIDIG_COMP_CNT: 0
; COMPUTE_PGM_RSRC3_GFX90A:ACCUM_OFFSET: 0
; COMPUTE_PGM_RSRC3_GFX90A:TG_SPLIT: 0
	.section	.text._ZN7rocprim17ROCPRIM_400000_NS6detail17trampoline_kernelINS0_14default_configENS1_38merge_sort_block_merge_config_selectorIiNS0_10empty_typeEEEZZNS1_27merge_sort_block_merge_implIS3_N6thrust23THRUST_200600_302600_NS6detail15normal_iteratorINS9_10device_ptrIiEEEEPS5_jNS1_19radix_merge_compareILb0ELb1EiNS0_19identity_decomposerEEEEE10hipError_tT0_T1_T2_jT3_P12ihipStream_tbPNSt15iterator_traitsISK_E10value_typeEPNSQ_ISL_E10value_typeEPSM_NS1_7vsmem_tEENKUlT_SK_SL_SM_E_clIPiSE_SF_SF_EESJ_SZ_SK_SL_SM_EUlSZ_E1_NS1_11comp_targetILNS1_3genE2ELNS1_11target_archE906ELNS1_3gpuE6ELNS1_3repE0EEENS1_36merge_oddeven_config_static_selectorELNS0_4arch9wavefront6targetE1EEEvSL_,"axG",@progbits,_ZN7rocprim17ROCPRIM_400000_NS6detail17trampoline_kernelINS0_14default_configENS1_38merge_sort_block_merge_config_selectorIiNS0_10empty_typeEEEZZNS1_27merge_sort_block_merge_implIS3_N6thrust23THRUST_200600_302600_NS6detail15normal_iteratorINS9_10device_ptrIiEEEEPS5_jNS1_19radix_merge_compareILb0ELb1EiNS0_19identity_decomposerEEEEE10hipError_tT0_T1_T2_jT3_P12ihipStream_tbPNSt15iterator_traitsISK_E10value_typeEPNSQ_ISL_E10value_typeEPSM_NS1_7vsmem_tEENKUlT_SK_SL_SM_E_clIPiSE_SF_SF_EESJ_SZ_SK_SL_SM_EUlSZ_E1_NS1_11comp_targetILNS1_3genE2ELNS1_11target_archE906ELNS1_3gpuE6ELNS1_3repE0EEENS1_36merge_oddeven_config_static_selectorELNS0_4arch9wavefront6targetE1EEEvSL_,comdat
	.protected	_ZN7rocprim17ROCPRIM_400000_NS6detail17trampoline_kernelINS0_14default_configENS1_38merge_sort_block_merge_config_selectorIiNS0_10empty_typeEEEZZNS1_27merge_sort_block_merge_implIS3_N6thrust23THRUST_200600_302600_NS6detail15normal_iteratorINS9_10device_ptrIiEEEEPS5_jNS1_19radix_merge_compareILb0ELb1EiNS0_19identity_decomposerEEEEE10hipError_tT0_T1_T2_jT3_P12ihipStream_tbPNSt15iterator_traitsISK_E10value_typeEPNSQ_ISL_E10value_typeEPSM_NS1_7vsmem_tEENKUlT_SK_SL_SM_E_clIPiSE_SF_SF_EESJ_SZ_SK_SL_SM_EUlSZ_E1_NS1_11comp_targetILNS1_3genE2ELNS1_11target_archE906ELNS1_3gpuE6ELNS1_3repE0EEENS1_36merge_oddeven_config_static_selectorELNS0_4arch9wavefront6targetE1EEEvSL_ ; -- Begin function _ZN7rocprim17ROCPRIM_400000_NS6detail17trampoline_kernelINS0_14default_configENS1_38merge_sort_block_merge_config_selectorIiNS0_10empty_typeEEEZZNS1_27merge_sort_block_merge_implIS3_N6thrust23THRUST_200600_302600_NS6detail15normal_iteratorINS9_10device_ptrIiEEEEPS5_jNS1_19radix_merge_compareILb0ELb1EiNS0_19identity_decomposerEEEEE10hipError_tT0_T1_T2_jT3_P12ihipStream_tbPNSt15iterator_traitsISK_E10value_typeEPNSQ_ISL_E10value_typeEPSM_NS1_7vsmem_tEENKUlT_SK_SL_SM_E_clIPiSE_SF_SF_EESJ_SZ_SK_SL_SM_EUlSZ_E1_NS1_11comp_targetILNS1_3genE2ELNS1_11target_archE906ELNS1_3gpuE6ELNS1_3repE0EEENS1_36merge_oddeven_config_static_selectorELNS0_4arch9wavefront6targetE1EEEvSL_
	.globl	_ZN7rocprim17ROCPRIM_400000_NS6detail17trampoline_kernelINS0_14default_configENS1_38merge_sort_block_merge_config_selectorIiNS0_10empty_typeEEEZZNS1_27merge_sort_block_merge_implIS3_N6thrust23THRUST_200600_302600_NS6detail15normal_iteratorINS9_10device_ptrIiEEEEPS5_jNS1_19radix_merge_compareILb0ELb1EiNS0_19identity_decomposerEEEEE10hipError_tT0_T1_T2_jT3_P12ihipStream_tbPNSt15iterator_traitsISK_E10value_typeEPNSQ_ISL_E10value_typeEPSM_NS1_7vsmem_tEENKUlT_SK_SL_SM_E_clIPiSE_SF_SF_EESJ_SZ_SK_SL_SM_EUlSZ_E1_NS1_11comp_targetILNS1_3genE2ELNS1_11target_archE906ELNS1_3gpuE6ELNS1_3repE0EEENS1_36merge_oddeven_config_static_selectorELNS0_4arch9wavefront6targetE1EEEvSL_
	.p2align	8
	.type	_ZN7rocprim17ROCPRIM_400000_NS6detail17trampoline_kernelINS0_14default_configENS1_38merge_sort_block_merge_config_selectorIiNS0_10empty_typeEEEZZNS1_27merge_sort_block_merge_implIS3_N6thrust23THRUST_200600_302600_NS6detail15normal_iteratorINS9_10device_ptrIiEEEEPS5_jNS1_19radix_merge_compareILb0ELb1EiNS0_19identity_decomposerEEEEE10hipError_tT0_T1_T2_jT3_P12ihipStream_tbPNSt15iterator_traitsISK_E10value_typeEPNSQ_ISL_E10value_typeEPSM_NS1_7vsmem_tEENKUlT_SK_SL_SM_E_clIPiSE_SF_SF_EESJ_SZ_SK_SL_SM_EUlSZ_E1_NS1_11comp_targetILNS1_3genE2ELNS1_11target_archE906ELNS1_3gpuE6ELNS1_3repE0EEENS1_36merge_oddeven_config_static_selectorELNS0_4arch9wavefront6targetE1EEEvSL_,@function
_ZN7rocprim17ROCPRIM_400000_NS6detail17trampoline_kernelINS0_14default_configENS1_38merge_sort_block_merge_config_selectorIiNS0_10empty_typeEEEZZNS1_27merge_sort_block_merge_implIS3_N6thrust23THRUST_200600_302600_NS6detail15normal_iteratorINS9_10device_ptrIiEEEEPS5_jNS1_19radix_merge_compareILb0ELb1EiNS0_19identity_decomposerEEEEE10hipError_tT0_T1_T2_jT3_P12ihipStream_tbPNSt15iterator_traitsISK_E10value_typeEPNSQ_ISL_E10value_typeEPSM_NS1_7vsmem_tEENKUlT_SK_SL_SM_E_clIPiSE_SF_SF_EESJ_SZ_SK_SL_SM_EUlSZ_E1_NS1_11comp_targetILNS1_3genE2ELNS1_11target_archE906ELNS1_3gpuE6ELNS1_3repE0EEENS1_36merge_oddeven_config_static_selectorELNS0_4arch9wavefront6targetE1EEEvSL_: ; @_ZN7rocprim17ROCPRIM_400000_NS6detail17trampoline_kernelINS0_14default_configENS1_38merge_sort_block_merge_config_selectorIiNS0_10empty_typeEEEZZNS1_27merge_sort_block_merge_implIS3_N6thrust23THRUST_200600_302600_NS6detail15normal_iteratorINS9_10device_ptrIiEEEEPS5_jNS1_19radix_merge_compareILb0ELb1EiNS0_19identity_decomposerEEEEE10hipError_tT0_T1_T2_jT3_P12ihipStream_tbPNSt15iterator_traitsISK_E10value_typeEPNSQ_ISL_E10value_typeEPSM_NS1_7vsmem_tEENKUlT_SK_SL_SM_E_clIPiSE_SF_SF_EESJ_SZ_SK_SL_SM_EUlSZ_E1_NS1_11comp_targetILNS1_3genE2ELNS1_11target_archE906ELNS1_3gpuE6ELNS1_3repE0EEENS1_36merge_oddeven_config_static_selectorELNS0_4arch9wavefront6targetE1EEEvSL_
; %bb.0:
	.section	.rodata,"a",@progbits
	.p2align	6, 0x0
	.amdhsa_kernel _ZN7rocprim17ROCPRIM_400000_NS6detail17trampoline_kernelINS0_14default_configENS1_38merge_sort_block_merge_config_selectorIiNS0_10empty_typeEEEZZNS1_27merge_sort_block_merge_implIS3_N6thrust23THRUST_200600_302600_NS6detail15normal_iteratorINS9_10device_ptrIiEEEEPS5_jNS1_19radix_merge_compareILb0ELb1EiNS0_19identity_decomposerEEEEE10hipError_tT0_T1_T2_jT3_P12ihipStream_tbPNSt15iterator_traitsISK_E10value_typeEPNSQ_ISL_E10value_typeEPSM_NS1_7vsmem_tEENKUlT_SK_SL_SM_E_clIPiSE_SF_SF_EESJ_SZ_SK_SL_SM_EUlSZ_E1_NS1_11comp_targetILNS1_3genE2ELNS1_11target_archE906ELNS1_3gpuE6ELNS1_3repE0EEENS1_36merge_oddeven_config_static_selectorELNS0_4arch9wavefront6targetE1EEEvSL_
		.amdhsa_group_segment_fixed_size 0
		.amdhsa_private_segment_fixed_size 0
		.amdhsa_kernarg_size 48
		.amdhsa_user_sgpr_count 6
		.amdhsa_user_sgpr_private_segment_buffer 1
		.amdhsa_user_sgpr_dispatch_ptr 0
		.amdhsa_user_sgpr_queue_ptr 0
		.amdhsa_user_sgpr_kernarg_segment_ptr 1
		.amdhsa_user_sgpr_dispatch_id 0
		.amdhsa_user_sgpr_flat_scratch_init 0
		.amdhsa_user_sgpr_kernarg_preload_length 0
		.amdhsa_user_sgpr_kernarg_preload_offset 0
		.amdhsa_user_sgpr_private_segment_size 0
		.amdhsa_uses_dynamic_stack 0
		.amdhsa_system_sgpr_private_segment_wavefront_offset 0
		.amdhsa_system_sgpr_workgroup_id_x 1
		.amdhsa_system_sgpr_workgroup_id_y 0
		.amdhsa_system_sgpr_workgroup_id_z 0
		.amdhsa_system_sgpr_workgroup_info 0
		.amdhsa_system_vgpr_workitem_id 0
		.amdhsa_next_free_vgpr 1
		.amdhsa_next_free_sgpr 0
		.amdhsa_accum_offset 4
		.amdhsa_reserve_vcc 0
		.amdhsa_reserve_flat_scratch 0
		.amdhsa_float_round_mode_32 0
		.amdhsa_float_round_mode_16_64 0
		.amdhsa_float_denorm_mode_32 3
		.amdhsa_float_denorm_mode_16_64 3
		.amdhsa_dx10_clamp 1
		.amdhsa_ieee_mode 1
		.amdhsa_fp16_overflow 0
		.amdhsa_tg_split 0
		.amdhsa_exception_fp_ieee_invalid_op 0
		.amdhsa_exception_fp_denorm_src 0
		.amdhsa_exception_fp_ieee_div_zero 0
		.amdhsa_exception_fp_ieee_overflow 0
		.amdhsa_exception_fp_ieee_underflow 0
		.amdhsa_exception_fp_ieee_inexact 0
		.amdhsa_exception_int_div_zero 0
	.end_amdhsa_kernel
	.section	.text._ZN7rocprim17ROCPRIM_400000_NS6detail17trampoline_kernelINS0_14default_configENS1_38merge_sort_block_merge_config_selectorIiNS0_10empty_typeEEEZZNS1_27merge_sort_block_merge_implIS3_N6thrust23THRUST_200600_302600_NS6detail15normal_iteratorINS9_10device_ptrIiEEEEPS5_jNS1_19radix_merge_compareILb0ELb1EiNS0_19identity_decomposerEEEEE10hipError_tT0_T1_T2_jT3_P12ihipStream_tbPNSt15iterator_traitsISK_E10value_typeEPNSQ_ISL_E10value_typeEPSM_NS1_7vsmem_tEENKUlT_SK_SL_SM_E_clIPiSE_SF_SF_EESJ_SZ_SK_SL_SM_EUlSZ_E1_NS1_11comp_targetILNS1_3genE2ELNS1_11target_archE906ELNS1_3gpuE6ELNS1_3repE0EEENS1_36merge_oddeven_config_static_selectorELNS0_4arch9wavefront6targetE1EEEvSL_,"axG",@progbits,_ZN7rocprim17ROCPRIM_400000_NS6detail17trampoline_kernelINS0_14default_configENS1_38merge_sort_block_merge_config_selectorIiNS0_10empty_typeEEEZZNS1_27merge_sort_block_merge_implIS3_N6thrust23THRUST_200600_302600_NS6detail15normal_iteratorINS9_10device_ptrIiEEEEPS5_jNS1_19radix_merge_compareILb0ELb1EiNS0_19identity_decomposerEEEEE10hipError_tT0_T1_T2_jT3_P12ihipStream_tbPNSt15iterator_traitsISK_E10value_typeEPNSQ_ISL_E10value_typeEPSM_NS1_7vsmem_tEENKUlT_SK_SL_SM_E_clIPiSE_SF_SF_EESJ_SZ_SK_SL_SM_EUlSZ_E1_NS1_11comp_targetILNS1_3genE2ELNS1_11target_archE906ELNS1_3gpuE6ELNS1_3repE0EEENS1_36merge_oddeven_config_static_selectorELNS0_4arch9wavefront6targetE1EEEvSL_,comdat
.Lfunc_end1692:
	.size	_ZN7rocprim17ROCPRIM_400000_NS6detail17trampoline_kernelINS0_14default_configENS1_38merge_sort_block_merge_config_selectorIiNS0_10empty_typeEEEZZNS1_27merge_sort_block_merge_implIS3_N6thrust23THRUST_200600_302600_NS6detail15normal_iteratorINS9_10device_ptrIiEEEEPS5_jNS1_19radix_merge_compareILb0ELb1EiNS0_19identity_decomposerEEEEE10hipError_tT0_T1_T2_jT3_P12ihipStream_tbPNSt15iterator_traitsISK_E10value_typeEPNSQ_ISL_E10value_typeEPSM_NS1_7vsmem_tEENKUlT_SK_SL_SM_E_clIPiSE_SF_SF_EESJ_SZ_SK_SL_SM_EUlSZ_E1_NS1_11comp_targetILNS1_3genE2ELNS1_11target_archE906ELNS1_3gpuE6ELNS1_3repE0EEENS1_36merge_oddeven_config_static_selectorELNS0_4arch9wavefront6targetE1EEEvSL_, .Lfunc_end1692-_ZN7rocprim17ROCPRIM_400000_NS6detail17trampoline_kernelINS0_14default_configENS1_38merge_sort_block_merge_config_selectorIiNS0_10empty_typeEEEZZNS1_27merge_sort_block_merge_implIS3_N6thrust23THRUST_200600_302600_NS6detail15normal_iteratorINS9_10device_ptrIiEEEEPS5_jNS1_19radix_merge_compareILb0ELb1EiNS0_19identity_decomposerEEEEE10hipError_tT0_T1_T2_jT3_P12ihipStream_tbPNSt15iterator_traitsISK_E10value_typeEPNSQ_ISL_E10value_typeEPSM_NS1_7vsmem_tEENKUlT_SK_SL_SM_E_clIPiSE_SF_SF_EESJ_SZ_SK_SL_SM_EUlSZ_E1_NS1_11comp_targetILNS1_3genE2ELNS1_11target_archE906ELNS1_3gpuE6ELNS1_3repE0EEENS1_36merge_oddeven_config_static_selectorELNS0_4arch9wavefront6targetE1EEEvSL_
                                        ; -- End function
	.section	.AMDGPU.csdata,"",@progbits
; Kernel info:
; codeLenInByte = 0
; NumSgprs: 4
; NumVgprs: 0
; NumAgprs: 0
; TotalNumVgprs: 0
; ScratchSize: 0
; MemoryBound: 0
; FloatMode: 240
; IeeeMode: 1
; LDSByteSize: 0 bytes/workgroup (compile time only)
; SGPRBlocks: 0
; VGPRBlocks: 0
; NumSGPRsForWavesPerEU: 4
; NumVGPRsForWavesPerEU: 1
; AccumOffset: 4
; Occupancy: 8
; WaveLimiterHint : 0
; COMPUTE_PGM_RSRC2:SCRATCH_EN: 0
; COMPUTE_PGM_RSRC2:USER_SGPR: 6
; COMPUTE_PGM_RSRC2:TRAP_HANDLER: 0
; COMPUTE_PGM_RSRC2:TGID_X_EN: 1
; COMPUTE_PGM_RSRC2:TGID_Y_EN: 0
; COMPUTE_PGM_RSRC2:TGID_Z_EN: 0
; COMPUTE_PGM_RSRC2:TIDIG_COMP_CNT: 0
; COMPUTE_PGM_RSRC3_GFX90A:ACCUM_OFFSET: 0
; COMPUTE_PGM_RSRC3_GFX90A:TG_SPLIT: 0
	.section	.text._ZN7rocprim17ROCPRIM_400000_NS6detail17trampoline_kernelINS0_14default_configENS1_38merge_sort_block_merge_config_selectorIiNS0_10empty_typeEEEZZNS1_27merge_sort_block_merge_implIS3_N6thrust23THRUST_200600_302600_NS6detail15normal_iteratorINS9_10device_ptrIiEEEEPS5_jNS1_19radix_merge_compareILb0ELb1EiNS0_19identity_decomposerEEEEE10hipError_tT0_T1_T2_jT3_P12ihipStream_tbPNSt15iterator_traitsISK_E10value_typeEPNSQ_ISL_E10value_typeEPSM_NS1_7vsmem_tEENKUlT_SK_SL_SM_E_clIPiSE_SF_SF_EESJ_SZ_SK_SL_SM_EUlSZ_E1_NS1_11comp_targetILNS1_3genE9ELNS1_11target_archE1100ELNS1_3gpuE3ELNS1_3repE0EEENS1_36merge_oddeven_config_static_selectorELNS0_4arch9wavefront6targetE1EEEvSL_,"axG",@progbits,_ZN7rocprim17ROCPRIM_400000_NS6detail17trampoline_kernelINS0_14default_configENS1_38merge_sort_block_merge_config_selectorIiNS0_10empty_typeEEEZZNS1_27merge_sort_block_merge_implIS3_N6thrust23THRUST_200600_302600_NS6detail15normal_iteratorINS9_10device_ptrIiEEEEPS5_jNS1_19radix_merge_compareILb0ELb1EiNS0_19identity_decomposerEEEEE10hipError_tT0_T1_T2_jT3_P12ihipStream_tbPNSt15iterator_traitsISK_E10value_typeEPNSQ_ISL_E10value_typeEPSM_NS1_7vsmem_tEENKUlT_SK_SL_SM_E_clIPiSE_SF_SF_EESJ_SZ_SK_SL_SM_EUlSZ_E1_NS1_11comp_targetILNS1_3genE9ELNS1_11target_archE1100ELNS1_3gpuE3ELNS1_3repE0EEENS1_36merge_oddeven_config_static_selectorELNS0_4arch9wavefront6targetE1EEEvSL_,comdat
	.protected	_ZN7rocprim17ROCPRIM_400000_NS6detail17trampoline_kernelINS0_14default_configENS1_38merge_sort_block_merge_config_selectorIiNS0_10empty_typeEEEZZNS1_27merge_sort_block_merge_implIS3_N6thrust23THRUST_200600_302600_NS6detail15normal_iteratorINS9_10device_ptrIiEEEEPS5_jNS1_19radix_merge_compareILb0ELb1EiNS0_19identity_decomposerEEEEE10hipError_tT0_T1_T2_jT3_P12ihipStream_tbPNSt15iterator_traitsISK_E10value_typeEPNSQ_ISL_E10value_typeEPSM_NS1_7vsmem_tEENKUlT_SK_SL_SM_E_clIPiSE_SF_SF_EESJ_SZ_SK_SL_SM_EUlSZ_E1_NS1_11comp_targetILNS1_3genE9ELNS1_11target_archE1100ELNS1_3gpuE3ELNS1_3repE0EEENS1_36merge_oddeven_config_static_selectorELNS0_4arch9wavefront6targetE1EEEvSL_ ; -- Begin function _ZN7rocprim17ROCPRIM_400000_NS6detail17trampoline_kernelINS0_14default_configENS1_38merge_sort_block_merge_config_selectorIiNS0_10empty_typeEEEZZNS1_27merge_sort_block_merge_implIS3_N6thrust23THRUST_200600_302600_NS6detail15normal_iteratorINS9_10device_ptrIiEEEEPS5_jNS1_19radix_merge_compareILb0ELb1EiNS0_19identity_decomposerEEEEE10hipError_tT0_T1_T2_jT3_P12ihipStream_tbPNSt15iterator_traitsISK_E10value_typeEPNSQ_ISL_E10value_typeEPSM_NS1_7vsmem_tEENKUlT_SK_SL_SM_E_clIPiSE_SF_SF_EESJ_SZ_SK_SL_SM_EUlSZ_E1_NS1_11comp_targetILNS1_3genE9ELNS1_11target_archE1100ELNS1_3gpuE3ELNS1_3repE0EEENS1_36merge_oddeven_config_static_selectorELNS0_4arch9wavefront6targetE1EEEvSL_
	.globl	_ZN7rocprim17ROCPRIM_400000_NS6detail17trampoline_kernelINS0_14default_configENS1_38merge_sort_block_merge_config_selectorIiNS0_10empty_typeEEEZZNS1_27merge_sort_block_merge_implIS3_N6thrust23THRUST_200600_302600_NS6detail15normal_iteratorINS9_10device_ptrIiEEEEPS5_jNS1_19radix_merge_compareILb0ELb1EiNS0_19identity_decomposerEEEEE10hipError_tT0_T1_T2_jT3_P12ihipStream_tbPNSt15iterator_traitsISK_E10value_typeEPNSQ_ISL_E10value_typeEPSM_NS1_7vsmem_tEENKUlT_SK_SL_SM_E_clIPiSE_SF_SF_EESJ_SZ_SK_SL_SM_EUlSZ_E1_NS1_11comp_targetILNS1_3genE9ELNS1_11target_archE1100ELNS1_3gpuE3ELNS1_3repE0EEENS1_36merge_oddeven_config_static_selectorELNS0_4arch9wavefront6targetE1EEEvSL_
	.p2align	8
	.type	_ZN7rocprim17ROCPRIM_400000_NS6detail17trampoline_kernelINS0_14default_configENS1_38merge_sort_block_merge_config_selectorIiNS0_10empty_typeEEEZZNS1_27merge_sort_block_merge_implIS3_N6thrust23THRUST_200600_302600_NS6detail15normal_iteratorINS9_10device_ptrIiEEEEPS5_jNS1_19radix_merge_compareILb0ELb1EiNS0_19identity_decomposerEEEEE10hipError_tT0_T1_T2_jT3_P12ihipStream_tbPNSt15iterator_traitsISK_E10value_typeEPNSQ_ISL_E10value_typeEPSM_NS1_7vsmem_tEENKUlT_SK_SL_SM_E_clIPiSE_SF_SF_EESJ_SZ_SK_SL_SM_EUlSZ_E1_NS1_11comp_targetILNS1_3genE9ELNS1_11target_archE1100ELNS1_3gpuE3ELNS1_3repE0EEENS1_36merge_oddeven_config_static_selectorELNS0_4arch9wavefront6targetE1EEEvSL_,@function
_ZN7rocprim17ROCPRIM_400000_NS6detail17trampoline_kernelINS0_14default_configENS1_38merge_sort_block_merge_config_selectorIiNS0_10empty_typeEEEZZNS1_27merge_sort_block_merge_implIS3_N6thrust23THRUST_200600_302600_NS6detail15normal_iteratorINS9_10device_ptrIiEEEEPS5_jNS1_19radix_merge_compareILb0ELb1EiNS0_19identity_decomposerEEEEE10hipError_tT0_T1_T2_jT3_P12ihipStream_tbPNSt15iterator_traitsISK_E10value_typeEPNSQ_ISL_E10value_typeEPSM_NS1_7vsmem_tEENKUlT_SK_SL_SM_E_clIPiSE_SF_SF_EESJ_SZ_SK_SL_SM_EUlSZ_E1_NS1_11comp_targetILNS1_3genE9ELNS1_11target_archE1100ELNS1_3gpuE3ELNS1_3repE0EEENS1_36merge_oddeven_config_static_selectorELNS0_4arch9wavefront6targetE1EEEvSL_: ; @_ZN7rocprim17ROCPRIM_400000_NS6detail17trampoline_kernelINS0_14default_configENS1_38merge_sort_block_merge_config_selectorIiNS0_10empty_typeEEEZZNS1_27merge_sort_block_merge_implIS3_N6thrust23THRUST_200600_302600_NS6detail15normal_iteratorINS9_10device_ptrIiEEEEPS5_jNS1_19radix_merge_compareILb0ELb1EiNS0_19identity_decomposerEEEEE10hipError_tT0_T1_T2_jT3_P12ihipStream_tbPNSt15iterator_traitsISK_E10value_typeEPNSQ_ISL_E10value_typeEPSM_NS1_7vsmem_tEENKUlT_SK_SL_SM_E_clIPiSE_SF_SF_EESJ_SZ_SK_SL_SM_EUlSZ_E1_NS1_11comp_targetILNS1_3genE9ELNS1_11target_archE1100ELNS1_3gpuE3ELNS1_3repE0EEENS1_36merge_oddeven_config_static_selectorELNS0_4arch9wavefront6targetE1EEEvSL_
; %bb.0:
	.section	.rodata,"a",@progbits
	.p2align	6, 0x0
	.amdhsa_kernel _ZN7rocprim17ROCPRIM_400000_NS6detail17trampoline_kernelINS0_14default_configENS1_38merge_sort_block_merge_config_selectorIiNS0_10empty_typeEEEZZNS1_27merge_sort_block_merge_implIS3_N6thrust23THRUST_200600_302600_NS6detail15normal_iteratorINS9_10device_ptrIiEEEEPS5_jNS1_19radix_merge_compareILb0ELb1EiNS0_19identity_decomposerEEEEE10hipError_tT0_T1_T2_jT3_P12ihipStream_tbPNSt15iterator_traitsISK_E10value_typeEPNSQ_ISL_E10value_typeEPSM_NS1_7vsmem_tEENKUlT_SK_SL_SM_E_clIPiSE_SF_SF_EESJ_SZ_SK_SL_SM_EUlSZ_E1_NS1_11comp_targetILNS1_3genE9ELNS1_11target_archE1100ELNS1_3gpuE3ELNS1_3repE0EEENS1_36merge_oddeven_config_static_selectorELNS0_4arch9wavefront6targetE1EEEvSL_
		.amdhsa_group_segment_fixed_size 0
		.amdhsa_private_segment_fixed_size 0
		.amdhsa_kernarg_size 48
		.amdhsa_user_sgpr_count 6
		.amdhsa_user_sgpr_private_segment_buffer 1
		.amdhsa_user_sgpr_dispatch_ptr 0
		.amdhsa_user_sgpr_queue_ptr 0
		.amdhsa_user_sgpr_kernarg_segment_ptr 1
		.amdhsa_user_sgpr_dispatch_id 0
		.amdhsa_user_sgpr_flat_scratch_init 0
		.amdhsa_user_sgpr_kernarg_preload_length 0
		.amdhsa_user_sgpr_kernarg_preload_offset 0
		.amdhsa_user_sgpr_private_segment_size 0
		.amdhsa_uses_dynamic_stack 0
		.amdhsa_system_sgpr_private_segment_wavefront_offset 0
		.amdhsa_system_sgpr_workgroup_id_x 1
		.amdhsa_system_sgpr_workgroup_id_y 0
		.amdhsa_system_sgpr_workgroup_id_z 0
		.amdhsa_system_sgpr_workgroup_info 0
		.amdhsa_system_vgpr_workitem_id 0
		.amdhsa_next_free_vgpr 1
		.amdhsa_next_free_sgpr 0
		.amdhsa_accum_offset 4
		.amdhsa_reserve_vcc 0
		.amdhsa_reserve_flat_scratch 0
		.amdhsa_float_round_mode_32 0
		.amdhsa_float_round_mode_16_64 0
		.amdhsa_float_denorm_mode_32 3
		.amdhsa_float_denorm_mode_16_64 3
		.amdhsa_dx10_clamp 1
		.amdhsa_ieee_mode 1
		.amdhsa_fp16_overflow 0
		.amdhsa_tg_split 0
		.amdhsa_exception_fp_ieee_invalid_op 0
		.amdhsa_exception_fp_denorm_src 0
		.amdhsa_exception_fp_ieee_div_zero 0
		.amdhsa_exception_fp_ieee_overflow 0
		.amdhsa_exception_fp_ieee_underflow 0
		.amdhsa_exception_fp_ieee_inexact 0
		.amdhsa_exception_int_div_zero 0
	.end_amdhsa_kernel
	.section	.text._ZN7rocprim17ROCPRIM_400000_NS6detail17trampoline_kernelINS0_14default_configENS1_38merge_sort_block_merge_config_selectorIiNS0_10empty_typeEEEZZNS1_27merge_sort_block_merge_implIS3_N6thrust23THRUST_200600_302600_NS6detail15normal_iteratorINS9_10device_ptrIiEEEEPS5_jNS1_19radix_merge_compareILb0ELb1EiNS0_19identity_decomposerEEEEE10hipError_tT0_T1_T2_jT3_P12ihipStream_tbPNSt15iterator_traitsISK_E10value_typeEPNSQ_ISL_E10value_typeEPSM_NS1_7vsmem_tEENKUlT_SK_SL_SM_E_clIPiSE_SF_SF_EESJ_SZ_SK_SL_SM_EUlSZ_E1_NS1_11comp_targetILNS1_3genE9ELNS1_11target_archE1100ELNS1_3gpuE3ELNS1_3repE0EEENS1_36merge_oddeven_config_static_selectorELNS0_4arch9wavefront6targetE1EEEvSL_,"axG",@progbits,_ZN7rocprim17ROCPRIM_400000_NS6detail17trampoline_kernelINS0_14default_configENS1_38merge_sort_block_merge_config_selectorIiNS0_10empty_typeEEEZZNS1_27merge_sort_block_merge_implIS3_N6thrust23THRUST_200600_302600_NS6detail15normal_iteratorINS9_10device_ptrIiEEEEPS5_jNS1_19radix_merge_compareILb0ELb1EiNS0_19identity_decomposerEEEEE10hipError_tT0_T1_T2_jT3_P12ihipStream_tbPNSt15iterator_traitsISK_E10value_typeEPNSQ_ISL_E10value_typeEPSM_NS1_7vsmem_tEENKUlT_SK_SL_SM_E_clIPiSE_SF_SF_EESJ_SZ_SK_SL_SM_EUlSZ_E1_NS1_11comp_targetILNS1_3genE9ELNS1_11target_archE1100ELNS1_3gpuE3ELNS1_3repE0EEENS1_36merge_oddeven_config_static_selectorELNS0_4arch9wavefront6targetE1EEEvSL_,comdat
.Lfunc_end1693:
	.size	_ZN7rocprim17ROCPRIM_400000_NS6detail17trampoline_kernelINS0_14default_configENS1_38merge_sort_block_merge_config_selectorIiNS0_10empty_typeEEEZZNS1_27merge_sort_block_merge_implIS3_N6thrust23THRUST_200600_302600_NS6detail15normal_iteratorINS9_10device_ptrIiEEEEPS5_jNS1_19radix_merge_compareILb0ELb1EiNS0_19identity_decomposerEEEEE10hipError_tT0_T1_T2_jT3_P12ihipStream_tbPNSt15iterator_traitsISK_E10value_typeEPNSQ_ISL_E10value_typeEPSM_NS1_7vsmem_tEENKUlT_SK_SL_SM_E_clIPiSE_SF_SF_EESJ_SZ_SK_SL_SM_EUlSZ_E1_NS1_11comp_targetILNS1_3genE9ELNS1_11target_archE1100ELNS1_3gpuE3ELNS1_3repE0EEENS1_36merge_oddeven_config_static_selectorELNS0_4arch9wavefront6targetE1EEEvSL_, .Lfunc_end1693-_ZN7rocprim17ROCPRIM_400000_NS6detail17trampoline_kernelINS0_14default_configENS1_38merge_sort_block_merge_config_selectorIiNS0_10empty_typeEEEZZNS1_27merge_sort_block_merge_implIS3_N6thrust23THRUST_200600_302600_NS6detail15normal_iteratorINS9_10device_ptrIiEEEEPS5_jNS1_19radix_merge_compareILb0ELb1EiNS0_19identity_decomposerEEEEE10hipError_tT0_T1_T2_jT3_P12ihipStream_tbPNSt15iterator_traitsISK_E10value_typeEPNSQ_ISL_E10value_typeEPSM_NS1_7vsmem_tEENKUlT_SK_SL_SM_E_clIPiSE_SF_SF_EESJ_SZ_SK_SL_SM_EUlSZ_E1_NS1_11comp_targetILNS1_3genE9ELNS1_11target_archE1100ELNS1_3gpuE3ELNS1_3repE0EEENS1_36merge_oddeven_config_static_selectorELNS0_4arch9wavefront6targetE1EEEvSL_
                                        ; -- End function
	.section	.AMDGPU.csdata,"",@progbits
; Kernel info:
; codeLenInByte = 0
; NumSgprs: 4
; NumVgprs: 0
; NumAgprs: 0
; TotalNumVgprs: 0
; ScratchSize: 0
; MemoryBound: 0
; FloatMode: 240
; IeeeMode: 1
; LDSByteSize: 0 bytes/workgroup (compile time only)
; SGPRBlocks: 0
; VGPRBlocks: 0
; NumSGPRsForWavesPerEU: 4
; NumVGPRsForWavesPerEU: 1
; AccumOffset: 4
; Occupancy: 8
; WaveLimiterHint : 0
; COMPUTE_PGM_RSRC2:SCRATCH_EN: 0
; COMPUTE_PGM_RSRC2:USER_SGPR: 6
; COMPUTE_PGM_RSRC2:TRAP_HANDLER: 0
; COMPUTE_PGM_RSRC2:TGID_X_EN: 1
; COMPUTE_PGM_RSRC2:TGID_Y_EN: 0
; COMPUTE_PGM_RSRC2:TGID_Z_EN: 0
; COMPUTE_PGM_RSRC2:TIDIG_COMP_CNT: 0
; COMPUTE_PGM_RSRC3_GFX90A:ACCUM_OFFSET: 0
; COMPUTE_PGM_RSRC3_GFX90A:TG_SPLIT: 0
	.section	.text._ZN7rocprim17ROCPRIM_400000_NS6detail17trampoline_kernelINS0_14default_configENS1_38merge_sort_block_merge_config_selectorIiNS0_10empty_typeEEEZZNS1_27merge_sort_block_merge_implIS3_N6thrust23THRUST_200600_302600_NS6detail15normal_iteratorINS9_10device_ptrIiEEEEPS5_jNS1_19radix_merge_compareILb0ELb1EiNS0_19identity_decomposerEEEEE10hipError_tT0_T1_T2_jT3_P12ihipStream_tbPNSt15iterator_traitsISK_E10value_typeEPNSQ_ISL_E10value_typeEPSM_NS1_7vsmem_tEENKUlT_SK_SL_SM_E_clIPiSE_SF_SF_EESJ_SZ_SK_SL_SM_EUlSZ_E1_NS1_11comp_targetILNS1_3genE8ELNS1_11target_archE1030ELNS1_3gpuE2ELNS1_3repE0EEENS1_36merge_oddeven_config_static_selectorELNS0_4arch9wavefront6targetE1EEEvSL_,"axG",@progbits,_ZN7rocprim17ROCPRIM_400000_NS6detail17trampoline_kernelINS0_14default_configENS1_38merge_sort_block_merge_config_selectorIiNS0_10empty_typeEEEZZNS1_27merge_sort_block_merge_implIS3_N6thrust23THRUST_200600_302600_NS6detail15normal_iteratorINS9_10device_ptrIiEEEEPS5_jNS1_19radix_merge_compareILb0ELb1EiNS0_19identity_decomposerEEEEE10hipError_tT0_T1_T2_jT3_P12ihipStream_tbPNSt15iterator_traitsISK_E10value_typeEPNSQ_ISL_E10value_typeEPSM_NS1_7vsmem_tEENKUlT_SK_SL_SM_E_clIPiSE_SF_SF_EESJ_SZ_SK_SL_SM_EUlSZ_E1_NS1_11comp_targetILNS1_3genE8ELNS1_11target_archE1030ELNS1_3gpuE2ELNS1_3repE0EEENS1_36merge_oddeven_config_static_selectorELNS0_4arch9wavefront6targetE1EEEvSL_,comdat
	.protected	_ZN7rocprim17ROCPRIM_400000_NS6detail17trampoline_kernelINS0_14default_configENS1_38merge_sort_block_merge_config_selectorIiNS0_10empty_typeEEEZZNS1_27merge_sort_block_merge_implIS3_N6thrust23THRUST_200600_302600_NS6detail15normal_iteratorINS9_10device_ptrIiEEEEPS5_jNS1_19radix_merge_compareILb0ELb1EiNS0_19identity_decomposerEEEEE10hipError_tT0_T1_T2_jT3_P12ihipStream_tbPNSt15iterator_traitsISK_E10value_typeEPNSQ_ISL_E10value_typeEPSM_NS1_7vsmem_tEENKUlT_SK_SL_SM_E_clIPiSE_SF_SF_EESJ_SZ_SK_SL_SM_EUlSZ_E1_NS1_11comp_targetILNS1_3genE8ELNS1_11target_archE1030ELNS1_3gpuE2ELNS1_3repE0EEENS1_36merge_oddeven_config_static_selectorELNS0_4arch9wavefront6targetE1EEEvSL_ ; -- Begin function _ZN7rocprim17ROCPRIM_400000_NS6detail17trampoline_kernelINS0_14default_configENS1_38merge_sort_block_merge_config_selectorIiNS0_10empty_typeEEEZZNS1_27merge_sort_block_merge_implIS3_N6thrust23THRUST_200600_302600_NS6detail15normal_iteratorINS9_10device_ptrIiEEEEPS5_jNS1_19radix_merge_compareILb0ELb1EiNS0_19identity_decomposerEEEEE10hipError_tT0_T1_T2_jT3_P12ihipStream_tbPNSt15iterator_traitsISK_E10value_typeEPNSQ_ISL_E10value_typeEPSM_NS1_7vsmem_tEENKUlT_SK_SL_SM_E_clIPiSE_SF_SF_EESJ_SZ_SK_SL_SM_EUlSZ_E1_NS1_11comp_targetILNS1_3genE8ELNS1_11target_archE1030ELNS1_3gpuE2ELNS1_3repE0EEENS1_36merge_oddeven_config_static_selectorELNS0_4arch9wavefront6targetE1EEEvSL_
	.globl	_ZN7rocprim17ROCPRIM_400000_NS6detail17trampoline_kernelINS0_14default_configENS1_38merge_sort_block_merge_config_selectorIiNS0_10empty_typeEEEZZNS1_27merge_sort_block_merge_implIS3_N6thrust23THRUST_200600_302600_NS6detail15normal_iteratorINS9_10device_ptrIiEEEEPS5_jNS1_19radix_merge_compareILb0ELb1EiNS0_19identity_decomposerEEEEE10hipError_tT0_T1_T2_jT3_P12ihipStream_tbPNSt15iterator_traitsISK_E10value_typeEPNSQ_ISL_E10value_typeEPSM_NS1_7vsmem_tEENKUlT_SK_SL_SM_E_clIPiSE_SF_SF_EESJ_SZ_SK_SL_SM_EUlSZ_E1_NS1_11comp_targetILNS1_3genE8ELNS1_11target_archE1030ELNS1_3gpuE2ELNS1_3repE0EEENS1_36merge_oddeven_config_static_selectorELNS0_4arch9wavefront6targetE1EEEvSL_
	.p2align	8
	.type	_ZN7rocprim17ROCPRIM_400000_NS6detail17trampoline_kernelINS0_14default_configENS1_38merge_sort_block_merge_config_selectorIiNS0_10empty_typeEEEZZNS1_27merge_sort_block_merge_implIS3_N6thrust23THRUST_200600_302600_NS6detail15normal_iteratorINS9_10device_ptrIiEEEEPS5_jNS1_19radix_merge_compareILb0ELb1EiNS0_19identity_decomposerEEEEE10hipError_tT0_T1_T2_jT3_P12ihipStream_tbPNSt15iterator_traitsISK_E10value_typeEPNSQ_ISL_E10value_typeEPSM_NS1_7vsmem_tEENKUlT_SK_SL_SM_E_clIPiSE_SF_SF_EESJ_SZ_SK_SL_SM_EUlSZ_E1_NS1_11comp_targetILNS1_3genE8ELNS1_11target_archE1030ELNS1_3gpuE2ELNS1_3repE0EEENS1_36merge_oddeven_config_static_selectorELNS0_4arch9wavefront6targetE1EEEvSL_,@function
_ZN7rocprim17ROCPRIM_400000_NS6detail17trampoline_kernelINS0_14default_configENS1_38merge_sort_block_merge_config_selectorIiNS0_10empty_typeEEEZZNS1_27merge_sort_block_merge_implIS3_N6thrust23THRUST_200600_302600_NS6detail15normal_iteratorINS9_10device_ptrIiEEEEPS5_jNS1_19radix_merge_compareILb0ELb1EiNS0_19identity_decomposerEEEEE10hipError_tT0_T1_T2_jT3_P12ihipStream_tbPNSt15iterator_traitsISK_E10value_typeEPNSQ_ISL_E10value_typeEPSM_NS1_7vsmem_tEENKUlT_SK_SL_SM_E_clIPiSE_SF_SF_EESJ_SZ_SK_SL_SM_EUlSZ_E1_NS1_11comp_targetILNS1_3genE8ELNS1_11target_archE1030ELNS1_3gpuE2ELNS1_3repE0EEENS1_36merge_oddeven_config_static_selectorELNS0_4arch9wavefront6targetE1EEEvSL_: ; @_ZN7rocprim17ROCPRIM_400000_NS6detail17trampoline_kernelINS0_14default_configENS1_38merge_sort_block_merge_config_selectorIiNS0_10empty_typeEEEZZNS1_27merge_sort_block_merge_implIS3_N6thrust23THRUST_200600_302600_NS6detail15normal_iteratorINS9_10device_ptrIiEEEEPS5_jNS1_19radix_merge_compareILb0ELb1EiNS0_19identity_decomposerEEEEE10hipError_tT0_T1_T2_jT3_P12ihipStream_tbPNSt15iterator_traitsISK_E10value_typeEPNSQ_ISL_E10value_typeEPSM_NS1_7vsmem_tEENKUlT_SK_SL_SM_E_clIPiSE_SF_SF_EESJ_SZ_SK_SL_SM_EUlSZ_E1_NS1_11comp_targetILNS1_3genE8ELNS1_11target_archE1030ELNS1_3gpuE2ELNS1_3repE0EEENS1_36merge_oddeven_config_static_selectorELNS0_4arch9wavefront6targetE1EEEvSL_
; %bb.0:
	.section	.rodata,"a",@progbits
	.p2align	6, 0x0
	.amdhsa_kernel _ZN7rocprim17ROCPRIM_400000_NS6detail17trampoline_kernelINS0_14default_configENS1_38merge_sort_block_merge_config_selectorIiNS0_10empty_typeEEEZZNS1_27merge_sort_block_merge_implIS3_N6thrust23THRUST_200600_302600_NS6detail15normal_iteratorINS9_10device_ptrIiEEEEPS5_jNS1_19radix_merge_compareILb0ELb1EiNS0_19identity_decomposerEEEEE10hipError_tT0_T1_T2_jT3_P12ihipStream_tbPNSt15iterator_traitsISK_E10value_typeEPNSQ_ISL_E10value_typeEPSM_NS1_7vsmem_tEENKUlT_SK_SL_SM_E_clIPiSE_SF_SF_EESJ_SZ_SK_SL_SM_EUlSZ_E1_NS1_11comp_targetILNS1_3genE8ELNS1_11target_archE1030ELNS1_3gpuE2ELNS1_3repE0EEENS1_36merge_oddeven_config_static_selectorELNS0_4arch9wavefront6targetE1EEEvSL_
		.amdhsa_group_segment_fixed_size 0
		.amdhsa_private_segment_fixed_size 0
		.amdhsa_kernarg_size 48
		.amdhsa_user_sgpr_count 6
		.amdhsa_user_sgpr_private_segment_buffer 1
		.amdhsa_user_sgpr_dispatch_ptr 0
		.amdhsa_user_sgpr_queue_ptr 0
		.amdhsa_user_sgpr_kernarg_segment_ptr 1
		.amdhsa_user_sgpr_dispatch_id 0
		.amdhsa_user_sgpr_flat_scratch_init 0
		.amdhsa_user_sgpr_kernarg_preload_length 0
		.amdhsa_user_sgpr_kernarg_preload_offset 0
		.amdhsa_user_sgpr_private_segment_size 0
		.amdhsa_uses_dynamic_stack 0
		.amdhsa_system_sgpr_private_segment_wavefront_offset 0
		.amdhsa_system_sgpr_workgroup_id_x 1
		.amdhsa_system_sgpr_workgroup_id_y 0
		.amdhsa_system_sgpr_workgroup_id_z 0
		.amdhsa_system_sgpr_workgroup_info 0
		.amdhsa_system_vgpr_workitem_id 0
		.amdhsa_next_free_vgpr 1
		.amdhsa_next_free_sgpr 0
		.amdhsa_accum_offset 4
		.amdhsa_reserve_vcc 0
		.amdhsa_reserve_flat_scratch 0
		.amdhsa_float_round_mode_32 0
		.amdhsa_float_round_mode_16_64 0
		.amdhsa_float_denorm_mode_32 3
		.amdhsa_float_denorm_mode_16_64 3
		.amdhsa_dx10_clamp 1
		.amdhsa_ieee_mode 1
		.amdhsa_fp16_overflow 0
		.amdhsa_tg_split 0
		.amdhsa_exception_fp_ieee_invalid_op 0
		.amdhsa_exception_fp_denorm_src 0
		.amdhsa_exception_fp_ieee_div_zero 0
		.amdhsa_exception_fp_ieee_overflow 0
		.amdhsa_exception_fp_ieee_underflow 0
		.amdhsa_exception_fp_ieee_inexact 0
		.amdhsa_exception_int_div_zero 0
	.end_amdhsa_kernel
	.section	.text._ZN7rocprim17ROCPRIM_400000_NS6detail17trampoline_kernelINS0_14default_configENS1_38merge_sort_block_merge_config_selectorIiNS0_10empty_typeEEEZZNS1_27merge_sort_block_merge_implIS3_N6thrust23THRUST_200600_302600_NS6detail15normal_iteratorINS9_10device_ptrIiEEEEPS5_jNS1_19radix_merge_compareILb0ELb1EiNS0_19identity_decomposerEEEEE10hipError_tT0_T1_T2_jT3_P12ihipStream_tbPNSt15iterator_traitsISK_E10value_typeEPNSQ_ISL_E10value_typeEPSM_NS1_7vsmem_tEENKUlT_SK_SL_SM_E_clIPiSE_SF_SF_EESJ_SZ_SK_SL_SM_EUlSZ_E1_NS1_11comp_targetILNS1_3genE8ELNS1_11target_archE1030ELNS1_3gpuE2ELNS1_3repE0EEENS1_36merge_oddeven_config_static_selectorELNS0_4arch9wavefront6targetE1EEEvSL_,"axG",@progbits,_ZN7rocprim17ROCPRIM_400000_NS6detail17trampoline_kernelINS0_14default_configENS1_38merge_sort_block_merge_config_selectorIiNS0_10empty_typeEEEZZNS1_27merge_sort_block_merge_implIS3_N6thrust23THRUST_200600_302600_NS6detail15normal_iteratorINS9_10device_ptrIiEEEEPS5_jNS1_19radix_merge_compareILb0ELb1EiNS0_19identity_decomposerEEEEE10hipError_tT0_T1_T2_jT3_P12ihipStream_tbPNSt15iterator_traitsISK_E10value_typeEPNSQ_ISL_E10value_typeEPSM_NS1_7vsmem_tEENKUlT_SK_SL_SM_E_clIPiSE_SF_SF_EESJ_SZ_SK_SL_SM_EUlSZ_E1_NS1_11comp_targetILNS1_3genE8ELNS1_11target_archE1030ELNS1_3gpuE2ELNS1_3repE0EEENS1_36merge_oddeven_config_static_selectorELNS0_4arch9wavefront6targetE1EEEvSL_,comdat
.Lfunc_end1694:
	.size	_ZN7rocprim17ROCPRIM_400000_NS6detail17trampoline_kernelINS0_14default_configENS1_38merge_sort_block_merge_config_selectorIiNS0_10empty_typeEEEZZNS1_27merge_sort_block_merge_implIS3_N6thrust23THRUST_200600_302600_NS6detail15normal_iteratorINS9_10device_ptrIiEEEEPS5_jNS1_19radix_merge_compareILb0ELb1EiNS0_19identity_decomposerEEEEE10hipError_tT0_T1_T2_jT3_P12ihipStream_tbPNSt15iterator_traitsISK_E10value_typeEPNSQ_ISL_E10value_typeEPSM_NS1_7vsmem_tEENKUlT_SK_SL_SM_E_clIPiSE_SF_SF_EESJ_SZ_SK_SL_SM_EUlSZ_E1_NS1_11comp_targetILNS1_3genE8ELNS1_11target_archE1030ELNS1_3gpuE2ELNS1_3repE0EEENS1_36merge_oddeven_config_static_selectorELNS0_4arch9wavefront6targetE1EEEvSL_, .Lfunc_end1694-_ZN7rocprim17ROCPRIM_400000_NS6detail17trampoline_kernelINS0_14default_configENS1_38merge_sort_block_merge_config_selectorIiNS0_10empty_typeEEEZZNS1_27merge_sort_block_merge_implIS3_N6thrust23THRUST_200600_302600_NS6detail15normal_iteratorINS9_10device_ptrIiEEEEPS5_jNS1_19radix_merge_compareILb0ELb1EiNS0_19identity_decomposerEEEEE10hipError_tT0_T1_T2_jT3_P12ihipStream_tbPNSt15iterator_traitsISK_E10value_typeEPNSQ_ISL_E10value_typeEPSM_NS1_7vsmem_tEENKUlT_SK_SL_SM_E_clIPiSE_SF_SF_EESJ_SZ_SK_SL_SM_EUlSZ_E1_NS1_11comp_targetILNS1_3genE8ELNS1_11target_archE1030ELNS1_3gpuE2ELNS1_3repE0EEENS1_36merge_oddeven_config_static_selectorELNS0_4arch9wavefront6targetE1EEEvSL_
                                        ; -- End function
	.section	.AMDGPU.csdata,"",@progbits
; Kernel info:
; codeLenInByte = 0
; NumSgprs: 4
; NumVgprs: 0
; NumAgprs: 0
; TotalNumVgprs: 0
; ScratchSize: 0
; MemoryBound: 0
; FloatMode: 240
; IeeeMode: 1
; LDSByteSize: 0 bytes/workgroup (compile time only)
; SGPRBlocks: 0
; VGPRBlocks: 0
; NumSGPRsForWavesPerEU: 4
; NumVGPRsForWavesPerEU: 1
; AccumOffset: 4
; Occupancy: 8
; WaveLimiterHint : 0
; COMPUTE_PGM_RSRC2:SCRATCH_EN: 0
; COMPUTE_PGM_RSRC2:USER_SGPR: 6
; COMPUTE_PGM_RSRC2:TRAP_HANDLER: 0
; COMPUTE_PGM_RSRC2:TGID_X_EN: 1
; COMPUTE_PGM_RSRC2:TGID_Y_EN: 0
; COMPUTE_PGM_RSRC2:TGID_Z_EN: 0
; COMPUTE_PGM_RSRC2:TIDIG_COMP_CNT: 0
; COMPUTE_PGM_RSRC3_GFX90A:ACCUM_OFFSET: 0
; COMPUTE_PGM_RSRC3_GFX90A:TG_SPLIT: 0
	.section	.text._ZN7rocprim17ROCPRIM_400000_NS6detail17trampoline_kernelINS0_14default_configENS1_38merge_sort_block_merge_config_selectorIiNS0_10empty_typeEEEZZNS1_27merge_sort_block_merge_implIS3_N6thrust23THRUST_200600_302600_NS6detail15normal_iteratorINS9_10device_ptrIiEEEEPS5_jNS1_19radix_merge_compareILb0ELb1EiNS0_19identity_decomposerEEEEE10hipError_tT0_T1_T2_jT3_P12ihipStream_tbPNSt15iterator_traitsISK_E10value_typeEPNSQ_ISL_E10value_typeEPSM_NS1_7vsmem_tEENKUlT_SK_SL_SM_E_clISE_PiSF_SF_EESJ_SZ_SK_SL_SM_EUlSZ_E_NS1_11comp_targetILNS1_3genE0ELNS1_11target_archE4294967295ELNS1_3gpuE0ELNS1_3repE0EEENS1_48merge_mergepath_partition_config_static_selectorELNS0_4arch9wavefront6targetE1EEEvSL_,"axG",@progbits,_ZN7rocprim17ROCPRIM_400000_NS6detail17trampoline_kernelINS0_14default_configENS1_38merge_sort_block_merge_config_selectorIiNS0_10empty_typeEEEZZNS1_27merge_sort_block_merge_implIS3_N6thrust23THRUST_200600_302600_NS6detail15normal_iteratorINS9_10device_ptrIiEEEEPS5_jNS1_19radix_merge_compareILb0ELb1EiNS0_19identity_decomposerEEEEE10hipError_tT0_T1_T2_jT3_P12ihipStream_tbPNSt15iterator_traitsISK_E10value_typeEPNSQ_ISL_E10value_typeEPSM_NS1_7vsmem_tEENKUlT_SK_SL_SM_E_clISE_PiSF_SF_EESJ_SZ_SK_SL_SM_EUlSZ_E_NS1_11comp_targetILNS1_3genE0ELNS1_11target_archE4294967295ELNS1_3gpuE0ELNS1_3repE0EEENS1_48merge_mergepath_partition_config_static_selectorELNS0_4arch9wavefront6targetE1EEEvSL_,comdat
	.protected	_ZN7rocprim17ROCPRIM_400000_NS6detail17trampoline_kernelINS0_14default_configENS1_38merge_sort_block_merge_config_selectorIiNS0_10empty_typeEEEZZNS1_27merge_sort_block_merge_implIS3_N6thrust23THRUST_200600_302600_NS6detail15normal_iteratorINS9_10device_ptrIiEEEEPS5_jNS1_19radix_merge_compareILb0ELb1EiNS0_19identity_decomposerEEEEE10hipError_tT0_T1_T2_jT3_P12ihipStream_tbPNSt15iterator_traitsISK_E10value_typeEPNSQ_ISL_E10value_typeEPSM_NS1_7vsmem_tEENKUlT_SK_SL_SM_E_clISE_PiSF_SF_EESJ_SZ_SK_SL_SM_EUlSZ_E_NS1_11comp_targetILNS1_3genE0ELNS1_11target_archE4294967295ELNS1_3gpuE0ELNS1_3repE0EEENS1_48merge_mergepath_partition_config_static_selectorELNS0_4arch9wavefront6targetE1EEEvSL_ ; -- Begin function _ZN7rocprim17ROCPRIM_400000_NS6detail17trampoline_kernelINS0_14default_configENS1_38merge_sort_block_merge_config_selectorIiNS0_10empty_typeEEEZZNS1_27merge_sort_block_merge_implIS3_N6thrust23THRUST_200600_302600_NS6detail15normal_iteratorINS9_10device_ptrIiEEEEPS5_jNS1_19radix_merge_compareILb0ELb1EiNS0_19identity_decomposerEEEEE10hipError_tT0_T1_T2_jT3_P12ihipStream_tbPNSt15iterator_traitsISK_E10value_typeEPNSQ_ISL_E10value_typeEPSM_NS1_7vsmem_tEENKUlT_SK_SL_SM_E_clISE_PiSF_SF_EESJ_SZ_SK_SL_SM_EUlSZ_E_NS1_11comp_targetILNS1_3genE0ELNS1_11target_archE4294967295ELNS1_3gpuE0ELNS1_3repE0EEENS1_48merge_mergepath_partition_config_static_selectorELNS0_4arch9wavefront6targetE1EEEvSL_
	.globl	_ZN7rocprim17ROCPRIM_400000_NS6detail17trampoline_kernelINS0_14default_configENS1_38merge_sort_block_merge_config_selectorIiNS0_10empty_typeEEEZZNS1_27merge_sort_block_merge_implIS3_N6thrust23THRUST_200600_302600_NS6detail15normal_iteratorINS9_10device_ptrIiEEEEPS5_jNS1_19radix_merge_compareILb0ELb1EiNS0_19identity_decomposerEEEEE10hipError_tT0_T1_T2_jT3_P12ihipStream_tbPNSt15iterator_traitsISK_E10value_typeEPNSQ_ISL_E10value_typeEPSM_NS1_7vsmem_tEENKUlT_SK_SL_SM_E_clISE_PiSF_SF_EESJ_SZ_SK_SL_SM_EUlSZ_E_NS1_11comp_targetILNS1_3genE0ELNS1_11target_archE4294967295ELNS1_3gpuE0ELNS1_3repE0EEENS1_48merge_mergepath_partition_config_static_selectorELNS0_4arch9wavefront6targetE1EEEvSL_
	.p2align	8
	.type	_ZN7rocprim17ROCPRIM_400000_NS6detail17trampoline_kernelINS0_14default_configENS1_38merge_sort_block_merge_config_selectorIiNS0_10empty_typeEEEZZNS1_27merge_sort_block_merge_implIS3_N6thrust23THRUST_200600_302600_NS6detail15normal_iteratorINS9_10device_ptrIiEEEEPS5_jNS1_19radix_merge_compareILb0ELb1EiNS0_19identity_decomposerEEEEE10hipError_tT0_T1_T2_jT3_P12ihipStream_tbPNSt15iterator_traitsISK_E10value_typeEPNSQ_ISL_E10value_typeEPSM_NS1_7vsmem_tEENKUlT_SK_SL_SM_E_clISE_PiSF_SF_EESJ_SZ_SK_SL_SM_EUlSZ_E_NS1_11comp_targetILNS1_3genE0ELNS1_11target_archE4294967295ELNS1_3gpuE0ELNS1_3repE0EEENS1_48merge_mergepath_partition_config_static_selectorELNS0_4arch9wavefront6targetE1EEEvSL_,@function
_ZN7rocprim17ROCPRIM_400000_NS6detail17trampoline_kernelINS0_14default_configENS1_38merge_sort_block_merge_config_selectorIiNS0_10empty_typeEEEZZNS1_27merge_sort_block_merge_implIS3_N6thrust23THRUST_200600_302600_NS6detail15normal_iteratorINS9_10device_ptrIiEEEEPS5_jNS1_19radix_merge_compareILb0ELb1EiNS0_19identity_decomposerEEEEE10hipError_tT0_T1_T2_jT3_P12ihipStream_tbPNSt15iterator_traitsISK_E10value_typeEPNSQ_ISL_E10value_typeEPSM_NS1_7vsmem_tEENKUlT_SK_SL_SM_E_clISE_PiSF_SF_EESJ_SZ_SK_SL_SM_EUlSZ_E_NS1_11comp_targetILNS1_3genE0ELNS1_11target_archE4294967295ELNS1_3gpuE0ELNS1_3repE0EEENS1_48merge_mergepath_partition_config_static_selectorELNS0_4arch9wavefront6targetE1EEEvSL_: ; @_ZN7rocprim17ROCPRIM_400000_NS6detail17trampoline_kernelINS0_14default_configENS1_38merge_sort_block_merge_config_selectorIiNS0_10empty_typeEEEZZNS1_27merge_sort_block_merge_implIS3_N6thrust23THRUST_200600_302600_NS6detail15normal_iteratorINS9_10device_ptrIiEEEEPS5_jNS1_19radix_merge_compareILb0ELb1EiNS0_19identity_decomposerEEEEE10hipError_tT0_T1_T2_jT3_P12ihipStream_tbPNSt15iterator_traitsISK_E10value_typeEPNSQ_ISL_E10value_typeEPSM_NS1_7vsmem_tEENKUlT_SK_SL_SM_E_clISE_PiSF_SF_EESJ_SZ_SK_SL_SM_EUlSZ_E_NS1_11comp_targetILNS1_3genE0ELNS1_11target_archE4294967295ELNS1_3gpuE0ELNS1_3repE0EEENS1_48merge_mergepath_partition_config_static_selectorELNS0_4arch9wavefront6targetE1EEEvSL_
; %bb.0:
	.section	.rodata,"a",@progbits
	.p2align	6, 0x0
	.amdhsa_kernel _ZN7rocprim17ROCPRIM_400000_NS6detail17trampoline_kernelINS0_14default_configENS1_38merge_sort_block_merge_config_selectorIiNS0_10empty_typeEEEZZNS1_27merge_sort_block_merge_implIS3_N6thrust23THRUST_200600_302600_NS6detail15normal_iteratorINS9_10device_ptrIiEEEEPS5_jNS1_19radix_merge_compareILb0ELb1EiNS0_19identity_decomposerEEEEE10hipError_tT0_T1_T2_jT3_P12ihipStream_tbPNSt15iterator_traitsISK_E10value_typeEPNSQ_ISL_E10value_typeEPSM_NS1_7vsmem_tEENKUlT_SK_SL_SM_E_clISE_PiSF_SF_EESJ_SZ_SK_SL_SM_EUlSZ_E_NS1_11comp_targetILNS1_3genE0ELNS1_11target_archE4294967295ELNS1_3gpuE0ELNS1_3repE0EEENS1_48merge_mergepath_partition_config_static_selectorELNS0_4arch9wavefront6targetE1EEEvSL_
		.amdhsa_group_segment_fixed_size 0
		.amdhsa_private_segment_fixed_size 0
		.amdhsa_kernarg_size 40
		.amdhsa_user_sgpr_count 6
		.amdhsa_user_sgpr_private_segment_buffer 1
		.amdhsa_user_sgpr_dispatch_ptr 0
		.amdhsa_user_sgpr_queue_ptr 0
		.amdhsa_user_sgpr_kernarg_segment_ptr 1
		.amdhsa_user_sgpr_dispatch_id 0
		.amdhsa_user_sgpr_flat_scratch_init 0
		.amdhsa_user_sgpr_kernarg_preload_length 0
		.amdhsa_user_sgpr_kernarg_preload_offset 0
		.amdhsa_user_sgpr_private_segment_size 0
		.amdhsa_uses_dynamic_stack 0
		.amdhsa_system_sgpr_private_segment_wavefront_offset 0
		.amdhsa_system_sgpr_workgroup_id_x 1
		.amdhsa_system_sgpr_workgroup_id_y 0
		.amdhsa_system_sgpr_workgroup_id_z 0
		.amdhsa_system_sgpr_workgroup_info 0
		.amdhsa_system_vgpr_workitem_id 0
		.amdhsa_next_free_vgpr 1
		.amdhsa_next_free_sgpr 0
		.amdhsa_accum_offset 4
		.amdhsa_reserve_vcc 0
		.amdhsa_reserve_flat_scratch 0
		.amdhsa_float_round_mode_32 0
		.amdhsa_float_round_mode_16_64 0
		.amdhsa_float_denorm_mode_32 3
		.amdhsa_float_denorm_mode_16_64 3
		.amdhsa_dx10_clamp 1
		.amdhsa_ieee_mode 1
		.amdhsa_fp16_overflow 0
		.amdhsa_tg_split 0
		.amdhsa_exception_fp_ieee_invalid_op 0
		.amdhsa_exception_fp_denorm_src 0
		.amdhsa_exception_fp_ieee_div_zero 0
		.amdhsa_exception_fp_ieee_overflow 0
		.amdhsa_exception_fp_ieee_underflow 0
		.amdhsa_exception_fp_ieee_inexact 0
		.amdhsa_exception_int_div_zero 0
	.end_amdhsa_kernel
	.section	.text._ZN7rocprim17ROCPRIM_400000_NS6detail17trampoline_kernelINS0_14default_configENS1_38merge_sort_block_merge_config_selectorIiNS0_10empty_typeEEEZZNS1_27merge_sort_block_merge_implIS3_N6thrust23THRUST_200600_302600_NS6detail15normal_iteratorINS9_10device_ptrIiEEEEPS5_jNS1_19radix_merge_compareILb0ELb1EiNS0_19identity_decomposerEEEEE10hipError_tT0_T1_T2_jT3_P12ihipStream_tbPNSt15iterator_traitsISK_E10value_typeEPNSQ_ISL_E10value_typeEPSM_NS1_7vsmem_tEENKUlT_SK_SL_SM_E_clISE_PiSF_SF_EESJ_SZ_SK_SL_SM_EUlSZ_E_NS1_11comp_targetILNS1_3genE0ELNS1_11target_archE4294967295ELNS1_3gpuE0ELNS1_3repE0EEENS1_48merge_mergepath_partition_config_static_selectorELNS0_4arch9wavefront6targetE1EEEvSL_,"axG",@progbits,_ZN7rocprim17ROCPRIM_400000_NS6detail17trampoline_kernelINS0_14default_configENS1_38merge_sort_block_merge_config_selectorIiNS0_10empty_typeEEEZZNS1_27merge_sort_block_merge_implIS3_N6thrust23THRUST_200600_302600_NS6detail15normal_iteratorINS9_10device_ptrIiEEEEPS5_jNS1_19radix_merge_compareILb0ELb1EiNS0_19identity_decomposerEEEEE10hipError_tT0_T1_T2_jT3_P12ihipStream_tbPNSt15iterator_traitsISK_E10value_typeEPNSQ_ISL_E10value_typeEPSM_NS1_7vsmem_tEENKUlT_SK_SL_SM_E_clISE_PiSF_SF_EESJ_SZ_SK_SL_SM_EUlSZ_E_NS1_11comp_targetILNS1_3genE0ELNS1_11target_archE4294967295ELNS1_3gpuE0ELNS1_3repE0EEENS1_48merge_mergepath_partition_config_static_selectorELNS0_4arch9wavefront6targetE1EEEvSL_,comdat
.Lfunc_end1695:
	.size	_ZN7rocprim17ROCPRIM_400000_NS6detail17trampoline_kernelINS0_14default_configENS1_38merge_sort_block_merge_config_selectorIiNS0_10empty_typeEEEZZNS1_27merge_sort_block_merge_implIS3_N6thrust23THRUST_200600_302600_NS6detail15normal_iteratorINS9_10device_ptrIiEEEEPS5_jNS1_19radix_merge_compareILb0ELb1EiNS0_19identity_decomposerEEEEE10hipError_tT0_T1_T2_jT3_P12ihipStream_tbPNSt15iterator_traitsISK_E10value_typeEPNSQ_ISL_E10value_typeEPSM_NS1_7vsmem_tEENKUlT_SK_SL_SM_E_clISE_PiSF_SF_EESJ_SZ_SK_SL_SM_EUlSZ_E_NS1_11comp_targetILNS1_3genE0ELNS1_11target_archE4294967295ELNS1_3gpuE0ELNS1_3repE0EEENS1_48merge_mergepath_partition_config_static_selectorELNS0_4arch9wavefront6targetE1EEEvSL_, .Lfunc_end1695-_ZN7rocprim17ROCPRIM_400000_NS6detail17trampoline_kernelINS0_14default_configENS1_38merge_sort_block_merge_config_selectorIiNS0_10empty_typeEEEZZNS1_27merge_sort_block_merge_implIS3_N6thrust23THRUST_200600_302600_NS6detail15normal_iteratorINS9_10device_ptrIiEEEEPS5_jNS1_19radix_merge_compareILb0ELb1EiNS0_19identity_decomposerEEEEE10hipError_tT0_T1_T2_jT3_P12ihipStream_tbPNSt15iterator_traitsISK_E10value_typeEPNSQ_ISL_E10value_typeEPSM_NS1_7vsmem_tEENKUlT_SK_SL_SM_E_clISE_PiSF_SF_EESJ_SZ_SK_SL_SM_EUlSZ_E_NS1_11comp_targetILNS1_3genE0ELNS1_11target_archE4294967295ELNS1_3gpuE0ELNS1_3repE0EEENS1_48merge_mergepath_partition_config_static_selectorELNS0_4arch9wavefront6targetE1EEEvSL_
                                        ; -- End function
	.section	.AMDGPU.csdata,"",@progbits
; Kernel info:
; codeLenInByte = 0
; NumSgprs: 4
; NumVgprs: 0
; NumAgprs: 0
; TotalNumVgprs: 0
; ScratchSize: 0
; MemoryBound: 0
; FloatMode: 240
; IeeeMode: 1
; LDSByteSize: 0 bytes/workgroup (compile time only)
; SGPRBlocks: 0
; VGPRBlocks: 0
; NumSGPRsForWavesPerEU: 4
; NumVGPRsForWavesPerEU: 1
; AccumOffset: 4
; Occupancy: 8
; WaveLimiterHint : 0
; COMPUTE_PGM_RSRC2:SCRATCH_EN: 0
; COMPUTE_PGM_RSRC2:USER_SGPR: 6
; COMPUTE_PGM_RSRC2:TRAP_HANDLER: 0
; COMPUTE_PGM_RSRC2:TGID_X_EN: 1
; COMPUTE_PGM_RSRC2:TGID_Y_EN: 0
; COMPUTE_PGM_RSRC2:TGID_Z_EN: 0
; COMPUTE_PGM_RSRC2:TIDIG_COMP_CNT: 0
; COMPUTE_PGM_RSRC3_GFX90A:ACCUM_OFFSET: 0
; COMPUTE_PGM_RSRC3_GFX90A:TG_SPLIT: 0
	.section	.text._ZN7rocprim17ROCPRIM_400000_NS6detail17trampoline_kernelINS0_14default_configENS1_38merge_sort_block_merge_config_selectorIiNS0_10empty_typeEEEZZNS1_27merge_sort_block_merge_implIS3_N6thrust23THRUST_200600_302600_NS6detail15normal_iteratorINS9_10device_ptrIiEEEEPS5_jNS1_19radix_merge_compareILb0ELb1EiNS0_19identity_decomposerEEEEE10hipError_tT0_T1_T2_jT3_P12ihipStream_tbPNSt15iterator_traitsISK_E10value_typeEPNSQ_ISL_E10value_typeEPSM_NS1_7vsmem_tEENKUlT_SK_SL_SM_E_clISE_PiSF_SF_EESJ_SZ_SK_SL_SM_EUlSZ_E_NS1_11comp_targetILNS1_3genE10ELNS1_11target_archE1201ELNS1_3gpuE5ELNS1_3repE0EEENS1_48merge_mergepath_partition_config_static_selectorELNS0_4arch9wavefront6targetE1EEEvSL_,"axG",@progbits,_ZN7rocprim17ROCPRIM_400000_NS6detail17trampoline_kernelINS0_14default_configENS1_38merge_sort_block_merge_config_selectorIiNS0_10empty_typeEEEZZNS1_27merge_sort_block_merge_implIS3_N6thrust23THRUST_200600_302600_NS6detail15normal_iteratorINS9_10device_ptrIiEEEEPS5_jNS1_19radix_merge_compareILb0ELb1EiNS0_19identity_decomposerEEEEE10hipError_tT0_T1_T2_jT3_P12ihipStream_tbPNSt15iterator_traitsISK_E10value_typeEPNSQ_ISL_E10value_typeEPSM_NS1_7vsmem_tEENKUlT_SK_SL_SM_E_clISE_PiSF_SF_EESJ_SZ_SK_SL_SM_EUlSZ_E_NS1_11comp_targetILNS1_3genE10ELNS1_11target_archE1201ELNS1_3gpuE5ELNS1_3repE0EEENS1_48merge_mergepath_partition_config_static_selectorELNS0_4arch9wavefront6targetE1EEEvSL_,comdat
	.protected	_ZN7rocprim17ROCPRIM_400000_NS6detail17trampoline_kernelINS0_14default_configENS1_38merge_sort_block_merge_config_selectorIiNS0_10empty_typeEEEZZNS1_27merge_sort_block_merge_implIS3_N6thrust23THRUST_200600_302600_NS6detail15normal_iteratorINS9_10device_ptrIiEEEEPS5_jNS1_19radix_merge_compareILb0ELb1EiNS0_19identity_decomposerEEEEE10hipError_tT0_T1_T2_jT3_P12ihipStream_tbPNSt15iterator_traitsISK_E10value_typeEPNSQ_ISL_E10value_typeEPSM_NS1_7vsmem_tEENKUlT_SK_SL_SM_E_clISE_PiSF_SF_EESJ_SZ_SK_SL_SM_EUlSZ_E_NS1_11comp_targetILNS1_3genE10ELNS1_11target_archE1201ELNS1_3gpuE5ELNS1_3repE0EEENS1_48merge_mergepath_partition_config_static_selectorELNS0_4arch9wavefront6targetE1EEEvSL_ ; -- Begin function _ZN7rocprim17ROCPRIM_400000_NS6detail17trampoline_kernelINS0_14default_configENS1_38merge_sort_block_merge_config_selectorIiNS0_10empty_typeEEEZZNS1_27merge_sort_block_merge_implIS3_N6thrust23THRUST_200600_302600_NS6detail15normal_iteratorINS9_10device_ptrIiEEEEPS5_jNS1_19radix_merge_compareILb0ELb1EiNS0_19identity_decomposerEEEEE10hipError_tT0_T1_T2_jT3_P12ihipStream_tbPNSt15iterator_traitsISK_E10value_typeEPNSQ_ISL_E10value_typeEPSM_NS1_7vsmem_tEENKUlT_SK_SL_SM_E_clISE_PiSF_SF_EESJ_SZ_SK_SL_SM_EUlSZ_E_NS1_11comp_targetILNS1_3genE10ELNS1_11target_archE1201ELNS1_3gpuE5ELNS1_3repE0EEENS1_48merge_mergepath_partition_config_static_selectorELNS0_4arch9wavefront6targetE1EEEvSL_
	.globl	_ZN7rocprim17ROCPRIM_400000_NS6detail17trampoline_kernelINS0_14default_configENS1_38merge_sort_block_merge_config_selectorIiNS0_10empty_typeEEEZZNS1_27merge_sort_block_merge_implIS3_N6thrust23THRUST_200600_302600_NS6detail15normal_iteratorINS9_10device_ptrIiEEEEPS5_jNS1_19radix_merge_compareILb0ELb1EiNS0_19identity_decomposerEEEEE10hipError_tT0_T1_T2_jT3_P12ihipStream_tbPNSt15iterator_traitsISK_E10value_typeEPNSQ_ISL_E10value_typeEPSM_NS1_7vsmem_tEENKUlT_SK_SL_SM_E_clISE_PiSF_SF_EESJ_SZ_SK_SL_SM_EUlSZ_E_NS1_11comp_targetILNS1_3genE10ELNS1_11target_archE1201ELNS1_3gpuE5ELNS1_3repE0EEENS1_48merge_mergepath_partition_config_static_selectorELNS0_4arch9wavefront6targetE1EEEvSL_
	.p2align	8
	.type	_ZN7rocprim17ROCPRIM_400000_NS6detail17trampoline_kernelINS0_14default_configENS1_38merge_sort_block_merge_config_selectorIiNS0_10empty_typeEEEZZNS1_27merge_sort_block_merge_implIS3_N6thrust23THRUST_200600_302600_NS6detail15normal_iteratorINS9_10device_ptrIiEEEEPS5_jNS1_19radix_merge_compareILb0ELb1EiNS0_19identity_decomposerEEEEE10hipError_tT0_T1_T2_jT3_P12ihipStream_tbPNSt15iterator_traitsISK_E10value_typeEPNSQ_ISL_E10value_typeEPSM_NS1_7vsmem_tEENKUlT_SK_SL_SM_E_clISE_PiSF_SF_EESJ_SZ_SK_SL_SM_EUlSZ_E_NS1_11comp_targetILNS1_3genE10ELNS1_11target_archE1201ELNS1_3gpuE5ELNS1_3repE0EEENS1_48merge_mergepath_partition_config_static_selectorELNS0_4arch9wavefront6targetE1EEEvSL_,@function
_ZN7rocprim17ROCPRIM_400000_NS6detail17trampoline_kernelINS0_14default_configENS1_38merge_sort_block_merge_config_selectorIiNS0_10empty_typeEEEZZNS1_27merge_sort_block_merge_implIS3_N6thrust23THRUST_200600_302600_NS6detail15normal_iteratorINS9_10device_ptrIiEEEEPS5_jNS1_19radix_merge_compareILb0ELb1EiNS0_19identity_decomposerEEEEE10hipError_tT0_T1_T2_jT3_P12ihipStream_tbPNSt15iterator_traitsISK_E10value_typeEPNSQ_ISL_E10value_typeEPSM_NS1_7vsmem_tEENKUlT_SK_SL_SM_E_clISE_PiSF_SF_EESJ_SZ_SK_SL_SM_EUlSZ_E_NS1_11comp_targetILNS1_3genE10ELNS1_11target_archE1201ELNS1_3gpuE5ELNS1_3repE0EEENS1_48merge_mergepath_partition_config_static_selectorELNS0_4arch9wavefront6targetE1EEEvSL_: ; @_ZN7rocprim17ROCPRIM_400000_NS6detail17trampoline_kernelINS0_14default_configENS1_38merge_sort_block_merge_config_selectorIiNS0_10empty_typeEEEZZNS1_27merge_sort_block_merge_implIS3_N6thrust23THRUST_200600_302600_NS6detail15normal_iteratorINS9_10device_ptrIiEEEEPS5_jNS1_19radix_merge_compareILb0ELb1EiNS0_19identity_decomposerEEEEE10hipError_tT0_T1_T2_jT3_P12ihipStream_tbPNSt15iterator_traitsISK_E10value_typeEPNSQ_ISL_E10value_typeEPSM_NS1_7vsmem_tEENKUlT_SK_SL_SM_E_clISE_PiSF_SF_EESJ_SZ_SK_SL_SM_EUlSZ_E_NS1_11comp_targetILNS1_3genE10ELNS1_11target_archE1201ELNS1_3gpuE5ELNS1_3repE0EEENS1_48merge_mergepath_partition_config_static_selectorELNS0_4arch9wavefront6targetE1EEEvSL_
; %bb.0:
	.section	.rodata,"a",@progbits
	.p2align	6, 0x0
	.amdhsa_kernel _ZN7rocprim17ROCPRIM_400000_NS6detail17trampoline_kernelINS0_14default_configENS1_38merge_sort_block_merge_config_selectorIiNS0_10empty_typeEEEZZNS1_27merge_sort_block_merge_implIS3_N6thrust23THRUST_200600_302600_NS6detail15normal_iteratorINS9_10device_ptrIiEEEEPS5_jNS1_19radix_merge_compareILb0ELb1EiNS0_19identity_decomposerEEEEE10hipError_tT0_T1_T2_jT3_P12ihipStream_tbPNSt15iterator_traitsISK_E10value_typeEPNSQ_ISL_E10value_typeEPSM_NS1_7vsmem_tEENKUlT_SK_SL_SM_E_clISE_PiSF_SF_EESJ_SZ_SK_SL_SM_EUlSZ_E_NS1_11comp_targetILNS1_3genE10ELNS1_11target_archE1201ELNS1_3gpuE5ELNS1_3repE0EEENS1_48merge_mergepath_partition_config_static_selectorELNS0_4arch9wavefront6targetE1EEEvSL_
		.amdhsa_group_segment_fixed_size 0
		.amdhsa_private_segment_fixed_size 0
		.amdhsa_kernarg_size 40
		.amdhsa_user_sgpr_count 6
		.amdhsa_user_sgpr_private_segment_buffer 1
		.amdhsa_user_sgpr_dispatch_ptr 0
		.amdhsa_user_sgpr_queue_ptr 0
		.amdhsa_user_sgpr_kernarg_segment_ptr 1
		.amdhsa_user_sgpr_dispatch_id 0
		.amdhsa_user_sgpr_flat_scratch_init 0
		.amdhsa_user_sgpr_kernarg_preload_length 0
		.amdhsa_user_sgpr_kernarg_preload_offset 0
		.amdhsa_user_sgpr_private_segment_size 0
		.amdhsa_uses_dynamic_stack 0
		.amdhsa_system_sgpr_private_segment_wavefront_offset 0
		.amdhsa_system_sgpr_workgroup_id_x 1
		.amdhsa_system_sgpr_workgroup_id_y 0
		.amdhsa_system_sgpr_workgroup_id_z 0
		.amdhsa_system_sgpr_workgroup_info 0
		.amdhsa_system_vgpr_workitem_id 0
		.amdhsa_next_free_vgpr 1
		.amdhsa_next_free_sgpr 0
		.amdhsa_accum_offset 4
		.amdhsa_reserve_vcc 0
		.amdhsa_reserve_flat_scratch 0
		.amdhsa_float_round_mode_32 0
		.amdhsa_float_round_mode_16_64 0
		.amdhsa_float_denorm_mode_32 3
		.amdhsa_float_denorm_mode_16_64 3
		.amdhsa_dx10_clamp 1
		.amdhsa_ieee_mode 1
		.amdhsa_fp16_overflow 0
		.amdhsa_tg_split 0
		.amdhsa_exception_fp_ieee_invalid_op 0
		.amdhsa_exception_fp_denorm_src 0
		.amdhsa_exception_fp_ieee_div_zero 0
		.amdhsa_exception_fp_ieee_overflow 0
		.amdhsa_exception_fp_ieee_underflow 0
		.amdhsa_exception_fp_ieee_inexact 0
		.amdhsa_exception_int_div_zero 0
	.end_amdhsa_kernel
	.section	.text._ZN7rocprim17ROCPRIM_400000_NS6detail17trampoline_kernelINS0_14default_configENS1_38merge_sort_block_merge_config_selectorIiNS0_10empty_typeEEEZZNS1_27merge_sort_block_merge_implIS3_N6thrust23THRUST_200600_302600_NS6detail15normal_iteratorINS9_10device_ptrIiEEEEPS5_jNS1_19radix_merge_compareILb0ELb1EiNS0_19identity_decomposerEEEEE10hipError_tT0_T1_T2_jT3_P12ihipStream_tbPNSt15iterator_traitsISK_E10value_typeEPNSQ_ISL_E10value_typeEPSM_NS1_7vsmem_tEENKUlT_SK_SL_SM_E_clISE_PiSF_SF_EESJ_SZ_SK_SL_SM_EUlSZ_E_NS1_11comp_targetILNS1_3genE10ELNS1_11target_archE1201ELNS1_3gpuE5ELNS1_3repE0EEENS1_48merge_mergepath_partition_config_static_selectorELNS0_4arch9wavefront6targetE1EEEvSL_,"axG",@progbits,_ZN7rocprim17ROCPRIM_400000_NS6detail17trampoline_kernelINS0_14default_configENS1_38merge_sort_block_merge_config_selectorIiNS0_10empty_typeEEEZZNS1_27merge_sort_block_merge_implIS3_N6thrust23THRUST_200600_302600_NS6detail15normal_iteratorINS9_10device_ptrIiEEEEPS5_jNS1_19radix_merge_compareILb0ELb1EiNS0_19identity_decomposerEEEEE10hipError_tT0_T1_T2_jT3_P12ihipStream_tbPNSt15iterator_traitsISK_E10value_typeEPNSQ_ISL_E10value_typeEPSM_NS1_7vsmem_tEENKUlT_SK_SL_SM_E_clISE_PiSF_SF_EESJ_SZ_SK_SL_SM_EUlSZ_E_NS1_11comp_targetILNS1_3genE10ELNS1_11target_archE1201ELNS1_3gpuE5ELNS1_3repE0EEENS1_48merge_mergepath_partition_config_static_selectorELNS0_4arch9wavefront6targetE1EEEvSL_,comdat
.Lfunc_end1696:
	.size	_ZN7rocprim17ROCPRIM_400000_NS6detail17trampoline_kernelINS0_14default_configENS1_38merge_sort_block_merge_config_selectorIiNS0_10empty_typeEEEZZNS1_27merge_sort_block_merge_implIS3_N6thrust23THRUST_200600_302600_NS6detail15normal_iteratorINS9_10device_ptrIiEEEEPS5_jNS1_19radix_merge_compareILb0ELb1EiNS0_19identity_decomposerEEEEE10hipError_tT0_T1_T2_jT3_P12ihipStream_tbPNSt15iterator_traitsISK_E10value_typeEPNSQ_ISL_E10value_typeEPSM_NS1_7vsmem_tEENKUlT_SK_SL_SM_E_clISE_PiSF_SF_EESJ_SZ_SK_SL_SM_EUlSZ_E_NS1_11comp_targetILNS1_3genE10ELNS1_11target_archE1201ELNS1_3gpuE5ELNS1_3repE0EEENS1_48merge_mergepath_partition_config_static_selectorELNS0_4arch9wavefront6targetE1EEEvSL_, .Lfunc_end1696-_ZN7rocprim17ROCPRIM_400000_NS6detail17trampoline_kernelINS0_14default_configENS1_38merge_sort_block_merge_config_selectorIiNS0_10empty_typeEEEZZNS1_27merge_sort_block_merge_implIS3_N6thrust23THRUST_200600_302600_NS6detail15normal_iteratorINS9_10device_ptrIiEEEEPS5_jNS1_19radix_merge_compareILb0ELb1EiNS0_19identity_decomposerEEEEE10hipError_tT0_T1_T2_jT3_P12ihipStream_tbPNSt15iterator_traitsISK_E10value_typeEPNSQ_ISL_E10value_typeEPSM_NS1_7vsmem_tEENKUlT_SK_SL_SM_E_clISE_PiSF_SF_EESJ_SZ_SK_SL_SM_EUlSZ_E_NS1_11comp_targetILNS1_3genE10ELNS1_11target_archE1201ELNS1_3gpuE5ELNS1_3repE0EEENS1_48merge_mergepath_partition_config_static_selectorELNS0_4arch9wavefront6targetE1EEEvSL_
                                        ; -- End function
	.section	.AMDGPU.csdata,"",@progbits
; Kernel info:
; codeLenInByte = 0
; NumSgprs: 4
; NumVgprs: 0
; NumAgprs: 0
; TotalNumVgprs: 0
; ScratchSize: 0
; MemoryBound: 0
; FloatMode: 240
; IeeeMode: 1
; LDSByteSize: 0 bytes/workgroup (compile time only)
; SGPRBlocks: 0
; VGPRBlocks: 0
; NumSGPRsForWavesPerEU: 4
; NumVGPRsForWavesPerEU: 1
; AccumOffset: 4
; Occupancy: 8
; WaveLimiterHint : 0
; COMPUTE_PGM_RSRC2:SCRATCH_EN: 0
; COMPUTE_PGM_RSRC2:USER_SGPR: 6
; COMPUTE_PGM_RSRC2:TRAP_HANDLER: 0
; COMPUTE_PGM_RSRC2:TGID_X_EN: 1
; COMPUTE_PGM_RSRC2:TGID_Y_EN: 0
; COMPUTE_PGM_RSRC2:TGID_Z_EN: 0
; COMPUTE_PGM_RSRC2:TIDIG_COMP_CNT: 0
; COMPUTE_PGM_RSRC3_GFX90A:ACCUM_OFFSET: 0
; COMPUTE_PGM_RSRC3_GFX90A:TG_SPLIT: 0
	.section	.text._ZN7rocprim17ROCPRIM_400000_NS6detail17trampoline_kernelINS0_14default_configENS1_38merge_sort_block_merge_config_selectorIiNS0_10empty_typeEEEZZNS1_27merge_sort_block_merge_implIS3_N6thrust23THRUST_200600_302600_NS6detail15normal_iteratorINS9_10device_ptrIiEEEEPS5_jNS1_19radix_merge_compareILb0ELb1EiNS0_19identity_decomposerEEEEE10hipError_tT0_T1_T2_jT3_P12ihipStream_tbPNSt15iterator_traitsISK_E10value_typeEPNSQ_ISL_E10value_typeEPSM_NS1_7vsmem_tEENKUlT_SK_SL_SM_E_clISE_PiSF_SF_EESJ_SZ_SK_SL_SM_EUlSZ_E_NS1_11comp_targetILNS1_3genE5ELNS1_11target_archE942ELNS1_3gpuE9ELNS1_3repE0EEENS1_48merge_mergepath_partition_config_static_selectorELNS0_4arch9wavefront6targetE1EEEvSL_,"axG",@progbits,_ZN7rocprim17ROCPRIM_400000_NS6detail17trampoline_kernelINS0_14default_configENS1_38merge_sort_block_merge_config_selectorIiNS0_10empty_typeEEEZZNS1_27merge_sort_block_merge_implIS3_N6thrust23THRUST_200600_302600_NS6detail15normal_iteratorINS9_10device_ptrIiEEEEPS5_jNS1_19radix_merge_compareILb0ELb1EiNS0_19identity_decomposerEEEEE10hipError_tT0_T1_T2_jT3_P12ihipStream_tbPNSt15iterator_traitsISK_E10value_typeEPNSQ_ISL_E10value_typeEPSM_NS1_7vsmem_tEENKUlT_SK_SL_SM_E_clISE_PiSF_SF_EESJ_SZ_SK_SL_SM_EUlSZ_E_NS1_11comp_targetILNS1_3genE5ELNS1_11target_archE942ELNS1_3gpuE9ELNS1_3repE0EEENS1_48merge_mergepath_partition_config_static_selectorELNS0_4arch9wavefront6targetE1EEEvSL_,comdat
	.protected	_ZN7rocprim17ROCPRIM_400000_NS6detail17trampoline_kernelINS0_14default_configENS1_38merge_sort_block_merge_config_selectorIiNS0_10empty_typeEEEZZNS1_27merge_sort_block_merge_implIS3_N6thrust23THRUST_200600_302600_NS6detail15normal_iteratorINS9_10device_ptrIiEEEEPS5_jNS1_19radix_merge_compareILb0ELb1EiNS0_19identity_decomposerEEEEE10hipError_tT0_T1_T2_jT3_P12ihipStream_tbPNSt15iterator_traitsISK_E10value_typeEPNSQ_ISL_E10value_typeEPSM_NS1_7vsmem_tEENKUlT_SK_SL_SM_E_clISE_PiSF_SF_EESJ_SZ_SK_SL_SM_EUlSZ_E_NS1_11comp_targetILNS1_3genE5ELNS1_11target_archE942ELNS1_3gpuE9ELNS1_3repE0EEENS1_48merge_mergepath_partition_config_static_selectorELNS0_4arch9wavefront6targetE1EEEvSL_ ; -- Begin function _ZN7rocprim17ROCPRIM_400000_NS6detail17trampoline_kernelINS0_14default_configENS1_38merge_sort_block_merge_config_selectorIiNS0_10empty_typeEEEZZNS1_27merge_sort_block_merge_implIS3_N6thrust23THRUST_200600_302600_NS6detail15normal_iteratorINS9_10device_ptrIiEEEEPS5_jNS1_19radix_merge_compareILb0ELb1EiNS0_19identity_decomposerEEEEE10hipError_tT0_T1_T2_jT3_P12ihipStream_tbPNSt15iterator_traitsISK_E10value_typeEPNSQ_ISL_E10value_typeEPSM_NS1_7vsmem_tEENKUlT_SK_SL_SM_E_clISE_PiSF_SF_EESJ_SZ_SK_SL_SM_EUlSZ_E_NS1_11comp_targetILNS1_3genE5ELNS1_11target_archE942ELNS1_3gpuE9ELNS1_3repE0EEENS1_48merge_mergepath_partition_config_static_selectorELNS0_4arch9wavefront6targetE1EEEvSL_
	.globl	_ZN7rocprim17ROCPRIM_400000_NS6detail17trampoline_kernelINS0_14default_configENS1_38merge_sort_block_merge_config_selectorIiNS0_10empty_typeEEEZZNS1_27merge_sort_block_merge_implIS3_N6thrust23THRUST_200600_302600_NS6detail15normal_iteratorINS9_10device_ptrIiEEEEPS5_jNS1_19radix_merge_compareILb0ELb1EiNS0_19identity_decomposerEEEEE10hipError_tT0_T1_T2_jT3_P12ihipStream_tbPNSt15iterator_traitsISK_E10value_typeEPNSQ_ISL_E10value_typeEPSM_NS1_7vsmem_tEENKUlT_SK_SL_SM_E_clISE_PiSF_SF_EESJ_SZ_SK_SL_SM_EUlSZ_E_NS1_11comp_targetILNS1_3genE5ELNS1_11target_archE942ELNS1_3gpuE9ELNS1_3repE0EEENS1_48merge_mergepath_partition_config_static_selectorELNS0_4arch9wavefront6targetE1EEEvSL_
	.p2align	8
	.type	_ZN7rocprim17ROCPRIM_400000_NS6detail17trampoline_kernelINS0_14default_configENS1_38merge_sort_block_merge_config_selectorIiNS0_10empty_typeEEEZZNS1_27merge_sort_block_merge_implIS3_N6thrust23THRUST_200600_302600_NS6detail15normal_iteratorINS9_10device_ptrIiEEEEPS5_jNS1_19radix_merge_compareILb0ELb1EiNS0_19identity_decomposerEEEEE10hipError_tT0_T1_T2_jT3_P12ihipStream_tbPNSt15iterator_traitsISK_E10value_typeEPNSQ_ISL_E10value_typeEPSM_NS1_7vsmem_tEENKUlT_SK_SL_SM_E_clISE_PiSF_SF_EESJ_SZ_SK_SL_SM_EUlSZ_E_NS1_11comp_targetILNS1_3genE5ELNS1_11target_archE942ELNS1_3gpuE9ELNS1_3repE0EEENS1_48merge_mergepath_partition_config_static_selectorELNS0_4arch9wavefront6targetE1EEEvSL_,@function
_ZN7rocprim17ROCPRIM_400000_NS6detail17trampoline_kernelINS0_14default_configENS1_38merge_sort_block_merge_config_selectorIiNS0_10empty_typeEEEZZNS1_27merge_sort_block_merge_implIS3_N6thrust23THRUST_200600_302600_NS6detail15normal_iteratorINS9_10device_ptrIiEEEEPS5_jNS1_19radix_merge_compareILb0ELb1EiNS0_19identity_decomposerEEEEE10hipError_tT0_T1_T2_jT3_P12ihipStream_tbPNSt15iterator_traitsISK_E10value_typeEPNSQ_ISL_E10value_typeEPSM_NS1_7vsmem_tEENKUlT_SK_SL_SM_E_clISE_PiSF_SF_EESJ_SZ_SK_SL_SM_EUlSZ_E_NS1_11comp_targetILNS1_3genE5ELNS1_11target_archE942ELNS1_3gpuE9ELNS1_3repE0EEENS1_48merge_mergepath_partition_config_static_selectorELNS0_4arch9wavefront6targetE1EEEvSL_: ; @_ZN7rocprim17ROCPRIM_400000_NS6detail17trampoline_kernelINS0_14default_configENS1_38merge_sort_block_merge_config_selectorIiNS0_10empty_typeEEEZZNS1_27merge_sort_block_merge_implIS3_N6thrust23THRUST_200600_302600_NS6detail15normal_iteratorINS9_10device_ptrIiEEEEPS5_jNS1_19radix_merge_compareILb0ELb1EiNS0_19identity_decomposerEEEEE10hipError_tT0_T1_T2_jT3_P12ihipStream_tbPNSt15iterator_traitsISK_E10value_typeEPNSQ_ISL_E10value_typeEPSM_NS1_7vsmem_tEENKUlT_SK_SL_SM_E_clISE_PiSF_SF_EESJ_SZ_SK_SL_SM_EUlSZ_E_NS1_11comp_targetILNS1_3genE5ELNS1_11target_archE942ELNS1_3gpuE9ELNS1_3repE0EEENS1_48merge_mergepath_partition_config_static_selectorELNS0_4arch9wavefront6targetE1EEEvSL_
; %bb.0:
	.section	.rodata,"a",@progbits
	.p2align	6, 0x0
	.amdhsa_kernel _ZN7rocprim17ROCPRIM_400000_NS6detail17trampoline_kernelINS0_14default_configENS1_38merge_sort_block_merge_config_selectorIiNS0_10empty_typeEEEZZNS1_27merge_sort_block_merge_implIS3_N6thrust23THRUST_200600_302600_NS6detail15normal_iteratorINS9_10device_ptrIiEEEEPS5_jNS1_19radix_merge_compareILb0ELb1EiNS0_19identity_decomposerEEEEE10hipError_tT0_T1_T2_jT3_P12ihipStream_tbPNSt15iterator_traitsISK_E10value_typeEPNSQ_ISL_E10value_typeEPSM_NS1_7vsmem_tEENKUlT_SK_SL_SM_E_clISE_PiSF_SF_EESJ_SZ_SK_SL_SM_EUlSZ_E_NS1_11comp_targetILNS1_3genE5ELNS1_11target_archE942ELNS1_3gpuE9ELNS1_3repE0EEENS1_48merge_mergepath_partition_config_static_selectorELNS0_4arch9wavefront6targetE1EEEvSL_
		.amdhsa_group_segment_fixed_size 0
		.amdhsa_private_segment_fixed_size 0
		.amdhsa_kernarg_size 40
		.amdhsa_user_sgpr_count 6
		.amdhsa_user_sgpr_private_segment_buffer 1
		.amdhsa_user_sgpr_dispatch_ptr 0
		.amdhsa_user_sgpr_queue_ptr 0
		.amdhsa_user_sgpr_kernarg_segment_ptr 1
		.amdhsa_user_sgpr_dispatch_id 0
		.amdhsa_user_sgpr_flat_scratch_init 0
		.amdhsa_user_sgpr_kernarg_preload_length 0
		.amdhsa_user_sgpr_kernarg_preload_offset 0
		.amdhsa_user_sgpr_private_segment_size 0
		.amdhsa_uses_dynamic_stack 0
		.amdhsa_system_sgpr_private_segment_wavefront_offset 0
		.amdhsa_system_sgpr_workgroup_id_x 1
		.amdhsa_system_sgpr_workgroup_id_y 0
		.amdhsa_system_sgpr_workgroup_id_z 0
		.amdhsa_system_sgpr_workgroup_info 0
		.amdhsa_system_vgpr_workitem_id 0
		.amdhsa_next_free_vgpr 1
		.amdhsa_next_free_sgpr 0
		.amdhsa_accum_offset 4
		.amdhsa_reserve_vcc 0
		.amdhsa_reserve_flat_scratch 0
		.amdhsa_float_round_mode_32 0
		.amdhsa_float_round_mode_16_64 0
		.amdhsa_float_denorm_mode_32 3
		.amdhsa_float_denorm_mode_16_64 3
		.amdhsa_dx10_clamp 1
		.amdhsa_ieee_mode 1
		.amdhsa_fp16_overflow 0
		.amdhsa_tg_split 0
		.amdhsa_exception_fp_ieee_invalid_op 0
		.amdhsa_exception_fp_denorm_src 0
		.amdhsa_exception_fp_ieee_div_zero 0
		.amdhsa_exception_fp_ieee_overflow 0
		.amdhsa_exception_fp_ieee_underflow 0
		.amdhsa_exception_fp_ieee_inexact 0
		.amdhsa_exception_int_div_zero 0
	.end_amdhsa_kernel
	.section	.text._ZN7rocprim17ROCPRIM_400000_NS6detail17trampoline_kernelINS0_14default_configENS1_38merge_sort_block_merge_config_selectorIiNS0_10empty_typeEEEZZNS1_27merge_sort_block_merge_implIS3_N6thrust23THRUST_200600_302600_NS6detail15normal_iteratorINS9_10device_ptrIiEEEEPS5_jNS1_19radix_merge_compareILb0ELb1EiNS0_19identity_decomposerEEEEE10hipError_tT0_T1_T2_jT3_P12ihipStream_tbPNSt15iterator_traitsISK_E10value_typeEPNSQ_ISL_E10value_typeEPSM_NS1_7vsmem_tEENKUlT_SK_SL_SM_E_clISE_PiSF_SF_EESJ_SZ_SK_SL_SM_EUlSZ_E_NS1_11comp_targetILNS1_3genE5ELNS1_11target_archE942ELNS1_3gpuE9ELNS1_3repE0EEENS1_48merge_mergepath_partition_config_static_selectorELNS0_4arch9wavefront6targetE1EEEvSL_,"axG",@progbits,_ZN7rocprim17ROCPRIM_400000_NS6detail17trampoline_kernelINS0_14default_configENS1_38merge_sort_block_merge_config_selectorIiNS0_10empty_typeEEEZZNS1_27merge_sort_block_merge_implIS3_N6thrust23THRUST_200600_302600_NS6detail15normal_iteratorINS9_10device_ptrIiEEEEPS5_jNS1_19radix_merge_compareILb0ELb1EiNS0_19identity_decomposerEEEEE10hipError_tT0_T1_T2_jT3_P12ihipStream_tbPNSt15iterator_traitsISK_E10value_typeEPNSQ_ISL_E10value_typeEPSM_NS1_7vsmem_tEENKUlT_SK_SL_SM_E_clISE_PiSF_SF_EESJ_SZ_SK_SL_SM_EUlSZ_E_NS1_11comp_targetILNS1_3genE5ELNS1_11target_archE942ELNS1_3gpuE9ELNS1_3repE0EEENS1_48merge_mergepath_partition_config_static_selectorELNS0_4arch9wavefront6targetE1EEEvSL_,comdat
.Lfunc_end1697:
	.size	_ZN7rocprim17ROCPRIM_400000_NS6detail17trampoline_kernelINS0_14default_configENS1_38merge_sort_block_merge_config_selectorIiNS0_10empty_typeEEEZZNS1_27merge_sort_block_merge_implIS3_N6thrust23THRUST_200600_302600_NS6detail15normal_iteratorINS9_10device_ptrIiEEEEPS5_jNS1_19radix_merge_compareILb0ELb1EiNS0_19identity_decomposerEEEEE10hipError_tT0_T1_T2_jT3_P12ihipStream_tbPNSt15iterator_traitsISK_E10value_typeEPNSQ_ISL_E10value_typeEPSM_NS1_7vsmem_tEENKUlT_SK_SL_SM_E_clISE_PiSF_SF_EESJ_SZ_SK_SL_SM_EUlSZ_E_NS1_11comp_targetILNS1_3genE5ELNS1_11target_archE942ELNS1_3gpuE9ELNS1_3repE0EEENS1_48merge_mergepath_partition_config_static_selectorELNS0_4arch9wavefront6targetE1EEEvSL_, .Lfunc_end1697-_ZN7rocprim17ROCPRIM_400000_NS6detail17trampoline_kernelINS0_14default_configENS1_38merge_sort_block_merge_config_selectorIiNS0_10empty_typeEEEZZNS1_27merge_sort_block_merge_implIS3_N6thrust23THRUST_200600_302600_NS6detail15normal_iteratorINS9_10device_ptrIiEEEEPS5_jNS1_19radix_merge_compareILb0ELb1EiNS0_19identity_decomposerEEEEE10hipError_tT0_T1_T2_jT3_P12ihipStream_tbPNSt15iterator_traitsISK_E10value_typeEPNSQ_ISL_E10value_typeEPSM_NS1_7vsmem_tEENKUlT_SK_SL_SM_E_clISE_PiSF_SF_EESJ_SZ_SK_SL_SM_EUlSZ_E_NS1_11comp_targetILNS1_3genE5ELNS1_11target_archE942ELNS1_3gpuE9ELNS1_3repE0EEENS1_48merge_mergepath_partition_config_static_selectorELNS0_4arch9wavefront6targetE1EEEvSL_
                                        ; -- End function
	.section	.AMDGPU.csdata,"",@progbits
; Kernel info:
; codeLenInByte = 0
; NumSgprs: 4
; NumVgprs: 0
; NumAgprs: 0
; TotalNumVgprs: 0
; ScratchSize: 0
; MemoryBound: 0
; FloatMode: 240
; IeeeMode: 1
; LDSByteSize: 0 bytes/workgroup (compile time only)
; SGPRBlocks: 0
; VGPRBlocks: 0
; NumSGPRsForWavesPerEU: 4
; NumVGPRsForWavesPerEU: 1
; AccumOffset: 4
; Occupancy: 8
; WaveLimiterHint : 0
; COMPUTE_PGM_RSRC2:SCRATCH_EN: 0
; COMPUTE_PGM_RSRC2:USER_SGPR: 6
; COMPUTE_PGM_RSRC2:TRAP_HANDLER: 0
; COMPUTE_PGM_RSRC2:TGID_X_EN: 1
; COMPUTE_PGM_RSRC2:TGID_Y_EN: 0
; COMPUTE_PGM_RSRC2:TGID_Z_EN: 0
; COMPUTE_PGM_RSRC2:TIDIG_COMP_CNT: 0
; COMPUTE_PGM_RSRC3_GFX90A:ACCUM_OFFSET: 0
; COMPUTE_PGM_RSRC3_GFX90A:TG_SPLIT: 0
	.section	.text._ZN7rocprim17ROCPRIM_400000_NS6detail17trampoline_kernelINS0_14default_configENS1_38merge_sort_block_merge_config_selectorIiNS0_10empty_typeEEEZZNS1_27merge_sort_block_merge_implIS3_N6thrust23THRUST_200600_302600_NS6detail15normal_iteratorINS9_10device_ptrIiEEEEPS5_jNS1_19radix_merge_compareILb0ELb1EiNS0_19identity_decomposerEEEEE10hipError_tT0_T1_T2_jT3_P12ihipStream_tbPNSt15iterator_traitsISK_E10value_typeEPNSQ_ISL_E10value_typeEPSM_NS1_7vsmem_tEENKUlT_SK_SL_SM_E_clISE_PiSF_SF_EESJ_SZ_SK_SL_SM_EUlSZ_E_NS1_11comp_targetILNS1_3genE4ELNS1_11target_archE910ELNS1_3gpuE8ELNS1_3repE0EEENS1_48merge_mergepath_partition_config_static_selectorELNS0_4arch9wavefront6targetE1EEEvSL_,"axG",@progbits,_ZN7rocprim17ROCPRIM_400000_NS6detail17trampoline_kernelINS0_14default_configENS1_38merge_sort_block_merge_config_selectorIiNS0_10empty_typeEEEZZNS1_27merge_sort_block_merge_implIS3_N6thrust23THRUST_200600_302600_NS6detail15normal_iteratorINS9_10device_ptrIiEEEEPS5_jNS1_19radix_merge_compareILb0ELb1EiNS0_19identity_decomposerEEEEE10hipError_tT0_T1_T2_jT3_P12ihipStream_tbPNSt15iterator_traitsISK_E10value_typeEPNSQ_ISL_E10value_typeEPSM_NS1_7vsmem_tEENKUlT_SK_SL_SM_E_clISE_PiSF_SF_EESJ_SZ_SK_SL_SM_EUlSZ_E_NS1_11comp_targetILNS1_3genE4ELNS1_11target_archE910ELNS1_3gpuE8ELNS1_3repE0EEENS1_48merge_mergepath_partition_config_static_selectorELNS0_4arch9wavefront6targetE1EEEvSL_,comdat
	.protected	_ZN7rocprim17ROCPRIM_400000_NS6detail17trampoline_kernelINS0_14default_configENS1_38merge_sort_block_merge_config_selectorIiNS0_10empty_typeEEEZZNS1_27merge_sort_block_merge_implIS3_N6thrust23THRUST_200600_302600_NS6detail15normal_iteratorINS9_10device_ptrIiEEEEPS5_jNS1_19radix_merge_compareILb0ELb1EiNS0_19identity_decomposerEEEEE10hipError_tT0_T1_T2_jT3_P12ihipStream_tbPNSt15iterator_traitsISK_E10value_typeEPNSQ_ISL_E10value_typeEPSM_NS1_7vsmem_tEENKUlT_SK_SL_SM_E_clISE_PiSF_SF_EESJ_SZ_SK_SL_SM_EUlSZ_E_NS1_11comp_targetILNS1_3genE4ELNS1_11target_archE910ELNS1_3gpuE8ELNS1_3repE0EEENS1_48merge_mergepath_partition_config_static_selectorELNS0_4arch9wavefront6targetE1EEEvSL_ ; -- Begin function _ZN7rocprim17ROCPRIM_400000_NS6detail17trampoline_kernelINS0_14default_configENS1_38merge_sort_block_merge_config_selectorIiNS0_10empty_typeEEEZZNS1_27merge_sort_block_merge_implIS3_N6thrust23THRUST_200600_302600_NS6detail15normal_iteratorINS9_10device_ptrIiEEEEPS5_jNS1_19radix_merge_compareILb0ELb1EiNS0_19identity_decomposerEEEEE10hipError_tT0_T1_T2_jT3_P12ihipStream_tbPNSt15iterator_traitsISK_E10value_typeEPNSQ_ISL_E10value_typeEPSM_NS1_7vsmem_tEENKUlT_SK_SL_SM_E_clISE_PiSF_SF_EESJ_SZ_SK_SL_SM_EUlSZ_E_NS1_11comp_targetILNS1_3genE4ELNS1_11target_archE910ELNS1_3gpuE8ELNS1_3repE0EEENS1_48merge_mergepath_partition_config_static_selectorELNS0_4arch9wavefront6targetE1EEEvSL_
	.globl	_ZN7rocprim17ROCPRIM_400000_NS6detail17trampoline_kernelINS0_14default_configENS1_38merge_sort_block_merge_config_selectorIiNS0_10empty_typeEEEZZNS1_27merge_sort_block_merge_implIS3_N6thrust23THRUST_200600_302600_NS6detail15normal_iteratorINS9_10device_ptrIiEEEEPS5_jNS1_19radix_merge_compareILb0ELb1EiNS0_19identity_decomposerEEEEE10hipError_tT0_T1_T2_jT3_P12ihipStream_tbPNSt15iterator_traitsISK_E10value_typeEPNSQ_ISL_E10value_typeEPSM_NS1_7vsmem_tEENKUlT_SK_SL_SM_E_clISE_PiSF_SF_EESJ_SZ_SK_SL_SM_EUlSZ_E_NS1_11comp_targetILNS1_3genE4ELNS1_11target_archE910ELNS1_3gpuE8ELNS1_3repE0EEENS1_48merge_mergepath_partition_config_static_selectorELNS0_4arch9wavefront6targetE1EEEvSL_
	.p2align	8
	.type	_ZN7rocprim17ROCPRIM_400000_NS6detail17trampoline_kernelINS0_14default_configENS1_38merge_sort_block_merge_config_selectorIiNS0_10empty_typeEEEZZNS1_27merge_sort_block_merge_implIS3_N6thrust23THRUST_200600_302600_NS6detail15normal_iteratorINS9_10device_ptrIiEEEEPS5_jNS1_19radix_merge_compareILb0ELb1EiNS0_19identity_decomposerEEEEE10hipError_tT0_T1_T2_jT3_P12ihipStream_tbPNSt15iterator_traitsISK_E10value_typeEPNSQ_ISL_E10value_typeEPSM_NS1_7vsmem_tEENKUlT_SK_SL_SM_E_clISE_PiSF_SF_EESJ_SZ_SK_SL_SM_EUlSZ_E_NS1_11comp_targetILNS1_3genE4ELNS1_11target_archE910ELNS1_3gpuE8ELNS1_3repE0EEENS1_48merge_mergepath_partition_config_static_selectorELNS0_4arch9wavefront6targetE1EEEvSL_,@function
_ZN7rocprim17ROCPRIM_400000_NS6detail17trampoline_kernelINS0_14default_configENS1_38merge_sort_block_merge_config_selectorIiNS0_10empty_typeEEEZZNS1_27merge_sort_block_merge_implIS3_N6thrust23THRUST_200600_302600_NS6detail15normal_iteratorINS9_10device_ptrIiEEEEPS5_jNS1_19radix_merge_compareILb0ELb1EiNS0_19identity_decomposerEEEEE10hipError_tT0_T1_T2_jT3_P12ihipStream_tbPNSt15iterator_traitsISK_E10value_typeEPNSQ_ISL_E10value_typeEPSM_NS1_7vsmem_tEENKUlT_SK_SL_SM_E_clISE_PiSF_SF_EESJ_SZ_SK_SL_SM_EUlSZ_E_NS1_11comp_targetILNS1_3genE4ELNS1_11target_archE910ELNS1_3gpuE8ELNS1_3repE0EEENS1_48merge_mergepath_partition_config_static_selectorELNS0_4arch9wavefront6targetE1EEEvSL_: ; @_ZN7rocprim17ROCPRIM_400000_NS6detail17trampoline_kernelINS0_14default_configENS1_38merge_sort_block_merge_config_selectorIiNS0_10empty_typeEEEZZNS1_27merge_sort_block_merge_implIS3_N6thrust23THRUST_200600_302600_NS6detail15normal_iteratorINS9_10device_ptrIiEEEEPS5_jNS1_19radix_merge_compareILb0ELb1EiNS0_19identity_decomposerEEEEE10hipError_tT0_T1_T2_jT3_P12ihipStream_tbPNSt15iterator_traitsISK_E10value_typeEPNSQ_ISL_E10value_typeEPSM_NS1_7vsmem_tEENKUlT_SK_SL_SM_E_clISE_PiSF_SF_EESJ_SZ_SK_SL_SM_EUlSZ_E_NS1_11comp_targetILNS1_3genE4ELNS1_11target_archE910ELNS1_3gpuE8ELNS1_3repE0EEENS1_48merge_mergepath_partition_config_static_selectorELNS0_4arch9wavefront6targetE1EEEvSL_
; %bb.0:
	s_load_dword s0, s[4:5], 0x0
	v_lshl_or_b32 v0, s6, 7, v0
	s_waitcnt lgkmcnt(0)
	v_cmp_gt_u32_e32 vcc, s0, v0
	s_and_saveexec_b64 s[0:1], vcc
	s_cbranch_execz .LBB1698_6
; %bb.1:
	s_load_dwordx2 s[2:3], s[4:5], 0x4
	s_load_dwordx2 s[0:1], s[4:5], 0x20
	s_waitcnt lgkmcnt(0)
	s_lshr_b32 s6, s2, 9
	s_and_b32 s6, s6, 0x7ffffe
	s_add_i32 s7, s6, -1
	s_sub_i32 s6, 0, s6
	v_and_b32_e32 v1, s6, v0
	v_lshlrev_b32_e32 v1, 10, v1
	v_min_u32_e32 v2, s3, v1
	v_add_u32_e32 v1, s2, v1
	v_min_u32_e32 v4, s3, v1
	v_add_u32_e32 v1, s2, v4
	v_and_b32_e32 v3, s7, v0
	v_min_u32_e32 v1, s3, v1
	v_sub_u32_e32 v5, v1, v2
	v_lshlrev_b32_e32 v3, 10, v3
	v_min_u32_e32 v6, v5, v3
	v_sub_u32_e32 v3, v4, v2
	v_sub_u32_e32 v1, v1, v4
	v_sub_u32_e64 v1, v6, v1 clamp
	v_min_u32_e32 v7, v6, v3
	v_cmp_lt_u32_e32 vcc, v1, v7
	s_and_saveexec_b64 s[2:3], vcc
	s_cbranch_execz .LBB1698_5
; %bb.2:
	s_load_dwordx2 s[8:9], s[4:5], 0x10
	s_load_dword s6, s[4:5], 0x18
	v_mov_b32_e32 v5, 0
	v_mov_b32_e32 v3, v5
	v_lshlrev_b64 v[8:9], 2, v[2:3]
	s_waitcnt lgkmcnt(0)
	v_mov_b32_e32 v12, s9
	v_add_co_u32_e32 v3, vcc, s8, v8
	v_addc_co_u32_e32 v8, vcc, v12, v9, vcc
	v_lshlrev_b64 v[10:11], 2, v[4:5]
	v_add_co_u32_e32 v9, vcc, s8, v10
	v_addc_co_u32_e32 v10, vcc, v12, v11, vcc
	s_mov_b64 s[4:5], 0
.LBB1698_3:                             ; =>This Inner Loop Header: Depth=1
	v_add_u32_e32 v4, v7, v1
	v_lshrrev_b32_e32 v4, 1, v4
	v_lshlrev_b64 v[14:15], 2, v[4:5]
	v_mov_b32_e32 v13, v5
	v_xad_u32 v12, v4, -1, v6
	v_add_co_u32_e32 v14, vcc, v3, v14
	v_addc_co_u32_e32 v15, vcc, v8, v15, vcc
	v_lshlrev_b64 v[12:13], 2, v[12:13]
	v_add_co_u32_e32 v12, vcc, v9, v12
	v_addc_co_u32_e32 v13, vcc, v10, v13, vcc
	flat_load_dword v11, v[14:15]
	flat_load_dword v16, v[12:13]
	v_add_u32_e32 v12, 1, v4
	s_waitcnt vmcnt(0) lgkmcnt(0)
	v_and_b32_e32 v11, s6, v11
	v_and_b32_e32 v13, s6, v16
	v_cmp_gt_i32_e32 vcc, v11, v13
	v_cndmask_b32_e32 v7, v7, v4, vcc
	v_cndmask_b32_e32 v1, v12, v1, vcc
	v_cmp_ge_u32_e32 vcc, v1, v7
	s_or_b64 s[4:5], vcc, s[4:5]
	s_andn2_b64 exec, exec, s[4:5]
	s_cbranch_execnz .LBB1698_3
; %bb.4:
	s_or_b64 exec, exec, s[4:5]
.LBB1698_5:
	s_or_b64 exec, exec, s[2:3]
	v_add_u32_e32 v2, v1, v2
	v_mov_b32_e32 v1, 0
	v_lshlrev_b64 v[0:1], 2, v[0:1]
	v_mov_b32_e32 v3, s1
	v_add_co_u32_e32 v0, vcc, s0, v0
	v_addc_co_u32_e32 v1, vcc, v3, v1, vcc
	global_store_dword v[0:1], v2, off
.LBB1698_6:
	s_endpgm
	.section	.rodata,"a",@progbits
	.p2align	6, 0x0
	.amdhsa_kernel _ZN7rocprim17ROCPRIM_400000_NS6detail17trampoline_kernelINS0_14default_configENS1_38merge_sort_block_merge_config_selectorIiNS0_10empty_typeEEEZZNS1_27merge_sort_block_merge_implIS3_N6thrust23THRUST_200600_302600_NS6detail15normal_iteratorINS9_10device_ptrIiEEEEPS5_jNS1_19radix_merge_compareILb0ELb1EiNS0_19identity_decomposerEEEEE10hipError_tT0_T1_T2_jT3_P12ihipStream_tbPNSt15iterator_traitsISK_E10value_typeEPNSQ_ISL_E10value_typeEPSM_NS1_7vsmem_tEENKUlT_SK_SL_SM_E_clISE_PiSF_SF_EESJ_SZ_SK_SL_SM_EUlSZ_E_NS1_11comp_targetILNS1_3genE4ELNS1_11target_archE910ELNS1_3gpuE8ELNS1_3repE0EEENS1_48merge_mergepath_partition_config_static_selectorELNS0_4arch9wavefront6targetE1EEEvSL_
		.amdhsa_group_segment_fixed_size 0
		.amdhsa_private_segment_fixed_size 0
		.amdhsa_kernarg_size 40
		.amdhsa_user_sgpr_count 6
		.amdhsa_user_sgpr_private_segment_buffer 1
		.amdhsa_user_sgpr_dispatch_ptr 0
		.amdhsa_user_sgpr_queue_ptr 0
		.amdhsa_user_sgpr_kernarg_segment_ptr 1
		.amdhsa_user_sgpr_dispatch_id 0
		.amdhsa_user_sgpr_flat_scratch_init 0
		.amdhsa_user_sgpr_kernarg_preload_length 0
		.amdhsa_user_sgpr_kernarg_preload_offset 0
		.amdhsa_user_sgpr_private_segment_size 0
		.amdhsa_uses_dynamic_stack 0
		.amdhsa_system_sgpr_private_segment_wavefront_offset 0
		.amdhsa_system_sgpr_workgroup_id_x 1
		.amdhsa_system_sgpr_workgroup_id_y 0
		.amdhsa_system_sgpr_workgroup_id_z 0
		.amdhsa_system_sgpr_workgroup_info 0
		.amdhsa_system_vgpr_workitem_id 0
		.amdhsa_next_free_vgpr 17
		.amdhsa_next_free_sgpr 10
		.amdhsa_accum_offset 20
		.amdhsa_reserve_vcc 1
		.amdhsa_reserve_flat_scratch 0
		.amdhsa_float_round_mode_32 0
		.amdhsa_float_round_mode_16_64 0
		.amdhsa_float_denorm_mode_32 3
		.amdhsa_float_denorm_mode_16_64 3
		.amdhsa_dx10_clamp 1
		.amdhsa_ieee_mode 1
		.amdhsa_fp16_overflow 0
		.amdhsa_tg_split 0
		.amdhsa_exception_fp_ieee_invalid_op 0
		.amdhsa_exception_fp_denorm_src 0
		.amdhsa_exception_fp_ieee_div_zero 0
		.amdhsa_exception_fp_ieee_overflow 0
		.amdhsa_exception_fp_ieee_underflow 0
		.amdhsa_exception_fp_ieee_inexact 0
		.amdhsa_exception_int_div_zero 0
	.end_amdhsa_kernel
	.section	.text._ZN7rocprim17ROCPRIM_400000_NS6detail17trampoline_kernelINS0_14default_configENS1_38merge_sort_block_merge_config_selectorIiNS0_10empty_typeEEEZZNS1_27merge_sort_block_merge_implIS3_N6thrust23THRUST_200600_302600_NS6detail15normal_iteratorINS9_10device_ptrIiEEEEPS5_jNS1_19radix_merge_compareILb0ELb1EiNS0_19identity_decomposerEEEEE10hipError_tT0_T1_T2_jT3_P12ihipStream_tbPNSt15iterator_traitsISK_E10value_typeEPNSQ_ISL_E10value_typeEPSM_NS1_7vsmem_tEENKUlT_SK_SL_SM_E_clISE_PiSF_SF_EESJ_SZ_SK_SL_SM_EUlSZ_E_NS1_11comp_targetILNS1_3genE4ELNS1_11target_archE910ELNS1_3gpuE8ELNS1_3repE0EEENS1_48merge_mergepath_partition_config_static_selectorELNS0_4arch9wavefront6targetE1EEEvSL_,"axG",@progbits,_ZN7rocprim17ROCPRIM_400000_NS6detail17trampoline_kernelINS0_14default_configENS1_38merge_sort_block_merge_config_selectorIiNS0_10empty_typeEEEZZNS1_27merge_sort_block_merge_implIS3_N6thrust23THRUST_200600_302600_NS6detail15normal_iteratorINS9_10device_ptrIiEEEEPS5_jNS1_19radix_merge_compareILb0ELb1EiNS0_19identity_decomposerEEEEE10hipError_tT0_T1_T2_jT3_P12ihipStream_tbPNSt15iterator_traitsISK_E10value_typeEPNSQ_ISL_E10value_typeEPSM_NS1_7vsmem_tEENKUlT_SK_SL_SM_E_clISE_PiSF_SF_EESJ_SZ_SK_SL_SM_EUlSZ_E_NS1_11comp_targetILNS1_3genE4ELNS1_11target_archE910ELNS1_3gpuE8ELNS1_3repE0EEENS1_48merge_mergepath_partition_config_static_selectorELNS0_4arch9wavefront6targetE1EEEvSL_,comdat
.Lfunc_end1698:
	.size	_ZN7rocprim17ROCPRIM_400000_NS6detail17trampoline_kernelINS0_14default_configENS1_38merge_sort_block_merge_config_selectorIiNS0_10empty_typeEEEZZNS1_27merge_sort_block_merge_implIS3_N6thrust23THRUST_200600_302600_NS6detail15normal_iteratorINS9_10device_ptrIiEEEEPS5_jNS1_19radix_merge_compareILb0ELb1EiNS0_19identity_decomposerEEEEE10hipError_tT0_T1_T2_jT3_P12ihipStream_tbPNSt15iterator_traitsISK_E10value_typeEPNSQ_ISL_E10value_typeEPSM_NS1_7vsmem_tEENKUlT_SK_SL_SM_E_clISE_PiSF_SF_EESJ_SZ_SK_SL_SM_EUlSZ_E_NS1_11comp_targetILNS1_3genE4ELNS1_11target_archE910ELNS1_3gpuE8ELNS1_3repE0EEENS1_48merge_mergepath_partition_config_static_selectorELNS0_4arch9wavefront6targetE1EEEvSL_, .Lfunc_end1698-_ZN7rocprim17ROCPRIM_400000_NS6detail17trampoline_kernelINS0_14default_configENS1_38merge_sort_block_merge_config_selectorIiNS0_10empty_typeEEEZZNS1_27merge_sort_block_merge_implIS3_N6thrust23THRUST_200600_302600_NS6detail15normal_iteratorINS9_10device_ptrIiEEEEPS5_jNS1_19radix_merge_compareILb0ELb1EiNS0_19identity_decomposerEEEEE10hipError_tT0_T1_T2_jT3_P12ihipStream_tbPNSt15iterator_traitsISK_E10value_typeEPNSQ_ISL_E10value_typeEPSM_NS1_7vsmem_tEENKUlT_SK_SL_SM_E_clISE_PiSF_SF_EESJ_SZ_SK_SL_SM_EUlSZ_E_NS1_11comp_targetILNS1_3genE4ELNS1_11target_archE910ELNS1_3gpuE8ELNS1_3repE0EEENS1_48merge_mergepath_partition_config_static_selectorELNS0_4arch9wavefront6targetE1EEEvSL_
                                        ; -- End function
	.section	.AMDGPU.csdata,"",@progbits
; Kernel info:
; codeLenInByte = 376
; NumSgprs: 14
; NumVgprs: 17
; NumAgprs: 0
; TotalNumVgprs: 17
; ScratchSize: 0
; MemoryBound: 0
; FloatMode: 240
; IeeeMode: 1
; LDSByteSize: 0 bytes/workgroup (compile time only)
; SGPRBlocks: 1
; VGPRBlocks: 2
; NumSGPRsForWavesPerEU: 14
; NumVGPRsForWavesPerEU: 17
; AccumOffset: 20
; Occupancy: 8
; WaveLimiterHint : 0
; COMPUTE_PGM_RSRC2:SCRATCH_EN: 0
; COMPUTE_PGM_RSRC2:USER_SGPR: 6
; COMPUTE_PGM_RSRC2:TRAP_HANDLER: 0
; COMPUTE_PGM_RSRC2:TGID_X_EN: 1
; COMPUTE_PGM_RSRC2:TGID_Y_EN: 0
; COMPUTE_PGM_RSRC2:TGID_Z_EN: 0
; COMPUTE_PGM_RSRC2:TIDIG_COMP_CNT: 0
; COMPUTE_PGM_RSRC3_GFX90A:ACCUM_OFFSET: 4
; COMPUTE_PGM_RSRC3_GFX90A:TG_SPLIT: 0
	.section	.text._ZN7rocprim17ROCPRIM_400000_NS6detail17trampoline_kernelINS0_14default_configENS1_38merge_sort_block_merge_config_selectorIiNS0_10empty_typeEEEZZNS1_27merge_sort_block_merge_implIS3_N6thrust23THRUST_200600_302600_NS6detail15normal_iteratorINS9_10device_ptrIiEEEEPS5_jNS1_19radix_merge_compareILb0ELb1EiNS0_19identity_decomposerEEEEE10hipError_tT0_T1_T2_jT3_P12ihipStream_tbPNSt15iterator_traitsISK_E10value_typeEPNSQ_ISL_E10value_typeEPSM_NS1_7vsmem_tEENKUlT_SK_SL_SM_E_clISE_PiSF_SF_EESJ_SZ_SK_SL_SM_EUlSZ_E_NS1_11comp_targetILNS1_3genE3ELNS1_11target_archE908ELNS1_3gpuE7ELNS1_3repE0EEENS1_48merge_mergepath_partition_config_static_selectorELNS0_4arch9wavefront6targetE1EEEvSL_,"axG",@progbits,_ZN7rocprim17ROCPRIM_400000_NS6detail17trampoline_kernelINS0_14default_configENS1_38merge_sort_block_merge_config_selectorIiNS0_10empty_typeEEEZZNS1_27merge_sort_block_merge_implIS3_N6thrust23THRUST_200600_302600_NS6detail15normal_iteratorINS9_10device_ptrIiEEEEPS5_jNS1_19radix_merge_compareILb0ELb1EiNS0_19identity_decomposerEEEEE10hipError_tT0_T1_T2_jT3_P12ihipStream_tbPNSt15iterator_traitsISK_E10value_typeEPNSQ_ISL_E10value_typeEPSM_NS1_7vsmem_tEENKUlT_SK_SL_SM_E_clISE_PiSF_SF_EESJ_SZ_SK_SL_SM_EUlSZ_E_NS1_11comp_targetILNS1_3genE3ELNS1_11target_archE908ELNS1_3gpuE7ELNS1_3repE0EEENS1_48merge_mergepath_partition_config_static_selectorELNS0_4arch9wavefront6targetE1EEEvSL_,comdat
	.protected	_ZN7rocprim17ROCPRIM_400000_NS6detail17trampoline_kernelINS0_14default_configENS1_38merge_sort_block_merge_config_selectorIiNS0_10empty_typeEEEZZNS1_27merge_sort_block_merge_implIS3_N6thrust23THRUST_200600_302600_NS6detail15normal_iteratorINS9_10device_ptrIiEEEEPS5_jNS1_19radix_merge_compareILb0ELb1EiNS0_19identity_decomposerEEEEE10hipError_tT0_T1_T2_jT3_P12ihipStream_tbPNSt15iterator_traitsISK_E10value_typeEPNSQ_ISL_E10value_typeEPSM_NS1_7vsmem_tEENKUlT_SK_SL_SM_E_clISE_PiSF_SF_EESJ_SZ_SK_SL_SM_EUlSZ_E_NS1_11comp_targetILNS1_3genE3ELNS1_11target_archE908ELNS1_3gpuE7ELNS1_3repE0EEENS1_48merge_mergepath_partition_config_static_selectorELNS0_4arch9wavefront6targetE1EEEvSL_ ; -- Begin function _ZN7rocprim17ROCPRIM_400000_NS6detail17trampoline_kernelINS0_14default_configENS1_38merge_sort_block_merge_config_selectorIiNS0_10empty_typeEEEZZNS1_27merge_sort_block_merge_implIS3_N6thrust23THRUST_200600_302600_NS6detail15normal_iteratorINS9_10device_ptrIiEEEEPS5_jNS1_19radix_merge_compareILb0ELb1EiNS0_19identity_decomposerEEEEE10hipError_tT0_T1_T2_jT3_P12ihipStream_tbPNSt15iterator_traitsISK_E10value_typeEPNSQ_ISL_E10value_typeEPSM_NS1_7vsmem_tEENKUlT_SK_SL_SM_E_clISE_PiSF_SF_EESJ_SZ_SK_SL_SM_EUlSZ_E_NS1_11comp_targetILNS1_3genE3ELNS1_11target_archE908ELNS1_3gpuE7ELNS1_3repE0EEENS1_48merge_mergepath_partition_config_static_selectorELNS0_4arch9wavefront6targetE1EEEvSL_
	.globl	_ZN7rocprim17ROCPRIM_400000_NS6detail17trampoline_kernelINS0_14default_configENS1_38merge_sort_block_merge_config_selectorIiNS0_10empty_typeEEEZZNS1_27merge_sort_block_merge_implIS3_N6thrust23THRUST_200600_302600_NS6detail15normal_iteratorINS9_10device_ptrIiEEEEPS5_jNS1_19radix_merge_compareILb0ELb1EiNS0_19identity_decomposerEEEEE10hipError_tT0_T1_T2_jT3_P12ihipStream_tbPNSt15iterator_traitsISK_E10value_typeEPNSQ_ISL_E10value_typeEPSM_NS1_7vsmem_tEENKUlT_SK_SL_SM_E_clISE_PiSF_SF_EESJ_SZ_SK_SL_SM_EUlSZ_E_NS1_11comp_targetILNS1_3genE3ELNS1_11target_archE908ELNS1_3gpuE7ELNS1_3repE0EEENS1_48merge_mergepath_partition_config_static_selectorELNS0_4arch9wavefront6targetE1EEEvSL_
	.p2align	8
	.type	_ZN7rocprim17ROCPRIM_400000_NS6detail17trampoline_kernelINS0_14default_configENS1_38merge_sort_block_merge_config_selectorIiNS0_10empty_typeEEEZZNS1_27merge_sort_block_merge_implIS3_N6thrust23THRUST_200600_302600_NS6detail15normal_iteratorINS9_10device_ptrIiEEEEPS5_jNS1_19radix_merge_compareILb0ELb1EiNS0_19identity_decomposerEEEEE10hipError_tT0_T1_T2_jT3_P12ihipStream_tbPNSt15iterator_traitsISK_E10value_typeEPNSQ_ISL_E10value_typeEPSM_NS1_7vsmem_tEENKUlT_SK_SL_SM_E_clISE_PiSF_SF_EESJ_SZ_SK_SL_SM_EUlSZ_E_NS1_11comp_targetILNS1_3genE3ELNS1_11target_archE908ELNS1_3gpuE7ELNS1_3repE0EEENS1_48merge_mergepath_partition_config_static_selectorELNS0_4arch9wavefront6targetE1EEEvSL_,@function
_ZN7rocprim17ROCPRIM_400000_NS6detail17trampoline_kernelINS0_14default_configENS1_38merge_sort_block_merge_config_selectorIiNS0_10empty_typeEEEZZNS1_27merge_sort_block_merge_implIS3_N6thrust23THRUST_200600_302600_NS6detail15normal_iteratorINS9_10device_ptrIiEEEEPS5_jNS1_19radix_merge_compareILb0ELb1EiNS0_19identity_decomposerEEEEE10hipError_tT0_T1_T2_jT3_P12ihipStream_tbPNSt15iterator_traitsISK_E10value_typeEPNSQ_ISL_E10value_typeEPSM_NS1_7vsmem_tEENKUlT_SK_SL_SM_E_clISE_PiSF_SF_EESJ_SZ_SK_SL_SM_EUlSZ_E_NS1_11comp_targetILNS1_3genE3ELNS1_11target_archE908ELNS1_3gpuE7ELNS1_3repE0EEENS1_48merge_mergepath_partition_config_static_selectorELNS0_4arch9wavefront6targetE1EEEvSL_: ; @_ZN7rocprim17ROCPRIM_400000_NS6detail17trampoline_kernelINS0_14default_configENS1_38merge_sort_block_merge_config_selectorIiNS0_10empty_typeEEEZZNS1_27merge_sort_block_merge_implIS3_N6thrust23THRUST_200600_302600_NS6detail15normal_iteratorINS9_10device_ptrIiEEEEPS5_jNS1_19radix_merge_compareILb0ELb1EiNS0_19identity_decomposerEEEEE10hipError_tT0_T1_T2_jT3_P12ihipStream_tbPNSt15iterator_traitsISK_E10value_typeEPNSQ_ISL_E10value_typeEPSM_NS1_7vsmem_tEENKUlT_SK_SL_SM_E_clISE_PiSF_SF_EESJ_SZ_SK_SL_SM_EUlSZ_E_NS1_11comp_targetILNS1_3genE3ELNS1_11target_archE908ELNS1_3gpuE7ELNS1_3repE0EEENS1_48merge_mergepath_partition_config_static_selectorELNS0_4arch9wavefront6targetE1EEEvSL_
; %bb.0:
	.section	.rodata,"a",@progbits
	.p2align	6, 0x0
	.amdhsa_kernel _ZN7rocprim17ROCPRIM_400000_NS6detail17trampoline_kernelINS0_14default_configENS1_38merge_sort_block_merge_config_selectorIiNS0_10empty_typeEEEZZNS1_27merge_sort_block_merge_implIS3_N6thrust23THRUST_200600_302600_NS6detail15normal_iteratorINS9_10device_ptrIiEEEEPS5_jNS1_19radix_merge_compareILb0ELb1EiNS0_19identity_decomposerEEEEE10hipError_tT0_T1_T2_jT3_P12ihipStream_tbPNSt15iterator_traitsISK_E10value_typeEPNSQ_ISL_E10value_typeEPSM_NS1_7vsmem_tEENKUlT_SK_SL_SM_E_clISE_PiSF_SF_EESJ_SZ_SK_SL_SM_EUlSZ_E_NS1_11comp_targetILNS1_3genE3ELNS1_11target_archE908ELNS1_3gpuE7ELNS1_3repE0EEENS1_48merge_mergepath_partition_config_static_selectorELNS0_4arch9wavefront6targetE1EEEvSL_
		.amdhsa_group_segment_fixed_size 0
		.amdhsa_private_segment_fixed_size 0
		.amdhsa_kernarg_size 40
		.amdhsa_user_sgpr_count 6
		.amdhsa_user_sgpr_private_segment_buffer 1
		.amdhsa_user_sgpr_dispatch_ptr 0
		.amdhsa_user_sgpr_queue_ptr 0
		.amdhsa_user_sgpr_kernarg_segment_ptr 1
		.amdhsa_user_sgpr_dispatch_id 0
		.amdhsa_user_sgpr_flat_scratch_init 0
		.amdhsa_user_sgpr_kernarg_preload_length 0
		.amdhsa_user_sgpr_kernarg_preload_offset 0
		.amdhsa_user_sgpr_private_segment_size 0
		.amdhsa_uses_dynamic_stack 0
		.amdhsa_system_sgpr_private_segment_wavefront_offset 0
		.amdhsa_system_sgpr_workgroup_id_x 1
		.amdhsa_system_sgpr_workgroup_id_y 0
		.amdhsa_system_sgpr_workgroup_id_z 0
		.amdhsa_system_sgpr_workgroup_info 0
		.amdhsa_system_vgpr_workitem_id 0
		.amdhsa_next_free_vgpr 1
		.amdhsa_next_free_sgpr 0
		.amdhsa_accum_offset 4
		.amdhsa_reserve_vcc 0
		.amdhsa_reserve_flat_scratch 0
		.amdhsa_float_round_mode_32 0
		.amdhsa_float_round_mode_16_64 0
		.amdhsa_float_denorm_mode_32 3
		.amdhsa_float_denorm_mode_16_64 3
		.amdhsa_dx10_clamp 1
		.amdhsa_ieee_mode 1
		.amdhsa_fp16_overflow 0
		.amdhsa_tg_split 0
		.amdhsa_exception_fp_ieee_invalid_op 0
		.amdhsa_exception_fp_denorm_src 0
		.amdhsa_exception_fp_ieee_div_zero 0
		.amdhsa_exception_fp_ieee_overflow 0
		.amdhsa_exception_fp_ieee_underflow 0
		.amdhsa_exception_fp_ieee_inexact 0
		.amdhsa_exception_int_div_zero 0
	.end_amdhsa_kernel
	.section	.text._ZN7rocprim17ROCPRIM_400000_NS6detail17trampoline_kernelINS0_14default_configENS1_38merge_sort_block_merge_config_selectorIiNS0_10empty_typeEEEZZNS1_27merge_sort_block_merge_implIS3_N6thrust23THRUST_200600_302600_NS6detail15normal_iteratorINS9_10device_ptrIiEEEEPS5_jNS1_19radix_merge_compareILb0ELb1EiNS0_19identity_decomposerEEEEE10hipError_tT0_T1_T2_jT3_P12ihipStream_tbPNSt15iterator_traitsISK_E10value_typeEPNSQ_ISL_E10value_typeEPSM_NS1_7vsmem_tEENKUlT_SK_SL_SM_E_clISE_PiSF_SF_EESJ_SZ_SK_SL_SM_EUlSZ_E_NS1_11comp_targetILNS1_3genE3ELNS1_11target_archE908ELNS1_3gpuE7ELNS1_3repE0EEENS1_48merge_mergepath_partition_config_static_selectorELNS0_4arch9wavefront6targetE1EEEvSL_,"axG",@progbits,_ZN7rocprim17ROCPRIM_400000_NS6detail17trampoline_kernelINS0_14default_configENS1_38merge_sort_block_merge_config_selectorIiNS0_10empty_typeEEEZZNS1_27merge_sort_block_merge_implIS3_N6thrust23THRUST_200600_302600_NS6detail15normal_iteratorINS9_10device_ptrIiEEEEPS5_jNS1_19radix_merge_compareILb0ELb1EiNS0_19identity_decomposerEEEEE10hipError_tT0_T1_T2_jT3_P12ihipStream_tbPNSt15iterator_traitsISK_E10value_typeEPNSQ_ISL_E10value_typeEPSM_NS1_7vsmem_tEENKUlT_SK_SL_SM_E_clISE_PiSF_SF_EESJ_SZ_SK_SL_SM_EUlSZ_E_NS1_11comp_targetILNS1_3genE3ELNS1_11target_archE908ELNS1_3gpuE7ELNS1_3repE0EEENS1_48merge_mergepath_partition_config_static_selectorELNS0_4arch9wavefront6targetE1EEEvSL_,comdat
.Lfunc_end1699:
	.size	_ZN7rocprim17ROCPRIM_400000_NS6detail17trampoline_kernelINS0_14default_configENS1_38merge_sort_block_merge_config_selectorIiNS0_10empty_typeEEEZZNS1_27merge_sort_block_merge_implIS3_N6thrust23THRUST_200600_302600_NS6detail15normal_iteratorINS9_10device_ptrIiEEEEPS5_jNS1_19radix_merge_compareILb0ELb1EiNS0_19identity_decomposerEEEEE10hipError_tT0_T1_T2_jT3_P12ihipStream_tbPNSt15iterator_traitsISK_E10value_typeEPNSQ_ISL_E10value_typeEPSM_NS1_7vsmem_tEENKUlT_SK_SL_SM_E_clISE_PiSF_SF_EESJ_SZ_SK_SL_SM_EUlSZ_E_NS1_11comp_targetILNS1_3genE3ELNS1_11target_archE908ELNS1_3gpuE7ELNS1_3repE0EEENS1_48merge_mergepath_partition_config_static_selectorELNS0_4arch9wavefront6targetE1EEEvSL_, .Lfunc_end1699-_ZN7rocprim17ROCPRIM_400000_NS6detail17trampoline_kernelINS0_14default_configENS1_38merge_sort_block_merge_config_selectorIiNS0_10empty_typeEEEZZNS1_27merge_sort_block_merge_implIS3_N6thrust23THRUST_200600_302600_NS6detail15normal_iteratorINS9_10device_ptrIiEEEEPS5_jNS1_19radix_merge_compareILb0ELb1EiNS0_19identity_decomposerEEEEE10hipError_tT0_T1_T2_jT3_P12ihipStream_tbPNSt15iterator_traitsISK_E10value_typeEPNSQ_ISL_E10value_typeEPSM_NS1_7vsmem_tEENKUlT_SK_SL_SM_E_clISE_PiSF_SF_EESJ_SZ_SK_SL_SM_EUlSZ_E_NS1_11comp_targetILNS1_3genE3ELNS1_11target_archE908ELNS1_3gpuE7ELNS1_3repE0EEENS1_48merge_mergepath_partition_config_static_selectorELNS0_4arch9wavefront6targetE1EEEvSL_
                                        ; -- End function
	.section	.AMDGPU.csdata,"",@progbits
; Kernel info:
; codeLenInByte = 0
; NumSgprs: 4
; NumVgprs: 0
; NumAgprs: 0
; TotalNumVgprs: 0
; ScratchSize: 0
; MemoryBound: 0
; FloatMode: 240
; IeeeMode: 1
; LDSByteSize: 0 bytes/workgroup (compile time only)
; SGPRBlocks: 0
; VGPRBlocks: 0
; NumSGPRsForWavesPerEU: 4
; NumVGPRsForWavesPerEU: 1
; AccumOffset: 4
; Occupancy: 8
; WaveLimiterHint : 0
; COMPUTE_PGM_RSRC2:SCRATCH_EN: 0
; COMPUTE_PGM_RSRC2:USER_SGPR: 6
; COMPUTE_PGM_RSRC2:TRAP_HANDLER: 0
; COMPUTE_PGM_RSRC2:TGID_X_EN: 1
; COMPUTE_PGM_RSRC2:TGID_Y_EN: 0
; COMPUTE_PGM_RSRC2:TGID_Z_EN: 0
; COMPUTE_PGM_RSRC2:TIDIG_COMP_CNT: 0
; COMPUTE_PGM_RSRC3_GFX90A:ACCUM_OFFSET: 0
; COMPUTE_PGM_RSRC3_GFX90A:TG_SPLIT: 0
	.section	.text._ZN7rocprim17ROCPRIM_400000_NS6detail17trampoline_kernelINS0_14default_configENS1_38merge_sort_block_merge_config_selectorIiNS0_10empty_typeEEEZZNS1_27merge_sort_block_merge_implIS3_N6thrust23THRUST_200600_302600_NS6detail15normal_iteratorINS9_10device_ptrIiEEEEPS5_jNS1_19radix_merge_compareILb0ELb1EiNS0_19identity_decomposerEEEEE10hipError_tT0_T1_T2_jT3_P12ihipStream_tbPNSt15iterator_traitsISK_E10value_typeEPNSQ_ISL_E10value_typeEPSM_NS1_7vsmem_tEENKUlT_SK_SL_SM_E_clISE_PiSF_SF_EESJ_SZ_SK_SL_SM_EUlSZ_E_NS1_11comp_targetILNS1_3genE2ELNS1_11target_archE906ELNS1_3gpuE6ELNS1_3repE0EEENS1_48merge_mergepath_partition_config_static_selectorELNS0_4arch9wavefront6targetE1EEEvSL_,"axG",@progbits,_ZN7rocprim17ROCPRIM_400000_NS6detail17trampoline_kernelINS0_14default_configENS1_38merge_sort_block_merge_config_selectorIiNS0_10empty_typeEEEZZNS1_27merge_sort_block_merge_implIS3_N6thrust23THRUST_200600_302600_NS6detail15normal_iteratorINS9_10device_ptrIiEEEEPS5_jNS1_19radix_merge_compareILb0ELb1EiNS0_19identity_decomposerEEEEE10hipError_tT0_T1_T2_jT3_P12ihipStream_tbPNSt15iterator_traitsISK_E10value_typeEPNSQ_ISL_E10value_typeEPSM_NS1_7vsmem_tEENKUlT_SK_SL_SM_E_clISE_PiSF_SF_EESJ_SZ_SK_SL_SM_EUlSZ_E_NS1_11comp_targetILNS1_3genE2ELNS1_11target_archE906ELNS1_3gpuE6ELNS1_3repE0EEENS1_48merge_mergepath_partition_config_static_selectorELNS0_4arch9wavefront6targetE1EEEvSL_,comdat
	.protected	_ZN7rocprim17ROCPRIM_400000_NS6detail17trampoline_kernelINS0_14default_configENS1_38merge_sort_block_merge_config_selectorIiNS0_10empty_typeEEEZZNS1_27merge_sort_block_merge_implIS3_N6thrust23THRUST_200600_302600_NS6detail15normal_iteratorINS9_10device_ptrIiEEEEPS5_jNS1_19radix_merge_compareILb0ELb1EiNS0_19identity_decomposerEEEEE10hipError_tT0_T1_T2_jT3_P12ihipStream_tbPNSt15iterator_traitsISK_E10value_typeEPNSQ_ISL_E10value_typeEPSM_NS1_7vsmem_tEENKUlT_SK_SL_SM_E_clISE_PiSF_SF_EESJ_SZ_SK_SL_SM_EUlSZ_E_NS1_11comp_targetILNS1_3genE2ELNS1_11target_archE906ELNS1_3gpuE6ELNS1_3repE0EEENS1_48merge_mergepath_partition_config_static_selectorELNS0_4arch9wavefront6targetE1EEEvSL_ ; -- Begin function _ZN7rocprim17ROCPRIM_400000_NS6detail17trampoline_kernelINS0_14default_configENS1_38merge_sort_block_merge_config_selectorIiNS0_10empty_typeEEEZZNS1_27merge_sort_block_merge_implIS3_N6thrust23THRUST_200600_302600_NS6detail15normal_iteratorINS9_10device_ptrIiEEEEPS5_jNS1_19radix_merge_compareILb0ELb1EiNS0_19identity_decomposerEEEEE10hipError_tT0_T1_T2_jT3_P12ihipStream_tbPNSt15iterator_traitsISK_E10value_typeEPNSQ_ISL_E10value_typeEPSM_NS1_7vsmem_tEENKUlT_SK_SL_SM_E_clISE_PiSF_SF_EESJ_SZ_SK_SL_SM_EUlSZ_E_NS1_11comp_targetILNS1_3genE2ELNS1_11target_archE906ELNS1_3gpuE6ELNS1_3repE0EEENS1_48merge_mergepath_partition_config_static_selectorELNS0_4arch9wavefront6targetE1EEEvSL_
	.globl	_ZN7rocprim17ROCPRIM_400000_NS6detail17trampoline_kernelINS0_14default_configENS1_38merge_sort_block_merge_config_selectorIiNS0_10empty_typeEEEZZNS1_27merge_sort_block_merge_implIS3_N6thrust23THRUST_200600_302600_NS6detail15normal_iteratorINS9_10device_ptrIiEEEEPS5_jNS1_19radix_merge_compareILb0ELb1EiNS0_19identity_decomposerEEEEE10hipError_tT0_T1_T2_jT3_P12ihipStream_tbPNSt15iterator_traitsISK_E10value_typeEPNSQ_ISL_E10value_typeEPSM_NS1_7vsmem_tEENKUlT_SK_SL_SM_E_clISE_PiSF_SF_EESJ_SZ_SK_SL_SM_EUlSZ_E_NS1_11comp_targetILNS1_3genE2ELNS1_11target_archE906ELNS1_3gpuE6ELNS1_3repE0EEENS1_48merge_mergepath_partition_config_static_selectorELNS0_4arch9wavefront6targetE1EEEvSL_
	.p2align	8
	.type	_ZN7rocprim17ROCPRIM_400000_NS6detail17trampoline_kernelINS0_14default_configENS1_38merge_sort_block_merge_config_selectorIiNS0_10empty_typeEEEZZNS1_27merge_sort_block_merge_implIS3_N6thrust23THRUST_200600_302600_NS6detail15normal_iteratorINS9_10device_ptrIiEEEEPS5_jNS1_19radix_merge_compareILb0ELb1EiNS0_19identity_decomposerEEEEE10hipError_tT0_T1_T2_jT3_P12ihipStream_tbPNSt15iterator_traitsISK_E10value_typeEPNSQ_ISL_E10value_typeEPSM_NS1_7vsmem_tEENKUlT_SK_SL_SM_E_clISE_PiSF_SF_EESJ_SZ_SK_SL_SM_EUlSZ_E_NS1_11comp_targetILNS1_3genE2ELNS1_11target_archE906ELNS1_3gpuE6ELNS1_3repE0EEENS1_48merge_mergepath_partition_config_static_selectorELNS0_4arch9wavefront6targetE1EEEvSL_,@function
_ZN7rocprim17ROCPRIM_400000_NS6detail17trampoline_kernelINS0_14default_configENS1_38merge_sort_block_merge_config_selectorIiNS0_10empty_typeEEEZZNS1_27merge_sort_block_merge_implIS3_N6thrust23THRUST_200600_302600_NS6detail15normal_iteratorINS9_10device_ptrIiEEEEPS5_jNS1_19radix_merge_compareILb0ELb1EiNS0_19identity_decomposerEEEEE10hipError_tT0_T1_T2_jT3_P12ihipStream_tbPNSt15iterator_traitsISK_E10value_typeEPNSQ_ISL_E10value_typeEPSM_NS1_7vsmem_tEENKUlT_SK_SL_SM_E_clISE_PiSF_SF_EESJ_SZ_SK_SL_SM_EUlSZ_E_NS1_11comp_targetILNS1_3genE2ELNS1_11target_archE906ELNS1_3gpuE6ELNS1_3repE0EEENS1_48merge_mergepath_partition_config_static_selectorELNS0_4arch9wavefront6targetE1EEEvSL_: ; @_ZN7rocprim17ROCPRIM_400000_NS6detail17trampoline_kernelINS0_14default_configENS1_38merge_sort_block_merge_config_selectorIiNS0_10empty_typeEEEZZNS1_27merge_sort_block_merge_implIS3_N6thrust23THRUST_200600_302600_NS6detail15normal_iteratorINS9_10device_ptrIiEEEEPS5_jNS1_19radix_merge_compareILb0ELb1EiNS0_19identity_decomposerEEEEE10hipError_tT0_T1_T2_jT3_P12ihipStream_tbPNSt15iterator_traitsISK_E10value_typeEPNSQ_ISL_E10value_typeEPSM_NS1_7vsmem_tEENKUlT_SK_SL_SM_E_clISE_PiSF_SF_EESJ_SZ_SK_SL_SM_EUlSZ_E_NS1_11comp_targetILNS1_3genE2ELNS1_11target_archE906ELNS1_3gpuE6ELNS1_3repE0EEENS1_48merge_mergepath_partition_config_static_selectorELNS0_4arch9wavefront6targetE1EEEvSL_
; %bb.0:
	.section	.rodata,"a",@progbits
	.p2align	6, 0x0
	.amdhsa_kernel _ZN7rocprim17ROCPRIM_400000_NS6detail17trampoline_kernelINS0_14default_configENS1_38merge_sort_block_merge_config_selectorIiNS0_10empty_typeEEEZZNS1_27merge_sort_block_merge_implIS3_N6thrust23THRUST_200600_302600_NS6detail15normal_iteratorINS9_10device_ptrIiEEEEPS5_jNS1_19radix_merge_compareILb0ELb1EiNS0_19identity_decomposerEEEEE10hipError_tT0_T1_T2_jT3_P12ihipStream_tbPNSt15iterator_traitsISK_E10value_typeEPNSQ_ISL_E10value_typeEPSM_NS1_7vsmem_tEENKUlT_SK_SL_SM_E_clISE_PiSF_SF_EESJ_SZ_SK_SL_SM_EUlSZ_E_NS1_11comp_targetILNS1_3genE2ELNS1_11target_archE906ELNS1_3gpuE6ELNS1_3repE0EEENS1_48merge_mergepath_partition_config_static_selectorELNS0_4arch9wavefront6targetE1EEEvSL_
		.amdhsa_group_segment_fixed_size 0
		.amdhsa_private_segment_fixed_size 0
		.amdhsa_kernarg_size 40
		.amdhsa_user_sgpr_count 6
		.amdhsa_user_sgpr_private_segment_buffer 1
		.amdhsa_user_sgpr_dispatch_ptr 0
		.amdhsa_user_sgpr_queue_ptr 0
		.amdhsa_user_sgpr_kernarg_segment_ptr 1
		.amdhsa_user_sgpr_dispatch_id 0
		.amdhsa_user_sgpr_flat_scratch_init 0
		.amdhsa_user_sgpr_kernarg_preload_length 0
		.amdhsa_user_sgpr_kernarg_preload_offset 0
		.amdhsa_user_sgpr_private_segment_size 0
		.amdhsa_uses_dynamic_stack 0
		.amdhsa_system_sgpr_private_segment_wavefront_offset 0
		.amdhsa_system_sgpr_workgroup_id_x 1
		.amdhsa_system_sgpr_workgroup_id_y 0
		.amdhsa_system_sgpr_workgroup_id_z 0
		.amdhsa_system_sgpr_workgroup_info 0
		.amdhsa_system_vgpr_workitem_id 0
		.amdhsa_next_free_vgpr 1
		.amdhsa_next_free_sgpr 0
		.amdhsa_accum_offset 4
		.amdhsa_reserve_vcc 0
		.amdhsa_reserve_flat_scratch 0
		.amdhsa_float_round_mode_32 0
		.amdhsa_float_round_mode_16_64 0
		.amdhsa_float_denorm_mode_32 3
		.amdhsa_float_denorm_mode_16_64 3
		.amdhsa_dx10_clamp 1
		.amdhsa_ieee_mode 1
		.amdhsa_fp16_overflow 0
		.amdhsa_tg_split 0
		.amdhsa_exception_fp_ieee_invalid_op 0
		.amdhsa_exception_fp_denorm_src 0
		.amdhsa_exception_fp_ieee_div_zero 0
		.amdhsa_exception_fp_ieee_overflow 0
		.amdhsa_exception_fp_ieee_underflow 0
		.amdhsa_exception_fp_ieee_inexact 0
		.amdhsa_exception_int_div_zero 0
	.end_amdhsa_kernel
	.section	.text._ZN7rocprim17ROCPRIM_400000_NS6detail17trampoline_kernelINS0_14default_configENS1_38merge_sort_block_merge_config_selectorIiNS0_10empty_typeEEEZZNS1_27merge_sort_block_merge_implIS3_N6thrust23THRUST_200600_302600_NS6detail15normal_iteratorINS9_10device_ptrIiEEEEPS5_jNS1_19radix_merge_compareILb0ELb1EiNS0_19identity_decomposerEEEEE10hipError_tT0_T1_T2_jT3_P12ihipStream_tbPNSt15iterator_traitsISK_E10value_typeEPNSQ_ISL_E10value_typeEPSM_NS1_7vsmem_tEENKUlT_SK_SL_SM_E_clISE_PiSF_SF_EESJ_SZ_SK_SL_SM_EUlSZ_E_NS1_11comp_targetILNS1_3genE2ELNS1_11target_archE906ELNS1_3gpuE6ELNS1_3repE0EEENS1_48merge_mergepath_partition_config_static_selectorELNS0_4arch9wavefront6targetE1EEEvSL_,"axG",@progbits,_ZN7rocprim17ROCPRIM_400000_NS6detail17trampoline_kernelINS0_14default_configENS1_38merge_sort_block_merge_config_selectorIiNS0_10empty_typeEEEZZNS1_27merge_sort_block_merge_implIS3_N6thrust23THRUST_200600_302600_NS6detail15normal_iteratorINS9_10device_ptrIiEEEEPS5_jNS1_19radix_merge_compareILb0ELb1EiNS0_19identity_decomposerEEEEE10hipError_tT0_T1_T2_jT3_P12ihipStream_tbPNSt15iterator_traitsISK_E10value_typeEPNSQ_ISL_E10value_typeEPSM_NS1_7vsmem_tEENKUlT_SK_SL_SM_E_clISE_PiSF_SF_EESJ_SZ_SK_SL_SM_EUlSZ_E_NS1_11comp_targetILNS1_3genE2ELNS1_11target_archE906ELNS1_3gpuE6ELNS1_3repE0EEENS1_48merge_mergepath_partition_config_static_selectorELNS0_4arch9wavefront6targetE1EEEvSL_,comdat
.Lfunc_end1700:
	.size	_ZN7rocprim17ROCPRIM_400000_NS6detail17trampoline_kernelINS0_14default_configENS1_38merge_sort_block_merge_config_selectorIiNS0_10empty_typeEEEZZNS1_27merge_sort_block_merge_implIS3_N6thrust23THRUST_200600_302600_NS6detail15normal_iteratorINS9_10device_ptrIiEEEEPS5_jNS1_19radix_merge_compareILb0ELb1EiNS0_19identity_decomposerEEEEE10hipError_tT0_T1_T2_jT3_P12ihipStream_tbPNSt15iterator_traitsISK_E10value_typeEPNSQ_ISL_E10value_typeEPSM_NS1_7vsmem_tEENKUlT_SK_SL_SM_E_clISE_PiSF_SF_EESJ_SZ_SK_SL_SM_EUlSZ_E_NS1_11comp_targetILNS1_3genE2ELNS1_11target_archE906ELNS1_3gpuE6ELNS1_3repE0EEENS1_48merge_mergepath_partition_config_static_selectorELNS0_4arch9wavefront6targetE1EEEvSL_, .Lfunc_end1700-_ZN7rocprim17ROCPRIM_400000_NS6detail17trampoline_kernelINS0_14default_configENS1_38merge_sort_block_merge_config_selectorIiNS0_10empty_typeEEEZZNS1_27merge_sort_block_merge_implIS3_N6thrust23THRUST_200600_302600_NS6detail15normal_iteratorINS9_10device_ptrIiEEEEPS5_jNS1_19radix_merge_compareILb0ELb1EiNS0_19identity_decomposerEEEEE10hipError_tT0_T1_T2_jT3_P12ihipStream_tbPNSt15iterator_traitsISK_E10value_typeEPNSQ_ISL_E10value_typeEPSM_NS1_7vsmem_tEENKUlT_SK_SL_SM_E_clISE_PiSF_SF_EESJ_SZ_SK_SL_SM_EUlSZ_E_NS1_11comp_targetILNS1_3genE2ELNS1_11target_archE906ELNS1_3gpuE6ELNS1_3repE0EEENS1_48merge_mergepath_partition_config_static_selectorELNS0_4arch9wavefront6targetE1EEEvSL_
                                        ; -- End function
	.section	.AMDGPU.csdata,"",@progbits
; Kernel info:
; codeLenInByte = 0
; NumSgprs: 4
; NumVgprs: 0
; NumAgprs: 0
; TotalNumVgprs: 0
; ScratchSize: 0
; MemoryBound: 0
; FloatMode: 240
; IeeeMode: 1
; LDSByteSize: 0 bytes/workgroup (compile time only)
; SGPRBlocks: 0
; VGPRBlocks: 0
; NumSGPRsForWavesPerEU: 4
; NumVGPRsForWavesPerEU: 1
; AccumOffset: 4
; Occupancy: 8
; WaveLimiterHint : 0
; COMPUTE_PGM_RSRC2:SCRATCH_EN: 0
; COMPUTE_PGM_RSRC2:USER_SGPR: 6
; COMPUTE_PGM_RSRC2:TRAP_HANDLER: 0
; COMPUTE_PGM_RSRC2:TGID_X_EN: 1
; COMPUTE_PGM_RSRC2:TGID_Y_EN: 0
; COMPUTE_PGM_RSRC2:TGID_Z_EN: 0
; COMPUTE_PGM_RSRC2:TIDIG_COMP_CNT: 0
; COMPUTE_PGM_RSRC3_GFX90A:ACCUM_OFFSET: 0
; COMPUTE_PGM_RSRC3_GFX90A:TG_SPLIT: 0
	.section	.text._ZN7rocprim17ROCPRIM_400000_NS6detail17trampoline_kernelINS0_14default_configENS1_38merge_sort_block_merge_config_selectorIiNS0_10empty_typeEEEZZNS1_27merge_sort_block_merge_implIS3_N6thrust23THRUST_200600_302600_NS6detail15normal_iteratorINS9_10device_ptrIiEEEEPS5_jNS1_19radix_merge_compareILb0ELb1EiNS0_19identity_decomposerEEEEE10hipError_tT0_T1_T2_jT3_P12ihipStream_tbPNSt15iterator_traitsISK_E10value_typeEPNSQ_ISL_E10value_typeEPSM_NS1_7vsmem_tEENKUlT_SK_SL_SM_E_clISE_PiSF_SF_EESJ_SZ_SK_SL_SM_EUlSZ_E_NS1_11comp_targetILNS1_3genE9ELNS1_11target_archE1100ELNS1_3gpuE3ELNS1_3repE0EEENS1_48merge_mergepath_partition_config_static_selectorELNS0_4arch9wavefront6targetE1EEEvSL_,"axG",@progbits,_ZN7rocprim17ROCPRIM_400000_NS6detail17trampoline_kernelINS0_14default_configENS1_38merge_sort_block_merge_config_selectorIiNS0_10empty_typeEEEZZNS1_27merge_sort_block_merge_implIS3_N6thrust23THRUST_200600_302600_NS6detail15normal_iteratorINS9_10device_ptrIiEEEEPS5_jNS1_19radix_merge_compareILb0ELb1EiNS0_19identity_decomposerEEEEE10hipError_tT0_T1_T2_jT3_P12ihipStream_tbPNSt15iterator_traitsISK_E10value_typeEPNSQ_ISL_E10value_typeEPSM_NS1_7vsmem_tEENKUlT_SK_SL_SM_E_clISE_PiSF_SF_EESJ_SZ_SK_SL_SM_EUlSZ_E_NS1_11comp_targetILNS1_3genE9ELNS1_11target_archE1100ELNS1_3gpuE3ELNS1_3repE0EEENS1_48merge_mergepath_partition_config_static_selectorELNS0_4arch9wavefront6targetE1EEEvSL_,comdat
	.protected	_ZN7rocprim17ROCPRIM_400000_NS6detail17trampoline_kernelINS0_14default_configENS1_38merge_sort_block_merge_config_selectorIiNS0_10empty_typeEEEZZNS1_27merge_sort_block_merge_implIS3_N6thrust23THRUST_200600_302600_NS6detail15normal_iteratorINS9_10device_ptrIiEEEEPS5_jNS1_19radix_merge_compareILb0ELb1EiNS0_19identity_decomposerEEEEE10hipError_tT0_T1_T2_jT3_P12ihipStream_tbPNSt15iterator_traitsISK_E10value_typeEPNSQ_ISL_E10value_typeEPSM_NS1_7vsmem_tEENKUlT_SK_SL_SM_E_clISE_PiSF_SF_EESJ_SZ_SK_SL_SM_EUlSZ_E_NS1_11comp_targetILNS1_3genE9ELNS1_11target_archE1100ELNS1_3gpuE3ELNS1_3repE0EEENS1_48merge_mergepath_partition_config_static_selectorELNS0_4arch9wavefront6targetE1EEEvSL_ ; -- Begin function _ZN7rocprim17ROCPRIM_400000_NS6detail17trampoline_kernelINS0_14default_configENS1_38merge_sort_block_merge_config_selectorIiNS0_10empty_typeEEEZZNS1_27merge_sort_block_merge_implIS3_N6thrust23THRUST_200600_302600_NS6detail15normal_iteratorINS9_10device_ptrIiEEEEPS5_jNS1_19radix_merge_compareILb0ELb1EiNS0_19identity_decomposerEEEEE10hipError_tT0_T1_T2_jT3_P12ihipStream_tbPNSt15iterator_traitsISK_E10value_typeEPNSQ_ISL_E10value_typeEPSM_NS1_7vsmem_tEENKUlT_SK_SL_SM_E_clISE_PiSF_SF_EESJ_SZ_SK_SL_SM_EUlSZ_E_NS1_11comp_targetILNS1_3genE9ELNS1_11target_archE1100ELNS1_3gpuE3ELNS1_3repE0EEENS1_48merge_mergepath_partition_config_static_selectorELNS0_4arch9wavefront6targetE1EEEvSL_
	.globl	_ZN7rocprim17ROCPRIM_400000_NS6detail17trampoline_kernelINS0_14default_configENS1_38merge_sort_block_merge_config_selectorIiNS0_10empty_typeEEEZZNS1_27merge_sort_block_merge_implIS3_N6thrust23THRUST_200600_302600_NS6detail15normal_iteratorINS9_10device_ptrIiEEEEPS5_jNS1_19radix_merge_compareILb0ELb1EiNS0_19identity_decomposerEEEEE10hipError_tT0_T1_T2_jT3_P12ihipStream_tbPNSt15iterator_traitsISK_E10value_typeEPNSQ_ISL_E10value_typeEPSM_NS1_7vsmem_tEENKUlT_SK_SL_SM_E_clISE_PiSF_SF_EESJ_SZ_SK_SL_SM_EUlSZ_E_NS1_11comp_targetILNS1_3genE9ELNS1_11target_archE1100ELNS1_3gpuE3ELNS1_3repE0EEENS1_48merge_mergepath_partition_config_static_selectorELNS0_4arch9wavefront6targetE1EEEvSL_
	.p2align	8
	.type	_ZN7rocprim17ROCPRIM_400000_NS6detail17trampoline_kernelINS0_14default_configENS1_38merge_sort_block_merge_config_selectorIiNS0_10empty_typeEEEZZNS1_27merge_sort_block_merge_implIS3_N6thrust23THRUST_200600_302600_NS6detail15normal_iteratorINS9_10device_ptrIiEEEEPS5_jNS1_19radix_merge_compareILb0ELb1EiNS0_19identity_decomposerEEEEE10hipError_tT0_T1_T2_jT3_P12ihipStream_tbPNSt15iterator_traitsISK_E10value_typeEPNSQ_ISL_E10value_typeEPSM_NS1_7vsmem_tEENKUlT_SK_SL_SM_E_clISE_PiSF_SF_EESJ_SZ_SK_SL_SM_EUlSZ_E_NS1_11comp_targetILNS1_3genE9ELNS1_11target_archE1100ELNS1_3gpuE3ELNS1_3repE0EEENS1_48merge_mergepath_partition_config_static_selectorELNS0_4arch9wavefront6targetE1EEEvSL_,@function
_ZN7rocprim17ROCPRIM_400000_NS6detail17trampoline_kernelINS0_14default_configENS1_38merge_sort_block_merge_config_selectorIiNS0_10empty_typeEEEZZNS1_27merge_sort_block_merge_implIS3_N6thrust23THRUST_200600_302600_NS6detail15normal_iteratorINS9_10device_ptrIiEEEEPS5_jNS1_19radix_merge_compareILb0ELb1EiNS0_19identity_decomposerEEEEE10hipError_tT0_T1_T2_jT3_P12ihipStream_tbPNSt15iterator_traitsISK_E10value_typeEPNSQ_ISL_E10value_typeEPSM_NS1_7vsmem_tEENKUlT_SK_SL_SM_E_clISE_PiSF_SF_EESJ_SZ_SK_SL_SM_EUlSZ_E_NS1_11comp_targetILNS1_3genE9ELNS1_11target_archE1100ELNS1_3gpuE3ELNS1_3repE0EEENS1_48merge_mergepath_partition_config_static_selectorELNS0_4arch9wavefront6targetE1EEEvSL_: ; @_ZN7rocprim17ROCPRIM_400000_NS6detail17trampoline_kernelINS0_14default_configENS1_38merge_sort_block_merge_config_selectorIiNS0_10empty_typeEEEZZNS1_27merge_sort_block_merge_implIS3_N6thrust23THRUST_200600_302600_NS6detail15normal_iteratorINS9_10device_ptrIiEEEEPS5_jNS1_19radix_merge_compareILb0ELb1EiNS0_19identity_decomposerEEEEE10hipError_tT0_T1_T2_jT3_P12ihipStream_tbPNSt15iterator_traitsISK_E10value_typeEPNSQ_ISL_E10value_typeEPSM_NS1_7vsmem_tEENKUlT_SK_SL_SM_E_clISE_PiSF_SF_EESJ_SZ_SK_SL_SM_EUlSZ_E_NS1_11comp_targetILNS1_3genE9ELNS1_11target_archE1100ELNS1_3gpuE3ELNS1_3repE0EEENS1_48merge_mergepath_partition_config_static_selectorELNS0_4arch9wavefront6targetE1EEEvSL_
; %bb.0:
	.section	.rodata,"a",@progbits
	.p2align	6, 0x0
	.amdhsa_kernel _ZN7rocprim17ROCPRIM_400000_NS6detail17trampoline_kernelINS0_14default_configENS1_38merge_sort_block_merge_config_selectorIiNS0_10empty_typeEEEZZNS1_27merge_sort_block_merge_implIS3_N6thrust23THRUST_200600_302600_NS6detail15normal_iteratorINS9_10device_ptrIiEEEEPS5_jNS1_19radix_merge_compareILb0ELb1EiNS0_19identity_decomposerEEEEE10hipError_tT0_T1_T2_jT3_P12ihipStream_tbPNSt15iterator_traitsISK_E10value_typeEPNSQ_ISL_E10value_typeEPSM_NS1_7vsmem_tEENKUlT_SK_SL_SM_E_clISE_PiSF_SF_EESJ_SZ_SK_SL_SM_EUlSZ_E_NS1_11comp_targetILNS1_3genE9ELNS1_11target_archE1100ELNS1_3gpuE3ELNS1_3repE0EEENS1_48merge_mergepath_partition_config_static_selectorELNS0_4arch9wavefront6targetE1EEEvSL_
		.amdhsa_group_segment_fixed_size 0
		.amdhsa_private_segment_fixed_size 0
		.amdhsa_kernarg_size 40
		.amdhsa_user_sgpr_count 6
		.amdhsa_user_sgpr_private_segment_buffer 1
		.amdhsa_user_sgpr_dispatch_ptr 0
		.amdhsa_user_sgpr_queue_ptr 0
		.amdhsa_user_sgpr_kernarg_segment_ptr 1
		.amdhsa_user_sgpr_dispatch_id 0
		.amdhsa_user_sgpr_flat_scratch_init 0
		.amdhsa_user_sgpr_kernarg_preload_length 0
		.amdhsa_user_sgpr_kernarg_preload_offset 0
		.amdhsa_user_sgpr_private_segment_size 0
		.amdhsa_uses_dynamic_stack 0
		.amdhsa_system_sgpr_private_segment_wavefront_offset 0
		.amdhsa_system_sgpr_workgroup_id_x 1
		.amdhsa_system_sgpr_workgroup_id_y 0
		.amdhsa_system_sgpr_workgroup_id_z 0
		.amdhsa_system_sgpr_workgroup_info 0
		.amdhsa_system_vgpr_workitem_id 0
		.amdhsa_next_free_vgpr 1
		.amdhsa_next_free_sgpr 0
		.amdhsa_accum_offset 4
		.amdhsa_reserve_vcc 0
		.amdhsa_reserve_flat_scratch 0
		.amdhsa_float_round_mode_32 0
		.amdhsa_float_round_mode_16_64 0
		.amdhsa_float_denorm_mode_32 3
		.amdhsa_float_denorm_mode_16_64 3
		.amdhsa_dx10_clamp 1
		.amdhsa_ieee_mode 1
		.amdhsa_fp16_overflow 0
		.amdhsa_tg_split 0
		.amdhsa_exception_fp_ieee_invalid_op 0
		.amdhsa_exception_fp_denorm_src 0
		.amdhsa_exception_fp_ieee_div_zero 0
		.amdhsa_exception_fp_ieee_overflow 0
		.amdhsa_exception_fp_ieee_underflow 0
		.amdhsa_exception_fp_ieee_inexact 0
		.amdhsa_exception_int_div_zero 0
	.end_amdhsa_kernel
	.section	.text._ZN7rocprim17ROCPRIM_400000_NS6detail17trampoline_kernelINS0_14default_configENS1_38merge_sort_block_merge_config_selectorIiNS0_10empty_typeEEEZZNS1_27merge_sort_block_merge_implIS3_N6thrust23THRUST_200600_302600_NS6detail15normal_iteratorINS9_10device_ptrIiEEEEPS5_jNS1_19radix_merge_compareILb0ELb1EiNS0_19identity_decomposerEEEEE10hipError_tT0_T1_T2_jT3_P12ihipStream_tbPNSt15iterator_traitsISK_E10value_typeEPNSQ_ISL_E10value_typeEPSM_NS1_7vsmem_tEENKUlT_SK_SL_SM_E_clISE_PiSF_SF_EESJ_SZ_SK_SL_SM_EUlSZ_E_NS1_11comp_targetILNS1_3genE9ELNS1_11target_archE1100ELNS1_3gpuE3ELNS1_3repE0EEENS1_48merge_mergepath_partition_config_static_selectorELNS0_4arch9wavefront6targetE1EEEvSL_,"axG",@progbits,_ZN7rocprim17ROCPRIM_400000_NS6detail17trampoline_kernelINS0_14default_configENS1_38merge_sort_block_merge_config_selectorIiNS0_10empty_typeEEEZZNS1_27merge_sort_block_merge_implIS3_N6thrust23THRUST_200600_302600_NS6detail15normal_iteratorINS9_10device_ptrIiEEEEPS5_jNS1_19radix_merge_compareILb0ELb1EiNS0_19identity_decomposerEEEEE10hipError_tT0_T1_T2_jT3_P12ihipStream_tbPNSt15iterator_traitsISK_E10value_typeEPNSQ_ISL_E10value_typeEPSM_NS1_7vsmem_tEENKUlT_SK_SL_SM_E_clISE_PiSF_SF_EESJ_SZ_SK_SL_SM_EUlSZ_E_NS1_11comp_targetILNS1_3genE9ELNS1_11target_archE1100ELNS1_3gpuE3ELNS1_3repE0EEENS1_48merge_mergepath_partition_config_static_selectorELNS0_4arch9wavefront6targetE1EEEvSL_,comdat
.Lfunc_end1701:
	.size	_ZN7rocprim17ROCPRIM_400000_NS6detail17trampoline_kernelINS0_14default_configENS1_38merge_sort_block_merge_config_selectorIiNS0_10empty_typeEEEZZNS1_27merge_sort_block_merge_implIS3_N6thrust23THRUST_200600_302600_NS6detail15normal_iteratorINS9_10device_ptrIiEEEEPS5_jNS1_19radix_merge_compareILb0ELb1EiNS0_19identity_decomposerEEEEE10hipError_tT0_T1_T2_jT3_P12ihipStream_tbPNSt15iterator_traitsISK_E10value_typeEPNSQ_ISL_E10value_typeEPSM_NS1_7vsmem_tEENKUlT_SK_SL_SM_E_clISE_PiSF_SF_EESJ_SZ_SK_SL_SM_EUlSZ_E_NS1_11comp_targetILNS1_3genE9ELNS1_11target_archE1100ELNS1_3gpuE3ELNS1_3repE0EEENS1_48merge_mergepath_partition_config_static_selectorELNS0_4arch9wavefront6targetE1EEEvSL_, .Lfunc_end1701-_ZN7rocprim17ROCPRIM_400000_NS6detail17trampoline_kernelINS0_14default_configENS1_38merge_sort_block_merge_config_selectorIiNS0_10empty_typeEEEZZNS1_27merge_sort_block_merge_implIS3_N6thrust23THRUST_200600_302600_NS6detail15normal_iteratorINS9_10device_ptrIiEEEEPS5_jNS1_19radix_merge_compareILb0ELb1EiNS0_19identity_decomposerEEEEE10hipError_tT0_T1_T2_jT3_P12ihipStream_tbPNSt15iterator_traitsISK_E10value_typeEPNSQ_ISL_E10value_typeEPSM_NS1_7vsmem_tEENKUlT_SK_SL_SM_E_clISE_PiSF_SF_EESJ_SZ_SK_SL_SM_EUlSZ_E_NS1_11comp_targetILNS1_3genE9ELNS1_11target_archE1100ELNS1_3gpuE3ELNS1_3repE0EEENS1_48merge_mergepath_partition_config_static_selectorELNS0_4arch9wavefront6targetE1EEEvSL_
                                        ; -- End function
	.section	.AMDGPU.csdata,"",@progbits
; Kernel info:
; codeLenInByte = 0
; NumSgprs: 4
; NumVgprs: 0
; NumAgprs: 0
; TotalNumVgprs: 0
; ScratchSize: 0
; MemoryBound: 0
; FloatMode: 240
; IeeeMode: 1
; LDSByteSize: 0 bytes/workgroup (compile time only)
; SGPRBlocks: 0
; VGPRBlocks: 0
; NumSGPRsForWavesPerEU: 4
; NumVGPRsForWavesPerEU: 1
; AccumOffset: 4
; Occupancy: 8
; WaveLimiterHint : 0
; COMPUTE_PGM_RSRC2:SCRATCH_EN: 0
; COMPUTE_PGM_RSRC2:USER_SGPR: 6
; COMPUTE_PGM_RSRC2:TRAP_HANDLER: 0
; COMPUTE_PGM_RSRC2:TGID_X_EN: 1
; COMPUTE_PGM_RSRC2:TGID_Y_EN: 0
; COMPUTE_PGM_RSRC2:TGID_Z_EN: 0
; COMPUTE_PGM_RSRC2:TIDIG_COMP_CNT: 0
; COMPUTE_PGM_RSRC3_GFX90A:ACCUM_OFFSET: 0
; COMPUTE_PGM_RSRC3_GFX90A:TG_SPLIT: 0
	.section	.text._ZN7rocprim17ROCPRIM_400000_NS6detail17trampoline_kernelINS0_14default_configENS1_38merge_sort_block_merge_config_selectorIiNS0_10empty_typeEEEZZNS1_27merge_sort_block_merge_implIS3_N6thrust23THRUST_200600_302600_NS6detail15normal_iteratorINS9_10device_ptrIiEEEEPS5_jNS1_19radix_merge_compareILb0ELb1EiNS0_19identity_decomposerEEEEE10hipError_tT0_T1_T2_jT3_P12ihipStream_tbPNSt15iterator_traitsISK_E10value_typeEPNSQ_ISL_E10value_typeEPSM_NS1_7vsmem_tEENKUlT_SK_SL_SM_E_clISE_PiSF_SF_EESJ_SZ_SK_SL_SM_EUlSZ_E_NS1_11comp_targetILNS1_3genE8ELNS1_11target_archE1030ELNS1_3gpuE2ELNS1_3repE0EEENS1_48merge_mergepath_partition_config_static_selectorELNS0_4arch9wavefront6targetE1EEEvSL_,"axG",@progbits,_ZN7rocprim17ROCPRIM_400000_NS6detail17trampoline_kernelINS0_14default_configENS1_38merge_sort_block_merge_config_selectorIiNS0_10empty_typeEEEZZNS1_27merge_sort_block_merge_implIS3_N6thrust23THRUST_200600_302600_NS6detail15normal_iteratorINS9_10device_ptrIiEEEEPS5_jNS1_19radix_merge_compareILb0ELb1EiNS0_19identity_decomposerEEEEE10hipError_tT0_T1_T2_jT3_P12ihipStream_tbPNSt15iterator_traitsISK_E10value_typeEPNSQ_ISL_E10value_typeEPSM_NS1_7vsmem_tEENKUlT_SK_SL_SM_E_clISE_PiSF_SF_EESJ_SZ_SK_SL_SM_EUlSZ_E_NS1_11comp_targetILNS1_3genE8ELNS1_11target_archE1030ELNS1_3gpuE2ELNS1_3repE0EEENS1_48merge_mergepath_partition_config_static_selectorELNS0_4arch9wavefront6targetE1EEEvSL_,comdat
	.protected	_ZN7rocprim17ROCPRIM_400000_NS6detail17trampoline_kernelINS0_14default_configENS1_38merge_sort_block_merge_config_selectorIiNS0_10empty_typeEEEZZNS1_27merge_sort_block_merge_implIS3_N6thrust23THRUST_200600_302600_NS6detail15normal_iteratorINS9_10device_ptrIiEEEEPS5_jNS1_19radix_merge_compareILb0ELb1EiNS0_19identity_decomposerEEEEE10hipError_tT0_T1_T2_jT3_P12ihipStream_tbPNSt15iterator_traitsISK_E10value_typeEPNSQ_ISL_E10value_typeEPSM_NS1_7vsmem_tEENKUlT_SK_SL_SM_E_clISE_PiSF_SF_EESJ_SZ_SK_SL_SM_EUlSZ_E_NS1_11comp_targetILNS1_3genE8ELNS1_11target_archE1030ELNS1_3gpuE2ELNS1_3repE0EEENS1_48merge_mergepath_partition_config_static_selectorELNS0_4arch9wavefront6targetE1EEEvSL_ ; -- Begin function _ZN7rocprim17ROCPRIM_400000_NS6detail17trampoline_kernelINS0_14default_configENS1_38merge_sort_block_merge_config_selectorIiNS0_10empty_typeEEEZZNS1_27merge_sort_block_merge_implIS3_N6thrust23THRUST_200600_302600_NS6detail15normal_iteratorINS9_10device_ptrIiEEEEPS5_jNS1_19radix_merge_compareILb0ELb1EiNS0_19identity_decomposerEEEEE10hipError_tT0_T1_T2_jT3_P12ihipStream_tbPNSt15iterator_traitsISK_E10value_typeEPNSQ_ISL_E10value_typeEPSM_NS1_7vsmem_tEENKUlT_SK_SL_SM_E_clISE_PiSF_SF_EESJ_SZ_SK_SL_SM_EUlSZ_E_NS1_11comp_targetILNS1_3genE8ELNS1_11target_archE1030ELNS1_3gpuE2ELNS1_3repE0EEENS1_48merge_mergepath_partition_config_static_selectorELNS0_4arch9wavefront6targetE1EEEvSL_
	.globl	_ZN7rocprim17ROCPRIM_400000_NS6detail17trampoline_kernelINS0_14default_configENS1_38merge_sort_block_merge_config_selectorIiNS0_10empty_typeEEEZZNS1_27merge_sort_block_merge_implIS3_N6thrust23THRUST_200600_302600_NS6detail15normal_iteratorINS9_10device_ptrIiEEEEPS5_jNS1_19radix_merge_compareILb0ELb1EiNS0_19identity_decomposerEEEEE10hipError_tT0_T1_T2_jT3_P12ihipStream_tbPNSt15iterator_traitsISK_E10value_typeEPNSQ_ISL_E10value_typeEPSM_NS1_7vsmem_tEENKUlT_SK_SL_SM_E_clISE_PiSF_SF_EESJ_SZ_SK_SL_SM_EUlSZ_E_NS1_11comp_targetILNS1_3genE8ELNS1_11target_archE1030ELNS1_3gpuE2ELNS1_3repE0EEENS1_48merge_mergepath_partition_config_static_selectorELNS0_4arch9wavefront6targetE1EEEvSL_
	.p2align	8
	.type	_ZN7rocprim17ROCPRIM_400000_NS6detail17trampoline_kernelINS0_14default_configENS1_38merge_sort_block_merge_config_selectorIiNS0_10empty_typeEEEZZNS1_27merge_sort_block_merge_implIS3_N6thrust23THRUST_200600_302600_NS6detail15normal_iteratorINS9_10device_ptrIiEEEEPS5_jNS1_19radix_merge_compareILb0ELb1EiNS0_19identity_decomposerEEEEE10hipError_tT0_T1_T2_jT3_P12ihipStream_tbPNSt15iterator_traitsISK_E10value_typeEPNSQ_ISL_E10value_typeEPSM_NS1_7vsmem_tEENKUlT_SK_SL_SM_E_clISE_PiSF_SF_EESJ_SZ_SK_SL_SM_EUlSZ_E_NS1_11comp_targetILNS1_3genE8ELNS1_11target_archE1030ELNS1_3gpuE2ELNS1_3repE0EEENS1_48merge_mergepath_partition_config_static_selectorELNS0_4arch9wavefront6targetE1EEEvSL_,@function
_ZN7rocprim17ROCPRIM_400000_NS6detail17trampoline_kernelINS0_14default_configENS1_38merge_sort_block_merge_config_selectorIiNS0_10empty_typeEEEZZNS1_27merge_sort_block_merge_implIS3_N6thrust23THRUST_200600_302600_NS6detail15normal_iteratorINS9_10device_ptrIiEEEEPS5_jNS1_19radix_merge_compareILb0ELb1EiNS0_19identity_decomposerEEEEE10hipError_tT0_T1_T2_jT3_P12ihipStream_tbPNSt15iterator_traitsISK_E10value_typeEPNSQ_ISL_E10value_typeEPSM_NS1_7vsmem_tEENKUlT_SK_SL_SM_E_clISE_PiSF_SF_EESJ_SZ_SK_SL_SM_EUlSZ_E_NS1_11comp_targetILNS1_3genE8ELNS1_11target_archE1030ELNS1_3gpuE2ELNS1_3repE0EEENS1_48merge_mergepath_partition_config_static_selectorELNS0_4arch9wavefront6targetE1EEEvSL_: ; @_ZN7rocprim17ROCPRIM_400000_NS6detail17trampoline_kernelINS0_14default_configENS1_38merge_sort_block_merge_config_selectorIiNS0_10empty_typeEEEZZNS1_27merge_sort_block_merge_implIS3_N6thrust23THRUST_200600_302600_NS6detail15normal_iteratorINS9_10device_ptrIiEEEEPS5_jNS1_19radix_merge_compareILb0ELb1EiNS0_19identity_decomposerEEEEE10hipError_tT0_T1_T2_jT3_P12ihipStream_tbPNSt15iterator_traitsISK_E10value_typeEPNSQ_ISL_E10value_typeEPSM_NS1_7vsmem_tEENKUlT_SK_SL_SM_E_clISE_PiSF_SF_EESJ_SZ_SK_SL_SM_EUlSZ_E_NS1_11comp_targetILNS1_3genE8ELNS1_11target_archE1030ELNS1_3gpuE2ELNS1_3repE0EEENS1_48merge_mergepath_partition_config_static_selectorELNS0_4arch9wavefront6targetE1EEEvSL_
; %bb.0:
	.section	.rodata,"a",@progbits
	.p2align	6, 0x0
	.amdhsa_kernel _ZN7rocprim17ROCPRIM_400000_NS6detail17trampoline_kernelINS0_14default_configENS1_38merge_sort_block_merge_config_selectorIiNS0_10empty_typeEEEZZNS1_27merge_sort_block_merge_implIS3_N6thrust23THRUST_200600_302600_NS6detail15normal_iteratorINS9_10device_ptrIiEEEEPS5_jNS1_19radix_merge_compareILb0ELb1EiNS0_19identity_decomposerEEEEE10hipError_tT0_T1_T2_jT3_P12ihipStream_tbPNSt15iterator_traitsISK_E10value_typeEPNSQ_ISL_E10value_typeEPSM_NS1_7vsmem_tEENKUlT_SK_SL_SM_E_clISE_PiSF_SF_EESJ_SZ_SK_SL_SM_EUlSZ_E_NS1_11comp_targetILNS1_3genE8ELNS1_11target_archE1030ELNS1_3gpuE2ELNS1_3repE0EEENS1_48merge_mergepath_partition_config_static_selectorELNS0_4arch9wavefront6targetE1EEEvSL_
		.amdhsa_group_segment_fixed_size 0
		.amdhsa_private_segment_fixed_size 0
		.amdhsa_kernarg_size 40
		.amdhsa_user_sgpr_count 6
		.amdhsa_user_sgpr_private_segment_buffer 1
		.amdhsa_user_sgpr_dispatch_ptr 0
		.amdhsa_user_sgpr_queue_ptr 0
		.amdhsa_user_sgpr_kernarg_segment_ptr 1
		.amdhsa_user_sgpr_dispatch_id 0
		.amdhsa_user_sgpr_flat_scratch_init 0
		.amdhsa_user_sgpr_kernarg_preload_length 0
		.amdhsa_user_sgpr_kernarg_preload_offset 0
		.amdhsa_user_sgpr_private_segment_size 0
		.amdhsa_uses_dynamic_stack 0
		.amdhsa_system_sgpr_private_segment_wavefront_offset 0
		.amdhsa_system_sgpr_workgroup_id_x 1
		.amdhsa_system_sgpr_workgroup_id_y 0
		.amdhsa_system_sgpr_workgroup_id_z 0
		.amdhsa_system_sgpr_workgroup_info 0
		.amdhsa_system_vgpr_workitem_id 0
		.amdhsa_next_free_vgpr 1
		.amdhsa_next_free_sgpr 0
		.amdhsa_accum_offset 4
		.amdhsa_reserve_vcc 0
		.amdhsa_reserve_flat_scratch 0
		.amdhsa_float_round_mode_32 0
		.amdhsa_float_round_mode_16_64 0
		.amdhsa_float_denorm_mode_32 3
		.amdhsa_float_denorm_mode_16_64 3
		.amdhsa_dx10_clamp 1
		.amdhsa_ieee_mode 1
		.amdhsa_fp16_overflow 0
		.amdhsa_tg_split 0
		.amdhsa_exception_fp_ieee_invalid_op 0
		.amdhsa_exception_fp_denorm_src 0
		.amdhsa_exception_fp_ieee_div_zero 0
		.amdhsa_exception_fp_ieee_overflow 0
		.amdhsa_exception_fp_ieee_underflow 0
		.amdhsa_exception_fp_ieee_inexact 0
		.amdhsa_exception_int_div_zero 0
	.end_amdhsa_kernel
	.section	.text._ZN7rocprim17ROCPRIM_400000_NS6detail17trampoline_kernelINS0_14default_configENS1_38merge_sort_block_merge_config_selectorIiNS0_10empty_typeEEEZZNS1_27merge_sort_block_merge_implIS3_N6thrust23THRUST_200600_302600_NS6detail15normal_iteratorINS9_10device_ptrIiEEEEPS5_jNS1_19radix_merge_compareILb0ELb1EiNS0_19identity_decomposerEEEEE10hipError_tT0_T1_T2_jT3_P12ihipStream_tbPNSt15iterator_traitsISK_E10value_typeEPNSQ_ISL_E10value_typeEPSM_NS1_7vsmem_tEENKUlT_SK_SL_SM_E_clISE_PiSF_SF_EESJ_SZ_SK_SL_SM_EUlSZ_E_NS1_11comp_targetILNS1_3genE8ELNS1_11target_archE1030ELNS1_3gpuE2ELNS1_3repE0EEENS1_48merge_mergepath_partition_config_static_selectorELNS0_4arch9wavefront6targetE1EEEvSL_,"axG",@progbits,_ZN7rocprim17ROCPRIM_400000_NS6detail17trampoline_kernelINS0_14default_configENS1_38merge_sort_block_merge_config_selectorIiNS0_10empty_typeEEEZZNS1_27merge_sort_block_merge_implIS3_N6thrust23THRUST_200600_302600_NS6detail15normal_iteratorINS9_10device_ptrIiEEEEPS5_jNS1_19radix_merge_compareILb0ELb1EiNS0_19identity_decomposerEEEEE10hipError_tT0_T1_T2_jT3_P12ihipStream_tbPNSt15iterator_traitsISK_E10value_typeEPNSQ_ISL_E10value_typeEPSM_NS1_7vsmem_tEENKUlT_SK_SL_SM_E_clISE_PiSF_SF_EESJ_SZ_SK_SL_SM_EUlSZ_E_NS1_11comp_targetILNS1_3genE8ELNS1_11target_archE1030ELNS1_3gpuE2ELNS1_3repE0EEENS1_48merge_mergepath_partition_config_static_selectorELNS0_4arch9wavefront6targetE1EEEvSL_,comdat
.Lfunc_end1702:
	.size	_ZN7rocprim17ROCPRIM_400000_NS6detail17trampoline_kernelINS0_14default_configENS1_38merge_sort_block_merge_config_selectorIiNS0_10empty_typeEEEZZNS1_27merge_sort_block_merge_implIS3_N6thrust23THRUST_200600_302600_NS6detail15normal_iteratorINS9_10device_ptrIiEEEEPS5_jNS1_19radix_merge_compareILb0ELb1EiNS0_19identity_decomposerEEEEE10hipError_tT0_T1_T2_jT3_P12ihipStream_tbPNSt15iterator_traitsISK_E10value_typeEPNSQ_ISL_E10value_typeEPSM_NS1_7vsmem_tEENKUlT_SK_SL_SM_E_clISE_PiSF_SF_EESJ_SZ_SK_SL_SM_EUlSZ_E_NS1_11comp_targetILNS1_3genE8ELNS1_11target_archE1030ELNS1_3gpuE2ELNS1_3repE0EEENS1_48merge_mergepath_partition_config_static_selectorELNS0_4arch9wavefront6targetE1EEEvSL_, .Lfunc_end1702-_ZN7rocprim17ROCPRIM_400000_NS6detail17trampoline_kernelINS0_14default_configENS1_38merge_sort_block_merge_config_selectorIiNS0_10empty_typeEEEZZNS1_27merge_sort_block_merge_implIS3_N6thrust23THRUST_200600_302600_NS6detail15normal_iteratorINS9_10device_ptrIiEEEEPS5_jNS1_19radix_merge_compareILb0ELb1EiNS0_19identity_decomposerEEEEE10hipError_tT0_T1_T2_jT3_P12ihipStream_tbPNSt15iterator_traitsISK_E10value_typeEPNSQ_ISL_E10value_typeEPSM_NS1_7vsmem_tEENKUlT_SK_SL_SM_E_clISE_PiSF_SF_EESJ_SZ_SK_SL_SM_EUlSZ_E_NS1_11comp_targetILNS1_3genE8ELNS1_11target_archE1030ELNS1_3gpuE2ELNS1_3repE0EEENS1_48merge_mergepath_partition_config_static_selectorELNS0_4arch9wavefront6targetE1EEEvSL_
                                        ; -- End function
	.section	.AMDGPU.csdata,"",@progbits
; Kernel info:
; codeLenInByte = 0
; NumSgprs: 4
; NumVgprs: 0
; NumAgprs: 0
; TotalNumVgprs: 0
; ScratchSize: 0
; MemoryBound: 0
; FloatMode: 240
; IeeeMode: 1
; LDSByteSize: 0 bytes/workgroup (compile time only)
; SGPRBlocks: 0
; VGPRBlocks: 0
; NumSGPRsForWavesPerEU: 4
; NumVGPRsForWavesPerEU: 1
; AccumOffset: 4
; Occupancy: 8
; WaveLimiterHint : 0
; COMPUTE_PGM_RSRC2:SCRATCH_EN: 0
; COMPUTE_PGM_RSRC2:USER_SGPR: 6
; COMPUTE_PGM_RSRC2:TRAP_HANDLER: 0
; COMPUTE_PGM_RSRC2:TGID_X_EN: 1
; COMPUTE_PGM_RSRC2:TGID_Y_EN: 0
; COMPUTE_PGM_RSRC2:TGID_Z_EN: 0
; COMPUTE_PGM_RSRC2:TIDIG_COMP_CNT: 0
; COMPUTE_PGM_RSRC3_GFX90A:ACCUM_OFFSET: 0
; COMPUTE_PGM_RSRC3_GFX90A:TG_SPLIT: 0
	.section	.text._ZN7rocprim17ROCPRIM_400000_NS6detail17trampoline_kernelINS0_14default_configENS1_38merge_sort_block_merge_config_selectorIiNS0_10empty_typeEEEZZNS1_27merge_sort_block_merge_implIS3_N6thrust23THRUST_200600_302600_NS6detail15normal_iteratorINS9_10device_ptrIiEEEEPS5_jNS1_19radix_merge_compareILb0ELb1EiNS0_19identity_decomposerEEEEE10hipError_tT0_T1_T2_jT3_P12ihipStream_tbPNSt15iterator_traitsISK_E10value_typeEPNSQ_ISL_E10value_typeEPSM_NS1_7vsmem_tEENKUlT_SK_SL_SM_E_clISE_PiSF_SF_EESJ_SZ_SK_SL_SM_EUlSZ_E0_NS1_11comp_targetILNS1_3genE0ELNS1_11target_archE4294967295ELNS1_3gpuE0ELNS1_3repE0EEENS1_38merge_mergepath_config_static_selectorELNS0_4arch9wavefront6targetE1EEEvSL_,"axG",@progbits,_ZN7rocprim17ROCPRIM_400000_NS6detail17trampoline_kernelINS0_14default_configENS1_38merge_sort_block_merge_config_selectorIiNS0_10empty_typeEEEZZNS1_27merge_sort_block_merge_implIS3_N6thrust23THRUST_200600_302600_NS6detail15normal_iteratorINS9_10device_ptrIiEEEEPS5_jNS1_19radix_merge_compareILb0ELb1EiNS0_19identity_decomposerEEEEE10hipError_tT0_T1_T2_jT3_P12ihipStream_tbPNSt15iterator_traitsISK_E10value_typeEPNSQ_ISL_E10value_typeEPSM_NS1_7vsmem_tEENKUlT_SK_SL_SM_E_clISE_PiSF_SF_EESJ_SZ_SK_SL_SM_EUlSZ_E0_NS1_11comp_targetILNS1_3genE0ELNS1_11target_archE4294967295ELNS1_3gpuE0ELNS1_3repE0EEENS1_38merge_mergepath_config_static_selectorELNS0_4arch9wavefront6targetE1EEEvSL_,comdat
	.protected	_ZN7rocprim17ROCPRIM_400000_NS6detail17trampoline_kernelINS0_14default_configENS1_38merge_sort_block_merge_config_selectorIiNS0_10empty_typeEEEZZNS1_27merge_sort_block_merge_implIS3_N6thrust23THRUST_200600_302600_NS6detail15normal_iteratorINS9_10device_ptrIiEEEEPS5_jNS1_19radix_merge_compareILb0ELb1EiNS0_19identity_decomposerEEEEE10hipError_tT0_T1_T2_jT3_P12ihipStream_tbPNSt15iterator_traitsISK_E10value_typeEPNSQ_ISL_E10value_typeEPSM_NS1_7vsmem_tEENKUlT_SK_SL_SM_E_clISE_PiSF_SF_EESJ_SZ_SK_SL_SM_EUlSZ_E0_NS1_11comp_targetILNS1_3genE0ELNS1_11target_archE4294967295ELNS1_3gpuE0ELNS1_3repE0EEENS1_38merge_mergepath_config_static_selectorELNS0_4arch9wavefront6targetE1EEEvSL_ ; -- Begin function _ZN7rocprim17ROCPRIM_400000_NS6detail17trampoline_kernelINS0_14default_configENS1_38merge_sort_block_merge_config_selectorIiNS0_10empty_typeEEEZZNS1_27merge_sort_block_merge_implIS3_N6thrust23THRUST_200600_302600_NS6detail15normal_iteratorINS9_10device_ptrIiEEEEPS5_jNS1_19radix_merge_compareILb0ELb1EiNS0_19identity_decomposerEEEEE10hipError_tT0_T1_T2_jT3_P12ihipStream_tbPNSt15iterator_traitsISK_E10value_typeEPNSQ_ISL_E10value_typeEPSM_NS1_7vsmem_tEENKUlT_SK_SL_SM_E_clISE_PiSF_SF_EESJ_SZ_SK_SL_SM_EUlSZ_E0_NS1_11comp_targetILNS1_3genE0ELNS1_11target_archE4294967295ELNS1_3gpuE0ELNS1_3repE0EEENS1_38merge_mergepath_config_static_selectorELNS0_4arch9wavefront6targetE1EEEvSL_
	.globl	_ZN7rocprim17ROCPRIM_400000_NS6detail17trampoline_kernelINS0_14default_configENS1_38merge_sort_block_merge_config_selectorIiNS0_10empty_typeEEEZZNS1_27merge_sort_block_merge_implIS3_N6thrust23THRUST_200600_302600_NS6detail15normal_iteratorINS9_10device_ptrIiEEEEPS5_jNS1_19radix_merge_compareILb0ELb1EiNS0_19identity_decomposerEEEEE10hipError_tT0_T1_T2_jT3_P12ihipStream_tbPNSt15iterator_traitsISK_E10value_typeEPNSQ_ISL_E10value_typeEPSM_NS1_7vsmem_tEENKUlT_SK_SL_SM_E_clISE_PiSF_SF_EESJ_SZ_SK_SL_SM_EUlSZ_E0_NS1_11comp_targetILNS1_3genE0ELNS1_11target_archE4294967295ELNS1_3gpuE0ELNS1_3repE0EEENS1_38merge_mergepath_config_static_selectorELNS0_4arch9wavefront6targetE1EEEvSL_
	.p2align	8
	.type	_ZN7rocprim17ROCPRIM_400000_NS6detail17trampoline_kernelINS0_14default_configENS1_38merge_sort_block_merge_config_selectorIiNS0_10empty_typeEEEZZNS1_27merge_sort_block_merge_implIS3_N6thrust23THRUST_200600_302600_NS6detail15normal_iteratorINS9_10device_ptrIiEEEEPS5_jNS1_19radix_merge_compareILb0ELb1EiNS0_19identity_decomposerEEEEE10hipError_tT0_T1_T2_jT3_P12ihipStream_tbPNSt15iterator_traitsISK_E10value_typeEPNSQ_ISL_E10value_typeEPSM_NS1_7vsmem_tEENKUlT_SK_SL_SM_E_clISE_PiSF_SF_EESJ_SZ_SK_SL_SM_EUlSZ_E0_NS1_11comp_targetILNS1_3genE0ELNS1_11target_archE4294967295ELNS1_3gpuE0ELNS1_3repE0EEENS1_38merge_mergepath_config_static_selectorELNS0_4arch9wavefront6targetE1EEEvSL_,@function
_ZN7rocprim17ROCPRIM_400000_NS6detail17trampoline_kernelINS0_14default_configENS1_38merge_sort_block_merge_config_selectorIiNS0_10empty_typeEEEZZNS1_27merge_sort_block_merge_implIS3_N6thrust23THRUST_200600_302600_NS6detail15normal_iteratorINS9_10device_ptrIiEEEEPS5_jNS1_19radix_merge_compareILb0ELb1EiNS0_19identity_decomposerEEEEE10hipError_tT0_T1_T2_jT3_P12ihipStream_tbPNSt15iterator_traitsISK_E10value_typeEPNSQ_ISL_E10value_typeEPSM_NS1_7vsmem_tEENKUlT_SK_SL_SM_E_clISE_PiSF_SF_EESJ_SZ_SK_SL_SM_EUlSZ_E0_NS1_11comp_targetILNS1_3genE0ELNS1_11target_archE4294967295ELNS1_3gpuE0ELNS1_3repE0EEENS1_38merge_mergepath_config_static_selectorELNS0_4arch9wavefront6targetE1EEEvSL_: ; @_ZN7rocprim17ROCPRIM_400000_NS6detail17trampoline_kernelINS0_14default_configENS1_38merge_sort_block_merge_config_selectorIiNS0_10empty_typeEEEZZNS1_27merge_sort_block_merge_implIS3_N6thrust23THRUST_200600_302600_NS6detail15normal_iteratorINS9_10device_ptrIiEEEEPS5_jNS1_19radix_merge_compareILb0ELb1EiNS0_19identity_decomposerEEEEE10hipError_tT0_T1_T2_jT3_P12ihipStream_tbPNSt15iterator_traitsISK_E10value_typeEPNSQ_ISL_E10value_typeEPSM_NS1_7vsmem_tEENKUlT_SK_SL_SM_E_clISE_PiSF_SF_EESJ_SZ_SK_SL_SM_EUlSZ_E0_NS1_11comp_targetILNS1_3genE0ELNS1_11target_archE4294967295ELNS1_3gpuE0ELNS1_3repE0EEENS1_38merge_mergepath_config_static_selectorELNS0_4arch9wavefront6targetE1EEEvSL_
; %bb.0:
	.section	.rodata,"a",@progbits
	.p2align	6, 0x0
	.amdhsa_kernel _ZN7rocprim17ROCPRIM_400000_NS6detail17trampoline_kernelINS0_14default_configENS1_38merge_sort_block_merge_config_selectorIiNS0_10empty_typeEEEZZNS1_27merge_sort_block_merge_implIS3_N6thrust23THRUST_200600_302600_NS6detail15normal_iteratorINS9_10device_ptrIiEEEEPS5_jNS1_19radix_merge_compareILb0ELb1EiNS0_19identity_decomposerEEEEE10hipError_tT0_T1_T2_jT3_P12ihipStream_tbPNSt15iterator_traitsISK_E10value_typeEPNSQ_ISL_E10value_typeEPSM_NS1_7vsmem_tEENKUlT_SK_SL_SM_E_clISE_PiSF_SF_EESJ_SZ_SK_SL_SM_EUlSZ_E0_NS1_11comp_targetILNS1_3genE0ELNS1_11target_archE4294967295ELNS1_3gpuE0ELNS1_3repE0EEENS1_38merge_mergepath_config_static_selectorELNS0_4arch9wavefront6targetE1EEEvSL_
		.amdhsa_group_segment_fixed_size 0
		.amdhsa_private_segment_fixed_size 0
		.amdhsa_kernarg_size 64
		.amdhsa_user_sgpr_count 6
		.amdhsa_user_sgpr_private_segment_buffer 1
		.amdhsa_user_sgpr_dispatch_ptr 0
		.amdhsa_user_sgpr_queue_ptr 0
		.amdhsa_user_sgpr_kernarg_segment_ptr 1
		.amdhsa_user_sgpr_dispatch_id 0
		.amdhsa_user_sgpr_flat_scratch_init 0
		.amdhsa_user_sgpr_kernarg_preload_length 0
		.amdhsa_user_sgpr_kernarg_preload_offset 0
		.amdhsa_user_sgpr_private_segment_size 0
		.amdhsa_uses_dynamic_stack 0
		.amdhsa_system_sgpr_private_segment_wavefront_offset 0
		.amdhsa_system_sgpr_workgroup_id_x 1
		.amdhsa_system_sgpr_workgroup_id_y 0
		.amdhsa_system_sgpr_workgroup_id_z 0
		.amdhsa_system_sgpr_workgroup_info 0
		.amdhsa_system_vgpr_workitem_id 0
		.amdhsa_next_free_vgpr 1
		.amdhsa_next_free_sgpr 0
		.amdhsa_accum_offset 4
		.amdhsa_reserve_vcc 0
		.amdhsa_reserve_flat_scratch 0
		.amdhsa_float_round_mode_32 0
		.amdhsa_float_round_mode_16_64 0
		.amdhsa_float_denorm_mode_32 3
		.amdhsa_float_denorm_mode_16_64 3
		.amdhsa_dx10_clamp 1
		.amdhsa_ieee_mode 1
		.amdhsa_fp16_overflow 0
		.amdhsa_tg_split 0
		.amdhsa_exception_fp_ieee_invalid_op 0
		.amdhsa_exception_fp_denorm_src 0
		.amdhsa_exception_fp_ieee_div_zero 0
		.amdhsa_exception_fp_ieee_overflow 0
		.amdhsa_exception_fp_ieee_underflow 0
		.amdhsa_exception_fp_ieee_inexact 0
		.amdhsa_exception_int_div_zero 0
	.end_amdhsa_kernel
	.section	.text._ZN7rocprim17ROCPRIM_400000_NS6detail17trampoline_kernelINS0_14default_configENS1_38merge_sort_block_merge_config_selectorIiNS0_10empty_typeEEEZZNS1_27merge_sort_block_merge_implIS3_N6thrust23THRUST_200600_302600_NS6detail15normal_iteratorINS9_10device_ptrIiEEEEPS5_jNS1_19radix_merge_compareILb0ELb1EiNS0_19identity_decomposerEEEEE10hipError_tT0_T1_T2_jT3_P12ihipStream_tbPNSt15iterator_traitsISK_E10value_typeEPNSQ_ISL_E10value_typeEPSM_NS1_7vsmem_tEENKUlT_SK_SL_SM_E_clISE_PiSF_SF_EESJ_SZ_SK_SL_SM_EUlSZ_E0_NS1_11comp_targetILNS1_3genE0ELNS1_11target_archE4294967295ELNS1_3gpuE0ELNS1_3repE0EEENS1_38merge_mergepath_config_static_selectorELNS0_4arch9wavefront6targetE1EEEvSL_,"axG",@progbits,_ZN7rocprim17ROCPRIM_400000_NS6detail17trampoline_kernelINS0_14default_configENS1_38merge_sort_block_merge_config_selectorIiNS0_10empty_typeEEEZZNS1_27merge_sort_block_merge_implIS3_N6thrust23THRUST_200600_302600_NS6detail15normal_iteratorINS9_10device_ptrIiEEEEPS5_jNS1_19radix_merge_compareILb0ELb1EiNS0_19identity_decomposerEEEEE10hipError_tT0_T1_T2_jT3_P12ihipStream_tbPNSt15iterator_traitsISK_E10value_typeEPNSQ_ISL_E10value_typeEPSM_NS1_7vsmem_tEENKUlT_SK_SL_SM_E_clISE_PiSF_SF_EESJ_SZ_SK_SL_SM_EUlSZ_E0_NS1_11comp_targetILNS1_3genE0ELNS1_11target_archE4294967295ELNS1_3gpuE0ELNS1_3repE0EEENS1_38merge_mergepath_config_static_selectorELNS0_4arch9wavefront6targetE1EEEvSL_,comdat
.Lfunc_end1703:
	.size	_ZN7rocprim17ROCPRIM_400000_NS6detail17trampoline_kernelINS0_14default_configENS1_38merge_sort_block_merge_config_selectorIiNS0_10empty_typeEEEZZNS1_27merge_sort_block_merge_implIS3_N6thrust23THRUST_200600_302600_NS6detail15normal_iteratorINS9_10device_ptrIiEEEEPS5_jNS1_19radix_merge_compareILb0ELb1EiNS0_19identity_decomposerEEEEE10hipError_tT0_T1_T2_jT3_P12ihipStream_tbPNSt15iterator_traitsISK_E10value_typeEPNSQ_ISL_E10value_typeEPSM_NS1_7vsmem_tEENKUlT_SK_SL_SM_E_clISE_PiSF_SF_EESJ_SZ_SK_SL_SM_EUlSZ_E0_NS1_11comp_targetILNS1_3genE0ELNS1_11target_archE4294967295ELNS1_3gpuE0ELNS1_3repE0EEENS1_38merge_mergepath_config_static_selectorELNS0_4arch9wavefront6targetE1EEEvSL_, .Lfunc_end1703-_ZN7rocprim17ROCPRIM_400000_NS6detail17trampoline_kernelINS0_14default_configENS1_38merge_sort_block_merge_config_selectorIiNS0_10empty_typeEEEZZNS1_27merge_sort_block_merge_implIS3_N6thrust23THRUST_200600_302600_NS6detail15normal_iteratorINS9_10device_ptrIiEEEEPS5_jNS1_19radix_merge_compareILb0ELb1EiNS0_19identity_decomposerEEEEE10hipError_tT0_T1_T2_jT3_P12ihipStream_tbPNSt15iterator_traitsISK_E10value_typeEPNSQ_ISL_E10value_typeEPSM_NS1_7vsmem_tEENKUlT_SK_SL_SM_E_clISE_PiSF_SF_EESJ_SZ_SK_SL_SM_EUlSZ_E0_NS1_11comp_targetILNS1_3genE0ELNS1_11target_archE4294967295ELNS1_3gpuE0ELNS1_3repE0EEENS1_38merge_mergepath_config_static_selectorELNS0_4arch9wavefront6targetE1EEEvSL_
                                        ; -- End function
	.section	.AMDGPU.csdata,"",@progbits
; Kernel info:
; codeLenInByte = 0
; NumSgprs: 4
; NumVgprs: 0
; NumAgprs: 0
; TotalNumVgprs: 0
; ScratchSize: 0
; MemoryBound: 0
; FloatMode: 240
; IeeeMode: 1
; LDSByteSize: 0 bytes/workgroup (compile time only)
; SGPRBlocks: 0
; VGPRBlocks: 0
; NumSGPRsForWavesPerEU: 4
; NumVGPRsForWavesPerEU: 1
; AccumOffset: 4
; Occupancy: 8
; WaveLimiterHint : 0
; COMPUTE_PGM_RSRC2:SCRATCH_EN: 0
; COMPUTE_PGM_RSRC2:USER_SGPR: 6
; COMPUTE_PGM_RSRC2:TRAP_HANDLER: 0
; COMPUTE_PGM_RSRC2:TGID_X_EN: 1
; COMPUTE_PGM_RSRC2:TGID_Y_EN: 0
; COMPUTE_PGM_RSRC2:TGID_Z_EN: 0
; COMPUTE_PGM_RSRC2:TIDIG_COMP_CNT: 0
; COMPUTE_PGM_RSRC3_GFX90A:ACCUM_OFFSET: 0
; COMPUTE_PGM_RSRC3_GFX90A:TG_SPLIT: 0
	.section	.text._ZN7rocprim17ROCPRIM_400000_NS6detail17trampoline_kernelINS0_14default_configENS1_38merge_sort_block_merge_config_selectorIiNS0_10empty_typeEEEZZNS1_27merge_sort_block_merge_implIS3_N6thrust23THRUST_200600_302600_NS6detail15normal_iteratorINS9_10device_ptrIiEEEEPS5_jNS1_19radix_merge_compareILb0ELb1EiNS0_19identity_decomposerEEEEE10hipError_tT0_T1_T2_jT3_P12ihipStream_tbPNSt15iterator_traitsISK_E10value_typeEPNSQ_ISL_E10value_typeEPSM_NS1_7vsmem_tEENKUlT_SK_SL_SM_E_clISE_PiSF_SF_EESJ_SZ_SK_SL_SM_EUlSZ_E0_NS1_11comp_targetILNS1_3genE10ELNS1_11target_archE1201ELNS1_3gpuE5ELNS1_3repE0EEENS1_38merge_mergepath_config_static_selectorELNS0_4arch9wavefront6targetE1EEEvSL_,"axG",@progbits,_ZN7rocprim17ROCPRIM_400000_NS6detail17trampoline_kernelINS0_14default_configENS1_38merge_sort_block_merge_config_selectorIiNS0_10empty_typeEEEZZNS1_27merge_sort_block_merge_implIS3_N6thrust23THRUST_200600_302600_NS6detail15normal_iteratorINS9_10device_ptrIiEEEEPS5_jNS1_19radix_merge_compareILb0ELb1EiNS0_19identity_decomposerEEEEE10hipError_tT0_T1_T2_jT3_P12ihipStream_tbPNSt15iterator_traitsISK_E10value_typeEPNSQ_ISL_E10value_typeEPSM_NS1_7vsmem_tEENKUlT_SK_SL_SM_E_clISE_PiSF_SF_EESJ_SZ_SK_SL_SM_EUlSZ_E0_NS1_11comp_targetILNS1_3genE10ELNS1_11target_archE1201ELNS1_3gpuE5ELNS1_3repE0EEENS1_38merge_mergepath_config_static_selectorELNS0_4arch9wavefront6targetE1EEEvSL_,comdat
	.protected	_ZN7rocprim17ROCPRIM_400000_NS6detail17trampoline_kernelINS0_14default_configENS1_38merge_sort_block_merge_config_selectorIiNS0_10empty_typeEEEZZNS1_27merge_sort_block_merge_implIS3_N6thrust23THRUST_200600_302600_NS6detail15normal_iteratorINS9_10device_ptrIiEEEEPS5_jNS1_19radix_merge_compareILb0ELb1EiNS0_19identity_decomposerEEEEE10hipError_tT0_T1_T2_jT3_P12ihipStream_tbPNSt15iterator_traitsISK_E10value_typeEPNSQ_ISL_E10value_typeEPSM_NS1_7vsmem_tEENKUlT_SK_SL_SM_E_clISE_PiSF_SF_EESJ_SZ_SK_SL_SM_EUlSZ_E0_NS1_11comp_targetILNS1_3genE10ELNS1_11target_archE1201ELNS1_3gpuE5ELNS1_3repE0EEENS1_38merge_mergepath_config_static_selectorELNS0_4arch9wavefront6targetE1EEEvSL_ ; -- Begin function _ZN7rocprim17ROCPRIM_400000_NS6detail17trampoline_kernelINS0_14default_configENS1_38merge_sort_block_merge_config_selectorIiNS0_10empty_typeEEEZZNS1_27merge_sort_block_merge_implIS3_N6thrust23THRUST_200600_302600_NS6detail15normal_iteratorINS9_10device_ptrIiEEEEPS5_jNS1_19radix_merge_compareILb0ELb1EiNS0_19identity_decomposerEEEEE10hipError_tT0_T1_T2_jT3_P12ihipStream_tbPNSt15iterator_traitsISK_E10value_typeEPNSQ_ISL_E10value_typeEPSM_NS1_7vsmem_tEENKUlT_SK_SL_SM_E_clISE_PiSF_SF_EESJ_SZ_SK_SL_SM_EUlSZ_E0_NS1_11comp_targetILNS1_3genE10ELNS1_11target_archE1201ELNS1_3gpuE5ELNS1_3repE0EEENS1_38merge_mergepath_config_static_selectorELNS0_4arch9wavefront6targetE1EEEvSL_
	.globl	_ZN7rocprim17ROCPRIM_400000_NS6detail17trampoline_kernelINS0_14default_configENS1_38merge_sort_block_merge_config_selectorIiNS0_10empty_typeEEEZZNS1_27merge_sort_block_merge_implIS3_N6thrust23THRUST_200600_302600_NS6detail15normal_iteratorINS9_10device_ptrIiEEEEPS5_jNS1_19radix_merge_compareILb0ELb1EiNS0_19identity_decomposerEEEEE10hipError_tT0_T1_T2_jT3_P12ihipStream_tbPNSt15iterator_traitsISK_E10value_typeEPNSQ_ISL_E10value_typeEPSM_NS1_7vsmem_tEENKUlT_SK_SL_SM_E_clISE_PiSF_SF_EESJ_SZ_SK_SL_SM_EUlSZ_E0_NS1_11comp_targetILNS1_3genE10ELNS1_11target_archE1201ELNS1_3gpuE5ELNS1_3repE0EEENS1_38merge_mergepath_config_static_selectorELNS0_4arch9wavefront6targetE1EEEvSL_
	.p2align	8
	.type	_ZN7rocprim17ROCPRIM_400000_NS6detail17trampoline_kernelINS0_14default_configENS1_38merge_sort_block_merge_config_selectorIiNS0_10empty_typeEEEZZNS1_27merge_sort_block_merge_implIS3_N6thrust23THRUST_200600_302600_NS6detail15normal_iteratorINS9_10device_ptrIiEEEEPS5_jNS1_19radix_merge_compareILb0ELb1EiNS0_19identity_decomposerEEEEE10hipError_tT0_T1_T2_jT3_P12ihipStream_tbPNSt15iterator_traitsISK_E10value_typeEPNSQ_ISL_E10value_typeEPSM_NS1_7vsmem_tEENKUlT_SK_SL_SM_E_clISE_PiSF_SF_EESJ_SZ_SK_SL_SM_EUlSZ_E0_NS1_11comp_targetILNS1_3genE10ELNS1_11target_archE1201ELNS1_3gpuE5ELNS1_3repE0EEENS1_38merge_mergepath_config_static_selectorELNS0_4arch9wavefront6targetE1EEEvSL_,@function
_ZN7rocprim17ROCPRIM_400000_NS6detail17trampoline_kernelINS0_14default_configENS1_38merge_sort_block_merge_config_selectorIiNS0_10empty_typeEEEZZNS1_27merge_sort_block_merge_implIS3_N6thrust23THRUST_200600_302600_NS6detail15normal_iteratorINS9_10device_ptrIiEEEEPS5_jNS1_19radix_merge_compareILb0ELb1EiNS0_19identity_decomposerEEEEE10hipError_tT0_T1_T2_jT3_P12ihipStream_tbPNSt15iterator_traitsISK_E10value_typeEPNSQ_ISL_E10value_typeEPSM_NS1_7vsmem_tEENKUlT_SK_SL_SM_E_clISE_PiSF_SF_EESJ_SZ_SK_SL_SM_EUlSZ_E0_NS1_11comp_targetILNS1_3genE10ELNS1_11target_archE1201ELNS1_3gpuE5ELNS1_3repE0EEENS1_38merge_mergepath_config_static_selectorELNS0_4arch9wavefront6targetE1EEEvSL_: ; @_ZN7rocprim17ROCPRIM_400000_NS6detail17trampoline_kernelINS0_14default_configENS1_38merge_sort_block_merge_config_selectorIiNS0_10empty_typeEEEZZNS1_27merge_sort_block_merge_implIS3_N6thrust23THRUST_200600_302600_NS6detail15normal_iteratorINS9_10device_ptrIiEEEEPS5_jNS1_19radix_merge_compareILb0ELb1EiNS0_19identity_decomposerEEEEE10hipError_tT0_T1_T2_jT3_P12ihipStream_tbPNSt15iterator_traitsISK_E10value_typeEPNSQ_ISL_E10value_typeEPSM_NS1_7vsmem_tEENKUlT_SK_SL_SM_E_clISE_PiSF_SF_EESJ_SZ_SK_SL_SM_EUlSZ_E0_NS1_11comp_targetILNS1_3genE10ELNS1_11target_archE1201ELNS1_3gpuE5ELNS1_3repE0EEENS1_38merge_mergepath_config_static_selectorELNS0_4arch9wavefront6targetE1EEEvSL_
; %bb.0:
	.section	.rodata,"a",@progbits
	.p2align	6, 0x0
	.amdhsa_kernel _ZN7rocprim17ROCPRIM_400000_NS6detail17trampoline_kernelINS0_14default_configENS1_38merge_sort_block_merge_config_selectorIiNS0_10empty_typeEEEZZNS1_27merge_sort_block_merge_implIS3_N6thrust23THRUST_200600_302600_NS6detail15normal_iteratorINS9_10device_ptrIiEEEEPS5_jNS1_19radix_merge_compareILb0ELb1EiNS0_19identity_decomposerEEEEE10hipError_tT0_T1_T2_jT3_P12ihipStream_tbPNSt15iterator_traitsISK_E10value_typeEPNSQ_ISL_E10value_typeEPSM_NS1_7vsmem_tEENKUlT_SK_SL_SM_E_clISE_PiSF_SF_EESJ_SZ_SK_SL_SM_EUlSZ_E0_NS1_11comp_targetILNS1_3genE10ELNS1_11target_archE1201ELNS1_3gpuE5ELNS1_3repE0EEENS1_38merge_mergepath_config_static_selectorELNS0_4arch9wavefront6targetE1EEEvSL_
		.amdhsa_group_segment_fixed_size 0
		.amdhsa_private_segment_fixed_size 0
		.amdhsa_kernarg_size 64
		.amdhsa_user_sgpr_count 6
		.amdhsa_user_sgpr_private_segment_buffer 1
		.amdhsa_user_sgpr_dispatch_ptr 0
		.amdhsa_user_sgpr_queue_ptr 0
		.amdhsa_user_sgpr_kernarg_segment_ptr 1
		.amdhsa_user_sgpr_dispatch_id 0
		.amdhsa_user_sgpr_flat_scratch_init 0
		.amdhsa_user_sgpr_kernarg_preload_length 0
		.amdhsa_user_sgpr_kernarg_preload_offset 0
		.amdhsa_user_sgpr_private_segment_size 0
		.amdhsa_uses_dynamic_stack 0
		.amdhsa_system_sgpr_private_segment_wavefront_offset 0
		.amdhsa_system_sgpr_workgroup_id_x 1
		.amdhsa_system_sgpr_workgroup_id_y 0
		.amdhsa_system_sgpr_workgroup_id_z 0
		.amdhsa_system_sgpr_workgroup_info 0
		.amdhsa_system_vgpr_workitem_id 0
		.amdhsa_next_free_vgpr 1
		.amdhsa_next_free_sgpr 0
		.amdhsa_accum_offset 4
		.amdhsa_reserve_vcc 0
		.amdhsa_reserve_flat_scratch 0
		.amdhsa_float_round_mode_32 0
		.amdhsa_float_round_mode_16_64 0
		.amdhsa_float_denorm_mode_32 3
		.amdhsa_float_denorm_mode_16_64 3
		.amdhsa_dx10_clamp 1
		.amdhsa_ieee_mode 1
		.amdhsa_fp16_overflow 0
		.amdhsa_tg_split 0
		.amdhsa_exception_fp_ieee_invalid_op 0
		.amdhsa_exception_fp_denorm_src 0
		.amdhsa_exception_fp_ieee_div_zero 0
		.amdhsa_exception_fp_ieee_overflow 0
		.amdhsa_exception_fp_ieee_underflow 0
		.amdhsa_exception_fp_ieee_inexact 0
		.amdhsa_exception_int_div_zero 0
	.end_amdhsa_kernel
	.section	.text._ZN7rocprim17ROCPRIM_400000_NS6detail17trampoline_kernelINS0_14default_configENS1_38merge_sort_block_merge_config_selectorIiNS0_10empty_typeEEEZZNS1_27merge_sort_block_merge_implIS3_N6thrust23THRUST_200600_302600_NS6detail15normal_iteratorINS9_10device_ptrIiEEEEPS5_jNS1_19radix_merge_compareILb0ELb1EiNS0_19identity_decomposerEEEEE10hipError_tT0_T1_T2_jT3_P12ihipStream_tbPNSt15iterator_traitsISK_E10value_typeEPNSQ_ISL_E10value_typeEPSM_NS1_7vsmem_tEENKUlT_SK_SL_SM_E_clISE_PiSF_SF_EESJ_SZ_SK_SL_SM_EUlSZ_E0_NS1_11comp_targetILNS1_3genE10ELNS1_11target_archE1201ELNS1_3gpuE5ELNS1_3repE0EEENS1_38merge_mergepath_config_static_selectorELNS0_4arch9wavefront6targetE1EEEvSL_,"axG",@progbits,_ZN7rocprim17ROCPRIM_400000_NS6detail17trampoline_kernelINS0_14default_configENS1_38merge_sort_block_merge_config_selectorIiNS0_10empty_typeEEEZZNS1_27merge_sort_block_merge_implIS3_N6thrust23THRUST_200600_302600_NS6detail15normal_iteratorINS9_10device_ptrIiEEEEPS5_jNS1_19radix_merge_compareILb0ELb1EiNS0_19identity_decomposerEEEEE10hipError_tT0_T1_T2_jT3_P12ihipStream_tbPNSt15iterator_traitsISK_E10value_typeEPNSQ_ISL_E10value_typeEPSM_NS1_7vsmem_tEENKUlT_SK_SL_SM_E_clISE_PiSF_SF_EESJ_SZ_SK_SL_SM_EUlSZ_E0_NS1_11comp_targetILNS1_3genE10ELNS1_11target_archE1201ELNS1_3gpuE5ELNS1_3repE0EEENS1_38merge_mergepath_config_static_selectorELNS0_4arch9wavefront6targetE1EEEvSL_,comdat
.Lfunc_end1704:
	.size	_ZN7rocprim17ROCPRIM_400000_NS6detail17trampoline_kernelINS0_14default_configENS1_38merge_sort_block_merge_config_selectorIiNS0_10empty_typeEEEZZNS1_27merge_sort_block_merge_implIS3_N6thrust23THRUST_200600_302600_NS6detail15normal_iteratorINS9_10device_ptrIiEEEEPS5_jNS1_19radix_merge_compareILb0ELb1EiNS0_19identity_decomposerEEEEE10hipError_tT0_T1_T2_jT3_P12ihipStream_tbPNSt15iterator_traitsISK_E10value_typeEPNSQ_ISL_E10value_typeEPSM_NS1_7vsmem_tEENKUlT_SK_SL_SM_E_clISE_PiSF_SF_EESJ_SZ_SK_SL_SM_EUlSZ_E0_NS1_11comp_targetILNS1_3genE10ELNS1_11target_archE1201ELNS1_3gpuE5ELNS1_3repE0EEENS1_38merge_mergepath_config_static_selectorELNS0_4arch9wavefront6targetE1EEEvSL_, .Lfunc_end1704-_ZN7rocprim17ROCPRIM_400000_NS6detail17trampoline_kernelINS0_14default_configENS1_38merge_sort_block_merge_config_selectorIiNS0_10empty_typeEEEZZNS1_27merge_sort_block_merge_implIS3_N6thrust23THRUST_200600_302600_NS6detail15normal_iteratorINS9_10device_ptrIiEEEEPS5_jNS1_19radix_merge_compareILb0ELb1EiNS0_19identity_decomposerEEEEE10hipError_tT0_T1_T2_jT3_P12ihipStream_tbPNSt15iterator_traitsISK_E10value_typeEPNSQ_ISL_E10value_typeEPSM_NS1_7vsmem_tEENKUlT_SK_SL_SM_E_clISE_PiSF_SF_EESJ_SZ_SK_SL_SM_EUlSZ_E0_NS1_11comp_targetILNS1_3genE10ELNS1_11target_archE1201ELNS1_3gpuE5ELNS1_3repE0EEENS1_38merge_mergepath_config_static_selectorELNS0_4arch9wavefront6targetE1EEEvSL_
                                        ; -- End function
	.section	.AMDGPU.csdata,"",@progbits
; Kernel info:
; codeLenInByte = 0
; NumSgprs: 4
; NumVgprs: 0
; NumAgprs: 0
; TotalNumVgprs: 0
; ScratchSize: 0
; MemoryBound: 0
; FloatMode: 240
; IeeeMode: 1
; LDSByteSize: 0 bytes/workgroup (compile time only)
; SGPRBlocks: 0
; VGPRBlocks: 0
; NumSGPRsForWavesPerEU: 4
; NumVGPRsForWavesPerEU: 1
; AccumOffset: 4
; Occupancy: 8
; WaveLimiterHint : 0
; COMPUTE_PGM_RSRC2:SCRATCH_EN: 0
; COMPUTE_PGM_RSRC2:USER_SGPR: 6
; COMPUTE_PGM_RSRC2:TRAP_HANDLER: 0
; COMPUTE_PGM_RSRC2:TGID_X_EN: 1
; COMPUTE_PGM_RSRC2:TGID_Y_EN: 0
; COMPUTE_PGM_RSRC2:TGID_Z_EN: 0
; COMPUTE_PGM_RSRC2:TIDIG_COMP_CNT: 0
; COMPUTE_PGM_RSRC3_GFX90A:ACCUM_OFFSET: 0
; COMPUTE_PGM_RSRC3_GFX90A:TG_SPLIT: 0
	.section	.text._ZN7rocprim17ROCPRIM_400000_NS6detail17trampoline_kernelINS0_14default_configENS1_38merge_sort_block_merge_config_selectorIiNS0_10empty_typeEEEZZNS1_27merge_sort_block_merge_implIS3_N6thrust23THRUST_200600_302600_NS6detail15normal_iteratorINS9_10device_ptrIiEEEEPS5_jNS1_19radix_merge_compareILb0ELb1EiNS0_19identity_decomposerEEEEE10hipError_tT0_T1_T2_jT3_P12ihipStream_tbPNSt15iterator_traitsISK_E10value_typeEPNSQ_ISL_E10value_typeEPSM_NS1_7vsmem_tEENKUlT_SK_SL_SM_E_clISE_PiSF_SF_EESJ_SZ_SK_SL_SM_EUlSZ_E0_NS1_11comp_targetILNS1_3genE5ELNS1_11target_archE942ELNS1_3gpuE9ELNS1_3repE0EEENS1_38merge_mergepath_config_static_selectorELNS0_4arch9wavefront6targetE1EEEvSL_,"axG",@progbits,_ZN7rocprim17ROCPRIM_400000_NS6detail17trampoline_kernelINS0_14default_configENS1_38merge_sort_block_merge_config_selectorIiNS0_10empty_typeEEEZZNS1_27merge_sort_block_merge_implIS3_N6thrust23THRUST_200600_302600_NS6detail15normal_iteratorINS9_10device_ptrIiEEEEPS5_jNS1_19radix_merge_compareILb0ELb1EiNS0_19identity_decomposerEEEEE10hipError_tT0_T1_T2_jT3_P12ihipStream_tbPNSt15iterator_traitsISK_E10value_typeEPNSQ_ISL_E10value_typeEPSM_NS1_7vsmem_tEENKUlT_SK_SL_SM_E_clISE_PiSF_SF_EESJ_SZ_SK_SL_SM_EUlSZ_E0_NS1_11comp_targetILNS1_3genE5ELNS1_11target_archE942ELNS1_3gpuE9ELNS1_3repE0EEENS1_38merge_mergepath_config_static_selectorELNS0_4arch9wavefront6targetE1EEEvSL_,comdat
	.protected	_ZN7rocprim17ROCPRIM_400000_NS6detail17trampoline_kernelINS0_14default_configENS1_38merge_sort_block_merge_config_selectorIiNS0_10empty_typeEEEZZNS1_27merge_sort_block_merge_implIS3_N6thrust23THRUST_200600_302600_NS6detail15normal_iteratorINS9_10device_ptrIiEEEEPS5_jNS1_19radix_merge_compareILb0ELb1EiNS0_19identity_decomposerEEEEE10hipError_tT0_T1_T2_jT3_P12ihipStream_tbPNSt15iterator_traitsISK_E10value_typeEPNSQ_ISL_E10value_typeEPSM_NS1_7vsmem_tEENKUlT_SK_SL_SM_E_clISE_PiSF_SF_EESJ_SZ_SK_SL_SM_EUlSZ_E0_NS1_11comp_targetILNS1_3genE5ELNS1_11target_archE942ELNS1_3gpuE9ELNS1_3repE0EEENS1_38merge_mergepath_config_static_selectorELNS0_4arch9wavefront6targetE1EEEvSL_ ; -- Begin function _ZN7rocprim17ROCPRIM_400000_NS6detail17trampoline_kernelINS0_14default_configENS1_38merge_sort_block_merge_config_selectorIiNS0_10empty_typeEEEZZNS1_27merge_sort_block_merge_implIS3_N6thrust23THRUST_200600_302600_NS6detail15normal_iteratorINS9_10device_ptrIiEEEEPS5_jNS1_19radix_merge_compareILb0ELb1EiNS0_19identity_decomposerEEEEE10hipError_tT0_T1_T2_jT3_P12ihipStream_tbPNSt15iterator_traitsISK_E10value_typeEPNSQ_ISL_E10value_typeEPSM_NS1_7vsmem_tEENKUlT_SK_SL_SM_E_clISE_PiSF_SF_EESJ_SZ_SK_SL_SM_EUlSZ_E0_NS1_11comp_targetILNS1_3genE5ELNS1_11target_archE942ELNS1_3gpuE9ELNS1_3repE0EEENS1_38merge_mergepath_config_static_selectorELNS0_4arch9wavefront6targetE1EEEvSL_
	.globl	_ZN7rocprim17ROCPRIM_400000_NS6detail17trampoline_kernelINS0_14default_configENS1_38merge_sort_block_merge_config_selectorIiNS0_10empty_typeEEEZZNS1_27merge_sort_block_merge_implIS3_N6thrust23THRUST_200600_302600_NS6detail15normal_iteratorINS9_10device_ptrIiEEEEPS5_jNS1_19radix_merge_compareILb0ELb1EiNS0_19identity_decomposerEEEEE10hipError_tT0_T1_T2_jT3_P12ihipStream_tbPNSt15iterator_traitsISK_E10value_typeEPNSQ_ISL_E10value_typeEPSM_NS1_7vsmem_tEENKUlT_SK_SL_SM_E_clISE_PiSF_SF_EESJ_SZ_SK_SL_SM_EUlSZ_E0_NS1_11comp_targetILNS1_3genE5ELNS1_11target_archE942ELNS1_3gpuE9ELNS1_3repE0EEENS1_38merge_mergepath_config_static_selectorELNS0_4arch9wavefront6targetE1EEEvSL_
	.p2align	8
	.type	_ZN7rocprim17ROCPRIM_400000_NS6detail17trampoline_kernelINS0_14default_configENS1_38merge_sort_block_merge_config_selectorIiNS0_10empty_typeEEEZZNS1_27merge_sort_block_merge_implIS3_N6thrust23THRUST_200600_302600_NS6detail15normal_iteratorINS9_10device_ptrIiEEEEPS5_jNS1_19radix_merge_compareILb0ELb1EiNS0_19identity_decomposerEEEEE10hipError_tT0_T1_T2_jT3_P12ihipStream_tbPNSt15iterator_traitsISK_E10value_typeEPNSQ_ISL_E10value_typeEPSM_NS1_7vsmem_tEENKUlT_SK_SL_SM_E_clISE_PiSF_SF_EESJ_SZ_SK_SL_SM_EUlSZ_E0_NS1_11comp_targetILNS1_3genE5ELNS1_11target_archE942ELNS1_3gpuE9ELNS1_3repE0EEENS1_38merge_mergepath_config_static_selectorELNS0_4arch9wavefront6targetE1EEEvSL_,@function
_ZN7rocprim17ROCPRIM_400000_NS6detail17trampoline_kernelINS0_14default_configENS1_38merge_sort_block_merge_config_selectorIiNS0_10empty_typeEEEZZNS1_27merge_sort_block_merge_implIS3_N6thrust23THRUST_200600_302600_NS6detail15normal_iteratorINS9_10device_ptrIiEEEEPS5_jNS1_19radix_merge_compareILb0ELb1EiNS0_19identity_decomposerEEEEE10hipError_tT0_T1_T2_jT3_P12ihipStream_tbPNSt15iterator_traitsISK_E10value_typeEPNSQ_ISL_E10value_typeEPSM_NS1_7vsmem_tEENKUlT_SK_SL_SM_E_clISE_PiSF_SF_EESJ_SZ_SK_SL_SM_EUlSZ_E0_NS1_11comp_targetILNS1_3genE5ELNS1_11target_archE942ELNS1_3gpuE9ELNS1_3repE0EEENS1_38merge_mergepath_config_static_selectorELNS0_4arch9wavefront6targetE1EEEvSL_: ; @_ZN7rocprim17ROCPRIM_400000_NS6detail17trampoline_kernelINS0_14default_configENS1_38merge_sort_block_merge_config_selectorIiNS0_10empty_typeEEEZZNS1_27merge_sort_block_merge_implIS3_N6thrust23THRUST_200600_302600_NS6detail15normal_iteratorINS9_10device_ptrIiEEEEPS5_jNS1_19radix_merge_compareILb0ELb1EiNS0_19identity_decomposerEEEEE10hipError_tT0_T1_T2_jT3_P12ihipStream_tbPNSt15iterator_traitsISK_E10value_typeEPNSQ_ISL_E10value_typeEPSM_NS1_7vsmem_tEENKUlT_SK_SL_SM_E_clISE_PiSF_SF_EESJ_SZ_SK_SL_SM_EUlSZ_E0_NS1_11comp_targetILNS1_3genE5ELNS1_11target_archE942ELNS1_3gpuE9ELNS1_3repE0EEENS1_38merge_mergepath_config_static_selectorELNS0_4arch9wavefront6targetE1EEEvSL_
; %bb.0:
	.section	.rodata,"a",@progbits
	.p2align	6, 0x0
	.amdhsa_kernel _ZN7rocprim17ROCPRIM_400000_NS6detail17trampoline_kernelINS0_14default_configENS1_38merge_sort_block_merge_config_selectorIiNS0_10empty_typeEEEZZNS1_27merge_sort_block_merge_implIS3_N6thrust23THRUST_200600_302600_NS6detail15normal_iteratorINS9_10device_ptrIiEEEEPS5_jNS1_19radix_merge_compareILb0ELb1EiNS0_19identity_decomposerEEEEE10hipError_tT0_T1_T2_jT3_P12ihipStream_tbPNSt15iterator_traitsISK_E10value_typeEPNSQ_ISL_E10value_typeEPSM_NS1_7vsmem_tEENKUlT_SK_SL_SM_E_clISE_PiSF_SF_EESJ_SZ_SK_SL_SM_EUlSZ_E0_NS1_11comp_targetILNS1_3genE5ELNS1_11target_archE942ELNS1_3gpuE9ELNS1_3repE0EEENS1_38merge_mergepath_config_static_selectorELNS0_4arch9wavefront6targetE1EEEvSL_
		.amdhsa_group_segment_fixed_size 0
		.amdhsa_private_segment_fixed_size 0
		.amdhsa_kernarg_size 64
		.amdhsa_user_sgpr_count 6
		.amdhsa_user_sgpr_private_segment_buffer 1
		.amdhsa_user_sgpr_dispatch_ptr 0
		.amdhsa_user_sgpr_queue_ptr 0
		.amdhsa_user_sgpr_kernarg_segment_ptr 1
		.amdhsa_user_sgpr_dispatch_id 0
		.amdhsa_user_sgpr_flat_scratch_init 0
		.amdhsa_user_sgpr_kernarg_preload_length 0
		.amdhsa_user_sgpr_kernarg_preload_offset 0
		.amdhsa_user_sgpr_private_segment_size 0
		.amdhsa_uses_dynamic_stack 0
		.amdhsa_system_sgpr_private_segment_wavefront_offset 0
		.amdhsa_system_sgpr_workgroup_id_x 1
		.amdhsa_system_sgpr_workgroup_id_y 0
		.amdhsa_system_sgpr_workgroup_id_z 0
		.amdhsa_system_sgpr_workgroup_info 0
		.amdhsa_system_vgpr_workitem_id 0
		.amdhsa_next_free_vgpr 1
		.amdhsa_next_free_sgpr 0
		.amdhsa_accum_offset 4
		.amdhsa_reserve_vcc 0
		.amdhsa_reserve_flat_scratch 0
		.amdhsa_float_round_mode_32 0
		.amdhsa_float_round_mode_16_64 0
		.amdhsa_float_denorm_mode_32 3
		.amdhsa_float_denorm_mode_16_64 3
		.amdhsa_dx10_clamp 1
		.amdhsa_ieee_mode 1
		.amdhsa_fp16_overflow 0
		.amdhsa_tg_split 0
		.amdhsa_exception_fp_ieee_invalid_op 0
		.amdhsa_exception_fp_denorm_src 0
		.amdhsa_exception_fp_ieee_div_zero 0
		.amdhsa_exception_fp_ieee_overflow 0
		.amdhsa_exception_fp_ieee_underflow 0
		.amdhsa_exception_fp_ieee_inexact 0
		.amdhsa_exception_int_div_zero 0
	.end_amdhsa_kernel
	.section	.text._ZN7rocprim17ROCPRIM_400000_NS6detail17trampoline_kernelINS0_14default_configENS1_38merge_sort_block_merge_config_selectorIiNS0_10empty_typeEEEZZNS1_27merge_sort_block_merge_implIS3_N6thrust23THRUST_200600_302600_NS6detail15normal_iteratorINS9_10device_ptrIiEEEEPS5_jNS1_19radix_merge_compareILb0ELb1EiNS0_19identity_decomposerEEEEE10hipError_tT0_T1_T2_jT3_P12ihipStream_tbPNSt15iterator_traitsISK_E10value_typeEPNSQ_ISL_E10value_typeEPSM_NS1_7vsmem_tEENKUlT_SK_SL_SM_E_clISE_PiSF_SF_EESJ_SZ_SK_SL_SM_EUlSZ_E0_NS1_11comp_targetILNS1_3genE5ELNS1_11target_archE942ELNS1_3gpuE9ELNS1_3repE0EEENS1_38merge_mergepath_config_static_selectorELNS0_4arch9wavefront6targetE1EEEvSL_,"axG",@progbits,_ZN7rocprim17ROCPRIM_400000_NS6detail17trampoline_kernelINS0_14default_configENS1_38merge_sort_block_merge_config_selectorIiNS0_10empty_typeEEEZZNS1_27merge_sort_block_merge_implIS3_N6thrust23THRUST_200600_302600_NS6detail15normal_iteratorINS9_10device_ptrIiEEEEPS5_jNS1_19radix_merge_compareILb0ELb1EiNS0_19identity_decomposerEEEEE10hipError_tT0_T1_T2_jT3_P12ihipStream_tbPNSt15iterator_traitsISK_E10value_typeEPNSQ_ISL_E10value_typeEPSM_NS1_7vsmem_tEENKUlT_SK_SL_SM_E_clISE_PiSF_SF_EESJ_SZ_SK_SL_SM_EUlSZ_E0_NS1_11comp_targetILNS1_3genE5ELNS1_11target_archE942ELNS1_3gpuE9ELNS1_3repE0EEENS1_38merge_mergepath_config_static_selectorELNS0_4arch9wavefront6targetE1EEEvSL_,comdat
.Lfunc_end1705:
	.size	_ZN7rocprim17ROCPRIM_400000_NS6detail17trampoline_kernelINS0_14default_configENS1_38merge_sort_block_merge_config_selectorIiNS0_10empty_typeEEEZZNS1_27merge_sort_block_merge_implIS3_N6thrust23THRUST_200600_302600_NS6detail15normal_iteratorINS9_10device_ptrIiEEEEPS5_jNS1_19radix_merge_compareILb0ELb1EiNS0_19identity_decomposerEEEEE10hipError_tT0_T1_T2_jT3_P12ihipStream_tbPNSt15iterator_traitsISK_E10value_typeEPNSQ_ISL_E10value_typeEPSM_NS1_7vsmem_tEENKUlT_SK_SL_SM_E_clISE_PiSF_SF_EESJ_SZ_SK_SL_SM_EUlSZ_E0_NS1_11comp_targetILNS1_3genE5ELNS1_11target_archE942ELNS1_3gpuE9ELNS1_3repE0EEENS1_38merge_mergepath_config_static_selectorELNS0_4arch9wavefront6targetE1EEEvSL_, .Lfunc_end1705-_ZN7rocprim17ROCPRIM_400000_NS6detail17trampoline_kernelINS0_14default_configENS1_38merge_sort_block_merge_config_selectorIiNS0_10empty_typeEEEZZNS1_27merge_sort_block_merge_implIS3_N6thrust23THRUST_200600_302600_NS6detail15normal_iteratorINS9_10device_ptrIiEEEEPS5_jNS1_19radix_merge_compareILb0ELb1EiNS0_19identity_decomposerEEEEE10hipError_tT0_T1_T2_jT3_P12ihipStream_tbPNSt15iterator_traitsISK_E10value_typeEPNSQ_ISL_E10value_typeEPSM_NS1_7vsmem_tEENKUlT_SK_SL_SM_E_clISE_PiSF_SF_EESJ_SZ_SK_SL_SM_EUlSZ_E0_NS1_11comp_targetILNS1_3genE5ELNS1_11target_archE942ELNS1_3gpuE9ELNS1_3repE0EEENS1_38merge_mergepath_config_static_selectorELNS0_4arch9wavefront6targetE1EEEvSL_
                                        ; -- End function
	.section	.AMDGPU.csdata,"",@progbits
; Kernel info:
; codeLenInByte = 0
; NumSgprs: 4
; NumVgprs: 0
; NumAgprs: 0
; TotalNumVgprs: 0
; ScratchSize: 0
; MemoryBound: 0
; FloatMode: 240
; IeeeMode: 1
; LDSByteSize: 0 bytes/workgroup (compile time only)
; SGPRBlocks: 0
; VGPRBlocks: 0
; NumSGPRsForWavesPerEU: 4
; NumVGPRsForWavesPerEU: 1
; AccumOffset: 4
; Occupancy: 8
; WaveLimiterHint : 0
; COMPUTE_PGM_RSRC2:SCRATCH_EN: 0
; COMPUTE_PGM_RSRC2:USER_SGPR: 6
; COMPUTE_PGM_RSRC2:TRAP_HANDLER: 0
; COMPUTE_PGM_RSRC2:TGID_X_EN: 1
; COMPUTE_PGM_RSRC2:TGID_Y_EN: 0
; COMPUTE_PGM_RSRC2:TGID_Z_EN: 0
; COMPUTE_PGM_RSRC2:TIDIG_COMP_CNT: 0
; COMPUTE_PGM_RSRC3_GFX90A:ACCUM_OFFSET: 0
; COMPUTE_PGM_RSRC3_GFX90A:TG_SPLIT: 0
	.section	.text._ZN7rocprim17ROCPRIM_400000_NS6detail17trampoline_kernelINS0_14default_configENS1_38merge_sort_block_merge_config_selectorIiNS0_10empty_typeEEEZZNS1_27merge_sort_block_merge_implIS3_N6thrust23THRUST_200600_302600_NS6detail15normal_iteratorINS9_10device_ptrIiEEEEPS5_jNS1_19radix_merge_compareILb0ELb1EiNS0_19identity_decomposerEEEEE10hipError_tT0_T1_T2_jT3_P12ihipStream_tbPNSt15iterator_traitsISK_E10value_typeEPNSQ_ISL_E10value_typeEPSM_NS1_7vsmem_tEENKUlT_SK_SL_SM_E_clISE_PiSF_SF_EESJ_SZ_SK_SL_SM_EUlSZ_E0_NS1_11comp_targetILNS1_3genE4ELNS1_11target_archE910ELNS1_3gpuE8ELNS1_3repE0EEENS1_38merge_mergepath_config_static_selectorELNS0_4arch9wavefront6targetE1EEEvSL_,"axG",@progbits,_ZN7rocprim17ROCPRIM_400000_NS6detail17trampoline_kernelINS0_14default_configENS1_38merge_sort_block_merge_config_selectorIiNS0_10empty_typeEEEZZNS1_27merge_sort_block_merge_implIS3_N6thrust23THRUST_200600_302600_NS6detail15normal_iteratorINS9_10device_ptrIiEEEEPS5_jNS1_19radix_merge_compareILb0ELb1EiNS0_19identity_decomposerEEEEE10hipError_tT0_T1_T2_jT3_P12ihipStream_tbPNSt15iterator_traitsISK_E10value_typeEPNSQ_ISL_E10value_typeEPSM_NS1_7vsmem_tEENKUlT_SK_SL_SM_E_clISE_PiSF_SF_EESJ_SZ_SK_SL_SM_EUlSZ_E0_NS1_11comp_targetILNS1_3genE4ELNS1_11target_archE910ELNS1_3gpuE8ELNS1_3repE0EEENS1_38merge_mergepath_config_static_selectorELNS0_4arch9wavefront6targetE1EEEvSL_,comdat
	.protected	_ZN7rocprim17ROCPRIM_400000_NS6detail17trampoline_kernelINS0_14default_configENS1_38merge_sort_block_merge_config_selectorIiNS0_10empty_typeEEEZZNS1_27merge_sort_block_merge_implIS3_N6thrust23THRUST_200600_302600_NS6detail15normal_iteratorINS9_10device_ptrIiEEEEPS5_jNS1_19radix_merge_compareILb0ELb1EiNS0_19identity_decomposerEEEEE10hipError_tT0_T1_T2_jT3_P12ihipStream_tbPNSt15iterator_traitsISK_E10value_typeEPNSQ_ISL_E10value_typeEPSM_NS1_7vsmem_tEENKUlT_SK_SL_SM_E_clISE_PiSF_SF_EESJ_SZ_SK_SL_SM_EUlSZ_E0_NS1_11comp_targetILNS1_3genE4ELNS1_11target_archE910ELNS1_3gpuE8ELNS1_3repE0EEENS1_38merge_mergepath_config_static_selectorELNS0_4arch9wavefront6targetE1EEEvSL_ ; -- Begin function _ZN7rocprim17ROCPRIM_400000_NS6detail17trampoline_kernelINS0_14default_configENS1_38merge_sort_block_merge_config_selectorIiNS0_10empty_typeEEEZZNS1_27merge_sort_block_merge_implIS3_N6thrust23THRUST_200600_302600_NS6detail15normal_iteratorINS9_10device_ptrIiEEEEPS5_jNS1_19radix_merge_compareILb0ELb1EiNS0_19identity_decomposerEEEEE10hipError_tT0_T1_T2_jT3_P12ihipStream_tbPNSt15iterator_traitsISK_E10value_typeEPNSQ_ISL_E10value_typeEPSM_NS1_7vsmem_tEENKUlT_SK_SL_SM_E_clISE_PiSF_SF_EESJ_SZ_SK_SL_SM_EUlSZ_E0_NS1_11comp_targetILNS1_3genE4ELNS1_11target_archE910ELNS1_3gpuE8ELNS1_3repE0EEENS1_38merge_mergepath_config_static_selectorELNS0_4arch9wavefront6targetE1EEEvSL_
	.globl	_ZN7rocprim17ROCPRIM_400000_NS6detail17trampoline_kernelINS0_14default_configENS1_38merge_sort_block_merge_config_selectorIiNS0_10empty_typeEEEZZNS1_27merge_sort_block_merge_implIS3_N6thrust23THRUST_200600_302600_NS6detail15normal_iteratorINS9_10device_ptrIiEEEEPS5_jNS1_19radix_merge_compareILb0ELb1EiNS0_19identity_decomposerEEEEE10hipError_tT0_T1_T2_jT3_P12ihipStream_tbPNSt15iterator_traitsISK_E10value_typeEPNSQ_ISL_E10value_typeEPSM_NS1_7vsmem_tEENKUlT_SK_SL_SM_E_clISE_PiSF_SF_EESJ_SZ_SK_SL_SM_EUlSZ_E0_NS1_11comp_targetILNS1_3genE4ELNS1_11target_archE910ELNS1_3gpuE8ELNS1_3repE0EEENS1_38merge_mergepath_config_static_selectorELNS0_4arch9wavefront6targetE1EEEvSL_
	.p2align	8
	.type	_ZN7rocprim17ROCPRIM_400000_NS6detail17trampoline_kernelINS0_14default_configENS1_38merge_sort_block_merge_config_selectorIiNS0_10empty_typeEEEZZNS1_27merge_sort_block_merge_implIS3_N6thrust23THRUST_200600_302600_NS6detail15normal_iteratorINS9_10device_ptrIiEEEEPS5_jNS1_19radix_merge_compareILb0ELb1EiNS0_19identity_decomposerEEEEE10hipError_tT0_T1_T2_jT3_P12ihipStream_tbPNSt15iterator_traitsISK_E10value_typeEPNSQ_ISL_E10value_typeEPSM_NS1_7vsmem_tEENKUlT_SK_SL_SM_E_clISE_PiSF_SF_EESJ_SZ_SK_SL_SM_EUlSZ_E0_NS1_11comp_targetILNS1_3genE4ELNS1_11target_archE910ELNS1_3gpuE8ELNS1_3repE0EEENS1_38merge_mergepath_config_static_selectorELNS0_4arch9wavefront6targetE1EEEvSL_,@function
_ZN7rocprim17ROCPRIM_400000_NS6detail17trampoline_kernelINS0_14default_configENS1_38merge_sort_block_merge_config_selectorIiNS0_10empty_typeEEEZZNS1_27merge_sort_block_merge_implIS3_N6thrust23THRUST_200600_302600_NS6detail15normal_iteratorINS9_10device_ptrIiEEEEPS5_jNS1_19radix_merge_compareILb0ELb1EiNS0_19identity_decomposerEEEEE10hipError_tT0_T1_T2_jT3_P12ihipStream_tbPNSt15iterator_traitsISK_E10value_typeEPNSQ_ISL_E10value_typeEPSM_NS1_7vsmem_tEENKUlT_SK_SL_SM_E_clISE_PiSF_SF_EESJ_SZ_SK_SL_SM_EUlSZ_E0_NS1_11comp_targetILNS1_3genE4ELNS1_11target_archE910ELNS1_3gpuE8ELNS1_3repE0EEENS1_38merge_mergepath_config_static_selectorELNS0_4arch9wavefront6targetE1EEEvSL_: ; @_ZN7rocprim17ROCPRIM_400000_NS6detail17trampoline_kernelINS0_14default_configENS1_38merge_sort_block_merge_config_selectorIiNS0_10empty_typeEEEZZNS1_27merge_sort_block_merge_implIS3_N6thrust23THRUST_200600_302600_NS6detail15normal_iteratorINS9_10device_ptrIiEEEEPS5_jNS1_19radix_merge_compareILb0ELb1EiNS0_19identity_decomposerEEEEE10hipError_tT0_T1_T2_jT3_P12ihipStream_tbPNSt15iterator_traitsISK_E10value_typeEPNSQ_ISL_E10value_typeEPSM_NS1_7vsmem_tEENKUlT_SK_SL_SM_E_clISE_PiSF_SF_EESJ_SZ_SK_SL_SM_EUlSZ_E0_NS1_11comp_targetILNS1_3genE4ELNS1_11target_archE910ELNS1_3gpuE8ELNS1_3repE0EEENS1_38merge_mergepath_config_static_selectorELNS0_4arch9wavefront6targetE1EEEvSL_
; %bb.0:
	s_load_dwordx2 s[10:11], s[4:5], 0x40
	s_load_dwordx2 s[16:17], s[4:5], 0x30
	s_add_u32 s0, s4, 64
	s_addc_u32 s1, s5, 0
	s_waitcnt lgkmcnt(0)
	s_mul_i32 s2, s11, s8
	s_add_i32 s2, s2, s7
	s_mul_i32 s2, s2, s10
	s_add_i32 s2, s2, s6
	s_cmp_ge_u32 s2, s16
	s_cbranch_scc1 .LBB1706_43
; %bb.1:
	s_load_dwordx2 s[14:15], s[4:5], 0x28
	s_load_dwordx2 s[8:9], s[4:5], 0x38
	s_load_dwordx2 s[12:13], s[4:5], 0x8
	s_mov_b32 s3, 0
	v_mov_b32_e32 v9, 0
	s_waitcnt lgkmcnt(0)
	s_lshr_b32 s22, s14, 10
	s_cmp_lg_u32 s2, s22
	s_cselect_b64 s[18:19], -1, 0
	s_lshl_b64 s[20:21], s[2:3], 2
	s_add_u32 s8, s8, s20
	s_addc_u32 s9, s9, s21
	s_lshr_b32 s7, s15, 9
	s_and_b32 s7, s7, 0x7ffffe
	s_load_dwordx2 s[8:9], s[8:9], 0x0
	s_sub_i32 s7, 0, s7
	s_and_b32 s11, s2, s7
	s_lshl_b32 s21, s11, 10
	s_lshl_b32 s16, s2, 10
	;; [unrolled: 1-line block ×3, first 2 shown]
	s_sub_i32 s20, s16, s21
	s_add_i32 s11, s11, s15
	s_add_i32 s23, s11, s20
	s_waitcnt lgkmcnt(0)
	s_sub_i32 s20, s23, s8
	s_sub_i32 s23, s23, s9
	;; [unrolled: 1-line block ×3, first 2 shown]
	s_min_u32 s20, s14, s20
	s_addk_i32 s23, 0x400
	s_or_b32 s7, s2, s7
	s_min_u32 s21, s14, s11
	s_add_i32 s11, s11, s15
	s_cmp_eq_u32 s7, -1
	s_cselect_b32 s7, s11, s23
	s_cselect_b32 s9, s21, s9
	s_min_u32 s7, s7, s14
	s_sub_i32 s15, s9, s8
	s_mov_b32 s9, s3
	s_sub_i32 s7, s7, s20
	s_lshl_b64 s[8:9], s[8:9], 2
	s_add_u32 s8, s12, s8
	s_mov_b32 s21, s3
	s_addc_u32 s9, s13, s9
	s_lshl_b64 s[20:21], s[20:21], 2
	s_add_u32 s11, s12, s20
	s_addc_u32 s12, s13, s21
	s_cmp_lt_u32 s6, s10
	s_cselect_b32 s3, 12, 18
	global_load_dword v1, v9, s[0:1] offset:14
	s_add_u32 s0, s0, s3
	s_addc_u32 s1, s1, 0
	global_load_ushort v2, v9, s[0:1]
	s_cmp_eq_u32 s2, s22
	s_waitcnt vmcnt(1)
	v_lshrrev_b32_e32 v3, 16, v1
	v_and_b32_e32 v1, 0xffff, v1
	v_mul_lo_u32 v1, v1, v3
	s_waitcnt vmcnt(0)
	v_mul_lo_u32 v15, v1, v2
	v_add_u32_e32 v12, v15, v0
	v_lshlrev_b32_e32 v1, 2, v0
	v_add_u32_e32 v10, v12, v15
	s_cbranch_scc1 .LBB1706_3
; %bb.2:
	v_subrev_u32_e32 v8, s15, v0
	v_lshlrev_b64 v[2:3], 2, v[8:9]
	v_mov_b32_e32 v4, s12
	v_add_co_u32_e32 v2, vcc, s11, v2
	v_addc_co_u32_e32 v3, vcc, v4, v3, vcc
	v_mov_b32_e32 v4, s9
	v_add_co_u32_e32 v5, vcc, s8, v1
	v_addc_co_u32_e32 v4, vcc, 0, v4, vcc
	v_cmp_gt_u32_e32 vcc, s15, v0
	v_subrev_u32_e32 v8, s15, v12
	v_cndmask_b32_e32 v3, v3, v4, vcc
	v_cndmask_b32_e32 v2, v2, v5, vcc
	v_lshlrev_b64 v[4:5], 2, v[8:9]
	global_load_dword v2, v[2:3], off
	v_mov_b32_e32 v3, s12
	v_add_co_u32_e32 v6, vcc, s11, v4
	v_mov_b32_e32 v13, v9
	v_addc_co_u32_e32 v3, vcc, v3, v5, vcc
	v_lshlrev_b64 v[4:5], 2, v[12:13]
	v_mov_b32_e32 v7, s9
	v_add_co_u32_e32 v4, vcc, s8, v4
	v_addc_co_u32_e32 v5, vcc, v7, v5, vcc
	v_cmp_gt_u32_e32 vcc, s15, v12
	v_cndmask_b32_e32 v5, v3, v5, vcc
	v_cndmask_b32_e32 v4, v6, v4, vcc
	v_subrev_u32_e32 v8, s15, v10
	global_load_dword v3, v[4:5], off
	v_lshlrev_b64 v[4:5], 2, v[8:9]
	v_mov_b32_e32 v6, s12
	v_add_co_u32_e32 v7, vcc, s11, v4
	v_mov_b32_e32 v11, v9
	v_addc_co_u32_e32 v6, vcc, v6, v5, vcc
	v_lshlrev_b64 v[4:5], 2, v[10:11]
	v_mov_b32_e32 v8, s9
	v_add_co_u32_e32 v4, vcc, s8, v4
	v_addc_co_u32_e32 v5, vcc, v8, v5, vcc
	v_cmp_gt_u32_e32 vcc, s15, v10
	v_cndmask_b32_e32 v5, v6, v5, vcc
	v_add_u32_e32 v6, v10, v15
	v_subrev_u32_e32 v8, s15, v6
	v_cndmask_b32_e32 v4, v7, v4, vcc
	v_lshlrev_b64 v[16:17], 2, v[8:9]
	global_load_dword v4, v[4:5], off
	v_mov_b32_e32 v5, s12
	v_add_co_u32_e32 v8, vcc, s11, v16
	v_mov_b32_e32 v7, v9
	v_addc_co_u32_e32 v5, vcc, v5, v17, vcc
	v_lshlrev_b64 v[16:17], 2, v[6:7]
	v_mov_b32_e32 v7, s9
	v_add_co_u32_e32 v11, vcc, s8, v16
	v_addc_co_u32_e32 v7, vcc, v7, v17, vcc
	v_cmp_gt_u32_e32 vcc, s15, v6
	v_cndmask_b32_e32 v17, v5, v7, vcc
	v_cndmask_b32_e32 v16, v8, v11, vcc
	global_load_dword v5, v[16:17], off
	v_add_u32_e32 v16, v6, v15
	v_subrev_u32_e32 v8, s15, v16
	v_lshlrev_b64 v[6:7], 2, v[8:9]
	v_mov_b32_e32 v8, s12
	v_add_co_u32_e32 v11, vcc, s11, v6
	v_mov_b32_e32 v17, v9
	v_addc_co_u32_e32 v8, vcc, v8, v7, vcc
	v_lshlrev_b64 v[6:7], 2, v[16:17]
	v_mov_b32_e32 v13, s9
	v_add_co_u32_e32 v6, vcc, s8, v6
	v_addc_co_u32_e32 v7, vcc, v13, v7, vcc
	v_cmp_gt_u32_e32 vcc, s15, v16
	v_add_u32_e32 v16, v16, v15
	v_cndmask_b32_e32 v7, v8, v7, vcc
	v_subrev_u32_e32 v8, s15, v16
	v_cndmask_b32_e32 v6, v11, v6, vcc
	v_lshlrev_b64 v[18:19], 2, v[8:9]
	global_load_dword v6, v[6:7], off
	v_mov_b32_e32 v7, s12
	v_add_co_u32_e32 v8, vcc, s11, v18
	v_addc_co_u32_e32 v7, vcc, v7, v19, vcc
	v_lshlrev_b64 v[18:19], 2, v[16:17]
	v_mov_b32_e32 v11, s9
	v_add_co_u32_e32 v13, vcc, s8, v18
	v_addc_co_u32_e32 v11, vcc, v11, v19, vcc
	v_cmp_gt_u32_e32 vcc, s15, v16
	v_add_u32_e32 v16, v16, v15
	v_cndmask_b32_e32 v19, v7, v11, vcc
	v_cndmask_b32_e32 v18, v8, v13, vcc
	v_subrev_u32_e32 v8, s15, v16
	global_load_dword v7, v[18:19], off
	v_lshlrev_b64 v[18:19], 2, v[8:9]
	v_mov_b32_e32 v8, s12
	v_add_co_u32_e32 v11, vcc, s11, v18
	v_addc_co_u32_e32 v13, vcc, v8, v19, vcc
	v_lshlrev_b64 v[8:9], 2, v[16:17]
	v_mov_b32_e32 v14, s9
	v_add_co_u32_e32 v8, vcc, s8, v8
	v_addc_co_u32_e32 v9, vcc, v14, v9, vcc
	v_cmp_gt_u32_e32 vcc, s15, v16
	v_cndmask_b32_e32 v9, v13, v9, vcc
	v_cndmask_b32_e32 v8, v11, v8, vcc
	global_load_dword v8, v[8:9], off
	v_add_u32_e32 v14, v16, v15
	s_add_i32 s6, s7, s15
	s_mov_b64 s[0:1], -1
	s_cbranch_execz .LBB1706_4
	s_branch .LBB1706_17
.LBB1706_3:
	s_mov_b64 s[0:1], 0
                                        ; implicit-def: $vgpr14
                                        ; implicit-def: $vgpr2_vgpr3_vgpr4_vgpr5_vgpr6_vgpr7_vgpr8_vgpr9
                                        ; implicit-def: $sgpr6
.LBB1706_4:
	s_add_i32 s6, s7, s15
	v_cmp_gt_u32_e32 vcc, s6, v0
                                        ; implicit-def: $vgpr2_vgpr3_vgpr4_vgpr5_vgpr6_vgpr7_vgpr8_vgpr9
	s_and_saveexec_b64 s[0:1], vcc
	s_cbranch_execnz .LBB1706_44
; %bb.5:
	s_or_b64 exec, exec, s[0:1]
	v_cmp_gt_u32_e32 vcc, s6, v12
	s_and_saveexec_b64 s[2:3], vcc
	s_cbranch_execnz .LBB1706_45
.LBB1706_6:
	s_or_b64 exec, exec, s[2:3]
	v_cmp_gt_u32_e32 vcc, s6, v10
	s_and_saveexec_b64 s[0:1], vcc
	s_cbranch_execz .LBB1706_8
.LBB1706_7:
	v_mov_b32_e32 v11, 0
	v_lshlrev_b64 v[12:13], 2, v[10:11]
	s_waitcnt vmcnt(4)
	v_mov_b32_e32 v4, s9
	v_add_co_u32_e32 v14, vcc, s8, v12
	v_addc_co_u32_e32 v4, vcc, v4, v13, vcc
	v_subrev_u32_e32 v12, s15, v10
	v_mov_b32_e32 v13, v11
	v_lshlrev_b64 v[12:13], 2, v[12:13]
	v_mov_b32_e32 v11, s12
	v_add_co_u32_e32 v12, vcc, s11, v12
	v_addc_co_u32_e32 v11, vcc, v11, v13, vcc
	v_cmp_gt_u32_e32 vcc, s15, v10
	v_cndmask_b32_e32 v13, v11, v4, vcc
	v_cndmask_b32_e32 v12, v12, v14, vcc
	global_load_dword v4, v[12:13], off
.LBB1706_8:
	s_or_b64 exec, exec, s[0:1]
	v_add_u32_e32 v10, v10, v15
	v_cmp_gt_u32_e32 vcc, s6, v10
	s_and_saveexec_b64 s[0:1], vcc
	s_cbranch_execz .LBB1706_10
; %bb.9:
	v_mov_b32_e32 v11, 0
	v_lshlrev_b64 v[12:13], 2, v[10:11]
	s_waitcnt vmcnt(3)
	v_mov_b32_e32 v5, s9
	v_add_co_u32_e32 v14, vcc, s8, v12
	v_addc_co_u32_e32 v5, vcc, v5, v13, vcc
	v_subrev_u32_e32 v12, s15, v10
	v_mov_b32_e32 v13, v11
	v_lshlrev_b64 v[12:13], 2, v[12:13]
	v_mov_b32_e32 v11, s12
	v_add_co_u32_e32 v12, vcc, s11, v12
	v_addc_co_u32_e32 v11, vcc, v11, v13, vcc
	v_cmp_gt_u32_e32 vcc, s15, v10
	v_cndmask_b32_e32 v13, v11, v5, vcc
	v_cndmask_b32_e32 v12, v12, v14, vcc
	global_load_dword v5, v[12:13], off
.LBB1706_10:
	s_or_b64 exec, exec, s[0:1]
	v_add_u32_e32 v10, v10, v15
	v_cmp_gt_u32_e32 vcc, s6, v10
	s_and_saveexec_b64 s[0:1], vcc
	s_cbranch_execz .LBB1706_12
; %bb.11:
	v_mov_b32_e32 v11, 0
	v_lshlrev_b64 v[12:13], 2, v[10:11]
	s_waitcnt vmcnt(2)
	v_mov_b32_e32 v6, s9
	v_add_co_u32_e32 v14, vcc, s8, v12
	v_addc_co_u32_e32 v6, vcc, v6, v13, vcc
	v_subrev_u32_e32 v12, s15, v10
	v_mov_b32_e32 v13, v11
	v_lshlrev_b64 v[12:13], 2, v[12:13]
	v_mov_b32_e32 v11, s12
	v_add_co_u32_e32 v12, vcc, s11, v12
	v_addc_co_u32_e32 v11, vcc, v11, v13, vcc
	v_cmp_gt_u32_e32 vcc, s15, v10
	v_cndmask_b32_e32 v13, v11, v6, vcc
	v_cndmask_b32_e32 v12, v12, v14, vcc
	global_load_dword v6, v[12:13], off
.LBB1706_12:
	;; [unrolled: 23-line block ×4, first 2 shown]
	s_or_b64 exec, exec, s[0:1]
	v_add_u32_e32 v14, v10, v15
	v_cmp_gt_u32_e64 s[0:1], s6, v14
.LBB1706_17:
	v_mov_b32_e32 v11, s6
	s_and_saveexec_b64 s[2:3], s[0:1]
	s_cbranch_execz .LBB1706_19
; %bb.18:
	v_subrev_u32_e32 v10, s15, v14
	v_mov_b32_e32 v11, 0
	v_lshlrev_b64 v[12:13], 2, v[10:11]
	v_mov_b32_e32 v9, s12
	v_add_co_u32_e32 v12, vcc, s11, v12
	v_mov_b32_e32 v15, v11
	v_addc_co_u32_e32 v9, vcc, v9, v13, vcc
	v_lshlrev_b64 v[10:11], 2, v[14:15]
	v_mov_b32_e32 v13, s9
	v_add_co_u32_e32 v10, vcc, s8, v10
	v_addc_co_u32_e32 v11, vcc, v13, v11, vcc
	v_cmp_gt_u32_e32 vcc, s15, v14
	v_cndmask_b32_e32 v11, v9, v11, vcc
	v_cndmask_b32_e32 v10, v12, v10, vcc
	global_load_dword v9, v[10:11], off
	v_mov_b32_e32 v11, s6
.LBB1706_19:
	s_or_b64 exec, exec, s[2:3]
	s_load_dwordx2 s[20:21], s[4:5], 0x10
	v_lshlrev_b32_e32 v10, 3, v0
	v_min_u32_e32 v13, v11, v10
	v_sub_u32_e64 v12, v13, s7 clamp
	v_min_u32_e32 v14, s15, v13
	v_cmp_lt_u32_e32 vcc, v12, v14
	s_waitcnt vmcnt(0)
	ds_write2st64_b32 v1, v2, v3 offset1:2
	ds_write2st64_b32 v1, v4, v5 offset0:4 offset1:6
	ds_write2st64_b32 v1, v6, v7 offset0:8 offset1:10
	;; [unrolled: 1-line block ×3, first 2 shown]
	s_waitcnt lgkmcnt(0)
	s_barrier
	s_and_saveexec_b64 s[0:1], vcc
	s_cbranch_execz .LBB1706_23
; %bb.20:
	v_lshlrev_b32_e32 v15, 2, v13
	v_lshl_add_u32 v15, s15, 2, v15
	s_mov_b64 s[2:3], 0
.LBB1706_21:                            ; =>This Inner Loop Header: Depth=1
	v_add_u32_e32 v16, v14, v12
	v_lshrrev_b32_e32 v16, 1, v16
	v_not_b32_e32 v17, v16
	v_lshlrev_b32_e32 v18, 2, v16
	v_lshl_add_u32 v17, v17, 2, v15
	ds_read_b32 v18, v18
	ds_read_b32 v17, v17
	v_add_u32_e32 v19, 1, v16
	s_waitcnt lgkmcnt(1)
	v_and_b32_e32 v18, s17, v18
	s_waitcnt lgkmcnt(0)
	v_and_b32_e32 v17, s17, v17
	v_cmp_gt_i32_e32 vcc, v18, v17
	v_cndmask_b32_e32 v14, v14, v16, vcc
	v_cndmask_b32_e32 v12, v19, v12, vcc
	v_cmp_ge_u32_e32 vcc, v12, v14
	s_or_b64 s[2:3], vcc, s[2:3]
	s_andn2_b64 exec, exec, s[2:3]
	s_cbranch_execnz .LBB1706_21
; %bb.22:
	s_or_b64 exec, exec, s[2:3]
.LBB1706_23:
	s_or_b64 exec, exec, s[0:1]
	v_sub_u32_e32 v13, v13, v12
	v_add_u32_e32 v13, s15, v13
	v_cmp_ge_u32_e32 vcc, s15, v12
	v_cmp_le_u32_e64 s[0:1], v13, v11
	s_or_b64 s[0:1], vcc, s[0:1]
	s_and_saveexec_b64 s[22:23], s[0:1]
	s_cbranch_execz .LBB1706_29
; %bb.24:
	v_cmp_gt_u32_e32 vcc, s15, v12
                                        ; implicit-def: $vgpr2
	s_and_saveexec_b64 s[0:1], vcc
	s_cbranch_execz .LBB1706_26
; %bb.25:
	v_lshlrev_b32_e32 v2, 2, v12
	ds_read_b32 v2, v2
.LBB1706_26:
	s_or_b64 exec, exec, s[0:1]
	v_cmp_ge_u32_e64 s[0:1], v13, v11
	v_cmp_lt_u32_e64 s[2:3], v13, v11
                                        ; implicit-def: $vgpr3
	s_and_saveexec_b64 s[4:5], s[2:3]
	s_cbranch_execz .LBB1706_28
; %bb.27:
	v_lshlrev_b32_e32 v3, 2, v13
	ds_read_b32 v3, v3
.LBB1706_28:
	s_or_b64 exec, exec, s[4:5]
	s_waitcnt lgkmcnt(0)
	v_and_b32_e32 v4, s17, v3
	v_and_b32_e32 v5, s17, v2
	v_cmp_le_i32_e64 s[2:3], v5, v4
	s_and_b64 s[2:3], vcc, s[2:3]
	s_or_b64 vcc, s[0:1], s[2:3]
	v_mov_b32_e32 v5, s15
	v_cndmask_b32_e32 v4, v13, v12, vcc
	v_cndmask_b32_e32 v6, v11, v5, vcc
	v_add_u32_e32 v4, 1, v4
	v_add_u32_e32 v6, -1, v6
	v_min_u32_e32 v6, v4, v6
	v_lshlrev_b32_e32 v6, 2, v6
	ds_read_b32 v6, v6
	v_cndmask_b32_e32 v8, v4, v13, vcc
	v_cndmask_b32_e32 v4, v12, v4, vcc
	v_cmp_gt_u32_e64 s[2:3], s15, v4
	v_cmp_ge_u32_e64 s[0:1], v8, v11
	s_waitcnt lgkmcnt(0)
	v_cndmask_b32_e32 v7, v6, v3, vcc
	v_cndmask_b32_e32 v6, v2, v6, vcc
	v_and_b32_e32 v9, s17, v7
	v_and_b32_e32 v12, s17, v6
	v_cmp_le_i32_e64 s[4:5], v12, v9
	s_and_b64 s[2:3], s[2:3], s[4:5]
	s_or_b64 s[0:1], s[0:1], s[2:3]
	v_cndmask_b32_e64 v9, v8, v4, s[0:1]
	v_cndmask_b32_e64 v12, v11, v5, s[0:1]
	v_add_u32_e32 v9, 1, v9
	v_add_u32_e32 v12, -1, v12
	v_min_u32_e32 v12, v9, v12
	v_lshlrev_b32_e32 v12, 2, v12
	ds_read_b32 v12, v12
	v_cndmask_b32_e64 v8, v9, v8, s[0:1]
	v_cndmask_b32_e64 v4, v4, v9, s[0:1]
	v_cmp_gt_u32_e64 s[4:5], s15, v4
	v_cmp_ge_u32_e64 s[2:3], v8, v11
	s_waitcnt lgkmcnt(0)
	v_cndmask_b32_e64 v13, v12, v7, s[0:1]
	v_cndmask_b32_e64 v12, v6, v12, s[0:1]
	v_and_b32_e32 v9, s17, v13
	v_and_b32_e32 v14, s17, v12
	v_cmp_le_i32_e64 s[6:7], v14, v9
	s_and_b64 s[4:5], s[4:5], s[6:7]
	s_or_b64 s[2:3], s[2:3], s[4:5]
	v_cndmask_b32_e64 v9, v8, v4, s[2:3]
	v_cndmask_b32_e64 v14, v11, v5, s[2:3]
	v_add_u32_e32 v9, 1, v9
	v_add_u32_e32 v14, -1, v14
	v_min_u32_e32 v14, v9, v14
	v_lshlrev_b32_e32 v14, 2, v14
	ds_read_b32 v14, v14
	v_cndmask_b32_e64 v8, v9, v8, s[2:3]
	v_cndmask_b32_e64 v4, v4, v9, s[2:3]
	v_cmp_gt_u32_e64 s[6:7], s15, v4
	v_cmp_ge_u32_e64 s[4:5], v8, v11
	s_waitcnt lgkmcnt(0)
	v_cndmask_b32_e64 v15, v14, v13, s[2:3]
	v_cndmask_b32_e64 v14, v12, v14, s[2:3]
	;; [unrolled: 19-line block ×4, first 2 shown]
	v_and_b32_e32 v4, s17, v19
	v_and_b32_e32 v20, s17, v18
	v_cmp_le_i32_e64 s[12:13], v20, v4
	s_and_b64 s[10:11], s[10:11], s[12:13]
	s_or_b64 s[8:9], s[8:9], s[10:11]
	v_cndmask_b32_e64 v4, v8, v9, s[8:9]
	v_cndmask_b32_e64 v20, v11, v5, s[8:9]
	v_add_u32_e32 v21, 1, v4
	v_add_u32_e32 v4, -1, v20
	v_min_u32_e32 v4, v21, v4
	v_lshlrev_b32_e32 v4, 2, v4
	ds_read_b32 v20, v4
	v_cndmask_b32_e64 v4, v13, v12, s[2:3]
	v_cndmask_b32_e32 v2, v3, v2, vcc
	v_cndmask_b32_e64 v3, v7, v6, s[0:1]
	v_cndmask_b32_e64 v9, v9, v21, s[8:9]
	s_waitcnt lgkmcnt(0)
	v_cndmask_b32_e64 v12, v20, v19, s[8:9]
	v_cndmask_b32_e64 v13, v18, v20, s[8:9]
	v_and_b32_e32 v6, s17, v12
	v_and_b32_e32 v7, s17, v13
	v_cndmask_b32_e64 v20, v21, v8, s[8:9]
	v_cmp_gt_u32_e64 s[0:1], s15, v9
	v_cmp_le_i32_e64 s[2:3], v7, v6
	v_cmp_ge_u32_e32 vcc, v20, v11
	s_and_b64 s[0:1], s[0:1], s[2:3]
	s_or_b64 vcc, vcc, s[0:1]
	v_cndmask_b32_e32 v6, v20, v9, vcc
	v_cndmask_b32_e32 v5, v11, v5, vcc
	v_add_u32_e32 v21, 1, v6
	v_add_u32_e32 v5, -1, v5
	v_min_u32_e32 v5, v21, v5
	v_lshlrev_b32_e32 v5, 2, v5
	ds_read_b32 v22, v5
	v_cndmask_b32_e64 v5, v15, v14, s[4:5]
	v_cndmask_b32_e32 v8, v12, v13, vcc
	v_cndmask_b32_e32 v14, v21, v20, vcc
	;; [unrolled: 1-line block ×3, first 2 shown]
	s_waitcnt lgkmcnt(0)
	v_cndmask_b32_e32 v12, v22, v12, vcc
	v_cndmask_b32_e32 v13, v13, v22, vcc
	v_cmp_ge_u32_e32 vcc, v14, v11
	v_cmp_gt_u32_e64 s[0:1], s15, v9
	v_and_b32_e32 v9, s17, v12
	v_and_b32_e32 v11, s17, v13
	v_cmp_le_i32_e64 s[2:3], v11, v9
	s_and_b64 s[0:1], s[0:1], s[2:3]
	s_or_b64 vcc, vcc, s[0:1]
	v_cndmask_b32_e64 v6, v17, v16, s[6:7]
	v_cndmask_b32_e64 v7, v19, v18, s[8:9]
	v_cndmask_b32_e32 v9, v12, v13, vcc
.LBB1706_29:
	s_or_b64 exec, exec, s[22:23]
	v_and_b32_e32 v11, 0x7c, v0
	v_lshl_add_u32 v10, v10, 2, v11
	s_barrier
	s_barrier
	ds_write2_b32 v10, v2, v3 offset1:1
	ds_write2_b32 v10, v4, v5 offset0:2 offset1:3
	ds_write2_b32 v10, v6, v7 offset0:4 offset1:5
	;; [unrolled: 1-line block ×3, first 2 shown]
	v_lshrrev_b32_e32 v2, 3, v0
	v_and_b32_e32 v2, 12, v2
	v_or_b32_e32 v10, 0x80, v0
	v_add_u32_e32 v11, v1, v2
	v_lshrrev_b32_e32 v2, 3, v10
	v_and_b32_e32 v2, 28, v2
	v_or_b32_e32 v9, 0x100, v0
	v_add_u32_e32 v12, v1, v2
	;; [unrolled: 4-line block ×5, first 2 shown]
	v_lshrrev_b32_e32 v2, 3, v6
	v_and_b32_e32 v2, 0x5c, v2
	v_or_b32_e32 v5, 0x300, v0
	s_mov_b32 s17, 0
	v_add_u32_e32 v16, v1, v2
	v_lshrrev_b32_e32 v2, 3, v5
	s_lshl_b64 s[0:1], s[16:17], 2
	v_and_b32_e32 v2, 0x6c, v2
	v_or_b32_e32 v4, 0x380, v0
	s_add_u32 s0, s20, s0
	v_add_u32_e32 v17, v1, v2
	v_lshrrev_b32_e32 v2, 3, v4
	s_addc_u32 s1, s21, s1
	v_and_b32_e32 v2, 0x7c, v2
	v_add_u32_e32 v18, v1, v2
	v_mov_b32_e32 v3, s1
	v_add_co_u32_e32 v2, vcc, s0, v1
	v_addc_co_u32_e32 v3, vcc, 0, v3, vcc
	s_and_b64 vcc, exec, s[18:19]
	s_waitcnt lgkmcnt(0)
	s_cbranch_vccz .LBB1706_31
; %bb.30:
	s_barrier
	ds_read_b32 v19, v11
	ds_read_b32 v20, v12 offset:512
	ds_read_b32 v21, v13 offset:1024
	;; [unrolled: 1-line block ×7, first 2 shown]
	s_waitcnt lgkmcnt(7)
	global_store_dword v[2:3], v19, off
	s_waitcnt lgkmcnt(6)
	global_store_dword v[2:3], v20, off offset:512
	s_waitcnt lgkmcnt(5)
	global_store_dword v[2:3], v21, off offset:1024
	;; [unrolled: 2-line block ×6, first 2 shown]
	s_mov_b64 s[0:1], -1
	s_cbranch_execz .LBB1706_32
	s_branch .LBB1706_41
.LBB1706_31:
	s_mov_b64 s[0:1], 0
                                        ; implicit-def: $vgpr1
.LBB1706_32:
	s_barrier
	s_waitcnt lgkmcnt(0)
	ds_read_b32 v21, v12 offset:512
	ds_read_b32 v20, v13 offset:1024
	;; [unrolled: 1-line block ×7, first 2 shown]
	s_sub_i32 s2, s14, s16
	v_cmp_gt_u32_e32 vcc, s2, v0
	s_and_saveexec_b64 s[0:1], vcc
	s_cbranch_execnz .LBB1706_46
; %bb.33:
	s_or_b64 exec, exec, s[0:1]
	v_cmp_gt_u32_e32 vcc, s2, v10
	s_and_saveexec_b64 s[0:1], vcc
	s_cbranch_execnz .LBB1706_47
.LBB1706_34:
	s_or_b64 exec, exec, s[0:1]
	v_cmp_gt_u32_e32 vcc, s2, v9
	s_and_saveexec_b64 s[0:1], vcc
	s_cbranch_execnz .LBB1706_48
.LBB1706_35:
	s_or_b64 exec, exec, s[0:1]
	v_cmp_gt_u32_e32 vcc, s2, v8
	s_and_saveexec_b64 s[0:1], vcc
	s_cbranch_execnz .LBB1706_49
.LBB1706_36:
	s_or_b64 exec, exec, s[0:1]
	v_cmp_gt_u32_e32 vcc, s2, v7
	s_and_saveexec_b64 s[0:1], vcc
	s_cbranch_execnz .LBB1706_50
.LBB1706_37:
	s_or_b64 exec, exec, s[0:1]
	v_cmp_gt_u32_e32 vcc, s2, v6
	s_and_saveexec_b64 s[0:1], vcc
	s_cbranch_execnz .LBB1706_51
.LBB1706_38:
	s_or_b64 exec, exec, s[0:1]
	v_cmp_gt_u32_e32 vcc, s2, v5
	s_and_saveexec_b64 s[0:1], vcc
	s_cbranch_execz .LBB1706_40
.LBB1706_39:
	s_waitcnt lgkmcnt(1)
	global_store_dword v[2:3], v12, off offset:3072
.LBB1706_40:
	s_or_b64 exec, exec, s[0:1]
	v_cmp_gt_u32_e64 s[0:1], s2, v4
.LBB1706_41:
	s_and_saveexec_b64 s[2:3], s[0:1]
	s_cbranch_execz .LBB1706_43
; %bb.42:
	s_waitcnt lgkmcnt(0)
	global_store_dword v[2:3], v1, off offset:3584
.LBB1706_43:
	s_endpgm
.LBB1706_44:
	s_waitcnt vmcnt(6)
	v_mov_b32_e32 v2, s9
	s_waitcnt vmcnt(4)
	v_add_co_u32_e32 v4, vcc, s8, v1
	v_mov_b32_e32 v3, 0
	s_waitcnt vmcnt(3)
	v_addc_co_u32_e32 v5, vcc, 0, v2, vcc
	v_subrev_u32_e32 v2, s15, v0
	v_lshlrev_b64 v[2:3], 2, v[2:3]
	s_waitcnt vmcnt(2)
	v_mov_b32_e32 v6, s12
	v_add_co_u32_e32 v2, vcc, s11, v2
	v_addc_co_u32_e32 v3, vcc, v6, v3, vcc
	v_cmp_gt_u32_e32 vcc, s15, v0
	v_cndmask_b32_e32 v3, v3, v5, vcc
	v_cndmask_b32_e32 v2, v2, v4, vcc
	global_load_dword v2, v[2:3], off
	s_or_b64 exec, exec, s[0:1]
	v_cmp_gt_u32_e32 vcc, s6, v12
	s_and_saveexec_b64 s[2:3], vcc
	s_cbranch_execz .LBB1706_6
.LBB1706_45:
	v_mov_b32_e32 v13, 0
	v_lshlrev_b64 v[16:17], 2, v[12:13]
	s_waitcnt vmcnt(5)
	v_mov_b32_e32 v3, s9
	v_add_co_u32_e32 v11, vcc, s8, v16
	v_addc_co_u32_e32 v3, vcc, v3, v17, vcc
	v_cmp_gt_u32_e32 vcc, s15, v12
	v_subrev_u32_e32 v12, s15, v12
	v_lshlrev_b64 v[12:13], 2, v[12:13]
	v_mov_b32_e32 v14, s12
	v_add_co_u32_e64 v12, s[0:1], s11, v12
	v_addc_co_u32_e64 v13, s[0:1], v14, v13, s[0:1]
	v_cndmask_b32_e32 v13, v13, v3, vcc
	v_cndmask_b32_e32 v12, v12, v11, vcc
	global_load_dword v3, v[12:13], off
	s_or_b64 exec, exec, s[2:3]
	v_cmp_gt_u32_e32 vcc, s6, v10
	s_and_saveexec_b64 s[0:1], vcc
	s_cbranch_execnz .LBB1706_7
	s_branch .LBB1706_8
.LBB1706_46:
	ds_read_b32 v0, v11
	s_waitcnt lgkmcnt(0)
	global_store_dword v[2:3], v0, off
	s_or_b64 exec, exec, s[0:1]
	v_cmp_gt_u32_e32 vcc, s2, v10
	s_and_saveexec_b64 s[0:1], vcc
	s_cbranch_execz .LBB1706_34
.LBB1706_47:
	s_waitcnt lgkmcnt(6)
	global_store_dword v[2:3], v21, off offset:512
	s_or_b64 exec, exec, s[0:1]
	v_cmp_gt_u32_e32 vcc, s2, v9
	s_and_saveexec_b64 s[0:1], vcc
	s_cbranch_execz .LBB1706_35
.LBB1706_48:
	s_waitcnt lgkmcnt(5)
	global_store_dword v[2:3], v20, off offset:1024
	s_or_b64 exec, exec, s[0:1]
	v_cmp_gt_u32_e32 vcc, s2, v8
	s_and_saveexec_b64 s[0:1], vcc
	s_cbranch_execz .LBB1706_36
.LBB1706_49:
	s_waitcnt lgkmcnt(4)
	global_store_dword v[2:3], v19, off offset:1536
	s_or_b64 exec, exec, s[0:1]
	v_cmp_gt_u32_e32 vcc, s2, v7
	s_and_saveexec_b64 s[0:1], vcc
	s_cbranch_execz .LBB1706_37
.LBB1706_50:
	s_waitcnt lgkmcnt(3)
	global_store_dword v[2:3], v14, off offset:2048
	s_or_b64 exec, exec, s[0:1]
	v_cmp_gt_u32_e32 vcc, s2, v6
	s_and_saveexec_b64 s[0:1], vcc
	s_cbranch_execz .LBB1706_38
.LBB1706_51:
	s_waitcnt lgkmcnt(2)
	global_store_dword v[2:3], v13, off offset:2560
	s_or_b64 exec, exec, s[0:1]
	v_cmp_gt_u32_e32 vcc, s2, v5
	s_and_saveexec_b64 s[0:1], vcc
	s_cbranch_execnz .LBB1706_39
	s_branch .LBB1706_40
	.section	.rodata,"a",@progbits
	.p2align	6, 0x0
	.amdhsa_kernel _ZN7rocprim17ROCPRIM_400000_NS6detail17trampoline_kernelINS0_14default_configENS1_38merge_sort_block_merge_config_selectorIiNS0_10empty_typeEEEZZNS1_27merge_sort_block_merge_implIS3_N6thrust23THRUST_200600_302600_NS6detail15normal_iteratorINS9_10device_ptrIiEEEEPS5_jNS1_19radix_merge_compareILb0ELb1EiNS0_19identity_decomposerEEEEE10hipError_tT0_T1_T2_jT3_P12ihipStream_tbPNSt15iterator_traitsISK_E10value_typeEPNSQ_ISL_E10value_typeEPSM_NS1_7vsmem_tEENKUlT_SK_SL_SM_E_clISE_PiSF_SF_EESJ_SZ_SK_SL_SM_EUlSZ_E0_NS1_11comp_targetILNS1_3genE4ELNS1_11target_archE910ELNS1_3gpuE8ELNS1_3repE0EEENS1_38merge_mergepath_config_static_selectorELNS0_4arch9wavefront6targetE1EEEvSL_
		.amdhsa_group_segment_fixed_size 4224
		.amdhsa_private_segment_fixed_size 0
		.amdhsa_kernarg_size 320
		.amdhsa_user_sgpr_count 6
		.amdhsa_user_sgpr_private_segment_buffer 1
		.amdhsa_user_sgpr_dispatch_ptr 0
		.amdhsa_user_sgpr_queue_ptr 0
		.amdhsa_user_sgpr_kernarg_segment_ptr 1
		.amdhsa_user_sgpr_dispatch_id 0
		.amdhsa_user_sgpr_flat_scratch_init 0
		.amdhsa_user_sgpr_kernarg_preload_length 0
		.amdhsa_user_sgpr_kernarg_preload_offset 0
		.amdhsa_user_sgpr_private_segment_size 0
		.amdhsa_uses_dynamic_stack 0
		.amdhsa_system_sgpr_private_segment_wavefront_offset 0
		.amdhsa_system_sgpr_workgroup_id_x 1
		.amdhsa_system_sgpr_workgroup_id_y 1
		.amdhsa_system_sgpr_workgroup_id_z 1
		.amdhsa_system_sgpr_workgroup_info 0
		.amdhsa_system_vgpr_workitem_id 0
		.amdhsa_next_free_vgpr 26
		.amdhsa_next_free_sgpr 24
		.amdhsa_accum_offset 28
		.amdhsa_reserve_vcc 1
		.amdhsa_reserve_flat_scratch 0
		.amdhsa_float_round_mode_32 0
		.amdhsa_float_round_mode_16_64 0
		.amdhsa_float_denorm_mode_32 3
		.amdhsa_float_denorm_mode_16_64 3
		.amdhsa_dx10_clamp 1
		.amdhsa_ieee_mode 1
		.amdhsa_fp16_overflow 0
		.amdhsa_tg_split 0
		.amdhsa_exception_fp_ieee_invalid_op 0
		.amdhsa_exception_fp_denorm_src 0
		.amdhsa_exception_fp_ieee_div_zero 0
		.amdhsa_exception_fp_ieee_overflow 0
		.amdhsa_exception_fp_ieee_underflow 0
		.amdhsa_exception_fp_ieee_inexact 0
		.amdhsa_exception_int_div_zero 0
	.end_amdhsa_kernel
	.section	.text._ZN7rocprim17ROCPRIM_400000_NS6detail17trampoline_kernelINS0_14default_configENS1_38merge_sort_block_merge_config_selectorIiNS0_10empty_typeEEEZZNS1_27merge_sort_block_merge_implIS3_N6thrust23THRUST_200600_302600_NS6detail15normal_iteratorINS9_10device_ptrIiEEEEPS5_jNS1_19radix_merge_compareILb0ELb1EiNS0_19identity_decomposerEEEEE10hipError_tT0_T1_T2_jT3_P12ihipStream_tbPNSt15iterator_traitsISK_E10value_typeEPNSQ_ISL_E10value_typeEPSM_NS1_7vsmem_tEENKUlT_SK_SL_SM_E_clISE_PiSF_SF_EESJ_SZ_SK_SL_SM_EUlSZ_E0_NS1_11comp_targetILNS1_3genE4ELNS1_11target_archE910ELNS1_3gpuE8ELNS1_3repE0EEENS1_38merge_mergepath_config_static_selectorELNS0_4arch9wavefront6targetE1EEEvSL_,"axG",@progbits,_ZN7rocprim17ROCPRIM_400000_NS6detail17trampoline_kernelINS0_14default_configENS1_38merge_sort_block_merge_config_selectorIiNS0_10empty_typeEEEZZNS1_27merge_sort_block_merge_implIS3_N6thrust23THRUST_200600_302600_NS6detail15normal_iteratorINS9_10device_ptrIiEEEEPS5_jNS1_19radix_merge_compareILb0ELb1EiNS0_19identity_decomposerEEEEE10hipError_tT0_T1_T2_jT3_P12ihipStream_tbPNSt15iterator_traitsISK_E10value_typeEPNSQ_ISL_E10value_typeEPSM_NS1_7vsmem_tEENKUlT_SK_SL_SM_E_clISE_PiSF_SF_EESJ_SZ_SK_SL_SM_EUlSZ_E0_NS1_11comp_targetILNS1_3genE4ELNS1_11target_archE910ELNS1_3gpuE8ELNS1_3repE0EEENS1_38merge_mergepath_config_static_selectorELNS0_4arch9wavefront6targetE1EEEvSL_,comdat
.Lfunc_end1706:
	.size	_ZN7rocprim17ROCPRIM_400000_NS6detail17trampoline_kernelINS0_14default_configENS1_38merge_sort_block_merge_config_selectorIiNS0_10empty_typeEEEZZNS1_27merge_sort_block_merge_implIS3_N6thrust23THRUST_200600_302600_NS6detail15normal_iteratorINS9_10device_ptrIiEEEEPS5_jNS1_19radix_merge_compareILb0ELb1EiNS0_19identity_decomposerEEEEE10hipError_tT0_T1_T2_jT3_P12ihipStream_tbPNSt15iterator_traitsISK_E10value_typeEPNSQ_ISL_E10value_typeEPSM_NS1_7vsmem_tEENKUlT_SK_SL_SM_E_clISE_PiSF_SF_EESJ_SZ_SK_SL_SM_EUlSZ_E0_NS1_11comp_targetILNS1_3genE4ELNS1_11target_archE910ELNS1_3gpuE8ELNS1_3repE0EEENS1_38merge_mergepath_config_static_selectorELNS0_4arch9wavefront6targetE1EEEvSL_, .Lfunc_end1706-_ZN7rocprim17ROCPRIM_400000_NS6detail17trampoline_kernelINS0_14default_configENS1_38merge_sort_block_merge_config_selectorIiNS0_10empty_typeEEEZZNS1_27merge_sort_block_merge_implIS3_N6thrust23THRUST_200600_302600_NS6detail15normal_iteratorINS9_10device_ptrIiEEEEPS5_jNS1_19radix_merge_compareILb0ELb1EiNS0_19identity_decomposerEEEEE10hipError_tT0_T1_T2_jT3_P12ihipStream_tbPNSt15iterator_traitsISK_E10value_typeEPNSQ_ISL_E10value_typeEPSM_NS1_7vsmem_tEENKUlT_SK_SL_SM_E_clISE_PiSF_SF_EESJ_SZ_SK_SL_SM_EUlSZ_E0_NS1_11comp_targetILNS1_3genE4ELNS1_11target_archE910ELNS1_3gpuE8ELNS1_3repE0EEENS1_38merge_mergepath_config_static_selectorELNS0_4arch9wavefront6targetE1EEEvSL_
                                        ; -- End function
	.section	.AMDGPU.csdata,"",@progbits
; Kernel info:
; codeLenInByte = 3624
; NumSgprs: 28
; NumVgprs: 26
; NumAgprs: 0
; TotalNumVgprs: 26
; ScratchSize: 0
; MemoryBound: 0
; FloatMode: 240
; IeeeMode: 1
; LDSByteSize: 4224 bytes/workgroup (compile time only)
; SGPRBlocks: 3
; VGPRBlocks: 3
; NumSGPRsForWavesPerEU: 28
; NumVGPRsForWavesPerEU: 26
; AccumOffset: 28
; Occupancy: 8
; WaveLimiterHint : 1
; COMPUTE_PGM_RSRC2:SCRATCH_EN: 0
; COMPUTE_PGM_RSRC2:USER_SGPR: 6
; COMPUTE_PGM_RSRC2:TRAP_HANDLER: 0
; COMPUTE_PGM_RSRC2:TGID_X_EN: 1
; COMPUTE_PGM_RSRC2:TGID_Y_EN: 1
; COMPUTE_PGM_RSRC2:TGID_Z_EN: 1
; COMPUTE_PGM_RSRC2:TIDIG_COMP_CNT: 0
; COMPUTE_PGM_RSRC3_GFX90A:ACCUM_OFFSET: 6
; COMPUTE_PGM_RSRC3_GFX90A:TG_SPLIT: 0
	.section	.text._ZN7rocprim17ROCPRIM_400000_NS6detail17trampoline_kernelINS0_14default_configENS1_38merge_sort_block_merge_config_selectorIiNS0_10empty_typeEEEZZNS1_27merge_sort_block_merge_implIS3_N6thrust23THRUST_200600_302600_NS6detail15normal_iteratorINS9_10device_ptrIiEEEEPS5_jNS1_19radix_merge_compareILb0ELb1EiNS0_19identity_decomposerEEEEE10hipError_tT0_T1_T2_jT3_P12ihipStream_tbPNSt15iterator_traitsISK_E10value_typeEPNSQ_ISL_E10value_typeEPSM_NS1_7vsmem_tEENKUlT_SK_SL_SM_E_clISE_PiSF_SF_EESJ_SZ_SK_SL_SM_EUlSZ_E0_NS1_11comp_targetILNS1_3genE3ELNS1_11target_archE908ELNS1_3gpuE7ELNS1_3repE0EEENS1_38merge_mergepath_config_static_selectorELNS0_4arch9wavefront6targetE1EEEvSL_,"axG",@progbits,_ZN7rocprim17ROCPRIM_400000_NS6detail17trampoline_kernelINS0_14default_configENS1_38merge_sort_block_merge_config_selectorIiNS0_10empty_typeEEEZZNS1_27merge_sort_block_merge_implIS3_N6thrust23THRUST_200600_302600_NS6detail15normal_iteratorINS9_10device_ptrIiEEEEPS5_jNS1_19radix_merge_compareILb0ELb1EiNS0_19identity_decomposerEEEEE10hipError_tT0_T1_T2_jT3_P12ihipStream_tbPNSt15iterator_traitsISK_E10value_typeEPNSQ_ISL_E10value_typeEPSM_NS1_7vsmem_tEENKUlT_SK_SL_SM_E_clISE_PiSF_SF_EESJ_SZ_SK_SL_SM_EUlSZ_E0_NS1_11comp_targetILNS1_3genE3ELNS1_11target_archE908ELNS1_3gpuE7ELNS1_3repE0EEENS1_38merge_mergepath_config_static_selectorELNS0_4arch9wavefront6targetE1EEEvSL_,comdat
	.protected	_ZN7rocprim17ROCPRIM_400000_NS6detail17trampoline_kernelINS0_14default_configENS1_38merge_sort_block_merge_config_selectorIiNS0_10empty_typeEEEZZNS1_27merge_sort_block_merge_implIS3_N6thrust23THRUST_200600_302600_NS6detail15normal_iteratorINS9_10device_ptrIiEEEEPS5_jNS1_19radix_merge_compareILb0ELb1EiNS0_19identity_decomposerEEEEE10hipError_tT0_T1_T2_jT3_P12ihipStream_tbPNSt15iterator_traitsISK_E10value_typeEPNSQ_ISL_E10value_typeEPSM_NS1_7vsmem_tEENKUlT_SK_SL_SM_E_clISE_PiSF_SF_EESJ_SZ_SK_SL_SM_EUlSZ_E0_NS1_11comp_targetILNS1_3genE3ELNS1_11target_archE908ELNS1_3gpuE7ELNS1_3repE0EEENS1_38merge_mergepath_config_static_selectorELNS0_4arch9wavefront6targetE1EEEvSL_ ; -- Begin function _ZN7rocprim17ROCPRIM_400000_NS6detail17trampoline_kernelINS0_14default_configENS1_38merge_sort_block_merge_config_selectorIiNS0_10empty_typeEEEZZNS1_27merge_sort_block_merge_implIS3_N6thrust23THRUST_200600_302600_NS6detail15normal_iteratorINS9_10device_ptrIiEEEEPS5_jNS1_19radix_merge_compareILb0ELb1EiNS0_19identity_decomposerEEEEE10hipError_tT0_T1_T2_jT3_P12ihipStream_tbPNSt15iterator_traitsISK_E10value_typeEPNSQ_ISL_E10value_typeEPSM_NS1_7vsmem_tEENKUlT_SK_SL_SM_E_clISE_PiSF_SF_EESJ_SZ_SK_SL_SM_EUlSZ_E0_NS1_11comp_targetILNS1_3genE3ELNS1_11target_archE908ELNS1_3gpuE7ELNS1_3repE0EEENS1_38merge_mergepath_config_static_selectorELNS0_4arch9wavefront6targetE1EEEvSL_
	.globl	_ZN7rocprim17ROCPRIM_400000_NS6detail17trampoline_kernelINS0_14default_configENS1_38merge_sort_block_merge_config_selectorIiNS0_10empty_typeEEEZZNS1_27merge_sort_block_merge_implIS3_N6thrust23THRUST_200600_302600_NS6detail15normal_iteratorINS9_10device_ptrIiEEEEPS5_jNS1_19radix_merge_compareILb0ELb1EiNS0_19identity_decomposerEEEEE10hipError_tT0_T1_T2_jT3_P12ihipStream_tbPNSt15iterator_traitsISK_E10value_typeEPNSQ_ISL_E10value_typeEPSM_NS1_7vsmem_tEENKUlT_SK_SL_SM_E_clISE_PiSF_SF_EESJ_SZ_SK_SL_SM_EUlSZ_E0_NS1_11comp_targetILNS1_3genE3ELNS1_11target_archE908ELNS1_3gpuE7ELNS1_3repE0EEENS1_38merge_mergepath_config_static_selectorELNS0_4arch9wavefront6targetE1EEEvSL_
	.p2align	8
	.type	_ZN7rocprim17ROCPRIM_400000_NS6detail17trampoline_kernelINS0_14default_configENS1_38merge_sort_block_merge_config_selectorIiNS0_10empty_typeEEEZZNS1_27merge_sort_block_merge_implIS3_N6thrust23THRUST_200600_302600_NS6detail15normal_iteratorINS9_10device_ptrIiEEEEPS5_jNS1_19radix_merge_compareILb0ELb1EiNS0_19identity_decomposerEEEEE10hipError_tT0_T1_T2_jT3_P12ihipStream_tbPNSt15iterator_traitsISK_E10value_typeEPNSQ_ISL_E10value_typeEPSM_NS1_7vsmem_tEENKUlT_SK_SL_SM_E_clISE_PiSF_SF_EESJ_SZ_SK_SL_SM_EUlSZ_E0_NS1_11comp_targetILNS1_3genE3ELNS1_11target_archE908ELNS1_3gpuE7ELNS1_3repE0EEENS1_38merge_mergepath_config_static_selectorELNS0_4arch9wavefront6targetE1EEEvSL_,@function
_ZN7rocprim17ROCPRIM_400000_NS6detail17trampoline_kernelINS0_14default_configENS1_38merge_sort_block_merge_config_selectorIiNS0_10empty_typeEEEZZNS1_27merge_sort_block_merge_implIS3_N6thrust23THRUST_200600_302600_NS6detail15normal_iteratorINS9_10device_ptrIiEEEEPS5_jNS1_19radix_merge_compareILb0ELb1EiNS0_19identity_decomposerEEEEE10hipError_tT0_T1_T2_jT3_P12ihipStream_tbPNSt15iterator_traitsISK_E10value_typeEPNSQ_ISL_E10value_typeEPSM_NS1_7vsmem_tEENKUlT_SK_SL_SM_E_clISE_PiSF_SF_EESJ_SZ_SK_SL_SM_EUlSZ_E0_NS1_11comp_targetILNS1_3genE3ELNS1_11target_archE908ELNS1_3gpuE7ELNS1_3repE0EEENS1_38merge_mergepath_config_static_selectorELNS0_4arch9wavefront6targetE1EEEvSL_: ; @_ZN7rocprim17ROCPRIM_400000_NS6detail17trampoline_kernelINS0_14default_configENS1_38merge_sort_block_merge_config_selectorIiNS0_10empty_typeEEEZZNS1_27merge_sort_block_merge_implIS3_N6thrust23THRUST_200600_302600_NS6detail15normal_iteratorINS9_10device_ptrIiEEEEPS5_jNS1_19radix_merge_compareILb0ELb1EiNS0_19identity_decomposerEEEEE10hipError_tT0_T1_T2_jT3_P12ihipStream_tbPNSt15iterator_traitsISK_E10value_typeEPNSQ_ISL_E10value_typeEPSM_NS1_7vsmem_tEENKUlT_SK_SL_SM_E_clISE_PiSF_SF_EESJ_SZ_SK_SL_SM_EUlSZ_E0_NS1_11comp_targetILNS1_3genE3ELNS1_11target_archE908ELNS1_3gpuE7ELNS1_3repE0EEENS1_38merge_mergepath_config_static_selectorELNS0_4arch9wavefront6targetE1EEEvSL_
; %bb.0:
	.section	.rodata,"a",@progbits
	.p2align	6, 0x0
	.amdhsa_kernel _ZN7rocprim17ROCPRIM_400000_NS6detail17trampoline_kernelINS0_14default_configENS1_38merge_sort_block_merge_config_selectorIiNS0_10empty_typeEEEZZNS1_27merge_sort_block_merge_implIS3_N6thrust23THRUST_200600_302600_NS6detail15normal_iteratorINS9_10device_ptrIiEEEEPS5_jNS1_19radix_merge_compareILb0ELb1EiNS0_19identity_decomposerEEEEE10hipError_tT0_T1_T2_jT3_P12ihipStream_tbPNSt15iterator_traitsISK_E10value_typeEPNSQ_ISL_E10value_typeEPSM_NS1_7vsmem_tEENKUlT_SK_SL_SM_E_clISE_PiSF_SF_EESJ_SZ_SK_SL_SM_EUlSZ_E0_NS1_11comp_targetILNS1_3genE3ELNS1_11target_archE908ELNS1_3gpuE7ELNS1_3repE0EEENS1_38merge_mergepath_config_static_selectorELNS0_4arch9wavefront6targetE1EEEvSL_
		.amdhsa_group_segment_fixed_size 0
		.amdhsa_private_segment_fixed_size 0
		.amdhsa_kernarg_size 64
		.amdhsa_user_sgpr_count 6
		.amdhsa_user_sgpr_private_segment_buffer 1
		.amdhsa_user_sgpr_dispatch_ptr 0
		.amdhsa_user_sgpr_queue_ptr 0
		.amdhsa_user_sgpr_kernarg_segment_ptr 1
		.amdhsa_user_sgpr_dispatch_id 0
		.amdhsa_user_sgpr_flat_scratch_init 0
		.amdhsa_user_sgpr_kernarg_preload_length 0
		.amdhsa_user_sgpr_kernarg_preload_offset 0
		.amdhsa_user_sgpr_private_segment_size 0
		.amdhsa_uses_dynamic_stack 0
		.amdhsa_system_sgpr_private_segment_wavefront_offset 0
		.amdhsa_system_sgpr_workgroup_id_x 1
		.amdhsa_system_sgpr_workgroup_id_y 0
		.amdhsa_system_sgpr_workgroup_id_z 0
		.amdhsa_system_sgpr_workgroup_info 0
		.amdhsa_system_vgpr_workitem_id 0
		.amdhsa_next_free_vgpr 1
		.amdhsa_next_free_sgpr 0
		.amdhsa_accum_offset 4
		.amdhsa_reserve_vcc 0
		.amdhsa_reserve_flat_scratch 0
		.amdhsa_float_round_mode_32 0
		.amdhsa_float_round_mode_16_64 0
		.amdhsa_float_denorm_mode_32 3
		.amdhsa_float_denorm_mode_16_64 3
		.amdhsa_dx10_clamp 1
		.amdhsa_ieee_mode 1
		.amdhsa_fp16_overflow 0
		.amdhsa_tg_split 0
		.amdhsa_exception_fp_ieee_invalid_op 0
		.amdhsa_exception_fp_denorm_src 0
		.amdhsa_exception_fp_ieee_div_zero 0
		.amdhsa_exception_fp_ieee_overflow 0
		.amdhsa_exception_fp_ieee_underflow 0
		.amdhsa_exception_fp_ieee_inexact 0
		.amdhsa_exception_int_div_zero 0
	.end_amdhsa_kernel
	.section	.text._ZN7rocprim17ROCPRIM_400000_NS6detail17trampoline_kernelINS0_14default_configENS1_38merge_sort_block_merge_config_selectorIiNS0_10empty_typeEEEZZNS1_27merge_sort_block_merge_implIS3_N6thrust23THRUST_200600_302600_NS6detail15normal_iteratorINS9_10device_ptrIiEEEEPS5_jNS1_19radix_merge_compareILb0ELb1EiNS0_19identity_decomposerEEEEE10hipError_tT0_T1_T2_jT3_P12ihipStream_tbPNSt15iterator_traitsISK_E10value_typeEPNSQ_ISL_E10value_typeEPSM_NS1_7vsmem_tEENKUlT_SK_SL_SM_E_clISE_PiSF_SF_EESJ_SZ_SK_SL_SM_EUlSZ_E0_NS1_11comp_targetILNS1_3genE3ELNS1_11target_archE908ELNS1_3gpuE7ELNS1_3repE0EEENS1_38merge_mergepath_config_static_selectorELNS0_4arch9wavefront6targetE1EEEvSL_,"axG",@progbits,_ZN7rocprim17ROCPRIM_400000_NS6detail17trampoline_kernelINS0_14default_configENS1_38merge_sort_block_merge_config_selectorIiNS0_10empty_typeEEEZZNS1_27merge_sort_block_merge_implIS3_N6thrust23THRUST_200600_302600_NS6detail15normal_iteratorINS9_10device_ptrIiEEEEPS5_jNS1_19radix_merge_compareILb0ELb1EiNS0_19identity_decomposerEEEEE10hipError_tT0_T1_T2_jT3_P12ihipStream_tbPNSt15iterator_traitsISK_E10value_typeEPNSQ_ISL_E10value_typeEPSM_NS1_7vsmem_tEENKUlT_SK_SL_SM_E_clISE_PiSF_SF_EESJ_SZ_SK_SL_SM_EUlSZ_E0_NS1_11comp_targetILNS1_3genE3ELNS1_11target_archE908ELNS1_3gpuE7ELNS1_3repE0EEENS1_38merge_mergepath_config_static_selectorELNS0_4arch9wavefront6targetE1EEEvSL_,comdat
.Lfunc_end1707:
	.size	_ZN7rocprim17ROCPRIM_400000_NS6detail17trampoline_kernelINS0_14default_configENS1_38merge_sort_block_merge_config_selectorIiNS0_10empty_typeEEEZZNS1_27merge_sort_block_merge_implIS3_N6thrust23THRUST_200600_302600_NS6detail15normal_iteratorINS9_10device_ptrIiEEEEPS5_jNS1_19radix_merge_compareILb0ELb1EiNS0_19identity_decomposerEEEEE10hipError_tT0_T1_T2_jT3_P12ihipStream_tbPNSt15iterator_traitsISK_E10value_typeEPNSQ_ISL_E10value_typeEPSM_NS1_7vsmem_tEENKUlT_SK_SL_SM_E_clISE_PiSF_SF_EESJ_SZ_SK_SL_SM_EUlSZ_E0_NS1_11comp_targetILNS1_3genE3ELNS1_11target_archE908ELNS1_3gpuE7ELNS1_3repE0EEENS1_38merge_mergepath_config_static_selectorELNS0_4arch9wavefront6targetE1EEEvSL_, .Lfunc_end1707-_ZN7rocprim17ROCPRIM_400000_NS6detail17trampoline_kernelINS0_14default_configENS1_38merge_sort_block_merge_config_selectorIiNS0_10empty_typeEEEZZNS1_27merge_sort_block_merge_implIS3_N6thrust23THRUST_200600_302600_NS6detail15normal_iteratorINS9_10device_ptrIiEEEEPS5_jNS1_19radix_merge_compareILb0ELb1EiNS0_19identity_decomposerEEEEE10hipError_tT0_T1_T2_jT3_P12ihipStream_tbPNSt15iterator_traitsISK_E10value_typeEPNSQ_ISL_E10value_typeEPSM_NS1_7vsmem_tEENKUlT_SK_SL_SM_E_clISE_PiSF_SF_EESJ_SZ_SK_SL_SM_EUlSZ_E0_NS1_11comp_targetILNS1_3genE3ELNS1_11target_archE908ELNS1_3gpuE7ELNS1_3repE0EEENS1_38merge_mergepath_config_static_selectorELNS0_4arch9wavefront6targetE1EEEvSL_
                                        ; -- End function
	.section	.AMDGPU.csdata,"",@progbits
; Kernel info:
; codeLenInByte = 0
; NumSgprs: 4
; NumVgprs: 0
; NumAgprs: 0
; TotalNumVgprs: 0
; ScratchSize: 0
; MemoryBound: 0
; FloatMode: 240
; IeeeMode: 1
; LDSByteSize: 0 bytes/workgroup (compile time only)
; SGPRBlocks: 0
; VGPRBlocks: 0
; NumSGPRsForWavesPerEU: 4
; NumVGPRsForWavesPerEU: 1
; AccumOffset: 4
; Occupancy: 8
; WaveLimiterHint : 0
; COMPUTE_PGM_RSRC2:SCRATCH_EN: 0
; COMPUTE_PGM_RSRC2:USER_SGPR: 6
; COMPUTE_PGM_RSRC2:TRAP_HANDLER: 0
; COMPUTE_PGM_RSRC2:TGID_X_EN: 1
; COMPUTE_PGM_RSRC2:TGID_Y_EN: 0
; COMPUTE_PGM_RSRC2:TGID_Z_EN: 0
; COMPUTE_PGM_RSRC2:TIDIG_COMP_CNT: 0
; COMPUTE_PGM_RSRC3_GFX90A:ACCUM_OFFSET: 0
; COMPUTE_PGM_RSRC3_GFX90A:TG_SPLIT: 0
	.section	.text._ZN7rocprim17ROCPRIM_400000_NS6detail17trampoline_kernelINS0_14default_configENS1_38merge_sort_block_merge_config_selectorIiNS0_10empty_typeEEEZZNS1_27merge_sort_block_merge_implIS3_N6thrust23THRUST_200600_302600_NS6detail15normal_iteratorINS9_10device_ptrIiEEEEPS5_jNS1_19radix_merge_compareILb0ELb1EiNS0_19identity_decomposerEEEEE10hipError_tT0_T1_T2_jT3_P12ihipStream_tbPNSt15iterator_traitsISK_E10value_typeEPNSQ_ISL_E10value_typeEPSM_NS1_7vsmem_tEENKUlT_SK_SL_SM_E_clISE_PiSF_SF_EESJ_SZ_SK_SL_SM_EUlSZ_E0_NS1_11comp_targetILNS1_3genE2ELNS1_11target_archE906ELNS1_3gpuE6ELNS1_3repE0EEENS1_38merge_mergepath_config_static_selectorELNS0_4arch9wavefront6targetE1EEEvSL_,"axG",@progbits,_ZN7rocprim17ROCPRIM_400000_NS6detail17trampoline_kernelINS0_14default_configENS1_38merge_sort_block_merge_config_selectorIiNS0_10empty_typeEEEZZNS1_27merge_sort_block_merge_implIS3_N6thrust23THRUST_200600_302600_NS6detail15normal_iteratorINS9_10device_ptrIiEEEEPS5_jNS1_19radix_merge_compareILb0ELb1EiNS0_19identity_decomposerEEEEE10hipError_tT0_T1_T2_jT3_P12ihipStream_tbPNSt15iterator_traitsISK_E10value_typeEPNSQ_ISL_E10value_typeEPSM_NS1_7vsmem_tEENKUlT_SK_SL_SM_E_clISE_PiSF_SF_EESJ_SZ_SK_SL_SM_EUlSZ_E0_NS1_11comp_targetILNS1_3genE2ELNS1_11target_archE906ELNS1_3gpuE6ELNS1_3repE0EEENS1_38merge_mergepath_config_static_selectorELNS0_4arch9wavefront6targetE1EEEvSL_,comdat
	.protected	_ZN7rocprim17ROCPRIM_400000_NS6detail17trampoline_kernelINS0_14default_configENS1_38merge_sort_block_merge_config_selectorIiNS0_10empty_typeEEEZZNS1_27merge_sort_block_merge_implIS3_N6thrust23THRUST_200600_302600_NS6detail15normal_iteratorINS9_10device_ptrIiEEEEPS5_jNS1_19radix_merge_compareILb0ELb1EiNS0_19identity_decomposerEEEEE10hipError_tT0_T1_T2_jT3_P12ihipStream_tbPNSt15iterator_traitsISK_E10value_typeEPNSQ_ISL_E10value_typeEPSM_NS1_7vsmem_tEENKUlT_SK_SL_SM_E_clISE_PiSF_SF_EESJ_SZ_SK_SL_SM_EUlSZ_E0_NS1_11comp_targetILNS1_3genE2ELNS1_11target_archE906ELNS1_3gpuE6ELNS1_3repE0EEENS1_38merge_mergepath_config_static_selectorELNS0_4arch9wavefront6targetE1EEEvSL_ ; -- Begin function _ZN7rocprim17ROCPRIM_400000_NS6detail17trampoline_kernelINS0_14default_configENS1_38merge_sort_block_merge_config_selectorIiNS0_10empty_typeEEEZZNS1_27merge_sort_block_merge_implIS3_N6thrust23THRUST_200600_302600_NS6detail15normal_iteratorINS9_10device_ptrIiEEEEPS5_jNS1_19radix_merge_compareILb0ELb1EiNS0_19identity_decomposerEEEEE10hipError_tT0_T1_T2_jT3_P12ihipStream_tbPNSt15iterator_traitsISK_E10value_typeEPNSQ_ISL_E10value_typeEPSM_NS1_7vsmem_tEENKUlT_SK_SL_SM_E_clISE_PiSF_SF_EESJ_SZ_SK_SL_SM_EUlSZ_E0_NS1_11comp_targetILNS1_3genE2ELNS1_11target_archE906ELNS1_3gpuE6ELNS1_3repE0EEENS1_38merge_mergepath_config_static_selectorELNS0_4arch9wavefront6targetE1EEEvSL_
	.globl	_ZN7rocprim17ROCPRIM_400000_NS6detail17trampoline_kernelINS0_14default_configENS1_38merge_sort_block_merge_config_selectorIiNS0_10empty_typeEEEZZNS1_27merge_sort_block_merge_implIS3_N6thrust23THRUST_200600_302600_NS6detail15normal_iteratorINS9_10device_ptrIiEEEEPS5_jNS1_19radix_merge_compareILb0ELb1EiNS0_19identity_decomposerEEEEE10hipError_tT0_T1_T2_jT3_P12ihipStream_tbPNSt15iterator_traitsISK_E10value_typeEPNSQ_ISL_E10value_typeEPSM_NS1_7vsmem_tEENKUlT_SK_SL_SM_E_clISE_PiSF_SF_EESJ_SZ_SK_SL_SM_EUlSZ_E0_NS1_11comp_targetILNS1_3genE2ELNS1_11target_archE906ELNS1_3gpuE6ELNS1_3repE0EEENS1_38merge_mergepath_config_static_selectorELNS0_4arch9wavefront6targetE1EEEvSL_
	.p2align	8
	.type	_ZN7rocprim17ROCPRIM_400000_NS6detail17trampoline_kernelINS0_14default_configENS1_38merge_sort_block_merge_config_selectorIiNS0_10empty_typeEEEZZNS1_27merge_sort_block_merge_implIS3_N6thrust23THRUST_200600_302600_NS6detail15normal_iteratorINS9_10device_ptrIiEEEEPS5_jNS1_19radix_merge_compareILb0ELb1EiNS0_19identity_decomposerEEEEE10hipError_tT0_T1_T2_jT3_P12ihipStream_tbPNSt15iterator_traitsISK_E10value_typeEPNSQ_ISL_E10value_typeEPSM_NS1_7vsmem_tEENKUlT_SK_SL_SM_E_clISE_PiSF_SF_EESJ_SZ_SK_SL_SM_EUlSZ_E0_NS1_11comp_targetILNS1_3genE2ELNS1_11target_archE906ELNS1_3gpuE6ELNS1_3repE0EEENS1_38merge_mergepath_config_static_selectorELNS0_4arch9wavefront6targetE1EEEvSL_,@function
_ZN7rocprim17ROCPRIM_400000_NS6detail17trampoline_kernelINS0_14default_configENS1_38merge_sort_block_merge_config_selectorIiNS0_10empty_typeEEEZZNS1_27merge_sort_block_merge_implIS3_N6thrust23THRUST_200600_302600_NS6detail15normal_iteratorINS9_10device_ptrIiEEEEPS5_jNS1_19radix_merge_compareILb0ELb1EiNS0_19identity_decomposerEEEEE10hipError_tT0_T1_T2_jT3_P12ihipStream_tbPNSt15iterator_traitsISK_E10value_typeEPNSQ_ISL_E10value_typeEPSM_NS1_7vsmem_tEENKUlT_SK_SL_SM_E_clISE_PiSF_SF_EESJ_SZ_SK_SL_SM_EUlSZ_E0_NS1_11comp_targetILNS1_3genE2ELNS1_11target_archE906ELNS1_3gpuE6ELNS1_3repE0EEENS1_38merge_mergepath_config_static_selectorELNS0_4arch9wavefront6targetE1EEEvSL_: ; @_ZN7rocprim17ROCPRIM_400000_NS6detail17trampoline_kernelINS0_14default_configENS1_38merge_sort_block_merge_config_selectorIiNS0_10empty_typeEEEZZNS1_27merge_sort_block_merge_implIS3_N6thrust23THRUST_200600_302600_NS6detail15normal_iteratorINS9_10device_ptrIiEEEEPS5_jNS1_19radix_merge_compareILb0ELb1EiNS0_19identity_decomposerEEEEE10hipError_tT0_T1_T2_jT3_P12ihipStream_tbPNSt15iterator_traitsISK_E10value_typeEPNSQ_ISL_E10value_typeEPSM_NS1_7vsmem_tEENKUlT_SK_SL_SM_E_clISE_PiSF_SF_EESJ_SZ_SK_SL_SM_EUlSZ_E0_NS1_11comp_targetILNS1_3genE2ELNS1_11target_archE906ELNS1_3gpuE6ELNS1_3repE0EEENS1_38merge_mergepath_config_static_selectorELNS0_4arch9wavefront6targetE1EEEvSL_
; %bb.0:
	.section	.rodata,"a",@progbits
	.p2align	6, 0x0
	.amdhsa_kernel _ZN7rocprim17ROCPRIM_400000_NS6detail17trampoline_kernelINS0_14default_configENS1_38merge_sort_block_merge_config_selectorIiNS0_10empty_typeEEEZZNS1_27merge_sort_block_merge_implIS3_N6thrust23THRUST_200600_302600_NS6detail15normal_iteratorINS9_10device_ptrIiEEEEPS5_jNS1_19radix_merge_compareILb0ELb1EiNS0_19identity_decomposerEEEEE10hipError_tT0_T1_T2_jT3_P12ihipStream_tbPNSt15iterator_traitsISK_E10value_typeEPNSQ_ISL_E10value_typeEPSM_NS1_7vsmem_tEENKUlT_SK_SL_SM_E_clISE_PiSF_SF_EESJ_SZ_SK_SL_SM_EUlSZ_E0_NS1_11comp_targetILNS1_3genE2ELNS1_11target_archE906ELNS1_3gpuE6ELNS1_3repE0EEENS1_38merge_mergepath_config_static_selectorELNS0_4arch9wavefront6targetE1EEEvSL_
		.amdhsa_group_segment_fixed_size 0
		.amdhsa_private_segment_fixed_size 0
		.amdhsa_kernarg_size 64
		.amdhsa_user_sgpr_count 6
		.amdhsa_user_sgpr_private_segment_buffer 1
		.amdhsa_user_sgpr_dispatch_ptr 0
		.amdhsa_user_sgpr_queue_ptr 0
		.amdhsa_user_sgpr_kernarg_segment_ptr 1
		.amdhsa_user_sgpr_dispatch_id 0
		.amdhsa_user_sgpr_flat_scratch_init 0
		.amdhsa_user_sgpr_kernarg_preload_length 0
		.amdhsa_user_sgpr_kernarg_preload_offset 0
		.amdhsa_user_sgpr_private_segment_size 0
		.amdhsa_uses_dynamic_stack 0
		.amdhsa_system_sgpr_private_segment_wavefront_offset 0
		.amdhsa_system_sgpr_workgroup_id_x 1
		.amdhsa_system_sgpr_workgroup_id_y 0
		.amdhsa_system_sgpr_workgroup_id_z 0
		.amdhsa_system_sgpr_workgroup_info 0
		.amdhsa_system_vgpr_workitem_id 0
		.amdhsa_next_free_vgpr 1
		.amdhsa_next_free_sgpr 0
		.amdhsa_accum_offset 4
		.amdhsa_reserve_vcc 0
		.amdhsa_reserve_flat_scratch 0
		.amdhsa_float_round_mode_32 0
		.amdhsa_float_round_mode_16_64 0
		.amdhsa_float_denorm_mode_32 3
		.amdhsa_float_denorm_mode_16_64 3
		.amdhsa_dx10_clamp 1
		.amdhsa_ieee_mode 1
		.amdhsa_fp16_overflow 0
		.amdhsa_tg_split 0
		.amdhsa_exception_fp_ieee_invalid_op 0
		.amdhsa_exception_fp_denorm_src 0
		.amdhsa_exception_fp_ieee_div_zero 0
		.amdhsa_exception_fp_ieee_overflow 0
		.amdhsa_exception_fp_ieee_underflow 0
		.amdhsa_exception_fp_ieee_inexact 0
		.amdhsa_exception_int_div_zero 0
	.end_amdhsa_kernel
	.section	.text._ZN7rocprim17ROCPRIM_400000_NS6detail17trampoline_kernelINS0_14default_configENS1_38merge_sort_block_merge_config_selectorIiNS0_10empty_typeEEEZZNS1_27merge_sort_block_merge_implIS3_N6thrust23THRUST_200600_302600_NS6detail15normal_iteratorINS9_10device_ptrIiEEEEPS5_jNS1_19radix_merge_compareILb0ELb1EiNS0_19identity_decomposerEEEEE10hipError_tT0_T1_T2_jT3_P12ihipStream_tbPNSt15iterator_traitsISK_E10value_typeEPNSQ_ISL_E10value_typeEPSM_NS1_7vsmem_tEENKUlT_SK_SL_SM_E_clISE_PiSF_SF_EESJ_SZ_SK_SL_SM_EUlSZ_E0_NS1_11comp_targetILNS1_3genE2ELNS1_11target_archE906ELNS1_3gpuE6ELNS1_3repE0EEENS1_38merge_mergepath_config_static_selectorELNS0_4arch9wavefront6targetE1EEEvSL_,"axG",@progbits,_ZN7rocprim17ROCPRIM_400000_NS6detail17trampoline_kernelINS0_14default_configENS1_38merge_sort_block_merge_config_selectorIiNS0_10empty_typeEEEZZNS1_27merge_sort_block_merge_implIS3_N6thrust23THRUST_200600_302600_NS6detail15normal_iteratorINS9_10device_ptrIiEEEEPS5_jNS1_19radix_merge_compareILb0ELb1EiNS0_19identity_decomposerEEEEE10hipError_tT0_T1_T2_jT3_P12ihipStream_tbPNSt15iterator_traitsISK_E10value_typeEPNSQ_ISL_E10value_typeEPSM_NS1_7vsmem_tEENKUlT_SK_SL_SM_E_clISE_PiSF_SF_EESJ_SZ_SK_SL_SM_EUlSZ_E0_NS1_11comp_targetILNS1_3genE2ELNS1_11target_archE906ELNS1_3gpuE6ELNS1_3repE0EEENS1_38merge_mergepath_config_static_selectorELNS0_4arch9wavefront6targetE1EEEvSL_,comdat
.Lfunc_end1708:
	.size	_ZN7rocprim17ROCPRIM_400000_NS6detail17trampoline_kernelINS0_14default_configENS1_38merge_sort_block_merge_config_selectorIiNS0_10empty_typeEEEZZNS1_27merge_sort_block_merge_implIS3_N6thrust23THRUST_200600_302600_NS6detail15normal_iteratorINS9_10device_ptrIiEEEEPS5_jNS1_19radix_merge_compareILb0ELb1EiNS0_19identity_decomposerEEEEE10hipError_tT0_T1_T2_jT3_P12ihipStream_tbPNSt15iterator_traitsISK_E10value_typeEPNSQ_ISL_E10value_typeEPSM_NS1_7vsmem_tEENKUlT_SK_SL_SM_E_clISE_PiSF_SF_EESJ_SZ_SK_SL_SM_EUlSZ_E0_NS1_11comp_targetILNS1_3genE2ELNS1_11target_archE906ELNS1_3gpuE6ELNS1_3repE0EEENS1_38merge_mergepath_config_static_selectorELNS0_4arch9wavefront6targetE1EEEvSL_, .Lfunc_end1708-_ZN7rocprim17ROCPRIM_400000_NS6detail17trampoline_kernelINS0_14default_configENS1_38merge_sort_block_merge_config_selectorIiNS0_10empty_typeEEEZZNS1_27merge_sort_block_merge_implIS3_N6thrust23THRUST_200600_302600_NS6detail15normal_iteratorINS9_10device_ptrIiEEEEPS5_jNS1_19radix_merge_compareILb0ELb1EiNS0_19identity_decomposerEEEEE10hipError_tT0_T1_T2_jT3_P12ihipStream_tbPNSt15iterator_traitsISK_E10value_typeEPNSQ_ISL_E10value_typeEPSM_NS1_7vsmem_tEENKUlT_SK_SL_SM_E_clISE_PiSF_SF_EESJ_SZ_SK_SL_SM_EUlSZ_E0_NS1_11comp_targetILNS1_3genE2ELNS1_11target_archE906ELNS1_3gpuE6ELNS1_3repE0EEENS1_38merge_mergepath_config_static_selectorELNS0_4arch9wavefront6targetE1EEEvSL_
                                        ; -- End function
	.section	.AMDGPU.csdata,"",@progbits
; Kernel info:
; codeLenInByte = 0
; NumSgprs: 4
; NumVgprs: 0
; NumAgprs: 0
; TotalNumVgprs: 0
; ScratchSize: 0
; MemoryBound: 0
; FloatMode: 240
; IeeeMode: 1
; LDSByteSize: 0 bytes/workgroup (compile time only)
; SGPRBlocks: 0
; VGPRBlocks: 0
; NumSGPRsForWavesPerEU: 4
; NumVGPRsForWavesPerEU: 1
; AccumOffset: 4
; Occupancy: 8
; WaveLimiterHint : 0
; COMPUTE_PGM_RSRC2:SCRATCH_EN: 0
; COMPUTE_PGM_RSRC2:USER_SGPR: 6
; COMPUTE_PGM_RSRC2:TRAP_HANDLER: 0
; COMPUTE_PGM_RSRC2:TGID_X_EN: 1
; COMPUTE_PGM_RSRC2:TGID_Y_EN: 0
; COMPUTE_PGM_RSRC2:TGID_Z_EN: 0
; COMPUTE_PGM_RSRC2:TIDIG_COMP_CNT: 0
; COMPUTE_PGM_RSRC3_GFX90A:ACCUM_OFFSET: 0
; COMPUTE_PGM_RSRC3_GFX90A:TG_SPLIT: 0
	.section	.text._ZN7rocprim17ROCPRIM_400000_NS6detail17trampoline_kernelINS0_14default_configENS1_38merge_sort_block_merge_config_selectorIiNS0_10empty_typeEEEZZNS1_27merge_sort_block_merge_implIS3_N6thrust23THRUST_200600_302600_NS6detail15normal_iteratorINS9_10device_ptrIiEEEEPS5_jNS1_19radix_merge_compareILb0ELb1EiNS0_19identity_decomposerEEEEE10hipError_tT0_T1_T2_jT3_P12ihipStream_tbPNSt15iterator_traitsISK_E10value_typeEPNSQ_ISL_E10value_typeEPSM_NS1_7vsmem_tEENKUlT_SK_SL_SM_E_clISE_PiSF_SF_EESJ_SZ_SK_SL_SM_EUlSZ_E0_NS1_11comp_targetILNS1_3genE9ELNS1_11target_archE1100ELNS1_3gpuE3ELNS1_3repE0EEENS1_38merge_mergepath_config_static_selectorELNS0_4arch9wavefront6targetE1EEEvSL_,"axG",@progbits,_ZN7rocprim17ROCPRIM_400000_NS6detail17trampoline_kernelINS0_14default_configENS1_38merge_sort_block_merge_config_selectorIiNS0_10empty_typeEEEZZNS1_27merge_sort_block_merge_implIS3_N6thrust23THRUST_200600_302600_NS6detail15normal_iteratorINS9_10device_ptrIiEEEEPS5_jNS1_19radix_merge_compareILb0ELb1EiNS0_19identity_decomposerEEEEE10hipError_tT0_T1_T2_jT3_P12ihipStream_tbPNSt15iterator_traitsISK_E10value_typeEPNSQ_ISL_E10value_typeEPSM_NS1_7vsmem_tEENKUlT_SK_SL_SM_E_clISE_PiSF_SF_EESJ_SZ_SK_SL_SM_EUlSZ_E0_NS1_11comp_targetILNS1_3genE9ELNS1_11target_archE1100ELNS1_3gpuE3ELNS1_3repE0EEENS1_38merge_mergepath_config_static_selectorELNS0_4arch9wavefront6targetE1EEEvSL_,comdat
	.protected	_ZN7rocprim17ROCPRIM_400000_NS6detail17trampoline_kernelINS0_14default_configENS1_38merge_sort_block_merge_config_selectorIiNS0_10empty_typeEEEZZNS1_27merge_sort_block_merge_implIS3_N6thrust23THRUST_200600_302600_NS6detail15normal_iteratorINS9_10device_ptrIiEEEEPS5_jNS1_19radix_merge_compareILb0ELb1EiNS0_19identity_decomposerEEEEE10hipError_tT0_T1_T2_jT3_P12ihipStream_tbPNSt15iterator_traitsISK_E10value_typeEPNSQ_ISL_E10value_typeEPSM_NS1_7vsmem_tEENKUlT_SK_SL_SM_E_clISE_PiSF_SF_EESJ_SZ_SK_SL_SM_EUlSZ_E0_NS1_11comp_targetILNS1_3genE9ELNS1_11target_archE1100ELNS1_3gpuE3ELNS1_3repE0EEENS1_38merge_mergepath_config_static_selectorELNS0_4arch9wavefront6targetE1EEEvSL_ ; -- Begin function _ZN7rocprim17ROCPRIM_400000_NS6detail17trampoline_kernelINS0_14default_configENS1_38merge_sort_block_merge_config_selectorIiNS0_10empty_typeEEEZZNS1_27merge_sort_block_merge_implIS3_N6thrust23THRUST_200600_302600_NS6detail15normal_iteratorINS9_10device_ptrIiEEEEPS5_jNS1_19radix_merge_compareILb0ELb1EiNS0_19identity_decomposerEEEEE10hipError_tT0_T1_T2_jT3_P12ihipStream_tbPNSt15iterator_traitsISK_E10value_typeEPNSQ_ISL_E10value_typeEPSM_NS1_7vsmem_tEENKUlT_SK_SL_SM_E_clISE_PiSF_SF_EESJ_SZ_SK_SL_SM_EUlSZ_E0_NS1_11comp_targetILNS1_3genE9ELNS1_11target_archE1100ELNS1_3gpuE3ELNS1_3repE0EEENS1_38merge_mergepath_config_static_selectorELNS0_4arch9wavefront6targetE1EEEvSL_
	.globl	_ZN7rocprim17ROCPRIM_400000_NS6detail17trampoline_kernelINS0_14default_configENS1_38merge_sort_block_merge_config_selectorIiNS0_10empty_typeEEEZZNS1_27merge_sort_block_merge_implIS3_N6thrust23THRUST_200600_302600_NS6detail15normal_iteratorINS9_10device_ptrIiEEEEPS5_jNS1_19radix_merge_compareILb0ELb1EiNS0_19identity_decomposerEEEEE10hipError_tT0_T1_T2_jT3_P12ihipStream_tbPNSt15iterator_traitsISK_E10value_typeEPNSQ_ISL_E10value_typeEPSM_NS1_7vsmem_tEENKUlT_SK_SL_SM_E_clISE_PiSF_SF_EESJ_SZ_SK_SL_SM_EUlSZ_E0_NS1_11comp_targetILNS1_3genE9ELNS1_11target_archE1100ELNS1_3gpuE3ELNS1_3repE0EEENS1_38merge_mergepath_config_static_selectorELNS0_4arch9wavefront6targetE1EEEvSL_
	.p2align	8
	.type	_ZN7rocprim17ROCPRIM_400000_NS6detail17trampoline_kernelINS0_14default_configENS1_38merge_sort_block_merge_config_selectorIiNS0_10empty_typeEEEZZNS1_27merge_sort_block_merge_implIS3_N6thrust23THRUST_200600_302600_NS6detail15normal_iteratorINS9_10device_ptrIiEEEEPS5_jNS1_19radix_merge_compareILb0ELb1EiNS0_19identity_decomposerEEEEE10hipError_tT0_T1_T2_jT3_P12ihipStream_tbPNSt15iterator_traitsISK_E10value_typeEPNSQ_ISL_E10value_typeEPSM_NS1_7vsmem_tEENKUlT_SK_SL_SM_E_clISE_PiSF_SF_EESJ_SZ_SK_SL_SM_EUlSZ_E0_NS1_11comp_targetILNS1_3genE9ELNS1_11target_archE1100ELNS1_3gpuE3ELNS1_3repE0EEENS1_38merge_mergepath_config_static_selectorELNS0_4arch9wavefront6targetE1EEEvSL_,@function
_ZN7rocprim17ROCPRIM_400000_NS6detail17trampoline_kernelINS0_14default_configENS1_38merge_sort_block_merge_config_selectorIiNS0_10empty_typeEEEZZNS1_27merge_sort_block_merge_implIS3_N6thrust23THRUST_200600_302600_NS6detail15normal_iteratorINS9_10device_ptrIiEEEEPS5_jNS1_19radix_merge_compareILb0ELb1EiNS0_19identity_decomposerEEEEE10hipError_tT0_T1_T2_jT3_P12ihipStream_tbPNSt15iterator_traitsISK_E10value_typeEPNSQ_ISL_E10value_typeEPSM_NS1_7vsmem_tEENKUlT_SK_SL_SM_E_clISE_PiSF_SF_EESJ_SZ_SK_SL_SM_EUlSZ_E0_NS1_11comp_targetILNS1_3genE9ELNS1_11target_archE1100ELNS1_3gpuE3ELNS1_3repE0EEENS1_38merge_mergepath_config_static_selectorELNS0_4arch9wavefront6targetE1EEEvSL_: ; @_ZN7rocprim17ROCPRIM_400000_NS6detail17trampoline_kernelINS0_14default_configENS1_38merge_sort_block_merge_config_selectorIiNS0_10empty_typeEEEZZNS1_27merge_sort_block_merge_implIS3_N6thrust23THRUST_200600_302600_NS6detail15normal_iteratorINS9_10device_ptrIiEEEEPS5_jNS1_19radix_merge_compareILb0ELb1EiNS0_19identity_decomposerEEEEE10hipError_tT0_T1_T2_jT3_P12ihipStream_tbPNSt15iterator_traitsISK_E10value_typeEPNSQ_ISL_E10value_typeEPSM_NS1_7vsmem_tEENKUlT_SK_SL_SM_E_clISE_PiSF_SF_EESJ_SZ_SK_SL_SM_EUlSZ_E0_NS1_11comp_targetILNS1_3genE9ELNS1_11target_archE1100ELNS1_3gpuE3ELNS1_3repE0EEENS1_38merge_mergepath_config_static_selectorELNS0_4arch9wavefront6targetE1EEEvSL_
; %bb.0:
	.section	.rodata,"a",@progbits
	.p2align	6, 0x0
	.amdhsa_kernel _ZN7rocprim17ROCPRIM_400000_NS6detail17trampoline_kernelINS0_14default_configENS1_38merge_sort_block_merge_config_selectorIiNS0_10empty_typeEEEZZNS1_27merge_sort_block_merge_implIS3_N6thrust23THRUST_200600_302600_NS6detail15normal_iteratorINS9_10device_ptrIiEEEEPS5_jNS1_19radix_merge_compareILb0ELb1EiNS0_19identity_decomposerEEEEE10hipError_tT0_T1_T2_jT3_P12ihipStream_tbPNSt15iterator_traitsISK_E10value_typeEPNSQ_ISL_E10value_typeEPSM_NS1_7vsmem_tEENKUlT_SK_SL_SM_E_clISE_PiSF_SF_EESJ_SZ_SK_SL_SM_EUlSZ_E0_NS1_11comp_targetILNS1_3genE9ELNS1_11target_archE1100ELNS1_3gpuE3ELNS1_3repE0EEENS1_38merge_mergepath_config_static_selectorELNS0_4arch9wavefront6targetE1EEEvSL_
		.amdhsa_group_segment_fixed_size 0
		.amdhsa_private_segment_fixed_size 0
		.amdhsa_kernarg_size 64
		.amdhsa_user_sgpr_count 6
		.amdhsa_user_sgpr_private_segment_buffer 1
		.amdhsa_user_sgpr_dispatch_ptr 0
		.amdhsa_user_sgpr_queue_ptr 0
		.amdhsa_user_sgpr_kernarg_segment_ptr 1
		.amdhsa_user_sgpr_dispatch_id 0
		.amdhsa_user_sgpr_flat_scratch_init 0
		.amdhsa_user_sgpr_kernarg_preload_length 0
		.amdhsa_user_sgpr_kernarg_preload_offset 0
		.amdhsa_user_sgpr_private_segment_size 0
		.amdhsa_uses_dynamic_stack 0
		.amdhsa_system_sgpr_private_segment_wavefront_offset 0
		.amdhsa_system_sgpr_workgroup_id_x 1
		.amdhsa_system_sgpr_workgroup_id_y 0
		.amdhsa_system_sgpr_workgroup_id_z 0
		.amdhsa_system_sgpr_workgroup_info 0
		.amdhsa_system_vgpr_workitem_id 0
		.amdhsa_next_free_vgpr 1
		.amdhsa_next_free_sgpr 0
		.amdhsa_accum_offset 4
		.amdhsa_reserve_vcc 0
		.amdhsa_reserve_flat_scratch 0
		.amdhsa_float_round_mode_32 0
		.amdhsa_float_round_mode_16_64 0
		.amdhsa_float_denorm_mode_32 3
		.amdhsa_float_denorm_mode_16_64 3
		.amdhsa_dx10_clamp 1
		.amdhsa_ieee_mode 1
		.amdhsa_fp16_overflow 0
		.amdhsa_tg_split 0
		.amdhsa_exception_fp_ieee_invalid_op 0
		.amdhsa_exception_fp_denorm_src 0
		.amdhsa_exception_fp_ieee_div_zero 0
		.amdhsa_exception_fp_ieee_overflow 0
		.amdhsa_exception_fp_ieee_underflow 0
		.amdhsa_exception_fp_ieee_inexact 0
		.amdhsa_exception_int_div_zero 0
	.end_amdhsa_kernel
	.section	.text._ZN7rocprim17ROCPRIM_400000_NS6detail17trampoline_kernelINS0_14default_configENS1_38merge_sort_block_merge_config_selectorIiNS0_10empty_typeEEEZZNS1_27merge_sort_block_merge_implIS3_N6thrust23THRUST_200600_302600_NS6detail15normal_iteratorINS9_10device_ptrIiEEEEPS5_jNS1_19radix_merge_compareILb0ELb1EiNS0_19identity_decomposerEEEEE10hipError_tT0_T1_T2_jT3_P12ihipStream_tbPNSt15iterator_traitsISK_E10value_typeEPNSQ_ISL_E10value_typeEPSM_NS1_7vsmem_tEENKUlT_SK_SL_SM_E_clISE_PiSF_SF_EESJ_SZ_SK_SL_SM_EUlSZ_E0_NS1_11comp_targetILNS1_3genE9ELNS1_11target_archE1100ELNS1_3gpuE3ELNS1_3repE0EEENS1_38merge_mergepath_config_static_selectorELNS0_4arch9wavefront6targetE1EEEvSL_,"axG",@progbits,_ZN7rocprim17ROCPRIM_400000_NS6detail17trampoline_kernelINS0_14default_configENS1_38merge_sort_block_merge_config_selectorIiNS0_10empty_typeEEEZZNS1_27merge_sort_block_merge_implIS3_N6thrust23THRUST_200600_302600_NS6detail15normal_iteratorINS9_10device_ptrIiEEEEPS5_jNS1_19radix_merge_compareILb0ELb1EiNS0_19identity_decomposerEEEEE10hipError_tT0_T1_T2_jT3_P12ihipStream_tbPNSt15iterator_traitsISK_E10value_typeEPNSQ_ISL_E10value_typeEPSM_NS1_7vsmem_tEENKUlT_SK_SL_SM_E_clISE_PiSF_SF_EESJ_SZ_SK_SL_SM_EUlSZ_E0_NS1_11comp_targetILNS1_3genE9ELNS1_11target_archE1100ELNS1_3gpuE3ELNS1_3repE0EEENS1_38merge_mergepath_config_static_selectorELNS0_4arch9wavefront6targetE1EEEvSL_,comdat
.Lfunc_end1709:
	.size	_ZN7rocprim17ROCPRIM_400000_NS6detail17trampoline_kernelINS0_14default_configENS1_38merge_sort_block_merge_config_selectorIiNS0_10empty_typeEEEZZNS1_27merge_sort_block_merge_implIS3_N6thrust23THRUST_200600_302600_NS6detail15normal_iteratorINS9_10device_ptrIiEEEEPS5_jNS1_19radix_merge_compareILb0ELb1EiNS0_19identity_decomposerEEEEE10hipError_tT0_T1_T2_jT3_P12ihipStream_tbPNSt15iterator_traitsISK_E10value_typeEPNSQ_ISL_E10value_typeEPSM_NS1_7vsmem_tEENKUlT_SK_SL_SM_E_clISE_PiSF_SF_EESJ_SZ_SK_SL_SM_EUlSZ_E0_NS1_11comp_targetILNS1_3genE9ELNS1_11target_archE1100ELNS1_3gpuE3ELNS1_3repE0EEENS1_38merge_mergepath_config_static_selectorELNS0_4arch9wavefront6targetE1EEEvSL_, .Lfunc_end1709-_ZN7rocprim17ROCPRIM_400000_NS6detail17trampoline_kernelINS0_14default_configENS1_38merge_sort_block_merge_config_selectorIiNS0_10empty_typeEEEZZNS1_27merge_sort_block_merge_implIS3_N6thrust23THRUST_200600_302600_NS6detail15normal_iteratorINS9_10device_ptrIiEEEEPS5_jNS1_19radix_merge_compareILb0ELb1EiNS0_19identity_decomposerEEEEE10hipError_tT0_T1_T2_jT3_P12ihipStream_tbPNSt15iterator_traitsISK_E10value_typeEPNSQ_ISL_E10value_typeEPSM_NS1_7vsmem_tEENKUlT_SK_SL_SM_E_clISE_PiSF_SF_EESJ_SZ_SK_SL_SM_EUlSZ_E0_NS1_11comp_targetILNS1_3genE9ELNS1_11target_archE1100ELNS1_3gpuE3ELNS1_3repE0EEENS1_38merge_mergepath_config_static_selectorELNS0_4arch9wavefront6targetE1EEEvSL_
                                        ; -- End function
	.section	.AMDGPU.csdata,"",@progbits
; Kernel info:
; codeLenInByte = 0
; NumSgprs: 4
; NumVgprs: 0
; NumAgprs: 0
; TotalNumVgprs: 0
; ScratchSize: 0
; MemoryBound: 0
; FloatMode: 240
; IeeeMode: 1
; LDSByteSize: 0 bytes/workgroup (compile time only)
; SGPRBlocks: 0
; VGPRBlocks: 0
; NumSGPRsForWavesPerEU: 4
; NumVGPRsForWavesPerEU: 1
; AccumOffset: 4
; Occupancy: 8
; WaveLimiterHint : 0
; COMPUTE_PGM_RSRC2:SCRATCH_EN: 0
; COMPUTE_PGM_RSRC2:USER_SGPR: 6
; COMPUTE_PGM_RSRC2:TRAP_HANDLER: 0
; COMPUTE_PGM_RSRC2:TGID_X_EN: 1
; COMPUTE_PGM_RSRC2:TGID_Y_EN: 0
; COMPUTE_PGM_RSRC2:TGID_Z_EN: 0
; COMPUTE_PGM_RSRC2:TIDIG_COMP_CNT: 0
; COMPUTE_PGM_RSRC3_GFX90A:ACCUM_OFFSET: 0
; COMPUTE_PGM_RSRC3_GFX90A:TG_SPLIT: 0
	.section	.text._ZN7rocprim17ROCPRIM_400000_NS6detail17trampoline_kernelINS0_14default_configENS1_38merge_sort_block_merge_config_selectorIiNS0_10empty_typeEEEZZNS1_27merge_sort_block_merge_implIS3_N6thrust23THRUST_200600_302600_NS6detail15normal_iteratorINS9_10device_ptrIiEEEEPS5_jNS1_19radix_merge_compareILb0ELb1EiNS0_19identity_decomposerEEEEE10hipError_tT0_T1_T2_jT3_P12ihipStream_tbPNSt15iterator_traitsISK_E10value_typeEPNSQ_ISL_E10value_typeEPSM_NS1_7vsmem_tEENKUlT_SK_SL_SM_E_clISE_PiSF_SF_EESJ_SZ_SK_SL_SM_EUlSZ_E0_NS1_11comp_targetILNS1_3genE8ELNS1_11target_archE1030ELNS1_3gpuE2ELNS1_3repE0EEENS1_38merge_mergepath_config_static_selectorELNS0_4arch9wavefront6targetE1EEEvSL_,"axG",@progbits,_ZN7rocprim17ROCPRIM_400000_NS6detail17trampoline_kernelINS0_14default_configENS1_38merge_sort_block_merge_config_selectorIiNS0_10empty_typeEEEZZNS1_27merge_sort_block_merge_implIS3_N6thrust23THRUST_200600_302600_NS6detail15normal_iteratorINS9_10device_ptrIiEEEEPS5_jNS1_19radix_merge_compareILb0ELb1EiNS0_19identity_decomposerEEEEE10hipError_tT0_T1_T2_jT3_P12ihipStream_tbPNSt15iterator_traitsISK_E10value_typeEPNSQ_ISL_E10value_typeEPSM_NS1_7vsmem_tEENKUlT_SK_SL_SM_E_clISE_PiSF_SF_EESJ_SZ_SK_SL_SM_EUlSZ_E0_NS1_11comp_targetILNS1_3genE8ELNS1_11target_archE1030ELNS1_3gpuE2ELNS1_3repE0EEENS1_38merge_mergepath_config_static_selectorELNS0_4arch9wavefront6targetE1EEEvSL_,comdat
	.protected	_ZN7rocprim17ROCPRIM_400000_NS6detail17trampoline_kernelINS0_14default_configENS1_38merge_sort_block_merge_config_selectorIiNS0_10empty_typeEEEZZNS1_27merge_sort_block_merge_implIS3_N6thrust23THRUST_200600_302600_NS6detail15normal_iteratorINS9_10device_ptrIiEEEEPS5_jNS1_19radix_merge_compareILb0ELb1EiNS0_19identity_decomposerEEEEE10hipError_tT0_T1_T2_jT3_P12ihipStream_tbPNSt15iterator_traitsISK_E10value_typeEPNSQ_ISL_E10value_typeEPSM_NS1_7vsmem_tEENKUlT_SK_SL_SM_E_clISE_PiSF_SF_EESJ_SZ_SK_SL_SM_EUlSZ_E0_NS1_11comp_targetILNS1_3genE8ELNS1_11target_archE1030ELNS1_3gpuE2ELNS1_3repE0EEENS1_38merge_mergepath_config_static_selectorELNS0_4arch9wavefront6targetE1EEEvSL_ ; -- Begin function _ZN7rocprim17ROCPRIM_400000_NS6detail17trampoline_kernelINS0_14default_configENS1_38merge_sort_block_merge_config_selectorIiNS0_10empty_typeEEEZZNS1_27merge_sort_block_merge_implIS3_N6thrust23THRUST_200600_302600_NS6detail15normal_iteratorINS9_10device_ptrIiEEEEPS5_jNS1_19radix_merge_compareILb0ELb1EiNS0_19identity_decomposerEEEEE10hipError_tT0_T1_T2_jT3_P12ihipStream_tbPNSt15iterator_traitsISK_E10value_typeEPNSQ_ISL_E10value_typeEPSM_NS1_7vsmem_tEENKUlT_SK_SL_SM_E_clISE_PiSF_SF_EESJ_SZ_SK_SL_SM_EUlSZ_E0_NS1_11comp_targetILNS1_3genE8ELNS1_11target_archE1030ELNS1_3gpuE2ELNS1_3repE0EEENS1_38merge_mergepath_config_static_selectorELNS0_4arch9wavefront6targetE1EEEvSL_
	.globl	_ZN7rocprim17ROCPRIM_400000_NS6detail17trampoline_kernelINS0_14default_configENS1_38merge_sort_block_merge_config_selectorIiNS0_10empty_typeEEEZZNS1_27merge_sort_block_merge_implIS3_N6thrust23THRUST_200600_302600_NS6detail15normal_iteratorINS9_10device_ptrIiEEEEPS5_jNS1_19radix_merge_compareILb0ELb1EiNS0_19identity_decomposerEEEEE10hipError_tT0_T1_T2_jT3_P12ihipStream_tbPNSt15iterator_traitsISK_E10value_typeEPNSQ_ISL_E10value_typeEPSM_NS1_7vsmem_tEENKUlT_SK_SL_SM_E_clISE_PiSF_SF_EESJ_SZ_SK_SL_SM_EUlSZ_E0_NS1_11comp_targetILNS1_3genE8ELNS1_11target_archE1030ELNS1_3gpuE2ELNS1_3repE0EEENS1_38merge_mergepath_config_static_selectorELNS0_4arch9wavefront6targetE1EEEvSL_
	.p2align	8
	.type	_ZN7rocprim17ROCPRIM_400000_NS6detail17trampoline_kernelINS0_14default_configENS1_38merge_sort_block_merge_config_selectorIiNS0_10empty_typeEEEZZNS1_27merge_sort_block_merge_implIS3_N6thrust23THRUST_200600_302600_NS6detail15normal_iteratorINS9_10device_ptrIiEEEEPS5_jNS1_19radix_merge_compareILb0ELb1EiNS0_19identity_decomposerEEEEE10hipError_tT0_T1_T2_jT3_P12ihipStream_tbPNSt15iterator_traitsISK_E10value_typeEPNSQ_ISL_E10value_typeEPSM_NS1_7vsmem_tEENKUlT_SK_SL_SM_E_clISE_PiSF_SF_EESJ_SZ_SK_SL_SM_EUlSZ_E0_NS1_11comp_targetILNS1_3genE8ELNS1_11target_archE1030ELNS1_3gpuE2ELNS1_3repE0EEENS1_38merge_mergepath_config_static_selectorELNS0_4arch9wavefront6targetE1EEEvSL_,@function
_ZN7rocprim17ROCPRIM_400000_NS6detail17trampoline_kernelINS0_14default_configENS1_38merge_sort_block_merge_config_selectorIiNS0_10empty_typeEEEZZNS1_27merge_sort_block_merge_implIS3_N6thrust23THRUST_200600_302600_NS6detail15normal_iteratorINS9_10device_ptrIiEEEEPS5_jNS1_19radix_merge_compareILb0ELb1EiNS0_19identity_decomposerEEEEE10hipError_tT0_T1_T2_jT3_P12ihipStream_tbPNSt15iterator_traitsISK_E10value_typeEPNSQ_ISL_E10value_typeEPSM_NS1_7vsmem_tEENKUlT_SK_SL_SM_E_clISE_PiSF_SF_EESJ_SZ_SK_SL_SM_EUlSZ_E0_NS1_11comp_targetILNS1_3genE8ELNS1_11target_archE1030ELNS1_3gpuE2ELNS1_3repE0EEENS1_38merge_mergepath_config_static_selectorELNS0_4arch9wavefront6targetE1EEEvSL_: ; @_ZN7rocprim17ROCPRIM_400000_NS6detail17trampoline_kernelINS0_14default_configENS1_38merge_sort_block_merge_config_selectorIiNS0_10empty_typeEEEZZNS1_27merge_sort_block_merge_implIS3_N6thrust23THRUST_200600_302600_NS6detail15normal_iteratorINS9_10device_ptrIiEEEEPS5_jNS1_19radix_merge_compareILb0ELb1EiNS0_19identity_decomposerEEEEE10hipError_tT0_T1_T2_jT3_P12ihipStream_tbPNSt15iterator_traitsISK_E10value_typeEPNSQ_ISL_E10value_typeEPSM_NS1_7vsmem_tEENKUlT_SK_SL_SM_E_clISE_PiSF_SF_EESJ_SZ_SK_SL_SM_EUlSZ_E0_NS1_11comp_targetILNS1_3genE8ELNS1_11target_archE1030ELNS1_3gpuE2ELNS1_3repE0EEENS1_38merge_mergepath_config_static_selectorELNS0_4arch9wavefront6targetE1EEEvSL_
; %bb.0:
	.section	.rodata,"a",@progbits
	.p2align	6, 0x0
	.amdhsa_kernel _ZN7rocprim17ROCPRIM_400000_NS6detail17trampoline_kernelINS0_14default_configENS1_38merge_sort_block_merge_config_selectorIiNS0_10empty_typeEEEZZNS1_27merge_sort_block_merge_implIS3_N6thrust23THRUST_200600_302600_NS6detail15normal_iteratorINS9_10device_ptrIiEEEEPS5_jNS1_19radix_merge_compareILb0ELb1EiNS0_19identity_decomposerEEEEE10hipError_tT0_T1_T2_jT3_P12ihipStream_tbPNSt15iterator_traitsISK_E10value_typeEPNSQ_ISL_E10value_typeEPSM_NS1_7vsmem_tEENKUlT_SK_SL_SM_E_clISE_PiSF_SF_EESJ_SZ_SK_SL_SM_EUlSZ_E0_NS1_11comp_targetILNS1_3genE8ELNS1_11target_archE1030ELNS1_3gpuE2ELNS1_3repE0EEENS1_38merge_mergepath_config_static_selectorELNS0_4arch9wavefront6targetE1EEEvSL_
		.amdhsa_group_segment_fixed_size 0
		.amdhsa_private_segment_fixed_size 0
		.amdhsa_kernarg_size 64
		.amdhsa_user_sgpr_count 6
		.amdhsa_user_sgpr_private_segment_buffer 1
		.amdhsa_user_sgpr_dispatch_ptr 0
		.amdhsa_user_sgpr_queue_ptr 0
		.amdhsa_user_sgpr_kernarg_segment_ptr 1
		.amdhsa_user_sgpr_dispatch_id 0
		.amdhsa_user_sgpr_flat_scratch_init 0
		.amdhsa_user_sgpr_kernarg_preload_length 0
		.amdhsa_user_sgpr_kernarg_preload_offset 0
		.amdhsa_user_sgpr_private_segment_size 0
		.amdhsa_uses_dynamic_stack 0
		.amdhsa_system_sgpr_private_segment_wavefront_offset 0
		.amdhsa_system_sgpr_workgroup_id_x 1
		.amdhsa_system_sgpr_workgroup_id_y 0
		.amdhsa_system_sgpr_workgroup_id_z 0
		.amdhsa_system_sgpr_workgroup_info 0
		.amdhsa_system_vgpr_workitem_id 0
		.amdhsa_next_free_vgpr 1
		.amdhsa_next_free_sgpr 0
		.amdhsa_accum_offset 4
		.amdhsa_reserve_vcc 0
		.amdhsa_reserve_flat_scratch 0
		.amdhsa_float_round_mode_32 0
		.amdhsa_float_round_mode_16_64 0
		.amdhsa_float_denorm_mode_32 3
		.amdhsa_float_denorm_mode_16_64 3
		.amdhsa_dx10_clamp 1
		.amdhsa_ieee_mode 1
		.amdhsa_fp16_overflow 0
		.amdhsa_tg_split 0
		.amdhsa_exception_fp_ieee_invalid_op 0
		.amdhsa_exception_fp_denorm_src 0
		.amdhsa_exception_fp_ieee_div_zero 0
		.amdhsa_exception_fp_ieee_overflow 0
		.amdhsa_exception_fp_ieee_underflow 0
		.amdhsa_exception_fp_ieee_inexact 0
		.amdhsa_exception_int_div_zero 0
	.end_amdhsa_kernel
	.section	.text._ZN7rocprim17ROCPRIM_400000_NS6detail17trampoline_kernelINS0_14default_configENS1_38merge_sort_block_merge_config_selectorIiNS0_10empty_typeEEEZZNS1_27merge_sort_block_merge_implIS3_N6thrust23THRUST_200600_302600_NS6detail15normal_iteratorINS9_10device_ptrIiEEEEPS5_jNS1_19radix_merge_compareILb0ELb1EiNS0_19identity_decomposerEEEEE10hipError_tT0_T1_T2_jT3_P12ihipStream_tbPNSt15iterator_traitsISK_E10value_typeEPNSQ_ISL_E10value_typeEPSM_NS1_7vsmem_tEENKUlT_SK_SL_SM_E_clISE_PiSF_SF_EESJ_SZ_SK_SL_SM_EUlSZ_E0_NS1_11comp_targetILNS1_3genE8ELNS1_11target_archE1030ELNS1_3gpuE2ELNS1_3repE0EEENS1_38merge_mergepath_config_static_selectorELNS0_4arch9wavefront6targetE1EEEvSL_,"axG",@progbits,_ZN7rocprim17ROCPRIM_400000_NS6detail17trampoline_kernelINS0_14default_configENS1_38merge_sort_block_merge_config_selectorIiNS0_10empty_typeEEEZZNS1_27merge_sort_block_merge_implIS3_N6thrust23THRUST_200600_302600_NS6detail15normal_iteratorINS9_10device_ptrIiEEEEPS5_jNS1_19radix_merge_compareILb0ELb1EiNS0_19identity_decomposerEEEEE10hipError_tT0_T1_T2_jT3_P12ihipStream_tbPNSt15iterator_traitsISK_E10value_typeEPNSQ_ISL_E10value_typeEPSM_NS1_7vsmem_tEENKUlT_SK_SL_SM_E_clISE_PiSF_SF_EESJ_SZ_SK_SL_SM_EUlSZ_E0_NS1_11comp_targetILNS1_3genE8ELNS1_11target_archE1030ELNS1_3gpuE2ELNS1_3repE0EEENS1_38merge_mergepath_config_static_selectorELNS0_4arch9wavefront6targetE1EEEvSL_,comdat
.Lfunc_end1710:
	.size	_ZN7rocprim17ROCPRIM_400000_NS6detail17trampoline_kernelINS0_14default_configENS1_38merge_sort_block_merge_config_selectorIiNS0_10empty_typeEEEZZNS1_27merge_sort_block_merge_implIS3_N6thrust23THRUST_200600_302600_NS6detail15normal_iteratorINS9_10device_ptrIiEEEEPS5_jNS1_19radix_merge_compareILb0ELb1EiNS0_19identity_decomposerEEEEE10hipError_tT0_T1_T2_jT3_P12ihipStream_tbPNSt15iterator_traitsISK_E10value_typeEPNSQ_ISL_E10value_typeEPSM_NS1_7vsmem_tEENKUlT_SK_SL_SM_E_clISE_PiSF_SF_EESJ_SZ_SK_SL_SM_EUlSZ_E0_NS1_11comp_targetILNS1_3genE8ELNS1_11target_archE1030ELNS1_3gpuE2ELNS1_3repE0EEENS1_38merge_mergepath_config_static_selectorELNS0_4arch9wavefront6targetE1EEEvSL_, .Lfunc_end1710-_ZN7rocprim17ROCPRIM_400000_NS6detail17trampoline_kernelINS0_14default_configENS1_38merge_sort_block_merge_config_selectorIiNS0_10empty_typeEEEZZNS1_27merge_sort_block_merge_implIS3_N6thrust23THRUST_200600_302600_NS6detail15normal_iteratorINS9_10device_ptrIiEEEEPS5_jNS1_19radix_merge_compareILb0ELb1EiNS0_19identity_decomposerEEEEE10hipError_tT0_T1_T2_jT3_P12ihipStream_tbPNSt15iterator_traitsISK_E10value_typeEPNSQ_ISL_E10value_typeEPSM_NS1_7vsmem_tEENKUlT_SK_SL_SM_E_clISE_PiSF_SF_EESJ_SZ_SK_SL_SM_EUlSZ_E0_NS1_11comp_targetILNS1_3genE8ELNS1_11target_archE1030ELNS1_3gpuE2ELNS1_3repE0EEENS1_38merge_mergepath_config_static_selectorELNS0_4arch9wavefront6targetE1EEEvSL_
                                        ; -- End function
	.section	.AMDGPU.csdata,"",@progbits
; Kernel info:
; codeLenInByte = 0
; NumSgprs: 4
; NumVgprs: 0
; NumAgprs: 0
; TotalNumVgprs: 0
; ScratchSize: 0
; MemoryBound: 0
; FloatMode: 240
; IeeeMode: 1
; LDSByteSize: 0 bytes/workgroup (compile time only)
; SGPRBlocks: 0
; VGPRBlocks: 0
; NumSGPRsForWavesPerEU: 4
; NumVGPRsForWavesPerEU: 1
; AccumOffset: 4
; Occupancy: 8
; WaveLimiterHint : 0
; COMPUTE_PGM_RSRC2:SCRATCH_EN: 0
; COMPUTE_PGM_RSRC2:USER_SGPR: 6
; COMPUTE_PGM_RSRC2:TRAP_HANDLER: 0
; COMPUTE_PGM_RSRC2:TGID_X_EN: 1
; COMPUTE_PGM_RSRC2:TGID_Y_EN: 0
; COMPUTE_PGM_RSRC2:TGID_Z_EN: 0
; COMPUTE_PGM_RSRC2:TIDIG_COMP_CNT: 0
; COMPUTE_PGM_RSRC3_GFX90A:ACCUM_OFFSET: 0
; COMPUTE_PGM_RSRC3_GFX90A:TG_SPLIT: 0
	.section	.text._ZN7rocprim17ROCPRIM_400000_NS6detail17trampoline_kernelINS0_14default_configENS1_38merge_sort_block_merge_config_selectorIiNS0_10empty_typeEEEZZNS1_27merge_sort_block_merge_implIS3_N6thrust23THRUST_200600_302600_NS6detail15normal_iteratorINS9_10device_ptrIiEEEEPS5_jNS1_19radix_merge_compareILb0ELb1EiNS0_19identity_decomposerEEEEE10hipError_tT0_T1_T2_jT3_P12ihipStream_tbPNSt15iterator_traitsISK_E10value_typeEPNSQ_ISL_E10value_typeEPSM_NS1_7vsmem_tEENKUlT_SK_SL_SM_E_clISE_PiSF_SF_EESJ_SZ_SK_SL_SM_EUlSZ_E1_NS1_11comp_targetILNS1_3genE0ELNS1_11target_archE4294967295ELNS1_3gpuE0ELNS1_3repE0EEENS1_36merge_oddeven_config_static_selectorELNS0_4arch9wavefront6targetE1EEEvSL_,"axG",@progbits,_ZN7rocprim17ROCPRIM_400000_NS6detail17trampoline_kernelINS0_14default_configENS1_38merge_sort_block_merge_config_selectorIiNS0_10empty_typeEEEZZNS1_27merge_sort_block_merge_implIS3_N6thrust23THRUST_200600_302600_NS6detail15normal_iteratorINS9_10device_ptrIiEEEEPS5_jNS1_19radix_merge_compareILb0ELb1EiNS0_19identity_decomposerEEEEE10hipError_tT0_T1_T2_jT3_P12ihipStream_tbPNSt15iterator_traitsISK_E10value_typeEPNSQ_ISL_E10value_typeEPSM_NS1_7vsmem_tEENKUlT_SK_SL_SM_E_clISE_PiSF_SF_EESJ_SZ_SK_SL_SM_EUlSZ_E1_NS1_11comp_targetILNS1_3genE0ELNS1_11target_archE4294967295ELNS1_3gpuE0ELNS1_3repE0EEENS1_36merge_oddeven_config_static_selectorELNS0_4arch9wavefront6targetE1EEEvSL_,comdat
	.protected	_ZN7rocprim17ROCPRIM_400000_NS6detail17trampoline_kernelINS0_14default_configENS1_38merge_sort_block_merge_config_selectorIiNS0_10empty_typeEEEZZNS1_27merge_sort_block_merge_implIS3_N6thrust23THRUST_200600_302600_NS6detail15normal_iteratorINS9_10device_ptrIiEEEEPS5_jNS1_19radix_merge_compareILb0ELb1EiNS0_19identity_decomposerEEEEE10hipError_tT0_T1_T2_jT3_P12ihipStream_tbPNSt15iterator_traitsISK_E10value_typeEPNSQ_ISL_E10value_typeEPSM_NS1_7vsmem_tEENKUlT_SK_SL_SM_E_clISE_PiSF_SF_EESJ_SZ_SK_SL_SM_EUlSZ_E1_NS1_11comp_targetILNS1_3genE0ELNS1_11target_archE4294967295ELNS1_3gpuE0ELNS1_3repE0EEENS1_36merge_oddeven_config_static_selectorELNS0_4arch9wavefront6targetE1EEEvSL_ ; -- Begin function _ZN7rocprim17ROCPRIM_400000_NS6detail17trampoline_kernelINS0_14default_configENS1_38merge_sort_block_merge_config_selectorIiNS0_10empty_typeEEEZZNS1_27merge_sort_block_merge_implIS3_N6thrust23THRUST_200600_302600_NS6detail15normal_iteratorINS9_10device_ptrIiEEEEPS5_jNS1_19radix_merge_compareILb0ELb1EiNS0_19identity_decomposerEEEEE10hipError_tT0_T1_T2_jT3_P12ihipStream_tbPNSt15iterator_traitsISK_E10value_typeEPNSQ_ISL_E10value_typeEPSM_NS1_7vsmem_tEENKUlT_SK_SL_SM_E_clISE_PiSF_SF_EESJ_SZ_SK_SL_SM_EUlSZ_E1_NS1_11comp_targetILNS1_3genE0ELNS1_11target_archE4294967295ELNS1_3gpuE0ELNS1_3repE0EEENS1_36merge_oddeven_config_static_selectorELNS0_4arch9wavefront6targetE1EEEvSL_
	.globl	_ZN7rocprim17ROCPRIM_400000_NS6detail17trampoline_kernelINS0_14default_configENS1_38merge_sort_block_merge_config_selectorIiNS0_10empty_typeEEEZZNS1_27merge_sort_block_merge_implIS3_N6thrust23THRUST_200600_302600_NS6detail15normal_iteratorINS9_10device_ptrIiEEEEPS5_jNS1_19radix_merge_compareILb0ELb1EiNS0_19identity_decomposerEEEEE10hipError_tT0_T1_T2_jT3_P12ihipStream_tbPNSt15iterator_traitsISK_E10value_typeEPNSQ_ISL_E10value_typeEPSM_NS1_7vsmem_tEENKUlT_SK_SL_SM_E_clISE_PiSF_SF_EESJ_SZ_SK_SL_SM_EUlSZ_E1_NS1_11comp_targetILNS1_3genE0ELNS1_11target_archE4294967295ELNS1_3gpuE0ELNS1_3repE0EEENS1_36merge_oddeven_config_static_selectorELNS0_4arch9wavefront6targetE1EEEvSL_
	.p2align	8
	.type	_ZN7rocprim17ROCPRIM_400000_NS6detail17trampoline_kernelINS0_14default_configENS1_38merge_sort_block_merge_config_selectorIiNS0_10empty_typeEEEZZNS1_27merge_sort_block_merge_implIS3_N6thrust23THRUST_200600_302600_NS6detail15normal_iteratorINS9_10device_ptrIiEEEEPS5_jNS1_19radix_merge_compareILb0ELb1EiNS0_19identity_decomposerEEEEE10hipError_tT0_T1_T2_jT3_P12ihipStream_tbPNSt15iterator_traitsISK_E10value_typeEPNSQ_ISL_E10value_typeEPSM_NS1_7vsmem_tEENKUlT_SK_SL_SM_E_clISE_PiSF_SF_EESJ_SZ_SK_SL_SM_EUlSZ_E1_NS1_11comp_targetILNS1_3genE0ELNS1_11target_archE4294967295ELNS1_3gpuE0ELNS1_3repE0EEENS1_36merge_oddeven_config_static_selectorELNS0_4arch9wavefront6targetE1EEEvSL_,@function
_ZN7rocprim17ROCPRIM_400000_NS6detail17trampoline_kernelINS0_14default_configENS1_38merge_sort_block_merge_config_selectorIiNS0_10empty_typeEEEZZNS1_27merge_sort_block_merge_implIS3_N6thrust23THRUST_200600_302600_NS6detail15normal_iteratorINS9_10device_ptrIiEEEEPS5_jNS1_19radix_merge_compareILb0ELb1EiNS0_19identity_decomposerEEEEE10hipError_tT0_T1_T2_jT3_P12ihipStream_tbPNSt15iterator_traitsISK_E10value_typeEPNSQ_ISL_E10value_typeEPSM_NS1_7vsmem_tEENKUlT_SK_SL_SM_E_clISE_PiSF_SF_EESJ_SZ_SK_SL_SM_EUlSZ_E1_NS1_11comp_targetILNS1_3genE0ELNS1_11target_archE4294967295ELNS1_3gpuE0ELNS1_3repE0EEENS1_36merge_oddeven_config_static_selectorELNS0_4arch9wavefront6targetE1EEEvSL_: ; @_ZN7rocprim17ROCPRIM_400000_NS6detail17trampoline_kernelINS0_14default_configENS1_38merge_sort_block_merge_config_selectorIiNS0_10empty_typeEEEZZNS1_27merge_sort_block_merge_implIS3_N6thrust23THRUST_200600_302600_NS6detail15normal_iteratorINS9_10device_ptrIiEEEEPS5_jNS1_19radix_merge_compareILb0ELb1EiNS0_19identity_decomposerEEEEE10hipError_tT0_T1_T2_jT3_P12ihipStream_tbPNSt15iterator_traitsISK_E10value_typeEPNSQ_ISL_E10value_typeEPSM_NS1_7vsmem_tEENKUlT_SK_SL_SM_E_clISE_PiSF_SF_EESJ_SZ_SK_SL_SM_EUlSZ_E1_NS1_11comp_targetILNS1_3genE0ELNS1_11target_archE4294967295ELNS1_3gpuE0ELNS1_3repE0EEENS1_36merge_oddeven_config_static_selectorELNS0_4arch9wavefront6targetE1EEEvSL_
; %bb.0:
	.section	.rodata,"a",@progbits
	.p2align	6, 0x0
	.amdhsa_kernel _ZN7rocprim17ROCPRIM_400000_NS6detail17trampoline_kernelINS0_14default_configENS1_38merge_sort_block_merge_config_selectorIiNS0_10empty_typeEEEZZNS1_27merge_sort_block_merge_implIS3_N6thrust23THRUST_200600_302600_NS6detail15normal_iteratorINS9_10device_ptrIiEEEEPS5_jNS1_19radix_merge_compareILb0ELb1EiNS0_19identity_decomposerEEEEE10hipError_tT0_T1_T2_jT3_P12ihipStream_tbPNSt15iterator_traitsISK_E10value_typeEPNSQ_ISL_E10value_typeEPSM_NS1_7vsmem_tEENKUlT_SK_SL_SM_E_clISE_PiSF_SF_EESJ_SZ_SK_SL_SM_EUlSZ_E1_NS1_11comp_targetILNS1_3genE0ELNS1_11target_archE4294967295ELNS1_3gpuE0ELNS1_3repE0EEENS1_36merge_oddeven_config_static_selectorELNS0_4arch9wavefront6targetE1EEEvSL_
		.amdhsa_group_segment_fixed_size 0
		.amdhsa_private_segment_fixed_size 0
		.amdhsa_kernarg_size 48
		.amdhsa_user_sgpr_count 6
		.amdhsa_user_sgpr_private_segment_buffer 1
		.amdhsa_user_sgpr_dispatch_ptr 0
		.amdhsa_user_sgpr_queue_ptr 0
		.amdhsa_user_sgpr_kernarg_segment_ptr 1
		.amdhsa_user_sgpr_dispatch_id 0
		.amdhsa_user_sgpr_flat_scratch_init 0
		.amdhsa_user_sgpr_kernarg_preload_length 0
		.amdhsa_user_sgpr_kernarg_preload_offset 0
		.amdhsa_user_sgpr_private_segment_size 0
		.amdhsa_uses_dynamic_stack 0
		.amdhsa_system_sgpr_private_segment_wavefront_offset 0
		.amdhsa_system_sgpr_workgroup_id_x 1
		.amdhsa_system_sgpr_workgroup_id_y 0
		.amdhsa_system_sgpr_workgroup_id_z 0
		.amdhsa_system_sgpr_workgroup_info 0
		.amdhsa_system_vgpr_workitem_id 0
		.amdhsa_next_free_vgpr 1
		.amdhsa_next_free_sgpr 0
		.amdhsa_accum_offset 4
		.amdhsa_reserve_vcc 0
		.amdhsa_reserve_flat_scratch 0
		.amdhsa_float_round_mode_32 0
		.amdhsa_float_round_mode_16_64 0
		.amdhsa_float_denorm_mode_32 3
		.amdhsa_float_denorm_mode_16_64 3
		.amdhsa_dx10_clamp 1
		.amdhsa_ieee_mode 1
		.amdhsa_fp16_overflow 0
		.amdhsa_tg_split 0
		.amdhsa_exception_fp_ieee_invalid_op 0
		.amdhsa_exception_fp_denorm_src 0
		.amdhsa_exception_fp_ieee_div_zero 0
		.amdhsa_exception_fp_ieee_overflow 0
		.amdhsa_exception_fp_ieee_underflow 0
		.amdhsa_exception_fp_ieee_inexact 0
		.amdhsa_exception_int_div_zero 0
	.end_amdhsa_kernel
	.section	.text._ZN7rocprim17ROCPRIM_400000_NS6detail17trampoline_kernelINS0_14default_configENS1_38merge_sort_block_merge_config_selectorIiNS0_10empty_typeEEEZZNS1_27merge_sort_block_merge_implIS3_N6thrust23THRUST_200600_302600_NS6detail15normal_iteratorINS9_10device_ptrIiEEEEPS5_jNS1_19radix_merge_compareILb0ELb1EiNS0_19identity_decomposerEEEEE10hipError_tT0_T1_T2_jT3_P12ihipStream_tbPNSt15iterator_traitsISK_E10value_typeEPNSQ_ISL_E10value_typeEPSM_NS1_7vsmem_tEENKUlT_SK_SL_SM_E_clISE_PiSF_SF_EESJ_SZ_SK_SL_SM_EUlSZ_E1_NS1_11comp_targetILNS1_3genE0ELNS1_11target_archE4294967295ELNS1_3gpuE0ELNS1_3repE0EEENS1_36merge_oddeven_config_static_selectorELNS0_4arch9wavefront6targetE1EEEvSL_,"axG",@progbits,_ZN7rocprim17ROCPRIM_400000_NS6detail17trampoline_kernelINS0_14default_configENS1_38merge_sort_block_merge_config_selectorIiNS0_10empty_typeEEEZZNS1_27merge_sort_block_merge_implIS3_N6thrust23THRUST_200600_302600_NS6detail15normal_iteratorINS9_10device_ptrIiEEEEPS5_jNS1_19radix_merge_compareILb0ELb1EiNS0_19identity_decomposerEEEEE10hipError_tT0_T1_T2_jT3_P12ihipStream_tbPNSt15iterator_traitsISK_E10value_typeEPNSQ_ISL_E10value_typeEPSM_NS1_7vsmem_tEENKUlT_SK_SL_SM_E_clISE_PiSF_SF_EESJ_SZ_SK_SL_SM_EUlSZ_E1_NS1_11comp_targetILNS1_3genE0ELNS1_11target_archE4294967295ELNS1_3gpuE0ELNS1_3repE0EEENS1_36merge_oddeven_config_static_selectorELNS0_4arch9wavefront6targetE1EEEvSL_,comdat
.Lfunc_end1711:
	.size	_ZN7rocprim17ROCPRIM_400000_NS6detail17trampoline_kernelINS0_14default_configENS1_38merge_sort_block_merge_config_selectorIiNS0_10empty_typeEEEZZNS1_27merge_sort_block_merge_implIS3_N6thrust23THRUST_200600_302600_NS6detail15normal_iteratorINS9_10device_ptrIiEEEEPS5_jNS1_19radix_merge_compareILb0ELb1EiNS0_19identity_decomposerEEEEE10hipError_tT0_T1_T2_jT3_P12ihipStream_tbPNSt15iterator_traitsISK_E10value_typeEPNSQ_ISL_E10value_typeEPSM_NS1_7vsmem_tEENKUlT_SK_SL_SM_E_clISE_PiSF_SF_EESJ_SZ_SK_SL_SM_EUlSZ_E1_NS1_11comp_targetILNS1_3genE0ELNS1_11target_archE4294967295ELNS1_3gpuE0ELNS1_3repE0EEENS1_36merge_oddeven_config_static_selectorELNS0_4arch9wavefront6targetE1EEEvSL_, .Lfunc_end1711-_ZN7rocprim17ROCPRIM_400000_NS6detail17trampoline_kernelINS0_14default_configENS1_38merge_sort_block_merge_config_selectorIiNS0_10empty_typeEEEZZNS1_27merge_sort_block_merge_implIS3_N6thrust23THRUST_200600_302600_NS6detail15normal_iteratorINS9_10device_ptrIiEEEEPS5_jNS1_19radix_merge_compareILb0ELb1EiNS0_19identity_decomposerEEEEE10hipError_tT0_T1_T2_jT3_P12ihipStream_tbPNSt15iterator_traitsISK_E10value_typeEPNSQ_ISL_E10value_typeEPSM_NS1_7vsmem_tEENKUlT_SK_SL_SM_E_clISE_PiSF_SF_EESJ_SZ_SK_SL_SM_EUlSZ_E1_NS1_11comp_targetILNS1_3genE0ELNS1_11target_archE4294967295ELNS1_3gpuE0ELNS1_3repE0EEENS1_36merge_oddeven_config_static_selectorELNS0_4arch9wavefront6targetE1EEEvSL_
                                        ; -- End function
	.section	.AMDGPU.csdata,"",@progbits
; Kernel info:
; codeLenInByte = 0
; NumSgprs: 4
; NumVgprs: 0
; NumAgprs: 0
; TotalNumVgprs: 0
; ScratchSize: 0
; MemoryBound: 0
; FloatMode: 240
; IeeeMode: 1
; LDSByteSize: 0 bytes/workgroup (compile time only)
; SGPRBlocks: 0
; VGPRBlocks: 0
; NumSGPRsForWavesPerEU: 4
; NumVGPRsForWavesPerEU: 1
; AccumOffset: 4
; Occupancy: 8
; WaveLimiterHint : 0
; COMPUTE_PGM_RSRC2:SCRATCH_EN: 0
; COMPUTE_PGM_RSRC2:USER_SGPR: 6
; COMPUTE_PGM_RSRC2:TRAP_HANDLER: 0
; COMPUTE_PGM_RSRC2:TGID_X_EN: 1
; COMPUTE_PGM_RSRC2:TGID_Y_EN: 0
; COMPUTE_PGM_RSRC2:TGID_Z_EN: 0
; COMPUTE_PGM_RSRC2:TIDIG_COMP_CNT: 0
; COMPUTE_PGM_RSRC3_GFX90A:ACCUM_OFFSET: 0
; COMPUTE_PGM_RSRC3_GFX90A:TG_SPLIT: 0
	.section	.text._ZN7rocprim17ROCPRIM_400000_NS6detail17trampoline_kernelINS0_14default_configENS1_38merge_sort_block_merge_config_selectorIiNS0_10empty_typeEEEZZNS1_27merge_sort_block_merge_implIS3_N6thrust23THRUST_200600_302600_NS6detail15normal_iteratorINS9_10device_ptrIiEEEEPS5_jNS1_19radix_merge_compareILb0ELb1EiNS0_19identity_decomposerEEEEE10hipError_tT0_T1_T2_jT3_P12ihipStream_tbPNSt15iterator_traitsISK_E10value_typeEPNSQ_ISL_E10value_typeEPSM_NS1_7vsmem_tEENKUlT_SK_SL_SM_E_clISE_PiSF_SF_EESJ_SZ_SK_SL_SM_EUlSZ_E1_NS1_11comp_targetILNS1_3genE10ELNS1_11target_archE1201ELNS1_3gpuE5ELNS1_3repE0EEENS1_36merge_oddeven_config_static_selectorELNS0_4arch9wavefront6targetE1EEEvSL_,"axG",@progbits,_ZN7rocprim17ROCPRIM_400000_NS6detail17trampoline_kernelINS0_14default_configENS1_38merge_sort_block_merge_config_selectorIiNS0_10empty_typeEEEZZNS1_27merge_sort_block_merge_implIS3_N6thrust23THRUST_200600_302600_NS6detail15normal_iteratorINS9_10device_ptrIiEEEEPS5_jNS1_19radix_merge_compareILb0ELb1EiNS0_19identity_decomposerEEEEE10hipError_tT0_T1_T2_jT3_P12ihipStream_tbPNSt15iterator_traitsISK_E10value_typeEPNSQ_ISL_E10value_typeEPSM_NS1_7vsmem_tEENKUlT_SK_SL_SM_E_clISE_PiSF_SF_EESJ_SZ_SK_SL_SM_EUlSZ_E1_NS1_11comp_targetILNS1_3genE10ELNS1_11target_archE1201ELNS1_3gpuE5ELNS1_3repE0EEENS1_36merge_oddeven_config_static_selectorELNS0_4arch9wavefront6targetE1EEEvSL_,comdat
	.protected	_ZN7rocprim17ROCPRIM_400000_NS6detail17trampoline_kernelINS0_14default_configENS1_38merge_sort_block_merge_config_selectorIiNS0_10empty_typeEEEZZNS1_27merge_sort_block_merge_implIS3_N6thrust23THRUST_200600_302600_NS6detail15normal_iteratorINS9_10device_ptrIiEEEEPS5_jNS1_19radix_merge_compareILb0ELb1EiNS0_19identity_decomposerEEEEE10hipError_tT0_T1_T2_jT3_P12ihipStream_tbPNSt15iterator_traitsISK_E10value_typeEPNSQ_ISL_E10value_typeEPSM_NS1_7vsmem_tEENKUlT_SK_SL_SM_E_clISE_PiSF_SF_EESJ_SZ_SK_SL_SM_EUlSZ_E1_NS1_11comp_targetILNS1_3genE10ELNS1_11target_archE1201ELNS1_3gpuE5ELNS1_3repE0EEENS1_36merge_oddeven_config_static_selectorELNS0_4arch9wavefront6targetE1EEEvSL_ ; -- Begin function _ZN7rocprim17ROCPRIM_400000_NS6detail17trampoline_kernelINS0_14default_configENS1_38merge_sort_block_merge_config_selectorIiNS0_10empty_typeEEEZZNS1_27merge_sort_block_merge_implIS3_N6thrust23THRUST_200600_302600_NS6detail15normal_iteratorINS9_10device_ptrIiEEEEPS5_jNS1_19radix_merge_compareILb0ELb1EiNS0_19identity_decomposerEEEEE10hipError_tT0_T1_T2_jT3_P12ihipStream_tbPNSt15iterator_traitsISK_E10value_typeEPNSQ_ISL_E10value_typeEPSM_NS1_7vsmem_tEENKUlT_SK_SL_SM_E_clISE_PiSF_SF_EESJ_SZ_SK_SL_SM_EUlSZ_E1_NS1_11comp_targetILNS1_3genE10ELNS1_11target_archE1201ELNS1_3gpuE5ELNS1_3repE0EEENS1_36merge_oddeven_config_static_selectorELNS0_4arch9wavefront6targetE1EEEvSL_
	.globl	_ZN7rocprim17ROCPRIM_400000_NS6detail17trampoline_kernelINS0_14default_configENS1_38merge_sort_block_merge_config_selectorIiNS0_10empty_typeEEEZZNS1_27merge_sort_block_merge_implIS3_N6thrust23THRUST_200600_302600_NS6detail15normal_iteratorINS9_10device_ptrIiEEEEPS5_jNS1_19radix_merge_compareILb0ELb1EiNS0_19identity_decomposerEEEEE10hipError_tT0_T1_T2_jT3_P12ihipStream_tbPNSt15iterator_traitsISK_E10value_typeEPNSQ_ISL_E10value_typeEPSM_NS1_7vsmem_tEENKUlT_SK_SL_SM_E_clISE_PiSF_SF_EESJ_SZ_SK_SL_SM_EUlSZ_E1_NS1_11comp_targetILNS1_3genE10ELNS1_11target_archE1201ELNS1_3gpuE5ELNS1_3repE0EEENS1_36merge_oddeven_config_static_selectorELNS0_4arch9wavefront6targetE1EEEvSL_
	.p2align	8
	.type	_ZN7rocprim17ROCPRIM_400000_NS6detail17trampoline_kernelINS0_14default_configENS1_38merge_sort_block_merge_config_selectorIiNS0_10empty_typeEEEZZNS1_27merge_sort_block_merge_implIS3_N6thrust23THRUST_200600_302600_NS6detail15normal_iteratorINS9_10device_ptrIiEEEEPS5_jNS1_19radix_merge_compareILb0ELb1EiNS0_19identity_decomposerEEEEE10hipError_tT0_T1_T2_jT3_P12ihipStream_tbPNSt15iterator_traitsISK_E10value_typeEPNSQ_ISL_E10value_typeEPSM_NS1_7vsmem_tEENKUlT_SK_SL_SM_E_clISE_PiSF_SF_EESJ_SZ_SK_SL_SM_EUlSZ_E1_NS1_11comp_targetILNS1_3genE10ELNS1_11target_archE1201ELNS1_3gpuE5ELNS1_3repE0EEENS1_36merge_oddeven_config_static_selectorELNS0_4arch9wavefront6targetE1EEEvSL_,@function
_ZN7rocprim17ROCPRIM_400000_NS6detail17trampoline_kernelINS0_14default_configENS1_38merge_sort_block_merge_config_selectorIiNS0_10empty_typeEEEZZNS1_27merge_sort_block_merge_implIS3_N6thrust23THRUST_200600_302600_NS6detail15normal_iteratorINS9_10device_ptrIiEEEEPS5_jNS1_19radix_merge_compareILb0ELb1EiNS0_19identity_decomposerEEEEE10hipError_tT0_T1_T2_jT3_P12ihipStream_tbPNSt15iterator_traitsISK_E10value_typeEPNSQ_ISL_E10value_typeEPSM_NS1_7vsmem_tEENKUlT_SK_SL_SM_E_clISE_PiSF_SF_EESJ_SZ_SK_SL_SM_EUlSZ_E1_NS1_11comp_targetILNS1_3genE10ELNS1_11target_archE1201ELNS1_3gpuE5ELNS1_3repE0EEENS1_36merge_oddeven_config_static_selectorELNS0_4arch9wavefront6targetE1EEEvSL_: ; @_ZN7rocprim17ROCPRIM_400000_NS6detail17trampoline_kernelINS0_14default_configENS1_38merge_sort_block_merge_config_selectorIiNS0_10empty_typeEEEZZNS1_27merge_sort_block_merge_implIS3_N6thrust23THRUST_200600_302600_NS6detail15normal_iteratorINS9_10device_ptrIiEEEEPS5_jNS1_19radix_merge_compareILb0ELb1EiNS0_19identity_decomposerEEEEE10hipError_tT0_T1_T2_jT3_P12ihipStream_tbPNSt15iterator_traitsISK_E10value_typeEPNSQ_ISL_E10value_typeEPSM_NS1_7vsmem_tEENKUlT_SK_SL_SM_E_clISE_PiSF_SF_EESJ_SZ_SK_SL_SM_EUlSZ_E1_NS1_11comp_targetILNS1_3genE10ELNS1_11target_archE1201ELNS1_3gpuE5ELNS1_3repE0EEENS1_36merge_oddeven_config_static_selectorELNS0_4arch9wavefront6targetE1EEEvSL_
; %bb.0:
	.section	.rodata,"a",@progbits
	.p2align	6, 0x0
	.amdhsa_kernel _ZN7rocprim17ROCPRIM_400000_NS6detail17trampoline_kernelINS0_14default_configENS1_38merge_sort_block_merge_config_selectorIiNS0_10empty_typeEEEZZNS1_27merge_sort_block_merge_implIS3_N6thrust23THRUST_200600_302600_NS6detail15normal_iteratorINS9_10device_ptrIiEEEEPS5_jNS1_19radix_merge_compareILb0ELb1EiNS0_19identity_decomposerEEEEE10hipError_tT0_T1_T2_jT3_P12ihipStream_tbPNSt15iterator_traitsISK_E10value_typeEPNSQ_ISL_E10value_typeEPSM_NS1_7vsmem_tEENKUlT_SK_SL_SM_E_clISE_PiSF_SF_EESJ_SZ_SK_SL_SM_EUlSZ_E1_NS1_11comp_targetILNS1_3genE10ELNS1_11target_archE1201ELNS1_3gpuE5ELNS1_3repE0EEENS1_36merge_oddeven_config_static_selectorELNS0_4arch9wavefront6targetE1EEEvSL_
		.amdhsa_group_segment_fixed_size 0
		.amdhsa_private_segment_fixed_size 0
		.amdhsa_kernarg_size 48
		.amdhsa_user_sgpr_count 6
		.amdhsa_user_sgpr_private_segment_buffer 1
		.amdhsa_user_sgpr_dispatch_ptr 0
		.amdhsa_user_sgpr_queue_ptr 0
		.amdhsa_user_sgpr_kernarg_segment_ptr 1
		.amdhsa_user_sgpr_dispatch_id 0
		.amdhsa_user_sgpr_flat_scratch_init 0
		.amdhsa_user_sgpr_kernarg_preload_length 0
		.amdhsa_user_sgpr_kernarg_preload_offset 0
		.amdhsa_user_sgpr_private_segment_size 0
		.amdhsa_uses_dynamic_stack 0
		.amdhsa_system_sgpr_private_segment_wavefront_offset 0
		.amdhsa_system_sgpr_workgroup_id_x 1
		.amdhsa_system_sgpr_workgroup_id_y 0
		.amdhsa_system_sgpr_workgroup_id_z 0
		.amdhsa_system_sgpr_workgroup_info 0
		.amdhsa_system_vgpr_workitem_id 0
		.amdhsa_next_free_vgpr 1
		.amdhsa_next_free_sgpr 0
		.amdhsa_accum_offset 4
		.amdhsa_reserve_vcc 0
		.amdhsa_reserve_flat_scratch 0
		.amdhsa_float_round_mode_32 0
		.amdhsa_float_round_mode_16_64 0
		.amdhsa_float_denorm_mode_32 3
		.amdhsa_float_denorm_mode_16_64 3
		.amdhsa_dx10_clamp 1
		.amdhsa_ieee_mode 1
		.amdhsa_fp16_overflow 0
		.amdhsa_tg_split 0
		.amdhsa_exception_fp_ieee_invalid_op 0
		.amdhsa_exception_fp_denorm_src 0
		.amdhsa_exception_fp_ieee_div_zero 0
		.amdhsa_exception_fp_ieee_overflow 0
		.amdhsa_exception_fp_ieee_underflow 0
		.amdhsa_exception_fp_ieee_inexact 0
		.amdhsa_exception_int_div_zero 0
	.end_amdhsa_kernel
	.section	.text._ZN7rocprim17ROCPRIM_400000_NS6detail17trampoline_kernelINS0_14default_configENS1_38merge_sort_block_merge_config_selectorIiNS0_10empty_typeEEEZZNS1_27merge_sort_block_merge_implIS3_N6thrust23THRUST_200600_302600_NS6detail15normal_iteratorINS9_10device_ptrIiEEEEPS5_jNS1_19radix_merge_compareILb0ELb1EiNS0_19identity_decomposerEEEEE10hipError_tT0_T1_T2_jT3_P12ihipStream_tbPNSt15iterator_traitsISK_E10value_typeEPNSQ_ISL_E10value_typeEPSM_NS1_7vsmem_tEENKUlT_SK_SL_SM_E_clISE_PiSF_SF_EESJ_SZ_SK_SL_SM_EUlSZ_E1_NS1_11comp_targetILNS1_3genE10ELNS1_11target_archE1201ELNS1_3gpuE5ELNS1_3repE0EEENS1_36merge_oddeven_config_static_selectorELNS0_4arch9wavefront6targetE1EEEvSL_,"axG",@progbits,_ZN7rocprim17ROCPRIM_400000_NS6detail17trampoline_kernelINS0_14default_configENS1_38merge_sort_block_merge_config_selectorIiNS0_10empty_typeEEEZZNS1_27merge_sort_block_merge_implIS3_N6thrust23THRUST_200600_302600_NS6detail15normal_iteratorINS9_10device_ptrIiEEEEPS5_jNS1_19radix_merge_compareILb0ELb1EiNS0_19identity_decomposerEEEEE10hipError_tT0_T1_T2_jT3_P12ihipStream_tbPNSt15iterator_traitsISK_E10value_typeEPNSQ_ISL_E10value_typeEPSM_NS1_7vsmem_tEENKUlT_SK_SL_SM_E_clISE_PiSF_SF_EESJ_SZ_SK_SL_SM_EUlSZ_E1_NS1_11comp_targetILNS1_3genE10ELNS1_11target_archE1201ELNS1_3gpuE5ELNS1_3repE0EEENS1_36merge_oddeven_config_static_selectorELNS0_4arch9wavefront6targetE1EEEvSL_,comdat
.Lfunc_end1712:
	.size	_ZN7rocprim17ROCPRIM_400000_NS6detail17trampoline_kernelINS0_14default_configENS1_38merge_sort_block_merge_config_selectorIiNS0_10empty_typeEEEZZNS1_27merge_sort_block_merge_implIS3_N6thrust23THRUST_200600_302600_NS6detail15normal_iteratorINS9_10device_ptrIiEEEEPS5_jNS1_19radix_merge_compareILb0ELb1EiNS0_19identity_decomposerEEEEE10hipError_tT0_T1_T2_jT3_P12ihipStream_tbPNSt15iterator_traitsISK_E10value_typeEPNSQ_ISL_E10value_typeEPSM_NS1_7vsmem_tEENKUlT_SK_SL_SM_E_clISE_PiSF_SF_EESJ_SZ_SK_SL_SM_EUlSZ_E1_NS1_11comp_targetILNS1_3genE10ELNS1_11target_archE1201ELNS1_3gpuE5ELNS1_3repE0EEENS1_36merge_oddeven_config_static_selectorELNS0_4arch9wavefront6targetE1EEEvSL_, .Lfunc_end1712-_ZN7rocprim17ROCPRIM_400000_NS6detail17trampoline_kernelINS0_14default_configENS1_38merge_sort_block_merge_config_selectorIiNS0_10empty_typeEEEZZNS1_27merge_sort_block_merge_implIS3_N6thrust23THRUST_200600_302600_NS6detail15normal_iteratorINS9_10device_ptrIiEEEEPS5_jNS1_19radix_merge_compareILb0ELb1EiNS0_19identity_decomposerEEEEE10hipError_tT0_T1_T2_jT3_P12ihipStream_tbPNSt15iterator_traitsISK_E10value_typeEPNSQ_ISL_E10value_typeEPSM_NS1_7vsmem_tEENKUlT_SK_SL_SM_E_clISE_PiSF_SF_EESJ_SZ_SK_SL_SM_EUlSZ_E1_NS1_11comp_targetILNS1_3genE10ELNS1_11target_archE1201ELNS1_3gpuE5ELNS1_3repE0EEENS1_36merge_oddeven_config_static_selectorELNS0_4arch9wavefront6targetE1EEEvSL_
                                        ; -- End function
	.section	.AMDGPU.csdata,"",@progbits
; Kernel info:
; codeLenInByte = 0
; NumSgprs: 4
; NumVgprs: 0
; NumAgprs: 0
; TotalNumVgprs: 0
; ScratchSize: 0
; MemoryBound: 0
; FloatMode: 240
; IeeeMode: 1
; LDSByteSize: 0 bytes/workgroup (compile time only)
; SGPRBlocks: 0
; VGPRBlocks: 0
; NumSGPRsForWavesPerEU: 4
; NumVGPRsForWavesPerEU: 1
; AccumOffset: 4
; Occupancy: 8
; WaveLimiterHint : 0
; COMPUTE_PGM_RSRC2:SCRATCH_EN: 0
; COMPUTE_PGM_RSRC2:USER_SGPR: 6
; COMPUTE_PGM_RSRC2:TRAP_HANDLER: 0
; COMPUTE_PGM_RSRC2:TGID_X_EN: 1
; COMPUTE_PGM_RSRC2:TGID_Y_EN: 0
; COMPUTE_PGM_RSRC2:TGID_Z_EN: 0
; COMPUTE_PGM_RSRC2:TIDIG_COMP_CNT: 0
; COMPUTE_PGM_RSRC3_GFX90A:ACCUM_OFFSET: 0
; COMPUTE_PGM_RSRC3_GFX90A:TG_SPLIT: 0
	.section	.text._ZN7rocprim17ROCPRIM_400000_NS6detail17trampoline_kernelINS0_14default_configENS1_38merge_sort_block_merge_config_selectorIiNS0_10empty_typeEEEZZNS1_27merge_sort_block_merge_implIS3_N6thrust23THRUST_200600_302600_NS6detail15normal_iteratorINS9_10device_ptrIiEEEEPS5_jNS1_19radix_merge_compareILb0ELb1EiNS0_19identity_decomposerEEEEE10hipError_tT0_T1_T2_jT3_P12ihipStream_tbPNSt15iterator_traitsISK_E10value_typeEPNSQ_ISL_E10value_typeEPSM_NS1_7vsmem_tEENKUlT_SK_SL_SM_E_clISE_PiSF_SF_EESJ_SZ_SK_SL_SM_EUlSZ_E1_NS1_11comp_targetILNS1_3genE5ELNS1_11target_archE942ELNS1_3gpuE9ELNS1_3repE0EEENS1_36merge_oddeven_config_static_selectorELNS0_4arch9wavefront6targetE1EEEvSL_,"axG",@progbits,_ZN7rocprim17ROCPRIM_400000_NS6detail17trampoline_kernelINS0_14default_configENS1_38merge_sort_block_merge_config_selectorIiNS0_10empty_typeEEEZZNS1_27merge_sort_block_merge_implIS3_N6thrust23THRUST_200600_302600_NS6detail15normal_iteratorINS9_10device_ptrIiEEEEPS5_jNS1_19radix_merge_compareILb0ELb1EiNS0_19identity_decomposerEEEEE10hipError_tT0_T1_T2_jT3_P12ihipStream_tbPNSt15iterator_traitsISK_E10value_typeEPNSQ_ISL_E10value_typeEPSM_NS1_7vsmem_tEENKUlT_SK_SL_SM_E_clISE_PiSF_SF_EESJ_SZ_SK_SL_SM_EUlSZ_E1_NS1_11comp_targetILNS1_3genE5ELNS1_11target_archE942ELNS1_3gpuE9ELNS1_3repE0EEENS1_36merge_oddeven_config_static_selectorELNS0_4arch9wavefront6targetE1EEEvSL_,comdat
	.protected	_ZN7rocprim17ROCPRIM_400000_NS6detail17trampoline_kernelINS0_14default_configENS1_38merge_sort_block_merge_config_selectorIiNS0_10empty_typeEEEZZNS1_27merge_sort_block_merge_implIS3_N6thrust23THRUST_200600_302600_NS6detail15normal_iteratorINS9_10device_ptrIiEEEEPS5_jNS1_19radix_merge_compareILb0ELb1EiNS0_19identity_decomposerEEEEE10hipError_tT0_T1_T2_jT3_P12ihipStream_tbPNSt15iterator_traitsISK_E10value_typeEPNSQ_ISL_E10value_typeEPSM_NS1_7vsmem_tEENKUlT_SK_SL_SM_E_clISE_PiSF_SF_EESJ_SZ_SK_SL_SM_EUlSZ_E1_NS1_11comp_targetILNS1_3genE5ELNS1_11target_archE942ELNS1_3gpuE9ELNS1_3repE0EEENS1_36merge_oddeven_config_static_selectorELNS0_4arch9wavefront6targetE1EEEvSL_ ; -- Begin function _ZN7rocprim17ROCPRIM_400000_NS6detail17trampoline_kernelINS0_14default_configENS1_38merge_sort_block_merge_config_selectorIiNS0_10empty_typeEEEZZNS1_27merge_sort_block_merge_implIS3_N6thrust23THRUST_200600_302600_NS6detail15normal_iteratorINS9_10device_ptrIiEEEEPS5_jNS1_19radix_merge_compareILb0ELb1EiNS0_19identity_decomposerEEEEE10hipError_tT0_T1_T2_jT3_P12ihipStream_tbPNSt15iterator_traitsISK_E10value_typeEPNSQ_ISL_E10value_typeEPSM_NS1_7vsmem_tEENKUlT_SK_SL_SM_E_clISE_PiSF_SF_EESJ_SZ_SK_SL_SM_EUlSZ_E1_NS1_11comp_targetILNS1_3genE5ELNS1_11target_archE942ELNS1_3gpuE9ELNS1_3repE0EEENS1_36merge_oddeven_config_static_selectorELNS0_4arch9wavefront6targetE1EEEvSL_
	.globl	_ZN7rocprim17ROCPRIM_400000_NS6detail17trampoline_kernelINS0_14default_configENS1_38merge_sort_block_merge_config_selectorIiNS0_10empty_typeEEEZZNS1_27merge_sort_block_merge_implIS3_N6thrust23THRUST_200600_302600_NS6detail15normal_iteratorINS9_10device_ptrIiEEEEPS5_jNS1_19radix_merge_compareILb0ELb1EiNS0_19identity_decomposerEEEEE10hipError_tT0_T1_T2_jT3_P12ihipStream_tbPNSt15iterator_traitsISK_E10value_typeEPNSQ_ISL_E10value_typeEPSM_NS1_7vsmem_tEENKUlT_SK_SL_SM_E_clISE_PiSF_SF_EESJ_SZ_SK_SL_SM_EUlSZ_E1_NS1_11comp_targetILNS1_3genE5ELNS1_11target_archE942ELNS1_3gpuE9ELNS1_3repE0EEENS1_36merge_oddeven_config_static_selectorELNS0_4arch9wavefront6targetE1EEEvSL_
	.p2align	8
	.type	_ZN7rocprim17ROCPRIM_400000_NS6detail17trampoline_kernelINS0_14default_configENS1_38merge_sort_block_merge_config_selectorIiNS0_10empty_typeEEEZZNS1_27merge_sort_block_merge_implIS3_N6thrust23THRUST_200600_302600_NS6detail15normal_iteratorINS9_10device_ptrIiEEEEPS5_jNS1_19radix_merge_compareILb0ELb1EiNS0_19identity_decomposerEEEEE10hipError_tT0_T1_T2_jT3_P12ihipStream_tbPNSt15iterator_traitsISK_E10value_typeEPNSQ_ISL_E10value_typeEPSM_NS1_7vsmem_tEENKUlT_SK_SL_SM_E_clISE_PiSF_SF_EESJ_SZ_SK_SL_SM_EUlSZ_E1_NS1_11comp_targetILNS1_3genE5ELNS1_11target_archE942ELNS1_3gpuE9ELNS1_3repE0EEENS1_36merge_oddeven_config_static_selectorELNS0_4arch9wavefront6targetE1EEEvSL_,@function
_ZN7rocprim17ROCPRIM_400000_NS6detail17trampoline_kernelINS0_14default_configENS1_38merge_sort_block_merge_config_selectorIiNS0_10empty_typeEEEZZNS1_27merge_sort_block_merge_implIS3_N6thrust23THRUST_200600_302600_NS6detail15normal_iteratorINS9_10device_ptrIiEEEEPS5_jNS1_19radix_merge_compareILb0ELb1EiNS0_19identity_decomposerEEEEE10hipError_tT0_T1_T2_jT3_P12ihipStream_tbPNSt15iterator_traitsISK_E10value_typeEPNSQ_ISL_E10value_typeEPSM_NS1_7vsmem_tEENKUlT_SK_SL_SM_E_clISE_PiSF_SF_EESJ_SZ_SK_SL_SM_EUlSZ_E1_NS1_11comp_targetILNS1_3genE5ELNS1_11target_archE942ELNS1_3gpuE9ELNS1_3repE0EEENS1_36merge_oddeven_config_static_selectorELNS0_4arch9wavefront6targetE1EEEvSL_: ; @_ZN7rocprim17ROCPRIM_400000_NS6detail17trampoline_kernelINS0_14default_configENS1_38merge_sort_block_merge_config_selectorIiNS0_10empty_typeEEEZZNS1_27merge_sort_block_merge_implIS3_N6thrust23THRUST_200600_302600_NS6detail15normal_iteratorINS9_10device_ptrIiEEEEPS5_jNS1_19radix_merge_compareILb0ELb1EiNS0_19identity_decomposerEEEEE10hipError_tT0_T1_T2_jT3_P12ihipStream_tbPNSt15iterator_traitsISK_E10value_typeEPNSQ_ISL_E10value_typeEPSM_NS1_7vsmem_tEENKUlT_SK_SL_SM_E_clISE_PiSF_SF_EESJ_SZ_SK_SL_SM_EUlSZ_E1_NS1_11comp_targetILNS1_3genE5ELNS1_11target_archE942ELNS1_3gpuE9ELNS1_3repE0EEENS1_36merge_oddeven_config_static_selectorELNS0_4arch9wavefront6targetE1EEEvSL_
; %bb.0:
	.section	.rodata,"a",@progbits
	.p2align	6, 0x0
	.amdhsa_kernel _ZN7rocprim17ROCPRIM_400000_NS6detail17trampoline_kernelINS0_14default_configENS1_38merge_sort_block_merge_config_selectorIiNS0_10empty_typeEEEZZNS1_27merge_sort_block_merge_implIS3_N6thrust23THRUST_200600_302600_NS6detail15normal_iteratorINS9_10device_ptrIiEEEEPS5_jNS1_19radix_merge_compareILb0ELb1EiNS0_19identity_decomposerEEEEE10hipError_tT0_T1_T2_jT3_P12ihipStream_tbPNSt15iterator_traitsISK_E10value_typeEPNSQ_ISL_E10value_typeEPSM_NS1_7vsmem_tEENKUlT_SK_SL_SM_E_clISE_PiSF_SF_EESJ_SZ_SK_SL_SM_EUlSZ_E1_NS1_11comp_targetILNS1_3genE5ELNS1_11target_archE942ELNS1_3gpuE9ELNS1_3repE0EEENS1_36merge_oddeven_config_static_selectorELNS0_4arch9wavefront6targetE1EEEvSL_
		.amdhsa_group_segment_fixed_size 0
		.amdhsa_private_segment_fixed_size 0
		.amdhsa_kernarg_size 48
		.amdhsa_user_sgpr_count 6
		.amdhsa_user_sgpr_private_segment_buffer 1
		.amdhsa_user_sgpr_dispatch_ptr 0
		.amdhsa_user_sgpr_queue_ptr 0
		.amdhsa_user_sgpr_kernarg_segment_ptr 1
		.amdhsa_user_sgpr_dispatch_id 0
		.amdhsa_user_sgpr_flat_scratch_init 0
		.amdhsa_user_sgpr_kernarg_preload_length 0
		.amdhsa_user_sgpr_kernarg_preload_offset 0
		.amdhsa_user_sgpr_private_segment_size 0
		.amdhsa_uses_dynamic_stack 0
		.amdhsa_system_sgpr_private_segment_wavefront_offset 0
		.amdhsa_system_sgpr_workgroup_id_x 1
		.amdhsa_system_sgpr_workgroup_id_y 0
		.amdhsa_system_sgpr_workgroup_id_z 0
		.amdhsa_system_sgpr_workgroup_info 0
		.amdhsa_system_vgpr_workitem_id 0
		.amdhsa_next_free_vgpr 1
		.amdhsa_next_free_sgpr 0
		.amdhsa_accum_offset 4
		.amdhsa_reserve_vcc 0
		.amdhsa_reserve_flat_scratch 0
		.amdhsa_float_round_mode_32 0
		.amdhsa_float_round_mode_16_64 0
		.amdhsa_float_denorm_mode_32 3
		.amdhsa_float_denorm_mode_16_64 3
		.amdhsa_dx10_clamp 1
		.amdhsa_ieee_mode 1
		.amdhsa_fp16_overflow 0
		.amdhsa_tg_split 0
		.amdhsa_exception_fp_ieee_invalid_op 0
		.amdhsa_exception_fp_denorm_src 0
		.amdhsa_exception_fp_ieee_div_zero 0
		.amdhsa_exception_fp_ieee_overflow 0
		.amdhsa_exception_fp_ieee_underflow 0
		.amdhsa_exception_fp_ieee_inexact 0
		.amdhsa_exception_int_div_zero 0
	.end_amdhsa_kernel
	.section	.text._ZN7rocprim17ROCPRIM_400000_NS6detail17trampoline_kernelINS0_14default_configENS1_38merge_sort_block_merge_config_selectorIiNS0_10empty_typeEEEZZNS1_27merge_sort_block_merge_implIS3_N6thrust23THRUST_200600_302600_NS6detail15normal_iteratorINS9_10device_ptrIiEEEEPS5_jNS1_19radix_merge_compareILb0ELb1EiNS0_19identity_decomposerEEEEE10hipError_tT0_T1_T2_jT3_P12ihipStream_tbPNSt15iterator_traitsISK_E10value_typeEPNSQ_ISL_E10value_typeEPSM_NS1_7vsmem_tEENKUlT_SK_SL_SM_E_clISE_PiSF_SF_EESJ_SZ_SK_SL_SM_EUlSZ_E1_NS1_11comp_targetILNS1_3genE5ELNS1_11target_archE942ELNS1_3gpuE9ELNS1_3repE0EEENS1_36merge_oddeven_config_static_selectorELNS0_4arch9wavefront6targetE1EEEvSL_,"axG",@progbits,_ZN7rocprim17ROCPRIM_400000_NS6detail17trampoline_kernelINS0_14default_configENS1_38merge_sort_block_merge_config_selectorIiNS0_10empty_typeEEEZZNS1_27merge_sort_block_merge_implIS3_N6thrust23THRUST_200600_302600_NS6detail15normal_iteratorINS9_10device_ptrIiEEEEPS5_jNS1_19radix_merge_compareILb0ELb1EiNS0_19identity_decomposerEEEEE10hipError_tT0_T1_T2_jT3_P12ihipStream_tbPNSt15iterator_traitsISK_E10value_typeEPNSQ_ISL_E10value_typeEPSM_NS1_7vsmem_tEENKUlT_SK_SL_SM_E_clISE_PiSF_SF_EESJ_SZ_SK_SL_SM_EUlSZ_E1_NS1_11comp_targetILNS1_3genE5ELNS1_11target_archE942ELNS1_3gpuE9ELNS1_3repE0EEENS1_36merge_oddeven_config_static_selectorELNS0_4arch9wavefront6targetE1EEEvSL_,comdat
.Lfunc_end1713:
	.size	_ZN7rocprim17ROCPRIM_400000_NS6detail17trampoline_kernelINS0_14default_configENS1_38merge_sort_block_merge_config_selectorIiNS0_10empty_typeEEEZZNS1_27merge_sort_block_merge_implIS3_N6thrust23THRUST_200600_302600_NS6detail15normal_iteratorINS9_10device_ptrIiEEEEPS5_jNS1_19radix_merge_compareILb0ELb1EiNS0_19identity_decomposerEEEEE10hipError_tT0_T1_T2_jT3_P12ihipStream_tbPNSt15iterator_traitsISK_E10value_typeEPNSQ_ISL_E10value_typeEPSM_NS1_7vsmem_tEENKUlT_SK_SL_SM_E_clISE_PiSF_SF_EESJ_SZ_SK_SL_SM_EUlSZ_E1_NS1_11comp_targetILNS1_3genE5ELNS1_11target_archE942ELNS1_3gpuE9ELNS1_3repE0EEENS1_36merge_oddeven_config_static_selectorELNS0_4arch9wavefront6targetE1EEEvSL_, .Lfunc_end1713-_ZN7rocprim17ROCPRIM_400000_NS6detail17trampoline_kernelINS0_14default_configENS1_38merge_sort_block_merge_config_selectorIiNS0_10empty_typeEEEZZNS1_27merge_sort_block_merge_implIS3_N6thrust23THRUST_200600_302600_NS6detail15normal_iteratorINS9_10device_ptrIiEEEEPS5_jNS1_19radix_merge_compareILb0ELb1EiNS0_19identity_decomposerEEEEE10hipError_tT0_T1_T2_jT3_P12ihipStream_tbPNSt15iterator_traitsISK_E10value_typeEPNSQ_ISL_E10value_typeEPSM_NS1_7vsmem_tEENKUlT_SK_SL_SM_E_clISE_PiSF_SF_EESJ_SZ_SK_SL_SM_EUlSZ_E1_NS1_11comp_targetILNS1_3genE5ELNS1_11target_archE942ELNS1_3gpuE9ELNS1_3repE0EEENS1_36merge_oddeven_config_static_selectorELNS0_4arch9wavefront6targetE1EEEvSL_
                                        ; -- End function
	.section	.AMDGPU.csdata,"",@progbits
; Kernel info:
; codeLenInByte = 0
; NumSgprs: 4
; NumVgprs: 0
; NumAgprs: 0
; TotalNumVgprs: 0
; ScratchSize: 0
; MemoryBound: 0
; FloatMode: 240
; IeeeMode: 1
; LDSByteSize: 0 bytes/workgroup (compile time only)
; SGPRBlocks: 0
; VGPRBlocks: 0
; NumSGPRsForWavesPerEU: 4
; NumVGPRsForWavesPerEU: 1
; AccumOffset: 4
; Occupancy: 8
; WaveLimiterHint : 0
; COMPUTE_PGM_RSRC2:SCRATCH_EN: 0
; COMPUTE_PGM_RSRC2:USER_SGPR: 6
; COMPUTE_PGM_RSRC2:TRAP_HANDLER: 0
; COMPUTE_PGM_RSRC2:TGID_X_EN: 1
; COMPUTE_PGM_RSRC2:TGID_Y_EN: 0
; COMPUTE_PGM_RSRC2:TGID_Z_EN: 0
; COMPUTE_PGM_RSRC2:TIDIG_COMP_CNT: 0
; COMPUTE_PGM_RSRC3_GFX90A:ACCUM_OFFSET: 0
; COMPUTE_PGM_RSRC3_GFX90A:TG_SPLIT: 0
	.section	.text._ZN7rocprim17ROCPRIM_400000_NS6detail17trampoline_kernelINS0_14default_configENS1_38merge_sort_block_merge_config_selectorIiNS0_10empty_typeEEEZZNS1_27merge_sort_block_merge_implIS3_N6thrust23THRUST_200600_302600_NS6detail15normal_iteratorINS9_10device_ptrIiEEEEPS5_jNS1_19radix_merge_compareILb0ELb1EiNS0_19identity_decomposerEEEEE10hipError_tT0_T1_T2_jT3_P12ihipStream_tbPNSt15iterator_traitsISK_E10value_typeEPNSQ_ISL_E10value_typeEPSM_NS1_7vsmem_tEENKUlT_SK_SL_SM_E_clISE_PiSF_SF_EESJ_SZ_SK_SL_SM_EUlSZ_E1_NS1_11comp_targetILNS1_3genE4ELNS1_11target_archE910ELNS1_3gpuE8ELNS1_3repE0EEENS1_36merge_oddeven_config_static_selectorELNS0_4arch9wavefront6targetE1EEEvSL_,"axG",@progbits,_ZN7rocprim17ROCPRIM_400000_NS6detail17trampoline_kernelINS0_14default_configENS1_38merge_sort_block_merge_config_selectorIiNS0_10empty_typeEEEZZNS1_27merge_sort_block_merge_implIS3_N6thrust23THRUST_200600_302600_NS6detail15normal_iteratorINS9_10device_ptrIiEEEEPS5_jNS1_19radix_merge_compareILb0ELb1EiNS0_19identity_decomposerEEEEE10hipError_tT0_T1_T2_jT3_P12ihipStream_tbPNSt15iterator_traitsISK_E10value_typeEPNSQ_ISL_E10value_typeEPSM_NS1_7vsmem_tEENKUlT_SK_SL_SM_E_clISE_PiSF_SF_EESJ_SZ_SK_SL_SM_EUlSZ_E1_NS1_11comp_targetILNS1_3genE4ELNS1_11target_archE910ELNS1_3gpuE8ELNS1_3repE0EEENS1_36merge_oddeven_config_static_selectorELNS0_4arch9wavefront6targetE1EEEvSL_,comdat
	.protected	_ZN7rocprim17ROCPRIM_400000_NS6detail17trampoline_kernelINS0_14default_configENS1_38merge_sort_block_merge_config_selectorIiNS0_10empty_typeEEEZZNS1_27merge_sort_block_merge_implIS3_N6thrust23THRUST_200600_302600_NS6detail15normal_iteratorINS9_10device_ptrIiEEEEPS5_jNS1_19radix_merge_compareILb0ELb1EiNS0_19identity_decomposerEEEEE10hipError_tT0_T1_T2_jT3_P12ihipStream_tbPNSt15iterator_traitsISK_E10value_typeEPNSQ_ISL_E10value_typeEPSM_NS1_7vsmem_tEENKUlT_SK_SL_SM_E_clISE_PiSF_SF_EESJ_SZ_SK_SL_SM_EUlSZ_E1_NS1_11comp_targetILNS1_3genE4ELNS1_11target_archE910ELNS1_3gpuE8ELNS1_3repE0EEENS1_36merge_oddeven_config_static_selectorELNS0_4arch9wavefront6targetE1EEEvSL_ ; -- Begin function _ZN7rocprim17ROCPRIM_400000_NS6detail17trampoline_kernelINS0_14default_configENS1_38merge_sort_block_merge_config_selectorIiNS0_10empty_typeEEEZZNS1_27merge_sort_block_merge_implIS3_N6thrust23THRUST_200600_302600_NS6detail15normal_iteratorINS9_10device_ptrIiEEEEPS5_jNS1_19radix_merge_compareILb0ELb1EiNS0_19identity_decomposerEEEEE10hipError_tT0_T1_T2_jT3_P12ihipStream_tbPNSt15iterator_traitsISK_E10value_typeEPNSQ_ISL_E10value_typeEPSM_NS1_7vsmem_tEENKUlT_SK_SL_SM_E_clISE_PiSF_SF_EESJ_SZ_SK_SL_SM_EUlSZ_E1_NS1_11comp_targetILNS1_3genE4ELNS1_11target_archE910ELNS1_3gpuE8ELNS1_3repE0EEENS1_36merge_oddeven_config_static_selectorELNS0_4arch9wavefront6targetE1EEEvSL_
	.globl	_ZN7rocprim17ROCPRIM_400000_NS6detail17trampoline_kernelINS0_14default_configENS1_38merge_sort_block_merge_config_selectorIiNS0_10empty_typeEEEZZNS1_27merge_sort_block_merge_implIS3_N6thrust23THRUST_200600_302600_NS6detail15normal_iteratorINS9_10device_ptrIiEEEEPS5_jNS1_19radix_merge_compareILb0ELb1EiNS0_19identity_decomposerEEEEE10hipError_tT0_T1_T2_jT3_P12ihipStream_tbPNSt15iterator_traitsISK_E10value_typeEPNSQ_ISL_E10value_typeEPSM_NS1_7vsmem_tEENKUlT_SK_SL_SM_E_clISE_PiSF_SF_EESJ_SZ_SK_SL_SM_EUlSZ_E1_NS1_11comp_targetILNS1_3genE4ELNS1_11target_archE910ELNS1_3gpuE8ELNS1_3repE0EEENS1_36merge_oddeven_config_static_selectorELNS0_4arch9wavefront6targetE1EEEvSL_
	.p2align	8
	.type	_ZN7rocprim17ROCPRIM_400000_NS6detail17trampoline_kernelINS0_14default_configENS1_38merge_sort_block_merge_config_selectorIiNS0_10empty_typeEEEZZNS1_27merge_sort_block_merge_implIS3_N6thrust23THRUST_200600_302600_NS6detail15normal_iteratorINS9_10device_ptrIiEEEEPS5_jNS1_19radix_merge_compareILb0ELb1EiNS0_19identity_decomposerEEEEE10hipError_tT0_T1_T2_jT3_P12ihipStream_tbPNSt15iterator_traitsISK_E10value_typeEPNSQ_ISL_E10value_typeEPSM_NS1_7vsmem_tEENKUlT_SK_SL_SM_E_clISE_PiSF_SF_EESJ_SZ_SK_SL_SM_EUlSZ_E1_NS1_11comp_targetILNS1_3genE4ELNS1_11target_archE910ELNS1_3gpuE8ELNS1_3repE0EEENS1_36merge_oddeven_config_static_selectorELNS0_4arch9wavefront6targetE1EEEvSL_,@function
_ZN7rocprim17ROCPRIM_400000_NS6detail17trampoline_kernelINS0_14default_configENS1_38merge_sort_block_merge_config_selectorIiNS0_10empty_typeEEEZZNS1_27merge_sort_block_merge_implIS3_N6thrust23THRUST_200600_302600_NS6detail15normal_iteratorINS9_10device_ptrIiEEEEPS5_jNS1_19radix_merge_compareILb0ELb1EiNS0_19identity_decomposerEEEEE10hipError_tT0_T1_T2_jT3_P12ihipStream_tbPNSt15iterator_traitsISK_E10value_typeEPNSQ_ISL_E10value_typeEPSM_NS1_7vsmem_tEENKUlT_SK_SL_SM_E_clISE_PiSF_SF_EESJ_SZ_SK_SL_SM_EUlSZ_E1_NS1_11comp_targetILNS1_3genE4ELNS1_11target_archE910ELNS1_3gpuE8ELNS1_3repE0EEENS1_36merge_oddeven_config_static_selectorELNS0_4arch9wavefront6targetE1EEEvSL_: ; @_ZN7rocprim17ROCPRIM_400000_NS6detail17trampoline_kernelINS0_14default_configENS1_38merge_sort_block_merge_config_selectorIiNS0_10empty_typeEEEZZNS1_27merge_sort_block_merge_implIS3_N6thrust23THRUST_200600_302600_NS6detail15normal_iteratorINS9_10device_ptrIiEEEEPS5_jNS1_19radix_merge_compareILb0ELb1EiNS0_19identity_decomposerEEEEE10hipError_tT0_T1_T2_jT3_P12ihipStream_tbPNSt15iterator_traitsISK_E10value_typeEPNSQ_ISL_E10value_typeEPSM_NS1_7vsmem_tEENKUlT_SK_SL_SM_E_clISE_PiSF_SF_EESJ_SZ_SK_SL_SM_EUlSZ_E1_NS1_11comp_targetILNS1_3genE4ELNS1_11target_archE910ELNS1_3gpuE8ELNS1_3repE0EEENS1_36merge_oddeven_config_static_selectorELNS0_4arch9wavefront6targetE1EEEvSL_
; %bb.0:
	s_load_dword s18, s[4:5], 0x20
	s_waitcnt lgkmcnt(0)
	s_lshr_b32 s0, s18, 8
	s_cmp_lg_u32 s6, s0
	s_cselect_b64 s[14:15], -1, 0
	s_cmp_eq_u32 s6, s0
	s_cselect_b64 s[12:13], -1, 0
	s_lshl_b32 s16, s6, 8
	s_sub_i32 s0, s18, s16
	v_cmp_gt_u32_e64 s[2:3], s0, v0
	s_or_b64 s[0:1], s[14:15], s[2:3]
	s_and_saveexec_b64 s[8:9], s[0:1]
	s_cbranch_execz .LBB1714_20
; %bb.1:
	s_load_dwordx4 s[8:11], s[4:5], 0x0
	s_load_dword s19, s[4:5], 0x24
	s_mov_b32 s17, 0
	s_lshl_b64 s[0:1], s[16:17], 2
	v_lshlrev_b32_e32 v1, 2, v0
	s_waitcnt lgkmcnt(0)
	s_add_u32 s0, s8, s0
	s_addc_u32 s1, s9, s1
	global_load_dword v2, v1, s[0:1]
	s_lshr_b32 s0, s19, 8
	s_sub_i32 s1, 0, s0
	s_and_b32 s1, s6, s1
	s_and_b32 s0, s1, s0
	s_lshl_b32 s20, s1, 8
	s_sub_i32 s17, 0, s19
	s_cmp_eq_u32 s0, 0
	s_cselect_b64 s[0:1], -1, 0
	s_and_b64 s[6:7], s[0:1], exec
	s_cselect_b32 s17, s19, s17
	s_add_i32 s17, s17, s20
	s_cmp_lt_u32 s17, s18
	v_add_u32_e32 v0, s16, v0
	s_cbranch_scc1 .LBB1714_3
; %bb.2:
	v_cmp_gt_u32_e32 vcc, s18, v0
	s_or_b64 s[6:7], vcc, s[14:15]
	s_and_b64 s[6:7], s[6:7], exec
	s_cbranch_execz .LBB1714_4
	s_branch .LBB1714_18
.LBB1714_3:
	s_mov_b64 s[6:7], 0
.LBB1714_4:
	s_load_dword s14, s[4:5], 0x28
	s_min_u32 s15, s17, s18
	s_add_i32 s4, s15, s19
	s_min_u32 s16, s4, s18
	s_min_u32 s4, s20, s15
	s_add_i32 s20, s20, s15
	v_subrev_u32_e32 v0, s20, v0
	v_add_u32_e32 v3, s4, v0
	s_and_b64 vcc, exec, s[12:13]
	s_cbranch_vccz .LBB1714_12
; %bb.5:
                                        ; implicit-def: $vgpr0
	s_and_saveexec_b64 s[4:5], s[2:3]
	s_cbranch_execz .LBB1714_11
; %bb.6:
	s_cmp_ge_u32 s17, s16
	v_mov_b32_e32 v4, s15
	s_cbranch_scc1 .LBB1714_10
; %bb.7:
	s_waitcnt vmcnt(0) lgkmcnt(0)
	v_and_b32_e32 v5, s14, v2
	s_mov_b64 s[2:3], 0
	v_mov_b32_e32 v6, s16
	v_mov_b32_e32 v4, s15
	;; [unrolled: 1-line block ×4, first 2 shown]
.LBB1714_8:                             ; =>This Inner Loop Header: Depth=1
	v_add_u32_e32 v0, v4, v6
	v_lshrrev_b32_e32 v0, 1, v0
	v_lshlrev_b64 v[8:9], 2, v[0:1]
	v_add_co_u32_e32 v8, vcc, s8, v8
	v_addc_co_u32_e32 v9, vcc, v7, v9, vcc
	global_load_dword v8, v[8:9], off
	v_add_u32_e32 v9, 1, v0
	s_waitcnt vmcnt(0)
	v_and_b32_e32 v8, s14, v8
	v_cmp_gt_i32_e32 vcc, v5, v8
	v_cndmask_b32_e64 v10, 0, 1, vcc
	v_cmp_le_i32_e32 vcc, v8, v5
	v_cndmask_b32_e64 v8, 0, 1, vcc
	v_cndmask_b32_e64 v8, v8, v10, s[0:1]
	v_and_b32_e32 v8, 1, v8
	v_cmp_eq_u32_e32 vcc, 1, v8
	v_cndmask_b32_e32 v6, v0, v6, vcc
	v_cndmask_b32_e32 v4, v4, v9, vcc
	v_cmp_ge_u32_e32 vcc, v4, v6
	s_or_b64 s[2:3], vcc, s[2:3]
	s_andn2_b64 exec, exec, s[2:3]
	s_cbranch_execnz .LBB1714_8
; %bb.9:
	s_or_b64 exec, exec, s[2:3]
.LBB1714_10:
	v_add_u32_e32 v0, v4, v3
	s_or_b64 s[6:7], s[6:7], exec
.LBB1714_11:
	s_or_b64 exec, exec, s[4:5]
	s_branch .LBB1714_18
.LBB1714_12:
                                        ; implicit-def: $vgpr0
	s_cbranch_execz .LBB1714_18
; %bb.13:
	s_cmp_ge_u32 s17, s16
	v_mov_b32_e32 v4, s15
	s_cbranch_scc1 .LBB1714_17
; %bb.14:
	s_waitcnt vmcnt(0) lgkmcnt(0)
	v_and_b32_e32 v5, s14, v2
	s_mov_b64 s[2:3], 0
	v_mov_b32_e32 v6, s16
	v_mov_b32_e32 v4, s15
	;; [unrolled: 1-line block ×4, first 2 shown]
.LBB1714_15:                            ; =>This Inner Loop Header: Depth=1
	v_add_u32_e32 v0, v4, v6
	v_lshrrev_b32_e32 v0, 1, v0
	v_lshlrev_b64 v[8:9], 2, v[0:1]
	v_add_co_u32_e32 v8, vcc, s8, v8
	v_addc_co_u32_e32 v9, vcc, v7, v9, vcc
	global_load_dword v8, v[8:9], off
	v_add_u32_e32 v9, 1, v0
	s_waitcnt vmcnt(0)
	v_and_b32_e32 v8, s14, v8
	v_cmp_gt_i32_e32 vcc, v5, v8
	v_cndmask_b32_e64 v10, 0, 1, vcc
	v_cmp_le_i32_e32 vcc, v8, v5
	v_cndmask_b32_e64 v8, 0, 1, vcc
	v_cndmask_b32_e64 v8, v8, v10, s[0:1]
	v_and_b32_e32 v8, 1, v8
	v_cmp_eq_u32_e32 vcc, 1, v8
	v_cndmask_b32_e32 v6, v0, v6, vcc
	v_cndmask_b32_e32 v4, v4, v9, vcc
	v_cmp_ge_u32_e32 vcc, v4, v6
	s_or_b64 s[2:3], vcc, s[2:3]
	s_andn2_b64 exec, exec, s[2:3]
	s_cbranch_execnz .LBB1714_15
; %bb.16:
	s_or_b64 exec, exec, s[2:3]
.LBB1714_17:
	v_add_u32_e32 v0, v4, v3
	s_mov_b64 s[6:7], -1
.LBB1714_18:
	s_and_b64 exec, exec, s[6:7]
	s_cbranch_execz .LBB1714_20
; %bb.19:
	v_mov_b32_e32 v1, 0
	v_lshlrev_b64 v[0:1], 2, v[0:1]
	v_mov_b32_e32 v3, s11
	v_add_co_u32_e32 v0, vcc, s10, v0
	v_addc_co_u32_e32 v1, vcc, v3, v1, vcc
	s_waitcnt vmcnt(0)
	global_store_dword v[0:1], v2, off
.LBB1714_20:
	s_endpgm
	.section	.rodata,"a",@progbits
	.p2align	6, 0x0
	.amdhsa_kernel _ZN7rocprim17ROCPRIM_400000_NS6detail17trampoline_kernelINS0_14default_configENS1_38merge_sort_block_merge_config_selectorIiNS0_10empty_typeEEEZZNS1_27merge_sort_block_merge_implIS3_N6thrust23THRUST_200600_302600_NS6detail15normal_iteratorINS9_10device_ptrIiEEEEPS5_jNS1_19radix_merge_compareILb0ELb1EiNS0_19identity_decomposerEEEEE10hipError_tT0_T1_T2_jT3_P12ihipStream_tbPNSt15iterator_traitsISK_E10value_typeEPNSQ_ISL_E10value_typeEPSM_NS1_7vsmem_tEENKUlT_SK_SL_SM_E_clISE_PiSF_SF_EESJ_SZ_SK_SL_SM_EUlSZ_E1_NS1_11comp_targetILNS1_3genE4ELNS1_11target_archE910ELNS1_3gpuE8ELNS1_3repE0EEENS1_36merge_oddeven_config_static_selectorELNS0_4arch9wavefront6targetE1EEEvSL_
		.amdhsa_group_segment_fixed_size 0
		.amdhsa_private_segment_fixed_size 0
		.amdhsa_kernarg_size 48
		.amdhsa_user_sgpr_count 6
		.amdhsa_user_sgpr_private_segment_buffer 1
		.amdhsa_user_sgpr_dispatch_ptr 0
		.amdhsa_user_sgpr_queue_ptr 0
		.amdhsa_user_sgpr_kernarg_segment_ptr 1
		.amdhsa_user_sgpr_dispatch_id 0
		.amdhsa_user_sgpr_flat_scratch_init 0
		.amdhsa_user_sgpr_kernarg_preload_length 0
		.amdhsa_user_sgpr_kernarg_preload_offset 0
		.amdhsa_user_sgpr_private_segment_size 0
		.amdhsa_uses_dynamic_stack 0
		.amdhsa_system_sgpr_private_segment_wavefront_offset 0
		.amdhsa_system_sgpr_workgroup_id_x 1
		.amdhsa_system_sgpr_workgroup_id_y 0
		.amdhsa_system_sgpr_workgroup_id_z 0
		.amdhsa_system_sgpr_workgroup_info 0
		.amdhsa_system_vgpr_workitem_id 0
		.amdhsa_next_free_vgpr 11
		.amdhsa_next_free_sgpr 21
		.amdhsa_accum_offset 12
		.amdhsa_reserve_vcc 1
		.amdhsa_reserve_flat_scratch 0
		.amdhsa_float_round_mode_32 0
		.amdhsa_float_round_mode_16_64 0
		.amdhsa_float_denorm_mode_32 3
		.amdhsa_float_denorm_mode_16_64 3
		.amdhsa_dx10_clamp 1
		.amdhsa_ieee_mode 1
		.amdhsa_fp16_overflow 0
		.amdhsa_tg_split 0
		.amdhsa_exception_fp_ieee_invalid_op 0
		.amdhsa_exception_fp_denorm_src 0
		.amdhsa_exception_fp_ieee_div_zero 0
		.amdhsa_exception_fp_ieee_overflow 0
		.amdhsa_exception_fp_ieee_underflow 0
		.amdhsa_exception_fp_ieee_inexact 0
		.amdhsa_exception_int_div_zero 0
	.end_amdhsa_kernel
	.section	.text._ZN7rocprim17ROCPRIM_400000_NS6detail17trampoline_kernelINS0_14default_configENS1_38merge_sort_block_merge_config_selectorIiNS0_10empty_typeEEEZZNS1_27merge_sort_block_merge_implIS3_N6thrust23THRUST_200600_302600_NS6detail15normal_iteratorINS9_10device_ptrIiEEEEPS5_jNS1_19radix_merge_compareILb0ELb1EiNS0_19identity_decomposerEEEEE10hipError_tT0_T1_T2_jT3_P12ihipStream_tbPNSt15iterator_traitsISK_E10value_typeEPNSQ_ISL_E10value_typeEPSM_NS1_7vsmem_tEENKUlT_SK_SL_SM_E_clISE_PiSF_SF_EESJ_SZ_SK_SL_SM_EUlSZ_E1_NS1_11comp_targetILNS1_3genE4ELNS1_11target_archE910ELNS1_3gpuE8ELNS1_3repE0EEENS1_36merge_oddeven_config_static_selectorELNS0_4arch9wavefront6targetE1EEEvSL_,"axG",@progbits,_ZN7rocprim17ROCPRIM_400000_NS6detail17trampoline_kernelINS0_14default_configENS1_38merge_sort_block_merge_config_selectorIiNS0_10empty_typeEEEZZNS1_27merge_sort_block_merge_implIS3_N6thrust23THRUST_200600_302600_NS6detail15normal_iteratorINS9_10device_ptrIiEEEEPS5_jNS1_19radix_merge_compareILb0ELb1EiNS0_19identity_decomposerEEEEE10hipError_tT0_T1_T2_jT3_P12ihipStream_tbPNSt15iterator_traitsISK_E10value_typeEPNSQ_ISL_E10value_typeEPSM_NS1_7vsmem_tEENKUlT_SK_SL_SM_E_clISE_PiSF_SF_EESJ_SZ_SK_SL_SM_EUlSZ_E1_NS1_11comp_targetILNS1_3genE4ELNS1_11target_archE910ELNS1_3gpuE8ELNS1_3repE0EEENS1_36merge_oddeven_config_static_selectorELNS0_4arch9wavefront6targetE1EEEvSL_,comdat
.Lfunc_end1714:
	.size	_ZN7rocprim17ROCPRIM_400000_NS6detail17trampoline_kernelINS0_14default_configENS1_38merge_sort_block_merge_config_selectorIiNS0_10empty_typeEEEZZNS1_27merge_sort_block_merge_implIS3_N6thrust23THRUST_200600_302600_NS6detail15normal_iteratorINS9_10device_ptrIiEEEEPS5_jNS1_19radix_merge_compareILb0ELb1EiNS0_19identity_decomposerEEEEE10hipError_tT0_T1_T2_jT3_P12ihipStream_tbPNSt15iterator_traitsISK_E10value_typeEPNSQ_ISL_E10value_typeEPSM_NS1_7vsmem_tEENKUlT_SK_SL_SM_E_clISE_PiSF_SF_EESJ_SZ_SK_SL_SM_EUlSZ_E1_NS1_11comp_targetILNS1_3genE4ELNS1_11target_archE910ELNS1_3gpuE8ELNS1_3repE0EEENS1_36merge_oddeven_config_static_selectorELNS0_4arch9wavefront6targetE1EEEvSL_, .Lfunc_end1714-_ZN7rocprim17ROCPRIM_400000_NS6detail17trampoline_kernelINS0_14default_configENS1_38merge_sort_block_merge_config_selectorIiNS0_10empty_typeEEEZZNS1_27merge_sort_block_merge_implIS3_N6thrust23THRUST_200600_302600_NS6detail15normal_iteratorINS9_10device_ptrIiEEEEPS5_jNS1_19radix_merge_compareILb0ELb1EiNS0_19identity_decomposerEEEEE10hipError_tT0_T1_T2_jT3_P12ihipStream_tbPNSt15iterator_traitsISK_E10value_typeEPNSQ_ISL_E10value_typeEPSM_NS1_7vsmem_tEENKUlT_SK_SL_SM_E_clISE_PiSF_SF_EESJ_SZ_SK_SL_SM_EUlSZ_E1_NS1_11comp_targetILNS1_3genE4ELNS1_11target_archE910ELNS1_3gpuE8ELNS1_3repE0EEENS1_36merge_oddeven_config_static_selectorELNS0_4arch9wavefront6targetE1EEEvSL_
                                        ; -- End function
	.section	.AMDGPU.csdata,"",@progbits
; Kernel info:
; codeLenInByte = 620
; NumSgprs: 25
; NumVgprs: 11
; NumAgprs: 0
; TotalNumVgprs: 11
; ScratchSize: 0
; MemoryBound: 0
; FloatMode: 240
; IeeeMode: 1
; LDSByteSize: 0 bytes/workgroup (compile time only)
; SGPRBlocks: 3
; VGPRBlocks: 1
; NumSGPRsForWavesPerEU: 25
; NumVGPRsForWavesPerEU: 11
; AccumOffset: 12
; Occupancy: 8
; WaveLimiterHint : 0
; COMPUTE_PGM_RSRC2:SCRATCH_EN: 0
; COMPUTE_PGM_RSRC2:USER_SGPR: 6
; COMPUTE_PGM_RSRC2:TRAP_HANDLER: 0
; COMPUTE_PGM_RSRC2:TGID_X_EN: 1
; COMPUTE_PGM_RSRC2:TGID_Y_EN: 0
; COMPUTE_PGM_RSRC2:TGID_Z_EN: 0
; COMPUTE_PGM_RSRC2:TIDIG_COMP_CNT: 0
; COMPUTE_PGM_RSRC3_GFX90A:ACCUM_OFFSET: 2
; COMPUTE_PGM_RSRC3_GFX90A:TG_SPLIT: 0
	.section	.text._ZN7rocprim17ROCPRIM_400000_NS6detail17trampoline_kernelINS0_14default_configENS1_38merge_sort_block_merge_config_selectorIiNS0_10empty_typeEEEZZNS1_27merge_sort_block_merge_implIS3_N6thrust23THRUST_200600_302600_NS6detail15normal_iteratorINS9_10device_ptrIiEEEEPS5_jNS1_19radix_merge_compareILb0ELb1EiNS0_19identity_decomposerEEEEE10hipError_tT0_T1_T2_jT3_P12ihipStream_tbPNSt15iterator_traitsISK_E10value_typeEPNSQ_ISL_E10value_typeEPSM_NS1_7vsmem_tEENKUlT_SK_SL_SM_E_clISE_PiSF_SF_EESJ_SZ_SK_SL_SM_EUlSZ_E1_NS1_11comp_targetILNS1_3genE3ELNS1_11target_archE908ELNS1_3gpuE7ELNS1_3repE0EEENS1_36merge_oddeven_config_static_selectorELNS0_4arch9wavefront6targetE1EEEvSL_,"axG",@progbits,_ZN7rocprim17ROCPRIM_400000_NS6detail17trampoline_kernelINS0_14default_configENS1_38merge_sort_block_merge_config_selectorIiNS0_10empty_typeEEEZZNS1_27merge_sort_block_merge_implIS3_N6thrust23THRUST_200600_302600_NS6detail15normal_iteratorINS9_10device_ptrIiEEEEPS5_jNS1_19radix_merge_compareILb0ELb1EiNS0_19identity_decomposerEEEEE10hipError_tT0_T1_T2_jT3_P12ihipStream_tbPNSt15iterator_traitsISK_E10value_typeEPNSQ_ISL_E10value_typeEPSM_NS1_7vsmem_tEENKUlT_SK_SL_SM_E_clISE_PiSF_SF_EESJ_SZ_SK_SL_SM_EUlSZ_E1_NS1_11comp_targetILNS1_3genE3ELNS1_11target_archE908ELNS1_3gpuE7ELNS1_3repE0EEENS1_36merge_oddeven_config_static_selectorELNS0_4arch9wavefront6targetE1EEEvSL_,comdat
	.protected	_ZN7rocprim17ROCPRIM_400000_NS6detail17trampoline_kernelINS0_14default_configENS1_38merge_sort_block_merge_config_selectorIiNS0_10empty_typeEEEZZNS1_27merge_sort_block_merge_implIS3_N6thrust23THRUST_200600_302600_NS6detail15normal_iteratorINS9_10device_ptrIiEEEEPS5_jNS1_19radix_merge_compareILb0ELb1EiNS0_19identity_decomposerEEEEE10hipError_tT0_T1_T2_jT3_P12ihipStream_tbPNSt15iterator_traitsISK_E10value_typeEPNSQ_ISL_E10value_typeEPSM_NS1_7vsmem_tEENKUlT_SK_SL_SM_E_clISE_PiSF_SF_EESJ_SZ_SK_SL_SM_EUlSZ_E1_NS1_11comp_targetILNS1_3genE3ELNS1_11target_archE908ELNS1_3gpuE7ELNS1_3repE0EEENS1_36merge_oddeven_config_static_selectorELNS0_4arch9wavefront6targetE1EEEvSL_ ; -- Begin function _ZN7rocprim17ROCPRIM_400000_NS6detail17trampoline_kernelINS0_14default_configENS1_38merge_sort_block_merge_config_selectorIiNS0_10empty_typeEEEZZNS1_27merge_sort_block_merge_implIS3_N6thrust23THRUST_200600_302600_NS6detail15normal_iteratorINS9_10device_ptrIiEEEEPS5_jNS1_19radix_merge_compareILb0ELb1EiNS0_19identity_decomposerEEEEE10hipError_tT0_T1_T2_jT3_P12ihipStream_tbPNSt15iterator_traitsISK_E10value_typeEPNSQ_ISL_E10value_typeEPSM_NS1_7vsmem_tEENKUlT_SK_SL_SM_E_clISE_PiSF_SF_EESJ_SZ_SK_SL_SM_EUlSZ_E1_NS1_11comp_targetILNS1_3genE3ELNS1_11target_archE908ELNS1_3gpuE7ELNS1_3repE0EEENS1_36merge_oddeven_config_static_selectorELNS0_4arch9wavefront6targetE1EEEvSL_
	.globl	_ZN7rocprim17ROCPRIM_400000_NS6detail17trampoline_kernelINS0_14default_configENS1_38merge_sort_block_merge_config_selectorIiNS0_10empty_typeEEEZZNS1_27merge_sort_block_merge_implIS3_N6thrust23THRUST_200600_302600_NS6detail15normal_iteratorINS9_10device_ptrIiEEEEPS5_jNS1_19radix_merge_compareILb0ELb1EiNS0_19identity_decomposerEEEEE10hipError_tT0_T1_T2_jT3_P12ihipStream_tbPNSt15iterator_traitsISK_E10value_typeEPNSQ_ISL_E10value_typeEPSM_NS1_7vsmem_tEENKUlT_SK_SL_SM_E_clISE_PiSF_SF_EESJ_SZ_SK_SL_SM_EUlSZ_E1_NS1_11comp_targetILNS1_3genE3ELNS1_11target_archE908ELNS1_3gpuE7ELNS1_3repE0EEENS1_36merge_oddeven_config_static_selectorELNS0_4arch9wavefront6targetE1EEEvSL_
	.p2align	8
	.type	_ZN7rocprim17ROCPRIM_400000_NS6detail17trampoline_kernelINS0_14default_configENS1_38merge_sort_block_merge_config_selectorIiNS0_10empty_typeEEEZZNS1_27merge_sort_block_merge_implIS3_N6thrust23THRUST_200600_302600_NS6detail15normal_iteratorINS9_10device_ptrIiEEEEPS5_jNS1_19radix_merge_compareILb0ELb1EiNS0_19identity_decomposerEEEEE10hipError_tT0_T1_T2_jT3_P12ihipStream_tbPNSt15iterator_traitsISK_E10value_typeEPNSQ_ISL_E10value_typeEPSM_NS1_7vsmem_tEENKUlT_SK_SL_SM_E_clISE_PiSF_SF_EESJ_SZ_SK_SL_SM_EUlSZ_E1_NS1_11comp_targetILNS1_3genE3ELNS1_11target_archE908ELNS1_3gpuE7ELNS1_3repE0EEENS1_36merge_oddeven_config_static_selectorELNS0_4arch9wavefront6targetE1EEEvSL_,@function
_ZN7rocprim17ROCPRIM_400000_NS6detail17trampoline_kernelINS0_14default_configENS1_38merge_sort_block_merge_config_selectorIiNS0_10empty_typeEEEZZNS1_27merge_sort_block_merge_implIS3_N6thrust23THRUST_200600_302600_NS6detail15normal_iteratorINS9_10device_ptrIiEEEEPS5_jNS1_19radix_merge_compareILb0ELb1EiNS0_19identity_decomposerEEEEE10hipError_tT0_T1_T2_jT3_P12ihipStream_tbPNSt15iterator_traitsISK_E10value_typeEPNSQ_ISL_E10value_typeEPSM_NS1_7vsmem_tEENKUlT_SK_SL_SM_E_clISE_PiSF_SF_EESJ_SZ_SK_SL_SM_EUlSZ_E1_NS1_11comp_targetILNS1_3genE3ELNS1_11target_archE908ELNS1_3gpuE7ELNS1_3repE0EEENS1_36merge_oddeven_config_static_selectorELNS0_4arch9wavefront6targetE1EEEvSL_: ; @_ZN7rocprim17ROCPRIM_400000_NS6detail17trampoline_kernelINS0_14default_configENS1_38merge_sort_block_merge_config_selectorIiNS0_10empty_typeEEEZZNS1_27merge_sort_block_merge_implIS3_N6thrust23THRUST_200600_302600_NS6detail15normal_iteratorINS9_10device_ptrIiEEEEPS5_jNS1_19radix_merge_compareILb0ELb1EiNS0_19identity_decomposerEEEEE10hipError_tT0_T1_T2_jT3_P12ihipStream_tbPNSt15iterator_traitsISK_E10value_typeEPNSQ_ISL_E10value_typeEPSM_NS1_7vsmem_tEENKUlT_SK_SL_SM_E_clISE_PiSF_SF_EESJ_SZ_SK_SL_SM_EUlSZ_E1_NS1_11comp_targetILNS1_3genE3ELNS1_11target_archE908ELNS1_3gpuE7ELNS1_3repE0EEENS1_36merge_oddeven_config_static_selectorELNS0_4arch9wavefront6targetE1EEEvSL_
; %bb.0:
	.section	.rodata,"a",@progbits
	.p2align	6, 0x0
	.amdhsa_kernel _ZN7rocprim17ROCPRIM_400000_NS6detail17trampoline_kernelINS0_14default_configENS1_38merge_sort_block_merge_config_selectorIiNS0_10empty_typeEEEZZNS1_27merge_sort_block_merge_implIS3_N6thrust23THRUST_200600_302600_NS6detail15normal_iteratorINS9_10device_ptrIiEEEEPS5_jNS1_19radix_merge_compareILb0ELb1EiNS0_19identity_decomposerEEEEE10hipError_tT0_T1_T2_jT3_P12ihipStream_tbPNSt15iterator_traitsISK_E10value_typeEPNSQ_ISL_E10value_typeEPSM_NS1_7vsmem_tEENKUlT_SK_SL_SM_E_clISE_PiSF_SF_EESJ_SZ_SK_SL_SM_EUlSZ_E1_NS1_11comp_targetILNS1_3genE3ELNS1_11target_archE908ELNS1_3gpuE7ELNS1_3repE0EEENS1_36merge_oddeven_config_static_selectorELNS0_4arch9wavefront6targetE1EEEvSL_
		.amdhsa_group_segment_fixed_size 0
		.amdhsa_private_segment_fixed_size 0
		.amdhsa_kernarg_size 48
		.amdhsa_user_sgpr_count 6
		.amdhsa_user_sgpr_private_segment_buffer 1
		.amdhsa_user_sgpr_dispatch_ptr 0
		.amdhsa_user_sgpr_queue_ptr 0
		.amdhsa_user_sgpr_kernarg_segment_ptr 1
		.amdhsa_user_sgpr_dispatch_id 0
		.amdhsa_user_sgpr_flat_scratch_init 0
		.amdhsa_user_sgpr_kernarg_preload_length 0
		.amdhsa_user_sgpr_kernarg_preload_offset 0
		.amdhsa_user_sgpr_private_segment_size 0
		.amdhsa_uses_dynamic_stack 0
		.amdhsa_system_sgpr_private_segment_wavefront_offset 0
		.amdhsa_system_sgpr_workgroup_id_x 1
		.amdhsa_system_sgpr_workgroup_id_y 0
		.amdhsa_system_sgpr_workgroup_id_z 0
		.amdhsa_system_sgpr_workgroup_info 0
		.amdhsa_system_vgpr_workitem_id 0
		.amdhsa_next_free_vgpr 1
		.amdhsa_next_free_sgpr 0
		.amdhsa_accum_offset 4
		.amdhsa_reserve_vcc 0
		.amdhsa_reserve_flat_scratch 0
		.amdhsa_float_round_mode_32 0
		.amdhsa_float_round_mode_16_64 0
		.amdhsa_float_denorm_mode_32 3
		.amdhsa_float_denorm_mode_16_64 3
		.amdhsa_dx10_clamp 1
		.amdhsa_ieee_mode 1
		.amdhsa_fp16_overflow 0
		.amdhsa_tg_split 0
		.amdhsa_exception_fp_ieee_invalid_op 0
		.amdhsa_exception_fp_denorm_src 0
		.amdhsa_exception_fp_ieee_div_zero 0
		.amdhsa_exception_fp_ieee_overflow 0
		.amdhsa_exception_fp_ieee_underflow 0
		.amdhsa_exception_fp_ieee_inexact 0
		.amdhsa_exception_int_div_zero 0
	.end_amdhsa_kernel
	.section	.text._ZN7rocprim17ROCPRIM_400000_NS6detail17trampoline_kernelINS0_14default_configENS1_38merge_sort_block_merge_config_selectorIiNS0_10empty_typeEEEZZNS1_27merge_sort_block_merge_implIS3_N6thrust23THRUST_200600_302600_NS6detail15normal_iteratorINS9_10device_ptrIiEEEEPS5_jNS1_19radix_merge_compareILb0ELb1EiNS0_19identity_decomposerEEEEE10hipError_tT0_T1_T2_jT3_P12ihipStream_tbPNSt15iterator_traitsISK_E10value_typeEPNSQ_ISL_E10value_typeEPSM_NS1_7vsmem_tEENKUlT_SK_SL_SM_E_clISE_PiSF_SF_EESJ_SZ_SK_SL_SM_EUlSZ_E1_NS1_11comp_targetILNS1_3genE3ELNS1_11target_archE908ELNS1_3gpuE7ELNS1_3repE0EEENS1_36merge_oddeven_config_static_selectorELNS0_4arch9wavefront6targetE1EEEvSL_,"axG",@progbits,_ZN7rocprim17ROCPRIM_400000_NS6detail17trampoline_kernelINS0_14default_configENS1_38merge_sort_block_merge_config_selectorIiNS0_10empty_typeEEEZZNS1_27merge_sort_block_merge_implIS3_N6thrust23THRUST_200600_302600_NS6detail15normal_iteratorINS9_10device_ptrIiEEEEPS5_jNS1_19radix_merge_compareILb0ELb1EiNS0_19identity_decomposerEEEEE10hipError_tT0_T1_T2_jT3_P12ihipStream_tbPNSt15iterator_traitsISK_E10value_typeEPNSQ_ISL_E10value_typeEPSM_NS1_7vsmem_tEENKUlT_SK_SL_SM_E_clISE_PiSF_SF_EESJ_SZ_SK_SL_SM_EUlSZ_E1_NS1_11comp_targetILNS1_3genE3ELNS1_11target_archE908ELNS1_3gpuE7ELNS1_3repE0EEENS1_36merge_oddeven_config_static_selectorELNS0_4arch9wavefront6targetE1EEEvSL_,comdat
.Lfunc_end1715:
	.size	_ZN7rocprim17ROCPRIM_400000_NS6detail17trampoline_kernelINS0_14default_configENS1_38merge_sort_block_merge_config_selectorIiNS0_10empty_typeEEEZZNS1_27merge_sort_block_merge_implIS3_N6thrust23THRUST_200600_302600_NS6detail15normal_iteratorINS9_10device_ptrIiEEEEPS5_jNS1_19radix_merge_compareILb0ELb1EiNS0_19identity_decomposerEEEEE10hipError_tT0_T1_T2_jT3_P12ihipStream_tbPNSt15iterator_traitsISK_E10value_typeEPNSQ_ISL_E10value_typeEPSM_NS1_7vsmem_tEENKUlT_SK_SL_SM_E_clISE_PiSF_SF_EESJ_SZ_SK_SL_SM_EUlSZ_E1_NS1_11comp_targetILNS1_3genE3ELNS1_11target_archE908ELNS1_3gpuE7ELNS1_3repE0EEENS1_36merge_oddeven_config_static_selectorELNS0_4arch9wavefront6targetE1EEEvSL_, .Lfunc_end1715-_ZN7rocprim17ROCPRIM_400000_NS6detail17trampoline_kernelINS0_14default_configENS1_38merge_sort_block_merge_config_selectorIiNS0_10empty_typeEEEZZNS1_27merge_sort_block_merge_implIS3_N6thrust23THRUST_200600_302600_NS6detail15normal_iteratorINS9_10device_ptrIiEEEEPS5_jNS1_19radix_merge_compareILb0ELb1EiNS0_19identity_decomposerEEEEE10hipError_tT0_T1_T2_jT3_P12ihipStream_tbPNSt15iterator_traitsISK_E10value_typeEPNSQ_ISL_E10value_typeEPSM_NS1_7vsmem_tEENKUlT_SK_SL_SM_E_clISE_PiSF_SF_EESJ_SZ_SK_SL_SM_EUlSZ_E1_NS1_11comp_targetILNS1_3genE3ELNS1_11target_archE908ELNS1_3gpuE7ELNS1_3repE0EEENS1_36merge_oddeven_config_static_selectorELNS0_4arch9wavefront6targetE1EEEvSL_
                                        ; -- End function
	.section	.AMDGPU.csdata,"",@progbits
; Kernel info:
; codeLenInByte = 0
; NumSgprs: 4
; NumVgprs: 0
; NumAgprs: 0
; TotalNumVgprs: 0
; ScratchSize: 0
; MemoryBound: 0
; FloatMode: 240
; IeeeMode: 1
; LDSByteSize: 0 bytes/workgroup (compile time only)
; SGPRBlocks: 0
; VGPRBlocks: 0
; NumSGPRsForWavesPerEU: 4
; NumVGPRsForWavesPerEU: 1
; AccumOffset: 4
; Occupancy: 8
; WaveLimiterHint : 0
; COMPUTE_PGM_RSRC2:SCRATCH_EN: 0
; COMPUTE_PGM_RSRC2:USER_SGPR: 6
; COMPUTE_PGM_RSRC2:TRAP_HANDLER: 0
; COMPUTE_PGM_RSRC2:TGID_X_EN: 1
; COMPUTE_PGM_RSRC2:TGID_Y_EN: 0
; COMPUTE_PGM_RSRC2:TGID_Z_EN: 0
; COMPUTE_PGM_RSRC2:TIDIG_COMP_CNT: 0
; COMPUTE_PGM_RSRC3_GFX90A:ACCUM_OFFSET: 0
; COMPUTE_PGM_RSRC3_GFX90A:TG_SPLIT: 0
	.section	.text._ZN7rocprim17ROCPRIM_400000_NS6detail17trampoline_kernelINS0_14default_configENS1_38merge_sort_block_merge_config_selectorIiNS0_10empty_typeEEEZZNS1_27merge_sort_block_merge_implIS3_N6thrust23THRUST_200600_302600_NS6detail15normal_iteratorINS9_10device_ptrIiEEEEPS5_jNS1_19radix_merge_compareILb0ELb1EiNS0_19identity_decomposerEEEEE10hipError_tT0_T1_T2_jT3_P12ihipStream_tbPNSt15iterator_traitsISK_E10value_typeEPNSQ_ISL_E10value_typeEPSM_NS1_7vsmem_tEENKUlT_SK_SL_SM_E_clISE_PiSF_SF_EESJ_SZ_SK_SL_SM_EUlSZ_E1_NS1_11comp_targetILNS1_3genE2ELNS1_11target_archE906ELNS1_3gpuE6ELNS1_3repE0EEENS1_36merge_oddeven_config_static_selectorELNS0_4arch9wavefront6targetE1EEEvSL_,"axG",@progbits,_ZN7rocprim17ROCPRIM_400000_NS6detail17trampoline_kernelINS0_14default_configENS1_38merge_sort_block_merge_config_selectorIiNS0_10empty_typeEEEZZNS1_27merge_sort_block_merge_implIS3_N6thrust23THRUST_200600_302600_NS6detail15normal_iteratorINS9_10device_ptrIiEEEEPS5_jNS1_19radix_merge_compareILb0ELb1EiNS0_19identity_decomposerEEEEE10hipError_tT0_T1_T2_jT3_P12ihipStream_tbPNSt15iterator_traitsISK_E10value_typeEPNSQ_ISL_E10value_typeEPSM_NS1_7vsmem_tEENKUlT_SK_SL_SM_E_clISE_PiSF_SF_EESJ_SZ_SK_SL_SM_EUlSZ_E1_NS1_11comp_targetILNS1_3genE2ELNS1_11target_archE906ELNS1_3gpuE6ELNS1_3repE0EEENS1_36merge_oddeven_config_static_selectorELNS0_4arch9wavefront6targetE1EEEvSL_,comdat
	.protected	_ZN7rocprim17ROCPRIM_400000_NS6detail17trampoline_kernelINS0_14default_configENS1_38merge_sort_block_merge_config_selectorIiNS0_10empty_typeEEEZZNS1_27merge_sort_block_merge_implIS3_N6thrust23THRUST_200600_302600_NS6detail15normal_iteratorINS9_10device_ptrIiEEEEPS5_jNS1_19radix_merge_compareILb0ELb1EiNS0_19identity_decomposerEEEEE10hipError_tT0_T1_T2_jT3_P12ihipStream_tbPNSt15iterator_traitsISK_E10value_typeEPNSQ_ISL_E10value_typeEPSM_NS1_7vsmem_tEENKUlT_SK_SL_SM_E_clISE_PiSF_SF_EESJ_SZ_SK_SL_SM_EUlSZ_E1_NS1_11comp_targetILNS1_3genE2ELNS1_11target_archE906ELNS1_3gpuE6ELNS1_3repE0EEENS1_36merge_oddeven_config_static_selectorELNS0_4arch9wavefront6targetE1EEEvSL_ ; -- Begin function _ZN7rocprim17ROCPRIM_400000_NS6detail17trampoline_kernelINS0_14default_configENS1_38merge_sort_block_merge_config_selectorIiNS0_10empty_typeEEEZZNS1_27merge_sort_block_merge_implIS3_N6thrust23THRUST_200600_302600_NS6detail15normal_iteratorINS9_10device_ptrIiEEEEPS5_jNS1_19radix_merge_compareILb0ELb1EiNS0_19identity_decomposerEEEEE10hipError_tT0_T1_T2_jT3_P12ihipStream_tbPNSt15iterator_traitsISK_E10value_typeEPNSQ_ISL_E10value_typeEPSM_NS1_7vsmem_tEENKUlT_SK_SL_SM_E_clISE_PiSF_SF_EESJ_SZ_SK_SL_SM_EUlSZ_E1_NS1_11comp_targetILNS1_3genE2ELNS1_11target_archE906ELNS1_3gpuE6ELNS1_3repE0EEENS1_36merge_oddeven_config_static_selectorELNS0_4arch9wavefront6targetE1EEEvSL_
	.globl	_ZN7rocprim17ROCPRIM_400000_NS6detail17trampoline_kernelINS0_14default_configENS1_38merge_sort_block_merge_config_selectorIiNS0_10empty_typeEEEZZNS1_27merge_sort_block_merge_implIS3_N6thrust23THRUST_200600_302600_NS6detail15normal_iteratorINS9_10device_ptrIiEEEEPS5_jNS1_19radix_merge_compareILb0ELb1EiNS0_19identity_decomposerEEEEE10hipError_tT0_T1_T2_jT3_P12ihipStream_tbPNSt15iterator_traitsISK_E10value_typeEPNSQ_ISL_E10value_typeEPSM_NS1_7vsmem_tEENKUlT_SK_SL_SM_E_clISE_PiSF_SF_EESJ_SZ_SK_SL_SM_EUlSZ_E1_NS1_11comp_targetILNS1_3genE2ELNS1_11target_archE906ELNS1_3gpuE6ELNS1_3repE0EEENS1_36merge_oddeven_config_static_selectorELNS0_4arch9wavefront6targetE1EEEvSL_
	.p2align	8
	.type	_ZN7rocprim17ROCPRIM_400000_NS6detail17trampoline_kernelINS0_14default_configENS1_38merge_sort_block_merge_config_selectorIiNS0_10empty_typeEEEZZNS1_27merge_sort_block_merge_implIS3_N6thrust23THRUST_200600_302600_NS6detail15normal_iteratorINS9_10device_ptrIiEEEEPS5_jNS1_19radix_merge_compareILb0ELb1EiNS0_19identity_decomposerEEEEE10hipError_tT0_T1_T2_jT3_P12ihipStream_tbPNSt15iterator_traitsISK_E10value_typeEPNSQ_ISL_E10value_typeEPSM_NS1_7vsmem_tEENKUlT_SK_SL_SM_E_clISE_PiSF_SF_EESJ_SZ_SK_SL_SM_EUlSZ_E1_NS1_11comp_targetILNS1_3genE2ELNS1_11target_archE906ELNS1_3gpuE6ELNS1_3repE0EEENS1_36merge_oddeven_config_static_selectorELNS0_4arch9wavefront6targetE1EEEvSL_,@function
_ZN7rocprim17ROCPRIM_400000_NS6detail17trampoline_kernelINS0_14default_configENS1_38merge_sort_block_merge_config_selectorIiNS0_10empty_typeEEEZZNS1_27merge_sort_block_merge_implIS3_N6thrust23THRUST_200600_302600_NS6detail15normal_iteratorINS9_10device_ptrIiEEEEPS5_jNS1_19radix_merge_compareILb0ELb1EiNS0_19identity_decomposerEEEEE10hipError_tT0_T1_T2_jT3_P12ihipStream_tbPNSt15iterator_traitsISK_E10value_typeEPNSQ_ISL_E10value_typeEPSM_NS1_7vsmem_tEENKUlT_SK_SL_SM_E_clISE_PiSF_SF_EESJ_SZ_SK_SL_SM_EUlSZ_E1_NS1_11comp_targetILNS1_3genE2ELNS1_11target_archE906ELNS1_3gpuE6ELNS1_3repE0EEENS1_36merge_oddeven_config_static_selectorELNS0_4arch9wavefront6targetE1EEEvSL_: ; @_ZN7rocprim17ROCPRIM_400000_NS6detail17trampoline_kernelINS0_14default_configENS1_38merge_sort_block_merge_config_selectorIiNS0_10empty_typeEEEZZNS1_27merge_sort_block_merge_implIS3_N6thrust23THRUST_200600_302600_NS6detail15normal_iteratorINS9_10device_ptrIiEEEEPS5_jNS1_19radix_merge_compareILb0ELb1EiNS0_19identity_decomposerEEEEE10hipError_tT0_T1_T2_jT3_P12ihipStream_tbPNSt15iterator_traitsISK_E10value_typeEPNSQ_ISL_E10value_typeEPSM_NS1_7vsmem_tEENKUlT_SK_SL_SM_E_clISE_PiSF_SF_EESJ_SZ_SK_SL_SM_EUlSZ_E1_NS1_11comp_targetILNS1_3genE2ELNS1_11target_archE906ELNS1_3gpuE6ELNS1_3repE0EEENS1_36merge_oddeven_config_static_selectorELNS0_4arch9wavefront6targetE1EEEvSL_
; %bb.0:
	.section	.rodata,"a",@progbits
	.p2align	6, 0x0
	.amdhsa_kernel _ZN7rocprim17ROCPRIM_400000_NS6detail17trampoline_kernelINS0_14default_configENS1_38merge_sort_block_merge_config_selectorIiNS0_10empty_typeEEEZZNS1_27merge_sort_block_merge_implIS3_N6thrust23THRUST_200600_302600_NS6detail15normal_iteratorINS9_10device_ptrIiEEEEPS5_jNS1_19radix_merge_compareILb0ELb1EiNS0_19identity_decomposerEEEEE10hipError_tT0_T1_T2_jT3_P12ihipStream_tbPNSt15iterator_traitsISK_E10value_typeEPNSQ_ISL_E10value_typeEPSM_NS1_7vsmem_tEENKUlT_SK_SL_SM_E_clISE_PiSF_SF_EESJ_SZ_SK_SL_SM_EUlSZ_E1_NS1_11comp_targetILNS1_3genE2ELNS1_11target_archE906ELNS1_3gpuE6ELNS1_3repE0EEENS1_36merge_oddeven_config_static_selectorELNS0_4arch9wavefront6targetE1EEEvSL_
		.amdhsa_group_segment_fixed_size 0
		.amdhsa_private_segment_fixed_size 0
		.amdhsa_kernarg_size 48
		.amdhsa_user_sgpr_count 6
		.amdhsa_user_sgpr_private_segment_buffer 1
		.amdhsa_user_sgpr_dispatch_ptr 0
		.amdhsa_user_sgpr_queue_ptr 0
		.amdhsa_user_sgpr_kernarg_segment_ptr 1
		.amdhsa_user_sgpr_dispatch_id 0
		.amdhsa_user_sgpr_flat_scratch_init 0
		.amdhsa_user_sgpr_kernarg_preload_length 0
		.amdhsa_user_sgpr_kernarg_preload_offset 0
		.amdhsa_user_sgpr_private_segment_size 0
		.amdhsa_uses_dynamic_stack 0
		.amdhsa_system_sgpr_private_segment_wavefront_offset 0
		.amdhsa_system_sgpr_workgroup_id_x 1
		.amdhsa_system_sgpr_workgroup_id_y 0
		.amdhsa_system_sgpr_workgroup_id_z 0
		.amdhsa_system_sgpr_workgroup_info 0
		.amdhsa_system_vgpr_workitem_id 0
		.amdhsa_next_free_vgpr 1
		.amdhsa_next_free_sgpr 0
		.amdhsa_accum_offset 4
		.amdhsa_reserve_vcc 0
		.amdhsa_reserve_flat_scratch 0
		.amdhsa_float_round_mode_32 0
		.amdhsa_float_round_mode_16_64 0
		.amdhsa_float_denorm_mode_32 3
		.amdhsa_float_denorm_mode_16_64 3
		.amdhsa_dx10_clamp 1
		.amdhsa_ieee_mode 1
		.amdhsa_fp16_overflow 0
		.amdhsa_tg_split 0
		.amdhsa_exception_fp_ieee_invalid_op 0
		.amdhsa_exception_fp_denorm_src 0
		.amdhsa_exception_fp_ieee_div_zero 0
		.amdhsa_exception_fp_ieee_overflow 0
		.amdhsa_exception_fp_ieee_underflow 0
		.amdhsa_exception_fp_ieee_inexact 0
		.amdhsa_exception_int_div_zero 0
	.end_amdhsa_kernel
	.section	.text._ZN7rocprim17ROCPRIM_400000_NS6detail17trampoline_kernelINS0_14default_configENS1_38merge_sort_block_merge_config_selectorIiNS0_10empty_typeEEEZZNS1_27merge_sort_block_merge_implIS3_N6thrust23THRUST_200600_302600_NS6detail15normal_iteratorINS9_10device_ptrIiEEEEPS5_jNS1_19radix_merge_compareILb0ELb1EiNS0_19identity_decomposerEEEEE10hipError_tT0_T1_T2_jT3_P12ihipStream_tbPNSt15iterator_traitsISK_E10value_typeEPNSQ_ISL_E10value_typeEPSM_NS1_7vsmem_tEENKUlT_SK_SL_SM_E_clISE_PiSF_SF_EESJ_SZ_SK_SL_SM_EUlSZ_E1_NS1_11comp_targetILNS1_3genE2ELNS1_11target_archE906ELNS1_3gpuE6ELNS1_3repE0EEENS1_36merge_oddeven_config_static_selectorELNS0_4arch9wavefront6targetE1EEEvSL_,"axG",@progbits,_ZN7rocprim17ROCPRIM_400000_NS6detail17trampoline_kernelINS0_14default_configENS1_38merge_sort_block_merge_config_selectorIiNS0_10empty_typeEEEZZNS1_27merge_sort_block_merge_implIS3_N6thrust23THRUST_200600_302600_NS6detail15normal_iteratorINS9_10device_ptrIiEEEEPS5_jNS1_19radix_merge_compareILb0ELb1EiNS0_19identity_decomposerEEEEE10hipError_tT0_T1_T2_jT3_P12ihipStream_tbPNSt15iterator_traitsISK_E10value_typeEPNSQ_ISL_E10value_typeEPSM_NS1_7vsmem_tEENKUlT_SK_SL_SM_E_clISE_PiSF_SF_EESJ_SZ_SK_SL_SM_EUlSZ_E1_NS1_11comp_targetILNS1_3genE2ELNS1_11target_archE906ELNS1_3gpuE6ELNS1_3repE0EEENS1_36merge_oddeven_config_static_selectorELNS0_4arch9wavefront6targetE1EEEvSL_,comdat
.Lfunc_end1716:
	.size	_ZN7rocprim17ROCPRIM_400000_NS6detail17trampoline_kernelINS0_14default_configENS1_38merge_sort_block_merge_config_selectorIiNS0_10empty_typeEEEZZNS1_27merge_sort_block_merge_implIS3_N6thrust23THRUST_200600_302600_NS6detail15normal_iteratorINS9_10device_ptrIiEEEEPS5_jNS1_19radix_merge_compareILb0ELb1EiNS0_19identity_decomposerEEEEE10hipError_tT0_T1_T2_jT3_P12ihipStream_tbPNSt15iterator_traitsISK_E10value_typeEPNSQ_ISL_E10value_typeEPSM_NS1_7vsmem_tEENKUlT_SK_SL_SM_E_clISE_PiSF_SF_EESJ_SZ_SK_SL_SM_EUlSZ_E1_NS1_11comp_targetILNS1_3genE2ELNS1_11target_archE906ELNS1_3gpuE6ELNS1_3repE0EEENS1_36merge_oddeven_config_static_selectorELNS0_4arch9wavefront6targetE1EEEvSL_, .Lfunc_end1716-_ZN7rocprim17ROCPRIM_400000_NS6detail17trampoline_kernelINS0_14default_configENS1_38merge_sort_block_merge_config_selectorIiNS0_10empty_typeEEEZZNS1_27merge_sort_block_merge_implIS3_N6thrust23THRUST_200600_302600_NS6detail15normal_iteratorINS9_10device_ptrIiEEEEPS5_jNS1_19radix_merge_compareILb0ELb1EiNS0_19identity_decomposerEEEEE10hipError_tT0_T1_T2_jT3_P12ihipStream_tbPNSt15iterator_traitsISK_E10value_typeEPNSQ_ISL_E10value_typeEPSM_NS1_7vsmem_tEENKUlT_SK_SL_SM_E_clISE_PiSF_SF_EESJ_SZ_SK_SL_SM_EUlSZ_E1_NS1_11comp_targetILNS1_3genE2ELNS1_11target_archE906ELNS1_3gpuE6ELNS1_3repE0EEENS1_36merge_oddeven_config_static_selectorELNS0_4arch9wavefront6targetE1EEEvSL_
                                        ; -- End function
	.section	.AMDGPU.csdata,"",@progbits
; Kernel info:
; codeLenInByte = 0
; NumSgprs: 4
; NumVgprs: 0
; NumAgprs: 0
; TotalNumVgprs: 0
; ScratchSize: 0
; MemoryBound: 0
; FloatMode: 240
; IeeeMode: 1
; LDSByteSize: 0 bytes/workgroup (compile time only)
; SGPRBlocks: 0
; VGPRBlocks: 0
; NumSGPRsForWavesPerEU: 4
; NumVGPRsForWavesPerEU: 1
; AccumOffset: 4
; Occupancy: 8
; WaveLimiterHint : 0
; COMPUTE_PGM_RSRC2:SCRATCH_EN: 0
; COMPUTE_PGM_RSRC2:USER_SGPR: 6
; COMPUTE_PGM_RSRC2:TRAP_HANDLER: 0
; COMPUTE_PGM_RSRC2:TGID_X_EN: 1
; COMPUTE_PGM_RSRC2:TGID_Y_EN: 0
; COMPUTE_PGM_RSRC2:TGID_Z_EN: 0
; COMPUTE_PGM_RSRC2:TIDIG_COMP_CNT: 0
; COMPUTE_PGM_RSRC3_GFX90A:ACCUM_OFFSET: 0
; COMPUTE_PGM_RSRC3_GFX90A:TG_SPLIT: 0
	.section	.text._ZN7rocprim17ROCPRIM_400000_NS6detail17trampoline_kernelINS0_14default_configENS1_38merge_sort_block_merge_config_selectorIiNS0_10empty_typeEEEZZNS1_27merge_sort_block_merge_implIS3_N6thrust23THRUST_200600_302600_NS6detail15normal_iteratorINS9_10device_ptrIiEEEEPS5_jNS1_19radix_merge_compareILb0ELb1EiNS0_19identity_decomposerEEEEE10hipError_tT0_T1_T2_jT3_P12ihipStream_tbPNSt15iterator_traitsISK_E10value_typeEPNSQ_ISL_E10value_typeEPSM_NS1_7vsmem_tEENKUlT_SK_SL_SM_E_clISE_PiSF_SF_EESJ_SZ_SK_SL_SM_EUlSZ_E1_NS1_11comp_targetILNS1_3genE9ELNS1_11target_archE1100ELNS1_3gpuE3ELNS1_3repE0EEENS1_36merge_oddeven_config_static_selectorELNS0_4arch9wavefront6targetE1EEEvSL_,"axG",@progbits,_ZN7rocprim17ROCPRIM_400000_NS6detail17trampoline_kernelINS0_14default_configENS1_38merge_sort_block_merge_config_selectorIiNS0_10empty_typeEEEZZNS1_27merge_sort_block_merge_implIS3_N6thrust23THRUST_200600_302600_NS6detail15normal_iteratorINS9_10device_ptrIiEEEEPS5_jNS1_19radix_merge_compareILb0ELb1EiNS0_19identity_decomposerEEEEE10hipError_tT0_T1_T2_jT3_P12ihipStream_tbPNSt15iterator_traitsISK_E10value_typeEPNSQ_ISL_E10value_typeEPSM_NS1_7vsmem_tEENKUlT_SK_SL_SM_E_clISE_PiSF_SF_EESJ_SZ_SK_SL_SM_EUlSZ_E1_NS1_11comp_targetILNS1_3genE9ELNS1_11target_archE1100ELNS1_3gpuE3ELNS1_3repE0EEENS1_36merge_oddeven_config_static_selectorELNS0_4arch9wavefront6targetE1EEEvSL_,comdat
	.protected	_ZN7rocprim17ROCPRIM_400000_NS6detail17trampoline_kernelINS0_14default_configENS1_38merge_sort_block_merge_config_selectorIiNS0_10empty_typeEEEZZNS1_27merge_sort_block_merge_implIS3_N6thrust23THRUST_200600_302600_NS6detail15normal_iteratorINS9_10device_ptrIiEEEEPS5_jNS1_19radix_merge_compareILb0ELb1EiNS0_19identity_decomposerEEEEE10hipError_tT0_T1_T2_jT3_P12ihipStream_tbPNSt15iterator_traitsISK_E10value_typeEPNSQ_ISL_E10value_typeEPSM_NS1_7vsmem_tEENKUlT_SK_SL_SM_E_clISE_PiSF_SF_EESJ_SZ_SK_SL_SM_EUlSZ_E1_NS1_11comp_targetILNS1_3genE9ELNS1_11target_archE1100ELNS1_3gpuE3ELNS1_3repE0EEENS1_36merge_oddeven_config_static_selectorELNS0_4arch9wavefront6targetE1EEEvSL_ ; -- Begin function _ZN7rocprim17ROCPRIM_400000_NS6detail17trampoline_kernelINS0_14default_configENS1_38merge_sort_block_merge_config_selectorIiNS0_10empty_typeEEEZZNS1_27merge_sort_block_merge_implIS3_N6thrust23THRUST_200600_302600_NS6detail15normal_iteratorINS9_10device_ptrIiEEEEPS5_jNS1_19radix_merge_compareILb0ELb1EiNS0_19identity_decomposerEEEEE10hipError_tT0_T1_T2_jT3_P12ihipStream_tbPNSt15iterator_traitsISK_E10value_typeEPNSQ_ISL_E10value_typeEPSM_NS1_7vsmem_tEENKUlT_SK_SL_SM_E_clISE_PiSF_SF_EESJ_SZ_SK_SL_SM_EUlSZ_E1_NS1_11comp_targetILNS1_3genE9ELNS1_11target_archE1100ELNS1_3gpuE3ELNS1_3repE0EEENS1_36merge_oddeven_config_static_selectorELNS0_4arch9wavefront6targetE1EEEvSL_
	.globl	_ZN7rocprim17ROCPRIM_400000_NS6detail17trampoline_kernelINS0_14default_configENS1_38merge_sort_block_merge_config_selectorIiNS0_10empty_typeEEEZZNS1_27merge_sort_block_merge_implIS3_N6thrust23THRUST_200600_302600_NS6detail15normal_iteratorINS9_10device_ptrIiEEEEPS5_jNS1_19radix_merge_compareILb0ELb1EiNS0_19identity_decomposerEEEEE10hipError_tT0_T1_T2_jT3_P12ihipStream_tbPNSt15iterator_traitsISK_E10value_typeEPNSQ_ISL_E10value_typeEPSM_NS1_7vsmem_tEENKUlT_SK_SL_SM_E_clISE_PiSF_SF_EESJ_SZ_SK_SL_SM_EUlSZ_E1_NS1_11comp_targetILNS1_3genE9ELNS1_11target_archE1100ELNS1_3gpuE3ELNS1_3repE0EEENS1_36merge_oddeven_config_static_selectorELNS0_4arch9wavefront6targetE1EEEvSL_
	.p2align	8
	.type	_ZN7rocprim17ROCPRIM_400000_NS6detail17trampoline_kernelINS0_14default_configENS1_38merge_sort_block_merge_config_selectorIiNS0_10empty_typeEEEZZNS1_27merge_sort_block_merge_implIS3_N6thrust23THRUST_200600_302600_NS6detail15normal_iteratorINS9_10device_ptrIiEEEEPS5_jNS1_19radix_merge_compareILb0ELb1EiNS0_19identity_decomposerEEEEE10hipError_tT0_T1_T2_jT3_P12ihipStream_tbPNSt15iterator_traitsISK_E10value_typeEPNSQ_ISL_E10value_typeEPSM_NS1_7vsmem_tEENKUlT_SK_SL_SM_E_clISE_PiSF_SF_EESJ_SZ_SK_SL_SM_EUlSZ_E1_NS1_11comp_targetILNS1_3genE9ELNS1_11target_archE1100ELNS1_3gpuE3ELNS1_3repE0EEENS1_36merge_oddeven_config_static_selectorELNS0_4arch9wavefront6targetE1EEEvSL_,@function
_ZN7rocprim17ROCPRIM_400000_NS6detail17trampoline_kernelINS0_14default_configENS1_38merge_sort_block_merge_config_selectorIiNS0_10empty_typeEEEZZNS1_27merge_sort_block_merge_implIS3_N6thrust23THRUST_200600_302600_NS6detail15normal_iteratorINS9_10device_ptrIiEEEEPS5_jNS1_19radix_merge_compareILb0ELb1EiNS0_19identity_decomposerEEEEE10hipError_tT0_T1_T2_jT3_P12ihipStream_tbPNSt15iterator_traitsISK_E10value_typeEPNSQ_ISL_E10value_typeEPSM_NS1_7vsmem_tEENKUlT_SK_SL_SM_E_clISE_PiSF_SF_EESJ_SZ_SK_SL_SM_EUlSZ_E1_NS1_11comp_targetILNS1_3genE9ELNS1_11target_archE1100ELNS1_3gpuE3ELNS1_3repE0EEENS1_36merge_oddeven_config_static_selectorELNS0_4arch9wavefront6targetE1EEEvSL_: ; @_ZN7rocprim17ROCPRIM_400000_NS6detail17trampoline_kernelINS0_14default_configENS1_38merge_sort_block_merge_config_selectorIiNS0_10empty_typeEEEZZNS1_27merge_sort_block_merge_implIS3_N6thrust23THRUST_200600_302600_NS6detail15normal_iteratorINS9_10device_ptrIiEEEEPS5_jNS1_19radix_merge_compareILb0ELb1EiNS0_19identity_decomposerEEEEE10hipError_tT0_T1_T2_jT3_P12ihipStream_tbPNSt15iterator_traitsISK_E10value_typeEPNSQ_ISL_E10value_typeEPSM_NS1_7vsmem_tEENKUlT_SK_SL_SM_E_clISE_PiSF_SF_EESJ_SZ_SK_SL_SM_EUlSZ_E1_NS1_11comp_targetILNS1_3genE9ELNS1_11target_archE1100ELNS1_3gpuE3ELNS1_3repE0EEENS1_36merge_oddeven_config_static_selectorELNS0_4arch9wavefront6targetE1EEEvSL_
; %bb.0:
	.section	.rodata,"a",@progbits
	.p2align	6, 0x0
	.amdhsa_kernel _ZN7rocprim17ROCPRIM_400000_NS6detail17trampoline_kernelINS0_14default_configENS1_38merge_sort_block_merge_config_selectorIiNS0_10empty_typeEEEZZNS1_27merge_sort_block_merge_implIS3_N6thrust23THRUST_200600_302600_NS6detail15normal_iteratorINS9_10device_ptrIiEEEEPS5_jNS1_19radix_merge_compareILb0ELb1EiNS0_19identity_decomposerEEEEE10hipError_tT0_T1_T2_jT3_P12ihipStream_tbPNSt15iterator_traitsISK_E10value_typeEPNSQ_ISL_E10value_typeEPSM_NS1_7vsmem_tEENKUlT_SK_SL_SM_E_clISE_PiSF_SF_EESJ_SZ_SK_SL_SM_EUlSZ_E1_NS1_11comp_targetILNS1_3genE9ELNS1_11target_archE1100ELNS1_3gpuE3ELNS1_3repE0EEENS1_36merge_oddeven_config_static_selectorELNS0_4arch9wavefront6targetE1EEEvSL_
		.amdhsa_group_segment_fixed_size 0
		.amdhsa_private_segment_fixed_size 0
		.amdhsa_kernarg_size 48
		.amdhsa_user_sgpr_count 6
		.amdhsa_user_sgpr_private_segment_buffer 1
		.amdhsa_user_sgpr_dispatch_ptr 0
		.amdhsa_user_sgpr_queue_ptr 0
		.amdhsa_user_sgpr_kernarg_segment_ptr 1
		.amdhsa_user_sgpr_dispatch_id 0
		.amdhsa_user_sgpr_flat_scratch_init 0
		.amdhsa_user_sgpr_kernarg_preload_length 0
		.amdhsa_user_sgpr_kernarg_preload_offset 0
		.amdhsa_user_sgpr_private_segment_size 0
		.amdhsa_uses_dynamic_stack 0
		.amdhsa_system_sgpr_private_segment_wavefront_offset 0
		.amdhsa_system_sgpr_workgroup_id_x 1
		.amdhsa_system_sgpr_workgroup_id_y 0
		.amdhsa_system_sgpr_workgroup_id_z 0
		.amdhsa_system_sgpr_workgroup_info 0
		.amdhsa_system_vgpr_workitem_id 0
		.amdhsa_next_free_vgpr 1
		.amdhsa_next_free_sgpr 0
		.amdhsa_accum_offset 4
		.amdhsa_reserve_vcc 0
		.amdhsa_reserve_flat_scratch 0
		.amdhsa_float_round_mode_32 0
		.amdhsa_float_round_mode_16_64 0
		.amdhsa_float_denorm_mode_32 3
		.amdhsa_float_denorm_mode_16_64 3
		.amdhsa_dx10_clamp 1
		.amdhsa_ieee_mode 1
		.amdhsa_fp16_overflow 0
		.amdhsa_tg_split 0
		.amdhsa_exception_fp_ieee_invalid_op 0
		.amdhsa_exception_fp_denorm_src 0
		.amdhsa_exception_fp_ieee_div_zero 0
		.amdhsa_exception_fp_ieee_overflow 0
		.amdhsa_exception_fp_ieee_underflow 0
		.amdhsa_exception_fp_ieee_inexact 0
		.amdhsa_exception_int_div_zero 0
	.end_amdhsa_kernel
	.section	.text._ZN7rocprim17ROCPRIM_400000_NS6detail17trampoline_kernelINS0_14default_configENS1_38merge_sort_block_merge_config_selectorIiNS0_10empty_typeEEEZZNS1_27merge_sort_block_merge_implIS3_N6thrust23THRUST_200600_302600_NS6detail15normal_iteratorINS9_10device_ptrIiEEEEPS5_jNS1_19radix_merge_compareILb0ELb1EiNS0_19identity_decomposerEEEEE10hipError_tT0_T1_T2_jT3_P12ihipStream_tbPNSt15iterator_traitsISK_E10value_typeEPNSQ_ISL_E10value_typeEPSM_NS1_7vsmem_tEENKUlT_SK_SL_SM_E_clISE_PiSF_SF_EESJ_SZ_SK_SL_SM_EUlSZ_E1_NS1_11comp_targetILNS1_3genE9ELNS1_11target_archE1100ELNS1_3gpuE3ELNS1_3repE0EEENS1_36merge_oddeven_config_static_selectorELNS0_4arch9wavefront6targetE1EEEvSL_,"axG",@progbits,_ZN7rocprim17ROCPRIM_400000_NS6detail17trampoline_kernelINS0_14default_configENS1_38merge_sort_block_merge_config_selectorIiNS0_10empty_typeEEEZZNS1_27merge_sort_block_merge_implIS3_N6thrust23THRUST_200600_302600_NS6detail15normal_iteratorINS9_10device_ptrIiEEEEPS5_jNS1_19radix_merge_compareILb0ELb1EiNS0_19identity_decomposerEEEEE10hipError_tT0_T1_T2_jT3_P12ihipStream_tbPNSt15iterator_traitsISK_E10value_typeEPNSQ_ISL_E10value_typeEPSM_NS1_7vsmem_tEENKUlT_SK_SL_SM_E_clISE_PiSF_SF_EESJ_SZ_SK_SL_SM_EUlSZ_E1_NS1_11comp_targetILNS1_3genE9ELNS1_11target_archE1100ELNS1_3gpuE3ELNS1_3repE0EEENS1_36merge_oddeven_config_static_selectorELNS0_4arch9wavefront6targetE1EEEvSL_,comdat
.Lfunc_end1717:
	.size	_ZN7rocprim17ROCPRIM_400000_NS6detail17trampoline_kernelINS0_14default_configENS1_38merge_sort_block_merge_config_selectorIiNS0_10empty_typeEEEZZNS1_27merge_sort_block_merge_implIS3_N6thrust23THRUST_200600_302600_NS6detail15normal_iteratorINS9_10device_ptrIiEEEEPS5_jNS1_19radix_merge_compareILb0ELb1EiNS0_19identity_decomposerEEEEE10hipError_tT0_T1_T2_jT3_P12ihipStream_tbPNSt15iterator_traitsISK_E10value_typeEPNSQ_ISL_E10value_typeEPSM_NS1_7vsmem_tEENKUlT_SK_SL_SM_E_clISE_PiSF_SF_EESJ_SZ_SK_SL_SM_EUlSZ_E1_NS1_11comp_targetILNS1_3genE9ELNS1_11target_archE1100ELNS1_3gpuE3ELNS1_3repE0EEENS1_36merge_oddeven_config_static_selectorELNS0_4arch9wavefront6targetE1EEEvSL_, .Lfunc_end1717-_ZN7rocprim17ROCPRIM_400000_NS6detail17trampoline_kernelINS0_14default_configENS1_38merge_sort_block_merge_config_selectorIiNS0_10empty_typeEEEZZNS1_27merge_sort_block_merge_implIS3_N6thrust23THRUST_200600_302600_NS6detail15normal_iteratorINS9_10device_ptrIiEEEEPS5_jNS1_19radix_merge_compareILb0ELb1EiNS0_19identity_decomposerEEEEE10hipError_tT0_T1_T2_jT3_P12ihipStream_tbPNSt15iterator_traitsISK_E10value_typeEPNSQ_ISL_E10value_typeEPSM_NS1_7vsmem_tEENKUlT_SK_SL_SM_E_clISE_PiSF_SF_EESJ_SZ_SK_SL_SM_EUlSZ_E1_NS1_11comp_targetILNS1_3genE9ELNS1_11target_archE1100ELNS1_3gpuE3ELNS1_3repE0EEENS1_36merge_oddeven_config_static_selectorELNS0_4arch9wavefront6targetE1EEEvSL_
                                        ; -- End function
	.section	.AMDGPU.csdata,"",@progbits
; Kernel info:
; codeLenInByte = 0
; NumSgprs: 4
; NumVgprs: 0
; NumAgprs: 0
; TotalNumVgprs: 0
; ScratchSize: 0
; MemoryBound: 0
; FloatMode: 240
; IeeeMode: 1
; LDSByteSize: 0 bytes/workgroup (compile time only)
; SGPRBlocks: 0
; VGPRBlocks: 0
; NumSGPRsForWavesPerEU: 4
; NumVGPRsForWavesPerEU: 1
; AccumOffset: 4
; Occupancy: 8
; WaveLimiterHint : 0
; COMPUTE_PGM_RSRC2:SCRATCH_EN: 0
; COMPUTE_PGM_RSRC2:USER_SGPR: 6
; COMPUTE_PGM_RSRC2:TRAP_HANDLER: 0
; COMPUTE_PGM_RSRC2:TGID_X_EN: 1
; COMPUTE_PGM_RSRC2:TGID_Y_EN: 0
; COMPUTE_PGM_RSRC2:TGID_Z_EN: 0
; COMPUTE_PGM_RSRC2:TIDIG_COMP_CNT: 0
; COMPUTE_PGM_RSRC3_GFX90A:ACCUM_OFFSET: 0
; COMPUTE_PGM_RSRC3_GFX90A:TG_SPLIT: 0
	.section	.text._ZN7rocprim17ROCPRIM_400000_NS6detail17trampoline_kernelINS0_14default_configENS1_38merge_sort_block_merge_config_selectorIiNS0_10empty_typeEEEZZNS1_27merge_sort_block_merge_implIS3_N6thrust23THRUST_200600_302600_NS6detail15normal_iteratorINS9_10device_ptrIiEEEEPS5_jNS1_19radix_merge_compareILb0ELb1EiNS0_19identity_decomposerEEEEE10hipError_tT0_T1_T2_jT3_P12ihipStream_tbPNSt15iterator_traitsISK_E10value_typeEPNSQ_ISL_E10value_typeEPSM_NS1_7vsmem_tEENKUlT_SK_SL_SM_E_clISE_PiSF_SF_EESJ_SZ_SK_SL_SM_EUlSZ_E1_NS1_11comp_targetILNS1_3genE8ELNS1_11target_archE1030ELNS1_3gpuE2ELNS1_3repE0EEENS1_36merge_oddeven_config_static_selectorELNS0_4arch9wavefront6targetE1EEEvSL_,"axG",@progbits,_ZN7rocprim17ROCPRIM_400000_NS6detail17trampoline_kernelINS0_14default_configENS1_38merge_sort_block_merge_config_selectorIiNS0_10empty_typeEEEZZNS1_27merge_sort_block_merge_implIS3_N6thrust23THRUST_200600_302600_NS6detail15normal_iteratorINS9_10device_ptrIiEEEEPS5_jNS1_19radix_merge_compareILb0ELb1EiNS0_19identity_decomposerEEEEE10hipError_tT0_T1_T2_jT3_P12ihipStream_tbPNSt15iterator_traitsISK_E10value_typeEPNSQ_ISL_E10value_typeEPSM_NS1_7vsmem_tEENKUlT_SK_SL_SM_E_clISE_PiSF_SF_EESJ_SZ_SK_SL_SM_EUlSZ_E1_NS1_11comp_targetILNS1_3genE8ELNS1_11target_archE1030ELNS1_3gpuE2ELNS1_3repE0EEENS1_36merge_oddeven_config_static_selectorELNS0_4arch9wavefront6targetE1EEEvSL_,comdat
	.protected	_ZN7rocprim17ROCPRIM_400000_NS6detail17trampoline_kernelINS0_14default_configENS1_38merge_sort_block_merge_config_selectorIiNS0_10empty_typeEEEZZNS1_27merge_sort_block_merge_implIS3_N6thrust23THRUST_200600_302600_NS6detail15normal_iteratorINS9_10device_ptrIiEEEEPS5_jNS1_19radix_merge_compareILb0ELb1EiNS0_19identity_decomposerEEEEE10hipError_tT0_T1_T2_jT3_P12ihipStream_tbPNSt15iterator_traitsISK_E10value_typeEPNSQ_ISL_E10value_typeEPSM_NS1_7vsmem_tEENKUlT_SK_SL_SM_E_clISE_PiSF_SF_EESJ_SZ_SK_SL_SM_EUlSZ_E1_NS1_11comp_targetILNS1_3genE8ELNS1_11target_archE1030ELNS1_3gpuE2ELNS1_3repE0EEENS1_36merge_oddeven_config_static_selectorELNS0_4arch9wavefront6targetE1EEEvSL_ ; -- Begin function _ZN7rocprim17ROCPRIM_400000_NS6detail17trampoline_kernelINS0_14default_configENS1_38merge_sort_block_merge_config_selectorIiNS0_10empty_typeEEEZZNS1_27merge_sort_block_merge_implIS3_N6thrust23THRUST_200600_302600_NS6detail15normal_iteratorINS9_10device_ptrIiEEEEPS5_jNS1_19radix_merge_compareILb0ELb1EiNS0_19identity_decomposerEEEEE10hipError_tT0_T1_T2_jT3_P12ihipStream_tbPNSt15iterator_traitsISK_E10value_typeEPNSQ_ISL_E10value_typeEPSM_NS1_7vsmem_tEENKUlT_SK_SL_SM_E_clISE_PiSF_SF_EESJ_SZ_SK_SL_SM_EUlSZ_E1_NS1_11comp_targetILNS1_3genE8ELNS1_11target_archE1030ELNS1_3gpuE2ELNS1_3repE0EEENS1_36merge_oddeven_config_static_selectorELNS0_4arch9wavefront6targetE1EEEvSL_
	.globl	_ZN7rocprim17ROCPRIM_400000_NS6detail17trampoline_kernelINS0_14default_configENS1_38merge_sort_block_merge_config_selectorIiNS0_10empty_typeEEEZZNS1_27merge_sort_block_merge_implIS3_N6thrust23THRUST_200600_302600_NS6detail15normal_iteratorINS9_10device_ptrIiEEEEPS5_jNS1_19radix_merge_compareILb0ELb1EiNS0_19identity_decomposerEEEEE10hipError_tT0_T1_T2_jT3_P12ihipStream_tbPNSt15iterator_traitsISK_E10value_typeEPNSQ_ISL_E10value_typeEPSM_NS1_7vsmem_tEENKUlT_SK_SL_SM_E_clISE_PiSF_SF_EESJ_SZ_SK_SL_SM_EUlSZ_E1_NS1_11comp_targetILNS1_3genE8ELNS1_11target_archE1030ELNS1_3gpuE2ELNS1_3repE0EEENS1_36merge_oddeven_config_static_selectorELNS0_4arch9wavefront6targetE1EEEvSL_
	.p2align	8
	.type	_ZN7rocprim17ROCPRIM_400000_NS6detail17trampoline_kernelINS0_14default_configENS1_38merge_sort_block_merge_config_selectorIiNS0_10empty_typeEEEZZNS1_27merge_sort_block_merge_implIS3_N6thrust23THRUST_200600_302600_NS6detail15normal_iteratorINS9_10device_ptrIiEEEEPS5_jNS1_19radix_merge_compareILb0ELb1EiNS0_19identity_decomposerEEEEE10hipError_tT0_T1_T2_jT3_P12ihipStream_tbPNSt15iterator_traitsISK_E10value_typeEPNSQ_ISL_E10value_typeEPSM_NS1_7vsmem_tEENKUlT_SK_SL_SM_E_clISE_PiSF_SF_EESJ_SZ_SK_SL_SM_EUlSZ_E1_NS1_11comp_targetILNS1_3genE8ELNS1_11target_archE1030ELNS1_3gpuE2ELNS1_3repE0EEENS1_36merge_oddeven_config_static_selectorELNS0_4arch9wavefront6targetE1EEEvSL_,@function
_ZN7rocprim17ROCPRIM_400000_NS6detail17trampoline_kernelINS0_14default_configENS1_38merge_sort_block_merge_config_selectorIiNS0_10empty_typeEEEZZNS1_27merge_sort_block_merge_implIS3_N6thrust23THRUST_200600_302600_NS6detail15normal_iteratorINS9_10device_ptrIiEEEEPS5_jNS1_19radix_merge_compareILb0ELb1EiNS0_19identity_decomposerEEEEE10hipError_tT0_T1_T2_jT3_P12ihipStream_tbPNSt15iterator_traitsISK_E10value_typeEPNSQ_ISL_E10value_typeEPSM_NS1_7vsmem_tEENKUlT_SK_SL_SM_E_clISE_PiSF_SF_EESJ_SZ_SK_SL_SM_EUlSZ_E1_NS1_11comp_targetILNS1_3genE8ELNS1_11target_archE1030ELNS1_3gpuE2ELNS1_3repE0EEENS1_36merge_oddeven_config_static_selectorELNS0_4arch9wavefront6targetE1EEEvSL_: ; @_ZN7rocprim17ROCPRIM_400000_NS6detail17trampoline_kernelINS0_14default_configENS1_38merge_sort_block_merge_config_selectorIiNS0_10empty_typeEEEZZNS1_27merge_sort_block_merge_implIS3_N6thrust23THRUST_200600_302600_NS6detail15normal_iteratorINS9_10device_ptrIiEEEEPS5_jNS1_19radix_merge_compareILb0ELb1EiNS0_19identity_decomposerEEEEE10hipError_tT0_T1_T2_jT3_P12ihipStream_tbPNSt15iterator_traitsISK_E10value_typeEPNSQ_ISL_E10value_typeEPSM_NS1_7vsmem_tEENKUlT_SK_SL_SM_E_clISE_PiSF_SF_EESJ_SZ_SK_SL_SM_EUlSZ_E1_NS1_11comp_targetILNS1_3genE8ELNS1_11target_archE1030ELNS1_3gpuE2ELNS1_3repE0EEENS1_36merge_oddeven_config_static_selectorELNS0_4arch9wavefront6targetE1EEEvSL_
; %bb.0:
	.section	.rodata,"a",@progbits
	.p2align	6, 0x0
	.amdhsa_kernel _ZN7rocprim17ROCPRIM_400000_NS6detail17trampoline_kernelINS0_14default_configENS1_38merge_sort_block_merge_config_selectorIiNS0_10empty_typeEEEZZNS1_27merge_sort_block_merge_implIS3_N6thrust23THRUST_200600_302600_NS6detail15normal_iteratorINS9_10device_ptrIiEEEEPS5_jNS1_19radix_merge_compareILb0ELb1EiNS0_19identity_decomposerEEEEE10hipError_tT0_T1_T2_jT3_P12ihipStream_tbPNSt15iterator_traitsISK_E10value_typeEPNSQ_ISL_E10value_typeEPSM_NS1_7vsmem_tEENKUlT_SK_SL_SM_E_clISE_PiSF_SF_EESJ_SZ_SK_SL_SM_EUlSZ_E1_NS1_11comp_targetILNS1_3genE8ELNS1_11target_archE1030ELNS1_3gpuE2ELNS1_3repE0EEENS1_36merge_oddeven_config_static_selectorELNS0_4arch9wavefront6targetE1EEEvSL_
		.amdhsa_group_segment_fixed_size 0
		.amdhsa_private_segment_fixed_size 0
		.amdhsa_kernarg_size 48
		.amdhsa_user_sgpr_count 6
		.amdhsa_user_sgpr_private_segment_buffer 1
		.amdhsa_user_sgpr_dispatch_ptr 0
		.amdhsa_user_sgpr_queue_ptr 0
		.amdhsa_user_sgpr_kernarg_segment_ptr 1
		.amdhsa_user_sgpr_dispatch_id 0
		.amdhsa_user_sgpr_flat_scratch_init 0
		.amdhsa_user_sgpr_kernarg_preload_length 0
		.amdhsa_user_sgpr_kernarg_preload_offset 0
		.amdhsa_user_sgpr_private_segment_size 0
		.amdhsa_uses_dynamic_stack 0
		.amdhsa_system_sgpr_private_segment_wavefront_offset 0
		.amdhsa_system_sgpr_workgroup_id_x 1
		.amdhsa_system_sgpr_workgroup_id_y 0
		.amdhsa_system_sgpr_workgroup_id_z 0
		.amdhsa_system_sgpr_workgroup_info 0
		.amdhsa_system_vgpr_workitem_id 0
		.amdhsa_next_free_vgpr 1
		.amdhsa_next_free_sgpr 0
		.amdhsa_accum_offset 4
		.amdhsa_reserve_vcc 0
		.amdhsa_reserve_flat_scratch 0
		.amdhsa_float_round_mode_32 0
		.amdhsa_float_round_mode_16_64 0
		.amdhsa_float_denorm_mode_32 3
		.amdhsa_float_denorm_mode_16_64 3
		.amdhsa_dx10_clamp 1
		.amdhsa_ieee_mode 1
		.amdhsa_fp16_overflow 0
		.amdhsa_tg_split 0
		.amdhsa_exception_fp_ieee_invalid_op 0
		.amdhsa_exception_fp_denorm_src 0
		.amdhsa_exception_fp_ieee_div_zero 0
		.amdhsa_exception_fp_ieee_overflow 0
		.amdhsa_exception_fp_ieee_underflow 0
		.amdhsa_exception_fp_ieee_inexact 0
		.amdhsa_exception_int_div_zero 0
	.end_amdhsa_kernel
	.section	.text._ZN7rocprim17ROCPRIM_400000_NS6detail17trampoline_kernelINS0_14default_configENS1_38merge_sort_block_merge_config_selectorIiNS0_10empty_typeEEEZZNS1_27merge_sort_block_merge_implIS3_N6thrust23THRUST_200600_302600_NS6detail15normal_iteratorINS9_10device_ptrIiEEEEPS5_jNS1_19radix_merge_compareILb0ELb1EiNS0_19identity_decomposerEEEEE10hipError_tT0_T1_T2_jT3_P12ihipStream_tbPNSt15iterator_traitsISK_E10value_typeEPNSQ_ISL_E10value_typeEPSM_NS1_7vsmem_tEENKUlT_SK_SL_SM_E_clISE_PiSF_SF_EESJ_SZ_SK_SL_SM_EUlSZ_E1_NS1_11comp_targetILNS1_3genE8ELNS1_11target_archE1030ELNS1_3gpuE2ELNS1_3repE0EEENS1_36merge_oddeven_config_static_selectorELNS0_4arch9wavefront6targetE1EEEvSL_,"axG",@progbits,_ZN7rocprim17ROCPRIM_400000_NS6detail17trampoline_kernelINS0_14default_configENS1_38merge_sort_block_merge_config_selectorIiNS0_10empty_typeEEEZZNS1_27merge_sort_block_merge_implIS3_N6thrust23THRUST_200600_302600_NS6detail15normal_iteratorINS9_10device_ptrIiEEEEPS5_jNS1_19radix_merge_compareILb0ELb1EiNS0_19identity_decomposerEEEEE10hipError_tT0_T1_T2_jT3_P12ihipStream_tbPNSt15iterator_traitsISK_E10value_typeEPNSQ_ISL_E10value_typeEPSM_NS1_7vsmem_tEENKUlT_SK_SL_SM_E_clISE_PiSF_SF_EESJ_SZ_SK_SL_SM_EUlSZ_E1_NS1_11comp_targetILNS1_3genE8ELNS1_11target_archE1030ELNS1_3gpuE2ELNS1_3repE0EEENS1_36merge_oddeven_config_static_selectorELNS0_4arch9wavefront6targetE1EEEvSL_,comdat
.Lfunc_end1718:
	.size	_ZN7rocprim17ROCPRIM_400000_NS6detail17trampoline_kernelINS0_14default_configENS1_38merge_sort_block_merge_config_selectorIiNS0_10empty_typeEEEZZNS1_27merge_sort_block_merge_implIS3_N6thrust23THRUST_200600_302600_NS6detail15normal_iteratorINS9_10device_ptrIiEEEEPS5_jNS1_19radix_merge_compareILb0ELb1EiNS0_19identity_decomposerEEEEE10hipError_tT0_T1_T2_jT3_P12ihipStream_tbPNSt15iterator_traitsISK_E10value_typeEPNSQ_ISL_E10value_typeEPSM_NS1_7vsmem_tEENKUlT_SK_SL_SM_E_clISE_PiSF_SF_EESJ_SZ_SK_SL_SM_EUlSZ_E1_NS1_11comp_targetILNS1_3genE8ELNS1_11target_archE1030ELNS1_3gpuE2ELNS1_3repE0EEENS1_36merge_oddeven_config_static_selectorELNS0_4arch9wavefront6targetE1EEEvSL_, .Lfunc_end1718-_ZN7rocprim17ROCPRIM_400000_NS6detail17trampoline_kernelINS0_14default_configENS1_38merge_sort_block_merge_config_selectorIiNS0_10empty_typeEEEZZNS1_27merge_sort_block_merge_implIS3_N6thrust23THRUST_200600_302600_NS6detail15normal_iteratorINS9_10device_ptrIiEEEEPS5_jNS1_19radix_merge_compareILb0ELb1EiNS0_19identity_decomposerEEEEE10hipError_tT0_T1_T2_jT3_P12ihipStream_tbPNSt15iterator_traitsISK_E10value_typeEPNSQ_ISL_E10value_typeEPSM_NS1_7vsmem_tEENKUlT_SK_SL_SM_E_clISE_PiSF_SF_EESJ_SZ_SK_SL_SM_EUlSZ_E1_NS1_11comp_targetILNS1_3genE8ELNS1_11target_archE1030ELNS1_3gpuE2ELNS1_3repE0EEENS1_36merge_oddeven_config_static_selectorELNS0_4arch9wavefront6targetE1EEEvSL_
                                        ; -- End function
	.section	.AMDGPU.csdata,"",@progbits
; Kernel info:
; codeLenInByte = 0
; NumSgprs: 4
; NumVgprs: 0
; NumAgprs: 0
; TotalNumVgprs: 0
; ScratchSize: 0
; MemoryBound: 0
; FloatMode: 240
; IeeeMode: 1
; LDSByteSize: 0 bytes/workgroup (compile time only)
; SGPRBlocks: 0
; VGPRBlocks: 0
; NumSGPRsForWavesPerEU: 4
; NumVGPRsForWavesPerEU: 1
; AccumOffset: 4
; Occupancy: 8
; WaveLimiterHint : 0
; COMPUTE_PGM_RSRC2:SCRATCH_EN: 0
; COMPUTE_PGM_RSRC2:USER_SGPR: 6
; COMPUTE_PGM_RSRC2:TRAP_HANDLER: 0
; COMPUTE_PGM_RSRC2:TGID_X_EN: 1
; COMPUTE_PGM_RSRC2:TGID_Y_EN: 0
; COMPUTE_PGM_RSRC2:TGID_Z_EN: 0
; COMPUTE_PGM_RSRC2:TIDIG_COMP_CNT: 0
; COMPUTE_PGM_RSRC3_GFX90A:ACCUM_OFFSET: 0
; COMPUTE_PGM_RSRC3_GFX90A:TG_SPLIT: 0
	.section	.text._ZN7rocprim17ROCPRIM_400000_NS6detail17trampoline_kernelINS0_14default_configENS1_35radix_sort_onesweep_config_selectorIiNS0_10empty_typeEEEZNS1_34radix_sort_onesweep_global_offsetsIS3_Lb0EN6thrust23THRUST_200600_302600_NS6detail15normal_iteratorINS9_10device_ptrIiEEEEPS5_jNS0_19identity_decomposerEEE10hipError_tT1_T2_PT3_SK_jT4_jjP12ihipStream_tbEUlT_E_NS1_11comp_targetILNS1_3genE0ELNS1_11target_archE4294967295ELNS1_3gpuE0ELNS1_3repE0EEENS1_52radix_sort_onesweep_histogram_config_static_selectorELNS0_4arch9wavefront6targetE1EEEvSI_,"axG",@progbits,_ZN7rocprim17ROCPRIM_400000_NS6detail17trampoline_kernelINS0_14default_configENS1_35radix_sort_onesweep_config_selectorIiNS0_10empty_typeEEEZNS1_34radix_sort_onesweep_global_offsetsIS3_Lb0EN6thrust23THRUST_200600_302600_NS6detail15normal_iteratorINS9_10device_ptrIiEEEEPS5_jNS0_19identity_decomposerEEE10hipError_tT1_T2_PT3_SK_jT4_jjP12ihipStream_tbEUlT_E_NS1_11comp_targetILNS1_3genE0ELNS1_11target_archE4294967295ELNS1_3gpuE0ELNS1_3repE0EEENS1_52radix_sort_onesweep_histogram_config_static_selectorELNS0_4arch9wavefront6targetE1EEEvSI_,comdat
	.protected	_ZN7rocprim17ROCPRIM_400000_NS6detail17trampoline_kernelINS0_14default_configENS1_35radix_sort_onesweep_config_selectorIiNS0_10empty_typeEEEZNS1_34radix_sort_onesweep_global_offsetsIS3_Lb0EN6thrust23THRUST_200600_302600_NS6detail15normal_iteratorINS9_10device_ptrIiEEEEPS5_jNS0_19identity_decomposerEEE10hipError_tT1_T2_PT3_SK_jT4_jjP12ihipStream_tbEUlT_E_NS1_11comp_targetILNS1_3genE0ELNS1_11target_archE4294967295ELNS1_3gpuE0ELNS1_3repE0EEENS1_52radix_sort_onesweep_histogram_config_static_selectorELNS0_4arch9wavefront6targetE1EEEvSI_ ; -- Begin function _ZN7rocprim17ROCPRIM_400000_NS6detail17trampoline_kernelINS0_14default_configENS1_35radix_sort_onesweep_config_selectorIiNS0_10empty_typeEEEZNS1_34radix_sort_onesweep_global_offsetsIS3_Lb0EN6thrust23THRUST_200600_302600_NS6detail15normal_iteratorINS9_10device_ptrIiEEEEPS5_jNS0_19identity_decomposerEEE10hipError_tT1_T2_PT3_SK_jT4_jjP12ihipStream_tbEUlT_E_NS1_11comp_targetILNS1_3genE0ELNS1_11target_archE4294967295ELNS1_3gpuE0ELNS1_3repE0EEENS1_52radix_sort_onesweep_histogram_config_static_selectorELNS0_4arch9wavefront6targetE1EEEvSI_
	.globl	_ZN7rocprim17ROCPRIM_400000_NS6detail17trampoline_kernelINS0_14default_configENS1_35radix_sort_onesweep_config_selectorIiNS0_10empty_typeEEEZNS1_34radix_sort_onesweep_global_offsetsIS3_Lb0EN6thrust23THRUST_200600_302600_NS6detail15normal_iteratorINS9_10device_ptrIiEEEEPS5_jNS0_19identity_decomposerEEE10hipError_tT1_T2_PT3_SK_jT4_jjP12ihipStream_tbEUlT_E_NS1_11comp_targetILNS1_3genE0ELNS1_11target_archE4294967295ELNS1_3gpuE0ELNS1_3repE0EEENS1_52radix_sort_onesweep_histogram_config_static_selectorELNS0_4arch9wavefront6targetE1EEEvSI_
	.p2align	8
	.type	_ZN7rocprim17ROCPRIM_400000_NS6detail17trampoline_kernelINS0_14default_configENS1_35radix_sort_onesweep_config_selectorIiNS0_10empty_typeEEEZNS1_34radix_sort_onesweep_global_offsetsIS3_Lb0EN6thrust23THRUST_200600_302600_NS6detail15normal_iteratorINS9_10device_ptrIiEEEEPS5_jNS0_19identity_decomposerEEE10hipError_tT1_T2_PT3_SK_jT4_jjP12ihipStream_tbEUlT_E_NS1_11comp_targetILNS1_3genE0ELNS1_11target_archE4294967295ELNS1_3gpuE0ELNS1_3repE0EEENS1_52radix_sort_onesweep_histogram_config_static_selectorELNS0_4arch9wavefront6targetE1EEEvSI_,@function
_ZN7rocprim17ROCPRIM_400000_NS6detail17trampoline_kernelINS0_14default_configENS1_35radix_sort_onesweep_config_selectorIiNS0_10empty_typeEEEZNS1_34radix_sort_onesweep_global_offsetsIS3_Lb0EN6thrust23THRUST_200600_302600_NS6detail15normal_iteratorINS9_10device_ptrIiEEEEPS5_jNS0_19identity_decomposerEEE10hipError_tT1_T2_PT3_SK_jT4_jjP12ihipStream_tbEUlT_E_NS1_11comp_targetILNS1_3genE0ELNS1_11target_archE4294967295ELNS1_3gpuE0ELNS1_3repE0EEENS1_52radix_sort_onesweep_histogram_config_static_selectorELNS0_4arch9wavefront6targetE1EEEvSI_: ; @_ZN7rocprim17ROCPRIM_400000_NS6detail17trampoline_kernelINS0_14default_configENS1_35radix_sort_onesweep_config_selectorIiNS0_10empty_typeEEEZNS1_34radix_sort_onesweep_global_offsetsIS3_Lb0EN6thrust23THRUST_200600_302600_NS6detail15normal_iteratorINS9_10device_ptrIiEEEEPS5_jNS0_19identity_decomposerEEE10hipError_tT1_T2_PT3_SK_jT4_jjP12ihipStream_tbEUlT_E_NS1_11comp_targetILNS1_3genE0ELNS1_11target_archE4294967295ELNS1_3gpuE0ELNS1_3repE0EEENS1_52radix_sort_onesweep_histogram_config_static_selectorELNS0_4arch9wavefront6targetE1EEEvSI_
; %bb.0:
	.section	.rodata,"a",@progbits
	.p2align	6, 0x0
	.amdhsa_kernel _ZN7rocprim17ROCPRIM_400000_NS6detail17trampoline_kernelINS0_14default_configENS1_35radix_sort_onesweep_config_selectorIiNS0_10empty_typeEEEZNS1_34radix_sort_onesweep_global_offsetsIS3_Lb0EN6thrust23THRUST_200600_302600_NS6detail15normal_iteratorINS9_10device_ptrIiEEEEPS5_jNS0_19identity_decomposerEEE10hipError_tT1_T2_PT3_SK_jT4_jjP12ihipStream_tbEUlT_E_NS1_11comp_targetILNS1_3genE0ELNS1_11target_archE4294967295ELNS1_3gpuE0ELNS1_3repE0EEENS1_52radix_sort_onesweep_histogram_config_static_selectorELNS0_4arch9wavefront6targetE1EEEvSI_
		.amdhsa_group_segment_fixed_size 0
		.amdhsa_private_segment_fixed_size 0
		.amdhsa_kernarg_size 40
		.amdhsa_user_sgpr_count 6
		.amdhsa_user_sgpr_private_segment_buffer 1
		.amdhsa_user_sgpr_dispatch_ptr 0
		.amdhsa_user_sgpr_queue_ptr 0
		.amdhsa_user_sgpr_kernarg_segment_ptr 1
		.amdhsa_user_sgpr_dispatch_id 0
		.amdhsa_user_sgpr_flat_scratch_init 0
		.amdhsa_user_sgpr_kernarg_preload_length 0
		.amdhsa_user_sgpr_kernarg_preload_offset 0
		.amdhsa_user_sgpr_private_segment_size 0
		.amdhsa_uses_dynamic_stack 0
		.amdhsa_system_sgpr_private_segment_wavefront_offset 0
		.amdhsa_system_sgpr_workgroup_id_x 1
		.amdhsa_system_sgpr_workgroup_id_y 0
		.amdhsa_system_sgpr_workgroup_id_z 0
		.amdhsa_system_sgpr_workgroup_info 0
		.amdhsa_system_vgpr_workitem_id 0
		.amdhsa_next_free_vgpr 1
		.amdhsa_next_free_sgpr 0
		.amdhsa_accum_offset 4
		.amdhsa_reserve_vcc 0
		.amdhsa_reserve_flat_scratch 0
		.amdhsa_float_round_mode_32 0
		.amdhsa_float_round_mode_16_64 0
		.amdhsa_float_denorm_mode_32 3
		.amdhsa_float_denorm_mode_16_64 3
		.amdhsa_dx10_clamp 1
		.amdhsa_ieee_mode 1
		.amdhsa_fp16_overflow 0
		.amdhsa_tg_split 0
		.amdhsa_exception_fp_ieee_invalid_op 0
		.amdhsa_exception_fp_denorm_src 0
		.amdhsa_exception_fp_ieee_div_zero 0
		.amdhsa_exception_fp_ieee_overflow 0
		.amdhsa_exception_fp_ieee_underflow 0
		.amdhsa_exception_fp_ieee_inexact 0
		.amdhsa_exception_int_div_zero 0
	.end_amdhsa_kernel
	.section	.text._ZN7rocprim17ROCPRIM_400000_NS6detail17trampoline_kernelINS0_14default_configENS1_35radix_sort_onesweep_config_selectorIiNS0_10empty_typeEEEZNS1_34radix_sort_onesweep_global_offsetsIS3_Lb0EN6thrust23THRUST_200600_302600_NS6detail15normal_iteratorINS9_10device_ptrIiEEEEPS5_jNS0_19identity_decomposerEEE10hipError_tT1_T2_PT3_SK_jT4_jjP12ihipStream_tbEUlT_E_NS1_11comp_targetILNS1_3genE0ELNS1_11target_archE4294967295ELNS1_3gpuE0ELNS1_3repE0EEENS1_52radix_sort_onesweep_histogram_config_static_selectorELNS0_4arch9wavefront6targetE1EEEvSI_,"axG",@progbits,_ZN7rocprim17ROCPRIM_400000_NS6detail17trampoline_kernelINS0_14default_configENS1_35radix_sort_onesweep_config_selectorIiNS0_10empty_typeEEEZNS1_34radix_sort_onesweep_global_offsetsIS3_Lb0EN6thrust23THRUST_200600_302600_NS6detail15normal_iteratorINS9_10device_ptrIiEEEEPS5_jNS0_19identity_decomposerEEE10hipError_tT1_T2_PT3_SK_jT4_jjP12ihipStream_tbEUlT_E_NS1_11comp_targetILNS1_3genE0ELNS1_11target_archE4294967295ELNS1_3gpuE0ELNS1_3repE0EEENS1_52radix_sort_onesweep_histogram_config_static_selectorELNS0_4arch9wavefront6targetE1EEEvSI_,comdat
.Lfunc_end1719:
	.size	_ZN7rocprim17ROCPRIM_400000_NS6detail17trampoline_kernelINS0_14default_configENS1_35radix_sort_onesweep_config_selectorIiNS0_10empty_typeEEEZNS1_34radix_sort_onesweep_global_offsetsIS3_Lb0EN6thrust23THRUST_200600_302600_NS6detail15normal_iteratorINS9_10device_ptrIiEEEEPS5_jNS0_19identity_decomposerEEE10hipError_tT1_T2_PT3_SK_jT4_jjP12ihipStream_tbEUlT_E_NS1_11comp_targetILNS1_3genE0ELNS1_11target_archE4294967295ELNS1_3gpuE0ELNS1_3repE0EEENS1_52radix_sort_onesweep_histogram_config_static_selectorELNS0_4arch9wavefront6targetE1EEEvSI_, .Lfunc_end1719-_ZN7rocprim17ROCPRIM_400000_NS6detail17trampoline_kernelINS0_14default_configENS1_35radix_sort_onesweep_config_selectorIiNS0_10empty_typeEEEZNS1_34radix_sort_onesweep_global_offsetsIS3_Lb0EN6thrust23THRUST_200600_302600_NS6detail15normal_iteratorINS9_10device_ptrIiEEEEPS5_jNS0_19identity_decomposerEEE10hipError_tT1_T2_PT3_SK_jT4_jjP12ihipStream_tbEUlT_E_NS1_11comp_targetILNS1_3genE0ELNS1_11target_archE4294967295ELNS1_3gpuE0ELNS1_3repE0EEENS1_52radix_sort_onesweep_histogram_config_static_selectorELNS0_4arch9wavefront6targetE1EEEvSI_
                                        ; -- End function
	.section	.AMDGPU.csdata,"",@progbits
; Kernel info:
; codeLenInByte = 0
; NumSgprs: 4
; NumVgprs: 0
; NumAgprs: 0
; TotalNumVgprs: 0
; ScratchSize: 0
; MemoryBound: 0
; FloatMode: 240
; IeeeMode: 1
; LDSByteSize: 0 bytes/workgroup (compile time only)
; SGPRBlocks: 0
; VGPRBlocks: 0
; NumSGPRsForWavesPerEU: 4
; NumVGPRsForWavesPerEU: 1
; AccumOffset: 4
; Occupancy: 8
; WaveLimiterHint : 0
; COMPUTE_PGM_RSRC2:SCRATCH_EN: 0
; COMPUTE_PGM_RSRC2:USER_SGPR: 6
; COMPUTE_PGM_RSRC2:TRAP_HANDLER: 0
; COMPUTE_PGM_RSRC2:TGID_X_EN: 1
; COMPUTE_PGM_RSRC2:TGID_Y_EN: 0
; COMPUTE_PGM_RSRC2:TGID_Z_EN: 0
; COMPUTE_PGM_RSRC2:TIDIG_COMP_CNT: 0
; COMPUTE_PGM_RSRC3_GFX90A:ACCUM_OFFSET: 0
; COMPUTE_PGM_RSRC3_GFX90A:TG_SPLIT: 0
	.section	.text._ZN7rocprim17ROCPRIM_400000_NS6detail17trampoline_kernelINS0_14default_configENS1_35radix_sort_onesweep_config_selectorIiNS0_10empty_typeEEEZNS1_34radix_sort_onesweep_global_offsetsIS3_Lb0EN6thrust23THRUST_200600_302600_NS6detail15normal_iteratorINS9_10device_ptrIiEEEEPS5_jNS0_19identity_decomposerEEE10hipError_tT1_T2_PT3_SK_jT4_jjP12ihipStream_tbEUlT_E_NS1_11comp_targetILNS1_3genE6ELNS1_11target_archE950ELNS1_3gpuE13ELNS1_3repE0EEENS1_52radix_sort_onesweep_histogram_config_static_selectorELNS0_4arch9wavefront6targetE1EEEvSI_,"axG",@progbits,_ZN7rocprim17ROCPRIM_400000_NS6detail17trampoline_kernelINS0_14default_configENS1_35radix_sort_onesweep_config_selectorIiNS0_10empty_typeEEEZNS1_34radix_sort_onesweep_global_offsetsIS3_Lb0EN6thrust23THRUST_200600_302600_NS6detail15normal_iteratorINS9_10device_ptrIiEEEEPS5_jNS0_19identity_decomposerEEE10hipError_tT1_T2_PT3_SK_jT4_jjP12ihipStream_tbEUlT_E_NS1_11comp_targetILNS1_3genE6ELNS1_11target_archE950ELNS1_3gpuE13ELNS1_3repE0EEENS1_52radix_sort_onesweep_histogram_config_static_selectorELNS0_4arch9wavefront6targetE1EEEvSI_,comdat
	.protected	_ZN7rocprim17ROCPRIM_400000_NS6detail17trampoline_kernelINS0_14default_configENS1_35radix_sort_onesweep_config_selectorIiNS0_10empty_typeEEEZNS1_34radix_sort_onesweep_global_offsetsIS3_Lb0EN6thrust23THRUST_200600_302600_NS6detail15normal_iteratorINS9_10device_ptrIiEEEEPS5_jNS0_19identity_decomposerEEE10hipError_tT1_T2_PT3_SK_jT4_jjP12ihipStream_tbEUlT_E_NS1_11comp_targetILNS1_3genE6ELNS1_11target_archE950ELNS1_3gpuE13ELNS1_3repE0EEENS1_52radix_sort_onesweep_histogram_config_static_selectorELNS0_4arch9wavefront6targetE1EEEvSI_ ; -- Begin function _ZN7rocprim17ROCPRIM_400000_NS6detail17trampoline_kernelINS0_14default_configENS1_35radix_sort_onesweep_config_selectorIiNS0_10empty_typeEEEZNS1_34radix_sort_onesweep_global_offsetsIS3_Lb0EN6thrust23THRUST_200600_302600_NS6detail15normal_iteratorINS9_10device_ptrIiEEEEPS5_jNS0_19identity_decomposerEEE10hipError_tT1_T2_PT3_SK_jT4_jjP12ihipStream_tbEUlT_E_NS1_11comp_targetILNS1_3genE6ELNS1_11target_archE950ELNS1_3gpuE13ELNS1_3repE0EEENS1_52radix_sort_onesweep_histogram_config_static_selectorELNS0_4arch9wavefront6targetE1EEEvSI_
	.globl	_ZN7rocprim17ROCPRIM_400000_NS6detail17trampoline_kernelINS0_14default_configENS1_35radix_sort_onesweep_config_selectorIiNS0_10empty_typeEEEZNS1_34radix_sort_onesweep_global_offsetsIS3_Lb0EN6thrust23THRUST_200600_302600_NS6detail15normal_iteratorINS9_10device_ptrIiEEEEPS5_jNS0_19identity_decomposerEEE10hipError_tT1_T2_PT3_SK_jT4_jjP12ihipStream_tbEUlT_E_NS1_11comp_targetILNS1_3genE6ELNS1_11target_archE950ELNS1_3gpuE13ELNS1_3repE0EEENS1_52radix_sort_onesweep_histogram_config_static_selectorELNS0_4arch9wavefront6targetE1EEEvSI_
	.p2align	8
	.type	_ZN7rocprim17ROCPRIM_400000_NS6detail17trampoline_kernelINS0_14default_configENS1_35radix_sort_onesweep_config_selectorIiNS0_10empty_typeEEEZNS1_34radix_sort_onesweep_global_offsetsIS3_Lb0EN6thrust23THRUST_200600_302600_NS6detail15normal_iteratorINS9_10device_ptrIiEEEEPS5_jNS0_19identity_decomposerEEE10hipError_tT1_T2_PT3_SK_jT4_jjP12ihipStream_tbEUlT_E_NS1_11comp_targetILNS1_3genE6ELNS1_11target_archE950ELNS1_3gpuE13ELNS1_3repE0EEENS1_52radix_sort_onesweep_histogram_config_static_selectorELNS0_4arch9wavefront6targetE1EEEvSI_,@function
_ZN7rocprim17ROCPRIM_400000_NS6detail17trampoline_kernelINS0_14default_configENS1_35radix_sort_onesweep_config_selectorIiNS0_10empty_typeEEEZNS1_34radix_sort_onesweep_global_offsetsIS3_Lb0EN6thrust23THRUST_200600_302600_NS6detail15normal_iteratorINS9_10device_ptrIiEEEEPS5_jNS0_19identity_decomposerEEE10hipError_tT1_T2_PT3_SK_jT4_jjP12ihipStream_tbEUlT_E_NS1_11comp_targetILNS1_3genE6ELNS1_11target_archE950ELNS1_3gpuE13ELNS1_3repE0EEENS1_52radix_sort_onesweep_histogram_config_static_selectorELNS0_4arch9wavefront6targetE1EEEvSI_: ; @_ZN7rocprim17ROCPRIM_400000_NS6detail17trampoline_kernelINS0_14default_configENS1_35radix_sort_onesweep_config_selectorIiNS0_10empty_typeEEEZNS1_34radix_sort_onesweep_global_offsetsIS3_Lb0EN6thrust23THRUST_200600_302600_NS6detail15normal_iteratorINS9_10device_ptrIiEEEEPS5_jNS0_19identity_decomposerEEE10hipError_tT1_T2_PT3_SK_jT4_jjP12ihipStream_tbEUlT_E_NS1_11comp_targetILNS1_3genE6ELNS1_11target_archE950ELNS1_3gpuE13ELNS1_3repE0EEENS1_52radix_sort_onesweep_histogram_config_static_selectorELNS0_4arch9wavefront6targetE1EEEvSI_
; %bb.0:
	.section	.rodata,"a",@progbits
	.p2align	6, 0x0
	.amdhsa_kernel _ZN7rocprim17ROCPRIM_400000_NS6detail17trampoline_kernelINS0_14default_configENS1_35radix_sort_onesweep_config_selectorIiNS0_10empty_typeEEEZNS1_34radix_sort_onesweep_global_offsetsIS3_Lb0EN6thrust23THRUST_200600_302600_NS6detail15normal_iteratorINS9_10device_ptrIiEEEEPS5_jNS0_19identity_decomposerEEE10hipError_tT1_T2_PT3_SK_jT4_jjP12ihipStream_tbEUlT_E_NS1_11comp_targetILNS1_3genE6ELNS1_11target_archE950ELNS1_3gpuE13ELNS1_3repE0EEENS1_52radix_sort_onesweep_histogram_config_static_selectorELNS0_4arch9wavefront6targetE1EEEvSI_
		.amdhsa_group_segment_fixed_size 0
		.amdhsa_private_segment_fixed_size 0
		.amdhsa_kernarg_size 40
		.amdhsa_user_sgpr_count 6
		.amdhsa_user_sgpr_private_segment_buffer 1
		.amdhsa_user_sgpr_dispatch_ptr 0
		.amdhsa_user_sgpr_queue_ptr 0
		.amdhsa_user_sgpr_kernarg_segment_ptr 1
		.amdhsa_user_sgpr_dispatch_id 0
		.amdhsa_user_sgpr_flat_scratch_init 0
		.amdhsa_user_sgpr_kernarg_preload_length 0
		.amdhsa_user_sgpr_kernarg_preload_offset 0
		.amdhsa_user_sgpr_private_segment_size 0
		.amdhsa_uses_dynamic_stack 0
		.amdhsa_system_sgpr_private_segment_wavefront_offset 0
		.amdhsa_system_sgpr_workgroup_id_x 1
		.amdhsa_system_sgpr_workgroup_id_y 0
		.amdhsa_system_sgpr_workgroup_id_z 0
		.amdhsa_system_sgpr_workgroup_info 0
		.amdhsa_system_vgpr_workitem_id 0
		.amdhsa_next_free_vgpr 1
		.amdhsa_next_free_sgpr 0
		.amdhsa_accum_offset 4
		.amdhsa_reserve_vcc 0
		.amdhsa_reserve_flat_scratch 0
		.amdhsa_float_round_mode_32 0
		.amdhsa_float_round_mode_16_64 0
		.amdhsa_float_denorm_mode_32 3
		.amdhsa_float_denorm_mode_16_64 3
		.amdhsa_dx10_clamp 1
		.amdhsa_ieee_mode 1
		.amdhsa_fp16_overflow 0
		.amdhsa_tg_split 0
		.amdhsa_exception_fp_ieee_invalid_op 0
		.amdhsa_exception_fp_denorm_src 0
		.amdhsa_exception_fp_ieee_div_zero 0
		.amdhsa_exception_fp_ieee_overflow 0
		.amdhsa_exception_fp_ieee_underflow 0
		.amdhsa_exception_fp_ieee_inexact 0
		.amdhsa_exception_int_div_zero 0
	.end_amdhsa_kernel
	.section	.text._ZN7rocprim17ROCPRIM_400000_NS6detail17trampoline_kernelINS0_14default_configENS1_35radix_sort_onesweep_config_selectorIiNS0_10empty_typeEEEZNS1_34radix_sort_onesweep_global_offsetsIS3_Lb0EN6thrust23THRUST_200600_302600_NS6detail15normal_iteratorINS9_10device_ptrIiEEEEPS5_jNS0_19identity_decomposerEEE10hipError_tT1_T2_PT3_SK_jT4_jjP12ihipStream_tbEUlT_E_NS1_11comp_targetILNS1_3genE6ELNS1_11target_archE950ELNS1_3gpuE13ELNS1_3repE0EEENS1_52radix_sort_onesweep_histogram_config_static_selectorELNS0_4arch9wavefront6targetE1EEEvSI_,"axG",@progbits,_ZN7rocprim17ROCPRIM_400000_NS6detail17trampoline_kernelINS0_14default_configENS1_35radix_sort_onesweep_config_selectorIiNS0_10empty_typeEEEZNS1_34radix_sort_onesweep_global_offsetsIS3_Lb0EN6thrust23THRUST_200600_302600_NS6detail15normal_iteratorINS9_10device_ptrIiEEEEPS5_jNS0_19identity_decomposerEEE10hipError_tT1_T2_PT3_SK_jT4_jjP12ihipStream_tbEUlT_E_NS1_11comp_targetILNS1_3genE6ELNS1_11target_archE950ELNS1_3gpuE13ELNS1_3repE0EEENS1_52radix_sort_onesweep_histogram_config_static_selectorELNS0_4arch9wavefront6targetE1EEEvSI_,comdat
.Lfunc_end1720:
	.size	_ZN7rocprim17ROCPRIM_400000_NS6detail17trampoline_kernelINS0_14default_configENS1_35radix_sort_onesweep_config_selectorIiNS0_10empty_typeEEEZNS1_34radix_sort_onesweep_global_offsetsIS3_Lb0EN6thrust23THRUST_200600_302600_NS6detail15normal_iteratorINS9_10device_ptrIiEEEEPS5_jNS0_19identity_decomposerEEE10hipError_tT1_T2_PT3_SK_jT4_jjP12ihipStream_tbEUlT_E_NS1_11comp_targetILNS1_3genE6ELNS1_11target_archE950ELNS1_3gpuE13ELNS1_3repE0EEENS1_52radix_sort_onesweep_histogram_config_static_selectorELNS0_4arch9wavefront6targetE1EEEvSI_, .Lfunc_end1720-_ZN7rocprim17ROCPRIM_400000_NS6detail17trampoline_kernelINS0_14default_configENS1_35radix_sort_onesweep_config_selectorIiNS0_10empty_typeEEEZNS1_34radix_sort_onesweep_global_offsetsIS3_Lb0EN6thrust23THRUST_200600_302600_NS6detail15normal_iteratorINS9_10device_ptrIiEEEEPS5_jNS0_19identity_decomposerEEE10hipError_tT1_T2_PT3_SK_jT4_jjP12ihipStream_tbEUlT_E_NS1_11comp_targetILNS1_3genE6ELNS1_11target_archE950ELNS1_3gpuE13ELNS1_3repE0EEENS1_52radix_sort_onesweep_histogram_config_static_selectorELNS0_4arch9wavefront6targetE1EEEvSI_
                                        ; -- End function
	.section	.AMDGPU.csdata,"",@progbits
; Kernel info:
; codeLenInByte = 0
; NumSgprs: 4
; NumVgprs: 0
; NumAgprs: 0
; TotalNumVgprs: 0
; ScratchSize: 0
; MemoryBound: 0
; FloatMode: 240
; IeeeMode: 1
; LDSByteSize: 0 bytes/workgroup (compile time only)
; SGPRBlocks: 0
; VGPRBlocks: 0
; NumSGPRsForWavesPerEU: 4
; NumVGPRsForWavesPerEU: 1
; AccumOffset: 4
; Occupancy: 8
; WaveLimiterHint : 0
; COMPUTE_PGM_RSRC2:SCRATCH_EN: 0
; COMPUTE_PGM_RSRC2:USER_SGPR: 6
; COMPUTE_PGM_RSRC2:TRAP_HANDLER: 0
; COMPUTE_PGM_RSRC2:TGID_X_EN: 1
; COMPUTE_PGM_RSRC2:TGID_Y_EN: 0
; COMPUTE_PGM_RSRC2:TGID_Z_EN: 0
; COMPUTE_PGM_RSRC2:TIDIG_COMP_CNT: 0
; COMPUTE_PGM_RSRC3_GFX90A:ACCUM_OFFSET: 0
; COMPUTE_PGM_RSRC3_GFX90A:TG_SPLIT: 0
	.section	.text._ZN7rocprim17ROCPRIM_400000_NS6detail17trampoline_kernelINS0_14default_configENS1_35radix_sort_onesweep_config_selectorIiNS0_10empty_typeEEEZNS1_34radix_sort_onesweep_global_offsetsIS3_Lb0EN6thrust23THRUST_200600_302600_NS6detail15normal_iteratorINS9_10device_ptrIiEEEEPS5_jNS0_19identity_decomposerEEE10hipError_tT1_T2_PT3_SK_jT4_jjP12ihipStream_tbEUlT_E_NS1_11comp_targetILNS1_3genE5ELNS1_11target_archE942ELNS1_3gpuE9ELNS1_3repE0EEENS1_52radix_sort_onesweep_histogram_config_static_selectorELNS0_4arch9wavefront6targetE1EEEvSI_,"axG",@progbits,_ZN7rocprim17ROCPRIM_400000_NS6detail17trampoline_kernelINS0_14default_configENS1_35radix_sort_onesweep_config_selectorIiNS0_10empty_typeEEEZNS1_34radix_sort_onesweep_global_offsetsIS3_Lb0EN6thrust23THRUST_200600_302600_NS6detail15normal_iteratorINS9_10device_ptrIiEEEEPS5_jNS0_19identity_decomposerEEE10hipError_tT1_T2_PT3_SK_jT4_jjP12ihipStream_tbEUlT_E_NS1_11comp_targetILNS1_3genE5ELNS1_11target_archE942ELNS1_3gpuE9ELNS1_3repE0EEENS1_52radix_sort_onesweep_histogram_config_static_selectorELNS0_4arch9wavefront6targetE1EEEvSI_,comdat
	.protected	_ZN7rocprim17ROCPRIM_400000_NS6detail17trampoline_kernelINS0_14default_configENS1_35radix_sort_onesweep_config_selectorIiNS0_10empty_typeEEEZNS1_34radix_sort_onesweep_global_offsetsIS3_Lb0EN6thrust23THRUST_200600_302600_NS6detail15normal_iteratorINS9_10device_ptrIiEEEEPS5_jNS0_19identity_decomposerEEE10hipError_tT1_T2_PT3_SK_jT4_jjP12ihipStream_tbEUlT_E_NS1_11comp_targetILNS1_3genE5ELNS1_11target_archE942ELNS1_3gpuE9ELNS1_3repE0EEENS1_52radix_sort_onesweep_histogram_config_static_selectorELNS0_4arch9wavefront6targetE1EEEvSI_ ; -- Begin function _ZN7rocprim17ROCPRIM_400000_NS6detail17trampoline_kernelINS0_14default_configENS1_35radix_sort_onesweep_config_selectorIiNS0_10empty_typeEEEZNS1_34radix_sort_onesweep_global_offsetsIS3_Lb0EN6thrust23THRUST_200600_302600_NS6detail15normal_iteratorINS9_10device_ptrIiEEEEPS5_jNS0_19identity_decomposerEEE10hipError_tT1_T2_PT3_SK_jT4_jjP12ihipStream_tbEUlT_E_NS1_11comp_targetILNS1_3genE5ELNS1_11target_archE942ELNS1_3gpuE9ELNS1_3repE0EEENS1_52radix_sort_onesweep_histogram_config_static_selectorELNS0_4arch9wavefront6targetE1EEEvSI_
	.globl	_ZN7rocprim17ROCPRIM_400000_NS6detail17trampoline_kernelINS0_14default_configENS1_35radix_sort_onesweep_config_selectorIiNS0_10empty_typeEEEZNS1_34radix_sort_onesweep_global_offsetsIS3_Lb0EN6thrust23THRUST_200600_302600_NS6detail15normal_iteratorINS9_10device_ptrIiEEEEPS5_jNS0_19identity_decomposerEEE10hipError_tT1_T2_PT3_SK_jT4_jjP12ihipStream_tbEUlT_E_NS1_11comp_targetILNS1_3genE5ELNS1_11target_archE942ELNS1_3gpuE9ELNS1_3repE0EEENS1_52radix_sort_onesweep_histogram_config_static_selectorELNS0_4arch9wavefront6targetE1EEEvSI_
	.p2align	8
	.type	_ZN7rocprim17ROCPRIM_400000_NS6detail17trampoline_kernelINS0_14default_configENS1_35radix_sort_onesweep_config_selectorIiNS0_10empty_typeEEEZNS1_34radix_sort_onesweep_global_offsetsIS3_Lb0EN6thrust23THRUST_200600_302600_NS6detail15normal_iteratorINS9_10device_ptrIiEEEEPS5_jNS0_19identity_decomposerEEE10hipError_tT1_T2_PT3_SK_jT4_jjP12ihipStream_tbEUlT_E_NS1_11comp_targetILNS1_3genE5ELNS1_11target_archE942ELNS1_3gpuE9ELNS1_3repE0EEENS1_52radix_sort_onesweep_histogram_config_static_selectorELNS0_4arch9wavefront6targetE1EEEvSI_,@function
_ZN7rocprim17ROCPRIM_400000_NS6detail17trampoline_kernelINS0_14default_configENS1_35radix_sort_onesweep_config_selectorIiNS0_10empty_typeEEEZNS1_34radix_sort_onesweep_global_offsetsIS3_Lb0EN6thrust23THRUST_200600_302600_NS6detail15normal_iteratorINS9_10device_ptrIiEEEEPS5_jNS0_19identity_decomposerEEE10hipError_tT1_T2_PT3_SK_jT4_jjP12ihipStream_tbEUlT_E_NS1_11comp_targetILNS1_3genE5ELNS1_11target_archE942ELNS1_3gpuE9ELNS1_3repE0EEENS1_52radix_sort_onesweep_histogram_config_static_selectorELNS0_4arch9wavefront6targetE1EEEvSI_: ; @_ZN7rocprim17ROCPRIM_400000_NS6detail17trampoline_kernelINS0_14default_configENS1_35radix_sort_onesweep_config_selectorIiNS0_10empty_typeEEEZNS1_34radix_sort_onesweep_global_offsetsIS3_Lb0EN6thrust23THRUST_200600_302600_NS6detail15normal_iteratorINS9_10device_ptrIiEEEEPS5_jNS0_19identity_decomposerEEE10hipError_tT1_T2_PT3_SK_jT4_jjP12ihipStream_tbEUlT_E_NS1_11comp_targetILNS1_3genE5ELNS1_11target_archE942ELNS1_3gpuE9ELNS1_3repE0EEENS1_52radix_sort_onesweep_histogram_config_static_selectorELNS0_4arch9wavefront6targetE1EEEvSI_
; %bb.0:
	.section	.rodata,"a",@progbits
	.p2align	6, 0x0
	.amdhsa_kernel _ZN7rocprim17ROCPRIM_400000_NS6detail17trampoline_kernelINS0_14default_configENS1_35radix_sort_onesweep_config_selectorIiNS0_10empty_typeEEEZNS1_34radix_sort_onesweep_global_offsetsIS3_Lb0EN6thrust23THRUST_200600_302600_NS6detail15normal_iteratorINS9_10device_ptrIiEEEEPS5_jNS0_19identity_decomposerEEE10hipError_tT1_T2_PT3_SK_jT4_jjP12ihipStream_tbEUlT_E_NS1_11comp_targetILNS1_3genE5ELNS1_11target_archE942ELNS1_3gpuE9ELNS1_3repE0EEENS1_52radix_sort_onesweep_histogram_config_static_selectorELNS0_4arch9wavefront6targetE1EEEvSI_
		.amdhsa_group_segment_fixed_size 0
		.amdhsa_private_segment_fixed_size 0
		.amdhsa_kernarg_size 40
		.amdhsa_user_sgpr_count 6
		.amdhsa_user_sgpr_private_segment_buffer 1
		.amdhsa_user_sgpr_dispatch_ptr 0
		.amdhsa_user_sgpr_queue_ptr 0
		.amdhsa_user_sgpr_kernarg_segment_ptr 1
		.amdhsa_user_sgpr_dispatch_id 0
		.amdhsa_user_sgpr_flat_scratch_init 0
		.amdhsa_user_sgpr_kernarg_preload_length 0
		.amdhsa_user_sgpr_kernarg_preload_offset 0
		.amdhsa_user_sgpr_private_segment_size 0
		.amdhsa_uses_dynamic_stack 0
		.amdhsa_system_sgpr_private_segment_wavefront_offset 0
		.amdhsa_system_sgpr_workgroup_id_x 1
		.amdhsa_system_sgpr_workgroup_id_y 0
		.amdhsa_system_sgpr_workgroup_id_z 0
		.amdhsa_system_sgpr_workgroup_info 0
		.amdhsa_system_vgpr_workitem_id 0
		.amdhsa_next_free_vgpr 1
		.amdhsa_next_free_sgpr 0
		.amdhsa_accum_offset 4
		.amdhsa_reserve_vcc 0
		.amdhsa_reserve_flat_scratch 0
		.amdhsa_float_round_mode_32 0
		.amdhsa_float_round_mode_16_64 0
		.amdhsa_float_denorm_mode_32 3
		.amdhsa_float_denorm_mode_16_64 3
		.amdhsa_dx10_clamp 1
		.amdhsa_ieee_mode 1
		.amdhsa_fp16_overflow 0
		.amdhsa_tg_split 0
		.amdhsa_exception_fp_ieee_invalid_op 0
		.amdhsa_exception_fp_denorm_src 0
		.amdhsa_exception_fp_ieee_div_zero 0
		.amdhsa_exception_fp_ieee_overflow 0
		.amdhsa_exception_fp_ieee_underflow 0
		.amdhsa_exception_fp_ieee_inexact 0
		.amdhsa_exception_int_div_zero 0
	.end_amdhsa_kernel
	.section	.text._ZN7rocprim17ROCPRIM_400000_NS6detail17trampoline_kernelINS0_14default_configENS1_35radix_sort_onesweep_config_selectorIiNS0_10empty_typeEEEZNS1_34radix_sort_onesweep_global_offsetsIS3_Lb0EN6thrust23THRUST_200600_302600_NS6detail15normal_iteratorINS9_10device_ptrIiEEEEPS5_jNS0_19identity_decomposerEEE10hipError_tT1_T2_PT3_SK_jT4_jjP12ihipStream_tbEUlT_E_NS1_11comp_targetILNS1_3genE5ELNS1_11target_archE942ELNS1_3gpuE9ELNS1_3repE0EEENS1_52radix_sort_onesweep_histogram_config_static_selectorELNS0_4arch9wavefront6targetE1EEEvSI_,"axG",@progbits,_ZN7rocprim17ROCPRIM_400000_NS6detail17trampoline_kernelINS0_14default_configENS1_35radix_sort_onesweep_config_selectorIiNS0_10empty_typeEEEZNS1_34radix_sort_onesweep_global_offsetsIS3_Lb0EN6thrust23THRUST_200600_302600_NS6detail15normal_iteratorINS9_10device_ptrIiEEEEPS5_jNS0_19identity_decomposerEEE10hipError_tT1_T2_PT3_SK_jT4_jjP12ihipStream_tbEUlT_E_NS1_11comp_targetILNS1_3genE5ELNS1_11target_archE942ELNS1_3gpuE9ELNS1_3repE0EEENS1_52radix_sort_onesweep_histogram_config_static_selectorELNS0_4arch9wavefront6targetE1EEEvSI_,comdat
.Lfunc_end1721:
	.size	_ZN7rocprim17ROCPRIM_400000_NS6detail17trampoline_kernelINS0_14default_configENS1_35radix_sort_onesweep_config_selectorIiNS0_10empty_typeEEEZNS1_34radix_sort_onesweep_global_offsetsIS3_Lb0EN6thrust23THRUST_200600_302600_NS6detail15normal_iteratorINS9_10device_ptrIiEEEEPS5_jNS0_19identity_decomposerEEE10hipError_tT1_T2_PT3_SK_jT4_jjP12ihipStream_tbEUlT_E_NS1_11comp_targetILNS1_3genE5ELNS1_11target_archE942ELNS1_3gpuE9ELNS1_3repE0EEENS1_52radix_sort_onesweep_histogram_config_static_selectorELNS0_4arch9wavefront6targetE1EEEvSI_, .Lfunc_end1721-_ZN7rocprim17ROCPRIM_400000_NS6detail17trampoline_kernelINS0_14default_configENS1_35radix_sort_onesweep_config_selectorIiNS0_10empty_typeEEEZNS1_34radix_sort_onesweep_global_offsetsIS3_Lb0EN6thrust23THRUST_200600_302600_NS6detail15normal_iteratorINS9_10device_ptrIiEEEEPS5_jNS0_19identity_decomposerEEE10hipError_tT1_T2_PT3_SK_jT4_jjP12ihipStream_tbEUlT_E_NS1_11comp_targetILNS1_3genE5ELNS1_11target_archE942ELNS1_3gpuE9ELNS1_3repE0EEENS1_52radix_sort_onesweep_histogram_config_static_selectorELNS0_4arch9wavefront6targetE1EEEvSI_
                                        ; -- End function
	.section	.AMDGPU.csdata,"",@progbits
; Kernel info:
; codeLenInByte = 0
; NumSgprs: 4
; NumVgprs: 0
; NumAgprs: 0
; TotalNumVgprs: 0
; ScratchSize: 0
; MemoryBound: 0
; FloatMode: 240
; IeeeMode: 1
; LDSByteSize: 0 bytes/workgroup (compile time only)
; SGPRBlocks: 0
; VGPRBlocks: 0
; NumSGPRsForWavesPerEU: 4
; NumVGPRsForWavesPerEU: 1
; AccumOffset: 4
; Occupancy: 8
; WaveLimiterHint : 0
; COMPUTE_PGM_RSRC2:SCRATCH_EN: 0
; COMPUTE_PGM_RSRC2:USER_SGPR: 6
; COMPUTE_PGM_RSRC2:TRAP_HANDLER: 0
; COMPUTE_PGM_RSRC2:TGID_X_EN: 1
; COMPUTE_PGM_RSRC2:TGID_Y_EN: 0
; COMPUTE_PGM_RSRC2:TGID_Z_EN: 0
; COMPUTE_PGM_RSRC2:TIDIG_COMP_CNT: 0
; COMPUTE_PGM_RSRC3_GFX90A:ACCUM_OFFSET: 0
; COMPUTE_PGM_RSRC3_GFX90A:TG_SPLIT: 0
	.section	.text._ZN7rocprim17ROCPRIM_400000_NS6detail17trampoline_kernelINS0_14default_configENS1_35radix_sort_onesweep_config_selectorIiNS0_10empty_typeEEEZNS1_34radix_sort_onesweep_global_offsetsIS3_Lb0EN6thrust23THRUST_200600_302600_NS6detail15normal_iteratorINS9_10device_ptrIiEEEEPS5_jNS0_19identity_decomposerEEE10hipError_tT1_T2_PT3_SK_jT4_jjP12ihipStream_tbEUlT_E_NS1_11comp_targetILNS1_3genE2ELNS1_11target_archE906ELNS1_3gpuE6ELNS1_3repE0EEENS1_52radix_sort_onesweep_histogram_config_static_selectorELNS0_4arch9wavefront6targetE1EEEvSI_,"axG",@progbits,_ZN7rocprim17ROCPRIM_400000_NS6detail17trampoline_kernelINS0_14default_configENS1_35radix_sort_onesweep_config_selectorIiNS0_10empty_typeEEEZNS1_34radix_sort_onesweep_global_offsetsIS3_Lb0EN6thrust23THRUST_200600_302600_NS6detail15normal_iteratorINS9_10device_ptrIiEEEEPS5_jNS0_19identity_decomposerEEE10hipError_tT1_T2_PT3_SK_jT4_jjP12ihipStream_tbEUlT_E_NS1_11comp_targetILNS1_3genE2ELNS1_11target_archE906ELNS1_3gpuE6ELNS1_3repE0EEENS1_52radix_sort_onesweep_histogram_config_static_selectorELNS0_4arch9wavefront6targetE1EEEvSI_,comdat
	.protected	_ZN7rocprim17ROCPRIM_400000_NS6detail17trampoline_kernelINS0_14default_configENS1_35radix_sort_onesweep_config_selectorIiNS0_10empty_typeEEEZNS1_34radix_sort_onesweep_global_offsetsIS3_Lb0EN6thrust23THRUST_200600_302600_NS6detail15normal_iteratorINS9_10device_ptrIiEEEEPS5_jNS0_19identity_decomposerEEE10hipError_tT1_T2_PT3_SK_jT4_jjP12ihipStream_tbEUlT_E_NS1_11comp_targetILNS1_3genE2ELNS1_11target_archE906ELNS1_3gpuE6ELNS1_3repE0EEENS1_52radix_sort_onesweep_histogram_config_static_selectorELNS0_4arch9wavefront6targetE1EEEvSI_ ; -- Begin function _ZN7rocprim17ROCPRIM_400000_NS6detail17trampoline_kernelINS0_14default_configENS1_35radix_sort_onesweep_config_selectorIiNS0_10empty_typeEEEZNS1_34radix_sort_onesweep_global_offsetsIS3_Lb0EN6thrust23THRUST_200600_302600_NS6detail15normal_iteratorINS9_10device_ptrIiEEEEPS5_jNS0_19identity_decomposerEEE10hipError_tT1_T2_PT3_SK_jT4_jjP12ihipStream_tbEUlT_E_NS1_11comp_targetILNS1_3genE2ELNS1_11target_archE906ELNS1_3gpuE6ELNS1_3repE0EEENS1_52radix_sort_onesweep_histogram_config_static_selectorELNS0_4arch9wavefront6targetE1EEEvSI_
	.globl	_ZN7rocprim17ROCPRIM_400000_NS6detail17trampoline_kernelINS0_14default_configENS1_35radix_sort_onesweep_config_selectorIiNS0_10empty_typeEEEZNS1_34radix_sort_onesweep_global_offsetsIS3_Lb0EN6thrust23THRUST_200600_302600_NS6detail15normal_iteratorINS9_10device_ptrIiEEEEPS5_jNS0_19identity_decomposerEEE10hipError_tT1_T2_PT3_SK_jT4_jjP12ihipStream_tbEUlT_E_NS1_11comp_targetILNS1_3genE2ELNS1_11target_archE906ELNS1_3gpuE6ELNS1_3repE0EEENS1_52radix_sort_onesweep_histogram_config_static_selectorELNS0_4arch9wavefront6targetE1EEEvSI_
	.p2align	8
	.type	_ZN7rocprim17ROCPRIM_400000_NS6detail17trampoline_kernelINS0_14default_configENS1_35radix_sort_onesweep_config_selectorIiNS0_10empty_typeEEEZNS1_34radix_sort_onesweep_global_offsetsIS3_Lb0EN6thrust23THRUST_200600_302600_NS6detail15normal_iteratorINS9_10device_ptrIiEEEEPS5_jNS0_19identity_decomposerEEE10hipError_tT1_T2_PT3_SK_jT4_jjP12ihipStream_tbEUlT_E_NS1_11comp_targetILNS1_3genE2ELNS1_11target_archE906ELNS1_3gpuE6ELNS1_3repE0EEENS1_52radix_sort_onesweep_histogram_config_static_selectorELNS0_4arch9wavefront6targetE1EEEvSI_,@function
_ZN7rocprim17ROCPRIM_400000_NS6detail17trampoline_kernelINS0_14default_configENS1_35radix_sort_onesweep_config_selectorIiNS0_10empty_typeEEEZNS1_34radix_sort_onesweep_global_offsetsIS3_Lb0EN6thrust23THRUST_200600_302600_NS6detail15normal_iteratorINS9_10device_ptrIiEEEEPS5_jNS0_19identity_decomposerEEE10hipError_tT1_T2_PT3_SK_jT4_jjP12ihipStream_tbEUlT_E_NS1_11comp_targetILNS1_3genE2ELNS1_11target_archE906ELNS1_3gpuE6ELNS1_3repE0EEENS1_52radix_sort_onesweep_histogram_config_static_selectorELNS0_4arch9wavefront6targetE1EEEvSI_: ; @_ZN7rocprim17ROCPRIM_400000_NS6detail17trampoline_kernelINS0_14default_configENS1_35radix_sort_onesweep_config_selectorIiNS0_10empty_typeEEEZNS1_34radix_sort_onesweep_global_offsetsIS3_Lb0EN6thrust23THRUST_200600_302600_NS6detail15normal_iteratorINS9_10device_ptrIiEEEEPS5_jNS0_19identity_decomposerEEE10hipError_tT1_T2_PT3_SK_jT4_jjP12ihipStream_tbEUlT_E_NS1_11comp_targetILNS1_3genE2ELNS1_11target_archE906ELNS1_3gpuE6ELNS1_3repE0EEENS1_52radix_sort_onesweep_histogram_config_static_selectorELNS0_4arch9wavefront6targetE1EEEvSI_
; %bb.0:
	.section	.rodata,"a",@progbits
	.p2align	6, 0x0
	.amdhsa_kernel _ZN7rocprim17ROCPRIM_400000_NS6detail17trampoline_kernelINS0_14default_configENS1_35radix_sort_onesweep_config_selectorIiNS0_10empty_typeEEEZNS1_34radix_sort_onesweep_global_offsetsIS3_Lb0EN6thrust23THRUST_200600_302600_NS6detail15normal_iteratorINS9_10device_ptrIiEEEEPS5_jNS0_19identity_decomposerEEE10hipError_tT1_T2_PT3_SK_jT4_jjP12ihipStream_tbEUlT_E_NS1_11comp_targetILNS1_3genE2ELNS1_11target_archE906ELNS1_3gpuE6ELNS1_3repE0EEENS1_52radix_sort_onesweep_histogram_config_static_selectorELNS0_4arch9wavefront6targetE1EEEvSI_
		.amdhsa_group_segment_fixed_size 0
		.amdhsa_private_segment_fixed_size 0
		.amdhsa_kernarg_size 40
		.amdhsa_user_sgpr_count 6
		.amdhsa_user_sgpr_private_segment_buffer 1
		.amdhsa_user_sgpr_dispatch_ptr 0
		.amdhsa_user_sgpr_queue_ptr 0
		.amdhsa_user_sgpr_kernarg_segment_ptr 1
		.amdhsa_user_sgpr_dispatch_id 0
		.amdhsa_user_sgpr_flat_scratch_init 0
		.amdhsa_user_sgpr_kernarg_preload_length 0
		.amdhsa_user_sgpr_kernarg_preload_offset 0
		.amdhsa_user_sgpr_private_segment_size 0
		.amdhsa_uses_dynamic_stack 0
		.amdhsa_system_sgpr_private_segment_wavefront_offset 0
		.amdhsa_system_sgpr_workgroup_id_x 1
		.amdhsa_system_sgpr_workgroup_id_y 0
		.amdhsa_system_sgpr_workgroup_id_z 0
		.amdhsa_system_sgpr_workgroup_info 0
		.amdhsa_system_vgpr_workitem_id 0
		.amdhsa_next_free_vgpr 1
		.amdhsa_next_free_sgpr 0
		.amdhsa_accum_offset 4
		.amdhsa_reserve_vcc 0
		.amdhsa_reserve_flat_scratch 0
		.amdhsa_float_round_mode_32 0
		.amdhsa_float_round_mode_16_64 0
		.amdhsa_float_denorm_mode_32 3
		.amdhsa_float_denorm_mode_16_64 3
		.amdhsa_dx10_clamp 1
		.amdhsa_ieee_mode 1
		.amdhsa_fp16_overflow 0
		.amdhsa_tg_split 0
		.amdhsa_exception_fp_ieee_invalid_op 0
		.amdhsa_exception_fp_denorm_src 0
		.amdhsa_exception_fp_ieee_div_zero 0
		.amdhsa_exception_fp_ieee_overflow 0
		.amdhsa_exception_fp_ieee_underflow 0
		.amdhsa_exception_fp_ieee_inexact 0
		.amdhsa_exception_int_div_zero 0
	.end_amdhsa_kernel
	.section	.text._ZN7rocprim17ROCPRIM_400000_NS6detail17trampoline_kernelINS0_14default_configENS1_35radix_sort_onesweep_config_selectorIiNS0_10empty_typeEEEZNS1_34radix_sort_onesweep_global_offsetsIS3_Lb0EN6thrust23THRUST_200600_302600_NS6detail15normal_iteratorINS9_10device_ptrIiEEEEPS5_jNS0_19identity_decomposerEEE10hipError_tT1_T2_PT3_SK_jT4_jjP12ihipStream_tbEUlT_E_NS1_11comp_targetILNS1_3genE2ELNS1_11target_archE906ELNS1_3gpuE6ELNS1_3repE0EEENS1_52radix_sort_onesweep_histogram_config_static_selectorELNS0_4arch9wavefront6targetE1EEEvSI_,"axG",@progbits,_ZN7rocprim17ROCPRIM_400000_NS6detail17trampoline_kernelINS0_14default_configENS1_35radix_sort_onesweep_config_selectorIiNS0_10empty_typeEEEZNS1_34radix_sort_onesweep_global_offsetsIS3_Lb0EN6thrust23THRUST_200600_302600_NS6detail15normal_iteratorINS9_10device_ptrIiEEEEPS5_jNS0_19identity_decomposerEEE10hipError_tT1_T2_PT3_SK_jT4_jjP12ihipStream_tbEUlT_E_NS1_11comp_targetILNS1_3genE2ELNS1_11target_archE906ELNS1_3gpuE6ELNS1_3repE0EEENS1_52radix_sort_onesweep_histogram_config_static_selectorELNS0_4arch9wavefront6targetE1EEEvSI_,comdat
.Lfunc_end1722:
	.size	_ZN7rocprim17ROCPRIM_400000_NS6detail17trampoline_kernelINS0_14default_configENS1_35radix_sort_onesweep_config_selectorIiNS0_10empty_typeEEEZNS1_34radix_sort_onesweep_global_offsetsIS3_Lb0EN6thrust23THRUST_200600_302600_NS6detail15normal_iteratorINS9_10device_ptrIiEEEEPS5_jNS0_19identity_decomposerEEE10hipError_tT1_T2_PT3_SK_jT4_jjP12ihipStream_tbEUlT_E_NS1_11comp_targetILNS1_3genE2ELNS1_11target_archE906ELNS1_3gpuE6ELNS1_3repE0EEENS1_52radix_sort_onesweep_histogram_config_static_selectorELNS0_4arch9wavefront6targetE1EEEvSI_, .Lfunc_end1722-_ZN7rocprim17ROCPRIM_400000_NS6detail17trampoline_kernelINS0_14default_configENS1_35radix_sort_onesweep_config_selectorIiNS0_10empty_typeEEEZNS1_34radix_sort_onesweep_global_offsetsIS3_Lb0EN6thrust23THRUST_200600_302600_NS6detail15normal_iteratorINS9_10device_ptrIiEEEEPS5_jNS0_19identity_decomposerEEE10hipError_tT1_T2_PT3_SK_jT4_jjP12ihipStream_tbEUlT_E_NS1_11comp_targetILNS1_3genE2ELNS1_11target_archE906ELNS1_3gpuE6ELNS1_3repE0EEENS1_52radix_sort_onesweep_histogram_config_static_selectorELNS0_4arch9wavefront6targetE1EEEvSI_
                                        ; -- End function
	.section	.AMDGPU.csdata,"",@progbits
; Kernel info:
; codeLenInByte = 0
; NumSgprs: 4
; NumVgprs: 0
; NumAgprs: 0
; TotalNumVgprs: 0
; ScratchSize: 0
; MemoryBound: 0
; FloatMode: 240
; IeeeMode: 1
; LDSByteSize: 0 bytes/workgroup (compile time only)
; SGPRBlocks: 0
; VGPRBlocks: 0
; NumSGPRsForWavesPerEU: 4
; NumVGPRsForWavesPerEU: 1
; AccumOffset: 4
; Occupancy: 8
; WaveLimiterHint : 0
; COMPUTE_PGM_RSRC2:SCRATCH_EN: 0
; COMPUTE_PGM_RSRC2:USER_SGPR: 6
; COMPUTE_PGM_RSRC2:TRAP_HANDLER: 0
; COMPUTE_PGM_RSRC2:TGID_X_EN: 1
; COMPUTE_PGM_RSRC2:TGID_Y_EN: 0
; COMPUTE_PGM_RSRC2:TGID_Z_EN: 0
; COMPUTE_PGM_RSRC2:TIDIG_COMP_CNT: 0
; COMPUTE_PGM_RSRC3_GFX90A:ACCUM_OFFSET: 0
; COMPUTE_PGM_RSRC3_GFX90A:TG_SPLIT: 0
	.section	.text._ZN7rocprim17ROCPRIM_400000_NS6detail17trampoline_kernelINS0_14default_configENS1_35radix_sort_onesweep_config_selectorIiNS0_10empty_typeEEEZNS1_34radix_sort_onesweep_global_offsetsIS3_Lb0EN6thrust23THRUST_200600_302600_NS6detail15normal_iteratorINS9_10device_ptrIiEEEEPS5_jNS0_19identity_decomposerEEE10hipError_tT1_T2_PT3_SK_jT4_jjP12ihipStream_tbEUlT_E_NS1_11comp_targetILNS1_3genE4ELNS1_11target_archE910ELNS1_3gpuE8ELNS1_3repE0EEENS1_52radix_sort_onesweep_histogram_config_static_selectorELNS0_4arch9wavefront6targetE1EEEvSI_,"axG",@progbits,_ZN7rocprim17ROCPRIM_400000_NS6detail17trampoline_kernelINS0_14default_configENS1_35radix_sort_onesweep_config_selectorIiNS0_10empty_typeEEEZNS1_34radix_sort_onesweep_global_offsetsIS3_Lb0EN6thrust23THRUST_200600_302600_NS6detail15normal_iteratorINS9_10device_ptrIiEEEEPS5_jNS0_19identity_decomposerEEE10hipError_tT1_T2_PT3_SK_jT4_jjP12ihipStream_tbEUlT_E_NS1_11comp_targetILNS1_3genE4ELNS1_11target_archE910ELNS1_3gpuE8ELNS1_3repE0EEENS1_52radix_sort_onesweep_histogram_config_static_selectorELNS0_4arch9wavefront6targetE1EEEvSI_,comdat
	.protected	_ZN7rocprim17ROCPRIM_400000_NS6detail17trampoline_kernelINS0_14default_configENS1_35radix_sort_onesweep_config_selectorIiNS0_10empty_typeEEEZNS1_34radix_sort_onesweep_global_offsetsIS3_Lb0EN6thrust23THRUST_200600_302600_NS6detail15normal_iteratorINS9_10device_ptrIiEEEEPS5_jNS0_19identity_decomposerEEE10hipError_tT1_T2_PT3_SK_jT4_jjP12ihipStream_tbEUlT_E_NS1_11comp_targetILNS1_3genE4ELNS1_11target_archE910ELNS1_3gpuE8ELNS1_3repE0EEENS1_52radix_sort_onesweep_histogram_config_static_selectorELNS0_4arch9wavefront6targetE1EEEvSI_ ; -- Begin function _ZN7rocprim17ROCPRIM_400000_NS6detail17trampoline_kernelINS0_14default_configENS1_35radix_sort_onesweep_config_selectorIiNS0_10empty_typeEEEZNS1_34radix_sort_onesweep_global_offsetsIS3_Lb0EN6thrust23THRUST_200600_302600_NS6detail15normal_iteratorINS9_10device_ptrIiEEEEPS5_jNS0_19identity_decomposerEEE10hipError_tT1_T2_PT3_SK_jT4_jjP12ihipStream_tbEUlT_E_NS1_11comp_targetILNS1_3genE4ELNS1_11target_archE910ELNS1_3gpuE8ELNS1_3repE0EEENS1_52radix_sort_onesweep_histogram_config_static_selectorELNS0_4arch9wavefront6targetE1EEEvSI_
	.globl	_ZN7rocprim17ROCPRIM_400000_NS6detail17trampoline_kernelINS0_14default_configENS1_35radix_sort_onesweep_config_selectorIiNS0_10empty_typeEEEZNS1_34radix_sort_onesweep_global_offsetsIS3_Lb0EN6thrust23THRUST_200600_302600_NS6detail15normal_iteratorINS9_10device_ptrIiEEEEPS5_jNS0_19identity_decomposerEEE10hipError_tT1_T2_PT3_SK_jT4_jjP12ihipStream_tbEUlT_E_NS1_11comp_targetILNS1_3genE4ELNS1_11target_archE910ELNS1_3gpuE8ELNS1_3repE0EEENS1_52radix_sort_onesweep_histogram_config_static_selectorELNS0_4arch9wavefront6targetE1EEEvSI_
	.p2align	8
	.type	_ZN7rocprim17ROCPRIM_400000_NS6detail17trampoline_kernelINS0_14default_configENS1_35radix_sort_onesweep_config_selectorIiNS0_10empty_typeEEEZNS1_34radix_sort_onesweep_global_offsetsIS3_Lb0EN6thrust23THRUST_200600_302600_NS6detail15normal_iteratorINS9_10device_ptrIiEEEEPS5_jNS0_19identity_decomposerEEE10hipError_tT1_T2_PT3_SK_jT4_jjP12ihipStream_tbEUlT_E_NS1_11comp_targetILNS1_3genE4ELNS1_11target_archE910ELNS1_3gpuE8ELNS1_3repE0EEENS1_52radix_sort_onesweep_histogram_config_static_selectorELNS0_4arch9wavefront6targetE1EEEvSI_,@function
_ZN7rocprim17ROCPRIM_400000_NS6detail17trampoline_kernelINS0_14default_configENS1_35radix_sort_onesweep_config_selectorIiNS0_10empty_typeEEEZNS1_34radix_sort_onesweep_global_offsetsIS3_Lb0EN6thrust23THRUST_200600_302600_NS6detail15normal_iteratorINS9_10device_ptrIiEEEEPS5_jNS0_19identity_decomposerEEE10hipError_tT1_T2_PT3_SK_jT4_jjP12ihipStream_tbEUlT_E_NS1_11comp_targetILNS1_3genE4ELNS1_11target_archE910ELNS1_3gpuE8ELNS1_3repE0EEENS1_52radix_sort_onesweep_histogram_config_static_selectorELNS0_4arch9wavefront6targetE1EEEvSI_: ; @_ZN7rocprim17ROCPRIM_400000_NS6detail17trampoline_kernelINS0_14default_configENS1_35radix_sort_onesweep_config_selectorIiNS0_10empty_typeEEEZNS1_34radix_sort_onesweep_global_offsetsIS3_Lb0EN6thrust23THRUST_200600_302600_NS6detail15normal_iteratorINS9_10device_ptrIiEEEEPS5_jNS0_19identity_decomposerEEE10hipError_tT1_T2_PT3_SK_jT4_jjP12ihipStream_tbEUlT_E_NS1_11comp_targetILNS1_3genE4ELNS1_11target_archE910ELNS1_3gpuE8ELNS1_3repE0EEENS1_52radix_sort_onesweep_histogram_config_static_selectorELNS0_4arch9wavefront6targetE1EEEvSI_
; %bb.0:
	s_load_dword s7, s[4:5], 0x14
	s_load_dwordx4 s[8:11], s[4:5], 0x0
	s_load_dwordx2 s[2:3], s[4:5], 0x1c
	s_mul_i32 s12, s6, 0x3000
	s_mov_b64 s[0:1], -1
	s_waitcnt lgkmcnt(0)
	s_cmp_ge_u32 s6, s7
	s_cbranch_scc0 .LBB1723_235
; %bb.1:
	s_load_dword s4, s[4:5], 0x10
	s_mulk_i32 s7, 0xd000
	s_mov_b32 s13, 0
	s_lshl_b64 s[0:1], s[12:13], 2
                                        ; implicit-def: $vgpr24
	s_waitcnt lgkmcnt(0)
	s_add_i32 s13, s4, s7
	s_add_u32 s0, s8, s0
	s_addc_u32 s1, s9, s1
	v_cmp_gt_u32_e32 vcc, s13, v0
	s_and_saveexec_b64 s[4:5], vcc
	s_cbranch_execz .LBB1723_3
; %bb.2:
	v_lshlrev_b32_e32 v1, 2, v0
	global_load_dword v24, v1, s[0:1]
.LBB1723_3:
	s_or_b64 exec, exec, s[4:5]
	v_or_b32_e32 v22, 0x400, v0
	v_cmp_gt_u32_e32 vcc, s13, v22
                                        ; implicit-def: $vgpr23
	s_and_saveexec_b64 s[4:5], vcc
	s_cbranch_execz .LBB1723_5
; %bb.4:
	v_lshlrev_b32_e32 v1, 2, v22
	global_load_dword v23, v1, s[0:1]
.LBB1723_5:
	s_or_b64 exec, exec, s[4:5]
	v_or_b32_e32 v20, 0x800, v0
	v_cmp_gt_u32_e32 vcc, s13, v20
                                        ; implicit-def: $vgpr21
	s_and_saveexec_b64 s[4:5], vcc
	s_cbranch_execz .LBB1723_7
; %bb.6:
	v_lshlrev_b32_e32 v1, 2, v20
	global_load_dword v21, v1, s[0:1]
.LBB1723_7:
	s_or_b64 exec, exec, s[4:5]
	v_or_b32_e32 v18, 0xc00, v0
	v_cmp_gt_u32_e32 vcc, s13, v18
                                        ; implicit-def: $vgpr19
	s_and_saveexec_b64 s[4:5], vcc
	s_cbranch_execz .LBB1723_9
; %bb.8:
	v_lshlrev_b32_e32 v1, 2, v18
	global_load_dword v19, v1, s[0:1]
.LBB1723_9:
	s_or_b64 exec, exec, s[4:5]
	v_or_b32_e32 v16, 0x1000, v0
	v_cmp_gt_u32_e32 vcc, s13, v16
                                        ; implicit-def: $vgpr17
	s_and_saveexec_b64 s[4:5], vcc
	s_cbranch_execz .LBB1723_11
; %bb.10:
	v_lshlrev_b32_e32 v1, 2, v16
	global_load_dword v17, v1, s[0:1]
.LBB1723_11:
	s_or_b64 exec, exec, s[4:5]
	v_or_b32_e32 v14, 0x1400, v0
	v_cmp_gt_u32_e32 vcc, s13, v14
                                        ; implicit-def: $vgpr15
	s_and_saveexec_b64 s[4:5], vcc
	s_cbranch_execz .LBB1723_13
; %bb.12:
	v_lshlrev_b32_e32 v1, 2, v14
	global_load_dword v15, v1, s[0:1]
.LBB1723_13:
	s_or_b64 exec, exec, s[4:5]
	v_or_b32_e32 v12, 0x1800, v0
	v_cmp_gt_u32_e32 vcc, s13, v12
                                        ; implicit-def: $vgpr13
	s_and_saveexec_b64 s[4:5], vcc
	s_cbranch_execz .LBB1723_15
; %bb.14:
	v_lshlrev_b32_e32 v1, 2, v12
	global_load_dword v13, v1, s[0:1]
.LBB1723_15:
	s_or_b64 exec, exec, s[4:5]
	v_or_b32_e32 v10, 0x1c00, v0
	v_cmp_gt_u32_e32 vcc, s13, v10
                                        ; implicit-def: $vgpr11
	s_and_saveexec_b64 s[4:5], vcc
	s_cbranch_execz .LBB1723_17
; %bb.16:
	v_lshlrev_b32_e32 v1, 2, v10
	global_load_dword v11, v1, s[0:1]
.LBB1723_17:
	s_or_b64 exec, exec, s[4:5]
	v_or_b32_e32 v8, 0x2000, v0
	v_cmp_gt_u32_e32 vcc, s13, v8
                                        ; implicit-def: $vgpr9
	s_and_saveexec_b64 s[4:5], vcc
	s_cbranch_execz .LBB1723_19
; %bb.18:
	v_lshlrev_b32_e32 v1, 2, v8
	global_load_dword v9, v1, s[0:1]
.LBB1723_19:
	s_or_b64 exec, exec, s[4:5]
	v_or_b32_e32 v6, 0x2400, v0
	v_cmp_gt_u32_e32 vcc, s13, v6
                                        ; implicit-def: $vgpr7
	s_and_saveexec_b64 s[4:5], vcc
	s_cbranch_execz .LBB1723_21
; %bb.20:
	v_lshlrev_b32_e32 v1, 2, v6
	global_load_dword v7, v1, s[0:1]
.LBB1723_21:
	s_or_b64 exec, exec, s[4:5]
	v_or_b32_e32 v4, 0x2800, v0
	v_cmp_gt_u32_e32 vcc, s13, v4
                                        ; implicit-def: $vgpr5
	s_and_saveexec_b64 s[4:5], vcc
	s_cbranch_execz .LBB1723_23
; %bb.22:
	v_lshlrev_b32_e32 v1, 2, v4
	global_load_dword v5, v1, s[0:1]
.LBB1723_23:
	s_or_b64 exec, exec, s[4:5]
	v_or_b32_e32 v2, 0x2c00, v0
	v_cmp_gt_u32_e32 vcc, s13, v2
                                        ; implicit-def: $vgpr3
	s_and_saveexec_b64 s[4:5], vcc
	s_cbranch_execz .LBB1723_25
; %bb.24:
	v_lshlrev_b32_e32 v1, 2, v2
	global_load_dword v3, v1, s[0:1]
.LBB1723_25:
	s_or_b64 exec, exec, s[4:5]
	s_cmp_le_u32 s3, s2
	s_cselect_b64 s[4:5], -1, 0
	v_cmp_le_u32_e32 vcc, s13, v0
	s_and_b64 s[0:1], s[4:5], exec
	v_lshlrev_b32_e32 v25, 2, v0
	v_mov_b32_e32 v26, 0
	s_cselect_b32 s18, 8, 10
	s_or_b64 s[0:1], s[4:5], vcc
	v_and_b32_e32 v1, 3, v0
	ds_write2st64_b32 v25, v26, v26 offset1:16
	ds_write2st64_b32 v25, v26, v26 offset0:32 offset1:48
	s_waitcnt vmcnt(0)
	v_xor_b32_e32 v24, 0x80000000, v24
	s_xor_b64 s[6:7], s[0:1], -1
	v_mov_b32_e32 v25, s18
	s_waitcnt lgkmcnt(0)
	s_barrier
	s_and_saveexec_b64 s[0:1], s[6:7]
	s_cbranch_execz .LBB1723_27
; %bb.26:
	s_sub_i32 s6, s3, s2
	s_min_u32 s6, s6, 8
	v_lshrrev_b32_e32 v25, s2, v24
	v_bfe_u32 v25, v25, 0, s6
	v_lshlrev_b32_e32 v26, 2, v1
	v_lshl_or_b32 v25, v25, 4, v26
	v_mov_b32_e32 v26, 1
	ds_add_u32 v25, v26
	v_mov_b32_e32 v25, 0
.LBB1723_27:
	s_or_b64 exec, exec, s[0:1]
	v_cmp_gt_i32_e64 s[0:1], 10, v25
	s_mov_b64 s[14:15], -1
	s_and_saveexec_b64 s[6:7], s[0:1]
; %bb.28:
	v_cmp_eq_u32_e64 s[0:1], 0, v25
	s_orn2_b64 s[14:15], s[0:1], exec
; %bb.29:
	s_or_b64 exec, exec, s[6:7]
	s_and_saveexec_b64 s[6:7], s[14:15]
	s_cbranch_execz .LBB1723_42
; %bb.30:
	s_add_i32 s14, s2, 8
	s_cmp_le_u32 s3, s14
	s_cselect_b64 s[0:1], -1, 0
	s_and_b64 s[16:17], s[0:1], exec
	s_cselect_b32 s15, 8, 10
	s_or_b64 s[0:1], s[0:1], vcc
	s_xor_b64 s[16:17], s[0:1], -1
	v_mov_b32_e32 v25, s15
	s_and_saveexec_b64 s[0:1], s[16:17]
	s_cbranch_execz .LBB1723_32
; %bb.31:
	s_sub_i32 s15, s3, s14
	s_min_u32 s15, s15, 8
	v_lshrrev_b32_e32 v25, s14, v24
	v_bfe_u32 v25, v25, 0, s15
	v_lshlrev_b32_e32 v26, 2, v1
	v_lshl_or_b32 v25, v25, 4, v26
	v_mov_b32_e32 v26, 1
	ds_add_u32 v25, v26 offset:4096
	v_mov_b32_e32 v25, 0
.LBB1723_32:
	s_or_b64 exec, exec, s[0:1]
	v_cmp_gt_i32_e64 s[0:1], 10, v25
	s_mov_b64 s[14:15], -1
	s_and_saveexec_b64 s[16:17], s[0:1]
; %bb.33:
	v_cmp_eq_u32_e64 s[0:1], 0, v25
	s_orn2_b64 s[14:15], s[0:1], exec
; %bb.34:
	s_or_b64 exec, exec, s[16:17]
	s_and_b64 exec, exec, s[14:15]
	s_cbranch_execz .LBB1723_42
; %bb.35:
	s_add_i32 s14, s2, 16
	s_cmp_le_u32 s3, s14
	s_cselect_b64 s[0:1], -1, 0
	s_and_b64 s[16:17], s[0:1], exec
	s_cselect_b32 s15, 8, 10
	s_or_b64 s[0:1], s[0:1], vcc
	s_xor_b64 s[16:17], s[0:1], -1
	v_mov_b32_e32 v25, s15
	s_and_saveexec_b64 s[0:1], s[16:17]
	s_cbranch_execz .LBB1723_37
; %bb.36:
	s_sub_i32 s15, s3, s14
	s_min_u32 s15, s15, 8
	v_lshrrev_b32_e32 v25, s14, v24
	v_bfe_u32 v25, v25, 0, s15
	v_lshlrev_b32_e32 v26, 2, v1
	v_lshl_or_b32 v25, v25, 4, v26
	v_mov_b32_e32 v26, 1
	ds_add_u32 v25, v26 offset:8192
	v_mov_b32_e32 v25, 0
.LBB1723_37:
	s_or_b64 exec, exec, s[0:1]
	v_cmp_gt_i32_e64 s[0:1], 10, v25
	s_mov_b64 s[14:15], -1
	s_and_saveexec_b64 s[16:17], s[0:1]
; %bb.38:
	v_cmp_eq_u32_e64 s[0:1], 0, v25
	s_orn2_b64 s[14:15], s[0:1], exec
; %bb.39:
	s_or_b64 exec, exec, s[16:17]
	s_and_b64 exec, exec, s[14:15]
	s_cbranch_execz .LBB1723_42
; %bb.40:
	s_add_i32 s0, s2, 24
	s_cmp_gt_u32 s3, s0
	s_cselect_b64 s[14:15], -1, 0
	s_xor_b64 s[16:17], vcc, -1
	s_and_b64 s[14:15], s[14:15], s[16:17]
	s_and_b64 exec, exec, s[14:15]
	s_cbranch_execz .LBB1723_42
; %bb.41:
	s_sub_i32 s1, s3, s0
	s_min_u32 s1, s1, 8
	v_lshrrev_b32_e32 v24, s0, v24
	v_bfe_u32 v24, v24, 0, s1
	v_lshlrev_b32_e32 v25, 2, v1
	v_lshl_or_b32 v24, v24, 4, v25
	v_mov_b32_e32 v25, 1
	ds_add_u32 v24, v25 offset:12288
.LBB1723_42:
	s_or_b64 exec, exec, s[6:7]
	v_cmp_le_u32_e32 vcc, s13, v22
	s_or_b64 s[0:1], s[4:5], vcc
	v_xor_b32_e32 v23, 0x80000000, v23
	s_xor_b64 s[6:7], s[0:1], -1
	v_mov_b32_e32 v22, s18
	s_and_saveexec_b64 s[0:1], s[6:7]
	s_cbranch_execz .LBB1723_44
; %bb.43:
	s_sub_i32 s6, s3, s2
	s_min_u32 s6, s6, 8
	v_lshrrev_b32_e32 v22, s2, v23
	v_bfe_u32 v22, v22, 0, s6
	v_lshlrev_b32_e32 v24, 2, v1
	v_lshl_or_b32 v22, v22, 4, v24
	v_mov_b32_e32 v24, 1
	ds_add_u32 v22, v24
	v_mov_b32_e32 v22, 0
.LBB1723_44:
	s_or_b64 exec, exec, s[0:1]
	v_cmp_gt_i32_e64 s[0:1], 10, v22
	s_mov_b64 s[14:15], -1
	s_and_saveexec_b64 s[6:7], s[0:1]
; %bb.45:
	v_cmp_eq_u32_e64 s[0:1], 0, v22
	s_orn2_b64 s[14:15], s[0:1], exec
; %bb.46:
	s_or_b64 exec, exec, s[6:7]
	s_and_saveexec_b64 s[6:7], s[14:15]
	s_cbranch_execz .LBB1723_59
; %bb.47:
	s_add_i32 s14, s2, 8
	s_cmp_le_u32 s3, s14
	s_cselect_b64 s[0:1], -1, 0
	s_and_b64 s[16:17], s[0:1], exec
	s_cselect_b32 s15, 8, 10
	s_or_b64 s[0:1], s[0:1], vcc
	s_xor_b64 s[16:17], s[0:1], -1
	v_mov_b32_e32 v22, s15
	s_and_saveexec_b64 s[0:1], s[16:17]
	s_cbranch_execz .LBB1723_49
; %bb.48:
	s_sub_i32 s15, s3, s14
	s_min_u32 s15, s15, 8
	v_lshrrev_b32_e32 v22, s14, v23
	v_bfe_u32 v22, v22, 0, s15
	v_lshlrev_b32_e32 v24, 2, v1
	v_lshl_or_b32 v22, v22, 4, v24
	v_mov_b32_e32 v24, 1
	ds_add_u32 v22, v24 offset:4096
	v_mov_b32_e32 v22, 0
.LBB1723_49:
	s_or_b64 exec, exec, s[0:1]
	v_cmp_gt_i32_e64 s[0:1], 10, v22
	s_mov_b64 s[14:15], -1
	s_and_saveexec_b64 s[16:17], s[0:1]
; %bb.50:
	v_cmp_eq_u32_e64 s[0:1], 0, v22
	s_orn2_b64 s[14:15], s[0:1], exec
; %bb.51:
	s_or_b64 exec, exec, s[16:17]
	s_and_b64 exec, exec, s[14:15]
	s_cbranch_execz .LBB1723_59
; %bb.52:
	s_add_i32 s14, s2, 16
	s_cmp_le_u32 s3, s14
	s_cselect_b64 s[0:1], -1, 0
	s_and_b64 s[16:17], s[0:1], exec
	s_cselect_b32 s15, 8, 10
	s_or_b64 s[0:1], s[0:1], vcc
	s_xor_b64 s[16:17], s[0:1], -1
	v_mov_b32_e32 v22, s15
	s_and_saveexec_b64 s[0:1], s[16:17]
	s_cbranch_execz .LBB1723_54
; %bb.53:
	s_sub_i32 s15, s3, s14
	s_min_u32 s15, s15, 8
	v_lshrrev_b32_e32 v22, s14, v23
	v_bfe_u32 v22, v22, 0, s15
	v_lshlrev_b32_e32 v24, 2, v1
	v_lshl_or_b32 v22, v22, 4, v24
	v_mov_b32_e32 v24, 1
	ds_add_u32 v22, v24 offset:8192
	v_mov_b32_e32 v22, 0
.LBB1723_54:
	s_or_b64 exec, exec, s[0:1]
	v_cmp_gt_i32_e64 s[0:1], 10, v22
	s_mov_b64 s[14:15], -1
	s_and_saveexec_b64 s[16:17], s[0:1]
; %bb.55:
	v_cmp_eq_u32_e64 s[0:1], 0, v22
	s_orn2_b64 s[14:15], s[0:1], exec
; %bb.56:
	s_or_b64 exec, exec, s[16:17]
	s_and_b64 exec, exec, s[14:15]
	s_cbranch_execz .LBB1723_59
; %bb.57:
	s_add_i32 s0, s2, 24
	s_cmp_gt_u32 s3, s0
	s_cselect_b64 s[14:15], -1, 0
	s_xor_b64 s[16:17], vcc, -1
	s_and_b64 s[14:15], s[14:15], s[16:17]
	s_and_b64 exec, exec, s[14:15]
	s_cbranch_execz .LBB1723_59
; %bb.58:
	s_sub_i32 s1, s3, s0
	s_min_u32 s1, s1, 8
	v_lshrrev_b32_e32 v22, s0, v23
	v_bfe_u32 v22, v22, 0, s1
	v_lshlrev_b32_e32 v23, 2, v1
	v_lshl_or_b32 v22, v22, 4, v23
	v_mov_b32_e32 v23, 1
	ds_add_u32 v22, v23 offset:12288
.LBB1723_59:
	s_or_b64 exec, exec, s[6:7]
	v_cmp_le_u32_e32 vcc, s13, v20
	s_or_b64 s[0:1], s[4:5], vcc
	v_xor_b32_e32 v21, 0x80000000, v21
	s_xor_b64 s[6:7], s[0:1], -1
	v_mov_b32_e32 v20, s18
	s_and_saveexec_b64 s[0:1], s[6:7]
	s_cbranch_execz .LBB1723_61
; %bb.60:
	s_sub_i32 s6, s3, s2
	s_min_u32 s6, s6, 8
	v_lshrrev_b32_e32 v20, s2, v21
	v_bfe_u32 v20, v20, 0, s6
	v_lshlrev_b32_e32 v22, 2, v1
	v_lshl_or_b32 v20, v20, 4, v22
	v_mov_b32_e32 v22, 1
	ds_add_u32 v20, v22
	v_mov_b32_e32 v20, 0
.LBB1723_61:
	s_or_b64 exec, exec, s[0:1]
	v_cmp_gt_i32_e64 s[0:1], 10, v20
	s_mov_b64 s[14:15], -1
	s_and_saveexec_b64 s[6:7], s[0:1]
; %bb.62:
	v_cmp_eq_u32_e64 s[0:1], 0, v20
	s_orn2_b64 s[14:15], s[0:1], exec
; %bb.63:
	s_or_b64 exec, exec, s[6:7]
	s_and_saveexec_b64 s[6:7], s[14:15]
	s_cbranch_execz .LBB1723_76
; %bb.64:
	s_add_i32 s14, s2, 8
	s_cmp_le_u32 s3, s14
	s_cselect_b64 s[0:1], -1, 0
	s_and_b64 s[16:17], s[0:1], exec
	s_cselect_b32 s15, 8, 10
	s_or_b64 s[0:1], s[0:1], vcc
	s_xor_b64 s[16:17], s[0:1], -1
	v_mov_b32_e32 v20, s15
	s_and_saveexec_b64 s[0:1], s[16:17]
	s_cbranch_execz .LBB1723_66
; %bb.65:
	s_sub_i32 s15, s3, s14
	s_min_u32 s15, s15, 8
	v_lshrrev_b32_e32 v20, s14, v21
	v_bfe_u32 v20, v20, 0, s15
	v_lshlrev_b32_e32 v22, 2, v1
	v_lshl_or_b32 v20, v20, 4, v22
	v_mov_b32_e32 v22, 1
	ds_add_u32 v20, v22 offset:4096
	v_mov_b32_e32 v20, 0
.LBB1723_66:
	s_or_b64 exec, exec, s[0:1]
	v_cmp_gt_i32_e64 s[0:1], 10, v20
	s_mov_b64 s[14:15], -1
	s_and_saveexec_b64 s[16:17], s[0:1]
; %bb.67:
	v_cmp_eq_u32_e64 s[0:1], 0, v20
	s_orn2_b64 s[14:15], s[0:1], exec
; %bb.68:
	s_or_b64 exec, exec, s[16:17]
	s_and_b64 exec, exec, s[14:15]
	s_cbranch_execz .LBB1723_76
; %bb.69:
	s_add_i32 s14, s2, 16
	s_cmp_le_u32 s3, s14
	s_cselect_b64 s[0:1], -1, 0
	s_and_b64 s[16:17], s[0:1], exec
	s_cselect_b32 s15, 8, 10
	s_or_b64 s[0:1], s[0:1], vcc
	s_xor_b64 s[16:17], s[0:1], -1
	v_mov_b32_e32 v20, s15
	s_and_saveexec_b64 s[0:1], s[16:17]
	s_cbranch_execz .LBB1723_71
; %bb.70:
	s_sub_i32 s15, s3, s14
	s_min_u32 s15, s15, 8
	v_lshrrev_b32_e32 v20, s14, v21
	v_bfe_u32 v20, v20, 0, s15
	v_lshlrev_b32_e32 v22, 2, v1
	v_lshl_or_b32 v20, v20, 4, v22
	v_mov_b32_e32 v22, 1
	ds_add_u32 v20, v22 offset:8192
	v_mov_b32_e32 v20, 0
.LBB1723_71:
	s_or_b64 exec, exec, s[0:1]
	v_cmp_gt_i32_e64 s[0:1], 10, v20
	s_mov_b64 s[14:15], -1
	s_and_saveexec_b64 s[16:17], s[0:1]
; %bb.72:
	v_cmp_eq_u32_e64 s[0:1], 0, v20
	s_orn2_b64 s[14:15], s[0:1], exec
; %bb.73:
	s_or_b64 exec, exec, s[16:17]
	s_and_b64 exec, exec, s[14:15]
	s_cbranch_execz .LBB1723_76
; %bb.74:
	s_add_i32 s0, s2, 24
	s_cmp_gt_u32 s3, s0
	s_cselect_b64 s[14:15], -1, 0
	s_xor_b64 s[16:17], vcc, -1
	s_and_b64 s[14:15], s[14:15], s[16:17]
	s_and_b64 exec, exec, s[14:15]
	s_cbranch_execz .LBB1723_76
; %bb.75:
	s_sub_i32 s1, s3, s0
	s_min_u32 s1, s1, 8
	v_lshrrev_b32_e32 v20, s0, v21
	v_bfe_u32 v20, v20, 0, s1
	v_lshlrev_b32_e32 v21, 2, v1
	v_lshl_or_b32 v20, v20, 4, v21
	v_mov_b32_e32 v21, 1
	ds_add_u32 v20, v21 offset:12288
.LBB1723_76:
	s_or_b64 exec, exec, s[6:7]
	v_cmp_le_u32_e32 vcc, s13, v18
	s_or_b64 s[0:1], s[4:5], vcc
	v_xor_b32_e32 v19, 0x80000000, v19
	s_xor_b64 s[6:7], s[0:1], -1
	v_mov_b32_e32 v18, s18
	s_and_saveexec_b64 s[0:1], s[6:7]
	s_cbranch_execz .LBB1723_78
; %bb.77:
	s_sub_i32 s6, s3, s2
	s_min_u32 s6, s6, 8
	v_lshrrev_b32_e32 v18, s2, v19
	v_bfe_u32 v18, v18, 0, s6
	v_lshlrev_b32_e32 v20, 2, v1
	v_lshl_or_b32 v18, v18, 4, v20
	v_mov_b32_e32 v20, 1
	ds_add_u32 v18, v20
	v_mov_b32_e32 v18, 0
.LBB1723_78:
	s_or_b64 exec, exec, s[0:1]
	v_cmp_gt_i32_e64 s[0:1], 10, v18
	s_mov_b64 s[14:15], -1
	s_and_saveexec_b64 s[6:7], s[0:1]
; %bb.79:
	v_cmp_eq_u32_e64 s[0:1], 0, v18
	s_orn2_b64 s[14:15], s[0:1], exec
; %bb.80:
	s_or_b64 exec, exec, s[6:7]
	s_and_saveexec_b64 s[6:7], s[14:15]
	s_cbranch_execz .LBB1723_93
; %bb.81:
	s_add_i32 s14, s2, 8
	s_cmp_le_u32 s3, s14
	s_cselect_b64 s[0:1], -1, 0
	s_and_b64 s[16:17], s[0:1], exec
	s_cselect_b32 s15, 8, 10
	s_or_b64 s[0:1], s[0:1], vcc
	s_xor_b64 s[16:17], s[0:1], -1
	v_mov_b32_e32 v18, s15
	s_and_saveexec_b64 s[0:1], s[16:17]
	s_cbranch_execz .LBB1723_83
; %bb.82:
	s_sub_i32 s15, s3, s14
	s_min_u32 s15, s15, 8
	v_lshrrev_b32_e32 v18, s14, v19
	v_bfe_u32 v18, v18, 0, s15
	v_lshlrev_b32_e32 v20, 2, v1
	v_lshl_or_b32 v18, v18, 4, v20
	v_mov_b32_e32 v20, 1
	ds_add_u32 v18, v20 offset:4096
	v_mov_b32_e32 v18, 0
.LBB1723_83:
	s_or_b64 exec, exec, s[0:1]
	v_cmp_gt_i32_e64 s[0:1], 10, v18
	s_mov_b64 s[14:15], -1
	s_and_saveexec_b64 s[16:17], s[0:1]
; %bb.84:
	v_cmp_eq_u32_e64 s[0:1], 0, v18
	s_orn2_b64 s[14:15], s[0:1], exec
; %bb.85:
	s_or_b64 exec, exec, s[16:17]
	s_and_b64 exec, exec, s[14:15]
	s_cbranch_execz .LBB1723_93
; %bb.86:
	s_add_i32 s14, s2, 16
	s_cmp_le_u32 s3, s14
	s_cselect_b64 s[0:1], -1, 0
	s_and_b64 s[16:17], s[0:1], exec
	s_cselect_b32 s15, 8, 10
	s_or_b64 s[0:1], s[0:1], vcc
	s_xor_b64 s[16:17], s[0:1], -1
	v_mov_b32_e32 v18, s15
	s_and_saveexec_b64 s[0:1], s[16:17]
	s_cbranch_execz .LBB1723_88
; %bb.87:
	s_sub_i32 s15, s3, s14
	s_min_u32 s15, s15, 8
	v_lshrrev_b32_e32 v18, s14, v19
	v_bfe_u32 v18, v18, 0, s15
	v_lshlrev_b32_e32 v20, 2, v1
	v_lshl_or_b32 v18, v18, 4, v20
	v_mov_b32_e32 v20, 1
	ds_add_u32 v18, v20 offset:8192
	v_mov_b32_e32 v18, 0
.LBB1723_88:
	s_or_b64 exec, exec, s[0:1]
	v_cmp_gt_i32_e64 s[0:1], 10, v18
	s_mov_b64 s[14:15], -1
	s_and_saveexec_b64 s[16:17], s[0:1]
; %bb.89:
	v_cmp_eq_u32_e64 s[0:1], 0, v18
	s_orn2_b64 s[14:15], s[0:1], exec
; %bb.90:
	s_or_b64 exec, exec, s[16:17]
	s_and_b64 exec, exec, s[14:15]
	s_cbranch_execz .LBB1723_93
; %bb.91:
	s_add_i32 s0, s2, 24
	s_cmp_gt_u32 s3, s0
	s_cselect_b64 s[14:15], -1, 0
	s_xor_b64 s[16:17], vcc, -1
	s_and_b64 s[14:15], s[14:15], s[16:17]
	s_and_b64 exec, exec, s[14:15]
	s_cbranch_execz .LBB1723_93
; %bb.92:
	s_sub_i32 s1, s3, s0
	s_min_u32 s1, s1, 8
	v_lshrrev_b32_e32 v18, s0, v19
	v_bfe_u32 v18, v18, 0, s1
	v_lshlrev_b32_e32 v19, 2, v1
	v_lshl_or_b32 v18, v18, 4, v19
	v_mov_b32_e32 v19, 1
	ds_add_u32 v18, v19 offset:12288
.LBB1723_93:
	s_or_b64 exec, exec, s[6:7]
	v_cmp_le_u32_e32 vcc, s13, v16
	s_or_b64 s[0:1], s[4:5], vcc
	v_xor_b32_e32 v17, 0x80000000, v17
	s_xor_b64 s[6:7], s[0:1], -1
	v_mov_b32_e32 v16, s18
	s_and_saveexec_b64 s[0:1], s[6:7]
	s_cbranch_execz .LBB1723_95
; %bb.94:
	s_sub_i32 s6, s3, s2
	s_min_u32 s6, s6, 8
	v_lshrrev_b32_e32 v16, s2, v17
	v_bfe_u32 v16, v16, 0, s6
	v_lshlrev_b32_e32 v18, 2, v1
	v_lshl_or_b32 v16, v16, 4, v18
	v_mov_b32_e32 v18, 1
	ds_add_u32 v16, v18
	v_mov_b32_e32 v16, 0
.LBB1723_95:
	s_or_b64 exec, exec, s[0:1]
	v_cmp_gt_i32_e64 s[0:1], 10, v16
	s_mov_b64 s[14:15], -1
	s_and_saveexec_b64 s[6:7], s[0:1]
; %bb.96:
	v_cmp_eq_u32_e64 s[0:1], 0, v16
	s_orn2_b64 s[14:15], s[0:1], exec
; %bb.97:
	s_or_b64 exec, exec, s[6:7]
	s_and_saveexec_b64 s[6:7], s[14:15]
	s_cbranch_execz .LBB1723_110
; %bb.98:
	s_add_i32 s14, s2, 8
	s_cmp_le_u32 s3, s14
	s_cselect_b64 s[0:1], -1, 0
	s_and_b64 s[16:17], s[0:1], exec
	s_cselect_b32 s15, 8, 10
	s_or_b64 s[0:1], s[0:1], vcc
	s_xor_b64 s[16:17], s[0:1], -1
	v_mov_b32_e32 v16, s15
	s_and_saveexec_b64 s[0:1], s[16:17]
	s_cbranch_execz .LBB1723_100
; %bb.99:
	s_sub_i32 s15, s3, s14
	s_min_u32 s15, s15, 8
	v_lshrrev_b32_e32 v16, s14, v17
	v_bfe_u32 v16, v16, 0, s15
	v_lshlrev_b32_e32 v18, 2, v1
	v_lshl_or_b32 v16, v16, 4, v18
	v_mov_b32_e32 v18, 1
	ds_add_u32 v16, v18 offset:4096
	v_mov_b32_e32 v16, 0
.LBB1723_100:
	s_or_b64 exec, exec, s[0:1]
	v_cmp_gt_i32_e64 s[0:1], 10, v16
	s_mov_b64 s[14:15], -1
	s_and_saveexec_b64 s[16:17], s[0:1]
; %bb.101:
	v_cmp_eq_u32_e64 s[0:1], 0, v16
	s_orn2_b64 s[14:15], s[0:1], exec
; %bb.102:
	s_or_b64 exec, exec, s[16:17]
	s_and_b64 exec, exec, s[14:15]
	s_cbranch_execz .LBB1723_110
; %bb.103:
	s_add_i32 s14, s2, 16
	s_cmp_le_u32 s3, s14
	s_cselect_b64 s[0:1], -1, 0
	s_and_b64 s[16:17], s[0:1], exec
	s_cselect_b32 s15, 8, 10
	s_or_b64 s[0:1], s[0:1], vcc
	s_xor_b64 s[16:17], s[0:1], -1
	v_mov_b32_e32 v16, s15
	s_and_saveexec_b64 s[0:1], s[16:17]
	s_cbranch_execz .LBB1723_105
; %bb.104:
	s_sub_i32 s15, s3, s14
	s_min_u32 s15, s15, 8
	v_lshrrev_b32_e32 v16, s14, v17
	v_bfe_u32 v16, v16, 0, s15
	v_lshlrev_b32_e32 v18, 2, v1
	v_lshl_or_b32 v16, v16, 4, v18
	v_mov_b32_e32 v18, 1
	ds_add_u32 v16, v18 offset:8192
	v_mov_b32_e32 v16, 0
.LBB1723_105:
	s_or_b64 exec, exec, s[0:1]
	v_cmp_gt_i32_e64 s[0:1], 10, v16
	s_mov_b64 s[14:15], -1
	s_and_saveexec_b64 s[16:17], s[0:1]
; %bb.106:
	v_cmp_eq_u32_e64 s[0:1], 0, v16
	s_orn2_b64 s[14:15], s[0:1], exec
; %bb.107:
	s_or_b64 exec, exec, s[16:17]
	s_and_b64 exec, exec, s[14:15]
	s_cbranch_execz .LBB1723_110
; %bb.108:
	s_add_i32 s0, s2, 24
	s_cmp_gt_u32 s3, s0
	s_cselect_b64 s[14:15], -1, 0
	s_xor_b64 s[16:17], vcc, -1
	s_and_b64 s[14:15], s[14:15], s[16:17]
	s_and_b64 exec, exec, s[14:15]
	s_cbranch_execz .LBB1723_110
; %bb.109:
	s_sub_i32 s1, s3, s0
	s_min_u32 s1, s1, 8
	v_lshrrev_b32_e32 v16, s0, v17
	v_bfe_u32 v16, v16, 0, s1
	v_lshlrev_b32_e32 v17, 2, v1
	v_lshl_or_b32 v16, v16, 4, v17
	v_mov_b32_e32 v17, 1
	ds_add_u32 v16, v17 offset:12288
.LBB1723_110:
	s_or_b64 exec, exec, s[6:7]
	v_cmp_le_u32_e32 vcc, s13, v14
	s_or_b64 s[0:1], s[4:5], vcc
	v_xor_b32_e32 v15, 0x80000000, v15
	s_xor_b64 s[6:7], s[0:1], -1
	v_mov_b32_e32 v14, s18
	s_and_saveexec_b64 s[0:1], s[6:7]
	s_cbranch_execz .LBB1723_112
; %bb.111:
	s_sub_i32 s6, s3, s2
	s_min_u32 s6, s6, 8
	v_lshrrev_b32_e32 v14, s2, v15
	v_bfe_u32 v14, v14, 0, s6
	v_lshlrev_b32_e32 v16, 2, v1
	v_lshl_or_b32 v14, v14, 4, v16
	v_mov_b32_e32 v16, 1
	ds_add_u32 v14, v16
	v_mov_b32_e32 v14, 0
.LBB1723_112:
	s_or_b64 exec, exec, s[0:1]
	v_cmp_gt_i32_e64 s[0:1], 10, v14
	s_mov_b64 s[14:15], -1
	s_and_saveexec_b64 s[6:7], s[0:1]
; %bb.113:
	v_cmp_eq_u32_e64 s[0:1], 0, v14
	s_orn2_b64 s[14:15], s[0:1], exec
; %bb.114:
	s_or_b64 exec, exec, s[6:7]
	s_and_saveexec_b64 s[6:7], s[14:15]
	s_cbranch_execz .LBB1723_127
; %bb.115:
	s_add_i32 s14, s2, 8
	s_cmp_le_u32 s3, s14
	s_cselect_b64 s[0:1], -1, 0
	s_and_b64 s[16:17], s[0:1], exec
	s_cselect_b32 s15, 8, 10
	s_or_b64 s[0:1], s[0:1], vcc
	s_xor_b64 s[16:17], s[0:1], -1
	v_mov_b32_e32 v14, s15
	s_and_saveexec_b64 s[0:1], s[16:17]
	s_cbranch_execz .LBB1723_117
; %bb.116:
	s_sub_i32 s15, s3, s14
	s_min_u32 s15, s15, 8
	v_lshrrev_b32_e32 v14, s14, v15
	v_bfe_u32 v14, v14, 0, s15
	v_lshlrev_b32_e32 v16, 2, v1
	v_lshl_or_b32 v14, v14, 4, v16
	v_mov_b32_e32 v16, 1
	ds_add_u32 v14, v16 offset:4096
	v_mov_b32_e32 v14, 0
.LBB1723_117:
	s_or_b64 exec, exec, s[0:1]
	v_cmp_gt_i32_e64 s[0:1], 10, v14
	s_mov_b64 s[14:15], -1
	s_and_saveexec_b64 s[16:17], s[0:1]
; %bb.118:
	v_cmp_eq_u32_e64 s[0:1], 0, v14
	s_orn2_b64 s[14:15], s[0:1], exec
; %bb.119:
	s_or_b64 exec, exec, s[16:17]
	s_and_b64 exec, exec, s[14:15]
	s_cbranch_execz .LBB1723_127
; %bb.120:
	s_add_i32 s14, s2, 16
	s_cmp_le_u32 s3, s14
	s_cselect_b64 s[0:1], -1, 0
	s_and_b64 s[16:17], s[0:1], exec
	s_cselect_b32 s15, 8, 10
	s_or_b64 s[0:1], s[0:1], vcc
	s_xor_b64 s[16:17], s[0:1], -1
	v_mov_b32_e32 v14, s15
	s_and_saveexec_b64 s[0:1], s[16:17]
	s_cbranch_execz .LBB1723_122
; %bb.121:
	s_sub_i32 s15, s3, s14
	s_min_u32 s15, s15, 8
	v_lshrrev_b32_e32 v14, s14, v15
	v_bfe_u32 v14, v14, 0, s15
	v_lshlrev_b32_e32 v16, 2, v1
	v_lshl_or_b32 v14, v14, 4, v16
	v_mov_b32_e32 v16, 1
	ds_add_u32 v14, v16 offset:8192
	v_mov_b32_e32 v14, 0
.LBB1723_122:
	s_or_b64 exec, exec, s[0:1]
	v_cmp_gt_i32_e64 s[0:1], 10, v14
	s_mov_b64 s[14:15], -1
	s_and_saveexec_b64 s[16:17], s[0:1]
; %bb.123:
	v_cmp_eq_u32_e64 s[0:1], 0, v14
	s_orn2_b64 s[14:15], s[0:1], exec
; %bb.124:
	s_or_b64 exec, exec, s[16:17]
	s_and_b64 exec, exec, s[14:15]
	s_cbranch_execz .LBB1723_127
; %bb.125:
	s_add_i32 s0, s2, 24
	s_cmp_gt_u32 s3, s0
	s_cselect_b64 s[14:15], -1, 0
	s_xor_b64 s[16:17], vcc, -1
	s_and_b64 s[14:15], s[14:15], s[16:17]
	s_and_b64 exec, exec, s[14:15]
	s_cbranch_execz .LBB1723_127
; %bb.126:
	s_sub_i32 s1, s3, s0
	s_min_u32 s1, s1, 8
	v_lshrrev_b32_e32 v14, s0, v15
	v_bfe_u32 v14, v14, 0, s1
	v_lshlrev_b32_e32 v15, 2, v1
	v_lshl_or_b32 v14, v14, 4, v15
	v_mov_b32_e32 v15, 1
	ds_add_u32 v14, v15 offset:12288
.LBB1723_127:
	s_or_b64 exec, exec, s[6:7]
	v_cmp_le_u32_e32 vcc, s13, v12
	s_or_b64 s[0:1], s[4:5], vcc
	v_xor_b32_e32 v13, 0x80000000, v13
	s_xor_b64 s[6:7], s[0:1], -1
	v_mov_b32_e32 v12, s18
	s_and_saveexec_b64 s[0:1], s[6:7]
	s_cbranch_execz .LBB1723_129
; %bb.128:
	s_sub_i32 s6, s3, s2
	s_min_u32 s6, s6, 8
	v_lshrrev_b32_e32 v12, s2, v13
	v_bfe_u32 v12, v12, 0, s6
	v_lshlrev_b32_e32 v14, 2, v1
	v_lshl_or_b32 v12, v12, 4, v14
	v_mov_b32_e32 v14, 1
	ds_add_u32 v12, v14
	v_mov_b32_e32 v12, 0
.LBB1723_129:
	s_or_b64 exec, exec, s[0:1]
	v_cmp_gt_i32_e64 s[0:1], 10, v12
	s_mov_b64 s[14:15], -1
	s_and_saveexec_b64 s[6:7], s[0:1]
; %bb.130:
	v_cmp_eq_u32_e64 s[0:1], 0, v12
	s_orn2_b64 s[14:15], s[0:1], exec
; %bb.131:
	s_or_b64 exec, exec, s[6:7]
	s_and_saveexec_b64 s[6:7], s[14:15]
	s_cbranch_execz .LBB1723_144
; %bb.132:
	s_add_i32 s14, s2, 8
	s_cmp_le_u32 s3, s14
	s_cselect_b64 s[0:1], -1, 0
	s_and_b64 s[16:17], s[0:1], exec
	s_cselect_b32 s15, 8, 10
	s_or_b64 s[0:1], s[0:1], vcc
	s_xor_b64 s[16:17], s[0:1], -1
	v_mov_b32_e32 v12, s15
	s_and_saveexec_b64 s[0:1], s[16:17]
	s_cbranch_execz .LBB1723_134
; %bb.133:
	s_sub_i32 s15, s3, s14
	s_min_u32 s15, s15, 8
	v_lshrrev_b32_e32 v12, s14, v13
	v_bfe_u32 v12, v12, 0, s15
	v_lshlrev_b32_e32 v14, 2, v1
	v_lshl_or_b32 v12, v12, 4, v14
	v_mov_b32_e32 v14, 1
	ds_add_u32 v12, v14 offset:4096
	v_mov_b32_e32 v12, 0
.LBB1723_134:
	s_or_b64 exec, exec, s[0:1]
	v_cmp_gt_i32_e64 s[0:1], 10, v12
	s_mov_b64 s[14:15], -1
	s_and_saveexec_b64 s[16:17], s[0:1]
; %bb.135:
	v_cmp_eq_u32_e64 s[0:1], 0, v12
	s_orn2_b64 s[14:15], s[0:1], exec
; %bb.136:
	s_or_b64 exec, exec, s[16:17]
	s_and_b64 exec, exec, s[14:15]
	s_cbranch_execz .LBB1723_144
; %bb.137:
	s_add_i32 s14, s2, 16
	s_cmp_le_u32 s3, s14
	s_cselect_b64 s[0:1], -1, 0
	s_and_b64 s[16:17], s[0:1], exec
	s_cselect_b32 s15, 8, 10
	s_or_b64 s[0:1], s[0:1], vcc
	s_xor_b64 s[16:17], s[0:1], -1
	v_mov_b32_e32 v12, s15
	s_and_saveexec_b64 s[0:1], s[16:17]
	s_cbranch_execz .LBB1723_139
; %bb.138:
	s_sub_i32 s15, s3, s14
	s_min_u32 s15, s15, 8
	v_lshrrev_b32_e32 v12, s14, v13
	v_bfe_u32 v12, v12, 0, s15
	v_lshlrev_b32_e32 v14, 2, v1
	v_lshl_or_b32 v12, v12, 4, v14
	v_mov_b32_e32 v14, 1
	ds_add_u32 v12, v14 offset:8192
	v_mov_b32_e32 v12, 0
.LBB1723_139:
	s_or_b64 exec, exec, s[0:1]
	v_cmp_gt_i32_e64 s[0:1], 10, v12
	s_mov_b64 s[14:15], -1
	s_and_saveexec_b64 s[16:17], s[0:1]
; %bb.140:
	v_cmp_eq_u32_e64 s[0:1], 0, v12
	s_orn2_b64 s[14:15], s[0:1], exec
; %bb.141:
	s_or_b64 exec, exec, s[16:17]
	s_and_b64 exec, exec, s[14:15]
	s_cbranch_execz .LBB1723_144
; %bb.142:
	s_add_i32 s0, s2, 24
	s_cmp_gt_u32 s3, s0
	s_cselect_b64 s[14:15], -1, 0
	s_xor_b64 s[16:17], vcc, -1
	s_and_b64 s[14:15], s[14:15], s[16:17]
	s_and_b64 exec, exec, s[14:15]
	s_cbranch_execz .LBB1723_144
; %bb.143:
	s_sub_i32 s1, s3, s0
	s_min_u32 s1, s1, 8
	v_lshrrev_b32_e32 v12, s0, v13
	v_bfe_u32 v12, v12, 0, s1
	v_lshlrev_b32_e32 v13, 2, v1
	v_lshl_or_b32 v12, v12, 4, v13
	v_mov_b32_e32 v13, 1
	ds_add_u32 v12, v13 offset:12288
.LBB1723_144:
	s_or_b64 exec, exec, s[6:7]
	v_cmp_le_u32_e32 vcc, s13, v10
	s_or_b64 s[0:1], s[4:5], vcc
	v_xor_b32_e32 v11, 0x80000000, v11
	s_xor_b64 s[6:7], s[0:1], -1
	v_mov_b32_e32 v10, s18
	s_and_saveexec_b64 s[0:1], s[6:7]
	s_cbranch_execz .LBB1723_146
; %bb.145:
	s_sub_i32 s6, s3, s2
	s_min_u32 s6, s6, 8
	v_lshrrev_b32_e32 v10, s2, v11
	v_bfe_u32 v10, v10, 0, s6
	v_lshlrev_b32_e32 v12, 2, v1
	v_lshl_or_b32 v10, v10, 4, v12
	v_mov_b32_e32 v12, 1
	ds_add_u32 v10, v12
	v_mov_b32_e32 v10, 0
.LBB1723_146:
	s_or_b64 exec, exec, s[0:1]
	v_cmp_gt_i32_e64 s[0:1], 10, v10
	s_mov_b64 s[14:15], -1
	s_and_saveexec_b64 s[6:7], s[0:1]
; %bb.147:
	v_cmp_eq_u32_e64 s[0:1], 0, v10
	s_orn2_b64 s[14:15], s[0:1], exec
; %bb.148:
	s_or_b64 exec, exec, s[6:7]
	s_and_saveexec_b64 s[6:7], s[14:15]
	s_cbranch_execz .LBB1723_161
; %bb.149:
	s_add_i32 s14, s2, 8
	s_cmp_le_u32 s3, s14
	s_cselect_b64 s[0:1], -1, 0
	s_and_b64 s[16:17], s[0:1], exec
	s_cselect_b32 s15, 8, 10
	s_or_b64 s[0:1], s[0:1], vcc
	s_xor_b64 s[16:17], s[0:1], -1
	v_mov_b32_e32 v10, s15
	s_and_saveexec_b64 s[0:1], s[16:17]
	s_cbranch_execz .LBB1723_151
; %bb.150:
	s_sub_i32 s15, s3, s14
	s_min_u32 s15, s15, 8
	v_lshrrev_b32_e32 v10, s14, v11
	v_bfe_u32 v10, v10, 0, s15
	v_lshlrev_b32_e32 v12, 2, v1
	v_lshl_or_b32 v10, v10, 4, v12
	v_mov_b32_e32 v12, 1
	ds_add_u32 v10, v12 offset:4096
	v_mov_b32_e32 v10, 0
.LBB1723_151:
	s_or_b64 exec, exec, s[0:1]
	v_cmp_gt_i32_e64 s[0:1], 10, v10
	s_mov_b64 s[14:15], -1
	s_and_saveexec_b64 s[16:17], s[0:1]
; %bb.152:
	v_cmp_eq_u32_e64 s[0:1], 0, v10
	s_orn2_b64 s[14:15], s[0:1], exec
; %bb.153:
	s_or_b64 exec, exec, s[16:17]
	s_and_b64 exec, exec, s[14:15]
	s_cbranch_execz .LBB1723_161
; %bb.154:
	s_add_i32 s14, s2, 16
	s_cmp_le_u32 s3, s14
	s_cselect_b64 s[0:1], -1, 0
	s_and_b64 s[16:17], s[0:1], exec
	s_cselect_b32 s15, 8, 10
	s_or_b64 s[0:1], s[0:1], vcc
	s_xor_b64 s[16:17], s[0:1], -1
	v_mov_b32_e32 v10, s15
	s_and_saveexec_b64 s[0:1], s[16:17]
	s_cbranch_execz .LBB1723_156
; %bb.155:
	s_sub_i32 s15, s3, s14
	s_min_u32 s15, s15, 8
	v_lshrrev_b32_e32 v10, s14, v11
	v_bfe_u32 v10, v10, 0, s15
	v_lshlrev_b32_e32 v12, 2, v1
	v_lshl_or_b32 v10, v10, 4, v12
	v_mov_b32_e32 v12, 1
	ds_add_u32 v10, v12 offset:8192
	v_mov_b32_e32 v10, 0
.LBB1723_156:
	s_or_b64 exec, exec, s[0:1]
	v_cmp_gt_i32_e64 s[0:1], 10, v10
	s_mov_b64 s[14:15], -1
	s_and_saveexec_b64 s[16:17], s[0:1]
; %bb.157:
	v_cmp_eq_u32_e64 s[0:1], 0, v10
	s_orn2_b64 s[14:15], s[0:1], exec
; %bb.158:
	s_or_b64 exec, exec, s[16:17]
	s_and_b64 exec, exec, s[14:15]
	s_cbranch_execz .LBB1723_161
; %bb.159:
	s_add_i32 s0, s2, 24
	s_cmp_gt_u32 s3, s0
	s_cselect_b64 s[14:15], -1, 0
	s_xor_b64 s[16:17], vcc, -1
	s_and_b64 s[14:15], s[14:15], s[16:17]
	s_and_b64 exec, exec, s[14:15]
	s_cbranch_execz .LBB1723_161
; %bb.160:
	s_sub_i32 s1, s3, s0
	s_min_u32 s1, s1, 8
	v_lshrrev_b32_e32 v10, s0, v11
	v_bfe_u32 v10, v10, 0, s1
	v_lshlrev_b32_e32 v11, 2, v1
	v_lshl_or_b32 v10, v10, 4, v11
	v_mov_b32_e32 v11, 1
	ds_add_u32 v10, v11 offset:12288
.LBB1723_161:
	s_or_b64 exec, exec, s[6:7]
	v_cmp_le_u32_e32 vcc, s13, v8
	s_or_b64 s[0:1], s[4:5], vcc
	v_xor_b32_e32 v9, 0x80000000, v9
	s_xor_b64 s[6:7], s[0:1], -1
	v_mov_b32_e32 v8, s18
	s_and_saveexec_b64 s[0:1], s[6:7]
	s_cbranch_execz .LBB1723_163
; %bb.162:
	s_sub_i32 s6, s3, s2
	s_min_u32 s6, s6, 8
	v_lshrrev_b32_e32 v8, s2, v9
	v_bfe_u32 v8, v8, 0, s6
	v_lshlrev_b32_e32 v10, 2, v1
	v_lshl_or_b32 v8, v8, 4, v10
	v_mov_b32_e32 v10, 1
	ds_add_u32 v8, v10
	v_mov_b32_e32 v8, 0
.LBB1723_163:
	s_or_b64 exec, exec, s[0:1]
	v_cmp_gt_i32_e64 s[0:1], 10, v8
	s_mov_b64 s[14:15], -1
	s_and_saveexec_b64 s[6:7], s[0:1]
; %bb.164:
	v_cmp_eq_u32_e64 s[0:1], 0, v8
	s_orn2_b64 s[14:15], s[0:1], exec
; %bb.165:
	s_or_b64 exec, exec, s[6:7]
	s_and_saveexec_b64 s[6:7], s[14:15]
	s_cbranch_execz .LBB1723_178
; %bb.166:
	s_add_i32 s14, s2, 8
	s_cmp_le_u32 s3, s14
	s_cselect_b64 s[0:1], -1, 0
	s_and_b64 s[16:17], s[0:1], exec
	s_cselect_b32 s15, 8, 10
	s_or_b64 s[0:1], s[0:1], vcc
	s_xor_b64 s[16:17], s[0:1], -1
	v_mov_b32_e32 v8, s15
	s_and_saveexec_b64 s[0:1], s[16:17]
	s_cbranch_execz .LBB1723_168
; %bb.167:
	s_sub_i32 s15, s3, s14
	s_min_u32 s15, s15, 8
	v_lshrrev_b32_e32 v8, s14, v9
	v_bfe_u32 v8, v8, 0, s15
	v_lshlrev_b32_e32 v10, 2, v1
	v_lshl_or_b32 v8, v8, 4, v10
	v_mov_b32_e32 v10, 1
	ds_add_u32 v8, v10 offset:4096
	v_mov_b32_e32 v8, 0
.LBB1723_168:
	s_or_b64 exec, exec, s[0:1]
	v_cmp_gt_i32_e64 s[0:1], 10, v8
	s_mov_b64 s[14:15], -1
	s_and_saveexec_b64 s[16:17], s[0:1]
; %bb.169:
	v_cmp_eq_u32_e64 s[0:1], 0, v8
	s_orn2_b64 s[14:15], s[0:1], exec
; %bb.170:
	s_or_b64 exec, exec, s[16:17]
	s_and_b64 exec, exec, s[14:15]
	s_cbranch_execz .LBB1723_178
; %bb.171:
	s_add_i32 s14, s2, 16
	s_cmp_le_u32 s3, s14
	s_cselect_b64 s[0:1], -1, 0
	s_and_b64 s[16:17], s[0:1], exec
	s_cselect_b32 s15, 8, 10
	s_or_b64 s[0:1], s[0:1], vcc
	s_xor_b64 s[16:17], s[0:1], -1
	v_mov_b32_e32 v8, s15
	s_and_saveexec_b64 s[0:1], s[16:17]
	s_cbranch_execz .LBB1723_173
; %bb.172:
	s_sub_i32 s15, s3, s14
	s_min_u32 s15, s15, 8
	v_lshrrev_b32_e32 v8, s14, v9
	v_bfe_u32 v8, v8, 0, s15
	v_lshlrev_b32_e32 v10, 2, v1
	v_lshl_or_b32 v8, v8, 4, v10
	v_mov_b32_e32 v10, 1
	ds_add_u32 v8, v10 offset:8192
	v_mov_b32_e32 v8, 0
.LBB1723_173:
	s_or_b64 exec, exec, s[0:1]
	v_cmp_gt_i32_e64 s[0:1], 10, v8
	s_mov_b64 s[14:15], -1
	s_and_saveexec_b64 s[16:17], s[0:1]
; %bb.174:
	v_cmp_eq_u32_e64 s[0:1], 0, v8
	s_orn2_b64 s[14:15], s[0:1], exec
; %bb.175:
	s_or_b64 exec, exec, s[16:17]
	s_and_b64 exec, exec, s[14:15]
	s_cbranch_execz .LBB1723_178
; %bb.176:
	s_add_i32 s0, s2, 24
	s_cmp_gt_u32 s3, s0
	s_cselect_b64 s[14:15], -1, 0
	s_xor_b64 s[16:17], vcc, -1
	s_and_b64 s[14:15], s[14:15], s[16:17]
	s_and_b64 exec, exec, s[14:15]
	s_cbranch_execz .LBB1723_178
; %bb.177:
	s_sub_i32 s1, s3, s0
	s_min_u32 s1, s1, 8
	v_lshrrev_b32_e32 v8, s0, v9
	v_bfe_u32 v8, v8, 0, s1
	v_lshlrev_b32_e32 v9, 2, v1
	v_lshl_or_b32 v8, v8, 4, v9
	v_mov_b32_e32 v9, 1
	ds_add_u32 v8, v9 offset:12288
.LBB1723_178:
	s_or_b64 exec, exec, s[6:7]
	v_cmp_le_u32_e32 vcc, s13, v6
	s_or_b64 s[0:1], s[4:5], vcc
	v_xor_b32_e32 v7, 0x80000000, v7
	s_xor_b64 s[6:7], s[0:1], -1
	v_mov_b32_e32 v6, s18
	s_and_saveexec_b64 s[0:1], s[6:7]
	s_cbranch_execz .LBB1723_180
; %bb.179:
	s_sub_i32 s6, s3, s2
	s_min_u32 s6, s6, 8
	v_lshrrev_b32_e32 v6, s2, v7
	v_bfe_u32 v6, v6, 0, s6
	v_lshlrev_b32_e32 v8, 2, v1
	v_lshl_or_b32 v6, v6, 4, v8
	v_mov_b32_e32 v8, 1
	ds_add_u32 v6, v8
	v_mov_b32_e32 v6, 0
.LBB1723_180:
	s_or_b64 exec, exec, s[0:1]
	v_cmp_gt_i32_e64 s[0:1], 10, v6
	s_mov_b64 s[14:15], -1
	s_and_saveexec_b64 s[6:7], s[0:1]
; %bb.181:
	v_cmp_eq_u32_e64 s[0:1], 0, v6
	s_orn2_b64 s[14:15], s[0:1], exec
; %bb.182:
	s_or_b64 exec, exec, s[6:7]
	s_and_saveexec_b64 s[6:7], s[14:15]
	s_cbranch_execz .LBB1723_195
; %bb.183:
	s_add_i32 s14, s2, 8
	s_cmp_le_u32 s3, s14
	s_cselect_b64 s[0:1], -1, 0
	s_and_b64 s[16:17], s[0:1], exec
	s_cselect_b32 s15, 8, 10
	s_or_b64 s[0:1], s[0:1], vcc
	s_xor_b64 s[16:17], s[0:1], -1
	v_mov_b32_e32 v6, s15
	s_and_saveexec_b64 s[0:1], s[16:17]
	s_cbranch_execz .LBB1723_185
; %bb.184:
	s_sub_i32 s15, s3, s14
	s_min_u32 s15, s15, 8
	v_lshrrev_b32_e32 v6, s14, v7
	v_bfe_u32 v6, v6, 0, s15
	v_lshlrev_b32_e32 v8, 2, v1
	v_lshl_or_b32 v6, v6, 4, v8
	v_mov_b32_e32 v8, 1
	ds_add_u32 v6, v8 offset:4096
	v_mov_b32_e32 v6, 0
.LBB1723_185:
	s_or_b64 exec, exec, s[0:1]
	v_cmp_gt_i32_e64 s[0:1], 10, v6
	s_mov_b64 s[14:15], -1
	s_and_saveexec_b64 s[16:17], s[0:1]
; %bb.186:
	v_cmp_eq_u32_e64 s[0:1], 0, v6
	s_orn2_b64 s[14:15], s[0:1], exec
; %bb.187:
	s_or_b64 exec, exec, s[16:17]
	s_and_b64 exec, exec, s[14:15]
	s_cbranch_execz .LBB1723_195
; %bb.188:
	s_add_i32 s14, s2, 16
	s_cmp_le_u32 s3, s14
	s_cselect_b64 s[0:1], -1, 0
	s_and_b64 s[16:17], s[0:1], exec
	s_cselect_b32 s15, 8, 10
	s_or_b64 s[0:1], s[0:1], vcc
	s_xor_b64 s[16:17], s[0:1], -1
	v_mov_b32_e32 v6, s15
	s_and_saveexec_b64 s[0:1], s[16:17]
	s_cbranch_execz .LBB1723_190
; %bb.189:
	s_sub_i32 s15, s3, s14
	s_min_u32 s15, s15, 8
	v_lshrrev_b32_e32 v6, s14, v7
	v_bfe_u32 v6, v6, 0, s15
	v_lshlrev_b32_e32 v8, 2, v1
	v_lshl_or_b32 v6, v6, 4, v8
	v_mov_b32_e32 v8, 1
	ds_add_u32 v6, v8 offset:8192
	v_mov_b32_e32 v6, 0
.LBB1723_190:
	s_or_b64 exec, exec, s[0:1]
	v_cmp_gt_i32_e64 s[0:1], 10, v6
	s_mov_b64 s[14:15], -1
	s_and_saveexec_b64 s[16:17], s[0:1]
; %bb.191:
	v_cmp_eq_u32_e64 s[0:1], 0, v6
	s_orn2_b64 s[14:15], s[0:1], exec
; %bb.192:
	s_or_b64 exec, exec, s[16:17]
	s_and_b64 exec, exec, s[14:15]
	s_cbranch_execz .LBB1723_195
; %bb.193:
	s_add_i32 s0, s2, 24
	s_cmp_gt_u32 s3, s0
	s_cselect_b64 s[14:15], -1, 0
	s_xor_b64 s[16:17], vcc, -1
	s_and_b64 s[14:15], s[14:15], s[16:17]
	s_and_b64 exec, exec, s[14:15]
	s_cbranch_execz .LBB1723_195
; %bb.194:
	s_sub_i32 s1, s3, s0
	s_min_u32 s1, s1, 8
	v_lshrrev_b32_e32 v6, s0, v7
	v_bfe_u32 v6, v6, 0, s1
	v_lshlrev_b32_e32 v7, 2, v1
	v_lshl_or_b32 v6, v6, 4, v7
	v_mov_b32_e32 v7, 1
	ds_add_u32 v6, v7 offset:12288
.LBB1723_195:
	s_or_b64 exec, exec, s[6:7]
	v_cmp_le_u32_e32 vcc, s13, v4
	s_or_b64 s[0:1], s[4:5], vcc
	v_xor_b32_e32 v5, 0x80000000, v5
	s_xor_b64 s[6:7], s[0:1], -1
	v_mov_b32_e32 v4, s18
	s_and_saveexec_b64 s[0:1], s[6:7]
	s_cbranch_execz .LBB1723_197
; %bb.196:
	s_sub_i32 s6, s3, s2
	s_min_u32 s6, s6, 8
	v_lshrrev_b32_e32 v4, s2, v5
	v_bfe_u32 v4, v4, 0, s6
	v_lshlrev_b32_e32 v6, 2, v1
	v_lshl_or_b32 v4, v4, 4, v6
	v_mov_b32_e32 v6, 1
	ds_add_u32 v4, v6
	v_mov_b32_e32 v4, 0
.LBB1723_197:
	s_or_b64 exec, exec, s[0:1]
	v_cmp_gt_i32_e64 s[0:1], 10, v4
	s_mov_b64 s[14:15], -1
	s_and_saveexec_b64 s[6:7], s[0:1]
; %bb.198:
	v_cmp_eq_u32_e64 s[0:1], 0, v4
	s_orn2_b64 s[14:15], s[0:1], exec
; %bb.199:
	s_or_b64 exec, exec, s[6:7]
	s_and_saveexec_b64 s[6:7], s[14:15]
	s_cbranch_execz .LBB1723_212
; %bb.200:
	s_add_i32 s14, s2, 8
	s_cmp_le_u32 s3, s14
	s_cselect_b64 s[0:1], -1, 0
	s_and_b64 s[16:17], s[0:1], exec
	s_cselect_b32 s15, 8, 10
	s_or_b64 s[0:1], s[0:1], vcc
	s_xor_b64 s[16:17], s[0:1], -1
	v_mov_b32_e32 v4, s15
	s_and_saveexec_b64 s[0:1], s[16:17]
	s_cbranch_execz .LBB1723_202
; %bb.201:
	s_sub_i32 s15, s3, s14
	s_min_u32 s15, s15, 8
	v_lshrrev_b32_e32 v4, s14, v5
	v_bfe_u32 v4, v4, 0, s15
	v_lshlrev_b32_e32 v6, 2, v1
	v_lshl_or_b32 v4, v4, 4, v6
	v_mov_b32_e32 v6, 1
	ds_add_u32 v4, v6 offset:4096
	v_mov_b32_e32 v4, 0
.LBB1723_202:
	s_or_b64 exec, exec, s[0:1]
	v_cmp_gt_i32_e64 s[0:1], 10, v4
	s_mov_b64 s[14:15], -1
	s_and_saveexec_b64 s[16:17], s[0:1]
; %bb.203:
	v_cmp_eq_u32_e64 s[0:1], 0, v4
	s_orn2_b64 s[14:15], s[0:1], exec
; %bb.204:
	s_or_b64 exec, exec, s[16:17]
	s_and_b64 exec, exec, s[14:15]
	s_cbranch_execz .LBB1723_212
; %bb.205:
	s_add_i32 s14, s2, 16
	s_cmp_le_u32 s3, s14
	s_cselect_b64 s[0:1], -1, 0
	s_and_b64 s[16:17], s[0:1], exec
	s_cselect_b32 s15, 8, 10
	s_or_b64 s[0:1], s[0:1], vcc
	s_xor_b64 s[16:17], s[0:1], -1
	v_mov_b32_e32 v4, s15
	s_and_saveexec_b64 s[0:1], s[16:17]
	s_cbranch_execz .LBB1723_207
; %bb.206:
	s_sub_i32 s15, s3, s14
	s_min_u32 s15, s15, 8
	v_lshrrev_b32_e32 v4, s14, v5
	v_bfe_u32 v4, v4, 0, s15
	v_lshlrev_b32_e32 v6, 2, v1
	v_lshl_or_b32 v4, v4, 4, v6
	v_mov_b32_e32 v6, 1
	ds_add_u32 v4, v6 offset:8192
	v_mov_b32_e32 v4, 0
.LBB1723_207:
	s_or_b64 exec, exec, s[0:1]
	v_cmp_gt_i32_e64 s[0:1], 10, v4
	s_mov_b64 s[14:15], -1
	s_and_saveexec_b64 s[16:17], s[0:1]
; %bb.208:
	v_cmp_eq_u32_e64 s[0:1], 0, v4
	s_orn2_b64 s[14:15], s[0:1], exec
; %bb.209:
	s_or_b64 exec, exec, s[16:17]
	s_and_b64 exec, exec, s[14:15]
	s_cbranch_execz .LBB1723_212
; %bb.210:
	s_add_i32 s0, s2, 24
	s_cmp_gt_u32 s3, s0
	s_cselect_b64 s[14:15], -1, 0
	s_xor_b64 s[16:17], vcc, -1
	s_and_b64 s[14:15], s[14:15], s[16:17]
	s_and_b64 exec, exec, s[14:15]
	s_cbranch_execz .LBB1723_212
; %bb.211:
	s_sub_i32 s1, s3, s0
	s_min_u32 s1, s1, 8
	v_lshrrev_b32_e32 v4, s0, v5
	v_bfe_u32 v4, v4, 0, s1
	v_lshlrev_b32_e32 v5, 2, v1
	v_lshl_or_b32 v4, v4, 4, v5
	v_mov_b32_e32 v5, 1
	ds_add_u32 v4, v5 offset:12288
.LBB1723_212:
	s_or_b64 exec, exec, s[6:7]
	v_cmp_le_u32_e32 vcc, s13, v2
	s_or_b64 s[0:1], s[4:5], vcc
	v_xor_b32_e32 v3, 0x80000000, v3
	s_xor_b64 s[4:5], s[0:1], -1
	v_mov_b32_e32 v2, s18
	s_and_saveexec_b64 s[0:1], s[4:5]
	s_cbranch_execz .LBB1723_214
; %bb.213:
	s_sub_i32 s4, s3, s2
	s_min_u32 s4, s4, 8
	v_lshrrev_b32_e32 v2, s2, v3
	v_bfe_u32 v2, v2, 0, s4
	v_lshlrev_b32_e32 v4, 2, v1
	v_lshl_or_b32 v2, v2, 4, v4
	v_mov_b32_e32 v4, 1
	ds_add_u32 v2, v4
	v_mov_b32_e32 v2, 0
.LBB1723_214:
	s_or_b64 exec, exec, s[0:1]
	v_cmp_gt_i32_e64 s[0:1], 10, v2
	s_mov_b64 s[6:7], -1
	s_and_saveexec_b64 s[4:5], s[0:1]
; %bb.215:
	v_cmp_eq_u32_e64 s[0:1], 0, v2
	s_orn2_b64 s[6:7], s[0:1], exec
; %bb.216:
	s_or_b64 exec, exec, s[4:5]
	s_and_saveexec_b64 s[4:5], s[6:7]
	s_cbranch_execz .LBB1723_229
; %bb.217:
	s_add_i32 s6, s2, 8
	s_cmp_le_u32 s3, s6
	s_cselect_b64 s[0:1], -1, 0
	s_and_b64 s[14:15], s[0:1], exec
	s_cselect_b32 s7, 8, 10
	s_or_b64 s[0:1], s[0:1], vcc
	s_xor_b64 s[14:15], s[0:1], -1
	v_mov_b32_e32 v2, s7
	s_and_saveexec_b64 s[0:1], s[14:15]
	s_cbranch_execz .LBB1723_219
; %bb.218:
	s_sub_i32 s7, s3, s6
	s_min_u32 s7, s7, 8
	v_lshrrev_b32_e32 v2, s6, v3
	v_bfe_u32 v2, v2, 0, s7
	v_lshlrev_b32_e32 v4, 2, v1
	v_lshl_or_b32 v2, v2, 4, v4
	v_mov_b32_e32 v4, 1
	ds_add_u32 v2, v4 offset:4096
	v_mov_b32_e32 v2, 0
.LBB1723_219:
	s_or_b64 exec, exec, s[0:1]
	v_cmp_gt_i32_e64 s[0:1], 10, v2
	s_mov_b64 s[6:7], -1
	s_and_saveexec_b64 s[14:15], s[0:1]
; %bb.220:
	v_cmp_eq_u32_e64 s[0:1], 0, v2
	s_orn2_b64 s[6:7], s[0:1], exec
; %bb.221:
	s_or_b64 exec, exec, s[14:15]
	s_and_b64 exec, exec, s[6:7]
	s_cbranch_execz .LBB1723_229
; %bb.222:
	s_add_i32 s6, s2, 16
	s_cmp_le_u32 s3, s6
	s_cselect_b64 s[0:1], -1, 0
	s_and_b64 s[14:15], s[0:1], exec
	s_cselect_b32 s7, 8, 10
	s_or_b64 s[0:1], s[0:1], vcc
	s_xor_b64 s[14:15], s[0:1], -1
	v_mov_b32_e32 v2, s7
	s_and_saveexec_b64 s[0:1], s[14:15]
	s_cbranch_execz .LBB1723_224
; %bb.223:
	s_sub_i32 s7, s3, s6
	s_min_u32 s7, s7, 8
	v_lshrrev_b32_e32 v2, s6, v3
	v_bfe_u32 v2, v2, 0, s7
	v_lshlrev_b32_e32 v4, 2, v1
	v_lshl_or_b32 v2, v2, 4, v4
	v_mov_b32_e32 v4, 1
	ds_add_u32 v2, v4 offset:8192
	v_mov_b32_e32 v2, 0
.LBB1723_224:
	s_or_b64 exec, exec, s[0:1]
	v_cmp_gt_i32_e64 s[0:1], 10, v2
	s_mov_b64 s[6:7], -1
	s_and_saveexec_b64 s[14:15], s[0:1]
; %bb.225:
	v_cmp_eq_u32_e64 s[0:1], 0, v2
	s_orn2_b64 s[6:7], s[0:1], exec
; %bb.226:
	s_or_b64 exec, exec, s[14:15]
	s_and_b64 exec, exec, s[6:7]
	s_cbranch_execz .LBB1723_229
; %bb.227:
	s_add_i32 s0, s2, 24
	s_cmp_gt_u32 s3, s0
	s_cselect_b64 s[6:7], -1, 0
	s_xor_b64 s[14:15], vcc, -1
	s_and_b64 s[6:7], s[6:7], s[14:15]
	s_and_b64 exec, exec, s[6:7]
	s_cbranch_execz .LBB1723_229
; %bb.228:
	s_sub_i32 s1, s3, s0
	s_min_u32 s1, s1, 8
	v_lshrrev_b32_e32 v2, s0, v3
	v_bfe_u32 v2, v2, 0, s1
	v_lshlrev_b32_e32 v1, 2, v1
	v_lshl_or_b32 v1, v2, 4, v1
	v_mov_b32_e32 v2, 1
	ds_add_u32 v1, v2 offset:12288
.LBB1723_229:
	s_or_b64 exec, exec, s[4:5]
	s_cmp_gt_u32 s3, s2
	s_waitcnt lgkmcnt(0)
	s_barrier
	s_cbranch_scc0 .LBB1723_234
; %bb.230:
	s_movk_i32 s0, 0x100
	v_cmp_gt_u32_e32 vcc, s0, v0
	v_lshlrev_b32_e32 v1, 4, v0
	v_mov_b32_e32 v3, 0
	v_mov_b32_e32 v2, v0
	s_mov_b32 s6, s2
	s_branch .LBB1723_232
.LBB1723_231:                           ;   in Loop: Header=BB1723_232 Depth=1
	s_or_b64 exec, exec, s[4:5]
	s_add_i32 s6, s6, 8
	v_add_u32_e32 v2, 0x100, v2
	s_cmp_lt_u32 s6, s3
	v_add_u32_e32 v1, 0x1000, v1
	s_cbranch_scc0 .LBB1723_234
.LBB1723_232:                           ; =>This Inner Loop Header: Depth=1
	s_and_saveexec_b64 s[4:5], vcc
	s_cbranch_execz .LBB1723_231
; %bb.233:                              ;   in Loop: Header=BB1723_232 Depth=1
	ds_read2_b32 v[4:5], v1 offset1:1
	ds_read2_b32 v[6:7], v1 offset0:2 offset1:3
	v_lshlrev_b64 v[8:9], 2, v[2:3]
	v_mov_b32_e32 v10, s11
	s_waitcnt lgkmcnt(1)
	v_add_u32_e32 v4, v5, v4
	s_waitcnt lgkmcnt(0)
	v_add3_u32 v6, v4, v6, v7
	v_add_co_u32_e64 v4, s[0:1], s10, v8
	v_addc_co_u32_e64 v5, s[0:1], v10, v9, s[0:1]
	global_atomic_add v[4:5], v6, off
	s_branch .LBB1723_231
.LBB1723_234:
	s_mov_b64 s[0:1], 0
.LBB1723_235:
	s_and_b64 vcc, exec, s[0:1]
	s_cbranch_vccz .LBB1723_319
; %bb.236:
	s_cmp_eq_u32 s2, 0
	s_cselect_b64 s[0:1], -1, 0
	s_cmp_eq_u32 s3, 32
	s_mov_b32 s13, 0
	s_cselect_b64 s[4:5], -1, 0
	s_and_b64 s[4:5], s[0:1], s[4:5]
	s_lshl_b64 s[0:1], s[12:13], 2
	s_add_u32 s0, s8, s0
	s_addc_u32 s1, s9, s1
	v_lshlrev_b32_e32 v1, 2, v0
	v_mov_b32_e32 v2, s1
	v_add_co_u32_e32 v20, vcc, s0, v1
	v_addc_co_u32_e32 v21, vcc, 0, v2, vcc
	s_movk_i32 s6, 0x2000
	v_add_co_u32_e32 v2, vcc, s6, v20
	v_addc_co_u32_e32 v3, vcc, 0, v21, vcc
	s_movk_i32 s6, 0x4000
	;; [unrolled: 3-line block ×3, first 2 shown]
	global_load_dword v13, v[2:3], off
	global_load_dword v12, v[4:5], off offset:-4096
	global_load_dword v11, v[4:5], off
	v_add_co_u32_e32 v4, vcc, s6, v20
	v_addc_co_u32_e32 v5, vcc, 0, v21, vcc
	s_mov_b32 s6, 0x8000
	v_add_co_u32_e32 v14, vcc, s6, v20
	v_addc_co_u32_e32 v15, vcc, 0, v21, vcc
	s_mov_b32 s6, 0x9000
	v_add_co_u32_e32 v16, vcc, s6, v20
	v_addc_co_u32_e32 v17, vcc, 0, v21, vcc
	v_add_co_u32_e32 v18, vcc, 0xa000, v20
	global_load_dword v10, v[4:5], off offset:-4096
	global_load_dword v9, v[4:5], off
	global_load_dword v8, v[14:15], off offset:-4096
	global_load_dword v7, v[14:15], off
	v_addc_co_u32_e32 v19, vcc, 0, v21, vcc
	global_load_dword v15, v1, s[0:1]
	global_load_dword v6, v[16:17], off
	global_load_dword v5, v[18:19], off
	v_add_co_u32_e32 v16, vcc, 0xb000, v20
	v_addc_co_u32_e32 v17, vcc, 0, v21, vcc
	global_load_dword v14, v[2:3], off offset:-4096
	global_load_dword v4, v[16:17], off
	s_mov_b64 s[0:1], -1
	s_and_b64 vcc, exec, s[4:5]
	s_cbranch_vccnz .LBB1723_316
; %bb.237:
	s_cmp_gt_u32 s3, s2
	s_cselect_b64 s[0:1], -1, 0
	v_mov_b32_e32 v2, 0
	s_and_b64 vcc, exec, s[0:1]
	ds_write2st64_b32 v1, v2, v2 offset1:16
	ds_write2st64_b32 v1, v2, v2 offset0:32 offset1:48
	s_waitcnt lgkmcnt(0)
	s_barrier
	s_cbranch_vccz .LBB1723_310
; %bb.238:
	s_sub_i32 s4, s3, s2
	s_min_u32 s4, s4, 8
	s_waitcnt vmcnt(4)
	v_xor_b32_e32 v17, 0x80000000, v15
	s_lshl_b32 s4, -1, s4
	v_and_b32_e32 v2, 3, v0
	s_not_b32 s13, s4
	v_lshrrev_b32_e32 v3, s2, v17
	v_and_b32_e32 v18, s13, v3
	v_lshlrev_b32_e32 v3, 2, v2
	v_lshl_or_b32 v18, v18, 4, v3
	v_mov_b32_e32 v19, 1
	ds_add_u32 v18, v19
	s_add_i32 s12, s2, 8
	s_waitcnt vmcnt(1)
	v_xor_b32_e32 v16, 0x80000000, v14
	s_cmp_le_u32 s3, s12
	s_cselect_b64 s[4:5], -1, 0
	v_lshrrev_b32_e32 v18, s2, v16
	s_and_b64 vcc, exec, s[4:5]
	v_and_b32_e32 v18, s13, v18
	s_cbranch_vccz .LBB1723_240
; %bb.239:
	v_lshl_or_b32 v19, v18, 2, v2
	s_mov_b64 s[6:7], -1
	s_cbranch_execz .LBB1723_241
	s_branch .LBB1723_248
.LBB1723_240:
	s_mov_b64 s[6:7], 0
                                        ; implicit-def: $vgpr19
.LBB1723_241:
	s_sub_i32 s8, s3, s12
	s_min_u32 s8, s8, 8
	s_lshl_b32 s8, -1, s8
	s_not_b32 s15, s8
	v_lshrrev_b32_e32 v19, s12, v17
	v_and_b32_e32 v19, s15, v19
	v_lshl_or_b32 v20, v19, 4, v3
	v_mov_b32_e32 v19, 1
	ds_add_u32 v20, v19 offset:4096
	s_add_i32 s14, s2, 16
	s_cmp_gt_u32 s3, s14
	s_cselect_b64 s[8:9], -1, 0
	s_cmp_le_u32 s3, s14
	s_cbranch_scc1 .LBB1723_244
; %bb.242:
	s_sub_i32 s16, s3, s14
	s_min_u32 s16, s16, 8
	v_lshrrev_b32_e32 v20, s14, v17
	v_bfe_u32 v20, v20, 0, s16
	v_lshl_or_b32 v20, v20, 4, v3
	ds_add_u32 v20, v19 offset:8192
	s_add_i32 s16, s2, 24
	s_cmp_le_u32 s3, s16
	s_cbranch_scc1 .LBB1723_244
; %bb.243:
	s_sub_i32 s17, s3, s16
	s_min_u32 s17, s17, 8
	v_lshrrev_b32_e32 v17, s16, v17
	v_bfe_u32 v17, v17, 0, s17
	v_lshl_or_b32 v17, v17, 4, v3
	v_mov_b32_e32 v20, 1
	ds_add_u32 v17, v20 offset:12288
.LBB1723_244:
	v_lshl_or_b32 v17, v18, 4, v3
	ds_add_u32 v17, v19
	v_lshrrev_b32_e32 v17, s12, v16
	v_and_b32_e32 v17, s15, v17
	v_lshl_or_b32 v17, v17, 4, v3
	ds_add_u32 v17, v19 offset:4096
	s_andn2_b64 vcc, exec, s[8:9]
	s_cbranch_vccnz .LBB1723_247
; %bb.245:
	s_sub_i32 s8, s3, s14
	s_min_u32 s8, s8, 8
	v_lshrrev_b32_e32 v17, s14, v16
	v_bfe_u32 v17, v17, 0, s8
	v_lshl_or_b32 v17, v17, 4, v3
	v_mov_b32_e32 v18, 1
	ds_add_u32 v17, v18 offset:8192
	s_add_i32 s8, s2, 24
	s_cmp_gt_u32 s3, s8
	s_cbranch_scc0 .LBB1723_247
; %bb.246:
	s_sub_i32 s6, s3, s8
	s_min_u32 s6, s6, 8
	v_lshrrev_b32_e32 v16, s8, v16
	v_bfe_u32 v16, v16, 0, s6
	v_lshl_or_b32 v16, v16, 2, v2
	v_add_u32_e32 v19, 0xc00, v16
	s_mov_b64 s[6:7], -1
	s_branch .LBB1723_248
.LBB1723_247:
                                        ; implicit-def: $vgpr19
.LBB1723_248:
	s_and_b64 vcc, exec, s[6:7]
	s_cbranch_vccz .LBB1723_250
; %bb.249:
	v_lshlrev_b32_e32 v16, 2, v19
	v_mov_b32_e32 v17, 1
	ds_add_u32 v16, v17
.LBB1723_250:
	v_xor_b32_e32 v17, 0x80000000, v13
	v_lshrrev_b32_e32 v18, s2, v17
	v_and_b32_e32 v18, s13, v18
	v_lshl_or_b32 v18, v18, 4, v3
	v_mov_b32_e32 v19, 1
	ds_add_u32 v18, v19
	v_xor_b32_e32 v16, 0x80000000, v12
	v_lshrrev_b32_e32 v18, s2, v16
	s_and_b64 vcc, exec, s[4:5]
	v_and_b32_e32 v18, s13, v18
	s_cbranch_vccz .LBB1723_252
; %bb.251:
	v_lshl_or_b32 v19, v18, 2, v2
	s_mov_b64 s[6:7], -1
	s_cbranch_execz .LBB1723_253
	s_branch .LBB1723_260
.LBB1723_252:
	s_mov_b64 s[6:7], 0
                                        ; implicit-def: $vgpr19
.LBB1723_253:
	s_sub_i32 s8, s3, s12
	s_min_u32 s8, s8, 8
	s_lshl_b32 s8, -1, s8
	s_not_b32 s15, s8
	v_lshrrev_b32_e32 v19, s12, v17
	v_and_b32_e32 v19, s15, v19
	v_lshl_or_b32 v20, v19, 4, v3
	v_mov_b32_e32 v19, 1
	ds_add_u32 v20, v19 offset:4096
	s_add_i32 s14, s2, 16
	s_cmp_gt_u32 s3, s14
	s_cselect_b64 s[8:9], -1, 0
	s_cmp_le_u32 s3, s14
	s_cbranch_scc1 .LBB1723_256
; %bb.254:
	s_sub_i32 s16, s3, s14
	s_min_u32 s16, s16, 8
	v_lshrrev_b32_e32 v20, s14, v17
	v_bfe_u32 v20, v20, 0, s16
	v_lshl_or_b32 v20, v20, 4, v3
	ds_add_u32 v20, v19 offset:8192
	s_add_i32 s16, s2, 24
	s_cmp_le_u32 s3, s16
	s_cbranch_scc1 .LBB1723_256
; %bb.255:
	s_sub_i32 s17, s3, s16
	s_min_u32 s17, s17, 8
	v_lshrrev_b32_e32 v17, s16, v17
	v_bfe_u32 v17, v17, 0, s17
	v_lshl_or_b32 v17, v17, 4, v3
	v_mov_b32_e32 v20, 1
	ds_add_u32 v17, v20 offset:12288
.LBB1723_256:
	v_lshl_or_b32 v17, v18, 4, v3
	ds_add_u32 v17, v19
	v_lshrrev_b32_e32 v17, s12, v16
	v_and_b32_e32 v17, s15, v17
	v_lshl_or_b32 v17, v17, 4, v3
	ds_add_u32 v17, v19 offset:4096
	s_andn2_b64 vcc, exec, s[8:9]
	s_cbranch_vccnz .LBB1723_259
; %bb.257:
	s_sub_i32 s8, s3, s14
	s_min_u32 s8, s8, 8
	v_lshrrev_b32_e32 v17, s14, v16
	v_bfe_u32 v17, v17, 0, s8
	v_lshl_or_b32 v17, v17, 4, v3
	v_mov_b32_e32 v18, 1
	ds_add_u32 v17, v18 offset:8192
	s_add_i32 s8, s2, 24
	s_cmp_gt_u32 s3, s8
	s_cbranch_scc0 .LBB1723_259
; %bb.258:
	s_sub_i32 s6, s3, s8
	s_min_u32 s6, s6, 8
	v_lshrrev_b32_e32 v16, s8, v16
	v_bfe_u32 v16, v16, 0, s6
	v_lshl_or_b32 v16, v16, 2, v2
	v_add_u32_e32 v19, 0xc00, v16
	s_mov_b64 s[6:7], -1
	s_branch .LBB1723_260
.LBB1723_259:
                                        ; implicit-def: $vgpr19
.LBB1723_260:
	s_and_b64 vcc, exec, s[6:7]
	s_cbranch_vccz .LBB1723_262
; %bb.261:
	v_lshlrev_b32_e32 v16, 2, v19
	v_mov_b32_e32 v17, 1
	ds_add_u32 v16, v17
.LBB1723_262:
	v_xor_b32_e32 v17, 0x80000000, v11
	v_lshrrev_b32_e32 v18, s2, v17
	v_and_b32_e32 v18, s13, v18
	v_lshl_or_b32 v18, v18, 4, v3
	v_mov_b32_e32 v19, 1
	ds_add_u32 v18, v19
	v_xor_b32_e32 v16, 0x80000000, v10
	v_lshrrev_b32_e32 v18, s2, v16
	s_and_b64 vcc, exec, s[4:5]
	v_and_b32_e32 v18, s13, v18
	s_cbranch_vccz .LBB1723_264
; %bb.263:
	v_lshl_or_b32 v19, v18, 2, v2
	s_mov_b64 s[6:7], -1
	s_cbranch_execz .LBB1723_265
	s_branch .LBB1723_272
.LBB1723_264:
	s_mov_b64 s[6:7], 0
                                        ; implicit-def: $vgpr19
.LBB1723_265:
	s_sub_i32 s8, s3, s12
	s_min_u32 s8, s8, 8
	s_lshl_b32 s8, -1, s8
	s_not_b32 s15, s8
	v_lshrrev_b32_e32 v19, s12, v17
	v_and_b32_e32 v19, s15, v19
	v_lshl_or_b32 v20, v19, 4, v3
	v_mov_b32_e32 v19, 1
	ds_add_u32 v20, v19 offset:4096
	s_add_i32 s14, s2, 16
	s_cmp_gt_u32 s3, s14
	s_cselect_b64 s[8:9], -1, 0
	s_cmp_le_u32 s3, s14
	s_cbranch_scc1 .LBB1723_268
; %bb.266:
	s_sub_i32 s16, s3, s14
	s_min_u32 s16, s16, 8
	v_lshrrev_b32_e32 v20, s14, v17
	v_bfe_u32 v20, v20, 0, s16
	v_lshl_or_b32 v20, v20, 4, v3
	ds_add_u32 v20, v19 offset:8192
	s_add_i32 s16, s2, 24
	s_cmp_le_u32 s3, s16
	s_cbranch_scc1 .LBB1723_268
; %bb.267:
	s_sub_i32 s17, s3, s16
	s_min_u32 s17, s17, 8
	v_lshrrev_b32_e32 v17, s16, v17
	v_bfe_u32 v17, v17, 0, s17
	v_lshl_or_b32 v17, v17, 4, v3
	v_mov_b32_e32 v20, 1
	ds_add_u32 v17, v20 offset:12288
.LBB1723_268:
	v_lshl_or_b32 v17, v18, 4, v3
	ds_add_u32 v17, v19
	v_lshrrev_b32_e32 v17, s12, v16
	v_and_b32_e32 v17, s15, v17
	v_lshl_or_b32 v17, v17, 4, v3
	ds_add_u32 v17, v19 offset:4096
	s_andn2_b64 vcc, exec, s[8:9]
	s_cbranch_vccnz .LBB1723_271
; %bb.269:
	s_sub_i32 s8, s3, s14
	s_min_u32 s8, s8, 8
	v_lshrrev_b32_e32 v17, s14, v16
	v_bfe_u32 v17, v17, 0, s8
	v_lshl_or_b32 v17, v17, 4, v3
	v_mov_b32_e32 v18, 1
	ds_add_u32 v17, v18 offset:8192
	s_add_i32 s8, s2, 24
	s_cmp_gt_u32 s3, s8
	s_cbranch_scc0 .LBB1723_271
; %bb.270:
	s_sub_i32 s6, s3, s8
	s_min_u32 s6, s6, 8
	v_lshrrev_b32_e32 v16, s8, v16
	v_bfe_u32 v16, v16, 0, s6
	v_lshl_or_b32 v16, v16, 2, v2
	v_add_u32_e32 v19, 0xc00, v16
	s_mov_b64 s[6:7], -1
	s_branch .LBB1723_272
.LBB1723_271:
                                        ; implicit-def: $vgpr19
.LBB1723_272:
	s_and_b64 vcc, exec, s[6:7]
	s_cbranch_vccz .LBB1723_274
; %bb.273:
	v_lshlrev_b32_e32 v16, 2, v19
	v_mov_b32_e32 v17, 1
	ds_add_u32 v16, v17
.LBB1723_274:
	v_xor_b32_e32 v17, 0x80000000, v9
	v_lshrrev_b32_e32 v18, s2, v17
	v_and_b32_e32 v18, s13, v18
	v_lshl_or_b32 v18, v18, 4, v3
	v_mov_b32_e32 v19, 1
	ds_add_u32 v18, v19
	v_xor_b32_e32 v16, 0x80000000, v8
	v_lshrrev_b32_e32 v18, s2, v16
	s_and_b64 vcc, exec, s[4:5]
	v_and_b32_e32 v18, s13, v18
	s_cbranch_vccz .LBB1723_276
; %bb.275:
	v_lshl_or_b32 v19, v18, 2, v2
	s_mov_b64 s[6:7], -1
	s_cbranch_execz .LBB1723_277
	s_branch .LBB1723_284
.LBB1723_276:
	s_mov_b64 s[6:7], 0
                                        ; implicit-def: $vgpr19
.LBB1723_277:
	s_sub_i32 s8, s3, s12
	s_min_u32 s8, s8, 8
	s_lshl_b32 s8, -1, s8
	s_not_b32 s15, s8
	v_lshrrev_b32_e32 v19, s12, v17
	v_and_b32_e32 v19, s15, v19
	v_lshl_or_b32 v20, v19, 4, v3
	v_mov_b32_e32 v19, 1
	ds_add_u32 v20, v19 offset:4096
	s_add_i32 s14, s2, 16
	s_cmp_gt_u32 s3, s14
	s_cselect_b64 s[8:9], -1, 0
	s_cmp_le_u32 s3, s14
	s_cbranch_scc1 .LBB1723_280
; %bb.278:
	s_sub_i32 s16, s3, s14
	s_min_u32 s16, s16, 8
	v_lshrrev_b32_e32 v20, s14, v17
	v_bfe_u32 v20, v20, 0, s16
	v_lshl_or_b32 v20, v20, 4, v3
	ds_add_u32 v20, v19 offset:8192
	s_add_i32 s16, s2, 24
	s_cmp_le_u32 s3, s16
	s_cbranch_scc1 .LBB1723_280
; %bb.279:
	s_sub_i32 s17, s3, s16
	s_min_u32 s17, s17, 8
	v_lshrrev_b32_e32 v17, s16, v17
	v_bfe_u32 v17, v17, 0, s17
	v_lshl_or_b32 v17, v17, 4, v3
	v_mov_b32_e32 v20, 1
	ds_add_u32 v17, v20 offset:12288
.LBB1723_280:
	v_lshl_or_b32 v17, v18, 4, v3
	ds_add_u32 v17, v19
	v_lshrrev_b32_e32 v17, s12, v16
	v_and_b32_e32 v17, s15, v17
	v_lshl_or_b32 v17, v17, 4, v3
	ds_add_u32 v17, v19 offset:4096
	s_andn2_b64 vcc, exec, s[8:9]
	s_cbranch_vccnz .LBB1723_283
; %bb.281:
	s_sub_i32 s8, s3, s14
	s_min_u32 s8, s8, 8
	v_lshrrev_b32_e32 v17, s14, v16
	v_bfe_u32 v17, v17, 0, s8
	v_lshl_or_b32 v17, v17, 4, v3
	v_mov_b32_e32 v18, 1
	ds_add_u32 v17, v18 offset:8192
	s_add_i32 s8, s2, 24
	s_cmp_gt_u32 s3, s8
	s_cbranch_scc0 .LBB1723_283
; %bb.282:
	s_sub_i32 s6, s3, s8
	s_min_u32 s6, s6, 8
	v_lshrrev_b32_e32 v16, s8, v16
	v_bfe_u32 v16, v16, 0, s6
	v_lshl_or_b32 v16, v16, 2, v2
	v_add_u32_e32 v19, 0xc00, v16
	s_mov_b64 s[6:7], -1
	s_branch .LBB1723_284
.LBB1723_283:
                                        ; implicit-def: $vgpr19
.LBB1723_284:
	s_and_b64 vcc, exec, s[6:7]
	s_cbranch_vccz .LBB1723_286
; %bb.285:
	v_lshlrev_b32_e32 v16, 2, v19
	v_mov_b32_e32 v17, 1
	ds_add_u32 v16, v17
.LBB1723_286:
	v_xor_b32_e32 v17, 0x80000000, v7
	v_lshrrev_b32_e32 v18, s2, v17
	v_and_b32_e32 v18, s13, v18
	v_lshl_or_b32 v18, v18, 4, v3
	v_mov_b32_e32 v19, 1
	ds_add_u32 v18, v19
	v_xor_b32_e32 v16, 0x80000000, v6
	v_lshrrev_b32_e32 v18, s2, v16
	s_and_b64 vcc, exec, s[4:5]
	v_and_b32_e32 v18, s13, v18
	s_cbranch_vccz .LBB1723_288
; %bb.287:
	v_lshl_or_b32 v19, v18, 2, v2
	s_mov_b64 s[6:7], -1
	s_cbranch_execz .LBB1723_289
	s_branch .LBB1723_296
.LBB1723_288:
	s_mov_b64 s[6:7], 0
                                        ; implicit-def: $vgpr19
.LBB1723_289:
	s_sub_i32 s8, s3, s12
	s_min_u32 s8, s8, 8
	s_lshl_b32 s8, -1, s8
	s_not_b32 s15, s8
	v_lshrrev_b32_e32 v19, s12, v17
	v_and_b32_e32 v19, s15, v19
	v_lshl_or_b32 v20, v19, 4, v3
	v_mov_b32_e32 v19, 1
	ds_add_u32 v20, v19 offset:4096
	s_add_i32 s14, s2, 16
	s_cmp_gt_u32 s3, s14
	s_cselect_b64 s[8:9], -1, 0
	s_cmp_le_u32 s3, s14
	s_cbranch_scc1 .LBB1723_292
; %bb.290:
	s_sub_i32 s16, s3, s14
	s_min_u32 s16, s16, 8
	v_lshrrev_b32_e32 v20, s14, v17
	v_bfe_u32 v20, v20, 0, s16
	v_lshl_or_b32 v20, v20, 4, v3
	ds_add_u32 v20, v19 offset:8192
	s_add_i32 s16, s2, 24
	s_cmp_le_u32 s3, s16
	s_cbranch_scc1 .LBB1723_292
; %bb.291:
	s_sub_i32 s17, s3, s16
	s_min_u32 s17, s17, 8
	v_lshrrev_b32_e32 v17, s16, v17
	v_bfe_u32 v17, v17, 0, s17
	v_lshl_or_b32 v17, v17, 4, v3
	v_mov_b32_e32 v20, 1
	ds_add_u32 v17, v20 offset:12288
.LBB1723_292:
	v_lshl_or_b32 v17, v18, 4, v3
	ds_add_u32 v17, v19
	v_lshrrev_b32_e32 v17, s12, v16
	v_and_b32_e32 v17, s15, v17
	v_lshl_or_b32 v17, v17, 4, v3
	ds_add_u32 v17, v19 offset:4096
	s_andn2_b64 vcc, exec, s[8:9]
	s_cbranch_vccnz .LBB1723_295
; %bb.293:
	s_sub_i32 s8, s3, s14
	s_min_u32 s8, s8, 8
	v_lshrrev_b32_e32 v17, s14, v16
	v_bfe_u32 v17, v17, 0, s8
	v_lshl_or_b32 v17, v17, 4, v3
	v_mov_b32_e32 v18, 1
	ds_add_u32 v17, v18 offset:8192
	s_add_i32 s8, s2, 24
	s_cmp_gt_u32 s3, s8
	s_cbranch_scc0 .LBB1723_295
; %bb.294:
	s_sub_i32 s6, s3, s8
	s_min_u32 s6, s6, 8
	v_lshrrev_b32_e32 v16, s8, v16
	v_bfe_u32 v16, v16, 0, s6
	v_lshl_or_b32 v16, v16, 2, v2
	v_add_u32_e32 v19, 0xc00, v16
	s_mov_b64 s[6:7], -1
	s_branch .LBB1723_296
.LBB1723_295:
                                        ; implicit-def: $vgpr19
.LBB1723_296:
	s_and_b64 vcc, exec, s[6:7]
	s_cbranch_vccz .LBB1723_298
; %bb.297:
	v_lshlrev_b32_e32 v16, 2, v19
	v_mov_b32_e32 v17, 1
	ds_add_u32 v16, v17
.LBB1723_298:
	v_xor_b32_e32 v17, 0x80000000, v5
	v_lshrrev_b32_e32 v18, s2, v17
	v_and_b32_e32 v18, s13, v18
	v_lshl_or_b32 v18, v18, 4, v3
	v_mov_b32_e32 v19, 1
	ds_add_u32 v18, v19
	s_waitcnt vmcnt(0)
	v_xor_b32_e32 v16, 0x80000000, v4
	v_lshrrev_b32_e32 v18, s2, v16
	s_and_b64 vcc, exec, s[4:5]
	v_and_b32_e32 v18, s13, v18
	s_cbranch_vccz .LBB1723_300
; %bb.299:
	v_lshl_or_b32 v19, v18, 2, v2
	s_mov_b64 s[4:5], -1
	s_cbranch_execz .LBB1723_301
	s_branch .LBB1723_308
.LBB1723_300:
	s_mov_b64 s[4:5], 0
                                        ; implicit-def: $vgpr19
.LBB1723_301:
	s_sub_i32 s6, s3, s12
	s_min_u32 s6, s6, 8
	s_lshl_b32 s6, -1, s6
	s_not_b32 s9, s6
	v_lshrrev_b32_e32 v19, s12, v17
	v_and_b32_e32 v19, s9, v19
	v_lshl_or_b32 v20, v19, 4, v3
	v_mov_b32_e32 v19, 1
	ds_add_u32 v20, v19 offset:4096
	s_add_i32 s8, s2, 16
	s_cmp_gt_u32 s3, s8
	s_cselect_b64 s[6:7], -1, 0
	s_cmp_le_u32 s3, s8
	s_cbranch_scc1 .LBB1723_304
; %bb.302:
	s_sub_i32 s13, s3, s8
	s_min_u32 s13, s13, 8
	v_lshrrev_b32_e32 v20, s8, v17
	v_bfe_u32 v20, v20, 0, s13
	v_lshl_or_b32 v20, v20, 4, v3
	ds_add_u32 v20, v19 offset:8192
	s_add_i32 s13, s2, 24
	s_cmp_le_u32 s3, s13
	s_cbranch_scc1 .LBB1723_304
; %bb.303:
	v_lshrrev_b32_e32 v17, s13, v17
	s_sub_i32 s13, s3, s13
	s_min_u32 s13, s13, 8
	v_bfe_u32 v17, v17, 0, s13
	v_lshl_or_b32 v17, v17, 4, v3
	v_mov_b32_e32 v20, 1
	ds_add_u32 v17, v20 offset:12288
.LBB1723_304:
	v_lshl_or_b32 v17, v18, 4, v3
	ds_add_u32 v17, v19
	v_lshrrev_b32_e32 v17, s12, v16
	v_and_b32_e32 v17, s9, v17
	v_lshl_or_b32 v17, v17, 4, v3
	ds_add_u32 v17, v19 offset:4096
	s_andn2_b64 vcc, exec, s[6:7]
	s_cbranch_vccnz .LBB1723_307
; %bb.305:
	s_sub_i32 s6, s3, s8
	s_min_u32 s6, s6, 8
	v_lshrrev_b32_e32 v17, s8, v16
	v_bfe_u32 v17, v17, 0, s6
	v_lshl_or_b32 v3, v17, 4, v3
	v_mov_b32_e32 v17, 1
	ds_add_u32 v3, v17 offset:8192
	s_add_i32 s6, s2, 24
	s_cmp_gt_u32 s3, s6
	s_cbranch_scc0 .LBB1723_307
; %bb.306:
	s_sub_i32 s4, s3, s6
	s_min_u32 s4, s4, 8
	v_lshrrev_b32_e32 v3, s6, v16
	v_bfe_u32 v3, v3, 0, s4
	v_lshl_or_b32 v2, v3, 2, v2
	v_add_u32_e32 v19, 0xc00, v2
	s_mov_b64 s[4:5], -1
	s_branch .LBB1723_308
.LBB1723_307:
                                        ; implicit-def: $vgpr19
.LBB1723_308:
	s_and_b64 vcc, exec, s[4:5]
	s_cbranch_vccz .LBB1723_310
; %bb.309:
	v_lshlrev_b32_e32 v2, 2, v19
	v_mov_b32_e32 v3, 1
	ds_add_u32 v2, v3
.LBB1723_310:
	s_and_b64 vcc, exec, s[0:1]
	s_waitcnt lgkmcnt(0)
	s_barrier
	s_cbranch_vccz .LBB1723_315
; %bb.311:
	s_movk_i32 s0, 0x100
	v_cmp_gt_u32_e32 vcc, s0, v0
	v_lshlrev_b32_e32 v16, 4, v0
	v_mov_b32_e32 v3, 0
	v_mov_b32_e32 v2, v0
	s_branch .LBB1723_313
.LBB1723_312:                           ;   in Loop: Header=BB1723_313 Depth=1
	s_or_b64 exec, exec, s[4:5]
	s_add_i32 s2, s2, 8
	v_add_u32_e32 v2, 0x100, v2
	s_cmp_ge_u32 s2, s3
	v_add_u32_e32 v16, 0x1000, v16
	s_cbranch_scc1 .LBB1723_315
.LBB1723_313:                           ; =>This Inner Loop Header: Depth=1
	s_and_saveexec_b64 s[4:5], vcc
	s_cbranch_execz .LBB1723_312
; %bb.314:                              ;   in Loop: Header=BB1723_313 Depth=1
	ds_read2_b32 v[18:19], v16 offset1:1
	ds_read2_b32 v[20:21], v16 offset0:2 offset1:3
	v_lshlrev_b64 v[22:23], 2, v[2:3]
	v_mov_b32_e32 v17, s11
	s_waitcnt lgkmcnt(1)
	v_add_u32_e32 v18, v19, v18
	s_waitcnt lgkmcnt(0)
	v_add3_u32 v20, v18, v20, v21
	v_add_co_u32_e64 v18, s[0:1], s10, v22
	v_addc_co_u32_e64 v19, s[0:1], v17, v23, s[0:1]
	global_atomic_add v[18:19], v20, off
	s_branch .LBB1723_312
.LBB1723_315:
	s_mov_b64 s[0:1], 0
.LBB1723_316:
	s_and_b64 vcc, exec, s[0:1]
	s_cbranch_vccz .LBB1723_319
; %bb.317:
	v_mov_b32_e32 v2, 0
	ds_write2st64_b32 v1, v2, v2 offset1:16
	ds_write2st64_b32 v1, v2, v2 offset0:32 offset1:48
	v_and_b32_e32 v2, 3, v0
	s_waitcnt vmcnt(4)
	v_lshlrev_b32_e32 v3, 2, v15
	s_movk_i32 s0, 0x3fc
	v_and_or_b32 v3, v3, s0, v2
	v_lshlrev_b32_e32 v3, 2, v3
	v_mov_b32_e32 v16, 1
	s_waitcnt lgkmcnt(0)
	s_barrier
	ds_add_u32 v3, v16
	v_bfe_u32 v3, v15, 8, 8
	v_lshl_or_b32 v3, v3, 2, v2
	v_lshlrev_b32_e32 v3, 2, v3
	ds_add_u32 v3, v16 offset:4096
	v_bfe_u32 v3, v15, 16, 8
	v_lshl_or_b32 v3, v3, 2, v2
	v_lshlrev_b32_e32 v3, 2, v3
	ds_add_u32 v3, v16 offset:8192
	v_lshrrev_b32_e32 v3, 24, v15
	v_or_b32_e32 v15, 0xc00, v2
	v_lshl_or_b32 v3, v3, 2, v15
	v_xor_b32_e32 v3, 0x200, v3
	v_lshlrev_b32_e32 v3, 2, v3
	ds_add_u32 v3, v16
	s_waitcnt vmcnt(1)
	v_lshlrev_b32_e32 v3, 2, v14
	v_and_or_b32 v3, v3, s0, v2
	v_lshlrev_b32_e32 v3, 2, v3
	ds_add_u32 v3, v16
	v_bfe_u32 v3, v14, 8, 8
	v_lshl_or_b32 v3, v3, 2, v2
	v_lshlrev_b32_e32 v3, 2, v3
	ds_add_u32 v3, v16 offset:4096
	v_bfe_u32 v3, v14, 16, 8
	v_lshl_or_b32 v3, v3, 2, v2
	v_lshlrev_b32_e32 v3, 2, v3
	ds_add_u32 v3, v16 offset:8192
	v_lshrrev_b32_e32 v3, 24, v14
	v_lshl_or_b32 v3, v3, 2, v15
	v_xor_b32_e32 v3, 0x200, v3
	v_lshlrev_b32_e32 v3, 2, v3
	ds_add_u32 v3, v16
	v_lshlrev_b32_e32 v3, 2, v13
	v_and_or_b32 v3, v3, s0, v2
	v_lshlrev_b32_e32 v3, 2, v3
	ds_add_u32 v3, v16
	v_bfe_u32 v3, v13, 8, 8
	v_lshl_or_b32 v3, v3, 2, v2
	v_lshlrev_b32_e32 v3, 2, v3
	ds_add_u32 v3, v16 offset:4096
	v_bfe_u32 v3, v13, 16, 8
	v_lshl_or_b32 v3, v3, 2, v2
	v_lshlrev_b32_e32 v3, 2, v3
	ds_add_u32 v3, v16 offset:8192
	v_lshrrev_b32_e32 v3, 24, v13
	v_lshl_or_b32 v3, v3, 2, v15
	v_xor_b32_e32 v3, 0x200, v3
	v_lshlrev_b32_e32 v3, 2, v3
	ds_add_u32 v3, v16
	;; [unrolled: 17-line block ×10, first 2 shown]
	s_waitcnt vmcnt(0)
	v_lshlrev_b32_e32 v3, 2, v4
	v_and_or_b32 v3, v3, s0, v2
	v_lshlrev_b32_e32 v3, 2, v3
	ds_add_u32 v3, v16
	v_bfe_u32 v3, v4, 8, 8
	v_lshl_or_b32 v3, v3, 2, v2
	v_lshlrev_b32_e32 v3, 2, v3
	ds_add_u32 v3, v16 offset:4096
	v_bfe_u32 v3, v4, 16, 8
	v_lshl_or_b32 v2, v3, 2, v2
	v_lshlrev_b32_e32 v2, 2, v2
	ds_add_u32 v2, v16 offset:8192
	v_lshrrev_b32_e32 v2, 24, v4
	v_lshl_or_b32 v2, v2, 2, v15
	v_xor_b32_e32 v2, 0x200, v2
	v_lshlrev_b32_e32 v2, 2, v2
	ds_add_u32 v2, v16
	s_movk_i32 s0, 0x100
	v_cmp_gt_u32_e32 vcc, s0, v0
	s_waitcnt lgkmcnt(0)
	s_barrier
	s_and_saveexec_b64 s[0:1], vcc
	s_cbranch_execz .LBB1723_319
; %bb.318:
	v_lshlrev_b32_e32 v0, 4, v0
	ds_read2_b32 v[2:3], v0 offset1:1
	ds_read2_b32 v[4:5], v0 offset0:2 offset1:3
	v_add_u32_e32 v6, 0x1000, v0
	v_add_u32_e32 v7, 0x1008, v0
	s_waitcnt lgkmcnt(1)
	v_add_u32_e32 v2, v3, v2
	s_waitcnt lgkmcnt(0)
	v_add3_u32 v2, v2, v4, v5
	global_atomic_add v1, v2, s[10:11]
	ds_read2_b32 v[2:3], v6 offset1:1
	ds_read2_b32 v[4:5], v7 offset1:1
	v_add_u32_e32 v6, 0x2000, v0
	v_add_u32_e32 v7, 0x2008, v0
	s_waitcnt lgkmcnt(1)
	v_add_u32_e32 v2, v3, v2
	s_waitcnt lgkmcnt(0)
	v_add3_u32 v2, v2, v4, v5
	global_atomic_add v1, v2, s[10:11] offset:1024
	ds_read2_b32 v[2:3], v6 offset1:1
	ds_read2_b32 v[4:5], v7 offset1:1
	v_add_u32_e32 v6, 0x3000, v0
	v_add_u32_e32 v0, 0x3008, v0
	s_waitcnt lgkmcnt(1)
	v_add_u32_e32 v2, v3, v2
	s_waitcnt lgkmcnt(0)
	v_add3_u32 v2, v2, v4, v5
	global_atomic_add v1, v2, s[10:11] offset:2048
	ds_read2_b32 v[2:3], v6 offset1:1
	ds_read2_b32 v[4:5], v0 offset1:1
	s_waitcnt lgkmcnt(1)
	v_add_u32_e32 v0, v3, v2
	s_waitcnt lgkmcnt(0)
	v_add3_u32 v0, v0, v4, v5
	global_atomic_add v1, v0, s[10:11] offset:3072
.LBB1723_319:
	s_endpgm
	.section	.rodata,"a",@progbits
	.p2align	6, 0x0
	.amdhsa_kernel _ZN7rocprim17ROCPRIM_400000_NS6detail17trampoline_kernelINS0_14default_configENS1_35radix_sort_onesweep_config_selectorIiNS0_10empty_typeEEEZNS1_34radix_sort_onesweep_global_offsetsIS3_Lb0EN6thrust23THRUST_200600_302600_NS6detail15normal_iteratorINS9_10device_ptrIiEEEEPS5_jNS0_19identity_decomposerEEE10hipError_tT1_T2_PT3_SK_jT4_jjP12ihipStream_tbEUlT_E_NS1_11comp_targetILNS1_3genE4ELNS1_11target_archE910ELNS1_3gpuE8ELNS1_3repE0EEENS1_52radix_sort_onesweep_histogram_config_static_selectorELNS0_4arch9wavefront6targetE1EEEvSI_
		.amdhsa_group_segment_fixed_size 16384
		.amdhsa_private_segment_fixed_size 0
		.amdhsa_kernarg_size 40
		.amdhsa_user_sgpr_count 6
		.amdhsa_user_sgpr_private_segment_buffer 1
		.amdhsa_user_sgpr_dispatch_ptr 0
		.amdhsa_user_sgpr_queue_ptr 0
		.amdhsa_user_sgpr_kernarg_segment_ptr 1
		.amdhsa_user_sgpr_dispatch_id 0
		.amdhsa_user_sgpr_flat_scratch_init 0
		.amdhsa_user_sgpr_kernarg_preload_length 0
		.amdhsa_user_sgpr_kernarg_preload_offset 0
		.amdhsa_user_sgpr_private_segment_size 0
		.amdhsa_uses_dynamic_stack 0
		.amdhsa_system_sgpr_private_segment_wavefront_offset 0
		.amdhsa_system_sgpr_workgroup_id_x 1
		.amdhsa_system_sgpr_workgroup_id_y 0
		.amdhsa_system_sgpr_workgroup_id_z 0
		.amdhsa_system_sgpr_workgroup_info 0
		.amdhsa_system_vgpr_workitem_id 0
		.amdhsa_next_free_vgpr 27
		.amdhsa_next_free_sgpr 19
		.amdhsa_accum_offset 28
		.amdhsa_reserve_vcc 1
		.amdhsa_reserve_flat_scratch 0
		.amdhsa_float_round_mode_32 0
		.amdhsa_float_round_mode_16_64 0
		.amdhsa_float_denorm_mode_32 3
		.amdhsa_float_denorm_mode_16_64 3
		.amdhsa_dx10_clamp 1
		.amdhsa_ieee_mode 1
		.amdhsa_fp16_overflow 0
		.amdhsa_tg_split 0
		.amdhsa_exception_fp_ieee_invalid_op 0
		.amdhsa_exception_fp_denorm_src 0
		.amdhsa_exception_fp_ieee_div_zero 0
		.amdhsa_exception_fp_ieee_overflow 0
		.amdhsa_exception_fp_ieee_underflow 0
		.amdhsa_exception_fp_ieee_inexact 0
		.amdhsa_exception_int_div_zero 0
	.end_amdhsa_kernel
	.section	.text._ZN7rocprim17ROCPRIM_400000_NS6detail17trampoline_kernelINS0_14default_configENS1_35radix_sort_onesweep_config_selectorIiNS0_10empty_typeEEEZNS1_34radix_sort_onesweep_global_offsetsIS3_Lb0EN6thrust23THRUST_200600_302600_NS6detail15normal_iteratorINS9_10device_ptrIiEEEEPS5_jNS0_19identity_decomposerEEE10hipError_tT1_T2_PT3_SK_jT4_jjP12ihipStream_tbEUlT_E_NS1_11comp_targetILNS1_3genE4ELNS1_11target_archE910ELNS1_3gpuE8ELNS1_3repE0EEENS1_52radix_sort_onesweep_histogram_config_static_selectorELNS0_4arch9wavefront6targetE1EEEvSI_,"axG",@progbits,_ZN7rocprim17ROCPRIM_400000_NS6detail17trampoline_kernelINS0_14default_configENS1_35radix_sort_onesweep_config_selectorIiNS0_10empty_typeEEEZNS1_34radix_sort_onesweep_global_offsetsIS3_Lb0EN6thrust23THRUST_200600_302600_NS6detail15normal_iteratorINS9_10device_ptrIiEEEEPS5_jNS0_19identity_decomposerEEE10hipError_tT1_T2_PT3_SK_jT4_jjP12ihipStream_tbEUlT_E_NS1_11comp_targetILNS1_3genE4ELNS1_11target_archE910ELNS1_3gpuE8ELNS1_3repE0EEENS1_52radix_sort_onesweep_histogram_config_static_selectorELNS0_4arch9wavefront6targetE1EEEvSI_,comdat
.Lfunc_end1723:
	.size	_ZN7rocprim17ROCPRIM_400000_NS6detail17trampoline_kernelINS0_14default_configENS1_35radix_sort_onesweep_config_selectorIiNS0_10empty_typeEEEZNS1_34radix_sort_onesweep_global_offsetsIS3_Lb0EN6thrust23THRUST_200600_302600_NS6detail15normal_iteratorINS9_10device_ptrIiEEEEPS5_jNS0_19identity_decomposerEEE10hipError_tT1_T2_PT3_SK_jT4_jjP12ihipStream_tbEUlT_E_NS1_11comp_targetILNS1_3genE4ELNS1_11target_archE910ELNS1_3gpuE8ELNS1_3repE0EEENS1_52radix_sort_onesweep_histogram_config_static_selectorELNS0_4arch9wavefront6targetE1EEEvSI_, .Lfunc_end1723-_ZN7rocprim17ROCPRIM_400000_NS6detail17trampoline_kernelINS0_14default_configENS1_35radix_sort_onesweep_config_selectorIiNS0_10empty_typeEEEZNS1_34radix_sort_onesweep_global_offsetsIS3_Lb0EN6thrust23THRUST_200600_302600_NS6detail15normal_iteratorINS9_10device_ptrIiEEEEPS5_jNS0_19identity_decomposerEEE10hipError_tT1_T2_PT3_SK_jT4_jjP12ihipStream_tbEUlT_E_NS1_11comp_targetILNS1_3genE4ELNS1_11target_archE910ELNS1_3gpuE8ELNS1_3repE0EEENS1_52radix_sort_onesweep_histogram_config_static_selectorELNS0_4arch9wavefront6targetE1EEEvSI_
                                        ; -- End function
	.section	.AMDGPU.csdata,"",@progbits
; Kernel info:
; codeLenInByte = 10900
; NumSgprs: 23
; NumVgprs: 27
; NumAgprs: 0
; TotalNumVgprs: 27
; ScratchSize: 0
; MemoryBound: 0
; FloatMode: 240
; IeeeMode: 1
; LDSByteSize: 16384 bytes/workgroup (compile time only)
; SGPRBlocks: 2
; VGPRBlocks: 3
; NumSGPRsForWavesPerEU: 23
; NumVGPRsForWavesPerEU: 27
; AccumOffset: 28
; Occupancy: 8
; WaveLimiterHint : 1
; COMPUTE_PGM_RSRC2:SCRATCH_EN: 0
; COMPUTE_PGM_RSRC2:USER_SGPR: 6
; COMPUTE_PGM_RSRC2:TRAP_HANDLER: 0
; COMPUTE_PGM_RSRC2:TGID_X_EN: 1
; COMPUTE_PGM_RSRC2:TGID_Y_EN: 0
; COMPUTE_PGM_RSRC2:TGID_Z_EN: 0
; COMPUTE_PGM_RSRC2:TIDIG_COMP_CNT: 0
; COMPUTE_PGM_RSRC3_GFX90A:ACCUM_OFFSET: 6
; COMPUTE_PGM_RSRC3_GFX90A:TG_SPLIT: 0
	.section	.text._ZN7rocprim17ROCPRIM_400000_NS6detail17trampoline_kernelINS0_14default_configENS1_35radix_sort_onesweep_config_selectorIiNS0_10empty_typeEEEZNS1_34radix_sort_onesweep_global_offsetsIS3_Lb0EN6thrust23THRUST_200600_302600_NS6detail15normal_iteratorINS9_10device_ptrIiEEEEPS5_jNS0_19identity_decomposerEEE10hipError_tT1_T2_PT3_SK_jT4_jjP12ihipStream_tbEUlT_E_NS1_11comp_targetILNS1_3genE3ELNS1_11target_archE908ELNS1_3gpuE7ELNS1_3repE0EEENS1_52radix_sort_onesweep_histogram_config_static_selectorELNS0_4arch9wavefront6targetE1EEEvSI_,"axG",@progbits,_ZN7rocprim17ROCPRIM_400000_NS6detail17trampoline_kernelINS0_14default_configENS1_35radix_sort_onesweep_config_selectorIiNS0_10empty_typeEEEZNS1_34radix_sort_onesweep_global_offsetsIS3_Lb0EN6thrust23THRUST_200600_302600_NS6detail15normal_iteratorINS9_10device_ptrIiEEEEPS5_jNS0_19identity_decomposerEEE10hipError_tT1_T2_PT3_SK_jT4_jjP12ihipStream_tbEUlT_E_NS1_11comp_targetILNS1_3genE3ELNS1_11target_archE908ELNS1_3gpuE7ELNS1_3repE0EEENS1_52radix_sort_onesweep_histogram_config_static_selectorELNS0_4arch9wavefront6targetE1EEEvSI_,comdat
	.protected	_ZN7rocprim17ROCPRIM_400000_NS6detail17trampoline_kernelINS0_14default_configENS1_35radix_sort_onesweep_config_selectorIiNS0_10empty_typeEEEZNS1_34radix_sort_onesweep_global_offsetsIS3_Lb0EN6thrust23THRUST_200600_302600_NS6detail15normal_iteratorINS9_10device_ptrIiEEEEPS5_jNS0_19identity_decomposerEEE10hipError_tT1_T2_PT3_SK_jT4_jjP12ihipStream_tbEUlT_E_NS1_11comp_targetILNS1_3genE3ELNS1_11target_archE908ELNS1_3gpuE7ELNS1_3repE0EEENS1_52radix_sort_onesweep_histogram_config_static_selectorELNS0_4arch9wavefront6targetE1EEEvSI_ ; -- Begin function _ZN7rocprim17ROCPRIM_400000_NS6detail17trampoline_kernelINS0_14default_configENS1_35radix_sort_onesweep_config_selectorIiNS0_10empty_typeEEEZNS1_34radix_sort_onesweep_global_offsetsIS3_Lb0EN6thrust23THRUST_200600_302600_NS6detail15normal_iteratorINS9_10device_ptrIiEEEEPS5_jNS0_19identity_decomposerEEE10hipError_tT1_T2_PT3_SK_jT4_jjP12ihipStream_tbEUlT_E_NS1_11comp_targetILNS1_3genE3ELNS1_11target_archE908ELNS1_3gpuE7ELNS1_3repE0EEENS1_52radix_sort_onesweep_histogram_config_static_selectorELNS0_4arch9wavefront6targetE1EEEvSI_
	.globl	_ZN7rocprim17ROCPRIM_400000_NS6detail17trampoline_kernelINS0_14default_configENS1_35radix_sort_onesweep_config_selectorIiNS0_10empty_typeEEEZNS1_34radix_sort_onesweep_global_offsetsIS3_Lb0EN6thrust23THRUST_200600_302600_NS6detail15normal_iteratorINS9_10device_ptrIiEEEEPS5_jNS0_19identity_decomposerEEE10hipError_tT1_T2_PT3_SK_jT4_jjP12ihipStream_tbEUlT_E_NS1_11comp_targetILNS1_3genE3ELNS1_11target_archE908ELNS1_3gpuE7ELNS1_3repE0EEENS1_52radix_sort_onesweep_histogram_config_static_selectorELNS0_4arch9wavefront6targetE1EEEvSI_
	.p2align	8
	.type	_ZN7rocprim17ROCPRIM_400000_NS6detail17trampoline_kernelINS0_14default_configENS1_35radix_sort_onesweep_config_selectorIiNS0_10empty_typeEEEZNS1_34radix_sort_onesweep_global_offsetsIS3_Lb0EN6thrust23THRUST_200600_302600_NS6detail15normal_iteratorINS9_10device_ptrIiEEEEPS5_jNS0_19identity_decomposerEEE10hipError_tT1_T2_PT3_SK_jT4_jjP12ihipStream_tbEUlT_E_NS1_11comp_targetILNS1_3genE3ELNS1_11target_archE908ELNS1_3gpuE7ELNS1_3repE0EEENS1_52radix_sort_onesweep_histogram_config_static_selectorELNS0_4arch9wavefront6targetE1EEEvSI_,@function
_ZN7rocprim17ROCPRIM_400000_NS6detail17trampoline_kernelINS0_14default_configENS1_35radix_sort_onesweep_config_selectorIiNS0_10empty_typeEEEZNS1_34radix_sort_onesweep_global_offsetsIS3_Lb0EN6thrust23THRUST_200600_302600_NS6detail15normal_iteratorINS9_10device_ptrIiEEEEPS5_jNS0_19identity_decomposerEEE10hipError_tT1_T2_PT3_SK_jT4_jjP12ihipStream_tbEUlT_E_NS1_11comp_targetILNS1_3genE3ELNS1_11target_archE908ELNS1_3gpuE7ELNS1_3repE0EEENS1_52radix_sort_onesweep_histogram_config_static_selectorELNS0_4arch9wavefront6targetE1EEEvSI_: ; @_ZN7rocprim17ROCPRIM_400000_NS6detail17trampoline_kernelINS0_14default_configENS1_35radix_sort_onesweep_config_selectorIiNS0_10empty_typeEEEZNS1_34radix_sort_onesweep_global_offsetsIS3_Lb0EN6thrust23THRUST_200600_302600_NS6detail15normal_iteratorINS9_10device_ptrIiEEEEPS5_jNS0_19identity_decomposerEEE10hipError_tT1_T2_PT3_SK_jT4_jjP12ihipStream_tbEUlT_E_NS1_11comp_targetILNS1_3genE3ELNS1_11target_archE908ELNS1_3gpuE7ELNS1_3repE0EEENS1_52radix_sort_onesweep_histogram_config_static_selectorELNS0_4arch9wavefront6targetE1EEEvSI_
; %bb.0:
	.section	.rodata,"a",@progbits
	.p2align	6, 0x0
	.amdhsa_kernel _ZN7rocprim17ROCPRIM_400000_NS6detail17trampoline_kernelINS0_14default_configENS1_35radix_sort_onesweep_config_selectorIiNS0_10empty_typeEEEZNS1_34radix_sort_onesweep_global_offsetsIS3_Lb0EN6thrust23THRUST_200600_302600_NS6detail15normal_iteratorINS9_10device_ptrIiEEEEPS5_jNS0_19identity_decomposerEEE10hipError_tT1_T2_PT3_SK_jT4_jjP12ihipStream_tbEUlT_E_NS1_11comp_targetILNS1_3genE3ELNS1_11target_archE908ELNS1_3gpuE7ELNS1_3repE0EEENS1_52radix_sort_onesweep_histogram_config_static_selectorELNS0_4arch9wavefront6targetE1EEEvSI_
		.amdhsa_group_segment_fixed_size 0
		.amdhsa_private_segment_fixed_size 0
		.amdhsa_kernarg_size 40
		.amdhsa_user_sgpr_count 6
		.amdhsa_user_sgpr_private_segment_buffer 1
		.amdhsa_user_sgpr_dispatch_ptr 0
		.amdhsa_user_sgpr_queue_ptr 0
		.amdhsa_user_sgpr_kernarg_segment_ptr 1
		.amdhsa_user_sgpr_dispatch_id 0
		.amdhsa_user_sgpr_flat_scratch_init 0
		.amdhsa_user_sgpr_kernarg_preload_length 0
		.amdhsa_user_sgpr_kernarg_preload_offset 0
		.amdhsa_user_sgpr_private_segment_size 0
		.amdhsa_uses_dynamic_stack 0
		.amdhsa_system_sgpr_private_segment_wavefront_offset 0
		.amdhsa_system_sgpr_workgroup_id_x 1
		.amdhsa_system_sgpr_workgroup_id_y 0
		.amdhsa_system_sgpr_workgroup_id_z 0
		.amdhsa_system_sgpr_workgroup_info 0
		.amdhsa_system_vgpr_workitem_id 0
		.amdhsa_next_free_vgpr 1
		.amdhsa_next_free_sgpr 0
		.amdhsa_accum_offset 4
		.amdhsa_reserve_vcc 0
		.amdhsa_reserve_flat_scratch 0
		.amdhsa_float_round_mode_32 0
		.amdhsa_float_round_mode_16_64 0
		.amdhsa_float_denorm_mode_32 3
		.amdhsa_float_denorm_mode_16_64 3
		.amdhsa_dx10_clamp 1
		.amdhsa_ieee_mode 1
		.amdhsa_fp16_overflow 0
		.amdhsa_tg_split 0
		.amdhsa_exception_fp_ieee_invalid_op 0
		.amdhsa_exception_fp_denorm_src 0
		.amdhsa_exception_fp_ieee_div_zero 0
		.amdhsa_exception_fp_ieee_overflow 0
		.amdhsa_exception_fp_ieee_underflow 0
		.amdhsa_exception_fp_ieee_inexact 0
		.amdhsa_exception_int_div_zero 0
	.end_amdhsa_kernel
	.section	.text._ZN7rocprim17ROCPRIM_400000_NS6detail17trampoline_kernelINS0_14default_configENS1_35radix_sort_onesweep_config_selectorIiNS0_10empty_typeEEEZNS1_34radix_sort_onesweep_global_offsetsIS3_Lb0EN6thrust23THRUST_200600_302600_NS6detail15normal_iteratorINS9_10device_ptrIiEEEEPS5_jNS0_19identity_decomposerEEE10hipError_tT1_T2_PT3_SK_jT4_jjP12ihipStream_tbEUlT_E_NS1_11comp_targetILNS1_3genE3ELNS1_11target_archE908ELNS1_3gpuE7ELNS1_3repE0EEENS1_52radix_sort_onesweep_histogram_config_static_selectorELNS0_4arch9wavefront6targetE1EEEvSI_,"axG",@progbits,_ZN7rocprim17ROCPRIM_400000_NS6detail17trampoline_kernelINS0_14default_configENS1_35radix_sort_onesweep_config_selectorIiNS0_10empty_typeEEEZNS1_34radix_sort_onesweep_global_offsetsIS3_Lb0EN6thrust23THRUST_200600_302600_NS6detail15normal_iteratorINS9_10device_ptrIiEEEEPS5_jNS0_19identity_decomposerEEE10hipError_tT1_T2_PT3_SK_jT4_jjP12ihipStream_tbEUlT_E_NS1_11comp_targetILNS1_3genE3ELNS1_11target_archE908ELNS1_3gpuE7ELNS1_3repE0EEENS1_52radix_sort_onesweep_histogram_config_static_selectorELNS0_4arch9wavefront6targetE1EEEvSI_,comdat
.Lfunc_end1724:
	.size	_ZN7rocprim17ROCPRIM_400000_NS6detail17trampoline_kernelINS0_14default_configENS1_35radix_sort_onesweep_config_selectorIiNS0_10empty_typeEEEZNS1_34radix_sort_onesweep_global_offsetsIS3_Lb0EN6thrust23THRUST_200600_302600_NS6detail15normal_iteratorINS9_10device_ptrIiEEEEPS5_jNS0_19identity_decomposerEEE10hipError_tT1_T2_PT3_SK_jT4_jjP12ihipStream_tbEUlT_E_NS1_11comp_targetILNS1_3genE3ELNS1_11target_archE908ELNS1_3gpuE7ELNS1_3repE0EEENS1_52radix_sort_onesweep_histogram_config_static_selectorELNS0_4arch9wavefront6targetE1EEEvSI_, .Lfunc_end1724-_ZN7rocprim17ROCPRIM_400000_NS6detail17trampoline_kernelINS0_14default_configENS1_35radix_sort_onesweep_config_selectorIiNS0_10empty_typeEEEZNS1_34radix_sort_onesweep_global_offsetsIS3_Lb0EN6thrust23THRUST_200600_302600_NS6detail15normal_iteratorINS9_10device_ptrIiEEEEPS5_jNS0_19identity_decomposerEEE10hipError_tT1_T2_PT3_SK_jT4_jjP12ihipStream_tbEUlT_E_NS1_11comp_targetILNS1_3genE3ELNS1_11target_archE908ELNS1_3gpuE7ELNS1_3repE0EEENS1_52radix_sort_onesweep_histogram_config_static_selectorELNS0_4arch9wavefront6targetE1EEEvSI_
                                        ; -- End function
	.section	.AMDGPU.csdata,"",@progbits
; Kernel info:
; codeLenInByte = 0
; NumSgprs: 4
; NumVgprs: 0
; NumAgprs: 0
; TotalNumVgprs: 0
; ScratchSize: 0
; MemoryBound: 0
; FloatMode: 240
; IeeeMode: 1
; LDSByteSize: 0 bytes/workgroup (compile time only)
; SGPRBlocks: 0
; VGPRBlocks: 0
; NumSGPRsForWavesPerEU: 4
; NumVGPRsForWavesPerEU: 1
; AccumOffset: 4
; Occupancy: 8
; WaveLimiterHint : 0
; COMPUTE_PGM_RSRC2:SCRATCH_EN: 0
; COMPUTE_PGM_RSRC2:USER_SGPR: 6
; COMPUTE_PGM_RSRC2:TRAP_HANDLER: 0
; COMPUTE_PGM_RSRC2:TGID_X_EN: 1
; COMPUTE_PGM_RSRC2:TGID_Y_EN: 0
; COMPUTE_PGM_RSRC2:TGID_Z_EN: 0
; COMPUTE_PGM_RSRC2:TIDIG_COMP_CNT: 0
; COMPUTE_PGM_RSRC3_GFX90A:ACCUM_OFFSET: 0
; COMPUTE_PGM_RSRC3_GFX90A:TG_SPLIT: 0
	.section	.text._ZN7rocprim17ROCPRIM_400000_NS6detail17trampoline_kernelINS0_14default_configENS1_35radix_sort_onesweep_config_selectorIiNS0_10empty_typeEEEZNS1_34radix_sort_onesweep_global_offsetsIS3_Lb0EN6thrust23THRUST_200600_302600_NS6detail15normal_iteratorINS9_10device_ptrIiEEEEPS5_jNS0_19identity_decomposerEEE10hipError_tT1_T2_PT3_SK_jT4_jjP12ihipStream_tbEUlT_E_NS1_11comp_targetILNS1_3genE10ELNS1_11target_archE1201ELNS1_3gpuE5ELNS1_3repE0EEENS1_52radix_sort_onesweep_histogram_config_static_selectorELNS0_4arch9wavefront6targetE1EEEvSI_,"axG",@progbits,_ZN7rocprim17ROCPRIM_400000_NS6detail17trampoline_kernelINS0_14default_configENS1_35radix_sort_onesweep_config_selectorIiNS0_10empty_typeEEEZNS1_34radix_sort_onesweep_global_offsetsIS3_Lb0EN6thrust23THRUST_200600_302600_NS6detail15normal_iteratorINS9_10device_ptrIiEEEEPS5_jNS0_19identity_decomposerEEE10hipError_tT1_T2_PT3_SK_jT4_jjP12ihipStream_tbEUlT_E_NS1_11comp_targetILNS1_3genE10ELNS1_11target_archE1201ELNS1_3gpuE5ELNS1_3repE0EEENS1_52radix_sort_onesweep_histogram_config_static_selectorELNS0_4arch9wavefront6targetE1EEEvSI_,comdat
	.protected	_ZN7rocprim17ROCPRIM_400000_NS6detail17trampoline_kernelINS0_14default_configENS1_35radix_sort_onesweep_config_selectorIiNS0_10empty_typeEEEZNS1_34radix_sort_onesweep_global_offsetsIS3_Lb0EN6thrust23THRUST_200600_302600_NS6detail15normal_iteratorINS9_10device_ptrIiEEEEPS5_jNS0_19identity_decomposerEEE10hipError_tT1_T2_PT3_SK_jT4_jjP12ihipStream_tbEUlT_E_NS1_11comp_targetILNS1_3genE10ELNS1_11target_archE1201ELNS1_3gpuE5ELNS1_3repE0EEENS1_52radix_sort_onesweep_histogram_config_static_selectorELNS0_4arch9wavefront6targetE1EEEvSI_ ; -- Begin function _ZN7rocprim17ROCPRIM_400000_NS6detail17trampoline_kernelINS0_14default_configENS1_35radix_sort_onesweep_config_selectorIiNS0_10empty_typeEEEZNS1_34radix_sort_onesweep_global_offsetsIS3_Lb0EN6thrust23THRUST_200600_302600_NS6detail15normal_iteratorINS9_10device_ptrIiEEEEPS5_jNS0_19identity_decomposerEEE10hipError_tT1_T2_PT3_SK_jT4_jjP12ihipStream_tbEUlT_E_NS1_11comp_targetILNS1_3genE10ELNS1_11target_archE1201ELNS1_3gpuE5ELNS1_3repE0EEENS1_52radix_sort_onesweep_histogram_config_static_selectorELNS0_4arch9wavefront6targetE1EEEvSI_
	.globl	_ZN7rocprim17ROCPRIM_400000_NS6detail17trampoline_kernelINS0_14default_configENS1_35radix_sort_onesweep_config_selectorIiNS0_10empty_typeEEEZNS1_34radix_sort_onesweep_global_offsetsIS3_Lb0EN6thrust23THRUST_200600_302600_NS6detail15normal_iteratorINS9_10device_ptrIiEEEEPS5_jNS0_19identity_decomposerEEE10hipError_tT1_T2_PT3_SK_jT4_jjP12ihipStream_tbEUlT_E_NS1_11comp_targetILNS1_3genE10ELNS1_11target_archE1201ELNS1_3gpuE5ELNS1_3repE0EEENS1_52radix_sort_onesweep_histogram_config_static_selectorELNS0_4arch9wavefront6targetE1EEEvSI_
	.p2align	8
	.type	_ZN7rocprim17ROCPRIM_400000_NS6detail17trampoline_kernelINS0_14default_configENS1_35radix_sort_onesweep_config_selectorIiNS0_10empty_typeEEEZNS1_34radix_sort_onesweep_global_offsetsIS3_Lb0EN6thrust23THRUST_200600_302600_NS6detail15normal_iteratorINS9_10device_ptrIiEEEEPS5_jNS0_19identity_decomposerEEE10hipError_tT1_T2_PT3_SK_jT4_jjP12ihipStream_tbEUlT_E_NS1_11comp_targetILNS1_3genE10ELNS1_11target_archE1201ELNS1_3gpuE5ELNS1_3repE0EEENS1_52radix_sort_onesweep_histogram_config_static_selectorELNS0_4arch9wavefront6targetE1EEEvSI_,@function
_ZN7rocprim17ROCPRIM_400000_NS6detail17trampoline_kernelINS0_14default_configENS1_35radix_sort_onesweep_config_selectorIiNS0_10empty_typeEEEZNS1_34radix_sort_onesweep_global_offsetsIS3_Lb0EN6thrust23THRUST_200600_302600_NS6detail15normal_iteratorINS9_10device_ptrIiEEEEPS5_jNS0_19identity_decomposerEEE10hipError_tT1_T2_PT3_SK_jT4_jjP12ihipStream_tbEUlT_E_NS1_11comp_targetILNS1_3genE10ELNS1_11target_archE1201ELNS1_3gpuE5ELNS1_3repE0EEENS1_52radix_sort_onesweep_histogram_config_static_selectorELNS0_4arch9wavefront6targetE1EEEvSI_: ; @_ZN7rocprim17ROCPRIM_400000_NS6detail17trampoline_kernelINS0_14default_configENS1_35radix_sort_onesweep_config_selectorIiNS0_10empty_typeEEEZNS1_34radix_sort_onesweep_global_offsetsIS3_Lb0EN6thrust23THRUST_200600_302600_NS6detail15normal_iteratorINS9_10device_ptrIiEEEEPS5_jNS0_19identity_decomposerEEE10hipError_tT1_T2_PT3_SK_jT4_jjP12ihipStream_tbEUlT_E_NS1_11comp_targetILNS1_3genE10ELNS1_11target_archE1201ELNS1_3gpuE5ELNS1_3repE0EEENS1_52radix_sort_onesweep_histogram_config_static_selectorELNS0_4arch9wavefront6targetE1EEEvSI_
; %bb.0:
	.section	.rodata,"a",@progbits
	.p2align	6, 0x0
	.amdhsa_kernel _ZN7rocprim17ROCPRIM_400000_NS6detail17trampoline_kernelINS0_14default_configENS1_35radix_sort_onesweep_config_selectorIiNS0_10empty_typeEEEZNS1_34radix_sort_onesweep_global_offsetsIS3_Lb0EN6thrust23THRUST_200600_302600_NS6detail15normal_iteratorINS9_10device_ptrIiEEEEPS5_jNS0_19identity_decomposerEEE10hipError_tT1_T2_PT3_SK_jT4_jjP12ihipStream_tbEUlT_E_NS1_11comp_targetILNS1_3genE10ELNS1_11target_archE1201ELNS1_3gpuE5ELNS1_3repE0EEENS1_52radix_sort_onesweep_histogram_config_static_selectorELNS0_4arch9wavefront6targetE1EEEvSI_
		.amdhsa_group_segment_fixed_size 0
		.amdhsa_private_segment_fixed_size 0
		.amdhsa_kernarg_size 40
		.amdhsa_user_sgpr_count 6
		.amdhsa_user_sgpr_private_segment_buffer 1
		.amdhsa_user_sgpr_dispatch_ptr 0
		.amdhsa_user_sgpr_queue_ptr 0
		.amdhsa_user_sgpr_kernarg_segment_ptr 1
		.amdhsa_user_sgpr_dispatch_id 0
		.amdhsa_user_sgpr_flat_scratch_init 0
		.amdhsa_user_sgpr_kernarg_preload_length 0
		.amdhsa_user_sgpr_kernarg_preload_offset 0
		.amdhsa_user_sgpr_private_segment_size 0
		.amdhsa_uses_dynamic_stack 0
		.amdhsa_system_sgpr_private_segment_wavefront_offset 0
		.amdhsa_system_sgpr_workgroup_id_x 1
		.amdhsa_system_sgpr_workgroup_id_y 0
		.amdhsa_system_sgpr_workgroup_id_z 0
		.amdhsa_system_sgpr_workgroup_info 0
		.amdhsa_system_vgpr_workitem_id 0
		.amdhsa_next_free_vgpr 1
		.amdhsa_next_free_sgpr 0
		.amdhsa_accum_offset 4
		.amdhsa_reserve_vcc 0
		.amdhsa_reserve_flat_scratch 0
		.amdhsa_float_round_mode_32 0
		.amdhsa_float_round_mode_16_64 0
		.amdhsa_float_denorm_mode_32 3
		.amdhsa_float_denorm_mode_16_64 3
		.amdhsa_dx10_clamp 1
		.amdhsa_ieee_mode 1
		.amdhsa_fp16_overflow 0
		.amdhsa_tg_split 0
		.amdhsa_exception_fp_ieee_invalid_op 0
		.amdhsa_exception_fp_denorm_src 0
		.amdhsa_exception_fp_ieee_div_zero 0
		.amdhsa_exception_fp_ieee_overflow 0
		.amdhsa_exception_fp_ieee_underflow 0
		.amdhsa_exception_fp_ieee_inexact 0
		.amdhsa_exception_int_div_zero 0
	.end_amdhsa_kernel
	.section	.text._ZN7rocprim17ROCPRIM_400000_NS6detail17trampoline_kernelINS0_14default_configENS1_35radix_sort_onesweep_config_selectorIiNS0_10empty_typeEEEZNS1_34radix_sort_onesweep_global_offsetsIS3_Lb0EN6thrust23THRUST_200600_302600_NS6detail15normal_iteratorINS9_10device_ptrIiEEEEPS5_jNS0_19identity_decomposerEEE10hipError_tT1_T2_PT3_SK_jT4_jjP12ihipStream_tbEUlT_E_NS1_11comp_targetILNS1_3genE10ELNS1_11target_archE1201ELNS1_3gpuE5ELNS1_3repE0EEENS1_52radix_sort_onesweep_histogram_config_static_selectorELNS0_4arch9wavefront6targetE1EEEvSI_,"axG",@progbits,_ZN7rocprim17ROCPRIM_400000_NS6detail17trampoline_kernelINS0_14default_configENS1_35radix_sort_onesweep_config_selectorIiNS0_10empty_typeEEEZNS1_34radix_sort_onesweep_global_offsetsIS3_Lb0EN6thrust23THRUST_200600_302600_NS6detail15normal_iteratorINS9_10device_ptrIiEEEEPS5_jNS0_19identity_decomposerEEE10hipError_tT1_T2_PT3_SK_jT4_jjP12ihipStream_tbEUlT_E_NS1_11comp_targetILNS1_3genE10ELNS1_11target_archE1201ELNS1_3gpuE5ELNS1_3repE0EEENS1_52radix_sort_onesweep_histogram_config_static_selectorELNS0_4arch9wavefront6targetE1EEEvSI_,comdat
.Lfunc_end1725:
	.size	_ZN7rocprim17ROCPRIM_400000_NS6detail17trampoline_kernelINS0_14default_configENS1_35radix_sort_onesweep_config_selectorIiNS0_10empty_typeEEEZNS1_34radix_sort_onesweep_global_offsetsIS3_Lb0EN6thrust23THRUST_200600_302600_NS6detail15normal_iteratorINS9_10device_ptrIiEEEEPS5_jNS0_19identity_decomposerEEE10hipError_tT1_T2_PT3_SK_jT4_jjP12ihipStream_tbEUlT_E_NS1_11comp_targetILNS1_3genE10ELNS1_11target_archE1201ELNS1_3gpuE5ELNS1_3repE0EEENS1_52radix_sort_onesweep_histogram_config_static_selectorELNS0_4arch9wavefront6targetE1EEEvSI_, .Lfunc_end1725-_ZN7rocprim17ROCPRIM_400000_NS6detail17trampoline_kernelINS0_14default_configENS1_35radix_sort_onesweep_config_selectorIiNS0_10empty_typeEEEZNS1_34radix_sort_onesweep_global_offsetsIS3_Lb0EN6thrust23THRUST_200600_302600_NS6detail15normal_iteratorINS9_10device_ptrIiEEEEPS5_jNS0_19identity_decomposerEEE10hipError_tT1_T2_PT3_SK_jT4_jjP12ihipStream_tbEUlT_E_NS1_11comp_targetILNS1_3genE10ELNS1_11target_archE1201ELNS1_3gpuE5ELNS1_3repE0EEENS1_52radix_sort_onesweep_histogram_config_static_selectorELNS0_4arch9wavefront6targetE1EEEvSI_
                                        ; -- End function
	.section	.AMDGPU.csdata,"",@progbits
; Kernel info:
; codeLenInByte = 0
; NumSgprs: 4
; NumVgprs: 0
; NumAgprs: 0
; TotalNumVgprs: 0
; ScratchSize: 0
; MemoryBound: 0
; FloatMode: 240
; IeeeMode: 1
; LDSByteSize: 0 bytes/workgroup (compile time only)
; SGPRBlocks: 0
; VGPRBlocks: 0
; NumSGPRsForWavesPerEU: 4
; NumVGPRsForWavesPerEU: 1
; AccumOffset: 4
; Occupancy: 8
; WaveLimiterHint : 0
; COMPUTE_PGM_RSRC2:SCRATCH_EN: 0
; COMPUTE_PGM_RSRC2:USER_SGPR: 6
; COMPUTE_PGM_RSRC2:TRAP_HANDLER: 0
; COMPUTE_PGM_RSRC2:TGID_X_EN: 1
; COMPUTE_PGM_RSRC2:TGID_Y_EN: 0
; COMPUTE_PGM_RSRC2:TGID_Z_EN: 0
; COMPUTE_PGM_RSRC2:TIDIG_COMP_CNT: 0
; COMPUTE_PGM_RSRC3_GFX90A:ACCUM_OFFSET: 0
; COMPUTE_PGM_RSRC3_GFX90A:TG_SPLIT: 0
	.section	.text._ZN7rocprim17ROCPRIM_400000_NS6detail17trampoline_kernelINS0_14default_configENS1_35radix_sort_onesweep_config_selectorIiNS0_10empty_typeEEEZNS1_34radix_sort_onesweep_global_offsetsIS3_Lb0EN6thrust23THRUST_200600_302600_NS6detail15normal_iteratorINS9_10device_ptrIiEEEEPS5_jNS0_19identity_decomposerEEE10hipError_tT1_T2_PT3_SK_jT4_jjP12ihipStream_tbEUlT_E_NS1_11comp_targetILNS1_3genE9ELNS1_11target_archE1100ELNS1_3gpuE3ELNS1_3repE0EEENS1_52radix_sort_onesweep_histogram_config_static_selectorELNS0_4arch9wavefront6targetE1EEEvSI_,"axG",@progbits,_ZN7rocprim17ROCPRIM_400000_NS6detail17trampoline_kernelINS0_14default_configENS1_35radix_sort_onesweep_config_selectorIiNS0_10empty_typeEEEZNS1_34radix_sort_onesweep_global_offsetsIS3_Lb0EN6thrust23THRUST_200600_302600_NS6detail15normal_iteratorINS9_10device_ptrIiEEEEPS5_jNS0_19identity_decomposerEEE10hipError_tT1_T2_PT3_SK_jT4_jjP12ihipStream_tbEUlT_E_NS1_11comp_targetILNS1_3genE9ELNS1_11target_archE1100ELNS1_3gpuE3ELNS1_3repE0EEENS1_52radix_sort_onesweep_histogram_config_static_selectorELNS0_4arch9wavefront6targetE1EEEvSI_,comdat
	.protected	_ZN7rocprim17ROCPRIM_400000_NS6detail17trampoline_kernelINS0_14default_configENS1_35radix_sort_onesweep_config_selectorIiNS0_10empty_typeEEEZNS1_34radix_sort_onesweep_global_offsetsIS3_Lb0EN6thrust23THRUST_200600_302600_NS6detail15normal_iteratorINS9_10device_ptrIiEEEEPS5_jNS0_19identity_decomposerEEE10hipError_tT1_T2_PT3_SK_jT4_jjP12ihipStream_tbEUlT_E_NS1_11comp_targetILNS1_3genE9ELNS1_11target_archE1100ELNS1_3gpuE3ELNS1_3repE0EEENS1_52radix_sort_onesweep_histogram_config_static_selectorELNS0_4arch9wavefront6targetE1EEEvSI_ ; -- Begin function _ZN7rocprim17ROCPRIM_400000_NS6detail17trampoline_kernelINS0_14default_configENS1_35radix_sort_onesweep_config_selectorIiNS0_10empty_typeEEEZNS1_34radix_sort_onesweep_global_offsetsIS3_Lb0EN6thrust23THRUST_200600_302600_NS6detail15normal_iteratorINS9_10device_ptrIiEEEEPS5_jNS0_19identity_decomposerEEE10hipError_tT1_T2_PT3_SK_jT4_jjP12ihipStream_tbEUlT_E_NS1_11comp_targetILNS1_3genE9ELNS1_11target_archE1100ELNS1_3gpuE3ELNS1_3repE0EEENS1_52radix_sort_onesweep_histogram_config_static_selectorELNS0_4arch9wavefront6targetE1EEEvSI_
	.globl	_ZN7rocprim17ROCPRIM_400000_NS6detail17trampoline_kernelINS0_14default_configENS1_35radix_sort_onesweep_config_selectorIiNS0_10empty_typeEEEZNS1_34radix_sort_onesweep_global_offsetsIS3_Lb0EN6thrust23THRUST_200600_302600_NS6detail15normal_iteratorINS9_10device_ptrIiEEEEPS5_jNS0_19identity_decomposerEEE10hipError_tT1_T2_PT3_SK_jT4_jjP12ihipStream_tbEUlT_E_NS1_11comp_targetILNS1_3genE9ELNS1_11target_archE1100ELNS1_3gpuE3ELNS1_3repE0EEENS1_52radix_sort_onesweep_histogram_config_static_selectorELNS0_4arch9wavefront6targetE1EEEvSI_
	.p2align	8
	.type	_ZN7rocprim17ROCPRIM_400000_NS6detail17trampoline_kernelINS0_14default_configENS1_35radix_sort_onesweep_config_selectorIiNS0_10empty_typeEEEZNS1_34radix_sort_onesweep_global_offsetsIS3_Lb0EN6thrust23THRUST_200600_302600_NS6detail15normal_iteratorINS9_10device_ptrIiEEEEPS5_jNS0_19identity_decomposerEEE10hipError_tT1_T2_PT3_SK_jT4_jjP12ihipStream_tbEUlT_E_NS1_11comp_targetILNS1_3genE9ELNS1_11target_archE1100ELNS1_3gpuE3ELNS1_3repE0EEENS1_52radix_sort_onesweep_histogram_config_static_selectorELNS0_4arch9wavefront6targetE1EEEvSI_,@function
_ZN7rocprim17ROCPRIM_400000_NS6detail17trampoline_kernelINS0_14default_configENS1_35radix_sort_onesweep_config_selectorIiNS0_10empty_typeEEEZNS1_34radix_sort_onesweep_global_offsetsIS3_Lb0EN6thrust23THRUST_200600_302600_NS6detail15normal_iteratorINS9_10device_ptrIiEEEEPS5_jNS0_19identity_decomposerEEE10hipError_tT1_T2_PT3_SK_jT4_jjP12ihipStream_tbEUlT_E_NS1_11comp_targetILNS1_3genE9ELNS1_11target_archE1100ELNS1_3gpuE3ELNS1_3repE0EEENS1_52radix_sort_onesweep_histogram_config_static_selectorELNS0_4arch9wavefront6targetE1EEEvSI_: ; @_ZN7rocprim17ROCPRIM_400000_NS6detail17trampoline_kernelINS0_14default_configENS1_35radix_sort_onesweep_config_selectorIiNS0_10empty_typeEEEZNS1_34radix_sort_onesweep_global_offsetsIS3_Lb0EN6thrust23THRUST_200600_302600_NS6detail15normal_iteratorINS9_10device_ptrIiEEEEPS5_jNS0_19identity_decomposerEEE10hipError_tT1_T2_PT3_SK_jT4_jjP12ihipStream_tbEUlT_E_NS1_11comp_targetILNS1_3genE9ELNS1_11target_archE1100ELNS1_3gpuE3ELNS1_3repE0EEENS1_52radix_sort_onesweep_histogram_config_static_selectorELNS0_4arch9wavefront6targetE1EEEvSI_
; %bb.0:
	.section	.rodata,"a",@progbits
	.p2align	6, 0x0
	.amdhsa_kernel _ZN7rocprim17ROCPRIM_400000_NS6detail17trampoline_kernelINS0_14default_configENS1_35radix_sort_onesweep_config_selectorIiNS0_10empty_typeEEEZNS1_34radix_sort_onesweep_global_offsetsIS3_Lb0EN6thrust23THRUST_200600_302600_NS6detail15normal_iteratorINS9_10device_ptrIiEEEEPS5_jNS0_19identity_decomposerEEE10hipError_tT1_T2_PT3_SK_jT4_jjP12ihipStream_tbEUlT_E_NS1_11comp_targetILNS1_3genE9ELNS1_11target_archE1100ELNS1_3gpuE3ELNS1_3repE0EEENS1_52radix_sort_onesweep_histogram_config_static_selectorELNS0_4arch9wavefront6targetE1EEEvSI_
		.amdhsa_group_segment_fixed_size 0
		.amdhsa_private_segment_fixed_size 0
		.amdhsa_kernarg_size 40
		.amdhsa_user_sgpr_count 6
		.amdhsa_user_sgpr_private_segment_buffer 1
		.amdhsa_user_sgpr_dispatch_ptr 0
		.amdhsa_user_sgpr_queue_ptr 0
		.amdhsa_user_sgpr_kernarg_segment_ptr 1
		.amdhsa_user_sgpr_dispatch_id 0
		.amdhsa_user_sgpr_flat_scratch_init 0
		.amdhsa_user_sgpr_kernarg_preload_length 0
		.amdhsa_user_sgpr_kernarg_preload_offset 0
		.amdhsa_user_sgpr_private_segment_size 0
		.amdhsa_uses_dynamic_stack 0
		.amdhsa_system_sgpr_private_segment_wavefront_offset 0
		.amdhsa_system_sgpr_workgroup_id_x 1
		.amdhsa_system_sgpr_workgroup_id_y 0
		.amdhsa_system_sgpr_workgroup_id_z 0
		.amdhsa_system_sgpr_workgroup_info 0
		.amdhsa_system_vgpr_workitem_id 0
		.amdhsa_next_free_vgpr 1
		.amdhsa_next_free_sgpr 0
		.amdhsa_accum_offset 4
		.amdhsa_reserve_vcc 0
		.amdhsa_reserve_flat_scratch 0
		.amdhsa_float_round_mode_32 0
		.amdhsa_float_round_mode_16_64 0
		.amdhsa_float_denorm_mode_32 3
		.amdhsa_float_denorm_mode_16_64 3
		.amdhsa_dx10_clamp 1
		.amdhsa_ieee_mode 1
		.amdhsa_fp16_overflow 0
		.amdhsa_tg_split 0
		.amdhsa_exception_fp_ieee_invalid_op 0
		.amdhsa_exception_fp_denorm_src 0
		.amdhsa_exception_fp_ieee_div_zero 0
		.amdhsa_exception_fp_ieee_overflow 0
		.amdhsa_exception_fp_ieee_underflow 0
		.amdhsa_exception_fp_ieee_inexact 0
		.amdhsa_exception_int_div_zero 0
	.end_amdhsa_kernel
	.section	.text._ZN7rocprim17ROCPRIM_400000_NS6detail17trampoline_kernelINS0_14default_configENS1_35radix_sort_onesweep_config_selectorIiNS0_10empty_typeEEEZNS1_34radix_sort_onesweep_global_offsetsIS3_Lb0EN6thrust23THRUST_200600_302600_NS6detail15normal_iteratorINS9_10device_ptrIiEEEEPS5_jNS0_19identity_decomposerEEE10hipError_tT1_T2_PT3_SK_jT4_jjP12ihipStream_tbEUlT_E_NS1_11comp_targetILNS1_3genE9ELNS1_11target_archE1100ELNS1_3gpuE3ELNS1_3repE0EEENS1_52radix_sort_onesweep_histogram_config_static_selectorELNS0_4arch9wavefront6targetE1EEEvSI_,"axG",@progbits,_ZN7rocprim17ROCPRIM_400000_NS6detail17trampoline_kernelINS0_14default_configENS1_35radix_sort_onesweep_config_selectorIiNS0_10empty_typeEEEZNS1_34radix_sort_onesweep_global_offsetsIS3_Lb0EN6thrust23THRUST_200600_302600_NS6detail15normal_iteratorINS9_10device_ptrIiEEEEPS5_jNS0_19identity_decomposerEEE10hipError_tT1_T2_PT3_SK_jT4_jjP12ihipStream_tbEUlT_E_NS1_11comp_targetILNS1_3genE9ELNS1_11target_archE1100ELNS1_3gpuE3ELNS1_3repE0EEENS1_52radix_sort_onesweep_histogram_config_static_selectorELNS0_4arch9wavefront6targetE1EEEvSI_,comdat
.Lfunc_end1726:
	.size	_ZN7rocprim17ROCPRIM_400000_NS6detail17trampoline_kernelINS0_14default_configENS1_35radix_sort_onesweep_config_selectorIiNS0_10empty_typeEEEZNS1_34radix_sort_onesweep_global_offsetsIS3_Lb0EN6thrust23THRUST_200600_302600_NS6detail15normal_iteratorINS9_10device_ptrIiEEEEPS5_jNS0_19identity_decomposerEEE10hipError_tT1_T2_PT3_SK_jT4_jjP12ihipStream_tbEUlT_E_NS1_11comp_targetILNS1_3genE9ELNS1_11target_archE1100ELNS1_3gpuE3ELNS1_3repE0EEENS1_52radix_sort_onesweep_histogram_config_static_selectorELNS0_4arch9wavefront6targetE1EEEvSI_, .Lfunc_end1726-_ZN7rocprim17ROCPRIM_400000_NS6detail17trampoline_kernelINS0_14default_configENS1_35radix_sort_onesweep_config_selectorIiNS0_10empty_typeEEEZNS1_34radix_sort_onesweep_global_offsetsIS3_Lb0EN6thrust23THRUST_200600_302600_NS6detail15normal_iteratorINS9_10device_ptrIiEEEEPS5_jNS0_19identity_decomposerEEE10hipError_tT1_T2_PT3_SK_jT4_jjP12ihipStream_tbEUlT_E_NS1_11comp_targetILNS1_3genE9ELNS1_11target_archE1100ELNS1_3gpuE3ELNS1_3repE0EEENS1_52radix_sort_onesweep_histogram_config_static_selectorELNS0_4arch9wavefront6targetE1EEEvSI_
                                        ; -- End function
	.section	.AMDGPU.csdata,"",@progbits
; Kernel info:
; codeLenInByte = 0
; NumSgprs: 4
; NumVgprs: 0
; NumAgprs: 0
; TotalNumVgprs: 0
; ScratchSize: 0
; MemoryBound: 0
; FloatMode: 240
; IeeeMode: 1
; LDSByteSize: 0 bytes/workgroup (compile time only)
; SGPRBlocks: 0
; VGPRBlocks: 0
; NumSGPRsForWavesPerEU: 4
; NumVGPRsForWavesPerEU: 1
; AccumOffset: 4
; Occupancy: 8
; WaveLimiterHint : 0
; COMPUTE_PGM_RSRC2:SCRATCH_EN: 0
; COMPUTE_PGM_RSRC2:USER_SGPR: 6
; COMPUTE_PGM_RSRC2:TRAP_HANDLER: 0
; COMPUTE_PGM_RSRC2:TGID_X_EN: 1
; COMPUTE_PGM_RSRC2:TGID_Y_EN: 0
; COMPUTE_PGM_RSRC2:TGID_Z_EN: 0
; COMPUTE_PGM_RSRC2:TIDIG_COMP_CNT: 0
; COMPUTE_PGM_RSRC3_GFX90A:ACCUM_OFFSET: 0
; COMPUTE_PGM_RSRC3_GFX90A:TG_SPLIT: 0
	.section	.text._ZN7rocprim17ROCPRIM_400000_NS6detail17trampoline_kernelINS0_14default_configENS1_35radix_sort_onesweep_config_selectorIiNS0_10empty_typeEEEZNS1_34radix_sort_onesweep_global_offsetsIS3_Lb0EN6thrust23THRUST_200600_302600_NS6detail15normal_iteratorINS9_10device_ptrIiEEEEPS5_jNS0_19identity_decomposerEEE10hipError_tT1_T2_PT3_SK_jT4_jjP12ihipStream_tbEUlT_E_NS1_11comp_targetILNS1_3genE8ELNS1_11target_archE1030ELNS1_3gpuE2ELNS1_3repE0EEENS1_52radix_sort_onesweep_histogram_config_static_selectorELNS0_4arch9wavefront6targetE1EEEvSI_,"axG",@progbits,_ZN7rocprim17ROCPRIM_400000_NS6detail17trampoline_kernelINS0_14default_configENS1_35radix_sort_onesweep_config_selectorIiNS0_10empty_typeEEEZNS1_34radix_sort_onesweep_global_offsetsIS3_Lb0EN6thrust23THRUST_200600_302600_NS6detail15normal_iteratorINS9_10device_ptrIiEEEEPS5_jNS0_19identity_decomposerEEE10hipError_tT1_T2_PT3_SK_jT4_jjP12ihipStream_tbEUlT_E_NS1_11comp_targetILNS1_3genE8ELNS1_11target_archE1030ELNS1_3gpuE2ELNS1_3repE0EEENS1_52radix_sort_onesweep_histogram_config_static_selectorELNS0_4arch9wavefront6targetE1EEEvSI_,comdat
	.protected	_ZN7rocprim17ROCPRIM_400000_NS6detail17trampoline_kernelINS0_14default_configENS1_35radix_sort_onesweep_config_selectorIiNS0_10empty_typeEEEZNS1_34radix_sort_onesweep_global_offsetsIS3_Lb0EN6thrust23THRUST_200600_302600_NS6detail15normal_iteratorINS9_10device_ptrIiEEEEPS5_jNS0_19identity_decomposerEEE10hipError_tT1_T2_PT3_SK_jT4_jjP12ihipStream_tbEUlT_E_NS1_11comp_targetILNS1_3genE8ELNS1_11target_archE1030ELNS1_3gpuE2ELNS1_3repE0EEENS1_52radix_sort_onesweep_histogram_config_static_selectorELNS0_4arch9wavefront6targetE1EEEvSI_ ; -- Begin function _ZN7rocprim17ROCPRIM_400000_NS6detail17trampoline_kernelINS0_14default_configENS1_35radix_sort_onesweep_config_selectorIiNS0_10empty_typeEEEZNS1_34radix_sort_onesweep_global_offsetsIS3_Lb0EN6thrust23THRUST_200600_302600_NS6detail15normal_iteratorINS9_10device_ptrIiEEEEPS5_jNS0_19identity_decomposerEEE10hipError_tT1_T2_PT3_SK_jT4_jjP12ihipStream_tbEUlT_E_NS1_11comp_targetILNS1_3genE8ELNS1_11target_archE1030ELNS1_3gpuE2ELNS1_3repE0EEENS1_52radix_sort_onesweep_histogram_config_static_selectorELNS0_4arch9wavefront6targetE1EEEvSI_
	.globl	_ZN7rocprim17ROCPRIM_400000_NS6detail17trampoline_kernelINS0_14default_configENS1_35radix_sort_onesweep_config_selectorIiNS0_10empty_typeEEEZNS1_34radix_sort_onesweep_global_offsetsIS3_Lb0EN6thrust23THRUST_200600_302600_NS6detail15normal_iteratorINS9_10device_ptrIiEEEEPS5_jNS0_19identity_decomposerEEE10hipError_tT1_T2_PT3_SK_jT4_jjP12ihipStream_tbEUlT_E_NS1_11comp_targetILNS1_3genE8ELNS1_11target_archE1030ELNS1_3gpuE2ELNS1_3repE0EEENS1_52radix_sort_onesweep_histogram_config_static_selectorELNS0_4arch9wavefront6targetE1EEEvSI_
	.p2align	8
	.type	_ZN7rocprim17ROCPRIM_400000_NS6detail17trampoline_kernelINS0_14default_configENS1_35radix_sort_onesweep_config_selectorIiNS0_10empty_typeEEEZNS1_34radix_sort_onesweep_global_offsetsIS3_Lb0EN6thrust23THRUST_200600_302600_NS6detail15normal_iteratorINS9_10device_ptrIiEEEEPS5_jNS0_19identity_decomposerEEE10hipError_tT1_T2_PT3_SK_jT4_jjP12ihipStream_tbEUlT_E_NS1_11comp_targetILNS1_3genE8ELNS1_11target_archE1030ELNS1_3gpuE2ELNS1_3repE0EEENS1_52radix_sort_onesweep_histogram_config_static_selectorELNS0_4arch9wavefront6targetE1EEEvSI_,@function
_ZN7rocprim17ROCPRIM_400000_NS6detail17trampoline_kernelINS0_14default_configENS1_35radix_sort_onesweep_config_selectorIiNS0_10empty_typeEEEZNS1_34radix_sort_onesweep_global_offsetsIS3_Lb0EN6thrust23THRUST_200600_302600_NS6detail15normal_iteratorINS9_10device_ptrIiEEEEPS5_jNS0_19identity_decomposerEEE10hipError_tT1_T2_PT3_SK_jT4_jjP12ihipStream_tbEUlT_E_NS1_11comp_targetILNS1_3genE8ELNS1_11target_archE1030ELNS1_3gpuE2ELNS1_3repE0EEENS1_52radix_sort_onesweep_histogram_config_static_selectorELNS0_4arch9wavefront6targetE1EEEvSI_: ; @_ZN7rocprim17ROCPRIM_400000_NS6detail17trampoline_kernelINS0_14default_configENS1_35radix_sort_onesweep_config_selectorIiNS0_10empty_typeEEEZNS1_34radix_sort_onesweep_global_offsetsIS3_Lb0EN6thrust23THRUST_200600_302600_NS6detail15normal_iteratorINS9_10device_ptrIiEEEEPS5_jNS0_19identity_decomposerEEE10hipError_tT1_T2_PT3_SK_jT4_jjP12ihipStream_tbEUlT_E_NS1_11comp_targetILNS1_3genE8ELNS1_11target_archE1030ELNS1_3gpuE2ELNS1_3repE0EEENS1_52radix_sort_onesweep_histogram_config_static_selectorELNS0_4arch9wavefront6targetE1EEEvSI_
; %bb.0:
	.section	.rodata,"a",@progbits
	.p2align	6, 0x0
	.amdhsa_kernel _ZN7rocprim17ROCPRIM_400000_NS6detail17trampoline_kernelINS0_14default_configENS1_35radix_sort_onesweep_config_selectorIiNS0_10empty_typeEEEZNS1_34radix_sort_onesweep_global_offsetsIS3_Lb0EN6thrust23THRUST_200600_302600_NS6detail15normal_iteratorINS9_10device_ptrIiEEEEPS5_jNS0_19identity_decomposerEEE10hipError_tT1_T2_PT3_SK_jT4_jjP12ihipStream_tbEUlT_E_NS1_11comp_targetILNS1_3genE8ELNS1_11target_archE1030ELNS1_3gpuE2ELNS1_3repE0EEENS1_52radix_sort_onesweep_histogram_config_static_selectorELNS0_4arch9wavefront6targetE1EEEvSI_
		.amdhsa_group_segment_fixed_size 0
		.amdhsa_private_segment_fixed_size 0
		.amdhsa_kernarg_size 40
		.amdhsa_user_sgpr_count 6
		.amdhsa_user_sgpr_private_segment_buffer 1
		.amdhsa_user_sgpr_dispatch_ptr 0
		.amdhsa_user_sgpr_queue_ptr 0
		.amdhsa_user_sgpr_kernarg_segment_ptr 1
		.amdhsa_user_sgpr_dispatch_id 0
		.amdhsa_user_sgpr_flat_scratch_init 0
		.amdhsa_user_sgpr_kernarg_preload_length 0
		.amdhsa_user_sgpr_kernarg_preload_offset 0
		.amdhsa_user_sgpr_private_segment_size 0
		.amdhsa_uses_dynamic_stack 0
		.amdhsa_system_sgpr_private_segment_wavefront_offset 0
		.amdhsa_system_sgpr_workgroup_id_x 1
		.amdhsa_system_sgpr_workgroup_id_y 0
		.amdhsa_system_sgpr_workgroup_id_z 0
		.amdhsa_system_sgpr_workgroup_info 0
		.amdhsa_system_vgpr_workitem_id 0
		.amdhsa_next_free_vgpr 1
		.amdhsa_next_free_sgpr 0
		.amdhsa_accum_offset 4
		.amdhsa_reserve_vcc 0
		.amdhsa_reserve_flat_scratch 0
		.amdhsa_float_round_mode_32 0
		.amdhsa_float_round_mode_16_64 0
		.amdhsa_float_denorm_mode_32 3
		.amdhsa_float_denorm_mode_16_64 3
		.amdhsa_dx10_clamp 1
		.amdhsa_ieee_mode 1
		.amdhsa_fp16_overflow 0
		.amdhsa_tg_split 0
		.amdhsa_exception_fp_ieee_invalid_op 0
		.amdhsa_exception_fp_denorm_src 0
		.amdhsa_exception_fp_ieee_div_zero 0
		.amdhsa_exception_fp_ieee_overflow 0
		.amdhsa_exception_fp_ieee_underflow 0
		.amdhsa_exception_fp_ieee_inexact 0
		.amdhsa_exception_int_div_zero 0
	.end_amdhsa_kernel
	.section	.text._ZN7rocprim17ROCPRIM_400000_NS6detail17trampoline_kernelINS0_14default_configENS1_35radix_sort_onesweep_config_selectorIiNS0_10empty_typeEEEZNS1_34radix_sort_onesweep_global_offsetsIS3_Lb0EN6thrust23THRUST_200600_302600_NS6detail15normal_iteratorINS9_10device_ptrIiEEEEPS5_jNS0_19identity_decomposerEEE10hipError_tT1_T2_PT3_SK_jT4_jjP12ihipStream_tbEUlT_E_NS1_11comp_targetILNS1_3genE8ELNS1_11target_archE1030ELNS1_3gpuE2ELNS1_3repE0EEENS1_52radix_sort_onesweep_histogram_config_static_selectorELNS0_4arch9wavefront6targetE1EEEvSI_,"axG",@progbits,_ZN7rocprim17ROCPRIM_400000_NS6detail17trampoline_kernelINS0_14default_configENS1_35radix_sort_onesweep_config_selectorIiNS0_10empty_typeEEEZNS1_34radix_sort_onesweep_global_offsetsIS3_Lb0EN6thrust23THRUST_200600_302600_NS6detail15normal_iteratorINS9_10device_ptrIiEEEEPS5_jNS0_19identity_decomposerEEE10hipError_tT1_T2_PT3_SK_jT4_jjP12ihipStream_tbEUlT_E_NS1_11comp_targetILNS1_3genE8ELNS1_11target_archE1030ELNS1_3gpuE2ELNS1_3repE0EEENS1_52radix_sort_onesweep_histogram_config_static_selectorELNS0_4arch9wavefront6targetE1EEEvSI_,comdat
.Lfunc_end1727:
	.size	_ZN7rocprim17ROCPRIM_400000_NS6detail17trampoline_kernelINS0_14default_configENS1_35radix_sort_onesweep_config_selectorIiNS0_10empty_typeEEEZNS1_34radix_sort_onesweep_global_offsetsIS3_Lb0EN6thrust23THRUST_200600_302600_NS6detail15normal_iteratorINS9_10device_ptrIiEEEEPS5_jNS0_19identity_decomposerEEE10hipError_tT1_T2_PT3_SK_jT4_jjP12ihipStream_tbEUlT_E_NS1_11comp_targetILNS1_3genE8ELNS1_11target_archE1030ELNS1_3gpuE2ELNS1_3repE0EEENS1_52radix_sort_onesweep_histogram_config_static_selectorELNS0_4arch9wavefront6targetE1EEEvSI_, .Lfunc_end1727-_ZN7rocprim17ROCPRIM_400000_NS6detail17trampoline_kernelINS0_14default_configENS1_35radix_sort_onesweep_config_selectorIiNS0_10empty_typeEEEZNS1_34radix_sort_onesweep_global_offsetsIS3_Lb0EN6thrust23THRUST_200600_302600_NS6detail15normal_iteratorINS9_10device_ptrIiEEEEPS5_jNS0_19identity_decomposerEEE10hipError_tT1_T2_PT3_SK_jT4_jjP12ihipStream_tbEUlT_E_NS1_11comp_targetILNS1_3genE8ELNS1_11target_archE1030ELNS1_3gpuE2ELNS1_3repE0EEENS1_52radix_sort_onesweep_histogram_config_static_selectorELNS0_4arch9wavefront6targetE1EEEvSI_
                                        ; -- End function
	.section	.AMDGPU.csdata,"",@progbits
; Kernel info:
; codeLenInByte = 0
; NumSgprs: 4
; NumVgprs: 0
; NumAgprs: 0
; TotalNumVgprs: 0
; ScratchSize: 0
; MemoryBound: 0
; FloatMode: 240
; IeeeMode: 1
; LDSByteSize: 0 bytes/workgroup (compile time only)
; SGPRBlocks: 0
; VGPRBlocks: 0
; NumSGPRsForWavesPerEU: 4
; NumVGPRsForWavesPerEU: 1
; AccumOffset: 4
; Occupancy: 8
; WaveLimiterHint : 0
; COMPUTE_PGM_RSRC2:SCRATCH_EN: 0
; COMPUTE_PGM_RSRC2:USER_SGPR: 6
; COMPUTE_PGM_RSRC2:TRAP_HANDLER: 0
; COMPUTE_PGM_RSRC2:TGID_X_EN: 1
; COMPUTE_PGM_RSRC2:TGID_Y_EN: 0
; COMPUTE_PGM_RSRC2:TGID_Z_EN: 0
; COMPUTE_PGM_RSRC2:TIDIG_COMP_CNT: 0
; COMPUTE_PGM_RSRC3_GFX90A:ACCUM_OFFSET: 0
; COMPUTE_PGM_RSRC3_GFX90A:TG_SPLIT: 0
	.section	.text._ZN7rocprim17ROCPRIM_400000_NS6detail17trampoline_kernelINS0_14default_configENS1_35radix_sort_onesweep_config_selectorIiNS0_10empty_typeEEEZNS1_34radix_sort_onesweep_global_offsetsIS3_Lb0EN6thrust23THRUST_200600_302600_NS6detail15normal_iteratorINS9_10device_ptrIiEEEEPS5_jNS0_19identity_decomposerEEE10hipError_tT1_T2_PT3_SK_jT4_jjP12ihipStream_tbEUlT_E0_NS1_11comp_targetILNS1_3genE0ELNS1_11target_archE4294967295ELNS1_3gpuE0ELNS1_3repE0EEENS1_52radix_sort_onesweep_histogram_config_static_selectorELNS0_4arch9wavefront6targetE1EEEvSI_,"axG",@progbits,_ZN7rocprim17ROCPRIM_400000_NS6detail17trampoline_kernelINS0_14default_configENS1_35radix_sort_onesweep_config_selectorIiNS0_10empty_typeEEEZNS1_34radix_sort_onesweep_global_offsetsIS3_Lb0EN6thrust23THRUST_200600_302600_NS6detail15normal_iteratorINS9_10device_ptrIiEEEEPS5_jNS0_19identity_decomposerEEE10hipError_tT1_T2_PT3_SK_jT4_jjP12ihipStream_tbEUlT_E0_NS1_11comp_targetILNS1_3genE0ELNS1_11target_archE4294967295ELNS1_3gpuE0ELNS1_3repE0EEENS1_52radix_sort_onesweep_histogram_config_static_selectorELNS0_4arch9wavefront6targetE1EEEvSI_,comdat
	.protected	_ZN7rocprim17ROCPRIM_400000_NS6detail17trampoline_kernelINS0_14default_configENS1_35radix_sort_onesweep_config_selectorIiNS0_10empty_typeEEEZNS1_34radix_sort_onesweep_global_offsetsIS3_Lb0EN6thrust23THRUST_200600_302600_NS6detail15normal_iteratorINS9_10device_ptrIiEEEEPS5_jNS0_19identity_decomposerEEE10hipError_tT1_T2_PT3_SK_jT4_jjP12ihipStream_tbEUlT_E0_NS1_11comp_targetILNS1_3genE0ELNS1_11target_archE4294967295ELNS1_3gpuE0ELNS1_3repE0EEENS1_52radix_sort_onesweep_histogram_config_static_selectorELNS0_4arch9wavefront6targetE1EEEvSI_ ; -- Begin function _ZN7rocprim17ROCPRIM_400000_NS6detail17trampoline_kernelINS0_14default_configENS1_35radix_sort_onesweep_config_selectorIiNS0_10empty_typeEEEZNS1_34radix_sort_onesweep_global_offsetsIS3_Lb0EN6thrust23THRUST_200600_302600_NS6detail15normal_iteratorINS9_10device_ptrIiEEEEPS5_jNS0_19identity_decomposerEEE10hipError_tT1_T2_PT3_SK_jT4_jjP12ihipStream_tbEUlT_E0_NS1_11comp_targetILNS1_3genE0ELNS1_11target_archE4294967295ELNS1_3gpuE0ELNS1_3repE0EEENS1_52radix_sort_onesweep_histogram_config_static_selectorELNS0_4arch9wavefront6targetE1EEEvSI_
	.globl	_ZN7rocprim17ROCPRIM_400000_NS6detail17trampoline_kernelINS0_14default_configENS1_35radix_sort_onesweep_config_selectorIiNS0_10empty_typeEEEZNS1_34radix_sort_onesweep_global_offsetsIS3_Lb0EN6thrust23THRUST_200600_302600_NS6detail15normal_iteratorINS9_10device_ptrIiEEEEPS5_jNS0_19identity_decomposerEEE10hipError_tT1_T2_PT3_SK_jT4_jjP12ihipStream_tbEUlT_E0_NS1_11comp_targetILNS1_3genE0ELNS1_11target_archE4294967295ELNS1_3gpuE0ELNS1_3repE0EEENS1_52radix_sort_onesweep_histogram_config_static_selectorELNS0_4arch9wavefront6targetE1EEEvSI_
	.p2align	8
	.type	_ZN7rocprim17ROCPRIM_400000_NS6detail17trampoline_kernelINS0_14default_configENS1_35radix_sort_onesweep_config_selectorIiNS0_10empty_typeEEEZNS1_34radix_sort_onesweep_global_offsetsIS3_Lb0EN6thrust23THRUST_200600_302600_NS6detail15normal_iteratorINS9_10device_ptrIiEEEEPS5_jNS0_19identity_decomposerEEE10hipError_tT1_T2_PT3_SK_jT4_jjP12ihipStream_tbEUlT_E0_NS1_11comp_targetILNS1_3genE0ELNS1_11target_archE4294967295ELNS1_3gpuE0ELNS1_3repE0EEENS1_52radix_sort_onesweep_histogram_config_static_selectorELNS0_4arch9wavefront6targetE1EEEvSI_,@function
_ZN7rocprim17ROCPRIM_400000_NS6detail17trampoline_kernelINS0_14default_configENS1_35radix_sort_onesweep_config_selectorIiNS0_10empty_typeEEEZNS1_34radix_sort_onesweep_global_offsetsIS3_Lb0EN6thrust23THRUST_200600_302600_NS6detail15normal_iteratorINS9_10device_ptrIiEEEEPS5_jNS0_19identity_decomposerEEE10hipError_tT1_T2_PT3_SK_jT4_jjP12ihipStream_tbEUlT_E0_NS1_11comp_targetILNS1_3genE0ELNS1_11target_archE4294967295ELNS1_3gpuE0ELNS1_3repE0EEENS1_52radix_sort_onesweep_histogram_config_static_selectorELNS0_4arch9wavefront6targetE1EEEvSI_: ; @_ZN7rocprim17ROCPRIM_400000_NS6detail17trampoline_kernelINS0_14default_configENS1_35radix_sort_onesweep_config_selectorIiNS0_10empty_typeEEEZNS1_34radix_sort_onesweep_global_offsetsIS3_Lb0EN6thrust23THRUST_200600_302600_NS6detail15normal_iteratorINS9_10device_ptrIiEEEEPS5_jNS0_19identity_decomposerEEE10hipError_tT1_T2_PT3_SK_jT4_jjP12ihipStream_tbEUlT_E0_NS1_11comp_targetILNS1_3genE0ELNS1_11target_archE4294967295ELNS1_3gpuE0ELNS1_3repE0EEENS1_52radix_sort_onesweep_histogram_config_static_selectorELNS0_4arch9wavefront6targetE1EEEvSI_
; %bb.0:
	.section	.rodata,"a",@progbits
	.p2align	6, 0x0
	.amdhsa_kernel _ZN7rocprim17ROCPRIM_400000_NS6detail17trampoline_kernelINS0_14default_configENS1_35radix_sort_onesweep_config_selectorIiNS0_10empty_typeEEEZNS1_34radix_sort_onesweep_global_offsetsIS3_Lb0EN6thrust23THRUST_200600_302600_NS6detail15normal_iteratorINS9_10device_ptrIiEEEEPS5_jNS0_19identity_decomposerEEE10hipError_tT1_T2_PT3_SK_jT4_jjP12ihipStream_tbEUlT_E0_NS1_11comp_targetILNS1_3genE0ELNS1_11target_archE4294967295ELNS1_3gpuE0ELNS1_3repE0EEENS1_52radix_sort_onesweep_histogram_config_static_selectorELNS0_4arch9wavefront6targetE1EEEvSI_
		.amdhsa_group_segment_fixed_size 0
		.amdhsa_private_segment_fixed_size 0
		.amdhsa_kernarg_size 8
		.amdhsa_user_sgpr_count 6
		.amdhsa_user_sgpr_private_segment_buffer 1
		.amdhsa_user_sgpr_dispatch_ptr 0
		.amdhsa_user_sgpr_queue_ptr 0
		.amdhsa_user_sgpr_kernarg_segment_ptr 1
		.amdhsa_user_sgpr_dispatch_id 0
		.amdhsa_user_sgpr_flat_scratch_init 0
		.amdhsa_user_sgpr_kernarg_preload_length 0
		.amdhsa_user_sgpr_kernarg_preload_offset 0
		.amdhsa_user_sgpr_private_segment_size 0
		.amdhsa_uses_dynamic_stack 0
		.amdhsa_system_sgpr_private_segment_wavefront_offset 0
		.amdhsa_system_sgpr_workgroup_id_x 1
		.amdhsa_system_sgpr_workgroup_id_y 0
		.amdhsa_system_sgpr_workgroup_id_z 0
		.amdhsa_system_sgpr_workgroup_info 0
		.amdhsa_system_vgpr_workitem_id 0
		.amdhsa_next_free_vgpr 1
		.amdhsa_next_free_sgpr 0
		.amdhsa_accum_offset 4
		.amdhsa_reserve_vcc 0
		.amdhsa_reserve_flat_scratch 0
		.amdhsa_float_round_mode_32 0
		.amdhsa_float_round_mode_16_64 0
		.amdhsa_float_denorm_mode_32 3
		.amdhsa_float_denorm_mode_16_64 3
		.amdhsa_dx10_clamp 1
		.amdhsa_ieee_mode 1
		.amdhsa_fp16_overflow 0
		.amdhsa_tg_split 0
		.amdhsa_exception_fp_ieee_invalid_op 0
		.amdhsa_exception_fp_denorm_src 0
		.amdhsa_exception_fp_ieee_div_zero 0
		.amdhsa_exception_fp_ieee_overflow 0
		.amdhsa_exception_fp_ieee_underflow 0
		.amdhsa_exception_fp_ieee_inexact 0
		.amdhsa_exception_int_div_zero 0
	.end_amdhsa_kernel
	.section	.text._ZN7rocprim17ROCPRIM_400000_NS6detail17trampoline_kernelINS0_14default_configENS1_35radix_sort_onesweep_config_selectorIiNS0_10empty_typeEEEZNS1_34radix_sort_onesweep_global_offsetsIS3_Lb0EN6thrust23THRUST_200600_302600_NS6detail15normal_iteratorINS9_10device_ptrIiEEEEPS5_jNS0_19identity_decomposerEEE10hipError_tT1_T2_PT3_SK_jT4_jjP12ihipStream_tbEUlT_E0_NS1_11comp_targetILNS1_3genE0ELNS1_11target_archE4294967295ELNS1_3gpuE0ELNS1_3repE0EEENS1_52radix_sort_onesweep_histogram_config_static_selectorELNS0_4arch9wavefront6targetE1EEEvSI_,"axG",@progbits,_ZN7rocprim17ROCPRIM_400000_NS6detail17trampoline_kernelINS0_14default_configENS1_35radix_sort_onesweep_config_selectorIiNS0_10empty_typeEEEZNS1_34radix_sort_onesweep_global_offsetsIS3_Lb0EN6thrust23THRUST_200600_302600_NS6detail15normal_iteratorINS9_10device_ptrIiEEEEPS5_jNS0_19identity_decomposerEEE10hipError_tT1_T2_PT3_SK_jT4_jjP12ihipStream_tbEUlT_E0_NS1_11comp_targetILNS1_3genE0ELNS1_11target_archE4294967295ELNS1_3gpuE0ELNS1_3repE0EEENS1_52radix_sort_onesweep_histogram_config_static_selectorELNS0_4arch9wavefront6targetE1EEEvSI_,comdat
.Lfunc_end1728:
	.size	_ZN7rocprim17ROCPRIM_400000_NS6detail17trampoline_kernelINS0_14default_configENS1_35radix_sort_onesweep_config_selectorIiNS0_10empty_typeEEEZNS1_34radix_sort_onesweep_global_offsetsIS3_Lb0EN6thrust23THRUST_200600_302600_NS6detail15normal_iteratorINS9_10device_ptrIiEEEEPS5_jNS0_19identity_decomposerEEE10hipError_tT1_T2_PT3_SK_jT4_jjP12ihipStream_tbEUlT_E0_NS1_11comp_targetILNS1_3genE0ELNS1_11target_archE4294967295ELNS1_3gpuE0ELNS1_3repE0EEENS1_52radix_sort_onesweep_histogram_config_static_selectorELNS0_4arch9wavefront6targetE1EEEvSI_, .Lfunc_end1728-_ZN7rocprim17ROCPRIM_400000_NS6detail17trampoline_kernelINS0_14default_configENS1_35radix_sort_onesweep_config_selectorIiNS0_10empty_typeEEEZNS1_34radix_sort_onesweep_global_offsetsIS3_Lb0EN6thrust23THRUST_200600_302600_NS6detail15normal_iteratorINS9_10device_ptrIiEEEEPS5_jNS0_19identity_decomposerEEE10hipError_tT1_T2_PT3_SK_jT4_jjP12ihipStream_tbEUlT_E0_NS1_11comp_targetILNS1_3genE0ELNS1_11target_archE4294967295ELNS1_3gpuE0ELNS1_3repE0EEENS1_52radix_sort_onesweep_histogram_config_static_selectorELNS0_4arch9wavefront6targetE1EEEvSI_
                                        ; -- End function
	.section	.AMDGPU.csdata,"",@progbits
; Kernel info:
; codeLenInByte = 0
; NumSgprs: 4
; NumVgprs: 0
; NumAgprs: 0
; TotalNumVgprs: 0
; ScratchSize: 0
; MemoryBound: 0
; FloatMode: 240
; IeeeMode: 1
; LDSByteSize: 0 bytes/workgroup (compile time only)
; SGPRBlocks: 0
; VGPRBlocks: 0
; NumSGPRsForWavesPerEU: 4
; NumVGPRsForWavesPerEU: 1
; AccumOffset: 4
; Occupancy: 8
; WaveLimiterHint : 0
; COMPUTE_PGM_RSRC2:SCRATCH_EN: 0
; COMPUTE_PGM_RSRC2:USER_SGPR: 6
; COMPUTE_PGM_RSRC2:TRAP_HANDLER: 0
; COMPUTE_PGM_RSRC2:TGID_X_EN: 1
; COMPUTE_PGM_RSRC2:TGID_Y_EN: 0
; COMPUTE_PGM_RSRC2:TGID_Z_EN: 0
; COMPUTE_PGM_RSRC2:TIDIG_COMP_CNT: 0
; COMPUTE_PGM_RSRC3_GFX90A:ACCUM_OFFSET: 0
; COMPUTE_PGM_RSRC3_GFX90A:TG_SPLIT: 0
	.section	.text._ZN7rocprim17ROCPRIM_400000_NS6detail17trampoline_kernelINS0_14default_configENS1_35radix_sort_onesweep_config_selectorIiNS0_10empty_typeEEEZNS1_34radix_sort_onesweep_global_offsetsIS3_Lb0EN6thrust23THRUST_200600_302600_NS6detail15normal_iteratorINS9_10device_ptrIiEEEEPS5_jNS0_19identity_decomposerEEE10hipError_tT1_T2_PT3_SK_jT4_jjP12ihipStream_tbEUlT_E0_NS1_11comp_targetILNS1_3genE6ELNS1_11target_archE950ELNS1_3gpuE13ELNS1_3repE0EEENS1_52radix_sort_onesweep_histogram_config_static_selectorELNS0_4arch9wavefront6targetE1EEEvSI_,"axG",@progbits,_ZN7rocprim17ROCPRIM_400000_NS6detail17trampoline_kernelINS0_14default_configENS1_35radix_sort_onesweep_config_selectorIiNS0_10empty_typeEEEZNS1_34radix_sort_onesweep_global_offsetsIS3_Lb0EN6thrust23THRUST_200600_302600_NS6detail15normal_iteratorINS9_10device_ptrIiEEEEPS5_jNS0_19identity_decomposerEEE10hipError_tT1_T2_PT3_SK_jT4_jjP12ihipStream_tbEUlT_E0_NS1_11comp_targetILNS1_3genE6ELNS1_11target_archE950ELNS1_3gpuE13ELNS1_3repE0EEENS1_52radix_sort_onesweep_histogram_config_static_selectorELNS0_4arch9wavefront6targetE1EEEvSI_,comdat
	.protected	_ZN7rocprim17ROCPRIM_400000_NS6detail17trampoline_kernelINS0_14default_configENS1_35radix_sort_onesweep_config_selectorIiNS0_10empty_typeEEEZNS1_34radix_sort_onesweep_global_offsetsIS3_Lb0EN6thrust23THRUST_200600_302600_NS6detail15normal_iteratorINS9_10device_ptrIiEEEEPS5_jNS0_19identity_decomposerEEE10hipError_tT1_T2_PT3_SK_jT4_jjP12ihipStream_tbEUlT_E0_NS1_11comp_targetILNS1_3genE6ELNS1_11target_archE950ELNS1_3gpuE13ELNS1_3repE0EEENS1_52radix_sort_onesweep_histogram_config_static_selectorELNS0_4arch9wavefront6targetE1EEEvSI_ ; -- Begin function _ZN7rocprim17ROCPRIM_400000_NS6detail17trampoline_kernelINS0_14default_configENS1_35radix_sort_onesweep_config_selectorIiNS0_10empty_typeEEEZNS1_34radix_sort_onesweep_global_offsetsIS3_Lb0EN6thrust23THRUST_200600_302600_NS6detail15normal_iteratorINS9_10device_ptrIiEEEEPS5_jNS0_19identity_decomposerEEE10hipError_tT1_T2_PT3_SK_jT4_jjP12ihipStream_tbEUlT_E0_NS1_11comp_targetILNS1_3genE6ELNS1_11target_archE950ELNS1_3gpuE13ELNS1_3repE0EEENS1_52radix_sort_onesweep_histogram_config_static_selectorELNS0_4arch9wavefront6targetE1EEEvSI_
	.globl	_ZN7rocprim17ROCPRIM_400000_NS6detail17trampoline_kernelINS0_14default_configENS1_35radix_sort_onesweep_config_selectorIiNS0_10empty_typeEEEZNS1_34radix_sort_onesweep_global_offsetsIS3_Lb0EN6thrust23THRUST_200600_302600_NS6detail15normal_iteratorINS9_10device_ptrIiEEEEPS5_jNS0_19identity_decomposerEEE10hipError_tT1_T2_PT3_SK_jT4_jjP12ihipStream_tbEUlT_E0_NS1_11comp_targetILNS1_3genE6ELNS1_11target_archE950ELNS1_3gpuE13ELNS1_3repE0EEENS1_52radix_sort_onesweep_histogram_config_static_selectorELNS0_4arch9wavefront6targetE1EEEvSI_
	.p2align	8
	.type	_ZN7rocprim17ROCPRIM_400000_NS6detail17trampoline_kernelINS0_14default_configENS1_35radix_sort_onesweep_config_selectorIiNS0_10empty_typeEEEZNS1_34radix_sort_onesweep_global_offsetsIS3_Lb0EN6thrust23THRUST_200600_302600_NS6detail15normal_iteratorINS9_10device_ptrIiEEEEPS5_jNS0_19identity_decomposerEEE10hipError_tT1_T2_PT3_SK_jT4_jjP12ihipStream_tbEUlT_E0_NS1_11comp_targetILNS1_3genE6ELNS1_11target_archE950ELNS1_3gpuE13ELNS1_3repE0EEENS1_52radix_sort_onesweep_histogram_config_static_selectorELNS0_4arch9wavefront6targetE1EEEvSI_,@function
_ZN7rocprim17ROCPRIM_400000_NS6detail17trampoline_kernelINS0_14default_configENS1_35radix_sort_onesweep_config_selectorIiNS0_10empty_typeEEEZNS1_34radix_sort_onesweep_global_offsetsIS3_Lb0EN6thrust23THRUST_200600_302600_NS6detail15normal_iteratorINS9_10device_ptrIiEEEEPS5_jNS0_19identity_decomposerEEE10hipError_tT1_T2_PT3_SK_jT4_jjP12ihipStream_tbEUlT_E0_NS1_11comp_targetILNS1_3genE6ELNS1_11target_archE950ELNS1_3gpuE13ELNS1_3repE0EEENS1_52radix_sort_onesweep_histogram_config_static_selectorELNS0_4arch9wavefront6targetE1EEEvSI_: ; @_ZN7rocprim17ROCPRIM_400000_NS6detail17trampoline_kernelINS0_14default_configENS1_35radix_sort_onesweep_config_selectorIiNS0_10empty_typeEEEZNS1_34radix_sort_onesweep_global_offsetsIS3_Lb0EN6thrust23THRUST_200600_302600_NS6detail15normal_iteratorINS9_10device_ptrIiEEEEPS5_jNS0_19identity_decomposerEEE10hipError_tT1_T2_PT3_SK_jT4_jjP12ihipStream_tbEUlT_E0_NS1_11comp_targetILNS1_3genE6ELNS1_11target_archE950ELNS1_3gpuE13ELNS1_3repE0EEENS1_52radix_sort_onesweep_histogram_config_static_selectorELNS0_4arch9wavefront6targetE1EEEvSI_
; %bb.0:
	.section	.rodata,"a",@progbits
	.p2align	6, 0x0
	.amdhsa_kernel _ZN7rocprim17ROCPRIM_400000_NS6detail17trampoline_kernelINS0_14default_configENS1_35radix_sort_onesweep_config_selectorIiNS0_10empty_typeEEEZNS1_34radix_sort_onesweep_global_offsetsIS3_Lb0EN6thrust23THRUST_200600_302600_NS6detail15normal_iteratorINS9_10device_ptrIiEEEEPS5_jNS0_19identity_decomposerEEE10hipError_tT1_T2_PT3_SK_jT4_jjP12ihipStream_tbEUlT_E0_NS1_11comp_targetILNS1_3genE6ELNS1_11target_archE950ELNS1_3gpuE13ELNS1_3repE0EEENS1_52radix_sort_onesweep_histogram_config_static_selectorELNS0_4arch9wavefront6targetE1EEEvSI_
		.amdhsa_group_segment_fixed_size 0
		.amdhsa_private_segment_fixed_size 0
		.amdhsa_kernarg_size 8
		.amdhsa_user_sgpr_count 6
		.amdhsa_user_sgpr_private_segment_buffer 1
		.amdhsa_user_sgpr_dispatch_ptr 0
		.amdhsa_user_sgpr_queue_ptr 0
		.amdhsa_user_sgpr_kernarg_segment_ptr 1
		.amdhsa_user_sgpr_dispatch_id 0
		.amdhsa_user_sgpr_flat_scratch_init 0
		.amdhsa_user_sgpr_kernarg_preload_length 0
		.amdhsa_user_sgpr_kernarg_preload_offset 0
		.amdhsa_user_sgpr_private_segment_size 0
		.amdhsa_uses_dynamic_stack 0
		.amdhsa_system_sgpr_private_segment_wavefront_offset 0
		.amdhsa_system_sgpr_workgroup_id_x 1
		.amdhsa_system_sgpr_workgroup_id_y 0
		.amdhsa_system_sgpr_workgroup_id_z 0
		.amdhsa_system_sgpr_workgroup_info 0
		.amdhsa_system_vgpr_workitem_id 0
		.amdhsa_next_free_vgpr 1
		.amdhsa_next_free_sgpr 0
		.amdhsa_accum_offset 4
		.amdhsa_reserve_vcc 0
		.amdhsa_reserve_flat_scratch 0
		.amdhsa_float_round_mode_32 0
		.amdhsa_float_round_mode_16_64 0
		.amdhsa_float_denorm_mode_32 3
		.amdhsa_float_denorm_mode_16_64 3
		.amdhsa_dx10_clamp 1
		.amdhsa_ieee_mode 1
		.amdhsa_fp16_overflow 0
		.amdhsa_tg_split 0
		.amdhsa_exception_fp_ieee_invalid_op 0
		.amdhsa_exception_fp_denorm_src 0
		.amdhsa_exception_fp_ieee_div_zero 0
		.amdhsa_exception_fp_ieee_overflow 0
		.amdhsa_exception_fp_ieee_underflow 0
		.amdhsa_exception_fp_ieee_inexact 0
		.amdhsa_exception_int_div_zero 0
	.end_amdhsa_kernel
	.section	.text._ZN7rocprim17ROCPRIM_400000_NS6detail17trampoline_kernelINS0_14default_configENS1_35radix_sort_onesweep_config_selectorIiNS0_10empty_typeEEEZNS1_34radix_sort_onesweep_global_offsetsIS3_Lb0EN6thrust23THRUST_200600_302600_NS6detail15normal_iteratorINS9_10device_ptrIiEEEEPS5_jNS0_19identity_decomposerEEE10hipError_tT1_T2_PT3_SK_jT4_jjP12ihipStream_tbEUlT_E0_NS1_11comp_targetILNS1_3genE6ELNS1_11target_archE950ELNS1_3gpuE13ELNS1_3repE0EEENS1_52radix_sort_onesweep_histogram_config_static_selectorELNS0_4arch9wavefront6targetE1EEEvSI_,"axG",@progbits,_ZN7rocprim17ROCPRIM_400000_NS6detail17trampoline_kernelINS0_14default_configENS1_35radix_sort_onesweep_config_selectorIiNS0_10empty_typeEEEZNS1_34radix_sort_onesweep_global_offsetsIS3_Lb0EN6thrust23THRUST_200600_302600_NS6detail15normal_iteratorINS9_10device_ptrIiEEEEPS5_jNS0_19identity_decomposerEEE10hipError_tT1_T2_PT3_SK_jT4_jjP12ihipStream_tbEUlT_E0_NS1_11comp_targetILNS1_3genE6ELNS1_11target_archE950ELNS1_3gpuE13ELNS1_3repE0EEENS1_52radix_sort_onesweep_histogram_config_static_selectorELNS0_4arch9wavefront6targetE1EEEvSI_,comdat
.Lfunc_end1729:
	.size	_ZN7rocprim17ROCPRIM_400000_NS6detail17trampoline_kernelINS0_14default_configENS1_35radix_sort_onesweep_config_selectorIiNS0_10empty_typeEEEZNS1_34radix_sort_onesweep_global_offsetsIS3_Lb0EN6thrust23THRUST_200600_302600_NS6detail15normal_iteratorINS9_10device_ptrIiEEEEPS5_jNS0_19identity_decomposerEEE10hipError_tT1_T2_PT3_SK_jT4_jjP12ihipStream_tbEUlT_E0_NS1_11comp_targetILNS1_3genE6ELNS1_11target_archE950ELNS1_3gpuE13ELNS1_3repE0EEENS1_52radix_sort_onesweep_histogram_config_static_selectorELNS0_4arch9wavefront6targetE1EEEvSI_, .Lfunc_end1729-_ZN7rocprim17ROCPRIM_400000_NS6detail17trampoline_kernelINS0_14default_configENS1_35radix_sort_onesweep_config_selectorIiNS0_10empty_typeEEEZNS1_34radix_sort_onesweep_global_offsetsIS3_Lb0EN6thrust23THRUST_200600_302600_NS6detail15normal_iteratorINS9_10device_ptrIiEEEEPS5_jNS0_19identity_decomposerEEE10hipError_tT1_T2_PT3_SK_jT4_jjP12ihipStream_tbEUlT_E0_NS1_11comp_targetILNS1_3genE6ELNS1_11target_archE950ELNS1_3gpuE13ELNS1_3repE0EEENS1_52radix_sort_onesweep_histogram_config_static_selectorELNS0_4arch9wavefront6targetE1EEEvSI_
                                        ; -- End function
	.section	.AMDGPU.csdata,"",@progbits
; Kernel info:
; codeLenInByte = 0
; NumSgprs: 4
; NumVgprs: 0
; NumAgprs: 0
; TotalNumVgprs: 0
; ScratchSize: 0
; MemoryBound: 0
; FloatMode: 240
; IeeeMode: 1
; LDSByteSize: 0 bytes/workgroup (compile time only)
; SGPRBlocks: 0
; VGPRBlocks: 0
; NumSGPRsForWavesPerEU: 4
; NumVGPRsForWavesPerEU: 1
; AccumOffset: 4
; Occupancy: 8
; WaveLimiterHint : 0
; COMPUTE_PGM_RSRC2:SCRATCH_EN: 0
; COMPUTE_PGM_RSRC2:USER_SGPR: 6
; COMPUTE_PGM_RSRC2:TRAP_HANDLER: 0
; COMPUTE_PGM_RSRC2:TGID_X_EN: 1
; COMPUTE_PGM_RSRC2:TGID_Y_EN: 0
; COMPUTE_PGM_RSRC2:TGID_Z_EN: 0
; COMPUTE_PGM_RSRC2:TIDIG_COMP_CNT: 0
; COMPUTE_PGM_RSRC3_GFX90A:ACCUM_OFFSET: 0
; COMPUTE_PGM_RSRC3_GFX90A:TG_SPLIT: 0
	.section	.text._ZN7rocprim17ROCPRIM_400000_NS6detail17trampoline_kernelINS0_14default_configENS1_35radix_sort_onesweep_config_selectorIiNS0_10empty_typeEEEZNS1_34radix_sort_onesweep_global_offsetsIS3_Lb0EN6thrust23THRUST_200600_302600_NS6detail15normal_iteratorINS9_10device_ptrIiEEEEPS5_jNS0_19identity_decomposerEEE10hipError_tT1_T2_PT3_SK_jT4_jjP12ihipStream_tbEUlT_E0_NS1_11comp_targetILNS1_3genE5ELNS1_11target_archE942ELNS1_3gpuE9ELNS1_3repE0EEENS1_52radix_sort_onesweep_histogram_config_static_selectorELNS0_4arch9wavefront6targetE1EEEvSI_,"axG",@progbits,_ZN7rocprim17ROCPRIM_400000_NS6detail17trampoline_kernelINS0_14default_configENS1_35radix_sort_onesweep_config_selectorIiNS0_10empty_typeEEEZNS1_34radix_sort_onesweep_global_offsetsIS3_Lb0EN6thrust23THRUST_200600_302600_NS6detail15normal_iteratorINS9_10device_ptrIiEEEEPS5_jNS0_19identity_decomposerEEE10hipError_tT1_T2_PT3_SK_jT4_jjP12ihipStream_tbEUlT_E0_NS1_11comp_targetILNS1_3genE5ELNS1_11target_archE942ELNS1_3gpuE9ELNS1_3repE0EEENS1_52radix_sort_onesweep_histogram_config_static_selectorELNS0_4arch9wavefront6targetE1EEEvSI_,comdat
	.protected	_ZN7rocprim17ROCPRIM_400000_NS6detail17trampoline_kernelINS0_14default_configENS1_35radix_sort_onesweep_config_selectorIiNS0_10empty_typeEEEZNS1_34radix_sort_onesweep_global_offsetsIS3_Lb0EN6thrust23THRUST_200600_302600_NS6detail15normal_iteratorINS9_10device_ptrIiEEEEPS5_jNS0_19identity_decomposerEEE10hipError_tT1_T2_PT3_SK_jT4_jjP12ihipStream_tbEUlT_E0_NS1_11comp_targetILNS1_3genE5ELNS1_11target_archE942ELNS1_3gpuE9ELNS1_3repE0EEENS1_52radix_sort_onesweep_histogram_config_static_selectorELNS0_4arch9wavefront6targetE1EEEvSI_ ; -- Begin function _ZN7rocprim17ROCPRIM_400000_NS6detail17trampoline_kernelINS0_14default_configENS1_35radix_sort_onesweep_config_selectorIiNS0_10empty_typeEEEZNS1_34radix_sort_onesweep_global_offsetsIS3_Lb0EN6thrust23THRUST_200600_302600_NS6detail15normal_iteratorINS9_10device_ptrIiEEEEPS5_jNS0_19identity_decomposerEEE10hipError_tT1_T2_PT3_SK_jT4_jjP12ihipStream_tbEUlT_E0_NS1_11comp_targetILNS1_3genE5ELNS1_11target_archE942ELNS1_3gpuE9ELNS1_3repE0EEENS1_52radix_sort_onesweep_histogram_config_static_selectorELNS0_4arch9wavefront6targetE1EEEvSI_
	.globl	_ZN7rocprim17ROCPRIM_400000_NS6detail17trampoline_kernelINS0_14default_configENS1_35radix_sort_onesweep_config_selectorIiNS0_10empty_typeEEEZNS1_34radix_sort_onesweep_global_offsetsIS3_Lb0EN6thrust23THRUST_200600_302600_NS6detail15normal_iteratorINS9_10device_ptrIiEEEEPS5_jNS0_19identity_decomposerEEE10hipError_tT1_T2_PT3_SK_jT4_jjP12ihipStream_tbEUlT_E0_NS1_11comp_targetILNS1_3genE5ELNS1_11target_archE942ELNS1_3gpuE9ELNS1_3repE0EEENS1_52radix_sort_onesweep_histogram_config_static_selectorELNS0_4arch9wavefront6targetE1EEEvSI_
	.p2align	8
	.type	_ZN7rocprim17ROCPRIM_400000_NS6detail17trampoline_kernelINS0_14default_configENS1_35radix_sort_onesweep_config_selectorIiNS0_10empty_typeEEEZNS1_34radix_sort_onesweep_global_offsetsIS3_Lb0EN6thrust23THRUST_200600_302600_NS6detail15normal_iteratorINS9_10device_ptrIiEEEEPS5_jNS0_19identity_decomposerEEE10hipError_tT1_T2_PT3_SK_jT4_jjP12ihipStream_tbEUlT_E0_NS1_11comp_targetILNS1_3genE5ELNS1_11target_archE942ELNS1_3gpuE9ELNS1_3repE0EEENS1_52radix_sort_onesweep_histogram_config_static_selectorELNS0_4arch9wavefront6targetE1EEEvSI_,@function
_ZN7rocprim17ROCPRIM_400000_NS6detail17trampoline_kernelINS0_14default_configENS1_35radix_sort_onesweep_config_selectorIiNS0_10empty_typeEEEZNS1_34radix_sort_onesweep_global_offsetsIS3_Lb0EN6thrust23THRUST_200600_302600_NS6detail15normal_iteratorINS9_10device_ptrIiEEEEPS5_jNS0_19identity_decomposerEEE10hipError_tT1_T2_PT3_SK_jT4_jjP12ihipStream_tbEUlT_E0_NS1_11comp_targetILNS1_3genE5ELNS1_11target_archE942ELNS1_3gpuE9ELNS1_3repE0EEENS1_52radix_sort_onesweep_histogram_config_static_selectorELNS0_4arch9wavefront6targetE1EEEvSI_: ; @_ZN7rocprim17ROCPRIM_400000_NS6detail17trampoline_kernelINS0_14default_configENS1_35radix_sort_onesweep_config_selectorIiNS0_10empty_typeEEEZNS1_34radix_sort_onesweep_global_offsetsIS3_Lb0EN6thrust23THRUST_200600_302600_NS6detail15normal_iteratorINS9_10device_ptrIiEEEEPS5_jNS0_19identity_decomposerEEE10hipError_tT1_T2_PT3_SK_jT4_jjP12ihipStream_tbEUlT_E0_NS1_11comp_targetILNS1_3genE5ELNS1_11target_archE942ELNS1_3gpuE9ELNS1_3repE0EEENS1_52radix_sort_onesweep_histogram_config_static_selectorELNS0_4arch9wavefront6targetE1EEEvSI_
; %bb.0:
	.section	.rodata,"a",@progbits
	.p2align	6, 0x0
	.amdhsa_kernel _ZN7rocprim17ROCPRIM_400000_NS6detail17trampoline_kernelINS0_14default_configENS1_35radix_sort_onesweep_config_selectorIiNS0_10empty_typeEEEZNS1_34radix_sort_onesweep_global_offsetsIS3_Lb0EN6thrust23THRUST_200600_302600_NS6detail15normal_iteratorINS9_10device_ptrIiEEEEPS5_jNS0_19identity_decomposerEEE10hipError_tT1_T2_PT3_SK_jT4_jjP12ihipStream_tbEUlT_E0_NS1_11comp_targetILNS1_3genE5ELNS1_11target_archE942ELNS1_3gpuE9ELNS1_3repE0EEENS1_52radix_sort_onesweep_histogram_config_static_selectorELNS0_4arch9wavefront6targetE1EEEvSI_
		.amdhsa_group_segment_fixed_size 0
		.amdhsa_private_segment_fixed_size 0
		.amdhsa_kernarg_size 8
		.amdhsa_user_sgpr_count 6
		.amdhsa_user_sgpr_private_segment_buffer 1
		.amdhsa_user_sgpr_dispatch_ptr 0
		.amdhsa_user_sgpr_queue_ptr 0
		.amdhsa_user_sgpr_kernarg_segment_ptr 1
		.amdhsa_user_sgpr_dispatch_id 0
		.amdhsa_user_sgpr_flat_scratch_init 0
		.amdhsa_user_sgpr_kernarg_preload_length 0
		.amdhsa_user_sgpr_kernarg_preload_offset 0
		.amdhsa_user_sgpr_private_segment_size 0
		.amdhsa_uses_dynamic_stack 0
		.amdhsa_system_sgpr_private_segment_wavefront_offset 0
		.amdhsa_system_sgpr_workgroup_id_x 1
		.amdhsa_system_sgpr_workgroup_id_y 0
		.amdhsa_system_sgpr_workgroup_id_z 0
		.amdhsa_system_sgpr_workgroup_info 0
		.amdhsa_system_vgpr_workitem_id 0
		.amdhsa_next_free_vgpr 1
		.amdhsa_next_free_sgpr 0
		.amdhsa_accum_offset 4
		.amdhsa_reserve_vcc 0
		.amdhsa_reserve_flat_scratch 0
		.amdhsa_float_round_mode_32 0
		.amdhsa_float_round_mode_16_64 0
		.amdhsa_float_denorm_mode_32 3
		.amdhsa_float_denorm_mode_16_64 3
		.amdhsa_dx10_clamp 1
		.amdhsa_ieee_mode 1
		.amdhsa_fp16_overflow 0
		.amdhsa_tg_split 0
		.amdhsa_exception_fp_ieee_invalid_op 0
		.amdhsa_exception_fp_denorm_src 0
		.amdhsa_exception_fp_ieee_div_zero 0
		.amdhsa_exception_fp_ieee_overflow 0
		.amdhsa_exception_fp_ieee_underflow 0
		.amdhsa_exception_fp_ieee_inexact 0
		.amdhsa_exception_int_div_zero 0
	.end_amdhsa_kernel
	.section	.text._ZN7rocprim17ROCPRIM_400000_NS6detail17trampoline_kernelINS0_14default_configENS1_35radix_sort_onesweep_config_selectorIiNS0_10empty_typeEEEZNS1_34radix_sort_onesweep_global_offsetsIS3_Lb0EN6thrust23THRUST_200600_302600_NS6detail15normal_iteratorINS9_10device_ptrIiEEEEPS5_jNS0_19identity_decomposerEEE10hipError_tT1_T2_PT3_SK_jT4_jjP12ihipStream_tbEUlT_E0_NS1_11comp_targetILNS1_3genE5ELNS1_11target_archE942ELNS1_3gpuE9ELNS1_3repE0EEENS1_52radix_sort_onesweep_histogram_config_static_selectorELNS0_4arch9wavefront6targetE1EEEvSI_,"axG",@progbits,_ZN7rocprim17ROCPRIM_400000_NS6detail17trampoline_kernelINS0_14default_configENS1_35radix_sort_onesweep_config_selectorIiNS0_10empty_typeEEEZNS1_34radix_sort_onesweep_global_offsetsIS3_Lb0EN6thrust23THRUST_200600_302600_NS6detail15normal_iteratorINS9_10device_ptrIiEEEEPS5_jNS0_19identity_decomposerEEE10hipError_tT1_T2_PT3_SK_jT4_jjP12ihipStream_tbEUlT_E0_NS1_11comp_targetILNS1_3genE5ELNS1_11target_archE942ELNS1_3gpuE9ELNS1_3repE0EEENS1_52radix_sort_onesweep_histogram_config_static_selectorELNS0_4arch9wavefront6targetE1EEEvSI_,comdat
.Lfunc_end1730:
	.size	_ZN7rocprim17ROCPRIM_400000_NS6detail17trampoline_kernelINS0_14default_configENS1_35radix_sort_onesweep_config_selectorIiNS0_10empty_typeEEEZNS1_34radix_sort_onesweep_global_offsetsIS3_Lb0EN6thrust23THRUST_200600_302600_NS6detail15normal_iteratorINS9_10device_ptrIiEEEEPS5_jNS0_19identity_decomposerEEE10hipError_tT1_T2_PT3_SK_jT4_jjP12ihipStream_tbEUlT_E0_NS1_11comp_targetILNS1_3genE5ELNS1_11target_archE942ELNS1_3gpuE9ELNS1_3repE0EEENS1_52radix_sort_onesweep_histogram_config_static_selectorELNS0_4arch9wavefront6targetE1EEEvSI_, .Lfunc_end1730-_ZN7rocprim17ROCPRIM_400000_NS6detail17trampoline_kernelINS0_14default_configENS1_35radix_sort_onesweep_config_selectorIiNS0_10empty_typeEEEZNS1_34radix_sort_onesweep_global_offsetsIS3_Lb0EN6thrust23THRUST_200600_302600_NS6detail15normal_iteratorINS9_10device_ptrIiEEEEPS5_jNS0_19identity_decomposerEEE10hipError_tT1_T2_PT3_SK_jT4_jjP12ihipStream_tbEUlT_E0_NS1_11comp_targetILNS1_3genE5ELNS1_11target_archE942ELNS1_3gpuE9ELNS1_3repE0EEENS1_52radix_sort_onesweep_histogram_config_static_selectorELNS0_4arch9wavefront6targetE1EEEvSI_
                                        ; -- End function
	.section	.AMDGPU.csdata,"",@progbits
; Kernel info:
; codeLenInByte = 0
; NumSgprs: 4
; NumVgprs: 0
; NumAgprs: 0
; TotalNumVgprs: 0
; ScratchSize: 0
; MemoryBound: 0
; FloatMode: 240
; IeeeMode: 1
; LDSByteSize: 0 bytes/workgroup (compile time only)
; SGPRBlocks: 0
; VGPRBlocks: 0
; NumSGPRsForWavesPerEU: 4
; NumVGPRsForWavesPerEU: 1
; AccumOffset: 4
; Occupancy: 8
; WaveLimiterHint : 0
; COMPUTE_PGM_RSRC2:SCRATCH_EN: 0
; COMPUTE_PGM_RSRC2:USER_SGPR: 6
; COMPUTE_PGM_RSRC2:TRAP_HANDLER: 0
; COMPUTE_PGM_RSRC2:TGID_X_EN: 1
; COMPUTE_PGM_RSRC2:TGID_Y_EN: 0
; COMPUTE_PGM_RSRC2:TGID_Z_EN: 0
; COMPUTE_PGM_RSRC2:TIDIG_COMP_CNT: 0
; COMPUTE_PGM_RSRC3_GFX90A:ACCUM_OFFSET: 0
; COMPUTE_PGM_RSRC3_GFX90A:TG_SPLIT: 0
	.section	.text._ZN7rocprim17ROCPRIM_400000_NS6detail17trampoline_kernelINS0_14default_configENS1_35radix_sort_onesweep_config_selectorIiNS0_10empty_typeEEEZNS1_34radix_sort_onesweep_global_offsetsIS3_Lb0EN6thrust23THRUST_200600_302600_NS6detail15normal_iteratorINS9_10device_ptrIiEEEEPS5_jNS0_19identity_decomposerEEE10hipError_tT1_T2_PT3_SK_jT4_jjP12ihipStream_tbEUlT_E0_NS1_11comp_targetILNS1_3genE2ELNS1_11target_archE906ELNS1_3gpuE6ELNS1_3repE0EEENS1_52radix_sort_onesweep_histogram_config_static_selectorELNS0_4arch9wavefront6targetE1EEEvSI_,"axG",@progbits,_ZN7rocprim17ROCPRIM_400000_NS6detail17trampoline_kernelINS0_14default_configENS1_35radix_sort_onesweep_config_selectorIiNS0_10empty_typeEEEZNS1_34radix_sort_onesweep_global_offsetsIS3_Lb0EN6thrust23THRUST_200600_302600_NS6detail15normal_iteratorINS9_10device_ptrIiEEEEPS5_jNS0_19identity_decomposerEEE10hipError_tT1_T2_PT3_SK_jT4_jjP12ihipStream_tbEUlT_E0_NS1_11comp_targetILNS1_3genE2ELNS1_11target_archE906ELNS1_3gpuE6ELNS1_3repE0EEENS1_52radix_sort_onesweep_histogram_config_static_selectorELNS0_4arch9wavefront6targetE1EEEvSI_,comdat
	.protected	_ZN7rocprim17ROCPRIM_400000_NS6detail17trampoline_kernelINS0_14default_configENS1_35radix_sort_onesweep_config_selectorIiNS0_10empty_typeEEEZNS1_34radix_sort_onesweep_global_offsetsIS3_Lb0EN6thrust23THRUST_200600_302600_NS6detail15normal_iteratorINS9_10device_ptrIiEEEEPS5_jNS0_19identity_decomposerEEE10hipError_tT1_T2_PT3_SK_jT4_jjP12ihipStream_tbEUlT_E0_NS1_11comp_targetILNS1_3genE2ELNS1_11target_archE906ELNS1_3gpuE6ELNS1_3repE0EEENS1_52radix_sort_onesweep_histogram_config_static_selectorELNS0_4arch9wavefront6targetE1EEEvSI_ ; -- Begin function _ZN7rocprim17ROCPRIM_400000_NS6detail17trampoline_kernelINS0_14default_configENS1_35radix_sort_onesweep_config_selectorIiNS0_10empty_typeEEEZNS1_34radix_sort_onesweep_global_offsetsIS3_Lb0EN6thrust23THRUST_200600_302600_NS6detail15normal_iteratorINS9_10device_ptrIiEEEEPS5_jNS0_19identity_decomposerEEE10hipError_tT1_T2_PT3_SK_jT4_jjP12ihipStream_tbEUlT_E0_NS1_11comp_targetILNS1_3genE2ELNS1_11target_archE906ELNS1_3gpuE6ELNS1_3repE0EEENS1_52radix_sort_onesweep_histogram_config_static_selectorELNS0_4arch9wavefront6targetE1EEEvSI_
	.globl	_ZN7rocprim17ROCPRIM_400000_NS6detail17trampoline_kernelINS0_14default_configENS1_35radix_sort_onesweep_config_selectorIiNS0_10empty_typeEEEZNS1_34radix_sort_onesweep_global_offsetsIS3_Lb0EN6thrust23THRUST_200600_302600_NS6detail15normal_iteratorINS9_10device_ptrIiEEEEPS5_jNS0_19identity_decomposerEEE10hipError_tT1_T2_PT3_SK_jT4_jjP12ihipStream_tbEUlT_E0_NS1_11comp_targetILNS1_3genE2ELNS1_11target_archE906ELNS1_3gpuE6ELNS1_3repE0EEENS1_52radix_sort_onesweep_histogram_config_static_selectorELNS0_4arch9wavefront6targetE1EEEvSI_
	.p2align	8
	.type	_ZN7rocprim17ROCPRIM_400000_NS6detail17trampoline_kernelINS0_14default_configENS1_35radix_sort_onesweep_config_selectorIiNS0_10empty_typeEEEZNS1_34radix_sort_onesweep_global_offsetsIS3_Lb0EN6thrust23THRUST_200600_302600_NS6detail15normal_iteratorINS9_10device_ptrIiEEEEPS5_jNS0_19identity_decomposerEEE10hipError_tT1_T2_PT3_SK_jT4_jjP12ihipStream_tbEUlT_E0_NS1_11comp_targetILNS1_3genE2ELNS1_11target_archE906ELNS1_3gpuE6ELNS1_3repE0EEENS1_52radix_sort_onesweep_histogram_config_static_selectorELNS0_4arch9wavefront6targetE1EEEvSI_,@function
_ZN7rocprim17ROCPRIM_400000_NS6detail17trampoline_kernelINS0_14default_configENS1_35radix_sort_onesweep_config_selectorIiNS0_10empty_typeEEEZNS1_34radix_sort_onesweep_global_offsetsIS3_Lb0EN6thrust23THRUST_200600_302600_NS6detail15normal_iteratorINS9_10device_ptrIiEEEEPS5_jNS0_19identity_decomposerEEE10hipError_tT1_T2_PT3_SK_jT4_jjP12ihipStream_tbEUlT_E0_NS1_11comp_targetILNS1_3genE2ELNS1_11target_archE906ELNS1_3gpuE6ELNS1_3repE0EEENS1_52radix_sort_onesweep_histogram_config_static_selectorELNS0_4arch9wavefront6targetE1EEEvSI_: ; @_ZN7rocprim17ROCPRIM_400000_NS6detail17trampoline_kernelINS0_14default_configENS1_35radix_sort_onesweep_config_selectorIiNS0_10empty_typeEEEZNS1_34radix_sort_onesweep_global_offsetsIS3_Lb0EN6thrust23THRUST_200600_302600_NS6detail15normal_iteratorINS9_10device_ptrIiEEEEPS5_jNS0_19identity_decomposerEEE10hipError_tT1_T2_PT3_SK_jT4_jjP12ihipStream_tbEUlT_E0_NS1_11comp_targetILNS1_3genE2ELNS1_11target_archE906ELNS1_3gpuE6ELNS1_3repE0EEENS1_52radix_sort_onesweep_histogram_config_static_selectorELNS0_4arch9wavefront6targetE1EEEvSI_
; %bb.0:
	.section	.rodata,"a",@progbits
	.p2align	6, 0x0
	.amdhsa_kernel _ZN7rocprim17ROCPRIM_400000_NS6detail17trampoline_kernelINS0_14default_configENS1_35radix_sort_onesweep_config_selectorIiNS0_10empty_typeEEEZNS1_34radix_sort_onesweep_global_offsetsIS3_Lb0EN6thrust23THRUST_200600_302600_NS6detail15normal_iteratorINS9_10device_ptrIiEEEEPS5_jNS0_19identity_decomposerEEE10hipError_tT1_T2_PT3_SK_jT4_jjP12ihipStream_tbEUlT_E0_NS1_11comp_targetILNS1_3genE2ELNS1_11target_archE906ELNS1_3gpuE6ELNS1_3repE0EEENS1_52radix_sort_onesweep_histogram_config_static_selectorELNS0_4arch9wavefront6targetE1EEEvSI_
		.amdhsa_group_segment_fixed_size 0
		.amdhsa_private_segment_fixed_size 0
		.amdhsa_kernarg_size 8
		.amdhsa_user_sgpr_count 6
		.amdhsa_user_sgpr_private_segment_buffer 1
		.amdhsa_user_sgpr_dispatch_ptr 0
		.amdhsa_user_sgpr_queue_ptr 0
		.amdhsa_user_sgpr_kernarg_segment_ptr 1
		.amdhsa_user_sgpr_dispatch_id 0
		.amdhsa_user_sgpr_flat_scratch_init 0
		.amdhsa_user_sgpr_kernarg_preload_length 0
		.amdhsa_user_sgpr_kernarg_preload_offset 0
		.amdhsa_user_sgpr_private_segment_size 0
		.amdhsa_uses_dynamic_stack 0
		.amdhsa_system_sgpr_private_segment_wavefront_offset 0
		.amdhsa_system_sgpr_workgroup_id_x 1
		.amdhsa_system_sgpr_workgroup_id_y 0
		.amdhsa_system_sgpr_workgroup_id_z 0
		.amdhsa_system_sgpr_workgroup_info 0
		.amdhsa_system_vgpr_workitem_id 0
		.amdhsa_next_free_vgpr 1
		.amdhsa_next_free_sgpr 0
		.amdhsa_accum_offset 4
		.amdhsa_reserve_vcc 0
		.amdhsa_reserve_flat_scratch 0
		.amdhsa_float_round_mode_32 0
		.amdhsa_float_round_mode_16_64 0
		.amdhsa_float_denorm_mode_32 3
		.amdhsa_float_denorm_mode_16_64 3
		.amdhsa_dx10_clamp 1
		.amdhsa_ieee_mode 1
		.amdhsa_fp16_overflow 0
		.amdhsa_tg_split 0
		.amdhsa_exception_fp_ieee_invalid_op 0
		.amdhsa_exception_fp_denorm_src 0
		.amdhsa_exception_fp_ieee_div_zero 0
		.amdhsa_exception_fp_ieee_overflow 0
		.amdhsa_exception_fp_ieee_underflow 0
		.amdhsa_exception_fp_ieee_inexact 0
		.amdhsa_exception_int_div_zero 0
	.end_amdhsa_kernel
	.section	.text._ZN7rocprim17ROCPRIM_400000_NS6detail17trampoline_kernelINS0_14default_configENS1_35radix_sort_onesweep_config_selectorIiNS0_10empty_typeEEEZNS1_34radix_sort_onesweep_global_offsetsIS3_Lb0EN6thrust23THRUST_200600_302600_NS6detail15normal_iteratorINS9_10device_ptrIiEEEEPS5_jNS0_19identity_decomposerEEE10hipError_tT1_T2_PT3_SK_jT4_jjP12ihipStream_tbEUlT_E0_NS1_11comp_targetILNS1_3genE2ELNS1_11target_archE906ELNS1_3gpuE6ELNS1_3repE0EEENS1_52radix_sort_onesweep_histogram_config_static_selectorELNS0_4arch9wavefront6targetE1EEEvSI_,"axG",@progbits,_ZN7rocprim17ROCPRIM_400000_NS6detail17trampoline_kernelINS0_14default_configENS1_35radix_sort_onesweep_config_selectorIiNS0_10empty_typeEEEZNS1_34radix_sort_onesweep_global_offsetsIS3_Lb0EN6thrust23THRUST_200600_302600_NS6detail15normal_iteratorINS9_10device_ptrIiEEEEPS5_jNS0_19identity_decomposerEEE10hipError_tT1_T2_PT3_SK_jT4_jjP12ihipStream_tbEUlT_E0_NS1_11comp_targetILNS1_3genE2ELNS1_11target_archE906ELNS1_3gpuE6ELNS1_3repE0EEENS1_52radix_sort_onesweep_histogram_config_static_selectorELNS0_4arch9wavefront6targetE1EEEvSI_,comdat
.Lfunc_end1731:
	.size	_ZN7rocprim17ROCPRIM_400000_NS6detail17trampoline_kernelINS0_14default_configENS1_35radix_sort_onesweep_config_selectorIiNS0_10empty_typeEEEZNS1_34radix_sort_onesweep_global_offsetsIS3_Lb0EN6thrust23THRUST_200600_302600_NS6detail15normal_iteratorINS9_10device_ptrIiEEEEPS5_jNS0_19identity_decomposerEEE10hipError_tT1_T2_PT3_SK_jT4_jjP12ihipStream_tbEUlT_E0_NS1_11comp_targetILNS1_3genE2ELNS1_11target_archE906ELNS1_3gpuE6ELNS1_3repE0EEENS1_52radix_sort_onesweep_histogram_config_static_selectorELNS0_4arch9wavefront6targetE1EEEvSI_, .Lfunc_end1731-_ZN7rocprim17ROCPRIM_400000_NS6detail17trampoline_kernelINS0_14default_configENS1_35radix_sort_onesweep_config_selectorIiNS0_10empty_typeEEEZNS1_34radix_sort_onesweep_global_offsetsIS3_Lb0EN6thrust23THRUST_200600_302600_NS6detail15normal_iteratorINS9_10device_ptrIiEEEEPS5_jNS0_19identity_decomposerEEE10hipError_tT1_T2_PT3_SK_jT4_jjP12ihipStream_tbEUlT_E0_NS1_11comp_targetILNS1_3genE2ELNS1_11target_archE906ELNS1_3gpuE6ELNS1_3repE0EEENS1_52radix_sort_onesweep_histogram_config_static_selectorELNS0_4arch9wavefront6targetE1EEEvSI_
                                        ; -- End function
	.section	.AMDGPU.csdata,"",@progbits
; Kernel info:
; codeLenInByte = 0
; NumSgprs: 4
; NumVgprs: 0
; NumAgprs: 0
; TotalNumVgprs: 0
; ScratchSize: 0
; MemoryBound: 0
; FloatMode: 240
; IeeeMode: 1
; LDSByteSize: 0 bytes/workgroup (compile time only)
; SGPRBlocks: 0
; VGPRBlocks: 0
; NumSGPRsForWavesPerEU: 4
; NumVGPRsForWavesPerEU: 1
; AccumOffset: 4
; Occupancy: 8
; WaveLimiterHint : 0
; COMPUTE_PGM_RSRC2:SCRATCH_EN: 0
; COMPUTE_PGM_RSRC2:USER_SGPR: 6
; COMPUTE_PGM_RSRC2:TRAP_HANDLER: 0
; COMPUTE_PGM_RSRC2:TGID_X_EN: 1
; COMPUTE_PGM_RSRC2:TGID_Y_EN: 0
; COMPUTE_PGM_RSRC2:TGID_Z_EN: 0
; COMPUTE_PGM_RSRC2:TIDIG_COMP_CNT: 0
; COMPUTE_PGM_RSRC3_GFX90A:ACCUM_OFFSET: 0
; COMPUTE_PGM_RSRC3_GFX90A:TG_SPLIT: 0
	.section	.text._ZN7rocprim17ROCPRIM_400000_NS6detail17trampoline_kernelINS0_14default_configENS1_35radix_sort_onesweep_config_selectorIiNS0_10empty_typeEEEZNS1_34radix_sort_onesweep_global_offsetsIS3_Lb0EN6thrust23THRUST_200600_302600_NS6detail15normal_iteratorINS9_10device_ptrIiEEEEPS5_jNS0_19identity_decomposerEEE10hipError_tT1_T2_PT3_SK_jT4_jjP12ihipStream_tbEUlT_E0_NS1_11comp_targetILNS1_3genE4ELNS1_11target_archE910ELNS1_3gpuE8ELNS1_3repE0EEENS1_52radix_sort_onesweep_histogram_config_static_selectorELNS0_4arch9wavefront6targetE1EEEvSI_,"axG",@progbits,_ZN7rocprim17ROCPRIM_400000_NS6detail17trampoline_kernelINS0_14default_configENS1_35radix_sort_onesweep_config_selectorIiNS0_10empty_typeEEEZNS1_34radix_sort_onesweep_global_offsetsIS3_Lb0EN6thrust23THRUST_200600_302600_NS6detail15normal_iteratorINS9_10device_ptrIiEEEEPS5_jNS0_19identity_decomposerEEE10hipError_tT1_T2_PT3_SK_jT4_jjP12ihipStream_tbEUlT_E0_NS1_11comp_targetILNS1_3genE4ELNS1_11target_archE910ELNS1_3gpuE8ELNS1_3repE0EEENS1_52radix_sort_onesweep_histogram_config_static_selectorELNS0_4arch9wavefront6targetE1EEEvSI_,comdat
	.protected	_ZN7rocprim17ROCPRIM_400000_NS6detail17trampoline_kernelINS0_14default_configENS1_35radix_sort_onesweep_config_selectorIiNS0_10empty_typeEEEZNS1_34radix_sort_onesweep_global_offsetsIS3_Lb0EN6thrust23THRUST_200600_302600_NS6detail15normal_iteratorINS9_10device_ptrIiEEEEPS5_jNS0_19identity_decomposerEEE10hipError_tT1_T2_PT3_SK_jT4_jjP12ihipStream_tbEUlT_E0_NS1_11comp_targetILNS1_3genE4ELNS1_11target_archE910ELNS1_3gpuE8ELNS1_3repE0EEENS1_52radix_sort_onesweep_histogram_config_static_selectorELNS0_4arch9wavefront6targetE1EEEvSI_ ; -- Begin function _ZN7rocprim17ROCPRIM_400000_NS6detail17trampoline_kernelINS0_14default_configENS1_35radix_sort_onesweep_config_selectorIiNS0_10empty_typeEEEZNS1_34radix_sort_onesweep_global_offsetsIS3_Lb0EN6thrust23THRUST_200600_302600_NS6detail15normal_iteratorINS9_10device_ptrIiEEEEPS5_jNS0_19identity_decomposerEEE10hipError_tT1_T2_PT3_SK_jT4_jjP12ihipStream_tbEUlT_E0_NS1_11comp_targetILNS1_3genE4ELNS1_11target_archE910ELNS1_3gpuE8ELNS1_3repE0EEENS1_52radix_sort_onesweep_histogram_config_static_selectorELNS0_4arch9wavefront6targetE1EEEvSI_
	.globl	_ZN7rocprim17ROCPRIM_400000_NS6detail17trampoline_kernelINS0_14default_configENS1_35radix_sort_onesweep_config_selectorIiNS0_10empty_typeEEEZNS1_34radix_sort_onesweep_global_offsetsIS3_Lb0EN6thrust23THRUST_200600_302600_NS6detail15normal_iteratorINS9_10device_ptrIiEEEEPS5_jNS0_19identity_decomposerEEE10hipError_tT1_T2_PT3_SK_jT4_jjP12ihipStream_tbEUlT_E0_NS1_11comp_targetILNS1_3genE4ELNS1_11target_archE910ELNS1_3gpuE8ELNS1_3repE0EEENS1_52radix_sort_onesweep_histogram_config_static_selectorELNS0_4arch9wavefront6targetE1EEEvSI_
	.p2align	8
	.type	_ZN7rocprim17ROCPRIM_400000_NS6detail17trampoline_kernelINS0_14default_configENS1_35radix_sort_onesweep_config_selectorIiNS0_10empty_typeEEEZNS1_34radix_sort_onesweep_global_offsetsIS3_Lb0EN6thrust23THRUST_200600_302600_NS6detail15normal_iteratorINS9_10device_ptrIiEEEEPS5_jNS0_19identity_decomposerEEE10hipError_tT1_T2_PT3_SK_jT4_jjP12ihipStream_tbEUlT_E0_NS1_11comp_targetILNS1_3genE4ELNS1_11target_archE910ELNS1_3gpuE8ELNS1_3repE0EEENS1_52radix_sort_onesweep_histogram_config_static_selectorELNS0_4arch9wavefront6targetE1EEEvSI_,@function
_ZN7rocprim17ROCPRIM_400000_NS6detail17trampoline_kernelINS0_14default_configENS1_35radix_sort_onesweep_config_selectorIiNS0_10empty_typeEEEZNS1_34radix_sort_onesweep_global_offsetsIS3_Lb0EN6thrust23THRUST_200600_302600_NS6detail15normal_iteratorINS9_10device_ptrIiEEEEPS5_jNS0_19identity_decomposerEEE10hipError_tT1_T2_PT3_SK_jT4_jjP12ihipStream_tbEUlT_E0_NS1_11comp_targetILNS1_3genE4ELNS1_11target_archE910ELNS1_3gpuE8ELNS1_3repE0EEENS1_52radix_sort_onesweep_histogram_config_static_selectorELNS0_4arch9wavefront6targetE1EEEvSI_: ; @_ZN7rocprim17ROCPRIM_400000_NS6detail17trampoline_kernelINS0_14default_configENS1_35radix_sort_onesweep_config_selectorIiNS0_10empty_typeEEEZNS1_34radix_sort_onesweep_global_offsetsIS3_Lb0EN6thrust23THRUST_200600_302600_NS6detail15normal_iteratorINS9_10device_ptrIiEEEEPS5_jNS0_19identity_decomposerEEE10hipError_tT1_T2_PT3_SK_jT4_jjP12ihipStream_tbEUlT_E0_NS1_11comp_targetILNS1_3genE4ELNS1_11target_archE910ELNS1_3gpuE8ELNS1_3repE0EEENS1_52radix_sort_onesweep_histogram_config_static_selectorELNS0_4arch9wavefront6targetE1EEEvSI_
; %bb.0:
	s_load_dwordx2 s[0:1], s[4:5], 0x0
	s_lshl_b32 s2, s6, 8
	s_mov_b32 s3, 0
	s_lshl_b64 s[2:3], s[2:3], 2
	v_lshlrev_b32_e32 v1, 2, v0
	s_waitcnt lgkmcnt(0)
	s_add_u32 s10, s0, s2
	s_movk_i32 s0, 0x100
	s_addc_u32 s11, s1, s3
	v_cmp_gt_u32_e32 vcc, s0, v0
                                        ; implicit-def: $vgpr3
	s_and_saveexec_b64 s[0:1], vcc
	s_cbranch_execz .LBB1732_2
; %bb.1:
	global_load_dword v3, v1, s[10:11]
.LBB1732_2:
	s_or_b64 exec, exec, s[0:1]
	v_mbcnt_lo_u32_b32 v2, -1, 0
	v_mbcnt_hi_u32_b32 v2, -1, v2
	v_and_b32_e32 v4, 15, v2
	s_waitcnt vmcnt(0)
	v_mov_b32_dpp v5, v3 row_shr:1 row_mask:0xf bank_mask:0xf
	v_cmp_eq_u32_e64 s[0:1], 0, v4
	v_cndmask_b32_e64 v5, v5, 0, s[0:1]
	v_add_u32_e32 v3, v5, v3
	v_cmp_lt_u32_e64 s[2:3], 1, v4
	v_cmp_lt_u32_e64 s[4:5], 3, v4
	v_mov_b32_dpp v5, v3 row_shr:2 row_mask:0xf bank_mask:0xf
	v_cndmask_b32_e64 v5, 0, v5, s[2:3]
	v_add_u32_e32 v3, v3, v5
	v_cmp_lt_u32_e64 s[6:7], 7, v4
	v_cmp_lt_u32_e64 s[8:9], 31, v2
	v_mov_b32_dpp v5, v3 row_shr:4 row_mask:0xf bank_mask:0xf
	v_cndmask_b32_e64 v5, 0, v5, s[4:5]
	v_add_u32_e32 v3, v3, v5
	s_nop 1
	v_mov_b32_dpp v5, v3 row_shr:8 row_mask:0xf bank_mask:0xf
	v_cndmask_b32_e64 v4, 0, v5, s[6:7]
	v_add_u32_e32 v3, v3, v4
	v_bfe_i32 v5, v2, 4, 1
	s_nop 0
	v_mov_b32_dpp v4, v3 row_bcast:15 row_mask:0xf bank_mask:0xf
	v_and_b32_e32 v4, v5, v4
	v_add_u32_e32 v3, v3, v4
	v_and_b32_e32 v5, 63, v0
	s_nop 0
	v_mov_b32_dpp v4, v3 row_bcast:31 row_mask:0xf bank_mask:0xf
	v_cndmask_b32_e64 v4, 0, v4, s[8:9]
	v_add_u32_e32 v3, v3, v4
	v_lshrrev_b32_e32 v4, 6, v0
	v_cmp_eq_u32_e64 s[8:9], 63, v5
	s_and_saveexec_b64 s[12:13], s[8:9]
	s_cbranch_execz .LBB1732_4
; %bb.3:
	v_lshlrev_b32_e32 v5, 2, v4
	ds_write_b32 v5, v3
.LBB1732_4:
	s_or_b64 exec, exec, s[12:13]
	v_cmp_gt_u32_e64 s[8:9], 16, v0
	s_waitcnt lgkmcnt(0)
	s_barrier
	s_and_saveexec_b64 s[12:13], s[8:9]
	s_cbranch_execz .LBB1732_6
; %bb.5:
	ds_read_b32 v5, v1
	s_waitcnt lgkmcnt(0)
	s_nop 0
	v_mov_b32_dpp v6, v5 row_shr:1 row_mask:0xf bank_mask:0xf
	v_cndmask_b32_e64 v6, v6, 0, s[0:1]
	v_add_u32_e32 v5, v6, v5
	s_nop 1
	v_mov_b32_dpp v6, v5 row_shr:2 row_mask:0xf bank_mask:0xf
	v_cndmask_b32_e64 v6, 0, v6, s[2:3]
	v_add_u32_e32 v5, v5, v6
	;; [unrolled: 4-line block ×4, first 2 shown]
	ds_write_b32 v1, v5
.LBB1732_6:
	s_or_b64 exec, exec, s[12:13]
	v_cmp_lt_u32_e64 s[0:1], 63, v0
	v_mov_b32_e32 v0, 0
	s_waitcnt lgkmcnt(0)
	s_barrier
	s_and_saveexec_b64 s[2:3], s[0:1]
	s_cbranch_execz .LBB1732_8
; %bb.7:
	v_lshl_add_u32 v0, v4, 2, -4
	ds_read_b32 v0, v0
.LBB1732_8:
	s_or_b64 exec, exec, s[2:3]
	v_add_u32_e32 v4, -1, v2
	v_and_b32_e32 v5, 64, v2
	v_cmp_lt_i32_e64 s[0:1], v4, v5
	v_cndmask_b32_e64 v4, v4, v2, s[0:1]
	s_waitcnt lgkmcnt(0)
	v_add_u32_e32 v3, v0, v3
	v_lshlrev_b32_e32 v4, 2, v4
	ds_bpermute_b32 v3, v4, v3
	s_and_saveexec_b64 s[0:1], vcc
	s_cbranch_execz .LBB1732_10
; %bb.9:
	v_cmp_eq_u32_e32 vcc, 0, v2
	s_waitcnt lgkmcnt(0)
	v_cndmask_b32_e32 v0, v3, v0, vcc
	global_store_dword v1, v0, s[10:11]
.LBB1732_10:
	s_endpgm
	.section	.rodata,"a",@progbits
	.p2align	6, 0x0
	.amdhsa_kernel _ZN7rocprim17ROCPRIM_400000_NS6detail17trampoline_kernelINS0_14default_configENS1_35radix_sort_onesweep_config_selectorIiNS0_10empty_typeEEEZNS1_34radix_sort_onesweep_global_offsetsIS3_Lb0EN6thrust23THRUST_200600_302600_NS6detail15normal_iteratorINS9_10device_ptrIiEEEEPS5_jNS0_19identity_decomposerEEE10hipError_tT1_T2_PT3_SK_jT4_jjP12ihipStream_tbEUlT_E0_NS1_11comp_targetILNS1_3genE4ELNS1_11target_archE910ELNS1_3gpuE8ELNS1_3repE0EEENS1_52radix_sort_onesweep_histogram_config_static_selectorELNS0_4arch9wavefront6targetE1EEEvSI_
		.amdhsa_group_segment_fixed_size 64
		.amdhsa_private_segment_fixed_size 0
		.amdhsa_kernarg_size 8
		.amdhsa_user_sgpr_count 6
		.amdhsa_user_sgpr_private_segment_buffer 1
		.amdhsa_user_sgpr_dispatch_ptr 0
		.amdhsa_user_sgpr_queue_ptr 0
		.amdhsa_user_sgpr_kernarg_segment_ptr 1
		.amdhsa_user_sgpr_dispatch_id 0
		.amdhsa_user_sgpr_flat_scratch_init 0
		.amdhsa_user_sgpr_kernarg_preload_length 0
		.amdhsa_user_sgpr_kernarg_preload_offset 0
		.amdhsa_user_sgpr_private_segment_size 0
		.amdhsa_uses_dynamic_stack 0
		.amdhsa_system_sgpr_private_segment_wavefront_offset 0
		.amdhsa_system_sgpr_workgroup_id_x 1
		.amdhsa_system_sgpr_workgroup_id_y 0
		.amdhsa_system_sgpr_workgroup_id_z 0
		.amdhsa_system_sgpr_workgroup_info 0
		.amdhsa_system_vgpr_workitem_id 0
		.amdhsa_next_free_vgpr 7
		.amdhsa_next_free_sgpr 14
		.amdhsa_accum_offset 8
		.amdhsa_reserve_vcc 1
		.amdhsa_reserve_flat_scratch 0
		.amdhsa_float_round_mode_32 0
		.amdhsa_float_round_mode_16_64 0
		.amdhsa_float_denorm_mode_32 3
		.amdhsa_float_denorm_mode_16_64 3
		.amdhsa_dx10_clamp 1
		.amdhsa_ieee_mode 1
		.amdhsa_fp16_overflow 0
		.amdhsa_tg_split 0
		.amdhsa_exception_fp_ieee_invalid_op 0
		.amdhsa_exception_fp_denorm_src 0
		.amdhsa_exception_fp_ieee_div_zero 0
		.amdhsa_exception_fp_ieee_overflow 0
		.amdhsa_exception_fp_ieee_underflow 0
		.amdhsa_exception_fp_ieee_inexact 0
		.amdhsa_exception_int_div_zero 0
	.end_amdhsa_kernel
	.section	.text._ZN7rocprim17ROCPRIM_400000_NS6detail17trampoline_kernelINS0_14default_configENS1_35radix_sort_onesweep_config_selectorIiNS0_10empty_typeEEEZNS1_34radix_sort_onesweep_global_offsetsIS3_Lb0EN6thrust23THRUST_200600_302600_NS6detail15normal_iteratorINS9_10device_ptrIiEEEEPS5_jNS0_19identity_decomposerEEE10hipError_tT1_T2_PT3_SK_jT4_jjP12ihipStream_tbEUlT_E0_NS1_11comp_targetILNS1_3genE4ELNS1_11target_archE910ELNS1_3gpuE8ELNS1_3repE0EEENS1_52radix_sort_onesweep_histogram_config_static_selectorELNS0_4arch9wavefront6targetE1EEEvSI_,"axG",@progbits,_ZN7rocprim17ROCPRIM_400000_NS6detail17trampoline_kernelINS0_14default_configENS1_35radix_sort_onesweep_config_selectorIiNS0_10empty_typeEEEZNS1_34radix_sort_onesweep_global_offsetsIS3_Lb0EN6thrust23THRUST_200600_302600_NS6detail15normal_iteratorINS9_10device_ptrIiEEEEPS5_jNS0_19identity_decomposerEEE10hipError_tT1_T2_PT3_SK_jT4_jjP12ihipStream_tbEUlT_E0_NS1_11comp_targetILNS1_3genE4ELNS1_11target_archE910ELNS1_3gpuE8ELNS1_3repE0EEENS1_52radix_sort_onesweep_histogram_config_static_selectorELNS0_4arch9wavefront6targetE1EEEvSI_,comdat
.Lfunc_end1732:
	.size	_ZN7rocprim17ROCPRIM_400000_NS6detail17trampoline_kernelINS0_14default_configENS1_35radix_sort_onesweep_config_selectorIiNS0_10empty_typeEEEZNS1_34radix_sort_onesweep_global_offsetsIS3_Lb0EN6thrust23THRUST_200600_302600_NS6detail15normal_iteratorINS9_10device_ptrIiEEEEPS5_jNS0_19identity_decomposerEEE10hipError_tT1_T2_PT3_SK_jT4_jjP12ihipStream_tbEUlT_E0_NS1_11comp_targetILNS1_3genE4ELNS1_11target_archE910ELNS1_3gpuE8ELNS1_3repE0EEENS1_52radix_sort_onesweep_histogram_config_static_selectorELNS0_4arch9wavefront6targetE1EEEvSI_, .Lfunc_end1732-_ZN7rocprim17ROCPRIM_400000_NS6detail17trampoline_kernelINS0_14default_configENS1_35radix_sort_onesweep_config_selectorIiNS0_10empty_typeEEEZNS1_34radix_sort_onesweep_global_offsetsIS3_Lb0EN6thrust23THRUST_200600_302600_NS6detail15normal_iteratorINS9_10device_ptrIiEEEEPS5_jNS0_19identity_decomposerEEE10hipError_tT1_T2_PT3_SK_jT4_jjP12ihipStream_tbEUlT_E0_NS1_11comp_targetILNS1_3genE4ELNS1_11target_archE910ELNS1_3gpuE8ELNS1_3repE0EEENS1_52radix_sort_onesweep_histogram_config_static_selectorELNS0_4arch9wavefront6targetE1EEEvSI_
                                        ; -- End function
	.section	.AMDGPU.csdata,"",@progbits
; Kernel info:
; codeLenInByte = 572
; NumSgprs: 18
; NumVgprs: 7
; NumAgprs: 0
; TotalNumVgprs: 7
; ScratchSize: 0
; MemoryBound: 0
; FloatMode: 240
; IeeeMode: 1
; LDSByteSize: 64 bytes/workgroup (compile time only)
; SGPRBlocks: 2
; VGPRBlocks: 0
; NumSGPRsForWavesPerEU: 18
; NumVGPRsForWavesPerEU: 7
; AccumOffset: 8
; Occupancy: 8
; WaveLimiterHint : 0
; COMPUTE_PGM_RSRC2:SCRATCH_EN: 0
; COMPUTE_PGM_RSRC2:USER_SGPR: 6
; COMPUTE_PGM_RSRC2:TRAP_HANDLER: 0
; COMPUTE_PGM_RSRC2:TGID_X_EN: 1
; COMPUTE_PGM_RSRC2:TGID_Y_EN: 0
; COMPUTE_PGM_RSRC2:TGID_Z_EN: 0
; COMPUTE_PGM_RSRC2:TIDIG_COMP_CNT: 0
; COMPUTE_PGM_RSRC3_GFX90A:ACCUM_OFFSET: 1
; COMPUTE_PGM_RSRC3_GFX90A:TG_SPLIT: 0
	.section	.text._ZN7rocprim17ROCPRIM_400000_NS6detail17trampoline_kernelINS0_14default_configENS1_35radix_sort_onesweep_config_selectorIiNS0_10empty_typeEEEZNS1_34radix_sort_onesweep_global_offsetsIS3_Lb0EN6thrust23THRUST_200600_302600_NS6detail15normal_iteratorINS9_10device_ptrIiEEEEPS5_jNS0_19identity_decomposerEEE10hipError_tT1_T2_PT3_SK_jT4_jjP12ihipStream_tbEUlT_E0_NS1_11comp_targetILNS1_3genE3ELNS1_11target_archE908ELNS1_3gpuE7ELNS1_3repE0EEENS1_52radix_sort_onesweep_histogram_config_static_selectorELNS0_4arch9wavefront6targetE1EEEvSI_,"axG",@progbits,_ZN7rocprim17ROCPRIM_400000_NS6detail17trampoline_kernelINS0_14default_configENS1_35radix_sort_onesweep_config_selectorIiNS0_10empty_typeEEEZNS1_34radix_sort_onesweep_global_offsetsIS3_Lb0EN6thrust23THRUST_200600_302600_NS6detail15normal_iteratorINS9_10device_ptrIiEEEEPS5_jNS0_19identity_decomposerEEE10hipError_tT1_T2_PT3_SK_jT4_jjP12ihipStream_tbEUlT_E0_NS1_11comp_targetILNS1_3genE3ELNS1_11target_archE908ELNS1_3gpuE7ELNS1_3repE0EEENS1_52radix_sort_onesweep_histogram_config_static_selectorELNS0_4arch9wavefront6targetE1EEEvSI_,comdat
	.protected	_ZN7rocprim17ROCPRIM_400000_NS6detail17trampoline_kernelINS0_14default_configENS1_35radix_sort_onesweep_config_selectorIiNS0_10empty_typeEEEZNS1_34radix_sort_onesweep_global_offsetsIS3_Lb0EN6thrust23THRUST_200600_302600_NS6detail15normal_iteratorINS9_10device_ptrIiEEEEPS5_jNS0_19identity_decomposerEEE10hipError_tT1_T2_PT3_SK_jT4_jjP12ihipStream_tbEUlT_E0_NS1_11comp_targetILNS1_3genE3ELNS1_11target_archE908ELNS1_3gpuE7ELNS1_3repE0EEENS1_52radix_sort_onesweep_histogram_config_static_selectorELNS0_4arch9wavefront6targetE1EEEvSI_ ; -- Begin function _ZN7rocprim17ROCPRIM_400000_NS6detail17trampoline_kernelINS0_14default_configENS1_35radix_sort_onesweep_config_selectorIiNS0_10empty_typeEEEZNS1_34radix_sort_onesweep_global_offsetsIS3_Lb0EN6thrust23THRUST_200600_302600_NS6detail15normal_iteratorINS9_10device_ptrIiEEEEPS5_jNS0_19identity_decomposerEEE10hipError_tT1_T2_PT3_SK_jT4_jjP12ihipStream_tbEUlT_E0_NS1_11comp_targetILNS1_3genE3ELNS1_11target_archE908ELNS1_3gpuE7ELNS1_3repE0EEENS1_52radix_sort_onesweep_histogram_config_static_selectorELNS0_4arch9wavefront6targetE1EEEvSI_
	.globl	_ZN7rocprim17ROCPRIM_400000_NS6detail17trampoline_kernelINS0_14default_configENS1_35radix_sort_onesweep_config_selectorIiNS0_10empty_typeEEEZNS1_34radix_sort_onesweep_global_offsetsIS3_Lb0EN6thrust23THRUST_200600_302600_NS6detail15normal_iteratorINS9_10device_ptrIiEEEEPS5_jNS0_19identity_decomposerEEE10hipError_tT1_T2_PT3_SK_jT4_jjP12ihipStream_tbEUlT_E0_NS1_11comp_targetILNS1_3genE3ELNS1_11target_archE908ELNS1_3gpuE7ELNS1_3repE0EEENS1_52radix_sort_onesweep_histogram_config_static_selectorELNS0_4arch9wavefront6targetE1EEEvSI_
	.p2align	8
	.type	_ZN7rocprim17ROCPRIM_400000_NS6detail17trampoline_kernelINS0_14default_configENS1_35radix_sort_onesweep_config_selectorIiNS0_10empty_typeEEEZNS1_34radix_sort_onesweep_global_offsetsIS3_Lb0EN6thrust23THRUST_200600_302600_NS6detail15normal_iteratorINS9_10device_ptrIiEEEEPS5_jNS0_19identity_decomposerEEE10hipError_tT1_T2_PT3_SK_jT4_jjP12ihipStream_tbEUlT_E0_NS1_11comp_targetILNS1_3genE3ELNS1_11target_archE908ELNS1_3gpuE7ELNS1_3repE0EEENS1_52radix_sort_onesweep_histogram_config_static_selectorELNS0_4arch9wavefront6targetE1EEEvSI_,@function
_ZN7rocprim17ROCPRIM_400000_NS6detail17trampoline_kernelINS0_14default_configENS1_35radix_sort_onesweep_config_selectorIiNS0_10empty_typeEEEZNS1_34radix_sort_onesweep_global_offsetsIS3_Lb0EN6thrust23THRUST_200600_302600_NS6detail15normal_iteratorINS9_10device_ptrIiEEEEPS5_jNS0_19identity_decomposerEEE10hipError_tT1_T2_PT3_SK_jT4_jjP12ihipStream_tbEUlT_E0_NS1_11comp_targetILNS1_3genE3ELNS1_11target_archE908ELNS1_3gpuE7ELNS1_3repE0EEENS1_52radix_sort_onesweep_histogram_config_static_selectorELNS0_4arch9wavefront6targetE1EEEvSI_: ; @_ZN7rocprim17ROCPRIM_400000_NS6detail17trampoline_kernelINS0_14default_configENS1_35radix_sort_onesweep_config_selectorIiNS0_10empty_typeEEEZNS1_34radix_sort_onesweep_global_offsetsIS3_Lb0EN6thrust23THRUST_200600_302600_NS6detail15normal_iteratorINS9_10device_ptrIiEEEEPS5_jNS0_19identity_decomposerEEE10hipError_tT1_T2_PT3_SK_jT4_jjP12ihipStream_tbEUlT_E0_NS1_11comp_targetILNS1_3genE3ELNS1_11target_archE908ELNS1_3gpuE7ELNS1_3repE0EEENS1_52radix_sort_onesweep_histogram_config_static_selectorELNS0_4arch9wavefront6targetE1EEEvSI_
; %bb.0:
	.section	.rodata,"a",@progbits
	.p2align	6, 0x0
	.amdhsa_kernel _ZN7rocprim17ROCPRIM_400000_NS6detail17trampoline_kernelINS0_14default_configENS1_35radix_sort_onesweep_config_selectorIiNS0_10empty_typeEEEZNS1_34radix_sort_onesweep_global_offsetsIS3_Lb0EN6thrust23THRUST_200600_302600_NS6detail15normal_iteratorINS9_10device_ptrIiEEEEPS5_jNS0_19identity_decomposerEEE10hipError_tT1_T2_PT3_SK_jT4_jjP12ihipStream_tbEUlT_E0_NS1_11comp_targetILNS1_3genE3ELNS1_11target_archE908ELNS1_3gpuE7ELNS1_3repE0EEENS1_52radix_sort_onesweep_histogram_config_static_selectorELNS0_4arch9wavefront6targetE1EEEvSI_
		.amdhsa_group_segment_fixed_size 0
		.amdhsa_private_segment_fixed_size 0
		.amdhsa_kernarg_size 8
		.amdhsa_user_sgpr_count 6
		.amdhsa_user_sgpr_private_segment_buffer 1
		.amdhsa_user_sgpr_dispatch_ptr 0
		.amdhsa_user_sgpr_queue_ptr 0
		.amdhsa_user_sgpr_kernarg_segment_ptr 1
		.amdhsa_user_sgpr_dispatch_id 0
		.amdhsa_user_sgpr_flat_scratch_init 0
		.amdhsa_user_sgpr_kernarg_preload_length 0
		.amdhsa_user_sgpr_kernarg_preload_offset 0
		.amdhsa_user_sgpr_private_segment_size 0
		.amdhsa_uses_dynamic_stack 0
		.amdhsa_system_sgpr_private_segment_wavefront_offset 0
		.amdhsa_system_sgpr_workgroup_id_x 1
		.amdhsa_system_sgpr_workgroup_id_y 0
		.amdhsa_system_sgpr_workgroup_id_z 0
		.amdhsa_system_sgpr_workgroup_info 0
		.amdhsa_system_vgpr_workitem_id 0
		.amdhsa_next_free_vgpr 1
		.amdhsa_next_free_sgpr 0
		.amdhsa_accum_offset 4
		.amdhsa_reserve_vcc 0
		.amdhsa_reserve_flat_scratch 0
		.amdhsa_float_round_mode_32 0
		.amdhsa_float_round_mode_16_64 0
		.amdhsa_float_denorm_mode_32 3
		.amdhsa_float_denorm_mode_16_64 3
		.amdhsa_dx10_clamp 1
		.amdhsa_ieee_mode 1
		.amdhsa_fp16_overflow 0
		.amdhsa_tg_split 0
		.amdhsa_exception_fp_ieee_invalid_op 0
		.amdhsa_exception_fp_denorm_src 0
		.amdhsa_exception_fp_ieee_div_zero 0
		.amdhsa_exception_fp_ieee_overflow 0
		.amdhsa_exception_fp_ieee_underflow 0
		.amdhsa_exception_fp_ieee_inexact 0
		.amdhsa_exception_int_div_zero 0
	.end_amdhsa_kernel
	.section	.text._ZN7rocprim17ROCPRIM_400000_NS6detail17trampoline_kernelINS0_14default_configENS1_35radix_sort_onesweep_config_selectorIiNS0_10empty_typeEEEZNS1_34radix_sort_onesweep_global_offsetsIS3_Lb0EN6thrust23THRUST_200600_302600_NS6detail15normal_iteratorINS9_10device_ptrIiEEEEPS5_jNS0_19identity_decomposerEEE10hipError_tT1_T2_PT3_SK_jT4_jjP12ihipStream_tbEUlT_E0_NS1_11comp_targetILNS1_3genE3ELNS1_11target_archE908ELNS1_3gpuE7ELNS1_3repE0EEENS1_52radix_sort_onesweep_histogram_config_static_selectorELNS0_4arch9wavefront6targetE1EEEvSI_,"axG",@progbits,_ZN7rocprim17ROCPRIM_400000_NS6detail17trampoline_kernelINS0_14default_configENS1_35radix_sort_onesweep_config_selectorIiNS0_10empty_typeEEEZNS1_34radix_sort_onesweep_global_offsetsIS3_Lb0EN6thrust23THRUST_200600_302600_NS6detail15normal_iteratorINS9_10device_ptrIiEEEEPS5_jNS0_19identity_decomposerEEE10hipError_tT1_T2_PT3_SK_jT4_jjP12ihipStream_tbEUlT_E0_NS1_11comp_targetILNS1_3genE3ELNS1_11target_archE908ELNS1_3gpuE7ELNS1_3repE0EEENS1_52radix_sort_onesweep_histogram_config_static_selectorELNS0_4arch9wavefront6targetE1EEEvSI_,comdat
.Lfunc_end1733:
	.size	_ZN7rocprim17ROCPRIM_400000_NS6detail17trampoline_kernelINS0_14default_configENS1_35radix_sort_onesweep_config_selectorIiNS0_10empty_typeEEEZNS1_34radix_sort_onesweep_global_offsetsIS3_Lb0EN6thrust23THRUST_200600_302600_NS6detail15normal_iteratorINS9_10device_ptrIiEEEEPS5_jNS0_19identity_decomposerEEE10hipError_tT1_T2_PT3_SK_jT4_jjP12ihipStream_tbEUlT_E0_NS1_11comp_targetILNS1_3genE3ELNS1_11target_archE908ELNS1_3gpuE7ELNS1_3repE0EEENS1_52radix_sort_onesweep_histogram_config_static_selectorELNS0_4arch9wavefront6targetE1EEEvSI_, .Lfunc_end1733-_ZN7rocprim17ROCPRIM_400000_NS6detail17trampoline_kernelINS0_14default_configENS1_35radix_sort_onesweep_config_selectorIiNS0_10empty_typeEEEZNS1_34radix_sort_onesweep_global_offsetsIS3_Lb0EN6thrust23THRUST_200600_302600_NS6detail15normal_iteratorINS9_10device_ptrIiEEEEPS5_jNS0_19identity_decomposerEEE10hipError_tT1_T2_PT3_SK_jT4_jjP12ihipStream_tbEUlT_E0_NS1_11comp_targetILNS1_3genE3ELNS1_11target_archE908ELNS1_3gpuE7ELNS1_3repE0EEENS1_52radix_sort_onesweep_histogram_config_static_selectorELNS0_4arch9wavefront6targetE1EEEvSI_
                                        ; -- End function
	.section	.AMDGPU.csdata,"",@progbits
; Kernel info:
; codeLenInByte = 0
; NumSgprs: 4
; NumVgprs: 0
; NumAgprs: 0
; TotalNumVgprs: 0
; ScratchSize: 0
; MemoryBound: 0
; FloatMode: 240
; IeeeMode: 1
; LDSByteSize: 0 bytes/workgroup (compile time only)
; SGPRBlocks: 0
; VGPRBlocks: 0
; NumSGPRsForWavesPerEU: 4
; NumVGPRsForWavesPerEU: 1
; AccumOffset: 4
; Occupancy: 8
; WaveLimiterHint : 0
; COMPUTE_PGM_RSRC2:SCRATCH_EN: 0
; COMPUTE_PGM_RSRC2:USER_SGPR: 6
; COMPUTE_PGM_RSRC2:TRAP_HANDLER: 0
; COMPUTE_PGM_RSRC2:TGID_X_EN: 1
; COMPUTE_PGM_RSRC2:TGID_Y_EN: 0
; COMPUTE_PGM_RSRC2:TGID_Z_EN: 0
; COMPUTE_PGM_RSRC2:TIDIG_COMP_CNT: 0
; COMPUTE_PGM_RSRC3_GFX90A:ACCUM_OFFSET: 0
; COMPUTE_PGM_RSRC3_GFX90A:TG_SPLIT: 0
	.section	.text._ZN7rocprim17ROCPRIM_400000_NS6detail17trampoline_kernelINS0_14default_configENS1_35radix_sort_onesweep_config_selectorIiNS0_10empty_typeEEEZNS1_34radix_sort_onesweep_global_offsetsIS3_Lb0EN6thrust23THRUST_200600_302600_NS6detail15normal_iteratorINS9_10device_ptrIiEEEEPS5_jNS0_19identity_decomposerEEE10hipError_tT1_T2_PT3_SK_jT4_jjP12ihipStream_tbEUlT_E0_NS1_11comp_targetILNS1_3genE10ELNS1_11target_archE1201ELNS1_3gpuE5ELNS1_3repE0EEENS1_52radix_sort_onesweep_histogram_config_static_selectorELNS0_4arch9wavefront6targetE1EEEvSI_,"axG",@progbits,_ZN7rocprim17ROCPRIM_400000_NS6detail17trampoline_kernelINS0_14default_configENS1_35radix_sort_onesweep_config_selectorIiNS0_10empty_typeEEEZNS1_34radix_sort_onesweep_global_offsetsIS3_Lb0EN6thrust23THRUST_200600_302600_NS6detail15normal_iteratorINS9_10device_ptrIiEEEEPS5_jNS0_19identity_decomposerEEE10hipError_tT1_T2_PT3_SK_jT4_jjP12ihipStream_tbEUlT_E0_NS1_11comp_targetILNS1_3genE10ELNS1_11target_archE1201ELNS1_3gpuE5ELNS1_3repE0EEENS1_52radix_sort_onesweep_histogram_config_static_selectorELNS0_4arch9wavefront6targetE1EEEvSI_,comdat
	.protected	_ZN7rocprim17ROCPRIM_400000_NS6detail17trampoline_kernelINS0_14default_configENS1_35radix_sort_onesweep_config_selectorIiNS0_10empty_typeEEEZNS1_34radix_sort_onesweep_global_offsetsIS3_Lb0EN6thrust23THRUST_200600_302600_NS6detail15normal_iteratorINS9_10device_ptrIiEEEEPS5_jNS0_19identity_decomposerEEE10hipError_tT1_T2_PT3_SK_jT4_jjP12ihipStream_tbEUlT_E0_NS1_11comp_targetILNS1_3genE10ELNS1_11target_archE1201ELNS1_3gpuE5ELNS1_3repE0EEENS1_52radix_sort_onesweep_histogram_config_static_selectorELNS0_4arch9wavefront6targetE1EEEvSI_ ; -- Begin function _ZN7rocprim17ROCPRIM_400000_NS6detail17trampoline_kernelINS0_14default_configENS1_35radix_sort_onesweep_config_selectorIiNS0_10empty_typeEEEZNS1_34radix_sort_onesweep_global_offsetsIS3_Lb0EN6thrust23THRUST_200600_302600_NS6detail15normal_iteratorINS9_10device_ptrIiEEEEPS5_jNS0_19identity_decomposerEEE10hipError_tT1_T2_PT3_SK_jT4_jjP12ihipStream_tbEUlT_E0_NS1_11comp_targetILNS1_3genE10ELNS1_11target_archE1201ELNS1_3gpuE5ELNS1_3repE0EEENS1_52radix_sort_onesweep_histogram_config_static_selectorELNS0_4arch9wavefront6targetE1EEEvSI_
	.globl	_ZN7rocprim17ROCPRIM_400000_NS6detail17trampoline_kernelINS0_14default_configENS1_35radix_sort_onesweep_config_selectorIiNS0_10empty_typeEEEZNS1_34radix_sort_onesweep_global_offsetsIS3_Lb0EN6thrust23THRUST_200600_302600_NS6detail15normal_iteratorINS9_10device_ptrIiEEEEPS5_jNS0_19identity_decomposerEEE10hipError_tT1_T2_PT3_SK_jT4_jjP12ihipStream_tbEUlT_E0_NS1_11comp_targetILNS1_3genE10ELNS1_11target_archE1201ELNS1_3gpuE5ELNS1_3repE0EEENS1_52radix_sort_onesweep_histogram_config_static_selectorELNS0_4arch9wavefront6targetE1EEEvSI_
	.p2align	8
	.type	_ZN7rocprim17ROCPRIM_400000_NS6detail17trampoline_kernelINS0_14default_configENS1_35radix_sort_onesweep_config_selectorIiNS0_10empty_typeEEEZNS1_34radix_sort_onesweep_global_offsetsIS3_Lb0EN6thrust23THRUST_200600_302600_NS6detail15normal_iteratorINS9_10device_ptrIiEEEEPS5_jNS0_19identity_decomposerEEE10hipError_tT1_T2_PT3_SK_jT4_jjP12ihipStream_tbEUlT_E0_NS1_11comp_targetILNS1_3genE10ELNS1_11target_archE1201ELNS1_3gpuE5ELNS1_3repE0EEENS1_52radix_sort_onesweep_histogram_config_static_selectorELNS0_4arch9wavefront6targetE1EEEvSI_,@function
_ZN7rocprim17ROCPRIM_400000_NS6detail17trampoline_kernelINS0_14default_configENS1_35radix_sort_onesweep_config_selectorIiNS0_10empty_typeEEEZNS1_34radix_sort_onesweep_global_offsetsIS3_Lb0EN6thrust23THRUST_200600_302600_NS6detail15normal_iteratorINS9_10device_ptrIiEEEEPS5_jNS0_19identity_decomposerEEE10hipError_tT1_T2_PT3_SK_jT4_jjP12ihipStream_tbEUlT_E0_NS1_11comp_targetILNS1_3genE10ELNS1_11target_archE1201ELNS1_3gpuE5ELNS1_3repE0EEENS1_52radix_sort_onesweep_histogram_config_static_selectorELNS0_4arch9wavefront6targetE1EEEvSI_: ; @_ZN7rocprim17ROCPRIM_400000_NS6detail17trampoline_kernelINS0_14default_configENS1_35radix_sort_onesweep_config_selectorIiNS0_10empty_typeEEEZNS1_34radix_sort_onesweep_global_offsetsIS3_Lb0EN6thrust23THRUST_200600_302600_NS6detail15normal_iteratorINS9_10device_ptrIiEEEEPS5_jNS0_19identity_decomposerEEE10hipError_tT1_T2_PT3_SK_jT4_jjP12ihipStream_tbEUlT_E0_NS1_11comp_targetILNS1_3genE10ELNS1_11target_archE1201ELNS1_3gpuE5ELNS1_3repE0EEENS1_52radix_sort_onesweep_histogram_config_static_selectorELNS0_4arch9wavefront6targetE1EEEvSI_
; %bb.0:
	.section	.rodata,"a",@progbits
	.p2align	6, 0x0
	.amdhsa_kernel _ZN7rocprim17ROCPRIM_400000_NS6detail17trampoline_kernelINS0_14default_configENS1_35radix_sort_onesweep_config_selectorIiNS0_10empty_typeEEEZNS1_34radix_sort_onesweep_global_offsetsIS3_Lb0EN6thrust23THRUST_200600_302600_NS6detail15normal_iteratorINS9_10device_ptrIiEEEEPS5_jNS0_19identity_decomposerEEE10hipError_tT1_T2_PT3_SK_jT4_jjP12ihipStream_tbEUlT_E0_NS1_11comp_targetILNS1_3genE10ELNS1_11target_archE1201ELNS1_3gpuE5ELNS1_3repE0EEENS1_52radix_sort_onesweep_histogram_config_static_selectorELNS0_4arch9wavefront6targetE1EEEvSI_
		.amdhsa_group_segment_fixed_size 0
		.amdhsa_private_segment_fixed_size 0
		.amdhsa_kernarg_size 8
		.amdhsa_user_sgpr_count 6
		.amdhsa_user_sgpr_private_segment_buffer 1
		.amdhsa_user_sgpr_dispatch_ptr 0
		.amdhsa_user_sgpr_queue_ptr 0
		.amdhsa_user_sgpr_kernarg_segment_ptr 1
		.amdhsa_user_sgpr_dispatch_id 0
		.amdhsa_user_sgpr_flat_scratch_init 0
		.amdhsa_user_sgpr_kernarg_preload_length 0
		.amdhsa_user_sgpr_kernarg_preload_offset 0
		.amdhsa_user_sgpr_private_segment_size 0
		.amdhsa_uses_dynamic_stack 0
		.amdhsa_system_sgpr_private_segment_wavefront_offset 0
		.amdhsa_system_sgpr_workgroup_id_x 1
		.amdhsa_system_sgpr_workgroup_id_y 0
		.amdhsa_system_sgpr_workgroup_id_z 0
		.amdhsa_system_sgpr_workgroup_info 0
		.amdhsa_system_vgpr_workitem_id 0
		.amdhsa_next_free_vgpr 1
		.amdhsa_next_free_sgpr 0
		.amdhsa_accum_offset 4
		.amdhsa_reserve_vcc 0
		.amdhsa_reserve_flat_scratch 0
		.amdhsa_float_round_mode_32 0
		.amdhsa_float_round_mode_16_64 0
		.amdhsa_float_denorm_mode_32 3
		.amdhsa_float_denorm_mode_16_64 3
		.amdhsa_dx10_clamp 1
		.amdhsa_ieee_mode 1
		.amdhsa_fp16_overflow 0
		.amdhsa_tg_split 0
		.amdhsa_exception_fp_ieee_invalid_op 0
		.amdhsa_exception_fp_denorm_src 0
		.amdhsa_exception_fp_ieee_div_zero 0
		.amdhsa_exception_fp_ieee_overflow 0
		.amdhsa_exception_fp_ieee_underflow 0
		.amdhsa_exception_fp_ieee_inexact 0
		.amdhsa_exception_int_div_zero 0
	.end_amdhsa_kernel
	.section	.text._ZN7rocprim17ROCPRIM_400000_NS6detail17trampoline_kernelINS0_14default_configENS1_35radix_sort_onesweep_config_selectorIiNS0_10empty_typeEEEZNS1_34radix_sort_onesweep_global_offsetsIS3_Lb0EN6thrust23THRUST_200600_302600_NS6detail15normal_iteratorINS9_10device_ptrIiEEEEPS5_jNS0_19identity_decomposerEEE10hipError_tT1_T2_PT3_SK_jT4_jjP12ihipStream_tbEUlT_E0_NS1_11comp_targetILNS1_3genE10ELNS1_11target_archE1201ELNS1_3gpuE5ELNS1_3repE0EEENS1_52radix_sort_onesweep_histogram_config_static_selectorELNS0_4arch9wavefront6targetE1EEEvSI_,"axG",@progbits,_ZN7rocprim17ROCPRIM_400000_NS6detail17trampoline_kernelINS0_14default_configENS1_35radix_sort_onesweep_config_selectorIiNS0_10empty_typeEEEZNS1_34radix_sort_onesweep_global_offsetsIS3_Lb0EN6thrust23THRUST_200600_302600_NS6detail15normal_iteratorINS9_10device_ptrIiEEEEPS5_jNS0_19identity_decomposerEEE10hipError_tT1_T2_PT3_SK_jT4_jjP12ihipStream_tbEUlT_E0_NS1_11comp_targetILNS1_3genE10ELNS1_11target_archE1201ELNS1_3gpuE5ELNS1_3repE0EEENS1_52radix_sort_onesweep_histogram_config_static_selectorELNS0_4arch9wavefront6targetE1EEEvSI_,comdat
.Lfunc_end1734:
	.size	_ZN7rocprim17ROCPRIM_400000_NS6detail17trampoline_kernelINS0_14default_configENS1_35radix_sort_onesweep_config_selectorIiNS0_10empty_typeEEEZNS1_34radix_sort_onesweep_global_offsetsIS3_Lb0EN6thrust23THRUST_200600_302600_NS6detail15normal_iteratorINS9_10device_ptrIiEEEEPS5_jNS0_19identity_decomposerEEE10hipError_tT1_T2_PT3_SK_jT4_jjP12ihipStream_tbEUlT_E0_NS1_11comp_targetILNS1_3genE10ELNS1_11target_archE1201ELNS1_3gpuE5ELNS1_3repE0EEENS1_52radix_sort_onesweep_histogram_config_static_selectorELNS0_4arch9wavefront6targetE1EEEvSI_, .Lfunc_end1734-_ZN7rocprim17ROCPRIM_400000_NS6detail17trampoline_kernelINS0_14default_configENS1_35radix_sort_onesweep_config_selectorIiNS0_10empty_typeEEEZNS1_34radix_sort_onesweep_global_offsetsIS3_Lb0EN6thrust23THRUST_200600_302600_NS6detail15normal_iteratorINS9_10device_ptrIiEEEEPS5_jNS0_19identity_decomposerEEE10hipError_tT1_T2_PT3_SK_jT4_jjP12ihipStream_tbEUlT_E0_NS1_11comp_targetILNS1_3genE10ELNS1_11target_archE1201ELNS1_3gpuE5ELNS1_3repE0EEENS1_52radix_sort_onesweep_histogram_config_static_selectorELNS0_4arch9wavefront6targetE1EEEvSI_
                                        ; -- End function
	.section	.AMDGPU.csdata,"",@progbits
; Kernel info:
; codeLenInByte = 0
; NumSgprs: 4
; NumVgprs: 0
; NumAgprs: 0
; TotalNumVgprs: 0
; ScratchSize: 0
; MemoryBound: 0
; FloatMode: 240
; IeeeMode: 1
; LDSByteSize: 0 bytes/workgroup (compile time only)
; SGPRBlocks: 0
; VGPRBlocks: 0
; NumSGPRsForWavesPerEU: 4
; NumVGPRsForWavesPerEU: 1
; AccumOffset: 4
; Occupancy: 8
; WaveLimiterHint : 0
; COMPUTE_PGM_RSRC2:SCRATCH_EN: 0
; COMPUTE_PGM_RSRC2:USER_SGPR: 6
; COMPUTE_PGM_RSRC2:TRAP_HANDLER: 0
; COMPUTE_PGM_RSRC2:TGID_X_EN: 1
; COMPUTE_PGM_RSRC2:TGID_Y_EN: 0
; COMPUTE_PGM_RSRC2:TGID_Z_EN: 0
; COMPUTE_PGM_RSRC2:TIDIG_COMP_CNT: 0
; COMPUTE_PGM_RSRC3_GFX90A:ACCUM_OFFSET: 0
; COMPUTE_PGM_RSRC3_GFX90A:TG_SPLIT: 0
	.section	.text._ZN7rocprim17ROCPRIM_400000_NS6detail17trampoline_kernelINS0_14default_configENS1_35radix_sort_onesweep_config_selectorIiNS0_10empty_typeEEEZNS1_34radix_sort_onesweep_global_offsetsIS3_Lb0EN6thrust23THRUST_200600_302600_NS6detail15normal_iteratorINS9_10device_ptrIiEEEEPS5_jNS0_19identity_decomposerEEE10hipError_tT1_T2_PT3_SK_jT4_jjP12ihipStream_tbEUlT_E0_NS1_11comp_targetILNS1_3genE9ELNS1_11target_archE1100ELNS1_3gpuE3ELNS1_3repE0EEENS1_52radix_sort_onesweep_histogram_config_static_selectorELNS0_4arch9wavefront6targetE1EEEvSI_,"axG",@progbits,_ZN7rocprim17ROCPRIM_400000_NS6detail17trampoline_kernelINS0_14default_configENS1_35radix_sort_onesweep_config_selectorIiNS0_10empty_typeEEEZNS1_34radix_sort_onesweep_global_offsetsIS3_Lb0EN6thrust23THRUST_200600_302600_NS6detail15normal_iteratorINS9_10device_ptrIiEEEEPS5_jNS0_19identity_decomposerEEE10hipError_tT1_T2_PT3_SK_jT4_jjP12ihipStream_tbEUlT_E0_NS1_11comp_targetILNS1_3genE9ELNS1_11target_archE1100ELNS1_3gpuE3ELNS1_3repE0EEENS1_52radix_sort_onesweep_histogram_config_static_selectorELNS0_4arch9wavefront6targetE1EEEvSI_,comdat
	.protected	_ZN7rocprim17ROCPRIM_400000_NS6detail17trampoline_kernelINS0_14default_configENS1_35radix_sort_onesweep_config_selectorIiNS0_10empty_typeEEEZNS1_34radix_sort_onesweep_global_offsetsIS3_Lb0EN6thrust23THRUST_200600_302600_NS6detail15normal_iteratorINS9_10device_ptrIiEEEEPS5_jNS0_19identity_decomposerEEE10hipError_tT1_T2_PT3_SK_jT4_jjP12ihipStream_tbEUlT_E0_NS1_11comp_targetILNS1_3genE9ELNS1_11target_archE1100ELNS1_3gpuE3ELNS1_3repE0EEENS1_52radix_sort_onesweep_histogram_config_static_selectorELNS0_4arch9wavefront6targetE1EEEvSI_ ; -- Begin function _ZN7rocprim17ROCPRIM_400000_NS6detail17trampoline_kernelINS0_14default_configENS1_35radix_sort_onesweep_config_selectorIiNS0_10empty_typeEEEZNS1_34radix_sort_onesweep_global_offsetsIS3_Lb0EN6thrust23THRUST_200600_302600_NS6detail15normal_iteratorINS9_10device_ptrIiEEEEPS5_jNS0_19identity_decomposerEEE10hipError_tT1_T2_PT3_SK_jT4_jjP12ihipStream_tbEUlT_E0_NS1_11comp_targetILNS1_3genE9ELNS1_11target_archE1100ELNS1_3gpuE3ELNS1_3repE0EEENS1_52radix_sort_onesweep_histogram_config_static_selectorELNS0_4arch9wavefront6targetE1EEEvSI_
	.globl	_ZN7rocprim17ROCPRIM_400000_NS6detail17trampoline_kernelINS0_14default_configENS1_35radix_sort_onesweep_config_selectorIiNS0_10empty_typeEEEZNS1_34radix_sort_onesweep_global_offsetsIS3_Lb0EN6thrust23THRUST_200600_302600_NS6detail15normal_iteratorINS9_10device_ptrIiEEEEPS5_jNS0_19identity_decomposerEEE10hipError_tT1_T2_PT3_SK_jT4_jjP12ihipStream_tbEUlT_E0_NS1_11comp_targetILNS1_3genE9ELNS1_11target_archE1100ELNS1_3gpuE3ELNS1_3repE0EEENS1_52radix_sort_onesweep_histogram_config_static_selectorELNS0_4arch9wavefront6targetE1EEEvSI_
	.p2align	8
	.type	_ZN7rocprim17ROCPRIM_400000_NS6detail17trampoline_kernelINS0_14default_configENS1_35radix_sort_onesweep_config_selectorIiNS0_10empty_typeEEEZNS1_34radix_sort_onesweep_global_offsetsIS3_Lb0EN6thrust23THRUST_200600_302600_NS6detail15normal_iteratorINS9_10device_ptrIiEEEEPS5_jNS0_19identity_decomposerEEE10hipError_tT1_T2_PT3_SK_jT4_jjP12ihipStream_tbEUlT_E0_NS1_11comp_targetILNS1_3genE9ELNS1_11target_archE1100ELNS1_3gpuE3ELNS1_3repE0EEENS1_52radix_sort_onesweep_histogram_config_static_selectorELNS0_4arch9wavefront6targetE1EEEvSI_,@function
_ZN7rocprim17ROCPRIM_400000_NS6detail17trampoline_kernelINS0_14default_configENS1_35radix_sort_onesweep_config_selectorIiNS0_10empty_typeEEEZNS1_34radix_sort_onesweep_global_offsetsIS3_Lb0EN6thrust23THRUST_200600_302600_NS6detail15normal_iteratorINS9_10device_ptrIiEEEEPS5_jNS0_19identity_decomposerEEE10hipError_tT1_T2_PT3_SK_jT4_jjP12ihipStream_tbEUlT_E0_NS1_11comp_targetILNS1_3genE9ELNS1_11target_archE1100ELNS1_3gpuE3ELNS1_3repE0EEENS1_52radix_sort_onesweep_histogram_config_static_selectorELNS0_4arch9wavefront6targetE1EEEvSI_: ; @_ZN7rocprim17ROCPRIM_400000_NS6detail17trampoline_kernelINS0_14default_configENS1_35radix_sort_onesweep_config_selectorIiNS0_10empty_typeEEEZNS1_34radix_sort_onesweep_global_offsetsIS3_Lb0EN6thrust23THRUST_200600_302600_NS6detail15normal_iteratorINS9_10device_ptrIiEEEEPS5_jNS0_19identity_decomposerEEE10hipError_tT1_T2_PT3_SK_jT4_jjP12ihipStream_tbEUlT_E0_NS1_11comp_targetILNS1_3genE9ELNS1_11target_archE1100ELNS1_3gpuE3ELNS1_3repE0EEENS1_52radix_sort_onesweep_histogram_config_static_selectorELNS0_4arch9wavefront6targetE1EEEvSI_
; %bb.0:
	.section	.rodata,"a",@progbits
	.p2align	6, 0x0
	.amdhsa_kernel _ZN7rocprim17ROCPRIM_400000_NS6detail17trampoline_kernelINS0_14default_configENS1_35radix_sort_onesweep_config_selectorIiNS0_10empty_typeEEEZNS1_34radix_sort_onesweep_global_offsetsIS3_Lb0EN6thrust23THRUST_200600_302600_NS6detail15normal_iteratorINS9_10device_ptrIiEEEEPS5_jNS0_19identity_decomposerEEE10hipError_tT1_T2_PT3_SK_jT4_jjP12ihipStream_tbEUlT_E0_NS1_11comp_targetILNS1_3genE9ELNS1_11target_archE1100ELNS1_3gpuE3ELNS1_3repE0EEENS1_52radix_sort_onesweep_histogram_config_static_selectorELNS0_4arch9wavefront6targetE1EEEvSI_
		.amdhsa_group_segment_fixed_size 0
		.amdhsa_private_segment_fixed_size 0
		.amdhsa_kernarg_size 8
		.amdhsa_user_sgpr_count 6
		.amdhsa_user_sgpr_private_segment_buffer 1
		.amdhsa_user_sgpr_dispatch_ptr 0
		.amdhsa_user_sgpr_queue_ptr 0
		.amdhsa_user_sgpr_kernarg_segment_ptr 1
		.amdhsa_user_sgpr_dispatch_id 0
		.amdhsa_user_sgpr_flat_scratch_init 0
		.amdhsa_user_sgpr_kernarg_preload_length 0
		.amdhsa_user_sgpr_kernarg_preload_offset 0
		.amdhsa_user_sgpr_private_segment_size 0
		.amdhsa_uses_dynamic_stack 0
		.amdhsa_system_sgpr_private_segment_wavefront_offset 0
		.amdhsa_system_sgpr_workgroup_id_x 1
		.amdhsa_system_sgpr_workgroup_id_y 0
		.amdhsa_system_sgpr_workgroup_id_z 0
		.amdhsa_system_sgpr_workgroup_info 0
		.amdhsa_system_vgpr_workitem_id 0
		.amdhsa_next_free_vgpr 1
		.amdhsa_next_free_sgpr 0
		.amdhsa_accum_offset 4
		.amdhsa_reserve_vcc 0
		.amdhsa_reserve_flat_scratch 0
		.amdhsa_float_round_mode_32 0
		.amdhsa_float_round_mode_16_64 0
		.amdhsa_float_denorm_mode_32 3
		.amdhsa_float_denorm_mode_16_64 3
		.amdhsa_dx10_clamp 1
		.amdhsa_ieee_mode 1
		.amdhsa_fp16_overflow 0
		.amdhsa_tg_split 0
		.amdhsa_exception_fp_ieee_invalid_op 0
		.amdhsa_exception_fp_denorm_src 0
		.amdhsa_exception_fp_ieee_div_zero 0
		.amdhsa_exception_fp_ieee_overflow 0
		.amdhsa_exception_fp_ieee_underflow 0
		.amdhsa_exception_fp_ieee_inexact 0
		.amdhsa_exception_int_div_zero 0
	.end_amdhsa_kernel
	.section	.text._ZN7rocprim17ROCPRIM_400000_NS6detail17trampoline_kernelINS0_14default_configENS1_35radix_sort_onesweep_config_selectorIiNS0_10empty_typeEEEZNS1_34radix_sort_onesweep_global_offsetsIS3_Lb0EN6thrust23THRUST_200600_302600_NS6detail15normal_iteratorINS9_10device_ptrIiEEEEPS5_jNS0_19identity_decomposerEEE10hipError_tT1_T2_PT3_SK_jT4_jjP12ihipStream_tbEUlT_E0_NS1_11comp_targetILNS1_3genE9ELNS1_11target_archE1100ELNS1_3gpuE3ELNS1_3repE0EEENS1_52radix_sort_onesweep_histogram_config_static_selectorELNS0_4arch9wavefront6targetE1EEEvSI_,"axG",@progbits,_ZN7rocprim17ROCPRIM_400000_NS6detail17trampoline_kernelINS0_14default_configENS1_35radix_sort_onesweep_config_selectorIiNS0_10empty_typeEEEZNS1_34radix_sort_onesweep_global_offsetsIS3_Lb0EN6thrust23THRUST_200600_302600_NS6detail15normal_iteratorINS9_10device_ptrIiEEEEPS5_jNS0_19identity_decomposerEEE10hipError_tT1_T2_PT3_SK_jT4_jjP12ihipStream_tbEUlT_E0_NS1_11comp_targetILNS1_3genE9ELNS1_11target_archE1100ELNS1_3gpuE3ELNS1_3repE0EEENS1_52radix_sort_onesweep_histogram_config_static_selectorELNS0_4arch9wavefront6targetE1EEEvSI_,comdat
.Lfunc_end1735:
	.size	_ZN7rocprim17ROCPRIM_400000_NS6detail17trampoline_kernelINS0_14default_configENS1_35radix_sort_onesweep_config_selectorIiNS0_10empty_typeEEEZNS1_34radix_sort_onesweep_global_offsetsIS3_Lb0EN6thrust23THRUST_200600_302600_NS6detail15normal_iteratorINS9_10device_ptrIiEEEEPS5_jNS0_19identity_decomposerEEE10hipError_tT1_T2_PT3_SK_jT4_jjP12ihipStream_tbEUlT_E0_NS1_11comp_targetILNS1_3genE9ELNS1_11target_archE1100ELNS1_3gpuE3ELNS1_3repE0EEENS1_52radix_sort_onesweep_histogram_config_static_selectorELNS0_4arch9wavefront6targetE1EEEvSI_, .Lfunc_end1735-_ZN7rocprim17ROCPRIM_400000_NS6detail17trampoline_kernelINS0_14default_configENS1_35radix_sort_onesweep_config_selectorIiNS0_10empty_typeEEEZNS1_34radix_sort_onesweep_global_offsetsIS3_Lb0EN6thrust23THRUST_200600_302600_NS6detail15normal_iteratorINS9_10device_ptrIiEEEEPS5_jNS0_19identity_decomposerEEE10hipError_tT1_T2_PT3_SK_jT4_jjP12ihipStream_tbEUlT_E0_NS1_11comp_targetILNS1_3genE9ELNS1_11target_archE1100ELNS1_3gpuE3ELNS1_3repE0EEENS1_52radix_sort_onesweep_histogram_config_static_selectorELNS0_4arch9wavefront6targetE1EEEvSI_
                                        ; -- End function
	.section	.AMDGPU.csdata,"",@progbits
; Kernel info:
; codeLenInByte = 0
; NumSgprs: 4
; NumVgprs: 0
; NumAgprs: 0
; TotalNumVgprs: 0
; ScratchSize: 0
; MemoryBound: 0
; FloatMode: 240
; IeeeMode: 1
; LDSByteSize: 0 bytes/workgroup (compile time only)
; SGPRBlocks: 0
; VGPRBlocks: 0
; NumSGPRsForWavesPerEU: 4
; NumVGPRsForWavesPerEU: 1
; AccumOffset: 4
; Occupancy: 8
; WaveLimiterHint : 0
; COMPUTE_PGM_RSRC2:SCRATCH_EN: 0
; COMPUTE_PGM_RSRC2:USER_SGPR: 6
; COMPUTE_PGM_RSRC2:TRAP_HANDLER: 0
; COMPUTE_PGM_RSRC2:TGID_X_EN: 1
; COMPUTE_PGM_RSRC2:TGID_Y_EN: 0
; COMPUTE_PGM_RSRC2:TGID_Z_EN: 0
; COMPUTE_PGM_RSRC2:TIDIG_COMP_CNT: 0
; COMPUTE_PGM_RSRC3_GFX90A:ACCUM_OFFSET: 0
; COMPUTE_PGM_RSRC3_GFX90A:TG_SPLIT: 0
	.section	.text._ZN7rocprim17ROCPRIM_400000_NS6detail17trampoline_kernelINS0_14default_configENS1_35radix_sort_onesweep_config_selectorIiNS0_10empty_typeEEEZNS1_34radix_sort_onesweep_global_offsetsIS3_Lb0EN6thrust23THRUST_200600_302600_NS6detail15normal_iteratorINS9_10device_ptrIiEEEEPS5_jNS0_19identity_decomposerEEE10hipError_tT1_T2_PT3_SK_jT4_jjP12ihipStream_tbEUlT_E0_NS1_11comp_targetILNS1_3genE8ELNS1_11target_archE1030ELNS1_3gpuE2ELNS1_3repE0EEENS1_52radix_sort_onesweep_histogram_config_static_selectorELNS0_4arch9wavefront6targetE1EEEvSI_,"axG",@progbits,_ZN7rocprim17ROCPRIM_400000_NS6detail17trampoline_kernelINS0_14default_configENS1_35radix_sort_onesweep_config_selectorIiNS0_10empty_typeEEEZNS1_34radix_sort_onesweep_global_offsetsIS3_Lb0EN6thrust23THRUST_200600_302600_NS6detail15normal_iteratorINS9_10device_ptrIiEEEEPS5_jNS0_19identity_decomposerEEE10hipError_tT1_T2_PT3_SK_jT4_jjP12ihipStream_tbEUlT_E0_NS1_11comp_targetILNS1_3genE8ELNS1_11target_archE1030ELNS1_3gpuE2ELNS1_3repE0EEENS1_52radix_sort_onesweep_histogram_config_static_selectorELNS0_4arch9wavefront6targetE1EEEvSI_,comdat
	.protected	_ZN7rocprim17ROCPRIM_400000_NS6detail17trampoline_kernelINS0_14default_configENS1_35radix_sort_onesweep_config_selectorIiNS0_10empty_typeEEEZNS1_34radix_sort_onesweep_global_offsetsIS3_Lb0EN6thrust23THRUST_200600_302600_NS6detail15normal_iteratorINS9_10device_ptrIiEEEEPS5_jNS0_19identity_decomposerEEE10hipError_tT1_T2_PT3_SK_jT4_jjP12ihipStream_tbEUlT_E0_NS1_11comp_targetILNS1_3genE8ELNS1_11target_archE1030ELNS1_3gpuE2ELNS1_3repE0EEENS1_52radix_sort_onesweep_histogram_config_static_selectorELNS0_4arch9wavefront6targetE1EEEvSI_ ; -- Begin function _ZN7rocprim17ROCPRIM_400000_NS6detail17trampoline_kernelINS0_14default_configENS1_35radix_sort_onesweep_config_selectorIiNS0_10empty_typeEEEZNS1_34radix_sort_onesweep_global_offsetsIS3_Lb0EN6thrust23THRUST_200600_302600_NS6detail15normal_iteratorINS9_10device_ptrIiEEEEPS5_jNS0_19identity_decomposerEEE10hipError_tT1_T2_PT3_SK_jT4_jjP12ihipStream_tbEUlT_E0_NS1_11comp_targetILNS1_3genE8ELNS1_11target_archE1030ELNS1_3gpuE2ELNS1_3repE0EEENS1_52radix_sort_onesweep_histogram_config_static_selectorELNS0_4arch9wavefront6targetE1EEEvSI_
	.globl	_ZN7rocprim17ROCPRIM_400000_NS6detail17trampoline_kernelINS0_14default_configENS1_35radix_sort_onesweep_config_selectorIiNS0_10empty_typeEEEZNS1_34radix_sort_onesweep_global_offsetsIS3_Lb0EN6thrust23THRUST_200600_302600_NS6detail15normal_iteratorINS9_10device_ptrIiEEEEPS5_jNS0_19identity_decomposerEEE10hipError_tT1_T2_PT3_SK_jT4_jjP12ihipStream_tbEUlT_E0_NS1_11comp_targetILNS1_3genE8ELNS1_11target_archE1030ELNS1_3gpuE2ELNS1_3repE0EEENS1_52radix_sort_onesweep_histogram_config_static_selectorELNS0_4arch9wavefront6targetE1EEEvSI_
	.p2align	8
	.type	_ZN7rocprim17ROCPRIM_400000_NS6detail17trampoline_kernelINS0_14default_configENS1_35radix_sort_onesweep_config_selectorIiNS0_10empty_typeEEEZNS1_34radix_sort_onesweep_global_offsetsIS3_Lb0EN6thrust23THRUST_200600_302600_NS6detail15normal_iteratorINS9_10device_ptrIiEEEEPS5_jNS0_19identity_decomposerEEE10hipError_tT1_T2_PT3_SK_jT4_jjP12ihipStream_tbEUlT_E0_NS1_11comp_targetILNS1_3genE8ELNS1_11target_archE1030ELNS1_3gpuE2ELNS1_3repE0EEENS1_52radix_sort_onesweep_histogram_config_static_selectorELNS0_4arch9wavefront6targetE1EEEvSI_,@function
_ZN7rocprim17ROCPRIM_400000_NS6detail17trampoline_kernelINS0_14default_configENS1_35radix_sort_onesweep_config_selectorIiNS0_10empty_typeEEEZNS1_34radix_sort_onesweep_global_offsetsIS3_Lb0EN6thrust23THRUST_200600_302600_NS6detail15normal_iteratorINS9_10device_ptrIiEEEEPS5_jNS0_19identity_decomposerEEE10hipError_tT1_T2_PT3_SK_jT4_jjP12ihipStream_tbEUlT_E0_NS1_11comp_targetILNS1_3genE8ELNS1_11target_archE1030ELNS1_3gpuE2ELNS1_3repE0EEENS1_52radix_sort_onesweep_histogram_config_static_selectorELNS0_4arch9wavefront6targetE1EEEvSI_: ; @_ZN7rocprim17ROCPRIM_400000_NS6detail17trampoline_kernelINS0_14default_configENS1_35radix_sort_onesweep_config_selectorIiNS0_10empty_typeEEEZNS1_34radix_sort_onesweep_global_offsetsIS3_Lb0EN6thrust23THRUST_200600_302600_NS6detail15normal_iteratorINS9_10device_ptrIiEEEEPS5_jNS0_19identity_decomposerEEE10hipError_tT1_T2_PT3_SK_jT4_jjP12ihipStream_tbEUlT_E0_NS1_11comp_targetILNS1_3genE8ELNS1_11target_archE1030ELNS1_3gpuE2ELNS1_3repE0EEENS1_52radix_sort_onesweep_histogram_config_static_selectorELNS0_4arch9wavefront6targetE1EEEvSI_
; %bb.0:
	.section	.rodata,"a",@progbits
	.p2align	6, 0x0
	.amdhsa_kernel _ZN7rocprim17ROCPRIM_400000_NS6detail17trampoline_kernelINS0_14default_configENS1_35radix_sort_onesweep_config_selectorIiNS0_10empty_typeEEEZNS1_34radix_sort_onesweep_global_offsetsIS3_Lb0EN6thrust23THRUST_200600_302600_NS6detail15normal_iteratorINS9_10device_ptrIiEEEEPS5_jNS0_19identity_decomposerEEE10hipError_tT1_T2_PT3_SK_jT4_jjP12ihipStream_tbEUlT_E0_NS1_11comp_targetILNS1_3genE8ELNS1_11target_archE1030ELNS1_3gpuE2ELNS1_3repE0EEENS1_52radix_sort_onesweep_histogram_config_static_selectorELNS0_4arch9wavefront6targetE1EEEvSI_
		.amdhsa_group_segment_fixed_size 0
		.amdhsa_private_segment_fixed_size 0
		.amdhsa_kernarg_size 8
		.amdhsa_user_sgpr_count 6
		.amdhsa_user_sgpr_private_segment_buffer 1
		.amdhsa_user_sgpr_dispatch_ptr 0
		.amdhsa_user_sgpr_queue_ptr 0
		.amdhsa_user_sgpr_kernarg_segment_ptr 1
		.amdhsa_user_sgpr_dispatch_id 0
		.amdhsa_user_sgpr_flat_scratch_init 0
		.amdhsa_user_sgpr_kernarg_preload_length 0
		.amdhsa_user_sgpr_kernarg_preload_offset 0
		.amdhsa_user_sgpr_private_segment_size 0
		.amdhsa_uses_dynamic_stack 0
		.amdhsa_system_sgpr_private_segment_wavefront_offset 0
		.amdhsa_system_sgpr_workgroup_id_x 1
		.amdhsa_system_sgpr_workgroup_id_y 0
		.amdhsa_system_sgpr_workgroup_id_z 0
		.amdhsa_system_sgpr_workgroup_info 0
		.amdhsa_system_vgpr_workitem_id 0
		.amdhsa_next_free_vgpr 1
		.amdhsa_next_free_sgpr 0
		.amdhsa_accum_offset 4
		.amdhsa_reserve_vcc 0
		.amdhsa_reserve_flat_scratch 0
		.amdhsa_float_round_mode_32 0
		.amdhsa_float_round_mode_16_64 0
		.amdhsa_float_denorm_mode_32 3
		.amdhsa_float_denorm_mode_16_64 3
		.amdhsa_dx10_clamp 1
		.amdhsa_ieee_mode 1
		.amdhsa_fp16_overflow 0
		.amdhsa_tg_split 0
		.amdhsa_exception_fp_ieee_invalid_op 0
		.amdhsa_exception_fp_denorm_src 0
		.amdhsa_exception_fp_ieee_div_zero 0
		.amdhsa_exception_fp_ieee_overflow 0
		.amdhsa_exception_fp_ieee_underflow 0
		.amdhsa_exception_fp_ieee_inexact 0
		.amdhsa_exception_int_div_zero 0
	.end_amdhsa_kernel
	.section	.text._ZN7rocprim17ROCPRIM_400000_NS6detail17trampoline_kernelINS0_14default_configENS1_35radix_sort_onesweep_config_selectorIiNS0_10empty_typeEEEZNS1_34radix_sort_onesweep_global_offsetsIS3_Lb0EN6thrust23THRUST_200600_302600_NS6detail15normal_iteratorINS9_10device_ptrIiEEEEPS5_jNS0_19identity_decomposerEEE10hipError_tT1_T2_PT3_SK_jT4_jjP12ihipStream_tbEUlT_E0_NS1_11comp_targetILNS1_3genE8ELNS1_11target_archE1030ELNS1_3gpuE2ELNS1_3repE0EEENS1_52radix_sort_onesweep_histogram_config_static_selectorELNS0_4arch9wavefront6targetE1EEEvSI_,"axG",@progbits,_ZN7rocprim17ROCPRIM_400000_NS6detail17trampoline_kernelINS0_14default_configENS1_35radix_sort_onesweep_config_selectorIiNS0_10empty_typeEEEZNS1_34radix_sort_onesweep_global_offsetsIS3_Lb0EN6thrust23THRUST_200600_302600_NS6detail15normal_iteratorINS9_10device_ptrIiEEEEPS5_jNS0_19identity_decomposerEEE10hipError_tT1_T2_PT3_SK_jT4_jjP12ihipStream_tbEUlT_E0_NS1_11comp_targetILNS1_3genE8ELNS1_11target_archE1030ELNS1_3gpuE2ELNS1_3repE0EEENS1_52radix_sort_onesweep_histogram_config_static_selectorELNS0_4arch9wavefront6targetE1EEEvSI_,comdat
.Lfunc_end1736:
	.size	_ZN7rocprim17ROCPRIM_400000_NS6detail17trampoline_kernelINS0_14default_configENS1_35radix_sort_onesweep_config_selectorIiNS0_10empty_typeEEEZNS1_34radix_sort_onesweep_global_offsetsIS3_Lb0EN6thrust23THRUST_200600_302600_NS6detail15normal_iteratorINS9_10device_ptrIiEEEEPS5_jNS0_19identity_decomposerEEE10hipError_tT1_T2_PT3_SK_jT4_jjP12ihipStream_tbEUlT_E0_NS1_11comp_targetILNS1_3genE8ELNS1_11target_archE1030ELNS1_3gpuE2ELNS1_3repE0EEENS1_52radix_sort_onesweep_histogram_config_static_selectorELNS0_4arch9wavefront6targetE1EEEvSI_, .Lfunc_end1736-_ZN7rocprim17ROCPRIM_400000_NS6detail17trampoline_kernelINS0_14default_configENS1_35radix_sort_onesweep_config_selectorIiNS0_10empty_typeEEEZNS1_34radix_sort_onesweep_global_offsetsIS3_Lb0EN6thrust23THRUST_200600_302600_NS6detail15normal_iteratorINS9_10device_ptrIiEEEEPS5_jNS0_19identity_decomposerEEE10hipError_tT1_T2_PT3_SK_jT4_jjP12ihipStream_tbEUlT_E0_NS1_11comp_targetILNS1_3genE8ELNS1_11target_archE1030ELNS1_3gpuE2ELNS1_3repE0EEENS1_52radix_sort_onesweep_histogram_config_static_selectorELNS0_4arch9wavefront6targetE1EEEvSI_
                                        ; -- End function
	.section	.AMDGPU.csdata,"",@progbits
; Kernel info:
; codeLenInByte = 0
; NumSgprs: 4
; NumVgprs: 0
; NumAgprs: 0
; TotalNumVgprs: 0
; ScratchSize: 0
; MemoryBound: 0
; FloatMode: 240
; IeeeMode: 1
; LDSByteSize: 0 bytes/workgroup (compile time only)
; SGPRBlocks: 0
; VGPRBlocks: 0
; NumSGPRsForWavesPerEU: 4
; NumVGPRsForWavesPerEU: 1
; AccumOffset: 4
; Occupancy: 8
; WaveLimiterHint : 0
; COMPUTE_PGM_RSRC2:SCRATCH_EN: 0
; COMPUTE_PGM_RSRC2:USER_SGPR: 6
; COMPUTE_PGM_RSRC2:TRAP_HANDLER: 0
; COMPUTE_PGM_RSRC2:TGID_X_EN: 1
; COMPUTE_PGM_RSRC2:TGID_Y_EN: 0
; COMPUTE_PGM_RSRC2:TGID_Z_EN: 0
; COMPUTE_PGM_RSRC2:TIDIG_COMP_CNT: 0
; COMPUTE_PGM_RSRC3_GFX90A:ACCUM_OFFSET: 0
; COMPUTE_PGM_RSRC3_GFX90A:TG_SPLIT: 0
	.section	.text._ZN7rocprim17ROCPRIM_400000_NS6detail17trampoline_kernelINS0_14default_configENS1_25transform_config_selectorIiLb0EEEZNS1_14transform_implILb0ES3_S5_N6thrust23THRUST_200600_302600_NS6detail15normal_iteratorINS8_10device_ptrIiEEEEPiNS0_8identityIiEEEE10hipError_tT2_T3_mT4_P12ihipStream_tbEUlT_E_NS1_11comp_targetILNS1_3genE0ELNS1_11target_archE4294967295ELNS1_3gpuE0ELNS1_3repE0EEENS1_30default_config_static_selectorELNS0_4arch9wavefront6targetE1EEEvT1_,"axG",@progbits,_ZN7rocprim17ROCPRIM_400000_NS6detail17trampoline_kernelINS0_14default_configENS1_25transform_config_selectorIiLb0EEEZNS1_14transform_implILb0ES3_S5_N6thrust23THRUST_200600_302600_NS6detail15normal_iteratorINS8_10device_ptrIiEEEEPiNS0_8identityIiEEEE10hipError_tT2_T3_mT4_P12ihipStream_tbEUlT_E_NS1_11comp_targetILNS1_3genE0ELNS1_11target_archE4294967295ELNS1_3gpuE0ELNS1_3repE0EEENS1_30default_config_static_selectorELNS0_4arch9wavefront6targetE1EEEvT1_,comdat
	.protected	_ZN7rocprim17ROCPRIM_400000_NS6detail17trampoline_kernelINS0_14default_configENS1_25transform_config_selectorIiLb0EEEZNS1_14transform_implILb0ES3_S5_N6thrust23THRUST_200600_302600_NS6detail15normal_iteratorINS8_10device_ptrIiEEEEPiNS0_8identityIiEEEE10hipError_tT2_T3_mT4_P12ihipStream_tbEUlT_E_NS1_11comp_targetILNS1_3genE0ELNS1_11target_archE4294967295ELNS1_3gpuE0ELNS1_3repE0EEENS1_30default_config_static_selectorELNS0_4arch9wavefront6targetE1EEEvT1_ ; -- Begin function _ZN7rocprim17ROCPRIM_400000_NS6detail17trampoline_kernelINS0_14default_configENS1_25transform_config_selectorIiLb0EEEZNS1_14transform_implILb0ES3_S5_N6thrust23THRUST_200600_302600_NS6detail15normal_iteratorINS8_10device_ptrIiEEEEPiNS0_8identityIiEEEE10hipError_tT2_T3_mT4_P12ihipStream_tbEUlT_E_NS1_11comp_targetILNS1_3genE0ELNS1_11target_archE4294967295ELNS1_3gpuE0ELNS1_3repE0EEENS1_30default_config_static_selectorELNS0_4arch9wavefront6targetE1EEEvT1_
	.globl	_ZN7rocprim17ROCPRIM_400000_NS6detail17trampoline_kernelINS0_14default_configENS1_25transform_config_selectorIiLb0EEEZNS1_14transform_implILb0ES3_S5_N6thrust23THRUST_200600_302600_NS6detail15normal_iteratorINS8_10device_ptrIiEEEEPiNS0_8identityIiEEEE10hipError_tT2_T3_mT4_P12ihipStream_tbEUlT_E_NS1_11comp_targetILNS1_3genE0ELNS1_11target_archE4294967295ELNS1_3gpuE0ELNS1_3repE0EEENS1_30default_config_static_selectorELNS0_4arch9wavefront6targetE1EEEvT1_
	.p2align	8
	.type	_ZN7rocprim17ROCPRIM_400000_NS6detail17trampoline_kernelINS0_14default_configENS1_25transform_config_selectorIiLb0EEEZNS1_14transform_implILb0ES3_S5_N6thrust23THRUST_200600_302600_NS6detail15normal_iteratorINS8_10device_ptrIiEEEEPiNS0_8identityIiEEEE10hipError_tT2_T3_mT4_P12ihipStream_tbEUlT_E_NS1_11comp_targetILNS1_3genE0ELNS1_11target_archE4294967295ELNS1_3gpuE0ELNS1_3repE0EEENS1_30default_config_static_selectorELNS0_4arch9wavefront6targetE1EEEvT1_,@function
_ZN7rocprim17ROCPRIM_400000_NS6detail17trampoline_kernelINS0_14default_configENS1_25transform_config_selectorIiLb0EEEZNS1_14transform_implILb0ES3_S5_N6thrust23THRUST_200600_302600_NS6detail15normal_iteratorINS8_10device_ptrIiEEEEPiNS0_8identityIiEEEE10hipError_tT2_T3_mT4_P12ihipStream_tbEUlT_E_NS1_11comp_targetILNS1_3genE0ELNS1_11target_archE4294967295ELNS1_3gpuE0ELNS1_3repE0EEENS1_30default_config_static_selectorELNS0_4arch9wavefront6targetE1EEEvT1_: ; @_ZN7rocprim17ROCPRIM_400000_NS6detail17trampoline_kernelINS0_14default_configENS1_25transform_config_selectorIiLb0EEEZNS1_14transform_implILb0ES3_S5_N6thrust23THRUST_200600_302600_NS6detail15normal_iteratorINS8_10device_ptrIiEEEEPiNS0_8identityIiEEEE10hipError_tT2_T3_mT4_P12ihipStream_tbEUlT_E_NS1_11comp_targetILNS1_3genE0ELNS1_11target_archE4294967295ELNS1_3gpuE0ELNS1_3repE0EEENS1_30default_config_static_selectorELNS0_4arch9wavefront6targetE1EEEvT1_
; %bb.0:
	.section	.rodata,"a",@progbits
	.p2align	6, 0x0
	.amdhsa_kernel _ZN7rocprim17ROCPRIM_400000_NS6detail17trampoline_kernelINS0_14default_configENS1_25transform_config_selectorIiLb0EEEZNS1_14transform_implILb0ES3_S5_N6thrust23THRUST_200600_302600_NS6detail15normal_iteratorINS8_10device_ptrIiEEEEPiNS0_8identityIiEEEE10hipError_tT2_T3_mT4_P12ihipStream_tbEUlT_E_NS1_11comp_targetILNS1_3genE0ELNS1_11target_archE4294967295ELNS1_3gpuE0ELNS1_3repE0EEENS1_30default_config_static_selectorELNS0_4arch9wavefront6targetE1EEEvT1_
		.amdhsa_group_segment_fixed_size 0
		.amdhsa_private_segment_fixed_size 0
		.amdhsa_kernarg_size 40
		.amdhsa_user_sgpr_count 6
		.amdhsa_user_sgpr_private_segment_buffer 1
		.amdhsa_user_sgpr_dispatch_ptr 0
		.amdhsa_user_sgpr_queue_ptr 0
		.amdhsa_user_sgpr_kernarg_segment_ptr 1
		.amdhsa_user_sgpr_dispatch_id 0
		.amdhsa_user_sgpr_flat_scratch_init 0
		.amdhsa_user_sgpr_kernarg_preload_length 0
		.amdhsa_user_sgpr_kernarg_preload_offset 0
		.amdhsa_user_sgpr_private_segment_size 0
		.amdhsa_uses_dynamic_stack 0
		.amdhsa_system_sgpr_private_segment_wavefront_offset 0
		.amdhsa_system_sgpr_workgroup_id_x 1
		.amdhsa_system_sgpr_workgroup_id_y 0
		.amdhsa_system_sgpr_workgroup_id_z 0
		.amdhsa_system_sgpr_workgroup_info 0
		.amdhsa_system_vgpr_workitem_id 0
		.amdhsa_next_free_vgpr 1
		.amdhsa_next_free_sgpr 0
		.amdhsa_accum_offset 4
		.amdhsa_reserve_vcc 0
		.amdhsa_reserve_flat_scratch 0
		.amdhsa_float_round_mode_32 0
		.amdhsa_float_round_mode_16_64 0
		.amdhsa_float_denorm_mode_32 3
		.amdhsa_float_denorm_mode_16_64 3
		.amdhsa_dx10_clamp 1
		.amdhsa_ieee_mode 1
		.amdhsa_fp16_overflow 0
		.amdhsa_tg_split 0
		.amdhsa_exception_fp_ieee_invalid_op 0
		.amdhsa_exception_fp_denorm_src 0
		.amdhsa_exception_fp_ieee_div_zero 0
		.amdhsa_exception_fp_ieee_overflow 0
		.amdhsa_exception_fp_ieee_underflow 0
		.amdhsa_exception_fp_ieee_inexact 0
		.amdhsa_exception_int_div_zero 0
	.end_amdhsa_kernel
	.section	.text._ZN7rocprim17ROCPRIM_400000_NS6detail17trampoline_kernelINS0_14default_configENS1_25transform_config_selectorIiLb0EEEZNS1_14transform_implILb0ES3_S5_N6thrust23THRUST_200600_302600_NS6detail15normal_iteratorINS8_10device_ptrIiEEEEPiNS0_8identityIiEEEE10hipError_tT2_T3_mT4_P12ihipStream_tbEUlT_E_NS1_11comp_targetILNS1_3genE0ELNS1_11target_archE4294967295ELNS1_3gpuE0ELNS1_3repE0EEENS1_30default_config_static_selectorELNS0_4arch9wavefront6targetE1EEEvT1_,"axG",@progbits,_ZN7rocprim17ROCPRIM_400000_NS6detail17trampoline_kernelINS0_14default_configENS1_25transform_config_selectorIiLb0EEEZNS1_14transform_implILb0ES3_S5_N6thrust23THRUST_200600_302600_NS6detail15normal_iteratorINS8_10device_ptrIiEEEEPiNS0_8identityIiEEEE10hipError_tT2_T3_mT4_P12ihipStream_tbEUlT_E_NS1_11comp_targetILNS1_3genE0ELNS1_11target_archE4294967295ELNS1_3gpuE0ELNS1_3repE0EEENS1_30default_config_static_selectorELNS0_4arch9wavefront6targetE1EEEvT1_,comdat
.Lfunc_end1737:
	.size	_ZN7rocprim17ROCPRIM_400000_NS6detail17trampoline_kernelINS0_14default_configENS1_25transform_config_selectorIiLb0EEEZNS1_14transform_implILb0ES3_S5_N6thrust23THRUST_200600_302600_NS6detail15normal_iteratorINS8_10device_ptrIiEEEEPiNS0_8identityIiEEEE10hipError_tT2_T3_mT4_P12ihipStream_tbEUlT_E_NS1_11comp_targetILNS1_3genE0ELNS1_11target_archE4294967295ELNS1_3gpuE0ELNS1_3repE0EEENS1_30default_config_static_selectorELNS0_4arch9wavefront6targetE1EEEvT1_, .Lfunc_end1737-_ZN7rocprim17ROCPRIM_400000_NS6detail17trampoline_kernelINS0_14default_configENS1_25transform_config_selectorIiLb0EEEZNS1_14transform_implILb0ES3_S5_N6thrust23THRUST_200600_302600_NS6detail15normal_iteratorINS8_10device_ptrIiEEEEPiNS0_8identityIiEEEE10hipError_tT2_T3_mT4_P12ihipStream_tbEUlT_E_NS1_11comp_targetILNS1_3genE0ELNS1_11target_archE4294967295ELNS1_3gpuE0ELNS1_3repE0EEENS1_30default_config_static_selectorELNS0_4arch9wavefront6targetE1EEEvT1_
                                        ; -- End function
	.section	.AMDGPU.csdata,"",@progbits
; Kernel info:
; codeLenInByte = 0
; NumSgprs: 4
; NumVgprs: 0
; NumAgprs: 0
; TotalNumVgprs: 0
; ScratchSize: 0
; MemoryBound: 0
; FloatMode: 240
; IeeeMode: 1
; LDSByteSize: 0 bytes/workgroup (compile time only)
; SGPRBlocks: 0
; VGPRBlocks: 0
; NumSGPRsForWavesPerEU: 4
; NumVGPRsForWavesPerEU: 1
; AccumOffset: 4
; Occupancy: 8
; WaveLimiterHint : 0
; COMPUTE_PGM_RSRC2:SCRATCH_EN: 0
; COMPUTE_PGM_RSRC2:USER_SGPR: 6
; COMPUTE_PGM_RSRC2:TRAP_HANDLER: 0
; COMPUTE_PGM_RSRC2:TGID_X_EN: 1
; COMPUTE_PGM_RSRC2:TGID_Y_EN: 0
; COMPUTE_PGM_RSRC2:TGID_Z_EN: 0
; COMPUTE_PGM_RSRC2:TIDIG_COMP_CNT: 0
; COMPUTE_PGM_RSRC3_GFX90A:ACCUM_OFFSET: 0
; COMPUTE_PGM_RSRC3_GFX90A:TG_SPLIT: 0
	.section	.text._ZN7rocprim17ROCPRIM_400000_NS6detail17trampoline_kernelINS0_14default_configENS1_25transform_config_selectorIiLb0EEEZNS1_14transform_implILb0ES3_S5_N6thrust23THRUST_200600_302600_NS6detail15normal_iteratorINS8_10device_ptrIiEEEEPiNS0_8identityIiEEEE10hipError_tT2_T3_mT4_P12ihipStream_tbEUlT_E_NS1_11comp_targetILNS1_3genE5ELNS1_11target_archE942ELNS1_3gpuE9ELNS1_3repE0EEENS1_30default_config_static_selectorELNS0_4arch9wavefront6targetE1EEEvT1_,"axG",@progbits,_ZN7rocprim17ROCPRIM_400000_NS6detail17trampoline_kernelINS0_14default_configENS1_25transform_config_selectorIiLb0EEEZNS1_14transform_implILb0ES3_S5_N6thrust23THRUST_200600_302600_NS6detail15normal_iteratorINS8_10device_ptrIiEEEEPiNS0_8identityIiEEEE10hipError_tT2_T3_mT4_P12ihipStream_tbEUlT_E_NS1_11comp_targetILNS1_3genE5ELNS1_11target_archE942ELNS1_3gpuE9ELNS1_3repE0EEENS1_30default_config_static_selectorELNS0_4arch9wavefront6targetE1EEEvT1_,comdat
	.protected	_ZN7rocprim17ROCPRIM_400000_NS6detail17trampoline_kernelINS0_14default_configENS1_25transform_config_selectorIiLb0EEEZNS1_14transform_implILb0ES3_S5_N6thrust23THRUST_200600_302600_NS6detail15normal_iteratorINS8_10device_ptrIiEEEEPiNS0_8identityIiEEEE10hipError_tT2_T3_mT4_P12ihipStream_tbEUlT_E_NS1_11comp_targetILNS1_3genE5ELNS1_11target_archE942ELNS1_3gpuE9ELNS1_3repE0EEENS1_30default_config_static_selectorELNS0_4arch9wavefront6targetE1EEEvT1_ ; -- Begin function _ZN7rocprim17ROCPRIM_400000_NS6detail17trampoline_kernelINS0_14default_configENS1_25transform_config_selectorIiLb0EEEZNS1_14transform_implILb0ES3_S5_N6thrust23THRUST_200600_302600_NS6detail15normal_iteratorINS8_10device_ptrIiEEEEPiNS0_8identityIiEEEE10hipError_tT2_T3_mT4_P12ihipStream_tbEUlT_E_NS1_11comp_targetILNS1_3genE5ELNS1_11target_archE942ELNS1_3gpuE9ELNS1_3repE0EEENS1_30default_config_static_selectorELNS0_4arch9wavefront6targetE1EEEvT1_
	.globl	_ZN7rocprim17ROCPRIM_400000_NS6detail17trampoline_kernelINS0_14default_configENS1_25transform_config_selectorIiLb0EEEZNS1_14transform_implILb0ES3_S5_N6thrust23THRUST_200600_302600_NS6detail15normal_iteratorINS8_10device_ptrIiEEEEPiNS0_8identityIiEEEE10hipError_tT2_T3_mT4_P12ihipStream_tbEUlT_E_NS1_11comp_targetILNS1_3genE5ELNS1_11target_archE942ELNS1_3gpuE9ELNS1_3repE0EEENS1_30default_config_static_selectorELNS0_4arch9wavefront6targetE1EEEvT1_
	.p2align	8
	.type	_ZN7rocprim17ROCPRIM_400000_NS6detail17trampoline_kernelINS0_14default_configENS1_25transform_config_selectorIiLb0EEEZNS1_14transform_implILb0ES3_S5_N6thrust23THRUST_200600_302600_NS6detail15normal_iteratorINS8_10device_ptrIiEEEEPiNS0_8identityIiEEEE10hipError_tT2_T3_mT4_P12ihipStream_tbEUlT_E_NS1_11comp_targetILNS1_3genE5ELNS1_11target_archE942ELNS1_3gpuE9ELNS1_3repE0EEENS1_30default_config_static_selectorELNS0_4arch9wavefront6targetE1EEEvT1_,@function
_ZN7rocprim17ROCPRIM_400000_NS6detail17trampoline_kernelINS0_14default_configENS1_25transform_config_selectorIiLb0EEEZNS1_14transform_implILb0ES3_S5_N6thrust23THRUST_200600_302600_NS6detail15normal_iteratorINS8_10device_ptrIiEEEEPiNS0_8identityIiEEEE10hipError_tT2_T3_mT4_P12ihipStream_tbEUlT_E_NS1_11comp_targetILNS1_3genE5ELNS1_11target_archE942ELNS1_3gpuE9ELNS1_3repE0EEENS1_30default_config_static_selectorELNS0_4arch9wavefront6targetE1EEEvT1_: ; @_ZN7rocprim17ROCPRIM_400000_NS6detail17trampoline_kernelINS0_14default_configENS1_25transform_config_selectorIiLb0EEEZNS1_14transform_implILb0ES3_S5_N6thrust23THRUST_200600_302600_NS6detail15normal_iteratorINS8_10device_ptrIiEEEEPiNS0_8identityIiEEEE10hipError_tT2_T3_mT4_P12ihipStream_tbEUlT_E_NS1_11comp_targetILNS1_3genE5ELNS1_11target_archE942ELNS1_3gpuE9ELNS1_3repE0EEENS1_30default_config_static_selectorELNS0_4arch9wavefront6targetE1EEEvT1_
; %bb.0:
	.section	.rodata,"a",@progbits
	.p2align	6, 0x0
	.amdhsa_kernel _ZN7rocprim17ROCPRIM_400000_NS6detail17trampoline_kernelINS0_14default_configENS1_25transform_config_selectorIiLb0EEEZNS1_14transform_implILb0ES3_S5_N6thrust23THRUST_200600_302600_NS6detail15normal_iteratorINS8_10device_ptrIiEEEEPiNS0_8identityIiEEEE10hipError_tT2_T3_mT4_P12ihipStream_tbEUlT_E_NS1_11comp_targetILNS1_3genE5ELNS1_11target_archE942ELNS1_3gpuE9ELNS1_3repE0EEENS1_30default_config_static_selectorELNS0_4arch9wavefront6targetE1EEEvT1_
		.amdhsa_group_segment_fixed_size 0
		.amdhsa_private_segment_fixed_size 0
		.amdhsa_kernarg_size 40
		.amdhsa_user_sgpr_count 6
		.amdhsa_user_sgpr_private_segment_buffer 1
		.amdhsa_user_sgpr_dispatch_ptr 0
		.amdhsa_user_sgpr_queue_ptr 0
		.amdhsa_user_sgpr_kernarg_segment_ptr 1
		.amdhsa_user_sgpr_dispatch_id 0
		.amdhsa_user_sgpr_flat_scratch_init 0
		.amdhsa_user_sgpr_kernarg_preload_length 0
		.amdhsa_user_sgpr_kernarg_preload_offset 0
		.amdhsa_user_sgpr_private_segment_size 0
		.amdhsa_uses_dynamic_stack 0
		.amdhsa_system_sgpr_private_segment_wavefront_offset 0
		.amdhsa_system_sgpr_workgroup_id_x 1
		.amdhsa_system_sgpr_workgroup_id_y 0
		.amdhsa_system_sgpr_workgroup_id_z 0
		.amdhsa_system_sgpr_workgroup_info 0
		.amdhsa_system_vgpr_workitem_id 0
		.amdhsa_next_free_vgpr 1
		.amdhsa_next_free_sgpr 0
		.amdhsa_accum_offset 4
		.amdhsa_reserve_vcc 0
		.amdhsa_reserve_flat_scratch 0
		.amdhsa_float_round_mode_32 0
		.amdhsa_float_round_mode_16_64 0
		.amdhsa_float_denorm_mode_32 3
		.amdhsa_float_denorm_mode_16_64 3
		.amdhsa_dx10_clamp 1
		.amdhsa_ieee_mode 1
		.amdhsa_fp16_overflow 0
		.amdhsa_tg_split 0
		.amdhsa_exception_fp_ieee_invalid_op 0
		.amdhsa_exception_fp_denorm_src 0
		.amdhsa_exception_fp_ieee_div_zero 0
		.amdhsa_exception_fp_ieee_overflow 0
		.amdhsa_exception_fp_ieee_underflow 0
		.amdhsa_exception_fp_ieee_inexact 0
		.amdhsa_exception_int_div_zero 0
	.end_amdhsa_kernel
	.section	.text._ZN7rocprim17ROCPRIM_400000_NS6detail17trampoline_kernelINS0_14default_configENS1_25transform_config_selectorIiLb0EEEZNS1_14transform_implILb0ES3_S5_N6thrust23THRUST_200600_302600_NS6detail15normal_iteratorINS8_10device_ptrIiEEEEPiNS0_8identityIiEEEE10hipError_tT2_T3_mT4_P12ihipStream_tbEUlT_E_NS1_11comp_targetILNS1_3genE5ELNS1_11target_archE942ELNS1_3gpuE9ELNS1_3repE0EEENS1_30default_config_static_selectorELNS0_4arch9wavefront6targetE1EEEvT1_,"axG",@progbits,_ZN7rocprim17ROCPRIM_400000_NS6detail17trampoline_kernelINS0_14default_configENS1_25transform_config_selectorIiLb0EEEZNS1_14transform_implILb0ES3_S5_N6thrust23THRUST_200600_302600_NS6detail15normal_iteratorINS8_10device_ptrIiEEEEPiNS0_8identityIiEEEE10hipError_tT2_T3_mT4_P12ihipStream_tbEUlT_E_NS1_11comp_targetILNS1_3genE5ELNS1_11target_archE942ELNS1_3gpuE9ELNS1_3repE0EEENS1_30default_config_static_selectorELNS0_4arch9wavefront6targetE1EEEvT1_,comdat
.Lfunc_end1738:
	.size	_ZN7rocprim17ROCPRIM_400000_NS6detail17trampoline_kernelINS0_14default_configENS1_25transform_config_selectorIiLb0EEEZNS1_14transform_implILb0ES3_S5_N6thrust23THRUST_200600_302600_NS6detail15normal_iteratorINS8_10device_ptrIiEEEEPiNS0_8identityIiEEEE10hipError_tT2_T3_mT4_P12ihipStream_tbEUlT_E_NS1_11comp_targetILNS1_3genE5ELNS1_11target_archE942ELNS1_3gpuE9ELNS1_3repE0EEENS1_30default_config_static_selectorELNS0_4arch9wavefront6targetE1EEEvT1_, .Lfunc_end1738-_ZN7rocprim17ROCPRIM_400000_NS6detail17trampoline_kernelINS0_14default_configENS1_25transform_config_selectorIiLb0EEEZNS1_14transform_implILb0ES3_S5_N6thrust23THRUST_200600_302600_NS6detail15normal_iteratorINS8_10device_ptrIiEEEEPiNS0_8identityIiEEEE10hipError_tT2_T3_mT4_P12ihipStream_tbEUlT_E_NS1_11comp_targetILNS1_3genE5ELNS1_11target_archE942ELNS1_3gpuE9ELNS1_3repE0EEENS1_30default_config_static_selectorELNS0_4arch9wavefront6targetE1EEEvT1_
                                        ; -- End function
	.section	.AMDGPU.csdata,"",@progbits
; Kernel info:
; codeLenInByte = 0
; NumSgprs: 4
; NumVgprs: 0
; NumAgprs: 0
; TotalNumVgprs: 0
; ScratchSize: 0
; MemoryBound: 0
; FloatMode: 240
; IeeeMode: 1
; LDSByteSize: 0 bytes/workgroup (compile time only)
; SGPRBlocks: 0
; VGPRBlocks: 0
; NumSGPRsForWavesPerEU: 4
; NumVGPRsForWavesPerEU: 1
; AccumOffset: 4
; Occupancy: 8
; WaveLimiterHint : 0
; COMPUTE_PGM_RSRC2:SCRATCH_EN: 0
; COMPUTE_PGM_RSRC2:USER_SGPR: 6
; COMPUTE_PGM_RSRC2:TRAP_HANDLER: 0
; COMPUTE_PGM_RSRC2:TGID_X_EN: 1
; COMPUTE_PGM_RSRC2:TGID_Y_EN: 0
; COMPUTE_PGM_RSRC2:TGID_Z_EN: 0
; COMPUTE_PGM_RSRC2:TIDIG_COMP_CNT: 0
; COMPUTE_PGM_RSRC3_GFX90A:ACCUM_OFFSET: 0
; COMPUTE_PGM_RSRC3_GFX90A:TG_SPLIT: 0
	.section	.text._ZN7rocprim17ROCPRIM_400000_NS6detail17trampoline_kernelINS0_14default_configENS1_25transform_config_selectorIiLb0EEEZNS1_14transform_implILb0ES3_S5_N6thrust23THRUST_200600_302600_NS6detail15normal_iteratorINS8_10device_ptrIiEEEEPiNS0_8identityIiEEEE10hipError_tT2_T3_mT4_P12ihipStream_tbEUlT_E_NS1_11comp_targetILNS1_3genE4ELNS1_11target_archE910ELNS1_3gpuE8ELNS1_3repE0EEENS1_30default_config_static_selectorELNS0_4arch9wavefront6targetE1EEEvT1_,"axG",@progbits,_ZN7rocprim17ROCPRIM_400000_NS6detail17trampoline_kernelINS0_14default_configENS1_25transform_config_selectorIiLb0EEEZNS1_14transform_implILb0ES3_S5_N6thrust23THRUST_200600_302600_NS6detail15normal_iteratorINS8_10device_ptrIiEEEEPiNS0_8identityIiEEEE10hipError_tT2_T3_mT4_P12ihipStream_tbEUlT_E_NS1_11comp_targetILNS1_3genE4ELNS1_11target_archE910ELNS1_3gpuE8ELNS1_3repE0EEENS1_30default_config_static_selectorELNS0_4arch9wavefront6targetE1EEEvT1_,comdat
	.protected	_ZN7rocprim17ROCPRIM_400000_NS6detail17trampoline_kernelINS0_14default_configENS1_25transform_config_selectorIiLb0EEEZNS1_14transform_implILb0ES3_S5_N6thrust23THRUST_200600_302600_NS6detail15normal_iteratorINS8_10device_ptrIiEEEEPiNS0_8identityIiEEEE10hipError_tT2_T3_mT4_P12ihipStream_tbEUlT_E_NS1_11comp_targetILNS1_3genE4ELNS1_11target_archE910ELNS1_3gpuE8ELNS1_3repE0EEENS1_30default_config_static_selectorELNS0_4arch9wavefront6targetE1EEEvT1_ ; -- Begin function _ZN7rocprim17ROCPRIM_400000_NS6detail17trampoline_kernelINS0_14default_configENS1_25transform_config_selectorIiLb0EEEZNS1_14transform_implILb0ES3_S5_N6thrust23THRUST_200600_302600_NS6detail15normal_iteratorINS8_10device_ptrIiEEEEPiNS0_8identityIiEEEE10hipError_tT2_T3_mT4_P12ihipStream_tbEUlT_E_NS1_11comp_targetILNS1_3genE4ELNS1_11target_archE910ELNS1_3gpuE8ELNS1_3repE0EEENS1_30default_config_static_selectorELNS0_4arch9wavefront6targetE1EEEvT1_
	.globl	_ZN7rocprim17ROCPRIM_400000_NS6detail17trampoline_kernelINS0_14default_configENS1_25transform_config_selectorIiLb0EEEZNS1_14transform_implILb0ES3_S5_N6thrust23THRUST_200600_302600_NS6detail15normal_iteratorINS8_10device_ptrIiEEEEPiNS0_8identityIiEEEE10hipError_tT2_T3_mT4_P12ihipStream_tbEUlT_E_NS1_11comp_targetILNS1_3genE4ELNS1_11target_archE910ELNS1_3gpuE8ELNS1_3repE0EEENS1_30default_config_static_selectorELNS0_4arch9wavefront6targetE1EEEvT1_
	.p2align	8
	.type	_ZN7rocprim17ROCPRIM_400000_NS6detail17trampoline_kernelINS0_14default_configENS1_25transform_config_selectorIiLb0EEEZNS1_14transform_implILb0ES3_S5_N6thrust23THRUST_200600_302600_NS6detail15normal_iteratorINS8_10device_ptrIiEEEEPiNS0_8identityIiEEEE10hipError_tT2_T3_mT4_P12ihipStream_tbEUlT_E_NS1_11comp_targetILNS1_3genE4ELNS1_11target_archE910ELNS1_3gpuE8ELNS1_3repE0EEENS1_30default_config_static_selectorELNS0_4arch9wavefront6targetE1EEEvT1_,@function
_ZN7rocprim17ROCPRIM_400000_NS6detail17trampoline_kernelINS0_14default_configENS1_25transform_config_selectorIiLb0EEEZNS1_14transform_implILb0ES3_S5_N6thrust23THRUST_200600_302600_NS6detail15normal_iteratorINS8_10device_ptrIiEEEEPiNS0_8identityIiEEEE10hipError_tT2_T3_mT4_P12ihipStream_tbEUlT_E_NS1_11comp_targetILNS1_3genE4ELNS1_11target_archE910ELNS1_3gpuE8ELNS1_3repE0EEENS1_30default_config_static_selectorELNS0_4arch9wavefront6targetE1EEEvT1_: ; @_ZN7rocprim17ROCPRIM_400000_NS6detail17trampoline_kernelINS0_14default_configENS1_25transform_config_selectorIiLb0EEEZNS1_14transform_implILb0ES3_S5_N6thrust23THRUST_200600_302600_NS6detail15normal_iteratorINS8_10device_ptrIiEEEEPiNS0_8identityIiEEEE10hipError_tT2_T3_mT4_P12ihipStream_tbEUlT_E_NS1_11comp_targetILNS1_3genE4ELNS1_11target_archE910ELNS1_3gpuE8ELNS1_3repE0EEENS1_30default_config_static_selectorELNS0_4arch9wavefront6targetE1EEEvT1_
; %bb.0:
	s_load_dwordx8 s[8:15], s[4:5], 0x0
	s_load_dword s2, s[4:5], 0x28
	v_lshlrev_b32_e32 v1, 2, v0
	s_waitcnt lgkmcnt(0)
	s_lshl_b64 s[0:1], s[10:11], 2
	s_add_u32 s3, s8, s0
	s_addc_u32 s4, s9, s1
	s_add_u32 s10, s14, s0
	s_addc_u32 s11, s15, s1
	s_lshl_b32 s0, s6, 11
	s_mov_b32 s1, 0
	s_add_i32 s2, s2, -1
	s_lshl_b64 s[8:9], s[0:1], 2
	s_add_u32 s13, s3, s8
	s_addc_u32 s14, s4, s9
	s_cmp_lg_u32 s6, s2
	s_cbranch_scc0 .LBB1739_2
; %bb.1:
	v_mov_b32_e32 v3, s14
	v_add_co_u32_e32 v2, vcc, s13, v1
	v_addc_co_u32_e32 v3, vcc, 0, v3, vcc
	flat_load_dword v6, v[2:3]
	v_add_co_u32_e32 v2, vcc, 0x1000, v2
	v_addc_co_u32_e32 v3, vcc, 0, v3, vcc
	flat_load_dword v3, v[2:3]
	s_add_u32 s4, s10, s8
	s_addc_u32 s5, s11, s9
	v_mov_b32_e32 v2, s5
	v_add_co_u32_e32 v4, vcc, s4, v1
	v_addc_co_u32_e32 v5, vcc, 0, v2, vcc
	s_waitcnt vmcnt(0) lgkmcnt(0)
	global_store_dword v1, v6, s[4:5]
	s_mov_b64 s[4:5], -1
	s_cbranch_execz .LBB1739_3
	s_branch .LBB1739_12
.LBB1739_2:
	s_mov_b64 s[4:5], 0
                                        ; implicit-def: $vgpr3
                                        ; implicit-def: $vgpr4_vgpr5
.LBB1739_3:
	s_sub_i32 s6, s12, s0
	v_cmp_gt_u32_e32 vcc, s6, v0
                                        ; implicit-def: $vgpr2_vgpr3
	s_and_saveexec_b64 s[2:3], vcc
	s_cbranch_execz .LBB1739_5
; %bb.4:
	v_mov_b32_e32 v3, s14
	v_add_co_u32_e64 v2, s[0:1], s13, v1
	v_addc_co_u32_e64 v3, s[0:1], 0, v3, s[0:1]
	flat_load_dword v2, v[2:3]
.LBB1739_5:
	s_or_b64 exec, exec, s[2:3]
	v_or_b32_e32 v0, 0x400, v0
	v_cmp_gt_u32_e64 s[0:1], s6, v0
	s_and_saveexec_b64 s[6:7], s[0:1]
	s_cbranch_execz .LBB1739_7
; %bb.6:
	v_lshlrev_b32_e32 v0, 2, v0
	v_mov_b32_e32 v3, s14
	v_add_co_u32_e64 v4, s[2:3], s13, v0
	v_addc_co_u32_e64 v5, s[2:3], 0, v3, s[2:3]
	flat_load_dword v3, v[4:5]
.LBB1739_7:
	s_or_b64 exec, exec, s[6:7]
	s_add_u32 s2, s10, s8
	s_addc_u32 s3, s11, s9
	v_mov_b32_e32 v0, s3
	v_add_co_u32_e64 v4, s[2:3], s2, v1
	v_addc_co_u32_e64 v5, s[2:3], 0, v0, s[2:3]
	s_and_saveexec_b64 s[2:3], vcc
	s_cbranch_execz .LBB1739_9
; %bb.8:
	s_waitcnt vmcnt(0) lgkmcnt(0)
	global_store_dword v[4:5], v2, off
.LBB1739_9:
	s_or_b64 exec, exec, s[2:3]
	s_and_saveexec_b64 s[2:3], s[0:1]
; %bb.10:
	s_or_b64 s[4:5], s[4:5], exec
; %bb.11:
	s_or_b64 exec, exec, s[2:3]
.LBB1739_12:
	s_and_saveexec_b64 s[0:1], s[4:5]
	s_cbranch_execnz .LBB1739_14
; %bb.13:
	s_endpgm
.LBB1739_14:
	v_add_co_u32_e32 v0, vcc, 0x1000, v4
	v_addc_co_u32_e32 v1, vcc, 0, v5, vcc
	s_waitcnt vmcnt(0) lgkmcnt(0)
	global_store_dword v[0:1], v3, off
	s_endpgm
	.section	.rodata,"a",@progbits
	.p2align	6, 0x0
	.amdhsa_kernel _ZN7rocprim17ROCPRIM_400000_NS6detail17trampoline_kernelINS0_14default_configENS1_25transform_config_selectorIiLb0EEEZNS1_14transform_implILb0ES3_S5_N6thrust23THRUST_200600_302600_NS6detail15normal_iteratorINS8_10device_ptrIiEEEEPiNS0_8identityIiEEEE10hipError_tT2_T3_mT4_P12ihipStream_tbEUlT_E_NS1_11comp_targetILNS1_3genE4ELNS1_11target_archE910ELNS1_3gpuE8ELNS1_3repE0EEENS1_30default_config_static_selectorELNS0_4arch9wavefront6targetE1EEEvT1_
		.amdhsa_group_segment_fixed_size 0
		.amdhsa_private_segment_fixed_size 0
		.amdhsa_kernarg_size 296
		.amdhsa_user_sgpr_count 6
		.amdhsa_user_sgpr_private_segment_buffer 1
		.amdhsa_user_sgpr_dispatch_ptr 0
		.amdhsa_user_sgpr_queue_ptr 0
		.amdhsa_user_sgpr_kernarg_segment_ptr 1
		.amdhsa_user_sgpr_dispatch_id 0
		.amdhsa_user_sgpr_flat_scratch_init 0
		.amdhsa_user_sgpr_kernarg_preload_length 0
		.amdhsa_user_sgpr_kernarg_preload_offset 0
		.amdhsa_user_sgpr_private_segment_size 0
		.amdhsa_uses_dynamic_stack 0
		.amdhsa_system_sgpr_private_segment_wavefront_offset 0
		.amdhsa_system_sgpr_workgroup_id_x 1
		.amdhsa_system_sgpr_workgroup_id_y 0
		.amdhsa_system_sgpr_workgroup_id_z 0
		.amdhsa_system_sgpr_workgroup_info 0
		.amdhsa_system_vgpr_workitem_id 0
		.amdhsa_next_free_vgpr 7
		.amdhsa_next_free_sgpr 16
		.amdhsa_accum_offset 8
		.amdhsa_reserve_vcc 1
		.amdhsa_reserve_flat_scratch 0
		.amdhsa_float_round_mode_32 0
		.amdhsa_float_round_mode_16_64 0
		.amdhsa_float_denorm_mode_32 3
		.amdhsa_float_denorm_mode_16_64 3
		.amdhsa_dx10_clamp 1
		.amdhsa_ieee_mode 1
		.amdhsa_fp16_overflow 0
		.amdhsa_tg_split 0
		.amdhsa_exception_fp_ieee_invalid_op 0
		.amdhsa_exception_fp_denorm_src 0
		.amdhsa_exception_fp_ieee_div_zero 0
		.amdhsa_exception_fp_ieee_overflow 0
		.amdhsa_exception_fp_ieee_underflow 0
		.amdhsa_exception_fp_ieee_inexact 0
		.amdhsa_exception_int_div_zero 0
	.end_amdhsa_kernel
	.section	.text._ZN7rocprim17ROCPRIM_400000_NS6detail17trampoline_kernelINS0_14default_configENS1_25transform_config_selectorIiLb0EEEZNS1_14transform_implILb0ES3_S5_N6thrust23THRUST_200600_302600_NS6detail15normal_iteratorINS8_10device_ptrIiEEEEPiNS0_8identityIiEEEE10hipError_tT2_T3_mT4_P12ihipStream_tbEUlT_E_NS1_11comp_targetILNS1_3genE4ELNS1_11target_archE910ELNS1_3gpuE8ELNS1_3repE0EEENS1_30default_config_static_selectorELNS0_4arch9wavefront6targetE1EEEvT1_,"axG",@progbits,_ZN7rocprim17ROCPRIM_400000_NS6detail17trampoline_kernelINS0_14default_configENS1_25transform_config_selectorIiLb0EEEZNS1_14transform_implILb0ES3_S5_N6thrust23THRUST_200600_302600_NS6detail15normal_iteratorINS8_10device_ptrIiEEEEPiNS0_8identityIiEEEE10hipError_tT2_T3_mT4_P12ihipStream_tbEUlT_E_NS1_11comp_targetILNS1_3genE4ELNS1_11target_archE910ELNS1_3gpuE8ELNS1_3repE0EEENS1_30default_config_static_selectorELNS0_4arch9wavefront6targetE1EEEvT1_,comdat
.Lfunc_end1739:
	.size	_ZN7rocprim17ROCPRIM_400000_NS6detail17trampoline_kernelINS0_14default_configENS1_25transform_config_selectorIiLb0EEEZNS1_14transform_implILb0ES3_S5_N6thrust23THRUST_200600_302600_NS6detail15normal_iteratorINS8_10device_ptrIiEEEEPiNS0_8identityIiEEEE10hipError_tT2_T3_mT4_P12ihipStream_tbEUlT_E_NS1_11comp_targetILNS1_3genE4ELNS1_11target_archE910ELNS1_3gpuE8ELNS1_3repE0EEENS1_30default_config_static_selectorELNS0_4arch9wavefront6targetE1EEEvT1_, .Lfunc_end1739-_ZN7rocprim17ROCPRIM_400000_NS6detail17trampoline_kernelINS0_14default_configENS1_25transform_config_selectorIiLb0EEEZNS1_14transform_implILb0ES3_S5_N6thrust23THRUST_200600_302600_NS6detail15normal_iteratorINS8_10device_ptrIiEEEEPiNS0_8identityIiEEEE10hipError_tT2_T3_mT4_P12ihipStream_tbEUlT_E_NS1_11comp_targetILNS1_3genE4ELNS1_11target_archE910ELNS1_3gpuE8ELNS1_3repE0EEENS1_30default_config_static_selectorELNS0_4arch9wavefront6targetE1EEEvT1_
                                        ; -- End function
	.section	.AMDGPU.csdata,"",@progbits
; Kernel info:
; codeLenInByte = 376
; NumSgprs: 20
; NumVgprs: 7
; NumAgprs: 0
; TotalNumVgprs: 7
; ScratchSize: 0
; MemoryBound: 0
; FloatMode: 240
; IeeeMode: 1
; LDSByteSize: 0 bytes/workgroup (compile time only)
; SGPRBlocks: 2
; VGPRBlocks: 0
; NumSGPRsForWavesPerEU: 20
; NumVGPRsForWavesPerEU: 7
; AccumOffset: 8
; Occupancy: 8
; WaveLimiterHint : 1
; COMPUTE_PGM_RSRC2:SCRATCH_EN: 0
; COMPUTE_PGM_RSRC2:USER_SGPR: 6
; COMPUTE_PGM_RSRC2:TRAP_HANDLER: 0
; COMPUTE_PGM_RSRC2:TGID_X_EN: 1
; COMPUTE_PGM_RSRC2:TGID_Y_EN: 0
; COMPUTE_PGM_RSRC2:TGID_Z_EN: 0
; COMPUTE_PGM_RSRC2:TIDIG_COMP_CNT: 0
; COMPUTE_PGM_RSRC3_GFX90A:ACCUM_OFFSET: 1
; COMPUTE_PGM_RSRC3_GFX90A:TG_SPLIT: 0
	.section	.text._ZN7rocprim17ROCPRIM_400000_NS6detail17trampoline_kernelINS0_14default_configENS1_25transform_config_selectorIiLb0EEEZNS1_14transform_implILb0ES3_S5_N6thrust23THRUST_200600_302600_NS6detail15normal_iteratorINS8_10device_ptrIiEEEEPiNS0_8identityIiEEEE10hipError_tT2_T3_mT4_P12ihipStream_tbEUlT_E_NS1_11comp_targetILNS1_3genE3ELNS1_11target_archE908ELNS1_3gpuE7ELNS1_3repE0EEENS1_30default_config_static_selectorELNS0_4arch9wavefront6targetE1EEEvT1_,"axG",@progbits,_ZN7rocprim17ROCPRIM_400000_NS6detail17trampoline_kernelINS0_14default_configENS1_25transform_config_selectorIiLb0EEEZNS1_14transform_implILb0ES3_S5_N6thrust23THRUST_200600_302600_NS6detail15normal_iteratorINS8_10device_ptrIiEEEEPiNS0_8identityIiEEEE10hipError_tT2_T3_mT4_P12ihipStream_tbEUlT_E_NS1_11comp_targetILNS1_3genE3ELNS1_11target_archE908ELNS1_3gpuE7ELNS1_3repE0EEENS1_30default_config_static_selectorELNS0_4arch9wavefront6targetE1EEEvT1_,comdat
	.protected	_ZN7rocprim17ROCPRIM_400000_NS6detail17trampoline_kernelINS0_14default_configENS1_25transform_config_selectorIiLb0EEEZNS1_14transform_implILb0ES3_S5_N6thrust23THRUST_200600_302600_NS6detail15normal_iteratorINS8_10device_ptrIiEEEEPiNS0_8identityIiEEEE10hipError_tT2_T3_mT4_P12ihipStream_tbEUlT_E_NS1_11comp_targetILNS1_3genE3ELNS1_11target_archE908ELNS1_3gpuE7ELNS1_3repE0EEENS1_30default_config_static_selectorELNS0_4arch9wavefront6targetE1EEEvT1_ ; -- Begin function _ZN7rocprim17ROCPRIM_400000_NS6detail17trampoline_kernelINS0_14default_configENS1_25transform_config_selectorIiLb0EEEZNS1_14transform_implILb0ES3_S5_N6thrust23THRUST_200600_302600_NS6detail15normal_iteratorINS8_10device_ptrIiEEEEPiNS0_8identityIiEEEE10hipError_tT2_T3_mT4_P12ihipStream_tbEUlT_E_NS1_11comp_targetILNS1_3genE3ELNS1_11target_archE908ELNS1_3gpuE7ELNS1_3repE0EEENS1_30default_config_static_selectorELNS0_4arch9wavefront6targetE1EEEvT1_
	.globl	_ZN7rocprim17ROCPRIM_400000_NS6detail17trampoline_kernelINS0_14default_configENS1_25transform_config_selectorIiLb0EEEZNS1_14transform_implILb0ES3_S5_N6thrust23THRUST_200600_302600_NS6detail15normal_iteratorINS8_10device_ptrIiEEEEPiNS0_8identityIiEEEE10hipError_tT2_T3_mT4_P12ihipStream_tbEUlT_E_NS1_11comp_targetILNS1_3genE3ELNS1_11target_archE908ELNS1_3gpuE7ELNS1_3repE0EEENS1_30default_config_static_selectorELNS0_4arch9wavefront6targetE1EEEvT1_
	.p2align	8
	.type	_ZN7rocprim17ROCPRIM_400000_NS6detail17trampoline_kernelINS0_14default_configENS1_25transform_config_selectorIiLb0EEEZNS1_14transform_implILb0ES3_S5_N6thrust23THRUST_200600_302600_NS6detail15normal_iteratorINS8_10device_ptrIiEEEEPiNS0_8identityIiEEEE10hipError_tT2_T3_mT4_P12ihipStream_tbEUlT_E_NS1_11comp_targetILNS1_3genE3ELNS1_11target_archE908ELNS1_3gpuE7ELNS1_3repE0EEENS1_30default_config_static_selectorELNS0_4arch9wavefront6targetE1EEEvT1_,@function
_ZN7rocprim17ROCPRIM_400000_NS6detail17trampoline_kernelINS0_14default_configENS1_25transform_config_selectorIiLb0EEEZNS1_14transform_implILb0ES3_S5_N6thrust23THRUST_200600_302600_NS6detail15normal_iteratorINS8_10device_ptrIiEEEEPiNS0_8identityIiEEEE10hipError_tT2_T3_mT4_P12ihipStream_tbEUlT_E_NS1_11comp_targetILNS1_3genE3ELNS1_11target_archE908ELNS1_3gpuE7ELNS1_3repE0EEENS1_30default_config_static_selectorELNS0_4arch9wavefront6targetE1EEEvT1_: ; @_ZN7rocprim17ROCPRIM_400000_NS6detail17trampoline_kernelINS0_14default_configENS1_25transform_config_selectorIiLb0EEEZNS1_14transform_implILb0ES3_S5_N6thrust23THRUST_200600_302600_NS6detail15normal_iteratorINS8_10device_ptrIiEEEEPiNS0_8identityIiEEEE10hipError_tT2_T3_mT4_P12ihipStream_tbEUlT_E_NS1_11comp_targetILNS1_3genE3ELNS1_11target_archE908ELNS1_3gpuE7ELNS1_3repE0EEENS1_30default_config_static_selectorELNS0_4arch9wavefront6targetE1EEEvT1_
; %bb.0:
	.section	.rodata,"a",@progbits
	.p2align	6, 0x0
	.amdhsa_kernel _ZN7rocprim17ROCPRIM_400000_NS6detail17trampoline_kernelINS0_14default_configENS1_25transform_config_selectorIiLb0EEEZNS1_14transform_implILb0ES3_S5_N6thrust23THRUST_200600_302600_NS6detail15normal_iteratorINS8_10device_ptrIiEEEEPiNS0_8identityIiEEEE10hipError_tT2_T3_mT4_P12ihipStream_tbEUlT_E_NS1_11comp_targetILNS1_3genE3ELNS1_11target_archE908ELNS1_3gpuE7ELNS1_3repE0EEENS1_30default_config_static_selectorELNS0_4arch9wavefront6targetE1EEEvT1_
		.amdhsa_group_segment_fixed_size 0
		.amdhsa_private_segment_fixed_size 0
		.amdhsa_kernarg_size 40
		.amdhsa_user_sgpr_count 6
		.amdhsa_user_sgpr_private_segment_buffer 1
		.amdhsa_user_sgpr_dispatch_ptr 0
		.amdhsa_user_sgpr_queue_ptr 0
		.amdhsa_user_sgpr_kernarg_segment_ptr 1
		.amdhsa_user_sgpr_dispatch_id 0
		.amdhsa_user_sgpr_flat_scratch_init 0
		.amdhsa_user_sgpr_kernarg_preload_length 0
		.amdhsa_user_sgpr_kernarg_preload_offset 0
		.amdhsa_user_sgpr_private_segment_size 0
		.amdhsa_uses_dynamic_stack 0
		.amdhsa_system_sgpr_private_segment_wavefront_offset 0
		.amdhsa_system_sgpr_workgroup_id_x 1
		.amdhsa_system_sgpr_workgroup_id_y 0
		.amdhsa_system_sgpr_workgroup_id_z 0
		.amdhsa_system_sgpr_workgroup_info 0
		.amdhsa_system_vgpr_workitem_id 0
		.amdhsa_next_free_vgpr 1
		.amdhsa_next_free_sgpr 0
		.amdhsa_accum_offset 4
		.amdhsa_reserve_vcc 0
		.amdhsa_reserve_flat_scratch 0
		.amdhsa_float_round_mode_32 0
		.amdhsa_float_round_mode_16_64 0
		.amdhsa_float_denorm_mode_32 3
		.amdhsa_float_denorm_mode_16_64 3
		.amdhsa_dx10_clamp 1
		.amdhsa_ieee_mode 1
		.amdhsa_fp16_overflow 0
		.amdhsa_tg_split 0
		.amdhsa_exception_fp_ieee_invalid_op 0
		.amdhsa_exception_fp_denorm_src 0
		.amdhsa_exception_fp_ieee_div_zero 0
		.amdhsa_exception_fp_ieee_overflow 0
		.amdhsa_exception_fp_ieee_underflow 0
		.amdhsa_exception_fp_ieee_inexact 0
		.amdhsa_exception_int_div_zero 0
	.end_amdhsa_kernel
	.section	.text._ZN7rocprim17ROCPRIM_400000_NS6detail17trampoline_kernelINS0_14default_configENS1_25transform_config_selectorIiLb0EEEZNS1_14transform_implILb0ES3_S5_N6thrust23THRUST_200600_302600_NS6detail15normal_iteratorINS8_10device_ptrIiEEEEPiNS0_8identityIiEEEE10hipError_tT2_T3_mT4_P12ihipStream_tbEUlT_E_NS1_11comp_targetILNS1_3genE3ELNS1_11target_archE908ELNS1_3gpuE7ELNS1_3repE0EEENS1_30default_config_static_selectorELNS0_4arch9wavefront6targetE1EEEvT1_,"axG",@progbits,_ZN7rocprim17ROCPRIM_400000_NS6detail17trampoline_kernelINS0_14default_configENS1_25transform_config_selectorIiLb0EEEZNS1_14transform_implILb0ES3_S5_N6thrust23THRUST_200600_302600_NS6detail15normal_iteratorINS8_10device_ptrIiEEEEPiNS0_8identityIiEEEE10hipError_tT2_T3_mT4_P12ihipStream_tbEUlT_E_NS1_11comp_targetILNS1_3genE3ELNS1_11target_archE908ELNS1_3gpuE7ELNS1_3repE0EEENS1_30default_config_static_selectorELNS0_4arch9wavefront6targetE1EEEvT1_,comdat
.Lfunc_end1740:
	.size	_ZN7rocprim17ROCPRIM_400000_NS6detail17trampoline_kernelINS0_14default_configENS1_25transform_config_selectorIiLb0EEEZNS1_14transform_implILb0ES3_S5_N6thrust23THRUST_200600_302600_NS6detail15normal_iteratorINS8_10device_ptrIiEEEEPiNS0_8identityIiEEEE10hipError_tT2_T3_mT4_P12ihipStream_tbEUlT_E_NS1_11comp_targetILNS1_3genE3ELNS1_11target_archE908ELNS1_3gpuE7ELNS1_3repE0EEENS1_30default_config_static_selectorELNS0_4arch9wavefront6targetE1EEEvT1_, .Lfunc_end1740-_ZN7rocprim17ROCPRIM_400000_NS6detail17trampoline_kernelINS0_14default_configENS1_25transform_config_selectorIiLb0EEEZNS1_14transform_implILb0ES3_S5_N6thrust23THRUST_200600_302600_NS6detail15normal_iteratorINS8_10device_ptrIiEEEEPiNS0_8identityIiEEEE10hipError_tT2_T3_mT4_P12ihipStream_tbEUlT_E_NS1_11comp_targetILNS1_3genE3ELNS1_11target_archE908ELNS1_3gpuE7ELNS1_3repE0EEENS1_30default_config_static_selectorELNS0_4arch9wavefront6targetE1EEEvT1_
                                        ; -- End function
	.section	.AMDGPU.csdata,"",@progbits
; Kernel info:
; codeLenInByte = 0
; NumSgprs: 4
; NumVgprs: 0
; NumAgprs: 0
; TotalNumVgprs: 0
; ScratchSize: 0
; MemoryBound: 0
; FloatMode: 240
; IeeeMode: 1
; LDSByteSize: 0 bytes/workgroup (compile time only)
; SGPRBlocks: 0
; VGPRBlocks: 0
; NumSGPRsForWavesPerEU: 4
; NumVGPRsForWavesPerEU: 1
; AccumOffset: 4
; Occupancy: 8
; WaveLimiterHint : 0
; COMPUTE_PGM_RSRC2:SCRATCH_EN: 0
; COMPUTE_PGM_RSRC2:USER_SGPR: 6
; COMPUTE_PGM_RSRC2:TRAP_HANDLER: 0
; COMPUTE_PGM_RSRC2:TGID_X_EN: 1
; COMPUTE_PGM_RSRC2:TGID_Y_EN: 0
; COMPUTE_PGM_RSRC2:TGID_Z_EN: 0
; COMPUTE_PGM_RSRC2:TIDIG_COMP_CNT: 0
; COMPUTE_PGM_RSRC3_GFX90A:ACCUM_OFFSET: 0
; COMPUTE_PGM_RSRC3_GFX90A:TG_SPLIT: 0
	.section	.text._ZN7rocprim17ROCPRIM_400000_NS6detail17trampoline_kernelINS0_14default_configENS1_25transform_config_selectorIiLb0EEEZNS1_14transform_implILb0ES3_S5_N6thrust23THRUST_200600_302600_NS6detail15normal_iteratorINS8_10device_ptrIiEEEEPiNS0_8identityIiEEEE10hipError_tT2_T3_mT4_P12ihipStream_tbEUlT_E_NS1_11comp_targetILNS1_3genE2ELNS1_11target_archE906ELNS1_3gpuE6ELNS1_3repE0EEENS1_30default_config_static_selectorELNS0_4arch9wavefront6targetE1EEEvT1_,"axG",@progbits,_ZN7rocprim17ROCPRIM_400000_NS6detail17trampoline_kernelINS0_14default_configENS1_25transform_config_selectorIiLb0EEEZNS1_14transform_implILb0ES3_S5_N6thrust23THRUST_200600_302600_NS6detail15normal_iteratorINS8_10device_ptrIiEEEEPiNS0_8identityIiEEEE10hipError_tT2_T3_mT4_P12ihipStream_tbEUlT_E_NS1_11comp_targetILNS1_3genE2ELNS1_11target_archE906ELNS1_3gpuE6ELNS1_3repE0EEENS1_30default_config_static_selectorELNS0_4arch9wavefront6targetE1EEEvT1_,comdat
	.protected	_ZN7rocprim17ROCPRIM_400000_NS6detail17trampoline_kernelINS0_14default_configENS1_25transform_config_selectorIiLb0EEEZNS1_14transform_implILb0ES3_S5_N6thrust23THRUST_200600_302600_NS6detail15normal_iteratorINS8_10device_ptrIiEEEEPiNS0_8identityIiEEEE10hipError_tT2_T3_mT4_P12ihipStream_tbEUlT_E_NS1_11comp_targetILNS1_3genE2ELNS1_11target_archE906ELNS1_3gpuE6ELNS1_3repE0EEENS1_30default_config_static_selectorELNS0_4arch9wavefront6targetE1EEEvT1_ ; -- Begin function _ZN7rocprim17ROCPRIM_400000_NS6detail17trampoline_kernelINS0_14default_configENS1_25transform_config_selectorIiLb0EEEZNS1_14transform_implILb0ES3_S5_N6thrust23THRUST_200600_302600_NS6detail15normal_iteratorINS8_10device_ptrIiEEEEPiNS0_8identityIiEEEE10hipError_tT2_T3_mT4_P12ihipStream_tbEUlT_E_NS1_11comp_targetILNS1_3genE2ELNS1_11target_archE906ELNS1_3gpuE6ELNS1_3repE0EEENS1_30default_config_static_selectorELNS0_4arch9wavefront6targetE1EEEvT1_
	.globl	_ZN7rocprim17ROCPRIM_400000_NS6detail17trampoline_kernelINS0_14default_configENS1_25transform_config_selectorIiLb0EEEZNS1_14transform_implILb0ES3_S5_N6thrust23THRUST_200600_302600_NS6detail15normal_iteratorINS8_10device_ptrIiEEEEPiNS0_8identityIiEEEE10hipError_tT2_T3_mT4_P12ihipStream_tbEUlT_E_NS1_11comp_targetILNS1_3genE2ELNS1_11target_archE906ELNS1_3gpuE6ELNS1_3repE0EEENS1_30default_config_static_selectorELNS0_4arch9wavefront6targetE1EEEvT1_
	.p2align	8
	.type	_ZN7rocprim17ROCPRIM_400000_NS6detail17trampoline_kernelINS0_14default_configENS1_25transform_config_selectorIiLb0EEEZNS1_14transform_implILb0ES3_S5_N6thrust23THRUST_200600_302600_NS6detail15normal_iteratorINS8_10device_ptrIiEEEEPiNS0_8identityIiEEEE10hipError_tT2_T3_mT4_P12ihipStream_tbEUlT_E_NS1_11comp_targetILNS1_3genE2ELNS1_11target_archE906ELNS1_3gpuE6ELNS1_3repE0EEENS1_30default_config_static_selectorELNS0_4arch9wavefront6targetE1EEEvT1_,@function
_ZN7rocprim17ROCPRIM_400000_NS6detail17trampoline_kernelINS0_14default_configENS1_25transform_config_selectorIiLb0EEEZNS1_14transform_implILb0ES3_S5_N6thrust23THRUST_200600_302600_NS6detail15normal_iteratorINS8_10device_ptrIiEEEEPiNS0_8identityIiEEEE10hipError_tT2_T3_mT4_P12ihipStream_tbEUlT_E_NS1_11comp_targetILNS1_3genE2ELNS1_11target_archE906ELNS1_3gpuE6ELNS1_3repE0EEENS1_30default_config_static_selectorELNS0_4arch9wavefront6targetE1EEEvT1_: ; @_ZN7rocprim17ROCPRIM_400000_NS6detail17trampoline_kernelINS0_14default_configENS1_25transform_config_selectorIiLb0EEEZNS1_14transform_implILb0ES3_S5_N6thrust23THRUST_200600_302600_NS6detail15normal_iteratorINS8_10device_ptrIiEEEEPiNS0_8identityIiEEEE10hipError_tT2_T3_mT4_P12ihipStream_tbEUlT_E_NS1_11comp_targetILNS1_3genE2ELNS1_11target_archE906ELNS1_3gpuE6ELNS1_3repE0EEENS1_30default_config_static_selectorELNS0_4arch9wavefront6targetE1EEEvT1_
; %bb.0:
	.section	.rodata,"a",@progbits
	.p2align	6, 0x0
	.amdhsa_kernel _ZN7rocprim17ROCPRIM_400000_NS6detail17trampoline_kernelINS0_14default_configENS1_25transform_config_selectorIiLb0EEEZNS1_14transform_implILb0ES3_S5_N6thrust23THRUST_200600_302600_NS6detail15normal_iteratorINS8_10device_ptrIiEEEEPiNS0_8identityIiEEEE10hipError_tT2_T3_mT4_P12ihipStream_tbEUlT_E_NS1_11comp_targetILNS1_3genE2ELNS1_11target_archE906ELNS1_3gpuE6ELNS1_3repE0EEENS1_30default_config_static_selectorELNS0_4arch9wavefront6targetE1EEEvT1_
		.amdhsa_group_segment_fixed_size 0
		.amdhsa_private_segment_fixed_size 0
		.amdhsa_kernarg_size 40
		.amdhsa_user_sgpr_count 6
		.amdhsa_user_sgpr_private_segment_buffer 1
		.amdhsa_user_sgpr_dispatch_ptr 0
		.amdhsa_user_sgpr_queue_ptr 0
		.amdhsa_user_sgpr_kernarg_segment_ptr 1
		.amdhsa_user_sgpr_dispatch_id 0
		.amdhsa_user_sgpr_flat_scratch_init 0
		.amdhsa_user_sgpr_kernarg_preload_length 0
		.amdhsa_user_sgpr_kernarg_preload_offset 0
		.amdhsa_user_sgpr_private_segment_size 0
		.amdhsa_uses_dynamic_stack 0
		.amdhsa_system_sgpr_private_segment_wavefront_offset 0
		.amdhsa_system_sgpr_workgroup_id_x 1
		.amdhsa_system_sgpr_workgroup_id_y 0
		.amdhsa_system_sgpr_workgroup_id_z 0
		.amdhsa_system_sgpr_workgroup_info 0
		.amdhsa_system_vgpr_workitem_id 0
		.amdhsa_next_free_vgpr 1
		.amdhsa_next_free_sgpr 0
		.amdhsa_accum_offset 4
		.amdhsa_reserve_vcc 0
		.amdhsa_reserve_flat_scratch 0
		.amdhsa_float_round_mode_32 0
		.amdhsa_float_round_mode_16_64 0
		.amdhsa_float_denorm_mode_32 3
		.amdhsa_float_denorm_mode_16_64 3
		.amdhsa_dx10_clamp 1
		.amdhsa_ieee_mode 1
		.amdhsa_fp16_overflow 0
		.amdhsa_tg_split 0
		.amdhsa_exception_fp_ieee_invalid_op 0
		.amdhsa_exception_fp_denorm_src 0
		.amdhsa_exception_fp_ieee_div_zero 0
		.amdhsa_exception_fp_ieee_overflow 0
		.amdhsa_exception_fp_ieee_underflow 0
		.amdhsa_exception_fp_ieee_inexact 0
		.amdhsa_exception_int_div_zero 0
	.end_amdhsa_kernel
	.section	.text._ZN7rocprim17ROCPRIM_400000_NS6detail17trampoline_kernelINS0_14default_configENS1_25transform_config_selectorIiLb0EEEZNS1_14transform_implILb0ES3_S5_N6thrust23THRUST_200600_302600_NS6detail15normal_iteratorINS8_10device_ptrIiEEEEPiNS0_8identityIiEEEE10hipError_tT2_T3_mT4_P12ihipStream_tbEUlT_E_NS1_11comp_targetILNS1_3genE2ELNS1_11target_archE906ELNS1_3gpuE6ELNS1_3repE0EEENS1_30default_config_static_selectorELNS0_4arch9wavefront6targetE1EEEvT1_,"axG",@progbits,_ZN7rocprim17ROCPRIM_400000_NS6detail17trampoline_kernelINS0_14default_configENS1_25transform_config_selectorIiLb0EEEZNS1_14transform_implILb0ES3_S5_N6thrust23THRUST_200600_302600_NS6detail15normal_iteratorINS8_10device_ptrIiEEEEPiNS0_8identityIiEEEE10hipError_tT2_T3_mT4_P12ihipStream_tbEUlT_E_NS1_11comp_targetILNS1_3genE2ELNS1_11target_archE906ELNS1_3gpuE6ELNS1_3repE0EEENS1_30default_config_static_selectorELNS0_4arch9wavefront6targetE1EEEvT1_,comdat
.Lfunc_end1741:
	.size	_ZN7rocprim17ROCPRIM_400000_NS6detail17trampoline_kernelINS0_14default_configENS1_25transform_config_selectorIiLb0EEEZNS1_14transform_implILb0ES3_S5_N6thrust23THRUST_200600_302600_NS6detail15normal_iteratorINS8_10device_ptrIiEEEEPiNS0_8identityIiEEEE10hipError_tT2_T3_mT4_P12ihipStream_tbEUlT_E_NS1_11comp_targetILNS1_3genE2ELNS1_11target_archE906ELNS1_3gpuE6ELNS1_3repE0EEENS1_30default_config_static_selectorELNS0_4arch9wavefront6targetE1EEEvT1_, .Lfunc_end1741-_ZN7rocprim17ROCPRIM_400000_NS6detail17trampoline_kernelINS0_14default_configENS1_25transform_config_selectorIiLb0EEEZNS1_14transform_implILb0ES3_S5_N6thrust23THRUST_200600_302600_NS6detail15normal_iteratorINS8_10device_ptrIiEEEEPiNS0_8identityIiEEEE10hipError_tT2_T3_mT4_P12ihipStream_tbEUlT_E_NS1_11comp_targetILNS1_3genE2ELNS1_11target_archE906ELNS1_3gpuE6ELNS1_3repE0EEENS1_30default_config_static_selectorELNS0_4arch9wavefront6targetE1EEEvT1_
                                        ; -- End function
	.section	.AMDGPU.csdata,"",@progbits
; Kernel info:
; codeLenInByte = 0
; NumSgprs: 4
; NumVgprs: 0
; NumAgprs: 0
; TotalNumVgprs: 0
; ScratchSize: 0
; MemoryBound: 0
; FloatMode: 240
; IeeeMode: 1
; LDSByteSize: 0 bytes/workgroup (compile time only)
; SGPRBlocks: 0
; VGPRBlocks: 0
; NumSGPRsForWavesPerEU: 4
; NumVGPRsForWavesPerEU: 1
; AccumOffset: 4
; Occupancy: 8
; WaveLimiterHint : 0
; COMPUTE_PGM_RSRC2:SCRATCH_EN: 0
; COMPUTE_PGM_RSRC2:USER_SGPR: 6
; COMPUTE_PGM_RSRC2:TRAP_HANDLER: 0
; COMPUTE_PGM_RSRC2:TGID_X_EN: 1
; COMPUTE_PGM_RSRC2:TGID_Y_EN: 0
; COMPUTE_PGM_RSRC2:TGID_Z_EN: 0
; COMPUTE_PGM_RSRC2:TIDIG_COMP_CNT: 0
; COMPUTE_PGM_RSRC3_GFX90A:ACCUM_OFFSET: 0
; COMPUTE_PGM_RSRC3_GFX90A:TG_SPLIT: 0
	.section	.text._ZN7rocprim17ROCPRIM_400000_NS6detail17trampoline_kernelINS0_14default_configENS1_25transform_config_selectorIiLb0EEEZNS1_14transform_implILb0ES3_S5_N6thrust23THRUST_200600_302600_NS6detail15normal_iteratorINS8_10device_ptrIiEEEEPiNS0_8identityIiEEEE10hipError_tT2_T3_mT4_P12ihipStream_tbEUlT_E_NS1_11comp_targetILNS1_3genE10ELNS1_11target_archE1201ELNS1_3gpuE5ELNS1_3repE0EEENS1_30default_config_static_selectorELNS0_4arch9wavefront6targetE1EEEvT1_,"axG",@progbits,_ZN7rocprim17ROCPRIM_400000_NS6detail17trampoline_kernelINS0_14default_configENS1_25transform_config_selectorIiLb0EEEZNS1_14transform_implILb0ES3_S5_N6thrust23THRUST_200600_302600_NS6detail15normal_iteratorINS8_10device_ptrIiEEEEPiNS0_8identityIiEEEE10hipError_tT2_T3_mT4_P12ihipStream_tbEUlT_E_NS1_11comp_targetILNS1_3genE10ELNS1_11target_archE1201ELNS1_3gpuE5ELNS1_3repE0EEENS1_30default_config_static_selectorELNS0_4arch9wavefront6targetE1EEEvT1_,comdat
	.protected	_ZN7rocprim17ROCPRIM_400000_NS6detail17trampoline_kernelINS0_14default_configENS1_25transform_config_selectorIiLb0EEEZNS1_14transform_implILb0ES3_S5_N6thrust23THRUST_200600_302600_NS6detail15normal_iteratorINS8_10device_ptrIiEEEEPiNS0_8identityIiEEEE10hipError_tT2_T3_mT4_P12ihipStream_tbEUlT_E_NS1_11comp_targetILNS1_3genE10ELNS1_11target_archE1201ELNS1_3gpuE5ELNS1_3repE0EEENS1_30default_config_static_selectorELNS0_4arch9wavefront6targetE1EEEvT1_ ; -- Begin function _ZN7rocprim17ROCPRIM_400000_NS6detail17trampoline_kernelINS0_14default_configENS1_25transform_config_selectorIiLb0EEEZNS1_14transform_implILb0ES3_S5_N6thrust23THRUST_200600_302600_NS6detail15normal_iteratorINS8_10device_ptrIiEEEEPiNS0_8identityIiEEEE10hipError_tT2_T3_mT4_P12ihipStream_tbEUlT_E_NS1_11comp_targetILNS1_3genE10ELNS1_11target_archE1201ELNS1_3gpuE5ELNS1_3repE0EEENS1_30default_config_static_selectorELNS0_4arch9wavefront6targetE1EEEvT1_
	.globl	_ZN7rocprim17ROCPRIM_400000_NS6detail17trampoline_kernelINS0_14default_configENS1_25transform_config_selectorIiLb0EEEZNS1_14transform_implILb0ES3_S5_N6thrust23THRUST_200600_302600_NS6detail15normal_iteratorINS8_10device_ptrIiEEEEPiNS0_8identityIiEEEE10hipError_tT2_T3_mT4_P12ihipStream_tbEUlT_E_NS1_11comp_targetILNS1_3genE10ELNS1_11target_archE1201ELNS1_3gpuE5ELNS1_3repE0EEENS1_30default_config_static_selectorELNS0_4arch9wavefront6targetE1EEEvT1_
	.p2align	8
	.type	_ZN7rocprim17ROCPRIM_400000_NS6detail17trampoline_kernelINS0_14default_configENS1_25transform_config_selectorIiLb0EEEZNS1_14transform_implILb0ES3_S5_N6thrust23THRUST_200600_302600_NS6detail15normal_iteratorINS8_10device_ptrIiEEEEPiNS0_8identityIiEEEE10hipError_tT2_T3_mT4_P12ihipStream_tbEUlT_E_NS1_11comp_targetILNS1_3genE10ELNS1_11target_archE1201ELNS1_3gpuE5ELNS1_3repE0EEENS1_30default_config_static_selectorELNS0_4arch9wavefront6targetE1EEEvT1_,@function
_ZN7rocprim17ROCPRIM_400000_NS6detail17trampoline_kernelINS0_14default_configENS1_25transform_config_selectorIiLb0EEEZNS1_14transform_implILb0ES3_S5_N6thrust23THRUST_200600_302600_NS6detail15normal_iteratorINS8_10device_ptrIiEEEEPiNS0_8identityIiEEEE10hipError_tT2_T3_mT4_P12ihipStream_tbEUlT_E_NS1_11comp_targetILNS1_3genE10ELNS1_11target_archE1201ELNS1_3gpuE5ELNS1_3repE0EEENS1_30default_config_static_selectorELNS0_4arch9wavefront6targetE1EEEvT1_: ; @_ZN7rocprim17ROCPRIM_400000_NS6detail17trampoline_kernelINS0_14default_configENS1_25transform_config_selectorIiLb0EEEZNS1_14transform_implILb0ES3_S5_N6thrust23THRUST_200600_302600_NS6detail15normal_iteratorINS8_10device_ptrIiEEEEPiNS0_8identityIiEEEE10hipError_tT2_T3_mT4_P12ihipStream_tbEUlT_E_NS1_11comp_targetILNS1_3genE10ELNS1_11target_archE1201ELNS1_3gpuE5ELNS1_3repE0EEENS1_30default_config_static_selectorELNS0_4arch9wavefront6targetE1EEEvT1_
; %bb.0:
	.section	.rodata,"a",@progbits
	.p2align	6, 0x0
	.amdhsa_kernel _ZN7rocprim17ROCPRIM_400000_NS6detail17trampoline_kernelINS0_14default_configENS1_25transform_config_selectorIiLb0EEEZNS1_14transform_implILb0ES3_S5_N6thrust23THRUST_200600_302600_NS6detail15normal_iteratorINS8_10device_ptrIiEEEEPiNS0_8identityIiEEEE10hipError_tT2_T3_mT4_P12ihipStream_tbEUlT_E_NS1_11comp_targetILNS1_3genE10ELNS1_11target_archE1201ELNS1_3gpuE5ELNS1_3repE0EEENS1_30default_config_static_selectorELNS0_4arch9wavefront6targetE1EEEvT1_
		.amdhsa_group_segment_fixed_size 0
		.amdhsa_private_segment_fixed_size 0
		.amdhsa_kernarg_size 40
		.amdhsa_user_sgpr_count 6
		.amdhsa_user_sgpr_private_segment_buffer 1
		.amdhsa_user_sgpr_dispatch_ptr 0
		.amdhsa_user_sgpr_queue_ptr 0
		.amdhsa_user_sgpr_kernarg_segment_ptr 1
		.amdhsa_user_sgpr_dispatch_id 0
		.amdhsa_user_sgpr_flat_scratch_init 0
		.amdhsa_user_sgpr_kernarg_preload_length 0
		.amdhsa_user_sgpr_kernarg_preload_offset 0
		.amdhsa_user_sgpr_private_segment_size 0
		.amdhsa_uses_dynamic_stack 0
		.amdhsa_system_sgpr_private_segment_wavefront_offset 0
		.amdhsa_system_sgpr_workgroup_id_x 1
		.amdhsa_system_sgpr_workgroup_id_y 0
		.amdhsa_system_sgpr_workgroup_id_z 0
		.amdhsa_system_sgpr_workgroup_info 0
		.amdhsa_system_vgpr_workitem_id 0
		.amdhsa_next_free_vgpr 1
		.amdhsa_next_free_sgpr 0
		.amdhsa_accum_offset 4
		.amdhsa_reserve_vcc 0
		.amdhsa_reserve_flat_scratch 0
		.amdhsa_float_round_mode_32 0
		.amdhsa_float_round_mode_16_64 0
		.amdhsa_float_denorm_mode_32 3
		.amdhsa_float_denorm_mode_16_64 3
		.amdhsa_dx10_clamp 1
		.amdhsa_ieee_mode 1
		.amdhsa_fp16_overflow 0
		.amdhsa_tg_split 0
		.amdhsa_exception_fp_ieee_invalid_op 0
		.amdhsa_exception_fp_denorm_src 0
		.amdhsa_exception_fp_ieee_div_zero 0
		.amdhsa_exception_fp_ieee_overflow 0
		.amdhsa_exception_fp_ieee_underflow 0
		.amdhsa_exception_fp_ieee_inexact 0
		.amdhsa_exception_int_div_zero 0
	.end_amdhsa_kernel
	.section	.text._ZN7rocprim17ROCPRIM_400000_NS6detail17trampoline_kernelINS0_14default_configENS1_25transform_config_selectorIiLb0EEEZNS1_14transform_implILb0ES3_S5_N6thrust23THRUST_200600_302600_NS6detail15normal_iteratorINS8_10device_ptrIiEEEEPiNS0_8identityIiEEEE10hipError_tT2_T3_mT4_P12ihipStream_tbEUlT_E_NS1_11comp_targetILNS1_3genE10ELNS1_11target_archE1201ELNS1_3gpuE5ELNS1_3repE0EEENS1_30default_config_static_selectorELNS0_4arch9wavefront6targetE1EEEvT1_,"axG",@progbits,_ZN7rocprim17ROCPRIM_400000_NS6detail17trampoline_kernelINS0_14default_configENS1_25transform_config_selectorIiLb0EEEZNS1_14transform_implILb0ES3_S5_N6thrust23THRUST_200600_302600_NS6detail15normal_iteratorINS8_10device_ptrIiEEEEPiNS0_8identityIiEEEE10hipError_tT2_T3_mT4_P12ihipStream_tbEUlT_E_NS1_11comp_targetILNS1_3genE10ELNS1_11target_archE1201ELNS1_3gpuE5ELNS1_3repE0EEENS1_30default_config_static_selectorELNS0_4arch9wavefront6targetE1EEEvT1_,comdat
.Lfunc_end1742:
	.size	_ZN7rocprim17ROCPRIM_400000_NS6detail17trampoline_kernelINS0_14default_configENS1_25transform_config_selectorIiLb0EEEZNS1_14transform_implILb0ES3_S5_N6thrust23THRUST_200600_302600_NS6detail15normal_iteratorINS8_10device_ptrIiEEEEPiNS0_8identityIiEEEE10hipError_tT2_T3_mT4_P12ihipStream_tbEUlT_E_NS1_11comp_targetILNS1_3genE10ELNS1_11target_archE1201ELNS1_3gpuE5ELNS1_3repE0EEENS1_30default_config_static_selectorELNS0_4arch9wavefront6targetE1EEEvT1_, .Lfunc_end1742-_ZN7rocprim17ROCPRIM_400000_NS6detail17trampoline_kernelINS0_14default_configENS1_25transform_config_selectorIiLb0EEEZNS1_14transform_implILb0ES3_S5_N6thrust23THRUST_200600_302600_NS6detail15normal_iteratorINS8_10device_ptrIiEEEEPiNS0_8identityIiEEEE10hipError_tT2_T3_mT4_P12ihipStream_tbEUlT_E_NS1_11comp_targetILNS1_3genE10ELNS1_11target_archE1201ELNS1_3gpuE5ELNS1_3repE0EEENS1_30default_config_static_selectorELNS0_4arch9wavefront6targetE1EEEvT1_
                                        ; -- End function
	.section	.AMDGPU.csdata,"",@progbits
; Kernel info:
; codeLenInByte = 0
; NumSgprs: 4
; NumVgprs: 0
; NumAgprs: 0
; TotalNumVgprs: 0
; ScratchSize: 0
; MemoryBound: 0
; FloatMode: 240
; IeeeMode: 1
; LDSByteSize: 0 bytes/workgroup (compile time only)
; SGPRBlocks: 0
; VGPRBlocks: 0
; NumSGPRsForWavesPerEU: 4
; NumVGPRsForWavesPerEU: 1
; AccumOffset: 4
; Occupancy: 8
; WaveLimiterHint : 0
; COMPUTE_PGM_RSRC2:SCRATCH_EN: 0
; COMPUTE_PGM_RSRC2:USER_SGPR: 6
; COMPUTE_PGM_RSRC2:TRAP_HANDLER: 0
; COMPUTE_PGM_RSRC2:TGID_X_EN: 1
; COMPUTE_PGM_RSRC2:TGID_Y_EN: 0
; COMPUTE_PGM_RSRC2:TGID_Z_EN: 0
; COMPUTE_PGM_RSRC2:TIDIG_COMP_CNT: 0
; COMPUTE_PGM_RSRC3_GFX90A:ACCUM_OFFSET: 0
; COMPUTE_PGM_RSRC3_GFX90A:TG_SPLIT: 0
	.section	.text._ZN7rocprim17ROCPRIM_400000_NS6detail17trampoline_kernelINS0_14default_configENS1_25transform_config_selectorIiLb0EEEZNS1_14transform_implILb0ES3_S5_N6thrust23THRUST_200600_302600_NS6detail15normal_iteratorINS8_10device_ptrIiEEEEPiNS0_8identityIiEEEE10hipError_tT2_T3_mT4_P12ihipStream_tbEUlT_E_NS1_11comp_targetILNS1_3genE10ELNS1_11target_archE1200ELNS1_3gpuE4ELNS1_3repE0EEENS1_30default_config_static_selectorELNS0_4arch9wavefront6targetE1EEEvT1_,"axG",@progbits,_ZN7rocprim17ROCPRIM_400000_NS6detail17trampoline_kernelINS0_14default_configENS1_25transform_config_selectorIiLb0EEEZNS1_14transform_implILb0ES3_S5_N6thrust23THRUST_200600_302600_NS6detail15normal_iteratorINS8_10device_ptrIiEEEEPiNS0_8identityIiEEEE10hipError_tT2_T3_mT4_P12ihipStream_tbEUlT_E_NS1_11comp_targetILNS1_3genE10ELNS1_11target_archE1200ELNS1_3gpuE4ELNS1_3repE0EEENS1_30default_config_static_selectorELNS0_4arch9wavefront6targetE1EEEvT1_,comdat
	.protected	_ZN7rocprim17ROCPRIM_400000_NS6detail17trampoline_kernelINS0_14default_configENS1_25transform_config_selectorIiLb0EEEZNS1_14transform_implILb0ES3_S5_N6thrust23THRUST_200600_302600_NS6detail15normal_iteratorINS8_10device_ptrIiEEEEPiNS0_8identityIiEEEE10hipError_tT2_T3_mT4_P12ihipStream_tbEUlT_E_NS1_11comp_targetILNS1_3genE10ELNS1_11target_archE1200ELNS1_3gpuE4ELNS1_3repE0EEENS1_30default_config_static_selectorELNS0_4arch9wavefront6targetE1EEEvT1_ ; -- Begin function _ZN7rocprim17ROCPRIM_400000_NS6detail17trampoline_kernelINS0_14default_configENS1_25transform_config_selectorIiLb0EEEZNS1_14transform_implILb0ES3_S5_N6thrust23THRUST_200600_302600_NS6detail15normal_iteratorINS8_10device_ptrIiEEEEPiNS0_8identityIiEEEE10hipError_tT2_T3_mT4_P12ihipStream_tbEUlT_E_NS1_11comp_targetILNS1_3genE10ELNS1_11target_archE1200ELNS1_3gpuE4ELNS1_3repE0EEENS1_30default_config_static_selectorELNS0_4arch9wavefront6targetE1EEEvT1_
	.globl	_ZN7rocprim17ROCPRIM_400000_NS6detail17trampoline_kernelINS0_14default_configENS1_25transform_config_selectorIiLb0EEEZNS1_14transform_implILb0ES3_S5_N6thrust23THRUST_200600_302600_NS6detail15normal_iteratorINS8_10device_ptrIiEEEEPiNS0_8identityIiEEEE10hipError_tT2_T3_mT4_P12ihipStream_tbEUlT_E_NS1_11comp_targetILNS1_3genE10ELNS1_11target_archE1200ELNS1_3gpuE4ELNS1_3repE0EEENS1_30default_config_static_selectorELNS0_4arch9wavefront6targetE1EEEvT1_
	.p2align	8
	.type	_ZN7rocprim17ROCPRIM_400000_NS6detail17trampoline_kernelINS0_14default_configENS1_25transform_config_selectorIiLb0EEEZNS1_14transform_implILb0ES3_S5_N6thrust23THRUST_200600_302600_NS6detail15normal_iteratorINS8_10device_ptrIiEEEEPiNS0_8identityIiEEEE10hipError_tT2_T3_mT4_P12ihipStream_tbEUlT_E_NS1_11comp_targetILNS1_3genE10ELNS1_11target_archE1200ELNS1_3gpuE4ELNS1_3repE0EEENS1_30default_config_static_selectorELNS0_4arch9wavefront6targetE1EEEvT1_,@function
_ZN7rocprim17ROCPRIM_400000_NS6detail17trampoline_kernelINS0_14default_configENS1_25transform_config_selectorIiLb0EEEZNS1_14transform_implILb0ES3_S5_N6thrust23THRUST_200600_302600_NS6detail15normal_iteratorINS8_10device_ptrIiEEEEPiNS0_8identityIiEEEE10hipError_tT2_T3_mT4_P12ihipStream_tbEUlT_E_NS1_11comp_targetILNS1_3genE10ELNS1_11target_archE1200ELNS1_3gpuE4ELNS1_3repE0EEENS1_30default_config_static_selectorELNS0_4arch9wavefront6targetE1EEEvT1_: ; @_ZN7rocprim17ROCPRIM_400000_NS6detail17trampoline_kernelINS0_14default_configENS1_25transform_config_selectorIiLb0EEEZNS1_14transform_implILb0ES3_S5_N6thrust23THRUST_200600_302600_NS6detail15normal_iteratorINS8_10device_ptrIiEEEEPiNS0_8identityIiEEEE10hipError_tT2_T3_mT4_P12ihipStream_tbEUlT_E_NS1_11comp_targetILNS1_3genE10ELNS1_11target_archE1200ELNS1_3gpuE4ELNS1_3repE0EEENS1_30default_config_static_selectorELNS0_4arch9wavefront6targetE1EEEvT1_
; %bb.0:
	.section	.rodata,"a",@progbits
	.p2align	6, 0x0
	.amdhsa_kernel _ZN7rocprim17ROCPRIM_400000_NS6detail17trampoline_kernelINS0_14default_configENS1_25transform_config_selectorIiLb0EEEZNS1_14transform_implILb0ES3_S5_N6thrust23THRUST_200600_302600_NS6detail15normal_iteratorINS8_10device_ptrIiEEEEPiNS0_8identityIiEEEE10hipError_tT2_T3_mT4_P12ihipStream_tbEUlT_E_NS1_11comp_targetILNS1_3genE10ELNS1_11target_archE1200ELNS1_3gpuE4ELNS1_3repE0EEENS1_30default_config_static_selectorELNS0_4arch9wavefront6targetE1EEEvT1_
		.amdhsa_group_segment_fixed_size 0
		.amdhsa_private_segment_fixed_size 0
		.amdhsa_kernarg_size 40
		.amdhsa_user_sgpr_count 6
		.amdhsa_user_sgpr_private_segment_buffer 1
		.amdhsa_user_sgpr_dispatch_ptr 0
		.amdhsa_user_sgpr_queue_ptr 0
		.amdhsa_user_sgpr_kernarg_segment_ptr 1
		.amdhsa_user_sgpr_dispatch_id 0
		.amdhsa_user_sgpr_flat_scratch_init 0
		.amdhsa_user_sgpr_kernarg_preload_length 0
		.amdhsa_user_sgpr_kernarg_preload_offset 0
		.amdhsa_user_sgpr_private_segment_size 0
		.amdhsa_uses_dynamic_stack 0
		.amdhsa_system_sgpr_private_segment_wavefront_offset 0
		.amdhsa_system_sgpr_workgroup_id_x 1
		.amdhsa_system_sgpr_workgroup_id_y 0
		.amdhsa_system_sgpr_workgroup_id_z 0
		.amdhsa_system_sgpr_workgroup_info 0
		.amdhsa_system_vgpr_workitem_id 0
		.amdhsa_next_free_vgpr 1
		.amdhsa_next_free_sgpr 0
		.amdhsa_accum_offset 4
		.amdhsa_reserve_vcc 0
		.amdhsa_reserve_flat_scratch 0
		.amdhsa_float_round_mode_32 0
		.amdhsa_float_round_mode_16_64 0
		.amdhsa_float_denorm_mode_32 3
		.amdhsa_float_denorm_mode_16_64 3
		.amdhsa_dx10_clamp 1
		.amdhsa_ieee_mode 1
		.amdhsa_fp16_overflow 0
		.amdhsa_tg_split 0
		.amdhsa_exception_fp_ieee_invalid_op 0
		.amdhsa_exception_fp_denorm_src 0
		.amdhsa_exception_fp_ieee_div_zero 0
		.amdhsa_exception_fp_ieee_overflow 0
		.amdhsa_exception_fp_ieee_underflow 0
		.amdhsa_exception_fp_ieee_inexact 0
		.amdhsa_exception_int_div_zero 0
	.end_amdhsa_kernel
	.section	.text._ZN7rocprim17ROCPRIM_400000_NS6detail17trampoline_kernelINS0_14default_configENS1_25transform_config_selectorIiLb0EEEZNS1_14transform_implILb0ES3_S5_N6thrust23THRUST_200600_302600_NS6detail15normal_iteratorINS8_10device_ptrIiEEEEPiNS0_8identityIiEEEE10hipError_tT2_T3_mT4_P12ihipStream_tbEUlT_E_NS1_11comp_targetILNS1_3genE10ELNS1_11target_archE1200ELNS1_3gpuE4ELNS1_3repE0EEENS1_30default_config_static_selectorELNS0_4arch9wavefront6targetE1EEEvT1_,"axG",@progbits,_ZN7rocprim17ROCPRIM_400000_NS6detail17trampoline_kernelINS0_14default_configENS1_25transform_config_selectorIiLb0EEEZNS1_14transform_implILb0ES3_S5_N6thrust23THRUST_200600_302600_NS6detail15normal_iteratorINS8_10device_ptrIiEEEEPiNS0_8identityIiEEEE10hipError_tT2_T3_mT4_P12ihipStream_tbEUlT_E_NS1_11comp_targetILNS1_3genE10ELNS1_11target_archE1200ELNS1_3gpuE4ELNS1_3repE0EEENS1_30default_config_static_selectorELNS0_4arch9wavefront6targetE1EEEvT1_,comdat
.Lfunc_end1743:
	.size	_ZN7rocprim17ROCPRIM_400000_NS6detail17trampoline_kernelINS0_14default_configENS1_25transform_config_selectorIiLb0EEEZNS1_14transform_implILb0ES3_S5_N6thrust23THRUST_200600_302600_NS6detail15normal_iteratorINS8_10device_ptrIiEEEEPiNS0_8identityIiEEEE10hipError_tT2_T3_mT4_P12ihipStream_tbEUlT_E_NS1_11comp_targetILNS1_3genE10ELNS1_11target_archE1200ELNS1_3gpuE4ELNS1_3repE0EEENS1_30default_config_static_selectorELNS0_4arch9wavefront6targetE1EEEvT1_, .Lfunc_end1743-_ZN7rocprim17ROCPRIM_400000_NS6detail17trampoline_kernelINS0_14default_configENS1_25transform_config_selectorIiLb0EEEZNS1_14transform_implILb0ES3_S5_N6thrust23THRUST_200600_302600_NS6detail15normal_iteratorINS8_10device_ptrIiEEEEPiNS0_8identityIiEEEE10hipError_tT2_T3_mT4_P12ihipStream_tbEUlT_E_NS1_11comp_targetILNS1_3genE10ELNS1_11target_archE1200ELNS1_3gpuE4ELNS1_3repE0EEENS1_30default_config_static_selectorELNS0_4arch9wavefront6targetE1EEEvT1_
                                        ; -- End function
	.section	.AMDGPU.csdata,"",@progbits
; Kernel info:
; codeLenInByte = 0
; NumSgprs: 4
; NumVgprs: 0
; NumAgprs: 0
; TotalNumVgprs: 0
; ScratchSize: 0
; MemoryBound: 0
; FloatMode: 240
; IeeeMode: 1
; LDSByteSize: 0 bytes/workgroup (compile time only)
; SGPRBlocks: 0
; VGPRBlocks: 0
; NumSGPRsForWavesPerEU: 4
; NumVGPRsForWavesPerEU: 1
; AccumOffset: 4
; Occupancy: 8
; WaveLimiterHint : 0
; COMPUTE_PGM_RSRC2:SCRATCH_EN: 0
; COMPUTE_PGM_RSRC2:USER_SGPR: 6
; COMPUTE_PGM_RSRC2:TRAP_HANDLER: 0
; COMPUTE_PGM_RSRC2:TGID_X_EN: 1
; COMPUTE_PGM_RSRC2:TGID_Y_EN: 0
; COMPUTE_PGM_RSRC2:TGID_Z_EN: 0
; COMPUTE_PGM_RSRC2:TIDIG_COMP_CNT: 0
; COMPUTE_PGM_RSRC3_GFX90A:ACCUM_OFFSET: 0
; COMPUTE_PGM_RSRC3_GFX90A:TG_SPLIT: 0
	.section	.text._ZN7rocprim17ROCPRIM_400000_NS6detail17trampoline_kernelINS0_14default_configENS1_25transform_config_selectorIiLb0EEEZNS1_14transform_implILb0ES3_S5_N6thrust23THRUST_200600_302600_NS6detail15normal_iteratorINS8_10device_ptrIiEEEEPiNS0_8identityIiEEEE10hipError_tT2_T3_mT4_P12ihipStream_tbEUlT_E_NS1_11comp_targetILNS1_3genE9ELNS1_11target_archE1100ELNS1_3gpuE3ELNS1_3repE0EEENS1_30default_config_static_selectorELNS0_4arch9wavefront6targetE1EEEvT1_,"axG",@progbits,_ZN7rocprim17ROCPRIM_400000_NS6detail17trampoline_kernelINS0_14default_configENS1_25transform_config_selectorIiLb0EEEZNS1_14transform_implILb0ES3_S5_N6thrust23THRUST_200600_302600_NS6detail15normal_iteratorINS8_10device_ptrIiEEEEPiNS0_8identityIiEEEE10hipError_tT2_T3_mT4_P12ihipStream_tbEUlT_E_NS1_11comp_targetILNS1_3genE9ELNS1_11target_archE1100ELNS1_3gpuE3ELNS1_3repE0EEENS1_30default_config_static_selectorELNS0_4arch9wavefront6targetE1EEEvT1_,comdat
	.protected	_ZN7rocprim17ROCPRIM_400000_NS6detail17trampoline_kernelINS0_14default_configENS1_25transform_config_selectorIiLb0EEEZNS1_14transform_implILb0ES3_S5_N6thrust23THRUST_200600_302600_NS6detail15normal_iteratorINS8_10device_ptrIiEEEEPiNS0_8identityIiEEEE10hipError_tT2_T3_mT4_P12ihipStream_tbEUlT_E_NS1_11comp_targetILNS1_3genE9ELNS1_11target_archE1100ELNS1_3gpuE3ELNS1_3repE0EEENS1_30default_config_static_selectorELNS0_4arch9wavefront6targetE1EEEvT1_ ; -- Begin function _ZN7rocprim17ROCPRIM_400000_NS6detail17trampoline_kernelINS0_14default_configENS1_25transform_config_selectorIiLb0EEEZNS1_14transform_implILb0ES3_S5_N6thrust23THRUST_200600_302600_NS6detail15normal_iteratorINS8_10device_ptrIiEEEEPiNS0_8identityIiEEEE10hipError_tT2_T3_mT4_P12ihipStream_tbEUlT_E_NS1_11comp_targetILNS1_3genE9ELNS1_11target_archE1100ELNS1_3gpuE3ELNS1_3repE0EEENS1_30default_config_static_selectorELNS0_4arch9wavefront6targetE1EEEvT1_
	.globl	_ZN7rocprim17ROCPRIM_400000_NS6detail17trampoline_kernelINS0_14default_configENS1_25transform_config_selectorIiLb0EEEZNS1_14transform_implILb0ES3_S5_N6thrust23THRUST_200600_302600_NS6detail15normal_iteratorINS8_10device_ptrIiEEEEPiNS0_8identityIiEEEE10hipError_tT2_T3_mT4_P12ihipStream_tbEUlT_E_NS1_11comp_targetILNS1_3genE9ELNS1_11target_archE1100ELNS1_3gpuE3ELNS1_3repE0EEENS1_30default_config_static_selectorELNS0_4arch9wavefront6targetE1EEEvT1_
	.p2align	8
	.type	_ZN7rocprim17ROCPRIM_400000_NS6detail17trampoline_kernelINS0_14default_configENS1_25transform_config_selectorIiLb0EEEZNS1_14transform_implILb0ES3_S5_N6thrust23THRUST_200600_302600_NS6detail15normal_iteratorINS8_10device_ptrIiEEEEPiNS0_8identityIiEEEE10hipError_tT2_T3_mT4_P12ihipStream_tbEUlT_E_NS1_11comp_targetILNS1_3genE9ELNS1_11target_archE1100ELNS1_3gpuE3ELNS1_3repE0EEENS1_30default_config_static_selectorELNS0_4arch9wavefront6targetE1EEEvT1_,@function
_ZN7rocprim17ROCPRIM_400000_NS6detail17trampoline_kernelINS0_14default_configENS1_25transform_config_selectorIiLb0EEEZNS1_14transform_implILb0ES3_S5_N6thrust23THRUST_200600_302600_NS6detail15normal_iteratorINS8_10device_ptrIiEEEEPiNS0_8identityIiEEEE10hipError_tT2_T3_mT4_P12ihipStream_tbEUlT_E_NS1_11comp_targetILNS1_3genE9ELNS1_11target_archE1100ELNS1_3gpuE3ELNS1_3repE0EEENS1_30default_config_static_selectorELNS0_4arch9wavefront6targetE1EEEvT1_: ; @_ZN7rocprim17ROCPRIM_400000_NS6detail17trampoline_kernelINS0_14default_configENS1_25transform_config_selectorIiLb0EEEZNS1_14transform_implILb0ES3_S5_N6thrust23THRUST_200600_302600_NS6detail15normal_iteratorINS8_10device_ptrIiEEEEPiNS0_8identityIiEEEE10hipError_tT2_T3_mT4_P12ihipStream_tbEUlT_E_NS1_11comp_targetILNS1_3genE9ELNS1_11target_archE1100ELNS1_3gpuE3ELNS1_3repE0EEENS1_30default_config_static_selectorELNS0_4arch9wavefront6targetE1EEEvT1_
; %bb.0:
	.section	.rodata,"a",@progbits
	.p2align	6, 0x0
	.amdhsa_kernel _ZN7rocprim17ROCPRIM_400000_NS6detail17trampoline_kernelINS0_14default_configENS1_25transform_config_selectorIiLb0EEEZNS1_14transform_implILb0ES3_S5_N6thrust23THRUST_200600_302600_NS6detail15normal_iteratorINS8_10device_ptrIiEEEEPiNS0_8identityIiEEEE10hipError_tT2_T3_mT4_P12ihipStream_tbEUlT_E_NS1_11comp_targetILNS1_3genE9ELNS1_11target_archE1100ELNS1_3gpuE3ELNS1_3repE0EEENS1_30default_config_static_selectorELNS0_4arch9wavefront6targetE1EEEvT1_
		.amdhsa_group_segment_fixed_size 0
		.amdhsa_private_segment_fixed_size 0
		.amdhsa_kernarg_size 40
		.amdhsa_user_sgpr_count 6
		.amdhsa_user_sgpr_private_segment_buffer 1
		.amdhsa_user_sgpr_dispatch_ptr 0
		.amdhsa_user_sgpr_queue_ptr 0
		.amdhsa_user_sgpr_kernarg_segment_ptr 1
		.amdhsa_user_sgpr_dispatch_id 0
		.amdhsa_user_sgpr_flat_scratch_init 0
		.amdhsa_user_sgpr_kernarg_preload_length 0
		.amdhsa_user_sgpr_kernarg_preload_offset 0
		.amdhsa_user_sgpr_private_segment_size 0
		.amdhsa_uses_dynamic_stack 0
		.amdhsa_system_sgpr_private_segment_wavefront_offset 0
		.amdhsa_system_sgpr_workgroup_id_x 1
		.amdhsa_system_sgpr_workgroup_id_y 0
		.amdhsa_system_sgpr_workgroup_id_z 0
		.amdhsa_system_sgpr_workgroup_info 0
		.amdhsa_system_vgpr_workitem_id 0
		.amdhsa_next_free_vgpr 1
		.amdhsa_next_free_sgpr 0
		.amdhsa_accum_offset 4
		.amdhsa_reserve_vcc 0
		.amdhsa_reserve_flat_scratch 0
		.amdhsa_float_round_mode_32 0
		.amdhsa_float_round_mode_16_64 0
		.amdhsa_float_denorm_mode_32 3
		.amdhsa_float_denorm_mode_16_64 3
		.amdhsa_dx10_clamp 1
		.amdhsa_ieee_mode 1
		.amdhsa_fp16_overflow 0
		.amdhsa_tg_split 0
		.amdhsa_exception_fp_ieee_invalid_op 0
		.amdhsa_exception_fp_denorm_src 0
		.amdhsa_exception_fp_ieee_div_zero 0
		.amdhsa_exception_fp_ieee_overflow 0
		.amdhsa_exception_fp_ieee_underflow 0
		.amdhsa_exception_fp_ieee_inexact 0
		.amdhsa_exception_int_div_zero 0
	.end_amdhsa_kernel
	.section	.text._ZN7rocprim17ROCPRIM_400000_NS6detail17trampoline_kernelINS0_14default_configENS1_25transform_config_selectorIiLb0EEEZNS1_14transform_implILb0ES3_S5_N6thrust23THRUST_200600_302600_NS6detail15normal_iteratorINS8_10device_ptrIiEEEEPiNS0_8identityIiEEEE10hipError_tT2_T3_mT4_P12ihipStream_tbEUlT_E_NS1_11comp_targetILNS1_3genE9ELNS1_11target_archE1100ELNS1_3gpuE3ELNS1_3repE0EEENS1_30default_config_static_selectorELNS0_4arch9wavefront6targetE1EEEvT1_,"axG",@progbits,_ZN7rocprim17ROCPRIM_400000_NS6detail17trampoline_kernelINS0_14default_configENS1_25transform_config_selectorIiLb0EEEZNS1_14transform_implILb0ES3_S5_N6thrust23THRUST_200600_302600_NS6detail15normal_iteratorINS8_10device_ptrIiEEEEPiNS0_8identityIiEEEE10hipError_tT2_T3_mT4_P12ihipStream_tbEUlT_E_NS1_11comp_targetILNS1_3genE9ELNS1_11target_archE1100ELNS1_3gpuE3ELNS1_3repE0EEENS1_30default_config_static_selectorELNS0_4arch9wavefront6targetE1EEEvT1_,comdat
.Lfunc_end1744:
	.size	_ZN7rocprim17ROCPRIM_400000_NS6detail17trampoline_kernelINS0_14default_configENS1_25transform_config_selectorIiLb0EEEZNS1_14transform_implILb0ES3_S5_N6thrust23THRUST_200600_302600_NS6detail15normal_iteratorINS8_10device_ptrIiEEEEPiNS0_8identityIiEEEE10hipError_tT2_T3_mT4_P12ihipStream_tbEUlT_E_NS1_11comp_targetILNS1_3genE9ELNS1_11target_archE1100ELNS1_3gpuE3ELNS1_3repE0EEENS1_30default_config_static_selectorELNS0_4arch9wavefront6targetE1EEEvT1_, .Lfunc_end1744-_ZN7rocprim17ROCPRIM_400000_NS6detail17trampoline_kernelINS0_14default_configENS1_25transform_config_selectorIiLb0EEEZNS1_14transform_implILb0ES3_S5_N6thrust23THRUST_200600_302600_NS6detail15normal_iteratorINS8_10device_ptrIiEEEEPiNS0_8identityIiEEEE10hipError_tT2_T3_mT4_P12ihipStream_tbEUlT_E_NS1_11comp_targetILNS1_3genE9ELNS1_11target_archE1100ELNS1_3gpuE3ELNS1_3repE0EEENS1_30default_config_static_selectorELNS0_4arch9wavefront6targetE1EEEvT1_
                                        ; -- End function
	.section	.AMDGPU.csdata,"",@progbits
; Kernel info:
; codeLenInByte = 0
; NumSgprs: 4
; NumVgprs: 0
; NumAgprs: 0
; TotalNumVgprs: 0
; ScratchSize: 0
; MemoryBound: 0
; FloatMode: 240
; IeeeMode: 1
; LDSByteSize: 0 bytes/workgroup (compile time only)
; SGPRBlocks: 0
; VGPRBlocks: 0
; NumSGPRsForWavesPerEU: 4
; NumVGPRsForWavesPerEU: 1
; AccumOffset: 4
; Occupancy: 8
; WaveLimiterHint : 0
; COMPUTE_PGM_RSRC2:SCRATCH_EN: 0
; COMPUTE_PGM_RSRC2:USER_SGPR: 6
; COMPUTE_PGM_RSRC2:TRAP_HANDLER: 0
; COMPUTE_PGM_RSRC2:TGID_X_EN: 1
; COMPUTE_PGM_RSRC2:TGID_Y_EN: 0
; COMPUTE_PGM_RSRC2:TGID_Z_EN: 0
; COMPUTE_PGM_RSRC2:TIDIG_COMP_CNT: 0
; COMPUTE_PGM_RSRC3_GFX90A:ACCUM_OFFSET: 0
; COMPUTE_PGM_RSRC3_GFX90A:TG_SPLIT: 0
	.section	.text._ZN7rocprim17ROCPRIM_400000_NS6detail17trampoline_kernelINS0_14default_configENS1_25transform_config_selectorIiLb0EEEZNS1_14transform_implILb0ES3_S5_N6thrust23THRUST_200600_302600_NS6detail15normal_iteratorINS8_10device_ptrIiEEEEPiNS0_8identityIiEEEE10hipError_tT2_T3_mT4_P12ihipStream_tbEUlT_E_NS1_11comp_targetILNS1_3genE8ELNS1_11target_archE1030ELNS1_3gpuE2ELNS1_3repE0EEENS1_30default_config_static_selectorELNS0_4arch9wavefront6targetE1EEEvT1_,"axG",@progbits,_ZN7rocprim17ROCPRIM_400000_NS6detail17trampoline_kernelINS0_14default_configENS1_25transform_config_selectorIiLb0EEEZNS1_14transform_implILb0ES3_S5_N6thrust23THRUST_200600_302600_NS6detail15normal_iteratorINS8_10device_ptrIiEEEEPiNS0_8identityIiEEEE10hipError_tT2_T3_mT4_P12ihipStream_tbEUlT_E_NS1_11comp_targetILNS1_3genE8ELNS1_11target_archE1030ELNS1_3gpuE2ELNS1_3repE0EEENS1_30default_config_static_selectorELNS0_4arch9wavefront6targetE1EEEvT1_,comdat
	.protected	_ZN7rocprim17ROCPRIM_400000_NS6detail17trampoline_kernelINS0_14default_configENS1_25transform_config_selectorIiLb0EEEZNS1_14transform_implILb0ES3_S5_N6thrust23THRUST_200600_302600_NS6detail15normal_iteratorINS8_10device_ptrIiEEEEPiNS0_8identityIiEEEE10hipError_tT2_T3_mT4_P12ihipStream_tbEUlT_E_NS1_11comp_targetILNS1_3genE8ELNS1_11target_archE1030ELNS1_3gpuE2ELNS1_3repE0EEENS1_30default_config_static_selectorELNS0_4arch9wavefront6targetE1EEEvT1_ ; -- Begin function _ZN7rocprim17ROCPRIM_400000_NS6detail17trampoline_kernelINS0_14default_configENS1_25transform_config_selectorIiLb0EEEZNS1_14transform_implILb0ES3_S5_N6thrust23THRUST_200600_302600_NS6detail15normal_iteratorINS8_10device_ptrIiEEEEPiNS0_8identityIiEEEE10hipError_tT2_T3_mT4_P12ihipStream_tbEUlT_E_NS1_11comp_targetILNS1_3genE8ELNS1_11target_archE1030ELNS1_3gpuE2ELNS1_3repE0EEENS1_30default_config_static_selectorELNS0_4arch9wavefront6targetE1EEEvT1_
	.globl	_ZN7rocprim17ROCPRIM_400000_NS6detail17trampoline_kernelINS0_14default_configENS1_25transform_config_selectorIiLb0EEEZNS1_14transform_implILb0ES3_S5_N6thrust23THRUST_200600_302600_NS6detail15normal_iteratorINS8_10device_ptrIiEEEEPiNS0_8identityIiEEEE10hipError_tT2_T3_mT4_P12ihipStream_tbEUlT_E_NS1_11comp_targetILNS1_3genE8ELNS1_11target_archE1030ELNS1_3gpuE2ELNS1_3repE0EEENS1_30default_config_static_selectorELNS0_4arch9wavefront6targetE1EEEvT1_
	.p2align	8
	.type	_ZN7rocprim17ROCPRIM_400000_NS6detail17trampoline_kernelINS0_14default_configENS1_25transform_config_selectorIiLb0EEEZNS1_14transform_implILb0ES3_S5_N6thrust23THRUST_200600_302600_NS6detail15normal_iteratorINS8_10device_ptrIiEEEEPiNS0_8identityIiEEEE10hipError_tT2_T3_mT4_P12ihipStream_tbEUlT_E_NS1_11comp_targetILNS1_3genE8ELNS1_11target_archE1030ELNS1_3gpuE2ELNS1_3repE0EEENS1_30default_config_static_selectorELNS0_4arch9wavefront6targetE1EEEvT1_,@function
_ZN7rocprim17ROCPRIM_400000_NS6detail17trampoline_kernelINS0_14default_configENS1_25transform_config_selectorIiLb0EEEZNS1_14transform_implILb0ES3_S5_N6thrust23THRUST_200600_302600_NS6detail15normal_iteratorINS8_10device_ptrIiEEEEPiNS0_8identityIiEEEE10hipError_tT2_T3_mT4_P12ihipStream_tbEUlT_E_NS1_11comp_targetILNS1_3genE8ELNS1_11target_archE1030ELNS1_3gpuE2ELNS1_3repE0EEENS1_30default_config_static_selectorELNS0_4arch9wavefront6targetE1EEEvT1_: ; @_ZN7rocprim17ROCPRIM_400000_NS6detail17trampoline_kernelINS0_14default_configENS1_25transform_config_selectorIiLb0EEEZNS1_14transform_implILb0ES3_S5_N6thrust23THRUST_200600_302600_NS6detail15normal_iteratorINS8_10device_ptrIiEEEEPiNS0_8identityIiEEEE10hipError_tT2_T3_mT4_P12ihipStream_tbEUlT_E_NS1_11comp_targetILNS1_3genE8ELNS1_11target_archE1030ELNS1_3gpuE2ELNS1_3repE0EEENS1_30default_config_static_selectorELNS0_4arch9wavefront6targetE1EEEvT1_
; %bb.0:
	.section	.rodata,"a",@progbits
	.p2align	6, 0x0
	.amdhsa_kernel _ZN7rocprim17ROCPRIM_400000_NS6detail17trampoline_kernelINS0_14default_configENS1_25transform_config_selectorIiLb0EEEZNS1_14transform_implILb0ES3_S5_N6thrust23THRUST_200600_302600_NS6detail15normal_iteratorINS8_10device_ptrIiEEEEPiNS0_8identityIiEEEE10hipError_tT2_T3_mT4_P12ihipStream_tbEUlT_E_NS1_11comp_targetILNS1_3genE8ELNS1_11target_archE1030ELNS1_3gpuE2ELNS1_3repE0EEENS1_30default_config_static_selectorELNS0_4arch9wavefront6targetE1EEEvT1_
		.amdhsa_group_segment_fixed_size 0
		.amdhsa_private_segment_fixed_size 0
		.amdhsa_kernarg_size 40
		.amdhsa_user_sgpr_count 6
		.amdhsa_user_sgpr_private_segment_buffer 1
		.amdhsa_user_sgpr_dispatch_ptr 0
		.amdhsa_user_sgpr_queue_ptr 0
		.amdhsa_user_sgpr_kernarg_segment_ptr 1
		.amdhsa_user_sgpr_dispatch_id 0
		.amdhsa_user_sgpr_flat_scratch_init 0
		.amdhsa_user_sgpr_kernarg_preload_length 0
		.amdhsa_user_sgpr_kernarg_preload_offset 0
		.amdhsa_user_sgpr_private_segment_size 0
		.amdhsa_uses_dynamic_stack 0
		.amdhsa_system_sgpr_private_segment_wavefront_offset 0
		.amdhsa_system_sgpr_workgroup_id_x 1
		.amdhsa_system_sgpr_workgroup_id_y 0
		.amdhsa_system_sgpr_workgroup_id_z 0
		.amdhsa_system_sgpr_workgroup_info 0
		.amdhsa_system_vgpr_workitem_id 0
		.amdhsa_next_free_vgpr 1
		.amdhsa_next_free_sgpr 0
		.amdhsa_accum_offset 4
		.amdhsa_reserve_vcc 0
		.amdhsa_reserve_flat_scratch 0
		.amdhsa_float_round_mode_32 0
		.amdhsa_float_round_mode_16_64 0
		.amdhsa_float_denorm_mode_32 3
		.amdhsa_float_denorm_mode_16_64 3
		.amdhsa_dx10_clamp 1
		.amdhsa_ieee_mode 1
		.amdhsa_fp16_overflow 0
		.amdhsa_tg_split 0
		.amdhsa_exception_fp_ieee_invalid_op 0
		.amdhsa_exception_fp_denorm_src 0
		.amdhsa_exception_fp_ieee_div_zero 0
		.amdhsa_exception_fp_ieee_overflow 0
		.amdhsa_exception_fp_ieee_underflow 0
		.amdhsa_exception_fp_ieee_inexact 0
		.amdhsa_exception_int_div_zero 0
	.end_amdhsa_kernel
	.section	.text._ZN7rocprim17ROCPRIM_400000_NS6detail17trampoline_kernelINS0_14default_configENS1_25transform_config_selectorIiLb0EEEZNS1_14transform_implILb0ES3_S5_N6thrust23THRUST_200600_302600_NS6detail15normal_iteratorINS8_10device_ptrIiEEEEPiNS0_8identityIiEEEE10hipError_tT2_T3_mT4_P12ihipStream_tbEUlT_E_NS1_11comp_targetILNS1_3genE8ELNS1_11target_archE1030ELNS1_3gpuE2ELNS1_3repE0EEENS1_30default_config_static_selectorELNS0_4arch9wavefront6targetE1EEEvT1_,"axG",@progbits,_ZN7rocprim17ROCPRIM_400000_NS6detail17trampoline_kernelINS0_14default_configENS1_25transform_config_selectorIiLb0EEEZNS1_14transform_implILb0ES3_S5_N6thrust23THRUST_200600_302600_NS6detail15normal_iteratorINS8_10device_ptrIiEEEEPiNS0_8identityIiEEEE10hipError_tT2_T3_mT4_P12ihipStream_tbEUlT_E_NS1_11comp_targetILNS1_3genE8ELNS1_11target_archE1030ELNS1_3gpuE2ELNS1_3repE0EEENS1_30default_config_static_selectorELNS0_4arch9wavefront6targetE1EEEvT1_,comdat
.Lfunc_end1745:
	.size	_ZN7rocprim17ROCPRIM_400000_NS6detail17trampoline_kernelINS0_14default_configENS1_25transform_config_selectorIiLb0EEEZNS1_14transform_implILb0ES3_S5_N6thrust23THRUST_200600_302600_NS6detail15normal_iteratorINS8_10device_ptrIiEEEEPiNS0_8identityIiEEEE10hipError_tT2_T3_mT4_P12ihipStream_tbEUlT_E_NS1_11comp_targetILNS1_3genE8ELNS1_11target_archE1030ELNS1_3gpuE2ELNS1_3repE0EEENS1_30default_config_static_selectorELNS0_4arch9wavefront6targetE1EEEvT1_, .Lfunc_end1745-_ZN7rocprim17ROCPRIM_400000_NS6detail17trampoline_kernelINS0_14default_configENS1_25transform_config_selectorIiLb0EEEZNS1_14transform_implILb0ES3_S5_N6thrust23THRUST_200600_302600_NS6detail15normal_iteratorINS8_10device_ptrIiEEEEPiNS0_8identityIiEEEE10hipError_tT2_T3_mT4_P12ihipStream_tbEUlT_E_NS1_11comp_targetILNS1_3genE8ELNS1_11target_archE1030ELNS1_3gpuE2ELNS1_3repE0EEENS1_30default_config_static_selectorELNS0_4arch9wavefront6targetE1EEEvT1_
                                        ; -- End function
	.section	.AMDGPU.csdata,"",@progbits
; Kernel info:
; codeLenInByte = 0
; NumSgprs: 4
; NumVgprs: 0
; NumAgprs: 0
; TotalNumVgprs: 0
; ScratchSize: 0
; MemoryBound: 0
; FloatMode: 240
; IeeeMode: 1
; LDSByteSize: 0 bytes/workgroup (compile time only)
; SGPRBlocks: 0
; VGPRBlocks: 0
; NumSGPRsForWavesPerEU: 4
; NumVGPRsForWavesPerEU: 1
; AccumOffset: 4
; Occupancy: 8
; WaveLimiterHint : 0
; COMPUTE_PGM_RSRC2:SCRATCH_EN: 0
; COMPUTE_PGM_RSRC2:USER_SGPR: 6
; COMPUTE_PGM_RSRC2:TRAP_HANDLER: 0
; COMPUTE_PGM_RSRC2:TGID_X_EN: 1
; COMPUTE_PGM_RSRC2:TGID_Y_EN: 0
; COMPUTE_PGM_RSRC2:TGID_Z_EN: 0
; COMPUTE_PGM_RSRC2:TIDIG_COMP_CNT: 0
; COMPUTE_PGM_RSRC3_GFX90A:ACCUM_OFFSET: 0
; COMPUTE_PGM_RSRC3_GFX90A:TG_SPLIT: 0
	.section	.text._ZN7rocprim17ROCPRIM_400000_NS6detail17trampoline_kernelINS0_14default_configENS1_35radix_sort_onesweep_config_selectorIiNS0_10empty_typeEEEZZNS1_29radix_sort_onesweep_iterationIS3_Lb0EN6thrust23THRUST_200600_302600_NS6detail15normal_iteratorINS9_10device_ptrIiEEEESE_PS5_SF_jNS0_19identity_decomposerENS1_16block_id_wrapperIjLb1EEEEE10hipError_tT1_PNSt15iterator_traitsISK_E10value_typeET2_T3_PNSL_ISQ_E10value_typeET4_T5_PSV_SW_PNS1_23onesweep_lookback_stateEbbT6_jjT7_P12ihipStream_tbENKUlT_T0_SK_SP_E_clISE_SE_SF_SF_EEDaS13_S14_SK_SP_EUlS13_E_NS1_11comp_targetILNS1_3genE0ELNS1_11target_archE4294967295ELNS1_3gpuE0ELNS1_3repE0EEENS1_47radix_sort_onesweep_sort_config_static_selectorELNS0_4arch9wavefront6targetE1EEEvSK_,"axG",@progbits,_ZN7rocprim17ROCPRIM_400000_NS6detail17trampoline_kernelINS0_14default_configENS1_35radix_sort_onesweep_config_selectorIiNS0_10empty_typeEEEZZNS1_29radix_sort_onesweep_iterationIS3_Lb0EN6thrust23THRUST_200600_302600_NS6detail15normal_iteratorINS9_10device_ptrIiEEEESE_PS5_SF_jNS0_19identity_decomposerENS1_16block_id_wrapperIjLb1EEEEE10hipError_tT1_PNSt15iterator_traitsISK_E10value_typeET2_T3_PNSL_ISQ_E10value_typeET4_T5_PSV_SW_PNS1_23onesweep_lookback_stateEbbT6_jjT7_P12ihipStream_tbENKUlT_T0_SK_SP_E_clISE_SE_SF_SF_EEDaS13_S14_SK_SP_EUlS13_E_NS1_11comp_targetILNS1_3genE0ELNS1_11target_archE4294967295ELNS1_3gpuE0ELNS1_3repE0EEENS1_47radix_sort_onesweep_sort_config_static_selectorELNS0_4arch9wavefront6targetE1EEEvSK_,comdat
	.protected	_ZN7rocprim17ROCPRIM_400000_NS6detail17trampoline_kernelINS0_14default_configENS1_35radix_sort_onesweep_config_selectorIiNS0_10empty_typeEEEZZNS1_29radix_sort_onesweep_iterationIS3_Lb0EN6thrust23THRUST_200600_302600_NS6detail15normal_iteratorINS9_10device_ptrIiEEEESE_PS5_SF_jNS0_19identity_decomposerENS1_16block_id_wrapperIjLb1EEEEE10hipError_tT1_PNSt15iterator_traitsISK_E10value_typeET2_T3_PNSL_ISQ_E10value_typeET4_T5_PSV_SW_PNS1_23onesweep_lookback_stateEbbT6_jjT7_P12ihipStream_tbENKUlT_T0_SK_SP_E_clISE_SE_SF_SF_EEDaS13_S14_SK_SP_EUlS13_E_NS1_11comp_targetILNS1_3genE0ELNS1_11target_archE4294967295ELNS1_3gpuE0ELNS1_3repE0EEENS1_47radix_sort_onesweep_sort_config_static_selectorELNS0_4arch9wavefront6targetE1EEEvSK_ ; -- Begin function _ZN7rocprim17ROCPRIM_400000_NS6detail17trampoline_kernelINS0_14default_configENS1_35radix_sort_onesweep_config_selectorIiNS0_10empty_typeEEEZZNS1_29radix_sort_onesweep_iterationIS3_Lb0EN6thrust23THRUST_200600_302600_NS6detail15normal_iteratorINS9_10device_ptrIiEEEESE_PS5_SF_jNS0_19identity_decomposerENS1_16block_id_wrapperIjLb1EEEEE10hipError_tT1_PNSt15iterator_traitsISK_E10value_typeET2_T3_PNSL_ISQ_E10value_typeET4_T5_PSV_SW_PNS1_23onesweep_lookback_stateEbbT6_jjT7_P12ihipStream_tbENKUlT_T0_SK_SP_E_clISE_SE_SF_SF_EEDaS13_S14_SK_SP_EUlS13_E_NS1_11comp_targetILNS1_3genE0ELNS1_11target_archE4294967295ELNS1_3gpuE0ELNS1_3repE0EEENS1_47radix_sort_onesweep_sort_config_static_selectorELNS0_4arch9wavefront6targetE1EEEvSK_
	.globl	_ZN7rocprim17ROCPRIM_400000_NS6detail17trampoline_kernelINS0_14default_configENS1_35radix_sort_onesweep_config_selectorIiNS0_10empty_typeEEEZZNS1_29radix_sort_onesweep_iterationIS3_Lb0EN6thrust23THRUST_200600_302600_NS6detail15normal_iteratorINS9_10device_ptrIiEEEESE_PS5_SF_jNS0_19identity_decomposerENS1_16block_id_wrapperIjLb1EEEEE10hipError_tT1_PNSt15iterator_traitsISK_E10value_typeET2_T3_PNSL_ISQ_E10value_typeET4_T5_PSV_SW_PNS1_23onesweep_lookback_stateEbbT6_jjT7_P12ihipStream_tbENKUlT_T0_SK_SP_E_clISE_SE_SF_SF_EEDaS13_S14_SK_SP_EUlS13_E_NS1_11comp_targetILNS1_3genE0ELNS1_11target_archE4294967295ELNS1_3gpuE0ELNS1_3repE0EEENS1_47radix_sort_onesweep_sort_config_static_selectorELNS0_4arch9wavefront6targetE1EEEvSK_
	.p2align	8
	.type	_ZN7rocprim17ROCPRIM_400000_NS6detail17trampoline_kernelINS0_14default_configENS1_35radix_sort_onesweep_config_selectorIiNS0_10empty_typeEEEZZNS1_29radix_sort_onesweep_iterationIS3_Lb0EN6thrust23THRUST_200600_302600_NS6detail15normal_iteratorINS9_10device_ptrIiEEEESE_PS5_SF_jNS0_19identity_decomposerENS1_16block_id_wrapperIjLb1EEEEE10hipError_tT1_PNSt15iterator_traitsISK_E10value_typeET2_T3_PNSL_ISQ_E10value_typeET4_T5_PSV_SW_PNS1_23onesweep_lookback_stateEbbT6_jjT7_P12ihipStream_tbENKUlT_T0_SK_SP_E_clISE_SE_SF_SF_EEDaS13_S14_SK_SP_EUlS13_E_NS1_11comp_targetILNS1_3genE0ELNS1_11target_archE4294967295ELNS1_3gpuE0ELNS1_3repE0EEENS1_47radix_sort_onesweep_sort_config_static_selectorELNS0_4arch9wavefront6targetE1EEEvSK_,@function
_ZN7rocprim17ROCPRIM_400000_NS6detail17trampoline_kernelINS0_14default_configENS1_35radix_sort_onesweep_config_selectorIiNS0_10empty_typeEEEZZNS1_29radix_sort_onesweep_iterationIS3_Lb0EN6thrust23THRUST_200600_302600_NS6detail15normal_iteratorINS9_10device_ptrIiEEEESE_PS5_SF_jNS0_19identity_decomposerENS1_16block_id_wrapperIjLb1EEEEE10hipError_tT1_PNSt15iterator_traitsISK_E10value_typeET2_T3_PNSL_ISQ_E10value_typeET4_T5_PSV_SW_PNS1_23onesweep_lookback_stateEbbT6_jjT7_P12ihipStream_tbENKUlT_T0_SK_SP_E_clISE_SE_SF_SF_EEDaS13_S14_SK_SP_EUlS13_E_NS1_11comp_targetILNS1_3genE0ELNS1_11target_archE4294967295ELNS1_3gpuE0ELNS1_3repE0EEENS1_47radix_sort_onesweep_sort_config_static_selectorELNS0_4arch9wavefront6targetE1EEEvSK_: ; @_ZN7rocprim17ROCPRIM_400000_NS6detail17trampoline_kernelINS0_14default_configENS1_35radix_sort_onesweep_config_selectorIiNS0_10empty_typeEEEZZNS1_29radix_sort_onesweep_iterationIS3_Lb0EN6thrust23THRUST_200600_302600_NS6detail15normal_iteratorINS9_10device_ptrIiEEEESE_PS5_SF_jNS0_19identity_decomposerENS1_16block_id_wrapperIjLb1EEEEE10hipError_tT1_PNSt15iterator_traitsISK_E10value_typeET2_T3_PNSL_ISQ_E10value_typeET4_T5_PSV_SW_PNS1_23onesweep_lookback_stateEbbT6_jjT7_P12ihipStream_tbENKUlT_T0_SK_SP_E_clISE_SE_SF_SF_EEDaS13_S14_SK_SP_EUlS13_E_NS1_11comp_targetILNS1_3genE0ELNS1_11target_archE4294967295ELNS1_3gpuE0ELNS1_3repE0EEENS1_47radix_sort_onesweep_sort_config_static_selectorELNS0_4arch9wavefront6targetE1EEEvSK_
; %bb.0:
	.section	.rodata,"a",@progbits
	.p2align	6, 0x0
	.amdhsa_kernel _ZN7rocprim17ROCPRIM_400000_NS6detail17trampoline_kernelINS0_14default_configENS1_35radix_sort_onesweep_config_selectorIiNS0_10empty_typeEEEZZNS1_29radix_sort_onesweep_iterationIS3_Lb0EN6thrust23THRUST_200600_302600_NS6detail15normal_iteratorINS9_10device_ptrIiEEEESE_PS5_SF_jNS0_19identity_decomposerENS1_16block_id_wrapperIjLb1EEEEE10hipError_tT1_PNSt15iterator_traitsISK_E10value_typeET2_T3_PNSL_ISQ_E10value_typeET4_T5_PSV_SW_PNS1_23onesweep_lookback_stateEbbT6_jjT7_P12ihipStream_tbENKUlT_T0_SK_SP_E_clISE_SE_SF_SF_EEDaS13_S14_SK_SP_EUlS13_E_NS1_11comp_targetILNS1_3genE0ELNS1_11target_archE4294967295ELNS1_3gpuE0ELNS1_3repE0EEENS1_47radix_sort_onesweep_sort_config_static_selectorELNS0_4arch9wavefront6targetE1EEEvSK_
		.amdhsa_group_segment_fixed_size 0
		.amdhsa_private_segment_fixed_size 0
		.amdhsa_kernarg_size 88
		.amdhsa_user_sgpr_count 6
		.amdhsa_user_sgpr_private_segment_buffer 1
		.amdhsa_user_sgpr_dispatch_ptr 0
		.amdhsa_user_sgpr_queue_ptr 0
		.amdhsa_user_sgpr_kernarg_segment_ptr 1
		.amdhsa_user_sgpr_dispatch_id 0
		.amdhsa_user_sgpr_flat_scratch_init 0
		.amdhsa_user_sgpr_kernarg_preload_length 0
		.amdhsa_user_sgpr_kernarg_preload_offset 0
		.amdhsa_user_sgpr_private_segment_size 0
		.amdhsa_uses_dynamic_stack 0
		.amdhsa_system_sgpr_private_segment_wavefront_offset 0
		.amdhsa_system_sgpr_workgroup_id_x 1
		.amdhsa_system_sgpr_workgroup_id_y 0
		.amdhsa_system_sgpr_workgroup_id_z 0
		.amdhsa_system_sgpr_workgroup_info 0
		.amdhsa_system_vgpr_workitem_id 0
		.amdhsa_next_free_vgpr 1
		.amdhsa_next_free_sgpr 0
		.amdhsa_accum_offset 4
		.amdhsa_reserve_vcc 0
		.amdhsa_reserve_flat_scratch 0
		.amdhsa_float_round_mode_32 0
		.amdhsa_float_round_mode_16_64 0
		.amdhsa_float_denorm_mode_32 3
		.amdhsa_float_denorm_mode_16_64 3
		.amdhsa_dx10_clamp 1
		.amdhsa_ieee_mode 1
		.amdhsa_fp16_overflow 0
		.amdhsa_tg_split 0
		.amdhsa_exception_fp_ieee_invalid_op 0
		.amdhsa_exception_fp_denorm_src 0
		.amdhsa_exception_fp_ieee_div_zero 0
		.amdhsa_exception_fp_ieee_overflow 0
		.amdhsa_exception_fp_ieee_underflow 0
		.amdhsa_exception_fp_ieee_inexact 0
		.amdhsa_exception_int_div_zero 0
	.end_amdhsa_kernel
	.section	.text._ZN7rocprim17ROCPRIM_400000_NS6detail17trampoline_kernelINS0_14default_configENS1_35radix_sort_onesweep_config_selectorIiNS0_10empty_typeEEEZZNS1_29radix_sort_onesweep_iterationIS3_Lb0EN6thrust23THRUST_200600_302600_NS6detail15normal_iteratorINS9_10device_ptrIiEEEESE_PS5_SF_jNS0_19identity_decomposerENS1_16block_id_wrapperIjLb1EEEEE10hipError_tT1_PNSt15iterator_traitsISK_E10value_typeET2_T3_PNSL_ISQ_E10value_typeET4_T5_PSV_SW_PNS1_23onesweep_lookback_stateEbbT6_jjT7_P12ihipStream_tbENKUlT_T0_SK_SP_E_clISE_SE_SF_SF_EEDaS13_S14_SK_SP_EUlS13_E_NS1_11comp_targetILNS1_3genE0ELNS1_11target_archE4294967295ELNS1_3gpuE0ELNS1_3repE0EEENS1_47radix_sort_onesweep_sort_config_static_selectorELNS0_4arch9wavefront6targetE1EEEvSK_,"axG",@progbits,_ZN7rocprim17ROCPRIM_400000_NS6detail17trampoline_kernelINS0_14default_configENS1_35radix_sort_onesweep_config_selectorIiNS0_10empty_typeEEEZZNS1_29radix_sort_onesweep_iterationIS3_Lb0EN6thrust23THRUST_200600_302600_NS6detail15normal_iteratorINS9_10device_ptrIiEEEESE_PS5_SF_jNS0_19identity_decomposerENS1_16block_id_wrapperIjLb1EEEEE10hipError_tT1_PNSt15iterator_traitsISK_E10value_typeET2_T3_PNSL_ISQ_E10value_typeET4_T5_PSV_SW_PNS1_23onesweep_lookback_stateEbbT6_jjT7_P12ihipStream_tbENKUlT_T0_SK_SP_E_clISE_SE_SF_SF_EEDaS13_S14_SK_SP_EUlS13_E_NS1_11comp_targetILNS1_3genE0ELNS1_11target_archE4294967295ELNS1_3gpuE0ELNS1_3repE0EEENS1_47radix_sort_onesweep_sort_config_static_selectorELNS0_4arch9wavefront6targetE1EEEvSK_,comdat
.Lfunc_end1746:
	.size	_ZN7rocprim17ROCPRIM_400000_NS6detail17trampoline_kernelINS0_14default_configENS1_35radix_sort_onesweep_config_selectorIiNS0_10empty_typeEEEZZNS1_29radix_sort_onesweep_iterationIS3_Lb0EN6thrust23THRUST_200600_302600_NS6detail15normal_iteratorINS9_10device_ptrIiEEEESE_PS5_SF_jNS0_19identity_decomposerENS1_16block_id_wrapperIjLb1EEEEE10hipError_tT1_PNSt15iterator_traitsISK_E10value_typeET2_T3_PNSL_ISQ_E10value_typeET4_T5_PSV_SW_PNS1_23onesweep_lookback_stateEbbT6_jjT7_P12ihipStream_tbENKUlT_T0_SK_SP_E_clISE_SE_SF_SF_EEDaS13_S14_SK_SP_EUlS13_E_NS1_11comp_targetILNS1_3genE0ELNS1_11target_archE4294967295ELNS1_3gpuE0ELNS1_3repE0EEENS1_47radix_sort_onesweep_sort_config_static_selectorELNS0_4arch9wavefront6targetE1EEEvSK_, .Lfunc_end1746-_ZN7rocprim17ROCPRIM_400000_NS6detail17trampoline_kernelINS0_14default_configENS1_35radix_sort_onesweep_config_selectorIiNS0_10empty_typeEEEZZNS1_29radix_sort_onesweep_iterationIS3_Lb0EN6thrust23THRUST_200600_302600_NS6detail15normal_iteratorINS9_10device_ptrIiEEEESE_PS5_SF_jNS0_19identity_decomposerENS1_16block_id_wrapperIjLb1EEEEE10hipError_tT1_PNSt15iterator_traitsISK_E10value_typeET2_T3_PNSL_ISQ_E10value_typeET4_T5_PSV_SW_PNS1_23onesweep_lookback_stateEbbT6_jjT7_P12ihipStream_tbENKUlT_T0_SK_SP_E_clISE_SE_SF_SF_EEDaS13_S14_SK_SP_EUlS13_E_NS1_11comp_targetILNS1_3genE0ELNS1_11target_archE4294967295ELNS1_3gpuE0ELNS1_3repE0EEENS1_47radix_sort_onesweep_sort_config_static_selectorELNS0_4arch9wavefront6targetE1EEEvSK_
                                        ; -- End function
	.section	.AMDGPU.csdata,"",@progbits
; Kernel info:
; codeLenInByte = 0
; NumSgprs: 4
; NumVgprs: 0
; NumAgprs: 0
; TotalNumVgprs: 0
; ScratchSize: 0
; MemoryBound: 0
; FloatMode: 240
; IeeeMode: 1
; LDSByteSize: 0 bytes/workgroup (compile time only)
; SGPRBlocks: 0
; VGPRBlocks: 0
; NumSGPRsForWavesPerEU: 4
; NumVGPRsForWavesPerEU: 1
; AccumOffset: 4
; Occupancy: 8
; WaveLimiterHint : 0
; COMPUTE_PGM_RSRC2:SCRATCH_EN: 0
; COMPUTE_PGM_RSRC2:USER_SGPR: 6
; COMPUTE_PGM_RSRC2:TRAP_HANDLER: 0
; COMPUTE_PGM_RSRC2:TGID_X_EN: 1
; COMPUTE_PGM_RSRC2:TGID_Y_EN: 0
; COMPUTE_PGM_RSRC2:TGID_Z_EN: 0
; COMPUTE_PGM_RSRC2:TIDIG_COMP_CNT: 0
; COMPUTE_PGM_RSRC3_GFX90A:ACCUM_OFFSET: 0
; COMPUTE_PGM_RSRC3_GFX90A:TG_SPLIT: 0
	.section	.text._ZN7rocprim17ROCPRIM_400000_NS6detail17trampoline_kernelINS0_14default_configENS1_35radix_sort_onesweep_config_selectorIiNS0_10empty_typeEEEZZNS1_29radix_sort_onesweep_iterationIS3_Lb0EN6thrust23THRUST_200600_302600_NS6detail15normal_iteratorINS9_10device_ptrIiEEEESE_PS5_SF_jNS0_19identity_decomposerENS1_16block_id_wrapperIjLb1EEEEE10hipError_tT1_PNSt15iterator_traitsISK_E10value_typeET2_T3_PNSL_ISQ_E10value_typeET4_T5_PSV_SW_PNS1_23onesweep_lookback_stateEbbT6_jjT7_P12ihipStream_tbENKUlT_T0_SK_SP_E_clISE_SE_SF_SF_EEDaS13_S14_SK_SP_EUlS13_E_NS1_11comp_targetILNS1_3genE6ELNS1_11target_archE950ELNS1_3gpuE13ELNS1_3repE0EEENS1_47radix_sort_onesweep_sort_config_static_selectorELNS0_4arch9wavefront6targetE1EEEvSK_,"axG",@progbits,_ZN7rocprim17ROCPRIM_400000_NS6detail17trampoline_kernelINS0_14default_configENS1_35radix_sort_onesweep_config_selectorIiNS0_10empty_typeEEEZZNS1_29radix_sort_onesweep_iterationIS3_Lb0EN6thrust23THRUST_200600_302600_NS6detail15normal_iteratorINS9_10device_ptrIiEEEESE_PS5_SF_jNS0_19identity_decomposerENS1_16block_id_wrapperIjLb1EEEEE10hipError_tT1_PNSt15iterator_traitsISK_E10value_typeET2_T3_PNSL_ISQ_E10value_typeET4_T5_PSV_SW_PNS1_23onesweep_lookback_stateEbbT6_jjT7_P12ihipStream_tbENKUlT_T0_SK_SP_E_clISE_SE_SF_SF_EEDaS13_S14_SK_SP_EUlS13_E_NS1_11comp_targetILNS1_3genE6ELNS1_11target_archE950ELNS1_3gpuE13ELNS1_3repE0EEENS1_47radix_sort_onesweep_sort_config_static_selectorELNS0_4arch9wavefront6targetE1EEEvSK_,comdat
	.protected	_ZN7rocprim17ROCPRIM_400000_NS6detail17trampoline_kernelINS0_14default_configENS1_35radix_sort_onesweep_config_selectorIiNS0_10empty_typeEEEZZNS1_29radix_sort_onesweep_iterationIS3_Lb0EN6thrust23THRUST_200600_302600_NS6detail15normal_iteratorINS9_10device_ptrIiEEEESE_PS5_SF_jNS0_19identity_decomposerENS1_16block_id_wrapperIjLb1EEEEE10hipError_tT1_PNSt15iterator_traitsISK_E10value_typeET2_T3_PNSL_ISQ_E10value_typeET4_T5_PSV_SW_PNS1_23onesweep_lookback_stateEbbT6_jjT7_P12ihipStream_tbENKUlT_T0_SK_SP_E_clISE_SE_SF_SF_EEDaS13_S14_SK_SP_EUlS13_E_NS1_11comp_targetILNS1_3genE6ELNS1_11target_archE950ELNS1_3gpuE13ELNS1_3repE0EEENS1_47radix_sort_onesweep_sort_config_static_selectorELNS0_4arch9wavefront6targetE1EEEvSK_ ; -- Begin function _ZN7rocprim17ROCPRIM_400000_NS6detail17trampoline_kernelINS0_14default_configENS1_35radix_sort_onesweep_config_selectorIiNS0_10empty_typeEEEZZNS1_29radix_sort_onesweep_iterationIS3_Lb0EN6thrust23THRUST_200600_302600_NS6detail15normal_iteratorINS9_10device_ptrIiEEEESE_PS5_SF_jNS0_19identity_decomposerENS1_16block_id_wrapperIjLb1EEEEE10hipError_tT1_PNSt15iterator_traitsISK_E10value_typeET2_T3_PNSL_ISQ_E10value_typeET4_T5_PSV_SW_PNS1_23onesweep_lookback_stateEbbT6_jjT7_P12ihipStream_tbENKUlT_T0_SK_SP_E_clISE_SE_SF_SF_EEDaS13_S14_SK_SP_EUlS13_E_NS1_11comp_targetILNS1_3genE6ELNS1_11target_archE950ELNS1_3gpuE13ELNS1_3repE0EEENS1_47radix_sort_onesweep_sort_config_static_selectorELNS0_4arch9wavefront6targetE1EEEvSK_
	.globl	_ZN7rocprim17ROCPRIM_400000_NS6detail17trampoline_kernelINS0_14default_configENS1_35radix_sort_onesweep_config_selectorIiNS0_10empty_typeEEEZZNS1_29radix_sort_onesweep_iterationIS3_Lb0EN6thrust23THRUST_200600_302600_NS6detail15normal_iteratorINS9_10device_ptrIiEEEESE_PS5_SF_jNS0_19identity_decomposerENS1_16block_id_wrapperIjLb1EEEEE10hipError_tT1_PNSt15iterator_traitsISK_E10value_typeET2_T3_PNSL_ISQ_E10value_typeET4_T5_PSV_SW_PNS1_23onesweep_lookback_stateEbbT6_jjT7_P12ihipStream_tbENKUlT_T0_SK_SP_E_clISE_SE_SF_SF_EEDaS13_S14_SK_SP_EUlS13_E_NS1_11comp_targetILNS1_3genE6ELNS1_11target_archE950ELNS1_3gpuE13ELNS1_3repE0EEENS1_47radix_sort_onesweep_sort_config_static_selectorELNS0_4arch9wavefront6targetE1EEEvSK_
	.p2align	8
	.type	_ZN7rocprim17ROCPRIM_400000_NS6detail17trampoline_kernelINS0_14default_configENS1_35radix_sort_onesweep_config_selectorIiNS0_10empty_typeEEEZZNS1_29radix_sort_onesweep_iterationIS3_Lb0EN6thrust23THRUST_200600_302600_NS6detail15normal_iteratorINS9_10device_ptrIiEEEESE_PS5_SF_jNS0_19identity_decomposerENS1_16block_id_wrapperIjLb1EEEEE10hipError_tT1_PNSt15iterator_traitsISK_E10value_typeET2_T3_PNSL_ISQ_E10value_typeET4_T5_PSV_SW_PNS1_23onesweep_lookback_stateEbbT6_jjT7_P12ihipStream_tbENKUlT_T0_SK_SP_E_clISE_SE_SF_SF_EEDaS13_S14_SK_SP_EUlS13_E_NS1_11comp_targetILNS1_3genE6ELNS1_11target_archE950ELNS1_3gpuE13ELNS1_3repE0EEENS1_47radix_sort_onesweep_sort_config_static_selectorELNS0_4arch9wavefront6targetE1EEEvSK_,@function
_ZN7rocprim17ROCPRIM_400000_NS6detail17trampoline_kernelINS0_14default_configENS1_35radix_sort_onesweep_config_selectorIiNS0_10empty_typeEEEZZNS1_29radix_sort_onesweep_iterationIS3_Lb0EN6thrust23THRUST_200600_302600_NS6detail15normal_iteratorINS9_10device_ptrIiEEEESE_PS5_SF_jNS0_19identity_decomposerENS1_16block_id_wrapperIjLb1EEEEE10hipError_tT1_PNSt15iterator_traitsISK_E10value_typeET2_T3_PNSL_ISQ_E10value_typeET4_T5_PSV_SW_PNS1_23onesweep_lookback_stateEbbT6_jjT7_P12ihipStream_tbENKUlT_T0_SK_SP_E_clISE_SE_SF_SF_EEDaS13_S14_SK_SP_EUlS13_E_NS1_11comp_targetILNS1_3genE6ELNS1_11target_archE950ELNS1_3gpuE13ELNS1_3repE0EEENS1_47radix_sort_onesweep_sort_config_static_selectorELNS0_4arch9wavefront6targetE1EEEvSK_: ; @_ZN7rocprim17ROCPRIM_400000_NS6detail17trampoline_kernelINS0_14default_configENS1_35radix_sort_onesweep_config_selectorIiNS0_10empty_typeEEEZZNS1_29radix_sort_onesweep_iterationIS3_Lb0EN6thrust23THRUST_200600_302600_NS6detail15normal_iteratorINS9_10device_ptrIiEEEESE_PS5_SF_jNS0_19identity_decomposerENS1_16block_id_wrapperIjLb1EEEEE10hipError_tT1_PNSt15iterator_traitsISK_E10value_typeET2_T3_PNSL_ISQ_E10value_typeET4_T5_PSV_SW_PNS1_23onesweep_lookback_stateEbbT6_jjT7_P12ihipStream_tbENKUlT_T0_SK_SP_E_clISE_SE_SF_SF_EEDaS13_S14_SK_SP_EUlS13_E_NS1_11comp_targetILNS1_3genE6ELNS1_11target_archE950ELNS1_3gpuE13ELNS1_3repE0EEENS1_47radix_sort_onesweep_sort_config_static_selectorELNS0_4arch9wavefront6targetE1EEEvSK_
; %bb.0:
	.section	.rodata,"a",@progbits
	.p2align	6, 0x0
	.amdhsa_kernel _ZN7rocprim17ROCPRIM_400000_NS6detail17trampoline_kernelINS0_14default_configENS1_35radix_sort_onesweep_config_selectorIiNS0_10empty_typeEEEZZNS1_29radix_sort_onesweep_iterationIS3_Lb0EN6thrust23THRUST_200600_302600_NS6detail15normal_iteratorINS9_10device_ptrIiEEEESE_PS5_SF_jNS0_19identity_decomposerENS1_16block_id_wrapperIjLb1EEEEE10hipError_tT1_PNSt15iterator_traitsISK_E10value_typeET2_T3_PNSL_ISQ_E10value_typeET4_T5_PSV_SW_PNS1_23onesweep_lookback_stateEbbT6_jjT7_P12ihipStream_tbENKUlT_T0_SK_SP_E_clISE_SE_SF_SF_EEDaS13_S14_SK_SP_EUlS13_E_NS1_11comp_targetILNS1_3genE6ELNS1_11target_archE950ELNS1_3gpuE13ELNS1_3repE0EEENS1_47radix_sort_onesweep_sort_config_static_selectorELNS0_4arch9wavefront6targetE1EEEvSK_
		.amdhsa_group_segment_fixed_size 0
		.amdhsa_private_segment_fixed_size 0
		.amdhsa_kernarg_size 88
		.amdhsa_user_sgpr_count 6
		.amdhsa_user_sgpr_private_segment_buffer 1
		.amdhsa_user_sgpr_dispatch_ptr 0
		.amdhsa_user_sgpr_queue_ptr 0
		.amdhsa_user_sgpr_kernarg_segment_ptr 1
		.amdhsa_user_sgpr_dispatch_id 0
		.amdhsa_user_sgpr_flat_scratch_init 0
		.amdhsa_user_sgpr_kernarg_preload_length 0
		.amdhsa_user_sgpr_kernarg_preload_offset 0
		.amdhsa_user_sgpr_private_segment_size 0
		.amdhsa_uses_dynamic_stack 0
		.amdhsa_system_sgpr_private_segment_wavefront_offset 0
		.amdhsa_system_sgpr_workgroup_id_x 1
		.amdhsa_system_sgpr_workgroup_id_y 0
		.amdhsa_system_sgpr_workgroup_id_z 0
		.amdhsa_system_sgpr_workgroup_info 0
		.amdhsa_system_vgpr_workitem_id 0
		.amdhsa_next_free_vgpr 1
		.amdhsa_next_free_sgpr 0
		.amdhsa_accum_offset 4
		.amdhsa_reserve_vcc 0
		.amdhsa_reserve_flat_scratch 0
		.amdhsa_float_round_mode_32 0
		.amdhsa_float_round_mode_16_64 0
		.amdhsa_float_denorm_mode_32 3
		.amdhsa_float_denorm_mode_16_64 3
		.amdhsa_dx10_clamp 1
		.amdhsa_ieee_mode 1
		.amdhsa_fp16_overflow 0
		.amdhsa_tg_split 0
		.amdhsa_exception_fp_ieee_invalid_op 0
		.amdhsa_exception_fp_denorm_src 0
		.amdhsa_exception_fp_ieee_div_zero 0
		.amdhsa_exception_fp_ieee_overflow 0
		.amdhsa_exception_fp_ieee_underflow 0
		.amdhsa_exception_fp_ieee_inexact 0
		.amdhsa_exception_int_div_zero 0
	.end_amdhsa_kernel
	.section	.text._ZN7rocprim17ROCPRIM_400000_NS6detail17trampoline_kernelINS0_14default_configENS1_35radix_sort_onesweep_config_selectorIiNS0_10empty_typeEEEZZNS1_29radix_sort_onesweep_iterationIS3_Lb0EN6thrust23THRUST_200600_302600_NS6detail15normal_iteratorINS9_10device_ptrIiEEEESE_PS5_SF_jNS0_19identity_decomposerENS1_16block_id_wrapperIjLb1EEEEE10hipError_tT1_PNSt15iterator_traitsISK_E10value_typeET2_T3_PNSL_ISQ_E10value_typeET4_T5_PSV_SW_PNS1_23onesweep_lookback_stateEbbT6_jjT7_P12ihipStream_tbENKUlT_T0_SK_SP_E_clISE_SE_SF_SF_EEDaS13_S14_SK_SP_EUlS13_E_NS1_11comp_targetILNS1_3genE6ELNS1_11target_archE950ELNS1_3gpuE13ELNS1_3repE0EEENS1_47radix_sort_onesweep_sort_config_static_selectorELNS0_4arch9wavefront6targetE1EEEvSK_,"axG",@progbits,_ZN7rocprim17ROCPRIM_400000_NS6detail17trampoline_kernelINS0_14default_configENS1_35radix_sort_onesweep_config_selectorIiNS0_10empty_typeEEEZZNS1_29radix_sort_onesweep_iterationIS3_Lb0EN6thrust23THRUST_200600_302600_NS6detail15normal_iteratorINS9_10device_ptrIiEEEESE_PS5_SF_jNS0_19identity_decomposerENS1_16block_id_wrapperIjLb1EEEEE10hipError_tT1_PNSt15iterator_traitsISK_E10value_typeET2_T3_PNSL_ISQ_E10value_typeET4_T5_PSV_SW_PNS1_23onesweep_lookback_stateEbbT6_jjT7_P12ihipStream_tbENKUlT_T0_SK_SP_E_clISE_SE_SF_SF_EEDaS13_S14_SK_SP_EUlS13_E_NS1_11comp_targetILNS1_3genE6ELNS1_11target_archE950ELNS1_3gpuE13ELNS1_3repE0EEENS1_47radix_sort_onesweep_sort_config_static_selectorELNS0_4arch9wavefront6targetE1EEEvSK_,comdat
.Lfunc_end1747:
	.size	_ZN7rocprim17ROCPRIM_400000_NS6detail17trampoline_kernelINS0_14default_configENS1_35radix_sort_onesweep_config_selectorIiNS0_10empty_typeEEEZZNS1_29radix_sort_onesweep_iterationIS3_Lb0EN6thrust23THRUST_200600_302600_NS6detail15normal_iteratorINS9_10device_ptrIiEEEESE_PS5_SF_jNS0_19identity_decomposerENS1_16block_id_wrapperIjLb1EEEEE10hipError_tT1_PNSt15iterator_traitsISK_E10value_typeET2_T3_PNSL_ISQ_E10value_typeET4_T5_PSV_SW_PNS1_23onesweep_lookback_stateEbbT6_jjT7_P12ihipStream_tbENKUlT_T0_SK_SP_E_clISE_SE_SF_SF_EEDaS13_S14_SK_SP_EUlS13_E_NS1_11comp_targetILNS1_3genE6ELNS1_11target_archE950ELNS1_3gpuE13ELNS1_3repE0EEENS1_47radix_sort_onesweep_sort_config_static_selectorELNS0_4arch9wavefront6targetE1EEEvSK_, .Lfunc_end1747-_ZN7rocprim17ROCPRIM_400000_NS6detail17trampoline_kernelINS0_14default_configENS1_35radix_sort_onesweep_config_selectorIiNS0_10empty_typeEEEZZNS1_29radix_sort_onesweep_iterationIS3_Lb0EN6thrust23THRUST_200600_302600_NS6detail15normal_iteratorINS9_10device_ptrIiEEEESE_PS5_SF_jNS0_19identity_decomposerENS1_16block_id_wrapperIjLb1EEEEE10hipError_tT1_PNSt15iterator_traitsISK_E10value_typeET2_T3_PNSL_ISQ_E10value_typeET4_T5_PSV_SW_PNS1_23onesweep_lookback_stateEbbT6_jjT7_P12ihipStream_tbENKUlT_T0_SK_SP_E_clISE_SE_SF_SF_EEDaS13_S14_SK_SP_EUlS13_E_NS1_11comp_targetILNS1_3genE6ELNS1_11target_archE950ELNS1_3gpuE13ELNS1_3repE0EEENS1_47radix_sort_onesweep_sort_config_static_selectorELNS0_4arch9wavefront6targetE1EEEvSK_
                                        ; -- End function
	.section	.AMDGPU.csdata,"",@progbits
; Kernel info:
; codeLenInByte = 0
; NumSgprs: 4
; NumVgprs: 0
; NumAgprs: 0
; TotalNumVgprs: 0
; ScratchSize: 0
; MemoryBound: 0
; FloatMode: 240
; IeeeMode: 1
; LDSByteSize: 0 bytes/workgroup (compile time only)
; SGPRBlocks: 0
; VGPRBlocks: 0
; NumSGPRsForWavesPerEU: 4
; NumVGPRsForWavesPerEU: 1
; AccumOffset: 4
; Occupancy: 8
; WaveLimiterHint : 0
; COMPUTE_PGM_RSRC2:SCRATCH_EN: 0
; COMPUTE_PGM_RSRC2:USER_SGPR: 6
; COMPUTE_PGM_RSRC2:TRAP_HANDLER: 0
; COMPUTE_PGM_RSRC2:TGID_X_EN: 1
; COMPUTE_PGM_RSRC2:TGID_Y_EN: 0
; COMPUTE_PGM_RSRC2:TGID_Z_EN: 0
; COMPUTE_PGM_RSRC2:TIDIG_COMP_CNT: 0
; COMPUTE_PGM_RSRC3_GFX90A:ACCUM_OFFSET: 0
; COMPUTE_PGM_RSRC3_GFX90A:TG_SPLIT: 0
	.section	.text._ZN7rocprim17ROCPRIM_400000_NS6detail17trampoline_kernelINS0_14default_configENS1_35radix_sort_onesweep_config_selectorIiNS0_10empty_typeEEEZZNS1_29radix_sort_onesweep_iterationIS3_Lb0EN6thrust23THRUST_200600_302600_NS6detail15normal_iteratorINS9_10device_ptrIiEEEESE_PS5_SF_jNS0_19identity_decomposerENS1_16block_id_wrapperIjLb1EEEEE10hipError_tT1_PNSt15iterator_traitsISK_E10value_typeET2_T3_PNSL_ISQ_E10value_typeET4_T5_PSV_SW_PNS1_23onesweep_lookback_stateEbbT6_jjT7_P12ihipStream_tbENKUlT_T0_SK_SP_E_clISE_SE_SF_SF_EEDaS13_S14_SK_SP_EUlS13_E_NS1_11comp_targetILNS1_3genE5ELNS1_11target_archE942ELNS1_3gpuE9ELNS1_3repE0EEENS1_47radix_sort_onesweep_sort_config_static_selectorELNS0_4arch9wavefront6targetE1EEEvSK_,"axG",@progbits,_ZN7rocprim17ROCPRIM_400000_NS6detail17trampoline_kernelINS0_14default_configENS1_35radix_sort_onesweep_config_selectorIiNS0_10empty_typeEEEZZNS1_29radix_sort_onesweep_iterationIS3_Lb0EN6thrust23THRUST_200600_302600_NS6detail15normal_iteratorINS9_10device_ptrIiEEEESE_PS5_SF_jNS0_19identity_decomposerENS1_16block_id_wrapperIjLb1EEEEE10hipError_tT1_PNSt15iterator_traitsISK_E10value_typeET2_T3_PNSL_ISQ_E10value_typeET4_T5_PSV_SW_PNS1_23onesweep_lookback_stateEbbT6_jjT7_P12ihipStream_tbENKUlT_T0_SK_SP_E_clISE_SE_SF_SF_EEDaS13_S14_SK_SP_EUlS13_E_NS1_11comp_targetILNS1_3genE5ELNS1_11target_archE942ELNS1_3gpuE9ELNS1_3repE0EEENS1_47radix_sort_onesweep_sort_config_static_selectorELNS0_4arch9wavefront6targetE1EEEvSK_,comdat
	.protected	_ZN7rocprim17ROCPRIM_400000_NS6detail17trampoline_kernelINS0_14default_configENS1_35radix_sort_onesweep_config_selectorIiNS0_10empty_typeEEEZZNS1_29radix_sort_onesweep_iterationIS3_Lb0EN6thrust23THRUST_200600_302600_NS6detail15normal_iteratorINS9_10device_ptrIiEEEESE_PS5_SF_jNS0_19identity_decomposerENS1_16block_id_wrapperIjLb1EEEEE10hipError_tT1_PNSt15iterator_traitsISK_E10value_typeET2_T3_PNSL_ISQ_E10value_typeET4_T5_PSV_SW_PNS1_23onesweep_lookback_stateEbbT6_jjT7_P12ihipStream_tbENKUlT_T0_SK_SP_E_clISE_SE_SF_SF_EEDaS13_S14_SK_SP_EUlS13_E_NS1_11comp_targetILNS1_3genE5ELNS1_11target_archE942ELNS1_3gpuE9ELNS1_3repE0EEENS1_47radix_sort_onesweep_sort_config_static_selectorELNS0_4arch9wavefront6targetE1EEEvSK_ ; -- Begin function _ZN7rocprim17ROCPRIM_400000_NS6detail17trampoline_kernelINS0_14default_configENS1_35radix_sort_onesweep_config_selectorIiNS0_10empty_typeEEEZZNS1_29radix_sort_onesweep_iterationIS3_Lb0EN6thrust23THRUST_200600_302600_NS6detail15normal_iteratorINS9_10device_ptrIiEEEESE_PS5_SF_jNS0_19identity_decomposerENS1_16block_id_wrapperIjLb1EEEEE10hipError_tT1_PNSt15iterator_traitsISK_E10value_typeET2_T3_PNSL_ISQ_E10value_typeET4_T5_PSV_SW_PNS1_23onesweep_lookback_stateEbbT6_jjT7_P12ihipStream_tbENKUlT_T0_SK_SP_E_clISE_SE_SF_SF_EEDaS13_S14_SK_SP_EUlS13_E_NS1_11comp_targetILNS1_3genE5ELNS1_11target_archE942ELNS1_3gpuE9ELNS1_3repE0EEENS1_47radix_sort_onesweep_sort_config_static_selectorELNS0_4arch9wavefront6targetE1EEEvSK_
	.globl	_ZN7rocprim17ROCPRIM_400000_NS6detail17trampoline_kernelINS0_14default_configENS1_35radix_sort_onesweep_config_selectorIiNS0_10empty_typeEEEZZNS1_29radix_sort_onesweep_iterationIS3_Lb0EN6thrust23THRUST_200600_302600_NS6detail15normal_iteratorINS9_10device_ptrIiEEEESE_PS5_SF_jNS0_19identity_decomposerENS1_16block_id_wrapperIjLb1EEEEE10hipError_tT1_PNSt15iterator_traitsISK_E10value_typeET2_T3_PNSL_ISQ_E10value_typeET4_T5_PSV_SW_PNS1_23onesweep_lookback_stateEbbT6_jjT7_P12ihipStream_tbENKUlT_T0_SK_SP_E_clISE_SE_SF_SF_EEDaS13_S14_SK_SP_EUlS13_E_NS1_11comp_targetILNS1_3genE5ELNS1_11target_archE942ELNS1_3gpuE9ELNS1_3repE0EEENS1_47radix_sort_onesweep_sort_config_static_selectorELNS0_4arch9wavefront6targetE1EEEvSK_
	.p2align	8
	.type	_ZN7rocprim17ROCPRIM_400000_NS6detail17trampoline_kernelINS0_14default_configENS1_35radix_sort_onesweep_config_selectorIiNS0_10empty_typeEEEZZNS1_29radix_sort_onesweep_iterationIS3_Lb0EN6thrust23THRUST_200600_302600_NS6detail15normal_iteratorINS9_10device_ptrIiEEEESE_PS5_SF_jNS0_19identity_decomposerENS1_16block_id_wrapperIjLb1EEEEE10hipError_tT1_PNSt15iterator_traitsISK_E10value_typeET2_T3_PNSL_ISQ_E10value_typeET4_T5_PSV_SW_PNS1_23onesweep_lookback_stateEbbT6_jjT7_P12ihipStream_tbENKUlT_T0_SK_SP_E_clISE_SE_SF_SF_EEDaS13_S14_SK_SP_EUlS13_E_NS1_11comp_targetILNS1_3genE5ELNS1_11target_archE942ELNS1_3gpuE9ELNS1_3repE0EEENS1_47radix_sort_onesweep_sort_config_static_selectorELNS0_4arch9wavefront6targetE1EEEvSK_,@function
_ZN7rocprim17ROCPRIM_400000_NS6detail17trampoline_kernelINS0_14default_configENS1_35radix_sort_onesweep_config_selectorIiNS0_10empty_typeEEEZZNS1_29radix_sort_onesweep_iterationIS3_Lb0EN6thrust23THRUST_200600_302600_NS6detail15normal_iteratorINS9_10device_ptrIiEEEESE_PS5_SF_jNS0_19identity_decomposerENS1_16block_id_wrapperIjLb1EEEEE10hipError_tT1_PNSt15iterator_traitsISK_E10value_typeET2_T3_PNSL_ISQ_E10value_typeET4_T5_PSV_SW_PNS1_23onesweep_lookback_stateEbbT6_jjT7_P12ihipStream_tbENKUlT_T0_SK_SP_E_clISE_SE_SF_SF_EEDaS13_S14_SK_SP_EUlS13_E_NS1_11comp_targetILNS1_3genE5ELNS1_11target_archE942ELNS1_3gpuE9ELNS1_3repE0EEENS1_47radix_sort_onesweep_sort_config_static_selectorELNS0_4arch9wavefront6targetE1EEEvSK_: ; @_ZN7rocprim17ROCPRIM_400000_NS6detail17trampoline_kernelINS0_14default_configENS1_35radix_sort_onesweep_config_selectorIiNS0_10empty_typeEEEZZNS1_29radix_sort_onesweep_iterationIS3_Lb0EN6thrust23THRUST_200600_302600_NS6detail15normal_iteratorINS9_10device_ptrIiEEEESE_PS5_SF_jNS0_19identity_decomposerENS1_16block_id_wrapperIjLb1EEEEE10hipError_tT1_PNSt15iterator_traitsISK_E10value_typeET2_T3_PNSL_ISQ_E10value_typeET4_T5_PSV_SW_PNS1_23onesweep_lookback_stateEbbT6_jjT7_P12ihipStream_tbENKUlT_T0_SK_SP_E_clISE_SE_SF_SF_EEDaS13_S14_SK_SP_EUlS13_E_NS1_11comp_targetILNS1_3genE5ELNS1_11target_archE942ELNS1_3gpuE9ELNS1_3repE0EEENS1_47radix_sort_onesweep_sort_config_static_selectorELNS0_4arch9wavefront6targetE1EEEvSK_
; %bb.0:
	.section	.rodata,"a",@progbits
	.p2align	6, 0x0
	.amdhsa_kernel _ZN7rocprim17ROCPRIM_400000_NS6detail17trampoline_kernelINS0_14default_configENS1_35radix_sort_onesweep_config_selectorIiNS0_10empty_typeEEEZZNS1_29radix_sort_onesweep_iterationIS3_Lb0EN6thrust23THRUST_200600_302600_NS6detail15normal_iteratorINS9_10device_ptrIiEEEESE_PS5_SF_jNS0_19identity_decomposerENS1_16block_id_wrapperIjLb1EEEEE10hipError_tT1_PNSt15iterator_traitsISK_E10value_typeET2_T3_PNSL_ISQ_E10value_typeET4_T5_PSV_SW_PNS1_23onesweep_lookback_stateEbbT6_jjT7_P12ihipStream_tbENKUlT_T0_SK_SP_E_clISE_SE_SF_SF_EEDaS13_S14_SK_SP_EUlS13_E_NS1_11comp_targetILNS1_3genE5ELNS1_11target_archE942ELNS1_3gpuE9ELNS1_3repE0EEENS1_47radix_sort_onesweep_sort_config_static_selectorELNS0_4arch9wavefront6targetE1EEEvSK_
		.amdhsa_group_segment_fixed_size 0
		.amdhsa_private_segment_fixed_size 0
		.amdhsa_kernarg_size 88
		.amdhsa_user_sgpr_count 6
		.amdhsa_user_sgpr_private_segment_buffer 1
		.amdhsa_user_sgpr_dispatch_ptr 0
		.amdhsa_user_sgpr_queue_ptr 0
		.amdhsa_user_sgpr_kernarg_segment_ptr 1
		.amdhsa_user_sgpr_dispatch_id 0
		.amdhsa_user_sgpr_flat_scratch_init 0
		.amdhsa_user_sgpr_kernarg_preload_length 0
		.amdhsa_user_sgpr_kernarg_preload_offset 0
		.amdhsa_user_sgpr_private_segment_size 0
		.amdhsa_uses_dynamic_stack 0
		.amdhsa_system_sgpr_private_segment_wavefront_offset 0
		.amdhsa_system_sgpr_workgroup_id_x 1
		.amdhsa_system_sgpr_workgroup_id_y 0
		.amdhsa_system_sgpr_workgroup_id_z 0
		.amdhsa_system_sgpr_workgroup_info 0
		.amdhsa_system_vgpr_workitem_id 0
		.amdhsa_next_free_vgpr 1
		.amdhsa_next_free_sgpr 0
		.amdhsa_accum_offset 4
		.amdhsa_reserve_vcc 0
		.amdhsa_reserve_flat_scratch 0
		.amdhsa_float_round_mode_32 0
		.amdhsa_float_round_mode_16_64 0
		.amdhsa_float_denorm_mode_32 3
		.amdhsa_float_denorm_mode_16_64 3
		.amdhsa_dx10_clamp 1
		.amdhsa_ieee_mode 1
		.amdhsa_fp16_overflow 0
		.amdhsa_tg_split 0
		.amdhsa_exception_fp_ieee_invalid_op 0
		.amdhsa_exception_fp_denorm_src 0
		.amdhsa_exception_fp_ieee_div_zero 0
		.amdhsa_exception_fp_ieee_overflow 0
		.amdhsa_exception_fp_ieee_underflow 0
		.amdhsa_exception_fp_ieee_inexact 0
		.amdhsa_exception_int_div_zero 0
	.end_amdhsa_kernel
	.section	.text._ZN7rocprim17ROCPRIM_400000_NS6detail17trampoline_kernelINS0_14default_configENS1_35radix_sort_onesweep_config_selectorIiNS0_10empty_typeEEEZZNS1_29radix_sort_onesweep_iterationIS3_Lb0EN6thrust23THRUST_200600_302600_NS6detail15normal_iteratorINS9_10device_ptrIiEEEESE_PS5_SF_jNS0_19identity_decomposerENS1_16block_id_wrapperIjLb1EEEEE10hipError_tT1_PNSt15iterator_traitsISK_E10value_typeET2_T3_PNSL_ISQ_E10value_typeET4_T5_PSV_SW_PNS1_23onesweep_lookback_stateEbbT6_jjT7_P12ihipStream_tbENKUlT_T0_SK_SP_E_clISE_SE_SF_SF_EEDaS13_S14_SK_SP_EUlS13_E_NS1_11comp_targetILNS1_3genE5ELNS1_11target_archE942ELNS1_3gpuE9ELNS1_3repE0EEENS1_47radix_sort_onesweep_sort_config_static_selectorELNS0_4arch9wavefront6targetE1EEEvSK_,"axG",@progbits,_ZN7rocprim17ROCPRIM_400000_NS6detail17trampoline_kernelINS0_14default_configENS1_35radix_sort_onesweep_config_selectorIiNS0_10empty_typeEEEZZNS1_29radix_sort_onesweep_iterationIS3_Lb0EN6thrust23THRUST_200600_302600_NS6detail15normal_iteratorINS9_10device_ptrIiEEEESE_PS5_SF_jNS0_19identity_decomposerENS1_16block_id_wrapperIjLb1EEEEE10hipError_tT1_PNSt15iterator_traitsISK_E10value_typeET2_T3_PNSL_ISQ_E10value_typeET4_T5_PSV_SW_PNS1_23onesweep_lookback_stateEbbT6_jjT7_P12ihipStream_tbENKUlT_T0_SK_SP_E_clISE_SE_SF_SF_EEDaS13_S14_SK_SP_EUlS13_E_NS1_11comp_targetILNS1_3genE5ELNS1_11target_archE942ELNS1_3gpuE9ELNS1_3repE0EEENS1_47radix_sort_onesweep_sort_config_static_selectorELNS0_4arch9wavefront6targetE1EEEvSK_,comdat
.Lfunc_end1748:
	.size	_ZN7rocprim17ROCPRIM_400000_NS6detail17trampoline_kernelINS0_14default_configENS1_35radix_sort_onesweep_config_selectorIiNS0_10empty_typeEEEZZNS1_29radix_sort_onesweep_iterationIS3_Lb0EN6thrust23THRUST_200600_302600_NS6detail15normal_iteratorINS9_10device_ptrIiEEEESE_PS5_SF_jNS0_19identity_decomposerENS1_16block_id_wrapperIjLb1EEEEE10hipError_tT1_PNSt15iterator_traitsISK_E10value_typeET2_T3_PNSL_ISQ_E10value_typeET4_T5_PSV_SW_PNS1_23onesweep_lookback_stateEbbT6_jjT7_P12ihipStream_tbENKUlT_T0_SK_SP_E_clISE_SE_SF_SF_EEDaS13_S14_SK_SP_EUlS13_E_NS1_11comp_targetILNS1_3genE5ELNS1_11target_archE942ELNS1_3gpuE9ELNS1_3repE0EEENS1_47radix_sort_onesweep_sort_config_static_selectorELNS0_4arch9wavefront6targetE1EEEvSK_, .Lfunc_end1748-_ZN7rocprim17ROCPRIM_400000_NS6detail17trampoline_kernelINS0_14default_configENS1_35radix_sort_onesweep_config_selectorIiNS0_10empty_typeEEEZZNS1_29radix_sort_onesweep_iterationIS3_Lb0EN6thrust23THRUST_200600_302600_NS6detail15normal_iteratorINS9_10device_ptrIiEEEESE_PS5_SF_jNS0_19identity_decomposerENS1_16block_id_wrapperIjLb1EEEEE10hipError_tT1_PNSt15iterator_traitsISK_E10value_typeET2_T3_PNSL_ISQ_E10value_typeET4_T5_PSV_SW_PNS1_23onesweep_lookback_stateEbbT6_jjT7_P12ihipStream_tbENKUlT_T0_SK_SP_E_clISE_SE_SF_SF_EEDaS13_S14_SK_SP_EUlS13_E_NS1_11comp_targetILNS1_3genE5ELNS1_11target_archE942ELNS1_3gpuE9ELNS1_3repE0EEENS1_47radix_sort_onesweep_sort_config_static_selectorELNS0_4arch9wavefront6targetE1EEEvSK_
                                        ; -- End function
	.section	.AMDGPU.csdata,"",@progbits
; Kernel info:
; codeLenInByte = 0
; NumSgprs: 4
; NumVgprs: 0
; NumAgprs: 0
; TotalNumVgprs: 0
; ScratchSize: 0
; MemoryBound: 0
; FloatMode: 240
; IeeeMode: 1
; LDSByteSize: 0 bytes/workgroup (compile time only)
; SGPRBlocks: 0
; VGPRBlocks: 0
; NumSGPRsForWavesPerEU: 4
; NumVGPRsForWavesPerEU: 1
; AccumOffset: 4
; Occupancy: 8
; WaveLimiterHint : 0
; COMPUTE_PGM_RSRC2:SCRATCH_EN: 0
; COMPUTE_PGM_RSRC2:USER_SGPR: 6
; COMPUTE_PGM_RSRC2:TRAP_HANDLER: 0
; COMPUTE_PGM_RSRC2:TGID_X_EN: 1
; COMPUTE_PGM_RSRC2:TGID_Y_EN: 0
; COMPUTE_PGM_RSRC2:TGID_Z_EN: 0
; COMPUTE_PGM_RSRC2:TIDIG_COMP_CNT: 0
; COMPUTE_PGM_RSRC3_GFX90A:ACCUM_OFFSET: 0
; COMPUTE_PGM_RSRC3_GFX90A:TG_SPLIT: 0
	.section	.text._ZN7rocprim17ROCPRIM_400000_NS6detail17trampoline_kernelINS0_14default_configENS1_35radix_sort_onesweep_config_selectorIiNS0_10empty_typeEEEZZNS1_29radix_sort_onesweep_iterationIS3_Lb0EN6thrust23THRUST_200600_302600_NS6detail15normal_iteratorINS9_10device_ptrIiEEEESE_PS5_SF_jNS0_19identity_decomposerENS1_16block_id_wrapperIjLb1EEEEE10hipError_tT1_PNSt15iterator_traitsISK_E10value_typeET2_T3_PNSL_ISQ_E10value_typeET4_T5_PSV_SW_PNS1_23onesweep_lookback_stateEbbT6_jjT7_P12ihipStream_tbENKUlT_T0_SK_SP_E_clISE_SE_SF_SF_EEDaS13_S14_SK_SP_EUlS13_E_NS1_11comp_targetILNS1_3genE2ELNS1_11target_archE906ELNS1_3gpuE6ELNS1_3repE0EEENS1_47radix_sort_onesweep_sort_config_static_selectorELNS0_4arch9wavefront6targetE1EEEvSK_,"axG",@progbits,_ZN7rocprim17ROCPRIM_400000_NS6detail17trampoline_kernelINS0_14default_configENS1_35radix_sort_onesweep_config_selectorIiNS0_10empty_typeEEEZZNS1_29radix_sort_onesweep_iterationIS3_Lb0EN6thrust23THRUST_200600_302600_NS6detail15normal_iteratorINS9_10device_ptrIiEEEESE_PS5_SF_jNS0_19identity_decomposerENS1_16block_id_wrapperIjLb1EEEEE10hipError_tT1_PNSt15iterator_traitsISK_E10value_typeET2_T3_PNSL_ISQ_E10value_typeET4_T5_PSV_SW_PNS1_23onesweep_lookback_stateEbbT6_jjT7_P12ihipStream_tbENKUlT_T0_SK_SP_E_clISE_SE_SF_SF_EEDaS13_S14_SK_SP_EUlS13_E_NS1_11comp_targetILNS1_3genE2ELNS1_11target_archE906ELNS1_3gpuE6ELNS1_3repE0EEENS1_47radix_sort_onesweep_sort_config_static_selectorELNS0_4arch9wavefront6targetE1EEEvSK_,comdat
	.protected	_ZN7rocprim17ROCPRIM_400000_NS6detail17trampoline_kernelINS0_14default_configENS1_35radix_sort_onesweep_config_selectorIiNS0_10empty_typeEEEZZNS1_29radix_sort_onesweep_iterationIS3_Lb0EN6thrust23THRUST_200600_302600_NS6detail15normal_iteratorINS9_10device_ptrIiEEEESE_PS5_SF_jNS0_19identity_decomposerENS1_16block_id_wrapperIjLb1EEEEE10hipError_tT1_PNSt15iterator_traitsISK_E10value_typeET2_T3_PNSL_ISQ_E10value_typeET4_T5_PSV_SW_PNS1_23onesweep_lookback_stateEbbT6_jjT7_P12ihipStream_tbENKUlT_T0_SK_SP_E_clISE_SE_SF_SF_EEDaS13_S14_SK_SP_EUlS13_E_NS1_11comp_targetILNS1_3genE2ELNS1_11target_archE906ELNS1_3gpuE6ELNS1_3repE0EEENS1_47radix_sort_onesweep_sort_config_static_selectorELNS0_4arch9wavefront6targetE1EEEvSK_ ; -- Begin function _ZN7rocprim17ROCPRIM_400000_NS6detail17trampoline_kernelINS0_14default_configENS1_35radix_sort_onesweep_config_selectorIiNS0_10empty_typeEEEZZNS1_29radix_sort_onesweep_iterationIS3_Lb0EN6thrust23THRUST_200600_302600_NS6detail15normal_iteratorINS9_10device_ptrIiEEEESE_PS5_SF_jNS0_19identity_decomposerENS1_16block_id_wrapperIjLb1EEEEE10hipError_tT1_PNSt15iterator_traitsISK_E10value_typeET2_T3_PNSL_ISQ_E10value_typeET4_T5_PSV_SW_PNS1_23onesweep_lookback_stateEbbT6_jjT7_P12ihipStream_tbENKUlT_T0_SK_SP_E_clISE_SE_SF_SF_EEDaS13_S14_SK_SP_EUlS13_E_NS1_11comp_targetILNS1_3genE2ELNS1_11target_archE906ELNS1_3gpuE6ELNS1_3repE0EEENS1_47radix_sort_onesweep_sort_config_static_selectorELNS0_4arch9wavefront6targetE1EEEvSK_
	.globl	_ZN7rocprim17ROCPRIM_400000_NS6detail17trampoline_kernelINS0_14default_configENS1_35radix_sort_onesweep_config_selectorIiNS0_10empty_typeEEEZZNS1_29radix_sort_onesweep_iterationIS3_Lb0EN6thrust23THRUST_200600_302600_NS6detail15normal_iteratorINS9_10device_ptrIiEEEESE_PS5_SF_jNS0_19identity_decomposerENS1_16block_id_wrapperIjLb1EEEEE10hipError_tT1_PNSt15iterator_traitsISK_E10value_typeET2_T3_PNSL_ISQ_E10value_typeET4_T5_PSV_SW_PNS1_23onesweep_lookback_stateEbbT6_jjT7_P12ihipStream_tbENKUlT_T0_SK_SP_E_clISE_SE_SF_SF_EEDaS13_S14_SK_SP_EUlS13_E_NS1_11comp_targetILNS1_3genE2ELNS1_11target_archE906ELNS1_3gpuE6ELNS1_3repE0EEENS1_47radix_sort_onesweep_sort_config_static_selectorELNS0_4arch9wavefront6targetE1EEEvSK_
	.p2align	8
	.type	_ZN7rocprim17ROCPRIM_400000_NS6detail17trampoline_kernelINS0_14default_configENS1_35radix_sort_onesweep_config_selectorIiNS0_10empty_typeEEEZZNS1_29radix_sort_onesweep_iterationIS3_Lb0EN6thrust23THRUST_200600_302600_NS6detail15normal_iteratorINS9_10device_ptrIiEEEESE_PS5_SF_jNS0_19identity_decomposerENS1_16block_id_wrapperIjLb1EEEEE10hipError_tT1_PNSt15iterator_traitsISK_E10value_typeET2_T3_PNSL_ISQ_E10value_typeET4_T5_PSV_SW_PNS1_23onesweep_lookback_stateEbbT6_jjT7_P12ihipStream_tbENKUlT_T0_SK_SP_E_clISE_SE_SF_SF_EEDaS13_S14_SK_SP_EUlS13_E_NS1_11comp_targetILNS1_3genE2ELNS1_11target_archE906ELNS1_3gpuE6ELNS1_3repE0EEENS1_47radix_sort_onesweep_sort_config_static_selectorELNS0_4arch9wavefront6targetE1EEEvSK_,@function
_ZN7rocprim17ROCPRIM_400000_NS6detail17trampoline_kernelINS0_14default_configENS1_35radix_sort_onesweep_config_selectorIiNS0_10empty_typeEEEZZNS1_29radix_sort_onesweep_iterationIS3_Lb0EN6thrust23THRUST_200600_302600_NS6detail15normal_iteratorINS9_10device_ptrIiEEEESE_PS5_SF_jNS0_19identity_decomposerENS1_16block_id_wrapperIjLb1EEEEE10hipError_tT1_PNSt15iterator_traitsISK_E10value_typeET2_T3_PNSL_ISQ_E10value_typeET4_T5_PSV_SW_PNS1_23onesweep_lookback_stateEbbT6_jjT7_P12ihipStream_tbENKUlT_T0_SK_SP_E_clISE_SE_SF_SF_EEDaS13_S14_SK_SP_EUlS13_E_NS1_11comp_targetILNS1_3genE2ELNS1_11target_archE906ELNS1_3gpuE6ELNS1_3repE0EEENS1_47radix_sort_onesweep_sort_config_static_selectorELNS0_4arch9wavefront6targetE1EEEvSK_: ; @_ZN7rocprim17ROCPRIM_400000_NS6detail17trampoline_kernelINS0_14default_configENS1_35radix_sort_onesweep_config_selectorIiNS0_10empty_typeEEEZZNS1_29radix_sort_onesweep_iterationIS3_Lb0EN6thrust23THRUST_200600_302600_NS6detail15normal_iteratorINS9_10device_ptrIiEEEESE_PS5_SF_jNS0_19identity_decomposerENS1_16block_id_wrapperIjLb1EEEEE10hipError_tT1_PNSt15iterator_traitsISK_E10value_typeET2_T3_PNSL_ISQ_E10value_typeET4_T5_PSV_SW_PNS1_23onesweep_lookback_stateEbbT6_jjT7_P12ihipStream_tbENKUlT_T0_SK_SP_E_clISE_SE_SF_SF_EEDaS13_S14_SK_SP_EUlS13_E_NS1_11comp_targetILNS1_3genE2ELNS1_11target_archE906ELNS1_3gpuE6ELNS1_3repE0EEENS1_47radix_sort_onesweep_sort_config_static_selectorELNS0_4arch9wavefront6targetE1EEEvSK_
; %bb.0:
	.section	.rodata,"a",@progbits
	.p2align	6, 0x0
	.amdhsa_kernel _ZN7rocprim17ROCPRIM_400000_NS6detail17trampoline_kernelINS0_14default_configENS1_35radix_sort_onesweep_config_selectorIiNS0_10empty_typeEEEZZNS1_29radix_sort_onesweep_iterationIS3_Lb0EN6thrust23THRUST_200600_302600_NS6detail15normal_iteratorINS9_10device_ptrIiEEEESE_PS5_SF_jNS0_19identity_decomposerENS1_16block_id_wrapperIjLb1EEEEE10hipError_tT1_PNSt15iterator_traitsISK_E10value_typeET2_T3_PNSL_ISQ_E10value_typeET4_T5_PSV_SW_PNS1_23onesweep_lookback_stateEbbT6_jjT7_P12ihipStream_tbENKUlT_T0_SK_SP_E_clISE_SE_SF_SF_EEDaS13_S14_SK_SP_EUlS13_E_NS1_11comp_targetILNS1_3genE2ELNS1_11target_archE906ELNS1_3gpuE6ELNS1_3repE0EEENS1_47radix_sort_onesweep_sort_config_static_selectorELNS0_4arch9wavefront6targetE1EEEvSK_
		.amdhsa_group_segment_fixed_size 0
		.amdhsa_private_segment_fixed_size 0
		.amdhsa_kernarg_size 88
		.amdhsa_user_sgpr_count 6
		.amdhsa_user_sgpr_private_segment_buffer 1
		.amdhsa_user_sgpr_dispatch_ptr 0
		.amdhsa_user_sgpr_queue_ptr 0
		.amdhsa_user_sgpr_kernarg_segment_ptr 1
		.amdhsa_user_sgpr_dispatch_id 0
		.amdhsa_user_sgpr_flat_scratch_init 0
		.amdhsa_user_sgpr_kernarg_preload_length 0
		.amdhsa_user_sgpr_kernarg_preload_offset 0
		.amdhsa_user_sgpr_private_segment_size 0
		.amdhsa_uses_dynamic_stack 0
		.amdhsa_system_sgpr_private_segment_wavefront_offset 0
		.amdhsa_system_sgpr_workgroup_id_x 1
		.amdhsa_system_sgpr_workgroup_id_y 0
		.amdhsa_system_sgpr_workgroup_id_z 0
		.amdhsa_system_sgpr_workgroup_info 0
		.amdhsa_system_vgpr_workitem_id 0
		.amdhsa_next_free_vgpr 1
		.amdhsa_next_free_sgpr 0
		.amdhsa_accum_offset 4
		.amdhsa_reserve_vcc 0
		.amdhsa_reserve_flat_scratch 0
		.amdhsa_float_round_mode_32 0
		.amdhsa_float_round_mode_16_64 0
		.amdhsa_float_denorm_mode_32 3
		.amdhsa_float_denorm_mode_16_64 3
		.amdhsa_dx10_clamp 1
		.amdhsa_ieee_mode 1
		.amdhsa_fp16_overflow 0
		.amdhsa_tg_split 0
		.amdhsa_exception_fp_ieee_invalid_op 0
		.amdhsa_exception_fp_denorm_src 0
		.amdhsa_exception_fp_ieee_div_zero 0
		.amdhsa_exception_fp_ieee_overflow 0
		.amdhsa_exception_fp_ieee_underflow 0
		.amdhsa_exception_fp_ieee_inexact 0
		.amdhsa_exception_int_div_zero 0
	.end_amdhsa_kernel
	.section	.text._ZN7rocprim17ROCPRIM_400000_NS6detail17trampoline_kernelINS0_14default_configENS1_35radix_sort_onesweep_config_selectorIiNS0_10empty_typeEEEZZNS1_29radix_sort_onesweep_iterationIS3_Lb0EN6thrust23THRUST_200600_302600_NS6detail15normal_iteratorINS9_10device_ptrIiEEEESE_PS5_SF_jNS0_19identity_decomposerENS1_16block_id_wrapperIjLb1EEEEE10hipError_tT1_PNSt15iterator_traitsISK_E10value_typeET2_T3_PNSL_ISQ_E10value_typeET4_T5_PSV_SW_PNS1_23onesweep_lookback_stateEbbT6_jjT7_P12ihipStream_tbENKUlT_T0_SK_SP_E_clISE_SE_SF_SF_EEDaS13_S14_SK_SP_EUlS13_E_NS1_11comp_targetILNS1_3genE2ELNS1_11target_archE906ELNS1_3gpuE6ELNS1_3repE0EEENS1_47radix_sort_onesweep_sort_config_static_selectorELNS0_4arch9wavefront6targetE1EEEvSK_,"axG",@progbits,_ZN7rocprim17ROCPRIM_400000_NS6detail17trampoline_kernelINS0_14default_configENS1_35radix_sort_onesweep_config_selectorIiNS0_10empty_typeEEEZZNS1_29radix_sort_onesweep_iterationIS3_Lb0EN6thrust23THRUST_200600_302600_NS6detail15normal_iteratorINS9_10device_ptrIiEEEESE_PS5_SF_jNS0_19identity_decomposerENS1_16block_id_wrapperIjLb1EEEEE10hipError_tT1_PNSt15iterator_traitsISK_E10value_typeET2_T3_PNSL_ISQ_E10value_typeET4_T5_PSV_SW_PNS1_23onesweep_lookback_stateEbbT6_jjT7_P12ihipStream_tbENKUlT_T0_SK_SP_E_clISE_SE_SF_SF_EEDaS13_S14_SK_SP_EUlS13_E_NS1_11comp_targetILNS1_3genE2ELNS1_11target_archE906ELNS1_3gpuE6ELNS1_3repE0EEENS1_47radix_sort_onesweep_sort_config_static_selectorELNS0_4arch9wavefront6targetE1EEEvSK_,comdat
.Lfunc_end1749:
	.size	_ZN7rocprim17ROCPRIM_400000_NS6detail17trampoline_kernelINS0_14default_configENS1_35radix_sort_onesweep_config_selectorIiNS0_10empty_typeEEEZZNS1_29radix_sort_onesweep_iterationIS3_Lb0EN6thrust23THRUST_200600_302600_NS6detail15normal_iteratorINS9_10device_ptrIiEEEESE_PS5_SF_jNS0_19identity_decomposerENS1_16block_id_wrapperIjLb1EEEEE10hipError_tT1_PNSt15iterator_traitsISK_E10value_typeET2_T3_PNSL_ISQ_E10value_typeET4_T5_PSV_SW_PNS1_23onesweep_lookback_stateEbbT6_jjT7_P12ihipStream_tbENKUlT_T0_SK_SP_E_clISE_SE_SF_SF_EEDaS13_S14_SK_SP_EUlS13_E_NS1_11comp_targetILNS1_3genE2ELNS1_11target_archE906ELNS1_3gpuE6ELNS1_3repE0EEENS1_47radix_sort_onesweep_sort_config_static_selectorELNS0_4arch9wavefront6targetE1EEEvSK_, .Lfunc_end1749-_ZN7rocprim17ROCPRIM_400000_NS6detail17trampoline_kernelINS0_14default_configENS1_35radix_sort_onesweep_config_selectorIiNS0_10empty_typeEEEZZNS1_29radix_sort_onesweep_iterationIS3_Lb0EN6thrust23THRUST_200600_302600_NS6detail15normal_iteratorINS9_10device_ptrIiEEEESE_PS5_SF_jNS0_19identity_decomposerENS1_16block_id_wrapperIjLb1EEEEE10hipError_tT1_PNSt15iterator_traitsISK_E10value_typeET2_T3_PNSL_ISQ_E10value_typeET4_T5_PSV_SW_PNS1_23onesweep_lookback_stateEbbT6_jjT7_P12ihipStream_tbENKUlT_T0_SK_SP_E_clISE_SE_SF_SF_EEDaS13_S14_SK_SP_EUlS13_E_NS1_11comp_targetILNS1_3genE2ELNS1_11target_archE906ELNS1_3gpuE6ELNS1_3repE0EEENS1_47radix_sort_onesweep_sort_config_static_selectorELNS0_4arch9wavefront6targetE1EEEvSK_
                                        ; -- End function
	.section	.AMDGPU.csdata,"",@progbits
; Kernel info:
; codeLenInByte = 0
; NumSgprs: 4
; NumVgprs: 0
; NumAgprs: 0
; TotalNumVgprs: 0
; ScratchSize: 0
; MemoryBound: 0
; FloatMode: 240
; IeeeMode: 1
; LDSByteSize: 0 bytes/workgroup (compile time only)
; SGPRBlocks: 0
; VGPRBlocks: 0
; NumSGPRsForWavesPerEU: 4
; NumVGPRsForWavesPerEU: 1
; AccumOffset: 4
; Occupancy: 8
; WaveLimiterHint : 0
; COMPUTE_PGM_RSRC2:SCRATCH_EN: 0
; COMPUTE_PGM_RSRC2:USER_SGPR: 6
; COMPUTE_PGM_RSRC2:TRAP_HANDLER: 0
; COMPUTE_PGM_RSRC2:TGID_X_EN: 1
; COMPUTE_PGM_RSRC2:TGID_Y_EN: 0
; COMPUTE_PGM_RSRC2:TGID_Z_EN: 0
; COMPUTE_PGM_RSRC2:TIDIG_COMP_CNT: 0
; COMPUTE_PGM_RSRC3_GFX90A:ACCUM_OFFSET: 0
; COMPUTE_PGM_RSRC3_GFX90A:TG_SPLIT: 0
	.section	.text._ZN7rocprim17ROCPRIM_400000_NS6detail17trampoline_kernelINS0_14default_configENS1_35radix_sort_onesweep_config_selectorIiNS0_10empty_typeEEEZZNS1_29radix_sort_onesweep_iterationIS3_Lb0EN6thrust23THRUST_200600_302600_NS6detail15normal_iteratorINS9_10device_ptrIiEEEESE_PS5_SF_jNS0_19identity_decomposerENS1_16block_id_wrapperIjLb1EEEEE10hipError_tT1_PNSt15iterator_traitsISK_E10value_typeET2_T3_PNSL_ISQ_E10value_typeET4_T5_PSV_SW_PNS1_23onesweep_lookback_stateEbbT6_jjT7_P12ihipStream_tbENKUlT_T0_SK_SP_E_clISE_SE_SF_SF_EEDaS13_S14_SK_SP_EUlS13_E_NS1_11comp_targetILNS1_3genE4ELNS1_11target_archE910ELNS1_3gpuE8ELNS1_3repE0EEENS1_47radix_sort_onesweep_sort_config_static_selectorELNS0_4arch9wavefront6targetE1EEEvSK_,"axG",@progbits,_ZN7rocprim17ROCPRIM_400000_NS6detail17trampoline_kernelINS0_14default_configENS1_35radix_sort_onesweep_config_selectorIiNS0_10empty_typeEEEZZNS1_29radix_sort_onesweep_iterationIS3_Lb0EN6thrust23THRUST_200600_302600_NS6detail15normal_iteratorINS9_10device_ptrIiEEEESE_PS5_SF_jNS0_19identity_decomposerENS1_16block_id_wrapperIjLb1EEEEE10hipError_tT1_PNSt15iterator_traitsISK_E10value_typeET2_T3_PNSL_ISQ_E10value_typeET4_T5_PSV_SW_PNS1_23onesweep_lookback_stateEbbT6_jjT7_P12ihipStream_tbENKUlT_T0_SK_SP_E_clISE_SE_SF_SF_EEDaS13_S14_SK_SP_EUlS13_E_NS1_11comp_targetILNS1_3genE4ELNS1_11target_archE910ELNS1_3gpuE8ELNS1_3repE0EEENS1_47radix_sort_onesweep_sort_config_static_selectorELNS0_4arch9wavefront6targetE1EEEvSK_,comdat
	.protected	_ZN7rocprim17ROCPRIM_400000_NS6detail17trampoline_kernelINS0_14default_configENS1_35radix_sort_onesweep_config_selectorIiNS0_10empty_typeEEEZZNS1_29radix_sort_onesweep_iterationIS3_Lb0EN6thrust23THRUST_200600_302600_NS6detail15normal_iteratorINS9_10device_ptrIiEEEESE_PS5_SF_jNS0_19identity_decomposerENS1_16block_id_wrapperIjLb1EEEEE10hipError_tT1_PNSt15iterator_traitsISK_E10value_typeET2_T3_PNSL_ISQ_E10value_typeET4_T5_PSV_SW_PNS1_23onesweep_lookback_stateEbbT6_jjT7_P12ihipStream_tbENKUlT_T0_SK_SP_E_clISE_SE_SF_SF_EEDaS13_S14_SK_SP_EUlS13_E_NS1_11comp_targetILNS1_3genE4ELNS1_11target_archE910ELNS1_3gpuE8ELNS1_3repE0EEENS1_47radix_sort_onesweep_sort_config_static_selectorELNS0_4arch9wavefront6targetE1EEEvSK_ ; -- Begin function _ZN7rocprim17ROCPRIM_400000_NS6detail17trampoline_kernelINS0_14default_configENS1_35radix_sort_onesweep_config_selectorIiNS0_10empty_typeEEEZZNS1_29radix_sort_onesweep_iterationIS3_Lb0EN6thrust23THRUST_200600_302600_NS6detail15normal_iteratorINS9_10device_ptrIiEEEESE_PS5_SF_jNS0_19identity_decomposerENS1_16block_id_wrapperIjLb1EEEEE10hipError_tT1_PNSt15iterator_traitsISK_E10value_typeET2_T3_PNSL_ISQ_E10value_typeET4_T5_PSV_SW_PNS1_23onesweep_lookback_stateEbbT6_jjT7_P12ihipStream_tbENKUlT_T0_SK_SP_E_clISE_SE_SF_SF_EEDaS13_S14_SK_SP_EUlS13_E_NS1_11comp_targetILNS1_3genE4ELNS1_11target_archE910ELNS1_3gpuE8ELNS1_3repE0EEENS1_47radix_sort_onesweep_sort_config_static_selectorELNS0_4arch9wavefront6targetE1EEEvSK_
	.globl	_ZN7rocprim17ROCPRIM_400000_NS6detail17trampoline_kernelINS0_14default_configENS1_35radix_sort_onesweep_config_selectorIiNS0_10empty_typeEEEZZNS1_29radix_sort_onesweep_iterationIS3_Lb0EN6thrust23THRUST_200600_302600_NS6detail15normal_iteratorINS9_10device_ptrIiEEEESE_PS5_SF_jNS0_19identity_decomposerENS1_16block_id_wrapperIjLb1EEEEE10hipError_tT1_PNSt15iterator_traitsISK_E10value_typeET2_T3_PNSL_ISQ_E10value_typeET4_T5_PSV_SW_PNS1_23onesweep_lookback_stateEbbT6_jjT7_P12ihipStream_tbENKUlT_T0_SK_SP_E_clISE_SE_SF_SF_EEDaS13_S14_SK_SP_EUlS13_E_NS1_11comp_targetILNS1_3genE4ELNS1_11target_archE910ELNS1_3gpuE8ELNS1_3repE0EEENS1_47radix_sort_onesweep_sort_config_static_selectorELNS0_4arch9wavefront6targetE1EEEvSK_
	.p2align	8
	.type	_ZN7rocprim17ROCPRIM_400000_NS6detail17trampoline_kernelINS0_14default_configENS1_35radix_sort_onesweep_config_selectorIiNS0_10empty_typeEEEZZNS1_29radix_sort_onesweep_iterationIS3_Lb0EN6thrust23THRUST_200600_302600_NS6detail15normal_iteratorINS9_10device_ptrIiEEEESE_PS5_SF_jNS0_19identity_decomposerENS1_16block_id_wrapperIjLb1EEEEE10hipError_tT1_PNSt15iterator_traitsISK_E10value_typeET2_T3_PNSL_ISQ_E10value_typeET4_T5_PSV_SW_PNS1_23onesweep_lookback_stateEbbT6_jjT7_P12ihipStream_tbENKUlT_T0_SK_SP_E_clISE_SE_SF_SF_EEDaS13_S14_SK_SP_EUlS13_E_NS1_11comp_targetILNS1_3genE4ELNS1_11target_archE910ELNS1_3gpuE8ELNS1_3repE0EEENS1_47radix_sort_onesweep_sort_config_static_selectorELNS0_4arch9wavefront6targetE1EEEvSK_,@function
_ZN7rocprim17ROCPRIM_400000_NS6detail17trampoline_kernelINS0_14default_configENS1_35radix_sort_onesweep_config_selectorIiNS0_10empty_typeEEEZZNS1_29radix_sort_onesweep_iterationIS3_Lb0EN6thrust23THRUST_200600_302600_NS6detail15normal_iteratorINS9_10device_ptrIiEEEESE_PS5_SF_jNS0_19identity_decomposerENS1_16block_id_wrapperIjLb1EEEEE10hipError_tT1_PNSt15iterator_traitsISK_E10value_typeET2_T3_PNSL_ISQ_E10value_typeET4_T5_PSV_SW_PNS1_23onesweep_lookback_stateEbbT6_jjT7_P12ihipStream_tbENKUlT_T0_SK_SP_E_clISE_SE_SF_SF_EEDaS13_S14_SK_SP_EUlS13_E_NS1_11comp_targetILNS1_3genE4ELNS1_11target_archE910ELNS1_3gpuE8ELNS1_3repE0EEENS1_47radix_sort_onesweep_sort_config_static_selectorELNS0_4arch9wavefront6targetE1EEEvSK_: ; @_ZN7rocprim17ROCPRIM_400000_NS6detail17trampoline_kernelINS0_14default_configENS1_35radix_sort_onesweep_config_selectorIiNS0_10empty_typeEEEZZNS1_29radix_sort_onesweep_iterationIS3_Lb0EN6thrust23THRUST_200600_302600_NS6detail15normal_iteratorINS9_10device_ptrIiEEEESE_PS5_SF_jNS0_19identity_decomposerENS1_16block_id_wrapperIjLb1EEEEE10hipError_tT1_PNSt15iterator_traitsISK_E10value_typeET2_T3_PNSL_ISQ_E10value_typeET4_T5_PSV_SW_PNS1_23onesweep_lookback_stateEbbT6_jjT7_P12ihipStream_tbENKUlT_T0_SK_SP_E_clISE_SE_SF_SF_EEDaS13_S14_SK_SP_EUlS13_E_NS1_11comp_targetILNS1_3genE4ELNS1_11target_archE910ELNS1_3gpuE8ELNS1_3repE0EEENS1_47radix_sort_onesweep_sort_config_static_selectorELNS0_4arch9wavefront6targetE1EEEvSK_
; %bb.0:
	s_load_dwordx4 s[16:19], s[4:5], 0x28
	s_load_dwordx2 s[14:15], s[4:5], 0x38
	s_load_dwordx4 s[20:23], s[4:5], 0x44
	v_and_b32_e32 v2, 0x3ff, v0
	v_cmp_eq_u32_e64 s[0:1], 0, v2
	s_and_saveexec_b64 s[2:3], s[0:1]
	s_cbranch_execz .LBB1750_4
; %bb.1:
	s_mov_b64 s[10:11], exec
	v_mbcnt_lo_u32_b32 v1, s10, 0
	v_mbcnt_hi_u32_b32 v1, s11, v1
	v_cmp_eq_u32_e32 vcc, 0, v1
                                        ; implicit-def: $vgpr3
	s_and_saveexec_b64 s[8:9], vcc
	s_cbranch_execz .LBB1750_3
; %bb.2:
	s_load_dwordx2 s[12:13], s[4:5], 0x50
	s_bcnt1_i32_b64 s7, s[10:11]
	v_mov_b32_e32 v3, 0
	v_mov_b32_e32 v4, s7
	s_waitcnt lgkmcnt(0)
	global_atomic_add v3, v3, v4, s[12:13] glc
.LBB1750_3:
	s_or_b64 exec, exec, s[8:9]
	s_waitcnt vmcnt(0)
	v_readfirstlane_b32 s7, v3
	v_add_u32_e32 v1, s7, v1
	v_mov_b32_e32 v3, 0
	ds_write_b32 v3, v1 offset:20544
.LBB1750_4:
	s_or_b64 exec, exec, s[2:3]
	v_mov_b32_e32 v1, 0
	s_load_dwordx4 s[24:27], s[4:5], 0x0
	s_load_dword s2, s[4:5], 0x20
	s_waitcnt lgkmcnt(0)
	s_barrier
	ds_read_b32 v1, v1 offset:20544
	s_waitcnt lgkmcnt(0)
	s_barrier
	v_readfirstlane_b32 s30, v1
	v_cmp_le_u32_e32 vcc, s22, v1
	s_mul_i32 s28, s30, 0x3000
	v_mbcnt_lo_u32_b32 v1, -1, 0
	s_cbranch_vccz .LBB1750_83
; %bb.5:
	s_mul_i32 s7, s22, 0xffffd000
	s_mov_b32 s29, 0
	s_add_i32 s7, s7, s2
	s_lshl_b64 s[2:3], s[28:29], 2
	v_mbcnt_hi_u32_b32 v8, -1, v1
	s_add_u32 s2, s24, s2
	v_and_b32_e32 v3, 63, v8
	v_and_b32_e32 v4, 0x3c0, v2
	s_addc_u32 s3, s25, s3
	v_mul_u32_u24_e32 v6, 12, v4
	v_lshlrev_b32_e32 v4, 2, v3
	v_mov_b32_e32 v5, s3
	v_add_co_u32_e32 v4, vcc, s2, v4
	v_addc_co_u32_e32 v5, vcc, 0, v5, vcc
	v_lshlrev_b32_e32 v7, 2, v6
	v_add_co_u32_e32 v4, vcc, v4, v7
	v_addc_co_u32_e32 v5, vcc, 0, v5, vcc
	v_or_b32_e32 v6, v3, v6
	v_cmp_gt_u32_e32 vcc, s7, v6
	v_bfrev_b32_e32 v10, -2
	v_bfrev_b32_e32 v3, -2
	s_and_saveexec_b64 s[2:3], vcc
	s_cbranch_execz .LBB1750_7
; %bb.6:
	global_load_dword v3, v[4:5], off
.LBB1750_7:
	s_or_b64 exec, exec, s[2:3]
	v_or_b32_e32 v7, 64, v6
	v_cmp_gt_u32_e32 vcc, s7, v7
	s_and_saveexec_b64 s[2:3], vcc
	s_cbranch_execz .LBB1750_9
; %bb.8:
	global_load_dword v10, v[4:5], off offset:256
.LBB1750_9:
	s_or_b64 exec, exec, s[2:3]
	v_or_b32_e32 v7, 0x80, v6
	v_cmp_gt_u32_e32 vcc, s7, v7
	v_bfrev_b32_e32 v14, -2
	v_bfrev_b32_e32 v11, -2
	s_and_saveexec_b64 s[2:3], vcc
	s_cbranch_execz .LBB1750_11
; %bb.10:
	global_load_dword v11, v[4:5], off offset:512
.LBB1750_11:
	s_or_b64 exec, exec, s[2:3]
	v_or_b32_e32 v7, 0xc0, v6
	v_cmp_gt_u32_e32 vcc, s7, v7
	s_and_saveexec_b64 s[2:3], vcc
	s_cbranch_execz .LBB1750_13
; %bb.12:
	global_load_dword v14, v[4:5], off offset:768
.LBB1750_13:
	s_or_b64 exec, exec, s[2:3]
	v_add_u32_e32 v7, 0x100, v6
	v_cmp_gt_u32_e32 vcc, s7, v7
	v_bfrev_b32_e32 v23, -2
	v_bfrev_b32_e32 v17, -2
	s_and_saveexec_b64 s[2:3], vcc
	s_cbranch_execz .LBB1750_15
; %bb.14:
	global_load_dword v17, v[4:5], off offset:1024
.LBB1750_15:
	s_or_b64 exec, exec, s[2:3]
	v_add_u32_e32 v7, 0x140, v6
	v_cmp_gt_u32_e32 vcc, s7, v7
	s_and_saveexec_b64 s[2:3], vcc
	s_cbranch_execz .LBB1750_17
; %bb.16:
	global_load_dword v23, v[4:5], off offset:1280
.LBB1750_17:
	s_or_b64 exec, exec, s[2:3]
	v_add_u32_e32 v7, 0x180, v6
	v_cmp_gt_u32_e32 vcc, s7, v7
	v_bfrev_b32_e32 v34, -2
	v_bfrev_b32_e32 v28, -2
	s_and_saveexec_b64 s[2:3], vcc
	s_cbranch_execz .LBB1750_19
; %bb.18:
	global_load_dword v28, v[4:5], off offset:1536
.LBB1750_19:
	s_or_b64 exec, exec, s[2:3]
	v_add_u32_e32 v7, 0x1c0, v6
	;; [unrolled: 18-line block ×4, first 2 shown]
	v_cmp_gt_u32_e32 vcc, s7, v6
	s_and_saveexec_b64 s[2:3], vcc
	s_cbranch_execz .LBB1750_29
; %bb.28:
	global_load_dword v20, v[4:5], off offset:2816
.LBB1750_29:
	s_or_b64 exec, exec, s[2:3]
	s_load_dword s2, s[4:5], 0x64
	s_load_dword s29, s[4:5], 0x58
	s_add_u32 s3, s4, 0x58
	s_addc_u32 s8, s5, 0
	v_mov_b32_e32 v4, 0
	s_waitcnt lgkmcnt(0)
	s_lshr_b32 s9, s2, 16
	s_cmp_lt_u32 s6, s29
	s_cselect_b32 s2, 12, 18
	s_add_u32 s2, s3, s2
	s_addc_u32 s3, s8, 0
	global_load_ushort v6, v4, s[2:3]
	s_waitcnt vmcnt(1)
	v_xor_b32_e32 v3, 0x80000000, v3
	s_lshl_b32 s2, -1, s21
	v_lshrrev_b32_e32 v12, s20, v3
	s_not_b32 s31, s2
	v_and_b32_e32 v12, s31, v12
	v_and_b32_e32 v15, 1, v12
	v_bfe_u32 v5, v0, 10, 10
	v_bfe_u32 v7, v0, 20, 10
	v_add_co_u32_e32 v16, vcc, -1, v15
	v_mad_u32_u24 v7, v7, s9, v5
	v_lshlrev_b32_e32 v5, 30, v12
	v_addc_co_u32_e64 v18, s[2:3], 0, -1, vcc
	v_cmp_ne_u32_e32 vcc, 0, v15
	v_cmp_gt_i64_e64 s[2:3], 0, v[4:5]
	v_not_b32_e32 v15, v5
	v_lshlrev_b32_e32 v5, 29, v12
	v_xor_b32_e32 v18, vcc_hi, v18
	v_xor_b32_e32 v16, vcc_lo, v16
	v_ashrrev_i32_e32 v15, 31, v15
	v_cmp_gt_i64_e32 vcc, 0, v[4:5]
	v_not_b32_e32 v19, v5
	v_lshlrev_b32_e32 v5, 28, v12
	v_and_b32_e32 v18, exec_hi, v18
	v_and_b32_e32 v16, exec_lo, v16
	v_xor_b32_e32 v21, s3, v15
	v_xor_b32_e32 v15, s2, v15
	v_ashrrev_i32_e32 v19, 31, v19
	v_cmp_gt_i64_e64 s[2:3], 0, v[4:5]
	v_not_b32_e32 v22, v5
	v_lshlrev_b32_e32 v5, 27, v12
	v_and_b32_e32 v18, v18, v21
	v_and_b32_e32 v15, v16, v15
	v_xor_b32_e32 v16, vcc_hi, v19
	v_xor_b32_e32 v19, vcc_lo, v19
	v_ashrrev_i32_e32 v21, 31, v22
	v_cmp_gt_i64_e32 vcc, 0, v[4:5]
	v_not_b32_e32 v22, v5
	v_lshlrev_b32_e32 v5, 26, v12
	v_and_b32_e32 v16, v18, v16
	v_and_b32_e32 v15, v15, v19
	v_xor_b32_e32 v18, s3, v21
	v_xor_b32_e32 v19, s2, v21
	v_ashrrev_i32_e32 v21, 31, v22
	v_cmp_gt_i64_e64 s[2:3], 0, v[4:5]
	v_not_b32_e32 v22, v5
	v_lshlrev_b32_e32 v5, 25, v12
	v_and_b32_e32 v16, v16, v18
	v_and_b32_e32 v15, v15, v19
	v_xor_b32_e32 v18, vcc_hi, v21
	v_xor_b32_e32 v19, vcc_lo, v21
	v_ashrrev_i32_e32 v21, 31, v22
	v_cmp_gt_i64_e32 vcc, 0, v[4:5]
	v_not_b32_e32 v22, v5
	v_lshlrev_b32_e32 v5, 24, v12
	v_lshl_add_u32 v13, v12, 4, v12
	v_and_b32_e32 v12, v16, v18
	v_and_b32_e32 v15, v15, v19
	v_xor_b32_e32 v16, s3, v21
	v_xor_b32_e32 v18, s2, v21
	v_ashrrev_i32_e32 v19, 31, v22
	v_cmp_gt_i64_e64 s[2:3], 0, v[4:5]
	v_not_b32_e32 v5, v5
	v_and_b32_e32 v12, v12, v16
	v_and_b32_e32 v15, v15, v18
	v_xor_b32_e32 v16, vcc_hi, v19
	v_xor_b32_e32 v18, vcc_lo, v19
	v_ashrrev_i32_e32 v5, 31, v5
	v_and_b32_e32 v12, v12, v16
	v_and_b32_e32 v15, v15, v18
	v_mul_u32_u24_e32 v9, 5, v2
	v_lshlrev_b32_e32 v9, 2, v9
	ds_write2_b32 v9, v4, v4 offset0:16 offset1:17
	ds_write2_b32 v9, v4, v4 offset0:18 offset1:19
	ds_write_b32 v9, v4 offset:80
	s_waitcnt lgkmcnt(0)
	s_barrier
	s_waitcnt lgkmcnt(0)
	; wave barrier
	s_waitcnt vmcnt(0)
	v_mad_u64_u32 v[6:7], s[8:9], v7, v6, v[2:3]
	v_lshrrev_b32_e32 v29, 6, v6
	v_xor_b32_e32 v6, s3, v5
	v_xor_b32_e32 v5, s2, v5
	v_and_b32_e32 v7, v12, v6
	v_and_b32_e32 v6, v15, v5
	v_mbcnt_lo_u32_b32 v5, v6, 0
	v_mbcnt_hi_u32_b32 v12, v7, v5
	v_cmp_eq_u32_e32 vcc, 0, v12
	v_cmp_ne_u64_e64 s[2:3], 0, v[6:7]
	v_add_lshl_u32 v18, v29, v13, 2
	s_and_b64 s[8:9], s[2:3], vcc
	s_and_saveexec_b64 s[2:3], s[8:9]
	s_cbranch_execz .LBB1750_31
; %bb.30:
	v_bcnt_u32_b32 v5, v6, 0
	v_bcnt_u32_b32 v5, v7, v5
	ds_write_b32 v18, v5 offset:64
.LBB1750_31:
	s_or_b64 exec, exec, s[2:3]
	v_xor_b32_e32 v10, 0x80000000, v10
	v_lshrrev_b32_e32 v5, s20, v10
	v_and_b32_e32 v6, s31, v5
	v_lshl_add_u32 v5, v6, 4, v6
	v_add_lshl_u32 v19, v29, v5, 2
	v_and_b32_e32 v5, 1, v6
	v_add_co_u32_e32 v7, vcc, -1, v5
	v_addc_co_u32_e64 v15, s[2:3], 0, -1, vcc
	v_cmp_ne_u32_e32 vcc, 0, v5
	v_xor_b32_e32 v5, vcc_hi, v15
	v_and_b32_e32 v15, exec_hi, v5
	v_lshlrev_b32_e32 v5, 30, v6
	v_xor_b32_e32 v7, vcc_lo, v7
	v_cmp_gt_i64_e32 vcc, 0, v[4:5]
	v_not_b32_e32 v5, v5
	v_ashrrev_i32_e32 v5, 31, v5
	v_and_b32_e32 v7, exec_lo, v7
	v_xor_b32_e32 v16, vcc_hi, v5
	v_xor_b32_e32 v5, vcc_lo, v5
	v_and_b32_e32 v7, v7, v5
	v_lshlrev_b32_e32 v5, 29, v6
	v_cmp_gt_i64_e32 vcc, 0, v[4:5]
	v_not_b32_e32 v5, v5
	v_ashrrev_i32_e32 v5, 31, v5
	v_and_b32_e32 v15, v15, v16
	v_xor_b32_e32 v16, vcc_hi, v5
	v_xor_b32_e32 v5, vcc_lo, v5
	v_and_b32_e32 v7, v7, v5
	v_lshlrev_b32_e32 v5, 28, v6
	v_cmp_gt_i64_e32 vcc, 0, v[4:5]
	v_not_b32_e32 v5, v5
	v_ashrrev_i32_e32 v5, 31, v5
	v_and_b32_e32 v15, v15, v16
	;; [unrolled: 8-line block ×5, first 2 shown]
	v_xor_b32_e32 v16, vcc_hi, v5
	v_xor_b32_e32 v5, vcc_lo, v5
	v_and_b32_e32 v7, v7, v5
	v_lshlrev_b32_e32 v5, 24, v6
	v_cmp_gt_i64_e32 vcc, 0, v[4:5]
	v_not_b32_e32 v4, v5
	v_ashrrev_i32_e32 v4, 31, v4
	v_xor_b32_e32 v5, vcc_hi, v4
	v_xor_b32_e32 v4, vcc_lo, v4
	; wave barrier
	ds_read_b32 v13, v19 offset:64
	v_and_b32_e32 v15, v15, v16
	v_and_b32_e32 v4, v7, v4
	;; [unrolled: 1-line block ×3, first 2 shown]
	v_mbcnt_lo_u32_b32 v6, v4, 0
	v_mbcnt_hi_u32_b32 v15, v5, v6
	v_cmp_eq_u32_e32 vcc, 0, v15
	v_cmp_ne_u64_e64 s[2:3], 0, v[4:5]
	s_and_b64 s[8:9], s[2:3], vcc
	; wave barrier
	s_and_saveexec_b64 s[2:3], s[8:9]
	s_cbranch_execz .LBB1750_33
; %bb.32:
	v_bcnt_u32_b32 v4, v4, 0
	v_bcnt_u32_b32 v4, v5, v4
	s_waitcnt lgkmcnt(0)
	v_add_u32_e32 v4, v13, v4
	ds_write_b32 v19, v4 offset:64
.LBB1750_33:
	s_or_b64 exec, exec, s[2:3]
	v_xor_b32_e32 v11, 0x80000000, v11
	v_lshrrev_b32_e32 v4, s20, v11
	v_and_b32_e32 v6, s31, v4
	v_and_b32_e32 v5, 1, v6
	v_add_co_u32_e32 v7, vcc, -1, v5
	v_addc_co_u32_e64 v21, s[2:3], 0, -1, vcc
	v_cmp_ne_u32_e32 vcc, 0, v5
	v_lshl_add_u32 v4, v6, 4, v6
	v_xor_b32_e32 v5, vcc_hi, v21
	v_add_lshl_u32 v24, v29, v4, 2
	v_mov_b32_e32 v4, 0
	v_and_b32_e32 v21, exec_hi, v5
	v_lshlrev_b32_e32 v5, 30, v6
	v_xor_b32_e32 v7, vcc_lo, v7
	v_cmp_gt_i64_e32 vcc, 0, v[4:5]
	v_not_b32_e32 v5, v5
	v_ashrrev_i32_e32 v5, 31, v5
	v_and_b32_e32 v7, exec_lo, v7
	v_xor_b32_e32 v22, vcc_hi, v5
	v_xor_b32_e32 v5, vcc_lo, v5
	v_and_b32_e32 v7, v7, v5
	v_lshlrev_b32_e32 v5, 29, v6
	v_cmp_gt_i64_e32 vcc, 0, v[4:5]
	v_not_b32_e32 v5, v5
	v_ashrrev_i32_e32 v5, 31, v5
	v_and_b32_e32 v21, v21, v22
	v_xor_b32_e32 v22, vcc_hi, v5
	v_xor_b32_e32 v5, vcc_lo, v5
	v_and_b32_e32 v7, v7, v5
	v_lshlrev_b32_e32 v5, 28, v6
	v_cmp_gt_i64_e32 vcc, 0, v[4:5]
	v_not_b32_e32 v5, v5
	v_ashrrev_i32_e32 v5, 31, v5
	v_and_b32_e32 v21, v21, v22
	;; [unrolled: 8-line block ×5, first 2 shown]
	v_xor_b32_e32 v22, vcc_hi, v5
	v_xor_b32_e32 v5, vcc_lo, v5
	v_and_b32_e32 v21, v21, v22
	v_and_b32_e32 v22, v7, v5
	v_lshlrev_b32_e32 v5, 24, v6
	v_cmp_gt_i64_e32 vcc, 0, v[4:5]
	v_not_b32_e32 v5, v5
	v_ashrrev_i32_e32 v5, 31, v5
	v_xor_b32_e32 v6, vcc_hi, v5
	v_xor_b32_e32 v5, vcc_lo, v5
	; wave barrier
	ds_read_b32 v16, v24 offset:64
	v_and_b32_e32 v7, v21, v6
	v_and_b32_e32 v6, v22, v5
	v_mbcnt_lo_u32_b32 v5, v6, 0
	v_mbcnt_hi_u32_b32 v21, v7, v5
	v_cmp_eq_u32_e32 vcc, 0, v21
	v_cmp_ne_u64_e64 s[2:3], 0, v[6:7]
	s_and_b64 s[8:9], s[2:3], vcc
	; wave barrier
	s_and_saveexec_b64 s[2:3], s[8:9]
	s_cbranch_execz .LBB1750_35
; %bb.34:
	v_bcnt_u32_b32 v5, v6, 0
	v_bcnt_u32_b32 v5, v7, v5
	s_waitcnt lgkmcnt(0)
	v_add_u32_e32 v5, v16, v5
	ds_write_b32 v24, v5 offset:64
.LBB1750_35:
	s_or_b64 exec, exec, s[2:3]
	v_xor_b32_e32 v14, 0x80000000, v14
	v_lshrrev_b32_e32 v5, s20, v14
	v_and_b32_e32 v6, s31, v5
	v_lshl_add_u32 v5, v6, 4, v6
	v_add_lshl_u32 v31, v29, v5, 2
	v_and_b32_e32 v5, 1, v6
	v_add_co_u32_e32 v7, vcc, -1, v5
	v_addc_co_u32_e64 v26, s[2:3], 0, -1, vcc
	v_cmp_ne_u32_e32 vcc, 0, v5
	v_xor_b32_e32 v5, vcc_hi, v26
	v_and_b32_e32 v26, exec_hi, v5
	v_lshlrev_b32_e32 v5, 30, v6
	v_xor_b32_e32 v7, vcc_lo, v7
	v_cmp_gt_i64_e32 vcc, 0, v[4:5]
	v_not_b32_e32 v5, v5
	v_ashrrev_i32_e32 v5, 31, v5
	v_and_b32_e32 v7, exec_lo, v7
	v_xor_b32_e32 v27, vcc_hi, v5
	v_xor_b32_e32 v5, vcc_lo, v5
	v_and_b32_e32 v7, v7, v5
	v_lshlrev_b32_e32 v5, 29, v6
	v_cmp_gt_i64_e32 vcc, 0, v[4:5]
	v_not_b32_e32 v5, v5
	v_ashrrev_i32_e32 v5, 31, v5
	v_and_b32_e32 v26, v26, v27
	v_xor_b32_e32 v27, vcc_hi, v5
	v_xor_b32_e32 v5, vcc_lo, v5
	v_and_b32_e32 v7, v7, v5
	v_lshlrev_b32_e32 v5, 28, v6
	v_cmp_gt_i64_e32 vcc, 0, v[4:5]
	v_not_b32_e32 v5, v5
	v_ashrrev_i32_e32 v5, 31, v5
	v_and_b32_e32 v26, v26, v27
	v_xor_b32_e32 v27, vcc_hi, v5
	v_xor_b32_e32 v5, vcc_lo, v5
	v_and_b32_e32 v7, v7, v5
	v_lshlrev_b32_e32 v5, 27, v6
	v_cmp_gt_i64_e32 vcc, 0, v[4:5]
	v_not_b32_e32 v5, v5
	v_ashrrev_i32_e32 v5, 31, v5
	v_and_b32_e32 v26, v26, v27
	v_xor_b32_e32 v27, vcc_hi, v5
	v_xor_b32_e32 v5, vcc_lo, v5
	v_and_b32_e32 v7, v7, v5
	v_lshlrev_b32_e32 v5, 26, v6
	v_cmp_gt_i64_e32 vcc, 0, v[4:5]
	v_not_b32_e32 v5, v5
	v_ashrrev_i32_e32 v5, 31, v5
	v_and_b32_e32 v26, v26, v27
	v_xor_b32_e32 v27, vcc_hi, v5
	v_xor_b32_e32 v5, vcc_lo, v5
	v_and_b32_e32 v7, v7, v5
	v_lshlrev_b32_e32 v5, 25, v6
	v_cmp_gt_i64_e32 vcc, 0, v[4:5]
	v_not_b32_e32 v5, v5
	v_ashrrev_i32_e32 v5, 31, v5
	v_and_b32_e32 v26, v26, v27
	v_xor_b32_e32 v27, vcc_hi, v5
	v_xor_b32_e32 v5, vcc_lo, v5
	v_and_b32_e32 v7, v7, v5
	v_lshlrev_b32_e32 v5, 24, v6
	v_cmp_gt_i64_e32 vcc, 0, v[4:5]
	v_not_b32_e32 v4, v5
	v_ashrrev_i32_e32 v4, 31, v4
	v_xor_b32_e32 v5, vcc_hi, v4
	v_xor_b32_e32 v4, vcc_lo, v4
	; wave barrier
	ds_read_b32 v22, v31 offset:64
	v_and_b32_e32 v26, v26, v27
	v_and_b32_e32 v4, v7, v4
	v_and_b32_e32 v5, v26, v5
	v_mbcnt_lo_u32_b32 v6, v4, 0
	v_mbcnt_hi_u32_b32 v26, v5, v6
	v_cmp_eq_u32_e32 vcc, 0, v26
	v_cmp_ne_u64_e64 s[2:3], 0, v[4:5]
	s_and_b64 s[8:9], s[2:3], vcc
	; wave barrier
	s_and_saveexec_b64 s[2:3], s[8:9]
	s_cbranch_execz .LBB1750_37
; %bb.36:
	v_bcnt_u32_b32 v4, v4, 0
	v_bcnt_u32_b32 v4, v5, v4
	s_waitcnt lgkmcnt(0)
	v_add_u32_e32 v4, v22, v4
	ds_write_b32 v31, v4 offset:64
.LBB1750_37:
	s_or_b64 exec, exec, s[2:3]
	v_xor_b32_e32 v17, 0x80000000, v17
	v_lshrrev_b32_e32 v4, s20, v17
	v_and_b32_e32 v6, s31, v4
	v_and_b32_e32 v5, 1, v6
	v_add_co_u32_e32 v7, vcc, -1, v5
	v_addc_co_u32_e64 v32, s[2:3], 0, -1, vcc
	v_cmp_ne_u32_e32 vcc, 0, v5
	v_lshl_add_u32 v4, v6, 4, v6
	v_xor_b32_e32 v5, vcc_hi, v32
	v_add_lshl_u32 v36, v29, v4, 2
	v_mov_b32_e32 v4, 0
	v_and_b32_e32 v32, exec_hi, v5
	v_lshlrev_b32_e32 v5, 30, v6
	v_xor_b32_e32 v7, vcc_lo, v7
	v_cmp_gt_i64_e32 vcc, 0, v[4:5]
	v_not_b32_e32 v5, v5
	v_ashrrev_i32_e32 v5, 31, v5
	v_and_b32_e32 v7, exec_lo, v7
	v_xor_b32_e32 v33, vcc_hi, v5
	v_xor_b32_e32 v5, vcc_lo, v5
	v_and_b32_e32 v7, v7, v5
	v_lshlrev_b32_e32 v5, 29, v6
	v_cmp_gt_i64_e32 vcc, 0, v[4:5]
	v_not_b32_e32 v5, v5
	v_ashrrev_i32_e32 v5, 31, v5
	v_and_b32_e32 v32, v32, v33
	v_xor_b32_e32 v33, vcc_hi, v5
	v_xor_b32_e32 v5, vcc_lo, v5
	v_and_b32_e32 v7, v7, v5
	v_lshlrev_b32_e32 v5, 28, v6
	v_cmp_gt_i64_e32 vcc, 0, v[4:5]
	v_not_b32_e32 v5, v5
	v_ashrrev_i32_e32 v5, 31, v5
	v_and_b32_e32 v32, v32, v33
	;; [unrolled: 8-line block ×5, first 2 shown]
	v_xor_b32_e32 v33, vcc_hi, v5
	v_xor_b32_e32 v5, vcc_lo, v5
	v_and_b32_e32 v32, v32, v33
	v_and_b32_e32 v33, v7, v5
	v_lshlrev_b32_e32 v5, 24, v6
	v_cmp_gt_i64_e32 vcc, 0, v[4:5]
	v_not_b32_e32 v5, v5
	v_ashrrev_i32_e32 v5, 31, v5
	v_xor_b32_e32 v6, vcc_hi, v5
	v_xor_b32_e32 v5, vcc_lo, v5
	; wave barrier
	ds_read_b32 v27, v36 offset:64
	v_and_b32_e32 v7, v32, v6
	v_and_b32_e32 v6, v33, v5
	v_mbcnt_lo_u32_b32 v5, v6, 0
	v_mbcnt_hi_u32_b32 v32, v7, v5
	v_cmp_eq_u32_e32 vcc, 0, v32
	v_cmp_ne_u64_e64 s[2:3], 0, v[6:7]
	s_and_b64 s[8:9], s[2:3], vcc
	; wave barrier
	s_and_saveexec_b64 s[2:3], s[8:9]
	s_cbranch_execz .LBB1750_39
; %bb.38:
	v_bcnt_u32_b32 v5, v6, 0
	v_bcnt_u32_b32 v5, v7, v5
	s_waitcnt lgkmcnt(0)
	v_add_u32_e32 v5, v27, v5
	ds_write_b32 v36, v5 offset:64
.LBB1750_39:
	s_or_b64 exec, exec, s[2:3]
	v_xor_b32_e32 v23, 0x80000000, v23
	v_lshrrev_b32_e32 v5, s20, v23
	v_and_b32_e32 v6, s31, v5
	v_lshl_add_u32 v5, v6, 4, v6
	v_add_lshl_u32 v39, v29, v5, 2
	v_and_b32_e32 v5, 1, v6
	v_add_co_u32_e32 v7, vcc, -1, v5
	v_addc_co_u32_e64 v37, s[2:3], 0, -1, vcc
	v_cmp_ne_u32_e32 vcc, 0, v5
	v_xor_b32_e32 v5, vcc_hi, v37
	v_and_b32_e32 v37, exec_hi, v5
	v_lshlrev_b32_e32 v5, 30, v6
	v_xor_b32_e32 v7, vcc_lo, v7
	v_cmp_gt_i64_e32 vcc, 0, v[4:5]
	v_not_b32_e32 v5, v5
	v_ashrrev_i32_e32 v5, 31, v5
	v_and_b32_e32 v7, exec_lo, v7
	v_xor_b32_e32 v38, vcc_hi, v5
	v_xor_b32_e32 v5, vcc_lo, v5
	v_and_b32_e32 v7, v7, v5
	v_lshlrev_b32_e32 v5, 29, v6
	v_cmp_gt_i64_e32 vcc, 0, v[4:5]
	v_not_b32_e32 v5, v5
	v_ashrrev_i32_e32 v5, 31, v5
	v_and_b32_e32 v37, v37, v38
	v_xor_b32_e32 v38, vcc_hi, v5
	v_xor_b32_e32 v5, vcc_lo, v5
	v_and_b32_e32 v7, v7, v5
	v_lshlrev_b32_e32 v5, 28, v6
	v_cmp_gt_i64_e32 vcc, 0, v[4:5]
	v_not_b32_e32 v5, v5
	v_ashrrev_i32_e32 v5, 31, v5
	v_and_b32_e32 v37, v37, v38
	;; [unrolled: 8-line block ×5, first 2 shown]
	v_xor_b32_e32 v38, vcc_hi, v5
	v_xor_b32_e32 v5, vcc_lo, v5
	v_and_b32_e32 v7, v7, v5
	v_lshlrev_b32_e32 v5, 24, v6
	v_cmp_gt_i64_e32 vcc, 0, v[4:5]
	v_not_b32_e32 v4, v5
	v_ashrrev_i32_e32 v4, 31, v4
	v_xor_b32_e32 v5, vcc_hi, v4
	v_xor_b32_e32 v4, vcc_lo, v4
	; wave barrier
	ds_read_b32 v33, v39 offset:64
	v_and_b32_e32 v37, v37, v38
	v_and_b32_e32 v4, v7, v4
	;; [unrolled: 1-line block ×3, first 2 shown]
	v_mbcnt_lo_u32_b32 v6, v4, 0
	v_mbcnt_hi_u32_b32 v37, v5, v6
	v_cmp_eq_u32_e32 vcc, 0, v37
	v_cmp_ne_u64_e64 s[2:3], 0, v[4:5]
	s_and_b64 s[8:9], s[2:3], vcc
	; wave barrier
	s_and_saveexec_b64 s[2:3], s[8:9]
	s_cbranch_execz .LBB1750_41
; %bb.40:
	v_bcnt_u32_b32 v4, v4, 0
	v_bcnt_u32_b32 v4, v5, v4
	s_waitcnt lgkmcnt(0)
	v_add_u32_e32 v4, v33, v4
	ds_write_b32 v39, v4 offset:64
.LBB1750_41:
	s_or_b64 exec, exec, s[2:3]
	v_xor_b32_e32 v28, 0x80000000, v28
	v_lshrrev_b32_e32 v4, s20, v28
	v_and_b32_e32 v6, s31, v4
	v_and_b32_e32 v5, 1, v6
	v_add_co_u32_e32 v7, vcc, -1, v5
	v_addc_co_u32_e64 v40, s[2:3], 0, -1, vcc
	v_cmp_ne_u32_e32 vcc, 0, v5
	v_lshl_add_u32 v4, v6, 4, v6
	v_xor_b32_e32 v5, vcc_hi, v40
	v_add_lshl_u32 v42, v29, v4, 2
	v_mov_b32_e32 v4, 0
	v_and_b32_e32 v40, exec_hi, v5
	v_lshlrev_b32_e32 v5, 30, v6
	v_xor_b32_e32 v7, vcc_lo, v7
	v_cmp_gt_i64_e32 vcc, 0, v[4:5]
	v_not_b32_e32 v5, v5
	v_ashrrev_i32_e32 v5, 31, v5
	v_and_b32_e32 v7, exec_lo, v7
	v_xor_b32_e32 v41, vcc_hi, v5
	v_xor_b32_e32 v5, vcc_lo, v5
	v_and_b32_e32 v7, v7, v5
	v_lshlrev_b32_e32 v5, 29, v6
	v_cmp_gt_i64_e32 vcc, 0, v[4:5]
	v_not_b32_e32 v5, v5
	v_ashrrev_i32_e32 v5, 31, v5
	v_and_b32_e32 v40, v40, v41
	v_xor_b32_e32 v41, vcc_hi, v5
	v_xor_b32_e32 v5, vcc_lo, v5
	v_and_b32_e32 v7, v7, v5
	v_lshlrev_b32_e32 v5, 28, v6
	v_cmp_gt_i64_e32 vcc, 0, v[4:5]
	v_not_b32_e32 v5, v5
	v_ashrrev_i32_e32 v5, 31, v5
	v_and_b32_e32 v40, v40, v41
	;; [unrolled: 8-line block ×5, first 2 shown]
	v_xor_b32_e32 v41, vcc_hi, v5
	v_xor_b32_e32 v5, vcc_lo, v5
	v_and_b32_e32 v40, v40, v41
	v_and_b32_e32 v41, v7, v5
	v_lshlrev_b32_e32 v5, 24, v6
	v_cmp_gt_i64_e32 vcc, 0, v[4:5]
	v_not_b32_e32 v5, v5
	v_ashrrev_i32_e32 v5, 31, v5
	v_xor_b32_e32 v6, vcc_hi, v5
	v_xor_b32_e32 v5, vcc_lo, v5
	; wave barrier
	ds_read_b32 v38, v42 offset:64
	v_and_b32_e32 v7, v40, v6
	v_and_b32_e32 v6, v41, v5
	v_mbcnt_lo_u32_b32 v5, v6, 0
	v_mbcnt_hi_u32_b32 v40, v7, v5
	v_cmp_eq_u32_e32 vcc, 0, v40
	v_cmp_ne_u64_e64 s[2:3], 0, v[6:7]
	s_and_b64 s[8:9], s[2:3], vcc
	; wave barrier
	s_and_saveexec_b64 s[2:3], s[8:9]
	s_cbranch_execz .LBB1750_43
; %bb.42:
	v_bcnt_u32_b32 v5, v6, 0
	v_bcnt_u32_b32 v5, v7, v5
	s_waitcnt lgkmcnt(0)
	v_add_u32_e32 v5, v38, v5
	ds_write_b32 v42, v5 offset:64
.LBB1750_43:
	s_or_b64 exec, exec, s[2:3]
	v_xor_b32_e32 v34, 0x80000000, v34
	v_lshrrev_b32_e32 v5, s20, v34
	v_and_b32_e32 v6, s31, v5
	v_lshl_add_u32 v5, v6, 4, v6
	v_add_lshl_u32 v45, v29, v5, 2
	v_and_b32_e32 v5, 1, v6
	v_add_co_u32_e32 v7, vcc, -1, v5
	v_addc_co_u32_e64 v43, s[2:3], 0, -1, vcc
	v_cmp_ne_u32_e32 vcc, 0, v5
	v_xor_b32_e32 v5, vcc_hi, v43
	v_and_b32_e32 v43, exec_hi, v5
	v_lshlrev_b32_e32 v5, 30, v6
	v_xor_b32_e32 v7, vcc_lo, v7
	v_cmp_gt_i64_e32 vcc, 0, v[4:5]
	v_not_b32_e32 v5, v5
	v_ashrrev_i32_e32 v5, 31, v5
	v_and_b32_e32 v7, exec_lo, v7
	v_xor_b32_e32 v44, vcc_hi, v5
	v_xor_b32_e32 v5, vcc_lo, v5
	v_and_b32_e32 v7, v7, v5
	v_lshlrev_b32_e32 v5, 29, v6
	v_cmp_gt_i64_e32 vcc, 0, v[4:5]
	v_not_b32_e32 v5, v5
	v_ashrrev_i32_e32 v5, 31, v5
	v_and_b32_e32 v43, v43, v44
	v_xor_b32_e32 v44, vcc_hi, v5
	v_xor_b32_e32 v5, vcc_lo, v5
	v_and_b32_e32 v7, v7, v5
	v_lshlrev_b32_e32 v5, 28, v6
	v_cmp_gt_i64_e32 vcc, 0, v[4:5]
	v_not_b32_e32 v5, v5
	v_ashrrev_i32_e32 v5, 31, v5
	v_and_b32_e32 v43, v43, v44
	v_xor_b32_e32 v44, vcc_hi, v5
	v_xor_b32_e32 v5, vcc_lo, v5
	v_and_b32_e32 v7, v7, v5
	v_lshlrev_b32_e32 v5, 27, v6
	v_cmp_gt_i64_e32 vcc, 0, v[4:5]
	v_not_b32_e32 v5, v5
	v_ashrrev_i32_e32 v5, 31, v5
	v_and_b32_e32 v43, v43, v44
	v_xor_b32_e32 v44, vcc_hi, v5
	v_xor_b32_e32 v5, vcc_lo, v5
	v_and_b32_e32 v7, v7, v5
	v_lshlrev_b32_e32 v5, 26, v6
	v_cmp_gt_i64_e32 vcc, 0, v[4:5]
	v_not_b32_e32 v5, v5
	v_ashrrev_i32_e32 v5, 31, v5
	v_and_b32_e32 v43, v43, v44
	v_xor_b32_e32 v44, vcc_hi, v5
	v_xor_b32_e32 v5, vcc_lo, v5
	v_and_b32_e32 v7, v7, v5
	v_lshlrev_b32_e32 v5, 25, v6
	v_cmp_gt_i64_e32 vcc, 0, v[4:5]
	v_not_b32_e32 v5, v5
	v_ashrrev_i32_e32 v5, 31, v5
	v_and_b32_e32 v43, v43, v44
	v_xor_b32_e32 v44, vcc_hi, v5
	v_xor_b32_e32 v5, vcc_lo, v5
	v_and_b32_e32 v7, v7, v5
	v_lshlrev_b32_e32 v5, 24, v6
	v_cmp_gt_i64_e32 vcc, 0, v[4:5]
	v_not_b32_e32 v4, v5
	v_ashrrev_i32_e32 v4, 31, v4
	v_xor_b32_e32 v5, vcc_hi, v4
	v_xor_b32_e32 v4, vcc_lo, v4
	; wave barrier
	ds_read_b32 v41, v45 offset:64
	v_and_b32_e32 v43, v43, v44
	v_and_b32_e32 v4, v7, v4
	;; [unrolled: 1-line block ×3, first 2 shown]
	v_mbcnt_lo_u32_b32 v6, v4, 0
	v_mbcnt_hi_u32_b32 v43, v5, v6
	v_cmp_eq_u32_e32 vcc, 0, v43
	v_cmp_ne_u64_e64 s[2:3], 0, v[4:5]
	s_and_b64 s[8:9], s[2:3], vcc
	; wave barrier
	s_and_saveexec_b64 s[2:3], s[8:9]
	s_cbranch_execz .LBB1750_45
; %bb.44:
	v_bcnt_u32_b32 v4, v4, 0
	v_bcnt_u32_b32 v4, v5, v4
	s_waitcnt lgkmcnt(0)
	v_add_u32_e32 v4, v41, v4
	ds_write_b32 v45, v4 offset:64
.LBB1750_45:
	s_or_b64 exec, exec, s[2:3]
	v_xor_b32_e32 v35, 0x80000000, v35
	v_lshrrev_b32_e32 v4, s20, v35
	v_and_b32_e32 v6, s31, v4
	v_and_b32_e32 v5, 1, v6
	v_add_co_u32_e32 v7, vcc, -1, v5
	v_addc_co_u32_e64 v46, s[2:3], 0, -1, vcc
	v_cmp_ne_u32_e32 vcc, 0, v5
	v_lshl_add_u32 v4, v6, 4, v6
	v_xor_b32_e32 v5, vcc_hi, v46
	v_add_lshl_u32 v48, v29, v4, 2
	v_mov_b32_e32 v4, 0
	v_and_b32_e32 v46, exec_hi, v5
	v_lshlrev_b32_e32 v5, 30, v6
	v_xor_b32_e32 v7, vcc_lo, v7
	v_cmp_gt_i64_e32 vcc, 0, v[4:5]
	v_not_b32_e32 v5, v5
	v_ashrrev_i32_e32 v5, 31, v5
	v_and_b32_e32 v7, exec_lo, v7
	v_xor_b32_e32 v47, vcc_hi, v5
	v_xor_b32_e32 v5, vcc_lo, v5
	v_and_b32_e32 v7, v7, v5
	v_lshlrev_b32_e32 v5, 29, v6
	v_cmp_gt_i64_e32 vcc, 0, v[4:5]
	v_not_b32_e32 v5, v5
	v_ashrrev_i32_e32 v5, 31, v5
	v_and_b32_e32 v46, v46, v47
	v_xor_b32_e32 v47, vcc_hi, v5
	v_xor_b32_e32 v5, vcc_lo, v5
	v_and_b32_e32 v7, v7, v5
	v_lshlrev_b32_e32 v5, 28, v6
	v_cmp_gt_i64_e32 vcc, 0, v[4:5]
	v_not_b32_e32 v5, v5
	v_ashrrev_i32_e32 v5, 31, v5
	v_and_b32_e32 v46, v46, v47
	;; [unrolled: 8-line block ×5, first 2 shown]
	v_xor_b32_e32 v47, vcc_hi, v5
	v_xor_b32_e32 v5, vcc_lo, v5
	v_and_b32_e32 v46, v46, v47
	v_and_b32_e32 v47, v7, v5
	v_lshlrev_b32_e32 v5, 24, v6
	v_cmp_gt_i64_e32 vcc, 0, v[4:5]
	v_not_b32_e32 v5, v5
	v_ashrrev_i32_e32 v5, 31, v5
	v_xor_b32_e32 v6, vcc_hi, v5
	v_xor_b32_e32 v5, vcc_lo, v5
	; wave barrier
	ds_read_b32 v44, v48 offset:64
	v_and_b32_e32 v7, v46, v6
	v_and_b32_e32 v6, v47, v5
	v_mbcnt_lo_u32_b32 v5, v6, 0
	v_mbcnt_hi_u32_b32 v46, v7, v5
	v_cmp_eq_u32_e32 vcc, 0, v46
	v_cmp_ne_u64_e64 s[2:3], 0, v[6:7]
	s_and_b64 s[8:9], s[2:3], vcc
	; wave barrier
	s_and_saveexec_b64 s[2:3], s[8:9]
	s_cbranch_execz .LBB1750_47
; %bb.46:
	v_bcnt_u32_b32 v5, v6, 0
	v_bcnt_u32_b32 v5, v7, v5
	s_waitcnt lgkmcnt(0)
	v_add_u32_e32 v5, v44, v5
	ds_write_b32 v48, v5 offset:64
.LBB1750_47:
	s_or_b64 exec, exec, s[2:3]
	v_xor_b32_e32 v30, 0x80000000, v30
	v_lshrrev_b32_e32 v5, s20, v30
	v_and_b32_e32 v6, s31, v5
	v_lshl_add_u32 v5, v6, 4, v6
	v_add_lshl_u32 v51, v29, v5, 2
	v_and_b32_e32 v5, 1, v6
	v_add_co_u32_e32 v7, vcc, -1, v5
	v_addc_co_u32_e64 v49, s[2:3], 0, -1, vcc
	v_cmp_ne_u32_e32 vcc, 0, v5
	v_xor_b32_e32 v5, vcc_hi, v49
	v_and_b32_e32 v49, exec_hi, v5
	v_lshlrev_b32_e32 v5, 30, v6
	v_xor_b32_e32 v7, vcc_lo, v7
	v_cmp_gt_i64_e32 vcc, 0, v[4:5]
	v_not_b32_e32 v5, v5
	v_ashrrev_i32_e32 v5, 31, v5
	v_and_b32_e32 v7, exec_lo, v7
	v_xor_b32_e32 v50, vcc_hi, v5
	v_xor_b32_e32 v5, vcc_lo, v5
	v_and_b32_e32 v7, v7, v5
	v_lshlrev_b32_e32 v5, 29, v6
	v_cmp_gt_i64_e32 vcc, 0, v[4:5]
	v_not_b32_e32 v5, v5
	v_ashrrev_i32_e32 v5, 31, v5
	v_and_b32_e32 v49, v49, v50
	v_xor_b32_e32 v50, vcc_hi, v5
	v_xor_b32_e32 v5, vcc_lo, v5
	v_and_b32_e32 v7, v7, v5
	v_lshlrev_b32_e32 v5, 28, v6
	v_cmp_gt_i64_e32 vcc, 0, v[4:5]
	v_not_b32_e32 v5, v5
	v_ashrrev_i32_e32 v5, 31, v5
	v_and_b32_e32 v49, v49, v50
	;; [unrolled: 8-line block ×5, first 2 shown]
	v_xor_b32_e32 v50, vcc_hi, v5
	v_xor_b32_e32 v5, vcc_lo, v5
	v_and_b32_e32 v7, v7, v5
	v_lshlrev_b32_e32 v5, 24, v6
	v_cmp_gt_i64_e32 vcc, 0, v[4:5]
	v_not_b32_e32 v4, v5
	v_ashrrev_i32_e32 v4, 31, v4
	v_xor_b32_e32 v5, vcc_hi, v4
	v_xor_b32_e32 v4, vcc_lo, v4
	; wave barrier
	ds_read_b32 v47, v51 offset:64
	v_and_b32_e32 v49, v49, v50
	v_and_b32_e32 v4, v7, v4
	;; [unrolled: 1-line block ×3, first 2 shown]
	v_mbcnt_lo_u32_b32 v6, v4, 0
	v_mbcnt_hi_u32_b32 v49, v5, v6
	v_cmp_eq_u32_e32 vcc, 0, v49
	v_cmp_ne_u64_e64 s[2:3], 0, v[4:5]
	s_and_b64 s[8:9], s[2:3], vcc
	; wave barrier
	s_and_saveexec_b64 s[2:3], s[8:9]
	s_cbranch_execz .LBB1750_49
; %bb.48:
	v_bcnt_u32_b32 v4, v4, 0
	v_bcnt_u32_b32 v4, v5, v4
	s_waitcnt lgkmcnt(0)
	v_add_u32_e32 v4, v47, v4
	ds_write_b32 v51, v4 offset:64
.LBB1750_49:
	s_or_b64 exec, exec, s[2:3]
	v_xor_b32_e32 v25, 0x80000000, v25
	v_lshrrev_b32_e32 v4, s20, v25
	v_and_b32_e32 v6, s31, v4
	v_and_b32_e32 v5, 1, v6
	v_add_co_u32_e32 v7, vcc, -1, v5
	v_addc_co_u32_e64 v52, s[2:3], 0, -1, vcc
	v_cmp_ne_u32_e32 vcc, 0, v5
	v_lshl_add_u32 v4, v6, 4, v6
	v_xor_b32_e32 v5, vcc_hi, v52
	v_add_lshl_u32 v53, v29, v4, 2
	v_mov_b32_e32 v4, 0
	v_and_b32_e32 v52, exec_hi, v5
	v_lshlrev_b32_e32 v5, 30, v6
	v_xor_b32_e32 v7, vcc_lo, v7
	v_cmp_gt_i64_e32 vcc, 0, v[4:5]
	v_not_b32_e32 v5, v5
	v_ashrrev_i32_e32 v5, 31, v5
	v_and_b32_e32 v7, exec_lo, v7
	v_xor_b32_e32 v54, vcc_hi, v5
	v_xor_b32_e32 v5, vcc_lo, v5
	v_and_b32_e32 v7, v7, v5
	v_lshlrev_b32_e32 v5, 29, v6
	v_cmp_gt_i64_e32 vcc, 0, v[4:5]
	v_not_b32_e32 v5, v5
	v_ashrrev_i32_e32 v5, 31, v5
	v_and_b32_e32 v52, v52, v54
	v_xor_b32_e32 v54, vcc_hi, v5
	v_xor_b32_e32 v5, vcc_lo, v5
	v_and_b32_e32 v7, v7, v5
	v_lshlrev_b32_e32 v5, 28, v6
	v_cmp_gt_i64_e32 vcc, 0, v[4:5]
	v_not_b32_e32 v5, v5
	v_ashrrev_i32_e32 v5, 31, v5
	v_and_b32_e32 v52, v52, v54
	;; [unrolled: 8-line block ×5, first 2 shown]
	v_xor_b32_e32 v54, vcc_hi, v5
	v_xor_b32_e32 v5, vcc_lo, v5
	v_and_b32_e32 v52, v52, v54
	v_and_b32_e32 v54, v7, v5
	v_lshlrev_b32_e32 v5, 24, v6
	v_cmp_gt_i64_e32 vcc, 0, v[4:5]
	v_not_b32_e32 v5, v5
	v_ashrrev_i32_e32 v5, 31, v5
	v_xor_b32_e32 v6, vcc_hi, v5
	v_xor_b32_e32 v5, vcc_lo, v5
	; wave barrier
	ds_read_b32 v50, v53 offset:64
	v_and_b32_e32 v7, v52, v6
	v_and_b32_e32 v6, v54, v5
	v_mbcnt_lo_u32_b32 v5, v6, 0
	v_mbcnt_hi_u32_b32 v52, v7, v5
	v_cmp_eq_u32_e32 vcc, 0, v52
	v_cmp_ne_u64_e64 s[2:3], 0, v[6:7]
	s_and_b64 s[8:9], s[2:3], vcc
	; wave barrier
	s_and_saveexec_b64 s[2:3], s[8:9]
	s_cbranch_execz .LBB1750_51
; %bb.50:
	v_bcnt_u32_b32 v5, v6, 0
	v_bcnt_u32_b32 v5, v7, v5
	s_waitcnt lgkmcnt(0)
	v_add_u32_e32 v5, v50, v5
	ds_write_b32 v53, v5 offset:64
.LBB1750_51:
	s_or_b64 exec, exec, s[2:3]
	v_xor_b32_e32 v20, 0x80000000, v20
	v_lshrrev_b32_e32 v5, s20, v20
	v_and_b32_e32 v6, s31, v5
	v_lshl_add_u32 v5, v6, 4, v6
	v_add_lshl_u32 v55, v29, v5, 2
	v_and_b32_e32 v5, 1, v6
	v_add_co_u32_e32 v7, vcc, -1, v5
	v_addc_co_u32_e64 v54, s[2:3], 0, -1, vcc
	v_cmp_ne_u32_e32 vcc, 0, v5
	v_xor_b32_e32 v5, vcc_hi, v54
	v_and_b32_e32 v54, exec_hi, v5
	v_lshlrev_b32_e32 v5, 30, v6
	v_xor_b32_e32 v7, vcc_lo, v7
	v_cmp_gt_i64_e32 vcc, 0, v[4:5]
	v_not_b32_e32 v5, v5
	v_ashrrev_i32_e32 v5, 31, v5
	v_and_b32_e32 v7, exec_lo, v7
	v_xor_b32_e32 v57, vcc_hi, v5
	v_xor_b32_e32 v5, vcc_lo, v5
	v_and_b32_e32 v7, v7, v5
	v_lshlrev_b32_e32 v5, 29, v6
	v_cmp_gt_i64_e32 vcc, 0, v[4:5]
	v_not_b32_e32 v5, v5
	v_ashrrev_i32_e32 v5, 31, v5
	v_and_b32_e32 v54, v54, v57
	v_xor_b32_e32 v57, vcc_hi, v5
	v_xor_b32_e32 v5, vcc_lo, v5
	v_and_b32_e32 v7, v7, v5
	v_lshlrev_b32_e32 v5, 28, v6
	v_cmp_gt_i64_e32 vcc, 0, v[4:5]
	v_not_b32_e32 v5, v5
	v_ashrrev_i32_e32 v5, 31, v5
	v_and_b32_e32 v54, v54, v57
	;; [unrolled: 8-line block ×5, first 2 shown]
	v_xor_b32_e32 v57, vcc_hi, v5
	v_xor_b32_e32 v5, vcc_lo, v5
	v_and_b32_e32 v7, v7, v5
	v_lshlrev_b32_e32 v5, 24, v6
	v_cmp_gt_i64_e32 vcc, 0, v[4:5]
	v_not_b32_e32 v4, v5
	v_ashrrev_i32_e32 v4, 31, v4
	v_xor_b32_e32 v5, vcc_hi, v4
	v_xor_b32_e32 v4, vcc_lo, v4
	; wave barrier
	ds_read_b32 v29, v55 offset:64
	v_and_b32_e32 v54, v54, v57
	v_and_b32_e32 v4, v7, v4
	;; [unrolled: 1-line block ×3, first 2 shown]
	v_mbcnt_lo_u32_b32 v6, v4, 0
	v_mbcnt_hi_u32_b32 v54, v5, v6
	v_cmp_eq_u32_e32 vcc, 0, v54
	v_cmp_ne_u64_e64 s[2:3], 0, v[4:5]
	v_add_u32_e32 v56, 64, v9
	s_and_b64 s[8:9], s[2:3], vcc
	; wave barrier
	s_and_saveexec_b64 s[2:3], s[8:9]
	s_cbranch_execz .LBB1750_53
; %bb.52:
	v_bcnt_u32_b32 v4, v4, 0
	v_bcnt_u32_b32 v4, v5, v4
	s_waitcnt lgkmcnt(0)
	v_add_u32_e32 v4, v29, v4
	ds_write_b32 v55, v4 offset:64
.LBB1750_53:
	s_or_b64 exec, exec, s[2:3]
	; wave barrier
	s_waitcnt lgkmcnt(0)
	s_barrier
	ds_read2_b32 v[6:7], v9 offset0:16 offset1:17
	ds_read2_b32 v[4:5], v56 offset0:2 offset1:3
	ds_read_b32 v57, v56 offset:16
	v_cmp_lt_u32_e64 s[12:13], 31, v8
	s_waitcnt lgkmcnt(1)
	v_add3_u32 v58, v7, v6, v4
	s_waitcnt lgkmcnt(0)
	v_add3_u32 v57, v58, v5, v57
	v_and_b32_e32 v58, 15, v8
	v_cmp_eq_u32_e32 vcc, 0, v58
	v_mov_b32_dpp v59, v57 row_shr:1 row_mask:0xf bank_mask:0xf
	v_cndmask_b32_e64 v59, v59, 0, vcc
	v_add_u32_e32 v57, v59, v57
	v_cmp_lt_u32_e64 s[2:3], 1, v58
	v_cmp_lt_u32_e64 s[10:11], 3, v58
	v_mov_b32_dpp v59, v57 row_shr:2 row_mask:0xf bank_mask:0xf
	v_cndmask_b32_e64 v59, 0, v59, s[2:3]
	v_add_u32_e32 v57, v57, v59
	v_cmp_lt_u32_e64 s[8:9], 7, v58
	s_nop 0
	v_mov_b32_dpp v59, v57 row_shr:4 row_mask:0xf bank_mask:0xf
	v_cndmask_b32_e64 v59, 0, v59, s[10:11]
	v_add_u32_e32 v57, v57, v59
	s_nop 1
	v_mov_b32_dpp v59, v57 row_shr:8 row_mask:0xf bank_mask:0xf
	v_cndmask_b32_e64 v58, 0, v59, s[8:9]
	v_add_u32_e32 v57, v57, v58
	v_bfe_i32 v59, v8, 4, 1
	s_nop 0
	v_mov_b32_dpp v58, v57 row_bcast:15 row_mask:0xf bank_mask:0xf
	v_and_b32_e32 v58, v59, v58
	v_add_u32_e32 v57, v57, v58
	v_and_b32_e32 v59, 63, v2
	s_nop 0
	v_mov_b32_dpp v58, v57 row_bcast:31 row_mask:0xf bank_mask:0xf
	v_cndmask_b32_e64 v58, 0, v58, s[12:13]
	v_add_u32_e32 v57, v57, v58
	v_lshrrev_b32_e32 v58, 6, v2
	v_cmp_eq_u32_e64 s[12:13], 63, v59
	s_and_saveexec_b64 s[22:23], s[12:13]
	s_cbranch_execz .LBB1750_55
; %bb.54:
	v_lshlrev_b32_e32 v59, 2, v58
	ds_write_b32 v59, v57
.LBB1750_55:
	s_or_b64 exec, exec, s[22:23]
	v_cmp_gt_u32_e64 s[12:13], 16, v2
	s_waitcnt lgkmcnt(0)
	s_barrier
	s_and_saveexec_b64 s[22:23], s[12:13]
	s_cbranch_execz .LBB1750_57
; %bb.56:
	v_lshlrev_b32_e32 v59, 2, v2
	ds_read_b32 v60, v59
	s_waitcnt lgkmcnt(0)
	s_nop 0
	v_mov_b32_dpp v61, v60 row_shr:1 row_mask:0xf bank_mask:0xf
	v_cndmask_b32_e64 v61, v61, 0, vcc
	v_add_u32_e32 v60, v61, v60
	s_nop 1
	v_mov_b32_dpp v61, v60 row_shr:2 row_mask:0xf bank_mask:0xf
	v_cndmask_b32_e64 v61, 0, v61, s[2:3]
	v_add_u32_e32 v60, v60, v61
	s_nop 1
	v_mov_b32_dpp v61, v60 row_shr:4 row_mask:0xf bank_mask:0xf
	v_cndmask_b32_e64 v61, 0, v61, s[10:11]
	;; [unrolled: 4-line block ×3, first 2 shown]
	v_add_u32_e32 v60, v60, v61
	ds_write_b32 v59, v60
.LBB1750_57:
	s_or_b64 exec, exec, s[22:23]
	v_cmp_lt_u32_e32 vcc, 63, v2
	v_mov_b32_e32 v59, 0
	s_waitcnt lgkmcnt(0)
	s_barrier
	s_and_saveexec_b64 s[2:3], vcc
	s_cbranch_execz .LBB1750_59
; %bb.58:
	v_lshl_add_u32 v58, v58, 2, -4
	ds_read_b32 v59, v58
.LBB1750_59:
	s_or_b64 exec, exec, s[2:3]
	v_add_u32_e32 v58, -1, v8
	v_and_b32_e32 v60, 64, v8
	v_cmp_lt_i32_e32 vcc, v58, v60
	v_cndmask_b32_e32 v58, v58, v8, vcc
	s_waitcnt lgkmcnt(0)
	v_add_u32_e32 v57, v59, v57
	v_lshlrev_b32_e32 v58, 2, v58
	ds_bpermute_b32 v57, v58, v57
	v_cmp_eq_u32_e32 vcc, 0, v8
	s_movk_i32 s2, 0x100
	s_waitcnt lgkmcnt(0)
	v_cndmask_b32_e32 v8, v57, v59, vcc
	v_cndmask_b32_e64 v8, v8, 0, s[0:1]
	v_add_u32_e32 v6, v8, v6
	v_add_u32_e32 v7, v6, v7
	;; [unrolled: 1-line block ×4, first 2 shown]
	ds_write2_b32 v9, v8, v6 offset0:16 offset1:17
	ds_write2_b32 v56, v7, v4 offset0:2 offset1:3
	ds_write_b32 v56, v5 offset:16
	s_waitcnt lgkmcnt(0)
	s_barrier
	ds_read_b32 v60, v18 offset:64
	ds_read_b32 v56, v19 offset:64
	;; [unrolled: 1-line block ×12, first 2 shown]
	v_cmp_gt_u32_e32 vcc, s2, v2
                                        ; implicit-def: $vgpr18
                                        ; implicit-def: $vgpr19
	s_and_saveexec_b64 s[8:9], vcc
	s_cbranch_execz .LBB1750_63
; %bb.60:
	v_mul_u32_u24_e32 v4, 17, v2
	v_lshlrev_b32_e32 v5, 2, v4
	ds_read_b32 v18, v5 offset:64
	s_movk_i32 s2, 0xff
	v_cmp_ne_u32_e64 s[2:3], s2, v2
	v_mov_b32_e32 v4, 0x3000
	s_and_saveexec_b64 s[10:11], s[2:3]
	s_cbranch_execz .LBB1750_62
; %bb.61:
	ds_read_b32 v4, v5 offset:132
.LBB1750_62:
	s_or_b64 exec, exec, s[10:11]
	s_waitcnt lgkmcnt(0)
	v_sub_u32_e32 v19, v4, v18
.LBB1750_63:
	s_or_b64 exec, exec, s[8:9]
	s_waitcnt lgkmcnt(0)
	s_barrier
	s_and_saveexec_b64 s[8:9], vcc
	s_cbranch_execz .LBB1750_73
; %bb.64:
	v_lshl_or_b32 v4, s30, 8, v2
	v_mov_b32_e32 v5, 0
	v_lshlrev_b64 v[6:7], 2, v[4:5]
	v_mov_b32_e32 v51, s15
	v_add_co_u32_e64 v6, s[2:3], s14, v6
	v_addc_co_u32_e64 v7, s[2:3], v51, v7, s[2:3]
	v_or_b32_e32 v4, 2.0, v19
	s_mov_b64 s[10:11], 0
	s_brev_b32 s33, 1
	s_mov_b32 s34, s30
	v_mov_b32_e32 v53, 0
	global_store_dword v[6:7], v4, off
                                        ; implicit-def: $sgpr2_sgpr3
	s_branch .LBB1750_66
.LBB1750_65:                            ;   in Loop: Header=BB1750_66 Depth=1
	s_or_b64 exec, exec, s[12:13]
	v_and_b32_e32 v8, 0x3fffffff, v55
	v_add_u32_e32 v53, v8, v53
	v_cmp_eq_u32_e64 s[2:3], s33, v4
	s_and_b64 s[12:13], exec, s[2:3]
	s_or_b64 s[10:11], s[12:13], s[10:11]
	s_andn2_b64 exec, exec, s[10:11]
	s_cbranch_execz .LBB1750_72
.LBB1750_66:                            ; =>This Loop Header: Depth=1
                                        ;     Child Loop BB1750_69 Depth 2
	s_or_b64 s[2:3], s[2:3], exec
	s_cmp_eq_u32 s34, 0
	s_cbranch_scc1 .LBB1750_71
; %bb.67:                               ;   in Loop: Header=BB1750_66 Depth=1
	s_add_i32 s34, s34, -1
	v_lshl_or_b32 v4, s34, 8, v2
	v_lshlrev_b64 v[8:9], 2, v[4:5]
	v_add_co_u32_e64 v8, s[2:3], s14, v8
	v_addc_co_u32_e64 v9, s[2:3], v51, v9, s[2:3]
	global_load_dword v55, v[8:9], off glc
	s_waitcnt vmcnt(0)
	v_and_b32_e32 v4, -2.0, v55
	v_cmp_eq_u32_e64 s[2:3], 0, v4
	s_and_saveexec_b64 s[12:13], s[2:3]
	s_cbranch_execz .LBB1750_65
; %bb.68:                               ;   in Loop: Header=BB1750_66 Depth=1
	s_mov_b64 s[22:23], 0
.LBB1750_69:                            ;   Parent Loop BB1750_66 Depth=1
                                        ; =>  This Inner Loop Header: Depth=2
	global_load_dword v55, v[8:9], off glc
	s_waitcnt vmcnt(0)
	v_and_b32_e32 v4, -2.0, v55
	v_cmp_ne_u32_e64 s[2:3], 0, v4
	s_or_b64 s[22:23], s[2:3], s[22:23]
	s_andn2_b64 exec, exec, s[22:23]
	s_cbranch_execnz .LBB1750_69
; %bb.70:                               ;   in Loop: Header=BB1750_66 Depth=1
	s_or_b64 exec, exec, s[22:23]
	s_branch .LBB1750_65
.LBB1750_71:                            ;   in Loop: Header=BB1750_66 Depth=1
                                        ; implicit-def: $sgpr34
	s_and_b64 s[12:13], exec, s[2:3]
	s_or_b64 s[10:11], s[12:13], s[10:11]
	s_andn2_b64 exec, exec, s[10:11]
	s_cbranch_execnz .LBB1750_66
.LBB1750_72:
	s_or_b64 exec, exec, s[10:11]
	v_add_u32_e32 v4, v53, v19
	v_or_b32_e32 v4, 0x80000000, v4
	global_store_dword v[6:7], v4, off
	v_lshlrev_b32_e32 v4, 2, v2
	global_load_dword v5, v4, s[16:17]
	v_sub_u32_e32 v6, v53, v18
	s_waitcnt vmcnt(0)
	v_add_u32_e32 v5, v6, v5
	ds_write_b32 v4, v5
.LBB1750_73:
	s_or_b64 exec, exec, s[8:9]
	v_lshlrev_b32_e32 v7, 2, v2
	v_add_u32_e32 v6, v60, v12
	s_movk_i32 s10, 0x400
	v_add_u32_e32 v8, 0x400, v7
	v_add3_u32 v9, v54, v48, v29
	v_add3_u32 v12, v52, v45, v50
	;; [unrolled: 1-line block ×11, first 2 shown]
	s_mov_b32 s11, 0
	v_mov_b32_e32 v5, 0
	s_movk_i32 s12, 0x800
	s_movk_i32 s13, 0xc00
	v_mov_b32_e32 v15, v2
	s_branch .LBB1750_75
.LBB1750_74:                            ;   in Loop: Header=BB1750_75 Depth=1
	s_or_b64 exec, exec, s[8:9]
	s_addk_i32 s11, 0xf000
	s_cmpk_eq_i32 s11, 0xd000
	v_add_u32_e32 v15, 0x1000, v15
	s_barrier
	s_cbranch_scc1 .LBB1750_84
.LBB1750_75:                            ; =>This Inner Loop Header: Depth=1
	v_add_u32_e32 v4, s11, v6
	v_min_u32_e32 v4, 0x1000, v4
	v_lshlrev_b32_e32 v4, 2, v4
	ds_write_b32 v4, v3 offset:1024
	v_add_u32_e32 v4, s11, v13
	v_min_u32_e32 v4, 0x1000, v4
	v_lshlrev_b32_e32 v4, 2, v4
	ds_write_b32 v4, v10 offset:1024
	;; [unrolled: 4-line block ×11, first 2 shown]
	v_add_u32_e32 v4, s11, v9
	v_min_u32_e32 v4, 0x1000, v4
	v_lshlrev_b32_e32 v4, 2, v4
	v_cmp_gt_u32_e64 s[2:3], s7, v15
	ds_write_b32 v4, v20 offset:1024
	s_waitcnt lgkmcnt(0)
	s_barrier
	s_and_saveexec_b64 s[8:9], s[2:3]
	s_cbranch_execz .LBB1750_77
; %bb.76:                               ;   in Loop: Header=BB1750_75 Depth=1
	ds_read_b32 v4, v7 offset:1024
	v_mov_b32_e32 v26, s27
	s_waitcnt lgkmcnt(0)
	v_lshrrev_b32_e32 v21, s20, v4
	v_and_b32_e32 v21, s31, v21
	v_lshlrev_b32_e32 v21, 2, v21
	ds_read_b32 v21, v21
	v_xor_b32_e32 v32, 0x80000000, v4
	s_waitcnt lgkmcnt(0)
	v_add_u32_e32 v4, v15, v21
	v_lshlrev_b64 v[38:39], 2, v[4:5]
	v_add_co_u32_e64 v38, s[2:3], s26, v38
	v_addc_co_u32_e64 v39, s[2:3], v26, v39, s[2:3]
	global_store_dword v[38:39], v32, off
.LBB1750_77:                            ;   in Loop: Header=BB1750_75 Depth=1
	s_or_b64 exec, exec, s[8:9]
	v_add_u32_e32 v4, 0x400, v15
	v_cmp_gt_u32_e64 s[2:3], s7, v4
	s_and_saveexec_b64 s[8:9], s[2:3]
	s_cbranch_execz .LBB1750_79
; %bb.78:                               ;   in Loop: Header=BB1750_75 Depth=1
	ds_read_b32 v4, v8 offset:4096
	v_mov_b32_e32 v26, s27
	s_waitcnt lgkmcnt(0)
	v_lshrrev_b32_e32 v21, s20, v4
	v_and_b32_e32 v21, s31, v21
	v_lshlrev_b32_e32 v21, 2, v21
	ds_read_b32 v21, v21
	v_xor_b32_e32 v32, 0x80000000, v4
	s_waitcnt lgkmcnt(0)
	v_add3_u32 v4, v15, v21, s10
	v_lshlrev_b64 v[38:39], 2, v[4:5]
	v_add_co_u32_e64 v38, s[2:3], s26, v38
	v_addc_co_u32_e64 v39, s[2:3], v26, v39, s[2:3]
	global_store_dword v[38:39], v32, off
.LBB1750_79:                            ;   in Loop: Header=BB1750_75 Depth=1
	s_or_b64 exec, exec, s[8:9]
	v_add_u32_e32 v4, 0x800, v15
	v_cmp_gt_u32_e64 s[2:3], s7, v4
	s_and_saveexec_b64 s[8:9], s[2:3]
	s_cbranch_execz .LBB1750_81
; %bb.80:                               ;   in Loop: Header=BB1750_75 Depth=1
	ds_read_b32 v4, v8 offset:8192
	v_mov_b32_e32 v26, s27
	s_waitcnt lgkmcnt(0)
	v_lshrrev_b32_e32 v21, s20, v4
	v_and_b32_e32 v21, s31, v21
	v_lshlrev_b32_e32 v21, 2, v21
	ds_read_b32 v21, v21
	v_xor_b32_e32 v32, 0x80000000, v4
	s_waitcnt lgkmcnt(0)
	v_add3_u32 v4, v15, v21, s12
	v_lshlrev_b64 v[38:39], 2, v[4:5]
	v_add_co_u32_e64 v38, s[2:3], s26, v38
	v_addc_co_u32_e64 v39, s[2:3], v26, v39, s[2:3]
	global_store_dword v[38:39], v32, off
.LBB1750_81:                            ;   in Loop: Header=BB1750_75 Depth=1
	s_or_b64 exec, exec, s[8:9]
	v_add_u32_e32 v4, 0xc00, v15
	v_cmp_gt_u32_e64 s[2:3], s7, v4
	s_and_saveexec_b64 s[8:9], s[2:3]
	s_cbranch_execz .LBB1750_74
; %bb.82:                               ;   in Loop: Header=BB1750_75 Depth=1
	ds_read_b32 v4, v8 offset:12288
	v_mov_b32_e32 v26, s27
	s_waitcnt lgkmcnt(0)
	v_lshrrev_b32_e32 v21, s20, v4
	v_and_b32_e32 v21, s31, v21
	v_lshlrev_b32_e32 v21, 2, v21
	ds_read_b32 v21, v21
	v_xor_b32_e32 v32, 0x80000000, v4
	s_waitcnt lgkmcnt(0)
	v_add3_u32 v4, v15, v21, s13
	v_lshlrev_b64 v[38:39], 2, v[4:5]
	v_add_co_u32_e64 v38, s[2:3], s26, v38
	v_addc_co_u32_e64 v39, s[2:3], v26, v39, s[2:3]
	global_store_dword v[38:39], v32, off
	s_branch .LBB1750_74
.LBB1750_83:
	s_mov_b64 s[10:11], 0
                                        ; implicit-def: $vgpr3
	s_cbranch_execnz .LBB1750_87
	s_branch .LBB1750_136
.LBB1750_84:
	s_add_i32 s29, s29, -1
	s_cmp_eq_u32 s29, s30
	s_cselect_b64 s[2:3], -1, 0
	s_and_b64 s[8:9], vcc, s[2:3]
	s_mov_b64 s[2:3], 0
	s_mov_b64 s[10:11], 0
                                        ; implicit-def: $vgpr3
	s_and_saveexec_b64 s[12:13], s[8:9]
	s_xor_b64 s[8:9], exec, s[12:13]
; %bb.85:
	s_mov_b64 s[10:11], exec
	v_add_u32_e32 v3, v18, v19
; %bb.86:
	s_or_b64 exec, exec, s[8:9]
	s_and_b64 vcc, exec, s[2:3]
	s_cbranch_vccz .LBB1750_136
.LBB1750_87:
	s_mov_b32 s29, 0
	v_mbcnt_hi_u32_b32 v6, -1, v1
	s_lshl_b64 s[2:3], s[28:29], 2
	v_and_b32_e32 v1, 63, v6
	s_add_u32 s2, s24, s2
	v_lshlrev_b32_e32 v1, 2, v1
	v_add_co_u32_e32 v1, vcc, s2, v1
	s_load_dword s22, s[4:5], 0x58
	s_load_dword s2, s[4:5], 0x64
	s_addc_u32 s3, s25, s3
	v_and_b32_e32 v3, 0x3c0, v2
	v_mul_u32_u24_e32 v3, 12, v3
	v_mov_b32_e32 v5, s3
	v_addc_co_u32_e32 v5, vcc, 0, v5, vcc
	v_lshlrev_b32_e32 v3, 2, v3
	s_add_u32 s3, s4, 0x58
	v_add_co_u32_e32 v12, vcc, v1, v3
	s_addc_u32 s4, s5, 0
	s_waitcnt lgkmcnt(0)
	s_lshr_b32 s5, s2, 16
	v_addc_co_u32_e32 v13, vcc, 0, v5, vcc
	s_cmp_lt_u32 s6, s22
	global_load_dword v1, v[12:13], off
	s_cselect_b32 s2, 12, 18
	s_add_u32 s2, s3, s2
	v_mov_b32_e32 v4, 0
	s_addc_u32 s3, s4, 0
	global_load_ushort v5, v4, s[2:3]
	v_mul_u32_u24_e32 v7, 5, v2
	v_lshlrev_b32_e32 v7, 2, v7
	ds_write2_b32 v7, v4, v4 offset0:16 offset1:17
	ds_write2_b32 v7, v4, v4 offset0:18 offset1:19
	ds_write_b32 v7, v4 offset:80
	global_load_dword v8, v[12:13], off offset:256
	global_load_dword v9, v[12:13], off offset:512
	;; [unrolled: 1-line block ×11, first 2 shown]
	v_bfe_u32 v3, v0, 10, 10
	v_bfe_u32 v0, v0, 20, 10
	v_mad_u32_u24 v0, v0, s5, v3
	s_lshl_b32 s2, -1, s21
	s_not_b32 s21, s2
	s_waitcnt lgkmcnt(0)
	s_barrier
	s_waitcnt lgkmcnt(0)
	; wave barrier
	s_waitcnt vmcnt(12)
	v_xor_b32_e32 v3, 0x80000000, v1
	v_lshrrev_b32_e32 v1, s20, v3
	v_and_b32_e32 v10, s21, v1
	v_and_b32_e32 v12, 1, v10
	s_waitcnt vmcnt(11)
	v_mad_u64_u32 v[0:1], s[2:3], v0, v5, v[2:3]
	v_lshrrev_b32_e32 v22, 6, v0
	v_add_co_u32_e32 v0, vcc, -1, v12
	v_lshlrev_b32_e32 v5, 30, v10
	v_addc_co_u32_e64 v14, s[2:3], 0, -1, vcc
	v_lshl_add_u32 v1, v10, 4, v10
	v_cmp_ne_u32_e32 vcc, 0, v12
	v_cmp_gt_i64_e64 s[2:3], 0, v[4:5]
	v_not_b32_e32 v12, v5
	v_lshlrev_b32_e32 v5, 29, v10
	v_add_lshl_u32 v13, v22, v1, 2
	v_xor_b32_e32 v1, vcc_hi, v14
	v_xor_b32_e32 v0, vcc_lo, v0
	v_ashrrev_i32_e32 v12, 31, v12
	v_cmp_gt_i64_e32 vcc, 0, v[4:5]
	v_not_b32_e32 v14, v5
	v_lshlrev_b32_e32 v5, 28, v10
	v_and_b32_e32 v1, exec_hi, v1
	v_and_b32_e32 v0, exec_lo, v0
	v_xor_b32_e32 v16, s3, v12
	v_xor_b32_e32 v12, s2, v12
	v_ashrrev_i32_e32 v14, 31, v14
	v_cmp_gt_i64_e64 s[2:3], 0, v[4:5]
	v_not_b32_e32 v5, v5
	v_and_b32_e32 v1, v1, v16
	v_and_b32_e32 v0, v0, v12
	v_xor_b32_e32 v12, vcc_hi, v14
	v_xor_b32_e32 v14, vcc_lo, v14
	v_ashrrev_i32_e32 v5, 31, v5
	v_and_b32_e32 v1, v1, v12
	v_and_b32_e32 v0, v0, v14
	v_xor_b32_e32 v12, s3, v5
	v_xor_b32_e32 v5, s2, v5
	v_and_b32_e32 v0, v0, v5
	v_lshlrev_b32_e32 v5, 27, v10
	v_cmp_gt_i64_e32 vcc, 0, v[4:5]
	v_not_b32_e32 v5, v5
	v_ashrrev_i32_e32 v5, 31, v5
	v_and_b32_e32 v1, v1, v12
	v_xor_b32_e32 v12, vcc_hi, v5
	v_xor_b32_e32 v5, vcc_lo, v5
	v_and_b32_e32 v0, v0, v5
	v_lshlrev_b32_e32 v5, 26, v10
	v_cmp_gt_i64_e32 vcc, 0, v[4:5]
	v_not_b32_e32 v5, v5
	v_ashrrev_i32_e32 v5, 31, v5
	v_and_b32_e32 v1, v1, v12
	v_xor_b32_e32 v12, vcc_hi, v5
	v_xor_b32_e32 v5, vcc_lo, v5
	v_and_b32_e32 v0, v0, v5
	v_lshlrev_b32_e32 v5, 25, v10
	v_cmp_gt_i64_e32 vcc, 0, v[4:5]
	v_not_b32_e32 v5, v5
	v_ashrrev_i32_e32 v5, 31, v5
	v_and_b32_e32 v1, v1, v12
	v_xor_b32_e32 v12, vcc_hi, v5
	v_xor_b32_e32 v5, vcc_lo, v5
	v_and_b32_e32 v0, v0, v5
	v_lshlrev_b32_e32 v5, 24, v10
	v_cmp_gt_i64_e32 vcc, 0, v[4:5]
	v_not_b32_e32 v5, v5
	v_ashrrev_i32_e32 v5, 31, v5
	v_xor_b32_e32 v10, vcc_hi, v5
	v_xor_b32_e32 v5, vcc_lo, v5
	v_and_b32_e32 v1, v1, v12
	v_and_b32_e32 v0, v0, v5
	;; [unrolled: 1-line block ×3, first 2 shown]
	v_mbcnt_lo_u32_b32 v5, v0, 0
	v_mbcnt_hi_u32_b32 v10, v1, v5
	v_cmp_eq_u32_e32 vcc, 0, v10
	v_cmp_ne_u64_e64 s[2:3], 0, v[0:1]
	s_and_b64 s[4:5], s[2:3], vcc
	s_and_saveexec_b64 s[2:3], s[4:5]
	s_cbranch_execz .LBB1750_89
; %bb.88:
	v_bcnt_u32_b32 v0, v0, 0
	v_bcnt_u32_b32 v0, v1, v0
	ds_write_b32 v13, v0 offset:64
.LBB1750_89:
	s_or_b64 exec, exec, s[2:3]
	s_waitcnt vmcnt(10)
	v_xor_b32_e32 v8, 0x80000000, v8
	v_lshrrev_b32_e32 v0, s20, v8
	v_and_b32_e32 v0, s21, v0
	v_lshl_add_u32 v1, v0, 4, v0
	v_add_lshl_u32 v17, v22, v1, 2
	v_and_b32_e32 v1, 1, v0
	v_add_co_u32_e32 v5, vcc, -1, v1
	v_addc_co_u32_e64 v14, s[2:3], 0, -1, vcc
	v_cmp_ne_u32_e32 vcc, 0, v1
	v_xor_b32_e32 v5, vcc_lo, v5
	v_xor_b32_e32 v1, vcc_hi, v14
	v_and_b32_e32 v14, exec_lo, v5
	v_lshlrev_b32_e32 v5, 30, v0
	v_cmp_gt_i64_e32 vcc, 0, v[4:5]
	v_not_b32_e32 v5, v5
	v_ashrrev_i32_e32 v5, 31, v5
	v_xor_b32_e32 v16, vcc_hi, v5
	v_xor_b32_e32 v5, vcc_lo, v5
	v_and_b32_e32 v14, v14, v5
	v_lshlrev_b32_e32 v5, 29, v0
	v_cmp_gt_i64_e32 vcc, 0, v[4:5]
	v_not_b32_e32 v5, v5
	v_and_b32_e32 v1, exec_hi, v1
	v_ashrrev_i32_e32 v5, 31, v5
	v_and_b32_e32 v1, v1, v16
	v_xor_b32_e32 v16, vcc_hi, v5
	v_xor_b32_e32 v5, vcc_lo, v5
	v_and_b32_e32 v14, v14, v5
	v_lshlrev_b32_e32 v5, 28, v0
	v_cmp_gt_i64_e32 vcc, 0, v[4:5]
	v_not_b32_e32 v5, v5
	v_ashrrev_i32_e32 v5, 31, v5
	v_and_b32_e32 v1, v1, v16
	v_xor_b32_e32 v16, vcc_hi, v5
	v_xor_b32_e32 v5, vcc_lo, v5
	v_and_b32_e32 v14, v14, v5
	v_lshlrev_b32_e32 v5, 27, v0
	v_cmp_gt_i64_e32 vcc, 0, v[4:5]
	v_not_b32_e32 v5, v5
	;; [unrolled: 8-line block ×4, first 2 shown]
	v_ashrrev_i32_e32 v5, 31, v5
	v_and_b32_e32 v1, v1, v16
	v_xor_b32_e32 v16, vcc_hi, v5
	v_xor_b32_e32 v5, vcc_lo, v5
	v_and_b32_e32 v14, v14, v5
	v_lshlrev_b32_e32 v5, 24, v0
	v_not_b32_e32 v0, v5
	v_cmp_gt_i64_e32 vcc, 0, v[4:5]
	v_ashrrev_i32_e32 v0, 31, v0
	v_xor_b32_e32 v4, vcc_hi, v0
	v_xor_b32_e32 v0, vcc_lo, v0
	; wave barrier
	ds_read_b32 v12, v17 offset:64
	v_and_b32_e32 v1, v1, v16
	v_and_b32_e32 v0, v14, v0
	;; [unrolled: 1-line block ×3, first 2 shown]
	v_mbcnt_lo_u32_b32 v4, v0, 0
	v_mbcnt_hi_u32_b32 v14, v1, v4
	v_cmp_eq_u32_e32 vcc, 0, v14
	v_cmp_ne_u64_e64 s[2:3], 0, v[0:1]
	s_and_b64 s[4:5], s[2:3], vcc
	; wave barrier
	s_and_saveexec_b64 s[2:3], s[4:5]
	s_cbranch_execz .LBB1750_91
; %bb.90:
	v_bcnt_u32_b32 v0, v0, 0
	v_bcnt_u32_b32 v0, v1, v0
	s_waitcnt lgkmcnt(0)
	v_add_u32_e32 v0, v12, v0
	ds_write_b32 v17, v0 offset:64
.LBB1750_91:
	s_or_b64 exec, exec, s[2:3]
	s_waitcnt vmcnt(9)
	v_xor_b32_e32 v9, 0x80000000, v9
	v_lshrrev_b32_e32 v0, s20, v9
	v_and_b32_e32 v4, s21, v0
	v_and_b32_e32 v1, 1, v4
	v_add_co_u32_e32 v5, vcc, -1, v1
	v_addc_co_u32_e64 v18, s[2:3], 0, -1, vcc
	v_cmp_ne_u32_e32 vcc, 0, v1
	v_lshl_add_u32 v0, v4, 4, v4
	v_xor_b32_e32 v1, vcc_hi, v18
	v_add_lshl_u32 v23, v22, v0, 2
	v_mov_b32_e32 v0, 0
	v_and_b32_e32 v18, exec_hi, v1
	v_lshlrev_b32_e32 v1, 30, v4
	v_xor_b32_e32 v5, vcc_lo, v5
	v_cmp_gt_i64_e32 vcc, 0, v[0:1]
	v_not_b32_e32 v1, v1
	v_ashrrev_i32_e32 v1, 31, v1
	v_and_b32_e32 v5, exec_lo, v5
	v_xor_b32_e32 v20, vcc_hi, v1
	v_xor_b32_e32 v1, vcc_lo, v1
	v_and_b32_e32 v5, v5, v1
	v_lshlrev_b32_e32 v1, 29, v4
	v_cmp_gt_i64_e32 vcc, 0, v[0:1]
	v_not_b32_e32 v1, v1
	v_ashrrev_i32_e32 v1, 31, v1
	v_and_b32_e32 v18, v18, v20
	v_xor_b32_e32 v20, vcc_hi, v1
	v_xor_b32_e32 v1, vcc_lo, v1
	v_and_b32_e32 v5, v5, v1
	v_lshlrev_b32_e32 v1, 28, v4
	v_cmp_gt_i64_e32 vcc, 0, v[0:1]
	v_not_b32_e32 v1, v1
	v_ashrrev_i32_e32 v1, 31, v1
	v_and_b32_e32 v18, v18, v20
	;; [unrolled: 8-line block ×5, first 2 shown]
	v_xor_b32_e32 v20, vcc_hi, v1
	v_xor_b32_e32 v1, vcc_lo, v1
	v_and_b32_e32 v18, v18, v20
	v_and_b32_e32 v20, v5, v1
	v_lshlrev_b32_e32 v1, 24, v4
	v_cmp_gt_i64_e32 vcc, 0, v[0:1]
	v_not_b32_e32 v1, v1
	v_ashrrev_i32_e32 v1, 31, v1
	v_xor_b32_e32 v4, vcc_hi, v1
	v_xor_b32_e32 v1, vcc_lo, v1
	; wave barrier
	ds_read_b32 v16, v23 offset:64
	v_and_b32_e32 v5, v18, v4
	v_and_b32_e32 v4, v20, v1
	v_mbcnt_lo_u32_b32 v1, v4, 0
	v_mbcnt_hi_u32_b32 v18, v5, v1
	v_cmp_eq_u32_e32 vcc, 0, v18
	v_cmp_ne_u64_e64 s[2:3], 0, v[4:5]
	s_and_b64 s[4:5], s[2:3], vcc
	; wave barrier
	s_and_saveexec_b64 s[2:3], s[4:5]
	s_cbranch_execz .LBB1750_93
; %bb.92:
	v_bcnt_u32_b32 v1, v4, 0
	v_bcnt_u32_b32 v1, v5, v1
	s_waitcnt lgkmcnt(0)
	v_add_u32_e32 v1, v16, v1
	ds_write_b32 v23, v1 offset:64
.LBB1750_93:
	s_or_b64 exec, exec, s[2:3]
	s_waitcnt vmcnt(8)
	v_xor_b32_e32 v11, 0x80000000, v11
	v_lshrrev_b32_e32 v1, s20, v11
	v_and_b32_e32 v4, s21, v1
	v_lshl_add_u32 v1, v4, 4, v4
	v_add_lshl_u32 v28, v22, v1, 2
	v_and_b32_e32 v1, 1, v4
	v_add_co_u32_e32 v5, vcc, -1, v1
	v_addc_co_u32_e64 v24, s[2:3], 0, -1, vcc
	v_cmp_ne_u32_e32 vcc, 0, v1
	v_xor_b32_e32 v1, vcc_hi, v24
	v_and_b32_e32 v24, exec_hi, v1
	v_lshlrev_b32_e32 v1, 30, v4
	v_xor_b32_e32 v5, vcc_lo, v5
	v_cmp_gt_i64_e32 vcc, 0, v[0:1]
	v_not_b32_e32 v1, v1
	v_ashrrev_i32_e32 v1, 31, v1
	v_and_b32_e32 v5, exec_lo, v5
	v_xor_b32_e32 v26, vcc_hi, v1
	v_xor_b32_e32 v1, vcc_lo, v1
	v_and_b32_e32 v5, v5, v1
	v_lshlrev_b32_e32 v1, 29, v4
	v_cmp_gt_i64_e32 vcc, 0, v[0:1]
	v_not_b32_e32 v1, v1
	v_ashrrev_i32_e32 v1, 31, v1
	v_and_b32_e32 v24, v24, v26
	v_xor_b32_e32 v26, vcc_hi, v1
	v_xor_b32_e32 v1, vcc_lo, v1
	v_and_b32_e32 v5, v5, v1
	v_lshlrev_b32_e32 v1, 28, v4
	v_cmp_gt_i64_e32 vcc, 0, v[0:1]
	v_not_b32_e32 v1, v1
	v_ashrrev_i32_e32 v1, 31, v1
	v_and_b32_e32 v24, v24, v26
	;; [unrolled: 8-line block ×5, first 2 shown]
	v_xor_b32_e32 v26, vcc_hi, v1
	v_xor_b32_e32 v1, vcc_lo, v1
	v_and_b32_e32 v5, v5, v1
	v_lshlrev_b32_e32 v1, 24, v4
	v_cmp_gt_i64_e32 vcc, 0, v[0:1]
	v_not_b32_e32 v0, v1
	v_ashrrev_i32_e32 v0, 31, v0
	v_xor_b32_e32 v1, vcc_hi, v0
	v_xor_b32_e32 v0, vcc_lo, v0
	; wave barrier
	ds_read_b32 v20, v28 offset:64
	v_and_b32_e32 v24, v24, v26
	v_and_b32_e32 v0, v5, v0
	;; [unrolled: 1-line block ×3, first 2 shown]
	v_mbcnt_lo_u32_b32 v4, v0, 0
	v_mbcnt_hi_u32_b32 v24, v1, v4
	v_cmp_eq_u32_e32 vcc, 0, v24
	v_cmp_ne_u64_e64 s[2:3], 0, v[0:1]
	s_and_b64 s[4:5], s[2:3], vcc
	; wave barrier
	s_and_saveexec_b64 s[2:3], s[4:5]
	s_cbranch_execz .LBB1750_95
; %bb.94:
	v_bcnt_u32_b32 v0, v0, 0
	v_bcnt_u32_b32 v0, v1, v0
	s_waitcnt lgkmcnt(0)
	v_add_u32_e32 v0, v20, v0
	ds_write_b32 v28, v0 offset:64
.LBB1750_95:
	s_or_b64 exec, exec, s[2:3]
	s_waitcnt vmcnt(7)
	v_xor_b32_e32 v15, 0x80000000, v15
	v_lshrrev_b32_e32 v0, s20, v15
	v_and_b32_e32 v4, s21, v0
	v_and_b32_e32 v1, 1, v4
	v_add_co_u32_e32 v5, vcc, -1, v1
	v_addc_co_u32_e64 v29, s[2:3], 0, -1, vcc
	v_cmp_ne_u32_e32 vcc, 0, v1
	v_lshl_add_u32 v0, v4, 4, v4
	v_xor_b32_e32 v1, vcc_hi, v29
	v_add_lshl_u32 v33, v22, v0, 2
	v_mov_b32_e32 v0, 0
	v_and_b32_e32 v29, exec_hi, v1
	v_lshlrev_b32_e32 v1, 30, v4
	v_xor_b32_e32 v5, vcc_lo, v5
	v_cmp_gt_i64_e32 vcc, 0, v[0:1]
	v_not_b32_e32 v1, v1
	v_ashrrev_i32_e32 v1, 31, v1
	v_and_b32_e32 v5, exec_lo, v5
	v_xor_b32_e32 v31, vcc_hi, v1
	v_xor_b32_e32 v1, vcc_lo, v1
	v_and_b32_e32 v5, v5, v1
	v_lshlrev_b32_e32 v1, 29, v4
	v_cmp_gt_i64_e32 vcc, 0, v[0:1]
	v_not_b32_e32 v1, v1
	v_ashrrev_i32_e32 v1, 31, v1
	v_and_b32_e32 v29, v29, v31
	v_xor_b32_e32 v31, vcc_hi, v1
	v_xor_b32_e32 v1, vcc_lo, v1
	v_and_b32_e32 v5, v5, v1
	v_lshlrev_b32_e32 v1, 28, v4
	v_cmp_gt_i64_e32 vcc, 0, v[0:1]
	v_not_b32_e32 v1, v1
	v_ashrrev_i32_e32 v1, 31, v1
	v_and_b32_e32 v29, v29, v31
	;; [unrolled: 8-line block ×5, first 2 shown]
	v_xor_b32_e32 v31, vcc_hi, v1
	v_xor_b32_e32 v1, vcc_lo, v1
	v_and_b32_e32 v29, v29, v31
	v_and_b32_e32 v31, v5, v1
	v_lshlrev_b32_e32 v1, 24, v4
	v_cmp_gt_i64_e32 vcc, 0, v[0:1]
	v_not_b32_e32 v1, v1
	v_ashrrev_i32_e32 v1, 31, v1
	v_xor_b32_e32 v4, vcc_hi, v1
	v_xor_b32_e32 v1, vcc_lo, v1
	; wave barrier
	ds_read_b32 v26, v33 offset:64
	v_and_b32_e32 v5, v29, v4
	v_and_b32_e32 v4, v31, v1
	v_mbcnt_lo_u32_b32 v1, v4, 0
	v_mbcnt_hi_u32_b32 v29, v5, v1
	v_cmp_eq_u32_e32 vcc, 0, v29
	v_cmp_ne_u64_e64 s[2:3], 0, v[4:5]
	s_and_b64 s[4:5], s[2:3], vcc
	; wave barrier
	s_and_saveexec_b64 s[2:3], s[4:5]
	s_cbranch_execz .LBB1750_97
; %bb.96:
	v_bcnt_u32_b32 v1, v4, 0
	v_bcnt_u32_b32 v1, v5, v1
	s_waitcnt lgkmcnt(0)
	v_add_u32_e32 v1, v26, v1
	ds_write_b32 v33, v1 offset:64
.LBB1750_97:
	s_or_b64 exec, exec, s[2:3]
	s_waitcnt vmcnt(6)
	v_xor_b32_e32 v19, 0x80000000, v19
	v_lshrrev_b32_e32 v1, s20, v19
	v_and_b32_e32 v4, s21, v1
	v_lshl_add_u32 v1, v4, 4, v4
	v_add_lshl_u32 v37, v22, v1, 2
	v_and_b32_e32 v1, 1, v4
	v_add_co_u32_e32 v5, vcc, -1, v1
	v_addc_co_u32_e64 v34, s[2:3], 0, -1, vcc
	v_cmp_ne_u32_e32 vcc, 0, v1
	v_xor_b32_e32 v1, vcc_hi, v34
	v_and_b32_e32 v34, exec_hi, v1
	v_lshlrev_b32_e32 v1, 30, v4
	v_xor_b32_e32 v5, vcc_lo, v5
	v_cmp_gt_i64_e32 vcc, 0, v[0:1]
	v_not_b32_e32 v1, v1
	v_ashrrev_i32_e32 v1, 31, v1
	v_and_b32_e32 v5, exec_lo, v5
	v_xor_b32_e32 v36, vcc_hi, v1
	v_xor_b32_e32 v1, vcc_lo, v1
	v_and_b32_e32 v5, v5, v1
	v_lshlrev_b32_e32 v1, 29, v4
	v_cmp_gt_i64_e32 vcc, 0, v[0:1]
	v_not_b32_e32 v1, v1
	v_ashrrev_i32_e32 v1, 31, v1
	v_and_b32_e32 v34, v34, v36
	v_xor_b32_e32 v36, vcc_hi, v1
	v_xor_b32_e32 v1, vcc_lo, v1
	v_and_b32_e32 v5, v5, v1
	v_lshlrev_b32_e32 v1, 28, v4
	v_cmp_gt_i64_e32 vcc, 0, v[0:1]
	v_not_b32_e32 v1, v1
	v_ashrrev_i32_e32 v1, 31, v1
	v_and_b32_e32 v34, v34, v36
	;; [unrolled: 8-line block ×5, first 2 shown]
	v_xor_b32_e32 v36, vcc_hi, v1
	v_xor_b32_e32 v1, vcc_lo, v1
	v_and_b32_e32 v5, v5, v1
	v_lshlrev_b32_e32 v1, 24, v4
	v_cmp_gt_i64_e32 vcc, 0, v[0:1]
	v_not_b32_e32 v0, v1
	v_ashrrev_i32_e32 v0, 31, v0
	v_xor_b32_e32 v1, vcc_hi, v0
	v_xor_b32_e32 v0, vcc_lo, v0
	; wave barrier
	ds_read_b32 v31, v37 offset:64
	v_and_b32_e32 v34, v34, v36
	v_and_b32_e32 v0, v5, v0
	;; [unrolled: 1-line block ×3, first 2 shown]
	v_mbcnt_lo_u32_b32 v4, v0, 0
	v_mbcnt_hi_u32_b32 v34, v1, v4
	v_cmp_eq_u32_e32 vcc, 0, v34
	v_cmp_ne_u64_e64 s[2:3], 0, v[0:1]
	s_and_b64 s[4:5], s[2:3], vcc
	; wave barrier
	s_and_saveexec_b64 s[2:3], s[4:5]
	s_cbranch_execz .LBB1750_99
; %bb.98:
	v_bcnt_u32_b32 v0, v0, 0
	v_bcnt_u32_b32 v0, v1, v0
	s_waitcnt lgkmcnt(0)
	v_add_u32_e32 v0, v31, v0
	ds_write_b32 v37, v0 offset:64
.LBB1750_99:
	s_or_b64 exec, exec, s[2:3]
	s_waitcnt vmcnt(5)
	v_xor_b32_e32 v25, 0x80000000, v25
	v_lshrrev_b32_e32 v0, s20, v25
	v_and_b32_e32 v4, s21, v0
	v_and_b32_e32 v1, 1, v4
	v_add_co_u32_e32 v5, vcc, -1, v1
	v_addc_co_u32_e64 v38, s[2:3], 0, -1, vcc
	v_cmp_ne_u32_e32 vcc, 0, v1
	v_lshl_add_u32 v0, v4, 4, v4
	v_xor_b32_e32 v1, vcc_hi, v38
	v_add_lshl_u32 v40, v22, v0, 2
	v_mov_b32_e32 v0, 0
	v_and_b32_e32 v38, exec_hi, v1
	v_lshlrev_b32_e32 v1, 30, v4
	v_xor_b32_e32 v5, vcc_lo, v5
	v_cmp_gt_i64_e32 vcc, 0, v[0:1]
	v_not_b32_e32 v1, v1
	v_ashrrev_i32_e32 v1, 31, v1
	v_and_b32_e32 v5, exec_lo, v5
	v_xor_b32_e32 v39, vcc_hi, v1
	v_xor_b32_e32 v1, vcc_lo, v1
	v_and_b32_e32 v5, v5, v1
	v_lshlrev_b32_e32 v1, 29, v4
	v_cmp_gt_i64_e32 vcc, 0, v[0:1]
	v_not_b32_e32 v1, v1
	v_ashrrev_i32_e32 v1, 31, v1
	v_and_b32_e32 v38, v38, v39
	v_xor_b32_e32 v39, vcc_hi, v1
	v_xor_b32_e32 v1, vcc_lo, v1
	v_and_b32_e32 v5, v5, v1
	v_lshlrev_b32_e32 v1, 28, v4
	v_cmp_gt_i64_e32 vcc, 0, v[0:1]
	v_not_b32_e32 v1, v1
	v_ashrrev_i32_e32 v1, 31, v1
	v_and_b32_e32 v38, v38, v39
	;; [unrolled: 8-line block ×5, first 2 shown]
	v_xor_b32_e32 v39, vcc_hi, v1
	v_xor_b32_e32 v1, vcc_lo, v1
	v_and_b32_e32 v38, v38, v39
	v_and_b32_e32 v39, v5, v1
	v_lshlrev_b32_e32 v1, 24, v4
	v_cmp_gt_i64_e32 vcc, 0, v[0:1]
	v_not_b32_e32 v1, v1
	v_ashrrev_i32_e32 v1, 31, v1
	v_xor_b32_e32 v4, vcc_hi, v1
	v_xor_b32_e32 v1, vcc_lo, v1
	; wave barrier
	ds_read_b32 v36, v40 offset:64
	v_and_b32_e32 v5, v38, v4
	v_and_b32_e32 v4, v39, v1
	v_mbcnt_lo_u32_b32 v1, v4, 0
	v_mbcnt_hi_u32_b32 v38, v5, v1
	v_cmp_eq_u32_e32 vcc, 0, v38
	v_cmp_ne_u64_e64 s[2:3], 0, v[4:5]
	s_and_b64 s[4:5], s[2:3], vcc
	; wave barrier
	s_and_saveexec_b64 s[2:3], s[4:5]
	s_cbranch_execz .LBB1750_101
; %bb.100:
	v_bcnt_u32_b32 v1, v4, 0
	v_bcnt_u32_b32 v1, v5, v1
	s_waitcnt lgkmcnt(0)
	v_add_u32_e32 v1, v36, v1
	ds_write_b32 v40, v1 offset:64
.LBB1750_101:
	s_or_b64 exec, exec, s[2:3]
	s_waitcnt vmcnt(4)
	v_xor_b32_e32 v30, 0x80000000, v30
	v_lshrrev_b32_e32 v1, s20, v30
	v_and_b32_e32 v4, s21, v1
	v_lshl_add_u32 v1, v4, 4, v4
	v_add_lshl_u32 v43, v22, v1, 2
	v_and_b32_e32 v1, 1, v4
	v_add_co_u32_e32 v5, vcc, -1, v1
	v_addc_co_u32_e64 v41, s[2:3], 0, -1, vcc
	v_cmp_ne_u32_e32 vcc, 0, v1
	v_xor_b32_e32 v1, vcc_hi, v41
	v_and_b32_e32 v41, exec_hi, v1
	v_lshlrev_b32_e32 v1, 30, v4
	v_xor_b32_e32 v5, vcc_lo, v5
	v_cmp_gt_i64_e32 vcc, 0, v[0:1]
	v_not_b32_e32 v1, v1
	v_ashrrev_i32_e32 v1, 31, v1
	v_and_b32_e32 v5, exec_lo, v5
	v_xor_b32_e32 v42, vcc_hi, v1
	v_xor_b32_e32 v1, vcc_lo, v1
	v_and_b32_e32 v5, v5, v1
	v_lshlrev_b32_e32 v1, 29, v4
	v_cmp_gt_i64_e32 vcc, 0, v[0:1]
	v_not_b32_e32 v1, v1
	v_ashrrev_i32_e32 v1, 31, v1
	v_and_b32_e32 v41, v41, v42
	v_xor_b32_e32 v42, vcc_hi, v1
	v_xor_b32_e32 v1, vcc_lo, v1
	v_and_b32_e32 v5, v5, v1
	v_lshlrev_b32_e32 v1, 28, v4
	v_cmp_gt_i64_e32 vcc, 0, v[0:1]
	v_not_b32_e32 v1, v1
	v_ashrrev_i32_e32 v1, 31, v1
	v_and_b32_e32 v41, v41, v42
	;; [unrolled: 8-line block ×5, first 2 shown]
	v_xor_b32_e32 v42, vcc_hi, v1
	v_xor_b32_e32 v1, vcc_lo, v1
	v_and_b32_e32 v5, v5, v1
	v_lshlrev_b32_e32 v1, 24, v4
	v_cmp_gt_i64_e32 vcc, 0, v[0:1]
	v_not_b32_e32 v0, v1
	v_ashrrev_i32_e32 v0, 31, v0
	v_xor_b32_e32 v1, vcc_hi, v0
	v_xor_b32_e32 v0, vcc_lo, v0
	; wave barrier
	ds_read_b32 v39, v43 offset:64
	v_and_b32_e32 v41, v41, v42
	v_and_b32_e32 v0, v5, v0
	;; [unrolled: 1-line block ×3, first 2 shown]
	v_mbcnt_lo_u32_b32 v4, v0, 0
	v_mbcnt_hi_u32_b32 v41, v1, v4
	v_cmp_eq_u32_e32 vcc, 0, v41
	v_cmp_ne_u64_e64 s[2:3], 0, v[0:1]
	s_and_b64 s[4:5], s[2:3], vcc
	; wave barrier
	s_and_saveexec_b64 s[2:3], s[4:5]
	s_cbranch_execz .LBB1750_103
; %bb.102:
	v_bcnt_u32_b32 v0, v0, 0
	v_bcnt_u32_b32 v0, v1, v0
	s_waitcnt lgkmcnt(0)
	v_add_u32_e32 v0, v39, v0
	ds_write_b32 v43, v0 offset:64
.LBB1750_103:
	s_or_b64 exec, exec, s[2:3]
	s_waitcnt vmcnt(3)
	v_xor_b32_e32 v35, 0x80000000, v35
	v_lshrrev_b32_e32 v0, s20, v35
	v_and_b32_e32 v4, s21, v0
	v_and_b32_e32 v1, 1, v4
	v_add_co_u32_e32 v5, vcc, -1, v1
	v_addc_co_u32_e64 v44, s[2:3], 0, -1, vcc
	v_cmp_ne_u32_e32 vcc, 0, v1
	v_lshl_add_u32 v0, v4, 4, v4
	v_xor_b32_e32 v1, vcc_hi, v44
	v_add_lshl_u32 v46, v22, v0, 2
	v_mov_b32_e32 v0, 0
	v_and_b32_e32 v44, exec_hi, v1
	v_lshlrev_b32_e32 v1, 30, v4
	v_xor_b32_e32 v5, vcc_lo, v5
	v_cmp_gt_i64_e32 vcc, 0, v[0:1]
	v_not_b32_e32 v1, v1
	v_ashrrev_i32_e32 v1, 31, v1
	v_and_b32_e32 v5, exec_lo, v5
	v_xor_b32_e32 v45, vcc_hi, v1
	v_xor_b32_e32 v1, vcc_lo, v1
	v_and_b32_e32 v5, v5, v1
	v_lshlrev_b32_e32 v1, 29, v4
	v_cmp_gt_i64_e32 vcc, 0, v[0:1]
	v_not_b32_e32 v1, v1
	v_ashrrev_i32_e32 v1, 31, v1
	v_and_b32_e32 v44, v44, v45
	v_xor_b32_e32 v45, vcc_hi, v1
	v_xor_b32_e32 v1, vcc_lo, v1
	v_and_b32_e32 v5, v5, v1
	v_lshlrev_b32_e32 v1, 28, v4
	v_cmp_gt_i64_e32 vcc, 0, v[0:1]
	v_not_b32_e32 v1, v1
	v_ashrrev_i32_e32 v1, 31, v1
	v_and_b32_e32 v44, v44, v45
	;; [unrolled: 8-line block ×5, first 2 shown]
	v_xor_b32_e32 v45, vcc_hi, v1
	v_xor_b32_e32 v1, vcc_lo, v1
	v_and_b32_e32 v44, v44, v45
	v_and_b32_e32 v45, v5, v1
	v_lshlrev_b32_e32 v1, 24, v4
	v_cmp_gt_i64_e32 vcc, 0, v[0:1]
	v_not_b32_e32 v1, v1
	v_ashrrev_i32_e32 v1, 31, v1
	v_xor_b32_e32 v4, vcc_hi, v1
	v_xor_b32_e32 v1, vcc_lo, v1
	; wave barrier
	ds_read_b32 v42, v46 offset:64
	v_and_b32_e32 v5, v44, v4
	v_and_b32_e32 v4, v45, v1
	v_mbcnt_lo_u32_b32 v1, v4, 0
	v_mbcnt_hi_u32_b32 v44, v5, v1
	v_cmp_eq_u32_e32 vcc, 0, v44
	v_cmp_ne_u64_e64 s[2:3], 0, v[4:5]
	s_and_b64 s[4:5], s[2:3], vcc
	; wave barrier
	s_and_saveexec_b64 s[2:3], s[4:5]
	s_cbranch_execz .LBB1750_105
; %bb.104:
	v_bcnt_u32_b32 v1, v4, 0
	v_bcnt_u32_b32 v1, v5, v1
	s_waitcnt lgkmcnt(0)
	v_add_u32_e32 v1, v42, v1
	ds_write_b32 v46, v1 offset:64
.LBB1750_105:
	s_or_b64 exec, exec, s[2:3]
	s_waitcnt vmcnt(2)
	v_xor_b32_e32 v32, 0x80000000, v32
	v_lshrrev_b32_e32 v1, s20, v32
	v_and_b32_e32 v4, s21, v1
	v_lshl_add_u32 v1, v4, 4, v4
	v_add_lshl_u32 v49, v22, v1, 2
	v_and_b32_e32 v1, 1, v4
	v_add_co_u32_e32 v5, vcc, -1, v1
	v_addc_co_u32_e64 v47, s[2:3], 0, -1, vcc
	v_cmp_ne_u32_e32 vcc, 0, v1
	v_xor_b32_e32 v1, vcc_hi, v47
	v_and_b32_e32 v47, exec_hi, v1
	v_lshlrev_b32_e32 v1, 30, v4
	v_xor_b32_e32 v5, vcc_lo, v5
	v_cmp_gt_i64_e32 vcc, 0, v[0:1]
	v_not_b32_e32 v1, v1
	v_ashrrev_i32_e32 v1, 31, v1
	v_and_b32_e32 v5, exec_lo, v5
	v_xor_b32_e32 v48, vcc_hi, v1
	v_xor_b32_e32 v1, vcc_lo, v1
	v_and_b32_e32 v5, v5, v1
	v_lshlrev_b32_e32 v1, 29, v4
	v_cmp_gt_i64_e32 vcc, 0, v[0:1]
	v_not_b32_e32 v1, v1
	v_ashrrev_i32_e32 v1, 31, v1
	v_and_b32_e32 v47, v47, v48
	v_xor_b32_e32 v48, vcc_hi, v1
	v_xor_b32_e32 v1, vcc_lo, v1
	v_and_b32_e32 v5, v5, v1
	v_lshlrev_b32_e32 v1, 28, v4
	v_cmp_gt_i64_e32 vcc, 0, v[0:1]
	v_not_b32_e32 v1, v1
	v_ashrrev_i32_e32 v1, 31, v1
	v_and_b32_e32 v47, v47, v48
	;; [unrolled: 8-line block ×5, first 2 shown]
	v_xor_b32_e32 v48, vcc_hi, v1
	v_xor_b32_e32 v1, vcc_lo, v1
	v_and_b32_e32 v5, v5, v1
	v_lshlrev_b32_e32 v1, 24, v4
	v_cmp_gt_i64_e32 vcc, 0, v[0:1]
	v_not_b32_e32 v0, v1
	v_ashrrev_i32_e32 v0, 31, v0
	v_xor_b32_e32 v1, vcc_hi, v0
	v_xor_b32_e32 v0, vcc_lo, v0
	; wave barrier
	ds_read_b32 v45, v49 offset:64
	v_and_b32_e32 v47, v47, v48
	v_and_b32_e32 v0, v5, v0
	;; [unrolled: 1-line block ×3, first 2 shown]
	v_mbcnt_lo_u32_b32 v4, v0, 0
	v_mbcnt_hi_u32_b32 v47, v1, v4
	v_cmp_eq_u32_e32 vcc, 0, v47
	v_cmp_ne_u64_e64 s[2:3], 0, v[0:1]
	s_and_b64 s[4:5], s[2:3], vcc
	; wave barrier
	s_and_saveexec_b64 s[2:3], s[4:5]
	s_cbranch_execz .LBB1750_107
; %bb.106:
	v_bcnt_u32_b32 v0, v0, 0
	v_bcnt_u32_b32 v0, v1, v0
	s_waitcnt lgkmcnt(0)
	v_add_u32_e32 v0, v45, v0
	ds_write_b32 v49, v0 offset:64
.LBB1750_107:
	s_or_b64 exec, exec, s[2:3]
	s_waitcnt vmcnt(1)
	v_xor_b32_e32 v27, 0x80000000, v27
	v_lshrrev_b32_e32 v0, s20, v27
	v_and_b32_e32 v4, s21, v0
	v_and_b32_e32 v1, 1, v4
	v_add_co_u32_e32 v5, vcc, -1, v1
	v_addc_co_u32_e64 v50, s[2:3], 0, -1, vcc
	v_cmp_ne_u32_e32 vcc, 0, v1
	v_lshl_add_u32 v0, v4, 4, v4
	v_xor_b32_e32 v1, vcc_hi, v50
	v_add_lshl_u32 v51, v22, v0, 2
	v_mov_b32_e32 v0, 0
	v_and_b32_e32 v50, exec_hi, v1
	v_lshlrev_b32_e32 v1, 30, v4
	v_xor_b32_e32 v5, vcc_lo, v5
	v_cmp_gt_i64_e32 vcc, 0, v[0:1]
	v_not_b32_e32 v1, v1
	v_ashrrev_i32_e32 v1, 31, v1
	v_and_b32_e32 v5, exec_lo, v5
	v_xor_b32_e32 v52, vcc_hi, v1
	v_xor_b32_e32 v1, vcc_lo, v1
	v_and_b32_e32 v5, v5, v1
	v_lshlrev_b32_e32 v1, 29, v4
	v_cmp_gt_i64_e32 vcc, 0, v[0:1]
	v_not_b32_e32 v1, v1
	v_ashrrev_i32_e32 v1, 31, v1
	v_and_b32_e32 v50, v50, v52
	v_xor_b32_e32 v52, vcc_hi, v1
	v_xor_b32_e32 v1, vcc_lo, v1
	v_and_b32_e32 v5, v5, v1
	v_lshlrev_b32_e32 v1, 28, v4
	v_cmp_gt_i64_e32 vcc, 0, v[0:1]
	v_not_b32_e32 v1, v1
	v_ashrrev_i32_e32 v1, 31, v1
	v_and_b32_e32 v50, v50, v52
	;; [unrolled: 8-line block ×5, first 2 shown]
	v_xor_b32_e32 v52, vcc_hi, v1
	v_xor_b32_e32 v1, vcc_lo, v1
	v_and_b32_e32 v50, v50, v52
	v_and_b32_e32 v52, v5, v1
	v_lshlrev_b32_e32 v1, 24, v4
	v_cmp_gt_i64_e32 vcc, 0, v[0:1]
	v_not_b32_e32 v1, v1
	v_ashrrev_i32_e32 v1, 31, v1
	v_xor_b32_e32 v4, vcc_hi, v1
	v_xor_b32_e32 v1, vcc_lo, v1
	; wave barrier
	ds_read_b32 v48, v51 offset:64
	v_and_b32_e32 v5, v50, v4
	v_and_b32_e32 v4, v52, v1
	v_mbcnt_lo_u32_b32 v1, v4, 0
	v_mbcnt_hi_u32_b32 v50, v5, v1
	v_cmp_eq_u32_e32 vcc, 0, v50
	v_cmp_ne_u64_e64 s[2:3], 0, v[4:5]
	s_and_b64 s[4:5], s[2:3], vcc
	; wave barrier
	s_and_saveexec_b64 s[2:3], s[4:5]
	s_cbranch_execz .LBB1750_109
; %bb.108:
	v_bcnt_u32_b32 v1, v4, 0
	v_bcnt_u32_b32 v1, v5, v1
	s_waitcnt lgkmcnt(0)
	v_add_u32_e32 v1, v48, v1
	ds_write_b32 v51, v1 offset:64
.LBB1750_109:
	s_or_b64 exec, exec, s[2:3]
	s_waitcnt vmcnt(0)
	v_xor_b32_e32 v21, 0x80000000, v21
	v_lshrrev_b32_e32 v1, s20, v21
	v_and_b32_e32 v4, s21, v1
	v_lshl_add_u32 v1, v4, 4, v4
	v_add_lshl_u32 v53, v22, v1, 2
	v_and_b32_e32 v1, 1, v4
	v_add_co_u32_e32 v5, vcc, -1, v1
	v_addc_co_u32_e64 v52, s[2:3], 0, -1, vcc
	v_cmp_ne_u32_e32 vcc, 0, v1
	v_xor_b32_e32 v1, vcc_hi, v52
	v_and_b32_e32 v52, exec_hi, v1
	v_lshlrev_b32_e32 v1, 30, v4
	v_xor_b32_e32 v5, vcc_lo, v5
	v_cmp_gt_i64_e32 vcc, 0, v[0:1]
	v_not_b32_e32 v1, v1
	v_ashrrev_i32_e32 v1, 31, v1
	v_and_b32_e32 v5, exec_lo, v5
	v_xor_b32_e32 v55, vcc_hi, v1
	v_xor_b32_e32 v1, vcc_lo, v1
	v_and_b32_e32 v5, v5, v1
	v_lshlrev_b32_e32 v1, 29, v4
	v_cmp_gt_i64_e32 vcc, 0, v[0:1]
	v_not_b32_e32 v1, v1
	v_ashrrev_i32_e32 v1, 31, v1
	v_and_b32_e32 v52, v52, v55
	v_xor_b32_e32 v55, vcc_hi, v1
	v_xor_b32_e32 v1, vcc_lo, v1
	v_and_b32_e32 v5, v5, v1
	v_lshlrev_b32_e32 v1, 28, v4
	v_cmp_gt_i64_e32 vcc, 0, v[0:1]
	v_not_b32_e32 v1, v1
	v_ashrrev_i32_e32 v1, 31, v1
	v_and_b32_e32 v52, v52, v55
	;; [unrolled: 8-line block ×5, first 2 shown]
	v_xor_b32_e32 v55, vcc_hi, v1
	v_xor_b32_e32 v1, vcc_lo, v1
	v_and_b32_e32 v5, v5, v1
	v_lshlrev_b32_e32 v1, 24, v4
	v_cmp_gt_i64_e32 vcc, 0, v[0:1]
	v_not_b32_e32 v0, v1
	v_ashrrev_i32_e32 v0, 31, v0
	v_xor_b32_e32 v1, vcc_hi, v0
	v_xor_b32_e32 v0, vcc_lo, v0
	; wave barrier
	ds_read_b32 v22, v53 offset:64
	v_and_b32_e32 v52, v52, v55
	v_and_b32_e32 v0, v5, v0
	;; [unrolled: 1-line block ×3, first 2 shown]
	v_mbcnt_lo_u32_b32 v4, v0, 0
	v_mbcnt_hi_u32_b32 v52, v1, v4
	v_cmp_eq_u32_e32 vcc, 0, v52
	v_cmp_ne_u64_e64 s[2:3], 0, v[0:1]
	v_add_u32_e32 v54, 64, v7
	s_and_b64 s[4:5], s[2:3], vcc
	; wave barrier
	s_and_saveexec_b64 s[2:3], s[4:5]
	s_cbranch_execz .LBB1750_111
; %bb.110:
	v_bcnt_u32_b32 v0, v0, 0
	v_bcnt_u32_b32 v0, v1, v0
	s_waitcnt lgkmcnt(0)
	v_add_u32_e32 v0, v22, v0
	ds_write_b32 v53, v0 offset:64
.LBB1750_111:
	s_or_b64 exec, exec, s[2:3]
	; wave barrier
	s_waitcnt lgkmcnt(0)
	s_barrier
	ds_read2_b32 v[4:5], v7 offset0:16 offset1:17
	ds_read2_b32 v[0:1], v54 offset0:2 offset1:3
	ds_read_b32 v55, v54 offset:16
	v_cmp_lt_u32_e64 s[8:9], 31, v6
	s_waitcnt lgkmcnt(1)
	v_add3_u32 v56, v5, v4, v0
	s_waitcnt lgkmcnt(0)
	v_add3_u32 v55, v56, v1, v55
	v_and_b32_e32 v56, 15, v6
	v_cmp_eq_u32_e32 vcc, 0, v56
	v_mov_b32_dpp v57, v55 row_shr:1 row_mask:0xf bank_mask:0xf
	v_cndmask_b32_e64 v57, v57, 0, vcc
	v_add_u32_e32 v55, v57, v55
	v_cmp_lt_u32_e64 s[2:3], 1, v56
	v_cmp_lt_u32_e64 s[4:5], 3, v56
	v_mov_b32_dpp v57, v55 row_shr:2 row_mask:0xf bank_mask:0xf
	v_cndmask_b32_e64 v57, 0, v57, s[2:3]
	v_add_u32_e32 v55, v55, v57
	v_cmp_lt_u32_e64 s[6:7], 7, v56
	s_nop 0
	v_mov_b32_dpp v57, v55 row_shr:4 row_mask:0xf bank_mask:0xf
	v_cndmask_b32_e64 v57, 0, v57, s[4:5]
	v_add_u32_e32 v55, v55, v57
	s_nop 1
	v_mov_b32_dpp v57, v55 row_shr:8 row_mask:0xf bank_mask:0xf
	v_cndmask_b32_e64 v56, 0, v57, s[6:7]
	v_add_u32_e32 v55, v55, v56
	v_bfe_i32 v57, v6, 4, 1
	s_nop 0
	v_mov_b32_dpp v56, v55 row_bcast:15 row_mask:0xf bank_mask:0xf
	v_and_b32_e32 v56, v57, v56
	v_add_u32_e32 v55, v55, v56
	v_and_b32_e32 v57, 63, v2
	s_nop 0
	v_mov_b32_dpp v56, v55 row_bcast:31 row_mask:0xf bank_mask:0xf
	v_cndmask_b32_e64 v56, 0, v56, s[8:9]
	v_add_u32_e32 v55, v55, v56
	v_lshrrev_b32_e32 v56, 6, v2
	v_cmp_eq_u32_e64 s[8:9], 63, v57
	s_and_saveexec_b64 s[12:13], s[8:9]
	s_cbranch_execz .LBB1750_113
; %bb.112:
	v_lshlrev_b32_e32 v57, 2, v56
	ds_write_b32 v57, v55
.LBB1750_113:
	s_or_b64 exec, exec, s[12:13]
	v_cmp_gt_u32_e64 s[8:9], 16, v2
	s_waitcnt lgkmcnt(0)
	s_barrier
	s_and_saveexec_b64 s[12:13], s[8:9]
	s_cbranch_execz .LBB1750_115
; %bb.114:
	v_lshlrev_b32_e32 v57, 2, v2
	ds_read_b32 v58, v57
	s_waitcnt lgkmcnt(0)
	s_nop 0
	v_mov_b32_dpp v59, v58 row_shr:1 row_mask:0xf bank_mask:0xf
	v_cndmask_b32_e64 v59, v59, 0, vcc
	v_add_u32_e32 v58, v59, v58
	s_nop 1
	v_mov_b32_dpp v59, v58 row_shr:2 row_mask:0xf bank_mask:0xf
	v_cndmask_b32_e64 v59, 0, v59, s[2:3]
	v_add_u32_e32 v58, v58, v59
	s_nop 1
	v_mov_b32_dpp v59, v58 row_shr:4 row_mask:0xf bank_mask:0xf
	v_cndmask_b32_e64 v59, 0, v59, s[4:5]
	;; [unrolled: 4-line block ×3, first 2 shown]
	v_add_u32_e32 v58, v58, v59
	ds_write_b32 v57, v58
.LBB1750_115:
	s_or_b64 exec, exec, s[12:13]
	v_cmp_lt_u32_e32 vcc, 63, v2
	v_mov_b32_e32 v57, 0
	s_waitcnt lgkmcnt(0)
	s_barrier
	s_and_saveexec_b64 s[2:3], vcc
	s_cbranch_execz .LBB1750_117
; %bb.116:
	v_lshl_add_u32 v56, v56, 2, -4
	ds_read_b32 v57, v56
.LBB1750_117:
	s_or_b64 exec, exec, s[2:3]
	v_add_u32_e32 v56, -1, v6
	v_and_b32_e32 v58, 64, v6
	v_cmp_lt_i32_e32 vcc, v56, v58
	v_cndmask_b32_e32 v56, v56, v6, vcc
	s_waitcnt lgkmcnt(0)
	v_add_u32_e32 v55, v57, v55
	v_lshlrev_b32_e32 v56, 2, v56
	ds_bpermute_b32 v55, v56, v55
	v_cmp_eq_u32_e32 vcc, 0, v6
	s_waitcnt lgkmcnt(0)
	v_cndmask_b32_e32 v6, v55, v57, vcc
	v_cndmask_b32_e64 v6, v6, 0, s[0:1]
	v_add_u32_e32 v4, v6, v4
	v_add_u32_e32 v5, v4, v5
	v_add_u32_e32 v0, v5, v0
	v_add_u32_e32 v1, v0, v1
	ds_write2_b32 v7, v6, v4 offset0:16 offset1:17
	ds_write2_b32 v54, v5, v0 offset0:2 offset1:3
	ds_write_b32 v54, v1 offset:16
	s_waitcnt lgkmcnt(0)
	s_barrier
	ds_read_b32 v58, v13 offset:64
	ds_read_b32 v54, v17 offset:64
	;; [unrolled: 1-line block ×12, first 2 shown]
	s_movk_i32 s0, 0x100
	v_cmp_gt_u32_e32 vcc, s0, v2
                                        ; implicit-def: $vgpr13
                                        ; implicit-def: $vgpr17
	s_and_saveexec_b64 s[2:3], vcc
	s_cbranch_execz .LBB1750_121
; %bb.118:
	v_mul_u32_u24_e32 v0, 17, v2
	v_lshlrev_b32_e32 v1, 2, v0
	ds_read_b32 v13, v1 offset:64
	s_movk_i32 s0, 0xff
	v_cmp_ne_u32_e64 s[0:1], s0, v2
	v_mov_b32_e32 v0, 0x3000
	s_and_saveexec_b64 s[4:5], s[0:1]
	s_cbranch_execz .LBB1750_120
; %bb.119:
	ds_read_b32 v0, v1 offset:132
.LBB1750_120:
	s_or_b64 exec, exec, s[4:5]
	s_waitcnt lgkmcnt(0)
	v_sub_u32_e32 v17, v0, v13
.LBB1750_121:
	s_or_b64 exec, exec, s[2:3]
	s_waitcnt lgkmcnt(0)
	s_barrier
	s_and_saveexec_b64 s[2:3], vcc
	s_cbranch_execz .LBB1750_131
; %bb.122:
	v_lshl_or_b32 v0, s30, 8, v2
	v_mov_b32_e32 v1, 0
	v_lshlrev_b64 v[4:5], 2, v[0:1]
	v_mov_b32_e32 v49, s15
	v_add_co_u32_e64 v4, s[0:1], s14, v4
	v_addc_co_u32_e64 v5, s[0:1], v49, v5, s[0:1]
	v_or_b32_e32 v0, 2.0, v17
	s_mov_b64 s[4:5], 0
	s_brev_b32 s12, 1
	s_mov_b32 s13, s30
	v_mov_b32_e32 v51, 0
	global_store_dword v[4:5], v0, off
                                        ; implicit-def: $sgpr0_sgpr1
	s_branch .LBB1750_125
.LBB1750_123:                           ;   in Loop: Header=BB1750_125 Depth=1
	s_or_b64 exec, exec, s[8:9]
.LBB1750_124:                           ;   in Loop: Header=BB1750_125 Depth=1
	s_or_b64 exec, exec, s[6:7]
	v_and_b32_e32 v6, 0x3fffffff, v53
	v_add_u32_e32 v51, v6, v51
	v_cmp_eq_u32_e64 s[0:1], s12, v0
	s_and_b64 s[6:7], exec, s[0:1]
	s_or_b64 s[4:5], s[6:7], s[4:5]
	s_andn2_b64 exec, exec, s[4:5]
	s_cbranch_execz .LBB1750_130
.LBB1750_125:                           ; =>This Loop Header: Depth=1
                                        ;     Child Loop BB1750_128 Depth 2
	s_or_b64 s[0:1], s[0:1], exec
	s_cmp_eq_u32 s13, 0
	s_cbranch_scc1 .LBB1750_129
; %bb.126:                              ;   in Loop: Header=BB1750_125 Depth=1
	s_add_i32 s13, s13, -1
	v_lshl_or_b32 v0, s13, 8, v2
	v_lshlrev_b64 v[6:7], 2, v[0:1]
	v_add_co_u32_e64 v6, s[0:1], s14, v6
	v_addc_co_u32_e64 v7, s[0:1], v49, v7, s[0:1]
	global_load_dword v53, v[6:7], off glc
	s_waitcnt vmcnt(0)
	v_and_b32_e32 v0, -2.0, v53
	v_cmp_eq_u32_e64 s[0:1], 0, v0
	s_and_saveexec_b64 s[6:7], s[0:1]
	s_cbranch_execz .LBB1750_124
; %bb.127:                              ;   in Loop: Header=BB1750_125 Depth=1
	s_mov_b64 s[8:9], 0
.LBB1750_128:                           ;   Parent Loop BB1750_125 Depth=1
                                        ; =>  This Inner Loop Header: Depth=2
	global_load_dword v53, v[6:7], off glc
	s_waitcnt vmcnt(0)
	v_and_b32_e32 v0, -2.0, v53
	v_cmp_ne_u32_e64 s[0:1], 0, v0
	s_or_b64 s[8:9], s[0:1], s[8:9]
	s_andn2_b64 exec, exec, s[8:9]
	s_cbranch_execnz .LBB1750_128
	s_branch .LBB1750_123
.LBB1750_129:                           ;   in Loop: Header=BB1750_125 Depth=1
                                        ; implicit-def: $sgpr13
	s_and_b64 s[6:7], exec, s[0:1]
	s_or_b64 s[4:5], s[6:7], s[4:5]
	s_andn2_b64 exec, exec, s[4:5]
	s_cbranch_execnz .LBB1750_125
.LBB1750_130:
	s_or_b64 exec, exec, s[4:5]
	v_add_u32_e32 v0, v51, v17
	v_or_b32_e32 v0, 0x80000000, v0
	global_store_dword v[4:5], v0, off
	v_lshlrev_b32_e32 v0, 2, v2
	global_load_dword v1, v0, s[16:17]
	v_sub_u32_e32 v4, v51, v13
	s_waitcnt vmcnt(0)
	v_add_u32_e32 v1, v4, v1
	ds_write_b32 v0, v1
.LBB1750_131:
	s_or_b64 exec, exec, s[2:3]
	v_lshlrev_b32_e32 v5, 2, v2
	v_add_u32_e32 v4, v58, v10
	s_movk_i32 s2, 0x400
	v_add_u32_e32 v6, 0x400, v5
	v_add3_u32 v7, v52, v46, v22
	v_add3_u32 v10, v50, v43, v48
	;; [unrolled: 1-line block ×11, first 2 shown]
	s_mov_b32 s3, 0
	v_mov_b32_e32 v14, s27
	s_movk_i32 s4, 0x800
	s_movk_i32 s5, 0xc00
	v_mov_b32_e32 v1, 0
	v_mov_b32_e32 v18, v2
.LBB1750_132:                           ; =>This Inner Loop Header: Depth=1
	v_add_u32_e32 v0, s3, v4
	v_add_u32_e32 v36, s3, v26
	;; [unrolled: 1-line block ×12, first 2 shown]
	v_min_u32_e32 v0, 0x1000, v0
	v_min_u32_e32 v36, 0x1000, v36
	;; [unrolled: 1-line block ×12, first 2 shown]
	v_lshlrev_b32_e32 v0, 2, v0
	v_lshlrev_b32_e32 v36, 2, v36
	;; [unrolled: 1-line block ×12, first 2 shown]
	ds_write_b32 v0, v3 offset:1024
	ds_write_b32 v24, v8 offset:1024
	ds_write_b32 v29, v9 offset:1024
	ds_write_b32 v34, v11 offset:1024
	ds_write_b32 v36, v15 offset:1024
	ds_write_b32 v37, v19 offset:1024
	ds_write_b32 v38, v25 offset:1024
	ds_write_b32 v39, v30 offset:1024
	ds_write_b32 v40, v35 offset:1024
	ds_write_b32 v41, v32 offset:1024
	ds_write_b32 v42, v27 offset:1024
	ds_write_b32 v43, v21 offset:1024
	s_waitcnt lgkmcnt(0)
	s_barrier
	ds_read2st64_b32 v[36:37], v6 offset0:16 offset1:32
	ds_read_b32 v0, v5 offset:1024
	s_addk_i32 s3, 0xf000
	s_cmpk_lg_i32 s3, 0xd000
	s_waitcnt lgkmcnt(1)
	v_lshrrev_b32_e32 v24, s20, v36
	v_and_b32_e32 v24, s21, v24
	v_lshlrev_b32_e32 v24, 2, v24
	v_xor_b32_e32 v29, 0x80000000, v36
	v_lshrrev_b32_e32 v34, s20, v37
	v_xor_b32_e32 v40, 0x80000000, v37
	ds_read_b32 v24, v24
	ds_read_b32 v36, v6 offset:12288
	s_waitcnt lgkmcnt(2)
	v_lshrrev_b32_e32 v37, s20, v0
	v_and_b32_e32 v34, s21, v34
	v_xor_b32_e32 v41, 0x80000000, v0
	v_and_b32_e32 v0, s21, v37
	v_lshlrev_b32_e32 v34, 2, v34
	v_lshlrev_b32_e32 v0, 2, v0
	ds_read_b32 v0, v0
	ds_read_b32 v34, v34
	s_waitcnt lgkmcnt(2)
	v_lshrrev_b32_e32 v37, s20, v36
	v_xor_b32_e32 v42, 0x80000000, v36
	v_and_b32_e32 v36, s21, v37
	v_lshlrev_b32_e32 v36, 2, v36
	s_waitcnt lgkmcnt(1)
	v_add_u32_e32 v0, v18, v0
	ds_read_b32 v43, v36
	v_lshlrev_b64 v[36:37], 2, v[0:1]
	v_add3_u32 v0, v18, v24, s2
	v_add_co_u32_e64 v36, s[0:1], s26, v36
	v_addc_co_u32_e64 v37, s[0:1], v14, v37, s[0:1]
	v_lshlrev_b64 v[38:39], 2, v[0:1]
	s_waitcnt lgkmcnt(1)
	v_add3_u32 v0, v18, v34, s4
	global_store_dword v[36:37], v41, off
	v_add_co_u32_e64 v36, s[0:1], s26, v38
	v_addc_co_u32_e64 v37, s[0:1], v14, v39, s[0:1]
	v_lshlrev_b64 v[38:39], 2, v[0:1]
	global_store_dword v[36:37], v29, off
	v_add_co_u32_e64 v36, s[0:1], s26, v38
	v_addc_co_u32_e64 v37, s[0:1], v14, v39, s[0:1]
	s_waitcnt lgkmcnt(0)
	v_add3_u32 v0, v18, v43, s5
	global_store_dword v[36:37], v40, off
	v_lshlrev_b64 v[36:37], 2, v[0:1]
	v_add_co_u32_e64 v36, s[0:1], s26, v36
	v_add_u32_e32 v18, 0x1000, v18
	v_addc_co_u32_e64 v37, s[0:1], v14, v37, s[0:1]
	global_store_dword v[36:37], v42, off
	s_barrier
	s_cbranch_scc1 .LBB1750_132
; %bb.133:
	s_add_i32 s22, s22, -1
	s_cmp_eq_u32 s22, s30
	s_cselect_b64 s[0:1], -1, 0
	s_and_b64 s[2:3], vcc, s[0:1]
                                        ; implicit-def: $vgpr3
	s_and_saveexec_b64 s[0:1], s[2:3]
; %bb.134:
	v_add_u32_e32 v3, v13, v17
	s_or_b64 s[10:11], s[10:11], exec
; %bb.135:
	s_or_b64 exec, exec, s[0:1]
.LBB1750_136:
	s_and_saveexec_b64 s[0:1], s[10:11]
	s_cbranch_execnz .LBB1750_138
; %bb.137:
	s_endpgm
.LBB1750_138:
	v_lshlrev_b32_e32 v0, 2, v2
	ds_read_b32 v1, v0
	s_waitcnt lgkmcnt(0)
	v_add_u32_e32 v1, v1, v3
	global_store_dword v0, v1, s[18:19]
	s_endpgm
	.section	.rodata,"a",@progbits
	.p2align	6, 0x0
	.amdhsa_kernel _ZN7rocprim17ROCPRIM_400000_NS6detail17trampoline_kernelINS0_14default_configENS1_35radix_sort_onesweep_config_selectorIiNS0_10empty_typeEEEZZNS1_29radix_sort_onesweep_iterationIS3_Lb0EN6thrust23THRUST_200600_302600_NS6detail15normal_iteratorINS9_10device_ptrIiEEEESE_PS5_SF_jNS0_19identity_decomposerENS1_16block_id_wrapperIjLb1EEEEE10hipError_tT1_PNSt15iterator_traitsISK_E10value_typeET2_T3_PNSL_ISQ_E10value_typeET4_T5_PSV_SW_PNS1_23onesweep_lookback_stateEbbT6_jjT7_P12ihipStream_tbENKUlT_T0_SK_SP_E_clISE_SE_SF_SF_EEDaS13_S14_SK_SP_EUlS13_E_NS1_11comp_targetILNS1_3genE4ELNS1_11target_archE910ELNS1_3gpuE8ELNS1_3repE0EEENS1_47radix_sort_onesweep_sort_config_static_selectorELNS0_4arch9wavefront6targetE1EEEvSK_
		.amdhsa_group_segment_fixed_size 20552
		.amdhsa_private_segment_fixed_size 0
		.amdhsa_kernarg_size 344
		.amdhsa_user_sgpr_count 6
		.amdhsa_user_sgpr_private_segment_buffer 1
		.amdhsa_user_sgpr_dispatch_ptr 0
		.amdhsa_user_sgpr_queue_ptr 0
		.amdhsa_user_sgpr_kernarg_segment_ptr 1
		.amdhsa_user_sgpr_dispatch_id 0
		.amdhsa_user_sgpr_flat_scratch_init 0
		.amdhsa_user_sgpr_kernarg_preload_length 0
		.amdhsa_user_sgpr_kernarg_preload_offset 0
		.amdhsa_user_sgpr_private_segment_size 0
		.amdhsa_uses_dynamic_stack 0
		.amdhsa_system_sgpr_private_segment_wavefront_offset 0
		.amdhsa_system_sgpr_workgroup_id_x 1
		.amdhsa_system_sgpr_workgroup_id_y 0
		.amdhsa_system_sgpr_workgroup_id_z 0
		.amdhsa_system_sgpr_workgroup_info 0
		.amdhsa_system_vgpr_workitem_id 2
		.amdhsa_next_free_vgpr 62
		.amdhsa_next_free_sgpr 35
		.amdhsa_accum_offset 64
		.amdhsa_reserve_vcc 1
		.amdhsa_reserve_flat_scratch 0
		.amdhsa_float_round_mode_32 0
		.amdhsa_float_round_mode_16_64 0
		.amdhsa_float_denorm_mode_32 3
		.amdhsa_float_denorm_mode_16_64 3
		.amdhsa_dx10_clamp 1
		.amdhsa_ieee_mode 1
		.amdhsa_fp16_overflow 0
		.amdhsa_tg_split 0
		.amdhsa_exception_fp_ieee_invalid_op 0
		.amdhsa_exception_fp_denorm_src 0
		.amdhsa_exception_fp_ieee_div_zero 0
		.amdhsa_exception_fp_ieee_overflow 0
		.amdhsa_exception_fp_ieee_underflow 0
		.amdhsa_exception_fp_ieee_inexact 0
		.amdhsa_exception_int_div_zero 0
	.end_amdhsa_kernel
	.section	.text._ZN7rocprim17ROCPRIM_400000_NS6detail17trampoline_kernelINS0_14default_configENS1_35radix_sort_onesweep_config_selectorIiNS0_10empty_typeEEEZZNS1_29radix_sort_onesweep_iterationIS3_Lb0EN6thrust23THRUST_200600_302600_NS6detail15normal_iteratorINS9_10device_ptrIiEEEESE_PS5_SF_jNS0_19identity_decomposerENS1_16block_id_wrapperIjLb1EEEEE10hipError_tT1_PNSt15iterator_traitsISK_E10value_typeET2_T3_PNSL_ISQ_E10value_typeET4_T5_PSV_SW_PNS1_23onesweep_lookback_stateEbbT6_jjT7_P12ihipStream_tbENKUlT_T0_SK_SP_E_clISE_SE_SF_SF_EEDaS13_S14_SK_SP_EUlS13_E_NS1_11comp_targetILNS1_3genE4ELNS1_11target_archE910ELNS1_3gpuE8ELNS1_3repE0EEENS1_47radix_sort_onesweep_sort_config_static_selectorELNS0_4arch9wavefront6targetE1EEEvSK_,"axG",@progbits,_ZN7rocprim17ROCPRIM_400000_NS6detail17trampoline_kernelINS0_14default_configENS1_35radix_sort_onesweep_config_selectorIiNS0_10empty_typeEEEZZNS1_29radix_sort_onesweep_iterationIS3_Lb0EN6thrust23THRUST_200600_302600_NS6detail15normal_iteratorINS9_10device_ptrIiEEEESE_PS5_SF_jNS0_19identity_decomposerENS1_16block_id_wrapperIjLb1EEEEE10hipError_tT1_PNSt15iterator_traitsISK_E10value_typeET2_T3_PNSL_ISQ_E10value_typeET4_T5_PSV_SW_PNS1_23onesweep_lookback_stateEbbT6_jjT7_P12ihipStream_tbENKUlT_T0_SK_SP_E_clISE_SE_SF_SF_EEDaS13_S14_SK_SP_EUlS13_E_NS1_11comp_targetILNS1_3genE4ELNS1_11target_archE910ELNS1_3gpuE8ELNS1_3repE0EEENS1_47radix_sort_onesweep_sort_config_static_selectorELNS0_4arch9wavefront6targetE1EEEvSK_,comdat
.Lfunc_end1750:
	.size	_ZN7rocprim17ROCPRIM_400000_NS6detail17trampoline_kernelINS0_14default_configENS1_35radix_sort_onesweep_config_selectorIiNS0_10empty_typeEEEZZNS1_29radix_sort_onesweep_iterationIS3_Lb0EN6thrust23THRUST_200600_302600_NS6detail15normal_iteratorINS9_10device_ptrIiEEEESE_PS5_SF_jNS0_19identity_decomposerENS1_16block_id_wrapperIjLb1EEEEE10hipError_tT1_PNSt15iterator_traitsISK_E10value_typeET2_T3_PNSL_ISQ_E10value_typeET4_T5_PSV_SW_PNS1_23onesweep_lookback_stateEbbT6_jjT7_P12ihipStream_tbENKUlT_T0_SK_SP_E_clISE_SE_SF_SF_EEDaS13_S14_SK_SP_EUlS13_E_NS1_11comp_targetILNS1_3genE4ELNS1_11target_archE910ELNS1_3gpuE8ELNS1_3repE0EEENS1_47radix_sort_onesweep_sort_config_static_selectorELNS0_4arch9wavefront6targetE1EEEvSK_, .Lfunc_end1750-_ZN7rocprim17ROCPRIM_400000_NS6detail17trampoline_kernelINS0_14default_configENS1_35radix_sort_onesweep_config_selectorIiNS0_10empty_typeEEEZZNS1_29radix_sort_onesweep_iterationIS3_Lb0EN6thrust23THRUST_200600_302600_NS6detail15normal_iteratorINS9_10device_ptrIiEEEESE_PS5_SF_jNS0_19identity_decomposerENS1_16block_id_wrapperIjLb1EEEEE10hipError_tT1_PNSt15iterator_traitsISK_E10value_typeET2_T3_PNSL_ISQ_E10value_typeET4_T5_PSV_SW_PNS1_23onesweep_lookback_stateEbbT6_jjT7_P12ihipStream_tbENKUlT_T0_SK_SP_E_clISE_SE_SF_SF_EEDaS13_S14_SK_SP_EUlS13_E_NS1_11comp_targetILNS1_3genE4ELNS1_11target_archE910ELNS1_3gpuE8ELNS1_3repE0EEENS1_47radix_sort_onesweep_sort_config_static_selectorELNS0_4arch9wavefront6targetE1EEEvSK_
                                        ; -- End function
	.section	.AMDGPU.csdata,"",@progbits
; Kernel info:
; codeLenInByte = 14296
; NumSgprs: 39
; NumVgprs: 62
; NumAgprs: 0
; TotalNumVgprs: 62
; ScratchSize: 0
; MemoryBound: 0
; FloatMode: 240
; IeeeMode: 1
; LDSByteSize: 20552 bytes/workgroup (compile time only)
; SGPRBlocks: 4
; VGPRBlocks: 7
; NumSGPRsForWavesPerEU: 39
; NumVGPRsForWavesPerEU: 62
; AccumOffset: 64
; Occupancy: 8
; WaveLimiterHint : 1
; COMPUTE_PGM_RSRC2:SCRATCH_EN: 0
; COMPUTE_PGM_RSRC2:USER_SGPR: 6
; COMPUTE_PGM_RSRC2:TRAP_HANDLER: 0
; COMPUTE_PGM_RSRC2:TGID_X_EN: 1
; COMPUTE_PGM_RSRC2:TGID_Y_EN: 0
; COMPUTE_PGM_RSRC2:TGID_Z_EN: 0
; COMPUTE_PGM_RSRC2:TIDIG_COMP_CNT: 2
; COMPUTE_PGM_RSRC3_GFX90A:ACCUM_OFFSET: 15
; COMPUTE_PGM_RSRC3_GFX90A:TG_SPLIT: 0
	.section	.text._ZN7rocprim17ROCPRIM_400000_NS6detail17trampoline_kernelINS0_14default_configENS1_35radix_sort_onesweep_config_selectorIiNS0_10empty_typeEEEZZNS1_29radix_sort_onesweep_iterationIS3_Lb0EN6thrust23THRUST_200600_302600_NS6detail15normal_iteratorINS9_10device_ptrIiEEEESE_PS5_SF_jNS0_19identity_decomposerENS1_16block_id_wrapperIjLb1EEEEE10hipError_tT1_PNSt15iterator_traitsISK_E10value_typeET2_T3_PNSL_ISQ_E10value_typeET4_T5_PSV_SW_PNS1_23onesweep_lookback_stateEbbT6_jjT7_P12ihipStream_tbENKUlT_T0_SK_SP_E_clISE_SE_SF_SF_EEDaS13_S14_SK_SP_EUlS13_E_NS1_11comp_targetILNS1_3genE3ELNS1_11target_archE908ELNS1_3gpuE7ELNS1_3repE0EEENS1_47radix_sort_onesweep_sort_config_static_selectorELNS0_4arch9wavefront6targetE1EEEvSK_,"axG",@progbits,_ZN7rocprim17ROCPRIM_400000_NS6detail17trampoline_kernelINS0_14default_configENS1_35radix_sort_onesweep_config_selectorIiNS0_10empty_typeEEEZZNS1_29radix_sort_onesweep_iterationIS3_Lb0EN6thrust23THRUST_200600_302600_NS6detail15normal_iteratorINS9_10device_ptrIiEEEESE_PS5_SF_jNS0_19identity_decomposerENS1_16block_id_wrapperIjLb1EEEEE10hipError_tT1_PNSt15iterator_traitsISK_E10value_typeET2_T3_PNSL_ISQ_E10value_typeET4_T5_PSV_SW_PNS1_23onesweep_lookback_stateEbbT6_jjT7_P12ihipStream_tbENKUlT_T0_SK_SP_E_clISE_SE_SF_SF_EEDaS13_S14_SK_SP_EUlS13_E_NS1_11comp_targetILNS1_3genE3ELNS1_11target_archE908ELNS1_3gpuE7ELNS1_3repE0EEENS1_47radix_sort_onesweep_sort_config_static_selectorELNS0_4arch9wavefront6targetE1EEEvSK_,comdat
	.protected	_ZN7rocprim17ROCPRIM_400000_NS6detail17trampoline_kernelINS0_14default_configENS1_35radix_sort_onesweep_config_selectorIiNS0_10empty_typeEEEZZNS1_29radix_sort_onesweep_iterationIS3_Lb0EN6thrust23THRUST_200600_302600_NS6detail15normal_iteratorINS9_10device_ptrIiEEEESE_PS5_SF_jNS0_19identity_decomposerENS1_16block_id_wrapperIjLb1EEEEE10hipError_tT1_PNSt15iterator_traitsISK_E10value_typeET2_T3_PNSL_ISQ_E10value_typeET4_T5_PSV_SW_PNS1_23onesweep_lookback_stateEbbT6_jjT7_P12ihipStream_tbENKUlT_T0_SK_SP_E_clISE_SE_SF_SF_EEDaS13_S14_SK_SP_EUlS13_E_NS1_11comp_targetILNS1_3genE3ELNS1_11target_archE908ELNS1_3gpuE7ELNS1_3repE0EEENS1_47radix_sort_onesweep_sort_config_static_selectorELNS0_4arch9wavefront6targetE1EEEvSK_ ; -- Begin function _ZN7rocprim17ROCPRIM_400000_NS6detail17trampoline_kernelINS0_14default_configENS1_35radix_sort_onesweep_config_selectorIiNS0_10empty_typeEEEZZNS1_29radix_sort_onesweep_iterationIS3_Lb0EN6thrust23THRUST_200600_302600_NS6detail15normal_iteratorINS9_10device_ptrIiEEEESE_PS5_SF_jNS0_19identity_decomposerENS1_16block_id_wrapperIjLb1EEEEE10hipError_tT1_PNSt15iterator_traitsISK_E10value_typeET2_T3_PNSL_ISQ_E10value_typeET4_T5_PSV_SW_PNS1_23onesweep_lookback_stateEbbT6_jjT7_P12ihipStream_tbENKUlT_T0_SK_SP_E_clISE_SE_SF_SF_EEDaS13_S14_SK_SP_EUlS13_E_NS1_11comp_targetILNS1_3genE3ELNS1_11target_archE908ELNS1_3gpuE7ELNS1_3repE0EEENS1_47radix_sort_onesweep_sort_config_static_selectorELNS0_4arch9wavefront6targetE1EEEvSK_
	.globl	_ZN7rocprim17ROCPRIM_400000_NS6detail17trampoline_kernelINS0_14default_configENS1_35radix_sort_onesweep_config_selectorIiNS0_10empty_typeEEEZZNS1_29radix_sort_onesweep_iterationIS3_Lb0EN6thrust23THRUST_200600_302600_NS6detail15normal_iteratorINS9_10device_ptrIiEEEESE_PS5_SF_jNS0_19identity_decomposerENS1_16block_id_wrapperIjLb1EEEEE10hipError_tT1_PNSt15iterator_traitsISK_E10value_typeET2_T3_PNSL_ISQ_E10value_typeET4_T5_PSV_SW_PNS1_23onesweep_lookback_stateEbbT6_jjT7_P12ihipStream_tbENKUlT_T0_SK_SP_E_clISE_SE_SF_SF_EEDaS13_S14_SK_SP_EUlS13_E_NS1_11comp_targetILNS1_3genE3ELNS1_11target_archE908ELNS1_3gpuE7ELNS1_3repE0EEENS1_47radix_sort_onesweep_sort_config_static_selectorELNS0_4arch9wavefront6targetE1EEEvSK_
	.p2align	8
	.type	_ZN7rocprim17ROCPRIM_400000_NS6detail17trampoline_kernelINS0_14default_configENS1_35radix_sort_onesweep_config_selectorIiNS0_10empty_typeEEEZZNS1_29radix_sort_onesweep_iterationIS3_Lb0EN6thrust23THRUST_200600_302600_NS6detail15normal_iteratorINS9_10device_ptrIiEEEESE_PS5_SF_jNS0_19identity_decomposerENS1_16block_id_wrapperIjLb1EEEEE10hipError_tT1_PNSt15iterator_traitsISK_E10value_typeET2_T3_PNSL_ISQ_E10value_typeET4_T5_PSV_SW_PNS1_23onesweep_lookback_stateEbbT6_jjT7_P12ihipStream_tbENKUlT_T0_SK_SP_E_clISE_SE_SF_SF_EEDaS13_S14_SK_SP_EUlS13_E_NS1_11comp_targetILNS1_3genE3ELNS1_11target_archE908ELNS1_3gpuE7ELNS1_3repE0EEENS1_47radix_sort_onesweep_sort_config_static_selectorELNS0_4arch9wavefront6targetE1EEEvSK_,@function
_ZN7rocprim17ROCPRIM_400000_NS6detail17trampoline_kernelINS0_14default_configENS1_35radix_sort_onesweep_config_selectorIiNS0_10empty_typeEEEZZNS1_29radix_sort_onesweep_iterationIS3_Lb0EN6thrust23THRUST_200600_302600_NS6detail15normal_iteratorINS9_10device_ptrIiEEEESE_PS5_SF_jNS0_19identity_decomposerENS1_16block_id_wrapperIjLb1EEEEE10hipError_tT1_PNSt15iterator_traitsISK_E10value_typeET2_T3_PNSL_ISQ_E10value_typeET4_T5_PSV_SW_PNS1_23onesweep_lookback_stateEbbT6_jjT7_P12ihipStream_tbENKUlT_T0_SK_SP_E_clISE_SE_SF_SF_EEDaS13_S14_SK_SP_EUlS13_E_NS1_11comp_targetILNS1_3genE3ELNS1_11target_archE908ELNS1_3gpuE7ELNS1_3repE0EEENS1_47radix_sort_onesweep_sort_config_static_selectorELNS0_4arch9wavefront6targetE1EEEvSK_: ; @_ZN7rocprim17ROCPRIM_400000_NS6detail17trampoline_kernelINS0_14default_configENS1_35radix_sort_onesweep_config_selectorIiNS0_10empty_typeEEEZZNS1_29radix_sort_onesweep_iterationIS3_Lb0EN6thrust23THRUST_200600_302600_NS6detail15normal_iteratorINS9_10device_ptrIiEEEESE_PS5_SF_jNS0_19identity_decomposerENS1_16block_id_wrapperIjLb1EEEEE10hipError_tT1_PNSt15iterator_traitsISK_E10value_typeET2_T3_PNSL_ISQ_E10value_typeET4_T5_PSV_SW_PNS1_23onesweep_lookback_stateEbbT6_jjT7_P12ihipStream_tbENKUlT_T0_SK_SP_E_clISE_SE_SF_SF_EEDaS13_S14_SK_SP_EUlS13_E_NS1_11comp_targetILNS1_3genE3ELNS1_11target_archE908ELNS1_3gpuE7ELNS1_3repE0EEENS1_47radix_sort_onesweep_sort_config_static_selectorELNS0_4arch9wavefront6targetE1EEEvSK_
; %bb.0:
	.section	.rodata,"a",@progbits
	.p2align	6, 0x0
	.amdhsa_kernel _ZN7rocprim17ROCPRIM_400000_NS6detail17trampoline_kernelINS0_14default_configENS1_35radix_sort_onesweep_config_selectorIiNS0_10empty_typeEEEZZNS1_29radix_sort_onesweep_iterationIS3_Lb0EN6thrust23THRUST_200600_302600_NS6detail15normal_iteratorINS9_10device_ptrIiEEEESE_PS5_SF_jNS0_19identity_decomposerENS1_16block_id_wrapperIjLb1EEEEE10hipError_tT1_PNSt15iterator_traitsISK_E10value_typeET2_T3_PNSL_ISQ_E10value_typeET4_T5_PSV_SW_PNS1_23onesweep_lookback_stateEbbT6_jjT7_P12ihipStream_tbENKUlT_T0_SK_SP_E_clISE_SE_SF_SF_EEDaS13_S14_SK_SP_EUlS13_E_NS1_11comp_targetILNS1_3genE3ELNS1_11target_archE908ELNS1_3gpuE7ELNS1_3repE0EEENS1_47radix_sort_onesweep_sort_config_static_selectorELNS0_4arch9wavefront6targetE1EEEvSK_
		.amdhsa_group_segment_fixed_size 0
		.amdhsa_private_segment_fixed_size 0
		.amdhsa_kernarg_size 88
		.amdhsa_user_sgpr_count 6
		.amdhsa_user_sgpr_private_segment_buffer 1
		.amdhsa_user_sgpr_dispatch_ptr 0
		.amdhsa_user_sgpr_queue_ptr 0
		.amdhsa_user_sgpr_kernarg_segment_ptr 1
		.amdhsa_user_sgpr_dispatch_id 0
		.amdhsa_user_sgpr_flat_scratch_init 0
		.amdhsa_user_sgpr_kernarg_preload_length 0
		.amdhsa_user_sgpr_kernarg_preload_offset 0
		.amdhsa_user_sgpr_private_segment_size 0
		.amdhsa_uses_dynamic_stack 0
		.amdhsa_system_sgpr_private_segment_wavefront_offset 0
		.amdhsa_system_sgpr_workgroup_id_x 1
		.amdhsa_system_sgpr_workgroup_id_y 0
		.amdhsa_system_sgpr_workgroup_id_z 0
		.amdhsa_system_sgpr_workgroup_info 0
		.amdhsa_system_vgpr_workitem_id 0
		.amdhsa_next_free_vgpr 1
		.amdhsa_next_free_sgpr 0
		.amdhsa_accum_offset 4
		.amdhsa_reserve_vcc 0
		.amdhsa_reserve_flat_scratch 0
		.amdhsa_float_round_mode_32 0
		.amdhsa_float_round_mode_16_64 0
		.amdhsa_float_denorm_mode_32 3
		.amdhsa_float_denorm_mode_16_64 3
		.amdhsa_dx10_clamp 1
		.amdhsa_ieee_mode 1
		.amdhsa_fp16_overflow 0
		.amdhsa_tg_split 0
		.amdhsa_exception_fp_ieee_invalid_op 0
		.amdhsa_exception_fp_denorm_src 0
		.amdhsa_exception_fp_ieee_div_zero 0
		.amdhsa_exception_fp_ieee_overflow 0
		.amdhsa_exception_fp_ieee_underflow 0
		.amdhsa_exception_fp_ieee_inexact 0
		.amdhsa_exception_int_div_zero 0
	.end_amdhsa_kernel
	.section	.text._ZN7rocprim17ROCPRIM_400000_NS6detail17trampoline_kernelINS0_14default_configENS1_35radix_sort_onesweep_config_selectorIiNS0_10empty_typeEEEZZNS1_29radix_sort_onesweep_iterationIS3_Lb0EN6thrust23THRUST_200600_302600_NS6detail15normal_iteratorINS9_10device_ptrIiEEEESE_PS5_SF_jNS0_19identity_decomposerENS1_16block_id_wrapperIjLb1EEEEE10hipError_tT1_PNSt15iterator_traitsISK_E10value_typeET2_T3_PNSL_ISQ_E10value_typeET4_T5_PSV_SW_PNS1_23onesweep_lookback_stateEbbT6_jjT7_P12ihipStream_tbENKUlT_T0_SK_SP_E_clISE_SE_SF_SF_EEDaS13_S14_SK_SP_EUlS13_E_NS1_11comp_targetILNS1_3genE3ELNS1_11target_archE908ELNS1_3gpuE7ELNS1_3repE0EEENS1_47radix_sort_onesweep_sort_config_static_selectorELNS0_4arch9wavefront6targetE1EEEvSK_,"axG",@progbits,_ZN7rocprim17ROCPRIM_400000_NS6detail17trampoline_kernelINS0_14default_configENS1_35radix_sort_onesweep_config_selectorIiNS0_10empty_typeEEEZZNS1_29radix_sort_onesweep_iterationIS3_Lb0EN6thrust23THRUST_200600_302600_NS6detail15normal_iteratorINS9_10device_ptrIiEEEESE_PS5_SF_jNS0_19identity_decomposerENS1_16block_id_wrapperIjLb1EEEEE10hipError_tT1_PNSt15iterator_traitsISK_E10value_typeET2_T3_PNSL_ISQ_E10value_typeET4_T5_PSV_SW_PNS1_23onesweep_lookback_stateEbbT6_jjT7_P12ihipStream_tbENKUlT_T0_SK_SP_E_clISE_SE_SF_SF_EEDaS13_S14_SK_SP_EUlS13_E_NS1_11comp_targetILNS1_3genE3ELNS1_11target_archE908ELNS1_3gpuE7ELNS1_3repE0EEENS1_47radix_sort_onesweep_sort_config_static_selectorELNS0_4arch9wavefront6targetE1EEEvSK_,comdat
.Lfunc_end1751:
	.size	_ZN7rocprim17ROCPRIM_400000_NS6detail17trampoline_kernelINS0_14default_configENS1_35radix_sort_onesweep_config_selectorIiNS0_10empty_typeEEEZZNS1_29radix_sort_onesweep_iterationIS3_Lb0EN6thrust23THRUST_200600_302600_NS6detail15normal_iteratorINS9_10device_ptrIiEEEESE_PS5_SF_jNS0_19identity_decomposerENS1_16block_id_wrapperIjLb1EEEEE10hipError_tT1_PNSt15iterator_traitsISK_E10value_typeET2_T3_PNSL_ISQ_E10value_typeET4_T5_PSV_SW_PNS1_23onesweep_lookback_stateEbbT6_jjT7_P12ihipStream_tbENKUlT_T0_SK_SP_E_clISE_SE_SF_SF_EEDaS13_S14_SK_SP_EUlS13_E_NS1_11comp_targetILNS1_3genE3ELNS1_11target_archE908ELNS1_3gpuE7ELNS1_3repE0EEENS1_47radix_sort_onesweep_sort_config_static_selectorELNS0_4arch9wavefront6targetE1EEEvSK_, .Lfunc_end1751-_ZN7rocprim17ROCPRIM_400000_NS6detail17trampoline_kernelINS0_14default_configENS1_35radix_sort_onesweep_config_selectorIiNS0_10empty_typeEEEZZNS1_29radix_sort_onesweep_iterationIS3_Lb0EN6thrust23THRUST_200600_302600_NS6detail15normal_iteratorINS9_10device_ptrIiEEEESE_PS5_SF_jNS0_19identity_decomposerENS1_16block_id_wrapperIjLb1EEEEE10hipError_tT1_PNSt15iterator_traitsISK_E10value_typeET2_T3_PNSL_ISQ_E10value_typeET4_T5_PSV_SW_PNS1_23onesweep_lookback_stateEbbT6_jjT7_P12ihipStream_tbENKUlT_T0_SK_SP_E_clISE_SE_SF_SF_EEDaS13_S14_SK_SP_EUlS13_E_NS1_11comp_targetILNS1_3genE3ELNS1_11target_archE908ELNS1_3gpuE7ELNS1_3repE0EEENS1_47radix_sort_onesweep_sort_config_static_selectorELNS0_4arch9wavefront6targetE1EEEvSK_
                                        ; -- End function
	.section	.AMDGPU.csdata,"",@progbits
; Kernel info:
; codeLenInByte = 0
; NumSgprs: 4
; NumVgprs: 0
; NumAgprs: 0
; TotalNumVgprs: 0
; ScratchSize: 0
; MemoryBound: 0
; FloatMode: 240
; IeeeMode: 1
; LDSByteSize: 0 bytes/workgroup (compile time only)
; SGPRBlocks: 0
; VGPRBlocks: 0
; NumSGPRsForWavesPerEU: 4
; NumVGPRsForWavesPerEU: 1
; AccumOffset: 4
; Occupancy: 8
; WaveLimiterHint : 0
; COMPUTE_PGM_RSRC2:SCRATCH_EN: 0
; COMPUTE_PGM_RSRC2:USER_SGPR: 6
; COMPUTE_PGM_RSRC2:TRAP_HANDLER: 0
; COMPUTE_PGM_RSRC2:TGID_X_EN: 1
; COMPUTE_PGM_RSRC2:TGID_Y_EN: 0
; COMPUTE_PGM_RSRC2:TGID_Z_EN: 0
; COMPUTE_PGM_RSRC2:TIDIG_COMP_CNT: 0
; COMPUTE_PGM_RSRC3_GFX90A:ACCUM_OFFSET: 0
; COMPUTE_PGM_RSRC3_GFX90A:TG_SPLIT: 0
	.section	.text._ZN7rocprim17ROCPRIM_400000_NS6detail17trampoline_kernelINS0_14default_configENS1_35radix_sort_onesweep_config_selectorIiNS0_10empty_typeEEEZZNS1_29radix_sort_onesweep_iterationIS3_Lb0EN6thrust23THRUST_200600_302600_NS6detail15normal_iteratorINS9_10device_ptrIiEEEESE_PS5_SF_jNS0_19identity_decomposerENS1_16block_id_wrapperIjLb1EEEEE10hipError_tT1_PNSt15iterator_traitsISK_E10value_typeET2_T3_PNSL_ISQ_E10value_typeET4_T5_PSV_SW_PNS1_23onesweep_lookback_stateEbbT6_jjT7_P12ihipStream_tbENKUlT_T0_SK_SP_E_clISE_SE_SF_SF_EEDaS13_S14_SK_SP_EUlS13_E_NS1_11comp_targetILNS1_3genE10ELNS1_11target_archE1201ELNS1_3gpuE5ELNS1_3repE0EEENS1_47radix_sort_onesweep_sort_config_static_selectorELNS0_4arch9wavefront6targetE1EEEvSK_,"axG",@progbits,_ZN7rocprim17ROCPRIM_400000_NS6detail17trampoline_kernelINS0_14default_configENS1_35radix_sort_onesweep_config_selectorIiNS0_10empty_typeEEEZZNS1_29radix_sort_onesweep_iterationIS3_Lb0EN6thrust23THRUST_200600_302600_NS6detail15normal_iteratorINS9_10device_ptrIiEEEESE_PS5_SF_jNS0_19identity_decomposerENS1_16block_id_wrapperIjLb1EEEEE10hipError_tT1_PNSt15iterator_traitsISK_E10value_typeET2_T3_PNSL_ISQ_E10value_typeET4_T5_PSV_SW_PNS1_23onesweep_lookback_stateEbbT6_jjT7_P12ihipStream_tbENKUlT_T0_SK_SP_E_clISE_SE_SF_SF_EEDaS13_S14_SK_SP_EUlS13_E_NS1_11comp_targetILNS1_3genE10ELNS1_11target_archE1201ELNS1_3gpuE5ELNS1_3repE0EEENS1_47radix_sort_onesweep_sort_config_static_selectorELNS0_4arch9wavefront6targetE1EEEvSK_,comdat
	.protected	_ZN7rocprim17ROCPRIM_400000_NS6detail17trampoline_kernelINS0_14default_configENS1_35radix_sort_onesweep_config_selectorIiNS0_10empty_typeEEEZZNS1_29radix_sort_onesweep_iterationIS3_Lb0EN6thrust23THRUST_200600_302600_NS6detail15normal_iteratorINS9_10device_ptrIiEEEESE_PS5_SF_jNS0_19identity_decomposerENS1_16block_id_wrapperIjLb1EEEEE10hipError_tT1_PNSt15iterator_traitsISK_E10value_typeET2_T3_PNSL_ISQ_E10value_typeET4_T5_PSV_SW_PNS1_23onesweep_lookback_stateEbbT6_jjT7_P12ihipStream_tbENKUlT_T0_SK_SP_E_clISE_SE_SF_SF_EEDaS13_S14_SK_SP_EUlS13_E_NS1_11comp_targetILNS1_3genE10ELNS1_11target_archE1201ELNS1_3gpuE5ELNS1_3repE0EEENS1_47radix_sort_onesweep_sort_config_static_selectorELNS0_4arch9wavefront6targetE1EEEvSK_ ; -- Begin function _ZN7rocprim17ROCPRIM_400000_NS6detail17trampoline_kernelINS0_14default_configENS1_35radix_sort_onesweep_config_selectorIiNS0_10empty_typeEEEZZNS1_29radix_sort_onesweep_iterationIS3_Lb0EN6thrust23THRUST_200600_302600_NS6detail15normal_iteratorINS9_10device_ptrIiEEEESE_PS5_SF_jNS0_19identity_decomposerENS1_16block_id_wrapperIjLb1EEEEE10hipError_tT1_PNSt15iterator_traitsISK_E10value_typeET2_T3_PNSL_ISQ_E10value_typeET4_T5_PSV_SW_PNS1_23onesweep_lookback_stateEbbT6_jjT7_P12ihipStream_tbENKUlT_T0_SK_SP_E_clISE_SE_SF_SF_EEDaS13_S14_SK_SP_EUlS13_E_NS1_11comp_targetILNS1_3genE10ELNS1_11target_archE1201ELNS1_3gpuE5ELNS1_3repE0EEENS1_47radix_sort_onesweep_sort_config_static_selectorELNS0_4arch9wavefront6targetE1EEEvSK_
	.globl	_ZN7rocprim17ROCPRIM_400000_NS6detail17trampoline_kernelINS0_14default_configENS1_35radix_sort_onesweep_config_selectorIiNS0_10empty_typeEEEZZNS1_29radix_sort_onesweep_iterationIS3_Lb0EN6thrust23THRUST_200600_302600_NS6detail15normal_iteratorINS9_10device_ptrIiEEEESE_PS5_SF_jNS0_19identity_decomposerENS1_16block_id_wrapperIjLb1EEEEE10hipError_tT1_PNSt15iterator_traitsISK_E10value_typeET2_T3_PNSL_ISQ_E10value_typeET4_T5_PSV_SW_PNS1_23onesweep_lookback_stateEbbT6_jjT7_P12ihipStream_tbENKUlT_T0_SK_SP_E_clISE_SE_SF_SF_EEDaS13_S14_SK_SP_EUlS13_E_NS1_11comp_targetILNS1_3genE10ELNS1_11target_archE1201ELNS1_3gpuE5ELNS1_3repE0EEENS1_47radix_sort_onesweep_sort_config_static_selectorELNS0_4arch9wavefront6targetE1EEEvSK_
	.p2align	8
	.type	_ZN7rocprim17ROCPRIM_400000_NS6detail17trampoline_kernelINS0_14default_configENS1_35radix_sort_onesweep_config_selectorIiNS0_10empty_typeEEEZZNS1_29radix_sort_onesweep_iterationIS3_Lb0EN6thrust23THRUST_200600_302600_NS6detail15normal_iteratorINS9_10device_ptrIiEEEESE_PS5_SF_jNS0_19identity_decomposerENS1_16block_id_wrapperIjLb1EEEEE10hipError_tT1_PNSt15iterator_traitsISK_E10value_typeET2_T3_PNSL_ISQ_E10value_typeET4_T5_PSV_SW_PNS1_23onesweep_lookback_stateEbbT6_jjT7_P12ihipStream_tbENKUlT_T0_SK_SP_E_clISE_SE_SF_SF_EEDaS13_S14_SK_SP_EUlS13_E_NS1_11comp_targetILNS1_3genE10ELNS1_11target_archE1201ELNS1_3gpuE5ELNS1_3repE0EEENS1_47radix_sort_onesweep_sort_config_static_selectorELNS0_4arch9wavefront6targetE1EEEvSK_,@function
_ZN7rocprim17ROCPRIM_400000_NS6detail17trampoline_kernelINS0_14default_configENS1_35radix_sort_onesweep_config_selectorIiNS0_10empty_typeEEEZZNS1_29radix_sort_onesweep_iterationIS3_Lb0EN6thrust23THRUST_200600_302600_NS6detail15normal_iteratorINS9_10device_ptrIiEEEESE_PS5_SF_jNS0_19identity_decomposerENS1_16block_id_wrapperIjLb1EEEEE10hipError_tT1_PNSt15iterator_traitsISK_E10value_typeET2_T3_PNSL_ISQ_E10value_typeET4_T5_PSV_SW_PNS1_23onesweep_lookback_stateEbbT6_jjT7_P12ihipStream_tbENKUlT_T0_SK_SP_E_clISE_SE_SF_SF_EEDaS13_S14_SK_SP_EUlS13_E_NS1_11comp_targetILNS1_3genE10ELNS1_11target_archE1201ELNS1_3gpuE5ELNS1_3repE0EEENS1_47radix_sort_onesweep_sort_config_static_selectorELNS0_4arch9wavefront6targetE1EEEvSK_: ; @_ZN7rocprim17ROCPRIM_400000_NS6detail17trampoline_kernelINS0_14default_configENS1_35radix_sort_onesweep_config_selectorIiNS0_10empty_typeEEEZZNS1_29radix_sort_onesweep_iterationIS3_Lb0EN6thrust23THRUST_200600_302600_NS6detail15normal_iteratorINS9_10device_ptrIiEEEESE_PS5_SF_jNS0_19identity_decomposerENS1_16block_id_wrapperIjLb1EEEEE10hipError_tT1_PNSt15iterator_traitsISK_E10value_typeET2_T3_PNSL_ISQ_E10value_typeET4_T5_PSV_SW_PNS1_23onesweep_lookback_stateEbbT6_jjT7_P12ihipStream_tbENKUlT_T0_SK_SP_E_clISE_SE_SF_SF_EEDaS13_S14_SK_SP_EUlS13_E_NS1_11comp_targetILNS1_3genE10ELNS1_11target_archE1201ELNS1_3gpuE5ELNS1_3repE0EEENS1_47radix_sort_onesweep_sort_config_static_selectorELNS0_4arch9wavefront6targetE1EEEvSK_
; %bb.0:
	.section	.rodata,"a",@progbits
	.p2align	6, 0x0
	.amdhsa_kernel _ZN7rocprim17ROCPRIM_400000_NS6detail17trampoline_kernelINS0_14default_configENS1_35radix_sort_onesweep_config_selectorIiNS0_10empty_typeEEEZZNS1_29radix_sort_onesweep_iterationIS3_Lb0EN6thrust23THRUST_200600_302600_NS6detail15normal_iteratorINS9_10device_ptrIiEEEESE_PS5_SF_jNS0_19identity_decomposerENS1_16block_id_wrapperIjLb1EEEEE10hipError_tT1_PNSt15iterator_traitsISK_E10value_typeET2_T3_PNSL_ISQ_E10value_typeET4_T5_PSV_SW_PNS1_23onesweep_lookback_stateEbbT6_jjT7_P12ihipStream_tbENKUlT_T0_SK_SP_E_clISE_SE_SF_SF_EEDaS13_S14_SK_SP_EUlS13_E_NS1_11comp_targetILNS1_3genE10ELNS1_11target_archE1201ELNS1_3gpuE5ELNS1_3repE0EEENS1_47radix_sort_onesweep_sort_config_static_selectorELNS0_4arch9wavefront6targetE1EEEvSK_
		.amdhsa_group_segment_fixed_size 0
		.amdhsa_private_segment_fixed_size 0
		.amdhsa_kernarg_size 88
		.amdhsa_user_sgpr_count 6
		.amdhsa_user_sgpr_private_segment_buffer 1
		.amdhsa_user_sgpr_dispatch_ptr 0
		.amdhsa_user_sgpr_queue_ptr 0
		.amdhsa_user_sgpr_kernarg_segment_ptr 1
		.amdhsa_user_sgpr_dispatch_id 0
		.amdhsa_user_sgpr_flat_scratch_init 0
		.amdhsa_user_sgpr_kernarg_preload_length 0
		.amdhsa_user_sgpr_kernarg_preload_offset 0
		.amdhsa_user_sgpr_private_segment_size 0
		.amdhsa_uses_dynamic_stack 0
		.amdhsa_system_sgpr_private_segment_wavefront_offset 0
		.amdhsa_system_sgpr_workgroup_id_x 1
		.amdhsa_system_sgpr_workgroup_id_y 0
		.amdhsa_system_sgpr_workgroup_id_z 0
		.amdhsa_system_sgpr_workgroup_info 0
		.amdhsa_system_vgpr_workitem_id 0
		.amdhsa_next_free_vgpr 1
		.amdhsa_next_free_sgpr 0
		.amdhsa_accum_offset 4
		.amdhsa_reserve_vcc 0
		.amdhsa_reserve_flat_scratch 0
		.amdhsa_float_round_mode_32 0
		.amdhsa_float_round_mode_16_64 0
		.amdhsa_float_denorm_mode_32 3
		.amdhsa_float_denorm_mode_16_64 3
		.amdhsa_dx10_clamp 1
		.amdhsa_ieee_mode 1
		.amdhsa_fp16_overflow 0
		.amdhsa_tg_split 0
		.amdhsa_exception_fp_ieee_invalid_op 0
		.amdhsa_exception_fp_denorm_src 0
		.amdhsa_exception_fp_ieee_div_zero 0
		.amdhsa_exception_fp_ieee_overflow 0
		.amdhsa_exception_fp_ieee_underflow 0
		.amdhsa_exception_fp_ieee_inexact 0
		.amdhsa_exception_int_div_zero 0
	.end_amdhsa_kernel
	.section	.text._ZN7rocprim17ROCPRIM_400000_NS6detail17trampoline_kernelINS0_14default_configENS1_35radix_sort_onesweep_config_selectorIiNS0_10empty_typeEEEZZNS1_29radix_sort_onesweep_iterationIS3_Lb0EN6thrust23THRUST_200600_302600_NS6detail15normal_iteratorINS9_10device_ptrIiEEEESE_PS5_SF_jNS0_19identity_decomposerENS1_16block_id_wrapperIjLb1EEEEE10hipError_tT1_PNSt15iterator_traitsISK_E10value_typeET2_T3_PNSL_ISQ_E10value_typeET4_T5_PSV_SW_PNS1_23onesweep_lookback_stateEbbT6_jjT7_P12ihipStream_tbENKUlT_T0_SK_SP_E_clISE_SE_SF_SF_EEDaS13_S14_SK_SP_EUlS13_E_NS1_11comp_targetILNS1_3genE10ELNS1_11target_archE1201ELNS1_3gpuE5ELNS1_3repE0EEENS1_47radix_sort_onesweep_sort_config_static_selectorELNS0_4arch9wavefront6targetE1EEEvSK_,"axG",@progbits,_ZN7rocprim17ROCPRIM_400000_NS6detail17trampoline_kernelINS0_14default_configENS1_35radix_sort_onesweep_config_selectorIiNS0_10empty_typeEEEZZNS1_29radix_sort_onesweep_iterationIS3_Lb0EN6thrust23THRUST_200600_302600_NS6detail15normal_iteratorINS9_10device_ptrIiEEEESE_PS5_SF_jNS0_19identity_decomposerENS1_16block_id_wrapperIjLb1EEEEE10hipError_tT1_PNSt15iterator_traitsISK_E10value_typeET2_T3_PNSL_ISQ_E10value_typeET4_T5_PSV_SW_PNS1_23onesweep_lookback_stateEbbT6_jjT7_P12ihipStream_tbENKUlT_T0_SK_SP_E_clISE_SE_SF_SF_EEDaS13_S14_SK_SP_EUlS13_E_NS1_11comp_targetILNS1_3genE10ELNS1_11target_archE1201ELNS1_3gpuE5ELNS1_3repE0EEENS1_47radix_sort_onesweep_sort_config_static_selectorELNS0_4arch9wavefront6targetE1EEEvSK_,comdat
.Lfunc_end1752:
	.size	_ZN7rocprim17ROCPRIM_400000_NS6detail17trampoline_kernelINS0_14default_configENS1_35radix_sort_onesweep_config_selectorIiNS0_10empty_typeEEEZZNS1_29radix_sort_onesweep_iterationIS3_Lb0EN6thrust23THRUST_200600_302600_NS6detail15normal_iteratorINS9_10device_ptrIiEEEESE_PS5_SF_jNS0_19identity_decomposerENS1_16block_id_wrapperIjLb1EEEEE10hipError_tT1_PNSt15iterator_traitsISK_E10value_typeET2_T3_PNSL_ISQ_E10value_typeET4_T5_PSV_SW_PNS1_23onesweep_lookback_stateEbbT6_jjT7_P12ihipStream_tbENKUlT_T0_SK_SP_E_clISE_SE_SF_SF_EEDaS13_S14_SK_SP_EUlS13_E_NS1_11comp_targetILNS1_3genE10ELNS1_11target_archE1201ELNS1_3gpuE5ELNS1_3repE0EEENS1_47radix_sort_onesweep_sort_config_static_selectorELNS0_4arch9wavefront6targetE1EEEvSK_, .Lfunc_end1752-_ZN7rocprim17ROCPRIM_400000_NS6detail17trampoline_kernelINS0_14default_configENS1_35radix_sort_onesweep_config_selectorIiNS0_10empty_typeEEEZZNS1_29radix_sort_onesweep_iterationIS3_Lb0EN6thrust23THRUST_200600_302600_NS6detail15normal_iteratorINS9_10device_ptrIiEEEESE_PS5_SF_jNS0_19identity_decomposerENS1_16block_id_wrapperIjLb1EEEEE10hipError_tT1_PNSt15iterator_traitsISK_E10value_typeET2_T3_PNSL_ISQ_E10value_typeET4_T5_PSV_SW_PNS1_23onesweep_lookback_stateEbbT6_jjT7_P12ihipStream_tbENKUlT_T0_SK_SP_E_clISE_SE_SF_SF_EEDaS13_S14_SK_SP_EUlS13_E_NS1_11comp_targetILNS1_3genE10ELNS1_11target_archE1201ELNS1_3gpuE5ELNS1_3repE0EEENS1_47radix_sort_onesweep_sort_config_static_selectorELNS0_4arch9wavefront6targetE1EEEvSK_
                                        ; -- End function
	.section	.AMDGPU.csdata,"",@progbits
; Kernel info:
; codeLenInByte = 0
; NumSgprs: 4
; NumVgprs: 0
; NumAgprs: 0
; TotalNumVgprs: 0
; ScratchSize: 0
; MemoryBound: 0
; FloatMode: 240
; IeeeMode: 1
; LDSByteSize: 0 bytes/workgroup (compile time only)
; SGPRBlocks: 0
; VGPRBlocks: 0
; NumSGPRsForWavesPerEU: 4
; NumVGPRsForWavesPerEU: 1
; AccumOffset: 4
; Occupancy: 8
; WaveLimiterHint : 0
; COMPUTE_PGM_RSRC2:SCRATCH_EN: 0
; COMPUTE_PGM_RSRC2:USER_SGPR: 6
; COMPUTE_PGM_RSRC2:TRAP_HANDLER: 0
; COMPUTE_PGM_RSRC2:TGID_X_EN: 1
; COMPUTE_PGM_RSRC2:TGID_Y_EN: 0
; COMPUTE_PGM_RSRC2:TGID_Z_EN: 0
; COMPUTE_PGM_RSRC2:TIDIG_COMP_CNT: 0
; COMPUTE_PGM_RSRC3_GFX90A:ACCUM_OFFSET: 0
; COMPUTE_PGM_RSRC3_GFX90A:TG_SPLIT: 0
	.section	.text._ZN7rocprim17ROCPRIM_400000_NS6detail17trampoline_kernelINS0_14default_configENS1_35radix_sort_onesweep_config_selectorIiNS0_10empty_typeEEEZZNS1_29radix_sort_onesweep_iterationIS3_Lb0EN6thrust23THRUST_200600_302600_NS6detail15normal_iteratorINS9_10device_ptrIiEEEESE_PS5_SF_jNS0_19identity_decomposerENS1_16block_id_wrapperIjLb1EEEEE10hipError_tT1_PNSt15iterator_traitsISK_E10value_typeET2_T3_PNSL_ISQ_E10value_typeET4_T5_PSV_SW_PNS1_23onesweep_lookback_stateEbbT6_jjT7_P12ihipStream_tbENKUlT_T0_SK_SP_E_clISE_SE_SF_SF_EEDaS13_S14_SK_SP_EUlS13_E_NS1_11comp_targetILNS1_3genE9ELNS1_11target_archE1100ELNS1_3gpuE3ELNS1_3repE0EEENS1_47radix_sort_onesweep_sort_config_static_selectorELNS0_4arch9wavefront6targetE1EEEvSK_,"axG",@progbits,_ZN7rocprim17ROCPRIM_400000_NS6detail17trampoline_kernelINS0_14default_configENS1_35radix_sort_onesweep_config_selectorIiNS0_10empty_typeEEEZZNS1_29radix_sort_onesweep_iterationIS3_Lb0EN6thrust23THRUST_200600_302600_NS6detail15normal_iteratorINS9_10device_ptrIiEEEESE_PS5_SF_jNS0_19identity_decomposerENS1_16block_id_wrapperIjLb1EEEEE10hipError_tT1_PNSt15iterator_traitsISK_E10value_typeET2_T3_PNSL_ISQ_E10value_typeET4_T5_PSV_SW_PNS1_23onesweep_lookback_stateEbbT6_jjT7_P12ihipStream_tbENKUlT_T0_SK_SP_E_clISE_SE_SF_SF_EEDaS13_S14_SK_SP_EUlS13_E_NS1_11comp_targetILNS1_3genE9ELNS1_11target_archE1100ELNS1_3gpuE3ELNS1_3repE0EEENS1_47radix_sort_onesweep_sort_config_static_selectorELNS0_4arch9wavefront6targetE1EEEvSK_,comdat
	.protected	_ZN7rocprim17ROCPRIM_400000_NS6detail17trampoline_kernelINS0_14default_configENS1_35radix_sort_onesweep_config_selectorIiNS0_10empty_typeEEEZZNS1_29radix_sort_onesweep_iterationIS3_Lb0EN6thrust23THRUST_200600_302600_NS6detail15normal_iteratorINS9_10device_ptrIiEEEESE_PS5_SF_jNS0_19identity_decomposerENS1_16block_id_wrapperIjLb1EEEEE10hipError_tT1_PNSt15iterator_traitsISK_E10value_typeET2_T3_PNSL_ISQ_E10value_typeET4_T5_PSV_SW_PNS1_23onesweep_lookback_stateEbbT6_jjT7_P12ihipStream_tbENKUlT_T0_SK_SP_E_clISE_SE_SF_SF_EEDaS13_S14_SK_SP_EUlS13_E_NS1_11comp_targetILNS1_3genE9ELNS1_11target_archE1100ELNS1_3gpuE3ELNS1_3repE0EEENS1_47radix_sort_onesweep_sort_config_static_selectorELNS0_4arch9wavefront6targetE1EEEvSK_ ; -- Begin function _ZN7rocprim17ROCPRIM_400000_NS6detail17trampoline_kernelINS0_14default_configENS1_35radix_sort_onesweep_config_selectorIiNS0_10empty_typeEEEZZNS1_29radix_sort_onesweep_iterationIS3_Lb0EN6thrust23THRUST_200600_302600_NS6detail15normal_iteratorINS9_10device_ptrIiEEEESE_PS5_SF_jNS0_19identity_decomposerENS1_16block_id_wrapperIjLb1EEEEE10hipError_tT1_PNSt15iterator_traitsISK_E10value_typeET2_T3_PNSL_ISQ_E10value_typeET4_T5_PSV_SW_PNS1_23onesweep_lookback_stateEbbT6_jjT7_P12ihipStream_tbENKUlT_T0_SK_SP_E_clISE_SE_SF_SF_EEDaS13_S14_SK_SP_EUlS13_E_NS1_11comp_targetILNS1_3genE9ELNS1_11target_archE1100ELNS1_3gpuE3ELNS1_3repE0EEENS1_47radix_sort_onesweep_sort_config_static_selectorELNS0_4arch9wavefront6targetE1EEEvSK_
	.globl	_ZN7rocprim17ROCPRIM_400000_NS6detail17trampoline_kernelINS0_14default_configENS1_35radix_sort_onesweep_config_selectorIiNS0_10empty_typeEEEZZNS1_29radix_sort_onesweep_iterationIS3_Lb0EN6thrust23THRUST_200600_302600_NS6detail15normal_iteratorINS9_10device_ptrIiEEEESE_PS5_SF_jNS0_19identity_decomposerENS1_16block_id_wrapperIjLb1EEEEE10hipError_tT1_PNSt15iterator_traitsISK_E10value_typeET2_T3_PNSL_ISQ_E10value_typeET4_T5_PSV_SW_PNS1_23onesweep_lookback_stateEbbT6_jjT7_P12ihipStream_tbENKUlT_T0_SK_SP_E_clISE_SE_SF_SF_EEDaS13_S14_SK_SP_EUlS13_E_NS1_11comp_targetILNS1_3genE9ELNS1_11target_archE1100ELNS1_3gpuE3ELNS1_3repE0EEENS1_47radix_sort_onesweep_sort_config_static_selectorELNS0_4arch9wavefront6targetE1EEEvSK_
	.p2align	8
	.type	_ZN7rocprim17ROCPRIM_400000_NS6detail17trampoline_kernelINS0_14default_configENS1_35radix_sort_onesweep_config_selectorIiNS0_10empty_typeEEEZZNS1_29radix_sort_onesweep_iterationIS3_Lb0EN6thrust23THRUST_200600_302600_NS6detail15normal_iteratorINS9_10device_ptrIiEEEESE_PS5_SF_jNS0_19identity_decomposerENS1_16block_id_wrapperIjLb1EEEEE10hipError_tT1_PNSt15iterator_traitsISK_E10value_typeET2_T3_PNSL_ISQ_E10value_typeET4_T5_PSV_SW_PNS1_23onesweep_lookback_stateEbbT6_jjT7_P12ihipStream_tbENKUlT_T0_SK_SP_E_clISE_SE_SF_SF_EEDaS13_S14_SK_SP_EUlS13_E_NS1_11comp_targetILNS1_3genE9ELNS1_11target_archE1100ELNS1_3gpuE3ELNS1_3repE0EEENS1_47radix_sort_onesweep_sort_config_static_selectorELNS0_4arch9wavefront6targetE1EEEvSK_,@function
_ZN7rocprim17ROCPRIM_400000_NS6detail17trampoline_kernelINS0_14default_configENS1_35radix_sort_onesweep_config_selectorIiNS0_10empty_typeEEEZZNS1_29radix_sort_onesweep_iterationIS3_Lb0EN6thrust23THRUST_200600_302600_NS6detail15normal_iteratorINS9_10device_ptrIiEEEESE_PS5_SF_jNS0_19identity_decomposerENS1_16block_id_wrapperIjLb1EEEEE10hipError_tT1_PNSt15iterator_traitsISK_E10value_typeET2_T3_PNSL_ISQ_E10value_typeET4_T5_PSV_SW_PNS1_23onesweep_lookback_stateEbbT6_jjT7_P12ihipStream_tbENKUlT_T0_SK_SP_E_clISE_SE_SF_SF_EEDaS13_S14_SK_SP_EUlS13_E_NS1_11comp_targetILNS1_3genE9ELNS1_11target_archE1100ELNS1_3gpuE3ELNS1_3repE0EEENS1_47radix_sort_onesweep_sort_config_static_selectorELNS0_4arch9wavefront6targetE1EEEvSK_: ; @_ZN7rocprim17ROCPRIM_400000_NS6detail17trampoline_kernelINS0_14default_configENS1_35radix_sort_onesweep_config_selectorIiNS0_10empty_typeEEEZZNS1_29radix_sort_onesweep_iterationIS3_Lb0EN6thrust23THRUST_200600_302600_NS6detail15normal_iteratorINS9_10device_ptrIiEEEESE_PS5_SF_jNS0_19identity_decomposerENS1_16block_id_wrapperIjLb1EEEEE10hipError_tT1_PNSt15iterator_traitsISK_E10value_typeET2_T3_PNSL_ISQ_E10value_typeET4_T5_PSV_SW_PNS1_23onesweep_lookback_stateEbbT6_jjT7_P12ihipStream_tbENKUlT_T0_SK_SP_E_clISE_SE_SF_SF_EEDaS13_S14_SK_SP_EUlS13_E_NS1_11comp_targetILNS1_3genE9ELNS1_11target_archE1100ELNS1_3gpuE3ELNS1_3repE0EEENS1_47radix_sort_onesweep_sort_config_static_selectorELNS0_4arch9wavefront6targetE1EEEvSK_
; %bb.0:
	.section	.rodata,"a",@progbits
	.p2align	6, 0x0
	.amdhsa_kernel _ZN7rocprim17ROCPRIM_400000_NS6detail17trampoline_kernelINS0_14default_configENS1_35radix_sort_onesweep_config_selectorIiNS0_10empty_typeEEEZZNS1_29radix_sort_onesweep_iterationIS3_Lb0EN6thrust23THRUST_200600_302600_NS6detail15normal_iteratorINS9_10device_ptrIiEEEESE_PS5_SF_jNS0_19identity_decomposerENS1_16block_id_wrapperIjLb1EEEEE10hipError_tT1_PNSt15iterator_traitsISK_E10value_typeET2_T3_PNSL_ISQ_E10value_typeET4_T5_PSV_SW_PNS1_23onesweep_lookback_stateEbbT6_jjT7_P12ihipStream_tbENKUlT_T0_SK_SP_E_clISE_SE_SF_SF_EEDaS13_S14_SK_SP_EUlS13_E_NS1_11comp_targetILNS1_3genE9ELNS1_11target_archE1100ELNS1_3gpuE3ELNS1_3repE0EEENS1_47radix_sort_onesweep_sort_config_static_selectorELNS0_4arch9wavefront6targetE1EEEvSK_
		.amdhsa_group_segment_fixed_size 0
		.amdhsa_private_segment_fixed_size 0
		.amdhsa_kernarg_size 88
		.amdhsa_user_sgpr_count 6
		.amdhsa_user_sgpr_private_segment_buffer 1
		.amdhsa_user_sgpr_dispatch_ptr 0
		.amdhsa_user_sgpr_queue_ptr 0
		.amdhsa_user_sgpr_kernarg_segment_ptr 1
		.amdhsa_user_sgpr_dispatch_id 0
		.amdhsa_user_sgpr_flat_scratch_init 0
		.amdhsa_user_sgpr_kernarg_preload_length 0
		.amdhsa_user_sgpr_kernarg_preload_offset 0
		.amdhsa_user_sgpr_private_segment_size 0
		.amdhsa_uses_dynamic_stack 0
		.amdhsa_system_sgpr_private_segment_wavefront_offset 0
		.amdhsa_system_sgpr_workgroup_id_x 1
		.amdhsa_system_sgpr_workgroup_id_y 0
		.amdhsa_system_sgpr_workgroup_id_z 0
		.amdhsa_system_sgpr_workgroup_info 0
		.amdhsa_system_vgpr_workitem_id 0
		.amdhsa_next_free_vgpr 1
		.amdhsa_next_free_sgpr 0
		.amdhsa_accum_offset 4
		.amdhsa_reserve_vcc 0
		.amdhsa_reserve_flat_scratch 0
		.amdhsa_float_round_mode_32 0
		.amdhsa_float_round_mode_16_64 0
		.amdhsa_float_denorm_mode_32 3
		.amdhsa_float_denorm_mode_16_64 3
		.amdhsa_dx10_clamp 1
		.amdhsa_ieee_mode 1
		.amdhsa_fp16_overflow 0
		.amdhsa_tg_split 0
		.amdhsa_exception_fp_ieee_invalid_op 0
		.amdhsa_exception_fp_denorm_src 0
		.amdhsa_exception_fp_ieee_div_zero 0
		.amdhsa_exception_fp_ieee_overflow 0
		.amdhsa_exception_fp_ieee_underflow 0
		.amdhsa_exception_fp_ieee_inexact 0
		.amdhsa_exception_int_div_zero 0
	.end_amdhsa_kernel
	.section	.text._ZN7rocprim17ROCPRIM_400000_NS6detail17trampoline_kernelINS0_14default_configENS1_35radix_sort_onesweep_config_selectorIiNS0_10empty_typeEEEZZNS1_29radix_sort_onesweep_iterationIS3_Lb0EN6thrust23THRUST_200600_302600_NS6detail15normal_iteratorINS9_10device_ptrIiEEEESE_PS5_SF_jNS0_19identity_decomposerENS1_16block_id_wrapperIjLb1EEEEE10hipError_tT1_PNSt15iterator_traitsISK_E10value_typeET2_T3_PNSL_ISQ_E10value_typeET4_T5_PSV_SW_PNS1_23onesweep_lookback_stateEbbT6_jjT7_P12ihipStream_tbENKUlT_T0_SK_SP_E_clISE_SE_SF_SF_EEDaS13_S14_SK_SP_EUlS13_E_NS1_11comp_targetILNS1_3genE9ELNS1_11target_archE1100ELNS1_3gpuE3ELNS1_3repE0EEENS1_47radix_sort_onesweep_sort_config_static_selectorELNS0_4arch9wavefront6targetE1EEEvSK_,"axG",@progbits,_ZN7rocprim17ROCPRIM_400000_NS6detail17trampoline_kernelINS0_14default_configENS1_35radix_sort_onesweep_config_selectorIiNS0_10empty_typeEEEZZNS1_29radix_sort_onesweep_iterationIS3_Lb0EN6thrust23THRUST_200600_302600_NS6detail15normal_iteratorINS9_10device_ptrIiEEEESE_PS5_SF_jNS0_19identity_decomposerENS1_16block_id_wrapperIjLb1EEEEE10hipError_tT1_PNSt15iterator_traitsISK_E10value_typeET2_T3_PNSL_ISQ_E10value_typeET4_T5_PSV_SW_PNS1_23onesweep_lookback_stateEbbT6_jjT7_P12ihipStream_tbENKUlT_T0_SK_SP_E_clISE_SE_SF_SF_EEDaS13_S14_SK_SP_EUlS13_E_NS1_11comp_targetILNS1_3genE9ELNS1_11target_archE1100ELNS1_3gpuE3ELNS1_3repE0EEENS1_47radix_sort_onesweep_sort_config_static_selectorELNS0_4arch9wavefront6targetE1EEEvSK_,comdat
.Lfunc_end1753:
	.size	_ZN7rocprim17ROCPRIM_400000_NS6detail17trampoline_kernelINS0_14default_configENS1_35radix_sort_onesweep_config_selectorIiNS0_10empty_typeEEEZZNS1_29radix_sort_onesweep_iterationIS3_Lb0EN6thrust23THRUST_200600_302600_NS6detail15normal_iteratorINS9_10device_ptrIiEEEESE_PS5_SF_jNS0_19identity_decomposerENS1_16block_id_wrapperIjLb1EEEEE10hipError_tT1_PNSt15iterator_traitsISK_E10value_typeET2_T3_PNSL_ISQ_E10value_typeET4_T5_PSV_SW_PNS1_23onesweep_lookback_stateEbbT6_jjT7_P12ihipStream_tbENKUlT_T0_SK_SP_E_clISE_SE_SF_SF_EEDaS13_S14_SK_SP_EUlS13_E_NS1_11comp_targetILNS1_3genE9ELNS1_11target_archE1100ELNS1_3gpuE3ELNS1_3repE0EEENS1_47radix_sort_onesweep_sort_config_static_selectorELNS0_4arch9wavefront6targetE1EEEvSK_, .Lfunc_end1753-_ZN7rocprim17ROCPRIM_400000_NS6detail17trampoline_kernelINS0_14default_configENS1_35radix_sort_onesweep_config_selectorIiNS0_10empty_typeEEEZZNS1_29radix_sort_onesweep_iterationIS3_Lb0EN6thrust23THRUST_200600_302600_NS6detail15normal_iteratorINS9_10device_ptrIiEEEESE_PS5_SF_jNS0_19identity_decomposerENS1_16block_id_wrapperIjLb1EEEEE10hipError_tT1_PNSt15iterator_traitsISK_E10value_typeET2_T3_PNSL_ISQ_E10value_typeET4_T5_PSV_SW_PNS1_23onesweep_lookback_stateEbbT6_jjT7_P12ihipStream_tbENKUlT_T0_SK_SP_E_clISE_SE_SF_SF_EEDaS13_S14_SK_SP_EUlS13_E_NS1_11comp_targetILNS1_3genE9ELNS1_11target_archE1100ELNS1_3gpuE3ELNS1_3repE0EEENS1_47radix_sort_onesweep_sort_config_static_selectorELNS0_4arch9wavefront6targetE1EEEvSK_
                                        ; -- End function
	.section	.AMDGPU.csdata,"",@progbits
; Kernel info:
; codeLenInByte = 0
; NumSgprs: 4
; NumVgprs: 0
; NumAgprs: 0
; TotalNumVgprs: 0
; ScratchSize: 0
; MemoryBound: 0
; FloatMode: 240
; IeeeMode: 1
; LDSByteSize: 0 bytes/workgroup (compile time only)
; SGPRBlocks: 0
; VGPRBlocks: 0
; NumSGPRsForWavesPerEU: 4
; NumVGPRsForWavesPerEU: 1
; AccumOffset: 4
; Occupancy: 8
; WaveLimiterHint : 0
; COMPUTE_PGM_RSRC2:SCRATCH_EN: 0
; COMPUTE_PGM_RSRC2:USER_SGPR: 6
; COMPUTE_PGM_RSRC2:TRAP_HANDLER: 0
; COMPUTE_PGM_RSRC2:TGID_X_EN: 1
; COMPUTE_PGM_RSRC2:TGID_Y_EN: 0
; COMPUTE_PGM_RSRC2:TGID_Z_EN: 0
; COMPUTE_PGM_RSRC2:TIDIG_COMP_CNT: 0
; COMPUTE_PGM_RSRC3_GFX90A:ACCUM_OFFSET: 0
; COMPUTE_PGM_RSRC3_GFX90A:TG_SPLIT: 0
	.section	.text._ZN7rocprim17ROCPRIM_400000_NS6detail17trampoline_kernelINS0_14default_configENS1_35radix_sort_onesweep_config_selectorIiNS0_10empty_typeEEEZZNS1_29radix_sort_onesweep_iterationIS3_Lb0EN6thrust23THRUST_200600_302600_NS6detail15normal_iteratorINS9_10device_ptrIiEEEESE_PS5_SF_jNS0_19identity_decomposerENS1_16block_id_wrapperIjLb1EEEEE10hipError_tT1_PNSt15iterator_traitsISK_E10value_typeET2_T3_PNSL_ISQ_E10value_typeET4_T5_PSV_SW_PNS1_23onesweep_lookback_stateEbbT6_jjT7_P12ihipStream_tbENKUlT_T0_SK_SP_E_clISE_SE_SF_SF_EEDaS13_S14_SK_SP_EUlS13_E_NS1_11comp_targetILNS1_3genE8ELNS1_11target_archE1030ELNS1_3gpuE2ELNS1_3repE0EEENS1_47radix_sort_onesweep_sort_config_static_selectorELNS0_4arch9wavefront6targetE1EEEvSK_,"axG",@progbits,_ZN7rocprim17ROCPRIM_400000_NS6detail17trampoline_kernelINS0_14default_configENS1_35radix_sort_onesweep_config_selectorIiNS0_10empty_typeEEEZZNS1_29radix_sort_onesweep_iterationIS3_Lb0EN6thrust23THRUST_200600_302600_NS6detail15normal_iteratorINS9_10device_ptrIiEEEESE_PS5_SF_jNS0_19identity_decomposerENS1_16block_id_wrapperIjLb1EEEEE10hipError_tT1_PNSt15iterator_traitsISK_E10value_typeET2_T3_PNSL_ISQ_E10value_typeET4_T5_PSV_SW_PNS1_23onesweep_lookback_stateEbbT6_jjT7_P12ihipStream_tbENKUlT_T0_SK_SP_E_clISE_SE_SF_SF_EEDaS13_S14_SK_SP_EUlS13_E_NS1_11comp_targetILNS1_3genE8ELNS1_11target_archE1030ELNS1_3gpuE2ELNS1_3repE0EEENS1_47radix_sort_onesweep_sort_config_static_selectorELNS0_4arch9wavefront6targetE1EEEvSK_,comdat
	.protected	_ZN7rocprim17ROCPRIM_400000_NS6detail17trampoline_kernelINS0_14default_configENS1_35radix_sort_onesweep_config_selectorIiNS0_10empty_typeEEEZZNS1_29radix_sort_onesweep_iterationIS3_Lb0EN6thrust23THRUST_200600_302600_NS6detail15normal_iteratorINS9_10device_ptrIiEEEESE_PS5_SF_jNS0_19identity_decomposerENS1_16block_id_wrapperIjLb1EEEEE10hipError_tT1_PNSt15iterator_traitsISK_E10value_typeET2_T3_PNSL_ISQ_E10value_typeET4_T5_PSV_SW_PNS1_23onesweep_lookback_stateEbbT6_jjT7_P12ihipStream_tbENKUlT_T0_SK_SP_E_clISE_SE_SF_SF_EEDaS13_S14_SK_SP_EUlS13_E_NS1_11comp_targetILNS1_3genE8ELNS1_11target_archE1030ELNS1_3gpuE2ELNS1_3repE0EEENS1_47radix_sort_onesweep_sort_config_static_selectorELNS0_4arch9wavefront6targetE1EEEvSK_ ; -- Begin function _ZN7rocprim17ROCPRIM_400000_NS6detail17trampoline_kernelINS0_14default_configENS1_35radix_sort_onesweep_config_selectorIiNS0_10empty_typeEEEZZNS1_29radix_sort_onesweep_iterationIS3_Lb0EN6thrust23THRUST_200600_302600_NS6detail15normal_iteratorINS9_10device_ptrIiEEEESE_PS5_SF_jNS0_19identity_decomposerENS1_16block_id_wrapperIjLb1EEEEE10hipError_tT1_PNSt15iterator_traitsISK_E10value_typeET2_T3_PNSL_ISQ_E10value_typeET4_T5_PSV_SW_PNS1_23onesweep_lookback_stateEbbT6_jjT7_P12ihipStream_tbENKUlT_T0_SK_SP_E_clISE_SE_SF_SF_EEDaS13_S14_SK_SP_EUlS13_E_NS1_11comp_targetILNS1_3genE8ELNS1_11target_archE1030ELNS1_3gpuE2ELNS1_3repE0EEENS1_47radix_sort_onesweep_sort_config_static_selectorELNS0_4arch9wavefront6targetE1EEEvSK_
	.globl	_ZN7rocprim17ROCPRIM_400000_NS6detail17trampoline_kernelINS0_14default_configENS1_35radix_sort_onesweep_config_selectorIiNS0_10empty_typeEEEZZNS1_29radix_sort_onesweep_iterationIS3_Lb0EN6thrust23THRUST_200600_302600_NS6detail15normal_iteratorINS9_10device_ptrIiEEEESE_PS5_SF_jNS0_19identity_decomposerENS1_16block_id_wrapperIjLb1EEEEE10hipError_tT1_PNSt15iterator_traitsISK_E10value_typeET2_T3_PNSL_ISQ_E10value_typeET4_T5_PSV_SW_PNS1_23onesweep_lookback_stateEbbT6_jjT7_P12ihipStream_tbENKUlT_T0_SK_SP_E_clISE_SE_SF_SF_EEDaS13_S14_SK_SP_EUlS13_E_NS1_11comp_targetILNS1_3genE8ELNS1_11target_archE1030ELNS1_3gpuE2ELNS1_3repE0EEENS1_47radix_sort_onesweep_sort_config_static_selectorELNS0_4arch9wavefront6targetE1EEEvSK_
	.p2align	8
	.type	_ZN7rocprim17ROCPRIM_400000_NS6detail17trampoline_kernelINS0_14default_configENS1_35radix_sort_onesweep_config_selectorIiNS0_10empty_typeEEEZZNS1_29radix_sort_onesweep_iterationIS3_Lb0EN6thrust23THRUST_200600_302600_NS6detail15normal_iteratorINS9_10device_ptrIiEEEESE_PS5_SF_jNS0_19identity_decomposerENS1_16block_id_wrapperIjLb1EEEEE10hipError_tT1_PNSt15iterator_traitsISK_E10value_typeET2_T3_PNSL_ISQ_E10value_typeET4_T5_PSV_SW_PNS1_23onesweep_lookback_stateEbbT6_jjT7_P12ihipStream_tbENKUlT_T0_SK_SP_E_clISE_SE_SF_SF_EEDaS13_S14_SK_SP_EUlS13_E_NS1_11comp_targetILNS1_3genE8ELNS1_11target_archE1030ELNS1_3gpuE2ELNS1_3repE0EEENS1_47radix_sort_onesweep_sort_config_static_selectorELNS0_4arch9wavefront6targetE1EEEvSK_,@function
_ZN7rocprim17ROCPRIM_400000_NS6detail17trampoline_kernelINS0_14default_configENS1_35radix_sort_onesweep_config_selectorIiNS0_10empty_typeEEEZZNS1_29radix_sort_onesweep_iterationIS3_Lb0EN6thrust23THRUST_200600_302600_NS6detail15normal_iteratorINS9_10device_ptrIiEEEESE_PS5_SF_jNS0_19identity_decomposerENS1_16block_id_wrapperIjLb1EEEEE10hipError_tT1_PNSt15iterator_traitsISK_E10value_typeET2_T3_PNSL_ISQ_E10value_typeET4_T5_PSV_SW_PNS1_23onesweep_lookback_stateEbbT6_jjT7_P12ihipStream_tbENKUlT_T0_SK_SP_E_clISE_SE_SF_SF_EEDaS13_S14_SK_SP_EUlS13_E_NS1_11comp_targetILNS1_3genE8ELNS1_11target_archE1030ELNS1_3gpuE2ELNS1_3repE0EEENS1_47radix_sort_onesweep_sort_config_static_selectorELNS0_4arch9wavefront6targetE1EEEvSK_: ; @_ZN7rocprim17ROCPRIM_400000_NS6detail17trampoline_kernelINS0_14default_configENS1_35radix_sort_onesweep_config_selectorIiNS0_10empty_typeEEEZZNS1_29radix_sort_onesweep_iterationIS3_Lb0EN6thrust23THRUST_200600_302600_NS6detail15normal_iteratorINS9_10device_ptrIiEEEESE_PS5_SF_jNS0_19identity_decomposerENS1_16block_id_wrapperIjLb1EEEEE10hipError_tT1_PNSt15iterator_traitsISK_E10value_typeET2_T3_PNSL_ISQ_E10value_typeET4_T5_PSV_SW_PNS1_23onesweep_lookback_stateEbbT6_jjT7_P12ihipStream_tbENKUlT_T0_SK_SP_E_clISE_SE_SF_SF_EEDaS13_S14_SK_SP_EUlS13_E_NS1_11comp_targetILNS1_3genE8ELNS1_11target_archE1030ELNS1_3gpuE2ELNS1_3repE0EEENS1_47radix_sort_onesweep_sort_config_static_selectorELNS0_4arch9wavefront6targetE1EEEvSK_
; %bb.0:
	.section	.rodata,"a",@progbits
	.p2align	6, 0x0
	.amdhsa_kernel _ZN7rocprim17ROCPRIM_400000_NS6detail17trampoline_kernelINS0_14default_configENS1_35radix_sort_onesweep_config_selectorIiNS0_10empty_typeEEEZZNS1_29radix_sort_onesweep_iterationIS3_Lb0EN6thrust23THRUST_200600_302600_NS6detail15normal_iteratorINS9_10device_ptrIiEEEESE_PS5_SF_jNS0_19identity_decomposerENS1_16block_id_wrapperIjLb1EEEEE10hipError_tT1_PNSt15iterator_traitsISK_E10value_typeET2_T3_PNSL_ISQ_E10value_typeET4_T5_PSV_SW_PNS1_23onesweep_lookback_stateEbbT6_jjT7_P12ihipStream_tbENKUlT_T0_SK_SP_E_clISE_SE_SF_SF_EEDaS13_S14_SK_SP_EUlS13_E_NS1_11comp_targetILNS1_3genE8ELNS1_11target_archE1030ELNS1_3gpuE2ELNS1_3repE0EEENS1_47radix_sort_onesweep_sort_config_static_selectorELNS0_4arch9wavefront6targetE1EEEvSK_
		.amdhsa_group_segment_fixed_size 0
		.amdhsa_private_segment_fixed_size 0
		.amdhsa_kernarg_size 88
		.amdhsa_user_sgpr_count 6
		.amdhsa_user_sgpr_private_segment_buffer 1
		.amdhsa_user_sgpr_dispatch_ptr 0
		.amdhsa_user_sgpr_queue_ptr 0
		.amdhsa_user_sgpr_kernarg_segment_ptr 1
		.amdhsa_user_sgpr_dispatch_id 0
		.amdhsa_user_sgpr_flat_scratch_init 0
		.amdhsa_user_sgpr_kernarg_preload_length 0
		.amdhsa_user_sgpr_kernarg_preload_offset 0
		.amdhsa_user_sgpr_private_segment_size 0
		.amdhsa_uses_dynamic_stack 0
		.amdhsa_system_sgpr_private_segment_wavefront_offset 0
		.amdhsa_system_sgpr_workgroup_id_x 1
		.amdhsa_system_sgpr_workgroup_id_y 0
		.amdhsa_system_sgpr_workgroup_id_z 0
		.amdhsa_system_sgpr_workgroup_info 0
		.amdhsa_system_vgpr_workitem_id 0
		.amdhsa_next_free_vgpr 1
		.amdhsa_next_free_sgpr 0
		.amdhsa_accum_offset 4
		.amdhsa_reserve_vcc 0
		.amdhsa_reserve_flat_scratch 0
		.amdhsa_float_round_mode_32 0
		.amdhsa_float_round_mode_16_64 0
		.amdhsa_float_denorm_mode_32 3
		.amdhsa_float_denorm_mode_16_64 3
		.amdhsa_dx10_clamp 1
		.amdhsa_ieee_mode 1
		.amdhsa_fp16_overflow 0
		.amdhsa_tg_split 0
		.amdhsa_exception_fp_ieee_invalid_op 0
		.amdhsa_exception_fp_denorm_src 0
		.amdhsa_exception_fp_ieee_div_zero 0
		.amdhsa_exception_fp_ieee_overflow 0
		.amdhsa_exception_fp_ieee_underflow 0
		.amdhsa_exception_fp_ieee_inexact 0
		.amdhsa_exception_int_div_zero 0
	.end_amdhsa_kernel
	.section	.text._ZN7rocprim17ROCPRIM_400000_NS6detail17trampoline_kernelINS0_14default_configENS1_35radix_sort_onesweep_config_selectorIiNS0_10empty_typeEEEZZNS1_29radix_sort_onesweep_iterationIS3_Lb0EN6thrust23THRUST_200600_302600_NS6detail15normal_iteratorINS9_10device_ptrIiEEEESE_PS5_SF_jNS0_19identity_decomposerENS1_16block_id_wrapperIjLb1EEEEE10hipError_tT1_PNSt15iterator_traitsISK_E10value_typeET2_T3_PNSL_ISQ_E10value_typeET4_T5_PSV_SW_PNS1_23onesweep_lookback_stateEbbT6_jjT7_P12ihipStream_tbENKUlT_T0_SK_SP_E_clISE_SE_SF_SF_EEDaS13_S14_SK_SP_EUlS13_E_NS1_11comp_targetILNS1_3genE8ELNS1_11target_archE1030ELNS1_3gpuE2ELNS1_3repE0EEENS1_47radix_sort_onesweep_sort_config_static_selectorELNS0_4arch9wavefront6targetE1EEEvSK_,"axG",@progbits,_ZN7rocprim17ROCPRIM_400000_NS6detail17trampoline_kernelINS0_14default_configENS1_35radix_sort_onesweep_config_selectorIiNS0_10empty_typeEEEZZNS1_29radix_sort_onesweep_iterationIS3_Lb0EN6thrust23THRUST_200600_302600_NS6detail15normal_iteratorINS9_10device_ptrIiEEEESE_PS5_SF_jNS0_19identity_decomposerENS1_16block_id_wrapperIjLb1EEEEE10hipError_tT1_PNSt15iterator_traitsISK_E10value_typeET2_T3_PNSL_ISQ_E10value_typeET4_T5_PSV_SW_PNS1_23onesweep_lookback_stateEbbT6_jjT7_P12ihipStream_tbENKUlT_T0_SK_SP_E_clISE_SE_SF_SF_EEDaS13_S14_SK_SP_EUlS13_E_NS1_11comp_targetILNS1_3genE8ELNS1_11target_archE1030ELNS1_3gpuE2ELNS1_3repE0EEENS1_47radix_sort_onesweep_sort_config_static_selectorELNS0_4arch9wavefront6targetE1EEEvSK_,comdat
.Lfunc_end1754:
	.size	_ZN7rocprim17ROCPRIM_400000_NS6detail17trampoline_kernelINS0_14default_configENS1_35radix_sort_onesweep_config_selectorIiNS0_10empty_typeEEEZZNS1_29radix_sort_onesweep_iterationIS3_Lb0EN6thrust23THRUST_200600_302600_NS6detail15normal_iteratorINS9_10device_ptrIiEEEESE_PS5_SF_jNS0_19identity_decomposerENS1_16block_id_wrapperIjLb1EEEEE10hipError_tT1_PNSt15iterator_traitsISK_E10value_typeET2_T3_PNSL_ISQ_E10value_typeET4_T5_PSV_SW_PNS1_23onesweep_lookback_stateEbbT6_jjT7_P12ihipStream_tbENKUlT_T0_SK_SP_E_clISE_SE_SF_SF_EEDaS13_S14_SK_SP_EUlS13_E_NS1_11comp_targetILNS1_3genE8ELNS1_11target_archE1030ELNS1_3gpuE2ELNS1_3repE0EEENS1_47radix_sort_onesweep_sort_config_static_selectorELNS0_4arch9wavefront6targetE1EEEvSK_, .Lfunc_end1754-_ZN7rocprim17ROCPRIM_400000_NS6detail17trampoline_kernelINS0_14default_configENS1_35radix_sort_onesweep_config_selectorIiNS0_10empty_typeEEEZZNS1_29radix_sort_onesweep_iterationIS3_Lb0EN6thrust23THRUST_200600_302600_NS6detail15normal_iteratorINS9_10device_ptrIiEEEESE_PS5_SF_jNS0_19identity_decomposerENS1_16block_id_wrapperIjLb1EEEEE10hipError_tT1_PNSt15iterator_traitsISK_E10value_typeET2_T3_PNSL_ISQ_E10value_typeET4_T5_PSV_SW_PNS1_23onesweep_lookback_stateEbbT6_jjT7_P12ihipStream_tbENKUlT_T0_SK_SP_E_clISE_SE_SF_SF_EEDaS13_S14_SK_SP_EUlS13_E_NS1_11comp_targetILNS1_3genE8ELNS1_11target_archE1030ELNS1_3gpuE2ELNS1_3repE0EEENS1_47radix_sort_onesweep_sort_config_static_selectorELNS0_4arch9wavefront6targetE1EEEvSK_
                                        ; -- End function
	.section	.AMDGPU.csdata,"",@progbits
; Kernel info:
; codeLenInByte = 0
; NumSgprs: 4
; NumVgprs: 0
; NumAgprs: 0
; TotalNumVgprs: 0
; ScratchSize: 0
; MemoryBound: 0
; FloatMode: 240
; IeeeMode: 1
; LDSByteSize: 0 bytes/workgroup (compile time only)
; SGPRBlocks: 0
; VGPRBlocks: 0
; NumSGPRsForWavesPerEU: 4
; NumVGPRsForWavesPerEU: 1
; AccumOffset: 4
; Occupancy: 8
; WaveLimiterHint : 0
; COMPUTE_PGM_RSRC2:SCRATCH_EN: 0
; COMPUTE_PGM_RSRC2:USER_SGPR: 6
; COMPUTE_PGM_RSRC2:TRAP_HANDLER: 0
; COMPUTE_PGM_RSRC2:TGID_X_EN: 1
; COMPUTE_PGM_RSRC2:TGID_Y_EN: 0
; COMPUTE_PGM_RSRC2:TGID_Z_EN: 0
; COMPUTE_PGM_RSRC2:TIDIG_COMP_CNT: 0
; COMPUTE_PGM_RSRC3_GFX90A:ACCUM_OFFSET: 0
; COMPUTE_PGM_RSRC3_GFX90A:TG_SPLIT: 0
	.section	.text._ZN7rocprim17ROCPRIM_400000_NS6detail17trampoline_kernelINS0_14default_configENS1_35radix_sort_onesweep_config_selectorIiNS0_10empty_typeEEEZZNS1_29radix_sort_onesweep_iterationIS3_Lb0EN6thrust23THRUST_200600_302600_NS6detail15normal_iteratorINS9_10device_ptrIiEEEESE_PS5_SF_jNS0_19identity_decomposerENS1_16block_id_wrapperIjLb1EEEEE10hipError_tT1_PNSt15iterator_traitsISK_E10value_typeET2_T3_PNSL_ISQ_E10value_typeET4_T5_PSV_SW_PNS1_23onesweep_lookback_stateEbbT6_jjT7_P12ihipStream_tbENKUlT_T0_SK_SP_E_clISE_PiSF_SF_EEDaS13_S14_SK_SP_EUlS13_E_NS1_11comp_targetILNS1_3genE0ELNS1_11target_archE4294967295ELNS1_3gpuE0ELNS1_3repE0EEENS1_47radix_sort_onesweep_sort_config_static_selectorELNS0_4arch9wavefront6targetE1EEEvSK_,"axG",@progbits,_ZN7rocprim17ROCPRIM_400000_NS6detail17trampoline_kernelINS0_14default_configENS1_35radix_sort_onesweep_config_selectorIiNS0_10empty_typeEEEZZNS1_29radix_sort_onesweep_iterationIS3_Lb0EN6thrust23THRUST_200600_302600_NS6detail15normal_iteratorINS9_10device_ptrIiEEEESE_PS5_SF_jNS0_19identity_decomposerENS1_16block_id_wrapperIjLb1EEEEE10hipError_tT1_PNSt15iterator_traitsISK_E10value_typeET2_T3_PNSL_ISQ_E10value_typeET4_T5_PSV_SW_PNS1_23onesweep_lookback_stateEbbT6_jjT7_P12ihipStream_tbENKUlT_T0_SK_SP_E_clISE_PiSF_SF_EEDaS13_S14_SK_SP_EUlS13_E_NS1_11comp_targetILNS1_3genE0ELNS1_11target_archE4294967295ELNS1_3gpuE0ELNS1_3repE0EEENS1_47radix_sort_onesweep_sort_config_static_selectorELNS0_4arch9wavefront6targetE1EEEvSK_,comdat
	.protected	_ZN7rocprim17ROCPRIM_400000_NS6detail17trampoline_kernelINS0_14default_configENS1_35radix_sort_onesweep_config_selectorIiNS0_10empty_typeEEEZZNS1_29radix_sort_onesweep_iterationIS3_Lb0EN6thrust23THRUST_200600_302600_NS6detail15normal_iteratorINS9_10device_ptrIiEEEESE_PS5_SF_jNS0_19identity_decomposerENS1_16block_id_wrapperIjLb1EEEEE10hipError_tT1_PNSt15iterator_traitsISK_E10value_typeET2_T3_PNSL_ISQ_E10value_typeET4_T5_PSV_SW_PNS1_23onesweep_lookback_stateEbbT6_jjT7_P12ihipStream_tbENKUlT_T0_SK_SP_E_clISE_PiSF_SF_EEDaS13_S14_SK_SP_EUlS13_E_NS1_11comp_targetILNS1_3genE0ELNS1_11target_archE4294967295ELNS1_3gpuE0ELNS1_3repE0EEENS1_47radix_sort_onesweep_sort_config_static_selectorELNS0_4arch9wavefront6targetE1EEEvSK_ ; -- Begin function _ZN7rocprim17ROCPRIM_400000_NS6detail17trampoline_kernelINS0_14default_configENS1_35radix_sort_onesweep_config_selectorIiNS0_10empty_typeEEEZZNS1_29radix_sort_onesweep_iterationIS3_Lb0EN6thrust23THRUST_200600_302600_NS6detail15normal_iteratorINS9_10device_ptrIiEEEESE_PS5_SF_jNS0_19identity_decomposerENS1_16block_id_wrapperIjLb1EEEEE10hipError_tT1_PNSt15iterator_traitsISK_E10value_typeET2_T3_PNSL_ISQ_E10value_typeET4_T5_PSV_SW_PNS1_23onesweep_lookback_stateEbbT6_jjT7_P12ihipStream_tbENKUlT_T0_SK_SP_E_clISE_PiSF_SF_EEDaS13_S14_SK_SP_EUlS13_E_NS1_11comp_targetILNS1_3genE0ELNS1_11target_archE4294967295ELNS1_3gpuE0ELNS1_3repE0EEENS1_47radix_sort_onesweep_sort_config_static_selectorELNS0_4arch9wavefront6targetE1EEEvSK_
	.globl	_ZN7rocprim17ROCPRIM_400000_NS6detail17trampoline_kernelINS0_14default_configENS1_35radix_sort_onesweep_config_selectorIiNS0_10empty_typeEEEZZNS1_29radix_sort_onesweep_iterationIS3_Lb0EN6thrust23THRUST_200600_302600_NS6detail15normal_iteratorINS9_10device_ptrIiEEEESE_PS5_SF_jNS0_19identity_decomposerENS1_16block_id_wrapperIjLb1EEEEE10hipError_tT1_PNSt15iterator_traitsISK_E10value_typeET2_T3_PNSL_ISQ_E10value_typeET4_T5_PSV_SW_PNS1_23onesweep_lookback_stateEbbT6_jjT7_P12ihipStream_tbENKUlT_T0_SK_SP_E_clISE_PiSF_SF_EEDaS13_S14_SK_SP_EUlS13_E_NS1_11comp_targetILNS1_3genE0ELNS1_11target_archE4294967295ELNS1_3gpuE0ELNS1_3repE0EEENS1_47radix_sort_onesweep_sort_config_static_selectorELNS0_4arch9wavefront6targetE1EEEvSK_
	.p2align	8
	.type	_ZN7rocprim17ROCPRIM_400000_NS6detail17trampoline_kernelINS0_14default_configENS1_35radix_sort_onesweep_config_selectorIiNS0_10empty_typeEEEZZNS1_29radix_sort_onesweep_iterationIS3_Lb0EN6thrust23THRUST_200600_302600_NS6detail15normal_iteratorINS9_10device_ptrIiEEEESE_PS5_SF_jNS0_19identity_decomposerENS1_16block_id_wrapperIjLb1EEEEE10hipError_tT1_PNSt15iterator_traitsISK_E10value_typeET2_T3_PNSL_ISQ_E10value_typeET4_T5_PSV_SW_PNS1_23onesweep_lookback_stateEbbT6_jjT7_P12ihipStream_tbENKUlT_T0_SK_SP_E_clISE_PiSF_SF_EEDaS13_S14_SK_SP_EUlS13_E_NS1_11comp_targetILNS1_3genE0ELNS1_11target_archE4294967295ELNS1_3gpuE0ELNS1_3repE0EEENS1_47radix_sort_onesweep_sort_config_static_selectorELNS0_4arch9wavefront6targetE1EEEvSK_,@function
_ZN7rocprim17ROCPRIM_400000_NS6detail17trampoline_kernelINS0_14default_configENS1_35radix_sort_onesweep_config_selectorIiNS0_10empty_typeEEEZZNS1_29radix_sort_onesweep_iterationIS3_Lb0EN6thrust23THRUST_200600_302600_NS6detail15normal_iteratorINS9_10device_ptrIiEEEESE_PS5_SF_jNS0_19identity_decomposerENS1_16block_id_wrapperIjLb1EEEEE10hipError_tT1_PNSt15iterator_traitsISK_E10value_typeET2_T3_PNSL_ISQ_E10value_typeET4_T5_PSV_SW_PNS1_23onesweep_lookback_stateEbbT6_jjT7_P12ihipStream_tbENKUlT_T0_SK_SP_E_clISE_PiSF_SF_EEDaS13_S14_SK_SP_EUlS13_E_NS1_11comp_targetILNS1_3genE0ELNS1_11target_archE4294967295ELNS1_3gpuE0ELNS1_3repE0EEENS1_47radix_sort_onesweep_sort_config_static_selectorELNS0_4arch9wavefront6targetE1EEEvSK_: ; @_ZN7rocprim17ROCPRIM_400000_NS6detail17trampoline_kernelINS0_14default_configENS1_35radix_sort_onesweep_config_selectorIiNS0_10empty_typeEEEZZNS1_29radix_sort_onesweep_iterationIS3_Lb0EN6thrust23THRUST_200600_302600_NS6detail15normal_iteratorINS9_10device_ptrIiEEEESE_PS5_SF_jNS0_19identity_decomposerENS1_16block_id_wrapperIjLb1EEEEE10hipError_tT1_PNSt15iterator_traitsISK_E10value_typeET2_T3_PNSL_ISQ_E10value_typeET4_T5_PSV_SW_PNS1_23onesweep_lookback_stateEbbT6_jjT7_P12ihipStream_tbENKUlT_T0_SK_SP_E_clISE_PiSF_SF_EEDaS13_S14_SK_SP_EUlS13_E_NS1_11comp_targetILNS1_3genE0ELNS1_11target_archE4294967295ELNS1_3gpuE0ELNS1_3repE0EEENS1_47radix_sort_onesweep_sort_config_static_selectorELNS0_4arch9wavefront6targetE1EEEvSK_
; %bb.0:
	.section	.rodata,"a",@progbits
	.p2align	6, 0x0
	.amdhsa_kernel _ZN7rocprim17ROCPRIM_400000_NS6detail17trampoline_kernelINS0_14default_configENS1_35radix_sort_onesweep_config_selectorIiNS0_10empty_typeEEEZZNS1_29radix_sort_onesweep_iterationIS3_Lb0EN6thrust23THRUST_200600_302600_NS6detail15normal_iteratorINS9_10device_ptrIiEEEESE_PS5_SF_jNS0_19identity_decomposerENS1_16block_id_wrapperIjLb1EEEEE10hipError_tT1_PNSt15iterator_traitsISK_E10value_typeET2_T3_PNSL_ISQ_E10value_typeET4_T5_PSV_SW_PNS1_23onesweep_lookback_stateEbbT6_jjT7_P12ihipStream_tbENKUlT_T0_SK_SP_E_clISE_PiSF_SF_EEDaS13_S14_SK_SP_EUlS13_E_NS1_11comp_targetILNS1_3genE0ELNS1_11target_archE4294967295ELNS1_3gpuE0ELNS1_3repE0EEENS1_47radix_sort_onesweep_sort_config_static_selectorELNS0_4arch9wavefront6targetE1EEEvSK_
		.amdhsa_group_segment_fixed_size 0
		.amdhsa_private_segment_fixed_size 0
		.amdhsa_kernarg_size 88
		.amdhsa_user_sgpr_count 6
		.amdhsa_user_sgpr_private_segment_buffer 1
		.amdhsa_user_sgpr_dispatch_ptr 0
		.amdhsa_user_sgpr_queue_ptr 0
		.amdhsa_user_sgpr_kernarg_segment_ptr 1
		.amdhsa_user_sgpr_dispatch_id 0
		.amdhsa_user_sgpr_flat_scratch_init 0
		.amdhsa_user_sgpr_kernarg_preload_length 0
		.amdhsa_user_sgpr_kernarg_preload_offset 0
		.amdhsa_user_sgpr_private_segment_size 0
		.amdhsa_uses_dynamic_stack 0
		.amdhsa_system_sgpr_private_segment_wavefront_offset 0
		.amdhsa_system_sgpr_workgroup_id_x 1
		.amdhsa_system_sgpr_workgroup_id_y 0
		.amdhsa_system_sgpr_workgroup_id_z 0
		.amdhsa_system_sgpr_workgroup_info 0
		.amdhsa_system_vgpr_workitem_id 0
		.amdhsa_next_free_vgpr 1
		.amdhsa_next_free_sgpr 0
		.amdhsa_accum_offset 4
		.amdhsa_reserve_vcc 0
		.amdhsa_reserve_flat_scratch 0
		.amdhsa_float_round_mode_32 0
		.amdhsa_float_round_mode_16_64 0
		.amdhsa_float_denorm_mode_32 3
		.amdhsa_float_denorm_mode_16_64 3
		.amdhsa_dx10_clamp 1
		.amdhsa_ieee_mode 1
		.amdhsa_fp16_overflow 0
		.amdhsa_tg_split 0
		.amdhsa_exception_fp_ieee_invalid_op 0
		.amdhsa_exception_fp_denorm_src 0
		.amdhsa_exception_fp_ieee_div_zero 0
		.amdhsa_exception_fp_ieee_overflow 0
		.amdhsa_exception_fp_ieee_underflow 0
		.amdhsa_exception_fp_ieee_inexact 0
		.amdhsa_exception_int_div_zero 0
	.end_amdhsa_kernel
	.section	.text._ZN7rocprim17ROCPRIM_400000_NS6detail17trampoline_kernelINS0_14default_configENS1_35radix_sort_onesweep_config_selectorIiNS0_10empty_typeEEEZZNS1_29radix_sort_onesweep_iterationIS3_Lb0EN6thrust23THRUST_200600_302600_NS6detail15normal_iteratorINS9_10device_ptrIiEEEESE_PS5_SF_jNS0_19identity_decomposerENS1_16block_id_wrapperIjLb1EEEEE10hipError_tT1_PNSt15iterator_traitsISK_E10value_typeET2_T3_PNSL_ISQ_E10value_typeET4_T5_PSV_SW_PNS1_23onesweep_lookback_stateEbbT6_jjT7_P12ihipStream_tbENKUlT_T0_SK_SP_E_clISE_PiSF_SF_EEDaS13_S14_SK_SP_EUlS13_E_NS1_11comp_targetILNS1_3genE0ELNS1_11target_archE4294967295ELNS1_3gpuE0ELNS1_3repE0EEENS1_47radix_sort_onesweep_sort_config_static_selectorELNS0_4arch9wavefront6targetE1EEEvSK_,"axG",@progbits,_ZN7rocprim17ROCPRIM_400000_NS6detail17trampoline_kernelINS0_14default_configENS1_35radix_sort_onesweep_config_selectorIiNS0_10empty_typeEEEZZNS1_29radix_sort_onesweep_iterationIS3_Lb0EN6thrust23THRUST_200600_302600_NS6detail15normal_iteratorINS9_10device_ptrIiEEEESE_PS5_SF_jNS0_19identity_decomposerENS1_16block_id_wrapperIjLb1EEEEE10hipError_tT1_PNSt15iterator_traitsISK_E10value_typeET2_T3_PNSL_ISQ_E10value_typeET4_T5_PSV_SW_PNS1_23onesweep_lookback_stateEbbT6_jjT7_P12ihipStream_tbENKUlT_T0_SK_SP_E_clISE_PiSF_SF_EEDaS13_S14_SK_SP_EUlS13_E_NS1_11comp_targetILNS1_3genE0ELNS1_11target_archE4294967295ELNS1_3gpuE0ELNS1_3repE0EEENS1_47radix_sort_onesweep_sort_config_static_selectorELNS0_4arch9wavefront6targetE1EEEvSK_,comdat
.Lfunc_end1755:
	.size	_ZN7rocprim17ROCPRIM_400000_NS6detail17trampoline_kernelINS0_14default_configENS1_35radix_sort_onesweep_config_selectorIiNS0_10empty_typeEEEZZNS1_29radix_sort_onesweep_iterationIS3_Lb0EN6thrust23THRUST_200600_302600_NS6detail15normal_iteratorINS9_10device_ptrIiEEEESE_PS5_SF_jNS0_19identity_decomposerENS1_16block_id_wrapperIjLb1EEEEE10hipError_tT1_PNSt15iterator_traitsISK_E10value_typeET2_T3_PNSL_ISQ_E10value_typeET4_T5_PSV_SW_PNS1_23onesweep_lookback_stateEbbT6_jjT7_P12ihipStream_tbENKUlT_T0_SK_SP_E_clISE_PiSF_SF_EEDaS13_S14_SK_SP_EUlS13_E_NS1_11comp_targetILNS1_3genE0ELNS1_11target_archE4294967295ELNS1_3gpuE0ELNS1_3repE0EEENS1_47radix_sort_onesweep_sort_config_static_selectorELNS0_4arch9wavefront6targetE1EEEvSK_, .Lfunc_end1755-_ZN7rocprim17ROCPRIM_400000_NS6detail17trampoline_kernelINS0_14default_configENS1_35radix_sort_onesweep_config_selectorIiNS0_10empty_typeEEEZZNS1_29radix_sort_onesweep_iterationIS3_Lb0EN6thrust23THRUST_200600_302600_NS6detail15normal_iteratorINS9_10device_ptrIiEEEESE_PS5_SF_jNS0_19identity_decomposerENS1_16block_id_wrapperIjLb1EEEEE10hipError_tT1_PNSt15iterator_traitsISK_E10value_typeET2_T3_PNSL_ISQ_E10value_typeET4_T5_PSV_SW_PNS1_23onesweep_lookback_stateEbbT6_jjT7_P12ihipStream_tbENKUlT_T0_SK_SP_E_clISE_PiSF_SF_EEDaS13_S14_SK_SP_EUlS13_E_NS1_11comp_targetILNS1_3genE0ELNS1_11target_archE4294967295ELNS1_3gpuE0ELNS1_3repE0EEENS1_47radix_sort_onesweep_sort_config_static_selectorELNS0_4arch9wavefront6targetE1EEEvSK_
                                        ; -- End function
	.section	.AMDGPU.csdata,"",@progbits
; Kernel info:
; codeLenInByte = 0
; NumSgprs: 4
; NumVgprs: 0
; NumAgprs: 0
; TotalNumVgprs: 0
; ScratchSize: 0
; MemoryBound: 0
; FloatMode: 240
; IeeeMode: 1
; LDSByteSize: 0 bytes/workgroup (compile time only)
; SGPRBlocks: 0
; VGPRBlocks: 0
; NumSGPRsForWavesPerEU: 4
; NumVGPRsForWavesPerEU: 1
; AccumOffset: 4
; Occupancy: 8
; WaveLimiterHint : 0
; COMPUTE_PGM_RSRC2:SCRATCH_EN: 0
; COMPUTE_PGM_RSRC2:USER_SGPR: 6
; COMPUTE_PGM_RSRC2:TRAP_HANDLER: 0
; COMPUTE_PGM_RSRC2:TGID_X_EN: 1
; COMPUTE_PGM_RSRC2:TGID_Y_EN: 0
; COMPUTE_PGM_RSRC2:TGID_Z_EN: 0
; COMPUTE_PGM_RSRC2:TIDIG_COMP_CNT: 0
; COMPUTE_PGM_RSRC3_GFX90A:ACCUM_OFFSET: 0
; COMPUTE_PGM_RSRC3_GFX90A:TG_SPLIT: 0
	.section	.text._ZN7rocprim17ROCPRIM_400000_NS6detail17trampoline_kernelINS0_14default_configENS1_35radix_sort_onesweep_config_selectorIiNS0_10empty_typeEEEZZNS1_29radix_sort_onesweep_iterationIS3_Lb0EN6thrust23THRUST_200600_302600_NS6detail15normal_iteratorINS9_10device_ptrIiEEEESE_PS5_SF_jNS0_19identity_decomposerENS1_16block_id_wrapperIjLb1EEEEE10hipError_tT1_PNSt15iterator_traitsISK_E10value_typeET2_T3_PNSL_ISQ_E10value_typeET4_T5_PSV_SW_PNS1_23onesweep_lookback_stateEbbT6_jjT7_P12ihipStream_tbENKUlT_T0_SK_SP_E_clISE_PiSF_SF_EEDaS13_S14_SK_SP_EUlS13_E_NS1_11comp_targetILNS1_3genE6ELNS1_11target_archE950ELNS1_3gpuE13ELNS1_3repE0EEENS1_47radix_sort_onesweep_sort_config_static_selectorELNS0_4arch9wavefront6targetE1EEEvSK_,"axG",@progbits,_ZN7rocprim17ROCPRIM_400000_NS6detail17trampoline_kernelINS0_14default_configENS1_35radix_sort_onesweep_config_selectorIiNS0_10empty_typeEEEZZNS1_29radix_sort_onesweep_iterationIS3_Lb0EN6thrust23THRUST_200600_302600_NS6detail15normal_iteratorINS9_10device_ptrIiEEEESE_PS5_SF_jNS0_19identity_decomposerENS1_16block_id_wrapperIjLb1EEEEE10hipError_tT1_PNSt15iterator_traitsISK_E10value_typeET2_T3_PNSL_ISQ_E10value_typeET4_T5_PSV_SW_PNS1_23onesweep_lookback_stateEbbT6_jjT7_P12ihipStream_tbENKUlT_T0_SK_SP_E_clISE_PiSF_SF_EEDaS13_S14_SK_SP_EUlS13_E_NS1_11comp_targetILNS1_3genE6ELNS1_11target_archE950ELNS1_3gpuE13ELNS1_3repE0EEENS1_47radix_sort_onesweep_sort_config_static_selectorELNS0_4arch9wavefront6targetE1EEEvSK_,comdat
	.protected	_ZN7rocprim17ROCPRIM_400000_NS6detail17trampoline_kernelINS0_14default_configENS1_35radix_sort_onesweep_config_selectorIiNS0_10empty_typeEEEZZNS1_29radix_sort_onesweep_iterationIS3_Lb0EN6thrust23THRUST_200600_302600_NS6detail15normal_iteratorINS9_10device_ptrIiEEEESE_PS5_SF_jNS0_19identity_decomposerENS1_16block_id_wrapperIjLb1EEEEE10hipError_tT1_PNSt15iterator_traitsISK_E10value_typeET2_T3_PNSL_ISQ_E10value_typeET4_T5_PSV_SW_PNS1_23onesweep_lookback_stateEbbT6_jjT7_P12ihipStream_tbENKUlT_T0_SK_SP_E_clISE_PiSF_SF_EEDaS13_S14_SK_SP_EUlS13_E_NS1_11comp_targetILNS1_3genE6ELNS1_11target_archE950ELNS1_3gpuE13ELNS1_3repE0EEENS1_47radix_sort_onesweep_sort_config_static_selectorELNS0_4arch9wavefront6targetE1EEEvSK_ ; -- Begin function _ZN7rocprim17ROCPRIM_400000_NS6detail17trampoline_kernelINS0_14default_configENS1_35radix_sort_onesweep_config_selectorIiNS0_10empty_typeEEEZZNS1_29radix_sort_onesweep_iterationIS3_Lb0EN6thrust23THRUST_200600_302600_NS6detail15normal_iteratorINS9_10device_ptrIiEEEESE_PS5_SF_jNS0_19identity_decomposerENS1_16block_id_wrapperIjLb1EEEEE10hipError_tT1_PNSt15iterator_traitsISK_E10value_typeET2_T3_PNSL_ISQ_E10value_typeET4_T5_PSV_SW_PNS1_23onesweep_lookback_stateEbbT6_jjT7_P12ihipStream_tbENKUlT_T0_SK_SP_E_clISE_PiSF_SF_EEDaS13_S14_SK_SP_EUlS13_E_NS1_11comp_targetILNS1_3genE6ELNS1_11target_archE950ELNS1_3gpuE13ELNS1_3repE0EEENS1_47radix_sort_onesweep_sort_config_static_selectorELNS0_4arch9wavefront6targetE1EEEvSK_
	.globl	_ZN7rocprim17ROCPRIM_400000_NS6detail17trampoline_kernelINS0_14default_configENS1_35radix_sort_onesweep_config_selectorIiNS0_10empty_typeEEEZZNS1_29radix_sort_onesweep_iterationIS3_Lb0EN6thrust23THRUST_200600_302600_NS6detail15normal_iteratorINS9_10device_ptrIiEEEESE_PS5_SF_jNS0_19identity_decomposerENS1_16block_id_wrapperIjLb1EEEEE10hipError_tT1_PNSt15iterator_traitsISK_E10value_typeET2_T3_PNSL_ISQ_E10value_typeET4_T5_PSV_SW_PNS1_23onesweep_lookback_stateEbbT6_jjT7_P12ihipStream_tbENKUlT_T0_SK_SP_E_clISE_PiSF_SF_EEDaS13_S14_SK_SP_EUlS13_E_NS1_11comp_targetILNS1_3genE6ELNS1_11target_archE950ELNS1_3gpuE13ELNS1_3repE0EEENS1_47radix_sort_onesweep_sort_config_static_selectorELNS0_4arch9wavefront6targetE1EEEvSK_
	.p2align	8
	.type	_ZN7rocprim17ROCPRIM_400000_NS6detail17trampoline_kernelINS0_14default_configENS1_35radix_sort_onesweep_config_selectorIiNS0_10empty_typeEEEZZNS1_29radix_sort_onesweep_iterationIS3_Lb0EN6thrust23THRUST_200600_302600_NS6detail15normal_iteratorINS9_10device_ptrIiEEEESE_PS5_SF_jNS0_19identity_decomposerENS1_16block_id_wrapperIjLb1EEEEE10hipError_tT1_PNSt15iterator_traitsISK_E10value_typeET2_T3_PNSL_ISQ_E10value_typeET4_T5_PSV_SW_PNS1_23onesweep_lookback_stateEbbT6_jjT7_P12ihipStream_tbENKUlT_T0_SK_SP_E_clISE_PiSF_SF_EEDaS13_S14_SK_SP_EUlS13_E_NS1_11comp_targetILNS1_3genE6ELNS1_11target_archE950ELNS1_3gpuE13ELNS1_3repE0EEENS1_47radix_sort_onesweep_sort_config_static_selectorELNS0_4arch9wavefront6targetE1EEEvSK_,@function
_ZN7rocprim17ROCPRIM_400000_NS6detail17trampoline_kernelINS0_14default_configENS1_35radix_sort_onesweep_config_selectorIiNS0_10empty_typeEEEZZNS1_29radix_sort_onesweep_iterationIS3_Lb0EN6thrust23THRUST_200600_302600_NS6detail15normal_iteratorINS9_10device_ptrIiEEEESE_PS5_SF_jNS0_19identity_decomposerENS1_16block_id_wrapperIjLb1EEEEE10hipError_tT1_PNSt15iterator_traitsISK_E10value_typeET2_T3_PNSL_ISQ_E10value_typeET4_T5_PSV_SW_PNS1_23onesweep_lookback_stateEbbT6_jjT7_P12ihipStream_tbENKUlT_T0_SK_SP_E_clISE_PiSF_SF_EEDaS13_S14_SK_SP_EUlS13_E_NS1_11comp_targetILNS1_3genE6ELNS1_11target_archE950ELNS1_3gpuE13ELNS1_3repE0EEENS1_47radix_sort_onesweep_sort_config_static_selectorELNS0_4arch9wavefront6targetE1EEEvSK_: ; @_ZN7rocprim17ROCPRIM_400000_NS6detail17trampoline_kernelINS0_14default_configENS1_35radix_sort_onesweep_config_selectorIiNS0_10empty_typeEEEZZNS1_29radix_sort_onesweep_iterationIS3_Lb0EN6thrust23THRUST_200600_302600_NS6detail15normal_iteratorINS9_10device_ptrIiEEEESE_PS5_SF_jNS0_19identity_decomposerENS1_16block_id_wrapperIjLb1EEEEE10hipError_tT1_PNSt15iterator_traitsISK_E10value_typeET2_T3_PNSL_ISQ_E10value_typeET4_T5_PSV_SW_PNS1_23onesweep_lookback_stateEbbT6_jjT7_P12ihipStream_tbENKUlT_T0_SK_SP_E_clISE_PiSF_SF_EEDaS13_S14_SK_SP_EUlS13_E_NS1_11comp_targetILNS1_3genE6ELNS1_11target_archE950ELNS1_3gpuE13ELNS1_3repE0EEENS1_47radix_sort_onesweep_sort_config_static_selectorELNS0_4arch9wavefront6targetE1EEEvSK_
; %bb.0:
	.section	.rodata,"a",@progbits
	.p2align	6, 0x0
	.amdhsa_kernel _ZN7rocprim17ROCPRIM_400000_NS6detail17trampoline_kernelINS0_14default_configENS1_35radix_sort_onesweep_config_selectorIiNS0_10empty_typeEEEZZNS1_29radix_sort_onesweep_iterationIS3_Lb0EN6thrust23THRUST_200600_302600_NS6detail15normal_iteratorINS9_10device_ptrIiEEEESE_PS5_SF_jNS0_19identity_decomposerENS1_16block_id_wrapperIjLb1EEEEE10hipError_tT1_PNSt15iterator_traitsISK_E10value_typeET2_T3_PNSL_ISQ_E10value_typeET4_T5_PSV_SW_PNS1_23onesweep_lookback_stateEbbT6_jjT7_P12ihipStream_tbENKUlT_T0_SK_SP_E_clISE_PiSF_SF_EEDaS13_S14_SK_SP_EUlS13_E_NS1_11comp_targetILNS1_3genE6ELNS1_11target_archE950ELNS1_3gpuE13ELNS1_3repE0EEENS1_47radix_sort_onesweep_sort_config_static_selectorELNS0_4arch9wavefront6targetE1EEEvSK_
		.amdhsa_group_segment_fixed_size 0
		.amdhsa_private_segment_fixed_size 0
		.amdhsa_kernarg_size 88
		.amdhsa_user_sgpr_count 6
		.amdhsa_user_sgpr_private_segment_buffer 1
		.amdhsa_user_sgpr_dispatch_ptr 0
		.amdhsa_user_sgpr_queue_ptr 0
		.amdhsa_user_sgpr_kernarg_segment_ptr 1
		.amdhsa_user_sgpr_dispatch_id 0
		.amdhsa_user_sgpr_flat_scratch_init 0
		.amdhsa_user_sgpr_kernarg_preload_length 0
		.amdhsa_user_sgpr_kernarg_preload_offset 0
		.amdhsa_user_sgpr_private_segment_size 0
		.amdhsa_uses_dynamic_stack 0
		.amdhsa_system_sgpr_private_segment_wavefront_offset 0
		.amdhsa_system_sgpr_workgroup_id_x 1
		.amdhsa_system_sgpr_workgroup_id_y 0
		.amdhsa_system_sgpr_workgroup_id_z 0
		.amdhsa_system_sgpr_workgroup_info 0
		.amdhsa_system_vgpr_workitem_id 0
		.amdhsa_next_free_vgpr 1
		.amdhsa_next_free_sgpr 0
		.amdhsa_accum_offset 4
		.amdhsa_reserve_vcc 0
		.amdhsa_reserve_flat_scratch 0
		.amdhsa_float_round_mode_32 0
		.amdhsa_float_round_mode_16_64 0
		.amdhsa_float_denorm_mode_32 3
		.amdhsa_float_denorm_mode_16_64 3
		.amdhsa_dx10_clamp 1
		.amdhsa_ieee_mode 1
		.amdhsa_fp16_overflow 0
		.amdhsa_tg_split 0
		.amdhsa_exception_fp_ieee_invalid_op 0
		.amdhsa_exception_fp_denorm_src 0
		.amdhsa_exception_fp_ieee_div_zero 0
		.amdhsa_exception_fp_ieee_overflow 0
		.amdhsa_exception_fp_ieee_underflow 0
		.amdhsa_exception_fp_ieee_inexact 0
		.amdhsa_exception_int_div_zero 0
	.end_amdhsa_kernel
	.section	.text._ZN7rocprim17ROCPRIM_400000_NS6detail17trampoline_kernelINS0_14default_configENS1_35radix_sort_onesweep_config_selectorIiNS0_10empty_typeEEEZZNS1_29radix_sort_onesweep_iterationIS3_Lb0EN6thrust23THRUST_200600_302600_NS6detail15normal_iteratorINS9_10device_ptrIiEEEESE_PS5_SF_jNS0_19identity_decomposerENS1_16block_id_wrapperIjLb1EEEEE10hipError_tT1_PNSt15iterator_traitsISK_E10value_typeET2_T3_PNSL_ISQ_E10value_typeET4_T5_PSV_SW_PNS1_23onesweep_lookback_stateEbbT6_jjT7_P12ihipStream_tbENKUlT_T0_SK_SP_E_clISE_PiSF_SF_EEDaS13_S14_SK_SP_EUlS13_E_NS1_11comp_targetILNS1_3genE6ELNS1_11target_archE950ELNS1_3gpuE13ELNS1_3repE0EEENS1_47radix_sort_onesweep_sort_config_static_selectorELNS0_4arch9wavefront6targetE1EEEvSK_,"axG",@progbits,_ZN7rocprim17ROCPRIM_400000_NS6detail17trampoline_kernelINS0_14default_configENS1_35radix_sort_onesweep_config_selectorIiNS0_10empty_typeEEEZZNS1_29radix_sort_onesweep_iterationIS3_Lb0EN6thrust23THRUST_200600_302600_NS6detail15normal_iteratorINS9_10device_ptrIiEEEESE_PS5_SF_jNS0_19identity_decomposerENS1_16block_id_wrapperIjLb1EEEEE10hipError_tT1_PNSt15iterator_traitsISK_E10value_typeET2_T3_PNSL_ISQ_E10value_typeET4_T5_PSV_SW_PNS1_23onesweep_lookback_stateEbbT6_jjT7_P12ihipStream_tbENKUlT_T0_SK_SP_E_clISE_PiSF_SF_EEDaS13_S14_SK_SP_EUlS13_E_NS1_11comp_targetILNS1_3genE6ELNS1_11target_archE950ELNS1_3gpuE13ELNS1_3repE0EEENS1_47radix_sort_onesweep_sort_config_static_selectorELNS0_4arch9wavefront6targetE1EEEvSK_,comdat
.Lfunc_end1756:
	.size	_ZN7rocprim17ROCPRIM_400000_NS6detail17trampoline_kernelINS0_14default_configENS1_35radix_sort_onesweep_config_selectorIiNS0_10empty_typeEEEZZNS1_29radix_sort_onesweep_iterationIS3_Lb0EN6thrust23THRUST_200600_302600_NS6detail15normal_iteratorINS9_10device_ptrIiEEEESE_PS5_SF_jNS0_19identity_decomposerENS1_16block_id_wrapperIjLb1EEEEE10hipError_tT1_PNSt15iterator_traitsISK_E10value_typeET2_T3_PNSL_ISQ_E10value_typeET4_T5_PSV_SW_PNS1_23onesweep_lookback_stateEbbT6_jjT7_P12ihipStream_tbENKUlT_T0_SK_SP_E_clISE_PiSF_SF_EEDaS13_S14_SK_SP_EUlS13_E_NS1_11comp_targetILNS1_3genE6ELNS1_11target_archE950ELNS1_3gpuE13ELNS1_3repE0EEENS1_47radix_sort_onesweep_sort_config_static_selectorELNS0_4arch9wavefront6targetE1EEEvSK_, .Lfunc_end1756-_ZN7rocprim17ROCPRIM_400000_NS6detail17trampoline_kernelINS0_14default_configENS1_35radix_sort_onesweep_config_selectorIiNS0_10empty_typeEEEZZNS1_29radix_sort_onesweep_iterationIS3_Lb0EN6thrust23THRUST_200600_302600_NS6detail15normal_iteratorINS9_10device_ptrIiEEEESE_PS5_SF_jNS0_19identity_decomposerENS1_16block_id_wrapperIjLb1EEEEE10hipError_tT1_PNSt15iterator_traitsISK_E10value_typeET2_T3_PNSL_ISQ_E10value_typeET4_T5_PSV_SW_PNS1_23onesweep_lookback_stateEbbT6_jjT7_P12ihipStream_tbENKUlT_T0_SK_SP_E_clISE_PiSF_SF_EEDaS13_S14_SK_SP_EUlS13_E_NS1_11comp_targetILNS1_3genE6ELNS1_11target_archE950ELNS1_3gpuE13ELNS1_3repE0EEENS1_47radix_sort_onesweep_sort_config_static_selectorELNS0_4arch9wavefront6targetE1EEEvSK_
                                        ; -- End function
	.section	.AMDGPU.csdata,"",@progbits
; Kernel info:
; codeLenInByte = 0
; NumSgprs: 4
; NumVgprs: 0
; NumAgprs: 0
; TotalNumVgprs: 0
; ScratchSize: 0
; MemoryBound: 0
; FloatMode: 240
; IeeeMode: 1
; LDSByteSize: 0 bytes/workgroup (compile time only)
; SGPRBlocks: 0
; VGPRBlocks: 0
; NumSGPRsForWavesPerEU: 4
; NumVGPRsForWavesPerEU: 1
; AccumOffset: 4
; Occupancy: 8
; WaveLimiterHint : 0
; COMPUTE_PGM_RSRC2:SCRATCH_EN: 0
; COMPUTE_PGM_RSRC2:USER_SGPR: 6
; COMPUTE_PGM_RSRC2:TRAP_HANDLER: 0
; COMPUTE_PGM_RSRC2:TGID_X_EN: 1
; COMPUTE_PGM_RSRC2:TGID_Y_EN: 0
; COMPUTE_PGM_RSRC2:TGID_Z_EN: 0
; COMPUTE_PGM_RSRC2:TIDIG_COMP_CNT: 0
; COMPUTE_PGM_RSRC3_GFX90A:ACCUM_OFFSET: 0
; COMPUTE_PGM_RSRC3_GFX90A:TG_SPLIT: 0
	.section	.text._ZN7rocprim17ROCPRIM_400000_NS6detail17trampoline_kernelINS0_14default_configENS1_35radix_sort_onesweep_config_selectorIiNS0_10empty_typeEEEZZNS1_29radix_sort_onesweep_iterationIS3_Lb0EN6thrust23THRUST_200600_302600_NS6detail15normal_iteratorINS9_10device_ptrIiEEEESE_PS5_SF_jNS0_19identity_decomposerENS1_16block_id_wrapperIjLb1EEEEE10hipError_tT1_PNSt15iterator_traitsISK_E10value_typeET2_T3_PNSL_ISQ_E10value_typeET4_T5_PSV_SW_PNS1_23onesweep_lookback_stateEbbT6_jjT7_P12ihipStream_tbENKUlT_T0_SK_SP_E_clISE_PiSF_SF_EEDaS13_S14_SK_SP_EUlS13_E_NS1_11comp_targetILNS1_3genE5ELNS1_11target_archE942ELNS1_3gpuE9ELNS1_3repE0EEENS1_47radix_sort_onesweep_sort_config_static_selectorELNS0_4arch9wavefront6targetE1EEEvSK_,"axG",@progbits,_ZN7rocprim17ROCPRIM_400000_NS6detail17trampoline_kernelINS0_14default_configENS1_35radix_sort_onesweep_config_selectorIiNS0_10empty_typeEEEZZNS1_29radix_sort_onesweep_iterationIS3_Lb0EN6thrust23THRUST_200600_302600_NS6detail15normal_iteratorINS9_10device_ptrIiEEEESE_PS5_SF_jNS0_19identity_decomposerENS1_16block_id_wrapperIjLb1EEEEE10hipError_tT1_PNSt15iterator_traitsISK_E10value_typeET2_T3_PNSL_ISQ_E10value_typeET4_T5_PSV_SW_PNS1_23onesweep_lookback_stateEbbT6_jjT7_P12ihipStream_tbENKUlT_T0_SK_SP_E_clISE_PiSF_SF_EEDaS13_S14_SK_SP_EUlS13_E_NS1_11comp_targetILNS1_3genE5ELNS1_11target_archE942ELNS1_3gpuE9ELNS1_3repE0EEENS1_47radix_sort_onesweep_sort_config_static_selectorELNS0_4arch9wavefront6targetE1EEEvSK_,comdat
	.protected	_ZN7rocprim17ROCPRIM_400000_NS6detail17trampoline_kernelINS0_14default_configENS1_35radix_sort_onesweep_config_selectorIiNS0_10empty_typeEEEZZNS1_29radix_sort_onesweep_iterationIS3_Lb0EN6thrust23THRUST_200600_302600_NS6detail15normal_iteratorINS9_10device_ptrIiEEEESE_PS5_SF_jNS0_19identity_decomposerENS1_16block_id_wrapperIjLb1EEEEE10hipError_tT1_PNSt15iterator_traitsISK_E10value_typeET2_T3_PNSL_ISQ_E10value_typeET4_T5_PSV_SW_PNS1_23onesweep_lookback_stateEbbT6_jjT7_P12ihipStream_tbENKUlT_T0_SK_SP_E_clISE_PiSF_SF_EEDaS13_S14_SK_SP_EUlS13_E_NS1_11comp_targetILNS1_3genE5ELNS1_11target_archE942ELNS1_3gpuE9ELNS1_3repE0EEENS1_47radix_sort_onesweep_sort_config_static_selectorELNS0_4arch9wavefront6targetE1EEEvSK_ ; -- Begin function _ZN7rocprim17ROCPRIM_400000_NS6detail17trampoline_kernelINS0_14default_configENS1_35radix_sort_onesweep_config_selectorIiNS0_10empty_typeEEEZZNS1_29radix_sort_onesweep_iterationIS3_Lb0EN6thrust23THRUST_200600_302600_NS6detail15normal_iteratorINS9_10device_ptrIiEEEESE_PS5_SF_jNS0_19identity_decomposerENS1_16block_id_wrapperIjLb1EEEEE10hipError_tT1_PNSt15iterator_traitsISK_E10value_typeET2_T3_PNSL_ISQ_E10value_typeET4_T5_PSV_SW_PNS1_23onesweep_lookback_stateEbbT6_jjT7_P12ihipStream_tbENKUlT_T0_SK_SP_E_clISE_PiSF_SF_EEDaS13_S14_SK_SP_EUlS13_E_NS1_11comp_targetILNS1_3genE5ELNS1_11target_archE942ELNS1_3gpuE9ELNS1_3repE0EEENS1_47radix_sort_onesweep_sort_config_static_selectorELNS0_4arch9wavefront6targetE1EEEvSK_
	.globl	_ZN7rocprim17ROCPRIM_400000_NS6detail17trampoline_kernelINS0_14default_configENS1_35radix_sort_onesweep_config_selectorIiNS0_10empty_typeEEEZZNS1_29radix_sort_onesweep_iterationIS3_Lb0EN6thrust23THRUST_200600_302600_NS6detail15normal_iteratorINS9_10device_ptrIiEEEESE_PS5_SF_jNS0_19identity_decomposerENS1_16block_id_wrapperIjLb1EEEEE10hipError_tT1_PNSt15iterator_traitsISK_E10value_typeET2_T3_PNSL_ISQ_E10value_typeET4_T5_PSV_SW_PNS1_23onesweep_lookback_stateEbbT6_jjT7_P12ihipStream_tbENKUlT_T0_SK_SP_E_clISE_PiSF_SF_EEDaS13_S14_SK_SP_EUlS13_E_NS1_11comp_targetILNS1_3genE5ELNS1_11target_archE942ELNS1_3gpuE9ELNS1_3repE0EEENS1_47radix_sort_onesweep_sort_config_static_selectorELNS0_4arch9wavefront6targetE1EEEvSK_
	.p2align	8
	.type	_ZN7rocprim17ROCPRIM_400000_NS6detail17trampoline_kernelINS0_14default_configENS1_35radix_sort_onesweep_config_selectorIiNS0_10empty_typeEEEZZNS1_29radix_sort_onesweep_iterationIS3_Lb0EN6thrust23THRUST_200600_302600_NS6detail15normal_iteratorINS9_10device_ptrIiEEEESE_PS5_SF_jNS0_19identity_decomposerENS1_16block_id_wrapperIjLb1EEEEE10hipError_tT1_PNSt15iterator_traitsISK_E10value_typeET2_T3_PNSL_ISQ_E10value_typeET4_T5_PSV_SW_PNS1_23onesweep_lookback_stateEbbT6_jjT7_P12ihipStream_tbENKUlT_T0_SK_SP_E_clISE_PiSF_SF_EEDaS13_S14_SK_SP_EUlS13_E_NS1_11comp_targetILNS1_3genE5ELNS1_11target_archE942ELNS1_3gpuE9ELNS1_3repE0EEENS1_47radix_sort_onesweep_sort_config_static_selectorELNS0_4arch9wavefront6targetE1EEEvSK_,@function
_ZN7rocprim17ROCPRIM_400000_NS6detail17trampoline_kernelINS0_14default_configENS1_35radix_sort_onesweep_config_selectorIiNS0_10empty_typeEEEZZNS1_29radix_sort_onesweep_iterationIS3_Lb0EN6thrust23THRUST_200600_302600_NS6detail15normal_iteratorINS9_10device_ptrIiEEEESE_PS5_SF_jNS0_19identity_decomposerENS1_16block_id_wrapperIjLb1EEEEE10hipError_tT1_PNSt15iterator_traitsISK_E10value_typeET2_T3_PNSL_ISQ_E10value_typeET4_T5_PSV_SW_PNS1_23onesweep_lookback_stateEbbT6_jjT7_P12ihipStream_tbENKUlT_T0_SK_SP_E_clISE_PiSF_SF_EEDaS13_S14_SK_SP_EUlS13_E_NS1_11comp_targetILNS1_3genE5ELNS1_11target_archE942ELNS1_3gpuE9ELNS1_3repE0EEENS1_47radix_sort_onesweep_sort_config_static_selectorELNS0_4arch9wavefront6targetE1EEEvSK_: ; @_ZN7rocprim17ROCPRIM_400000_NS6detail17trampoline_kernelINS0_14default_configENS1_35radix_sort_onesweep_config_selectorIiNS0_10empty_typeEEEZZNS1_29radix_sort_onesweep_iterationIS3_Lb0EN6thrust23THRUST_200600_302600_NS6detail15normal_iteratorINS9_10device_ptrIiEEEESE_PS5_SF_jNS0_19identity_decomposerENS1_16block_id_wrapperIjLb1EEEEE10hipError_tT1_PNSt15iterator_traitsISK_E10value_typeET2_T3_PNSL_ISQ_E10value_typeET4_T5_PSV_SW_PNS1_23onesweep_lookback_stateEbbT6_jjT7_P12ihipStream_tbENKUlT_T0_SK_SP_E_clISE_PiSF_SF_EEDaS13_S14_SK_SP_EUlS13_E_NS1_11comp_targetILNS1_3genE5ELNS1_11target_archE942ELNS1_3gpuE9ELNS1_3repE0EEENS1_47radix_sort_onesweep_sort_config_static_selectorELNS0_4arch9wavefront6targetE1EEEvSK_
; %bb.0:
	.section	.rodata,"a",@progbits
	.p2align	6, 0x0
	.amdhsa_kernel _ZN7rocprim17ROCPRIM_400000_NS6detail17trampoline_kernelINS0_14default_configENS1_35radix_sort_onesweep_config_selectorIiNS0_10empty_typeEEEZZNS1_29radix_sort_onesweep_iterationIS3_Lb0EN6thrust23THRUST_200600_302600_NS6detail15normal_iteratorINS9_10device_ptrIiEEEESE_PS5_SF_jNS0_19identity_decomposerENS1_16block_id_wrapperIjLb1EEEEE10hipError_tT1_PNSt15iterator_traitsISK_E10value_typeET2_T3_PNSL_ISQ_E10value_typeET4_T5_PSV_SW_PNS1_23onesweep_lookback_stateEbbT6_jjT7_P12ihipStream_tbENKUlT_T0_SK_SP_E_clISE_PiSF_SF_EEDaS13_S14_SK_SP_EUlS13_E_NS1_11comp_targetILNS1_3genE5ELNS1_11target_archE942ELNS1_3gpuE9ELNS1_3repE0EEENS1_47radix_sort_onesweep_sort_config_static_selectorELNS0_4arch9wavefront6targetE1EEEvSK_
		.amdhsa_group_segment_fixed_size 0
		.amdhsa_private_segment_fixed_size 0
		.amdhsa_kernarg_size 88
		.amdhsa_user_sgpr_count 6
		.amdhsa_user_sgpr_private_segment_buffer 1
		.amdhsa_user_sgpr_dispatch_ptr 0
		.amdhsa_user_sgpr_queue_ptr 0
		.amdhsa_user_sgpr_kernarg_segment_ptr 1
		.amdhsa_user_sgpr_dispatch_id 0
		.amdhsa_user_sgpr_flat_scratch_init 0
		.amdhsa_user_sgpr_kernarg_preload_length 0
		.amdhsa_user_sgpr_kernarg_preload_offset 0
		.amdhsa_user_sgpr_private_segment_size 0
		.amdhsa_uses_dynamic_stack 0
		.amdhsa_system_sgpr_private_segment_wavefront_offset 0
		.amdhsa_system_sgpr_workgroup_id_x 1
		.amdhsa_system_sgpr_workgroup_id_y 0
		.amdhsa_system_sgpr_workgroup_id_z 0
		.amdhsa_system_sgpr_workgroup_info 0
		.amdhsa_system_vgpr_workitem_id 0
		.amdhsa_next_free_vgpr 1
		.amdhsa_next_free_sgpr 0
		.amdhsa_accum_offset 4
		.amdhsa_reserve_vcc 0
		.amdhsa_reserve_flat_scratch 0
		.amdhsa_float_round_mode_32 0
		.amdhsa_float_round_mode_16_64 0
		.amdhsa_float_denorm_mode_32 3
		.amdhsa_float_denorm_mode_16_64 3
		.amdhsa_dx10_clamp 1
		.amdhsa_ieee_mode 1
		.amdhsa_fp16_overflow 0
		.amdhsa_tg_split 0
		.amdhsa_exception_fp_ieee_invalid_op 0
		.amdhsa_exception_fp_denorm_src 0
		.amdhsa_exception_fp_ieee_div_zero 0
		.amdhsa_exception_fp_ieee_overflow 0
		.amdhsa_exception_fp_ieee_underflow 0
		.amdhsa_exception_fp_ieee_inexact 0
		.amdhsa_exception_int_div_zero 0
	.end_amdhsa_kernel
	.section	.text._ZN7rocprim17ROCPRIM_400000_NS6detail17trampoline_kernelINS0_14default_configENS1_35radix_sort_onesweep_config_selectorIiNS0_10empty_typeEEEZZNS1_29radix_sort_onesweep_iterationIS3_Lb0EN6thrust23THRUST_200600_302600_NS6detail15normal_iteratorINS9_10device_ptrIiEEEESE_PS5_SF_jNS0_19identity_decomposerENS1_16block_id_wrapperIjLb1EEEEE10hipError_tT1_PNSt15iterator_traitsISK_E10value_typeET2_T3_PNSL_ISQ_E10value_typeET4_T5_PSV_SW_PNS1_23onesweep_lookback_stateEbbT6_jjT7_P12ihipStream_tbENKUlT_T0_SK_SP_E_clISE_PiSF_SF_EEDaS13_S14_SK_SP_EUlS13_E_NS1_11comp_targetILNS1_3genE5ELNS1_11target_archE942ELNS1_3gpuE9ELNS1_3repE0EEENS1_47radix_sort_onesweep_sort_config_static_selectorELNS0_4arch9wavefront6targetE1EEEvSK_,"axG",@progbits,_ZN7rocprim17ROCPRIM_400000_NS6detail17trampoline_kernelINS0_14default_configENS1_35radix_sort_onesweep_config_selectorIiNS0_10empty_typeEEEZZNS1_29radix_sort_onesweep_iterationIS3_Lb0EN6thrust23THRUST_200600_302600_NS6detail15normal_iteratorINS9_10device_ptrIiEEEESE_PS5_SF_jNS0_19identity_decomposerENS1_16block_id_wrapperIjLb1EEEEE10hipError_tT1_PNSt15iterator_traitsISK_E10value_typeET2_T3_PNSL_ISQ_E10value_typeET4_T5_PSV_SW_PNS1_23onesweep_lookback_stateEbbT6_jjT7_P12ihipStream_tbENKUlT_T0_SK_SP_E_clISE_PiSF_SF_EEDaS13_S14_SK_SP_EUlS13_E_NS1_11comp_targetILNS1_3genE5ELNS1_11target_archE942ELNS1_3gpuE9ELNS1_3repE0EEENS1_47radix_sort_onesweep_sort_config_static_selectorELNS0_4arch9wavefront6targetE1EEEvSK_,comdat
.Lfunc_end1757:
	.size	_ZN7rocprim17ROCPRIM_400000_NS6detail17trampoline_kernelINS0_14default_configENS1_35radix_sort_onesweep_config_selectorIiNS0_10empty_typeEEEZZNS1_29radix_sort_onesweep_iterationIS3_Lb0EN6thrust23THRUST_200600_302600_NS6detail15normal_iteratorINS9_10device_ptrIiEEEESE_PS5_SF_jNS0_19identity_decomposerENS1_16block_id_wrapperIjLb1EEEEE10hipError_tT1_PNSt15iterator_traitsISK_E10value_typeET2_T3_PNSL_ISQ_E10value_typeET4_T5_PSV_SW_PNS1_23onesweep_lookback_stateEbbT6_jjT7_P12ihipStream_tbENKUlT_T0_SK_SP_E_clISE_PiSF_SF_EEDaS13_S14_SK_SP_EUlS13_E_NS1_11comp_targetILNS1_3genE5ELNS1_11target_archE942ELNS1_3gpuE9ELNS1_3repE0EEENS1_47radix_sort_onesweep_sort_config_static_selectorELNS0_4arch9wavefront6targetE1EEEvSK_, .Lfunc_end1757-_ZN7rocprim17ROCPRIM_400000_NS6detail17trampoline_kernelINS0_14default_configENS1_35radix_sort_onesweep_config_selectorIiNS0_10empty_typeEEEZZNS1_29radix_sort_onesweep_iterationIS3_Lb0EN6thrust23THRUST_200600_302600_NS6detail15normal_iteratorINS9_10device_ptrIiEEEESE_PS5_SF_jNS0_19identity_decomposerENS1_16block_id_wrapperIjLb1EEEEE10hipError_tT1_PNSt15iterator_traitsISK_E10value_typeET2_T3_PNSL_ISQ_E10value_typeET4_T5_PSV_SW_PNS1_23onesweep_lookback_stateEbbT6_jjT7_P12ihipStream_tbENKUlT_T0_SK_SP_E_clISE_PiSF_SF_EEDaS13_S14_SK_SP_EUlS13_E_NS1_11comp_targetILNS1_3genE5ELNS1_11target_archE942ELNS1_3gpuE9ELNS1_3repE0EEENS1_47radix_sort_onesweep_sort_config_static_selectorELNS0_4arch9wavefront6targetE1EEEvSK_
                                        ; -- End function
	.section	.AMDGPU.csdata,"",@progbits
; Kernel info:
; codeLenInByte = 0
; NumSgprs: 4
; NumVgprs: 0
; NumAgprs: 0
; TotalNumVgprs: 0
; ScratchSize: 0
; MemoryBound: 0
; FloatMode: 240
; IeeeMode: 1
; LDSByteSize: 0 bytes/workgroup (compile time only)
; SGPRBlocks: 0
; VGPRBlocks: 0
; NumSGPRsForWavesPerEU: 4
; NumVGPRsForWavesPerEU: 1
; AccumOffset: 4
; Occupancy: 8
; WaveLimiterHint : 0
; COMPUTE_PGM_RSRC2:SCRATCH_EN: 0
; COMPUTE_PGM_RSRC2:USER_SGPR: 6
; COMPUTE_PGM_RSRC2:TRAP_HANDLER: 0
; COMPUTE_PGM_RSRC2:TGID_X_EN: 1
; COMPUTE_PGM_RSRC2:TGID_Y_EN: 0
; COMPUTE_PGM_RSRC2:TGID_Z_EN: 0
; COMPUTE_PGM_RSRC2:TIDIG_COMP_CNT: 0
; COMPUTE_PGM_RSRC3_GFX90A:ACCUM_OFFSET: 0
; COMPUTE_PGM_RSRC3_GFX90A:TG_SPLIT: 0
	.section	.text._ZN7rocprim17ROCPRIM_400000_NS6detail17trampoline_kernelINS0_14default_configENS1_35radix_sort_onesweep_config_selectorIiNS0_10empty_typeEEEZZNS1_29radix_sort_onesweep_iterationIS3_Lb0EN6thrust23THRUST_200600_302600_NS6detail15normal_iteratorINS9_10device_ptrIiEEEESE_PS5_SF_jNS0_19identity_decomposerENS1_16block_id_wrapperIjLb1EEEEE10hipError_tT1_PNSt15iterator_traitsISK_E10value_typeET2_T3_PNSL_ISQ_E10value_typeET4_T5_PSV_SW_PNS1_23onesweep_lookback_stateEbbT6_jjT7_P12ihipStream_tbENKUlT_T0_SK_SP_E_clISE_PiSF_SF_EEDaS13_S14_SK_SP_EUlS13_E_NS1_11comp_targetILNS1_3genE2ELNS1_11target_archE906ELNS1_3gpuE6ELNS1_3repE0EEENS1_47radix_sort_onesweep_sort_config_static_selectorELNS0_4arch9wavefront6targetE1EEEvSK_,"axG",@progbits,_ZN7rocprim17ROCPRIM_400000_NS6detail17trampoline_kernelINS0_14default_configENS1_35radix_sort_onesweep_config_selectorIiNS0_10empty_typeEEEZZNS1_29radix_sort_onesweep_iterationIS3_Lb0EN6thrust23THRUST_200600_302600_NS6detail15normal_iteratorINS9_10device_ptrIiEEEESE_PS5_SF_jNS0_19identity_decomposerENS1_16block_id_wrapperIjLb1EEEEE10hipError_tT1_PNSt15iterator_traitsISK_E10value_typeET2_T3_PNSL_ISQ_E10value_typeET4_T5_PSV_SW_PNS1_23onesweep_lookback_stateEbbT6_jjT7_P12ihipStream_tbENKUlT_T0_SK_SP_E_clISE_PiSF_SF_EEDaS13_S14_SK_SP_EUlS13_E_NS1_11comp_targetILNS1_3genE2ELNS1_11target_archE906ELNS1_3gpuE6ELNS1_3repE0EEENS1_47radix_sort_onesweep_sort_config_static_selectorELNS0_4arch9wavefront6targetE1EEEvSK_,comdat
	.protected	_ZN7rocprim17ROCPRIM_400000_NS6detail17trampoline_kernelINS0_14default_configENS1_35radix_sort_onesweep_config_selectorIiNS0_10empty_typeEEEZZNS1_29radix_sort_onesweep_iterationIS3_Lb0EN6thrust23THRUST_200600_302600_NS6detail15normal_iteratorINS9_10device_ptrIiEEEESE_PS5_SF_jNS0_19identity_decomposerENS1_16block_id_wrapperIjLb1EEEEE10hipError_tT1_PNSt15iterator_traitsISK_E10value_typeET2_T3_PNSL_ISQ_E10value_typeET4_T5_PSV_SW_PNS1_23onesweep_lookback_stateEbbT6_jjT7_P12ihipStream_tbENKUlT_T0_SK_SP_E_clISE_PiSF_SF_EEDaS13_S14_SK_SP_EUlS13_E_NS1_11comp_targetILNS1_3genE2ELNS1_11target_archE906ELNS1_3gpuE6ELNS1_3repE0EEENS1_47radix_sort_onesweep_sort_config_static_selectorELNS0_4arch9wavefront6targetE1EEEvSK_ ; -- Begin function _ZN7rocprim17ROCPRIM_400000_NS6detail17trampoline_kernelINS0_14default_configENS1_35radix_sort_onesweep_config_selectorIiNS0_10empty_typeEEEZZNS1_29radix_sort_onesweep_iterationIS3_Lb0EN6thrust23THRUST_200600_302600_NS6detail15normal_iteratorINS9_10device_ptrIiEEEESE_PS5_SF_jNS0_19identity_decomposerENS1_16block_id_wrapperIjLb1EEEEE10hipError_tT1_PNSt15iterator_traitsISK_E10value_typeET2_T3_PNSL_ISQ_E10value_typeET4_T5_PSV_SW_PNS1_23onesweep_lookback_stateEbbT6_jjT7_P12ihipStream_tbENKUlT_T0_SK_SP_E_clISE_PiSF_SF_EEDaS13_S14_SK_SP_EUlS13_E_NS1_11comp_targetILNS1_3genE2ELNS1_11target_archE906ELNS1_3gpuE6ELNS1_3repE0EEENS1_47radix_sort_onesweep_sort_config_static_selectorELNS0_4arch9wavefront6targetE1EEEvSK_
	.globl	_ZN7rocprim17ROCPRIM_400000_NS6detail17trampoline_kernelINS0_14default_configENS1_35radix_sort_onesweep_config_selectorIiNS0_10empty_typeEEEZZNS1_29radix_sort_onesweep_iterationIS3_Lb0EN6thrust23THRUST_200600_302600_NS6detail15normal_iteratorINS9_10device_ptrIiEEEESE_PS5_SF_jNS0_19identity_decomposerENS1_16block_id_wrapperIjLb1EEEEE10hipError_tT1_PNSt15iterator_traitsISK_E10value_typeET2_T3_PNSL_ISQ_E10value_typeET4_T5_PSV_SW_PNS1_23onesweep_lookback_stateEbbT6_jjT7_P12ihipStream_tbENKUlT_T0_SK_SP_E_clISE_PiSF_SF_EEDaS13_S14_SK_SP_EUlS13_E_NS1_11comp_targetILNS1_3genE2ELNS1_11target_archE906ELNS1_3gpuE6ELNS1_3repE0EEENS1_47radix_sort_onesweep_sort_config_static_selectorELNS0_4arch9wavefront6targetE1EEEvSK_
	.p2align	8
	.type	_ZN7rocprim17ROCPRIM_400000_NS6detail17trampoline_kernelINS0_14default_configENS1_35radix_sort_onesweep_config_selectorIiNS0_10empty_typeEEEZZNS1_29radix_sort_onesweep_iterationIS3_Lb0EN6thrust23THRUST_200600_302600_NS6detail15normal_iteratorINS9_10device_ptrIiEEEESE_PS5_SF_jNS0_19identity_decomposerENS1_16block_id_wrapperIjLb1EEEEE10hipError_tT1_PNSt15iterator_traitsISK_E10value_typeET2_T3_PNSL_ISQ_E10value_typeET4_T5_PSV_SW_PNS1_23onesweep_lookback_stateEbbT6_jjT7_P12ihipStream_tbENKUlT_T0_SK_SP_E_clISE_PiSF_SF_EEDaS13_S14_SK_SP_EUlS13_E_NS1_11comp_targetILNS1_3genE2ELNS1_11target_archE906ELNS1_3gpuE6ELNS1_3repE0EEENS1_47radix_sort_onesweep_sort_config_static_selectorELNS0_4arch9wavefront6targetE1EEEvSK_,@function
_ZN7rocprim17ROCPRIM_400000_NS6detail17trampoline_kernelINS0_14default_configENS1_35radix_sort_onesweep_config_selectorIiNS0_10empty_typeEEEZZNS1_29radix_sort_onesweep_iterationIS3_Lb0EN6thrust23THRUST_200600_302600_NS6detail15normal_iteratorINS9_10device_ptrIiEEEESE_PS5_SF_jNS0_19identity_decomposerENS1_16block_id_wrapperIjLb1EEEEE10hipError_tT1_PNSt15iterator_traitsISK_E10value_typeET2_T3_PNSL_ISQ_E10value_typeET4_T5_PSV_SW_PNS1_23onesweep_lookback_stateEbbT6_jjT7_P12ihipStream_tbENKUlT_T0_SK_SP_E_clISE_PiSF_SF_EEDaS13_S14_SK_SP_EUlS13_E_NS1_11comp_targetILNS1_3genE2ELNS1_11target_archE906ELNS1_3gpuE6ELNS1_3repE0EEENS1_47radix_sort_onesweep_sort_config_static_selectorELNS0_4arch9wavefront6targetE1EEEvSK_: ; @_ZN7rocprim17ROCPRIM_400000_NS6detail17trampoline_kernelINS0_14default_configENS1_35radix_sort_onesweep_config_selectorIiNS0_10empty_typeEEEZZNS1_29radix_sort_onesweep_iterationIS3_Lb0EN6thrust23THRUST_200600_302600_NS6detail15normal_iteratorINS9_10device_ptrIiEEEESE_PS5_SF_jNS0_19identity_decomposerENS1_16block_id_wrapperIjLb1EEEEE10hipError_tT1_PNSt15iterator_traitsISK_E10value_typeET2_T3_PNSL_ISQ_E10value_typeET4_T5_PSV_SW_PNS1_23onesweep_lookback_stateEbbT6_jjT7_P12ihipStream_tbENKUlT_T0_SK_SP_E_clISE_PiSF_SF_EEDaS13_S14_SK_SP_EUlS13_E_NS1_11comp_targetILNS1_3genE2ELNS1_11target_archE906ELNS1_3gpuE6ELNS1_3repE0EEENS1_47radix_sort_onesweep_sort_config_static_selectorELNS0_4arch9wavefront6targetE1EEEvSK_
; %bb.0:
	.section	.rodata,"a",@progbits
	.p2align	6, 0x0
	.amdhsa_kernel _ZN7rocprim17ROCPRIM_400000_NS6detail17trampoline_kernelINS0_14default_configENS1_35radix_sort_onesweep_config_selectorIiNS0_10empty_typeEEEZZNS1_29radix_sort_onesweep_iterationIS3_Lb0EN6thrust23THRUST_200600_302600_NS6detail15normal_iteratorINS9_10device_ptrIiEEEESE_PS5_SF_jNS0_19identity_decomposerENS1_16block_id_wrapperIjLb1EEEEE10hipError_tT1_PNSt15iterator_traitsISK_E10value_typeET2_T3_PNSL_ISQ_E10value_typeET4_T5_PSV_SW_PNS1_23onesweep_lookback_stateEbbT6_jjT7_P12ihipStream_tbENKUlT_T0_SK_SP_E_clISE_PiSF_SF_EEDaS13_S14_SK_SP_EUlS13_E_NS1_11comp_targetILNS1_3genE2ELNS1_11target_archE906ELNS1_3gpuE6ELNS1_3repE0EEENS1_47radix_sort_onesweep_sort_config_static_selectorELNS0_4arch9wavefront6targetE1EEEvSK_
		.amdhsa_group_segment_fixed_size 0
		.amdhsa_private_segment_fixed_size 0
		.amdhsa_kernarg_size 88
		.amdhsa_user_sgpr_count 6
		.amdhsa_user_sgpr_private_segment_buffer 1
		.amdhsa_user_sgpr_dispatch_ptr 0
		.amdhsa_user_sgpr_queue_ptr 0
		.amdhsa_user_sgpr_kernarg_segment_ptr 1
		.amdhsa_user_sgpr_dispatch_id 0
		.amdhsa_user_sgpr_flat_scratch_init 0
		.amdhsa_user_sgpr_kernarg_preload_length 0
		.amdhsa_user_sgpr_kernarg_preload_offset 0
		.amdhsa_user_sgpr_private_segment_size 0
		.amdhsa_uses_dynamic_stack 0
		.amdhsa_system_sgpr_private_segment_wavefront_offset 0
		.amdhsa_system_sgpr_workgroup_id_x 1
		.amdhsa_system_sgpr_workgroup_id_y 0
		.amdhsa_system_sgpr_workgroup_id_z 0
		.amdhsa_system_sgpr_workgroup_info 0
		.amdhsa_system_vgpr_workitem_id 0
		.amdhsa_next_free_vgpr 1
		.amdhsa_next_free_sgpr 0
		.amdhsa_accum_offset 4
		.amdhsa_reserve_vcc 0
		.amdhsa_reserve_flat_scratch 0
		.amdhsa_float_round_mode_32 0
		.amdhsa_float_round_mode_16_64 0
		.amdhsa_float_denorm_mode_32 3
		.amdhsa_float_denorm_mode_16_64 3
		.amdhsa_dx10_clamp 1
		.amdhsa_ieee_mode 1
		.amdhsa_fp16_overflow 0
		.amdhsa_tg_split 0
		.amdhsa_exception_fp_ieee_invalid_op 0
		.amdhsa_exception_fp_denorm_src 0
		.amdhsa_exception_fp_ieee_div_zero 0
		.amdhsa_exception_fp_ieee_overflow 0
		.amdhsa_exception_fp_ieee_underflow 0
		.amdhsa_exception_fp_ieee_inexact 0
		.amdhsa_exception_int_div_zero 0
	.end_amdhsa_kernel
	.section	.text._ZN7rocprim17ROCPRIM_400000_NS6detail17trampoline_kernelINS0_14default_configENS1_35radix_sort_onesweep_config_selectorIiNS0_10empty_typeEEEZZNS1_29radix_sort_onesweep_iterationIS3_Lb0EN6thrust23THRUST_200600_302600_NS6detail15normal_iteratorINS9_10device_ptrIiEEEESE_PS5_SF_jNS0_19identity_decomposerENS1_16block_id_wrapperIjLb1EEEEE10hipError_tT1_PNSt15iterator_traitsISK_E10value_typeET2_T3_PNSL_ISQ_E10value_typeET4_T5_PSV_SW_PNS1_23onesweep_lookback_stateEbbT6_jjT7_P12ihipStream_tbENKUlT_T0_SK_SP_E_clISE_PiSF_SF_EEDaS13_S14_SK_SP_EUlS13_E_NS1_11comp_targetILNS1_3genE2ELNS1_11target_archE906ELNS1_3gpuE6ELNS1_3repE0EEENS1_47radix_sort_onesweep_sort_config_static_selectorELNS0_4arch9wavefront6targetE1EEEvSK_,"axG",@progbits,_ZN7rocprim17ROCPRIM_400000_NS6detail17trampoline_kernelINS0_14default_configENS1_35radix_sort_onesweep_config_selectorIiNS0_10empty_typeEEEZZNS1_29radix_sort_onesweep_iterationIS3_Lb0EN6thrust23THRUST_200600_302600_NS6detail15normal_iteratorINS9_10device_ptrIiEEEESE_PS5_SF_jNS0_19identity_decomposerENS1_16block_id_wrapperIjLb1EEEEE10hipError_tT1_PNSt15iterator_traitsISK_E10value_typeET2_T3_PNSL_ISQ_E10value_typeET4_T5_PSV_SW_PNS1_23onesweep_lookback_stateEbbT6_jjT7_P12ihipStream_tbENKUlT_T0_SK_SP_E_clISE_PiSF_SF_EEDaS13_S14_SK_SP_EUlS13_E_NS1_11comp_targetILNS1_3genE2ELNS1_11target_archE906ELNS1_3gpuE6ELNS1_3repE0EEENS1_47radix_sort_onesweep_sort_config_static_selectorELNS0_4arch9wavefront6targetE1EEEvSK_,comdat
.Lfunc_end1758:
	.size	_ZN7rocprim17ROCPRIM_400000_NS6detail17trampoline_kernelINS0_14default_configENS1_35radix_sort_onesweep_config_selectorIiNS0_10empty_typeEEEZZNS1_29radix_sort_onesweep_iterationIS3_Lb0EN6thrust23THRUST_200600_302600_NS6detail15normal_iteratorINS9_10device_ptrIiEEEESE_PS5_SF_jNS0_19identity_decomposerENS1_16block_id_wrapperIjLb1EEEEE10hipError_tT1_PNSt15iterator_traitsISK_E10value_typeET2_T3_PNSL_ISQ_E10value_typeET4_T5_PSV_SW_PNS1_23onesweep_lookback_stateEbbT6_jjT7_P12ihipStream_tbENKUlT_T0_SK_SP_E_clISE_PiSF_SF_EEDaS13_S14_SK_SP_EUlS13_E_NS1_11comp_targetILNS1_3genE2ELNS1_11target_archE906ELNS1_3gpuE6ELNS1_3repE0EEENS1_47radix_sort_onesweep_sort_config_static_selectorELNS0_4arch9wavefront6targetE1EEEvSK_, .Lfunc_end1758-_ZN7rocprim17ROCPRIM_400000_NS6detail17trampoline_kernelINS0_14default_configENS1_35radix_sort_onesweep_config_selectorIiNS0_10empty_typeEEEZZNS1_29radix_sort_onesweep_iterationIS3_Lb0EN6thrust23THRUST_200600_302600_NS6detail15normal_iteratorINS9_10device_ptrIiEEEESE_PS5_SF_jNS0_19identity_decomposerENS1_16block_id_wrapperIjLb1EEEEE10hipError_tT1_PNSt15iterator_traitsISK_E10value_typeET2_T3_PNSL_ISQ_E10value_typeET4_T5_PSV_SW_PNS1_23onesweep_lookback_stateEbbT6_jjT7_P12ihipStream_tbENKUlT_T0_SK_SP_E_clISE_PiSF_SF_EEDaS13_S14_SK_SP_EUlS13_E_NS1_11comp_targetILNS1_3genE2ELNS1_11target_archE906ELNS1_3gpuE6ELNS1_3repE0EEENS1_47radix_sort_onesweep_sort_config_static_selectorELNS0_4arch9wavefront6targetE1EEEvSK_
                                        ; -- End function
	.section	.AMDGPU.csdata,"",@progbits
; Kernel info:
; codeLenInByte = 0
; NumSgprs: 4
; NumVgprs: 0
; NumAgprs: 0
; TotalNumVgprs: 0
; ScratchSize: 0
; MemoryBound: 0
; FloatMode: 240
; IeeeMode: 1
; LDSByteSize: 0 bytes/workgroup (compile time only)
; SGPRBlocks: 0
; VGPRBlocks: 0
; NumSGPRsForWavesPerEU: 4
; NumVGPRsForWavesPerEU: 1
; AccumOffset: 4
; Occupancy: 8
; WaveLimiterHint : 0
; COMPUTE_PGM_RSRC2:SCRATCH_EN: 0
; COMPUTE_PGM_RSRC2:USER_SGPR: 6
; COMPUTE_PGM_RSRC2:TRAP_HANDLER: 0
; COMPUTE_PGM_RSRC2:TGID_X_EN: 1
; COMPUTE_PGM_RSRC2:TGID_Y_EN: 0
; COMPUTE_PGM_RSRC2:TGID_Z_EN: 0
; COMPUTE_PGM_RSRC2:TIDIG_COMP_CNT: 0
; COMPUTE_PGM_RSRC3_GFX90A:ACCUM_OFFSET: 0
; COMPUTE_PGM_RSRC3_GFX90A:TG_SPLIT: 0
	.section	.text._ZN7rocprim17ROCPRIM_400000_NS6detail17trampoline_kernelINS0_14default_configENS1_35radix_sort_onesweep_config_selectorIiNS0_10empty_typeEEEZZNS1_29radix_sort_onesweep_iterationIS3_Lb0EN6thrust23THRUST_200600_302600_NS6detail15normal_iteratorINS9_10device_ptrIiEEEESE_PS5_SF_jNS0_19identity_decomposerENS1_16block_id_wrapperIjLb1EEEEE10hipError_tT1_PNSt15iterator_traitsISK_E10value_typeET2_T3_PNSL_ISQ_E10value_typeET4_T5_PSV_SW_PNS1_23onesweep_lookback_stateEbbT6_jjT7_P12ihipStream_tbENKUlT_T0_SK_SP_E_clISE_PiSF_SF_EEDaS13_S14_SK_SP_EUlS13_E_NS1_11comp_targetILNS1_3genE4ELNS1_11target_archE910ELNS1_3gpuE8ELNS1_3repE0EEENS1_47radix_sort_onesweep_sort_config_static_selectorELNS0_4arch9wavefront6targetE1EEEvSK_,"axG",@progbits,_ZN7rocprim17ROCPRIM_400000_NS6detail17trampoline_kernelINS0_14default_configENS1_35radix_sort_onesweep_config_selectorIiNS0_10empty_typeEEEZZNS1_29radix_sort_onesweep_iterationIS3_Lb0EN6thrust23THRUST_200600_302600_NS6detail15normal_iteratorINS9_10device_ptrIiEEEESE_PS5_SF_jNS0_19identity_decomposerENS1_16block_id_wrapperIjLb1EEEEE10hipError_tT1_PNSt15iterator_traitsISK_E10value_typeET2_T3_PNSL_ISQ_E10value_typeET4_T5_PSV_SW_PNS1_23onesweep_lookback_stateEbbT6_jjT7_P12ihipStream_tbENKUlT_T0_SK_SP_E_clISE_PiSF_SF_EEDaS13_S14_SK_SP_EUlS13_E_NS1_11comp_targetILNS1_3genE4ELNS1_11target_archE910ELNS1_3gpuE8ELNS1_3repE0EEENS1_47radix_sort_onesweep_sort_config_static_selectorELNS0_4arch9wavefront6targetE1EEEvSK_,comdat
	.protected	_ZN7rocprim17ROCPRIM_400000_NS6detail17trampoline_kernelINS0_14default_configENS1_35radix_sort_onesweep_config_selectorIiNS0_10empty_typeEEEZZNS1_29radix_sort_onesweep_iterationIS3_Lb0EN6thrust23THRUST_200600_302600_NS6detail15normal_iteratorINS9_10device_ptrIiEEEESE_PS5_SF_jNS0_19identity_decomposerENS1_16block_id_wrapperIjLb1EEEEE10hipError_tT1_PNSt15iterator_traitsISK_E10value_typeET2_T3_PNSL_ISQ_E10value_typeET4_T5_PSV_SW_PNS1_23onesweep_lookback_stateEbbT6_jjT7_P12ihipStream_tbENKUlT_T0_SK_SP_E_clISE_PiSF_SF_EEDaS13_S14_SK_SP_EUlS13_E_NS1_11comp_targetILNS1_3genE4ELNS1_11target_archE910ELNS1_3gpuE8ELNS1_3repE0EEENS1_47radix_sort_onesweep_sort_config_static_selectorELNS0_4arch9wavefront6targetE1EEEvSK_ ; -- Begin function _ZN7rocprim17ROCPRIM_400000_NS6detail17trampoline_kernelINS0_14default_configENS1_35radix_sort_onesweep_config_selectorIiNS0_10empty_typeEEEZZNS1_29radix_sort_onesweep_iterationIS3_Lb0EN6thrust23THRUST_200600_302600_NS6detail15normal_iteratorINS9_10device_ptrIiEEEESE_PS5_SF_jNS0_19identity_decomposerENS1_16block_id_wrapperIjLb1EEEEE10hipError_tT1_PNSt15iterator_traitsISK_E10value_typeET2_T3_PNSL_ISQ_E10value_typeET4_T5_PSV_SW_PNS1_23onesweep_lookback_stateEbbT6_jjT7_P12ihipStream_tbENKUlT_T0_SK_SP_E_clISE_PiSF_SF_EEDaS13_S14_SK_SP_EUlS13_E_NS1_11comp_targetILNS1_3genE4ELNS1_11target_archE910ELNS1_3gpuE8ELNS1_3repE0EEENS1_47radix_sort_onesweep_sort_config_static_selectorELNS0_4arch9wavefront6targetE1EEEvSK_
	.globl	_ZN7rocprim17ROCPRIM_400000_NS6detail17trampoline_kernelINS0_14default_configENS1_35radix_sort_onesweep_config_selectorIiNS0_10empty_typeEEEZZNS1_29radix_sort_onesweep_iterationIS3_Lb0EN6thrust23THRUST_200600_302600_NS6detail15normal_iteratorINS9_10device_ptrIiEEEESE_PS5_SF_jNS0_19identity_decomposerENS1_16block_id_wrapperIjLb1EEEEE10hipError_tT1_PNSt15iterator_traitsISK_E10value_typeET2_T3_PNSL_ISQ_E10value_typeET4_T5_PSV_SW_PNS1_23onesweep_lookback_stateEbbT6_jjT7_P12ihipStream_tbENKUlT_T0_SK_SP_E_clISE_PiSF_SF_EEDaS13_S14_SK_SP_EUlS13_E_NS1_11comp_targetILNS1_3genE4ELNS1_11target_archE910ELNS1_3gpuE8ELNS1_3repE0EEENS1_47radix_sort_onesweep_sort_config_static_selectorELNS0_4arch9wavefront6targetE1EEEvSK_
	.p2align	8
	.type	_ZN7rocprim17ROCPRIM_400000_NS6detail17trampoline_kernelINS0_14default_configENS1_35radix_sort_onesweep_config_selectorIiNS0_10empty_typeEEEZZNS1_29radix_sort_onesweep_iterationIS3_Lb0EN6thrust23THRUST_200600_302600_NS6detail15normal_iteratorINS9_10device_ptrIiEEEESE_PS5_SF_jNS0_19identity_decomposerENS1_16block_id_wrapperIjLb1EEEEE10hipError_tT1_PNSt15iterator_traitsISK_E10value_typeET2_T3_PNSL_ISQ_E10value_typeET4_T5_PSV_SW_PNS1_23onesweep_lookback_stateEbbT6_jjT7_P12ihipStream_tbENKUlT_T0_SK_SP_E_clISE_PiSF_SF_EEDaS13_S14_SK_SP_EUlS13_E_NS1_11comp_targetILNS1_3genE4ELNS1_11target_archE910ELNS1_3gpuE8ELNS1_3repE0EEENS1_47radix_sort_onesweep_sort_config_static_selectorELNS0_4arch9wavefront6targetE1EEEvSK_,@function
_ZN7rocprim17ROCPRIM_400000_NS6detail17trampoline_kernelINS0_14default_configENS1_35radix_sort_onesweep_config_selectorIiNS0_10empty_typeEEEZZNS1_29radix_sort_onesweep_iterationIS3_Lb0EN6thrust23THRUST_200600_302600_NS6detail15normal_iteratorINS9_10device_ptrIiEEEESE_PS5_SF_jNS0_19identity_decomposerENS1_16block_id_wrapperIjLb1EEEEE10hipError_tT1_PNSt15iterator_traitsISK_E10value_typeET2_T3_PNSL_ISQ_E10value_typeET4_T5_PSV_SW_PNS1_23onesweep_lookback_stateEbbT6_jjT7_P12ihipStream_tbENKUlT_T0_SK_SP_E_clISE_PiSF_SF_EEDaS13_S14_SK_SP_EUlS13_E_NS1_11comp_targetILNS1_3genE4ELNS1_11target_archE910ELNS1_3gpuE8ELNS1_3repE0EEENS1_47radix_sort_onesweep_sort_config_static_selectorELNS0_4arch9wavefront6targetE1EEEvSK_: ; @_ZN7rocprim17ROCPRIM_400000_NS6detail17trampoline_kernelINS0_14default_configENS1_35radix_sort_onesweep_config_selectorIiNS0_10empty_typeEEEZZNS1_29radix_sort_onesweep_iterationIS3_Lb0EN6thrust23THRUST_200600_302600_NS6detail15normal_iteratorINS9_10device_ptrIiEEEESE_PS5_SF_jNS0_19identity_decomposerENS1_16block_id_wrapperIjLb1EEEEE10hipError_tT1_PNSt15iterator_traitsISK_E10value_typeET2_T3_PNSL_ISQ_E10value_typeET4_T5_PSV_SW_PNS1_23onesweep_lookback_stateEbbT6_jjT7_P12ihipStream_tbENKUlT_T0_SK_SP_E_clISE_PiSF_SF_EEDaS13_S14_SK_SP_EUlS13_E_NS1_11comp_targetILNS1_3genE4ELNS1_11target_archE910ELNS1_3gpuE8ELNS1_3repE0EEENS1_47radix_sort_onesweep_sort_config_static_selectorELNS0_4arch9wavefront6targetE1EEEvSK_
; %bb.0:
	s_load_dwordx4 s[16:19], s[4:5], 0x28
	s_load_dwordx2 s[14:15], s[4:5], 0x38
	s_load_dwordx4 s[20:23], s[4:5], 0x44
	v_and_b32_e32 v2, 0x3ff, v0
	v_cmp_eq_u32_e64 s[0:1], 0, v2
	s_and_saveexec_b64 s[2:3], s[0:1]
	s_cbranch_execz .LBB1759_4
; %bb.1:
	s_mov_b64 s[10:11], exec
	v_mbcnt_lo_u32_b32 v1, s10, 0
	v_mbcnt_hi_u32_b32 v1, s11, v1
	v_cmp_eq_u32_e32 vcc, 0, v1
                                        ; implicit-def: $vgpr3
	s_and_saveexec_b64 s[8:9], vcc
	s_cbranch_execz .LBB1759_3
; %bb.2:
	s_load_dwordx2 s[12:13], s[4:5], 0x50
	s_bcnt1_i32_b64 s7, s[10:11]
	v_mov_b32_e32 v3, 0
	v_mov_b32_e32 v4, s7
	s_waitcnt lgkmcnt(0)
	global_atomic_add v3, v3, v4, s[12:13] glc
.LBB1759_3:
	s_or_b64 exec, exec, s[8:9]
	s_waitcnt vmcnt(0)
	v_readfirstlane_b32 s7, v3
	v_add_u32_e32 v1, s7, v1
	v_mov_b32_e32 v3, 0
	ds_write_b32 v3, v1 offset:20544
.LBB1759_4:
	s_or_b64 exec, exec, s[2:3]
	v_mov_b32_e32 v1, 0
	s_load_dwordx4 s[24:27], s[4:5], 0x0
	s_load_dword s2, s[4:5], 0x20
	s_waitcnt lgkmcnt(0)
	s_barrier
	ds_read_b32 v1, v1 offset:20544
	s_waitcnt lgkmcnt(0)
	s_barrier
	v_readfirstlane_b32 s30, v1
	v_cmp_le_u32_e32 vcc, s22, v1
	s_mul_i32 s28, s30, 0x3000
	v_mbcnt_lo_u32_b32 v1, -1, 0
	s_cbranch_vccz .LBB1759_83
; %bb.5:
	s_mul_i32 s7, s22, 0xffffd000
	s_mov_b32 s29, 0
	s_add_i32 s7, s7, s2
	s_lshl_b64 s[2:3], s[28:29], 2
	v_mbcnt_hi_u32_b32 v8, -1, v1
	s_add_u32 s2, s24, s2
	v_and_b32_e32 v3, 63, v8
	v_and_b32_e32 v4, 0x3c0, v2
	s_addc_u32 s3, s25, s3
	v_mul_u32_u24_e32 v6, 12, v4
	v_lshlrev_b32_e32 v4, 2, v3
	v_mov_b32_e32 v5, s3
	v_add_co_u32_e32 v4, vcc, s2, v4
	v_addc_co_u32_e32 v5, vcc, 0, v5, vcc
	v_lshlrev_b32_e32 v7, 2, v6
	v_add_co_u32_e32 v4, vcc, v4, v7
	v_addc_co_u32_e32 v5, vcc, 0, v5, vcc
	v_or_b32_e32 v6, v3, v6
	v_cmp_gt_u32_e32 vcc, s7, v6
	v_bfrev_b32_e32 v10, -2
	v_bfrev_b32_e32 v3, -2
	s_and_saveexec_b64 s[2:3], vcc
	s_cbranch_execz .LBB1759_7
; %bb.6:
	global_load_dword v3, v[4:5], off
.LBB1759_7:
	s_or_b64 exec, exec, s[2:3]
	v_or_b32_e32 v7, 64, v6
	v_cmp_gt_u32_e32 vcc, s7, v7
	s_and_saveexec_b64 s[2:3], vcc
	s_cbranch_execz .LBB1759_9
; %bb.8:
	global_load_dword v10, v[4:5], off offset:256
.LBB1759_9:
	s_or_b64 exec, exec, s[2:3]
	v_or_b32_e32 v7, 0x80, v6
	v_cmp_gt_u32_e32 vcc, s7, v7
	v_bfrev_b32_e32 v14, -2
	v_bfrev_b32_e32 v11, -2
	s_and_saveexec_b64 s[2:3], vcc
	s_cbranch_execz .LBB1759_11
; %bb.10:
	global_load_dword v11, v[4:5], off offset:512
.LBB1759_11:
	s_or_b64 exec, exec, s[2:3]
	v_or_b32_e32 v7, 0xc0, v6
	v_cmp_gt_u32_e32 vcc, s7, v7
	s_and_saveexec_b64 s[2:3], vcc
	s_cbranch_execz .LBB1759_13
; %bb.12:
	global_load_dword v14, v[4:5], off offset:768
.LBB1759_13:
	s_or_b64 exec, exec, s[2:3]
	v_add_u32_e32 v7, 0x100, v6
	v_cmp_gt_u32_e32 vcc, s7, v7
	v_bfrev_b32_e32 v23, -2
	v_bfrev_b32_e32 v17, -2
	s_and_saveexec_b64 s[2:3], vcc
	s_cbranch_execz .LBB1759_15
; %bb.14:
	global_load_dword v17, v[4:5], off offset:1024
.LBB1759_15:
	s_or_b64 exec, exec, s[2:3]
	v_add_u32_e32 v7, 0x140, v6
	v_cmp_gt_u32_e32 vcc, s7, v7
	s_and_saveexec_b64 s[2:3], vcc
	s_cbranch_execz .LBB1759_17
; %bb.16:
	global_load_dword v23, v[4:5], off offset:1280
.LBB1759_17:
	s_or_b64 exec, exec, s[2:3]
	v_add_u32_e32 v7, 0x180, v6
	v_cmp_gt_u32_e32 vcc, s7, v7
	v_bfrev_b32_e32 v34, -2
	v_bfrev_b32_e32 v28, -2
	s_and_saveexec_b64 s[2:3], vcc
	s_cbranch_execz .LBB1759_19
; %bb.18:
	global_load_dword v28, v[4:5], off offset:1536
.LBB1759_19:
	s_or_b64 exec, exec, s[2:3]
	v_add_u32_e32 v7, 0x1c0, v6
	;; [unrolled: 18-line block ×4, first 2 shown]
	v_cmp_gt_u32_e32 vcc, s7, v6
	s_and_saveexec_b64 s[2:3], vcc
	s_cbranch_execz .LBB1759_29
; %bb.28:
	global_load_dword v20, v[4:5], off offset:2816
.LBB1759_29:
	s_or_b64 exec, exec, s[2:3]
	s_load_dword s2, s[4:5], 0x64
	s_load_dword s29, s[4:5], 0x58
	s_add_u32 s3, s4, 0x58
	s_addc_u32 s8, s5, 0
	v_mov_b32_e32 v4, 0
	s_waitcnt lgkmcnt(0)
	s_lshr_b32 s9, s2, 16
	s_cmp_lt_u32 s6, s29
	s_cselect_b32 s2, 12, 18
	s_add_u32 s2, s3, s2
	s_addc_u32 s3, s8, 0
	global_load_ushort v6, v4, s[2:3]
	s_waitcnt vmcnt(1)
	v_xor_b32_e32 v3, 0x80000000, v3
	s_lshl_b32 s2, -1, s21
	v_lshrrev_b32_e32 v12, s20, v3
	s_not_b32 s31, s2
	v_and_b32_e32 v12, s31, v12
	v_and_b32_e32 v15, 1, v12
	v_bfe_u32 v5, v0, 10, 10
	v_bfe_u32 v7, v0, 20, 10
	v_add_co_u32_e32 v16, vcc, -1, v15
	v_mad_u32_u24 v7, v7, s9, v5
	v_lshlrev_b32_e32 v5, 30, v12
	v_addc_co_u32_e64 v18, s[2:3], 0, -1, vcc
	v_cmp_ne_u32_e32 vcc, 0, v15
	v_cmp_gt_i64_e64 s[2:3], 0, v[4:5]
	v_not_b32_e32 v15, v5
	v_lshlrev_b32_e32 v5, 29, v12
	v_xor_b32_e32 v18, vcc_hi, v18
	v_xor_b32_e32 v16, vcc_lo, v16
	v_ashrrev_i32_e32 v15, 31, v15
	v_cmp_gt_i64_e32 vcc, 0, v[4:5]
	v_not_b32_e32 v19, v5
	v_lshlrev_b32_e32 v5, 28, v12
	v_and_b32_e32 v18, exec_hi, v18
	v_and_b32_e32 v16, exec_lo, v16
	v_xor_b32_e32 v21, s3, v15
	v_xor_b32_e32 v15, s2, v15
	v_ashrrev_i32_e32 v19, 31, v19
	v_cmp_gt_i64_e64 s[2:3], 0, v[4:5]
	v_not_b32_e32 v22, v5
	v_lshlrev_b32_e32 v5, 27, v12
	v_and_b32_e32 v18, v18, v21
	v_and_b32_e32 v15, v16, v15
	v_xor_b32_e32 v16, vcc_hi, v19
	v_xor_b32_e32 v19, vcc_lo, v19
	v_ashrrev_i32_e32 v21, 31, v22
	v_cmp_gt_i64_e32 vcc, 0, v[4:5]
	v_not_b32_e32 v22, v5
	v_lshlrev_b32_e32 v5, 26, v12
	v_and_b32_e32 v16, v18, v16
	v_and_b32_e32 v15, v15, v19
	v_xor_b32_e32 v18, s3, v21
	v_xor_b32_e32 v19, s2, v21
	v_ashrrev_i32_e32 v21, 31, v22
	v_cmp_gt_i64_e64 s[2:3], 0, v[4:5]
	v_not_b32_e32 v22, v5
	v_lshlrev_b32_e32 v5, 25, v12
	v_and_b32_e32 v16, v16, v18
	v_and_b32_e32 v15, v15, v19
	v_xor_b32_e32 v18, vcc_hi, v21
	v_xor_b32_e32 v19, vcc_lo, v21
	v_ashrrev_i32_e32 v21, 31, v22
	v_cmp_gt_i64_e32 vcc, 0, v[4:5]
	v_not_b32_e32 v22, v5
	v_lshlrev_b32_e32 v5, 24, v12
	v_lshl_add_u32 v13, v12, 4, v12
	v_and_b32_e32 v12, v16, v18
	v_and_b32_e32 v15, v15, v19
	v_xor_b32_e32 v16, s3, v21
	v_xor_b32_e32 v18, s2, v21
	v_ashrrev_i32_e32 v19, 31, v22
	v_cmp_gt_i64_e64 s[2:3], 0, v[4:5]
	v_not_b32_e32 v5, v5
	v_and_b32_e32 v12, v12, v16
	v_and_b32_e32 v15, v15, v18
	v_xor_b32_e32 v16, vcc_hi, v19
	v_xor_b32_e32 v18, vcc_lo, v19
	v_ashrrev_i32_e32 v5, 31, v5
	v_and_b32_e32 v12, v12, v16
	v_and_b32_e32 v15, v15, v18
	v_mul_u32_u24_e32 v9, 5, v2
	v_lshlrev_b32_e32 v9, 2, v9
	ds_write2_b32 v9, v4, v4 offset0:16 offset1:17
	ds_write2_b32 v9, v4, v4 offset0:18 offset1:19
	ds_write_b32 v9, v4 offset:80
	s_waitcnt lgkmcnt(0)
	s_barrier
	s_waitcnt lgkmcnt(0)
	; wave barrier
	s_waitcnt vmcnt(0)
	v_mad_u64_u32 v[6:7], s[8:9], v7, v6, v[2:3]
	v_lshrrev_b32_e32 v29, 6, v6
	v_xor_b32_e32 v6, s3, v5
	v_xor_b32_e32 v5, s2, v5
	v_and_b32_e32 v7, v12, v6
	v_and_b32_e32 v6, v15, v5
	v_mbcnt_lo_u32_b32 v5, v6, 0
	v_mbcnt_hi_u32_b32 v12, v7, v5
	v_cmp_eq_u32_e32 vcc, 0, v12
	v_cmp_ne_u64_e64 s[2:3], 0, v[6:7]
	v_add_lshl_u32 v18, v29, v13, 2
	s_and_b64 s[8:9], s[2:3], vcc
	s_and_saveexec_b64 s[2:3], s[8:9]
	s_cbranch_execz .LBB1759_31
; %bb.30:
	v_bcnt_u32_b32 v5, v6, 0
	v_bcnt_u32_b32 v5, v7, v5
	ds_write_b32 v18, v5 offset:64
.LBB1759_31:
	s_or_b64 exec, exec, s[2:3]
	v_xor_b32_e32 v10, 0x80000000, v10
	v_lshrrev_b32_e32 v5, s20, v10
	v_and_b32_e32 v6, s31, v5
	v_lshl_add_u32 v5, v6, 4, v6
	v_add_lshl_u32 v19, v29, v5, 2
	v_and_b32_e32 v5, 1, v6
	v_add_co_u32_e32 v7, vcc, -1, v5
	v_addc_co_u32_e64 v15, s[2:3], 0, -1, vcc
	v_cmp_ne_u32_e32 vcc, 0, v5
	v_xor_b32_e32 v5, vcc_hi, v15
	v_and_b32_e32 v15, exec_hi, v5
	v_lshlrev_b32_e32 v5, 30, v6
	v_xor_b32_e32 v7, vcc_lo, v7
	v_cmp_gt_i64_e32 vcc, 0, v[4:5]
	v_not_b32_e32 v5, v5
	v_ashrrev_i32_e32 v5, 31, v5
	v_and_b32_e32 v7, exec_lo, v7
	v_xor_b32_e32 v16, vcc_hi, v5
	v_xor_b32_e32 v5, vcc_lo, v5
	v_and_b32_e32 v7, v7, v5
	v_lshlrev_b32_e32 v5, 29, v6
	v_cmp_gt_i64_e32 vcc, 0, v[4:5]
	v_not_b32_e32 v5, v5
	v_ashrrev_i32_e32 v5, 31, v5
	v_and_b32_e32 v15, v15, v16
	v_xor_b32_e32 v16, vcc_hi, v5
	v_xor_b32_e32 v5, vcc_lo, v5
	v_and_b32_e32 v7, v7, v5
	v_lshlrev_b32_e32 v5, 28, v6
	v_cmp_gt_i64_e32 vcc, 0, v[4:5]
	v_not_b32_e32 v5, v5
	v_ashrrev_i32_e32 v5, 31, v5
	v_and_b32_e32 v15, v15, v16
	;; [unrolled: 8-line block ×5, first 2 shown]
	v_xor_b32_e32 v16, vcc_hi, v5
	v_xor_b32_e32 v5, vcc_lo, v5
	v_and_b32_e32 v7, v7, v5
	v_lshlrev_b32_e32 v5, 24, v6
	v_cmp_gt_i64_e32 vcc, 0, v[4:5]
	v_not_b32_e32 v4, v5
	v_ashrrev_i32_e32 v4, 31, v4
	v_xor_b32_e32 v5, vcc_hi, v4
	v_xor_b32_e32 v4, vcc_lo, v4
	; wave barrier
	ds_read_b32 v13, v19 offset:64
	v_and_b32_e32 v15, v15, v16
	v_and_b32_e32 v4, v7, v4
	;; [unrolled: 1-line block ×3, first 2 shown]
	v_mbcnt_lo_u32_b32 v6, v4, 0
	v_mbcnt_hi_u32_b32 v15, v5, v6
	v_cmp_eq_u32_e32 vcc, 0, v15
	v_cmp_ne_u64_e64 s[2:3], 0, v[4:5]
	s_and_b64 s[8:9], s[2:3], vcc
	; wave barrier
	s_and_saveexec_b64 s[2:3], s[8:9]
	s_cbranch_execz .LBB1759_33
; %bb.32:
	v_bcnt_u32_b32 v4, v4, 0
	v_bcnt_u32_b32 v4, v5, v4
	s_waitcnt lgkmcnt(0)
	v_add_u32_e32 v4, v13, v4
	ds_write_b32 v19, v4 offset:64
.LBB1759_33:
	s_or_b64 exec, exec, s[2:3]
	v_xor_b32_e32 v11, 0x80000000, v11
	v_lshrrev_b32_e32 v4, s20, v11
	v_and_b32_e32 v6, s31, v4
	v_and_b32_e32 v5, 1, v6
	v_add_co_u32_e32 v7, vcc, -1, v5
	v_addc_co_u32_e64 v21, s[2:3], 0, -1, vcc
	v_cmp_ne_u32_e32 vcc, 0, v5
	v_lshl_add_u32 v4, v6, 4, v6
	v_xor_b32_e32 v5, vcc_hi, v21
	v_add_lshl_u32 v24, v29, v4, 2
	v_mov_b32_e32 v4, 0
	v_and_b32_e32 v21, exec_hi, v5
	v_lshlrev_b32_e32 v5, 30, v6
	v_xor_b32_e32 v7, vcc_lo, v7
	v_cmp_gt_i64_e32 vcc, 0, v[4:5]
	v_not_b32_e32 v5, v5
	v_ashrrev_i32_e32 v5, 31, v5
	v_and_b32_e32 v7, exec_lo, v7
	v_xor_b32_e32 v22, vcc_hi, v5
	v_xor_b32_e32 v5, vcc_lo, v5
	v_and_b32_e32 v7, v7, v5
	v_lshlrev_b32_e32 v5, 29, v6
	v_cmp_gt_i64_e32 vcc, 0, v[4:5]
	v_not_b32_e32 v5, v5
	v_ashrrev_i32_e32 v5, 31, v5
	v_and_b32_e32 v21, v21, v22
	v_xor_b32_e32 v22, vcc_hi, v5
	v_xor_b32_e32 v5, vcc_lo, v5
	v_and_b32_e32 v7, v7, v5
	v_lshlrev_b32_e32 v5, 28, v6
	v_cmp_gt_i64_e32 vcc, 0, v[4:5]
	v_not_b32_e32 v5, v5
	v_ashrrev_i32_e32 v5, 31, v5
	v_and_b32_e32 v21, v21, v22
	;; [unrolled: 8-line block ×5, first 2 shown]
	v_xor_b32_e32 v22, vcc_hi, v5
	v_xor_b32_e32 v5, vcc_lo, v5
	v_and_b32_e32 v21, v21, v22
	v_and_b32_e32 v22, v7, v5
	v_lshlrev_b32_e32 v5, 24, v6
	v_cmp_gt_i64_e32 vcc, 0, v[4:5]
	v_not_b32_e32 v5, v5
	v_ashrrev_i32_e32 v5, 31, v5
	v_xor_b32_e32 v6, vcc_hi, v5
	v_xor_b32_e32 v5, vcc_lo, v5
	; wave barrier
	ds_read_b32 v16, v24 offset:64
	v_and_b32_e32 v7, v21, v6
	v_and_b32_e32 v6, v22, v5
	v_mbcnt_lo_u32_b32 v5, v6, 0
	v_mbcnt_hi_u32_b32 v21, v7, v5
	v_cmp_eq_u32_e32 vcc, 0, v21
	v_cmp_ne_u64_e64 s[2:3], 0, v[6:7]
	s_and_b64 s[8:9], s[2:3], vcc
	; wave barrier
	s_and_saveexec_b64 s[2:3], s[8:9]
	s_cbranch_execz .LBB1759_35
; %bb.34:
	v_bcnt_u32_b32 v5, v6, 0
	v_bcnt_u32_b32 v5, v7, v5
	s_waitcnt lgkmcnt(0)
	v_add_u32_e32 v5, v16, v5
	ds_write_b32 v24, v5 offset:64
.LBB1759_35:
	s_or_b64 exec, exec, s[2:3]
	v_xor_b32_e32 v14, 0x80000000, v14
	v_lshrrev_b32_e32 v5, s20, v14
	v_and_b32_e32 v6, s31, v5
	v_lshl_add_u32 v5, v6, 4, v6
	v_add_lshl_u32 v31, v29, v5, 2
	v_and_b32_e32 v5, 1, v6
	v_add_co_u32_e32 v7, vcc, -1, v5
	v_addc_co_u32_e64 v26, s[2:3], 0, -1, vcc
	v_cmp_ne_u32_e32 vcc, 0, v5
	v_xor_b32_e32 v5, vcc_hi, v26
	v_and_b32_e32 v26, exec_hi, v5
	v_lshlrev_b32_e32 v5, 30, v6
	v_xor_b32_e32 v7, vcc_lo, v7
	v_cmp_gt_i64_e32 vcc, 0, v[4:5]
	v_not_b32_e32 v5, v5
	v_ashrrev_i32_e32 v5, 31, v5
	v_and_b32_e32 v7, exec_lo, v7
	v_xor_b32_e32 v27, vcc_hi, v5
	v_xor_b32_e32 v5, vcc_lo, v5
	v_and_b32_e32 v7, v7, v5
	v_lshlrev_b32_e32 v5, 29, v6
	v_cmp_gt_i64_e32 vcc, 0, v[4:5]
	v_not_b32_e32 v5, v5
	v_ashrrev_i32_e32 v5, 31, v5
	v_and_b32_e32 v26, v26, v27
	v_xor_b32_e32 v27, vcc_hi, v5
	v_xor_b32_e32 v5, vcc_lo, v5
	v_and_b32_e32 v7, v7, v5
	v_lshlrev_b32_e32 v5, 28, v6
	v_cmp_gt_i64_e32 vcc, 0, v[4:5]
	v_not_b32_e32 v5, v5
	v_ashrrev_i32_e32 v5, 31, v5
	v_and_b32_e32 v26, v26, v27
	;; [unrolled: 8-line block ×5, first 2 shown]
	v_xor_b32_e32 v27, vcc_hi, v5
	v_xor_b32_e32 v5, vcc_lo, v5
	v_and_b32_e32 v7, v7, v5
	v_lshlrev_b32_e32 v5, 24, v6
	v_cmp_gt_i64_e32 vcc, 0, v[4:5]
	v_not_b32_e32 v4, v5
	v_ashrrev_i32_e32 v4, 31, v4
	v_xor_b32_e32 v5, vcc_hi, v4
	v_xor_b32_e32 v4, vcc_lo, v4
	; wave barrier
	ds_read_b32 v22, v31 offset:64
	v_and_b32_e32 v26, v26, v27
	v_and_b32_e32 v4, v7, v4
	v_and_b32_e32 v5, v26, v5
	v_mbcnt_lo_u32_b32 v6, v4, 0
	v_mbcnt_hi_u32_b32 v26, v5, v6
	v_cmp_eq_u32_e32 vcc, 0, v26
	v_cmp_ne_u64_e64 s[2:3], 0, v[4:5]
	s_and_b64 s[8:9], s[2:3], vcc
	; wave barrier
	s_and_saveexec_b64 s[2:3], s[8:9]
	s_cbranch_execz .LBB1759_37
; %bb.36:
	v_bcnt_u32_b32 v4, v4, 0
	v_bcnt_u32_b32 v4, v5, v4
	s_waitcnt lgkmcnt(0)
	v_add_u32_e32 v4, v22, v4
	ds_write_b32 v31, v4 offset:64
.LBB1759_37:
	s_or_b64 exec, exec, s[2:3]
	v_xor_b32_e32 v17, 0x80000000, v17
	v_lshrrev_b32_e32 v4, s20, v17
	v_and_b32_e32 v6, s31, v4
	v_and_b32_e32 v5, 1, v6
	v_add_co_u32_e32 v7, vcc, -1, v5
	v_addc_co_u32_e64 v32, s[2:3], 0, -1, vcc
	v_cmp_ne_u32_e32 vcc, 0, v5
	v_lshl_add_u32 v4, v6, 4, v6
	v_xor_b32_e32 v5, vcc_hi, v32
	v_add_lshl_u32 v36, v29, v4, 2
	v_mov_b32_e32 v4, 0
	v_and_b32_e32 v32, exec_hi, v5
	v_lshlrev_b32_e32 v5, 30, v6
	v_xor_b32_e32 v7, vcc_lo, v7
	v_cmp_gt_i64_e32 vcc, 0, v[4:5]
	v_not_b32_e32 v5, v5
	v_ashrrev_i32_e32 v5, 31, v5
	v_and_b32_e32 v7, exec_lo, v7
	v_xor_b32_e32 v33, vcc_hi, v5
	v_xor_b32_e32 v5, vcc_lo, v5
	v_and_b32_e32 v7, v7, v5
	v_lshlrev_b32_e32 v5, 29, v6
	v_cmp_gt_i64_e32 vcc, 0, v[4:5]
	v_not_b32_e32 v5, v5
	v_ashrrev_i32_e32 v5, 31, v5
	v_and_b32_e32 v32, v32, v33
	v_xor_b32_e32 v33, vcc_hi, v5
	v_xor_b32_e32 v5, vcc_lo, v5
	v_and_b32_e32 v7, v7, v5
	v_lshlrev_b32_e32 v5, 28, v6
	v_cmp_gt_i64_e32 vcc, 0, v[4:5]
	v_not_b32_e32 v5, v5
	v_ashrrev_i32_e32 v5, 31, v5
	v_and_b32_e32 v32, v32, v33
	;; [unrolled: 8-line block ×5, first 2 shown]
	v_xor_b32_e32 v33, vcc_hi, v5
	v_xor_b32_e32 v5, vcc_lo, v5
	v_and_b32_e32 v32, v32, v33
	v_and_b32_e32 v33, v7, v5
	v_lshlrev_b32_e32 v5, 24, v6
	v_cmp_gt_i64_e32 vcc, 0, v[4:5]
	v_not_b32_e32 v5, v5
	v_ashrrev_i32_e32 v5, 31, v5
	v_xor_b32_e32 v6, vcc_hi, v5
	v_xor_b32_e32 v5, vcc_lo, v5
	; wave barrier
	ds_read_b32 v27, v36 offset:64
	v_and_b32_e32 v7, v32, v6
	v_and_b32_e32 v6, v33, v5
	v_mbcnt_lo_u32_b32 v5, v6, 0
	v_mbcnt_hi_u32_b32 v32, v7, v5
	v_cmp_eq_u32_e32 vcc, 0, v32
	v_cmp_ne_u64_e64 s[2:3], 0, v[6:7]
	s_and_b64 s[8:9], s[2:3], vcc
	; wave barrier
	s_and_saveexec_b64 s[2:3], s[8:9]
	s_cbranch_execz .LBB1759_39
; %bb.38:
	v_bcnt_u32_b32 v5, v6, 0
	v_bcnt_u32_b32 v5, v7, v5
	s_waitcnt lgkmcnt(0)
	v_add_u32_e32 v5, v27, v5
	ds_write_b32 v36, v5 offset:64
.LBB1759_39:
	s_or_b64 exec, exec, s[2:3]
	v_xor_b32_e32 v23, 0x80000000, v23
	v_lshrrev_b32_e32 v5, s20, v23
	v_and_b32_e32 v6, s31, v5
	v_lshl_add_u32 v5, v6, 4, v6
	v_add_lshl_u32 v39, v29, v5, 2
	v_and_b32_e32 v5, 1, v6
	v_add_co_u32_e32 v7, vcc, -1, v5
	v_addc_co_u32_e64 v37, s[2:3], 0, -1, vcc
	v_cmp_ne_u32_e32 vcc, 0, v5
	v_xor_b32_e32 v5, vcc_hi, v37
	v_and_b32_e32 v37, exec_hi, v5
	v_lshlrev_b32_e32 v5, 30, v6
	v_xor_b32_e32 v7, vcc_lo, v7
	v_cmp_gt_i64_e32 vcc, 0, v[4:5]
	v_not_b32_e32 v5, v5
	v_ashrrev_i32_e32 v5, 31, v5
	v_and_b32_e32 v7, exec_lo, v7
	v_xor_b32_e32 v38, vcc_hi, v5
	v_xor_b32_e32 v5, vcc_lo, v5
	v_and_b32_e32 v7, v7, v5
	v_lshlrev_b32_e32 v5, 29, v6
	v_cmp_gt_i64_e32 vcc, 0, v[4:5]
	v_not_b32_e32 v5, v5
	v_ashrrev_i32_e32 v5, 31, v5
	v_and_b32_e32 v37, v37, v38
	v_xor_b32_e32 v38, vcc_hi, v5
	v_xor_b32_e32 v5, vcc_lo, v5
	v_and_b32_e32 v7, v7, v5
	v_lshlrev_b32_e32 v5, 28, v6
	v_cmp_gt_i64_e32 vcc, 0, v[4:5]
	v_not_b32_e32 v5, v5
	v_ashrrev_i32_e32 v5, 31, v5
	v_and_b32_e32 v37, v37, v38
	;; [unrolled: 8-line block ×5, first 2 shown]
	v_xor_b32_e32 v38, vcc_hi, v5
	v_xor_b32_e32 v5, vcc_lo, v5
	v_and_b32_e32 v7, v7, v5
	v_lshlrev_b32_e32 v5, 24, v6
	v_cmp_gt_i64_e32 vcc, 0, v[4:5]
	v_not_b32_e32 v4, v5
	v_ashrrev_i32_e32 v4, 31, v4
	v_xor_b32_e32 v5, vcc_hi, v4
	v_xor_b32_e32 v4, vcc_lo, v4
	; wave barrier
	ds_read_b32 v33, v39 offset:64
	v_and_b32_e32 v37, v37, v38
	v_and_b32_e32 v4, v7, v4
	;; [unrolled: 1-line block ×3, first 2 shown]
	v_mbcnt_lo_u32_b32 v6, v4, 0
	v_mbcnt_hi_u32_b32 v37, v5, v6
	v_cmp_eq_u32_e32 vcc, 0, v37
	v_cmp_ne_u64_e64 s[2:3], 0, v[4:5]
	s_and_b64 s[8:9], s[2:3], vcc
	; wave barrier
	s_and_saveexec_b64 s[2:3], s[8:9]
	s_cbranch_execz .LBB1759_41
; %bb.40:
	v_bcnt_u32_b32 v4, v4, 0
	v_bcnt_u32_b32 v4, v5, v4
	s_waitcnt lgkmcnt(0)
	v_add_u32_e32 v4, v33, v4
	ds_write_b32 v39, v4 offset:64
.LBB1759_41:
	s_or_b64 exec, exec, s[2:3]
	v_xor_b32_e32 v28, 0x80000000, v28
	v_lshrrev_b32_e32 v4, s20, v28
	v_and_b32_e32 v6, s31, v4
	v_and_b32_e32 v5, 1, v6
	v_add_co_u32_e32 v7, vcc, -1, v5
	v_addc_co_u32_e64 v40, s[2:3], 0, -1, vcc
	v_cmp_ne_u32_e32 vcc, 0, v5
	v_lshl_add_u32 v4, v6, 4, v6
	v_xor_b32_e32 v5, vcc_hi, v40
	v_add_lshl_u32 v42, v29, v4, 2
	v_mov_b32_e32 v4, 0
	v_and_b32_e32 v40, exec_hi, v5
	v_lshlrev_b32_e32 v5, 30, v6
	v_xor_b32_e32 v7, vcc_lo, v7
	v_cmp_gt_i64_e32 vcc, 0, v[4:5]
	v_not_b32_e32 v5, v5
	v_ashrrev_i32_e32 v5, 31, v5
	v_and_b32_e32 v7, exec_lo, v7
	v_xor_b32_e32 v41, vcc_hi, v5
	v_xor_b32_e32 v5, vcc_lo, v5
	v_and_b32_e32 v7, v7, v5
	v_lshlrev_b32_e32 v5, 29, v6
	v_cmp_gt_i64_e32 vcc, 0, v[4:5]
	v_not_b32_e32 v5, v5
	v_ashrrev_i32_e32 v5, 31, v5
	v_and_b32_e32 v40, v40, v41
	v_xor_b32_e32 v41, vcc_hi, v5
	v_xor_b32_e32 v5, vcc_lo, v5
	v_and_b32_e32 v7, v7, v5
	v_lshlrev_b32_e32 v5, 28, v6
	v_cmp_gt_i64_e32 vcc, 0, v[4:5]
	v_not_b32_e32 v5, v5
	v_ashrrev_i32_e32 v5, 31, v5
	v_and_b32_e32 v40, v40, v41
	;; [unrolled: 8-line block ×5, first 2 shown]
	v_xor_b32_e32 v41, vcc_hi, v5
	v_xor_b32_e32 v5, vcc_lo, v5
	v_and_b32_e32 v40, v40, v41
	v_and_b32_e32 v41, v7, v5
	v_lshlrev_b32_e32 v5, 24, v6
	v_cmp_gt_i64_e32 vcc, 0, v[4:5]
	v_not_b32_e32 v5, v5
	v_ashrrev_i32_e32 v5, 31, v5
	v_xor_b32_e32 v6, vcc_hi, v5
	v_xor_b32_e32 v5, vcc_lo, v5
	; wave barrier
	ds_read_b32 v38, v42 offset:64
	v_and_b32_e32 v7, v40, v6
	v_and_b32_e32 v6, v41, v5
	v_mbcnt_lo_u32_b32 v5, v6, 0
	v_mbcnt_hi_u32_b32 v40, v7, v5
	v_cmp_eq_u32_e32 vcc, 0, v40
	v_cmp_ne_u64_e64 s[2:3], 0, v[6:7]
	s_and_b64 s[8:9], s[2:3], vcc
	; wave barrier
	s_and_saveexec_b64 s[2:3], s[8:9]
	s_cbranch_execz .LBB1759_43
; %bb.42:
	v_bcnt_u32_b32 v5, v6, 0
	v_bcnt_u32_b32 v5, v7, v5
	s_waitcnt lgkmcnt(0)
	v_add_u32_e32 v5, v38, v5
	ds_write_b32 v42, v5 offset:64
.LBB1759_43:
	s_or_b64 exec, exec, s[2:3]
	v_xor_b32_e32 v34, 0x80000000, v34
	v_lshrrev_b32_e32 v5, s20, v34
	v_and_b32_e32 v6, s31, v5
	v_lshl_add_u32 v5, v6, 4, v6
	v_add_lshl_u32 v45, v29, v5, 2
	v_and_b32_e32 v5, 1, v6
	v_add_co_u32_e32 v7, vcc, -1, v5
	v_addc_co_u32_e64 v43, s[2:3], 0, -1, vcc
	v_cmp_ne_u32_e32 vcc, 0, v5
	v_xor_b32_e32 v5, vcc_hi, v43
	v_and_b32_e32 v43, exec_hi, v5
	v_lshlrev_b32_e32 v5, 30, v6
	v_xor_b32_e32 v7, vcc_lo, v7
	v_cmp_gt_i64_e32 vcc, 0, v[4:5]
	v_not_b32_e32 v5, v5
	v_ashrrev_i32_e32 v5, 31, v5
	v_and_b32_e32 v7, exec_lo, v7
	v_xor_b32_e32 v44, vcc_hi, v5
	v_xor_b32_e32 v5, vcc_lo, v5
	v_and_b32_e32 v7, v7, v5
	v_lshlrev_b32_e32 v5, 29, v6
	v_cmp_gt_i64_e32 vcc, 0, v[4:5]
	v_not_b32_e32 v5, v5
	v_ashrrev_i32_e32 v5, 31, v5
	v_and_b32_e32 v43, v43, v44
	v_xor_b32_e32 v44, vcc_hi, v5
	v_xor_b32_e32 v5, vcc_lo, v5
	v_and_b32_e32 v7, v7, v5
	v_lshlrev_b32_e32 v5, 28, v6
	v_cmp_gt_i64_e32 vcc, 0, v[4:5]
	v_not_b32_e32 v5, v5
	v_ashrrev_i32_e32 v5, 31, v5
	v_and_b32_e32 v43, v43, v44
	v_xor_b32_e32 v44, vcc_hi, v5
	v_xor_b32_e32 v5, vcc_lo, v5
	v_and_b32_e32 v7, v7, v5
	v_lshlrev_b32_e32 v5, 27, v6
	v_cmp_gt_i64_e32 vcc, 0, v[4:5]
	v_not_b32_e32 v5, v5
	v_ashrrev_i32_e32 v5, 31, v5
	v_and_b32_e32 v43, v43, v44
	v_xor_b32_e32 v44, vcc_hi, v5
	v_xor_b32_e32 v5, vcc_lo, v5
	v_and_b32_e32 v7, v7, v5
	v_lshlrev_b32_e32 v5, 26, v6
	v_cmp_gt_i64_e32 vcc, 0, v[4:5]
	v_not_b32_e32 v5, v5
	v_ashrrev_i32_e32 v5, 31, v5
	v_and_b32_e32 v43, v43, v44
	v_xor_b32_e32 v44, vcc_hi, v5
	v_xor_b32_e32 v5, vcc_lo, v5
	v_and_b32_e32 v7, v7, v5
	v_lshlrev_b32_e32 v5, 25, v6
	v_cmp_gt_i64_e32 vcc, 0, v[4:5]
	v_not_b32_e32 v5, v5
	v_ashrrev_i32_e32 v5, 31, v5
	v_and_b32_e32 v43, v43, v44
	v_xor_b32_e32 v44, vcc_hi, v5
	v_xor_b32_e32 v5, vcc_lo, v5
	v_and_b32_e32 v7, v7, v5
	v_lshlrev_b32_e32 v5, 24, v6
	v_cmp_gt_i64_e32 vcc, 0, v[4:5]
	v_not_b32_e32 v4, v5
	v_ashrrev_i32_e32 v4, 31, v4
	v_xor_b32_e32 v5, vcc_hi, v4
	v_xor_b32_e32 v4, vcc_lo, v4
	; wave barrier
	ds_read_b32 v41, v45 offset:64
	v_and_b32_e32 v43, v43, v44
	v_and_b32_e32 v4, v7, v4
	;; [unrolled: 1-line block ×3, first 2 shown]
	v_mbcnt_lo_u32_b32 v6, v4, 0
	v_mbcnt_hi_u32_b32 v43, v5, v6
	v_cmp_eq_u32_e32 vcc, 0, v43
	v_cmp_ne_u64_e64 s[2:3], 0, v[4:5]
	s_and_b64 s[8:9], s[2:3], vcc
	; wave barrier
	s_and_saveexec_b64 s[2:3], s[8:9]
	s_cbranch_execz .LBB1759_45
; %bb.44:
	v_bcnt_u32_b32 v4, v4, 0
	v_bcnt_u32_b32 v4, v5, v4
	s_waitcnt lgkmcnt(0)
	v_add_u32_e32 v4, v41, v4
	ds_write_b32 v45, v4 offset:64
.LBB1759_45:
	s_or_b64 exec, exec, s[2:3]
	v_xor_b32_e32 v35, 0x80000000, v35
	v_lshrrev_b32_e32 v4, s20, v35
	v_and_b32_e32 v6, s31, v4
	v_and_b32_e32 v5, 1, v6
	v_add_co_u32_e32 v7, vcc, -1, v5
	v_addc_co_u32_e64 v46, s[2:3], 0, -1, vcc
	v_cmp_ne_u32_e32 vcc, 0, v5
	v_lshl_add_u32 v4, v6, 4, v6
	v_xor_b32_e32 v5, vcc_hi, v46
	v_add_lshl_u32 v48, v29, v4, 2
	v_mov_b32_e32 v4, 0
	v_and_b32_e32 v46, exec_hi, v5
	v_lshlrev_b32_e32 v5, 30, v6
	v_xor_b32_e32 v7, vcc_lo, v7
	v_cmp_gt_i64_e32 vcc, 0, v[4:5]
	v_not_b32_e32 v5, v5
	v_ashrrev_i32_e32 v5, 31, v5
	v_and_b32_e32 v7, exec_lo, v7
	v_xor_b32_e32 v47, vcc_hi, v5
	v_xor_b32_e32 v5, vcc_lo, v5
	v_and_b32_e32 v7, v7, v5
	v_lshlrev_b32_e32 v5, 29, v6
	v_cmp_gt_i64_e32 vcc, 0, v[4:5]
	v_not_b32_e32 v5, v5
	v_ashrrev_i32_e32 v5, 31, v5
	v_and_b32_e32 v46, v46, v47
	v_xor_b32_e32 v47, vcc_hi, v5
	v_xor_b32_e32 v5, vcc_lo, v5
	v_and_b32_e32 v7, v7, v5
	v_lshlrev_b32_e32 v5, 28, v6
	v_cmp_gt_i64_e32 vcc, 0, v[4:5]
	v_not_b32_e32 v5, v5
	v_ashrrev_i32_e32 v5, 31, v5
	v_and_b32_e32 v46, v46, v47
	;; [unrolled: 8-line block ×5, first 2 shown]
	v_xor_b32_e32 v47, vcc_hi, v5
	v_xor_b32_e32 v5, vcc_lo, v5
	v_and_b32_e32 v46, v46, v47
	v_and_b32_e32 v47, v7, v5
	v_lshlrev_b32_e32 v5, 24, v6
	v_cmp_gt_i64_e32 vcc, 0, v[4:5]
	v_not_b32_e32 v5, v5
	v_ashrrev_i32_e32 v5, 31, v5
	v_xor_b32_e32 v6, vcc_hi, v5
	v_xor_b32_e32 v5, vcc_lo, v5
	; wave barrier
	ds_read_b32 v44, v48 offset:64
	v_and_b32_e32 v7, v46, v6
	v_and_b32_e32 v6, v47, v5
	v_mbcnt_lo_u32_b32 v5, v6, 0
	v_mbcnt_hi_u32_b32 v46, v7, v5
	v_cmp_eq_u32_e32 vcc, 0, v46
	v_cmp_ne_u64_e64 s[2:3], 0, v[6:7]
	s_and_b64 s[8:9], s[2:3], vcc
	; wave barrier
	s_and_saveexec_b64 s[2:3], s[8:9]
	s_cbranch_execz .LBB1759_47
; %bb.46:
	v_bcnt_u32_b32 v5, v6, 0
	v_bcnt_u32_b32 v5, v7, v5
	s_waitcnt lgkmcnt(0)
	v_add_u32_e32 v5, v44, v5
	ds_write_b32 v48, v5 offset:64
.LBB1759_47:
	s_or_b64 exec, exec, s[2:3]
	v_xor_b32_e32 v30, 0x80000000, v30
	v_lshrrev_b32_e32 v5, s20, v30
	v_and_b32_e32 v6, s31, v5
	v_lshl_add_u32 v5, v6, 4, v6
	v_add_lshl_u32 v51, v29, v5, 2
	v_and_b32_e32 v5, 1, v6
	v_add_co_u32_e32 v7, vcc, -1, v5
	v_addc_co_u32_e64 v49, s[2:3], 0, -1, vcc
	v_cmp_ne_u32_e32 vcc, 0, v5
	v_xor_b32_e32 v5, vcc_hi, v49
	v_and_b32_e32 v49, exec_hi, v5
	v_lshlrev_b32_e32 v5, 30, v6
	v_xor_b32_e32 v7, vcc_lo, v7
	v_cmp_gt_i64_e32 vcc, 0, v[4:5]
	v_not_b32_e32 v5, v5
	v_ashrrev_i32_e32 v5, 31, v5
	v_and_b32_e32 v7, exec_lo, v7
	v_xor_b32_e32 v50, vcc_hi, v5
	v_xor_b32_e32 v5, vcc_lo, v5
	v_and_b32_e32 v7, v7, v5
	v_lshlrev_b32_e32 v5, 29, v6
	v_cmp_gt_i64_e32 vcc, 0, v[4:5]
	v_not_b32_e32 v5, v5
	v_ashrrev_i32_e32 v5, 31, v5
	v_and_b32_e32 v49, v49, v50
	v_xor_b32_e32 v50, vcc_hi, v5
	v_xor_b32_e32 v5, vcc_lo, v5
	v_and_b32_e32 v7, v7, v5
	v_lshlrev_b32_e32 v5, 28, v6
	v_cmp_gt_i64_e32 vcc, 0, v[4:5]
	v_not_b32_e32 v5, v5
	v_ashrrev_i32_e32 v5, 31, v5
	v_and_b32_e32 v49, v49, v50
	;; [unrolled: 8-line block ×5, first 2 shown]
	v_xor_b32_e32 v50, vcc_hi, v5
	v_xor_b32_e32 v5, vcc_lo, v5
	v_and_b32_e32 v7, v7, v5
	v_lshlrev_b32_e32 v5, 24, v6
	v_cmp_gt_i64_e32 vcc, 0, v[4:5]
	v_not_b32_e32 v4, v5
	v_ashrrev_i32_e32 v4, 31, v4
	v_xor_b32_e32 v5, vcc_hi, v4
	v_xor_b32_e32 v4, vcc_lo, v4
	; wave barrier
	ds_read_b32 v47, v51 offset:64
	v_and_b32_e32 v49, v49, v50
	v_and_b32_e32 v4, v7, v4
	;; [unrolled: 1-line block ×3, first 2 shown]
	v_mbcnt_lo_u32_b32 v6, v4, 0
	v_mbcnt_hi_u32_b32 v49, v5, v6
	v_cmp_eq_u32_e32 vcc, 0, v49
	v_cmp_ne_u64_e64 s[2:3], 0, v[4:5]
	s_and_b64 s[8:9], s[2:3], vcc
	; wave barrier
	s_and_saveexec_b64 s[2:3], s[8:9]
	s_cbranch_execz .LBB1759_49
; %bb.48:
	v_bcnt_u32_b32 v4, v4, 0
	v_bcnt_u32_b32 v4, v5, v4
	s_waitcnt lgkmcnt(0)
	v_add_u32_e32 v4, v47, v4
	ds_write_b32 v51, v4 offset:64
.LBB1759_49:
	s_or_b64 exec, exec, s[2:3]
	v_xor_b32_e32 v25, 0x80000000, v25
	v_lshrrev_b32_e32 v4, s20, v25
	v_and_b32_e32 v6, s31, v4
	v_and_b32_e32 v5, 1, v6
	v_add_co_u32_e32 v7, vcc, -1, v5
	v_addc_co_u32_e64 v52, s[2:3], 0, -1, vcc
	v_cmp_ne_u32_e32 vcc, 0, v5
	v_lshl_add_u32 v4, v6, 4, v6
	v_xor_b32_e32 v5, vcc_hi, v52
	v_add_lshl_u32 v53, v29, v4, 2
	v_mov_b32_e32 v4, 0
	v_and_b32_e32 v52, exec_hi, v5
	v_lshlrev_b32_e32 v5, 30, v6
	v_xor_b32_e32 v7, vcc_lo, v7
	v_cmp_gt_i64_e32 vcc, 0, v[4:5]
	v_not_b32_e32 v5, v5
	v_ashrrev_i32_e32 v5, 31, v5
	v_and_b32_e32 v7, exec_lo, v7
	v_xor_b32_e32 v54, vcc_hi, v5
	v_xor_b32_e32 v5, vcc_lo, v5
	v_and_b32_e32 v7, v7, v5
	v_lshlrev_b32_e32 v5, 29, v6
	v_cmp_gt_i64_e32 vcc, 0, v[4:5]
	v_not_b32_e32 v5, v5
	v_ashrrev_i32_e32 v5, 31, v5
	v_and_b32_e32 v52, v52, v54
	v_xor_b32_e32 v54, vcc_hi, v5
	v_xor_b32_e32 v5, vcc_lo, v5
	v_and_b32_e32 v7, v7, v5
	v_lshlrev_b32_e32 v5, 28, v6
	v_cmp_gt_i64_e32 vcc, 0, v[4:5]
	v_not_b32_e32 v5, v5
	v_ashrrev_i32_e32 v5, 31, v5
	v_and_b32_e32 v52, v52, v54
	;; [unrolled: 8-line block ×5, first 2 shown]
	v_xor_b32_e32 v54, vcc_hi, v5
	v_xor_b32_e32 v5, vcc_lo, v5
	v_and_b32_e32 v52, v52, v54
	v_and_b32_e32 v54, v7, v5
	v_lshlrev_b32_e32 v5, 24, v6
	v_cmp_gt_i64_e32 vcc, 0, v[4:5]
	v_not_b32_e32 v5, v5
	v_ashrrev_i32_e32 v5, 31, v5
	v_xor_b32_e32 v6, vcc_hi, v5
	v_xor_b32_e32 v5, vcc_lo, v5
	; wave barrier
	ds_read_b32 v50, v53 offset:64
	v_and_b32_e32 v7, v52, v6
	v_and_b32_e32 v6, v54, v5
	v_mbcnt_lo_u32_b32 v5, v6, 0
	v_mbcnt_hi_u32_b32 v52, v7, v5
	v_cmp_eq_u32_e32 vcc, 0, v52
	v_cmp_ne_u64_e64 s[2:3], 0, v[6:7]
	s_and_b64 s[8:9], s[2:3], vcc
	; wave barrier
	s_and_saveexec_b64 s[2:3], s[8:9]
	s_cbranch_execz .LBB1759_51
; %bb.50:
	v_bcnt_u32_b32 v5, v6, 0
	v_bcnt_u32_b32 v5, v7, v5
	s_waitcnt lgkmcnt(0)
	v_add_u32_e32 v5, v50, v5
	ds_write_b32 v53, v5 offset:64
.LBB1759_51:
	s_or_b64 exec, exec, s[2:3]
	v_xor_b32_e32 v20, 0x80000000, v20
	v_lshrrev_b32_e32 v5, s20, v20
	v_and_b32_e32 v6, s31, v5
	v_lshl_add_u32 v5, v6, 4, v6
	v_add_lshl_u32 v55, v29, v5, 2
	v_and_b32_e32 v5, 1, v6
	v_add_co_u32_e32 v7, vcc, -1, v5
	v_addc_co_u32_e64 v54, s[2:3], 0, -1, vcc
	v_cmp_ne_u32_e32 vcc, 0, v5
	v_xor_b32_e32 v5, vcc_hi, v54
	v_and_b32_e32 v54, exec_hi, v5
	v_lshlrev_b32_e32 v5, 30, v6
	v_xor_b32_e32 v7, vcc_lo, v7
	v_cmp_gt_i64_e32 vcc, 0, v[4:5]
	v_not_b32_e32 v5, v5
	v_ashrrev_i32_e32 v5, 31, v5
	v_and_b32_e32 v7, exec_lo, v7
	v_xor_b32_e32 v57, vcc_hi, v5
	v_xor_b32_e32 v5, vcc_lo, v5
	v_and_b32_e32 v7, v7, v5
	v_lshlrev_b32_e32 v5, 29, v6
	v_cmp_gt_i64_e32 vcc, 0, v[4:5]
	v_not_b32_e32 v5, v5
	v_ashrrev_i32_e32 v5, 31, v5
	v_and_b32_e32 v54, v54, v57
	v_xor_b32_e32 v57, vcc_hi, v5
	v_xor_b32_e32 v5, vcc_lo, v5
	v_and_b32_e32 v7, v7, v5
	v_lshlrev_b32_e32 v5, 28, v6
	v_cmp_gt_i64_e32 vcc, 0, v[4:5]
	v_not_b32_e32 v5, v5
	v_ashrrev_i32_e32 v5, 31, v5
	v_and_b32_e32 v54, v54, v57
	;; [unrolled: 8-line block ×5, first 2 shown]
	v_xor_b32_e32 v57, vcc_hi, v5
	v_xor_b32_e32 v5, vcc_lo, v5
	v_and_b32_e32 v7, v7, v5
	v_lshlrev_b32_e32 v5, 24, v6
	v_cmp_gt_i64_e32 vcc, 0, v[4:5]
	v_not_b32_e32 v4, v5
	v_ashrrev_i32_e32 v4, 31, v4
	v_xor_b32_e32 v5, vcc_hi, v4
	v_xor_b32_e32 v4, vcc_lo, v4
	; wave barrier
	ds_read_b32 v29, v55 offset:64
	v_and_b32_e32 v54, v54, v57
	v_and_b32_e32 v4, v7, v4
	;; [unrolled: 1-line block ×3, first 2 shown]
	v_mbcnt_lo_u32_b32 v6, v4, 0
	v_mbcnt_hi_u32_b32 v54, v5, v6
	v_cmp_eq_u32_e32 vcc, 0, v54
	v_cmp_ne_u64_e64 s[2:3], 0, v[4:5]
	v_add_u32_e32 v56, 64, v9
	s_and_b64 s[8:9], s[2:3], vcc
	; wave barrier
	s_and_saveexec_b64 s[2:3], s[8:9]
	s_cbranch_execz .LBB1759_53
; %bb.52:
	v_bcnt_u32_b32 v4, v4, 0
	v_bcnt_u32_b32 v4, v5, v4
	s_waitcnt lgkmcnt(0)
	v_add_u32_e32 v4, v29, v4
	ds_write_b32 v55, v4 offset:64
.LBB1759_53:
	s_or_b64 exec, exec, s[2:3]
	; wave barrier
	s_waitcnt lgkmcnt(0)
	s_barrier
	ds_read2_b32 v[6:7], v9 offset0:16 offset1:17
	ds_read2_b32 v[4:5], v56 offset0:2 offset1:3
	ds_read_b32 v57, v56 offset:16
	v_cmp_lt_u32_e64 s[12:13], 31, v8
	s_waitcnt lgkmcnt(1)
	v_add3_u32 v58, v7, v6, v4
	s_waitcnt lgkmcnt(0)
	v_add3_u32 v57, v58, v5, v57
	v_and_b32_e32 v58, 15, v8
	v_cmp_eq_u32_e32 vcc, 0, v58
	v_mov_b32_dpp v59, v57 row_shr:1 row_mask:0xf bank_mask:0xf
	v_cndmask_b32_e64 v59, v59, 0, vcc
	v_add_u32_e32 v57, v59, v57
	v_cmp_lt_u32_e64 s[2:3], 1, v58
	v_cmp_lt_u32_e64 s[10:11], 3, v58
	v_mov_b32_dpp v59, v57 row_shr:2 row_mask:0xf bank_mask:0xf
	v_cndmask_b32_e64 v59, 0, v59, s[2:3]
	v_add_u32_e32 v57, v57, v59
	v_cmp_lt_u32_e64 s[8:9], 7, v58
	s_nop 0
	v_mov_b32_dpp v59, v57 row_shr:4 row_mask:0xf bank_mask:0xf
	v_cndmask_b32_e64 v59, 0, v59, s[10:11]
	v_add_u32_e32 v57, v57, v59
	s_nop 1
	v_mov_b32_dpp v59, v57 row_shr:8 row_mask:0xf bank_mask:0xf
	v_cndmask_b32_e64 v58, 0, v59, s[8:9]
	v_add_u32_e32 v57, v57, v58
	v_bfe_i32 v59, v8, 4, 1
	s_nop 0
	v_mov_b32_dpp v58, v57 row_bcast:15 row_mask:0xf bank_mask:0xf
	v_and_b32_e32 v58, v59, v58
	v_add_u32_e32 v57, v57, v58
	v_and_b32_e32 v59, 63, v2
	s_nop 0
	v_mov_b32_dpp v58, v57 row_bcast:31 row_mask:0xf bank_mask:0xf
	v_cndmask_b32_e64 v58, 0, v58, s[12:13]
	v_add_u32_e32 v57, v57, v58
	v_lshrrev_b32_e32 v58, 6, v2
	v_cmp_eq_u32_e64 s[12:13], 63, v59
	s_and_saveexec_b64 s[22:23], s[12:13]
	s_cbranch_execz .LBB1759_55
; %bb.54:
	v_lshlrev_b32_e32 v59, 2, v58
	ds_write_b32 v59, v57
.LBB1759_55:
	s_or_b64 exec, exec, s[22:23]
	v_cmp_gt_u32_e64 s[12:13], 16, v2
	s_waitcnt lgkmcnt(0)
	s_barrier
	s_and_saveexec_b64 s[22:23], s[12:13]
	s_cbranch_execz .LBB1759_57
; %bb.56:
	v_lshlrev_b32_e32 v59, 2, v2
	ds_read_b32 v60, v59
	s_waitcnt lgkmcnt(0)
	s_nop 0
	v_mov_b32_dpp v61, v60 row_shr:1 row_mask:0xf bank_mask:0xf
	v_cndmask_b32_e64 v61, v61, 0, vcc
	v_add_u32_e32 v60, v61, v60
	s_nop 1
	v_mov_b32_dpp v61, v60 row_shr:2 row_mask:0xf bank_mask:0xf
	v_cndmask_b32_e64 v61, 0, v61, s[2:3]
	v_add_u32_e32 v60, v60, v61
	s_nop 1
	v_mov_b32_dpp v61, v60 row_shr:4 row_mask:0xf bank_mask:0xf
	v_cndmask_b32_e64 v61, 0, v61, s[10:11]
	;; [unrolled: 4-line block ×3, first 2 shown]
	v_add_u32_e32 v60, v60, v61
	ds_write_b32 v59, v60
.LBB1759_57:
	s_or_b64 exec, exec, s[22:23]
	v_cmp_lt_u32_e32 vcc, 63, v2
	v_mov_b32_e32 v59, 0
	s_waitcnt lgkmcnt(0)
	s_barrier
	s_and_saveexec_b64 s[2:3], vcc
	s_cbranch_execz .LBB1759_59
; %bb.58:
	v_lshl_add_u32 v58, v58, 2, -4
	ds_read_b32 v59, v58
.LBB1759_59:
	s_or_b64 exec, exec, s[2:3]
	v_add_u32_e32 v58, -1, v8
	v_and_b32_e32 v60, 64, v8
	v_cmp_lt_i32_e32 vcc, v58, v60
	v_cndmask_b32_e32 v58, v58, v8, vcc
	s_waitcnt lgkmcnt(0)
	v_add_u32_e32 v57, v59, v57
	v_lshlrev_b32_e32 v58, 2, v58
	ds_bpermute_b32 v57, v58, v57
	v_cmp_eq_u32_e32 vcc, 0, v8
	s_movk_i32 s2, 0x100
	s_waitcnt lgkmcnt(0)
	v_cndmask_b32_e32 v8, v57, v59, vcc
	v_cndmask_b32_e64 v8, v8, 0, s[0:1]
	v_add_u32_e32 v6, v8, v6
	v_add_u32_e32 v7, v6, v7
	;; [unrolled: 1-line block ×4, first 2 shown]
	ds_write2_b32 v9, v8, v6 offset0:16 offset1:17
	ds_write2_b32 v56, v7, v4 offset0:2 offset1:3
	ds_write_b32 v56, v5 offset:16
	s_waitcnt lgkmcnt(0)
	s_barrier
	ds_read_b32 v60, v18 offset:64
	ds_read_b32 v56, v19 offset:64
	;; [unrolled: 1-line block ×12, first 2 shown]
	v_cmp_gt_u32_e32 vcc, s2, v2
                                        ; implicit-def: $vgpr18
                                        ; implicit-def: $vgpr19
	s_and_saveexec_b64 s[8:9], vcc
	s_cbranch_execz .LBB1759_63
; %bb.60:
	v_mul_u32_u24_e32 v4, 17, v2
	v_lshlrev_b32_e32 v5, 2, v4
	ds_read_b32 v18, v5 offset:64
	s_movk_i32 s2, 0xff
	v_cmp_ne_u32_e64 s[2:3], s2, v2
	v_mov_b32_e32 v4, 0x3000
	s_and_saveexec_b64 s[10:11], s[2:3]
	s_cbranch_execz .LBB1759_62
; %bb.61:
	ds_read_b32 v4, v5 offset:132
.LBB1759_62:
	s_or_b64 exec, exec, s[10:11]
	s_waitcnt lgkmcnt(0)
	v_sub_u32_e32 v19, v4, v18
.LBB1759_63:
	s_or_b64 exec, exec, s[8:9]
	s_waitcnt lgkmcnt(0)
	s_barrier
	s_and_saveexec_b64 s[8:9], vcc
	s_cbranch_execz .LBB1759_73
; %bb.64:
	v_lshl_or_b32 v4, s30, 8, v2
	v_mov_b32_e32 v5, 0
	v_lshlrev_b64 v[6:7], 2, v[4:5]
	v_mov_b32_e32 v51, s15
	v_add_co_u32_e64 v6, s[2:3], s14, v6
	v_addc_co_u32_e64 v7, s[2:3], v51, v7, s[2:3]
	v_or_b32_e32 v4, 2.0, v19
	s_mov_b64 s[10:11], 0
	s_brev_b32 s33, 1
	s_mov_b32 s34, s30
	v_mov_b32_e32 v53, 0
	global_store_dword v[6:7], v4, off
                                        ; implicit-def: $sgpr2_sgpr3
	s_branch .LBB1759_66
.LBB1759_65:                            ;   in Loop: Header=BB1759_66 Depth=1
	s_or_b64 exec, exec, s[12:13]
	v_and_b32_e32 v8, 0x3fffffff, v55
	v_add_u32_e32 v53, v8, v53
	v_cmp_eq_u32_e64 s[2:3], s33, v4
	s_and_b64 s[12:13], exec, s[2:3]
	s_or_b64 s[10:11], s[12:13], s[10:11]
	s_andn2_b64 exec, exec, s[10:11]
	s_cbranch_execz .LBB1759_72
.LBB1759_66:                            ; =>This Loop Header: Depth=1
                                        ;     Child Loop BB1759_69 Depth 2
	s_or_b64 s[2:3], s[2:3], exec
	s_cmp_eq_u32 s34, 0
	s_cbranch_scc1 .LBB1759_71
; %bb.67:                               ;   in Loop: Header=BB1759_66 Depth=1
	s_add_i32 s34, s34, -1
	v_lshl_or_b32 v4, s34, 8, v2
	v_lshlrev_b64 v[8:9], 2, v[4:5]
	v_add_co_u32_e64 v8, s[2:3], s14, v8
	v_addc_co_u32_e64 v9, s[2:3], v51, v9, s[2:3]
	global_load_dword v55, v[8:9], off glc
	s_waitcnt vmcnt(0)
	v_and_b32_e32 v4, -2.0, v55
	v_cmp_eq_u32_e64 s[2:3], 0, v4
	s_and_saveexec_b64 s[12:13], s[2:3]
	s_cbranch_execz .LBB1759_65
; %bb.68:                               ;   in Loop: Header=BB1759_66 Depth=1
	s_mov_b64 s[22:23], 0
.LBB1759_69:                            ;   Parent Loop BB1759_66 Depth=1
                                        ; =>  This Inner Loop Header: Depth=2
	global_load_dword v55, v[8:9], off glc
	s_waitcnt vmcnt(0)
	v_and_b32_e32 v4, -2.0, v55
	v_cmp_ne_u32_e64 s[2:3], 0, v4
	s_or_b64 s[22:23], s[2:3], s[22:23]
	s_andn2_b64 exec, exec, s[22:23]
	s_cbranch_execnz .LBB1759_69
; %bb.70:                               ;   in Loop: Header=BB1759_66 Depth=1
	s_or_b64 exec, exec, s[22:23]
	s_branch .LBB1759_65
.LBB1759_71:                            ;   in Loop: Header=BB1759_66 Depth=1
                                        ; implicit-def: $sgpr34
	s_and_b64 s[12:13], exec, s[2:3]
	s_or_b64 s[10:11], s[12:13], s[10:11]
	s_andn2_b64 exec, exec, s[10:11]
	s_cbranch_execnz .LBB1759_66
.LBB1759_72:
	s_or_b64 exec, exec, s[10:11]
	v_add_u32_e32 v4, v53, v19
	v_or_b32_e32 v4, 0x80000000, v4
	global_store_dword v[6:7], v4, off
	v_lshlrev_b32_e32 v4, 2, v2
	global_load_dword v5, v4, s[16:17]
	v_sub_u32_e32 v6, v53, v18
	s_waitcnt vmcnt(0)
	v_add_u32_e32 v5, v6, v5
	ds_write_b32 v4, v5
.LBB1759_73:
	s_or_b64 exec, exec, s[8:9]
	v_lshlrev_b32_e32 v7, 2, v2
	v_add_u32_e32 v6, v60, v12
	s_movk_i32 s10, 0x400
	v_add_u32_e32 v8, 0x400, v7
	v_add3_u32 v9, v54, v48, v29
	v_add3_u32 v12, v52, v45, v50
	;; [unrolled: 1-line block ×11, first 2 shown]
	s_mov_b32 s11, 0
	v_mov_b32_e32 v5, 0
	s_movk_i32 s12, 0x800
	s_movk_i32 s13, 0xc00
	v_mov_b32_e32 v15, v2
	s_branch .LBB1759_75
.LBB1759_74:                            ;   in Loop: Header=BB1759_75 Depth=1
	s_or_b64 exec, exec, s[8:9]
	s_addk_i32 s11, 0xf000
	s_cmpk_eq_i32 s11, 0xd000
	v_add_u32_e32 v15, 0x1000, v15
	s_barrier
	s_cbranch_scc1 .LBB1759_84
.LBB1759_75:                            ; =>This Inner Loop Header: Depth=1
	v_add_u32_e32 v4, s11, v6
	v_min_u32_e32 v4, 0x1000, v4
	v_lshlrev_b32_e32 v4, 2, v4
	ds_write_b32 v4, v3 offset:1024
	v_add_u32_e32 v4, s11, v13
	v_min_u32_e32 v4, 0x1000, v4
	v_lshlrev_b32_e32 v4, 2, v4
	ds_write_b32 v4, v10 offset:1024
	;; [unrolled: 4-line block ×11, first 2 shown]
	v_add_u32_e32 v4, s11, v9
	v_min_u32_e32 v4, 0x1000, v4
	v_lshlrev_b32_e32 v4, 2, v4
	v_cmp_gt_u32_e64 s[2:3], s7, v15
	ds_write_b32 v4, v20 offset:1024
	s_waitcnt lgkmcnt(0)
	s_barrier
	s_and_saveexec_b64 s[8:9], s[2:3]
	s_cbranch_execz .LBB1759_77
; %bb.76:                               ;   in Loop: Header=BB1759_75 Depth=1
	ds_read_b32 v4, v7 offset:1024
	v_mov_b32_e32 v26, s27
	s_waitcnt lgkmcnt(0)
	v_lshrrev_b32_e32 v21, s20, v4
	v_and_b32_e32 v21, s31, v21
	v_lshlrev_b32_e32 v21, 2, v21
	ds_read_b32 v21, v21
	v_xor_b32_e32 v32, 0x80000000, v4
	s_waitcnt lgkmcnt(0)
	v_add_u32_e32 v4, v15, v21
	v_lshlrev_b64 v[38:39], 2, v[4:5]
	v_add_co_u32_e64 v38, s[2:3], s26, v38
	v_addc_co_u32_e64 v39, s[2:3], v26, v39, s[2:3]
	global_store_dword v[38:39], v32, off
.LBB1759_77:                            ;   in Loop: Header=BB1759_75 Depth=1
	s_or_b64 exec, exec, s[8:9]
	v_add_u32_e32 v4, 0x400, v15
	v_cmp_gt_u32_e64 s[2:3], s7, v4
	s_and_saveexec_b64 s[8:9], s[2:3]
	s_cbranch_execz .LBB1759_79
; %bb.78:                               ;   in Loop: Header=BB1759_75 Depth=1
	ds_read_b32 v4, v8 offset:4096
	v_mov_b32_e32 v26, s27
	s_waitcnt lgkmcnt(0)
	v_lshrrev_b32_e32 v21, s20, v4
	v_and_b32_e32 v21, s31, v21
	v_lshlrev_b32_e32 v21, 2, v21
	ds_read_b32 v21, v21
	v_xor_b32_e32 v32, 0x80000000, v4
	s_waitcnt lgkmcnt(0)
	v_add3_u32 v4, v15, v21, s10
	v_lshlrev_b64 v[38:39], 2, v[4:5]
	v_add_co_u32_e64 v38, s[2:3], s26, v38
	v_addc_co_u32_e64 v39, s[2:3], v26, v39, s[2:3]
	global_store_dword v[38:39], v32, off
.LBB1759_79:                            ;   in Loop: Header=BB1759_75 Depth=1
	s_or_b64 exec, exec, s[8:9]
	v_add_u32_e32 v4, 0x800, v15
	v_cmp_gt_u32_e64 s[2:3], s7, v4
	s_and_saveexec_b64 s[8:9], s[2:3]
	s_cbranch_execz .LBB1759_81
; %bb.80:                               ;   in Loop: Header=BB1759_75 Depth=1
	ds_read_b32 v4, v8 offset:8192
	v_mov_b32_e32 v26, s27
	s_waitcnt lgkmcnt(0)
	v_lshrrev_b32_e32 v21, s20, v4
	v_and_b32_e32 v21, s31, v21
	v_lshlrev_b32_e32 v21, 2, v21
	ds_read_b32 v21, v21
	v_xor_b32_e32 v32, 0x80000000, v4
	s_waitcnt lgkmcnt(0)
	v_add3_u32 v4, v15, v21, s12
	v_lshlrev_b64 v[38:39], 2, v[4:5]
	v_add_co_u32_e64 v38, s[2:3], s26, v38
	v_addc_co_u32_e64 v39, s[2:3], v26, v39, s[2:3]
	global_store_dword v[38:39], v32, off
.LBB1759_81:                            ;   in Loop: Header=BB1759_75 Depth=1
	s_or_b64 exec, exec, s[8:9]
	v_add_u32_e32 v4, 0xc00, v15
	v_cmp_gt_u32_e64 s[2:3], s7, v4
	s_and_saveexec_b64 s[8:9], s[2:3]
	s_cbranch_execz .LBB1759_74
; %bb.82:                               ;   in Loop: Header=BB1759_75 Depth=1
	ds_read_b32 v4, v8 offset:12288
	v_mov_b32_e32 v26, s27
	s_waitcnt lgkmcnt(0)
	v_lshrrev_b32_e32 v21, s20, v4
	v_and_b32_e32 v21, s31, v21
	v_lshlrev_b32_e32 v21, 2, v21
	ds_read_b32 v21, v21
	v_xor_b32_e32 v32, 0x80000000, v4
	s_waitcnt lgkmcnt(0)
	v_add3_u32 v4, v15, v21, s13
	v_lshlrev_b64 v[38:39], 2, v[4:5]
	v_add_co_u32_e64 v38, s[2:3], s26, v38
	v_addc_co_u32_e64 v39, s[2:3], v26, v39, s[2:3]
	global_store_dword v[38:39], v32, off
	s_branch .LBB1759_74
.LBB1759_83:
	s_mov_b64 s[10:11], 0
                                        ; implicit-def: $vgpr3
	s_cbranch_execnz .LBB1759_87
	s_branch .LBB1759_136
.LBB1759_84:
	s_add_i32 s29, s29, -1
	s_cmp_eq_u32 s29, s30
	s_cselect_b64 s[2:3], -1, 0
	s_and_b64 s[8:9], vcc, s[2:3]
	s_mov_b64 s[2:3], 0
	s_mov_b64 s[10:11], 0
                                        ; implicit-def: $vgpr3
	s_and_saveexec_b64 s[12:13], s[8:9]
	s_xor_b64 s[8:9], exec, s[12:13]
; %bb.85:
	s_mov_b64 s[10:11], exec
	v_add_u32_e32 v3, v18, v19
; %bb.86:
	s_or_b64 exec, exec, s[8:9]
	s_and_b64 vcc, exec, s[2:3]
	s_cbranch_vccz .LBB1759_136
.LBB1759_87:
	s_mov_b32 s29, 0
	v_mbcnt_hi_u32_b32 v6, -1, v1
	s_lshl_b64 s[2:3], s[28:29], 2
	v_and_b32_e32 v1, 63, v6
	s_add_u32 s2, s24, s2
	v_lshlrev_b32_e32 v1, 2, v1
	v_add_co_u32_e32 v1, vcc, s2, v1
	s_load_dword s22, s[4:5], 0x58
	s_load_dword s2, s[4:5], 0x64
	s_addc_u32 s3, s25, s3
	v_and_b32_e32 v3, 0x3c0, v2
	v_mul_u32_u24_e32 v3, 12, v3
	v_mov_b32_e32 v5, s3
	v_addc_co_u32_e32 v5, vcc, 0, v5, vcc
	v_lshlrev_b32_e32 v3, 2, v3
	s_add_u32 s3, s4, 0x58
	v_add_co_u32_e32 v12, vcc, v1, v3
	s_addc_u32 s4, s5, 0
	s_waitcnt lgkmcnt(0)
	s_lshr_b32 s5, s2, 16
	v_addc_co_u32_e32 v13, vcc, 0, v5, vcc
	s_cmp_lt_u32 s6, s22
	global_load_dword v1, v[12:13], off
	s_cselect_b32 s2, 12, 18
	s_add_u32 s2, s3, s2
	v_mov_b32_e32 v4, 0
	s_addc_u32 s3, s4, 0
	global_load_ushort v5, v4, s[2:3]
	v_mul_u32_u24_e32 v7, 5, v2
	v_lshlrev_b32_e32 v7, 2, v7
	ds_write2_b32 v7, v4, v4 offset0:16 offset1:17
	ds_write2_b32 v7, v4, v4 offset0:18 offset1:19
	ds_write_b32 v7, v4 offset:80
	global_load_dword v8, v[12:13], off offset:256
	global_load_dword v9, v[12:13], off offset:512
	;; [unrolled: 1-line block ×11, first 2 shown]
	v_bfe_u32 v3, v0, 10, 10
	v_bfe_u32 v0, v0, 20, 10
	v_mad_u32_u24 v0, v0, s5, v3
	s_lshl_b32 s2, -1, s21
	s_not_b32 s21, s2
	s_waitcnt lgkmcnt(0)
	s_barrier
	s_waitcnt lgkmcnt(0)
	; wave barrier
	s_waitcnt vmcnt(12)
	v_xor_b32_e32 v3, 0x80000000, v1
	v_lshrrev_b32_e32 v1, s20, v3
	v_and_b32_e32 v10, s21, v1
	v_and_b32_e32 v12, 1, v10
	s_waitcnt vmcnt(11)
	v_mad_u64_u32 v[0:1], s[2:3], v0, v5, v[2:3]
	v_lshrrev_b32_e32 v22, 6, v0
	v_add_co_u32_e32 v0, vcc, -1, v12
	v_lshlrev_b32_e32 v5, 30, v10
	v_addc_co_u32_e64 v14, s[2:3], 0, -1, vcc
	v_lshl_add_u32 v1, v10, 4, v10
	v_cmp_ne_u32_e32 vcc, 0, v12
	v_cmp_gt_i64_e64 s[2:3], 0, v[4:5]
	v_not_b32_e32 v12, v5
	v_lshlrev_b32_e32 v5, 29, v10
	v_add_lshl_u32 v13, v22, v1, 2
	v_xor_b32_e32 v1, vcc_hi, v14
	v_xor_b32_e32 v0, vcc_lo, v0
	v_ashrrev_i32_e32 v12, 31, v12
	v_cmp_gt_i64_e32 vcc, 0, v[4:5]
	v_not_b32_e32 v14, v5
	v_lshlrev_b32_e32 v5, 28, v10
	v_and_b32_e32 v1, exec_hi, v1
	v_and_b32_e32 v0, exec_lo, v0
	v_xor_b32_e32 v16, s3, v12
	v_xor_b32_e32 v12, s2, v12
	v_ashrrev_i32_e32 v14, 31, v14
	v_cmp_gt_i64_e64 s[2:3], 0, v[4:5]
	v_not_b32_e32 v5, v5
	v_and_b32_e32 v1, v1, v16
	v_and_b32_e32 v0, v0, v12
	v_xor_b32_e32 v12, vcc_hi, v14
	v_xor_b32_e32 v14, vcc_lo, v14
	v_ashrrev_i32_e32 v5, 31, v5
	v_and_b32_e32 v1, v1, v12
	v_and_b32_e32 v0, v0, v14
	v_xor_b32_e32 v12, s3, v5
	v_xor_b32_e32 v5, s2, v5
	v_and_b32_e32 v0, v0, v5
	v_lshlrev_b32_e32 v5, 27, v10
	v_cmp_gt_i64_e32 vcc, 0, v[4:5]
	v_not_b32_e32 v5, v5
	v_ashrrev_i32_e32 v5, 31, v5
	v_and_b32_e32 v1, v1, v12
	v_xor_b32_e32 v12, vcc_hi, v5
	v_xor_b32_e32 v5, vcc_lo, v5
	v_and_b32_e32 v0, v0, v5
	v_lshlrev_b32_e32 v5, 26, v10
	v_cmp_gt_i64_e32 vcc, 0, v[4:5]
	v_not_b32_e32 v5, v5
	v_ashrrev_i32_e32 v5, 31, v5
	v_and_b32_e32 v1, v1, v12
	v_xor_b32_e32 v12, vcc_hi, v5
	v_xor_b32_e32 v5, vcc_lo, v5
	;; [unrolled: 8-line block ×3, first 2 shown]
	v_and_b32_e32 v0, v0, v5
	v_lshlrev_b32_e32 v5, 24, v10
	v_cmp_gt_i64_e32 vcc, 0, v[4:5]
	v_not_b32_e32 v5, v5
	v_ashrrev_i32_e32 v5, 31, v5
	v_xor_b32_e32 v10, vcc_hi, v5
	v_xor_b32_e32 v5, vcc_lo, v5
	v_and_b32_e32 v1, v1, v12
	v_and_b32_e32 v0, v0, v5
	;; [unrolled: 1-line block ×3, first 2 shown]
	v_mbcnt_lo_u32_b32 v5, v0, 0
	v_mbcnt_hi_u32_b32 v10, v1, v5
	v_cmp_eq_u32_e32 vcc, 0, v10
	v_cmp_ne_u64_e64 s[2:3], 0, v[0:1]
	s_and_b64 s[4:5], s[2:3], vcc
	s_and_saveexec_b64 s[2:3], s[4:5]
	s_cbranch_execz .LBB1759_89
; %bb.88:
	v_bcnt_u32_b32 v0, v0, 0
	v_bcnt_u32_b32 v0, v1, v0
	ds_write_b32 v13, v0 offset:64
.LBB1759_89:
	s_or_b64 exec, exec, s[2:3]
	s_waitcnt vmcnt(10)
	v_xor_b32_e32 v8, 0x80000000, v8
	v_lshrrev_b32_e32 v0, s20, v8
	v_and_b32_e32 v0, s21, v0
	v_lshl_add_u32 v1, v0, 4, v0
	v_add_lshl_u32 v17, v22, v1, 2
	v_and_b32_e32 v1, 1, v0
	v_add_co_u32_e32 v5, vcc, -1, v1
	v_addc_co_u32_e64 v14, s[2:3], 0, -1, vcc
	v_cmp_ne_u32_e32 vcc, 0, v1
	v_xor_b32_e32 v5, vcc_lo, v5
	v_xor_b32_e32 v1, vcc_hi, v14
	v_and_b32_e32 v14, exec_lo, v5
	v_lshlrev_b32_e32 v5, 30, v0
	v_cmp_gt_i64_e32 vcc, 0, v[4:5]
	v_not_b32_e32 v5, v5
	v_ashrrev_i32_e32 v5, 31, v5
	v_xor_b32_e32 v16, vcc_hi, v5
	v_xor_b32_e32 v5, vcc_lo, v5
	v_and_b32_e32 v14, v14, v5
	v_lshlrev_b32_e32 v5, 29, v0
	v_cmp_gt_i64_e32 vcc, 0, v[4:5]
	v_not_b32_e32 v5, v5
	v_and_b32_e32 v1, exec_hi, v1
	v_ashrrev_i32_e32 v5, 31, v5
	v_and_b32_e32 v1, v1, v16
	v_xor_b32_e32 v16, vcc_hi, v5
	v_xor_b32_e32 v5, vcc_lo, v5
	v_and_b32_e32 v14, v14, v5
	v_lshlrev_b32_e32 v5, 28, v0
	v_cmp_gt_i64_e32 vcc, 0, v[4:5]
	v_not_b32_e32 v5, v5
	v_ashrrev_i32_e32 v5, 31, v5
	v_and_b32_e32 v1, v1, v16
	v_xor_b32_e32 v16, vcc_hi, v5
	v_xor_b32_e32 v5, vcc_lo, v5
	v_and_b32_e32 v14, v14, v5
	v_lshlrev_b32_e32 v5, 27, v0
	v_cmp_gt_i64_e32 vcc, 0, v[4:5]
	v_not_b32_e32 v5, v5
	;; [unrolled: 8-line block ×4, first 2 shown]
	v_ashrrev_i32_e32 v5, 31, v5
	v_and_b32_e32 v1, v1, v16
	v_xor_b32_e32 v16, vcc_hi, v5
	v_xor_b32_e32 v5, vcc_lo, v5
	v_and_b32_e32 v14, v14, v5
	v_lshlrev_b32_e32 v5, 24, v0
	v_not_b32_e32 v0, v5
	v_cmp_gt_i64_e32 vcc, 0, v[4:5]
	v_ashrrev_i32_e32 v0, 31, v0
	v_xor_b32_e32 v4, vcc_hi, v0
	v_xor_b32_e32 v0, vcc_lo, v0
	; wave barrier
	ds_read_b32 v12, v17 offset:64
	v_and_b32_e32 v1, v1, v16
	v_and_b32_e32 v0, v14, v0
	;; [unrolled: 1-line block ×3, first 2 shown]
	v_mbcnt_lo_u32_b32 v4, v0, 0
	v_mbcnt_hi_u32_b32 v14, v1, v4
	v_cmp_eq_u32_e32 vcc, 0, v14
	v_cmp_ne_u64_e64 s[2:3], 0, v[0:1]
	s_and_b64 s[4:5], s[2:3], vcc
	; wave barrier
	s_and_saveexec_b64 s[2:3], s[4:5]
	s_cbranch_execz .LBB1759_91
; %bb.90:
	v_bcnt_u32_b32 v0, v0, 0
	v_bcnt_u32_b32 v0, v1, v0
	s_waitcnt lgkmcnt(0)
	v_add_u32_e32 v0, v12, v0
	ds_write_b32 v17, v0 offset:64
.LBB1759_91:
	s_or_b64 exec, exec, s[2:3]
	s_waitcnt vmcnt(9)
	v_xor_b32_e32 v9, 0x80000000, v9
	v_lshrrev_b32_e32 v0, s20, v9
	v_and_b32_e32 v4, s21, v0
	v_and_b32_e32 v1, 1, v4
	v_add_co_u32_e32 v5, vcc, -1, v1
	v_addc_co_u32_e64 v18, s[2:3], 0, -1, vcc
	v_cmp_ne_u32_e32 vcc, 0, v1
	v_lshl_add_u32 v0, v4, 4, v4
	v_xor_b32_e32 v1, vcc_hi, v18
	v_add_lshl_u32 v23, v22, v0, 2
	v_mov_b32_e32 v0, 0
	v_and_b32_e32 v18, exec_hi, v1
	v_lshlrev_b32_e32 v1, 30, v4
	v_xor_b32_e32 v5, vcc_lo, v5
	v_cmp_gt_i64_e32 vcc, 0, v[0:1]
	v_not_b32_e32 v1, v1
	v_ashrrev_i32_e32 v1, 31, v1
	v_and_b32_e32 v5, exec_lo, v5
	v_xor_b32_e32 v20, vcc_hi, v1
	v_xor_b32_e32 v1, vcc_lo, v1
	v_and_b32_e32 v5, v5, v1
	v_lshlrev_b32_e32 v1, 29, v4
	v_cmp_gt_i64_e32 vcc, 0, v[0:1]
	v_not_b32_e32 v1, v1
	v_ashrrev_i32_e32 v1, 31, v1
	v_and_b32_e32 v18, v18, v20
	v_xor_b32_e32 v20, vcc_hi, v1
	v_xor_b32_e32 v1, vcc_lo, v1
	v_and_b32_e32 v5, v5, v1
	v_lshlrev_b32_e32 v1, 28, v4
	v_cmp_gt_i64_e32 vcc, 0, v[0:1]
	v_not_b32_e32 v1, v1
	v_ashrrev_i32_e32 v1, 31, v1
	v_and_b32_e32 v18, v18, v20
	;; [unrolled: 8-line block ×5, first 2 shown]
	v_xor_b32_e32 v20, vcc_hi, v1
	v_xor_b32_e32 v1, vcc_lo, v1
	v_and_b32_e32 v18, v18, v20
	v_and_b32_e32 v20, v5, v1
	v_lshlrev_b32_e32 v1, 24, v4
	v_cmp_gt_i64_e32 vcc, 0, v[0:1]
	v_not_b32_e32 v1, v1
	v_ashrrev_i32_e32 v1, 31, v1
	v_xor_b32_e32 v4, vcc_hi, v1
	v_xor_b32_e32 v1, vcc_lo, v1
	; wave barrier
	ds_read_b32 v16, v23 offset:64
	v_and_b32_e32 v5, v18, v4
	v_and_b32_e32 v4, v20, v1
	v_mbcnt_lo_u32_b32 v1, v4, 0
	v_mbcnt_hi_u32_b32 v18, v5, v1
	v_cmp_eq_u32_e32 vcc, 0, v18
	v_cmp_ne_u64_e64 s[2:3], 0, v[4:5]
	s_and_b64 s[4:5], s[2:3], vcc
	; wave barrier
	s_and_saveexec_b64 s[2:3], s[4:5]
	s_cbranch_execz .LBB1759_93
; %bb.92:
	v_bcnt_u32_b32 v1, v4, 0
	v_bcnt_u32_b32 v1, v5, v1
	s_waitcnt lgkmcnt(0)
	v_add_u32_e32 v1, v16, v1
	ds_write_b32 v23, v1 offset:64
.LBB1759_93:
	s_or_b64 exec, exec, s[2:3]
	s_waitcnt vmcnt(8)
	v_xor_b32_e32 v11, 0x80000000, v11
	v_lshrrev_b32_e32 v1, s20, v11
	v_and_b32_e32 v4, s21, v1
	v_lshl_add_u32 v1, v4, 4, v4
	v_add_lshl_u32 v28, v22, v1, 2
	v_and_b32_e32 v1, 1, v4
	v_add_co_u32_e32 v5, vcc, -1, v1
	v_addc_co_u32_e64 v24, s[2:3], 0, -1, vcc
	v_cmp_ne_u32_e32 vcc, 0, v1
	v_xor_b32_e32 v1, vcc_hi, v24
	v_and_b32_e32 v24, exec_hi, v1
	v_lshlrev_b32_e32 v1, 30, v4
	v_xor_b32_e32 v5, vcc_lo, v5
	v_cmp_gt_i64_e32 vcc, 0, v[0:1]
	v_not_b32_e32 v1, v1
	v_ashrrev_i32_e32 v1, 31, v1
	v_and_b32_e32 v5, exec_lo, v5
	v_xor_b32_e32 v26, vcc_hi, v1
	v_xor_b32_e32 v1, vcc_lo, v1
	v_and_b32_e32 v5, v5, v1
	v_lshlrev_b32_e32 v1, 29, v4
	v_cmp_gt_i64_e32 vcc, 0, v[0:1]
	v_not_b32_e32 v1, v1
	v_ashrrev_i32_e32 v1, 31, v1
	v_and_b32_e32 v24, v24, v26
	v_xor_b32_e32 v26, vcc_hi, v1
	v_xor_b32_e32 v1, vcc_lo, v1
	v_and_b32_e32 v5, v5, v1
	v_lshlrev_b32_e32 v1, 28, v4
	v_cmp_gt_i64_e32 vcc, 0, v[0:1]
	v_not_b32_e32 v1, v1
	v_ashrrev_i32_e32 v1, 31, v1
	v_and_b32_e32 v24, v24, v26
	;; [unrolled: 8-line block ×5, first 2 shown]
	v_xor_b32_e32 v26, vcc_hi, v1
	v_xor_b32_e32 v1, vcc_lo, v1
	v_and_b32_e32 v5, v5, v1
	v_lshlrev_b32_e32 v1, 24, v4
	v_cmp_gt_i64_e32 vcc, 0, v[0:1]
	v_not_b32_e32 v0, v1
	v_ashrrev_i32_e32 v0, 31, v0
	v_xor_b32_e32 v1, vcc_hi, v0
	v_xor_b32_e32 v0, vcc_lo, v0
	; wave barrier
	ds_read_b32 v20, v28 offset:64
	v_and_b32_e32 v24, v24, v26
	v_and_b32_e32 v0, v5, v0
	;; [unrolled: 1-line block ×3, first 2 shown]
	v_mbcnt_lo_u32_b32 v4, v0, 0
	v_mbcnt_hi_u32_b32 v24, v1, v4
	v_cmp_eq_u32_e32 vcc, 0, v24
	v_cmp_ne_u64_e64 s[2:3], 0, v[0:1]
	s_and_b64 s[4:5], s[2:3], vcc
	; wave barrier
	s_and_saveexec_b64 s[2:3], s[4:5]
	s_cbranch_execz .LBB1759_95
; %bb.94:
	v_bcnt_u32_b32 v0, v0, 0
	v_bcnt_u32_b32 v0, v1, v0
	s_waitcnt lgkmcnt(0)
	v_add_u32_e32 v0, v20, v0
	ds_write_b32 v28, v0 offset:64
.LBB1759_95:
	s_or_b64 exec, exec, s[2:3]
	s_waitcnt vmcnt(7)
	v_xor_b32_e32 v15, 0x80000000, v15
	v_lshrrev_b32_e32 v0, s20, v15
	v_and_b32_e32 v4, s21, v0
	v_and_b32_e32 v1, 1, v4
	v_add_co_u32_e32 v5, vcc, -1, v1
	v_addc_co_u32_e64 v29, s[2:3], 0, -1, vcc
	v_cmp_ne_u32_e32 vcc, 0, v1
	v_lshl_add_u32 v0, v4, 4, v4
	v_xor_b32_e32 v1, vcc_hi, v29
	v_add_lshl_u32 v33, v22, v0, 2
	v_mov_b32_e32 v0, 0
	v_and_b32_e32 v29, exec_hi, v1
	v_lshlrev_b32_e32 v1, 30, v4
	v_xor_b32_e32 v5, vcc_lo, v5
	v_cmp_gt_i64_e32 vcc, 0, v[0:1]
	v_not_b32_e32 v1, v1
	v_ashrrev_i32_e32 v1, 31, v1
	v_and_b32_e32 v5, exec_lo, v5
	v_xor_b32_e32 v31, vcc_hi, v1
	v_xor_b32_e32 v1, vcc_lo, v1
	v_and_b32_e32 v5, v5, v1
	v_lshlrev_b32_e32 v1, 29, v4
	v_cmp_gt_i64_e32 vcc, 0, v[0:1]
	v_not_b32_e32 v1, v1
	v_ashrrev_i32_e32 v1, 31, v1
	v_and_b32_e32 v29, v29, v31
	v_xor_b32_e32 v31, vcc_hi, v1
	v_xor_b32_e32 v1, vcc_lo, v1
	v_and_b32_e32 v5, v5, v1
	v_lshlrev_b32_e32 v1, 28, v4
	v_cmp_gt_i64_e32 vcc, 0, v[0:1]
	v_not_b32_e32 v1, v1
	v_ashrrev_i32_e32 v1, 31, v1
	v_and_b32_e32 v29, v29, v31
	;; [unrolled: 8-line block ×5, first 2 shown]
	v_xor_b32_e32 v31, vcc_hi, v1
	v_xor_b32_e32 v1, vcc_lo, v1
	v_and_b32_e32 v29, v29, v31
	v_and_b32_e32 v31, v5, v1
	v_lshlrev_b32_e32 v1, 24, v4
	v_cmp_gt_i64_e32 vcc, 0, v[0:1]
	v_not_b32_e32 v1, v1
	v_ashrrev_i32_e32 v1, 31, v1
	v_xor_b32_e32 v4, vcc_hi, v1
	v_xor_b32_e32 v1, vcc_lo, v1
	; wave barrier
	ds_read_b32 v26, v33 offset:64
	v_and_b32_e32 v5, v29, v4
	v_and_b32_e32 v4, v31, v1
	v_mbcnt_lo_u32_b32 v1, v4, 0
	v_mbcnt_hi_u32_b32 v29, v5, v1
	v_cmp_eq_u32_e32 vcc, 0, v29
	v_cmp_ne_u64_e64 s[2:3], 0, v[4:5]
	s_and_b64 s[4:5], s[2:3], vcc
	; wave barrier
	s_and_saveexec_b64 s[2:3], s[4:5]
	s_cbranch_execz .LBB1759_97
; %bb.96:
	v_bcnt_u32_b32 v1, v4, 0
	v_bcnt_u32_b32 v1, v5, v1
	s_waitcnt lgkmcnt(0)
	v_add_u32_e32 v1, v26, v1
	ds_write_b32 v33, v1 offset:64
.LBB1759_97:
	s_or_b64 exec, exec, s[2:3]
	s_waitcnt vmcnt(6)
	v_xor_b32_e32 v19, 0x80000000, v19
	v_lshrrev_b32_e32 v1, s20, v19
	v_and_b32_e32 v4, s21, v1
	v_lshl_add_u32 v1, v4, 4, v4
	v_add_lshl_u32 v37, v22, v1, 2
	v_and_b32_e32 v1, 1, v4
	v_add_co_u32_e32 v5, vcc, -1, v1
	v_addc_co_u32_e64 v34, s[2:3], 0, -1, vcc
	v_cmp_ne_u32_e32 vcc, 0, v1
	v_xor_b32_e32 v1, vcc_hi, v34
	v_and_b32_e32 v34, exec_hi, v1
	v_lshlrev_b32_e32 v1, 30, v4
	v_xor_b32_e32 v5, vcc_lo, v5
	v_cmp_gt_i64_e32 vcc, 0, v[0:1]
	v_not_b32_e32 v1, v1
	v_ashrrev_i32_e32 v1, 31, v1
	v_and_b32_e32 v5, exec_lo, v5
	v_xor_b32_e32 v36, vcc_hi, v1
	v_xor_b32_e32 v1, vcc_lo, v1
	v_and_b32_e32 v5, v5, v1
	v_lshlrev_b32_e32 v1, 29, v4
	v_cmp_gt_i64_e32 vcc, 0, v[0:1]
	v_not_b32_e32 v1, v1
	v_ashrrev_i32_e32 v1, 31, v1
	v_and_b32_e32 v34, v34, v36
	v_xor_b32_e32 v36, vcc_hi, v1
	v_xor_b32_e32 v1, vcc_lo, v1
	v_and_b32_e32 v5, v5, v1
	v_lshlrev_b32_e32 v1, 28, v4
	v_cmp_gt_i64_e32 vcc, 0, v[0:1]
	v_not_b32_e32 v1, v1
	v_ashrrev_i32_e32 v1, 31, v1
	v_and_b32_e32 v34, v34, v36
	;; [unrolled: 8-line block ×5, first 2 shown]
	v_xor_b32_e32 v36, vcc_hi, v1
	v_xor_b32_e32 v1, vcc_lo, v1
	v_and_b32_e32 v5, v5, v1
	v_lshlrev_b32_e32 v1, 24, v4
	v_cmp_gt_i64_e32 vcc, 0, v[0:1]
	v_not_b32_e32 v0, v1
	v_ashrrev_i32_e32 v0, 31, v0
	v_xor_b32_e32 v1, vcc_hi, v0
	v_xor_b32_e32 v0, vcc_lo, v0
	; wave barrier
	ds_read_b32 v31, v37 offset:64
	v_and_b32_e32 v34, v34, v36
	v_and_b32_e32 v0, v5, v0
	;; [unrolled: 1-line block ×3, first 2 shown]
	v_mbcnt_lo_u32_b32 v4, v0, 0
	v_mbcnt_hi_u32_b32 v34, v1, v4
	v_cmp_eq_u32_e32 vcc, 0, v34
	v_cmp_ne_u64_e64 s[2:3], 0, v[0:1]
	s_and_b64 s[4:5], s[2:3], vcc
	; wave barrier
	s_and_saveexec_b64 s[2:3], s[4:5]
	s_cbranch_execz .LBB1759_99
; %bb.98:
	v_bcnt_u32_b32 v0, v0, 0
	v_bcnt_u32_b32 v0, v1, v0
	s_waitcnt lgkmcnt(0)
	v_add_u32_e32 v0, v31, v0
	ds_write_b32 v37, v0 offset:64
.LBB1759_99:
	s_or_b64 exec, exec, s[2:3]
	s_waitcnt vmcnt(5)
	v_xor_b32_e32 v25, 0x80000000, v25
	v_lshrrev_b32_e32 v0, s20, v25
	v_and_b32_e32 v4, s21, v0
	v_and_b32_e32 v1, 1, v4
	v_add_co_u32_e32 v5, vcc, -1, v1
	v_addc_co_u32_e64 v38, s[2:3], 0, -1, vcc
	v_cmp_ne_u32_e32 vcc, 0, v1
	v_lshl_add_u32 v0, v4, 4, v4
	v_xor_b32_e32 v1, vcc_hi, v38
	v_add_lshl_u32 v40, v22, v0, 2
	v_mov_b32_e32 v0, 0
	v_and_b32_e32 v38, exec_hi, v1
	v_lshlrev_b32_e32 v1, 30, v4
	v_xor_b32_e32 v5, vcc_lo, v5
	v_cmp_gt_i64_e32 vcc, 0, v[0:1]
	v_not_b32_e32 v1, v1
	v_ashrrev_i32_e32 v1, 31, v1
	v_and_b32_e32 v5, exec_lo, v5
	v_xor_b32_e32 v39, vcc_hi, v1
	v_xor_b32_e32 v1, vcc_lo, v1
	v_and_b32_e32 v5, v5, v1
	v_lshlrev_b32_e32 v1, 29, v4
	v_cmp_gt_i64_e32 vcc, 0, v[0:1]
	v_not_b32_e32 v1, v1
	v_ashrrev_i32_e32 v1, 31, v1
	v_and_b32_e32 v38, v38, v39
	v_xor_b32_e32 v39, vcc_hi, v1
	v_xor_b32_e32 v1, vcc_lo, v1
	v_and_b32_e32 v5, v5, v1
	v_lshlrev_b32_e32 v1, 28, v4
	v_cmp_gt_i64_e32 vcc, 0, v[0:1]
	v_not_b32_e32 v1, v1
	v_ashrrev_i32_e32 v1, 31, v1
	v_and_b32_e32 v38, v38, v39
	;; [unrolled: 8-line block ×5, first 2 shown]
	v_xor_b32_e32 v39, vcc_hi, v1
	v_xor_b32_e32 v1, vcc_lo, v1
	v_and_b32_e32 v38, v38, v39
	v_and_b32_e32 v39, v5, v1
	v_lshlrev_b32_e32 v1, 24, v4
	v_cmp_gt_i64_e32 vcc, 0, v[0:1]
	v_not_b32_e32 v1, v1
	v_ashrrev_i32_e32 v1, 31, v1
	v_xor_b32_e32 v4, vcc_hi, v1
	v_xor_b32_e32 v1, vcc_lo, v1
	; wave barrier
	ds_read_b32 v36, v40 offset:64
	v_and_b32_e32 v5, v38, v4
	v_and_b32_e32 v4, v39, v1
	v_mbcnt_lo_u32_b32 v1, v4, 0
	v_mbcnt_hi_u32_b32 v38, v5, v1
	v_cmp_eq_u32_e32 vcc, 0, v38
	v_cmp_ne_u64_e64 s[2:3], 0, v[4:5]
	s_and_b64 s[4:5], s[2:3], vcc
	; wave barrier
	s_and_saveexec_b64 s[2:3], s[4:5]
	s_cbranch_execz .LBB1759_101
; %bb.100:
	v_bcnt_u32_b32 v1, v4, 0
	v_bcnt_u32_b32 v1, v5, v1
	s_waitcnt lgkmcnt(0)
	v_add_u32_e32 v1, v36, v1
	ds_write_b32 v40, v1 offset:64
.LBB1759_101:
	s_or_b64 exec, exec, s[2:3]
	s_waitcnt vmcnt(4)
	v_xor_b32_e32 v30, 0x80000000, v30
	v_lshrrev_b32_e32 v1, s20, v30
	v_and_b32_e32 v4, s21, v1
	v_lshl_add_u32 v1, v4, 4, v4
	v_add_lshl_u32 v43, v22, v1, 2
	v_and_b32_e32 v1, 1, v4
	v_add_co_u32_e32 v5, vcc, -1, v1
	v_addc_co_u32_e64 v41, s[2:3], 0, -1, vcc
	v_cmp_ne_u32_e32 vcc, 0, v1
	v_xor_b32_e32 v1, vcc_hi, v41
	v_and_b32_e32 v41, exec_hi, v1
	v_lshlrev_b32_e32 v1, 30, v4
	v_xor_b32_e32 v5, vcc_lo, v5
	v_cmp_gt_i64_e32 vcc, 0, v[0:1]
	v_not_b32_e32 v1, v1
	v_ashrrev_i32_e32 v1, 31, v1
	v_and_b32_e32 v5, exec_lo, v5
	v_xor_b32_e32 v42, vcc_hi, v1
	v_xor_b32_e32 v1, vcc_lo, v1
	v_and_b32_e32 v5, v5, v1
	v_lshlrev_b32_e32 v1, 29, v4
	v_cmp_gt_i64_e32 vcc, 0, v[0:1]
	v_not_b32_e32 v1, v1
	v_ashrrev_i32_e32 v1, 31, v1
	v_and_b32_e32 v41, v41, v42
	v_xor_b32_e32 v42, vcc_hi, v1
	v_xor_b32_e32 v1, vcc_lo, v1
	v_and_b32_e32 v5, v5, v1
	v_lshlrev_b32_e32 v1, 28, v4
	v_cmp_gt_i64_e32 vcc, 0, v[0:1]
	v_not_b32_e32 v1, v1
	v_ashrrev_i32_e32 v1, 31, v1
	v_and_b32_e32 v41, v41, v42
	v_xor_b32_e32 v42, vcc_hi, v1
	v_xor_b32_e32 v1, vcc_lo, v1
	v_and_b32_e32 v5, v5, v1
	v_lshlrev_b32_e32 v1, 27, v4
	v_cmp_gt_i64_e32 vcc, 0, v[0:1]
	v_not_b32_e32 v1, v1
	v_ashrrev_i32_e32 v1, 31, v1
	v_and_b32_e32 v41, v41, v42
	v_xor_b32_e32 v42, vcc_hi, v1
	v_xor_b32_e32 v1, vcc_lo, v1
	v_and_b32_e32 v5, v5, v1
	v_lshlrev_b32_e32 v1, 26, v4
	v_cmp_gt_i64_e32 vcc, 0, v[0:1]
	v_not_b32_e32 v1, v1
	v_ashrrev_i32_e32 v1, 31, v1
	v_and_b32_e32 v41, v41, v42
	v_xor_b32_e32 v42, vcc_hi, v1
	v_xor_b32_e32 v1, vcc_lo, v1
	v_and_b32_e32 v5, v5, v1
	v_lshlrev_b32_e32 v1, 25, v4
	v_cmp_gt_i64_e32 vcc, 0, v[0:1]
	v_not_b32_e32 v1, v1
	v_ashrrev_i32_e32 v1, 31, v1
	v_and_b32_e32 v41, v41, v42
	v_xor_b32_e32 v42, vcc_hi, v1
	v_xor_b32_e32 v1, vcc_lo, v1
	v_and_b32_e32 v5, v5, v1
	v_lshlrev_b32_e32 v1, 24, v4
	v_cmp_gt_i64_e32 vcc, 0, v[0:1]
	v_not_b32_e32 v0, v1
	v_ashrrev_i32_e32 v0, 31, v0
	v_xor_b32_e32 v1, vcc_hi, v0
	v_xor_b32_e32 v0, vcc_lo, v0
	; wave barrier
	ds_read_b32 v39, v43 offset:64
	v_and_b32_e32 v41, v41, v42
	v_and_b32_e32 v0, v5, v0
	;; [unrolled: 1-line block ×3, first 2 shown]
	v_mbcnt_lo_u32_b32 v4, v0, 0
	v_mbcnt_hi_u32_b32 v41, v1, v4
	v_cmp_eq_u32_e32 vcc, 0, v41
	v_cmp_ne_u64_e64 s[2:3], 0, v[0:1]
	s_and_b64 s[4:5], s[2:3], vcc
	; wave barrier
	s_and_saveexec_b64 s[2:3], s[4:5]
	s_cbranch_execz .LBB1759_103
; %bb.102:
	v_bcnt_u32_b32 v0, v0, 0
	v_bcnt_u32_b32 v0, v1, v0
	s_waitcnt lgkmcnt(0)
	v_add_u32_e32 v0, v39, v0
	ds_write_b32 v43, v0 offset:64
.LBB1759_103:
	s_or_b64 exec, exec, s[2:3]
	s_waitcnt vmcnt(3)
	v_xor_b32_e32 v35, 0x80000000, v35
	v_lshrrev_b32_e32 v0, s20, v35
	v_and_b32_e32 v4, s21, v0
	v_and_b32_e32 v1, 1, v4
	v_add_co_u32_e32 v5, vcc, -1, v1
	v_addc_co_u32_e64 v44, s[2:3], 0, -1, vcc
	v_cmp_ne_u32_e32 vcc, 0, v1
	v_lshl_add_u32 v0, v4, 4, v4
	v_xor_b32_e32 v1, vcc_hi, v44
	v_add_lshl_u32 v46, v22, v0, 2
	v_mov_b32_e32 v0, 0
	v_and_b32_e32 v44, exec_hi, v1
	v_lshlrev_b32_e32 v1, 30, v4
	v_xor_b32_e32 v5, vcc_lo, v5
	v_cmp_gt_i64_e32 vcc, 0, v[0:1]
	v_not_b32_e32 v1, v1
	v_ashrrev_i32_e32 v1, 31, v1
	v_and_b32_e32 v5, exec_lo, v5
	v_xor_b32_e32 v45, vcc_hi, v1
	v_xor_b32_e32 v1, vcc_lo, v1
	v_and_b32_e32 v5, v5, v1
	v_lshlrev_b32_e32 v1, 29, v4
	v_cmp_gt_i64_e32 vcc, 0, v[0:1]
	v_not_b32_e32 v1, v1
	v_ashrrev_i32_e32 v1, 31, v1
	v_and_b32_e32 v44, v44, v45
	v_xor_b32_e32 v45, vcc_hi, v1
	v_xor_b32_e32 v1, vcc_lo, v1
	v_and_b32_e32 v5, v5, v1
	v_lshlrev_b32_e32 v1, 28, v4
	v_cmp_gt_i64_e32 vcc, 0, v[0:1]
	v_not_b32_e32 v1, v1
	v_ashrrev_i32_e32 v1, 31, v1
	v_and_b32_e32 v44, v44, v45
	;; [unrolled: 8-line block ×5, first 2 shown]
	v_xor_b32_e32 v45, vcc_hi, v1
	v_xor_b32_e32 v1, vcc_lo, v1
	v_and_b32_e32 v44, v44, v45
	v_and_b32_e32 v45, v5, v1
	v_lshlrev_b32_e32 v1, 24, v4
	v_cmp_gt_i64_e32 vcc, 0, v[0:1]
	v_not_b32_e32 v1, v1
	v_ashrrev_i32_e32 v1, 31, v1
	v_xor_b32_e32 v4, vcc_hi, v1
	v_xor_b32_e32 v1, vcc_lo, v1
	; wave barrier
	ds_read_b32 v42, v46 offset:64
	v_and_b32_e32 v5, v44, v4
	v_and_b32_e32 v4, v45, v1
	v_mbcnt_lo_u32_b32 v1, v4, 0
	v_mbcnt_hi_u32_b32 v44, v5, v1
	v_cmp_eq_u32_e32 vcc, 0, v44
	v_cmp_ne_u64_e64 s[2:3], 0, v[4:5]
	s_and_b64 s[4:5], s[2:3], vcc
	; wave barrier
	s_and_saveexec_b64 s[2:3], s[4:5]
	s_cbranch_execz .LBB1759_105
; %bb.104:
	v_bcnt_u32_b32 v1, v4, 0
	v_bcnt_u32_b32 v1, v5, v1
	s_waitcnt lgkmcnt(0)
	v_add_u32_e32 v1, v42, v1
	ds_write_b32 v46, v1 offset:64
.LBB1759_105:
	s_or_b64 exec, exec, s[2:3]
	s_waitcnt vmcnt(2)
	v_xor_b32_e32 v32, 0x80000000, v32
	v_lshrrev_b32_e32 v1, s20, v32
	v_and_b32_e32 v4, s21, v1
	v_lshl_add_u32 v1, v4, 4, v4
	v_add_lshl_u32 v49, v22, v1, 2
	v_and_b32_e32 v1, 1, v4
	v_add_co_u32_e32 v5, vcc, -1, v1
	v_addc_co_u32_e64 v47, s[2:3], 0, -1, vcc
	v_cmp_ne_u32_e32 vcc, 0, v1
	v_xor_b32_e32 v1, vcc_hi, v47
	v_and_b32_e32 v47, exec_hi, v1
	v_lshlrev_b32_e32 v1, 30, v4
	v_xor_b32_e32 v5, vcc_lo, v5
	v_cmp_gt_i64_e32 vcc, 0, v[0:1]
	v_not_b32_e32 v1, v1
	v_ashrrev_i32_e32 v1, 31, v1
	v_and_b32_e32 v5, exec_lo, v5
	v_xor_b32_e32 v48, vcc_hi, v1
	v_xor_b32_e32 v1, vcc_lo, v1
	v_and_b32_e32 v5, v5, v1
	v_lshlrev_b32_e32 v1, 29, v4
	v_cmp_gt_i64_e32 vcc, 0, v[0:1]
	v_not_b32_e32 v1, v1
	v_ashrrev_i32_e32 v1, 31, v1
	v_and_b32_e32 v47, v47, v48
	v_xor_b32_e32 v48, vcc_hi, v1
	v_xor_b32_e32 v1, vcc_lo, v1
	v_and_b32_e32 v5, v5, v1
	v_lshlrev_b32_e32 v1, 28, v4
	v_cmp_gt_i64_e32 vcc, 0, v[0:1]
	v_not_b32_e32 v1, v1
	v_ashrrev_i32_e32 v1, 31, v1
	v_and_b32_e32 v47, v47, v48
	;; [unrolled: 8-line block ×5, first 2 shown]
	v_xor_b32_e32 v48, vcc_hi, v1
	v_xor_b32_e32 v1, vcc_lo, v1
	v_and_b32_e32 v5, v5, v1
	v_lshlrev_b32_e32 v1, 24, v4
	v_cmp_gt_i64_e32 vcc, 0, v[0:1]
	v_not_b32_e32 v0, v1
	v_ashrrev_i32_e32 v0, 31, v0
	v_xor_b32_e32 v1, vcc_hi, v0
	v_xor_b32_e32 v0, vcc_lo, v0
	; wave barrier
	ds_read_b32 v45, v49 offset:64
	v_and_b32_e32 v47, v47, v48
	v_and_b32_e32 v0, v5, v0
	;; [unrolled: 1-line block ×3, first 2 shown]
	v_mbcnt_lo_u32_b32 v4, v0, 0
	v_mbcnt_hi_u32_b32 v47, v1, v4
	v_cmp_eq_u32_e32 vcc, 0, v47
	v_cmp_ne_u64_e64 s[2:3], 0, v[0:1]
	s_and_b64 s[4:5], s[2:3], vcc
	; wave barrier
	s_and_saveexec_b64 s[2:3], s[4:5]
	s_cbranch_execz .LBB1759_107
; %bb.106:
	v_bcnt_u32_b32 v0, v0, 0
	v_bcnt_u32_b32 v0, v1, v0
	s_waitcnt lgkmcnt(0)
	v_add_u32_e32 v0, v45, v0
	ds_write_b32 v49, v0 offset:64
.LBB1759_107:
	s_or_b64 exec, exec, s[2:3]
	s_waitcnt vmcnt(1)
	v_xor_b32_e32 v27, 0x80000000, v27
	v_lshrrev_b32_e32 v0, s20, v27
	v_and_b32_e32 v4, s21, v0
	v_and_b32_e32 v1, 1, v4
	v_add_co_u32_e32 v5, vcc, -1, v1
	v_addc_co_u32_e64 v50, s[2:3], 0, -1, vcc
	v_cmp_ne_u32_e32 vcc, 0, v1
	v_lshl_add_u32 v0, v4, 4, v4
	v_xor_b32_e32 v1, vcc_hi, v50
	v_add_lshl_u32 v51, v22, v0, 2
	v_mov_b32_e32 v0, 0
	v_and_b32_e32 v50, exec_hi, v1
	v_lshlrev_b32_e32 v1, 30, v4
	v_xor_b32_e32 v5, vcc_lo, v5
	v_cmp_gt_i64_e32 vcc, 0, v[0:1]
	v_not_b32_e32 v1, v1
	v_ashrrev_i32_e32 v1, 31, v1
	v_and_b32_e32 v5, exec_lo, v5
	v_xor_b32_e32 v52, vcc_hi, v1
	v_xor_b32_e32 v1, vcc_lo, v1
	v_and_b32_e32 v5, v5, v1
	v_lshlrev_b32_e32 v1, 29, v4
	v_cmp_gt_i64_e32 vcc, 0, v[0:1]
	v_not_b32_e32 v1, v1
	v_ashrrev_i32_e32 v1, 31, v1
	v_and_b32_e32 v50, v50, v52
	v_xor_b32_e32 v52, vcc_hi, v1
	v_xor_b32_e32 v1, vcc_lo, v1
	v_and_b32_e32 v5, v5, v1
	v_lshlrev_b32_e32 v1, 28, v4
	v_cmp_gt_i64_e32 vcc, 0, v[0:1]
	v_not_b32_e32 v1, v1
	v_ashrrev_i32_e32 v1, 31, v1
	v_and_b32_e32 v50, v50, v52
	;; [unrolled: 8-line block ×5, first 2 shown]
	v_xor_b32_e32 v52, vcc_hi, v1
	v_xor_b32_e32 v1, vcc_lo, v1
	v_and_b32_e32 v50, v50, v52
	v_and_b32_e32 v52, v5, v1
	v_lshlrev_b32_e32 v1, 24, v4
	v_cmp_gt_i64_e32 vcc, 0, v[0:1]
	v_not_b32_e32 v1, v1
	v_ashrrev_i32_e32 v1, 31, v1
	v_xor_b32_e32 v4, vcc_hi, v1
	v_xor_b32_e32 v1, vcc_lo, v1
	; wave barrier
	ds_read_b32 v48, v51 offset:64
	v_and_b32_e32 v5, v50, v4
	v_and_b32_e32 v4, v52, v1
	v_mbcnt_lo_u32_b32 v1, v4, 0
	v_mbcnt_hi_u32_b32 v50, v5, v1
	v_cmp_eq_u32_e32 vcc, 0, v50
	v_cmp_ne_u64_e64 s[2:3], 0, v[4:5]
	s_and_b64 s[4:5], s[2:3], vcc
	; wave barrier
	s_and_saveexec_b64 s[2:3], s[4:5]
	s_cbranch_execz .LBB1759_109
; %bb.108:
	v_bcnt_u32_b32 v1, v4, 0
	v_bcnt_u32_b32 v1, v5, v1
	s_waitcnt lgkmcnt(0)
	v_add_u32_e32 v1, v48, v1
	ds_write_b32 v51, v1 offset:64
.LBB1759_109:
	s_or_b64 exec, exec, s[2:3]
	s_waitcnt vmcnt(0)
	v_xor_b32_e32 v21, 0x80000000, v21
	v_lshrrev_b32_e32 v1, s20, v21
	v_and_b32_e32 v4, s21, v1
	v_lshl_add_u32 v1, v4, 4, v4
	v_add_lshl_u32 v53, v22, v1, 2
	v_and_b32_e32 v1, 1, v4
	v_add_co_u32_e32 v5, vcc, -1, v1
	v_addc_co_u32_e64 v52, s[2:3], 0, -1, vcc
	v_cmp_ne_u32_e32 vcc, 0, v1
	v_xor_b32_e32 v1, vcc_hi, v52
	v_and_b32_e32 v52, exec_hi, v1
	v_lshlrev_b32_e32 v1, 30, v4
	v_xor_b32_e32 v5, vcc_lo, v5
	v_cmp_gt_i64_e32 vcc, 0, v[0:1]
	v_not_b32_e32 v1, v1
	v_ashrrev_i32_e32 v1, 31, v1
	v_and_b32_e32 v5, exec_lo, v5
	v_xor_b32_e32 v55, vcc_hi, v1
	v_xor_b32_e32 v1, vcc_lo, v1
	v_and_b32_e32 v5, v5, v1
	v_lshlrev_b32_e32 v1, 29, v4
	v_cmp_gt_i64_e32 vcc, 0, v[0:1]
	v_not_b32_e32 v1, v1
	v_ashrrev_i32_e32 v1, 31, v1
	v_and_b32_e32 v52, v52, v55
	v_xor_b32_e32 v55, vcc_hi, v1
	v_xor_b32_e32 v1, vcc_lo, v1
	v_and_b32_e32 v5, v5, v1
	v_lshlrev_b32_e32 v1, 28, v4
	v_cmp_gt_i64_e32 vcc, 0, v[0:1]
	v_not_b32_e32 v1, v1
	v_ashrrev_i32_e32 v1, 31, v1
	v_and_b32_e32 v52, v52, v55
	;; [unrolled: 8-line block ×5, first 2 shown]
	v_xor_b32_e32 v55, vcc_hi, v1
	v_xor_b32_e32 v1, vcc_lo, v1
	v_and_b32_e32 v5, v5, v1
	v_lshlrev_b32_e32 v1, 24, v4
	v_cmp_gt_i64_e32 vcc, 0, v[0:1]
	v_not_b32_e32 v0, v1
	v_ashrrev_i32_e32 v0, 31, v0
	v_xor_b32_e32 v1, vcc_hi, v0
	v_xor_b32_e32 v0, vcc_lo, v0
	; wave barrier
	ds_read_b32 v22, v53 offset:64
	v_and_b32_e32 v52, v52, v55
	v_and_b32_e32 v0, v5, v0
	;; [unrolled: 1-line block ×3, first 2 shown]
	v_mbcnt_lo_u32_b32 v4, v0, 0
	v_mbcnt_hi_u32_b32 v52, v1, v4
	v_cmp_eq_u32_e32 vcc, 0, v52
	v_cmp_ne_u64_e64 s[2:3], 0, v[0:1]
	v_add_u32_e32 v54, 64, v7
	s_and_b64 s[4:5], s[2:3], vcc
	; wave barrier
	s_and_saveexec_b64 s[2:3], s[4:5]
	s_cbranch_execz .LBB1759_111
; %bb.110:
	v_bcnt_u32_b32 v0, v0, 0
	v_bcnt_u32_b32 v0, v1, v0
	s_waitcnt lgkmcnt(0)
	v_add_u32_e32 v0, v22, v0
	ds_write_b32 v53, v0 offset:64
.LBB1759_111:
	s_or_b64 exec, exec, s[2:3]
	; wave barrier
	s_waitcnt lgkmcnt(0)
	s_barrier
	ds_read2_b32 v[4:5], v7 offset0:16 offset1:17
	ds_read2_b32 v[0:1], v54 offset0:2 offset1:3
	ds_read_b32 v55, v54 offset:16
	v_cmp_lt_u32_e64 s[8:9], 31, v6
	s_waitcnt lgkmcnt(1)
	v_add3_u32 v56, v5, v4, v0
	s_waitcnt lgkmcnt(0)
	v_add3_u32 v55, v56, v1, v55
	v_and_b32_e32 v56, 15, v6
	v_cmp_eq_u32_e32 vcc, 0, v56
	v_mov_b32_dpp v57, v55 row_shr:1 row_mask:0xf bank_mask:0xf
	v_cndmask_b32_e64 v57, v57, 0, vcc
	v_add_u32_e32 v55, v57, v55
	v_cmp_lt_u32_e64 s[2:3], 1, v56
	v_cmp_lt_u32_e64 s[4:5], 3, v56
	v_mov_b32_dpp v57, v55 row_shr:2 row_mask:0xf bank_mask:0xf
	v_cndmask_b32_e64 v57, 0, v57, s[2:3]
	v_add_u32_e32 v55, v55, v57
	v_cmp_lt_u32_e64 s[6:7], 7, v56
	s_nop 0
	v_mov_b32_dpp v57, v55 row_shr:4 row_mask:0xf bank_mask:0xf
	v_cndmask_b32_e64 v57, 0, v57, s[4:5]
	v_add_u32_e32 v55, v55, v57
	s_nop 1
	v_mov_b32_dpp v57, v55 row_shr:8 row_mask:0xf bank_mask:0xf
	v_cndmask_b32_e64 v56, 0, v57, s[6:7]
	v_add_u32_e32 v55, v55, v56
	v_bfe_i32 v57, v6, 4, 1
	s_nop 0
	v_mov_b32_dpp v56, v55 row_bcast:15 row_mask:0xf bank_mask:0xf
	v_and_b32_e32 v56, v57, v56
	v_add_u32_e32 v55, v55, v56
	v_and_b32_e32 v57, 63, v2
	s_nop 0
	v_mov_b32_dpp v56, v55 row_bcast:31 row_mask:0xf bank_mask:0xf
	v_cndmask_b32_e64 v56, 0, v56, s[8:9]
	v_add_u32_e32 v55, v55, v56
	v_lshrrev_b32_e32 v56, 6, v2
	v_cmp_eq_u32_e64 s[8:9], 63, v57
	s_and_saveexec_b64 s[12:13], s[8:9]
	s_cbranch_execz .LBB1759_113
; %bb.112:
	v_lshlrev_b32_e32 v57, 2, v56
	ds_write_b32 v57, v55
.LBB1759_113:
	s_or_b64 exec, exec, s[12:13]
	v_cmp_gt_u32_e64 s[8:9], 16, v2
	s_waitcnt lgkmcnt(0)
	s_barrier
	s_and_saveexec_b64 s[12:13], s[8:9]
	s_cbranch_execz .LBB1759_115
; %bb.114:
	v_lshlrev_b32_e32 v57, 2, v2
	ds_read_b32 v58, v57
	s_waitcnt lgkmcnt(0)
	s_nop 0
	v_mov_b32_dpp v59, v58 row_shr:1 row_mask:0xf bank_mask:0xf
	v_cndmask_b32_e64 v59, v59, 0, vcc
	v_add_u32_e32 v58, v59, v58
	s_nop 1
	v_mov_b32_dpp v59, v58 row_shr:2 row_mask:0xf bank_mask:0xf
	v_cndmask_b32_e64 v59, 0, v59, s[2:3]
	v_add_u32_e32 v58, v58, v59
	s_nop 1
	v_mov_b32_dpp v59, v58 row_shr:4 row_mask:0xf bank_mask:0xf
	v_cndmask_b32_e64 v59, 0, v59, s[4:5]
	;; [unrolled: 4-line block ×3, first 2 shown]
	v_add_u32_e32 v58, v58, v59
	ds_write_b32 v57, v58
.LBB1759_115:
	s_or_b64 exec, exec, s[12:13]
	v_cmp_lt_u32_e32 vcc, 63, v2
	v_mov_b32_e32 v57, 0
	s_waitcnt lgkmcnt(0)
	s_barrier
	s_and_saveexec_b64 s[2:3], vcc
	s_cbranch_execz .LBB1759_117
; %bb.116:
	v_lshl_add_u32 v56, v56, 2, -4
	ds_read_b32 v57, v56
.LBB1759_117:
	s_or_b64 exec, exec, s[2:3]
	v_add_u32_e32 v56, -1, v6
	v_and_b32_e32 v58, 64, v6
	v_cmp_lt_i32_e32 vcc, v56, v58
	v_cndmask_b32_e32 v56, v56, v6, vcc
	s_waitcnt lgkmcnt(0)
	v_add_u32_e32 v55, v57, v55
	v_lshlrev_b32_e32 v56, 2, v56
	ds_bpermute_b32 v55, v56, v55
	v_cmp_eq_u32_e32 vcc, 0, v6
	s_waitcnt lgkmcnt(0)
	v_cndmask_b32_e32 v6, v55, v57, vcc
	v_cndmask_b32_e64 v6, v6, 0, s[0:1]
	v_add_u32_e32 v4, v6, v4
	v_add_u32_e32 v5, v4, v5
	;; [unrolled: 1-line block ×4, first 2 shown]
	ds_write2_b32 v7, v6, v4 offset0:16 offset1:17
	ds_write2_b32 v54, v5, v0 offset0:2 offset1:3
	ds_write_b32 v54, v1 offset:16
	s_waitcnt lgkmcnt(0)
	s_barrier
	ds_read_b32 v58, v13 offset:64
	ds_read_b32 v54, v17 offset:64
	ds_read_b32 v55, v23 offset:64
	ds_read_b32 v56, v28 offset:64
	ds_read_b32 v57, v33 offset:64
	ds_read_b32 v37, v37 offset:64
	ds_read_b32 v33, v40 offset:64
	ds_read_b32 v28, v43 offset:64
	ds_read_b32 v23, v46 offset:64
	ds_read_b32 v40, v49 offset:64
	ds_read_b32 v43, v51 offset:64
	ds_read_b32 v46, v53 offset:64
	s_movk_i32 s0, 0x100
	v_cmp_gt_u32_e32 vcc, s0, v2
                                        ; implicit-def: $vgpr13
                                        ; implicit-def: $vgpr17
	s_and_saveexec_b64 s[2:3], vcc
	s_cbranch_execz .LBB1759_121
; %bb.118:
	v_mul_u32_u24_e32 v0, 17, v2
	v_lshlrev_b32_e32 v1, 2, v0
	ds_read_b32 v13, v1 offset:64
	s_movk_i32 s0, 0xff
	v_cmp_ne_u32_e64 s[0:1], s0, v2
	v_mov_b32_e32 v0, 0x3000
	s_and_saveexec_b64 s[4:5], s[0:1]
	s_cbranch_execz .LBB1759_120
; %bb.119:
	ds_read_b32 v0, v1 offset:132
.LBB1759_120:
	s_or_b64 exec, exec, s[4:5]
	s_waitcnt lgkmcnt(0)
	v_sub_u32_e32 v17, v0, v13
.LBB1759_121:
	s_or_b64 exec, exec, s[2:3]
	s_waitcnt lgkmcnt(0)
	s_barrier
	s_and_saveexec_b64 s[2:3], vcc
	s_cbranch_execz .LBB1759_131
; %bb.122:
	v_lshl_or_b32 v0, s30, 8, v2
	v_mov_b32_e32 v1, 0
	v_lshlrev_b64 v[4:5], 2, v[0:1]
	v_mov_b32_e32 v49, s15
	v_add_co_u32_e64 v4, s[0:1], s14, v4
	v_addc_co_u32_e64 v5, s[0:1], v49, v5, s[0:1]
	v_or_b32_e32 v0, 2.0, v17
	s_mov_b64 s[4:5], 0
	s_brev_b32 s12, 1
	s_mov_b32 s13, s30
	v_mov_b32_e32 v51, 0
	global_store_dword v[4:5], v0, off
                                        ; implicit-def: $sgpr0_sgpr1
	s_branch .LBB1759_125
.LBB1759_123:                           ;   in Loop: Header=BB1759_125 Depth=1
	s_or_b64 exec, exec, s[8:9]
.LBB1759_124:                           ;   in Loop: Header=BB1759_125 Depth=1
	s_or_b64 exec, exec, s[6:7]
	v_and_b32_e32 v6, 0x3fffffff, v53
	v_add_u32_e32 v51, v6, v51
	v_cmp_eq_u32_e64 s[0:1], s12, v0
	s_and_b64 s[6:7], exec, s[0:1]
	s_or_b64 s[4:5], s[6:7], s[4:5]
	s_andn2_b64 exec, exec, s[4:5]
	s_cbranch_execz .LBB1759_130
.LBB1759_125:                           ; =>This Loop Header: Depth=1
                                        ;     Child Loop BB1759_128 Depth 2
	s_or_b64 s[0:1], s[0:1], exec
	s_cmp_eq_u32 s13, 0
	s_cbranch_scc1 .LBB1759_129
; %bb.126:                              ;   in Loop: Header=BB1759_125 Depth=1
	s_add_i32 s13, s13, -1
	v_lshl_or_b32 v0, s13, 8, v2
	v_lshlrev_b64 v[6:7], 2, v[0:1]
	v_add_co_u32_e64 v6, s[0:1], s14, v6
	v_addc_co_u32_e64 v7, s[0:1], v49, v7, s[0:1]
	global_load_dword v53, v[6:7], off glc
	s_waitcnt vmcnt(0)
	v_and_b32_e32 v0, -2.0, v53
	v_cmp_eq_u32_e64 s[0:1], 0, v0
	s_and_saveexec_b64 s[6:7], s[0:1]
	s_cbranch_execz .LBB1759_124
; %bb.127:                              ;   in Loop: Header=BB1759_125 Depth=1
	s_mov_b64 s[8:9], 0
.LBB1759_128:                           ;   Parent Loop BB1759_125 Depth=1
                                        ; =>  This Inner Loop Header: Depth=2
	global_load_dword v53, v[6:7], off glc
	s_waitcnt vmcnt(0)
	v_and_b32_e32 v0, -2.0, v53
	v_cmp_ne_u32_e64 s[0:1], 0, v0
	s_or_b64 s[8:9], s[0:1], s[8:9]
	s_andn2_b64 exec, exec, s[8:9]
	s_cbranch_execnz .LBB1759_128
	s_branch .LBB1759_123
.LBB1759_129:                           ;   in Loop: Header=BB1759_125 Depth=1
                                        ; implicit-def: $sgpr13
	s_and_b64 s[6:7], exec, s[0:1]
	s_or_b64 s[4:5], s[6:7], s[4:5]
	s_andn2_b64 exec, exec, s[4:5]
	s_cbranch_execnz .LBB1759_125
.LBB1759_130:
	s_or_b64 exec, exec, s[4:5]
	v_add_u32_e32 v0, v51, v17
	v_or_b32_e32 v0, 0x80000000, v0
	global_store_dword v[4:5], v0, off
	v_lshlrev_b32_e32 v0, 2, v2
	global_load_dword v1, v0, s[16:17]
	v_sub_u32_e32 v4, v51, v13
	s_waitcnt vmcnt(0)
	v_add_u32_e32 v1, v4, v1
	ds_write_b32 v0, v1
.LBB1759_131:
	s_or_b64 exec, exec, s[2:3]
	v_lshlrev_b32_e32 v5, 2, v2
	v_add_u32_e32 v4, v58, v10
	s_movk_i32 s2, 0x400
	v_add_u32_e32 v6, 0x400, v5
	v_add3_u32 v7, v52, v46, v22
	v_add3_u32 v10, v50, v43, v48
	;; [unrolled: 1-line block ×11, first 2 shown]
	s_mov_b32 s3, 0
	v_mov_b32_e32 v14, s27
	s_movk_i32 s4, 0x800
	s_movk_i32 s5, 0xc00
	v_mov_b32_e32 v1, 0
	v_mov_b32_e32 v18, v2
.LBB1759_132:                           ; =>This Inner Loop Header: Depth=1
	v_add_u32_e32 v0, s3, v4
	v_add_u32_e32 v36, s3, v26
	;; [unrolled: 1-line block ×12, first 2 shown]
	v_min_u32_e32 v0, 0x1000, v0
	v_min_u32_e32 v36, 0x1000, v36
	;; [unrolled: 1-line block ×12, first 2 shown]
	v_lshlrev_b32_e32 v0, 2, v0
	v_lshlrev_b32_e32 v36, 2, v36
	v_lshlrev_b32_e32 v37, 2, v37
	v_lshlrev_b32_e32 v24, 2, v24
	v_lshlrev_b32_e32 v29, 2, v29
	v_lshlrev_b32_e32 v34, 2, v34
	v_lshlrev_b32_e32 v38, 2, v38
	v_lshlrev_b32_e32 v39, 2, v39
	v_lshlrev_b32_e32 v40, 2, v40
	v_lshlrev_b32_e32 v41, 2, v41
	v_lshlrev_b32_e32 v42, 2, v42
	v_lshlrev_b32_e32 v43, 2, v43
	ds_write_b32 v0, v3 offset:1024
	ds_write_b32 v24, v8 offset:1024
	;; [unrolled: 1-line block ×12, first 2 shown]
	s_waitcnt lgkmcnt(0)
	s_barrier
	ds_read2st64_b32 v[36:37], v6 offset0:16 offset1:32
	ds_read_b32 v0, v5 offset:1024
	s_addk_i32 s3, 0xf000
	s_cmpk_lg_i32 s3, 0xd000
	s_waitcnt lgkmcnt(1)
	v_lshrrev_b32_e32 v24, s20, v36
	v_and_b32_e32 v24, s21, v24
	v_lshlrev_b32_e32 v24, 2, v24
	v_xor_b32_e32 v29, 0x80000000, v36
	v_lshrrev_b32_e32 v34, s20, v37
	v_xor_b32_e32 v40, 0x80000000, v37
	ds_read_b32 v24, v24
	ds_read_b32 v36, v6 offset:12288
	s_waitcnt lgkmcnt(2)
	v_lshrrev_b32_e32 v37, s20, v0
	v_and_b32_e32 v34, s21, v34
	v_xor_b32_e32 v41, 0x80000000, v0
	v_and_b32_e32 v0, s21, v37
	v_lshlrev_b32_e32 v34, 2, v34
	v_lshlrev_b32_e32 v0, 2, v0
	ds_read_b32 v0, v0
	ds_read_b32 v34, v34
	s_waitcnt lgkmcnt(2)
	v_lshrrev_b32_e32 v37, s20, v36
	v_xor_b32_e32 v42, 0x80000000, v36
	v_and_b32_e32 v36, s21, v37
	v_lshlrev_b32_e32 v36, 2, v36
	s_waitcnt lgkmcnt(1)
	v_add_u32_e32 v0, v18, v0
	ds_read_b32 v43, v36
	v_lshlrev_b64 v[36:37], 2, v[0:1]
	v_add3_u32 v0, v18, v24, s2
	v_add_co_u32_e64 v36, s[0:1], s26, v36
	v_addc_co_u32_e64 v37, s[0:1], v14, v37, s[0:1]
	v_lshlrev_b64 v[38:39], 2, v[0:1]
	s_waitcnt lgkmcnt(1)
	v_add3_u32 v0, v18, v34, s4
	global_store_dword v[36:37], v41, off
	v_add_co_u32_e64 v36, s[0:1], s26, v38
	v_addc_co_u32_e64 v37, s[0:1], v14, v39, s[0:1]
	v_lshlrev_b64 v[38:39], 2, v[0:1]
	global_store_dword v[36:37], v29, off
	v_add_co_u32_e64 v36, s[0:1], s26, v38
	v_addc_co_u32_e64 v37, s[0:1], v14, v39, s[0:1]
	s_waitcnt lgkmcnt(0)
	v_add3_u32 v0, v18, v43, s5
	global_store_dword v[36:37], v40, off
	v_lshlrev_b64 v[36:37], 2, v[0:1]
	v_add_co_u32_e64 v36, s[0:1], s26, v36
	v_add_u32_e32 v18, 0x1000, v18
	v_addc_co_u32_e64 v37, s[0:1], v14, v37, s[0:1]
	global_store_dword v[36:37], v42, off
	s_barrier
	s_cbranch_scc1 .LBB1759_132
; %bb.133:
	s_add_i32 s22, s22, -1
	s_cmp_eq_u32 s22, s30
	s_cselect_b64 s[0:1], -1, 0
	s_and_b64 s[2:3], vcc, s[0:1]
                                        ; implicit-def: $vgpr3
	s_and_saveexec_b64 s[0:1], s[2:3]
; %bb.134:
	v_add_u32_e32 v3, v13, v17
	s_or_b64 s[10:11], s[10:11], exec
; %bb.135:
	s_or_b64 exec, exec, s[0:1]
.LBB1759_136:
	s_and_saveexec_b64 s[0:1], s[10:11]
	s_cbranch_execnz .LBB1759_138
; %bb.137:
	s_endpgm
.LBB1759_138:
	v_lshlrev_b32_e32 v0, 2, v2
	ds_read_b32 v1, v0
	s_waitcnt lgkmcnt(0)
	v_add_u32_e32 v1, v1, v3
	global_store_dword v0, v1, s[18:19]
	s_endpgm
	.section	.rodata,"a",@progbits
	.p2align	6, 0x0
	.amdhsa_kernel _ZN7rocprim17ROCPRIM_400000_NS6detail17trampoline_kernelINS0_14default_configENS1_35radix_sort_onesweep_config_selectorIiNS0_10empty_typeEEEZZNS1_29radix_sort_onesweep_iterationIS3_Lb0EN6thrust23THRUST_200600_302600_NS6detail15normal_iteratorINS9_10device_ptrIiEEEESE_PS5_SF_jNS0_19identity_decomposerENS1_16block_id_wrapperIjLb1EEEEE10hipError_tT1_PNSt15iterator_traitsISK_E10value_typeET2_T3_PNSL_ISQ_E10value_typeET4_T5_PSV_SW_PNS1_23onesweep_lookback_stateEbbT6_jjT7_P12ihipStream_tbENKUlT_T0_SK_SP_E_clISE_PiSF_SF_EEDaS13_S14_SK_SP_EUlS13_E_NS1_11comp_targetILNS1_3genE4ELNS1_11target_archE910ELNS1_3gpuE8ELNS1_3repE0EEENS1_47radix_sort_onesweep_sort_config_static_selectorELNS0_4arch9wavefront6targetE1EEEvSK_
		.amdhsa_group_segment_fixed_size 20552
		.amdhsa_private_segment_fixed_size 0
		.amdhsa_kernarg_size 344
		.amdhsa_user_sgpr_count 6
		.amdhsa_user_sgpr_private_segment_buffer 1
		.amdhsa_user_sgpr_dispatch_ptr 0
		.amdhsa_user_sgpr_queue_ptr 0
		.amdhsa_user_sgpr_kernarg_segment_ptr 1
		.amdhsa_user_sgpr_dispatch_id 0
		.amdhsa_user_sgpr_flat_scratch_init 0
		.amdhsa_user_sgpr_kernarg_preload_length 0
		.amdhsa_user_sgpr_kernarg_preload_offset 0
		.amdhsa_user_sgpr_private_segment_size 0
		.amdhsa_uses_dynamic_stack 0
		.amdhsa_system_sgpr_private_segment_wavefront_offset 0
		.amdhsa_system_sgpr_workgroup_id_x 1
		.amdhsa_system_sgpr_workgroup_id_y 0
		.amdhsa_system_sgpr_workgroup_id_z 0
		.amdhsa_system_sgpr_workgroup_info 0
		.amdhsa_system_vgpr_workitem_id 2
		.amdhsa_next_free_vgpr 62
		.amdhsa_next_free_sgpr 35
		.amdhsa_accum_offset 64
		.amdhsa_reserve_vcc 1
		.amdhsa_reserve_flat_scratch 0
		.amdhsa_float_round_mode_32 0
		.amdhsa_float_round_mode_16_64 0
		.amdhsa_float_denorm_mode_32 3
		.amdhsa_float_denorm_mode_16_64 3
		.amdhsa_dx10_clamp 1
		.amdhsa_ieee_mode 1
		.amdhsa_fp16_overflow 0
		.amdhsa_tg_split 0
		.amdhsa_exception_fp_ieee_invalid_op 0
		.amdhsa_exception_fp_denorm_src 0
		.amdhsa_exception_fp_ieee_div_zero 0
		.amdhsa_exception_fp_ieee_overflow 0
		.amdhsa_exception_fp_ieee_underflow 0
		.amdhsa_exception_fp_ieee_inexact 0
		.amdhsa_exception_int_div_zero 0
	.end_amdhsa_kernel
	.section	.text._ZN7rocprim17ROCPRIM_400000_NS6detail17trampoline_kernelINS0_14default_configENS1_35radix_sort_onesweep_config_selectorIiNS0_10empty_typeEEEZZNS1_29radix_sort_onesweep_iterationIS3_Lb0EN6thrust23THRUST_200600_302600_NS6detail15normal_iteratorINS9_10device_ptrIiEEEESE_PS5_SF_jNS0_19identity_decomposerENS1_16block_id_wrapperIjLb1EEEEE10hipError_tT1_PNSt15iterator_traitsISK_E10value_typeET2_T3_PNSL_ISQ_E10value_typeET4_T5_PSV_SW_PNS1_23onesweep_lookback_stateEbbT6_jjT7_P12ihipStream_tbENKUlT_T0_SK_SP_E_clISE_PiSF_SF_EEDaS13_S14_SK_SP_EUlS13_E_NS1_11comp_targetILNS1_3genE4ELNS1_11target_archE910ELNS1_3gpuE8ELNS1_3repE0EEENS1_47radix_sort_onesweep_sort_config_static_selectorELNS0_4arch9wavefront6targetE1EEEvSK_,"axG",@progbits,_ZN7rocprim17ROCPRIM_400000_NS6detail17trampoline_kernelINS0_14default_configENS1_35radix_sort_onesweep_config_selectorIiNS0_10empty_typeEEEZZNS1_29radix_sort_onesweep_iterationIS3_Lb0EN6thrust23THRUST_200600_302600_NS6detail15normal_iteratorINS9_10device_ptrIiEEEESE_PS5_SF_jNS0_19identity_decomposerENS1_16block_id_wrapperIjLb1EEEEE10hipError_tT1_PNSt15iterator_traitsISK_E10value_typeET2_T3_PNSL_ISQ_E10value_typeET4_T5_PSV_SW_PNS1_23onesweep_lookback_stateEbbT6_jjT7_P12ihipStream_tbENKUlT_T0_SK_SP_E_clISE_PiSF_SF_EEDaS13_S14_SK_SP_EUlS13_E_NS1_11comp_targetILNS1_3genE4ELNS1_11target_archE910ELNS1_3gpuE8ELNS1_3repE0EEENS1_47radix_sort_onesweep_sort_config_static_selectorELNS0_4arch9wavefront6targetE1EEEvSK_,comdat
.Lfunc_end1759:
	.size	_ZN7rocprim17ROCPRIM_400000_NS6detail17trampoline_kernelINS0_14default_configENS1_35radix_sort_onesweep_config_selectorIiNS0_10empty_typeEEEZZNS1_29radix_sort_onesweep_iterationIS3_Lb0EN6thrust23THRUST_200600_302600_NS6detail15normal_iteratorINS9_10device_ptrIiEEEESE_PS5_SF_jNS0_19identity_decomposerENS1_16block_id_wrapperIjLb1EEEEE10hipError_tT1_PNSt15iterator_traitsISK_E10value_typeET2_T3_PNSL_ISQ_E10value_typeET4_T5_PSV_SW_PNS1_23onesweep_lookback_stateEbbT6_jjT7_P12ihipStream_tbENKUlT_T0_SK_SP_E_clISE_PiSF_SF_EEDaS13_S14_SK_SP_EUlS13_E_NS1_11comp_targetILNS1_3genE4ELNS1_11target_archE910ELNS1_3gpuE8ELNS1_3repE0EEENS1_47radix_sort_onesweep_sort_config_static_selectorELNS0_4arch9wavefront6targetE1EEEvSK_, .Lfunc_end1759-_ZN7rocprim17ROCPRIM_400000_NS6detail17trampoline_kernelINS0_14default_configENS1_35radix_sort_onesweep_config_selectorIiNS0_10empty_typeEEEZZNS1_29radix_sort_onesweep_iterationIS3_Lb0EN6thrust23THRUST_200600_302600_NS6detail15normal_iteratorINS9_10device_ptrIiEEEESE_PS5_SF_jNS0_19identity_decomposerENS1_16block_id_wrapperIjLb1EEEEE10hipError_tT1_PNSt15iterator_traitsISK_E10value_typeET2_T3_PNSL_ISQ_E10value_typeET4_T5_PSV_SW_PNS1_23onesweep_lookback_stateEbbT6_jjT7_P12ihipStream_tbENKUlT_T0_SK_SP_E_clISE_PiSF_SF_EEDaS13_S14_SK_SP_EUlS13_E_NS1_11comp_targetILNS1_3genE4ELNS1_11target_archE910ELNS1_3gpuE8ELNS1_3repE0EEENS1_47radix_sort_onesweep_sort_config_static_selectorELNS0_4arch9wavefront6targetE1EEEvSK_
                                        ; -- End function
	.section	.AMDGPU.csdata,"",@progbits
; Kernel info:
; codeLenInByte = 14296
; NumSgprs: 39
; NumVgprs: 62
; NumAgprs: 0
; TotalNumVgprs: 62
; ScratchSize: 0
; MemoryBound: 0
; FloatMode: 240
; IeeeMode: 1
; LDSByteSize: 20552 bytes/workgroup (compile time only)
; SGPRBlocks: 4
; VGPRBlocks: 7
; NumSGPRsForWavesPerEU: 39
; NumVGPRsForWavesPerEU: 62
; AccumOffset: 64
; Occupancy: 8
; WaveLimiterHint : 1
; COMPUTE_PGM_RSRC2:SCRATCH_EN: 0
; COMPUTE_PGM_RSRC2:USER_SGPR: 6
; COMPUTE_PGM_RSRC2:TRAP_HANDLER: 0
; COMPUTE_PGM_RSRC2:TGID_X_EN: 1
; COMPUTE_PGM_RSRC2:TGID_Y_EN: 0
; COMPUTE_PGM_RSRC2:TGID_Z_EN: 0
; COMPUTE_PGM_RSRC2:TIDIG_COMP_CNT: 2
; COMPUTE_PGM_RSRC3_GFX90A:ACCUM_OFFSET: 15
; COMPUTE_PGM_RSRC3_GFX90A:TG_SPLIT: 0
	.section	.text._ZN7rocprim17ROCPRIM_400000_NS6detail17trampoline_kernelINS0_14default_configENS1_35radix_sort_onesweep_config_selectorIiNS0_10empty_typeEEEZZNS1_29radix_sort_onesweep_iterationIS3_Lb0EN6thrust23THRUST_200600_302600_NS6detail15normal_iteratorINS9_10device_ptrIiEEEESE_PS5_SF_jNS0_19identity_decomposerENS1_16block_id_wrapperIjLb1EEEEE10hipError_tT1_PNSt15iterator_traitsISK_E10value_typeET2_T3_PNSL_ISQ_E10value_typeET4_T5_PSV_SW_PNS1_23onesweep_lookback_stateEbbT6_jjT7_P12ihipStream_tbENKUlT_T0_SK_SP_E_clISE_PiSF_SF_EEDaS13_S14_SK_SP_EUlS13_E_NS1_11comp_targetILNS1_3genE3ELNS1_11target_archE908ELNS1_3gpuE7ELNS1_3repE0EEENS1_47radix_sort_onesweep_sort_config_static_selectorELNS0_4arch9wavefront6targetE1EEEvSK_,"axG",@progbits,_ZN7rocprim17ROCPRIM_400000_NS6detail17trampoline_kernelINS0_14default_configENS1_35radix_sort_onesweep_config_selectorIiNS0_10empty_typeEEEZZNS1_29radix_sort_onesweep_iterationIS3_Lb0EN6thrust23THRUST_200600_302600_NS6detail15normal_iteratorINS9_10device_ptrIiEEEESE_PS5_SF_jNS0_19identity_decomposerENS1_16block_id_wrapperIjLb1EEEEE10hipError_tT1_PNSt15iterator_traitsISK_E10value_typeET2_T3_PNSL_ISQ_E10value_typeET4_T5_PSV_SW_PNS1_23onesweep_lookback_stateEbbT6_jjT7_P12ihipStream_tbENKUlT_T0_SK_SP_E_clISE_PiSF_SF_EEDaS13_S14_SK_SP_EUlS13_E_NS1_11comp_targetILNS1_3genE3ELNS1_11target_archE908ELNS1_3gpuE7ELNS1_3repE0EEENS1_47radix_sort_onesweep_sort_config_static_selectorELNS0_4arch9wavefront6targetE1EEEvSK_,comdat
	.protected	_ZN7rocprim17ROCPRIM_400000_NS6detail17trampoline_kernelINS0_14default_configENS1_35radix_sort_onesweep_config_selectorIiNS0_10empty_typeEEEZZNS1_29radix_sort_onesweep_iterationIS3_Lb0EN6thrust23THRUST_200600_302600_NS6detail15normal_iteratorINS9_10device_ptrIiEEEESE_PS5_SF_jNS0_19identity_decomposerENS1_16block_id_wrapperIjLb1EEEEE10hipError_tT1_PNSt15iterator_traitsISK_E10value_typeET2_T3_PNSL_ISQ_E10value_typeET4_T5_PSV_SW_PNS1_23onesweep_lookback_stateEbbT6_jjT7_P12ihipStream_tbENKUlT_T0_SK_SP_E_clISE_PiSF_SF_EEDaS13_S14_SK_SP_EUlS13_E_NS1_11comp_targetILNS1_3genE3ELNS1_11target_archE908ELNS1_3gpuE7ELNS1_3repE0EEENS1_47radix_sort_onesweep_sort_config_static_selectorELNS0_4arch9wavefront6targetE1EEEvSK_ ; -- Begin function _ZN7rocprim17ROCPRIM_400000_NS6detail17trampoline_kernelINS0_14default_configENS1_35radix_sort_onesweep_config_selectorIiNS0_10empty_typeEEEZZNS1_29radix_sort_onesweep_iterationIS3_Lb0EN6thrust23THRUST_200600_302600_NS6detail15normal_iteratorINS9_10device_ptrIiEEEESE_PS5_SF_jNS0_19identity_decomposerENS1_16block_id_wrapperIjLb1EEEEE10hipError_tT1_PNSt15iterator_traitsISK_E10value_typeET2_T3_PNSL_ISQ_E10value_typeET4_T5_PSV_SW_PNS1_23onesweep_lookback_stateEbbT6_jjT7_P12ihipStream_tbENKUlT_T0_SK_SP_E_clISE_PiSF_SF_EEDaS13_S14_SK_SP_EUlS13_E_NS1_11comp_targetILNS1_3genE3ELNS1_11target_archE908ELNS1_3gpuE7ELNS1_3repE0EEENS1_47radix_sort_onesweep_sort_config_static_selectorELNS0_4arch9wavefront6targetE1EEEvSK_
	.globl	_ZN7rocprim17ROCPRIM_400000_NS6detail17trampoline_kernelINS0_14default_configENS1_35radix_sort_onesweep_config_selectorIiNS0_10empty_typeEEEZZNS1_29radix_sort_onesweep_iterationIS3_Lb0EN6thrust23THRUST_200600_302600_NS6detail15normal_iteratorINS9_10device_ptrIiEEEESE_PS5_SF_jNS0_19identity_decomposerENS1_16block_id_wrapperIjLb1EEEEE10hipError_tT1_PNSt15iterator_traitsISK_E10value_typeET2_T3_PNSL_ISQ_E10value_typeET4_T5_PSV_SW_PNS1_23onesweep_lookback_stateEbbT6_jjT7_P12ihipStream_tbENKUlT_T0_SK_SP_E_clISE_PiSF_SF_EEDaS13_S14_SK_SP_EUlS13_E_NS1_11comp_targetILNS1_3genE3ELNS1_11target_archE908ELNS1_3gpuE7ELNS1_3repE0EEENS1_47radix_sort_onesweep_sort_config_static_selectorELNS0_4arch9wavefront6targetE1EEEvSK_
	.p2align	8
	.type	_ZN7rocprim17ROCPRIM_400000_NS6detail17trampoline_kernelINS0_14default_configENS1_35radix_sort_onesweep_config_selectorIiNS0_10empty_typeEEEZZNS1_29radix_sort_onesweep_iterationIS3_Lb0EN6thrust23THRUST_200600_302600_NS6detail15normal_iteratorINS9_10device_ptrIiEEEESE_PS5_SF_jNS0_19identity_decomposerENS1_16block_id_wrapperIjLb1EEEEE10hipError_tT1_PNSt15iterator_traitsISK_E10value_typeET2_T3_PNSL_ISQ_E10value_typeET4_T5_PSV_SW_PNS1_23onesweep_lookback_stateEbbT6_jjT7_P12ihipStream_tbENKUlT_T0_SK_SP_E_clISE_PiSF_SF_EEDaS13_S14_SK_SP_EUlS13_E_NS1_11comp_targetILNS1_3genE3ELNS1_11target_archE908ELNS1_3gpuE7ELNS1_3repE0EEENS1_47radix_sort_onesweep_sort_config_static_selectorELNS0_4arch9wavefront6targetE1EEEvSK_,@function
_ZN7rocprim17ROCPRIM_400000_NS6detail17trampoline_kernelINS0_14default_configENS1_35radix_sort_onesweep_config_selectorIiNS0_10empty_typeEEEZZNS1_29radix_sort_onesweep_iterationIS3_Lb0EN6thrust23THRUST_200600_302600_NS6detail15normal_iteratorINS9_10device_ptrIiEEEESE_PS5_SF_jNS0_19identity_decomposerENS1_16block_id_wrapperIjLb1EEEEE10hipError_tT1_PNSt15iterator_traitsISK_E10value_typeET2_T3_PNSL_ISQ_E10value_typeET4_T5_PSV_SW_PNS1_23onesweep_lookback_stateEbbT6_jjT7_P12ihipStream_tbENKUlT_T0_SK_SP_E_clISE_PiSF_SF_EEDaS13_S14_SK_SP_EUlS13_E_NS1_11comp_targetILNS1_3genE3ELNS1_11target_archE908ELNS1_3gpuE7ELNS1_3repE0EEENS1_47radix_sort_onesweep_sort_config_static_selectorELNS0_4arch9wavefront6targetE1EEEvSK_: ; @_ZN7rocprim17ROCPRIM_400000_NS6detail17trampoline_kernelINS0_14default_configENS1_35radix_sort_onesweep_config_selectorIiNS0_10empty_typeEEEZZNS1_29radix_sort_onesweep_iterationIS3_Lb0EN6thrust23THRUST_200600_302600_NS6detail15normal_iteratorINS9_10device_ptrIiEEEESE_PS5_SF_jNS0_19identity_decomposerENS1_16block_id_wrapperIjLb1EEEEE10hipError_tT1_PNSt15iterator_traitsISK_E10value_typeET2_T3_PNSL_ISQ_E10value_typeET4_T5_PSV_SW_PNS1_23onesweep_lookback_stateEbbT6_jjT7_P12ihipStream_tbENKUlT_T0_SK_SP_E_clISE_PiSF_SF_EEDaS13_S14_SK_SP_EUlS13_E_NS1_11comp_targetILNS1_3genE3ELNS1_11target_archE908ELNS1_3gpuE7ELNS1_3repE0EEENS1_47radix_sort_onesweep_sort_config_static_selectorELNS0_4arch9wavefront6targetE1EEEvSK_
; %bb.0:
	.section	.rodata,"a",@progbits
	.p2align	6, 0x0
	.amdhsa_kernel _ZN7rocprim17ROCPRIM_400000_NS6detail17trampoline_kernelINS0_14default_configENS1_35radix_sort_onesweep_config_selectorIiNS0_10empty_typeEEEZZNS1_29radix_sort_onesweep_iterationIS3_Lb0EN6thrust23THRUST_200600_302600_NS6detail15normal_iteratorINS9_10device_ptrIiEEEESE_PS5_SF_jNS0_19identity_decomposerENS1_16block_id_wrapperIjLb1EEEEE10hipError_tT1_PNSt15iterator_traitsISK_E10value_typeET2_T3_PNSL_ISQ_E10value_typeET4_T5_PSV_SW_PNS1_23onesweep_lookback_stateEbbT6_jjT7_P12ihipStream_tbENKUlT_T0_SK_SP_E_clISE_PiSF_SF_EEDaS13_S14_SK_SP_EUlS13_E_NS1_11comp_targetILNS1_3genE3ELNS1_11target_archE908ELNS1_3gpuE7ELNS1_3repE0EEENS1_47radix_sort_onesweep_sort_config_static_selectorELNS0_4arch9wavefront6targetE1EEEvSK_
		.amdhsa_group_segment_fixed_size 0
		.amdhsa_private_segment_fixed_size 0
		.amdhsa_kernarg_size 88
		.amdhsa_user_sgpr_count 6
		.amdhsa_user_sgpr_private_segment_buffer 1
		.amdhsa_user_sgpr_dispatch_ptr 0
		.amdhsa_user_sgpr_queue_ptr 0
		.amdhsa_user_sgpr_kernarg_segment_ptr 1
		.amdhsa_user_sgpr_dispatch_id 0
		.amdhsa_user_sgpr_flat_scratch_init 0
		.amdhsa_user_sgpr_kernarg_preload_length 0
		.amdhsa_user_sgpr_kernarg_preload_offset 0
		.amdhsa_user_sgpr_private_segment_size 0
		.amdhsa_uses_dynamic_stack 0
		.amdhsa_system_sgpr_private_segment_wavefront_offset 0
		.amdhsa_system_sgpr_workgroup_id_x 1
		.amdhsa_system_sgpr_workgroup_id_y 0
		.amdhsa_system_sgpr_workgroup_id_z 0
		.amdhsa_system_sgpr_workgroup_info 0
		.amdhsa_system_vgpr_workitem_id 0
		.amdhsa_next_free_vgpr 1
		.amdhsa_next_free_sgpr 0
		.amdhsa_accum_offset 4
		.amdhsa_reserve_vcc 0
		.amdhsa_reserve_flat_scratch 0
		.amdhsa_float_round_mode_32 0
		.amdhsa_float_round_mode_16_64 0
		.amdhsa_float_denorm_mode_32 3
		.amdhsa_float_denorm_mode_16_64 3
		.amdhsa_dx10_clamp 1
		.amdhsa_ieee_mode 1
		.amdhsa_fp16_overflow 0
		.amdhsa_tg_split 0
		.amdhsa_exception_fp_ieee_invalid_op 0
		.amdhsa_exception_fp_denorm_src 0
		.amdhsa_exception_fp_ieee_div_zero 0
		.amdhsa_exception_fp_ieee_overflow 0
		.amdhsa_exception_fp_ieee_underflow 0
		.amdhsa_exception_fp_ieee_inexact 0
		.amdhsa_exception_int_div_zero 0
	.end_amdhsa_kernel
	.section	.text._ZN7rocprim17ROCPRIM_400000_NS6detail17trampoline_kernelINS0_14default_configENS1_35radix_sort_onesweep_config_selectorIiNS0_10empty_typeEEEZZNS1_29radix_sort_onesweep_iterationIS3_Lb0EN6thrust23THRUST_200600_302600_NS6detail15normal_iteratorINS9_10device_ptrIiEEEESE_PS5_SF_jNS0_19identity_decomposerENS1_16block_id_wrapperIjLb1EEEEE10hipError_tT1_PNSt15iterator_traitsISK_E10value_typeET2_T3_PNSL_ISQ_E10value_typeET4_T5_PSV_SW_PNS1_23onesweep_lookback_stateEbbT6_jjT7_P12ihipStream_tbENKUlT_T0_SK_SP_E_clISE_PiSF_SF_EEDaS13_S14_SK_SP_EUlS13_E_NS1_11comp_targetILNS1_3genE3ELNS1_11target_archE908ELNS1_3gpuE7ELNS1_3repE0EEENS1_47radix_sort_onesweep_sort_config_static_selectorELNS0_4arch9wavefront6targetE1EEEvSK_,"axG",@progbits,_ZN7rocprim17ROCPRIM_400000_NS6detail17trampoline_kernelINS0_14default_configENS1_35radix_sort_onesweep_config_selectorIiNS0_10empty_typeEEEZZNS1_29radix_sort_onesweep_iterationIS3_Lb0EN6thrust23THRUST_200600_302600_NS6detail15normal_iteratorINS9_10device_ptrIiEEEESE_PS5_SF_jNS0_19identity_decomposerENS1_16block_id_wrapperIjLb1EEEEE10hipError_tT1_PNSt15iterator_traitsISK_E10value_typeET2_T3_PNSL_ISQ_E10value_typeET4_T5_PSV_SW_PNS1_23onesweep_lookback_stateEbbT6_jjT7_P12ihipStream_tbENKUlT_T0_SK_SP_E_clISE_PiSF_SF_EEDaS13_S14_SK_SP_EUlS13_E_NS1_11comp_targetILNS1_3genE3ELNS1_11target_archE908ELNS1_3gpuE7ELNS1_3repE0EEENS1_47radix_sort_onesweep_sort_config_static_selectorELNS0_4arch9wavefront6targetE1EEEvSK_,comdat
.Lfunc_end1760:
	.size	_ZN7rocprim17ROCPRIM_400000_NS6detail17trampoline_kernelINS0_14default_configENS1_35radix_sort_onesweep_config_selectorIiNS0_10empty_typeEEEZZNS1_29radix_sort_onesweep_iterationIS3_Lb0EN6thrust23THRUST_200600_302600_NS6detail15normal_iteratorINS9_10device_ptrIiEEEESE_PS5_SF_jNS0_19identity_decomposerENS1_16block_id_wrapperIjLb1EEEEE10hipError_tT1_PNSt15iterator_traitsISK_E10value_typeET2_T3_PNSL_ISQ_E10value_typeET4_T5_PSV_SW_PNS1_23onesweep_lookback_stateEbbT6_jjT7_P12ihipStream_tbENKUlT_T0_SK_SP_E_clISE_PiSF_SF_EEDaS13_S14_SK_SP_EUlS13_E_NS1_11comp_targetILNS1_3genE3ELNS1_11target_archE908ELNS1_3gpuE7ELNS1_3repE0EEENS1_47radix_sort_onesweep_sort_config_static_selectorELNS0_4arch9wavefront6targetE1EEEvSK_, .Lfunc_end1760-_ZN7rocprim17ROCPRIM_400000_NS6detail17trampoline_kernelINS0_14default_configENS1_35radix_sort_onesweep_config_selectorIiNS0_10empty_typeEEEZZNS1_29radix_sort_onesweep_iterationIS3_Lb0EN6thrust23THRUST_200600_302600_NS6detail15normal_iteratorINS9_10device_ptrIiEEEESE_PS5_SF_jNS0_19identity_decomposerENS1_16block_id_wrapperIjLb1EEEEE10hipError_tT1_PNSt15iterator_traitsISK_E10value_typeET2_T3_PNSL_ISQ_E10value_typeET4_T5_PSV_SW_PNS1_23onesweep_lookback_stateEbbT6_jjT7_P12ihipStream_tbENKUlT_T0_SK_SP_E_clISE_PiSF_SF_EEDaS13_S14_SK_SP_EUlS13_E_NS1_11comp_targetILNS1_3genE3ELNS1_11target_archE908ELNS1_3gpuE7ELNS1_3repE0EEENS1_47radix_sort_onesweep_sort_config_static_selectorELNS0_4arch9wavefront6targetE1EEEvSK_
                                        ; -- End function
	.section	.AMDGPU.csdata,"",@progbits
; Kernel info:
; codeLenInByte = 0
; NumSgprs: 4
; NumVgprs: 0
; NumAgprs: 0
; TotalNumVgprs: 0
; ScratchSize: 0
; MemoryBound: 0
; FloatMode: 240
; IeeeMode: 1
; LDSByteSize: 0 bytes/workgroup (compile time only)
; SGPRBlocks: 0
; VGPRBlocks: 0
; NumSGPRsForWavesPerEU: 4
; NumVGPRsForWavesPerEU: 1
; AccumOffset: 4
; Occupancy: 8
; WaveLimiterHint : 0
; COMPUTE_PGM_RSRC2:SCRATCH_EN: 0
; COMPUTE_PGM_RSRC2:USER_SGPR: 6
; COMPUTE_PGM_RSRC2:TRAP_HANDLER: 0
; COMPUTE_PGM_RSRC2:TGID_X_EN: 1
; COMPUTE_PGM_RSRC2:TGID_Y_EN: 0
; COMPUTE_PGM_RSRC2:TGID_Z_EN: 0
; COMPUTE_PGM_RSRC2:TIDIG_COMP_CNT: 0
; COMPUTE_PGM_RSRC3_GFX90A:ACCUM_OFFSET: 0
; COMPUTE_PGM_RSRC3_GFX90A:TG_SPLIT: 0
	.section	.text._ZN7rocprim17ROCPRIM_400000_NS6detail17trampoline_kernelINS0_14default_configENS1_35radix_sort_onesweep_config_selectorIiNS0_10empty_typeEEEZZNS1_29radix_sort_onesweep_iterationIS3_Lb0EN6thrust23THRUST_200600_302600_NS6detail15normal_iteratorINS9_10device_ptrIiEEEESE_PS5_SF_jNS0_19identity_decomposerENS1_16block_id_wrapperIjLb1EEEEE10hipError_tT1_PNSt15iterator_traitsISK_E10value_typeET2_T3_PNSL_ISQ_E10value_typeET4_T5_PSV_SW_PNS1_23onesweep_lookback_stateEbbT6_jjT7_P12ihipStream_tbENKUlT_T0_SK_SP_E_clISE_PiSF_SF_EEDaS13_S14_SK_SP_EUlS13_E_NS1_11comp_targetILNS1_3genE10ELNS1_11target_archE1201ELNS1_3gpuE5ELNS1_3repE0EEENS1_47radix_sort_onesweep_sort_config_static_selectorELNS0_4arch9wavefront6targetE1EEEvSK_,"axG",@progbits,_ZN7rocprim17ROCPRIM_400000_NS6detail17trampoline_kernelINS0_14default_configENS1_35radix_sort_onesweep_config_selectorIiNS0_10empty_typeEEEZZNS1_29radix_sort_onesweep_iterationIS3_Lb0EN6thrust23THRUST_200600_302600_NS6detail15normal_iteratorINS9_10device_ptrIiEEEESE_PS5_SF_jNS0_19identity_decomposerENS1_16block_id_wrapperIjLb1EEEEE10hipError_tT1_PNSt15iterator_traitsISK_E10value_typeET2_T3_PNSL_ISQ_E10value_typeET4_T5_PSV_SW_PNS1_23onesweep_lookback_stateEbbT6_jjT7_P12ihipStream_tbENKUlT_T0_SK_SP_E_clISE_PiSF_SF_EEDaS13_S14_SK_SP_EUlS13_E_NS1_11comp_targetILNS1_3genE10ELNS1_11target_archE1201ELNS1_3gpuE5ELNS1_3repE0EEENS1_47radix_sort_onesweep_sort_config_static_selectorELNS0_4arch9wavefront6targetE1EEEvSK_,comdat
	.protected	_ZN7rocprim17ROCPRIM_400000_NS6detail17trampoline_kernelINS0_14default_configENS1_35radix_sort_onesweep_config_selectorIiNS0_10empty_typeEEEZZNS1_29radix_sort_onesweep_iterationIS3_Lb0EN6thrust23THRUST_200600_302600_NS6detail15normal_iteratorINS9_10device_ptrIiEEEESE_PS5_SF_jNS0_19identity_decomposerENS1_16block_id_wrapperIjLb1EEEEE10hipError_tT1_PNSt15iterator_traitsISK_E10value_typeET2_T3_PNSL_ISQ_E10value_typeET4_T5_PSV_SW_PNS1_23onesweep_lookback_stateEbbT6_jjT7_P12ihipStream_tbENKUlT_T0_SK_SP_E_clISE_PiSF_SF_EEDaS13_S14_SK_SP_EUlS13_E_NS1_11comp_targetILNS1_3genE10ELNS1_11target_archE1201ELNS1_3gpuE5ELNS1_3repE0EEENS1_47radix_sort_onesweep_sort_config_static_selectorELNS0_4arch9wavefront6targetE1EEEvSK_ ; -- Begin function _ZN7rocprim17ROCPRIM_400000_NS6detail17trampoline_kernelINS0_14default_configENS1_35radix_sort_onesweep_config_selectorIiNS0_10empty_typeEEEZZNS1_29radix_sort_onesweep_iterationIS3_Lb0EN6thrust23THRUST_200600_302600_NS6detail15normal_iteratorINS9_10device_ptrIiEEEESE_PS5_SF_jNS0_19identity_decomposerENS1_16block_id_wrapperIjLb1EEEEE10hipError_tT1_PNSt15iterator_traitsISK_E10value_typeET2_T3_PNSL_ISQ_E10value_typeET4_T5_PSV_SW_PNS1_23onesweep_lookback_stateEbbT6_jjT7_P12ihipStream_tbENKUlT_T0_SK_SP_E_clISE_PiSF_SF_EEDaS13_S14_SK_SP_EUlS13_E_NS1_11comp_targetILNS1_3genE10ELNS1_11target_archE1201ELNS1_3gpuE5ELNS1_3repE0EEENS1_47radix_sort_onesweep_sort_config_static_selectorELNS0_4arch9wavefront6targetE1EEEvSK_
	.globl	_ZN7rocprim17ROCPRIM_400000_NS6detail17trampoline_kernelINS0_14default_configENS1_35radix_sort_onesweep_config_selectorIiNS0_10empty_typeEEEZZNS1_29radix_sort_onesweep_iterationIS3_Lb0EN6thrust23THRUST_200600_302600_NS6detail15normal_iteratorINS9_10device_ptrIiEEEESE_PS5_SF_jNS0_19identity_decomposerENS1_16block_id_wrapperIjLb1EEEEE10hipError_tT1_PNSt15iterator_traitsISK_E10value_typeET2_T3_PNSL_ISQ_E10value_typeET4_T5_PSV_SW_PNS1_23onesweep_lookback_stateEbbT6_jjT7_P12ihipStream_tbENKUlT_T0_SK_SP_E_clISE_PiSF_SF_EEDaS13_S14_SK_SP_EUlS13_E_NS1_11comp_targetILNS1_3genE10ELNS1_11target_archE1201ELNS1_3gpuE5ELNS1_3repE0EEENS1_47radix_sort_onesweep_sort_config_static_selectorELNS0_4arch9wavefront6targetE1EEEvSK_
	.p2align	8
	.type	_ZN7rocprim17ROCPRIM_400000_NS6detail17trampoline_kernelINS0_14default_configENS1_35radix_sort_onesweep_config_selectorIiNS0_10empty_typeEEEZZNS1_29radix_sort_onesweep_iterationIS3_Lb0EN6thrust23THRUST_200600_302600_NS6detail15normal_iteratorINS9_10device_ptrIiEEEESE_PS5_SF_jNS0_19identity_decomposerENS1_16block_id_wrapperIjLb1EEEEE10hipError_tT1_PNSt15iterator_traitsISK_E10value_typeET2_T3_PNSL_ISQ_E10value_typeET4_T5_PSV_SW_PNS1_23onesweep_lookback_stateEbbT6_jjT7_P12ihipStream_tbENKUlT_T0_SK_SP_E_clISE_PiSF_SF_EEDaS13_S14_SK_SP_EUlS13_E_NS1_11comp_targetILNS1_3genE10ELNS1_11target_archE1201ELNS1_3gpuE5ELNS1_3repE0EEENS1_47radix_sort_onesweep_sort_config_static_selectorELNS0_4arch9wavefront6targetE1EEEvSK_,@function
_ZN7rocprim17ROCPRIM_400000_NS6detail17trampoline_kernelINS0_14default_configENS1_35radix_sort_onesweep_config_selectorIiNS0_10empty_typeEEEZZNS1_29radix_sort_onesweep_iterationIS3_Lb0EN6thrust23THRUST_200600_302600_NS6detail15normal_iteratorINS9_10device_ptrIiEEEESE_PS5_SF_jNS0_19identity_decomposerENS1_16block_id_wrapperIjLb1EEEEE10hipError_tT1_PNSt15iterator_traitsISK_E10value_typeET2_T3_PNSL_ISQ_E10value_typeET4_T5_PSV_SW_PNS1_23onesweep_lookback_stateEbbT6_jjT7_P12ihipStream_tbENKUlT_T0_SK_SP_E_clISE_PiSF_SF_EEDaS13_S14_SK_SP_EUlS13_E_NS1_11comp_targetILNS1_3genE10ELNS1_11target_archE1201ELNS1_3gpuE5ELNS1_3repE0EEENS1_47radix_sort_onesweep_sort_config_static_selectorELNS0_4arch9wavefront6targetE1EEEvSK_: ; @_ZN7rocprim17ROCPRIM_400000_NS6detail17trampoline_kernelINS0_14default_configENS1_35radix_sort_onesweep_config_selectorIiNS0_10empty_typeEEEZZNS1_29radix_sort_onesweep_iterationIS3_Lb0EN6thrust23THRUST_200600_302600_NS6detail15normal_iteratorINS9_10device_ptrIiEEEESE_PS5_SF_jNS0_19identity_decomposerENS1_16block_id_wrapperIjLb1EEEEE10hipError_tT1_PNSt15iterator_traitsISK_E10value_typeET2_T3_PNSL_ISQ_E10value_typeET4_T5_PSV_SW_PNS1_23onesweep_lookback_stateEbbT6_jjT7_P12ihipStream_tbENKUlT_T0_SK_SP_E_clISE_PiSF_SF_EEDaS13_S14_SK_SP_EUlS13_E_NS1_11comp_targetILNS1_3genE10ELNS1_11target_archE1201ELNS1_3gpuE5ELNS1_3repE0EEENS1_47radix_sort_onesweep_sort_config_static_selectorELNS0_4arch9wavefront6targetE1EEEvSK_
; %bb.0:
	.section	.rodata,"a",@progbits
	.p2align	6, 0x0
	.amdhsa_kernel _ZN7rocprim17ROCPRIM_400000_NS6detail17trampoline_kernelINS0_14default_configENS1_35radix_sort_onesweep_config_selectorIiNS0_10empty_typeEEEZZNS1_29radix_sort_onesweep_iterationIS3_Lb0EN6thrust23THRUST_200600_302600_NS6detail15normal_iteratorINS9_10device_ptrIiEEEESE_PS5_SF_jNS0_19identity_decomposerENS1_16block_id_wrapperIjLb1EEEEE10hipError_tT1_PNSt15iterator_traitsISK_E10value_typeET2_T3_PNSL_ISQ_E10value_typeET4_T5_PSV_SW_PNS1_23onesweep_lookback_stateEbbT6_jjT7_P12ihipStream_tbENKUlT_T0_SK_SP_E_clISE_PiSF_SF_EEDaS13_S14_SK_SP_EUlS13_E_NS1_11comp_targetILNS1_3genE10ELNS1_11target_archE1201ELNS1_3gpuE5ELNS1_3repE0EEENS1_47radix_sort_onesweep_sort_config_static_selectorELNS0_4arch9wavefront6targetE1EEEvSK_
		.amdhsa_group_segment_fixed_size 0
		.amdhsa_private_segment_fixed_size 0
		.amdhsa_kernarg_size 88
		.amdhsa_user_sgpr_count 6
		.amdhsa_user_sgpr_private_segment_buffer 1
		.amdhsa_user_sgpr_dispatch_ptr 0
		.amdhsa_user_sgpr_queue_ptr 0
		.amdhsa_user_sgpr_kernarg_segment_ptr 1
		.amdhsa_user_sgpr_dispatch_id 0
		.amdhsa_user_sgpr_flat_scratch_init 0
		.amdhsa_user_sgpr_kernarg_preload_length 0
		.amdhsa_user_sgpr_kernarg_preload_offset 0
		.amdhsa_user_sgpr_private_segment_size 0
		.amdhsa_uses_dynamic_stack 0
		.amdhsa_system_sgpr_private_segment_wavefront_offset 0
		.amdhsa_system_sgpr_workgroup_id_x 1
		.amdhsa_system_sgpr_workgroup_id_y 0
		.amdhsa_system_sgpr_workgroup_id_z 0
		.amdhsa_system_sgpr_workgroup_info 0
		.amdhsa_system_vgpr_workitem_id 0
		.amdhsa_next_free_vgpr 1
		.amdhsa_next_free_sgpr 0
		.amdhsa_accum_offset 4
		.amdhsa_reserve_vcc 0
		.amdhsa_reserve_flat_scratch 0
		.amdhsa_float_round_mode_32 0
		.amdhsa_float_round_mode_16_64 0
		.amdhsa_float_denorm_mode_32 3
		.amdhsa_float_denorm_mode_16_64 3
		.amdhsa_dx10_clamp 1
		.amdhsa_ieee_mode 1
		.amdhsa_fp16_overflow 0
		.amdhsa_tg_split 0
		.amdhsa_exception_fp_ieee_invalid_op 0
		.amdhsa_exception_fp_denorm_src 0
		.amdhsa_exception_fp_ieee_div_zero 0
		.amdhsa_exception_fp_ieee_overflow 0
		.amdhsa_exception_fp_ieee_underflow 0
		.amdhsa_exception_fp_ieee_inexact 0
		.amdhsa_exception_int_div_zero 0
	.end_amdhsa_kernel
	.section	.text._ZN7rocprim17ROCPRIM_400000_NS6detail17trampoline_kernelINS0_14default_configENS1_35radix_sort_onesweep_config_selectorIiNS0_10empty_typeEEEZZNS1_29radix_sort_onesweep_iterationIS3_Lb0EN6thrust23THRUST_200600_302600_NS6detail15normal_iteratorINS9_10device_ptrIiEEEESE_PS5_SF_jNS0_19identity_decomposerENS1_16block_id_wrapperIjLb1EEEEE10hipError_tT1_PNSt15iterator_traitsISK_E10value_typeET2_T3_PNSL_ISQ_E10value_typeET4_T5_PSV_SW_PNS1_23onesweep_lookback_stateEbbT6_jjT7_P12ihipStream_tbENKUlT_T0_SK_SP_E_clISE_PiSF_SF_EEDaS13_S14_SK_SP_EUlS13_E_NS1_11comp_targetILNS1_3genE10ELNS1_11target_archE1201ELNS1_3gpuE5ELNS1_3repE0EEENS1_47radix_sort_onesweep_sort_config_static_selectorELNS0_4arch9wavefront6targetE1EEEvSK_,"axG",@progbits,_ZN7rocprim17ROCPRIM_400000_NS6detail17trampoline_kernelINS0_14default_configENS1_35radix_sort_onesweep_config_selectorIiNS0_10empty_typeEEEZZNS1_29radix_sort_onesweep_iterationIS3_Lb0EN6thrust23THRUST_200600_302600_NS6detail15normal_iteratorINS9_10device_ptrIiEEEESE_PS5_SF_jNS0_19identity_decomposerENS1_16block_id_wrapperIjLb1EEEEE10hipError_tT1_PNSt15iterator_traitsISK_E10value_typeET2_T3_PNSL_ISQ_E10value_typeET4_T5_PSV_SW_PNS1_23onesweep_lookback_stateEbbT6_jjT7_P12ihipStream_tbENKUlT_T0_SK_SP_E_clISE_PiSF_SF_EEDaS13_S14_SK_SP_EUlS13_E_NS1_11comp_targetILNS1_3genE10ELNS1_11target_archE1201ELNS1_3gpuE5ELNS1_3repE0EEENS1_47radix_sort_onesweep_sort_config_static_selectorELNS0_4arch9wavefront6targetE1EEEvSK_,comdat
.Lfunc_end1761:
	.size	_ZN7rocprim17ROCPRIM_400000_NS6detail17trampoline_kernelINS0_14default_configENS1_35radix_sort_onesweep_config_selectorIiNS0_10empty_typeEEEZZNS1_29radix_sort_onesweep_iterationIS3_Lb0EN6thrust23THRUST_200600_302600_NS6detail15normal_iteratorINS9_10device_ptrIiEEEESE_PS5_SF_jNS0_19identity_decomposerENS1_16block_id_wrapperIjLb1EEEEE10hipError_tT1_PNSt15iterator_traitsISK_E10value_typeET2_T3_PNSL_ISQ_E10value_typeET4_T5_PSV_SW_PNS1_23onesweep_lookback_stateEbbT6_jjT7_P12ihipStream_tbENKUlT_T0_SK_SP_E_clISE_PiSF_SF_EEDaS13_S14_SK_SP_EUlS13_E_NS1_11comp_targetILNS1_3genE10ELNS1_11target_archE1201ELNS1_3gpuE5ELNS1_3repE0EEENS1_47radix_sort_onesweep_sort_config_static_selectorELNS0_4arch9wavefront6targetE1EEEvSK_, .Lfunc_end1761-_ZN7rocprim17ROCPRIM_400000_NS6detail17trampoline_kernelINS0_14default_configENS1_35radix_sort_onesweep_config_selectorIiNS0_10empty_typeEEEZZNS1_29radix_sort_onesweep_iterationIS3_Lb0EN6thrust23THRUST_200600_302600_NS6detail15normal_iteratorINS9_10device_ptrIiEEEESE_PS5_SF_jNS0_19identity_decomposerENS1_16block_id_wrapperIjLb1EEEEE10hipError_tT1_PNSt15iterator_traitsISK_E10value_typeET2_T3_PNSL_ISQ_E10value_typeET4_T5_PSV_SW_PNS1_23onesweep_lookback_stateEbbT6_jjT7_P12ihipStream_tbENKUlT_T0_SK_SP_E_clISE_PiSF_SF_EEDaS13_S14_SK_SP_EUlS13_E_NS1_11comp_targetILNS1_3genE10ELNS1_11target_archE1201ELNS1_3gpuE5ELNS1_3repE0EEENS1_47radix_sort_onesweep_sort_config_static_selectorELNS0_4arch9wavefront6targetE1EEEvSK_
                                        ; -- End function
	.section	.AMDGPU.csdata,"",@progbits
; Kernel info:
; codeLenInByte = 0
; NumSgprs: 4
; NumVgprs: 0
; NumAgprs: 0
; TotalNumVgprs: 0
; ScratchSize: 0
; MemoryBound: 0
; FloatMode: 240
; IeeeMode: 1
; LDSByteSize: 0 bytes/workgroup (compile time only)
; SGPRBlocks: 0
; VGPRBlocks: 0
; NumSGPRsForWavesPerEU: 4
; NumVGPRsForWavesPerEU: 1
; AccumOffset: 4
; Occupancy: 8
; WaveLimiterHint : 0
; COMPUTE_PGM_RSRC2:SCRATCH_EN: 0
; COMPUTE_PGM_RSRC2:USER_SGPR: 6
; COMPUTE_PGM_RSRC2:TRAP_HANDLER: 0
; COMPUTE_PGM_RSRC2:TGID_X_EN: 1
; COMPUTE_PGM_RSRC2:TGID_Y_EN: 0
; COMPUTE_PGM_RSRC2:TGID_Z_EN: 0
; COMPUTE_PGM_RSRC2:TIDIG_COMP_CNT: 0
; COMPUTE_PGM_RSRC3_GFX90A:ACCUM_OFFSET: 0
; COMPUTE_PGM_RSRC3_GFX90A:TG_SPLIT: 0
	.section	.text._ZN7rocprim17ROCPRIM_400000_NS6detail17trampoline_kernelINS0_14default_configENS1_35radix_sort_onesweep_config_selectorIiNS0_10empty_typeEEEZZNS1_29radix_sort_onesweep_iterationIS3_Lb0EN6thrust23THRUST_200600_302600_NS6detail15normal_iteratorINS9_10device_ptrIiEEEESE_PS5_SF_jNS0_19identity_decomposerENS1_16block_id_wrapperIjLb1EEEEE10hipError_tT1_PNSt15iterator_traitsISK_E10value_typeET2_T3_PNSL_ISQ_E10value_typeET4_T5_PSV_SW_PNS1_23onesweep_lookback_stateEbbT6_jjT7_P12ihipStream_tbENKUlT_T0_SK_SP_E_clISE_PiSF_SF_EEDaS13_S14_SK_SP_EUlS13_E_NS1_11comp_targetILNS1_3genE9ELNS1_11target_archE1100ELNS1_3gpuE3ELNS1_3repE0EEENS1_47radix_sort_onesweep_sort_config_static_selectorELNS0_4arch9wavefront6targetE1EEEvSK_,"axG",@progbits,_ZN7rocprim17ROCPRIM_400000_NS6detail17trampoline_kernelINS0_14default_configENS1_35radix_sort_onesweep_config_selectorIiNS0_10empty_typeEEEZZNS1_29radix_sort_onesweep_iterationIS3_Lb0EN6thrust23THRUST_200600_302600_NS6detail15normal_iteratorINS9_10device_ptrIiEEEESE_PS5_SF_jNS0_19identity_decomposerENS1_16block_id_wrapperIjLb1EEEEE10hipError_tT1_PNSt15iterator_traitsISK_E10value_typeET2_T3_PNSL_ISQ_E10value_typeET4_T5_PSV_SW_PNS1_23onesweep_lookback_stateEbbT6_jjT7_P12ihipStream_tbENKUlT_T0_SK_SP_E_clISE_PiSF_SF_EEDaS13_S14_SK_SP_EUlS13_E_NS1_11comp_targetILNS1_3genE9ELNS1_11target_archE1100ELNS1_3gpuE3ELNS1_3repE0EEENS1_47radix_sort_onesweep_sort_config_static_selectorELNS0_4arch9wavefront6targetE1EEEvSK_,comdat
	.protected	_ZN7rocprim17ROCPRIM_400000_NS6detail17trampoline_kernelINS0_14default_configENS1_35radix_sort_onesweep_config_selectorIiNS0_10empty_typeEEEZZNS1_29radix_sort_onesweep_iterationIS3_Lb0EN6thrust23THRUST_200600_302600_NS6detail15normal_iteratorINS9_10device_ptrIiEEEESE_PS5_SF_jNS0_19identity_decomposerENS1_16block_id_wrapperIjLb1EEEEE10hipError_tT1_PNSt15iterator_traitsISK_E10value_typeET2_T3_PNSL_ISQ_E10value_typeET4_T5_PSV_SW_PNS1_23onesweep_lookback_stateEbbT6_jjT7_P12ihipStream_tbENKUlT_T0_SK_SP_E_clISE_PiSF_SF_EEDaS13_S14_SK_SP_EUlS13_E_NS1_11comp_targetILNS1_3genE9ELNS1_11target_archE1100ELNS1_3gpuE3ELNS1_3repE0EEENS1_47radix_sort_onesweep_sort_config_static_selectorELNS0_4arch9wavefront6targetE1EEEvSK_ ; -- Begin function _ZN7rocprim17ROCPRIM_400000_NS6detail17trampoline_kernelINS0_14default_configENS1_35radix_sort_onesweep_config_selectorIiNS0_10empty_typeEEEZZNS1_29radix_sort_onesweep_iterationIS3_Lb0EN6thrust23THRUST_200600_302600_NS6detail15normal_iteratorINS9_10device_ptrIiEEEESE_PS5_SF_jNS0_19identity_decomposerENS1_16block_id_wrapperIjLb1EEEEE10hipError_tT1_PNSt15iterator_traitsISK_E10value_typeET2_T3_PNSL_ISQ_E10value_typeET4_T5_PSV_SW_PNS1_23onesweep_lookback_stateEbbT6_jjT7_P12ihipStream_tbENKUlT_T0_SK_SP_E_clISE_PiSF_SF_EEDaS13_S14_SK_SP_EUlS13_E_NS1_11comp_targetILNS1_3genE9ELNS1_11target_archE1100ELNS1_3gpuE3ELNS1_3repE0EEENS1_47radix_sort_onesweep_sort_config_static_selectorELNS0_4arch9wavefront6targetE1EEEvSK_
	.globl	_ZN7rocprim17ROCPRIM_400000_NS6detail17trampoline_kernelINS0_14default_configENS1_35radix_sort_onesweep_config_selectorIiNS0_10empty_typeEEEZZNS1_29radix_sort_onesweep_iterationIS3_Lb0EN6thrust23THRUST_200600_302600_NS6detail15normal_iteratorINS9_10device_ptrIiEEEESE_PS5_SF_jNS0_19identity_decomposerENS1_16block_id_wrapperIjLb1EEEEE10hipError_tT1_PNSt15iterator_traitsISK_E10value_typeET2_T3_PNSL_ISQ_E10value_typeET4_T5_PSV_SW_PNS1_23onesweep_lookback_stateEbbT6_jjT7_P12ihipStream_tbENKUlT_T0_SK_SP_E_clISE_PiSF_SF_EEDaS13_S14_SK_SP_EUlS13_E_NS1_11comp_targetILNS1_3genE9ELNS1_11target_archE1100ELNS1_3gpuE3ELNS1_3repE0EEENS1_47radix_sort_onesweep_sort_config_static_selectorELNS0_4arch9wavefront6targetE1EEEvSK_
	.p2align	8
	.type	_ZN7rocprim17ROCPRIM_400000_NS6detail17trampoline_kernelINS0_14default_configENS1_35radix_sort_onesweep_config_selectorIiNS0_10empty_typeEEEZZNS1_29radix_sort_onesweep_iterationIS3_Lb0EN6thrust23THRUST_200600_302600_NS6detail15normal_iteratorINS9_10device_ptrIiEEEESE_PS5_SF_jNS0_19identity_decomposerENS1_16block_id_wrapperIjLb1EEEEE10hipError_tT1_PNSt15iterator_traitsISK_E10value_typeET2_T3_PNSL_ISQ_E10value_typeET4_T5_PSV_SW_PNS1_23onesweep_lookback_stateEbbT6_jjT7_P12ihipStream_tbENKUlT_T0_SK_SP_E_clISE_PiSF_SF_EEDaS13_S14_SK_SP_EUlS13_E_NS1_11comp_targetILNS1_3genE9ELNS1_11target_archE1100ELNS1_3gpuE3ELNS1_3repE0EEENS1_47radix_sort_onesweep_sort_config_static_selectorELNS0_4arch9wavefront6targetE1EEEvSK_,@function
_ZN7rocprim17ROCPRIM_400000_NS6detail17trampoline_kernelINS0_14default_configENS1_35radix_sort_onesweep_config_selectorIiNS0_10empty_typeEEEZZNS1_29radix_sort_onesweep_iterationIS3_Lb0EN6thrust23THRUST_200600_302600_NS6detail15normal_iteratorINS9_10device_ptrIiEEEESE_PS5_SF_jNS0_19identity_decomposerENS1_16block_id_wrapperIjLb1EEEEE10hipError_tT1_PNSt15iterator_traitsISK_E10value_typeET2_T3_PNSL_ISQ_E10value_typeET4_T5_PSV_SW_PNS1_23onesweep_lookback_stateEbbT6_jjT7_P12ihipStream_tbENKUlT_T0_SK_SP_E_clISE_PiSF_SF_EEDaS13_S14_SK_SP_EUlS13_E_NS1_11comp_targetILNS1_3genE9ELNS1_11target_archE1100ELNS1_3gpuE3ELNS1_3repE0EEENS1_47radix_sort_onesweep_sort_config_static_selectorELNS0_4arch9wavefront6targetE1EEEvSK_: ; @_ZN7rocprim17ROCPRIM_400000_NS6detail17trampoline_kernelINS0_14default_configENS1_35radix_sort_onesweep_config_selectorIiNS0_10empty_typeEEEZZNS1_29radix_sort_onesweep_iterationIS3_Lb0EN6thrust23THRUST_200600_302600_NS6detail15normal_iteratorINS9_10device_ptrIiEEEESE_PS5_SF_jNS0_19identity_decomposerENS1_16block_id_wrapperIjLb1EEEEE10hipError_tT1_PNSt15iterator_traitsISK_E10value_typeET2_T3_PNSL_ISQ_E10value_typeET4_T5_PSV_SW_PNS1_23onesweep_lookback_stateEbbT6_jjT7_P12ihipStream_tbENKUlT_T0_SK_SP_E_clISE_PiSF_SF_EEDaS13_S14_SK_SP_EUlS13_E_NS1_11comp_targetILNS1_3genE9ELNS1_11target_archE1100ELNS1_3gpuE3ELNS1_3repE0EEENS1_47radix_sort_onesweep_sort_config_static_selectorELNS0_4arch9wavefront6targetE1EEEvSK_
; %bb.0:
	.section	.rodata,"a",@progbits
	.p2align	6, 0x0
	.amdhsa_kernel _ZN7rocprim17ROCPRIM_400000_NS6detail17trampoline_kernelINS0_14default_configENS1_35radix_sort_onesweep_config_selectorIiNS0_10empty_typeEEEZZNS1_29radix_sort_onesweep_iterationIS3_Lb0EN6thrust23THRUST_200600_302600_NS6detail15normal_iteratorINS9_10device_ptrIiEEEESE_PS5_SF_jNS0_19identity_decomposerENS1_16block_id_wrapperIjLb1EEEEE10hipError_tT1_PNSt15iterator_traitsISK_E10value_typeET2_T3_PNSL_ISQ_E10value_typeET4_T5_PSV_SW_PNS1_23onesweep_lookback_stateEbbT6_jjT7_P12ihipStream_tbENKUlT_T0_SK_SP_E_clISE_PiSF_SF_EEDaS13_S14_SK_SP_EUlS13_E_NS1_11comp_targetILNS1_3genE9ELNS1_11target_archE1100ELNS1_3gpuE3ELNS1_3repE0EEENS1_47radix_sort_onesweep_sort_config_static_selectorELNS0_4arch9wavefront6targetE1EEEvSK_
		.amdhsa_group_segment_fixed_size 0
		.amdhsa_private_segment_fixed_size 0
		.amdhsa_kernarg_size 88
		.amdhsa_user_sgpr_count 6
		.amdhsa_user_sgpr_private_segment_buffer 1
		.amdhsa_user_sgpr_dispatch_ptr 0
		.amdhsa_user_sgpr_queue_ptr 0
		.amdhsa_user_sgpr_kernarg_segment_ptr 1
		.amdhsa_user_sgpr_dispatch_id 0
		.amdhsa_user_sgpr_flat_scratch_init 0
		.amdhsa_user_sgpr_kernarg_preload_length 0
		.amdhsa_user_sgpr_kernarg_preload_offset 0
		.amdhsa_user_sgpr_private_segment_size 0
		.amdhsa_uses_dynamic_stack 0
		.amdhsa_system_sgpr_private_segment_wavefront_offset 0
		.amdhsa_system_sgpr_workgroup_id_x 1
		.amdhsa_system_sgpr_workgroup_id_y 0
		.amdhsa_system_sgpr_workgroup_id_z 0
		.amdhsa_system_sgpr_workgroup_info 0
		.amdhsa_system_vgpr_workitem_id 0
		.amdhsa_next_free_vgpr 1
		.amdhsa_next_free_sgpr 0
		.amdhsa_accum_offset 4
		.amdhsa_reserve_vcc 0
		.amdhsa_reserve_flat_scratch 0
		.amdhsa_float_round_mode_32 0
		.amdhsa_float_round_mode_16_64 0
		.amdhsa_float_denorm_mode_32 3
		.amdhsa_float_denorm_mode_16_64 3
		.amdhsa_dx10_clamp 1
		.amdhsa_ieee_mode 1
		.amdhsa_fp16_overflow 0
		.amdhsa_tg_split 0
		.amdhsa_exception_fp_ieee_invalid_op 0
		.amdhsa_exception_fp_denorm_src 0
		.amdhsa_exception_fp_ieee_div_zero 0
		.amdhsa_exception_fp_ieee_overflow 0
		.amdhsa_exception_fp_ieee_underflow 0
		.amdhsa_exception_fp_ieee_inexact 0
		.amdhsa_exception_int_div_zero 0
	.end_amdhsa_kernel
	.section	.text._ZN7rocprim17ROCPRIM_400000_NS6detail17trampoline_kernelINS0_14default_configENS1_35radix_sort_onesweep_config_selectorIiNS0_10empty_typeEEEZZNS1_29radix_sort_onesweep_iterationIS3_Lb0EN6thrust23THRUST_200600_302600_NS6detail15normal_iteratorINS9_10device_ptrIiEEEESE_PS5_SF_jNS0_19identity_decomposerENS1_16block_id_wrapperIjLb1EEEEE10hipError_tT1_PNSt15iterator_traitsISK_E10value_typeET2_T3_PNSL_ISQ_E10value_typeET4_T5_PSV_SW_PNS1_23onesweep_lookback_stateEbbT6_jjT7_P12ihipStream_tbENKUlT_T0_SK_SP_E_clISE_PiSF_SF_EEDaS13_S14_SK_SP_EUlS13_E_NS1_11comp_targetILNS1_3genE9ELNS1_11target_archE1100ELNS1_3gpuE3ELNS1_3repE0EEENS1_47radix_sort_onesweep_sort_config_static_selectorELNS0_4arch9wavefront6targetE1EEEvSK_,"axG",@progbits,_ZN7rocprim17ROCPRIM_400000_NS6detail17trampoline_kernelINS0_14default_configENS1_35radix_sort_onesweep_config_selectorIiNS0_10empty_typeEEEZZNS1_29radix_sort_onesweep_iterationIS3_Lb0EN6thrust23THRUST_200600_302600_NS6detail15normal_iteratorINS9_10device_ptrIiEEEESE_PS5_SF_jNS0_19identity_decomposerENS1_16block_id_wrapperIjLb1EEEEE10hipError_tT1_PNSt15iterator_traitsISK_E10value_typeET2_T3_PNSL_ISQ_E10value_typeET4_T5_PSV_SW_PNS1_23onesweep_lookback_stateEbbT6_jjT7_P12ihipStream_tbENKUlT_T0_SK_SP_E_clISE_PiSF_SF_EEDaS13_S14_SK_SP_EUlS13_E_NS1_11comp_targetILNS1_3genE9ELNS1_11target_archE1100ELNS1_3gpuE3ELNS1_3repE0EEENS1_47radix_sort_onesweep_sort_config_static_selectorELNS0_4arch9wavefront6targetE1EEEvSK_,comdat
.Lfunc_end1762:
	.size	_ZN7rocprim17ROCPRIM_400000_NS6detail17trampoline_kernelINS0_14default_configENS1_35radix_sort_onesweep_config_selectorIiNS0_10empty_typeEEEZZNS1_29radix_sort_onesweep_iterationIS3_Lb0EN6thrust23THRUST_200600_302600_NS6detail15normal_iteratorINS9_10device_ptrIiEEEESE_PS5_SF_jNS0_19identity_decomposerENS1_16block_id_wrapperIjLb1EEEEE10hipError_tT1_PNSt15iterator_traitsISK_E10value_typeET2_T3_PNSL_ISQ_E10value_typeET4_T5_PSV_SW_PNS1_23onesweep_lookback_stateEbbT6_jjT7_P12ihipStream_tbENKUlT_T0_SK_SP_E_clISE_PiSF_SF_EEDaS13_S14_SK_SP_EUlS13_E_NS1_11comp_targetILNS1_3genE9ELNS1_11target_archE1100ELNS1_3gpuE3ELNS1_3repE0EEENS1_47radix_sort_onesweep_sort_config_static_selectorELNS0_4arch9wavefront6targetE1EEEvSK_, .Lfunc_end1762-_ZN7rocprim17ROCPRIM_400000_NS6detail17trampoline_kernelINS0_14default_configENS1_35radix_sort_onesweep_config_selectorIiNS0_10empty_typeEEEZZNS1_29radix_sort_onesweep_iterationIS3_Lb0EN6thrust23THRUST_200600_302600_NS6detail15normal_iteratorINS9_10device_ptrIiEEEESE_PS5_SF_jNS0_19identity_decomposerENS1_16block_id_wrapperIjLb1EEEEE10hipError_tT1_PNSt15iterator_traitsISK_E10value_typeET2_T3_PNSL_ISQ_E10value_typeET4_T5_PSV_SW_PNS1_23onesweep_lookback_stateEbbT6_jjT7_P12ihipStream_tbENKUlT_T0_SK_SP_E_clISE_PiSF_SF_EEDaS13_S14_SK_SP_EUlS13_E_NS1_11comp_targetILNS1_3genE9ELNS1_11target_archE1100ELNS1_3gpuE3ELNS1_3repE0EEENS1_47radix_sort_onesweep_sort_config_static_selectorELNS0_4arch9wavefront6targetE1EEEvSK_
                                        ; -- End function
	.section	.AMDGPU.csdata,"",@progbits
; Kernel info:
; codeLenInByte = 0
; NumSgprs: 4
; NumVgprs: 0
; NumAgprs: 0
; TotalNumVgprs: 0
; ScratchSize: 0
; MemoryBound: 0
; FloatMode: 240
; IeeeMode: 1
; LDSByteSize: 0 bytes/workgroup (compile time only)
; SGPRBlocks: 0
; VGPRBlocks: 0
; NumSGPRsForWavesPerEU: 4
; NumVGPRsForWavesPerEU: 1
; AccumOffset: 4
; Occupancy: 8
; WaveLimiterHint : 0
; COMPUTE_PGM_RSRC2:SCRATCH_EN: 0
; COMPUTE_PGM_RSRC2:USER_SGPR: 6
; COMPUTE_PGM_RSRC2:TRAP_HANDLER: 0
; COMPUTE_PGM_RSRC2:TGID_X_EN: 1
; COMPUTE_PGM_RSRC2:TGID_Y_EN: 0
; COMPUTE_PGM_RSRC2:TGID_Z_EN: 0
; COMPUTE_PGM_RSRC2:TIDIG_COMP_CNT: 0
; COMPUTE_PGM_RSRC3_GFX90A:ACCUM_OFFSET: 0
; COMPUTE_PGM_RSRC3_GFX90A:TG_SPLIT: 0
	.section	.text._ZN7rocprim17ROCPRIM_400000_NS6detail17trampoline_kernelINS0_14default_configENS1_35radix_sort_onesweep_config_selectorIiNS0_10empty_typeEEEZZNS1_29radix_sort_onesweep_iterationIS3_Lb0EN6thrust23THRUST_200600_302600_NS6detail15normal_iteratorINS9_10device_ptrIiEEEESE_PS5_SF_jNS0_19identity_decomposerENS1_16block_id_wrapperIjLb1EEEEE10hipError_tT1_PNSt15iterator_traitsISK_E10value_typeET2_T3_PNSL_ISQ_E10value_typeET4_T5_PSV_SW_PNS1_23onesweep_lookback_stateEbbT6_jjT7_P12ihipStream_tbENKUlT_T0_SK_SP_E_clISE_PiSF_SF_EEDaS13_S14_SK_SP_EUlS13_E_NS1_11comp_targetILNS1_3genE8ELNS1_11target_archE1030ELNS1_3gpuE2ELNS1_3repE0EEENS1_47radix_sort_onesweep_sort_config_static_selectorELNS0_4arch9wavefront6targetE1EEEvSK_,"axG",@progbits,_ZN7rocprim17ROCPRIM_400000_NS6detail17trampoline_kernelINS0_14default_configENS1_35radix_sort_onesweep_config_selectorIiNS0_10empty_typeEEEZZNS1_29radix_sort_onesweep_iterationIS3_Lb0EN6thrust23THRUST_200600_302600_NS6detail15normal_iteratorINS9_10device_ptrIiEEEESE_PS5_SF_jNS0_19identity_decomposerENS1_16block_id_wrapperIjLb1EEEEE10hipError_tT1_PNSt15iterator_traitsISK_E10value_typeET2_T3_PNSL_ISQ_E10value_typeET4_T5_PSV_SW_PNS1_23onesweep_lookback_stateEbbT6_jjT7_P12ihipStream_tbENKUlT_T0_SK_SP_E_clISE_PiSF_SF_EEDaS13_S14_SK_SP_EUlS13_E_NS1_11comp_targetILNS1_3genE8ELNS1_11target_archE1030ELNS1_3gpuE2ELNS1_3repE0EEENS1_47radix_sort_onesweep_sort_config_static_selectorELNS0_4arch9wavefront6targetE1EEEvSK_,comdat
	.protected	_ZN7rocprim17ROCPRIM_400000_NS6detail17trampoline_kernelINS0_14default_configENS1_35radix_sort_onesweep_config_selectorIiNS0_10empty_typeEEEZZNS1_29radix_sort_onesweep_iterationIS3_Lb0EN6thrust23THRUST_200600_302600_NS6detail15normal_iteratorINS9_10device_ptrIiEEEESE_PS5_SF_jNS0_19identity_decomposerENS1_16block_id_wrapperIjLb1EEEEE10hipError_tT1_PNSt15iterator_traitsISK_E10value_typeET2_T3_PNSL_ISQ_E10value_typeET4_T5_PSV_SW_PNS1_23onesweep_lookback_stateEbbT6_jjT7_P12ihipStream_tbENKUlT_T0_SK_SP_E_clISE_PiSF_SF_EEDaS13_S14_SK_SP_EUlS13_E_NS1_11comp_targetILNS1_3genE8ELNS1_11target_archE1030ELNS1_3gpuE2ELNS1_3repE0EEENS1_47radix_sort_onesweep_sort_config_static_selectorELNS0_4arch9wavefront6targetE1EEEvSK_ ; -- Begin function _ZN7rocprim17ROCPRIM_400000_NS6detail17trampoline_kernelINS0_14default_configENS1_35radix_sort_onesweep_config_selectorIiNS0_10empty_typeEEEZZNS1_29radix_sort_onesweep_iterationIS3_Lb0EN6thrust23THRUST_200600_302600_NS6detail15normal_iteratorINS9_10device_ptrIiEEEESE_PS5_SF_jNS0_19identity_decomposerENS1_16block_id_wrapperIjLb1EEEEE10hipError_tT1_PNSt15iterator_traitsISK_E10value_typeET2_T3_PNSL_ISQ_E10value_typeET4_T5_PSV_SW_PNS1_23onesweep_lookback_stateEbbT6_jjT7_P12ihipStream_tbENKUlT_T0_SK_SP_E_clISE_PiSF_SF_EEDaS13_S14_SK_SP_EUlS13_E_NS1_11comp_targetILNS1_3genE8ELNS1_11target_archE1030ELNS1_3gpuE2ELNS1_3repE0EEENS1_47radix_sort_onesweep_sort_config_static_selectorELNS0_4arch9wavefront6targetE1EEEvSK_
	.globl	_ZN7rocprim17ROCPRIM_400000_NS6detail17trampoline_kernelINS0_14default_configENS1_35radix_sort_onesweep_config_selectorIiNS0_10empty_typeEEEZZNS1_29radix_sort_onesweep_iterationIS3_Lb0EN6thrust23THRUST_200600_302600_NS6detail15normal_iteratorINS9_10device_ptrIiEEEESE_PS5_SF_jNS0_19identity_decomposerENS1_16block_id_wrapperIjLb1EEEEE10hipError_tT1_PNSt15iterator_traitsISK_E10value_typeET2_T3_PNSL_ISQ_E10value_typeET4_T5_PSV_SW_PNS1_23onesweep_lookback_stateEbbT6_jjT7_P12ihipStream_tbENKUlT_T0_SK_SP_E_clISE_PiSF_SF_EEDaS13_S14_SK_SP_EUlS13_E_NS1_11comp_targetILNS1_3genE8ELNS1_11target_archE1030ELNS1_3gpuE2ELNS1_3repE0EEENS1_47radix_sort_onesweep_sort_config_static_selectorELNS0_4arch9wavefront6targetE1EEEvSK_
	.p2align	8
	.type	_ZN7rocprim17ROCPRIM_400000_NS6detail17trampoline_kernelINS0_14default_configENS1_35radix_sort_onesweep_config_selectorIiNS0_10empty_typeEEEZZNS1_29radix_sort_onesweep_iterationIS3_Lb0EN6thrust23THRUST_200600_302600_NS6detail15normal_iteratorINS9_10device_ptrIiEEEESE_PS5_SF_jNS0_19identity_decomposerENS1_16block_id_wrapperIjLb1EEEEE10hipError_tT1_PNSt15iterator_traitsISK_E10value_typeET2_T3_PNSL_ISQ_E10value_typeET4_T5_PSV_SW_PNS1_23onesweep_lookback_stateEbbT6_jjT7_P12ihipStream_tbENKUlT_T0_SK_SP_E_clISE_PiSF_SF_EEDaS13_S14_SK_SP_EUlS13_E_NS1_11comp_targetILNS1_3genE8ELNS1_11target_archE1030ELNS1_3gpuE2ELNS1_3repE0EEENS1_47radix_sort_onesweep_sort_config_static_selectorELNS0_4arch9wavefront6targetE1EEEvSK_,@function
_ZN7rocprim17ROCPRIM_400000_NS6detail17trampoline_kernelINS0_14default_configENS1_35radix_sort_onesweep_config_selectorIiNS0_10empty_typeEEEZZNS1_29radix_sort_onesweep_iterationIS3_Lb0EN6thrust23THRUST_200600_302600_NS6detail15normal_iteratorINS9_10device_ptrIiEEEESE_PS5_SF_jNS0_19identity_decomposerENS1_16block_id_wrapperIjLb1EEEEE10hipError_tT1_PNSt15iterator_traitsISK_E10value_typeET2_T3_PNSL_ISQ_E10value_typeET4_T5_PSV_SW_PNS1_23onesweep_lookback_stateEbbT6_jjT7_P12ihipStream_tbENKUlT_T0_SK_SP_E_clISE_PiSF_SF_EEDaS13_S14_SK_SP_EUlS13_E_NS1_11comp_targetILNS1_3genE8ELNS1_11target_archE1030ELNS1_3gpuE2ELNS1_3repE0EEENS1_47radix_sort_onesweep_sort_config_static_selectorELNS0_4arch9wavefront6targetE1EEEvSK_: ; @_ZN7rocprim17ROCPRIM_400000_NS6detail17trampoline_kernelINS0_14default_configENS1_35radix_sort_onesweep_config_selectorIiNS0_10empty_typeEEEZZNS1_29radix_sort_onesweep_iterationIS3_Lb0EN6thrust23THRUST_200600_302600_NS6detail15normal_iteratorINS9_10device_ptrIiEEEESE_PS5_SF_jNS0_19identity_decomposerENS1_16block_id_wrapperIjLb1EEEEE10hipError_tT1_PNSt15iterator_traitsISK_E10value_typeET2_T3_PNSL_ISQ_E10value_typeET4_T5_PSV_SW_PNS1_23onesweep_lookback_stateEbbT6_jjT7_P12ihipStream_tbENKUlT_T0_SK_SP_E_clISE_PiSF_SF_EEDaS13_S14_SK_SP_EUlS13_E_NS1_11comp_targetILNS1_3genE8ELNS1_11target_archE1030ELNS1_3gpuE2ELNS1_3repE0EEENS1_47radix_sort_onesweep_sort_config_static_selectorELNS0_4arch9wavefront6targetE1EEEvSK_
; %bb.0:
	.section	.rodata,"a",@progbits
	.p2align	6, 0x0
	.amdhsa_kernel _ZN7rocprim17ROCPRIM_400000_NS6detail17trampoline_kernelINS0_14default_configENS1_35radix_sort_onesweep_config_selectorIiNS0_10empty_typeEEEZZNS1_29radix_sort_onesweep_iterationIS3_Lb0EN6thrust23THRUST_200600_302600_NS6detail15normal_iteratorINS9_10device_ptrIiEEEESE_PS5_SF_jNS0_19identity_decomposerENS1_16block_id_wrapperIjLb1EEEEE10hipError_tT1_PNSt15iterator_traitsISK_E10value_typeET2_T3_PNSL_ISQ_E10value_typeET4_T5_PSV_SW_PNS1_23onesweep_lookback_stateEbbT6_jjT7_P12ihipStream_tbENKUlT_T0_SK_SP_E_clISE_PiSF_SF_EEDaS13_S14_SK_SP_EUlS13_E_NS1_11comp_targetILNS1_3genE8ELNS1_11target_archE1030ELNS1_3gpuE2ELNS1_3repE0EEENS1_47radix_sort_onesweep_sort_config_static_selectorELNS0_4arch9wavefront6targetE1EEEvSK_
		.amdhsa_group_segment_fixed_size 0
		.amdhsa_private_segment_fixed_size 0
		.amdhsa_kernarg_size 88
		.amdhsa_user_sgpr_count 6
		.amdhsa_user_sgpr_private_segment_buffer 1
		.amdhsa_user_sgpr_dispatch_ptr 0
		.amdhsa_user_sgpr_queue_ptr 0
		.amdhsa_user_sgpr_kernarg_segment_ptr 1
		.amdhsa_user_sgpr_dispatch_id 0
		.amdhsa_user_sgpr_flat_scratch_init 0
		.amdhsa_user_sgpr_kernarg_preload_length 0
		.amdhsa_user_sgpr_kernarg_preload_offset 0
		.amdhsa_user_sgpr_private_segment_size 0
		.amdhsa_uses_dynamic_stack 0
		.amdhsa_system_sgpr_private_segment_wavefront_offset 0
		.amdhsa_system_sgpr_workgroup_id_x 1
		.amdhsa_system_sgpr_workgroup_id_y 0
		.amdhsa_system_sgpr_workgroup_id_z 0
		.amdhsa_system_sgpr_workgroup_info 0
		.amdhsa_system_vgpr_workitem_id 0
		.amdhsa_next_free_vgpr 1
		.amdhsa_next_free_sgpr 0
		.amdhsa_accum_offset 4
		.amdhsa_reserve_vcc 0
		.amdhsa_reserve_flat_scratch 0
		.amdhsa_float_round_mode_32 0
		.amdhsa_float_round_mode_16_64 0
		.amdhsa_float_denorm_mode_32 3
		.amdhsa_float_denorm_mode_16_64 3
		.amdhsa_dx10_clamp 1
		.amdhsa_ieee_mode 1
		.amdhsa_fp16_overflow 0
		.amdhsa_tg_split 0
		.amdhsa_exception_fp_ieee_invalid_op 0
		.amdhsa_exception_fp_denorm_src 0
		.amdhsa_exception_fp_ieee_div_zero 0
		.amdhsa_exception_fp_ieee_overflow 0
		.amdhsa_exception_fp_ieee_underflow 0
		.amdhsa_exception_fp_ieee_inexact 0
		.amdhsa_exception_int_div_zero 0
	.end_amdhsa_kernel
	.section	.text._ZN7rocprim17ROCPRIM_400000_NS6detail17trampoline_kernelINS0_14default_configENS1_35radix_sort_onesweep_config_selectorIiNS0_10empty_typeEEEZZNS1_29radix_sort_onesweep_iterationIS3_Lb0EN6thrust23THRUST_200600_302600_NS6detail15normal_iteratorINS9_10device_ptrIiEEEESE_PS5_SF_jNS0_19identity_decomposerENS1_16block_id_wrapperIjLb1EEEEE10hipError_tT1_PNSt15iterator_traitsISK_E10value_typeET2_T3_PNSL_ISQ_E10value_typeET4_T5_PSV_SW_PNS1_23onesweep_lookback_stateEbbT6_jjT7_P12ihipStream_tbENKUlT_T0_SK_SP_E_clISE_PiSF_SF_EEDaS13_S14_SK_SP_EUlS13_E_NS1_11comp_targetILNS1_3genE8ELNS1_11target_archE1030ELNS1_3gpuE2ELNS1_3repE0EEENS1_47radix_sort_onesweep_sort_config_static_selectorELNS0_4arch9wavefront6targetE1EEEvSK_,"axG",@progbits,_ZN7rocprim17ROCPRIM_400000_NS6detail17trampoline_kernelINS0_14default_configENS1_35radix_sort_onesweep_config_selectorIiNS0_10empty_typeEEEZZNS1_29radix_sort_onesweep_iterationIS3_Lb0EN6thrust23THRUST_200600_302600_NS6detail15normal_iteratorINS9_10device_ptrIiEEEESE_PS5_SF_jNS0_19identity_decomposerENS1_16block_id_wrapperIjLb1EEEEE10hipError_tT1_PNSt15iterator_traitsISK_E10value_typeET2_T3_PNSL_ISQ_E10value_typeET4_T5_PSV_SW_PNS1_23onesweep_lookback_stateEbbT6_jjT7_P12ihipStream_tbENKUlT_T0_SK_SP_E_clISE_PiSF_SF_EEDaS13_S14_SK_SP_EUlS13_E_NS1_11comp_targetILNS1_3genE8ELNS1_11target_archE1030ELNS1_3gpuE2ELNS1_3repE0EEENS1_47radix_sort_onesweep_sort_config_static_selectorELNS0_4arch9wavefront6targetE1EEEvSK_,comdat
.Lfunc_end1763:
	.size	_ZN7rocprim17ROCPRIM_400000_NS6detail17trampoline_kernelINS0_14default_configENS1_35radix_sort_onesweep_config_selectorIiNS0_10empty_typeEEEZZNS1_29radix_sort_onesweep_iterationIS3_Lb0EN6thrust23THRUST_200600_302600_NS6detail15normal_iteratorINS9_10device_ptrIiEEEESE_PS5_SF_jNS0_19identity_decomposerENS1_16block_id_wrapperIjLb1EEEEE10hipError_tT1_PNSt15iterator_traitsISK_E10value_typeET2_T3_PNSL_ISQ_E10value_typeET4_T5_PSV_SW_PNS1_23onesweep_lookback_stateEbbT6_jjT7_P12ihipStream_tbENKUlT_T0_SK_SP_E_clISE_PiSF_SF_EEDaS13_S14_SK_SP_EUlS13_E_NS1_11comp_targetILNS1_3genE8ELNS1_11target_archE1030ELNS1_3gpuE2ELNS1_3repE0EEENS1_47radix_sort_onesweep_sort_config_static_selectorELNS0_4arch9wavefront6targetE1EEEvSK_, .Lfunc_end1763-_ZN7rocprim17ROCPRIM_400000_NS6detail17trampoline_kernelINS0_14default_configENS1_35radix_sort_onesweep_config_selectorIiNS0_10empty_typeEEEZZNS1_29radix_sort_onesweep_iterationIS3_Lb0EN6thrust23THRUST_200600_302600_NS6detail15normal_iteratorINS9_10device_ptrIiEEEESE_PS5_SF_jNS0_19identity_decomposerENS1_16block_id_wrapperIjLb1EEEEE10hipError_tT1_PNSt15iterator_traitsISK_E10value_typeET2_T3_PNSL_ISQ_E10value_typeET4_T5_PSV_SW_PNS1_23onesweep_lookback_stateEbbT6_jjT7_P12ihipStream_tbENKUlT_T0_SK_SP_E_clISE_PiSF_SF_EEDaS13_S14_SK_SP_EUlS13_E_NS1_11comp_targetILNS1_3genE8ELNS1_11target_archE1030ELNS1_3gpuE2ELNS1_3repE0EEENS1_47radix_sort_onesweep_sort_config_static_selectorELNS0_4arch9wavefront6targetE1EEEvSK_
                                        ; -- End function
	.section	.AMDGPU.csdata,"",@progbits
; Kernel info:
; codeLenInByte = 0
; NumSgprs: 4
; NumVgprs: 0
; NumAgprs: 0
; TotalNumVgprs: 0
; ScratchSize: 0
; MemoryBound: 0
; FloatMode: 240
; IeeeMode: 1
; LDSByteSize: 0 bytes/workgroup (compile time only)
; SGPRBlocks: 0
; VGPRBlocks: 0
; NumSGPRsForWavesPerEU: 4
; NumVGPRsForWavesPerEU: 1
; AccumOffset: 4
; Occupancy: 8
; WaveLimiterHint : 0
; COMPUTE_PGM_RSRC2:SCRATCH_EN: 0
; COMPUTE_PGM_RSRC2:USER_SGPR: 6
; COMPUTE_PGM_RSRC2:TRAP_HANDLER: 0
; COMPUTE_PGM_RSRC2:TGID_X_EN: 1
; COMPUTE_PGM_RSRC2:TGID_Y_EN: 0
; COMPUTE_PGM_RSRC2:TGID_Z_EN: 0
; COMPUTE_PGM_RSRC2:TIDIG_COMP_CNT: 0
; COMPUTE_PGM_RSRC3_GFX90A:ACCUM_OFFSET: 0
; COMPUTE_PGM_RSRC3_GFX90A:TG_SPLIT: 0
	.section	.text._ZN7rocprim17ROCPRIM_400000_NS6detail17trampoline_kernelINS0_14default_configENS1_35radix_sort_onesweep_config_selectorIiNS0_10empty_typeEEEZZNS1_29radix_sort_onesweep_iterationIS3_Lb0EN6thrust23THRUST_200600_302600_NS6detail15normal_iteratorINS9_10device_ptrIiEEEESE_PS5_SF_jNS0_19identity_decomposerENS1_16block_id_wrapperIjLb1EEEEE10hipError_tT1_PNSt15iterator_traitsISK_E10value_typeET2_T3_PNSL_ISQ_E10value_typeET4_T5_PSV_SW_PNS1_23onesweep_lookback_stateEbbT6_jjT7_P12ihipStream_tbENKUlT_T0_SK_SP_E_clIPiSE_SF_SF_EEDaS13_S14_SK_SP_EUlS13_E_NS1_11comp_targetILNS1_3genE0ELNS1_11target_archE4294967295ELNS1_3gpuE0ELNS1_3repE0EEENS1_47radix_sort_onesweep_sort_config_static_selectorELNS0_4arch9wavefront6targetE1EEEvSK_,"axG",@progbits,_ZN7rocprim17ROCPRIM_400000_NS6detail17trampoline_kernelINS0_14default_configENS1_35radix_sort_onesweep_config_selectorIiNS0_10empty_typeEEEZZNS1_29radix_sort_onesweep_iterationIS3_Lb0EN6thrust23THRUST_200600_302600_NS6detail15normal_iteratorINS9_10device_ptrIiEEEESE_PS5_SF_jNS0_19identity_decomposerENS1_16block_id_wrapperIjLb1EEEEE10hipError_tT1_PNSt15iterator_traitsISK_E10value_typeET2_T3_PNSL_ISQ_E10value_typeET4_T5_PSV_SW_PNS1_23onesweep_lookback_stateEbbT6_jjT7_P12ihipStream_tbENKUlT_T0_SK_SP_E_clIPiSE_SF_SF_EEDaS13_S14_SK_SP_EUlS13_E_NS1_11comp_targetILNS1_3genE0ELNS1_11target_archE4294967295ELNS1_3gpuE0ELNS1_3repE0EEENS1_47radix_sort_onesweep_sort_config_static_selectorELNS0_4arch9wavefront6targetE1EEEvSK_,comdat
	.protected	_ZN7rocprim17ROCPRIM_400000_NS6detail17trampoline_kernelINS0_14default_configENS1_35radix_sort_onesweep_config_selectorIiNS0_10empty_typeEEEZZNS1_29radix_sort_onesweep_iterationIS3_Lb0EN6thrust23THRUST_200600_302600_NS6detail15normal_iteratorINS9_10device_ptrIiEEEESE_PS5_SF_jNS0_19identity_decomposerENS1_16block_id_wrapperIjLb1EEEEE10hipError_tT1_PNSt15iterator_traitsISK_E10value_typeET2_T3_PNSL_ISQ_E10value_typeET4_T5_PSV_SW_PNS1_23onesweep_lookback_stateEbbT6_jjT7_P12ihipStream_tbENKUlT_T0_SK_SP_E_clIPiSE_SF_SF_EEDaS13_S14_SK_SP_EUlS13_E_NS1_11comp_targetILNS1_3genE0ELNS1_11target_archE4294967295ELNS1_3gpuE0ELNS1_3repE0EEENS1_47radix_sort_onesweep_sort_config_static_selectorELNS0_4arch9wavefront6targetE1EEEvSK_ ; -- Begin function _ZN7rocprim17ROCPRIM_400000_NS6detail17trampoline_kernelINS0_14default_configENS1_35radix_sort_onesweep_config_selectorIiNS0_10empty_typeEEEZZNS1_29radix_sort_onesweep_iterationIS3_Lb0EN6thrust23THRUST_200600_302600_NS6detail15normal_iteratorINS9_10device_ptrIiEEEESE_PS5_SF_jNS0_19identity_decomposerENS1_16block_id_wrapperIjLb1EEEEE10hipError_tT1_PNSt15iterator_traitsISK_E10value_typeET2_T3_PNSL_ISQ_E10value_typeET4_T5_PSV_SW_PNS1_23onesweep_lookback_stateEbbT6_jjT7_P12ihipStream_tbENKUlT_T0_SK_SP_E_clIPiSE_SF_SF_EEDaS13_S14_SK_SP_EUlS13_E_NS1_11comp_targetILNS1_3genE0ELNS1_11target_archE4294967295ELNS1_3gpuE0ELNS1_3repE0EEENS1_47radix_sort_onesweep_sort_config_static_selectorELNS0_4arch9wavefront6targetE1EEEvSK_
	.globl	_ZN7rocprim17ROCPRIM_400000_NS6detail17trampoline_kernelINS0_14default_configENS1_35radix_sort_onesweep_config_selectorIiNS0_10empty_typeEEEZZNS1_29radix_sort_onesweep_iterationIS3_Lb0EN6thrust23THRUST_200600_302600_NS6detail15normal_iteratorINS9_10device_ptrIiEEEESE_PS5_SF_jNS0_19identity_decomposerENS1_16block_id_wrapperIjLb1EEEEE10hipError_tT1_PNSt15iterator_traitsISK_E10value_typeET2_T3_PNSL_ISQ_E10value_typeET4_T5_PSV_SW_PNS1_23onesweep_lookback_stateEbbT6_jjT7_P12ihipStream_tbENKUlT_T0_SK_SP_E_clIPiSE_SF_SF_EEDaS13_S14_SK_SP_EUlS13_E_NS1_11comp_targetILNS1_3genE0ELNS1_11target_archE4294967295ELNS1_3gpuE0ELNS1_3repE0EEENS1_47radix_sort_onesweep_sort_config_static_selectorELNS0_4arch9wavefront6targetE1EEEvSK_
	.p2align	8
	.type	_ZN7rocprim17ROCPRIM_400000_NS6detail17trampoline_kernelINS0_14default_configENS1_35radix_sort_onesweep_config_selectorIiNS0_10empty_typeEEEZZNS1_29radix_sort_onesweep_iterationIS3_Lb0EN6thrust23THRUST_200600_302600_NS6detail15normal_iteratorINS9_10device_ptrIiEEEESE_PS5_SF_jNS0_19identity_decomposerENS1_16block_id_wrapperIjLb1EEEEE10hipError_tT1_PNSt15iterator_traitsISK_E10value_typeET2_T3_PNSL_ISQ_E10value_typeET4_T5_PSV_SW_PNS1_23onesweep_lookback_stateEbbT6_jjT7_P12ihipStream_tbENKUlT_T0_SK_SP_E_clIPiSE_SF_SF_EEDaS13_S14_SK_SP_EUlS13_E_NS1_11comp_targetILNS1_3genE0ELNS1_11target_archE4294967295ELNS1_3gpuE0ELNS1_3repE0EEENS1_47radix_sort_onesweep_sort_config_static_selectorELNS0_4arch9wavefront6targetE1EEEvSK_,@function
_ZN7rocprim17ROCPRIM_400000_NS6detail17trampoline_kernelINS0_14default_configENS1_35radix_sort_onesweep_config_selectorIiNS0_10empty_typeEEEZZNS1_29radix_sort_onesweep_iterationIS3_Lb0EN6thrust23THRUST_200600_302600_NS6detail15normal_iteratorINS9_10device_ptrIiEEEESE_PS5_SF_jNS0_19identity_decomposerENS1_16block_id_wrapperIjLb1EEEEE10hipError_tT1_PNSt15iterator_traitsISK_E10value_typeET2_T3_PNSL_ISQ_E10value_typeET4_T5_PSV_SW_PNS1_23onesweep_lookback_stateEbbT6_jjT7_P12ihipStream_tbENKUlT_T0_SK_SP_E_clIPiSE_SF_SF_EEDaS13_S14_SK_SP_EUlS13_E_NS1_11comp_targetILNS1_3genE0ELNS1_11target_archE4294967295ELNS1_3gpuE0ELNS1_3repE0EEENS1_47radix_sort_onesweep_sort_config_static_selectorELNS0_4arch9wavefront6targetE1EEEvSK_: ; @_ZN7rocprim17ROCPRIM_400000_NS6detail17trampoline_kernelINS0_14default_configENS1_35radix_sort_onesweep_config_selectorIiNS0_10empty_typeEEEZZNS1_29radix_sort_onesweep_iterationIS3_Lb0EN6thrust23THRUST_200600_302600_NS6detail15normal_iteratorINS9_10device_ptrIiEEEESE_PS5_SF_jNS0_19identity_decomposerENS1_16block_id_wrapperIjLb1EEEEE10hipError_tT1_PNSt15iterator_traitsISK_E10value_typeET2_T3_PNSL_ISQ_E10value_typeET4_T5_PSV_SW_PNS1_23onesweep_lookback_stateEbbT6_jjT7_P12ihipStream_tbENKUlT_T0_SK_SP_E_clIPiSE_SF_SF_EEDaS13_S14_SK_SP_EUlS13_E_NS1_11comp_targetILNS1_3genE0ELNS1_11target_archE4294967295ELNS1_3gpuE0ELNS1_3repE0EEENS1_47radix_sort_onesweep_sort_config_static_selectorELNS0_4arch9wavefront6targetE1EEEvSK_
; %bb.0:
	.section	.rodata,"a",@progbits
	.p2align	6, 0x0
	.amdhsa_kernel _ZN7rocprim17ROCPRIM_400000_NS6detail17trampoline_kernelINS0_14default_configENS1_35radix_sort_onesweep_config_selectorIiNS0_10empty_typeEEEZZNS1_29radix_sort_onesweep_iterationIS3_Lb0EN6thrust23THRUST_200600_302600_NS6detail15normal_iteratorINS9_10device_ptrIiEEEESE_PS5_SF_jNS0_19identity_decomposerENS1_16block_id_wrapperIjLb1EEEEE10hipError_tT1_PNSt15iterator_traitsISK_E10value_typeET2_T3_PNSL_ISQ_E10value_typeET4_T5_PSV_SW_PNS1_23onesweep_lookback_stateEbbT6_jjT7_P12ihipStream_tbENKUlT_T0_SK_SP_E_clIPiSE_SF_SF_EEDaS13_S14_SK_SP_EUlS13_E_NS1_11comp_targetILNS1_3genE0ELNS1_11target_archE4294967295ELNS1_3gpuE0ELNS1_3repE0EEENS1_47radix_sort_onesweep_sort_config_static_selectorELNS0_4arch9wavefront6targetE1EEEvSK_
		.amdhsa_group_segment_fixed_size 0
		.amdhsa_private_segment_fixed_size 0
		.amdhsa_kernarg_size 88
		.amdhsa_user_sgpr_count 6
		.amdhsa_user_sgpr_private_segment_buffer 1
		.amdhsa_user_sgpr_dispatch_ptr 0
		.amdhsa_user_sgpr_queue_ptr 0
		.amdhsa_user_sgpr_kernarg_segment_ptr 1
		.amdhsa_user_sgpr_dispatch_id 0
		.amdhsa_user_sgpr_flat_scratch_init 0
		.amdhsa_user_sgpr_kernarg_preload_length 0
		.amdhsa_user_sgpr_kernarg_preload_offset 0
		.amdhsa_user_sgpr_private_segment_size 0
		.amdhsa_uses_dynamic_stack 0
		.amdhsa_system_sgpr_private_segment_wavefront_offset 0
		.amdhsa_system_sgpr_workgroup_id_x 1
		.amdhsa_system_sgpr_workgroup_id_y 0
		.amdhsa_system_sgpr_workgroup_id_z 0
		.amdhsa_system_sgpr_workgroup_info 0
		.amdhsa_system_vgpr_workitem_id 0
		.amdhsa_next_free_vgpr 1
		.amdhsa_next_free_sgpr 0
		.amdhsa_accum_offset 4
		.amdhsa_reserve_vcc 0
		.amdhsa_reserve_flat_scratch 0
		.amdhsa_float_round_mode_32 0
		.amdhsa_float_round_mode_16_64 0
		.amdhsa_float_denorm_mode_32 3
		.amdhsa_float_denorm_mode_16_64 3
		.amdhsa_dx10_clamp 1
		.amdhsa_ieee_mode 1
		.amdhsa_fp16_overflow 0
		.amdhsa_tg_split 0
		.amdhsa_exception_fp_ieee_invalid_op 0
		.amdhsa_exception_fp_denorm_src 0
		.amdhsa_exception_fp_ieee_div_zero 0
		.amdhsa_exception_fp_ieee_overflow 0
		.amdhsa_exception_fp_ieee_underflow 0
		.amdhsa_exception_fp_ieee_inexact 0
		.amdhsa_exception_int_div_zero 0
	.end_amdhsa_kernel
	.section	.text._ZN7rocprim17ROCPRIM_400000_NS6detail17trampoline_kernelINS0_14default_configENS1_35radix_sort_onesweep_config_selectorIiNS0_10empty_typeEEEZZNS1_29radix_sort_onesweep_iterationIS3_Lb0EN6thrust23THRUST_200600_302600_NS6detail15normal_iteratorINS9_10device_ptrIiEEEESE_PS5_SF_jNS0_19identity_decomposerENS1_16block_id_wrapperIjLb1EEEEE10hipError_tT1_PNSt15iterator_traitsISK_E10value_typeET2_T3_PNSL_ISQ_E10value_typeET4_T5_PSV_SW_PNS1_23onesweep_lookback_stateEbbT6_jjT7_P12ihipStream_tbENKUlT_T0_SK_SP_E_clIPiSE_SF_SF_EEDaS13_S14_SK_SP_EUlS13_E_NS1_11comp_targetILNS1_3genE0ELNS1_11target_archE4294967295ELNS1_3gpuE0ELNS1_3repE0EEENS1_47radix_sort_onesweep_sort_config_static_selectorELNS0_4arch9wavefront6targetE1EEEvSK_,"axG",@progbits,_ZN7rocprim17ROCPRIM_400000_NS6detail17trampoline_kernelINS0_14default_configENS1_35radix_sort_onesweep_config_selectorIiNS0_10empty_typeEEEZZNS1_29radix_sort_onesweep_iterationIS3_Lb0EN6thrust23THRUST_200600_302600_NS6detail15normal_iteratorINS9_10device_ptrIiEEEESE_PS5_SF_jNS0_19identity_decomposerENS1_16block_id_wrapperIjLb1EEEEE10hipError_tT1_PNSt15iterator_traitsISK_E10value_typeET2_T3_PNSL_ISQ_E10value_typeET4_T5_PSV_SW_PNS1_23onesweep_lookback_stateEbbT6_jjT7_P12ihipStream_tbENKUlT_T0_SK_SP_E_clIPiSE_SF_SF_EEDaS13_S14_SK_SP_EUlS13_E_NS1_11comp_targetILNS1_3genE0ELNS1_11target_archE4294967295ELNS1_3gpuE0ELNS1_3repE0EEENS1_47radix_sort_onesweep_sort_config_static_selectorELNS0_4arch9wavefront6targetE1EEEvSK_,comdat
.Lfunc_end1764:
	.size	_ZN7rocprim17ROCPRIM_400000_NS6detail17trampoline_kernelINS0_14default_configENS1_35radix_sort_onesweep_config_selectorIiNS0_10empty_typeEEEZZNS1_29radix_sort_onesweep_iterationIS3_Lb0EN6thrust23THRUST_200600_302600_NS6detail15normal_iteratorINS9_10device_ptrIiEEEESE_PS5_SF_jNS0_19identity_decomposerENS1_16block_id_wrapperIjLb1EEEEE10hipError_tT1_PNSt15iterator_traitsISK_E10value_typeET2_T3_PNSL_ISQ_E10value_typeET4_T5_PSV_SW_PNS1_23onesweep_lookback_stateEbbT6_jjT7_P12ihipStream_tbENKUlT_T0_SK_SP_E_clIPiSE_SF_SF_EEDaS13_S14_SK_SP_EUlS13_E_NS1_11comp_targetILNS1_3genE0ELNS1_11target_archE4294967295ELNS1_3gpuE0ELNS1_3repE0EEENS1_47radix_sort_onesweep_sort_config_static_selectorELNS0_4arch9wavefront6targetE1EEEvSK_, .Lfunc_end1764-_ZN7rocprim17ROCPRIM_400000_NS6detail17trampoline_kernelINS0_14default_configENS1_35radix_sort_onesweep_config_selectorIiNS0_10empty_typeEEEZZNS1_29radix_sort_onesweep_iterationIS3_Lb0EN6thrust23THRUST_200600_302600_NS6detail15normal_iteratorINS9_10device_ptrIiEEEESE_PS5_SF_jNS0_19identity_decomposerENS1_16block_id_wrapperIjLb1EEEEE10hipError_tT1_PNSt15iterator_traitsISK_E10value_typeET2_T3_PNSL_ISQ_E10value_typeET4_T5_PSV_SW_PNS1_23onesweep_lookback_stateEbbT6_jjT7_P12ihipStream_tbENKUlT_T0_SK_SP_E_clIPiSE_SF_SF_EEDaS13_S14_SK_SP_EUlS13_E_NS1_11comp_targetILNS1_3genE0ELNS1_11target_archE4294967295ELNS1_3gpuE0ELNS1_3repE0EEENS1_47radix_sort_onesweep_sort_config_static_selectorELNS0_4arch9wavefront6targetE1EEEvSK_
                                        ; -- End function
	.section	.AMDGPU.csdata,"",@progbits
; Kernel info:
; codeLenInByte = 0
; NumSgprs: 4
; NumVgprs: 0
; NumAgprs: 0
; TotalNumVgprs: 0
; ScratchSize: 0
; MemoryBound: 0
; FloatMode: 240
; IeeeMode: 1
; LDSByteSize: 0 bytes/workgroup (compile time only)
; SGPRBlocks: 0
; VGPRBlocks: 0
; NumSGPRsForWavesPerEU: 4
; NumVGPRsForWavesPerEU: 1
; AccumOffset: 4
; Occupancy: 8
; WaveLimiterHint : 0
; COMPUTE_PGM_RSRC2:SCRATCH_EN: 0
; COMPUTE_PGM_RSRC2:USER_SGPR: 6
; COMPUTE_PGM_RSRC2:TRAP_HANDLER: 0
; COMPUTE_PGM_RSRC2:TGID_X_EN: 1
; COMPUTE_PGM_RSRC2:TGID_Y_EN: 0
; COMPUTE_PGM_RSRC2:TGID_Z_EN: 0
; COMPUTE_PGM_RSRC2:TIDIG_COMP_CNT: 0
; COMPUTE_PGM_RSRC3_GFX90A:ACCUM_OFFSET: 0
; COMPUTE_PGM_RSRC3_GFX90A:TG_SPLIT: 0
	.section	.text._ZN7rocprim17ROCPRIM_400000_NS6detail17trampoline_kernelINS0_14default_configENS1_35radix_sort_onesweep_config_selectorIiNS0_10empty_typeEEEZZNS1_29radix_sort_onesweep_iterationIS3_Lb0EN6thrust23THRUST_200600_302600_NS6detail15normal_iteratorINS9_10device_ptrIiEEEESE_PS5_SF_jNS0_19identity_decomposerENS1_16block_id_wrapperIjLb1EEEEE10hipError_tT1_PNSt15iterator_traitsISK_E10value_typeET2_T3_PNSL_ISQ_E10value_typeET4_T5_PSV_SW_PNS1_23onesweep_lookback_stateEbbT6_jjT7_P12ihipStream_tbENKUlT_T0_SK_SP_E_clIPiSE_SF_SF_EEDaS13_S14_SK_SP_EUlS13_E_NS1_11comp_targetILNS1_3genE6ELNS1_11target_archE950ELNS1_3gpuE13ELNS1_3repE0EEENS1_47radix_sort_onesweep_sort_config_static_selectorELNS0_4arch9wavefront6targetE1EEEvSK_,"axG",@progbits,_ZN7rocprim17ROCPRIM_400000_NS6detail17trampoline_kernelINS0_14default_configENS1_35radix_sort_onesweep_config_selectorIiNS0_10empty_typeEEEZZNS1_29radix_sort_onesweep_iterationIS3_Lb0EN6thrust23THRUST_200600_302600_NS6detail15normal_iteratorINS9_10device_ptrIiEEEESE_PS5_SF_jNS0_19identity_decomposerENS1_16block_id_wrapperIjLb1EEEEE10hipError_tT1_PNSt15iterator_traitsISK_E10value_typeET2_T3_PNSL_ISQ_E10value_typeET4_T5_PSV_SW_PNS1_23onesweep_lookback_stateEbbT6_jjT7_P12ihipStream_tbENKUlT_T0_SK_SP_E_clIPiSE_SF_SF_EEDaS13_S14_SK_SP_EUlS13_E_NS1_11comp_targetILNS1_3genE6ELNS1_11target_archE950ELNS1_3gpuE13ELNS1_3repE0EEENS1_47radix_sort_onesweep_sort_config_static_selectorELNS0_4arch9wavefront6targetE1EEEvSK_,comdat
	.protected	_ZN7rocprim17ROCPRIM_400000_NS6detail17trampoline_kernelINS0_14default_configENS1_35radix_sort_onesweep_config_selectorIiNS0_10empty_typeEEEZZNS1_29radix_sort_onesweep_iterationIS3_Lb0EN6thrust23THRUST_200600_302600_NS6detail15normal_iteratorINS9_10device_ptrIiEEEESE_PS5_SF_jNS0_19identity_decomposerENS1_16block_id_wrapperIjLb1EEEEE10hipError_tT1_PNSt15iterator_traitsISK_E10value_typeET2_T3_PNSL_ISQ_E10value_typeET4_T5_PSV_SW_PNS1_23onesweep_lookback_stateEbbT6_jjT7_P12ihipStream_tbENKUlT_T0_SK_SP_E_clIPiSE_SF_SF_EEDaS13_S14_SK_SP_EUlS13_E_NS1_11comp_targetILNS1_3genE6ELNS1_11target_archE950ELNS1_3gpuE13ELNS1_3repE0EEENS1_47radix_sort_onesweep_sort_config_static_selectorELNS0_4arch9wavefront6targetE1EEEvSK_ ; -- Begin function _ZN7rocprim17ROCPRIM_400000_NS6detail17trampoline_kernelINS0_14default_configENS1_35radix_sort_onesweep_config_selectorIiNS0_10empty_typeEEEZZNS1_29radix_sort_onesweep_iterationIS3_Lb0EN6thrust23THRUST_200600_302600_NS6detail15normal_iteratorINS9_10device_ptrIiEEEESE_PS5_SF_jNS0_19identity_decomposerENS1_16block_id_wrapperIjLb1EEEEE10hipError_tT1_PNSt15iterator_traitsISK_E10value_typeET2_T3_PNSL_ISQ_E10value_typeET4_T5_PSV_SW_PNS1_23onesweep_lookback_stateEbbT6_jjT7_P12ihipStream_tbENKUlT_T0_SK_SP_E_clIPiSE_SF_SF_EEDaS13_S14_SK_SP_EUlS13_E_NS1_11comp_targetILNS1_3genE6ELNS1_11target_archE950ELNS1_3gpuE13ELNS1_3repE0EEENS1_47radix_sort_onesweep_sort_config_static_selectorELNS0_4arch9wavefront6targetE1EEEvSK_
	.globl	_ZN7rocprim17ROCPRIM_400000_NS6detail17trampoline_kernelINS0_14default_configENS1_35radix_sort_onesweep_config_selectorIiNS0_10empty_typeEEEZZNS1_29radix_sort_onesweep_iterationIS3_Lb0EN6thrust23THRUST_200600_302600_NS6detail15normal_iteratorINS9_10device_ptrIiEEEESE_PS5_SF_jNS0_19identity_decomposerENS1_16block_id_wrapperIjLb1EEEEE10hipError_tT1_PNSt15iterator_traitsISK_E10value_typeET2_T3_PNSL_ISQ_E10value_typeET4_T5_PSV_SW_PNS1_23onesweep_lookback_stateEbbT6_jjT7_P12ihipStream_tbENKUlT_T0_SK_SP_E_clIPiSE_SF_SF_EEDaS13_S14_SK_SP_EUlS13_E_NS1_11comp_targetILNS1_3genE6ELNS1_11target_archE950ELNS1_3gpuE13ELNS1_3repE0EEENS1_47radix_sort_onesweep_sort_config_static_selectorELNS0_4arch9wavefront6targetE1EEEvSK_
	.p2align	8
	.type	_ZN7rocprim17ROCPRIM_400000_NS6detail17trampoline_kernelINS0_14default_configENS1_35radix_sort_onesweep_config_selectorIiNS0_10empty_typeEEEZZNS1_29radix_sort_onesweep_iterationIS3_Lb0EN6thrust23THRUST_200600_302600_NS6detail15normal_iteratorINS9_10device_ptrIiEEEESE_PS5_SF_jNS0_19identity_decomposerENS1_16block_id_wrapperIjLb1EEEEE10hipError_tT1_PNSt15iterator_traitsISK_E10value_typeET2_T3_PNSL_ISQ_E10value_typeET4_T5_PSV_SW_PNS1_23onesweep_lookback_stateEbbT6_jjT7_P12ihipStream_tbENKUlT_T0_SK_SP_E_clIPiSE_SF_SF_EEDaS13_S14_SK_SP_EUlS13_E_NS1_11comp_targetILNS1_3genE6ELNS1_11target_archE950ELNS1_3gpuE13ELNS1_3repE0EEENS1_47radix_sort_onesweep_sort_config_static_selectorELNS0_4arch9wavefront6targetE1EEEvSK_,@function
_ZN7rocprim17ROCPRIM_400000_NS6detail17trampoline_kernelINS0_14default_configENS1_35radix_sort_onesweep_config_selectorIiNS0_10empty_typeEEEZZNS1_29radix_sort_onesweep_iterationIS3_Lb0EN6thrust23THRUST_200600_302600_NS6detail15normal_iteratorINS9_10device_ptrIiEEEESE_PS5_SF_jNS0_19identity_decomposerENS1_16block_id_wrapperIjLb1EEEEE10hipError_tT1_PNSt15iterator_traitsISK_E10value_typeET2_T3_PNSL_ISQ_E10value_typeET4_T5_PSV_SW_PNS1_23onesweep_lookback_stateEbbT6_jjT7_P12ihipStream_tbENKUlT_T0_SK_SP_E_clIPiSE_SF_SF_EEDaS13_S14_SK_SP_EUlS13_E_NS1_11comp_targetILNS1_3genE6ELNS1_11target_archE950ELNS1_3gpuE13ELNS1_3repE0EEENS1_47radix_sort_onesweep_sort_config_static_selectorELNS0_4arch9wavefront6targetE1EEEvSK_: ; @_ZN7rocprim17ROCPRIM_400000_NS6detail17trampoline_kernelINS0_14default_configENS1_35radix_sort_onesweep_config_selectorIiNS0_10empty_typeEEEZZNS1_29radix_sort_onesweep_iterationIS3_Lb0EN6thrust23THRUST_200600_302600_NS6detail15normal_iteratorINS9_10device_ptrIiEEEESE_PS5_SF_jNS0_19identity_decomposerENS1_16block_id_wrapperIjLb1EEEEE10hipError_tT1_PNSt15iterator_traitsISK_E10value_typeET2_T3_PNSL_ISQ_E10value_typeET4_T5_PSV_SW_PNS1_23onesweep_lookback_stateEbbT6_jjT7_P12ihipStream_tbENKUlT_T0_SK_SP_E_clIPiSE_SF_SF_EEDaS13_S14_SK_SP_EUlS13_E_NS1_11comp_targetILNS1_3genE6ELNS1_11target_archE950ELNS1_3gpuE13ELNS1_3repE0EEENS1_47radix_sort_onesweep_sort_config_static_selectorELNS0_4arch9wavefront6targetE1EEEvSK_
; %bb.0:
	.section	.rodata,"a",@progbits
	.p2align	6, 0x0
	.amdhsa_kernel _ZN7rocprim17ROCPRIM_400000_NS6detail17trampoline_kernelINS0_14default_configENS1_35radix_sort_onesweep_config_selectorIiNS0_10empty_typeEEEZZNS1_29radix_sort_onesweep_iterationIS3_Lb0EN6thrust23THRUST_200600_302600_NS6detail15normal_iteratorINS9_10device_ptrIiEEEESE_PS5_SF_jNS0_19identity_decomposerENS1_16block_id_wrapperIjLb1EEEEE10hipError_tT1_PNSt15iterator_traitsISK_E10value_typeET2_T3_PNSL_ISQ_E10value_typeET4_T5_PSV_SW_PNS1_23onesweep_lookback_stateEbbT6_jjT7_P12ihipStream_tbENKUlT_T0_SK_SP_E_clIPiSE_SF_SF_EEDaS13_S14_SK_SP_EUlS13_E_NS1_11comp_targetILNS1_3genE6ELNS1_11target_archE950ELNS1_3gpuE13ELNS1_3repE0EEENS1_47radix_sort_onesweep_sort_config_static_selectorELNS0_4arch9wavefront6targetE1EEEvSK_
		.amdhsa_group_segment_fixed_size 0
		.amdhsa_private_segment_fixed_size 0
		.amdhsa_kernarg_size 88
		.amdhsa_user_sgpr_count 6
		.amdhsa_user_sgpr_private_segment_buffer 1
		.amdhsa_user_sgpr_dispatch_ptr 0
		.amdhsa_user_sgpr_queue_ptr 0
		.amdhsa_user_sgpr_kernarg_segment_ptr 1
		.amdhsa_user_sgpr_dispatch_id 0
		.amdhsa_user_sgpr_flat_scratch_init 0
		.amdhsa_user_sgpr_kernarg_preload_length 0
		.amdhsa_user_sgpr_kernarg_preload_offset 0
		.amdhsa_user_sgpr_private_segment_size 0
		.amdhsa_uses_dynamic_stack 0
		.amdhsa_system_sgpr_private_segment_wavefront_offset 0
		.amdhsa_system_sgpr_workgroup_id_x 1
		.amdhsa_system_sgpr_workgroup_id_y 0
		.amdhsa_system_sgpr_workgroup_id_z 0
		.amdhsa_system_sgpr_workgroup_info 0
		.amdhsa_system_vgpr_workitem_id 0
		.amdhsa_next_free_vgpr 1
		.amdhsa_next_free_sgpr 0
		.amdhsa_accum_offset 4
		.amdhsa_reserve_vcc 0
		.amdhsa_reserve_flat_scratch 0
		.amdhsa_float_round_mode_32 0
		.amdhsa_float_round_mode_16_64 0
		.amdhsa_float_denorm_mode_32 3
		.amdhsa_float_denorm_mode_16_64 3
		.amdhsa_dx10_clamp 1
		.amdhsa_ieee_mode 1
		.amdhsa_fp16_overflow 0
		.amdhsa_tg_split 0
		.amdhsa_exception_fp_ieee_invalid_op 0
		.amdhsa_exception_fp_denorm_src 0
		.amdhsa_exception_fp_ieee_div_zero 0
		.amdhsa_exception_fp_ieee_overflow 0
		.amdhsa_exception_fp_ieee_underflow 0
		.amdhsa_exception_fp_ieee_inexact 0
		.amdhsa_exception_int_div_zero 0
	.end_amdhsa_kernel
	.section	.text._ZN7rocprim17ROCPRIM_400000_NS6detail17trampoline_kernelINS0_14default_configENS1_35radix_sort_onesweep_config_selectorIiNS0_10empty_typeEEEZZNS1_29radix_sort_onesweep_iterationIS3_Lb0EN6thrust23THRUST_200600_302600_NS6detail15normal_iteratorINS9_10device_ptrIiEEEESE_PS5_SF_jNS0_19identity_decomposerENS1_16block_id_wrapperIjLb1EEEEE10hipError_tT1_PNSt15iterator_traitsISK_E10value_typeET2_T3_PNSL_ISQ_E10value_typeET4_T5_PSV_SW_PNS1_23onesweep_lookback_stateEbbT6_jjT7_P12ihipStream_tbENKUlT_T0_SK_SP_E_clIPiSE_SF_SF_EEDaS13_S14_SK_SP_EUlS13_E_NS1_11comp_targetILNS1_3genE6ELNS1_11target_archE950ELNS1_3gpuE13ELNS1_3repE0EEENS1_47radix_sort_onesweep_sort_config_static_selectorELNS0_4arch9wavefront6targetE1EEEvSK_,"axG",@progbits,_ZN7rocprim17ROCPRIM_400000_NS6detail17trampoline_kernelINS0_14default_configENS1_35radix_sort_onesweep_config_selectorIiNS0_10empty_typeEEEZZNS1_29radix_sort_onesweep_iterationIS3_Lb0EN6thrust23THRUST_200600_302600_NS6detail15normal_iteratorINS9_10device_ptrIiEEEESE_PS5_SF_jNS0_19identity_decomposerENS1_16block_id_wrapperIjLb1EEEEE10hipError_tT1_PNSt15iterator_traitsISK_E10value_typeET2_T3_PNSL_ISQ_E10value_typeET4_T5_PSV_SW_PNS1_23onesweep_lookback_stateEbbT6_jjT7_P12ihipStream_tbENKUlT_T0_SK_SP_E_clIPiSE_SF_SF_EEDaS13_S14_SK_SP_EUlS13_E_NS1_11comp_targetILNS1_3genE6ELNS1_11target_archE950ELNS1_3gpuE13ELNS1_3repE0EEENS1_47radix_sort_onesweep_sort_config_static_selectorELNS0_4arch9wavefront6targetE1EEEvSK_,comdat
.Lfunc_end1765:
	.size	_ZN7rocprim17ROCPRIM_400000_NS6detail17trampoline_kernelINS0_14default_configENS1_35radix_sort_onesweep_config_selectorIiNS0_10empty_typeEEEZZNS1_29radix_sort_onesweep_iterationIS3_Lb0EN6thrust23THRUST_200600_302600_NS6detail15normal_iteratorINS9_10device_ptrIiEEEESE_PS5_SF_jNS0_19identity_decomposerENS1_16block_id_wrapperIjLb1EEEEE10hipError_tT1_PNSt15iterator_traitsISK_E10value_typeET2_T3_PNSL_ISQ_E10value_typeET4_T5_PSV_SW_PNS1_23onesweep_lookback_stateEbbT6_jjT7_P12ihipStream_tbENKUlT_T0_SK_SP_E_clIPiSE_SF_SF_EEDaS13_S14_SK_SP_EUlS13_E_NS1_11comp_targetILNS1_3genE6ELNS1_11target_archE950ELNS1_3gpuE13ELNS1_3repE0EEENS1_47radix_sort_onesweep_sort_config_static_selectorELNS0_4arch9wavefront6targetE1EEEvSK_, .Lfunc_end1765-_ZN7rocprim17ROCPRIM_400000_NS6detail17trampoline_kernelINS0_14default_configENS1_35radix_sort_onesweep_config_selectorIiNS0_10empty_typeEEEZZNS1_29radix_sort_onesweep_iterationIS3_Lb0EN6thrust23THRUST_200600_302600_NS6detail15normal_iteratorINS9_10device_ptrIiEEEESE_PS5_SF_jNS0_19identity_decomposerENS1_16block_id_wrapperIjLb1EEEEE10hipError_tT1_PNSt15iterator_traitsISK_E10value_typeET2_T3_PNSL_ISQ_E10value_typeET4_T5_PSV_SW_PNS1_23onesweep_lookback_stateEbbT6_jjT7_P12ihipStream_tbENKUlT_T0_SK_SP_E_clIPiSE_SF_SF_EEDaS13_S14_SK_SP_EUlS13_E_NS1_11comp_targetILNS1_3genE6ELNS1_11target_archE950ELNS1_3gpuE13ELNS1_3repE0EEENS1_47radix_sort_onesweep_sort_config_static_selectorELNS0_4arch9wavefront6targetE1EEEvSK_
                                        ; -- End function
	.section	.AMDGPU.csdata,"",@progbits
; Kernel info:
; codeLenInByte = 0
; NumSgprs: 4
; NumVgprs: 0
; NumAgprs: 0
; TotalNumVgprs: 0
; ScratchSize: 0
; MemoryBound: 0
; FloatMode: 240
; IeeeMode: 1
; LDSByteSize: 0 bytes/workgroup (compile time only)
; SGPRBlocks: 0
; VGPRBlocks: 0
; NumSGPRsForWavesPerEU: 4
; NumVGPRsForWavesPerEU: 1
; AccumOffset: 4
; Occupancy: 8
; WaveLimiterHint : 0
; COMPUTE_PGM_RSRC2:SCRATCH_EN: 0
; COMPUTE_PGM_RSRC2:USER_SGPR: 6
; COMPUTE_PGM_RSRC2:TRAP_HANDLER: 0
; COMPUTE_PGM_RSRC2:TGID_X_EN: 1
; COMPUTE_PGM_RSRC2:TGID_Y_EN: 0
; COMPUTE_PGM_RSRC2:TGID_Z_EN: 0
; COMPUTE_PGM_RSRC2:TIDIG_COMP_CNT: 0
; COMPUTE_PGM_RSRC3_GFX90A:ACCUM_OFFSET: 0
; COMPUTE_PGM_RSRC3_GFX90A:TG_SPLIT: 0
	.section	.text._ZN7rocprim17ROCPRIM_400000_NS6detail17trampoline_kernelINS0_14default_configENS1_35radix_sort_onesweep_config_selectorIiNS0_10empty_typeEEEZZNS1_29radix_sort_onesweep_iterationIS3_Lb0EN6thrust23THRUST_200600_302600_NS6detail15normal_iteratorINS9_10device_ptrIiEEEESE_PS5_SF_jNS0_19identity_decomposerENS1_16block_id_wrapperIjLb1EEEEE10hipError_tT1_PNSt15iterator_traitsISK_E10value_typeET2_T3_PNSL_ISQ_E10value_typeET4_T5_PSV_SW_PNS1_23onesweep_lookback_stateEbbT6_jjT7_P12ihipStream_tbENKUlT_T0_SK_SP_E_clIPiSE_SF_SF_EEDaS13_S14_SK_SP_EUlS13_E_NS1_11comp_targetILNS1_3genE5ELNS1_11target_archE942ELNS1_3gpuE9ELNS1_3repE0EEENS1_47radix_sort_onesweep_sort_config_static_selectorELNS0_4arch9wavefront6targetE1EEEvSK_,"axG",@progbits,_ZN7rocprim17ROCPRIM_400000_NS6detail17trampoline_kernelINS0_14default_configENS1_35radix_sort_onesweep_config_selectorIiNS0_10empty_typeEEEZZNS1_29radix_sort_onesweep_iterationIS3_Lb0EN6thrust23THRUST_200600_302600_NS6detail15normal_iteratorINS9_10device_ptrIiEEEESE_PS5_SF_jNS0_19identity_decomposerENS1_16block_id_wrapperIjLb1EEEEE10hipError_tT1_PNSt15iterator_traitsISK_E10value_typeET2_T3_PNSL_ISQ_E10value_typeET4_T5_PSV_SW_PNS1_23onesweep_lookback_stateEbbT6_jjT7_P12ihipStream_tbENKUlT_T0_SK_SP_E_clIPiSE_SF_SF_EEDaS13_S14_SK_SP_EUlS13_E_NS1_11comp_targetILNS1_3genE5ELNS1_11target_archE942ELNS1_3gpuE9ELNS1_3repE0EEENS1_47radix_sort_onesweep_sort_config_static_selectorELNS0_4arch9wavefront6targetE1EEEvSK_,comdat
	.protected	_ZN7rocprim17ROCPRIM_400000_NS6detail17trampoline_kernelINS0_14default_configENS1_35radix_sort_onesweep_config_selectorIiNS0_10empty_typeEEEZZNS1_29radix_sort_onesweep_iterationIS3_Lb0EN6thrust23THRUST_200600_302600_NS6detail15normal_iteratorINS9_10device_ptrIiEEEESE_PS5_SF_jNS0_19identity_decomposerENS1_16block_id_wrapperIjLb1EEEEE10hipError_tT1_PNSt15iterator_traitsISK_E10value_typeET2_T3_PNSL_ISQ_E10value_typeET4_T5_PSV_SW_PNS1_23onesweep_lookback_stateEbbT6_jjT7_P12ihipStream_tbENKUlT_T0_SK_SP_E_clIPiSE_SF_SF_EEDaS13_S14_SK_SP_EUlS13_E_NS1_11comp_targetILNS1_3genE5ELNS1_11target_archE942ELNS1_3gpuE9ELNS1_3repE0EEENS1_47radix_sort_onesweep_sort_config_static_selectorELNS0_4arch9wavefront6targetE1EEEvSK_ ; -- Begin function _ZN7rocprim17ROCPRIM_400000_NS6detail17trampoline_kernelINS0_14default_configENS1_35radix_sort_onesweep_config_selectorIiNS0_10empty_typeEEEZZNS1_29radix_sort_onesweep_iterationIS3_Lb0EN6thrust23THRUST_200600_302600_NS6detail15normal_iteratorINS9_10device_ptrIiEEEESE_PS5_SF_jNS0_19identity_decomposerENS1_16block_id_wrapperIjLb1EEEEE10hipError_tT1_PNSt15iterator_traitsISK_E10value_typeET2_T3_PNSL_ISQ_E10value_typeET4_T5_PSV_SW_PNS1_23onesweep_lookback_stateEbbT6_jjT7_P12ihipStream_tbENKUlT_T0_SK_SP_E_clIPiSE_SF_SF_EEDaS13_S14_SK_SP_EUlS13_E_NS1_11comp_targetILNS1_3genE5ELNS1_11target_archE942ELNS1_3gpuE9ELNS1_3repE0EEENS1_47radix_sort_onesweep_sort_config_static_selectorELNS0_4arch9wavefront6targetE1EEEvSK_
	.globl	_ZN7rocprim17ROCPRIM_400000_NS6detail17trampoline_kernelINS0_14default_configENS1_35radix_sort_onesweep_config_selectorIiNS0_10empty_typeEEEZZNS1_29radix_sort_onesweep_iterationIS3_Lb0EN6thrust23THRUST_200600_302600_NS6detail15normal_iteratorINS9_10device_ptrIiEEEESE_PS5_SF_jNS0_19identity_decomposerENS1_16block_id_wrapperIjLb1EEEEE10hipError_tT1_PNSt15iterator_traitsISK_E10value_typeET2_T3_PNSL_ISQ_E10value_typeET4_T5_PSV_SW_PNS1_23onesweep_lookback_stateEbbT6_jjT7_P12ihipStream_tbENKUlT_T0_SK_SP_E_clIPiSE_SF_SF_EEDaS13_S14_SK_SP_EUlS13_E_NS1_11comp_targetILNS1_3genE5ELNS1_11target_archE942ELNS1_3gpuE9ELNS1_3repE0EEENS1_47radix_sort_onesweep_sort_config_static_selectorELNS0_4arch9wavefront6targetE1EEEvSK_
	.p2align	8
	.type	_ZN7rocprim17ROCPRIM_400000_NS6detail17trampoline_kernelINS0_14default_configENS1_35radix_sort_onesweep_config_selectorIiNS0_10empty_typeEEEZZNS1_29radix_sort_onesweep_iterationIS3_Lb0EN6thrust23THRUST_200600_302600_NS6detail15normal_iteratorINS9_10device_ptrIiEEEESE_PS5_SF_jNS0_19identity_decomposerENS1_16block_id_wrapperIjLb1EEEEE10hipError_tT1_PNSt15iterator_traitsISK_E10value_typeET2_T3_PNSL_ISQ_E10value_typeET4_T5_PSV_SW_PNS1_23onesweep_lookback_stateEbbT6_jjT7_P12ihipStream_tbENKUlT_T0_SK_SP_E_clIPiSE_SF_SF_EEDaS13_S14_SK_SP_EUlS13_E_NS1_11comp_targetILNS1_3genE5ELNS1_11target_archE942ELNS1_3gpuE9ELNS1_3repE0EEENS1_47radix_sort_onesweep_sort_config_static_selectorELNS0_4arch9wavefront6targetE1EEEvSK_,@function
_ZN7rocprim17ROCPRIM_400000_NS6detail17trampoline_kernelINS0_14default_configENS1_35radix_sort_onesweep_config_selectorIiNS0_10empty_typeEEEZZNS1_29radix_sort_onesweep_iterationIS3_Lb0EN6thrust23THRUST_200600_302600_NS6detail15normal_iteratorINS9_10device_ptrIiEEEESE_PS5_SF_jNS0_19identity_decomposerENS1_16block_id_wrapperIjLb1EEEEE10hipError_tT1_PNSt15iterator_traitsISK_E10value_typeET2_T3_PNSL_ISQ_E10value_typeET4_T5_PSV_SW_PNS1_23onesweep_lookback_stateEbbT6_jjT7_P12ihipStream_tbENKUlT_T0_SK_SP_E_clIPiSE_SF_SF_EEDaS13_S14_SK_SP_EUlS13_E_NS1_11comp_targetILNS1_3genE5ELNS1_11target_archE942ELNS1_3gpuE9ELNS1_3repE0EEENS1_47radix_sort_onesweep_sort_config_static_selectorELNS0_4arch9wavefront6targetE1EEEvSK_: ; @_ZN7rocprim17ROCPRIM_400000_NS6detail17trampoline_kernelINS0_14default_configENS1_35radix_sort_onesweep_config_selectorIiNS0_10empty_typeEEEZZNS1_29radix_sort_onesweep_iterationIS3_Lb0EN6thrust23THRUST_200600_302600_NS6detail15normal_iteratorINS9_10device_ptrIiEEEESE_PS5_SF_jNS0_19identity_decomposerENS1_16block_id_wrapperIjLb1EEEEE10hipError_tT1_PNSt15iterator_traitsISK_E10value_typeET2_T3_PNSL_ISQ_E10value_typeET4_T5_PSV_SW_PNS1_23onesweep_lookback_stateEbbT6_jjT7_P12ihipStream_tbENKUlT_T0_SK_SP_E_clIPiSE_SF_SF_EEDaS13_S14_SK_SP_EUlS13_E_NS1_11comp_targetILNS1_3genE5ELNS1_11target_archE942ELNS1_3gpuE9ELNS1_3repE0EEENS1_47radix_sort_onesweep_sort_config_static_selectorELNS0_4arch9wavefront6targetE1EEEvSK_
; %bb.0:
	.section	.rodata,"a",@progbits
	.p2align	6, 0x0
	.amdhsa_kernel _ZN7rocprim17ROCPRIM_400000_NS6detail17trampoline_kernelINS0_14default_configENS1_35radix_sort_onesweep_config_selectorIiNS0_10empty_typeEEEZZNS1_29radix_sort_onesweep_iterationIS3_Lb0EN6thrust23THRUST_200600_302600_NS6detail15normal_iteratorINS9_10device_ptrIiEEEESE_PS5_SF_jNS0_19identity_decomposerENS1_16block_id_wrapperIjLb1EEEEE10hipError_tT1_PNSt15iterator_traitsISK_E10value_typeET2_T3_PNSL_ISQ_E10value_typeET4_T5_PSV_SW_PNS1_23onesweep_lookback_stateEbbT6_jjT7_P12ihipStream_tbENKUlT_T0_SK_SP_E_clIPiSE_SF_SF_EEDaS13_S14_SK_SP_EUlS13_E_NS1_11comp_targetILNS1_3genE5ELNS1_11target_archE942ELNS1_3gpuE9ELNS1_3repE0EEENS1_47radix_sort_onesweep_sort_config_static_selectorELNS0_4arch9wavefront6targetE1EEEvSK_
		.amdhsa_group_segment_fixed_size 0
		.amdhsa_private_segment_fixed_size 0
		.amdhsa_kernarg_size 88
		.amdhsa_user_sgpr_count 6
		.amdhsa_user_sgpr_private_segment_buffer 1
		.amdhsa_user_sgpr_dispatch_ptr 0
		.amdhsa_user_sgpr_queue_ptr 0
		.amdhsa_user_sgpr_kernarg_segment_ptr 1
		.amdhsa_user_sgpr_dispatch_id 0
		.amdhsa_user_sgpr_flat_scratch_init 0
		.amdhsa_user_sgpr_kernarg_preload_length 0
		.amdhsa_user_sgpr_kernarg_preload_offset 0
		.amdhsa_user_sgpr_private_segment_size 0
		.amdhsa_uses_dynamic_stack 0
		.amdhsa_system_sgpr_private_segment_wavefront_offset 0
		.amdhsa_system_sgpr_workgroup_id_x 1
		.amdhsa_system_sgpr_workgroup_id_y 0
		.amdhsa_system_sgpr_workgroup_id_z 0
		.amdhsa_system_sgpr_workgroup_info 0
		.amdhsa_system_vgpr_workitem_id 0
		.amdhsa_next_free_vgpr 1
		.amdhsa_next_free_sgpr 0
		.amdhsa_accum_offset 4
		.amdhsa_reserve_vcc 0
		.amdhsa_reserve_flat_scratch 0
		.amdhsa_float_round_mode_32 0
		.amdhsa_float_round_mode_16_64 0
		.amdhsa_float_denorm_mode_32 3
		.amdhsa_float_denorm_mode_16_64 3
		.amdhsa_dx10_clamp 1
		.amdhsa_ieee_mode 1
		.amdhsa_fp16_overflow 0
		.amdhsa_tg_split 0
		.amdhsa_exception_fp_ieee_invalid_op 0
		.amdhsa_exception_fp_denorm_src 0
		.amdhsa_exception_fp_ieee_div_zero 0
		.amdhsa_exception_fp_ieee_overflow 0
		.amdhsa_exception_fp_ieee_underflow 0
		.amdhsa_exception_fp_ieee_inexact 0
		.amdhsa_exception_int_div_zero 0
	.end_amdhsa_kernel
	.section	.text._ZN7rocprim17ROCPRIM_400000_NS6detail17trampoline_kernelINS0_14default_configENS1_35radix_sort_onesweep_config_selectorIiNS0_10empty_typeEEEZZNS1_29radix_sort_onesweep_iterationIS3_Lb0EN6thrust23THRUST_200600_302600_NS6detail15normal_iteratorINS9_10device_ptrIiEEEESE_PS5_SF_jNS0_19identity_decomposerENS1_16block_id_wrapperIjLb1EEEEE10hipError_tT1_PNSt15iterator_traitsISK_E10value_typeET2_T3_PNSL_ISQ_E10value_typeET4_T5_PSV_SW_PNS1_23onesweep_lookback_stateEbbT6_jjT7_P12ihipStream_tbENKUlT_T0_SK_SP_E_clIPiSE_SF_SF_EEDaS13_S14_SK_SP_EUlS13_E_NS1_11comp_targetILNS1_3genE5ELNS1_11target_archE942ELNS1_3gpuE9ELNS1_3repE0EEENS1_47radix_sort_onesweep_sort_config_static_selectorELNS0_4arch9wavefront6targetE1EEEvSK_,"axG",@progbits,_ZN7rocprim17ROCPRIM_400000_NS6detail17trampoline_kernelINS0_14default_configENS1_35radix_sort_onesweep_config_selectorIiNS0_10empty_typeEEEZZNS1_29radix_sort_onesweep_iterationIS3_Lb0EN6thrust23THRUST_200600_302600_NS6detail15normal_iteratorINS9_10device_ptrIiEEEESE_PS5_SF_jNS0_19identity_decomposerENS1_16block_id_wrapperIjLb1EEEEE10hipError_tT1_PNSt15iterator_traitsISK_E10value_typeET2_T3_PNSL_ISQ_E10value_typeET4_T5_PSV_SW_PNS1_23onesweep_lookback_stateEbbT6_jjT7_P12ihipStream_tbENKUlT_T0_SK_SP_E_clIPiSE_SF_SF_EEDaS13_S14_SK_SP_EUlS13_E_NS1_11comp_targetILNS1_3genE5ELNS1_11target_archE942ELNS1_3gpuE9ELNS1_3repE0EEENS1_47radix_sort_onesweep_sort_config_static_selectorELNS0_4arch9wavefront6targetE1EEEvSK_,comdat
.Lfunc_end1766:
	.size	_ZN7rocprim17ROCPRIM_400000_NS6detail17trampoline_kernelINS0_14default_configENS1_35radix_sort_onesweep_config_selectorIiNS0_10empty_typeEEEZZNS1_29radix_sort_onesweep_iterationIS3_Lb0EN6thrust23THRUST_200600_302600_NS6detail15normal_iteratorINS9_10device_ptrIiEEEESE_PS5_SF_jNS0_19identity_decomposerENS1_16block_id_wrapperIjLb1EEEEE10hipError_tT1_PNSt15iterator_traitsISK_E10value_typeET2_T3_PNSL_ISQ_E10value_typeET4_T5_PSV_SW_PNS1_23onesweep_lookback_stateEbbT6_jjT7_P12ihipStream_tbENKUlT_T0_SK_SP_E_clIPiSE_SF_SF_EEDaS13_S14_SK_SP_EUlS13_E_NS1_11comp_targetILNS1_3genE5ELNS1_11target_archE942ELNS1_3gpuE9ELNS1_3repE0EEENS1_47radix_sort_onesweep_sort_config_static_selectorELNS0_4arch9wavefront6targetE1EEEvSK_, .Lfunc_end1766-_ZN7rocprim17ROCPRIM_400000_NS6detail17trampoline_kernelINS0_14default_configENS1_35radix_sort_onesweep_config_selectorIiNS0_10empty_typeEEEZZNS1_29radix_sort_onesweep_iterationIS3_Lb0EN6thrust23THRUST_200600_302600_NS6detail15normal_iteratorINS9_10device_ptrIiEEEESE_PS5_SF_jNS0_19identity_decomposerENS1_16block_id_wrapperIjLb1EEEEE10hipError_tT1_PNSt15iterator_traitsISK_E10value_typeET2_T3_PNSL_ISQ_E10value_typeET4_T5_PSV_SW_PNS1_23onesweep_lookback_stateEbbT6_jjT7_P12ihipStream_tbENKUlT_T0_SK_SP_E_clIPiSE_SF_SF_EEDaS13_S14_SK_SP_EUlS13_E_NS1_11comp_targetILNS1_3genE5ELNS1_11target_archE942ELNS1_3gpuE9ELNS1_3repE0EEENS1_47radix_sort_onesweep_sort_config_static_selectorELNS0_4arch9wavefront6targetE1EEEvSK_
                                        ; -- End function
	.section	.AMDGPU.csdata,"",@progbits
; Kernel info:
; codeLenInByte = 0
; NumSgprs: 4
; NumVgprs: 0
; NumAgprs: 0
; TotalNumVgprs: 0
; ScratchSize: 0
; MemoryBound: 0
; FloatMode: 240
; IeeeMode: 1
; LDSByteSize: 0 bytes/workgroup (compile time only)
; SGPRBlocks: 0
; VGPRBlocks: 0
; NumSGPRsForWavesPerEU: 4
; NumVGPRsForWavesPerEU: 1
; AccumOffset: 4
; Occupancy: 8
; WaveLimiterHint : 0
; COMPUTE_PGM_RSRC2:SCRATCH_EN: 0
; COMPUTE_PGM_RSRC2:USER_SGPR: 6
; COMPUTE_PGM_RSRC2:TRAP_HANDLER: 0
; COMPUTE_PGM_RSRC2:TGID_X_EN: 1
; COMPUTE_PGM_RSRC2:TGID_Y_EN: 0
; COMPUTE_PGM_RSRC2:TGID_Z_EN: 0
; COMPUTE_PGM_RSRC2:TIDIG_COMP_CNT: 0
; COMPUTE_PGM_RSRC3_GFX90A:ACCUM_OFFSET: 0
; COMPUTE_PGM_RSRC3_GFX90A:TG_SPLIT: 0
	.section	.text._ZN7rocprim17ROCPRIM_400000_NS6detail17trampoline_kernelINS0_14default_configENS1_35radix_sort_onesweep_config_selectorIiNS0_10empty_typeEEEZZNS1_29radix_sort_onesweep_iterationIS3_Lb0EN6thrust23THRUST_200600_302600_NS6detail15normal_iteratorINS9_10device_ptrIiEEEESE_PS5_SF_jNS0_19identity_decomposerENS1_16block_id_wrapperIjLb1EEEEE10hipError_tT1_PNSt15iterator_traitsISK_E10value_typeET2_T3_PNSL_ISQ_E10value_typeET4_T5_PSV_SW_PNS1_23onesweep_lookback_stateEbbT6_jjT7_P12ihipStream_tbENKUlT_T0_SK_SP_E_clIPiSE_SF_SF_EEDaS13_S14_SK_SP_EUlS13_E_NS1_11comp_targetILNS1_3genE2ELNS1_11target_archE906ELNS1_3gpuE6ELNS1_3repE0EEENS1_47radix_sort_onesweep_sort_config_static_selectorELNS0_4arch9wavefront6targetE1EEEvSK_,"axG",@progbits,_ZN7rocprim17ROCPRIM_400000_NS6detail17trampoline_kernelINS0_14default_configENS1_35radix_sort_onesweep_config_selectorIiNS0_10empty_typeEEEZZNS1_29radix_sort_onesweep_iterationIS3_Lb0EN6thrust23THRUST_200600_302600_NS6detail15normal_iteratorINS9_10device_ptrIiEEEESE_PS5_SF_jNS0_19identity_decomposerENS1_16block_id_wrapperIjLb1EEEEE10hipError_tT1_PNSt15iterator_traitsISK_E10value_typeET2_T3_PNSL_ISQ_E10value_typeET4_T5_PSV_SW_PNS1_23onesweep_lookback_stateEbbT6_jjT7_P12ihipStream_tbENKUlT_T0_SK_SP_E_clIPiSE_SF_SF_EEDaS13_S14_SK_SP_EUlS13_E_NS1_11comp_targetILNS1_3genE2ELNS1_11target_archE906ELNS1_3gpuE6ELNS1_3repE0EEENS1_47radix_sort_onesweep_sort_config_static_selectorELNS0_4arch9wavefront6targetE1EEEvSK_,comdat
	.protected	_ZN7rocprim17ROCPRIM_400000_NS6detail17trampoline_kernelINS0_14default_configENS1_35radix_sort_onesweep_config_selectorIiNS0_10empty_typeEEEZZNS1_29radix_sort_onesweep_iterationIS3_Lb0EN6thrust23THRUST_200600_302600_NS6detail15normal_iteratorINS9_10device_ptrIiEEEESE_PS5_SF_jNS0_19identity_decomposerENS1_16block_id_wrapperIjLb1EEEEE10hipError_tT1_PNSt15iterator_traitsISK_E10value_typeET2_T3_PNSL_ISQ_E10value_typeET4_T5_PSV_SW_PNS1_23onesweep_lookback_stateEbbT6_jjT7_P12ihipStream_tbENKUlT_T0_SK_SP_E_clIPiSE_SF_SF_EEDaS13_S14_SK_SP_EUlS13_E_NS1_11comp_targetILNS1_3genE2ELNS1_11target_archE906ELNS1_3gpuE6ELNS1_3repE0EEENS1_47radix_sort_onesweep_sort_config_static_selectorELNS0_4arch9wavefront6targetE1EEEvSK_ ; -- Begin function _ZN7rocprim17ROCPRIM_400000_NS6detail17trampoline_kernelINS0_14default_configENS1_35radix_sort_onesweep_config_selectorIiNS0_10empty_typeEEEZZNS1_29radix_sort_onesweep_iterationIS3_Lb0EN6thrust23THRUST_200600_302600_NS6detail15normal_iteratorINS9_10device_ptrIiEEEESE_PS5_SF_jNS0_19identity_decomposerENS1_16block_id_wrapperIjLb1EEEEE10hipError_tT1_PNSt15iterator_traitsISK_E10value_typeET2_T3_PNSL_ISQ_E10value_typeET4_T5_PSV_SW_PNS1_23onesweep_lookback_stateEbbT6_jjT7_P12ihipStream_tbENKUlT_T0_SK_SP_E_clIPiSE_SF_SF_EEDaS13_S14_SK_SP_EUlS13_E_NS1_11comp_targetILNS1_3genE2ELNS1_11target_archE906ELNS1_3gpuE6ELNS1_3repE0EEENS1_47radix_sort_onesweep_sort_config_static_selectorELNS0_4arch9wavefront6targetE1EEEvSK_
	.globl	_ZN7rocprim17ROCPRIM_400000_NS6detail17trampoline_kernelINS0_14default_configENS1_35radix_sort_onesweep_config_selectorIiNS0_10empty_typeEEEZZNS1_29radix_sort_onesweep_iterationIS3_Lb0EN6thrust23THRUST_200600_302600_NS6detail15normal_iteratorINS9_10device_ptrIiEEEESE_PS5_SF_jNS0_19identity_decomposerENS1_16block_id_wrapperIjLb1EEEEE10hipError_tT1_PNSt15iterator_traitsISK_E10value_typeET2_T3_PNSL_ISQ_E10value_typeET4_T5_PSV_SW_PNS1_23onesweep_lookback_stateEbbT6_jjT7_P12ihipStream_tbENKUlT_T0_SK_SP_E_clIPiSE_SF_SF_EEDaS13_S14_SK_SP_EUlS13_E_NS1_11comp_targetILNS1_3genE2ELNS1_11target_archE906ELNS1_3gpuE6ELNS1_3repE0EEENS1_47radix_sort_onesweep_sort_config_static_selectorELNS0_4arch9wavefront6targetE1EEEvSK_
	.p2align	8
	.type	_ZN7rocprim17ROCPRIM_400000_NS6detail17trampoline_kernelINS0_14default_configENS1_35radix_sort_onesweep_config_selectorIiNS0_10empty_typeEEEZZNS1_29radix_sort_onesweep_iterationIS3_Lb0EN6thrust23THRUST_200600_302600_NS6detail15normal_iteratorINS9_10device_ptrIiEEEESE_PS5_SF_jNS0_19identity_decomposerENS1_16block_id_wrapperIjLb1EEEEE10hipError_tT1_PNSt15iterator_traitsISK_E10value_typeET2_T3_PNSL_ISQ_E10value_typeET4_T5_PSV_SW_PNS1_23onesweep_lookback_stateEbbT6_jjT7_P12ihipStream_tbENKUlT_T0_SK_SP_E_clIPiSE_SF_SF_EEDaS13_S14_SK_SP_EUlS13_E_NS1_11comp_targetILNS1_3genE2ELNS1_11target_archE906ELNS1_3gpuE6ELNS1_3repE0EEENS1_47radix_sort_onesweep_sort_config_static_selectorELNS0_4arch9wavefront6targetE1EEEvSK_,@function
_ZN7rocprim17ROCPRIM_400000_NS6detail17trampoline_kernelINS0_14default_configENS1_35radix_sort_onesweep_config_selectorIiNS0_10empty_typeEEEZZNS1_29radix_sort_onesweep_iterationIS3_Lb0EN6thrust23THRUST_200600_302600_NS6detail15normal_iteratorINS9_10device_ptrIiEEEESE_PS5_SF_jNS0_19identity_decomposerENS1_16block_id_wrapperIjLb1EEEEE10hipError_tT1_PNSt15iterator_traitsISK_E10value_typeET2_T3_PNSL_ISQ_E10value_typeET4_T5_PSV_SW_PNS1_23onesweep_lookback_stateEbbT6_jjT7_P12ihipStream_tbENKUlT_T0_SK_SP_E_clIPiSE_SF_SF_EEDaS13_S14_SK_SP_EUlS13_E_NS1_11comp_targetILNS1_3genE2ELNS1_11target_archE906ELNS1_3gpuE6ELNS1_3repE0EEENS1_47radix_sort_onesweep_sort_config_static_selectorELNS0_4arch9wavefront6targetE1EEEvSK_: ; @_ZN7rocprim17ROCPRIM_400000_NS6detail17trampoline_kernelINS0_14default_configENS1_35radix_sort_onesweep_config_selectorIiNS0_10empty_typeEEEZZNS1_29radix_sort_onesweep_iterationIS3_Lb0EN6thrust23THRUST_200600_302600_NS6detail15normal_iteratorINS9_10device_ptrIiEEEESE_PS5_SF_jNS0_19identity_decomposerENS1_16block_id_wrapperIjLb1EEEEE10hipError_tT1_PNSt15iterator_traitsISK_E10value_typeET2_T3_PNSL_ISQ_E10value_typeET4_T5_PSV_SW_PNS1_23onesweep_lookback_stateEbbT6_jjT7_P12ihipStream_tbENKUlT_T0_SK_SP_E_clIPiSE_SF_SF_EEDaS13_S14_SK_SP_EUlS13_E_NS1_11comp_targetILNS1_3genE2ELNS1_11target_archE906ELNS1_3gpuE6ELNS1_3repE0EEENS1_47radix_sort_onesweep_sort_config_static_selectorELNS0_4arch9wavefront6targetE1EEEvSK_
; %bb.0:
	.section	.rodata,"a",@progbits
	.p2align	6, 0x0
	.amdhsa_kernel _ZN7rocprim17ROCPRIM_400000_NS6detail17trampoline_kernelINS0_14default_configENS1_35radix_sort_onesweep_config_selectorIiNS0_10empty_typeEEEZZNS1_29radix_sort_onesweep_iterationIS3_Lb0EN6thrust23THRUST_200600_302600_NS6detail15normal_iteratorINS9_10device_ptrIiEEEESE_PS5_SF_jNS0_19identity_decomposerENS1_16block_id_wrapperIjLb1EEEEE10hipError_tT1_PNSt15iterator_traitsISK_E10value_typeET2_T3_PNSL_ISQ_E10value_typeET4_T5_PSV_SW_PNS1_23onesweep_lookback_stateEbbT6_jjT7_P12ihipStream_tbENKUlT_T0_SK_SP_E_clIPiSE_SF_SF_EEDaS13_S14_SK_SP_EUlS13_E_NS1_11comp_targetILNS1_3genE2ELNS1_11target_archE906ELNS1_3gpuE6ELNS1_3repE0EEENS1_47radix_sort_onesweep_sort_config_static_selectorELNS0_4arch9wavefront6targetE1EEEvSK_
		.amdhsa_group_segment_fixed_size 0
		.amdhsa_private_segment_fixed_size 0
		.amdhsa_kernarg_size 88
		.amdhsa_user_sgpr_count 6
		.amdhsa_user_sgpr_private_segment_buffer 1
		.amdhsa_user_sgpr_dispatch_ptr 0
		.amdhsa_user_sgpr_queue_ptr 0
		.amdhsa_user_sgpr_kernarg_segment_ptr 1
		.amdhsa_user_sgpr_dispatch_id 0
		.amdhsa_user_sgpr_flat_scratch_init 0
		.amdhsa_user_sgpr_kernarg_preload_length 0
		.amdhsa_user_sgpr_kernarg_preload_offset 0
		.amdhsa_user_sgpr_private_segment_size 0
		.amdhsa_uses_dynamic_stack 0
		.amdhsa_system_sgpr_private_segment_wavefront_offset 0
		.amdhsa_system_sgpr_workgroup_id_x 1
		.amdhsa_system_sgpr_workgroup_id_y 0
		.amdhsa_system_sgpr_workgroup_id_z 0
		.amdhsa_system_sgpr_workgroup_info 0
		.amdhsa_system_vgpr_workitem_id 0
		.amdhsa_next_free_vgpr 1
		.amdhsa_next_free_sgpr 0
		.amdhsa_accum_offset 4
		.amdhsa_reserve_vcc 0
		.amdhsa_reserve_flat_scratch 0
		.amdhsa_float_round_mode_32 0
		.amdhsa_float_round_mode_16_64 0
		.amdhsa_float_denorm_mode_32 3
		.amdhsa_float_denorm_mode_16_64 3
		.amdhsa_dx10_clamp 1
		.amdhsa_ieee_mode 1
		.amdhsa_fp16_overflow 0
		.amdhsa_tg_split 0
		.amdhsa_exception_fp_ieee_invalid_op 0
		.amdhsa_exception_fp_denorm_src 0
		.amdhsa_exception_fp_ieee_div_zero 0
		.amdhsa_exception_fp_ieee_overflow 0
		.amdhsa_exception_fp_ieee_underflow 0
		.amdhsa_exception_fp_ieee_inexact 0
		.amdhsa_exception_int_div_zero 0
	.end_amdhsa_kernel
	.section	.text._ZN7rocprim17ROCPRIM_400000_NS6detail17trampoline_kernelINS0_14default_configENS1_35radix_sort_onesweep_config_selectorIiNS0_10empty_typeEEEZZNS1_29radix_sort_onesweep_iterationIS3_Lb0EN6thrust23THRUST_200600_302600_NS6detail15normal_iteratorINS9_10device_ptrIiEEEESE_PS5_SF_jNS0_19identity_decomposerENS1_16block_id_wrapperIjLb1EEEEE10hipError_tT1_PNSt15iterator_traitsISK_E10value_typeET2_T3_PNSL_ISQ_E10value_typeET4_T5_PSV_SW_PNS1_23onesweep_lookback_stateEbbT6_jjT7_P12ihipStream_tbENKUlT_T0_SK_SP_E_clIPiSE_SF_SF_EEDaS13_S14_SK_SP_EUlS13_E_NS1_11comp_targetILNS1_3genE2ELNS1_11target_archE906ELNS1_3gpuE6ELNS1_3repE0EEENS1_47radix_sort_onesweep_sort_config_static_selectorELNS0_4arch9wavefront6targetE1EEEvSK_,"axG",@progbits,_ZN7rocprim17ROCPRIM_400000_NS6detail17trampoline_kernelINS0_14default_configENS1_35radix_sort_onesweep_config_selectorIiNS0_10empty_typeEEEZZNS1_29radix_sort_onesweep_iterationIS3_Lb0EN6thrust23THRUST_200600_302600_NS6detail15normal_iteratorINS9_10device_ptrIiEEEESE_PS5_SF_jNS0_19identity_decomposerENS1_16block_id_wrapperIjLb1EEEEE10hipError_tT1_PNSt15iterator_traitsISK_E10value_typeET2_T3_PNSL_ISQ_E10value_typeET4_T5_PSV_SW_PNS1_23onesweep_lookback_stateEbbT6_jjT7_P12ihipStream_tbENKUlT_T0_SK_SP_E_clIPiSE_SF_SF_EEDaS13_S14_SK_SP_EUlS13_E_NS1_11comp_targetILNS1_3genE2ELNS1_11target_archE906ELNS1_3gpuE6ELNS1_3repE0EEENS1_47radix_sort_onesweep_sort_config_static_selectorELNS0_4arch9wavefront6targetE1EEEvSK_,comdat
.Lfunc_end1767:
	.size	_ZN7rocprim17ROCPRIM_400000_NS6detail17trampoline_kernelINS0_14default_configENS1_35radix_sort_onesweep_config_selectorIiNS0_10empty_typeEEEZZNS1_29radix_sort_onesweep_iterationIS3_Lb0EN6thrust23THRUST_200600_302600_NS6detail15normal_iteratorINS9_10device_ptrIiEEEESE_PS5_SF_jNS0_19identity_decomposerENS1_16block_id_wrapperIjLb1EEEEE10hipError_tT1_PNSt15iterator_traitsISK_E10value_typeET2_T3_PNSL_ISQ_E10value_typeET4_T5_PSV_SW_PNS1_23onesweep_lookback_stateEbbT6_jjT7_P12ihipStream_tbENKUlT_T0_SK_SP_E_clIPiSE_SF_SF_EEDaS13_S14_SK_SP_EUlS13_E_NS1_11comp_targetILNS1_3genE2ELNS1_11target_archE906ELNS1_3gpuE6ELNS1_3repE0EEENS1_47radix_sort_onesweep_sort_config_static_selectorELNS0_4arch9wavefront6targetE1EEEvSK_, .Lfunc_end1767-_ZN7rocprim17ROCPRIM_400000_NS6detail17trampoline_kernelINS0_14default_configENS1_35radix_sort_onesweep_config_selectorIiNS0_10empty_typeEEEZZNS1_29radix_sort_onesweep_iterationIS3_Lb0EN6thrust23THRUST_200600_302600_NS6detail15normal_iteratorINS9_10device_ptrIiEEEESE_PS5_SF_jNS0_19identity_decomposerENS1_16block_id_wrapperIjLb1EEEEE10hipError_tT1_PNSt15iterator_traitsISK_E10value_typeET2_T3_PNSL_ISQ_E10value_typeET4_T5_PSV_SW_PNS1_23onesweep_lookback_stateEbbT6_jjT7_P12ihipStream_tbENKUlT_T0_SK_SP_E_clIPiSE_SF_SF_EEDaS13_S14_SK_SP_EUlS13_E_NS1_11comp_targetILNS1_3genE2ELNS1_11target_archE906ELNS1_3gpuE6ELNS1_3repE0EEENS1_47radix_sort_onesweep_sort_config_static_selectorELNS0_4arch9wavefront6targetE1EEEvSK_
                                        ; -- End function
	.section	.AMDGPU.csdata,"",@progbits
; Kernel info:
; codeLenInByte = 0
; NumSgprs: 4
; NumVgprs: 0
; NumAgprs: 0
; TotalNumVgprs: 0
; ScratchSize: 0
; MemoryBound: 0
; FloatMode: 240
; IeeeMode: 1
; LDSByteSize: 0 bytes/workgroup (compile time only)
; SGPRBlocks: 0
; VGPRBlocks: 0
; NumSGPRsForWavesPerEU: 4
; NumVGPRsForWavesPerEU: 1
; AccumOffset: 4
; Occupancy: 8
; WaveLimiterHint : 0
; COMPUTE_PGM_RSRC2:SCRATCH_EN: 0
; COMPUTE_PGM_RSRC2:USER_SGPR: 6
; COMPUTE_PGM_RSRC2:TRAP_HANDLER: 0
; COMPUTE_PGM_RSRC2:TGID_X_EN: 1
; COMPUTE_PGM_RSRC2:TGID_Y_EN: 0
; COMPUTE_PGM_RSRC2:TGID_Z_EN: 0
; COMPUTE_PGM_RSRC2:TIDIG_COMP_CNT: 0
; COMPUTE_PGM_RSRC3_GFX90A:ACCUM_OFFSET: 0
; COMPUTE_PGM_RSRC3_GFX90A:TG_SPLIT: 0
	.section	.text._ZN7rocprim17ROCPRIM_400000_NS6detail17trampoline_kernelINS0_14default_configENS1_35radix_sort_onesweep_config_selectorIiNS0_10empty_typeEEEZZNS1_29radix_sort_onesweep_iterationIS3_Lb0EN6thrust23THRUST_200600_302600_NS6detail15normal_iteratorINS9_10device_ptrIiEEEESE_PS5_SF_jNS0_19identity_decomposerENS1_16block_id_wrapperIjLb1EEEEE10hipError_tT1_PNSt15iterator_traitsISK_E10value_typeET2_T3_PNSL_ISQ_E10value_typeET4_T5_PSV_SW_PNS1_23onesweep_lookback_stateEbbT6_jjT7_P12ihipStream_tbENKUlT_T0_SK_SP_E_clIPiSE_SF_SF_EEDaS13_S14_SK_SP_EUlS13_E_NS1_11comp_targetILNS1_3genE4ELNS1_11target_archE910ELNS1_3gpuE8ELNS1_3repE0EEENS1_47radix_sort_onesweep_sort_config_static_selectorELNS0_4arch9wavefront6targetE1EEEvSK_,"axG",@progbits,_ZN7rocprim17ROCPRIM_400000_NS6detail17trampoline_kernelINS0_14default_configENS1_35radix_sort_onesweep_config_selectorIiNS0_10empty_typeEEEZZNS1_29radix_sort_onesweep_iterationIS3_Lb0EN6thrust23THRUST_200600_302600_NS6detail15normal_iteratorINS9_10device_ptrIiEEEESE_PS5_SF_jNS0_19identity_decomposerENS1_16block_id_wrapperIjLb1EEEEE10hipError_tT1_PNSt15iterator_traitsISK_E10value_typeET2_T3_PNSL_ISQ_E10value_typeET4_T5_PSV_SW_PNS1_23onesweep_lookback_stateEbbT6_jjT7_P12ihipStream_tbENKUlT_T0_SK_SP_E_clIPiSE_SF_SF_EEDaS13_S14_SK_SP_EUlS13_E_NS1_11comp_targetILNS1_3genE4ELNS1_11target_archE910ELNS1_3gpuE8ELNS1_3repE0EEENS1_47radix_sort_onesweep_sort_config_static_selectorELNS0_4arch9wavefront6targetE1EEEvSK_,comdat
	.protected	_ZN7rocprim17ROCPRIM_400000_NS6detail17trampoline_kernelINS0_14default_configENS1_35radix_sort_onesweep_config_selectorIiNS0_10empty_typeEEEZZNS1_29radix_sort_onesweep_iterationIS3_Lb0EN6thrust23THRUST_200600_302600_NS6detail15normal_iteratorINS9_10device_ptrIiEEEESE_PS5_SF_jNS0_19identity_decomposerENS1_16block_id_wrapperIjLb1EEEEE10hipError_tT1_PNSt15iterator_traitsISK_E10value_typeET2_T3_PNSL_ISQ_E10value_typeET4_T5_PSV_SW_PNS1_23onesweep_lookback_stateEbbT6_jjT7_P12ihipStream_tbENKUlT_T0_SK_SP_E_clIPiSE_SF_SF_EEDaS13_S14_SK_SP_EUlS13_E_NS1_11comp_targetILNS1_3genE4ELNS1_11target_archE910ELNS1_3gpuE8ELNS1_3repE0EEENS1_47radix_sort_onesweep_sort_config_static_selectorELNS0_4arch9wavefront6targetE1EEEvSK_ ; -- Begin function _ZN7rocprim17ROCPRIM_400000_NS6detail17trampoline_kernelINS0_14default_configENS1_35radix_sort_onesweep_config_selectorIiNS0_10empty_typeEEEZZNS1_29radix_sort_onesweep_iterationIS3_Lb0EN6thrust23THRUST_200600_302600_NS6detail15normal_iteratorINS9_10device_ptrIiEEEESE_PS5_SF_jNS0_19identity_decomposerENS1_16block_id_wrapperIjLb1EEEEE10hipError_tT1_PNSt15iterator_traitsISK_E10value_typeET2_T3_PNSL_ISQ_E10value_typeET4_T5_PSV_SW_PNS1_23onesweep_lookback_stateEbbT6_jjT7_P12ihipStream_tbENKUlT_T0_SK_SP_E_clIPiSE_SF_SF_EEDaS13_S14_SK_SP_EUlS13_E_NS1_11comp_targetILNS1_3genE4ELNS1_11target_archE910ELNS1_3gpuE8ELNS1_3repE0EEENS1_47radix_sort_onesweep_sort_config_static_selectorELNS0_4arch9wavefront6targetE1EEEvSK_
	.globl	_ZN7rocprim17ROCPRIM_400000_NS6detail17trampoline_kernelINS0_14default_configENS1_35radix_sort_onesweep_config_selectorIiNS0_10empty_typeEEEZZNS1_29radix_sort_onesweep_iterationIS3_Lb0EN6thrust23THRUST_200600_302600_NS6detail15normal_iteratorINS9_10device_ptrIiEEEESE_PS5_SF_jNS0_19identity_decomposerENS1_16block_id_wrapperIjLb1EEEEE10hipError_tT1_PNSt15iterator_traitsISK_E10value_typeET2_T3_PNSL_ISQ_E10value_typeET4_T5_PSV_SW_PNS1_23onesweep_lookback_stateEbbT6_jjT7_P12ihipStream_tbENKUlT_T0_SK_SP_E_clIPiSE_SF_SF_EEDaS13_S14_SK_SP_EUlS13_E_NS1_11comp_targetILNS1_3genE4ELNS1_11target_archE910ELNS1_3gpuE8ELNS1_3repE0EEENS1_47radix_sort_onesweep_sort_config_static_selectorELNS0_4arch9wavefront6targetE1EEEvSK_
	.p2align	8
	.type	_ZN7rocprim17ROCPRIM_400000_NS6detail17trampoline_kernelINS0_14default_configENS1_35radix_sort_onesweep_config_selectorIiNS0_10empty_typeEEEZZNS1_29radix_sort_onesweep_iterationIS3_Lb0EN6thrust23THRUST_200600_302600_NS6detail15normal_iteratorINS9_10device_ptrIiEEEESE_PS5_SF_jNS0_19identity_decomposerENS1_16block_id_wrapperIjLb1EEEEE10hipError_tT1_PNSt15iterator_traitsISK_E10value_typeET2_T3_PNSL_ISQ_E10value_typeET4_T5_PSV_SW_PNS1_23onesweep_lookback_stateEbbT6_jjT7_P12ihipStream_tbENKUlT_T0_SK_SP_E_clIPiSE_SF_SF_EEDaS13_S14_SK_SP_EUlS13_E_NS1_11comp_targetILNS1_3genE4ELNS1_11target_archE910ELNS1_3gpuE8ELNS1_3repE0EEENS1_47radix_sort_onesweep_sort_config_static_selectorELNS0_4arch9wavefront6targetE1EEEvSK_,@function
_ZN7rocprim17ROCPRIM_400000_NS6detail17trampoline_kernelINS0_14default_configENS1_35radix_sort_onesweep_config_selectorIiNS0_10empty_typeEEEZZNS1_29radix_sort_onesweep_iterationIS3_Lb0EN6thrust23THRUST_200600_302600_NS6detail15normal_iteratorINS9_10device_ptrIiEEEESE_PS5_SF_jNS0_19identity_decomposerENS1_16block_id_wrapperIjLb1EEEEE10hipError_tT1_PNSt15iterator_traitsISK_E10value_typeET2_T3_PNSL_ISQ_E10value_typeET4_T5_PSV_SW_PNS1_23onesweep_lookback_stateEbbT6_jjT7_P12ihipStream_tbENKUlT_T0_SK_SP_E_clIPiSE_SF_SF_EEDaS13_S14_SK_SP_EUlS13_E_NS1_11comp_targetILNS1_3genE4ELNS1_11target_archE910ELNS1_3gpuE8ELNS1_3repE0EEENS1_47radix_sort_onesweep_sort_config_static_selectorELNS0_4arch9wavefront6targetE1EEEvSK_: ; @_ZN7rocprim17ROCPRIM_400000_NS6detail17trampoline_kernelINS0_14default_configENS1_35radix_sort_onesweep_config_selectorIiNS0_10empty_typeEEEZZNS1_29radix_sort_onesweep_iterationIS3_Lb0EN6thrust23THRUST_200600_302600_NS6detail15normal_iteratorINS9_10device_ptrIiEEEESE_PS5_SF_jNS0_19identity_decomposerENS1_16block_id_wrapperIjLb1EEEEE10hipError_tT1_PNSt15iterator_traitsISK_E10value_typeET2_T3_PNSL_ISQ_E10value_typeET4_T5_PSV_SW_PNS1_23onesweep_lookback_stateEbbT6_jjT7_P12ihipStream_tbENKUlT_T0_SK_SP_E_clIPiSE_SF_SF_EEDaS13_S14_SK_SP_EUlS13_E_NS1_11comp_targetILNS1_3genE4ELNS1_11target_archE910ELNS1_3gpuE8ELNS1_3repE0EEENS1_47radix_sort_onesweep_sort_config_static_selectorELNS0_4arch9wavefront6targetE1EEEvSK_
; %bb.0:
	s_load_dwordx4 s[16:19], s[4:5], 0x28
	s_load_dwordx2 s[14:15], s[4:5], 0x38
	s_load_dwordx4 s[20:23], s[4:5], 0x44
	v_and_b32_e32 v2, 0x3ff, v0
	v_cmp_eq_u32_e64 s[0:1], 0, v2
	s_and_saveexec_b64 s[2:3], s[0:1]
	s_cbranch_execz .LBB1768_4
; %bb.1:
	s_mov_b64 s[10:11], exec
	v_mbcnt_lo_u32_b32 v1, s10, 0
	v_mbcnt_hi_u32_b32 v1, s11, v1
	v_cmp_eq_u32_e32 vcc, 0, v1
                                        ; implicit-def: $vgpr3
	s_and_saveexec_b64 s[8:9], vcc
	s_cbranch_execz .LBB1768_3
; %bb.2:
	s_load_dwordx2 s[12:13], s[4:5], 0x50
	s_bcnt1_i32_b64 s7, s[10:11]
	v_mov_b32_e32 v3, 0
	v_mov_b32_e32 v4, s7
	s_waitcnt lgkmcnt(0)
	global_atomic_add v3, v3, v4, s[12:13] glc
.LBB1768_3:
	s_or_b64 exec, exec, s[8:9]
	s_waitcnt vmcnt(0)
	v_readfirstlane_b32 s7, v3
	v_add_u32_e32 v1, s7, v1
	v_mov_b32_e32 v3, 0
	ds_write_b32 v3, v1 offset:20544
.LBB1768_4:
	s_or_b64 exec, exec, s[2:3]
	v_mov_b32_e32 v1, 0
	s_load_dwordx4 s[24:27], s[4:5], 0x0
	s_load_dword s2, s[4:5], 0x20
	s_waitcnt lgkmcnt(0)
	s_barrier
	ds_read_b32 v1, v1 offset:20544
	s_waitcnt lgkmcnt(0)
	s_barrier
	v_readfirstlane_b32 s30, v1
	v_cmp_le_u32_e32 vcc, s22, v1
	s_mul_i32 s28, s30, 0x3000
	v_mbcnt_lo_u32_b32 v1, -1, 0
	s_cbranch_vccz .LBB1768_83
; %bb.5:
	s_mul_i32 s7, s22, 0xffffd000
	s_mov_b32 s29, 0
	s_add_i32 s7, s7, s2
	s_lshl_b64 s[2:3], s[28:29], 2
	v_mbcnt_hi_u32_b32 v8, -1, v1
	s_add_u32 s2, s24, s2
	v_and_b32_e32 v3, 63, v8
	v_and_b32_e32 v4, 0x3c0, v2
	s_addc_u32 s3, s25, s3
	v_mul_u32_u24_e32 v6, 12, v4
	v_lshlrev_b32_e32 v4, 2, v3
	v_mov_b32_e32 v5, s3
	v_add_co_u32_e32 v4, vcc, s2, v4
	v_addc_co_u32_e32 v5, vcc, 0, v5, vcc
	v_lshlrev_b32_e32 v7, 2, v6
	v_add_co_u32_e32 v4, vcc, v4, v7
	v_addc_co_u32_e32 v5, vcc, 0, v5, vcc
	v_or_b32_e32 v6, v3, v6
	v_cmp_gt_u32_e32 vcc, s7, v6
	v_bfrev_b32_e32 v10, -2
	v_bfrev_b32_e32 v3, -2
	s_and_saveexec_b64 s[2:3], vcc
	s_cbranch_execz .LBB1768_7
; %bb.6:
	global_load_dword v3, v[4:5], off
.LBB1768_7:
	s_or_b64 exec, exec, s[2:3]
	v_or_b32_e32 v7, 64, v6
	v_cmp_gt_u32_e32 vcc, s7, v7
	s_and_saveexec_b64 s[2:3], vcc
	s_cbranch_execz .LBB1768_9
; %bb.8:
	global_load_dword v10, v[4:5], off offset:256
.LBB1768_9:
	s_or_b64 exec, exec, s[2:3]
	v_or_b32_e32 v7, 0x80, v6
	v_cmp_gt_u32_e32 vcc, s7, v7
	v_bfrev_b32_e32 v14, -2
	v_bfrev_b32_e32 v11, -2
	s_and_saveexec_b64 s[2:3], vcc
	s_cbranch_execz .LBB1768_11
; %bb.10:
	global_load_dword v11, v[4:5], off offset:512
.LBB1768_11:
	s_or_b64 exec, exec, s[2:3]
	v_or_b32_e32 v7, 0xc0, v6
	v_cmp_gt_u32_e32 vcc, s7, v7
	s_and_saveexec_b64 s[2:3], vcc
	s_cbranch_execz .LBB1768_13
; %bb.12:
	global_load_dword v14, v[4:5], off offset:768
.LBB1768_13:
	s_or_b64 exec, exec, s[2:3]
	v_add_u32_e32 v7, 0x100, v6
	v_cmp_gt_u32_e32 vcc, s7, v7
	v_bfrev_b32_e32 v23, -2
	v_bfrev_b32_e32 v17, -2
	s_and_saveexec_b64 s[2:3], vcc
	s_cbranch_execz .LBB1768_15
; %bb.14:
	global_load_dword v17, v[4:5], off offset:1024
.LBB1768_15:
	s_or_b64 exec, exec, s[2:3]
	v_add_u32_e32 v7, 0x140, v6
	v_cmp_gt_u32_e32 vcc, s7, v7
	s_and_saveexec_b64 s[2:3], vcc
	s_cbranch_execz .LBB1768_17
; %bb.16:
	global_load_dword v23, v[4:5], off offset:1280
.LBB1768_17:
	s_or_b64 exec, exec, s[2:3]
	v_add_u32_e32 v7, 0x180, v6
	v_cmp_gt_u32_e32 vcc, s7, v7
	v_bfrev_b32_e32 v34, -2
	v_bfrev_b32_e32 v28, -2
	s_and_saveexec_b64 s[2:3], vcc
	s_cbranch_execz .LBB1768_19
; %bb.18:
	global_load_dword v28, v[4:5], off offset:1536
.LBB1768_19:
	s_or_b64 exec, exec, s[2:3]
	v_add_u32_e32 v7, 0x1c0, v6
	;; [unrolled: 18-line block ×4, first 2 shown]
	v_cmp_gt_u32_e32 vcc, s7, v6
	s_and_saveexec_b64 s[2:3], vcc
	s_cbranch_execz .LBB1768_29
; %bb.28:
	global_load_dword v20, v[4:5], off offset:2816
.LBB1768_29:
	s_or_b64 exec, exec, s[2:3]
	s_load_dword s2, s[4:5], 0x64
	s_load_dword s29, s[4:5], 0x58
	s_add_u32 s3, s4, 0x58
	s_addc_u32 s8, s5, 0
	v_mov_b32_e32 v4, 0
	s_waitcnt lgkmcnt(0)
	s_lshr_b32 s9, s2, 16
	s_cmp_lt_u32 s6, s29
	s_cselect_b32 s2, 12, 18
	s_add_u32 s2, s3, s2
	s_addc_u32 s3, s8, 0
	global_load_ushort v6, v4, s[2:3]
	s_waitcnt vmcnt(1)
	v_xor_b32_e32 v3, 0x80000000, v3
	s_lshl_b32 s2, -1, s21
	v_lshrrev_b32_e32 v12, s20, v3
	s_not_b32 s31, s2
	v_and_b32_e32 v12, s31, v12
	v_and_b32_e32 v15, 1, v12
	v_bfe_u32 v5, v0, 10, 10
	v_bfe_u32 v7, v0, 20, 10
	v_add_co_u32_e32 v16, vcc, -1, v15
	v_mad_u32_u24 v7, v7, s9, v5
	v_lshlrev_b32_e32 v5, 30, v12
	v_addc_co_u32_e64 v18, s[2:3], 0, -1, vcc
	v_cmp_ne_u32_e32 vcc, 0, v15
	v_cmp_gt_i64_e64 s[2:3], 0, v[4:5]
	v_not_b32_e32 v15, v5
	v_lshlrev_b32_e32 v5, 29, v12
	v_xor_b32_e32 v18, vcc_hi, v18
	v_xor_b32_e32 v16, vcc_lo, v16
	v_ashrrev_i32_e32 v15, 31, v15
	v_cmp_gt_i64_e32 vcc, 0, v[4:5]
	v_not_b32_e32 v19, v5
	v_lshlrev_b32_e32 v5, 28, v12
	v_and_b32_e32 v18, exec_hi, v18
	v_and_b32_e32 v16, exec_lo, v16
	v_xor_b32_e32 v21, s3, v15
	v_xor_b32_e32 v15, s2, v15
	v_ashrrev_i32_e32 v19, 31, v19
	v_cmp_gt_i64_e64 s[2:3], 0, v[4:5]
	v_not_b32_e32 v22, v5
	v_lshlrev_b32_e32 v5, 27, v12
	v_and_b32_e32 v18, v18, v21
	v_and_b32_e32 v15, v16, v15
	v_xor_b32_e32 v16, vcc_hi, v19
	v_xor_b32_e32 v19, vcc_lo, v19
	v_ashrrev_i32_e32 v21, 31, v22
	v_cmp_gt_i64_e32 vcc, 0, v[4:5]
	v_not_b32_e32 v22, v5
	v_lshlrev_b32_e32 v5, 26, v12
	v_and_b32_e32 v16, v18, v16
	v_and_b32_e32 v15, v15, v19
	v_xor_b32_e32 v18, s3, v21
	v_xor_b32_e32 v19, s2, v21
	v_ashrrev_i32_e32 v21, 31, v22
	v_cmp_gt_i64_e64 s[2:3], 0, v[4:5]
	v_not_b32_e32 v22, v5
	v_lshlrev_b32_e32 v5, 25, v12
	v_and_b32_e32 v16, v16, v18
	v_and_b32_e32 v15, v15, v19
	v_xor_b32_e32 v18, vcc_hi, v21
	v_xor_b32_e32 v19, vcc_lo, v21
	v_ashrrev_i32_e32 v21, 31, v22
	v_cmp_gt_i64_e32 vcc, 0, v[4:5]
	v_not_b32_e32 v22, v5
	v_lshlrev_b32_e32 v5, 24, v12
	v_lshl_add_u32 v13, v12, 4, v12
	v_and_b32_e32 v12, v16, v18
	v_and_b32_e32 v15, v15, v19
	v_xor_b32_e32 v16, s3, v21
	v_xor_b32_e32 v18, s2, v21
	v_ashrrev_i32_e32 v19, 31, v22
	v_cmp_gt_i64_e64 s[2:3], 0, v[4:5]
	v_not_b32_e32 v5, v5
	v_and_b32_e32 v12, v12, v16
	v_and_b32_e32 v15, v15, v18
	v_xor_b32_e32 v16, vcc_hi, v19
	v_xor_b32_e32 v18, vcc_lo, v19
	v_ashrrev_i32_e32 v5, 31, v5
	v_and_b32_e32 v12, v12, v16
	v_and_b32_e32 v15, v15, v18
	v_mul_u32_u24_e32 v9, 5, v2
	v_lshlrev_b32_e32 v9, 2, v9
	ds_write2_b32 v9, v4, v4 offset0:16 offset1:17
	ds_write2_b32 v9, v4, v4 offset0:18 offset1:19
	ds_write_b32 v9, v4 offset:80
	s_waitcnt lgkmcnt(0)
	s_barrier
	s_waitcnt lgkmcnt(0)
	; wave barrier
	s_waitcnt vmcnt(0)
	v_mad_u64_u32 v[6:7], s[8:9], v7, v6, v[2:3]
	v_lshrrev_b32_e32 v29, 6, v6
	v_xor_b32_e32 v6, s3, v5
	v_xor_b32_e32 v5, s2, v5
	v_and_b32_e32 v7, v12, v6
	v_and_b32_e32 v6, v15, v5
	v_mbcnt_lo_u32_b32 v5, v6, 0
	v_mbcnt_hi_u32_b32 v12, v7, v5
	v_cmp_eq_u32_e32 vcc, 0, v12
	v_cmp_ne_u64_e64 s[2:3], 0, v[6:7]
	v_add_lshl_u32 v18, v29, v13, 2
	s_and_b64 s[8:9], s[2:3], vcc
	s_and_saveexec_b64 s[2:3], s[8:9]
	s_cbranch_execz .LBB1768_31
; %bb.30:
	v_bcnt_u32_b32 v5, v6, 0
	v_bcnt_u32_b32 v5, v7, v5
	ds_write_b32 v18, v5 offset:64
.LBB1768_31:
	s_or_b64 exec, exec, s[2:3]
	v_xor_b32_e32 v10, 0x80000000, v10
	v_lshrrev_b32_e32 v5, s20, v10
	v_and_b32_e32 v6, s31, v5
	v_lshl_add_u32 v5, v6, 4, v6
	v_add_lshl_u32 v19, v29, v5, 2
	v_and_b32_e32 v5, 1, v6
	v_add_co_u32_e32 v7, vcc, -1, v5
	v_addc_co_u32_e64 v15, s[2:3], 0, -1, vcc
	v_cmp_ne_u32_e32 vcc, 0, v5
	v_xor_b32_e32 v5, vcc_hi, v15
	v_and_b32_e32 v15, exec_hi, v5
	v_lshlrev_b32_e32 v5, 30, v6
	v_xor_b32_e32 v7, vcc_lo, v7
	v_cmp_gt_i64_e32 vcc, 0, v[4:5]
	v_not_b32_e32 v5, v5
	v_ashrrev_i32_e32 v5, 31, v5
	v_and_b32_e32 v7, exec_lo, v7
	v_xor_b32_e32 v16, vcc_hi, v5
	v_xor_b32_e32 v5, vcc_lo, v5
	v_and_b32_e32 v7, v7, v5
	v_lshlrev_b32_e32 v5, 29, v6
	v_cmp_gt_i64_e32 vcc, 0, v[4:5]
	v_not_b32_e32 v5, v5
	v_ashrrev_i32_e32 v5, 31, v5
	v_and_b32_e32 v15, v15, v16
	v_xor_b32_e32 v16, vcc_hi, v5
	v_xor_b32_e32 v5, vcc_lo, v5
	v_and_b32_e32 v7, v7, v5
	v_lshlrev_b32_e32 v5, 28, v6
	v_cmp_gt_i64_e32 vcc, 0, v[4:5]
	v_not_b32_e32 v5, v5
	v_ashrrev_i32_e32 v5, 31, v5
	v_and_b32_e32 v15, v15, v16
	;; [unrolled: 8-line block ×5, first 2 shown]
	v_xor_b32_e32 v16, vcc_hi, v5
	v_xor_b32_e32 v5, vcc_lo, v5
	v_and_b32_e32 v7, v7, v5
	v_lshlrev_b32_e32 v5, 24, v6
	v_cmp_gt_i64_e32 vcc, 0, v[4:5]
	v_not_b32_e32 v4, v5
	v_ashrrev_i32_e32 v4, 31, v4
	v_xor_b32_e32 v5, vcc_hi, v4
	v_xor_b32_e32 v4, vcc_lo, v4
	; wave barrier
	ds_read_b32 v13, v19 offset:64
	v_and_b32_e32 v15, v15, v16
	v_and_b32_e32 v4, v7, v4
	;; [unrolled: 1-line block ×3, first 2 shown]
	v_mbcnt_lo_u32_b32 v6, v4, 0
	v_mbcnt_hi_u32_b32 v15, v5, v6
	v_cmp_eq_u32_e32 vcc, 0, v15
	v_cmp_ne_u64_e64 s[2:3], 0, v[4:5]
	s_and_b64 s[8:9], s[2:3], vcc
	; wave barrier
	s_and_saveexec_b64 s[2:3], s[8:9]
	s_cbranch_execz .LBB1768_33
; %bb.32:
	v_bcnt_u32_b32 v4, v4, 0
	v_bcnt_u32_b32 v4, v5, v4
	s_waitcnt lgkmcnt(0)
	v_add_u32_e32 v4, v13, v4
	ds_write_b32 v19, v4 offset:64
.LBB1768_33:
	s_or_b64 exec, exec, s[2:3]
	v_xor_b32_e32 v11, 0x80000000, v11
	v_lshrrev_b32_e32 v4, s20, v11
	v_and_b32_e32 v6, s31, v4
	v_and_b32_e32 v5, 1, v6
	v_add_co_u32_e32 v7, vcc, -1, v5
	v_addc_co_u32_e64 v21, s[2:3], 0, -1, vcc
	v_cmp_ne_u32_e32 vcc, 0, v5
	v_lshl_add_u32 v4, v6, 4, v6
	v_xor_b32_e32 v5, vcc_hi, v21
	v_add_lshl_u32 v24, v29, v4, 2
	v_mov_b32_e32 v4, 0
	v_and_b32_e32 v21, exec_hi, v5
	v_lshlrev_b32_e32 v5, 30, v6
	v_xor_b32_e32 v7, vcc_lo, v7
	v_cmp_gt_i64_e32 vcc, 0, v[4:5]
	v_not_b32_e32 v5, v5
	v_ashrrev_i32_e32 v5, 31, v5
	v_and_b32_e32 v7, exec_lo, v7
	v_xor_b32_e32 v22, vcc_hi, v5
	v_xor_b32_e32 v5, vcc_lo, v5
	v_and_b32_e32 v7, v7, v5
	v_lshlrev_b32_e32 v5, 29, v6
	v_cmp_gt_i64_e32 vcc, 0, v[4:5]
	v_not_b32_e32 v5, v5
	v_ashrrev_i32_e32 v5, 31, v5
	v_and_b32_e32 v21, v21, v22
	v_xor_b32_e32 v22, vcc_hi, v5
	v_xor_b32_e32 v5, vcc_lo, v5
	v_and_b32_e32 v7, v7, v5
	v_lshlrev_b32_e32 v5, 28, v6
	v_cmp_gt_i64_e32 vcc, 0, v[4:5]
	v_not_b32_e32 v5, v5
	v_ashrrev_i32_e32 v5, 31, v5
	v_and_b32_e32 v21, v21, v22
	;; [unrolled: 8-line block ×5, first 2 shown]
	v_xor_b32_e32 v22, vcc_hi, v5
	v_xor_b32_e32 v5, vcc_lo, v5
	v_and_b32_e32 v21, v21, v22
	v_and_b32_e32 v22, v7, v5
	v_lshlrev_b32_e32 v5, 24, v6
	v_cmp_gt_i64_e32 vcc, 0, v[4:5]
	v_not_b32_e32 v5, v5
	v_ashrrev_i32_e32 v5, 31, v5
	v_xor_b32_e32 v6, vcc_hi, v5
	v_xor_b32_e32 v5, vcc_lo, v5
	; wave barrier
	ds_read_b32 v16, v24 offset:64
	v_and_b32_e32 v7, v21, v6
	v_and_b32_e32 v6, v22, v5
	v_mbcnt_lo_u32_b32 v5, v6, 0
	v_mbcnt_hi_u32_b32 v21, v7, v5
	v_cmp_eq_u32_e32 vcc, 0, v21
	v_cmp_ne_u64_e64 s[2:3], 0, v[6:7]
	s_and_b64 s[8:9], s[2:3], vcc
	; wave barrier
	s_and_saveexec_b64 s[2:3], s[8:9]
	s_cbranch_execz .LBB1768_35
; %bb.34:
	v_bcnt_u32_b32 v5, v6, 0
	v_bcnt_u32_b32 v5, v7, v5
	s_waitcnt lgkmcnt(0)
	v_add_u32_e32 v5, v16, v5
	ds_write_b32 v24, v5 offset:64
.LBB1768_35:
	s_or_b64 exec, exec, s[2:3]
	v_xor_b32_e32 v14, 0x80000000, v14
	v_lshrrev_b32_e32 v5, s20, v14
	v_and_b32_e32 v6, s31, v5
	v_lshl_add_u32 v5, v6, 4, v6
	v_add_lshl_u32 v31, v29, v5, 2
	v_and_b32_e32 v5, 1, v6
	v_add_co_u32_e32 v7, vcc, -1, v5
	v_addc_co_u32_e64 v26, s[2:3], 0, -1, vcc
	v_cmp_ne_u32_e32 vcc, 0, v5
	v_xor_b32_e32 v5, vcc_hi, v26
	v_and_b32_e32 v26, exec_hi, v5
	v_lshlrev_b32_e32 v5, 30, v6
	v_xor_b32_e32 v7, vcc_lo, v7
	v_cmp_gt_i64_e32 vcc, 0, v[4:5]
	v_not_b32_e32 v5, v5
	v_ashrrev_i32_e32 v5, 31, v5
	v_and_b32_e32 v7, exec_lo, v7
	v_xor_b32_e32 v27, vcc_hi, v5
	v_xor_b32_e32 v5, vcc_lo, v5
	v_and_b32_e32 v7, v7, v5
	v_lshlrev_b32_e32 v5, 29, v6
	v_cmp_gt_i64_e32 vcc, 0, v[4:5]
	v_not_b32_e32 v5, v5
	v_ashrrev_i32_e32 v5, 31, v5
	v_and_b32_e32 v26, v26, v27
	v_xor_b32_e32 v27, vcc_hi, v5
	v_xor_b32_e32 v5, vcc_lo, v5
	v_and_b32_e32 v7, v7, v5
	v_lshlrev_b32_e32 v5, 28, v6
	v_cmp_gt_i64_e32 vcc, 0, v[4:5]
	v_not_b32_e32 v5, v5
	v_ashrrev_i32_e32 v5, 31, v5
	v_and_b32_e32 v26, v26, v27
	;; [unrolled: 8-line block ×5, first 2 shown]
	v_xor_b32_e32 v27, vcc_hi, v5
	v_xor_b32_e32 v5, vcc_lo, v5
	v_and_b32_e32 v7, v7, v5
	v_lshlrev_b32_e32 v5, 24, v6
	v_cmp_gt_i64_e32 vcc, 0, v[4:5]
	v_not_b32_e32 v4, v5
	v_ashrrev_i32_e32 v4, 31, v4
	v_xor_b32_e32 v5, vcc_hi, v4
	v_xor_b32_e32 v4, vcc_lo, v4
	; wave barrier
	ds_read_b32 v22, v31 offset:64
	v_and_b32_e32 v26, v26, v27
	v_and_b32_e32 v4, v7, v4
	;; [unrolled: 1-line block ×3, first 2 shown]
	v_mbcnt_lo_u32_b32 v6, v4, 0
	v_mbcnt_hi_u32_b32 v26, v5, v6
	v_cmp_eq_u32_e32 vcc, 0, v26
	v_cmp_ne_u64_e64 s[2:3], 0, v[4:5]
	s_and_b64 s[8:9], s[2:3], vcc
	; wave barrier
	s_and_saveexec_b64 s[2:3], s[8:9]
	s_cbranch_execz .LBB1768_37
; %bb.36:
	v_bcnt_u32_b32 v4, v4, 0
	v_bcnt_u32_b32 v4, v5, v4
	s_waitcnt lgkmcnt(0)
	v_add_u32_e32 v4, v22, v4
	ds_write_b32 v31, v4 offset:64
.LBB1768_37:
	s_or_b64 exec, exec, s[2:3]
	v_xor_b32_e32 v17, 0x80000000, v17
	v_lshrrev_b32_e32 v4, s20, v17
	v_and_b32_e32 v6, s31, v4
	v_and_b32_e32 v5, 1, v6
	v_add_co_u32_e32 v7, vcc, -1, v5
	v_addc_co_u32_e64 v32, s[2:3], 0, -1, vcc
	v_cmp_ne_u32_e32 vcc, 0, v5
	v_lshl_add_u32 v4, v6, 4, v6
	v_xor_b32_e32 v5, vcc_hi, v32
	v_add_lshl_u32 v36, v29, v4, 2
	v_mov_b32_e32 v4, 0
	v_and_b32_e32 v32, exec_hi, v5
	v_lshlrev_b32_e32 v5, 30, v6
	v_xor_b32_e32 v7, vcc_lo, v7
	v_cmp_gt_i64_e32 vcc, 0, v[4:5]
	v_not_b32_e32 v5, v5
	v_ashrrev_i32_e32 v5, 31, v5
	v_and_b32_e32 v7, exec_lo, v7
	v_xor_b32_e32 v33, vcc_hi, v5
	v_xor_b32_e32 v5, vcc_lo, v5
	v_and_b32_e32 v7, v7, v5
	v_lshlrev_b32_e32 v5, 29, v6
	v_cmp_gt_i64_e32 vcc, 0, v[4:5]
	v_not_b32_e32 v5, v5
	v_ashrrev_i32_e32 v5, 31, v5
	v_and_b32_e32 v32, v32, v33
	v_xor_b32_e32 v33, vcc_hi, v5
	v_xor_b32_e32 v5, vcc_lo, v5
	v_and_b32_e32 v7, v7, v5
	v_lshlrev_b32_e32 v5, 28, v6
	v_cmp_gt_i64_e32 vcc, 0, v[4:5]
	v_not_b32_e32 v5, v5
	v_ashrrev_i32_e32 v5, 31, v5
	v_and_b32_e32 v32, v32, v33
	;; [unrolled: 8-line block ×5, first 2 shown]
	v_xor_b32_e32 v33, vcc_hi, v5
	v_xor_b32_e32 v5, vcc_lo, v5
	v_and_b32_e32 v32, v32, v33
	v_and_b32_e32 v33, v7, v5
	v_lshlrev_b32_e32 v5, 24, v6
	v_cmp_gt_i64_e32 vcc, 0, v[4:5]
	v_not_b32_e32 v5, v5
	v_ashrrev_i32_e32 v5, 31, v5
	v_xor_b32_e32 v6, vcc_hi, v5
	v_xor_b32_e32 v5, vcc_lo, v5
	; wave barrier
	ds_read_b32 v27, v36 offset:64
	v_and_b32_e32 v7, v32, v6
	v_and_b32_e32 v6, v33, v5
	v_mbcnt_lo_u32_b32 v5, v6, 0
	v_mbcnt_hi_u32_b32 v32, v7, v5
	v_cmp_eq_u32_e32 vcc, 0, v32
	v_cmp_ne_u64_e64 s[2:3], 0, v[6:7]
	s_and_b64 s[8:9], s[2:3], vcc
	; wave barrier
	s_and_saveexec_b64 s[2:3], s[8:9]
	s_cbranch_execz .LBB1768_39
; %bb.38:
	v_bcnt_u32_b32 v5, v6, 0
	v_bcnt_u32_b32 v5, v7, v5
	s_waitcnt lgkmcnt(0)
	v_add_u32_e32 v5, v27, v5
	ds_write_b32 v36, v5 offset:64
.LBB1768_39:
	s_or_b64 exec, exec, s[2:3]
	v_xor_b32_e32 v23, 0x80000000, v23
	v_lshrrev_b32_e32 v5, s20, v23
	v_and_b32_e32 v6, s31, v5
	v_lshl_add_u32 v5, v6, 4, v6
	v_add_lshl_u32 v39, v29, v5, 2
	v_and_b32_e32 v5, 1, v6
	v_add_co_u32_e32 v7, vcc, -1, v5
	v_addc_co_u32_e64 v37, s[2:3], 0, -1, vcc
	v_cmp_ne_u32_e32 vcc, 0, v5
	v_xor_b32_e32 v5, vcc_hi, v37
	v_and_b32_e32 v37, exec_hi, v5
	v_lshlrev_b32_e32 v5, 30, v6
	v_xor_b32_e32 v7, vcc_lo, v7
	v_cmp_gt_i64_e32 vcc, 0, v[4:5]
	v_not_b32_e32 v5, v5
	v_ashrrev_i32_e32 v5, 31, v5
	v_and_b32_e32 v7, exec_lo, v7
	v_xor_b32_e32 v38, vcc_hi, v5
	v_xor_b32_e32 v5, vcc_lo, v5
	v_and_b32_e32 v7, v7, v5
	v_lshlrev_b32_e32 v5, 29, v6
	v_cmp_gt_i64_e32 vcc, 0, v[4:5]
	v_not_b32_e32 v5, v5
	v_ashrrev_i32_e32 v5, 31, v5
	v_and_b32_e32 v37, v37, v38
	v_xor_b32_e32 v38, vcc_hi, v5
	v_xor_b32_e32 v5, vcc_lo, v5
	v_and_b32_e32 v7, v7, v5
	v_lshlrev_b32_e32 v5, 28, v6
	v_cmp_gt_i64_e32 vcc, 0, v[4:5]
	v_not_b32_e32 v5, v5
	v_ashrrev_i32_e32 v5, 31, v5
	v_and_b32_e32 v37, v37, v38
	;; [unrolled: 8-line block ×5, first 2 shown]
	v_xor_b32_e32 v38, vcc_hi, v5
	v_xor_b32_e32 v5, vcc_lo, v5
	v_and_b32_e32 v7, v7, v5
	v_lshlrev_b32_e32 v5, 24, v6
	v_cmp_gt_i64_e32 vcc, 0, v[4:5]
	v_not_b32_e32 v4, v5
	v_ashrrev_i32_e32 v4, 31, v4
	v_xor_b32_e32 v5, vcc_hi, v4
	v_xor_b32_e32 v4, vcc_lo, v4
	; wave barrier
	ds_read_b32 v33, v39 offset:64
	v_and_b32_e32 v37, v37, v38
	v_and_b32_e32 v4, v7, v4
	;; [unrolled: 1-line block ×3, first 2 shown]
	v_mbcnt_lo_u32_b32 v6, v4, 0
	v_mbcnt_hi_u32_b32 v37, v5, v6
	v_cmp_eq_u32_e32 vcc, 0, v37
	v_cmp_ne_u64_e64 s[2:3], 0, v[4:5]
	s_and_b64 s[8:9], s[2:3], vcc
	; wave barrier
	s_and_saveexec_b64 s[2:3], s[8:9]
	s_cbranch_execz .LBB1768_41
; %bb.40:
	v_bcnt_u32_b32 v4, v4, 0
	v_bcnt_u32_b32 v4, v5, v4
	s_waitcnt lgkmcnt(0)
	v_add_u32_e32 v4, v33, v4
	ds_write_b32 v39, v4 offset:64
.LBB1768_41:
	s_or_b64 exec, exec, s[2:3]
	v_xor_b32_e32 v28, 0x80000000, v28
	v_lshrrev_b32_e32 v4, s20, v28
	v_and_b32_e32 v6, s31, v4
	v_and_b32_e32 v5, 1, v6
	v_add_co_u32_e32 v7, vcc, -1, v5
	v_addc_co_u32_e64 v40, s[2:3], 0, -1, vcc
	v_cmp_ne_u32_e32 vcc, 0, v5
	v_lshl_add_u32 v4, v6, 4, v6
	v_xor_b32_e32 v5, vcc_hi, v40
	v_add_lshl_u32 v42, v29, v4, 2
	v_mov_b32_e32 v4, 0
	v_and_b32_e32 v40, exec_hi, v5
	v_lshlrev_b32_e32 v5, 30, v6
	v_xor_b32_e32 v7, vcc_lo, v7
	v_cmp_gt_i64_e32 vcc, 0, v[4:5]
	v_not_b32_e32 v5, v5
	v_ashrrev_i32_e32 v5, 31, v5
	v_and_b32_e32 v7, exec_lo, v7
	v_xor_b32_e32 v41, vcc_hi, v5
	v_xor_b32_e32 v5, vcc_lo, v5
	v_and_b32_e32 v7, v7, v5
	v_lshlrev_b32_e32 v5, 29, v6
	v_cmp_gt_i64_e32 vcc, 0, v[4:5]
	v_not_b32_e32 v5, v5
	v_ashrrev_i32_e32 v5, 31, v5
	v_and_b32_e32 v40, v40, v41
	v_xor_b32_e32 v41, vcc_hi, v5
	v_xor_b32_e32 v5, vcc_lo, v5
	v_and_b32_e32 v7, v7, v5
	v_lshlrev_b32_e32 v5, 28, v6
	v_cmp_gt_i64_e32 vcc, 0, v[4:5]
	v_not_b32_e32 v5, v5
	v_ashrrev_i32_e32 v5, 31, v5
	v_and_b32_e32 v40, v40, v41
	;; [unrolled: 8-line block ×5, first 2 shown]
	v_xor_b32_e32 v41, vcc_hi, v5
	v_xor_b32_e32 v5, vcc_lo, v5
	v_and_b32_e32 v40, v40, v41
	v_and_b32_e32 v41, v7, v5
	v_lshlrev_b32_e32 v5, 24, v6
	v_cmp_gt_i64_e32 vcc, 0, v[4:5]
	v_not_b32_e32 v5, v5
	v_ashrrev_i32_e32 v5, 31, v5
	v_xor_b32_e32 v6, vcc_hi, v5
	v_xor_b32_e32 v5, vcc_lo, v5
	; wave barrier
	ds_read_b32 v38, v42 offset:64
	v_and_b32_e32 v7, v40, v6
	v_and_b32_e32 v6, v41, v5
	v_mbcnt_lo_u32_b32 v5, v6, 0
	v_mbcnt_hi_u32_b32 v40, v7, v5
	v_cmp_eq_u32_e32 vcc, 0, v40
	v_cmp_ne_u64_e64 s[2:3], 0, v[6:7]
	s_and_b64 s[8:9], s[2:3], vcc
	; wave barrier
	s_and_saveexec_b64 s[2:3], s[8:9]
	s_cbranch_execz .LBB1768_43
; %bb.42:
	v_bcnt_u32_b32 v5, v6, 0
	v_bcnt_u32_b32 v5, v7, v5
	s_waitcnt lgkmcnt(0)
	v_add_u32_e32 v5, v38, v5
	ds_write_b32 v42, v5 offset:64
.LBB1768_43:
	s_or_b64 exec, exec, s[2:3]
	v_xor_b32_e32 v34, 0x80000000, v34
	v_lshrrev_b32_e32 v5, s20, v34
	v_and_b32_e32 v6, s31, v5
	v_lshl_add_u32 v5, v6, 4, v6
	v_add_lshl_u32 v45, v29, v5, 2
	v_and_b32_e32 v5, 1, v6
	v_add_co_u32_e32 v7, vcc, -1, v5
	v_addc_co_u32_e64 v43, s[2:3], 0, -1, vcc
	v_cmp_ne_u32_e32 vcc, 0, v5
	v_xor_b32_e32 v5, vcc_hi, v43
	v_and_b32_e32 v43, exec_hi, v5
	v_lshlrev_b32_e32 v5, 30, v6
	v_xor_b32_e32 v7, vcc_lo, v7
	v_cmp_gt_i64_e32 vcc, 0, v[4:5]
	v_not_b32_e32 v5, v5
	v_ashrrev_i32_e32 v5, 31, v5
	v_and_b32_e32 v7, exec_lo, v7
	v_xor_b32_e32 v44, vcc_hi, v5
	v_xor_b32_e32 v5, vcc_lo, v5
	v_and_b32_e32 v7, v7, v5
	v_lshlrev_b32_e32 v5, 29, v6
	v_cmp_gt_i64_e32 vcc, 0, v[4:5]
	v_not_b32_e32 v5, v5
	v_ashrrev_i32_e32 v5, 31, v5
	v_and_b32_e32 v43, v43, v44
	v_xor_b32_e32 v44, vcc_hi, v5
	v_xor_b32_e32 v5, vcc_lo, v5
	v_and_b32_e32 v7, v7, v5
	v_lshlrev_b32_e32 v5, 28, v6
	v_cmp_gt_i64_e32 vcc, 0, v[4:5]
	v_not_b32_e32 v5, v5
	v_ashrrev_i32_e32 v5, 31, v5
	v_and_b32_e32 v43, v43, v44
	;; [unrolled: 8-line block ×5, first 2 shown]
	v_xor_b32_e32 v44, vcc_hi, v5
	v_xor_b32_e32 v5, vcc_lo, v5
	v_and_b32_e32 v7, v7, v5
	v_lshlrev_b32_e32 v5, 24, v6
	v_cmp_gt_i64_e32 vcc, 0, v[4:5]
	v_not_b32_e32 v4, v5
	v_ashrrev_i32_e32 v4, 31, v4
	v_xor_b32_e32 v5, vcc_hi, v4
	v_xor_b32_e32 v4, vcc_lo, v4
	; wave barrier
	ds_read_b32 v41, v45 offset:64
	v_and_b32_e32 v43, v43, v44
	v_and_b32_e32 v4, v7, v4
	;; [unrolled: 1-line block ×3, first 2 shown]
	v_mbcnt_lo_u32_b32 v6, v4, 0
	v_mbcnt_hi_u32_b32 v43, v5, v6
	v_cmp_eq_u32_e32 vcc, 0, v43
	v_cmp_ne_u64_e64 s[2:3], 0, v[4:5]
	s_and_b64 s[8:9], s[2:3], vcc
	; wave barrier
	s_and_saveexec_b64 s[2:3], s[8:9]
	s_cbranch_execz .LBB1768_45
; %bb.44:
	v_bcnt_u32_b32 v4, v4, 0
	v_bcnt_u32_b32 v4, v5, v4
	s_waitcnt lgkmcnt(0)
	v_add_u32_e32 v4, v41, v4
	ds_write_b32 v45, v4 offset:64
.LBB1768_45:
	s_or_b64 exec, exec, s[2:3]
	v_xor_b32_e32 v35, 0x80000000, v35
	v_lshrrev_b32_e32 v4, s20, v35
	v_and_b32_e32 v6, s31, v4
	v_and_b32_e32 v5, 1, v6
	v_add_co_u32_e32 v7, vcc, -1, v5
	v_addc_co_u32_e64 v46, s[2:3], 0, -1, vcc
	v_cmp_ne_u32_e32 vcc, 0, v5
	v_lshl_add_u32 v4, v6, 4, v6
	v_xor_b32_e32 v5, vcc_hi, v46
	v_add_lshl_u32 v48, v29, v4, 2
	v_mov_b32_e32 v4, 0
	v_and_b32_e32 v46, exec_hi, v5
	v_lshlrev_b32_e32 v5, 30, v6
	v_xor_b32_e32 v7, vcc_lo, v7
	v_cmp_gt_i64_e32 vcc, 0, v[4:5]
	v_not_b32_e32 v5, v5
	v_ashrrev_i32_e32 v5, 31, v5
	v_and_b32_e32 v7, exec_lo, v7
	v_xor_b32_e32 v47, vcc_hi, v5
	v_xor_b32_e32 v5, vcc_lo, v5
	v_and_b32_e32 v7, v7, v5
	v_lshlrev_b32_e32 v5, 29, v6
	v_cmp_gt_i64_e32 vcc, 0, v[4:5]
	v_not_b32_e32 v5, v5
	v_ashrrev_i32_e32 v5, 31, v5
	v_and_b32_e32 v46, v46, v47
	v_xor_b32_e32 v47, vcc_hi, v5
	v_xor_b32_e32 v5, vcc_lo, v5
	v_and_b32_e32 v7, v7, v5
	v_lshlrev_b32_e32 v5, 28, v6
	v_cmp_gt_i64_e32 vcc, 0, v[4:5]
	v_not_b32_e32 v5, v5
	v_ashrrev_i32_e32 v5, 31, v5
	v_and_b32_e32 v46, v46, v47
	;; [unrolled: 8-line block ×5, first 2 shown]
	v_xor_b32_e32 v47, vcc_hi, v5
	v_xor_b32_e32 v5, vcc_lo, v5
	v_and_b32_e32 v46, v46, v47
	v_and_b32_e32 v47, v7, v5
	v_lshlrev_b32_e32 v5, 24, v6
	v_cmp_gt_i64_e32 vcc, 0, v[4:5]
	v_not_b32_e32 v5, v5
	v_ashrrev_i32_e32 v5, 31, v5
	v_xor_b32_e32 v6, vcc_hi, v5
	v_xor_b32_e32 v5, vcc_lo, v5
	; wave barrier
	ds_read_b32 v44, v48 offset:64
	v_and_b32_e32 v7, v46, v6
	v_and_b32_e32 v6, v47, v5
	v_mbcnt_lo_u32_b32 v5, v6, 0
	v_mbcnt_hi_u32_b32 v46, v7, v5
	v_cmp_eq_u32_e32 vcc, 0, v46
	v_cmp_ne_u64_e64 s[2:3], 0, v[6:7]
	s_and_b64 s[8:9], s[2:3], vcc
	; wave barrier
	s_and_saveexec_b64 s[2:3], s[8:9]
	s_cbranch_execz .LBB1768_47
; %bb.46:
	v_bcnt_u32_b32 v5, v6, 0
	v_bcnt_u32_b32 v5, v7, v5
	s_waitcnt lgkmcnt(0)
	v_add_u32_e32 v5, v44, v5
	ds_write_b32 v48, v5 offset:64
.LBB1768_47:
	s_or_b64 exec, exec, s[2:3]
	v_xor_b32_e32 v30, 0x80000000, v30
	v_lshrrev_b32_e32 v5, s20, v30
	v_and_b32_e32 v6, s31, v5
	v_lshl_add_u32 v5, v6, 4, v6
	v_add_lshl_u32 v51, v29, v5, 2
	v_and_b32_e32 v5, 1, v6
	v_add_co_u32_e32 v7, vcc, -1, v5
	v_addc_co_u32_e64 v49, s[2:3], 0, -1, vcc
	v_cmp_ne_u32_e32 vcc, 0, v5
	v_xor_b32_e32 v5, vcc_hi, v49
	v_and_b32_e32 v49, exec_hi, v5
	v_lshlrev_b32_e32 v5, 30, v6
	v_xor_b32_e32 v7, vcc_lo, v7
	v_cmp_gt_i64_e32 vcc, 0, v[4:5]
	v_not_b32_e32 v5, v5
	v_ashrrev_i32_e32 v5, 31, v5
	v_and_b32_e32 v7, exec_lo, v7
	v_xor_b32_e32 v50, vcc_hi, v5
	v_xor_b32_e32 v5, vcc_lo, v5
	v_and_b32_e32 v7, v7, v5
	v_lshlrev_b32_e32 v5, 29, v6
	v_cmp_gt_i64_e32 vcc, 0, v[4:5]
	v_not_b32_e32 v5, v5
	v_ashrrev_i32_e32 v5, 31, v5
	v_and_b32_e32 v49, v49, v50
	v_xor_b32_e32 v50, vcc_hi, v5
	v_xor_b32_e32 v5, vcc_lo, v5
	v_and_b32_e32 v7, v7, v5
	v_lshlrev_b32_e32 v5, 28, v6
	v_cmp_gt_i64_e32 vcc, 0, v[4:5]
	v_not_b32_e32 v5, v5
	v_ashrrev_i32_e32 v5, 31, v5
	v_and_b32_e32 v49, v49, v50
	;; [unrolled: 8-line block ×5, first 2 shown]
	v_xor_b32_e32 v50, vcc_hi, v5
	v_xor_b32_e32 v5, vcc_lo, v5
	v_and_b32_e32 v7, v7, v5
	v_lshlrev_b32_e32 v5, 24, v6
	v_cmp_gt_i64_e32 vcc, 0, v[4:5]
	v_not_b32_e32 v4, v5
	v_ashrrev_i32_e32 v4, 31, v4
	v_xor_b32_e32 v5, vcc_hi, v4
	v_xor_b32_e32 v4, vcc_lo, v4
	; wave barrier
	ds_read_b32 v47, v51 offset:64
	v_and_b32_e32 v49, v49, v50
	v_and_b32_e32 v4, v7, v4
	;; [unrolled: 1-line block ×3, first 2 shown]
	v_mbcnt_lo_u32_b32 v6, v4, 0
	v_mbcnt_hi_u32_b32 v49, v5, v6
	v_cmp_eq_u32_e32 vcc, 0, v49
	v_cmp_ne_u64_e64 s[2:3], 0, v[4:5]
	s_and_b64 s[8:9], s[2:3], vcc
	; wave barrier
	s_and_saveexec_b64 s[2:3], s[8:9]
	s_cbranch_execz .LBB1768_49
; %bb.48:
	v_bcnt_u32_b32 v4, v4, 0
	v_bcnt_u32_b32 v4, v5, v4
	s_waitcnt lgkmcnt(0)
	v_add_u32_e32 v4, v47, v4
	ds_write_b32 v51, v4 offset:64
.LBB1768_49:
	s_or_b64 exec, exec, s[2:3]
	v_xor_b32_e32 v25, 0x80000000, v25
	v_lshrrev_b32_e32 v4, s20, v25
	v_and_b32_e32 v6, s31, v4
	v_and_b32_e32 v5, 1, v6
	v_add_co_u32_e32 v7, vcc, -1, v5
	v_addc_co_u32_e64 v52, s[2:3], 0, -1, vcc
	v_cmp_ne_u32_e32 vcc, 0, v5
	v_lshl_add_u32 v4, v6, 4, v6
	v_xor_b32_e32 v5, vcc_hi, v52
	v_add_lshl_u32 v53, v29, v4, 2
	v_mov_b32_e32 v4, 0
	v_and_b32_e32 v52, exec_hi, v5
	v_lshlrev_b32_e32 v5, 30, v6
	v_xor_b32_e32 v7, vcc_lo, v7
	v_cmp_gt_i64_e32 vcc, 0, v[4:5]
	v_not_b32_e32 v5, v5
	v_ashrrev_i32_e32 v5, 31, v5
	v_and_b32_e32 v7, exec_lo, v7
	v_xor_b32_e32 v54, vcc_hi, v5
	v_xor_b32_e32 v5, vcc_lo, v5
	v_and_b32_e32 v7, v7, v5
	v_lshlrev_b32_e32 v5, 29, v6
	v_cmp_gt_i64_e32 vcc, 0, v[4:5]
	v_not_b32_e32 v5, v5
	v_ashrrev_i32_e32 v5, 31, v5
	v_and_b32_e32 v52, v52, v54
	v_xor_b32_e32 v54, vcc_hi, v5
	v_xor_b32_e32 v5, vcc_lo, v5
	v_and_b32_e32 v7, v7, v5
	v_lshlrev_b32_e32 v5, 28, v6
	v_cmp_gt_i64_e32 vcc, 0, v[4:5]
	v_not_b32_e32 v5, v5
	v_ashrrev_i32_e32 v5, 31, v5
	v_and_b32_e32 v52, v52, v54
	;; [unrolled: 8-line block ×5, first 2 shown]
	v_xor_b32_e32 v54, vcc_hi, v5
	v_xor_b32_e32 v5, vcc_lo, v5
	v_and_b32_e32 v52, v52, v54
	v_and_b32_e32 v54, v7, v5
	v_lshlrev_b32_e32 v5, 24, v6
	v_cmp_gt_i64_e32 vcc, 0, v[4:5]
	v_not_b32_e32 v5, v5
	v_ashrrev_i32_e32 v5, 31, v5
	v_xor_b32_e32 v6, vcc_hi, v5
	v_xor_b32_e32 v5, vcc_lo, v5
	; wave barrier
	ds_read_b32 v50, v53 offset:64
	v_and_b32_e32 v7, v52, v6
	v_and_b32_e32 v6, v54, v5
	v_mbcnt_lo_u32_b32 v5, v6, 0
	v_mbcnt_hi_u32_b32 v52, v7, v5
	v_cmp_eq_u32_e32 vcc, 0, v52
	v_cmp_ne_u64_e64 s[2:3], 0, v[6:7]
	s_and_b64 s[8:9], s[2:3], vcc
	; wave barrier
	s_and_saveexec_b64 s[2:3], s[8:9]
	s_cbranch_execz .LBB1768_51
; %bb.50:
	v_bcnt_u32_b32 v5, v6, 0
	v_bcnt_u32_b32 v5, v7, v5
	s_waitcnt lgkmcnt(0)
	v_add_u32_e32 v5, v50, v5
	ds_write_b32 v53, v5 offset:64
.LBB1768_51:
	s_or_b64 exec, exec, s[2:3]
	v_xor_b32_e32 v20, 0x80000000, v20
	v_lshrrev_b32_e32 v5, s20, v20
	v_and_b32_e32 v6, s31, v5
	v_lshl_add_u32 v5, v6, 4, v6
	v_add_lshl_u32 v55, v29, v5, 2
	v_and_b32_e32 v5, 1, v6
	v_add_co_u32_e32 v7, vcc, -1, v5
	v_addc_co_u32_e64 v54, s[2:3], 0, -1, vcc
	v_cmp_ne_u32_e32 vcc, 0, v5
	v_xor_b32_e32 v5, vcc_hi, v54
	v_and_b32_e32 v54, exec_hi, v5
	v_lshlrev_b32_e32 v5, 30, v6
	v_xor_b32_e32 v7, vcc_lo, v7
	v_cmp_gt_i64_e32 vcc, 0, v[4:5]
	v_not_b32_e32 v5, v5
	v_ashrrev_i32_e32 v5, 31, v5
	v_and_b32_e32 v7, exec_lo, v7
	v_xor_b32_e32 v57, vcc_hi, v5
	v_xor_b32_e32 v5, vcc_lo, v5
	v_and_b32_e32 v7, v7, v5
	v_lshlrev_b32_e32 v5, 29, v6
	v_cmp_gt_i64_e32 vcc, 0, v[4:5]
	v_not_b32_e32 v5, v5
	v_ashrrev_i32_e32 v5, 31, v5
	v_and_b32_e32 v54, v54, v57
	v_xor_b32_e32 v57, vcc_hi, v5
	v_xor_b32_e32 v5, vcc_lo, v5
	v_and_b32_e32 v7, v7, v5
	v_lshlrev_b32_e32 v5, 28, v6
	v_cmp_gt_i64_e32 vcc, 0, v[4:5]
	v_not_b32_e32 v5, v5
	v_ashrrev_i32_e32 v5, 31, v5
	v_and_b32_e32 v54, v54, v57
	;; [unrolled: 8-line block ×5, first 2 shown]
	v_xor_b32_e32 v57, vcc_hi, v5
	v_xor_b32_e32 v5, vcc_lo, v5
	v_and_b32_e32 v7, v7, v5
	v_lshlrev_b32_e32 v5, 24, v6
	v_cmp_gt_i64_e32 vcc, 0, v[4:5]
	v_not_b32_e32 v4, v5
	v_ashrrev_i32_e32 v4, 31, v4
	v_xor_b32_e32 v5, vcc_hi, v4
	v_xor_b32_e32 v4, vcc_lo, v4
	; wave barrier
	ds_read_b32 v29, v55 offset:64
	v_and_b32_e32 v54, v54, v57
	v_and_b32_e32 v4, v7, v4
	v_and_b32_e32 v5, v54, v5
	v_mbcnt_lo_u32_b32 v6, v4, 0
	v_mbcnt_hi_u32_b32 v54, v5, v6
	v_cmp_eq_u32_e32 vcc, 0, v54
	v_cmp_ne_u64_e64 s[2:3], 0, v[4:5]
	v_add_u32_e32 v56, 64, v9
	s_and_b64 s[8:9], s[2:3], vcc
	; wave barrier
	s_and_saveexec_b64 s[2:3], s[8:9]
	s_cbranch_execz .LBB1768_53
; %bb.52:
	v_bcnt_u32_b32 v4, v4, 0
	v_bcnt_u32_b32 v4, v5, v4
	s_waitcnt lgkmcnt(0)
	v_add_u32_e32 v4, v29, v4
	ds_write_b32 v55, v4 offset:64
.LBB1768_53:
	s_or_b64 exec, exec, s[2:3]
	; wave barrier
	s_waitcnt lgkmcnt(0)
	s_barrier
	ds_read2_b32 v[6:7], v9 offset0:16 offset1:17
	ds_read2_b32 v[4:5], v56 offset0:2 offset1:3
	ds_read_b32 v57, v56 offset:16
	v_cmp_lt_u32_e64 s[12:13], 31, v8
	s_waitcnt lgkmcnt(1)
	v_add3_u32 v58, v7, v6, v4
	s_waitcnt lgkmcnt(0)
	v_add3_u32 v57, v58, v5, v57
	v_and_b32_e32 v58, 15, v8
	v_cmp_eq_u32_e32 vcc, 0, v58
	v_mov_b32_dpp v59, v57 row_shr:1 row_mask:0xf bank_mask:0xf
	v_cndmask_b32_e64 v59, v59, 0, vcc
	v_add_u32_e32 v57, v59, v57
	v_cmp_lt_u32_e64 s[2:3], 1, v58
	v_cmp_lt_u32_e64 s[10:11], 3, v58
	v_mov_b32_dpp v59, v57 row_shr:2 row_mask:0xf bank_mask:0xf
	v_cndmask_b32_e64 v59, 0, v59, s[2:3]
	v_add_u32_e32 v57, v57, v59
	v_cmp_lt_u32_e64 s[8:9], 7, v58
	s_nop 0
	v_mov_b32_dpp v59, v57 row_shr:4 row_mask:0xf bank_mask:0xf
	v_cndmask_b32_e64 v59, 0, v59, s[10:11]
	v_add_u32_e32 v57, v57, v59
	s_nop 1
	v_mov_b32_dpp v59, v57 row_shr:8 row_mask:0xf bank_mask:0xf
	v_cndmask_b32_e64 v58, 0, v59, s[8:9]
	v_add_u32_e32 v57, v57, v58
	v_bfe_i32 v59, v8, 4, 1
	s_nop 0
	v_mov_b32_dpp v58, v57 row_bcast:15 row_mask:0xf bank_mask:0xf
	v_and_b32_e32 v58, v59, v58
	v_add_u32_e32 v57, v57, v58
	v_and_b32_e32 v59, 63, v2
	s_nop 0
	v_mov_b32_dpp v58, v57 row_bcast:31 row_mask:0xf bank_mask:0xf
	v_cndmask_b32_e64 v58, 0, v58, s[12:13]
	v_add_u32_e32 v57, v57, v58
	v_lshrrev_b32_e32 v58, 6, v2
	v_cmp_eq_u32_e64 s[12:13], 63, v59
	s_and_saveexec_b64 s[22:23], s[12:13]
	s_cbranch_execz .LBB1768_55
; %bb.54:
	v_lshlrev_b32_e32 v59, 2, v58
	ds_write_b32 v59, v57
.LBB1768_55:
	s_or_b64 exec, exec, s[22:23]
	v_cmp_gt_u32_e64 s[12:13], 16, v2
	s_waitcnt lgkmcnt(0)
	s_barrier
	s_and_saveexec_b64 s[22:23], s[12:13]
	s_cbranch_execz .LBB1768_57
; %bb.56:
	v_lshlrev_b32_e32 v59, 2, v2
	ds_read_b32 v60, v59
	s_waitcnt lgkmcnt(0)
	s_nop 0
	v_mov_b32_dpp v61, v60 row_shr:1 row_mask:0xf bank_mask:0xf
	v_cndmask_b32_e64 v61, v61, 0, vcc
	v_add_u32_e32 v60, v61, v60
	s_nop 1
	v_mov_b32_dpp v61, v60 row_shr:2 row_mask:0xf bank_mask:0xf
	v_cndmask_b32_e64 v61, 0, v61, s[2:3]
	v_add_u32_e32 v60, v60, v61
	s_nop 1
	v_mov_b32_dpp v61, v60 row_shr:4 row_mask:0xf bank_mask:0xf
	v_cndmask_b32_e64 v61, 0, v61, s[10:11]
	;; [unrolled: 4-line block ×3, first 2 shown]
	v_add_u32_e32 v60, v60, v61
	ds_write_b32 v59, v60
.LBB1768_57:
	s_or_b64 exec, exec, s[22:23]
	v_cmp_lt_u32_e32 vcc, 63, v2
	v_mov_b32_e32 v59, 0
	s_waitcnt lgkmcnt(0)
	s_barrier
	s_and_saveexec_b64 s[2:3], vcc
	s_cbranch_execz .LBB1768_59
; %bb.58:
	v_lshl_add_u32 v58, v58, 2, -4
	ds_read_b32 v59, v58
.LBB1768_59:
	s_or_b64 exec, exec, s[2:3]
	v_add_u32_e32 v58, -1, v8
	v_and_b32_e32 v60, 64, v8
	v_cmp_lt_i32_e32 vcc, v58, v60
	v_cndmask_b32_e32 v58, v58, v8, vcc
	s_waitcnt lgkmcnt(0)
	v_add_u32_e32 v57, v59, v57
	v_lshlrev_b32_e32 v58, 2, v58
	ds_bpermute_b32 v57, v58, v57
	v_cmp_eq_u32_e32 vcc, 0, v8
	s_movk_i32 s2, 0x100
	s_waitcnt lgkmcnt(0)
	v_cndmask_b32_e32 v8, v57, v59, vcc
	v_cndmask_b32_e64 v8, v8, 0, s[0:1]
	v_add_u32_e32 v6, v8, v6
	v_add_u32_e32 v7, v6, v7
	;; [unrolled: 1-line block ×4, first 2 shown]
	ds_write2_b32 v9, v8, v6 offset0:16 offset1:17
	ds_write2_b32 v56, v7, v4 offset0:2 offset1:3
	ds_write_b32 v56, v5 offset:16
	s_waitcnt lgkmcnt(0)
	s_barrier
	ds_read_b32 v60, v18 offset:64
	ds_read_b32 v56, v19 offset:64
	;; [unrolled: 1-line block ×12, first 2 shown]
	v_cmp_gt_u32_e32 vcc, s2, v2
                                        ; implicit-def: $vgpr18
                                        ; implicit-def: $vgpr19
	s_and_saveexec_b64 s[8:9], vcc
	s_cbranch_execz .LBB1768_63
; %bb.60:
	v_mul_u32_u24_e32 v4, 17, v2
	v_lshlrev_b32_e32 v5, 2, v4
	ds_read_b32 v18, v5 offset:64
	s_movk_i32 s2, 0xff
	v_cmp_ne_u32_e64 s[2:3], s2, v2
	v_mov_b32_e32 v4, 0x3000
	s_and_saveexec_b64 s[10:11], s[2:3]
	s_cbranch_execz .LBB1768_62
; %bb.61:
	ds_read_b32 v4, v5 offset:132
.LBB1768_62:
	s_or_b64 exec, exec, s[10:11]
	s_waitcnt lgkmcnt(0)
	v_sub_u32_e32 v19, v4, v18
.LBB1768_63:
	s_or_b64 exec, exec, s[8:9]
	s_waitcnt lgkmcnt(0)
	s_barrier
	s_and_saveexec_b64 s[8:9], vcc
	s_cbranch_execz .LBB1768_73
; %bb.64:
	v_lshl_or_b32 v4, s30, 8, v2
	v_mov_b32_e32 v5, 0
	v_lshlrev_b64 v[6:7], 2, v[4:5]
	v_mov_b32_e32 v51, s15
	v_add_co_u32_e64 v6, s[2:3], s14, v6
	v_addc_co_u32_e64 v7, s[2:3], v51, v7, s[2:3]
	v_or_b32_e32 v4, 2.0, v19
	s_mov_b64 s[10:11], 0
	s_brev_b32 s33, 1
	s_mov_b32 s34, s30
	v_mov_b32_e32 v53, 0
	global_store_dword v[6:7], v4, off
                                        ; implicit-def: $sgpr2_sgpr3
	s_branch .LBB1768_66
.LBB1768_65:                            ;   in Loop: Header=BB1768_66 Depth=1
	s_or_b64 exec, exec, s[12:13]
	v_and_b32_e32 v8, 0x3fffffff, v55
	v_add_u32_e32 v53, v8, v53
	v_cmp_eq_u32_e64 s[2:3], s33, v4
	s_and_b64 s[12:13], exec, s[2:3]
	s_or_b64 s[10:11], s[12:13], s[10:11]
	s_andn2_b64 exec, exec, s[10:11]
	s_cbranch_execz .LBB1768_72
.LBB1768_66:                            ; =>This Loop Header: Depth=1
                                        ;     Child Loop BB1768_69 Depth 2
	s_or_b64 s[2:3], s[2:3], exec
	s_cmp_eq_u32 s34, 0
	s_cbranch_scc1 .LBB1768_71
; %bb.67:                               ;   in Loop: Header=BB1768_66 Depth=1
	s_add_i32 s34, s34, -1
	v_lshl_or_b32 v4, s34, 8, v2
	v_lshlrev_b64 v[8:9], 2, v[4:5]
	v_add_co_u32_e64 v8, s[2:3], s14, v8
	v_addc_co_u32_e64 v9, s[2:3], v51, v9, s[2:3]
	global_load_dword v55, v[8:9], off glc
	s_waitcnt vmcnt(0)
	v_and_b32_e32 v4, -2.0, v55
	v_cmp_eq_u32_e64 s[2:3], 0, v4
	s_and_saveexec_b64 s[12:13], s[2:3]
	s_cbranch_execz .LBB1768_65
; %bb.68:                               ;   in Loop: Header=BB1768_66 Depth=1
	s_mov_b64 s[22:23], 0
.LBB1768_69:                            ;   Parent Loop BB1768_66 Depth=1
                                        ; =>  This Inner Loop Header: Depth=2
	global_load_dword v55, v[8:9], off glc
	s_waitcnt vmcnt(0)
	v_and_b32_e32 v4, -2.0, v55
	v_cmp_ne_u32_e64 s[2:3], 0, v4
	s_or_b64 s[22:23], s[2:3], s[22:23]
	s_andn2_b64 exec, exec, s[22:23]
	s_cbranch_execnz .LBB1768_69
; %bb.70:                               ;   in Loop: Header=BB1768_66 Depth=1
	s_or_b64 exec, exec, s[22:23]
	s_branch .LBB1768_65
.LBB1768_71:                            ;   in Loop: Header=BB1768_66 Depth=1
                                        ; implicit-def: $sgpr34
	s_and_b64 s[12:13], exec, s[2:3]
	s_or_b64 s[10:11], s[12:13], s[10:11]
	s_andn2_b64 exec, exec, s[10:11]
	s_cbranch_execnz .LBB1768_66
.LBB1768_72:
	s_or_b64 exec, exec, s[10:11]
	v_add_u32_e32 v4, v53, v19
	v_or_b32_e32 v4, 0x80000000, v4
	global_store_dword v[6:7], v4, off
	v_lshlrev_b32_e32 v4, 2, v2
	global_load_dword v5, v4, s[16:17]
	v_sub_u32_e32 v6, v53, v18
	s_waitcnt vmcnt(0)
	v_add_u32_e32 v5, v6, v5
	ds_write_b32 v4, v5
.LBB1768_73:
	s_or_b64 exec, exec, s[8:9]
	v_lshlrev_b32_e32 v7, 2, v2
	v_add_u32_e32 v6, v60, v12
	s_movk_i32 s10, 0x400
	v_add_u32_e32 v8, 0x400, v7
	v_add3_u32 v9, v54, v48, v29
	v_add3_u32 v12, v52, v45, v50
	;; [unrolled: 1-line block ×11, first 2 shown]
	s_mov_b32 s11, 0
	v_mov_b32_e32 v5, 0
	s_movk_i32 s12, 0x800
	s_movk_i32 s13, 0xc00
	v_mov_b32_e32 v15, v2
	s_branch .LBB1768_75
.LBB1768_74:                            ;   in Loop: Header=BB1768_75 Depth=1
	s_or_b64 exec, exec, s[8:9]
	s_addk_i32 s11, 0xf000
	s_cmpk_eq_i32 s11, 0xd000
	v_add_u32_e32 v15, 0x1000, v15
	s_barrier
	s_cbranch_scc1 .LBB1768_84
.LBB1768_75:                            ; =>This Inner Loop Header: Depth=1
	v_add_u32_e32 v4, s11, v6
	v_min_u32_e32 v4, 0x1000, v4
	v_lshlrev_b32_e32 v4, 2, v4
	ds_write_b32 v4, v3 offset:1024
	v_add_u32_e32 v4, s11, v13
	v_min_u32_e32 v4, 0x1000, v4
	v_lshlrev_b32_e32 v4, 2, v4
	ds_write_b32 v4, v10 offset:1024
	v_add_u32_e32 v4, s11, v16
	v_min_u32_e32 v4, 0x1000, v4
	v_lshlrev_b32_e32 v4, 2, v4
	ds_write_b32 v4, v11 offset:1024
	v_add_u32_e32 v4, s11, v22
	v_min_u32_e32 v4, 0x1000, v4
	v_lshlrev_b32_e32 v4, 2, v4
	ds_write_b32 v4, v14 offset:1024
	v_add_u32_e32 v4, s11, v27
	v_min_u32_e32 v4, 0x1000, v4
	v_lshlrev_b32_e32 v4, 2, v4
	ds_write_b32 v4, v17 offset:1024
	v_add_u32_e32 v4, s11, v33
	v_min_u32_e32 v4, 0x1000, v4
	v_lshlrev_b32_e32 v4, 2, v4
	ds_write_b32 v4, v23 offset:1024
	v_add_u32_e32 v4, s11, v36
	v_min_u32_e32 v4, 0x1000, v4
	v_lshlrev_b32_e32 v4, 2, v4
	ds_write_b32 v4, v28 offset:1024
	v_add_u32_e32 v4, s11, v31
	v_min_u32_e32 v4, 0x1000, v4
	v_lshlrev_b32_e32 v4, 2, v4
	ds_write_b32 v4, v34 offset:1024
	v_add_u32_e32 v4, s11, v29
	v_min_u32_e32 v4, 0x1000, v4
	v_lshlrev_b32_e32 v4, 2, v4
	ds_write_b32 v4, v35 offset:1024
	v_add_u32_e32 v4, s11, v24
	v_min_u32_e32 v4, 0x1000, v4
	v_lshlrev_b32_e32 v4, 2, v4
	ds_write_b32 v4, v30 offset:1024
	v_add_u32_e32 v4, s11, v12
	v_min_u32_e32 v4, 0x1000, v4
	v_lshlrev_b32_e32 v4, 2, v4
	ds_write_b32 v4, v25 offset:1024
	v_add_u32_e32 v4, s11, v9
	v_min_u32_e32 v4, 0x1000, v4
	v_lshlrev_b32_e32 v4, 2, v4
	v_cmp_gt_u32_e64 s[2:3], s7, v15
	ds_write_b32 v4, v20 offset:1024
	s_waitcnt lgkmcnt(0)
	s_barrier
	s_and_saveexec_b64 s[8:9], s[2:3]
	s_cbranch_execz .LBB1768_77
; %bb.76:                               ;   in Loop: Header=BB1768_75 Depth=1
	ds_read_b32 v4, v7 offset:1024
	v_mov_b32_e32 v26, s27
	s_waitcnt lgkmcnt(0)
	v_lshrrev_b32_e32 v21, s20, v4
	v_and_b32_e32 v21, s31, v21
	v_lshlrev_b32_e32 v21, 2, v21
	ds_read_b32 v21, v21
	v_xor_b32_e32 v32, 0x80000000, v4
	s_waitcnt lgkmcnt(0)
	v_add_u32_e32 v4, v15, v21
	v_lshlrev_b64 v[38:39], 2, v[4:5]
	v_add_co_u32_e64 v38, s[2:3], s26, v38
	v_addc_co_u32_e64 v39, s[2:3], v26, v39, s[2:3]
	global_store_dword v[38:39], v32, off
.LBB1768_77:                            ;   in Loop: Header=BB1768_75 Depth=1
	s_or_b64 exec, exec, s[8:9]
	v_add_u32_e32 v4, 0x400, v15
	v_cmp_gt_u32_e64 s[2:3], s7, v4
	s_and_saveexec_b64 s[8:9], s[2:3]
	s_cbranch_execz .LBB1768_79
; %bb.78:                               ;   in Loop: Header=BB1768_75 Depth=1
	ds_read_b32 v4, v8 offset:4096
	v_mov_b32_e32 v26, s27
	s_waitcnt lgkmcnt(0)
	v_lshrrev_b32_e32 v21, s20, v4
	v_and_b32_e32 v21, s31, v21
	v_lshlrev_b32_e32 v21, 2, v21
	ds_read_b32 v21, v21
	v_xor_b32_e32 v32, 0x80000000, v4
	s_waitcnt lgkmcnt(0)
	v_add3_u32 v4, v15, v21, s10
	v_lshlrev_b64 v[38:39], 2, v[4:5]
	v_add_co_u32_e64 v38, s[2:3], s26, v38
	v_addc_co_u32_e64 v39, s[2:3], v26, v39, s[2:3]
	global_store_dword v[38:39], v32, off
.LBB1768_79:                            ;   in Loop: Header=BB1768_75 Depth=1
	s_or_b64 exec, exec, s[8:9]
	v_add_u32_e32 v4, 0x800, v15
	v_cmp_gt_u32_e64 s[2:3], s7, v4
	s_and_saveexec_b64 s[8:9], s[2:3]
	s_cbranch_execz .LBB1768_81
; %bb.80:                               ;   in Loop: Header=BB1768_75 Depth=1
	ds_read_b32 v4, v8 offset:8192
	v_mov_b32_e32 v26, s27
	s_waitcnt lgkmcnt(0)
	v_lshrrev_b32_e32 v21, s20, v4
	v_and_b32_e32 v21, s31, v21
	v_lshlrev_b32_e32 v21, 2, v21
	ds_read_b32 v21, v21
	v_xor_b32_e32 v32, 0x80000000, v4
	s_waitcnt lgkmcnt(0)
	v_add3_u32 v4, v15, v21, s12
	v_lshlrev_b64 v[38:39], 2, v[4:5]
	v_add_co_u32_e64 v38, s[2:3], s26, v38
	v_addc_co_u32_e64 v39, s[2:3], v26, v39, s[2:3]
	global_store_dword v[38:39], v32, off
.LBB1768_81:                            ;   in Loop: Header=BB1768_75 Depth=1
	s_or_b64 exec, exec, s[8:9]
	v_add_u32_e32 v4, 0xc00, v15
	v_cmp_gt_u32_e64 s[2:3], s7, v4
	s_and_saveexec_b64 s[8:9], s[2:3]
	s_cbranch_execz .LBB1768_74
; %bb.82:                               ;   in Loop: Header=BB1768_75 Depth=1
	ds_read_b32 v4, v8 offset:12288
	v_mov_b32_e32 v26, s27
	s_waitcnt lgkmcnt(0)
	v_lshrrev_b32_e32 v21, s20, v4
	v_and_b32_e32 v21, s31, v21
	v_lshlrev_b32_e32 v21, 2, v21
	ds_read_b32 v21, v21
	v_xor_b32_e32 v32, 0x80000000, v4
	s_waitcnt lgkmcnt(0)
	v_add3_u32 v4, v15, v21, s13
	v_lshlrev_b64 v[38:39], 2, v[4:5]
	v_add_co_u32_e64 v38, s[2:3], s26, v38
	v_addc_co_u32_e64 v39, s[2:3], v26, v39, s[2:3]
	global_store_dword v[38:39], v32, off
	s_branch .LBB1768_74
.LBB1768_83:
	s_mov_b64 s[10:11], 0
                                        ; implicit-def: $vgpr3
	s_cbranch_execnz .LBB1768_87
	s_branch .LBB1768_136
.LBB1768_84:
	s_add_i32 s29, s29, -1
	s_cmp_eq_u32 s29, s30
	s_cselect_b64 s[2:3], -1, 0
	s_and_b64 s[8:9], vcc, s[2:3]
	s_mov_b64 s[2:3], 0
	s_mov_b64 s[10:11], 0
                                        ; implicit-def: $vgpr3
	s_and_saveexec_b64 s[12:13], s[8:9]
	s_xor_b64 s[8:9], exec, s[12:13]
; %bb.85:
	s_mov_b64 s[10:11], exec
	v_add_u32_e32 v3, v18, v19
; %bb.86:
	s_or_b64 exec, exec, s[8:9]
	s_and_b64 vcc, exec, s[2:3]
	s_cbranch_vccz .LBB1768_136
.LBB1768_87:
	s_mov_b32 s29, 0
	v_mbcnt_hi_u32_b32 v6, -1, v1
	s_lshl_b64 s[2:3], s[28:29], 2
	v_and_b32_e32 v1, 63, v6
	s_add_u32 s2, s24, s2
	v_lshlrev_b32_e32 v1, 2, v1
	v_add_co_u32_e32 v1, vcc, s2, v1
	s_load_dword s22, s[4:5], 0x58
	s_load_dword s2, s[4:5], 0x64
	s_addc_u32 s3, s25, s3
	v_and_b32_e32 v3, 0x3c0, v2
	v_mul_u32_u24_e32 v3, 12, v3
	v_mov_b32_e32 v5, s3
	v_addc_co_u32_e32 v5, vcc, 0, v5, vcc
	v_lshlrev_b32_e32 v3, 2, v3
	s_add_u32 s3, s4, 0x58
	v_add_co_u32_e32 v12, vcc, v1, v3
	s_addc_u32 s4, s5, 0
	s_waitcnt lgkmcnt(0)
	s_lshr_b32 s5, s2, 16
	v_addc_co_u32_e32 v13, vcc, 0, v5, vcc
	s_cmp_lt_u32 s6, s22
	global_load_dword v1, v[12:13], off
	s_cselect_b32 s2, 12, 18
	s_add_u32 s2, s3, s2
	v_mov_b32_e32 v4, 0
	s_addc_u32 s3, s4, 0
	global_load_ushort v5, v4, s[2:3]
	v_mul_u32_u24_e32 v7, 5, v2
	v_lshlrev_b32_e32 v7, 2, v7
	ds_write2_b32 v7, v4, v4 offset0:16 offset1:17
	ds_write2_b32 v7, v4, v4 offset0:18 offset1:19
	ds_write_b32 v7, v4 offset:80
	global_load_dword v8, v[12:13], off offset:256
	global_load_dword v9, v[12:13], off offset:512
	;; [unrolled: 1-line block ×11, first 2 shown]
	v_bfe_u32 v3, v0, 10, 10
	v_bfe_u32 v0, v0, 20, 10
	v_mad_u32_u24 v0, v0, s5, v3
	s_lshl_b32 s2, -1, s21
	s_not_b32 s21, s2
	s_waitcnt lgkmcnt(0)
	s_barrier
	s_waitcnt lgkmcnt(0)
	; wave barrier
	s_waitcnt vmcnt(12)
	v_xor_b32_e32 v3, 0x80000000, v1
	v_lshrrev_b32_e32 v1, s20, v3
	v_and_b32_e32 v10, s21, v1
	v_and_b32_e32 v12, 1, v10
	s_waitcnt vmcnt(11)
	v_mad_u64_u32 v[0:1], s[2:3], v0, v5, v[2:3]
	v_lshrrev_b32_e32 v22, 6, v0
	v_add_co_u32_e32 v0, vcc, -1, v12
	v_lshlrev_b32_e32 v5, 30, v10
	v_addc_co_u32_e64 v14, s[2:3], 0, -1, vcc
	v_lshl_add_u32 v1, v10, 4, v10
	v_cmp_ne_u32_e32 vcc, 0, v12
	v_cmp_gt_i64_e64 s[2:3], 0, v[4:5]
	v_not_b32_e32 v12, v5
	v_lshlrev_b32_e32 v5, 29, v10
	v_add_lshl_u32 v13, v22, v1, 2
	v_xor_b32_e32 v1, vcc_hi, v14
	v_xor_b32_e32 v0, vcc_lo, v0
	v_ashrrev_i32_e32 v12, 31, v12
	v_cmp_gt_i64_e32 vcc, 0, v[4:5]
	v_not_b32_e32 v14, v5
	v_lshlrev_b32_e32 v5, 28, v10
	v_and_b32_e32 v1, exec_hi, v1
	v_and_b32_e32 v0, exec_lo, v0
	v_xor_b32_e32 v16, s3, v12
	v_xor_b32_e32 v12, s2, v12
	v_ashrrev_i32_e32 v14, 31, v14
	v_cmp_gt_i64_e64 s[2:3], 0, v[4:5]
	v_not_b32_e32 v5, v5
	v_and_b32_e32 v1, v1, v16
	v_and_b32_e32 v0, v0, v12
	v_xor_b32_e32 v12, vcc_hi, v14
	v_xor_b32_e32 v14, vcc_lo, v14
	v_ashrrev_i32_e32 v5, 31, v5
	v_and_b32_e32 v1, v1, v12
	v_and_b32_e32 v0, v0, v14
	v_xor_b32_e32 v12, s3, v5
	v_xor_b32_e32 v5, s2, v5
	v_and_b32_e32 v0, v0, v5
	v_lshlrev_b32_e32 v5, 27, v10
	v_cmp_gt_i64_e32 vcc, 0, v[4:5]
	v_not_b32_e32 v5, v5
	v_ashrrev_i32_e32 v5, 31, v5
	v_and_b32_e32 v1, v1, v12
	v_xor_b32_e32 v12, vcc_hi, v5
	v_xor_b32_e32 v5, vcc_lo, v5
	v_and_b32_e32 v0, v0, v5
	v_lshlrev_b32_e32 v5, 26, v10
	v_cmp_gt_i64_e32 vcc, 0, v[4:5]
	v_not_b32_e32 v5, v5
	v_ashrrev_i32_e32 v5, 31, v5
	v_and_b32_e32 v1, v1, v12
	v_xor_b32_e32 v12, vcc_hi, v5
	v_xor_b32_e32 v5, vcc_lo, v5
	;; [unrolled: 8-line block ×3, first 2 shown]
	v_and_b32_e32 v0, v0, v5
	v_lshlrev_b32_e32 v5, 24, v10
	v_cmp_gt_i64_e32 vcc, 0, v[4:5]
	v_not_b32_e32 v5, v5
	v_ashrrev_i32_e32 v5, 31, v5
	v_xor_b32_e32 v10, vcc_hi, v5
	v_xor_b32_e32 v5, vcc_lo, v5
	v_and_b32_e32 v1, v1, v12
	v_and_b32_e32 v0, v0, v5
	;; [unrolled: 1-line block ×3, first 2 shown]
	v_mbcnt_lo_u32_b32 v5, v0, 0
	v_mbcnt_hi_u32_b32 v10, v1, v5
	v_cmp_eq_u32_e32 vcc, 0, v10
	v_cmp_ne_u64_e64 s[2:3], 0, v[0:1]
	s_and_b64 s[4:5], s[2:3], vcc
	s_and_saveexec_b64 s[2:3], s[4:5]
	s_cbranch_execz .LBB1768_89
; %bb.88:
	v_bcnt_u32_b32 v0, v0, 0
	v_bcnt_u32_b32 v0, v1, v0
	ds_write_b32 v13, v0 offset:64
.LBB1768_89:
	s_or_b64 exec, exec, s[2:3]
	s_waitcnt vmcnt(10)
	v_xor_b32_e32 v8, 0x80000000, v8
	v_lshrrev_b32_e32 v0, s20, v8
	v_and_b32_e32 v0, s21, v0
	v_lshl_add_u32 v1, v0, 4, v0
	v_add_lshl_u32 v17, v22, v1, 2
	v_and_b32_e32 v1, 1, v0
	v_add_co_u32_e32 v5, vcc, -1, v1
	v_addc_co_u32_e64 v14, s[2:3], 0, -1, vcc
	v_cmp_ne_u32_e32 vcc, 0, v1
	v_xor_b32_e32 v5, vcc_lo, v5
	v_xor_b32_e32 v1, vcc_hi, v14
	v_and_b32_e32 v14, exec_lo, v5
	v_lshlrev_b32_e32 v5, 30, v0
	v_cmp_gt_i64_e32 vcc, 0, v[4:5]
	v_not_b32_e32 v5, v5
	v_ashrrev_i32_e32 v5, 31, v5
	v_xor_b32_e32 v16, vcc_hi, v5
	v_xor_b32_e32 v5, vcc_lo, v5
	v_and_b32_e32 v14, v14, v5
	v_lshlrev_b32_e32 v5, 29, v0
	v_cmp_gt_i64_e32 vcc, 0, v[4:5]
	v_not_b32_e32 v5, v5
	v_and_b32_e32 v1, exec_hi, v1
	v_ashrrev_i32_e32 v5, 31, v5
	v_and_b32_e32 v1, v1, v16
	v_xor_b32_e32 v16, vcc_hi, v5
	v_xor_b32_e32 v5, vcc_lo, v5
	v_and_b32_e32 v14, v14, v5
	v_lshlrev_b32_e32 v5, 28, v0
	v_cmp_gt_i64_e32 vcc, 0, v[4:5]
	v_not_b32_e32 v5, v5
	v_ashrrev_i32_e32 v5, 31, v5
	v_and_b32_e32 v1, v1, v16
	v_xor_b32_e32 v16, vcc_hi, v5
	v_xor_b32_e32 v5, vcc_lo, v5
	v_and_b32_e32 v14, v14, v5
	v_lshlrev_b32_e32 v5, 27, v0
	v_cmp_gt_i64_e32 vcc, 0, v[4:5]
	v_not_b32_e32 v5, v5
	;; [unrolled: 8-line block ×4, first 2 shown]
	v_ashrrev_i32_e32 v5, 31, v5
	v_and_b32_e32 v1, v1, v16
	v_xor_b32_e32 v16, vcc_hi, v5
	v_xor_b32_e32 v5, vcc_lo, v5
	v_and_b32_e32 v14, v14, v5
	v_lshlrev_b32_e32 v5, 24, v0
	v_not_b32_e32 v0, v5
	v_cmp_gt_i64_e32 vcc, 0, v[4:5]
	v_ashrrev_i32_e32 v0, 31, v0
	v_xor_b32_e32 v4, vcc_hi, v0
	v_xor_b32_e32 v0, vcc_lo, v0
	; wave barrier
	ds_read_b32 v12, v17 offset:64
	v_and_b32_e32 v1, v1, v16
	v_and_b32_e32 v0, v14, v0
	;; [unrolled: 1-line block ×3, first 2 shown]
	v_mbcnt_lo_u32_b32 v4, v0, 0
	v_mbcnt_hi_u32_b32 v14, v1, v4
	v_cmp_eq_u32_e32 vcc, 0, v14
	v_cmp_ne_u64_e64 s[2:3], 0, v[0:1]
	s_and_b64 s[4:5], s[2:3], vcc
	; wave barrier
	s_and_saveexec_b64 s[2:3], s[4:5]
	s_cbranch_execz .LBB1768_91
; %bb.90:
	v_bcnt_u32_b32 v0, v0, 0
	v_bcnt_u32_b32 v0, v1, v0
	s_waitcnt lgkmcnt(0)
	v_add_u32_e32 v0, v12, v0
	ds_write_b32 v17, v0 offset:64
.LBB1768_91:
	s_or_b64 exec, exec, s[2:3]
	s_waitcnt vmcnt(9)
	v_xor_b32_e32 v9, 0x80000000, v9
	v_lshrrev_b32_e32 v0, s20, v9
	v_and_b32_e32 v4, s21, v0
	v_and_b32_e32 v1, 1, v4
	v_add_co_u32_e32 v5, vcc, -1, v1
	v_addc_co_u32_e64 v18, s[2:3], 0, -1, vcc
	v_cmp_ne_u32_e32 vcc, 0, v1
	v_lshl_add_u32 v0, v4, 4, v4
	v_xor_b32_e32 v1, vcc_hi, v18
	v_add_lshl_u32 v23, v22, v0, 2
	v_mov_b32_e32 v0, 0
	v_and_b32_e32 v18, exec_hi, v1
	v_lshlrev_b32_e32 v1, 30, v4
	v_xor_b32_e32 v5, vcc_lo, v5
	v_cmp_gt_i64_e32 vcc, 0, v[0:1]
	v_not_b32_e32 v1, v1
	v_ashrrev_i32_e32 v1, 31, v1
	v_and_b32_e32 v5, exec_lo, v5
	v_xor_b32_e32 v20, vcc_hi, v1
	v_xor_b32_e32 v1, vcc_lo, v1
	v_and_b32_e32 v5, v5, v1
	v_lshlrev_b32_e32 v1, 29, v4
	v_cmp_gt_i64_e32 vcc, 0, v[0:1]
	v_not_b32_e32 v1, v1
	v_ashrrev_i32_e32 v1, 31, v1
	v_and_b32_e32 v18, v18, v20
	v_xor_b32_e32 v20, vcc_hi, v1
	v_xor_b32_e32 v1, vcc_lo, v1
	v_and_b32_e32 v5, v5, v1
	v_lshlrev_b32_e32 v1, 28, v4
	v_cmp_gt_i64_e32 vcc, 0, v[0:1]
	v_not_b32_e32 v1, v1
	v_ashrrev_i32_e32 v1, 31, v1
	v_and_b32_e32 v18, v18, v20
	;; [unrolled: 8-line block ×5, first 2 shown]
	v_xor_b32_e32 v20, vcc_hi, v1
	v_xor_b32_e32 v1, vcc_lo, v1
	v_and_b32_e32 v18, v18, v20
	v_and_b32_e32 v20, v5, v1
	v_lshlrev_b32_e32 v1, 24, v4
	v_cmp_gt_i64_e32 vcc, 0, v[0:1]
	v_not_b32_e32 v1, v1
	v_ashrrev_i32_e32 v1, 31, v1
	v_xor_b32_e32 v4, vcc_hi, v1
	v_xor_b32_e32 v1, vcc_lo, v1
	; wave barrier
	ds_read_b32 v16, v23 offset:64
	v_and_b32_e32 v5, v18, v4
	v_and_b32_e32 v4, v20, v1
	v_mbcnt_lo_u32_b32 v1, v4, 0
	v_mbcnt_hi_u32_b32 v18, v5, v1
	v_cmp_eq_u32_e32 vcc, 0, v18
	v_cmp_ne_u64_e64 s[2:3], 0, v[4:5]
	s_and_b64 s[4:5], s[2:3], vcc
	; wave barrier
	s_and_saveexec_b64 s[2:3], s[4:5]
	s_cbranch_execz .LBB1768_93
; %bb.92:
	v_bcnt_u32_b32 v1, v4, 0
	v_bcnt_u32_b32 v1, v5, v1
	s_waitcnt lgkmcnt(0)
	v_add_u32_e32 v1, v16, v1
	ds_write_b32 v23, v1 offset:64
.LBB1768_93:
	s_or_b64 exec, exec, s[2:3]
	s_waitcnt vmcnt(8)
	v_xor_b32_e32 v11, 0x80000000, v11
	v_lshrrev_b32_e32 v1, s20, v11
	v_and_b32_e32 v4, s21, v1
	v_lshl_add_u32 v1, v4, 4, v4
	v_add_lshl_u32 v28, v22, v1, 2
	v_and_b32_e32 v1, 1, v4
	v_add_co_u32_e32 v5, vcc, -1, v1
	v_addc_co_u32_e64 v24, s[2:3], 0, -1, vcc
	v_cmp_ne_u32_e32 vcc, 0, v1
	v_xor_b32_e32 v1, vcc_hi, v24
	v_and_b32_e32 v24, exec_hi, v1
	v_lshlrev_b32_e32 v1, 30, v4
	v_xor_b32_e32 v5, vcc_lo, v5
	v_cmp_gt_i64_e32 vcc, 0, v[0:1]
	v_not_b32_e32 v1, v1
	v_ashrrev_i32_e32 v1, 31, v1
	v_and_b32_e32 v5, exec_lo, v5
	v_xor_b32_e32 v26, vcc_hi, v1
	v_xor_b32_e32 v1, vcc_lo, v1
	v_and_b32_e32 v5, v5, v1
	v_lshlrev_b32_e32 v1, 29, v4
	v_cmp_gt_i64_e32 vcc, 0, v[0:1]
	v_not_b32_e32 v1, v1
	v_ashrrev_i32_e32 v1, 31, v1
	v_and_b32_e32 v24, v24, v26
	v_xor_b32_e32 v26, vcc_hi, v1
	v_xor_b32_e32 v1, vcc_lo, v1
	v_and_b32_e32 v5, v5, v1
	v_lshlrev_b32_e32 v1, 28, v4
	v_cmp_gt_i64_e32 vcc, 0, v[0:1]
	v_not_b32_e32 v1, v1
	v_ashrrev_i32_e32 v1, 31, v1
	v_and_b32_e32 v24, v24, v26
	v_xor_b32_e32 v26, vcc_hi, v1
	v_xor_b32_e32 v1, vcc_lo, v1
	v_and_b32_e32 v5, v5, v1
	v_lshlrev_b32_e32 v1, 27, v4
	v_cmp_gt_i64_e32 vcc, 0, v[0:1]
	v_not_b32_e32 v1, v1
	v_ashrrev_i32_e32 v1, 31, v1
	v_and_b32_e32 v24, v24, v26
	v_xor_b32_e32 v26, vcc_hi, v1
	v_xor_b32_e32 v1, vcc_lo, v1
	v_and_b32_e32 v5, v5, v1
	v_lshlrev_b32_e32 v1, 26, v4
	v_cmp_gt_i64_e32 vcc, 0, v[0:1]
	v_not_b32_e32 v1, v1
	v_ashrrev_i32_e32 v1, 31, v1
	v_and_b32_e32 v24, v24, v26
	v_xor_b32_e32 v26, vcc_hi, v1
	v_xor_b32_e32 v1, vcc_lo, v1
	v_and_b32_e32 v5, v5, v1
	v_lshlrev_b32_e32 v1, 25, v4
	v_cmp_gt_i64_e32 vcc, 0, v[0:1]
	v_not_b32_e32 v1, v1
	v_ashrrev_i32_e32 v1, 31, v1
	v_and_b32_e32 v24, v24, v26
	v_xor_b32_e32 v26, vcc_hi, v1
	v_xor_b32_e32 v1, vcc_lo, v1
	v_and_b32_e32 v5, v5, v1
	v_lshlrev_b32_e32 v1, 24, v4
	v_cmp_gt_i64_e32 vcc, 0, v[0:1]
	v_not_b32_e32 v0, v1
	v_ashrrev_i32_e32 v0, 31, v0
	v_xor_b32_e32 v1, vcc_hi, v0
	v_xor_b32_e32 v0, vcc_lo, v0
	; wave barrier
	ds_read_b32 v20, v28 offset:64
	v_and_b32_e32 v24, v24, v26
	v_and_b32_e32 v0, v5, v0
	;; [unrolled: 1-line block ×3, first 2 shown]
	v_mbcnt_lo_u32_b32 v4, v0, 0
	v_mbcnt_hi_u32_b32 v24, v1, v4
	v_cmp_eq_u32_e32 vcc, 0, v24
	v_cmp_ne_u64_e64 s[2:3], 0, v[0:1]
	s_and_b64 s[4:5], s[2:3], vcc
	; wave barrier
	s_and_saveexec_b64 s[2:3], s[4:5]
	s_cbranch_execz .LBB1768_95
; %bb.94:
	v_bcnt_u32_b32 v0, v0, 0
	v_bcnt_u32_b32 v0, v1, v0
	s_waitcnt lgkmcnt(0)
	v_add_u32_e32 v0, v20, v0
	ds_write_b32 v28, v0 offset:64
.LBB1768_95:
	s_or_b64 exec, exec, s[2:3]
	s_waitcnt vmcnt(7)
	v_xor_b32_e32 v15, 0x80000000, v15
	v_lshrrev_b32_e32 v0, s20, v15
	v_and_b32_e32 v4, s21, v0
	v_and_b32_e32 v1, 1, v4
	v_add_co_u32_e32 v5, vcc, -1, v1
	v_addc_co_u32_e64 v29, s[2:3], 0, -1, vcc
	v_cmp_ne_u32_e32 vcc, 0, v1
	v_lshl_add_u32 v0, v4, 4, v4
	v_xor_b32_e32 v1, vcc_hi, v29
	v_add_lshl_u32 v33, v22, v0, 2
	v_mov_b32_e32 v0, 0
	v_and_b32_e32 v29, exec_hi, v1
	v_lshlrev_b32_e32 v1, 30, v4
	v_xor_b32_e32 v5, vcc_lo, v5
	v_cmp_gt_i64_e32 vcc, 0, v[0:1]
	v_not_b32_e32 v1, v1
	v_ashrrev_i32_e32 v1, 31, v1
	v_and_b32_e32 v5, exec_lo, v5
	v_xor_b32_e32 v31, vcc_hi, v1
	v_xor_b32_e32 v1, vcc_lo, v1
	v_and_b32_e32 v5, v5, v1
	v_lshlrev_b32_e32 v1, 29, v4
	v_cmp_gt_i64_e32 vcc, 0, v[0:1]
	v_not_b32_e32 v1, v1
	v_ashrrev_i32_e32 v1, 31, v1
	v_and_b32_e32 v29, v29, v31
	v_xor_b32_e32 v31, vcc_hi, v1
	v_xor_b32_e32 v1, vcc_lo, v1
	v_and_b32_e32 v5, v5, v1
	v_lshlrev_b32_e32 v1, 28, v4
	v_cmp_gt_i64_e32 vcc, 0, v[0:1]
	v_not_b32_e32 v1, v1
	v_ashrrev_i32_e32 v1, 31, v1
	v_and_b32_e32 v29, v29, v31
	;; [unrolled: 8-line block ×5, first 2 shown]
	v_xor_b32_e32 v31, vcc_hi, v1
	v_xor_b32_e32 v1, vcc_lo, v1
	v_and_b32_e32 v29, v29, v31
	v_and_b32_e32 v31, v5, v1
	v_lshlrev_b32_e32 v1, 24, v4
	v_cmp_gt_i64_e32 vcc, 0, v[0:1]
	v_not_b32_e32 v1, v1
	v_ashrrev_i32_e32 v1, 31, v1
	v_xor_b32_e32 v4, vcc_hi, v1
	v_xor_b32_e32 v1, vcc_lo, v1
	; wave barrier
	ds_read_b32 v26, v33 offset:64
	v_and_b32_e32 v5, v29, v4
	v_and_b32_e32 v4, v31, v1
	v_mbcnt_lo_u32_b32 v1, v4, 0
	v_mbcnt_hi_u32_b32 v29, v5, v1
	v_cmp_eq_u32_e32 vcc, 0, v29
	v_cmp_ne_u64_e64 s[2:3], 0, v[4:5]
	s_and_b64 s[4:5], s[2:3], vcc
	; wave barrier
	s_and_saveexec_b64 s[2:3], s[4:5]
	s_cbranch_execz .LBB1768_97
; %bb.96:
	v_bcnt_u32_b32 v1, v4, 0
	v_bcnt_u32_b32 v1, v5, v1
	s_waitcnt lgkmcnt(0)
	v_add_u32_e32 v1, v26, v1
	ds_write_b32 v33, v1 offset:64
.LBB1768_97:
	s_or_b64 exec, exec, s[2:3]
	s_waitcnt vmcnt(6)
	v_xor_b32_e32 v19, 0x80000000, v19
	v_lshrrev_b32_e32 v1, s20, v19
	v_and_b32_e32 v4, s21, v1
	v_lshl_add_u32 v1, v4, 4, v4
	v_add_lshl_u32 v37, v22, v1, 2
	v_and_b32_e32 v1, 1, v4
	v_add_co_u32_e32 v5, vcc, -1, v1
	v_addc_co_u32_e64 v34, s[2:3], 0, -1, vcc
	v_cmp_ne_u32_e32 vcc, 0, v1
	v_xor_b32_e32 v1, vcc_hi, v34
	v_and_b32_e32 v34, exec_hi, v1
	v_lshlrev_b32_e32 v1, 30, v4
	v_xor_b32_e32 v5, vcc_lo, v5
	v_cmp_gt_i64_e32 vcc, 0, v[0:1]
	v_not_b32_e32 v1, v1
	v_ashrrev_i32_e32 v1, 31, v1
	v_and_b32_e32 v5, exec_lo, v5
	v_xor_b32_e32 v36, vcc_hi, v1
	v_xor_b32_e32 v1, vcc_lo, v1
	v_and_b32_e32 v5, v5, v1
	v_lshlrev_b32_e32 v1, 29, v4
	v_cmp_gt_i64_e32 vcc, 0, v[0:1]
	v_not_b32_e32 v1, v1
	v_ashrrev_i32_e32 v1, 31, v1
	v_and_b32_e32 v34, v34, v36
	v_xor_b32_e32 v36, vcc_hi, v1
	v_xor_b32_e32 v1, vcc_lo, v1
	v_and_b32_e32 v5, v5, v1
	v_lshlrev_b32_e32 v1, 28, v4
	v_cmp_gt_i64_e32 vcc, 0, v[0:1]
	v_not_b32_e32 v1, v1
	v_ashrrev_i32_e32 v1, 31, v1
	v_and_b32_e32 v34, v34, v36
	;; [unrolled: 8-line block ×5, first 2 shown]
	v_xor_b32_e32 v36, vcc_hi, v1
	v_xor_b32_e32 v1, vcc_lo, v1
	v_and_b32_e32 v5, v5, v1
	v_lshlrev_b32_e32 v1, 24, v4
	v_cmp_gt_i64_e32 vcc, 0, v[0:1]
	v_not_b32_e32 v0, v1
	v_ashrrev_i32_e32 v0, 31, v0
	v_xor_b32_e32 v1, vcc_hi, v0
	v_xor_b32_e32 v0, vcc_lo, v0
	; wave barrier
	ds_read_b32 v31, v37 offset:64
	v_and_b32_e32 v34, v34, v36
	v_and_b32_e32 v0, v5, v0
	;; [unrolled: 1-line block ×3, first 2 shown]
	v_mbcnt_lo_u32_b32 v4, v0, 0
	v_mbcnt_hi_u32_b32 v34, v1, v4
	v_cmp_eq_u32_e32 vcc, 0, v34
	v_cmp_ne_u64_e64 s[2:3], 0, v[0:1]
	s_and_b64 s[4:5], s[2:3], vcc
	; wave barrier
	s_and_saveexec_b64 s[2:3], s[4:5]
	s_cbranch_execz .LBB1768_99
; %bb.98:
	v_bcnt_u32_b32 v0, v0, 0
	v_bcnt_u32_b32 v0, v1, v0
	s_waitcnt lgkmcnt(0)
	v_add_u32_e32 v0, v31, v0
	ds_write_b32 v37, v0 offset:64
.LBB1768_99:
	s_or_b64 exec, exec, s[2:3]
	s_waitcnt vmcnt(5)
	v_xor_b32_e32 v25, 0x80000000, v25
	v_lshrrev_b32_e32 v0, s20, v25
	v_and_b32_e32 v4, s21, v0
	v_and_b32_e32 v1, 1, v4
	v_add_co_u32_e32 v5, vcc, -1, v1
	v_addc_co_u32_e64 v38, s[2:3], 0, -1, vcc
	v_cmp_ne_u32_e32 vcc, 0, v1
	v_lshl_add_u32 v0, v4, 4, v4
	v_xor_b32_e32 v1, vcc_hi, v38
	v_add_lshl_u32 v40, v22, v0, 2
	v_mov_b32_e32 v0, 0
	v_and_b32_e32 v38, exec_hi, v1
	v_lshlrev_b32_e32 v1, 30, v4
	v_xor_b32_e32 v5, vcc_lo, v5
	v_cmp_gt_i64_e32 vcc, 0, v[0:1]
	v_not_b32_e32 v1, v1
	v_ashrrev_i32_e32 v1, 31, v1
	v_and_b32_e32 v5, exec_lo, v5
	v_xor_b32_e32 v39, vcc_hi, v1
	v_xor_b32_e32 v1, vcc_lo, v1
	v_and_b32_e32 v5, v5, v1
	v_lshlrev_b32_e32 v1, 29, v4
	v_cmp_gt_i64_e32 vcc, 0, v[0:1]
	v_not_b32_e32 v1, v1
	v_ashrrev_i32_e32 v1, 31, v1
	v_and_b32_e32 v38, v38, v39
	v_xor_b32_e32 v39, vcc_hi, v1
	v_xor_b32_e32 v1, vcc_lo, v1
	v_and_b32_e32 v5, v5, v1
	v_lshlrev_b32_e32 v1, 28, v4
	v_cmp_gt_i64_e32 vcc, 0, v[0:1]
	v_not_b32_e32 v1, v1
	v_ashrrev_i32_e32 v1, 31, v1
	v_and_b32_e32 v38, v38, v39
	;; [unrolled: 8-line block ×5, first 2 shown]
	v_xor_b32_e32 v39, vcc_hi, v1
	v_xor_b32_e32 v1, vcc_lo, v1
	v_and_b32_e32 v38, v38, v39
	v_and_b32_e32 v39, v5, v1
	v_lshlrev_b32_e32 v1, 24, v4
	v_cmp_gt_i64_e32 vcc, 0, v[0:1]
	v_not_b32_e32 v1, v1
	v_ashrrev_i32_e32 v1, 31, v1
	v_xor_b32_e32 v4, vcc_hi, v1
	v_xor_b32_e32 v1, vcc_lo, v1
	; wave barrier
	ds_read_b32 v36, v40 offset:64
	v_and_b32_e32 v5, v38, v4
	v_and_b32_e32 v4, v39, v1
	v_mbcnt_lo_u32_b32 v1, v4, 0
	v_mbcnt_hi_u32_b32 v38, v5, v1
	v_cmp_eq_u32_e32 vcc, 0, v38
	v_cmp_ne_u64_e64 s[2:3], 0, v[4:5]
	s_and_b64 s[4:5], s[2:3], vcc
	; wave barrier
	s_and_saveexec_b64 s[2:3], s[4:5]
	s_cbranch_execz .LBB1768_101
; %bb.100:
	v_bcnt_u32_b32 v1, v4, 0
	v_bcnt_u32_b32 v1, v5, v1
	s_waitcnt lgkmcnt(0)
	v_add_u32_e32 v1, v36, v1
	ds_write_b32 v40, v1 offset:64
.LBB1768_101:
	s_or_b64 exec, exec, s[2:3]
	s_waitcnt vmcnt(4)
	v_xor_b32_e32 v30, 0x80000000, v30
	v_lshrrev_b32_e32 v1, s20, v30
	v_and_b32_e32 v4, s21, v1
	v_lshl_add_u32 v1, v4, 4, v4
	v_add_lshl_u32 v43, v22, v1, 2
	v_and_b32_e32 v1, 1, v4
	v_add_co_u32_e32 v5, vcc, -1, v1
	v_addc_co_u32_e64 v41, s[2:3], 0, -1, vcc
	v_cmp_ne_u32_e32 vcc, 0, v1
	v_xor_b32_e32 v1, vcc_hi, v41
	v_and_b32_e32 v41, exec_hi, v1
	v_lshlrev_b32_e32 v1, 30, v4
	v_xor_b32_e32 v5, vcc_lo, v5
	v_cmp_gt_i64_e32 vcc, 0, v[0:1]
	v_not_b32_e32 v1, v1
	v_ashrrev_i32_e32 v1, 31, v1
	v_and_b32_e32 v5, exec_lo, v5
	v_xor_b32_e32 v42, vcc_hi, v1
	v_xor_b32_e32 v1, vcc_lo, v1
	v_and_b32_e32 v5, v5, v1
	v_lshlrev_b32_e32 v1, 29, v4
	v_cmp_gt_i64_e32 vcc, 0, v[0:1]
	v_not_b32_e32 v1, v1
	v_ashrrev_i32_e32 v1, 31, v1
	v_and_b32_e32 v41, v41, v42
	v_xor_b32_e32 v42, vcc_hi, v1
	v_xor_b32_e32 v1, vcc_lo, v1
	v_and_b32_e32 v5, v5, v1
	v_lshlrev_b32_e32 v1, 28, v4
	v_cmp_gt_i64_e32 vcc, 0, v[0:1]
	v_not_b32_e32 v1, v1
	v_ashrrev_i32_e32 v1, 31, v1
	v_and_b32_e32 v41, v41, v42
	;; [unrolled: 8-line block ×5, first 2 shown]
	v_xor_b32_e32 v42, vcc_hi, v1
	v_xor_b32_e32 v1, vcc_lo, v1
	v_and_b32_e32 v5, v5, v1
	v_lshlrev_b32_e32 v1, 24, v4
	v_cmp_gt_i64_e32 vcc, 0, v[0:1]
	v_not_b32_e32 v0, v1
	v_ashrrev_i32_e32 v0, 31, v0
	v_xor_b32_e32 v1, vcc_hi, v0
	v_xor_b32_e32 v0, vcc_lo, v0
	; wave barrier
	ds_read_b32 v39, v43 offset:64
	v_and_b32_e32 v41, v41, v42
	v_and_b32_e32 v0, v5, v0
	;; [unrolled: 1-line block ×3, first 2 shown]
	v_mbcnt_lo_u32_b32 v4, v0, 0
	v_mbcnt_hi_u32_b32 v41, v1, v4
	v_cmp_eq_u32_e32 vcc, 0, v41
	v_cmp_ne_u64_e64 s[2:3], 0, v[0:1]
	s_and_b64 s[4:5], s[2:3], vcc
	; wave barrier
	s_and_saveexec_b64 s[2:3], s[4:5]
	s_cbranch_execz .LBB1768_103
; %bb.102:
	v_bcnt_u32_b32 v0, v0, 0
	v_bcnt_u32_b32 v0, v1, v0
	s_waitcnt lgkmcnt(0)
	v_add_u32_e32 v0, v39, v0
	ds_write_b32 v43, v0 offset:64
.LBB1768_103:
	s_or_b64 exec, exec, s[2:3]
	s_waitcnt vmcnt(3)
	v_xor_b32_e32 v35, 0x80000000, v35
	v_lshrrev_b32_e32 v0, s20, v35
	v_and_b32_e32 v4, s21, v0
	v_and_b32_e32 v1, 1, v4
	v_add_co_u32_e32 v5, vcc, -1, v1
	v_addc_co_u32_e64 v44, s[2:3], 0, -1, vcc
	v_cmp_ne_u32_e32 vcc, 0, v1
	v_lshl_add_u32 v0, v4, 4, v4
	v_xor_b32_e32 v1, vcc_hi, v44
	v_add_lshl_u32 v46, v22, v0, 2
	v_mov_b32_e32 v0, 0
	v_and_b32_e32 v44, exec_hi, v1
	v_lshlrev_b32_e32 v1, 30, v4
	v_xor_b32_e32 v5, vcc_lo, v5
	v_cmp_gt_i64_e32 vcc, 0, v[0:1]
	v_not_b32_e32 v1, v1
	v_ashrrev_i32_e32 v1, 31, v1
	v_and_b32_e32 v5, exec_lo, v5
	v_xor_b32_e32 v45, vcc_hi, v1
	v_xor_b32_e32 v1, vcc_lo, v1
	v_and_b32_e32 v5, v5, v1
	v_lshlrev_b32_e32 v1, 29, v4
	v_cmp_gt_i64_e32 vcc, 0, v[0:1]
	v_not_b32_e32 v1, v1
	v_ashrrev_i32_e32 v1, 31, v1
	v_and_b32_e32 v44, v44, v45
	v_xor_b32_e32 v45, vcc_hi, v1
	v_xor_b32_e32 v1, vcc_lo, v1
	v_and_b32_e32 v5, v5, v1
	v_lshlrev_b32_e32 v1, 28, v4
	v_cmp_gt_i64_e32 vcc, 0, v[0:1]
	v_not_b32_e32 v1, v1
	v_ashrrev_i32_e32 v1, 31, v1
	v_and_b32_e32 v44, v44, v45
	v_xor_b32_e32 v45, vcc_hi, v1
	v_xor_b32_e32 v1, vcc_lo, v1
	v_and_b32_e32 v5, v5, v1
	v_lshlrev_b32_e32 v1, 27, v4
	v_cmp_gt_i64_e32 vcc, 0, v[0:1]
	v_not_b32_e32 v1, v1
	v_ashrrev_i32_e32 v1, 31, v1
	v_and_b32_e32 v44, v44, v45
	v_xor_b32_e32 v45, vcc_hi, v1
	v_xor_b32_e32 v1, vcc_lo, v1
	v_and_b32_e32 v5, v5, v1
	v_lshlrev_b32_e32 v1, 26, v4
	v_cmp_gt_i64_e32 vcc, 0, v[0:1]
	v_not_b32_e32 v1, v1
	v_ashrrev_i32_e32 v1, 31, v1
	v_and_b32_e32 v44, v44, v45
	v_xor_b32_e32 v45, vcc_hi, v1
	v_xor_b32_e32 v1, vcc_lo, v1
	v_and_b32_e32 v5, v5, v1
	v_lshlrev_b32_e32 v1, 25, v4
	v_cmp_gt_i64_e32 vcc, 0, v[0:1]
	v_not_b32_e32 v1, v1
	v_ashrrev_i32_e32 v1, 31, v1
	v_and_b32_e32 v44, v44, v45
	v_xor_b32_e32 v45, vcc_hi, v1
	v_xor_b32_e32 v1, vcc_lo, v1
	v_and_b32_e32 v44, v44, v45
	v_and_b32_e32 v45, v5, v1
	v_lshlrev_b32_e32 v1, 24, v4
	v_cmp_gt_i64_e32 vcc, 0, v[0:1]
	v_not_b32_e32 v1, v1
	v_ashrrev_i32_e32 v1, 31, v1
	v_xor_b32_e32 v4, vcc_hi, v1
	v_xor_b32_e32 v1, vcc_lo, v1
	; wave barrier
	ds_read_b32 v42, v46 offset:64
	v_and_b32_e32 v5, v44, v4
	v_and_b32_e32 v4, v45, v1
	v_mbcnt_lo_u32_b32 v1, v4, 0
	v_mbcnt_hi_u32_b32 v44, v5, v1
	v_cmp_eq_u32_e32 vcc, 0, v44
	v_cmp_ne_u64_e64 s[2:3], 0, v[4:5]
	s_and_b64 s[4:5], s[2:3], vcc
	; wave barrier
	s_and_saveexec_b64 s[2:3], s[4:5]
	s_cbranch_execz .LBB1768_105
; %bb.104:
	v_bcnt_u32_b32 v1, v4, 0
	v_bcnt_u32_b32 v1, v5, v1
	s_waitcnt lgkmcnt(0)
	v_add_u32_e32 v1, v42, v1
	ds_write_b32 v46, v1 offset:64
.LBB1768_105:
	s_or_b64 exec, exec, s[2:3]
	s_waitcnt vmcnt(2)
	v_xor_b32_e32 v32, 0x80000000, v32
	v_lshrrev_b32_e32 v1, s20, v32
	v_and_b32_e32 v4, s21, v1
	v_lshl_add_u32 v1, v4, 4, v4
	v_add_lshl_u32 v49, v22, v1, 2
	v_and_b32_e32 v1, 1, v4
	v_add_co_u32_e32 v5, vcc, -1, v1
	v_addc_co_u32_e64 v47, s[2:3], 0, -1, vcc
	v_cmp_ne_u32_e32 vcc, 0, v1
	v_xor_b32_e32 v1, vcc_hi, v47
	v_and_b32_e32 v47, exec_hi, v1
	v_lshlrev_b32_e32 v1, 30, v4
	v_xor_b32_e32 v5, vcc_lo, v5
	v_cmp_gt_i64_e32 vcc, 0, v[0:1]
	v_not_b32_e32 v1, v1
	v_ashrrev_i32_e32 v1, 31, v1
	v_and_b32_e32 v5, exec_lo, v5
	v_xor_b32_e32 v48, vcc_hi, v1
	v_xor_b32_e32 v1, vcc_lo, v1
	v_and_b32_e32 v5, v5, v1
	v_lshlrev_b32_e32 v1, 29, v4
	v_cmp_gt_i64_e32 vcc, 0, v[0:1]
	v_not_b32_e32 v1, v1
	v_ashrrev_i32_e32 v1, 31, v1
	v_and_b32_e32 v47, v47, v48
	v_xor_b32_e32 v48, vcc_hi, v1
	v_xor_b32_e32 v1, vcc_lo, v1
	v_and_b32_e32 v5, v5, v1
	v_lshlrev_b32_e32 v1, 28, v4
	v_cmp_gt_i64_e32 vcc, 0, v[0:1]
	v_not_b32_e32 v1, v1
	v_ashrrev_i32_e32 v1, 31, v1
	v_and_b32_e32 v47, v47, v48
	;; [unrolled: 8-line block ×5, first 2 shown]
	v_xor_b32_e32 v48, vcc_hi, v1
	v_xor_b32_e32 v1, vcc_lo, v1
	v_and_b32_e32 v5, v5, v1
	v_lshlrev_b32_e32 v1, 24, v4
	v_cmp_gt_i64_e32 vcc, 0, v[0:1]
	v_not_b32_e32 v0, v1
	v_ashrrev_i32_e32 v0, 31, v0
	v_xor_b32_e32 v1, vcc_hi, v0
	v_xor_b32_e32 v0, vcc_lo, v0
	; wave barrier
	ds_read_b32 v45, v49 offset:64
	v_and_b32_e32 v47, v47, v48
	v_and_b32_e32 v0, v5, v0
	;; [unrolled: 1-line block ×3, first 2 shown]
	v_mbcnt_lo_u32_b32 v4, v0, 0
	v_mbcnt_hi_u32_b32 v47, v1, v4
	v_cmp_eq_u32_e32 vcc, 0, v47
	v_cmp_ne_u64_e64 s[2:3], 0, v[0:1]
	s_and_b64 s[4:5], s[2:3], vcc
	; wave barrier
	s_and_saveexec_b64 s[2:3], s[4:5]
	s_cbranch_execz .LBB1768_107
; %bb.106:
	v_bcnt_u32_b32 v0, v0, 0
	v_bcnt_u32_b32 v0, v1, v0
	s_waitcnt lgkmcnt(0)
	v_add_u32_e32 v0, v45, v0
	ds_write_b32 v49, v0 offset:64
.LBB1768_107:
	s_or_b64 exec, exec, s[2:3]
	s_waitcnt vmcnt(1)
	v_xor_b32_e32 v27, 0x80000000, v27
	v_lshrrev_b32_e32 v0, s20, v27
	v_and_b32_e32 v4, s21, v0
	v_and_b32_e32 v1, 1, v4
	v_add_co_u32_e32 v5, vcc, -1, v1
	v_addc_co_u32_e64 v50, s[2:3], 0, -1, vcc
	v_cmp_ne_u32_e32 vcc, 0, v1
	v_lshl_add_u32 v0, v4, 4, v4
	v_xor_b32_e32 v1, vcc_hi, v50
	v_add_lshl_u32 v51, v22, v0, 2
	v_mov_b32_e32 v0, 0
	v_and_b32_e32 v50, exec_hi, v1
	v_lshlrev_b32_e32 v1, 30, v4
	v_xor_b32_e32 v5, vcc_lo, v5
	v_cmp_gt_i64_e32 vcc, 0, v[0:1]
	v_not_b32_e32 v1, v1
	v_ashrrev_i32_e32 v1, 31, v1
	v_and_b32_e32 v5, exec_lo, v5
	v_xor_b32_e32 v52, vcc_hi, v1
	v_xor_b32_e32 v1, vcc_lo, v1
	v_and_b32_e32 v5, v5, v1
	v_lshlrev_b32_e32 v1, 29, v4
	v_cmp_gt_i64_e32 vcc, 0, v[0:1]
	v_not_b32_e32 v1, v1
	v_ashrrev_i32_e32 v1, 31, v1
	v_and_b32_e32 v50, v50, v52
	v_xor_b32_e32 v52, vcc_hi, v1
	v_xor_b32_e32 v1, vcc_lo, v1
	v_and_b32_e32 v5, v5, v1
	v_lshlrev_b32_e32 v1, 28, v4
	v_cmp_gt_i64_e32 vcc, 0, v[0:1]
	v_not_b32_e32 v1, v1
	v_ashrrev_i32_e32 v1, 31, v1
	v_and_b32_e32 v50, v50, v52
	;; [unrolled: 8-line block ×5, first 2 shown]
	v_xor_b32_e32 v52, vcc_hi, v1
	v_xor_b32_e32 v1, vcc_lo, v1
	v_and_b32_e32 v50, v50, v52
	v_and_b32_e32 v52, v5, v1
	v_lshlrev_b32_e32 v1, 24, v4
	v_cmp_gt_i64_e32 vcc, 0, v[0:1]
	v_not_b32_e32 v1, v1
	v_ashrrev_i32_e32 v1, 31, v1
	v_xor_b32_e32 v4, vcc_hi, v1
	v_xor_b32_e32 v1, vcc_lo, v1
	; wave barrier
	ds_read_b32 v48, v51 offset:64
	v_and_b32_e32 v5, v50, v4
	v_and_b32_e32 v4, v52, v1
	v_mbcnt_lo_u32_b32 v1, v4, 0
	v_mbcnt_hi_u32_b32 v50, v5, v1
	v_cmp_eq_u32_e32 vcc, 0, v50
	v_cmp_ne_u64_e64 s[2:3], 0, v[4:5]
	s_and_b64 s[4:5], s[2:3], vcc
	; wave barrier
	s_and_saveexec_b64 s[2:3], s[4:5]
	s_cbranch_execz .LBB1768_109
; %bb.108:
	v_bcnt_u32_b32 v1, v4, 0
	v_bcnt_u32_b32 v1, v5, v1
	s_waitcnt lgkmcnt(0)
	v_add_u32_e32 v1, v48, v1
	ds_write_b32 v51, v1 offset:64
.LBB1768_109:
	s_or_b64 exec, exec, s[2:3]
	s_waitcnt vmcnt(0)
	v_xor_b32_e32 v21, 0x80000000, v21
	v_lshrrev_b32_e32 v1, s20, v21
	v_and_b32_e32 v4, s21, v1
	v_lshl_add_u32 v1, v4, 4, v4
	v_add_lshl_u32 v53, v22, v1, 2
	v_and_b32_e32 v1, 1, v4
	v_add_co_u32_e32 v5, vcc, -1, v1
	v_addc_co_u32_e64 v52, s[2:3], 0, -1, vcc
	v_cmp_ne_u32_e32 vcc, 0, v1
	v_xor_b32_e32 v1, vcc_hi, v52
	v_and_b32_e32 v52, exec_hi, v1
	v_lshlrev_b32_e32 v1, 30, v4
	v_xor_b32_e32 v5, vcc_lo, v5
	v_cmp_gt_i64_e32 vcc, 0, v[0:1]
	v_not_b32_e32 v1, v1
	v_ashrrev_i32_e32 v1, 31, v1
	v_and_b32_e32 v5, exec_lo, v5
	v_xor_b32_e32 v55, vcc_hi, v1
	v_xor_b32_e32 v1, vcc_lo, v1
	v_and_b32_e32 v5, v5, v1
	v_lshlrev_b32_e32 v1, 29, v4
	v_cmp_gt_i64_e32 vcc, 0, v[0:1]
	v_not_b32_e32 v1, v1
	v_ashrrev_i32_e32 v1, 31, v1
	v_and_b32_e32 v52, v52, v55
	v_xor_b32_e32 v55, vcc_hi, v1
	v_xor_b32_e32 v1, vcc_lo, v1
	v_and_b32_e32 v5, v5, v1
	v_lshlrev_b32_e32 v1, 28, v4
	v_cmp_gt_i64_e32 vcc, 0, v[0:1]
	v_not_b32_e32 v1, v1
	v_ashrrev_i32_e32 v1, 31, v1
	v_and_b32_e32 v52, v52, v55
	;; [unrolled: 8-line block ×5, first 2 shown]
	v_xor_b32_e32 v55, vcc_hi, v1
	v_xor_b32_e32 v1, vcc_lo, v1
	v_and_b32_e32 v5, v5, v1
	v_lshlrev_b32_e32 v1, 24, v4
	v_cmp_gt_i64_e32 vcc, 0, v[0:1]
	v_not_b32_e32 v0, v1
	v_ashrrev_i32_e32 v0, 31, v0
	v_xor_b32_e32 v1, vcc_hi, v0
	v_xor_b32_e32 v0, vcc_lo, v0
	; wave barrier
	ds_read_b32 v22, v53 offset:64
	v_and_b32_e32 v52, v52, v55
	v_and_b32_e32 v0, v5, v0
	;; [unrolled: 1-line block ×3, first 2 shown]
	v_mbcnt_lo_u32_b32 v4, v0, 0
	v_mbcnt_hi_u32_b32 v52, v1, v4
	v_cmp_eq_u32_e32 vcc, 0, v52
	v_cmp_ne_u64_e64 s[2:3], 0, v[0:1]
	v_add_u32_e32 v54, 64, v7
	s_and_b64 s[4:5], s[2:3], vcc
	; wave barrier
	s_and_saveexec_b64 s[2:3], s[4:5]
	s_cbranch_execz .LBB1768_111
; %bb.110:
	v_bcnt_u32_b32 v0, v0, 0
	v_bcnt_u32_b32 v0, v1, v0
	s_waitcnt lgkmcnt(0)
	v_add_u32_e32 v0, v22, v0
	ds_write_b32 v53, v0 offset:64
.LBB1768_111:
	s_or_b64 exec, exec, s[2:3]
	; wave barrier
	s_waitcnt lgkmcnt(0)
	s_barrier
	ds_read2_b32 v[4:5], v7 offset0:16 offset1:17
	ds_read2_b32 v[0:1], v54 offset0:2 offset1:3
	ds_read_b32 v55, v54 offset:16
	v_cmp_lt_u32_e64 s[8:9], 31, v6
	s_waitcnt lgkmcnt(1)
	v_add3_u32 v56, v5, v4, v0
	s_waitcnt lgkmcnt(0)
	v_add3_u32 v55, v56, v1, v55
	v_and_b32_e32 v56, 15, v6
	v_cmp_eq_u32_e32 vcc, 0, v56
	v_mov_b32_dpp v57, v55 row_shr:1 row_mask:0xf bank_mask:0xf
	v_cndmask_b32_e64 v57, v57, 0, vcc
	v_add_u32_e32 v55, v57, v55
	v_cmp_lt_u32_e64 s[2:3], 1, v56
	v_cmp_lt_u32_e64 s[4:5], 3, v56
	v_mov_b32_dpp v57, v55 row_shr:2 row_mask:0xf bank_mask:0xf
	v_cndmask_b32_e64 v57, 0, v57, s[2:3]
	v_add_u32_e32 v55, v55, v57
	v_cmp_lt_u32_e64 s[6:7], 7, v56
	s_nop 0
	v_mov_b32_dpp v57, v55 row_shr:4 row_mask:0xf bank_mask:0xf
	v_cndmask_b32_e64 v57, 0, v57, s[4:5]
	v_add_u32_e32 v55, v55, v57
	s_nop 1
	v_mov_b32_dpp v57, v55 row_shr:8 row_mask:0xf bank_mask:0xf
	v_cndmask_b32_e64 v56, 0, v57, s[6:7]
	v_add_u32_e32 v55, v55, v56
	v_bfe_i32 v57, v6, 4, 1
	s_nop 0
	v_mov_b32_dpp v56, v55 row_bcast:15 row_mask:0xf bank_mask:0xf
	v_and_b32_e32 v56, v57, v56
	v_add_u32_e32 v55, v55, v56
	v_and_b32_e32 v57, 63, v2
	s_nop 0
	v_mov_b32_dpp v56, v55 row_bcast:31 row_mask:0xf bank_mask:0xf
	v_cndmask_b32_e64 v56, 0, v56, s[8:9]
	v_add_u32_e32 v55, v55, v56
	v_lshrrev_b32_e32 v56, 6, v2
	v_cmp_eq_u32_e64 s[8:9], 63, v57
	s_and_saveexec_b64 s[12:13], s[8:9]
	s_cbranch_execz .LBB1768_113
; %bb.112:
	v_lshlrev_b32_e32 v57, 2, v56
	ds_write_b32 v57, v55
.LBB1768_113:
	s_or_b64 exec, exec, s[12:13]
	v_cmp_gt_u32_e64 s[8:9], 16, v2
	s_waitcnt lgkmcnt(0)
	s_barrier
	s_and_saveexec_b64 s[12:13], s[8:9]
	s_cbranch_execz .LBB1768_115
; %bb.114:
	v_lshlrev_b32_e32 v57, 2, v2
	ds_read_b32 v58, v57
	s_waitcnt lgkmcnt(0)
	s_nop 0
	v_mov_b32_dpp v59, v58 row_shr:1 row_mask:0xf bank_mask:0xf
	v_cndmask_b32_e64 v59, v59, 0, vcc
	v_add_u32_e32 v58, v59, v58
	s_nop 1
	v_mov_b32_dpp v59, v58 row_shr:2 row_mask:0xf bank_mask:0xf
	v_cndmask_b32_e64 v59, 0, v59, s[2:3]
	v_add_u32_e32 v58, v58, v59
	s_nop 1
	v_mov_b32_dpp v59, v58 row_shr:4 row_mask:0xf bank_mask:0xf
	v_cndmask_b32_e64 v59, 0, v59, s[4:5]
	v_add_u32_e32 v58, v58, v59
	s_nop 1
	v_mov_b32_dpp v59, v58 row_shr:8 row_mask:0xf bank_mask:0xf
	v_cndmask_b32_e64 v59, 0, v59, s[6:7]
	v_add_u32_e32 v58, v58, v59
	ds_write_b32 v57, v58
.LBB1768_115:
	s_or_b64 exec, exec, s[12:13]
	v_cmp_lt_u32_e32 vcc, 63, v2
	v_mov_b32_e32 v57, 0
	s_waitcnt lgkmcnt(0)
	s_barrier
	s_and_saveexec_b64 s[2:3], vcc
	s_cbranch_execz .LBB1768_117
; %bb.116:
	v_lshl_add_u32 v56, v56, 2, -4
	ds_read_b32 v57, v56
.LBB1768_117:
	s_or_b64 exec, exec, s[2:3]
	v_add_u32_e32 v56, -1, v6
	v_and_b32_e32 v58, 64, v6
	v_cmp_lt_i32_e32 vcc, v56, v58
	v_cndmask_b32_e32 v56, v56, v6, vcc
	s_waitcnt lgkmcnt(0)
	v_add_u32_e32 v55, v57, v55
	v_lshlrev_b32_e32 v56, 2, v56
	ds_bpermute_b32 v55, v56, v55
	v_cmp_eq_u32_e32 vcc, 0, v6
	s_waitcnt lgkmcnt(0)
	v_cndmask_b32_e32 v6, v55, v57, vcc
	v_cndmask_b32_e64 v6, v6, 0, s[0:1]
	v_add_u32_e32 v4, v6, v4
	v_add_u32_e32 v5, v4, v5
	;; [unrolled: 1-line block ×4, first 2 shown]
	ds_write2_b32 v7, v6, v4 offset0:16 offset1:17
	ds_write2_b32 v54, v5, v0 offset0:2 offset1:3
	ds_write_b32 v54, v1 offset:16
	s_waitcnt lgkmcnt(0)
	s_barrier
	ds_read_b32 v58, v13 offset:64
	ds_read_b32 v54, v17 offset:64
	ds_read_b32 v55, v23 offset:64
	ds_read_b32 v56, v28 offset:64
	ds_read_b32 v57, v33 offset:64
	ds_read_b32 v37, v37 offset:64
	ds_read_b32 v33, v40 offset:64
	ds_read_b32 v28, v43 offset:64
	ds_read_b32 v23, v46 offset:64
	ds_read_b32 v40, v49 offset:64
	ds_read_b32 v43, v51 offset:64
	ds_read_b32 v46, v53 offset:64
	s_movk_i32 s0, 0x100
	v_cmp_gt_u32_e32 vcc, s0, v2
                                        ; implicit-def: $vgpr13
                                        ; implicit-def: $vgpr17
	s_and_saveexec_b64 s[2:3], vcc
	s_cbranch_execz .LBB1768_121
; %bb.118:
	v_mul_u32_u24_e32 v0, 17, v2
	v_lshlrev_b32_e32 v1, 2, v0
	ds_read_b32 v13, v1 offset:64
	s_movk_i32 s0, 0xff
	v_cmp_ne_u32_e64 s[0:1], s0, v2
	v_mov_b32_e32 v0, 0x3000
	s_and_saveexec_b64 s[4:5], s[0:1]
	s_cbranch_execz .LBB1768_120
; %bb.119:
	ds_read_b32 v0, v1 offset:132
.LBB1768_120:
	s_or_b64 exec, exec, s[4:5]
	s_waitcnt lgkmcnt(0)
	v_sub_u32_e32 v17, v0, v13
.LBB1768_121:
	s_or_b64 exec, exec, s[2:3]
	s_waitcnt lgkmcnt(0)
	s_barrier
	s_and_saveexec_b64 s[2:3], vcc
	s_cbranch_execz .LBB1768_131
; %bb.122:
	v_lshl_or_b32 v0, s30, 8, v2
	v_mov_b32_e32 v1, 0
	v_lshlrev_b64 v[4:5], 2, v[0:1]
	v_mov_b32_e32 v49, s15
	v_add_co_u32_e64 v4, s[0:1], s14, v4
	v_addc_co_u32_e64 v5, s[0:1], v49, v5, s[0:1]
	v_or_b32_e32 v0, 2.0, v17
	s_mov_b64 s[4:5], 0
	s_brev_b32 s12, 1
	s_mov_b32 s13, s30
	v_mov_b32_e32 v51, 0
	global_store_dword v[4:5], v0, off
                                        ; implicit-def: $sgpr0_sgpr1
	s_branch .LBB1768_125
.LBB1768_123:                           ;   in Loop: Header=BB1768_125 Depth=1
	s_or_b64 exec, exec, s[8:9]
.LBB1768_124:                           ;   in Loop: Header=BB1768_125 Depth=1
	s_or_b64 exec, exec, s[6:7]
	v_and_b32_e32 v6, 0x3fffffff, v53
	v_add_u32_e32 v51, v6, v51
	v_cmp_eq_u32_e64 s[0:1], s12, v0
	s_and_b64 s[6:7], exec, s[0:1]
	s_or_b64 s[4:5], s[6:7], s[4:5]
	s_andn2_b64 exec, exec, s[4:5]
	s_cbranch_execz .LBB1768_130
.LBB1768_125:                           ; =>This Loop Header: Depth=1
                                        ;     Child Loop BB1768_128 Depth 2
	s_or_b64 s[0:1], s[0:1], exec
	s_cmp_eq_u32 s13, 0
	s_cbranch_scc1 .LBB1768_129
; %bb.126:                              ;   in Loop: Header=BB1768_125 Depth=1
	s_add_i32 s13, s13, -1
	v_lshl_or_b32 v0, s13, 8, v2
	v_lshlrev_b64 v[6:7], 2, v[0:1]
	v_add_co_u32_e64 v6, s[0:1], s14, v6
	v_addc_co_u32_e64 v7, s[0:1], v49, v7, s[0:1]
	global_load_dword v53, v[6:7], off glc
	s_waitcnt vmcnt(0)
	v_and_b32_e32 v0, -2.0, v53
	v_cmp_eq_u32_e64 s[0:1], 0, v0
	s_and_saveexec_b64 s[6:7], s[0:1]
	s_cbranch_execz .LBB1768_124
; %bb.127:                              ;   in Loop: Header=BB1768_125 Depth=1
	s_mov_b64 s[8:9], 0
.LBB1768_128:                           ;   Parent Loop BB1768_125 Depth=1
                                        ; =>  This Inner Loop Header: Depth=2
	global_load_dword v53, v[6:7], off glc
	s_waitcnt vmcnt(0)
	v_and_b32_e32 v0, -2.0, v53
	v_cmp_ne_u32_e64 s[0:1], 0, v0
	s_or_b64 s[8:9], s[0:1], s[8:9]
	s_andn2_b64 exec, exec, s[8:9]
	s_cbranch_execnz .LBB1768_128
	s_branch .LBB1768_123
.LBB1768_129:                           ;   in Loop: Header=BB1768_125 Depth=1
                                        ; implicit-def: $sgpr13
	s_and_b64 s[6:7], exec, s[0:1]
	s_or_b64 s[4:5], s[6:7], s[4:5]
	s_andn2_b64 exec, exec, s[4:5]
	s_cbranch_execnz .LBB1768_125
.LBB1768_130:
	s_or_b64 exec, exec, s[4:5]
	v_add_u32_e32 v0, v51, v17
	v_or_b32_e32 v0, 0x80000000, v0
	global_store_dword v[4:5], v0, off
	v_lshlrev_b32_e32 v0, 2, v2
	global_load_dword v1, v0, s[16:17]
	v_sub_u32_e32 v4, v51, v13
	s_waitcnt vmcnt(0)
	v_add_u32_e32 v1, v4, v1
	ds_write_b32 v0, v1
.LBB1768_131:
	s_or_b64 exec, exec, s[2:3]
	v_lshlrev_b32_e32 v5, 2, v2
	v_add_u32_e32 v4, v58, v10
	s_movk_i32 s2, 0x400
	v_add_u32_e32 v6, 0x400, v5
	v_add3_u32 v7, v52, v46, v22
	v_add3_u32 v10, v50, v43, v48
	;; [unrolled: 1-line block ×11, first 2 shown]
	s_mov_b32 s3, 0
	v_mov_b32_e32 v14, s27
	s_movk_i32 s4, 0x800
	s_movk_i32 s5, 0xc00
	v_mov_b32_e32 v1, 0
	v_mov_b32_e32 v18, v2
.LBB1768_132:                           ; =>This Inner Loop Header: Depth=1
	v_add_u32_e32 v0, s3, v4
	v_add_u32_e32 v36, s3, v26
	;; [unrolled: 1-line block ×12, first 2 shown]
	v_min_u32_e32 v0, 0x1000, v0
	v_min_u32_e32 v36, 0x1000, v36
	;; [unrolled: 1-line block ×12, first 2 shown]
	v_lshlrev_b32_e32 v0, 2, v0
	v_lshlrev_b32_e32 v36, 2, v36
	;; [unrolled: 1-line block ×12, first 2 shown]
	ds_write_b32 v0, v3 offset:1024
	ds_write_b32 v24, v8 offset:1024
	;; [unrolled: 1-line block ×12, first 2 shown]
	s_waitcnt lgkmcnt(0)
	s_barrier
	ds_read2st64_b32 v[36:37], v6 offset0:16 offset1:32
	ds_read_b32 v0, v5 offset:1024
	s_addk_i32 s3, 0xf000
	s_cmpk_lg_i32 s3, 0xd000
	s_waitcnt lgkmcnt(1)
	v_lshrrev_b32_e32 v24, s20, v36
	v_and_b32_e32 v24, s21, v24
	v_lshlrev_b32_e32 v24, 2, v24
	v_xor_b32_e32 v29, 0x80000000, v36
	v_lshrrev_b32_e32 v34, s20, v37
	v_xor_b32_e32 v40, 0x80000000, v37
	ds_read_b32 v24, v24
	ds_read_b32 v36, v6 offset:12288
	s_waitcnt lgkmcnt(2)
	v_lshrrev_b32_e32 v37, s20, v0
	v_and_b32_e32 v34, s21, v34
	v_xor_b32_e32 v41, 0x80000000, v0
	v_and_b32_e32 v0, s21, v37
	v_lshlrev_b32_e32 v34, 2, v34
	v_lshlrev_b32_e32 v0, 2, v0
	ds_read_b32 v0, v0
	ds_read_b32 v34, v34
	s_waitcnt lgkmcnt(2)
	v_lshrrev_b32_e32 v37, s20, v36
	v_xor_b32_e32 v42, 0x80000000, v36
	v_and_b32_e32 v36, s21, v37
	v_lshlrev_b32_e32 v36, 2, v36
	s_waitcnt lgkmcnt(1)
	v_add_u32_e32 v0, v18, v0
	ds_read_b32 v43, v36
	v_lshlrev_b64 v[36:37], 2, v[0:1]
	v_add3_u32 v0, v18, v24, s2
	v_add_co_u32_e64 v36, s[0:1], s26, v36
	v_addc_co_u32_e64 v37, s[0:1], v14, v37, s[0:1]
	v_lshlrev_b64 v[38:39], 2, v[0:1]
	s_waitcnt lgkmcnt(1)
	v_add3_u32 v0, v18, v34, s4
	global_store_dword v[36:37], v41, off
	v_add_co_u32_e64 v36, s[0:1], s26, v38
	v_addc_co_u32_e64 v37, s[0:1], v14, v39, s[0:1]
	v_lshlrev_b64 v[38:39], 2, v[0:1]
	global_store_dword v[36:37], v29, off
	v_add_co_u32_e64 v36, s[0:1], s26, v38
	v_addc_co_u32_e64 v37, s[0:1], v14, v39, s[0:1]
	s_waitcnt lgkmcnt(0)
	v_add3_u32 v0, v18, v43, s5
	global_store_dword v[36:37], v40, off
	v_lshlrev_b64 v[36:37], 2, v[0:1]
	v_add_co_u32_e64 v36, s[0:1], s26, v36
	v_add_u32_e32 v18, 0x1000, v18
	v_addc_co_u32_e64 v37, s[0:1], v14, v37, s[0:1]
	global_store_dword v[36:37], v42, off
	s_barrier
	s_cbranch_scc1 .LBB1768_132
; %bb.133:
	s_add_i32 s22, s22, -1
	s_cmp_eq_u32 s22, s30
	s_cselect_b64 s[0:1], -1, 0
	s_and_b64 s[2:3], vcc, s[0:1]
                                        ; implicit-def: $vgpr3
	s_and_saveexec_b64 s[0:1], s[2:3]
; %bb.134:
	v_add_u32_e32 v3, v13, v17
	s_or_b64 s[10:11], s[10:11], exec
; %bb.135:
	s_or_b64 exec, exec, s[0:1]
.LBB1768_136:
	s_and_saveexec_b64 s[0:1], s[10:11]
	s_cbranch_execnz .LBB1768_138
; %bb.137:
	s_endpgm
.LBB1768_138:
	v_lshlrev_b32_e32 v0, 2, v2
	ds_read_b32 v1, v0
	s_waitcnt lgkmcnt(0)
	v_add_u32_e32 v1, v1, v3
	global_store_dword v0, v1, s[18:19]
	s_endpgm
	.section	.rodata,"a",@progbits
	.p2align	6, 0x0
	.amdhsa_kernel _ZN7rocprim17ROCPRIM_400000_NS6detail17trampoline_kernelINS0_14default_configENS1_35radix_sort_onesweep_config_selectorIiNS0_10empty_typeEEEZZNS1_29radix_sort_onesweep_iterationIS3_Lb0EN6thrust23THRUST_200600_302600_NS6detail15normal_iteratorINS9_10device_ptrIiEEEESE_PS5_SF_jNS0_19identity_decomposerENS1_16block_id_wrapperIjLb1EEEEE10hipError_tT1_PNSt15iterator_traitsISK_E10value_typeET2_T3_PNSL_ISQ_E10value_typeET4_T5_PSV_SW_PNS1_23onesweep_lookback_stateEbbT6_jjT7_P12ihipStream_tbENKUlT_T0_SK_SP_E_clIPiSE_SF_SF_EEDaS13_S14_SK_SP_EUlS13_E_NS1_11comp_targetILNS1_3genE4ELNS1_11target_archE910ELNS1_3gpuE8ELNS1_3repE0EEENS1_47radix_sort_onesweep_sort_config_static_selectorELNS0_4arch9wavefront6targetE1EEEvSK_
		.amdhsa_group_segment_fixed_size 20552
		.amdhsa_private_segment_fixed_size 0
		.amdhsa_kernarg_size 344
		.amdhsa_user_sgpr_count 6
		.amdhsa_user_sgpr_private_segment_buffer 1
		.amdhsa_user_sgpr_dispatch_ptr 0
		.amdhsa_user_sgpr_queue_ptr 0
		.amdhsa_user_sgpr_kernarg_segment_ptr 1
		.amdhsa_user_sgpr_dispatch_id 0
		.amdhsa_user_sgpr_flat_scratch_init 0
		.amdhsa_user_sgpr_kernarg_preload_length 0
		.amdhsa_user_sgpr_kernarg_preload_offset 0
		.amdhsa_user_sgpr_private_segment_size 0
		.amdhsa_uses_dynamic_stack 0
		.amdhsa_system_sgpr_private_segment_wavefront_offset 0
		.amdhsa_system_sgpr_workgroup_id_x 1
		.amdhsa_system_sgpr_workgroup_id_y 0
		.amdhsa_system_sgpr_workgroup_id_z 0
		.amdhsa_system_sgpr_workgroup_info 0
		.amdhsa_system_vgpr_workitem_id 2
		.amdhsa_next_free_vgpr 62
		.amdhsa_next_free_sgpr 35
		.amdhsa_accum_offset 64
		.amdhsa_reserve_vcc 1
		.amdhsa_reserve_flat_scratch 0
		.amdhsa_float_round_mode_32 0
		.amdhsa_float_round_mode_16_64 0
		.amdhsa_float_denorm_mode_32 3
		.amdhsa_float_denorm_mode_16_64 3
		.amdhsa_dx10_clamp 1
		.amdhsa_ieee_mode 1
		.amdhsa_fp16_overflow 0
		.amdhsa_tg_split 0
		.amdhsa_exception_fp_ieee_invalid_op 0
		.amdhsa_exception_fp_denorm_src 0
		.amdhsa_exception_fp_ieee_div_zero 0
		.amdhsa_exception_fp_ieee_overflow 0
		.amdhsa_exception_fp_ieee_underflow 0
		.amdhsa_exception_fp_ieee_inexact 0
		.amdhsa_exception_int_div_zero 0
	.end_amdhsa_kernel
	.section	.text._ZN7rocprim17ROCPRIM_400000_NS6detail17trampoline_kernelINS0_14default_configENS1_35radix_sort_onesweep_config_selectorIiNS0_10empty_typeEEEZZNS1_29radix_sort_onesweep_iterationIS3_Lb0EN6thrust23THRUST_200600_302600_NS6detail15normal_iteratorINS9_10device_ptrIiEEEESE_PS5_SF_jNS0_19identity_decomposerENS1_16block_id_wrapperIjLb1EEEEE10hipError_tT1_PNSt15iterator_traitsISK_E10value_typeET2_T3_PNSL_ISQ_E10value_typeET4_T5_PSV_SW_PNS1_23onesweep_lookback_stateEbbT6_jjT7_P12ihipStream_tbENKUlT_T0_SK_SP_E_clIPiSE_SF_SF_EEDaS13_S14_SK_SP_EUlS13_E_NS1_11comp_targetILNS1_3genE4ELNS1_11target_archE910ELNS1_3gpuE8ELNS1_3repE0EEENS1_47radix_sort_onesweep_sort_config_static_selectorELNS0_4arch9wavefront6targetE1EEEvSK_,"axG",@progbits,_ZN7rocprim17ROCPRIM_400000_NS6detail17trampoline_kernelINS0_14default_configENS1_35radix_sort_onesweep_config_selectorIiNS0_10empty_typeEEEZZNS1_29radix_sort_onesweep_iterationIS3_Lb0EN6thrust23THRUST_200600_302600_NS6detail15normal_iteratorINS9_10device_ptrIiEEEESE_PS5_SF_jNS0_19identity_decomposerENS1_16block_id_wrapperIjLb1EEEEE10hipError_tT1_PNSt15iterator_traitsISK_E10value_typeET2_T3_PNSL_ISQ_E10value_typeET4_T5_PSV_SW_PNS1_23onesweep_lookback_stateEbbT6_jjT7_P12ihipStream_tbENKUlT_T0_SK_SP_E_clIPiSE_SF_SF_EEDaS13_S14_SK_SP_EUlS13_E_NS1_11comp_targetILNS1_3genE4ELNS1_11target_archE910ELNS1_3gpuE8ELNS1_3repE0EEENS1_47radix_sort_onesweep_sort_config_static_selectorELNS0_4arch9wavefront6targetE1EEEvSK_,comdat
.Lfunc_end1768:
	.size	_ZN7rocprim17ROCPRIM_400000_NS6detail17trampoline_kernelINS0_14default_configENS1_35radix_sort_onesweep_config_selectorIiNS0_10empty_typeEEEZZNS1_29radix_sort_onesweep_iterationIS3_Lb0EN6thrust23THRUST_200600_302600_NS6detail15normal_iteratorINS9_10device_ptrIiEEEESE_PS5_SF_jNS0_19identity_decomposerENS1_16block_id_wrapperIjLb1EEEEE10hipError_tT1_PNSt15iterator_traitsISK_E10value_typeET2_T3_PNSL_ISQ_E10value_typeET4_T5_PSV_SW_PNS1_23onesweep_lookback_stateEbbT6_jjT7_P12ihipStream_tbENKUlT_T0_SK_SP_E_clIPiSE_SF_SF_EEDaS13_S14_SK_SP_EUlS13_E_NS1_11comp_targetILNS1_3genE4ELNS1_11target_archE910ELNS1_3gpuE8ELNS1_3repE0EEENS1_47radix_sort_onesweep_sort_config_static_selectorELNS0_4arch9wavefront6targetE1EEEvSK_, .Lfunc_end1768-_ZN7rocprim17ROCPRIM_400000_NS6detail17trampoline_kernelINS0_14default_configENS1_35radix_sort_onesweep_config_selectorIiNS0_10empty_typeEEEZZNS1_29radix_sort_onesweep_iterationIS3_Lb0EN6thrust23THRUST_200600_302600_NS6detail15normal_iteratorINS9_10device_ptrIiEEEESE_PS5_SF_jNS0_19identity_decomposerENS1_16block_id_wrapperIjLb1EEEEE10hipError_tT1_PNSt15iterator_traitsISK_E10value_typeET2_T3_PNSL_ISQ_E10value_typeET4_T5_PSV_SW_PNS1_23onesweep_lookback_stateEbbT6_jjT7_P12ihipStream_tbENKUlT_T0_SK_SP_E_clIPiSE_SF_SF_EEDaS13_S14_SK_SP_EUlS13_E_NS1_11comp_targetILNS1_3genE4ELNS1_11target_archE910ELNS1_3gpuE8ELNS1_3repE0EEENS1_47radix_sort_onesweep_sort_config_static_selectorELNS0_4arch9wavefront6targetE1EEEvSK_
                                        ; -- End function
	.section	.AMDGPU.csdata,"",@progbits
; Kernel info:
; codeLenInByte = 14296
; NumSgprs: 39
; NumVgprs: 62
; NumAgprs: 0
; TotalNumVgprs: 62
; ScratchSize: 0
; MemoryBound: 0
; FloatMode: 240
; IeeeMode: 1
; LDSByteSize: 20552 bytes/workgroup (compile time only)
; SGPRBlocks: 4
; VGPRBlocks: 7
; NumSGPRsForWavesPerEU: 39
; NumVGPRsForWavesPerEU: 62
; AccumOffset: 64
; Occupancy: 8
; WaveLimiterHint : 1
; COMPUTE_PGM_RSRC2:SCRATCH_EN: 0
; COMPUTE_PGM_RSRC2:USER_SGPR: 6
; COMPUTE_PGM_RSRC2:TRAP_HANDLER: 0
; COMPUTE_PGM_RSRC2:TGID_X_EN: 1
; COMPUTE_PGM_RSRC2:TGID_Y_EN: 0
; COMPUTE_PGM_RSRC2:TGID_Z_EN: 0
; COMPUTE_PGM_RSRC2:TIDIG_COMP_CNT: 2
; COMPUTE_PGM_RSRC3_GFX90A:ACCUM_OFFSET: 15
; COMPUTE_PGM_RSRC3_GFX90A:TG_SPLIT: 0
	.section	.text._ZN7rocprim17ROCPRIM_400000_NS6detail17trampoline_kernelINS0_14default_configENS1_35radix_sort_onesweep_config_selectorIiNS0_10empty_typeEEEZZNS1_29radix_sort_onesweep_iterationIS3_Lb0EN6thrust23THRUST_200600_302600_NS6detail15normal_iteratorINS9_10device_ptrIiEEEESE_PS5_SF_jNS0_19identity_decomposerENS1_16block_id_wrapperIjLb1EEEEE10hipError_tT1_PNSt15iterator_traitsISK_E10value_typeET2_T3_PNSL_ISQ_E10value_typeET4_T5_PSV_SW_PNS1_23onesweep_lookback_stateEbbT6_jjT7_P12ihipStream_tbENKUlT_T0_SK_SP_E_clIPiSE_SF_SF_EEDaS13_S14_SK_SP_EUlS13_E_NS1_11comp_targetILNS1_3genE3ELNS1_11target_archE908ELNS1_3gpuE7ELNS1_3repE0EEENS1_47radix_sort_onesweep_sort_config_static_selectorELNS0_4arch9wavefront6targetE1EEEvSK_,"axG",@progbits,_ZN7rocprim17ROCPRIM_400000_NS6detail17trampoline_kernelINS0_14default_configENS1_35radix_sort_onesweep_config_selectorIiNS0_10empty_typeEEEZZNS1_29radix_sort_onesweep_iterationIS3_Lb0EN6thrust23THRUST_200600_302600_NS6detail15normal_iteratorINS9_10device_ptrIiEEEESE_PS5_SF_jNS0_19identity_decomposerENS1_16block_id_wrapperIjLb1EEEEE10hipError_tT1_PNSt15iterator_traitsISK_E10value_typeET2_T3_PNSL_ISQ_E10value_typeET4_T5_PSV_SW_PNS1_23onesweep_lookback_stateEbbT6_jjT7_P12ihipStream_tbENKUlT_T0_SK_SP_E_clIPiSE_SF_SF_EEDaS13_S14_SK_SP_EUlS13_E_NS1_11comp_targetILNS1_3genE3ELNS1_11target_archE908ELNS1_3gpuE7ELNS1_3repE0EEENS1_47radix_sort_onesweep_sort_config_static_selectorELNS0_4arch9wavefront6targetE1EEEvSK_,comdat
	.protected	_ZN7rocprim17ROCPRIM_400000_NS6detail17trampoline_kernelINS0_14default_configENS1_35radix_sort_onesweep_config_selectorIiNS0_10empty_typeEEEZZNS1_29radix_sort_onesweep_iterationIS3_Lb0EN6thrust23THRUST_200600_302600_NS6detail15normal_iteratorINS9_10device_ptrIiEEEESE_PS5_SF_jNS0_19identity_decomposerENS1_16block_id_wrapperIjLb1EEEEE10hipError_tT1_PNSt15iterator_traitsISK_E10value_typeET2_T3_PNSL_ISQ_E10value_typeET4_T5_PSV_SW_PNS1_23onesweep_lookback_stateEbbT6_jjT7_P12ihipStream_tbENKUlT_T0_SK_SP_E_clIPiSE_SF_SF_EEDaS13_S14_SK_SP_EUlS13_E_NS1_11comp_targetILNS1_3genE3ELNS1_11target_archE908ELNS1_3gpuE7ELNS1_3repE0EEENS1_47radix_sort_onesweep_sort_config_static_selectorELNS0_4arch9wavefront6targetE1EEEvSK_ ; -- Begin function _ZN7rocprim17ROCPRIM_400000_NS6detail17trampoline_kernelINS0_14default_configENS1_35radix_sort_onesweep_config_selectorIiNS0_10empty_typeEEEZZNS1_29radix_sort_onesweep_iterationIS3_Lb0EN6thrust23THRUST_200600_302600_NS6detail15normal_iteratorINS9_10device_ptrIiEEEESE_PS5_SF_jNS0_19identity_decomposerENS1_16block_id_wrapperIjLb1EEEEE10hipError_tT1_PNSt15iterator_traitsISK_E10value_typeET2_T3_PNSL_ISQ_E10value_typeET4_T5_PSV_SW_PNS1_23onesweep_lookback_stateEbbT6_jjT7_P12ihipStream_tbENKUlT_T0_SK_SP_E_clIPiSE_SF_SF_EEDaS13_S14_SK_SP_EUlS13_E_NS1_11comp_targetILNS1_3genE3ELNS1_11target_archE908ELNS1_3gpuE7ELNS1_3repE0EEENS1_47radix_sort_onesweep_sort_config_static_selectorELNS0_4arch9wavefront6targetE1EEEvSK_
	.globl	_ZN7rocprim17ROCPRIM_400000_NS6detail17trampoline_kernelINS0_14default_configENS1_35radix_sort_onesweep_config_selectorIiNS0_10empty_typeEEEZZNS1_29radix_sort_onesweep_iterationIS3_Lb0EN6thrust23THRUST_200600_302600_NS6detail15normal_iteratorINS9_10device_ptrIiEEEESE_PS5_SF_jNS0_19identity_decomposerENS1_16block_id_wrapperIjLb1EEEEE10hipError_tT1_PNSt15iterator_traitsISK_E10value_typeET2_T3_PNSL_ISQ_E10value_typeET4_T5_PSV_SW_PNS1_23onesweep_lookback_stateEbbT6_jjT7_P12ihipStream_tbENKUlT_T0_SK_SP_E_clIPiSE_SF_SF_EEDaS13_S14_SK_SP_EUlS13_E_NS1_11comp_targetILNS1_3genE3ELNS1_11target_archE908ELNS1_3gpuE7ELNS1_3repE0EEENS1_47radix_sort_onesweep_sort_config_static_selectorELNS0_4arch9wavefront6targetE1EEEvSK_
	.p2align	8
	.type	_ZN7rocprim17ROCPRIM_400000_NS6detail17trampoline_kernelINS0_14default_configENS1_35radix_sort_onesweep_config_selectorIiNS0_10empty_typeEEEZZNS1_29radix_sort_onesweep_iterationIS3_Lb0EN6thrust23THRUST_200600_302600_NS6detail15normal_iteratorINS9_10device_ptrIiEEEESE_PS5_SF_jNS0_19identity_decomposerENS1_16block_id_wrapperIjLb1EEEEE10hipError_tT1_PNSt15iterator_traitsISK_E10value_typeET2_T3_PNSL_ISQ_E10value_typeET4_T5_PSV_SW_PNS1_23onesweep_lookback_stateEbbT6_jjT7_P12ihipStream_tbENKUlT_T0_SK_SP_E_clIPiSE_SF_SF_EEDaS13_S14_SK_SP_EUlS13_E_NS1_11comp_targetILNS1_3genE3ELNS1_11target_archE908ELNS1_3gpuE7ELNS1_3repE0EEENS1_47radix_sort_onesweep_sort_config_static_selectorELNS0_4arch9wavefront6targetE1EEEvSK_,@function
_ZN7rocprim17ROCPRIM_400000_NS6detail17trampoline_kernelINS0_14default_configENS1_35radix_sort_onesweep_config_selectorIiNS0_10empty_typeEEEZZNS1_29radix_sort_onesweep_iterationIS3_Lb0EN6thrust23THRUST_200600_302600_NS6detail15normal_iteratorINS9_10device_ptrIiEEEESE_PS5_SF_jNS0_19identity_decomposerENS1_16block_id_wrapperIjLb1EEEEE10hipError_tT1_PNSt15iterator_traitsISK_E10value_typeET2_T3_PNSL_ISQ_E10value_typeET4_T5_PSV_SW_PNS1_23onesweep_lookback_stateEbbT6_jjT7_P12ihipStream_tbENKUlT_T0_SK_SP_E_clIPiSE_SF_SF_EEDaS13_S14_SK_SP_EUlS13_E_NS1_11comp_targetILNS1_3genE3ELNS1_11target_archE908ELNS1_3gpuE7ELNS1_3repE0EEENS1_47radix_sort_onesweep_sort_config_static_selectorELNS0_4arch9wavefront6targetE1EEEvSK_: ; @_ZN7rocprim17ROCPRIM_400000_NS6detail17trampoline_kernelINS0_14default_configENS1_35radix_sort_onesweep_config_selectorIiNS0_10empty_typeEEEZZNS1_29radix_sort_onesweep_iterationIS3_Lb0EN6thrust23THRUST_200600_302600_NS6detail15normal_iteratorINS9_10device_ptrIiEEEESE_PS5_SF_jNS0_19identity_decomposerENS1_16block_id_wrapperIjLb1EEEEE10hipError_tT1_PNSt15iterator_traitsISK_E10value_typeET2_T3_PNSL_ISQ_E10value_typeET4_T5_PSV_SW_PNS1_23onesweep_lookback_stateEbbT6_jjT7_P12ihipStream_tbENKUlT_T0_SK_SP_E_clIPiSE_SF_SF_EEDaS13_S14_SK_SP_EUlS13_E_NS1_11comp_targetILNS1_3genE3ELNS1_11target_archE908ELNS1_3gpuE7ELNS1_3repE0EEENS1_47radix_sort_onesweep_sort_config_static_selectorELNS0_4arch9wavefront6targetE1EEEvSK_
; %bb.0:
	.section	.rodata,"a",@progbits
	.p2align	6, 0x0
	.amdhsa_kernel _ZN7rocprim17ROCPRIM_400000_NS6detail17trampoline_kernelINS0_14default_configENS1_35radix_sort_onesweep_config_selectorIiNS0_10empty_typeEEEZZNS1_29radix_sort_onesweep_iterationIS3_Lb0EN6thrust23THRUST_200600_302600_NS6detail15normal_iteratorINS9_10device_ptrIiEEEESE_PS5_SF_jNS0_19identity_decomposerENS1_16block_id_wrapperIjLb1EEEEE10hipError_tT1_PNSt15iterator_traitsISK_E10value_typeET2_T3_PNSL_ISQ_E10value_typeET4_T5_PSV_SW_PNS1_23onesweep_lookback_stateEbbT6_jjT7_P12ihipStream_tbENKUlT_T0_SK_SP_E_clIPiSE_SF_SF_EEDaS13_S14_SK_SP_EUlS13_E_NS1_11comp_targetILNS1_3genE3ELNS1_11target_archE908ELNS1_3gpuE7ELNS1_3repE0EEENS1_47radix_sort_onesweep_sort_config_static_selectorELNS0_4arch9wavefront6targetE1EEEvSK_
		.amdhsa_group_segment_fixed_size 0
		.amdhsa_private_segment_fixed_size 0
		.amdhsa_kernarg_size 88
		.amdhsa_user_sgpr_count 6
		.amdhsa_user_sgpr_private_segment_buffer 1
		.amdhsa_user_sgpr_dispatch_ptr 0
		.amdhsa_user_sgpr_queue_ptr 0
		.amdhsa_user_sgpr_kernarg_segment_ptr 1
		.amdhsa_user_sgpr_dispatch_id 0
		.amdhsa_user_sgpr_flat_scratch_init 0
		.amdhsa_user_sgpr_kernarg_preload_length 0
		.amdhsa_user_sgpr_kernarg_preload_offset 0
		.amdhsa_user_sgpr_private_segment_size 0
		.amdhsa_uses_dynamic_stack 0
		.amdhsa_system_sgpr_private_segment_wavefront_offset 0
		.amdhsa_system_sgpr_workgroup_id_x 1
		.amdhsa_system_sgpr_workgroup_id_y 0
		.amdhsa_system_sgpr_workgroup_id_z 0
		.amdhsa_system_sgpr_workgroup_info 0
		.amdhsa_system_vgpr_workitem_id 0
		.amdhsa_next_free_vgpr 1
		.amdhsa_next_free_sgpr 0
		.amdhsa_accum_offset 4
		.amdhsa_reserve_vcc 0
		.amdhsa_reserve_flat_scratch 0
		.amdhsa_float_round_mode_32 0
		.amdhsa_float_round_mode_16_64 0
		.amdhsa_float_denorm_mode_32 3
		.amdhsa_float_denorm_mode_16_64 3
		.amdhsa_dx10_clamp 1
		.amdhsa_ieee_mode 1
		.amdhsa_fp16_overflow 0
		.amdhsa_tg_split 0
		.amdhsa_exception_fp_ieee_invalid_op 0
		.amdhsa_exception_fp_denorm_src 0
		.amdhsa_exception_fp_ieee_div_zero 0
		.amdhsa_exception_fp_ieee_overflow 0
		.amdhsa_exception_fp_ieee_underflow 0
		.amdhsa_exception_fp_ieee_inexact 0
		.amdhsa_exception_int_div_zero 0
	.end_amdhsa_kernel
	.section	.text._ZN7rocprim17ROCPRIM_400000_NS6detail17trampoline_kernelINS0_14default_configENS1_35radix_sort_onesweep_config_selectorIiNS0_10empty_typeEEEZZNS1_29radix_sort_onesweep_iterationIS3_Lb0EN6thrust23THRUST_200600_302600_NS6detail15normal_iteratorINS9_10device_ptrIiEEEESE_PS5_SF_jNS0_19identity_decomposerENS1_16block_id_wrapperIjLb1EEEEE10hipError_tT1_PNSt15iterator_traitsISK_E10value_typeET2_T3_PNSL_ISQ_E10value_typeET4_T5_PSV_SW_PNS1_23onesweep_lookback_stateEbbT6_jjT7_P12ihipStream_tbENKUlT_T0_SK_SP_E_clIPiSE_SF_SF_EEDaS13_S14_SK_SP_EUlS13_E_NS1_11comp_targetILNS1_3genE3ELNS1_11target_archE908ELNS1_3gpuE7ELNS1_3repE0EEENS1_47radix_sort_onesweep_sort_config_static_selectorELNS0_4arch9wavefront6targetE1EEEvSK_,"axG",@progbits,_ZN7rocprim17ROCPRIM_400000_NS6detail17trampoline_kernelINS0_14default_configENS1_35radix_sort_onesweep_config_selectorIiNS0_10empty_typeEEEZZNS1_29radix_sort_onesweep_iterationIS3_Lb0EN6thrust23THRUST_200600_302600_NS6detail15normal_iteratorINS9_10device_ptrIiEEEESE_PS5_SF_jNS0_19identity_decomposerENS1_16block_id_wrapperIjLb1EEEEE10hipError_tT1_PNSt15iterator_traitsISK_E10value_typeET2_T3_PNSL_ISQ_E10value_typeET4_T5_PSV_SW_PNS1_23onesweep_lookback_stateEbbT6_jjT7_P12ihipStream_tbENKUlT_T0_SK_SP_E_clIPiSE_SF_SF_EEDaS13_S14_SK_SP_EUlS13_E_NS1_11comp_targetILNS1_3genE3ELNS1_11target_archE908ELNS1_3gpuE7ELNS1_3repE0EEENS1_47radix_sort_onesweep_sort_config_static_selectorELNS0_4arch9wavefront6targetE1EEEvSK_,comdat
.Lfunc_end1769:
	.size	_ZN7rocprim17ROCPRIM_400000_NS6detail17trampoline_kernelINS0_14default_configENS1_35radix_sort_onesweep_config_selectorIiNS0_10empty_typeEEEZZNS1_29radix_sort_onesweep_iterationIS3_Lb0EN6thrust23THRUST_200600_302600_NS6detail15normal_iteratorINS9_10device_ptrIiEEEESE_PS5_SF_jNS0_19identity_decomposerENS1_16block_id_wrapperIjLb1EEEEE10hipError_tT1_PNSt15iterator_traitsISK_E10value_typeET2_T3_PNSL_ISQ_E10value_typeET4_T5_PSV_SW_PNS1_23onesweep_lookback_stateEbbT6_jjT7_P12ihipStream_tbENKUlT_T0_SK_SP_E_clIPiSE_SF_SF_EEDaS13_S14_SK_SP_EUlS13_E_NS1_11comp_targetILNS1_3genE3ELNS1_11target_archE908ELNS1_3gpuE7ELNS1_3repE0EEENS1_47radix_sort_onesweep_sort_config_static_selectorELNS0_4arch9wavefront6targetE1EEEvSK_, .Lfunc_end1769-_ZN7rocprim17ROCPRIM_400000_NS6detail17trampoline_kernelINS0_14default_configENS1_35radix_sort_onesweep_config_selectorIiNS0_10empty_typeEEEZZNS1_29radix_sort_onesweep_iterationIS3_Lb0EN6thrust23THRUST_200600_302600_NS6detail15normal_iteratorINS9_10device_ptrIiEEEESE_PS5_SF_jNS0_19identity_decomposerENS1_16block_id_wrapperIjLb1EEEEE10hipError_tT1_PNSt15iterator_traitsISK_E10value_typeET2_T3_PNSL_ISQ_E10value_typeET4_T5_PSV_SW_PNS1_23onesweep_lookback_stateEbbT6_jjT7_P12ihipStream_tbENKUlT_T0_SK_SP_E_clIPiSE_SF_SF_EEDaS13_S14_SK_SP_EUlS13_E_NS1_11comp_targetILNS1_3genE3ELNS1_11target_archE908ELNS1_3gpuE7ELNS1_3repE0EEENS1_47radix_sort_onesweep_sort_config_static_selectorELNS0_4arch9wavefront6targetE1EEEvSK_
                                        ; -- End function
	.section	.AMDGPU.csdata,"",@progbits
; Kernel info:
; codeLenInByte = 0
; NumSgprs: 4
; NumVgprs: 0
; NumAgprs: 0
; TotalNumVgprs: 0
; ScratchSize: 0
; MemoryBound: 0
; FloatMode: 240
; IeeeMode: 1
; LDSByteSize: 0 bytes/workgroup (compile time only)
; SGPRBlocks: 0
; VGPRBlocks: 0
; NumSGPRsForWavesPerEU: 4
; NumVGPRsForWavesPerEU: 1
; AccumOffset: 4
; Occupancy: 8
; WaveLimiterHint : 0
; COMPUTE_PGM_RSRC2:SCRATCH_EN: 0
; COMPUTE_PGM_RSRC2:USER_SGPR: 6
; COMPUTE_PGM_RSRC2:TRAP_HANDLER: 0
; COMPUTE_PGM_RSRC2:TGID_X_EN: 1
; COMPUTE_PGM_RSRC2:TGID_Y_EN: 0
; COMPUTE_PGM_RSRC2:TGID_Z_EN: 0
; COMPUTE_PGM_RSRC2:TIDIG_COMP_CNT: 0
; COMPUTE_PGM_RSRC3_GFX90A:ACCUM_OFFSET: 0
; COMPUTE_PGM_RSRC3_GFX90A:TG_SPLIT: 0
	.section	.text._ZN7rocprim17ROCPRIM_400000_NS6detail17trampoline_kernelINS0_14default_configENS1_35radix_sort_onesweep_config_selectorIiNS0_10empty_typeEEEZZNS1_29radix_sort_onesweep_iterationIS3_Lb0EN6thrust23THRUST_200600_302600_NS6detail15normal_iteratorINS9_10device_ptrIiEEEESE_PS5_SF_jNS0_19identity_decomposerENS1_16block_id_wrapperIjLb1EEEEE10hipError_tT1_PNSt15iterator_traitsISK_E10value_typeET2_T3_PNSL_ISQ_E10value_typeET4_T5_PSV_SW_PNS1_23onesweep_lookback_stateEbbT6_jjT7_P12ihipStream_tbENKUlT_T0_SK_SP_E_clIPiSE_SF_SF_EEDaS13_S14_SK_SP_EUlS13_E_NS1_11comp_targetILNS1_3genE10ELNS1_11target_archE1201ELNS1_3gpuE5ELNS1_3repE0EEENS1_47radix_sort_onesweep_sort_config_static_selectorELNS0_4arch9wavefront6targetE1EEEvSK_,"axG",@progbits,_ZN7rocprim17ROCPRIM_400000_NS6detail17trampoline_kernelINS0_14default_configENS1_35radix_sort_onesweep_config_selectorIiNS0_10empty_typeEEEZZNS1_29radix_sort_onesweep_iterationIS3_Lb0EN6thrust23THRUST_200600_302600_NS6detail15normal_iteratorINS9_10device_ptrIiEEEESE_PS5_SF_jNS0_19identity_decomposerENS1_16block_id_wrapperIjLb1EEEEE10hipError_tT1_PNSt15iterator_traitsISK_E10value_typeET2_T3_PNSL_ISQ_E10value_typeET4_T5_PSV_SW_PNS1_23onesweep_lookback_stateEbbT6_jjT7_P12ihipStream_tbENKUlT_T0_SK_SP_E_clIPiSE_SF_SF_EEDaS13_S14_SK_SP_EUlS13_E_NS1_11comp_targetILNS1_3genE10ELNS1_11target_archE1201ELNS1_3gpuE5ELNS1_3repE0EEENS1_47radix_sort_onesweep_sort_config_static_selectorELNS0_4arch9wavefront6targetE1EEEvSK_,comdat
	.protected	_ZN7rocprim17ROCPRIM_400000_NS6detail17trampoline_kernelINS0_14default_configENS1_35radix_sort_onesweep_config_selectorIiNS0_10empty_typeEEEZZNS1_29radix_sort_onesweep_iterationIS3_Lb0EN6thrust23THRUST_200600_302600_NS6detail15normal_iteratorINS9_10device_ptrIiEEEESE_PS5_SF_jNS0_19identity_decomposerENS1_16block_id_wrapperIjLb1EEEEE10hipError_tT1_PNSt15iterator_traitsISK_E10value_typeET2_T3_PNSL_ISQ_E10value_typeET4_T5_PSV_SW_PNS1_23onesweep_lookback_stateEbbT6_jjT7_P12ihipStream_tbENKUlT_T0_SK_SP_E_clIPiSE_SF_SF_EEDaS13_S14_SK_SP_EUlS13_E_NS1_11comp_targetILNS1_3genE10ELNS1_11target_archE1201ELNS1_3gpuE5ELNS1_3repE0EEENS1_47radix_sort_onesweep_sort_config_static_selectorELNS0_4arch9wavefront6targetE1EEEvSK_ ; -- Begin function _ZN7rocprim17ROCPRIM_400000_NS6detail17trampoline_kernelINS0_14default_configENS1_35radix_sort_onesweep_config_selectorIiNS0_10empty_typeEEEZZNS1_29radix_sort_onesweep_iterationIS3_Lb0EN6thrust23THRUST_200600_302600_NS6detail15normal_iteratorINS9_10device_ptrIiEEEESE_PS5_SF_jNS0_19identity_decomposerENS1_16block_id_wrapperIjLb1EEEEE10hipError_tT1_PNSt15iterator_traitsISK_E10value_typeET2_T3_PNSL_ISQ_E10value_typeET4_T5_PSV_SW_PNS1_23onesweep_lookback_stateEbbT6_jjT7_P12ihipStream_tbENKUlT_T0_SK_SP_E_clIPiSE_SF_SF_EEDaS13_S14_SK_SP_EUlS13_E_NS1_11comp_targetILNS1_3genE10ELNS1_11target_archE1201ELNS1_3gpuE5ELNS1_3repE0EEENS1_47radix_sort_onesweep_sort_config_static_selectorELNS0_4arch9wavefront6targetE1EEEvSK_
	.globl	_ZN7rocprim17ROCPRIM_400000_NS6detail17trampoline_kernelINS0_14default_configENS1_35radix_sort_onesweep_config_selectorIiNS0_10empty_typeEEEZZNS1_29radix_sort_onesweep_iterationIS3_Lb0EN6thrust23THRUST_200600_302600_NS6detail15normal_iteratorINS9_10device_ptrIiEEEESE_PS5_SF_jNS0_19identity_decomposerENS1_16block_id_wrapperIjLb1EEEEE10hipError_tT1_PNSt15iterator_traitsISK_E10value_typeET2_T3_PNSL_ISQ_E10value_typeET4_T5_PSV_SW_PNS1_23onesweep_lookback_stateEbbT6_jjT7_P12ihipStream_tbENKUlT_T0_SK_SP_E_clIPiSE_SF_SF_EEDaS13_S14_SK_SP_EUlS13_E_NS1_11comp_targetILNS1_3genE10ELNS1_11target_archE1201ELNS1_3gpuE5ELNS1_3repE0EEENS1_47radix_sort_onesweep_sort_config_static_selectorELNS0_4arch9wavefront6targetE1EEEvSK_
	.p2align	8
	.type	_ZN7rocprim17ROCPRIM_400000_NS6detail17trampoline_kernelINS0_14default_configENS1_35radix_sort_onesweep_config_selectorIiNS0_10empty_typeEEEZZNS1_29radix_sort_onesweep_iterationIS3_Lb0EN6thrust23THRUST_200600_302600_NS6detail15normal_iteratorINS9_10device_ptrIiEEEESE_PS5_SF_jNS0_19identity_decomposerENS1_16block_id_wrapperIjLb1EEEEE10hipError_tT1_PNSt15iterator_traitsISK_E10value_typeET2_T3_PNSL_ISQ_E10value_typeET4_T5_PSV_SW_PNS1_23onesweep_lookback_stateEbbT6_jjT7_P12ihipStream_tbENKUlT_T0_SK_SP_E_clIPiSE_SF_SF_EEDaS13_S14_SK_SP_EUlS13_E_NS1_11comp_targetILNS1_3genE10ELNS1_11target_archE1201ELNS1_3gpuE5ELNS1_3repE0EEENS1_47radix_sort_onesweep_sort_config_static_selectorELNS0_4arch9wavefront6targetE1EEEvSK_,@function
_ZN7rocprim17ROCPRIM_400000_NS6detail17trampoline_kernelINS0_14default_configENS1_35radix_sort_onesweep_config_selectorIiNS0_10empty_typeEEEZZNS1_29radix_sort_onesweep_iterationIS3_Lb0EN6thrust23THRUST_200600_302600_NS6detail15normal_iteratorINS9_10device_ptrIiEEEESE_PS5_SF_jNS0_19identity_decomposerENS1_16block_id_wrapperIjLb1EEEEE10hipError_tT1_PNSt15iterator_traitsISK_E10value_typeET2_T3_PNSL_ISQ_E10value_typeET4_T5_PSV_SW_PNS1_23onesweep_lookback_stateEbbT6_jjT7_P12ihipStream_tbENKUlT_T0_SK_SP_E_clIPiSE_SF_SF_EEDaS13_S14_SK_SP_EUlS13_E_NS1_11comp_targetILNS1_3genE10ELNS1_11target_archE1201ELNS1_3gpuE5ELNS1_3repE0EEENS1_47radix_sort_onesweep_sort_config_static_selectorELNS0_4arch9wavefront6targetE1EEEvSK_: ; @_ZN7rocprim17ROCPRIM_400000_NS6detail17trampoline_kernelINS0_14default_configENS1_35radix_sort_onesweep_config_selectorIiNS0_10empty_typeEEEZZNS1_29radix_sort_onesweep_iterationIS3_Lb0EN6thrust23THRUST_200600_302600_NS6detail15normal_iteratorINS9_10device_ptrIiEEEESE_PS5_SF_jNS0_19identity_decomposerENS1_16block_id_wrapperIjLb1EEEEE10hipError_tT1_PNSt15iterator_traitsISK_E10value_typeET2_T3_PNSL_ISQ_E10value_typeET4_T5_PSV_SW_PNS1_23onesweep_lookback_stateEbbT6_jjT7_P12ihipStream_tbENKUlT_T0_SK_SP_E_clIPiSE_SF_SF_EEDaS13_S14_SK_SP_EUlS13_E_NS1_11comp_targetILNS1_3genE10ELNS1_11target_archE1201ELNS1_3gpuE5ELNS1_3repE0EEENS1_47radix_sort_onesweep_sort_config_static_selectorELNS0_4arch9wavefront6targetE1EEEvSK_
; %bb.0:
	.section	.rodata,"a",@progbits
	.p2align	6, 0x0
	.amdhsa_kernel _ZN7rocprim17ROCPRIM_400000_NS6detail17trampoline_kernelINS0_14default_configENS1_35radix_sort_onesweep_config_selectorIiNS0_10empty_typeEEEZZNS1_29radix_sort_onesweep_iterationIS3_Lb0EN6thrust23THRUST_200600_302600_NS6detail15normal_iteratorINS9_10device_ptrIiEEEESE_PS5_SF_jNS0_19identity_decomposerENS1_16block_id_wrapperIjLb1EEEEE10hipError_tT1_PNSt15iterator_traitsISK_E10value_typeET2_T3_PNSL_ISQ_E10value_typeET4_T5_PSV_SW_PNS1_23onesweep_lookback_stateEbbT6_jjT7_P12ihipStream_tbENKUlT_T0_SK_SP_E_clIPiSE_SF_SF_EEDaS13_S14_SK_SP_EUlS13_E_NS1_11comp_targetILNS1_3genE10ELNS1_11target_archE1201ELNS1_3gpuE5ELNS1_3repE0EEENS1_47radix_sort_onesweep_sort_config_static_selectorELNS0_4arch9wavefront6targetE1EEEvSK_
		.amdhsa_group_segment_fixed_size 0
		.amdhsa_private_segment_fixed_size 0
		.amdhsa_kernarg_size 88
		.amdhsa_user_sgpr_count 6
		.amdhsa_user_sgpr_private_segment_buffer 1
		.amdhsa_user_sgpr_dispatch_ptr 0
		.amdhsa_user_sgpr_queue_ptr 0
		.amdhsa_user_sgpr_kernarg_segment_ptr 1
		.amdhsa_user_sgpr_dispatch_id 0
		.amdhsa_user_sgpr_flat_scratch_init 0
		.amdhsa_user_sgpr_kernarg_preload_length 0
		.amdhsa_user_sgpr_kernarg_preload_offset 0
		.amdhsa_user_sgpr_private_segment_size 0
		.amdhsa_uses_dynamic_stack 0
		.amdhsa_system_sgpr_private_segment_wavefront_offset 0
		.amdhsa_system_sgpr_workgroup_id_x 1
		.amdhsa_system_sgpr_workgroup_id_y 0
		.amdhsa_system_sgpr_workgroup_id_z 0
		.amdhsa_system_sgpr_workgroup_info 0
		.amdhsa_system_vgpr_workitem_id 0
		.amdhsa_next_free_vgpr 1
		.amdhsa_next_free_sgpr 0
		.amdhsa_accum_offset 4
		.amdhsa_reserve_vcc 0
		.amdhsa_reserve_flat_scratch 0
		.amdhsa_float_round_mode_32 0
		.amdhsa_float_round_mode_16_64 0
		.amdhsa_float_denorm_mode_32 3
		.amdhsa_float_denorm_mode_16_64 3
		.amdhsa_dx10_clamp 1
		.amdhsa_ieee_mode 1
		.amdhsa_fp16_overflow 0
		.amdhsa_tg_split 0
		.amdhsa_exception_fp_ieee_invalid_op 0
		.amdhsa_exception_fp_denorm_src 0
		.amdhsa_exception_fp_ieee_div_zero 0
		.amdhsa_exception_fp_ieee_overflow 0
		.amdhsa_exception_fp_ieee_underflow 0
		.amdhsa_exception_fp_ieee_inexact 0
		.amdhsa_exception_int_div_zero 0
	.end_amdhsa_kernel
	.section	.text._ZN7rocprim17ROCPRIM_400000_NS6detail17trampoline_kernelINS0_14default_configENS1_35radix_sort_onesweep_config_selectorIiNS0_10empty_typeEEEZZNS1_29radix_sort_onesweep_iterationIS3_Lb0EN6thrust23THRUST_200600_302600_NS6detail15normal_iteratorINS9_10device_ptrIiEEEESE_PS5_SF_jNS0_19identity_decomposerENS1_16block_id_wrapperIjLb1EEEEE10hipError_tT1_PNSt15iterator_traitsISK_E10value_typeET2_T3_PNSL_ISQ_E10value_typeET4_T5_PSV_SW_PNS1_23onesweep_lookback_stateEbbT6_jjT7_P12ihipStream_tbENKUlT_T0_SK_SP_E_clIPiSE_SF_SF_EEDaS13_S14_SK_SP_EUlS13_E_NS1_11comp_targetILNS1_3genE10ELNS1_11target_archE1201ELNS1_3gpuE5ELNS1_3repE0EEENS1_47radix_sort_onesweep_sort_config_static_selectorELNS0_4arch9wavefront6targetE1EEEvSK_,"axG",@progbits,_ZN7rocprim17ROCPRIM_400000_NS6detail17trampoline_kernelINS0_14default_configENS1_35radix_sort_onesweep_config_selectorIiNS0_10empty_typeEEEZZNS1_29radix_sort_onesweep_iterationIS3_Lb0EN6thrust23THRUST_200600_302600_NS6detail15normal_iteratorINS9_10device_ptrIiEEEESE_PS5_SF_jNS0_19identity_decomposerENS1_16block_id_wrapperIjLb1EEEEE10hipError_tT1_PNSt15iterator_traitsISK_E10value_typeET2_T3_PNSL_ISQ_E10value_typeET4_T5_PSV_SW_PNS1_23onesweep_lookback_stateEbbT6_jjT7_P12ihipStream_tbENKUlT_T0_SK_SP_E_clIPiSE_SF_SF_EEDaS13_S14_SK_SP_EUlS13_E_NS1_11comp_targetILNS1_3genE10ELNS1_11target_archE1201ELNS1_3gpuE5ELNS1_3repE0EEENS1_47radix_sort_onesweep_sort_config_static_selectorELNS0_4arch9wavefront6targetE1EEEvSK_,comdat
.Lfunc_end1770:
	.size	_ZN7rocprim17ROCPRIM_400000_NS6detail17trampoline_kernelINS0_14default_configENS1_35radix_sort_onesweep_config_selectorIiNS0_10empty_typeEEEZZNS1_29radix_sort_onesweep_iterationIS3_Lb0EN6thrust23THRUST_200600_302600_NS6detail15normal_iteratorINS9_10device_ptrIiEEEESE_PS5_SF_jNS0_19identity_decomposerENS1_16block_id_wrapperIjLb1EEEEE10hipError_tT1_PNSt15iterator_traitsISK_E10value_typeET2_T3_PNSL_ISQ_E10value_typeET4_T5_PSV_SW_PNS1_23onesweep_lookback_stateEbbT6_jjT7_P12ihipStream_tbENKUlT_T0_SK_SP_E_clIPiSE_SF_SF_EEDaS13_S14_SK_SP_EUlS13_E_NS1_11comp_targetILNS1_3genE10ELNS1_11target_archE1201ELNS1_3gpuE5ELNS1_3repE0EEENS1_47radix_sort_onesweep_sort_config_static_selectorELNS0_4arch9wavefront6targetE1EEEvSK_, .Lfunc_end1770-_ZN7rocprim17ROCPRIM_400000_NS6detail17trampoline_kernelINS0_14default_configENS1_35radix_sort_onesweep_config_selectorIiNS0_10empty_typeEEEZZNS1_29radix_sort_onesweep_iterationIS3_Lb0EN6thrust23THRUST_200600_302600_NS6detail15normal_iteratorINS9_10device_ptrIiEEEESE_PS5_SF_jNS0_19identity_decomposerENS1_16block_id_wrapperIjLb1EEEEE10hipError_tT1_PNSt15iterator_traitsISK_E10value_typeET2_T3_PNSL_ISQ_E10value_typeET4_T5_PSV_SW_PNS1_23onesweep_lookback_stateEbbT6_jjT7_P12ihipStream_tbENKUlT_T0_SK_SP_E_clIPiSE_SF_SF_EEDaS13_S14_SK_SP_EUlS13_E_NS1_11comp_targetILNS1_3genE10ELNS1_11target_archE1201ELNS1_3gpuE5ELNS1_3repE0EEENS1_47radix_sort_onesweep_sort_config_static_selectorELNS0_4arch9wavefront6targetE1EEEvSK_
                                        ; -- End function
	.section	.AMDGPU.csdata,"",@progbits
; Kernel info:
; codeLenInByte = 0
; NumSgprs: 4
; NumVgprs: 0
; NumAgprs: 0
; TotalNumVgprs: 0
; ScratchSize: 0
; MemoryBound: 0
; FloatMode: 240
; IeeeMode: 1
; LDSByteSize: 0 bytes/workgroup (compile time only)
; SGPRBlocks: 0
; VGPRBlocks: 0
; NumSGPRsForWavesPerEU: 4
; NumVGPRsForWavesPerEU: 1
; AccumOffset: 4
; Occupancy: 8
; WaveLimiterHint : 0
; COMPUTE_PGM_RSRC2:SCRATCH_EN: 0
; COMPUTE_PGM_RSRC2:USER_SGPR: 6
; COMPUTE_PGM_RSRC2:TRAP_HANDLER: 0
; COMPUTE_PGM_RSRC2:TGID_X_EN: 1
; COMPUTE_PGM_RSRC2:TGID_Y_EN: 0
; COMPUTE_PGM_RSRC2:TGID_Z_EN: 0
; COMPUTE_PGM_RSRC2:TIDIG_COMP_CNT: 0
; COMPUTE_PGM_RSRC3_GFX90A:ACCUM_OFFSET: 0
; COMPUTE_PGM_RSRC3_GFX90A:TG_SPLIT: 0
	.section	.text._ZN7rocprim17ROCPRIM_400000_NS6detail17trampoline_kernelINS0_14default_configENS1_35radix_sort_onesweep_config_selectorIiNS0_10empty_typeEEEZZNS1_29radix_sort_onesweep_iterationIS3_Lb0EN6thrust23THRUST_200600_302600_NS6detail15normal_iteratorINS9_10device_ptrIiEEEESE_PS5_SF_jNS0_19identity_decomposerENS1_16block_id_wrapperIjLb1EEEEE10hipError_tT1_PNSt15iterator_traitsISK_E10value_typeET2_T3_PNSL_ISQ_E10value_typeET4_T5_PSV_SW_PNS1_23onesweep_lookback_stateEbbT6_jjT7_P12ihipStream_tbENKUlT_T0_SK_SP_E_clIPiSE_SF_SF_EEDaS13_S14_SK_SP_EUlS13_E_NS1_11comp_targetILNS1_3genE9ELNS1_11target_archE1100ELNS1_3gpuE3ELNS1_3repE0EEENS1_47radix_sort_onesweep_sort_config_static_selectorELNS0_4arch9wavefront6targetE1EEEvSK_,"axG",@progbits,_ZN7rocprim17ROCPRIM_400000_NS6detail17trampoline_kernelINS0_14default_configENS1_35radix_sort_onesweep_config_selectorIiNS0_10empty_typeEEEZZNS1_29radix_sort_onesweep_iterationIS3_Lb0EN6thrust23THRUST_200600_302600_NS6detail15normal_iteratorINS9_10device_ptrIiEEEESE_PS5_SF_jNS0_19identity_decomposerENS1_16block_id_wrapperIjLb1EEEEE10hipError_tT1_PNSt15iterator_traitsISK_E10value_typeET2_T3_PNSL_ISQ_E10value_typeET4_T5_PSV_SW_PNS1_23onesweep_lookback_stateEbbT6_jjT7_P12ihipStream_tbENKUlT_T0_SK_SP_E_clIPiSE_SF_SF_EEDaS13_S14_SK_SP_EUlS13_E_NS1_11comp_targetILNS1_3genE9ELNS1_11target_archE1100ELNS1_3gpuE3ELNS1_3repE0EEENS1_47radix_sort_onesweep_sort_config_static_selectorELNS0_4arch9wavefront6targetE1EEEvSK_,comdat
	.protected	_ZN7rocprim17ROCPRIM_400000_NS6detail17trampoline_kernelINS0_14default_configENS1_35radix_sort_onesweep_config_selectorIiNS0_10empty_typeEEEZZNS1_29radix_sort_onesweep_iterationIS3_Lb0EN6thrust23THRUST_200600_302600_NS6detail15normal_iteratorINS9_10device_ptrIiEEEESE_PS5_SF_jNS0_19identity_decomposerENS1_16block_id_wrapperIjLb1EEEEE10hipError_tT1_PNSt15iterator_traitsISK_E10value_typeET2_T3_PNSL_ISQ_E10value_typeET4_T5_PSV_SW_PNS1_23onesweep_lookback_stateEbbT6_jjT7_P12ihipStream_tbENKUlT_T0_SK_SP_E_clIPiSE_SF_SF_EEDaS13_S14_SK_SP_EUlS13_E_NS1_11comp_targetILNS1_3genE9ELNS1_11target_archE1100ELNS1_3gpuE3ELNS1_3repE0EEENS1_47radix_sort_onesweep_sort_config_static_selectorELNS0_4arch9wavefront6targetE1EEEvSK_ ; -- Begin function _ZN7rocprim17ROCPRIM_400000_NS6detail17trampoline_kernelINS0_14default_configENS1_35radix_sort_onesweep_config_selectorIiNS0_10empty_typeEEEZZNS1_29radix_sort_onesweep_iterationIS3_Lb0EN6thrust23THRUST_200600_302600_NS6detail15normal_iteratorINS9_10device_ptrIiEEEESE_PS5_SF_jNS0_19identity_decomposerENS1_16block_id_wrapperIjLb1EEEEE10hipError_tT1_PNSt15iterator_traitsISK_E10value_typeET2_T3_PNSL_ISQ_E10value_typeET4_T5_PSV_SW_PNS1_23onesweep_lookback_stateEbbT6_jjT7_P12ihipStream_tbENKUlT_T0_SK_SP_E_clIPiSE_SF_SF_EEDaS13_S14_SK_SP_EUlS13_E_NS1_11comp_targetILNS1_3genE9ELNS1_11target_archE1100ELNS1_3gpuE3ELNS1_3repE0EEENS1_47radix_sort_onesweep_sort_config_static_selectorELNS0_4arch9wavefront6targetE1EEEvSK_
	.globl	_ZN7rocprim17ROCPRIM_400000_NS6detail17trampoline_kernelINS0_14default_configENS1_35radix_sort_onesweep_config_selectorIiNS0_10empty_typeEEEZZNS1_29radix_sort_onesweep_iterationIS3_Lb0EN6thrust23THRUST_200600_302600_NS6detail15normal_iteratorINS9_10device_ptrIiEEEESE_PS5_SF_jNS0_19identity_decomposerENS1_16block_id_wrapperIjLb1EEEEE10hipError_tT1_PNSt15iterator_traitsISK_E10value_typeET2_T3_PNSL_ISQ_E10value_typeET4_T5_PSV_SW_PNS1_23onesweep_lookback_stateEbbT6_jjT7_P12ihipStream_tbENKUlT_T0_SK_SP_E_clIPiSE_SF_SF_EEDaS13_S14_SK_SP_EUlS13_E_NS1_11comp_targetILNS1_3genE9ELNS1_11target_archE1100ELNS1_3gpuE3ELNS1_3repE0EEENS1_47radix_sort_onesweep_sort_config_static_selectorELNS0_4arch9wavefront6targetE1EEEvSK_
	.p2align	8
	.type	_ZN7rocprim17ROCPRIM_400000_NS6detail17trampoline_kernelINS0_14default_configENS1_35radix_sort_onesweep_config_selectorIiNS0_10empty_typeEEEZZNS1_29radix_sort_onesweep_iterationIS3_Lb0EN6thrust23THRUST_200600_302600_NS6detail15normal_iteratorINS9_10device_ptrIiEEEESE_PS5_SF_jNS0_19identity_decomposerENS1_16block_id_wrapperIjLb1EEEEE10hipError_tT1_PNSt15iterator_traitsISK_E10value_typeET2_T3_PNSL_ISQ_E10value_typeET4_T5_PSV_SW_PNS1_23onesweep_lookback_stateEbbT6_jjT7_P12ihipStream_tbENKUlT_T0_SK_SP_E_clIPiSE_SF_SF_EEDaS13_S14_SK_SP_EUlS13_E_NS1_11comp_targetILNS1_3genE9ELNS1_11target_archE1100ELNS1_3gpuE3ELNS1_3repE0EEENS1_47radix_sort_onesweep_sort_config_static_selectorELNS0_4arch9wavefront6targetE1EEEvSK_,@function
_ZN7rocprim17ROCPRIM_400000_NS6detail17trampoline_kernelINS0_14default_configENS1_35radix_sort_onesweep_config_selectorIiNS0_10empty_typeEEEZZNS1_29radix_sort_onesweep_iterationIS3_Lb0EN6thrust23THRUST_200600_302600_NS6detail15normal_iteratorINS9_10device_ptrIiEEEESE_PS5_SF_jNS0_19identity_decomposerENS1_16block_id_wrapperIjLb1EEEEE10hipError_tT1_PNSt15iterator_traitsISK_E10value_typeET2_T3_PNSL_ISQ_E10value_typeET4_T5_PSV_SW_PNS1_23onesweep_lookback_stateEbbT6_jjT7_P12ihipStream_tbENKUlT_T0_SK_SP_E_clIPiSE_SF_SF_EEDaS13_S14_SK_SP_EUlS13_E_NS1_11comp_targetILNS1_3genE9ELNS1_11target_archE1100ELNS1_3gpuE3ELNS1_3repE0EEENS1_47radix_sort_onesweep_sort_config_static_selectorELNS0_4arch9wavefront6targetE1EEEvSK_: ; @_ZN7rocprim17ROCPRIM_400000_NS6detail17trampoline_kernelINS0_14default_configENS1_35radix_sort_onesweep_config_selectorIiNS0_10empty_typeEEEZZNS1_29radix_sort_onesweep_iterationIS3_Lb0EN6thrust23THRUST_200600_302600_NS6detail15normal_iteratorINS9_10device_ptrIiEEEESE_PS5_SF_jNS0_19identity_decomposerENS1_16block_id_wrapperIjLb1EEEEE10hipError_tT1_PNSt15iterator_traitsISK_E10value_typeET2_T3_PNSL_ISQ_E10value_typeET4_T5_PSV_SW_PNS1_23onesweep_lookback_stateEbbT6_jjT7_P12ihipStream_tbENKUlT_T0_SK_SP_E_clIPiSE_SF_SF_EEDaS13_S14_SK_SP_EUlS13_E_NS1_11comp_targetILNS1_3genE9ELNS1_11target_archE1100ELNS1_3gpuE3ELNS1_3repE0EEENS1_47radix_sort_onesweep_sort_config_static_selectorELNS0_4arch9wavefront6targetE1EEEvSK_
; %bb.0:
	.section	.rodata,"a",@progbits
	.p2align	6, 0x0
	.amdhsa_kernel _ZN7rocprim17ROCPRIM_400000_NS6detail17trampoline_kernelINS0_14default_configENS1_35radix_sort_onesweep_config_selectorIiNS0_10empty_typeEEEZZNS1_29radix_sort_onesweep_iterationIS3_Lb0EN6thrust23THRUST_200600_302600_NS6detail15normal_iteratorINS9_10device_ptrIiEEEESE_PS5_SF_jNS0_19identity_decomposerENS1_16block_id_wrapperIjLb1EEEEE10hipError_tT1_PNSt15iterator_traitsISK_E10value_typeET2_T3_PNSL_ISQ_E10value_typeET4_T5_PSV_SW_PNS1_23onesweep_lookback_stateEbbT6_jjT7_P12ihipStream_tbENKUlT_T0_SK_SP_E_clIPiSE_SF_SF_EEDaS13_S14_SK_SP_EUlS13_E_NS1_11comp_targetILNS1_3genE9ELNS1_11target_archE1100ELNS1_3gpuE3ELNS1_3repE0EEENS1_47radix_sort_onesweep_sort_config_static_selectorELNS0_4arch9wavefront6targetE1EEEvSK_
		.amdhsa_group_segment_fixed_size 0
		.amdhsa_private_segment_fixed_size 0
		.amdhsa_kernarg_size 88
		.amdhsa_user_sgpr_count 6
		.amdhsa_user_sgpr_private_segment_buffer 1
		.amdhsa_user_sgpr_dispatch_ptr 0
		.amdhsa_user_sgpr_queue_ptr 0
		.amdhsa_user_sgpr_kernarg_segment_ptr 1
		.amdhsa_user_sgpr_dispatch_id 0
		.amdhsa_user_sgpr_flat_scratch_init 0
		.amdhsa_user_sgpr_kernarg_preload_length 0
		.amdhsa_user_sgpr_kernarg_preload_offset 0
		.amdhsa_user_sgpr_private_segment_size 0
		.amdhsa_uses_dynamic_stack 0
		.amdhsa_system_sgpr_private_segment_wavefront_offset 0
		.amdhsa_system_sgpr_workgroup_id_x 1
		.amdhsa_system_sgpr_workgroup_id_y 0
		.amdhsa_system_sgpr_workgroup_id_z 0
		.amdhsa_system_sgpr_workgroup_info 0
		.amdhsa_system_vgpr_workitem_id 0
		.amdhsa_next_free_vgpr 1
		.amdhsa_next_free_sgpr 0
		.amdhsa_accum_offset 4
		.amdhsa_reserve_vcc 0
		.amdhsa_reserve_flat_scratch 0
		.amdhsa_float_round_mode_32 0
		.amdhsa_float_round_mode_16_64 0
		.amdhsa_float_denorm_mode_32 3
		.amdhsa_float_denorm_mode_16_64 3
		.amdhsa_dx10_clamp 1
		.amdhsa_ieee_mode 1
		.amdhsa_fp16_overflow 0
		.amdhsa_tg_split 0
		.amdhsa_exception_fp_ieee_invalid_op 0
		.amdhsa_exception_fp_denorm_src 0
		.amdhsa_exception_fp_ieee_div_zero 0
		.amdhsa_exception_fp_ieee_overflow 0
		.amdhsa_exception_fp_ieee_underflow 0
		.amdhsa_exception_fp_ieee_inexact 0
		.amdhsa_exception_int_div_zero 0
	.end_amdhsa_kernel
	.section	.text._ZN7rocprim17ROCPRIM_400000_NS6detail17trampoline_kernelINS0_14default_configENS1_35radix_sort_onesweep_config_selectorIiNS0_10empty_typeEEEZZNS1_29radix_sort_onesweep_iterationIS3_Lb0EN6thrust23THRUST_200600_302600_NS6detail15normal_iteratorINS9_10device_ptrIiEEEESE_PS5_SF_jNS0_19identity_decomposerENS1_16block_id_wrapperIjLb1EEEEE10hipError_tT1_PNSt15iterator_traitsISK_E10value_typeET2_T3_PNSL_ISQ_E10value_typeET4_T5_PSV_SW_PNS1_23onesweep_lookback_stateEbbT6_jjT7_P12ihipStream_tbENKUlT_T0_SK_SP_E_clIPiSE_SF_SF_EEDaS13_S14_SK_SP_EUlS13_E_NS1_11comp_targetILNS1_3genE9ELNS1_11target_archE1100ELNS1_3gpuE3ELNS1_3repE0EEENS1_47radix_sort_onesweep_sort_config_static_selectorELNS0_4arch9wavefront6targetE1EEEvSK_,"axG",@progbits,_ZN7rocprim17ROCPRIM_400000_NS6detail17trampoline_kernelINS0_14default_configENS1_35radix_sort_onesweep_config_selectorIiNS0_10empty_typeEEEZZNS1_29radix_sort_onesweep_iterationIS3_Lb0EN6thrust23THRUST_200600_302600_NS6detail15normal_iteratorINS9_10device_ptrIiEEEESE_PS5_SF_jNS0_19identity_decomposerENS1_16block_id_wrapperIjLb1EEEEE10hipError_tT1_PNSt15iterator_traitsISK_E10value_typeET2_T3_PNSL_ISQ_E10value_typeET4_T5_PSV_SW_PNS1_23onesweep_lookback_stateEbbT6_jjT7_P12ihipStream_tbENKUlT_T0_SK_SP_E_clIPiSE_SF_SF_EEDaS13_S14_SK_SP_EUlS13_E_NS1_11comp_targetILNS1_3genE9ELNS1_11target_archE1100ELNS1_3gpuE3ELNS1_3repE0EEENS1_47radix_sort_onesweep_sort_config_static_selectorELNS0_4arch9wavefront6targetE1EEEvSK_,comdat
.Lfunc_end1771:
	.size	_ZN7rocprim17ROCPRIM_400000_NS6detail17trampoline_kernelINS0_14default_configENS1_35radix_sort_onesweep_config_selectorIiNS0_10empty_typeEEEZZNS1_29radix_sort_onesweep_iterationIS3_Lb0EN6thrust23THRUST_200600_302600_NS6detail15normal_iteratorINS9_10device_ptrIiEEEESE_PS5_SF_jNS0_19identity_decomposerENS1_16block_id_wrapperIjLb1EEEEE10hipError_tT1_PNSt15iterator_traitsISK_E10value_typeET2_T3_PNSL_ISQ_E10value_typeET4_T5_PSV_SW_PNS1_23onesweep_lookback_stateEbbT6_jjT7_P12ihipStream_tbENKUlT_T0_SK_SP_E_clIPiSE_SF_SF_EEDaS13_S14_SK_SP_EUlS13_E_NS1_11comp_targetILNS1_3genE9ELNS1_11target_archE1100ELNS1_3gpuE3ELNS1_3repE0EEENS1_47radix_sort_onesweep_sort_config_static_selectorELNS0_4arch9wavefront6targetE1EEEvSK_, .Lfunc_end1771-_ZN7rocprim17ROCPRIM_400000_NS6detail17trampoline_kernelINS0_14default_configENS1_35radix_sort_onesweep_config_selectorIiNS0_10empty_typeEEEZZNS1_29radix_sort_onesweep_iterationIS3_Lb0EN6thrust23THRUST_200600_302600_NS6detail15normal_iteratorINS9_10device_ptrIiEEEESE_PS5_SF_jNS0_19identity_decomposerENS1_16block_id_wrapperIjLb1EEEEE10hipError_tT1_PNSt15iterator_traitsISK_E10value_typeET2_T3_PNSL_ISQ_E10value_typeET4_T5_PSV_SW_PNS1_23onesweep_lookback_stateEbbT6_jjT7_P12ihipStream_tbENKUlT_T0_SK_SP_E_clIPiSE_SF_SF_EEDaS13_S14_SK_SP_EUlS13_E_NS1_11comp_targetILNS1_3genE9ELNS1_11target_archE1100ELNS1_3gpuE3ELNS1_3repE0EEENS1_47radix_sort_onesweep_sort_config_static_selectorELNS0_4arch9wavefront6targetE1EEEvSK_
                                        ; -- End function
	.section	.AMDGPU.csdata,"",@progbits
; Kernel info:
; codeLenInByte = 0
; NumSgprs: 4
; NumVgprs: 0
; NumAgprs: 0
; TotalNumVgprs: 0
; ScratchSize: 0
; MemoryBound: 0
; FloatMode: 240
; IeeeMode: 1
; LDSByteSize: 0 bytes/workgroup (compile time only)
; SGPRBlocks: 0
; VGPRBlocks: 0
; NumSGPRsForWavesPerEU: 4
; NumVGPRsForWavesPerEU: 1
; AccumOffset: 4
; Occupancy: 8
; WaveLimiterHint : 0
; COMPUTE_PGM_RSRC2:SCRATCH_EN: 0
; COMPUTE_PGM_RSRC2:USER_SGPR: 6
; COMPUTE_PGM_RSRC2:TRAP_HANDLER: 0
; COMPUTE_PGM_RSRC2:TGID_X_EN: 1
; COMPUTE_PGM_RSRC2:TGID_Y_EN: 0
; COMPUTE_PGM_RSRC2:TGID_Z_EN: 0
; COMPUTE_PGM_RSRC2:TIDIG_COMP_CNT: 0
; COMPUTE_PGM_RSRC3_GFX90A:ACCUM_OFFSET: 0
; COMPUTE_PGM_RSRC3_GFX90A:TG_SPLIT: 0
	.section	.text._ZN7rocprim17ROCPRIM_400000_NS6detail17trampoline_kernelINS0_14default_configENS1_35radix_sort_onesweep_config_selectorIiNS0_10empty_typeEEEZZNS1_29radix_sort_onesweep_iterationIS3_Lb0EN6thrust23THRUST_200600_302600_NS6detail15normal_iteratorINS9_10device_ptrIiEEEESE_PS5_SF_jNS0_19identity_decomposerENS1_16block_id_wrapperIjLb1EEEEE10hipError_tT1_PNSt15iterator_traitsISK_E10value_typeET2_T3_PNSL_ISQ_E10value_typeET4_T5_PSV_SW_PNS1_23onesweep_lookback_stateEbbT6_jjT7_P12ihipStream_tbENKUlT_T0_SK_SP_E_clIPiSE_SF_SF_EEDaS13_S14_SK_SP_EUlS13_E_NS1_11comp_targetILNS1_3genE8ELNS1_11target_archE1030ELNS1_3gpuE2ELNS1_3repE0EEENS1_47radix_sort_onesweep_sort_config_static_selectorELNS0_4arch9wavefront6targetE1EEEvSK_,"axG",@progbits,_ZN7rocprim17ROCPRIM_400000_NS6detail17trampoline_kernelINS0_14default_configENS1_35radix_sort_onesweep_config_selectorIiNS0_10empty_typeEEEZZNS1_29radix_sort_onesweep_iterationIS3_Lb0EN6thrust23THRUST_200600_302600_NS6detail15normal_iteratorINS9_10device_ptrIiEEEESE_PS5_SF_jNS0_19identity_decomposerENS1_16block_id_wrapperIjLb1EEEEE10hipError_tT1_PNSt15iterator_traitsISK_E10value_typeET2_T3_PNSL_ISQ_E10value_typeET4_T5_PSV_SW_PNS1_23onesweep_lookback_stateEbbT6_jjT7_P12ihipStream_tbENKUlT_T0_SK_SP_E_clIPiSE_SF_SF_EEDaS13_S14_SK_SP_EUlS13_E_NS1_11comp_targetILNS1_3genE8ELNS1_11target_archE1030ELNS1_3gpuE2ELNS1_3repE0EEENS1_47radix_sort_onesweep_sort_config_static_selectorELNS0_4arch9wavefront6targetE1EEEvSK_,comdat
	.protected	_ZN7rocprim17ROCPRIM_400000_NS6detail17trampoline_kernelINS0_14default_configENS1_35radix_sort_onesweep_config_selectorIiNS0_10empty_typeEEEZZNS1_29radix_sort_onesweep_iterationIS3_Lb0EN6thrust23THRUST_200600_302600_NS6detail15normal_iteratorINS9_10device_ptrIiEEEESE_PS5_SF_jNS0_19identity_decomposerENS1_16block_id_wrapperIjLb1EEEEE10hipError_tT1_PNSt15iterator_traitsISK_E10value_typeET2_T3_PNSL_ISQ_E10value_typeET4_T5_PSV_SW_PNS1_23onesweep_lookback_stateEbbT6_jjT7_P12ihipStream_tbENKUlT_T0_SK_SP_E_clIPiSE_SF_SF_EEDaS13_S14_SK_SP_EUlS13_E_NS1_11comp_targetILNS1_3genE8ELNS1_11target_archE1030ELNS1_3gpuE2ELNS1_3repE0EEENS1_47radix_sort_onesweep_sort_config_static_selectorELNS0_4arch9wavefront6targetE1EEEvSK_ ; -- Begin function _ZN7rocprim17ROCPRIM_400000_NS6detail17trampoline_kernelINS0_14default_configENS1_35radix_sort_onesweep_config_selectorIiNS0_10empty_typeEEEZZNS1_29radix_sort_onesweep_iterationIS3_Lb0EN6thrust23THRUST_200600_302600_NS6detail15normal_iteratorINS9_10device_ptrIiEEEESE_PS5_SF_jNS0_19identity_decomposerENS1_16block_id_wrapperIjLb1EEEEE10hipError_tT1_PNSt15iterator_traitsISK_E10value_typeET2_T3_PNSL_ISQ_E10value_typeET4_T5_PSV_SW_PNS1_23onesweep_lookback_stateEbbT6_jjT7_P12ihipStream_tbENKUlT_T0_SK_SP_E_clIPiSE_SF_SF_EEDaS13_S14_SK_SP_EUlS13_E_NS1_11comp_targetILNS1_3genE8ELNS1_11target_archE1030ELNS1_3gpuE2ELNS1_3repE0EEENS1_47radix_sort_onesweep_sort_config_static_selectorELNS0_4arch9wavefront6targetE1EEEvSK_
	.globl	_ZN7rocprim17ROCPRIM_400000_NS6detail17trampoline_kernelINS0_14default_configENS1_35radix_sort_onesweep_config_selectorIiNS0_10empty_typeEEEZZNS1_29radix_sort_onesweep_iterationIS3_Lb0EN6thrust23THRUST_200600_302600_NS6detail15normal_iteratorINS9_10device_ptrIiEEEESE_PS5_SF_jNS0_19identity_decomposerENS1_16block_id_wrapperIjLb1EEEEE10hipError_tT1_PNSt15iterator_traitsISK_E10value_typeET2_T3_PNSL_ISQ_E10value_typeET4_T5_PSV_SW_PNS1_23onesweep_lookback_stateEbbT6_jjT7_P12ihipStream_tbENKUlT_T0_SK_SP_E_clIPiSE_SF_SF_EEDaS13_S14_SK_SP_EUlS13_E_NS1_11comp_targetILNS1_3genE8ELNS1_11target_archE1030ELNS1_3gpuE2ELNS1_3repE0EEENS1_47radix_sort_onesweep_sort_config_static_selectorELNS0_4arch9wavefront6targetE1EEEvSK_
	.p2align	8
	.type	_ZN7rocprim17ROCPRIM_400000_NS6detail17trampoline_kernelINS0_14default_configENS1_35radix_sort_onesweep_config_selectorIiNS0_10empty_typeEEEZZNS1_29radix_sort_onesweep_iterationIS3_Lb0EN6thrust23THRUST_200600_302600_NS6detail15normal_iteratorINS9_10device_ptrIiEEEESE_PS5_SF_jNS0_19identity_decomposerENS1_16block_id_wrapperIjLb1EEEEE10hipError_tT1_PNSt15iterator_traitsISK_E10value_typeET2_T3_PNSL_ISQ_E10value_typeET4_T5_PSV_SW_PNS1_23onesweep_lookback_stateEbbT6_jjT7_P12ihipStream_tbENKUlT_T0_SK_SP_E_clIPiSE_SF_SF_EEDaS13_S14_SK_SP_EUlS13_E_NS1_11comp_targetILNS1_3genE8ELNS1_11target_archE1030ELNS1_3gpuE2ELNS1_3repE0EEENS1_47radix_sort_onesweep_sort_config_static_selectorELNS0_4arch9wavefront6targetE1EEEvSK_,@function
_ZN7rocprim17ROCPRIM_400000_NS6detail17trampoline_kernelINS0_14default_configENS1_35radix_sort_onesweep_config_selectorIiNS0_10empty_typeEEEZZNS1_29radix_sort_onesweep_iterationIS3_Lb0EN6thrust23THRUST_200600_302600_NS6detail15normal_iteratorINS9_10device_ptrIiEEEESE_PS5_SF_jNS0_19identity_decomposerENS1_16block_id_wrapperIjLb1EEEEE10hipError_tT1_PNSt15iterator_traitsISK_E10value_typeET2_T3_PNSL_ISQ_E10value_typeET4_T5_PSV_SW_PNS1_23onesweep_lookback_stateEbbT6_jjT7_P12ihipStream_tbENKUlT_T0_SK_SP_E_clIPiSE_SF_SF_EEDaS13_S14_SK_SP_EUlS13_E_NS1_11comp_targetILNS1_3genE8ELNS1_11target_archE1030ELNS1_3gpuE2ELNS1_3repE0EEENS1_47radix_sort_onesweep_sort_config_static_selectorELNS0_4arch9wavefront6targetE1EEEvSK_: ; @_ZN7rocprim17ROCPRIM_400000_NS6detail17trampoline_kernelINS0_14default_configENS1_35radix_sort_onesweep_config_selectorIiNS0_10empty_typeEEEZZNS1_29radix_sort_onesweep_iterationIS3_Lb0EN6thrust23THRUST_200600_302600_NS6detail15normal_iteratorINS9_10device_ptrIiEEEESE_PS5_SF_jNS0_19identity_decomposerENS1_16block_id_wrapperIjLb1EEEEE10hipError_tT1_PNSt15iterator_traitsISK_E10value_typeET2_T3_PNSL_ISQ_E10value_typeET4_T5_PSV_SW_PNS1_23onesweep_lookback_stateEbbT6_jjT7_P12ihipStream_tbENKUlT_T0_SK_SP_E_clIPiSE_SF_SF_EEDaS13_S14_SK_SP_EUlS13_E_NS1_11comp_targetILNS1_3genE8ELNS1_11target_archE1030ELNS1_3gpuE2ELNS1_3repE0EEENS1_47radix_sort_onesweep_sort_config_static_selectorELNS0_4arch9wavefront6targetE1EEEvSK_
; %bb.0:
	.section	.rodata,"a",@progbits
	.p2align	6, 0x0
	.amdhsa_kernel _ZN7rocprim17ROCPRIM_400000_NS6detail17trampoline_kernelINS0_14default_configENS1_35radix_sort_onesweep_config_selectorIiNS0_10empty_typeEEEZZNS1_29radix_sort_onesweep_iterationIS3_Lb0EN6thrust23THRUST_200600_302600_NS6detail15normal_iteratorINS9_10device_ptrIiEEEESE_PS5_SF_jNS0_19identity_decomposerENS1_16block_id_wrapperIjLb1EEEEE10hipError_tT1_PNSt15iterator_traitsISK_E10value_typeET2_T3_PNSL_ISQ_E10value_typeET4_T5_PSV_SW_PNS1_23onesweep_lookback_stateEbbT6_jjT7_P12ihipStream_tbENKUlT_T0_SK_SP_E_clIPiSE_SF_SF_EEDaS13_S14_SK_SP_EUlS13_E_NS1_11comp_targetILNS1_3genE8ELNS1_11target_archE1030ELNS1_3gpuE2ELNS1_3repE0EEENS1_47radix_sort_onesweep_sort_config_static_selectorELNS0_4arch9wavefront6targetE1EEEvSK_
		.amdhsa_group_segment_fixed_size 0
		.amdhsa_private_segment_fixed_size 0
		.amdhsa_kernarg_size 88
		.amdhsa_user_sgpr_count 6
		.amdhsa_user_sgpr_private_segment_buffer 1
		.amdhsa_user_sgpr_dispatch_ptr 0
		.amdhsa_user_sgpr_queue_ptr 0
		.amdhsa_user_sgpr_kernarg_segment_ptr 1
		.amdhsa_user_sgpr_dispatch_id 0
		.amdhsa_user_sgpr_flat_scratch_init 0
		.amdhsa_user_sgpr_kernarg_preload_length 0
		.amdhsa_user_sgpr_kernarg_preload_offset 0
		.amdhsa_user_sgpr_private_segment_size 0
		.amdhsa_uses_dynamic_stack 0
		.amdhsa_system_sgpr_private_segment_wavefront_offset 0
		.amdhsa_system_sgpr_workgroup_id_x 1
		.amdhsa_system_sgpr_workgroup_id_y 0
		.amdhsa_system_sgpr_workgroup_id_z 0
		.amdhsa_system_sgpr_workgroup_info 0
		.amdhsa_system_vgpr_workitem_id 0
		.amdhsa_next_free_vgpr 1
		.amdhsa_next_free_sgpr 0
		.amdhsa_accum_offset 4
		.amdhsa_reserve_vcc 0
		.amdhsa_reserve_flat_scratch 0
		.amdhsa_float_round_mode_32 0
		.amdhsa_float_round_mode_16_64 0
		.amdhsa_float_denorm_mode_32 3
		.amdhsa_float_denorm_mode_16_64 3
		.amdhsa_dx10_clamp 1
		.amdhsa_ieee_mode 1
		.amdhsa_fp16_overflow 0
		.amdhsa_tg_split 0
		.amdhsa_exception_fp_ieee_invalid_op 0
		.amdhsa_exception_fp_denorm_src 0
		.amdhsa_exception_fp_ieee_div_zero 0
		.amdhsa_exception_fp_ieee_overflow 0
		.amdhsa_exception_fp_ieee_underflow 0
		.amdhsa_exception_fp_ieee_inexact 0
		.amdhsa_exception_int_div_zero 0
	.end_amdhsa_kernel
	.section	.text._ZN7rocprim17ROCPRIM_400000_NS6detail17trampoline_kernelINS0_14default_configENS1_35radix_sort_onesweep_config_selectorIiNS0_10empty_typeEEEZZNS1_29radix_sort_onesweep_iterationIS3_Lb0EN6thrust23THRUST_200600_302600_NS6detail15normal_iteratorINS9_10device_ptrIiEEEESE_PS5_SF_jNS0_19identity_decomposerENS1_16block_id_wrapperIjLb1EEEEE10hipError_tT1_PNSt15iterator_traitsISK_E10value_typeET2_T3_PNSL_ISQ_E10value_typeET4_T5_PSV_SW_PNS1_23onesweep_lookback_stateEbbT6_jjT7_P12ihipStream_tbENKUlT_T0_SK_SP_E_clIPiSE_SF_SF_EEDaS13_S14_SK_SP_EUlS13_E_NS1_11comp_targetILNS1_3genE8ELNS1_11target_archE1030ELNS1_3gpuE2ELNS1_3repE0EEENS1_47radix_sort_onesweep_sort_config_static_selectorELNS0_4arch9wavefront6targetE1EEEvSK_,"axG",@progbits,_ZN7rocprim17ROCPRIM_400000_NS6detail17trampoline_kernelINS0_14default_configENS1_35radix_sort_onesweep_config_selectorIiNS0_10empty_typeEEEZZNS1_29radix_sort_onesweep_iterationIS3_Lb0EN6thrust23THRUST_200600_302600_NS6detail15normal_iteratorINS9_10device_ptrIiEEEESE_PS5_SF_jNS0_19identity_decomposerENS1_16block_id_wrapperIjLb1EEEEE10hipError_tT1_PNSt15iterator_traitsISK_E10value_typeET2_T3_PNSL_ISQ_E10value_typeET4_T5_PSV_SW_PNS1_23onesweep_lookback_stateEbbT6_jjT7_P12ihipStream_tbENKUlT_T0_SK_SP_E_clIPiSE_SF_SF_EEDaS13_S14_SK_SP_EUlS13_E_NS1_11comp_targetILNS1_3genE8ELNS1_11target_archE1030ELNS1_3gpuE2ELNS1_3repE0EEENS1_47radix_sort_onesweep_sort_config_static_selectorELNS0_4arch9wavefront6targetE1EEEvSK_,comdat
.Lfunc_end1772:
	.size	_ZN7rocprim17ROCPRIM_400000_NS6detail17trampoline_kernelINS0_14default_configENS1_35radix_sort_onesweep_config_selectorIiNS0_10empty_typeEEEZZNS1_29radix_sort_onesweep_iterationIS3_Lb0EN6thrust23THRUST_200600_302600_NS6detail15normal_iteratorINS9_10device_ptrIiEEEESE_PS5_SF_jNS0_19identity_decomposerENS1_16block_id_wrapperIjLb1EEEEE10hipError_tT1_PNSt15iterator_traitsISK_E10value_typeET2_T3_PNSL_ISQ_E10value_typeET4_T5_PSV_SW_PNS1_23onesweep_lookback_stateEbbT6_jjT7_P12ihipStream_tbENKUlT_T0_SK_SP_E_clIPiSE_SF_SF_EEDaS13_S14_SK_SP_EUlS13_E_NS1_11comp_targetILNS1_3genE8ELNS1_11target_archE1030ELNS1_3gpuE2ELNS1_3repE0EEENS1_47radix_sort_onesweep_sort_config_static_selectorELNS0_4arch9wavefront6targetE1EEEvSK_, .Lfunc_end1772-_ZN7rocprim17ROCPRIM_400000_NS6detail17trampoline_kernelINS0_14default_configENS1_35radix_sort_onesweep_config_selectorIiNS0_10empty_typeEEEZZNS1_29radix_sort_onesweep_iterationIS3_Lb0EN6thrust23THRUST_200600_302600_NS6detail15normal_iteratorINS9_10device_ptrIiEEEESE_PS5_SF_jNS0_19identity_decomposerENS1_16block_id_wrapperIjLb1EEEEE10hipError_tT1_PNSt15iterator_traitsISK_E10value_typeET2_T3_PNSL_ISQ_E10value_typeET4_T5_PSV_SW_PNS1_23onesweep_lookback_stateEbbT6_jjT7_P12ihipStream_tbENKUlT_T0_SK_SP_E_clIPiSE_SF_SF_EEDaS13_S14_SK_SP_EUlS13_E_NS1_11comp_targetILNS1_3genE8ELNS1_11target_archE1030ELNS1_3gpuE2ELNS1_3repE0EEENS1_47radix_sort_onesweep_sort_config_static_selectorELNS0_4arch9wavefront6targetE1EEEvSK_
                                        ; -- End function
	.section	.AMDGPU.csdata,"",@progbits
; Kernel info:
; codeLenInByte = 0
; NumSgprs: 4
; NumVgprs: 0
; NumAgprs: 0
; TotalNumVgprs: 0
; ScratchSize: 0
; MemoryBound: 0
; FloatMode: 240
; IeeeMode: 1
; LDSByteSize: 0 bytes/workgroup (compile time only)
; SGPRBlocks: 0
; VGPRBlocks: 0
; NumSGPRsForWavesPerEU: 4
; NumVGPRsForWavesPerEU: 1
; AccumOffset: 4
; Occupancy: 8
; WaveLimiterHint : 0
; COMPUTE_PGM_RSRC2:SCRATCH_EN: 0
; COMPUTE_PGM_RSRC2:USER_SGPR: 6
; COMPUTE_PGM_RSRC2:TRAP_HANDLER: 0
; COMPUTE_PGM_RSRC2:TGID_X_EN: 1
; COMPUTE_PGM_RSRC2:TGID_Y_EN: 0
; COMPUTE_PGM_RSRC2:TGID_Z_EN: 0
; COMPUTE_PGM_RSRC2:TIDIG_COMP_CNT: 0
; COMPUTE_PGM_RSRC3_GFX90A:ACCUM_OFFSET: 0
; COMPUTE_PGM_RSRC3_GFX90A:TG_SPLIT: 0
	.section	.text._ZN7rocprim17ROCPRIM_400000_NS6detail17trampoline_kernelINS0_14default_configENS1_35radix_sort_onesweep_config_selectorIiNS0_10empty_typeEEEZZNS1_29radix_sort_onesweep_iterationIS3_Lb0EN6thrust23THRUST_200600_302600_NS6detail15normal_iteratorINS9_10device_ptrIiEEEESE_PS5_SF_jNS0_19identity_decomposerENS1_16block_id_wrapperIjLb0EEEEE10hipError_tT1_PNSt15iterator_traitsISK_E10value_typeET2_T3_PNSL_ISQ_E10value_typeET4_T5_PSV_SW_PNS1_23onesweep_lookback_stateEbbT6_jjT7_P12ihipStream_tbENKUlT_T0_SK_SP_E_clISE_SE_SF_SF_EEDaS13_S14_SK_SP_EUlS13_E_NS1_11comp_targetILNS1_3genE0ELNS1_11target_archE4294967295ELNS1_3gpuE0ELNS1_3repE0EEENS1_47radix_sort_onesweep_sort_config_static_selectorELNS0_4arch9wavefront6targetE1EEEvSK_,"axG",@progbits,_ZN7rocprim17ROCPRIM_400000_NS6detail17trampoline_kernelINS0_14default_configENS1_35radix_sort_onesweep_config_selectorIiNS0_10empty_typeEEEZZNS1_29radix_sort_onesweep_iterationIS3_Lb0EN6thrust23THRUST_200600_302600_NS6detail15normal_iteratorINS9_10device_ptrIiEEEESE_PS5_SF_jNS0_19identity_decomposerENS1_16block_id_wrapperIjLb0EEEEE10hipError_tT1_PNSt15iterator_traitsISK_E10value_typeET2_T3_PNSL_ISQ_E10value_typeET4_T5_PSV_SW_PNS1_23onesweep_lookback_stateEbbT6_jjT7_P12ihipStream_tbENKUlT_T0_SK_SP_E_clISE_SE_SF_SF_EEDaS13_S14_SK_SP_EUlS13_E_NS1_11comp_targetILNS1_3genE0ELNS1_11target_archE4294967295ELNS1_3gpuE0ELNS1_3repE0EEENS1_47radix_sort_onesweep_sort_config_static_selectorELNS0_4arch9wavefront6targetE1EEEvSK_,comdat
	.protected	_ZN7rocprim17ROCPRIM_400000_NS6detail17trampoline_kernelINS0_14default_configENS1_35radix_sort_onesweep_config_selectorIiNS0_10empty_typeEEEZZNS1_29radix_sort_onesweep_iterationIS3_Lb0EN6thrust23THRUST_200600_302600_NS6detail15normal_iteratorINS9_10device_ptrIiEEEESE_PS5_SF_jNS0_19identity_decomposerENS1_16block_id_wrapperIjLb0EEEEE10hipError_tT1_PNSt15iterator_traitsISK_E10value_typeET2_T3_PNSL_ISQ_E10value_typeET4_T5_PSV_SW_PNS1_23onesweep_lookback_stateEbbT6_jjT7_P12ihipStream_tbENKUlT_T0_SK_SP_E_clISE_SE_SF_SF_EEDaS13_S14_SK_SP_EUlS13_E_NS1_11comp_targetILNS1_3genE0ELNS1_11target_archE4294967295ELNS1_3gpuE0ELNS1_3repE0EEENS1_47radix_sort_onesweep_sort_config_static_selectorELNS0_4arch9wavefront6targetE1EEEvSK_ ; -- Begin function _ZN7rocprim17ROCPRIM_400000_NS6detail17trampoline_kernelINS0_14default_configENS1_35radix_sort_onesweep_config_selectorIiNS0_10empty_typeEEEZZNS1_29radix_sort_onesweep_iterationIS3_Lb0EN6thrust23THRUST_200600_302600_NS6detail15normal_iteratorINS9_10device_ptrIiEEEESE_PS5_SF_jNS0_19identity_decomposerENS1_16block_id_wrapperIjLb0EEEEE10hipError_tT1_PNSt15iterator_traitsISK_E10value_typeET2_T3_PNSL_ISQ_E10value_typeET4_T5_PSV_SW_PNS1_23onesweep_lookback_stateEbbT6_jjT7_P12ihipStream_tbENKUlT_T0_SK_SP_E_clISE_SE_SF_SF_EEDaS13_S14_SK_SP_EUlS13_E_NS1_11comp_targetILNS1_3genE0ELNS1_11target_archE4294967295ELNS1_3gpuE0ELNS1_3repE0EEENS1_47radix_sort_onesweep_sort_config_static_selectorELNS0_4arch9wavefront6targetE1EEEvSK_
	.globl	_ZN7rocprim17ROCPRIM_400000_NS6detail17trampoline_kernelINS0_14default_configENS1_35radix_sort_onesweep_config_selectorIiNS0_10empty_typeEEEZZNS1_29radix_sort_onesweep_iterationIS3_Lb0EN6thrust23THRUST_200600_302600_NS6detail15normal_iteratorINS9_10device_ptrIiEEEESE_PS5_SF_jNS0_19identity_decomposerENS1_16block_id_wrapperIjLb0EEEEE10hipError_tT1_PNSt15iterator_traitsISK_E10value_typeET2_T3_PNSL_ISQ_E10value_typeET4_T5_PSV_SW_PNS1_23onesweep_lookback_stateEbbT6_jjT7_P12ihipStream_tbENKUlT_T0_SK_SP_E_clISE_SE_SF_SF_EEDaS13_S14_SK_SP_EUlS13_E_NS1_11comp_targetILNS1_3genE0ELNS1_11target_archE4294967295ELNS1_3gpuE0ELNS1_3repE0EEENS1_47radix_sort_onesweep_sort_config_static_selectorELNS0_4arch9wavefront6targetE1EEEvSK_
	.p2align	8
	.type	_ZN7rocprim17ROCPRIM_400000_NS6detail17trampoline_kernelINS0_14default_configENS1_35radix_sort_onesweep_config_selectorIiNS0_10empty_typeEEEZZNS1_29radix_sort_onesweep_iterationIS3_Lb0EN6thrust23THRUST_200600_302600_NS6detail15normal_iteratorINS9_10device_ptrIiEEEESE_PS5_SF_jNS0_19identity_decomposerENS1_16block_id_wrapperIjLb0EEEEE10hipError_tT1_PNSt15iterator_traitsISK_E10value_typeET2_T3_PNSL_ISQ_E10value_typeET4_T5_PSV_SW_PNS1_23onesweep_lookback_stateEbbT6_jjT7_P12ihipStream_tbENKUlT_T0_SK_SP_E_clISE_SE_SF_SF_EEDaS13_S14_SK_SP_EUlS13_E_NS1_11comp_targetILNS1_3genE0ELNS1_11target_archE4294967295ELNS1_3gpuE0ELNS1_3repE0EEENS1_47radix_sort_onesweep_sort_config_static_selectorELNS0_4arch9wavefront6targetE1EEEvSK_,@function
_ZN7rocprim17ROCPRIM_400000_NS6detail17trampoline_kernelINS0_14default_configENS1_35radix_sort_onesweep_config_selectorIiNS0_10empty_typeEEEZZNS1_29radix_sort_onesweep_iterationIS3_Lb0EN6thrust23THRUST_200600_302600_NS6detail15normal_iteratorINS9_10device_ptrIiEEEESE_PS5_SF_jNS0_19identity_decomposerENS1_16block_id_wrapperIjLb0EEEEE10hipError_tT1_PNSt15iterator_traitsISK_E10value_typeET2_T3_PNSL_ISQ_E10value_typeET4_T5_PSV_SW_PNS1_23onesweep_lookback_stateEbbT6_jjT7_P12ihipStream_tbENKUlT_T0_SK_SP_E_clISE_SE_SF_SF_EEDaS13_S14_SK_SP_EUlS13_E_NS1_11comp_targetILNS1_3genE0ELNS1_11target_archE4294967295ELNS1_3gpuE0ELNS1_3repE0EEENS1_47radix_sort_onesweep_sort_config_static_selectorELNS0_4arch9wavefront6targetE1EEEvSK_: ; @_ZN7rocprim17ROCPRIM_400000_NS6detail17trampoline_kernelINS0_14default_configENS1_35radix_sort_onesweep_config_selectorIiNS0_10empty_typeEEEZZNS1_29radix_sort_onesweep_iterationIS3_Lb0EN6thrust23THRUST_200600_302600_NS6detail15normal_iteratorINS9_10device_ptrIiEEEESE_PS5_SF_jNS0_19identity_decomposerENS1_16block_id_wrapperIjLb0EEEEE10hipError_tT1_PNSt15iterator_traitsISK_E10value_typeET2_T3_PNSL_ISQ_E10value_typeET4_T5_PSV_SW_PNS1_23onesweep_lookback_stateEbbT6_jjT7_P12ihipStream_tbENKUlT_T0_SK_SP_E_clISE_SE_SF_SF_EEDaS13_S14_SK_SP_EUlS13_E_NS1_11comp_targetILNS1_3genE0ELNS1_11target_archE4294967295ELNS1_3gpuE0ELNS1_3repE0EEENS1_47radix_sort_onesweep_sort_config_static_selectorELNS0_4arch9wavefront6targetE1EEEvSK_
; %bb.0:
	.section	.rodata,"a",@progbits
	.p2align	6, 0x0
	.amdhsa_kernel _ZN7rocprim17ROCPRIM_400000_NS6detail17trampoline_kernelINS0_14default_configENS1_35radix_sort_onesweep_config_selectorIiNS0_10empty_typeEEEZZNS1_29radix_sort_onesweep_iterationIS3_Lb0EN6thrust23THRUST_200600_302600_NS6detail15normal_iteratorINS9_10device_ptrIiEEEESE_PS5_SF_jNS0_19identity_decomposerENS1_16block_id_wrapperIjLb0EEEEE10hipError_tT1_PNSt15iterator_traitsISK_E10value_typeET2_T3_PNSL_ISQ_E10value_typeET4_T5_PSV_SW_PNS1_23onesweep_lookback_stateEbbT6_jjT7_P12ihipStream_tbENKUlT_T0_SK_SP_E_clISE_SE_SF_SF_EEDaS13_S14_SK_SP_EUlS13_E_NS1_11comp_targetILNS1_3genE0ELNS1_11target_archE4294967295ELNS1_3gpuE0ELNS1_3repE0EEENS1_47radix_sort_onesweep_sort_config_static_selectorELNS0_4arch9wavefront6targetE1EEEvSK_
		.amdhsa_group_segment_fixed_size 0
		.amdhsa_private_segment_fixed_size 0
		.amdhsa_kernarg_size 88
		.amdhsa_user_sgpr_count 6
		.amdhsa_user_sgpr_private_segment_buffer 1
		.amdhsa_user_sgpr_dispatch_ptr 0
		.amdhsa_user_sgpr_queue_ptr 0
		.amdhsa_user_sgpr_kernarg_segment_ptr 1
		.amdhsa_user_sgpr_dispatch_id 0
		.amdhsa_user_sgpr_flat_scratch_init 0
		.amdhsa_user_sgpr_kernarg_preload_length 0
		.amdhsa_user_sgpr_kernarg_preload_offset 0
		.amdhsa_user_sgpr_private_segment_size 0
		.amdhsa_uses_dynamic_stack 0
		.amdhsa_system_sgpr_private_segment_wavefront_offset 0
		.amdhsa_system_sgpr_workgroup_id_x 1
		.amdhsa_system_sgpr_workgroup_id_y 0
		.amdhsa_system_sgpr_workgroup_id_z 0
		.amdhsa_system_sgpr_workgroup_info 0
		.amdhsa_system_vgpr_workitem_id 0
		.amdhsa_next_free_vgpr 1
		.amdhsa_next_free_sgpr 0
		.amdhsa_accum_offset 4
		.amdhsa_reserve_vcc 0
		.amdhsa_reserve_flat_scratch 0
		.amdhsa_float_round_mode_32 0
		.amdhsa_float_round_mode_16_64 0
		.amdhsa_float_denorm_mode_32 3
		.amdhsa_float_denorm_mode_16_64 3
		.amdhsa_dx10_clamp 1
		.amdhsa_ieee_mode 1
		.amdhsa_fp16_overflow 0
		.amdhsa_tg_split 0
		.amdhsa_exception_fp_ieee_invalid_op 0
		.amdhsa_exception_fp_denorm_src 0
		.amdhsa_exception_fp_ieee_div_zero 0
		.amdhsa_exception_fp_ieee_overflow 0
		.amdhsa_exception_fp_ieee_underflow 0
		.amdhsa_exception_fp_ieee_inexact 0
		.amdhsa_exception_int_div_zero 0
	.end_amdhsa_kernel
	.section	.text._ZN7rocprim17ROCPRIM_400000_NS6detail17trampoline_kernelINS0_14default_configENS1_35radix_sort_onesweep_config_selectorIiNS0_10empty_typeEEEZZNS1_29radix_sort_onesweep_iterationIS3_Lb0EN6thrust23THRUST_200600_302600_NS6detail15normal_iteratorINS9_10device_ptrIiEEEESE_PS5_SF_jNS0_19identity_decomposerENS1_16block_id_wrapperIjLb0EEEEE10hipError_tT1_PNSt15iterator_traitsISK_E10value_typeET2_T3_PNSL_ISQ_E10value_typeET4_T5_PSV_SW_PNS1_23onesweep_lookback_stateEbbT6_jjT7_P12ihipStream_tbENKUlT_T0_SK_SP_E_clISE_SE_SF_SF_EEDaS13_S14_SK_SP_EUlS13_E_NS1_11comp_targetILNS1_3genE0ELNS1_11target_archE4294967295ELNS1_3gpuE0ELNS1_3repE0EEENS1_47radix_sort_onesweep_sort_config_static_selectorELNS0_4arch9wavefront6targetE1EEEvSK_,"axG",@progbits,_ZN7rocprim17ROCPRIM_400000_NS6detail17trampoline_kernelINS0_14default_configENS1_35radix_sort_onesweep_config_selectorIiNS0_10empty_typeEEEZZNS1_29radix_sort_onesweep_iterationIS3_Lb0EN6thrust23THRUST_200600_302600_NS6detail15normal_iteratorINS9_10device_ptrIiEEEESE_PS5_SF_jNS0_19identity_decomposerENS1_16block_id_wrapperIjLb0EEEEE10hipError_tT1_PNSt15iterator_traitsISK_E10value_typeET2_T3_PNSL_ISQ_E10value_typeET4_T5_PSV_SW_PNS1_23onesweep_lookback_stateEbbT6_jjT7_P12ihipStream_tbENKUlT_T0_SK_SP_E_clISE_SE_SF_SF_EEDaS13_S14_SK_SP_EUlS13_E_NS1_11comp_targetILNS1_3genE0ELNS1_11target_archE4294967295ELNS1_3gpuE0ELNS1_3repE0EEENS1_47radix_sort_onesweep_sort_config_static_selectorELNS0_4arch9wavefront6targetE1EEEvSK_,comdat
.Lfunc_end1773:
	.size	_ZN7rocprim17ROCPRIM_400000_NS6detail17trampoline_kernelINS0_14default_configENS1_35radix_sort_onesweep_config_selectorIiNS0_10empty_typeEEEZZNS1_29radix_sort_onesweep_iterationIS3_Lb0EN6thrust23THRUST_200600_302600_NS6detail15normal_iteratorINS9_10device_ptrIiEEEESE_PS5_SF_jNS0_19identity_decomposerENS1_16block_id_wrapperIjLb0EEEEE10hipError_tT1_PNSt15iterator_traitsISK_E10value_typeET2_T3_PNSL_ISQ_E10value_typeET4_T5_PSV_SW_PNS1_23onesweep_lookback_stateEbbT6_jjT7_P12ihipStream_tbENKUlT_T0_SK_SP_E_clISE_SE_SF_SF_EEDaS13_S14_SK_SP_EUlS13_E_NS1_11comp_targetILNS1_3genE0ELNS1_11target_archE4294967295ELNS1_3gpuE0ELNS1_3repE0EEENS1_47radix_sort_onesweep_sort_config_static_selectorELNS0_4arch9wavefront6targetE1EEEvSK_, .Lfunc_end1773-_ZN7rocprim17ROCPRIM_400000_NS6detail17trampoline_kernelINS0_14default_configENS1_35radix_sort_onesweep_config_selectorIiNS0_10empty_typeEEEZZNS1_29radix_sort_onesweep_iterationIS3_Lb0EN6thrust23THRUST_200600_302600_NS6detail15normal_iteratorINS9_10device_ptrIiEEEESE_PS5_SF_jNS0_19identity_decomposerENS1_16block_id_wrapperIjLb0EEEEE10hipError_tT1_PNSt15iterator_traitsISK_E10value_typeET2_T3_PNSL_ISQ_E10value_typeET4_T5_PSV_SW_PNS1_23onesweep_lookback_stateEbbT6_jjT7_P12ihipStream_tbENKUlT_T0_SK_SP_E_clISE_SE_SF_SF_EEDaS13_S14_SK_SP_EUlS13_E_NS1_11comp_targetILNS1_3genE0ELNS1_11target_archE4294967295ELNS1_3gpuE0ELNS1_3repE0EEENS1_47radix_sort_onesweep_sort_config_static_selectorELNS0_4arch9wavefront6targetE1EEEvSK_
                                        ; -- End function
	.section	.AMDGPU.csdata,"",@progbits
; Kernel info:
; codeLenInByte = 0
; NumSgprs: 4
; NumVgprs: 0
; NumAgprs: 0
; TotalNumVgprs: 0
; ScratchSize: 0
; MemoryBound: 0
; FloatMode: 240
; IeeeMode: 1
; LDSByteSize: 0 bytes/workgroup (compile time only)
; SGPRBlocks: 0
; VGPRBlocks: 0
; NumSGPRsForWavesPerEU: 4
; NumVGPRsForWavesPerEU: 1
; AccumOffset: 4
; Occupancy: 8
; WaveLimiterHint : 0
; COMPUTE_PGM_RSRC2:SCRATCH_EN: 0
; COMPUTE_PGM_RSRC2:USER_SGPR: 6
; COMPUTE_PGM_RSRC2:TRAP_HANDLER: 0
; COMPUTE_PGM_RSRC2:TGID_X_EN: 1
; COMPUTE_PGM_RSRC2:TGID_Y_EN: 0
; COMPUTE_PGM_RSRC2:TGID_Z_EN: 0
; COMPUTE_PGM_RSRC2:TIDIG_COMP_CNT: 0
; COMPUTE_PGM_RSRC3_GFX90A:ACCUM_OFFSET: 0
; COMPUTE_PGM_RSRC3_GFX90A:TG_SPLIT: 0
	.section	.text._ZN7rocprim17ROCPRIM_400000_NS6detail17trampoline_kernelINS0_14default_configENS1_35radix_sort_onesweep_config_selectorIiNS0_10empty_typeEEEZZNS1_29radix_sort_onesweep_iterationIS3_Lb0EN6thrust23THRUST_200600_302600_NS6detail15normal_iteratorINS9_10device_ptrIiEEEESE_PS5_SF_jNS0_19identity_decomposerENS1_16block_id_wrapperIjLb0EEEEE10hipError_tT1_PNSt15iterator_traitsISK_E10value_typeET2_T3_PNSL_ISQ_E10value_typeET4_T5_PSV_SW_PNS1_23onesweep_lookback_stateEbbT6_jjT7_P12ihipStream_tbENKUlT_T0_SK_SP_E_clISE_SE_SF_SF_EEDaS13_S14_SK_SP_EUlS13_E_NS1_11comp_targetILNS1_3genE6ELNS1_11target_archE950ELNS1_3gpuE13ELNS1_3repE0EEENS1_47radix_sort_onesweep_sort_config_static_selectorELNS0_4arch9wavefront6targetE1EEEvSK_,"axG",@progbits,_ZN7rocprim17ROCPRIM_400000_NS6detail17trampoline_kernelINS0_14default_configENS1_35radix_sort_onesweep_config_selectorIiNS0_10empty_typeEEEZZNS1_29radix_sort_onesweep_iterationIS3_Lb0EN6thrust23THRUST_200600_302600_NS6detail15normal_iteratorINS9_10device_ptrIiEEEESE_PS5_SF_jNS0_19identity_decomposerENS1_16block_id_wrapperIjLb0EEEEE10hipError_tT1_PNSt15iterator_traitsISK_E10value_typeET2_T3_PNSL_ISQ_E10value_typeET4_T5_PSV_SW_PNS1_23onesweep_lookback_stateEbbT6_jjT7_P12ihipStream_tbENKUlT_T0_SK_SP_E_clISE_SE_SF_SF_EEDaS13_S14_SK_SP_EUlS13_E_NS1_11comp_targetILNS1_3genE6ELNS1_11target_archE950ELNS1_3gpuE13ELNS1_3repE0EEENS1_47radix_sort_onesweep_sort_config_static_selectorELNS0_4arch9wavefront6targetE1EEEvSK_,comdat
	.protected	_ZN7rocprim17ROCPRIM_400000_NS6detail17trampoline_kernelINS0_14default_configENS1_35radix_sort_onesweep_config_selectorIiNS0_10empty_typeEEEZZNS1_29radix_sort_onesweep_iterationIS3_Lb0EN6thrust23THRUST_200600_302600_NS6detail15normal_iteratorINS9_10device_ptrIiEEEESE_PS5_SF_jNS0_19identity_decomposerENS1_16block_id_wrapperIjLb0EEEEE10hipError_tT1_PNSt15iterator_traitsISK_E10value_typeET2_T3_PNSL_ISQ_E10value_typeET4_T5_PSV_SW_PNS1_23onesweep_lookback_stateEbbT6_jjT7_P12ihipStream_tbENKUlT_T0_SK_SP_E_clISE_SE_SF_SF_EEDaS13_S14_SK_SP_EUlS13_E_NS1_11comp_targetILNS1_3genE6ELNS1_11target_archE950ELNS1_3gpuE13ELNS1_3repE0EEENS1_47radix_sort_onesweep_sort_config_static_selectorELNS0_4arch9wavefront6targetE1EEEvSK_ ; -- Begin function _ZN7rocprim17ROCPRIM_400000_NS6detail17trampoline_kernelINS0_14default_configENS1_35radix_sort_onesweep_config_selectorIiNS0_10empty_typeEEEZZNS1_29radix_sort_onesweep_iterationIS3_Lb0EN6thrust23THRUST_200600_302600_NS6detail15normal_iteratorINS9_10device_ptrIiEEEESE_PS5_SF_jNS0_19identity_decomposerENS1_16block_id_wrapperIjLb0EEEEE10hipError_tT1_PNSt15iterator_traitsISK_E10value_typeET2_T3_PNSL_ISQ_E10value_typeET4_T5_PSV_SW_PNS1_23onesweep_lookback_stateEbbT6_jjT7_P12ihipStream_tbENKUlT_T0_SK_SP_E_clISE_SE_SF_SF_EEDaS13_S14_SK_SP_EUlS13_E_NS1_11comp_targetILNS1_3genE6ELNS1_11target_archE950ELNS1_3gpuE13ELNS1_3repE0EEENS1_47radix_sort_onesweep_sort_config_static_selectorELNS0_4arch9wavefront6targetE1EEEvSK_
	.globl	_ZN7rocprim17ROCPRIM_400000_NS6detail17trampoline_kernelINS0_14default_configENS1_35radix_sort_onesweep_config_selectorIiNS0_10empty_typeEEEZZNS1_29radix_sort_onesweep_iterationIS3_Lb0EN6thrust23THRUST_200600_302600_NS6detail15normal_iteratorINS9_10device_ptrIiEEEESE_PS5_SF_jNS0_19identity_decomposerENS1_16block_id_wrapperIjLb0EEEEE10hipError_tT1_PNSt15iterator_traitsISK_E10value_typeET2_T3_PNSL_ISQ_E10value_typeET4_T5_PSV_SW_PNS1_23onesweep_lookback_stateEbbT6_jjT7_P12ihipStream_tbENKUlT_T0_SK_SP_E_clISE_SE_SF_SF_EEDaS13_S14_SK_SP_EUlS13_E_NS1_11comp_targetILNS1_3genE6ELNS1_11target_archE950ELNS1_3gpuE13ELNS1_3repE0EEENS1_47radix_sort_onesweep_sort_config_static_selectorELNS0_4arch9wavefront6targetE1EEEvSK_
	.p2align	8
	.type	_ZN7rocprim17ROCPRIM_400000_NS6detail17trampoline_kernelINS0_14default_configENS1_35radix_sort_onesweep_config_selectorIiNS0_10empty_typeEEEZZNS1_29radix_sort_onesweep_iterationIS3_Lb0EN6thrust23THRUST_200600_302600_NS6detail15normal_iteratorINS9_10device_ptrIiEEEESE_PS5_SF_jNS0_19identity_decomposerENS1_16block_id_wrapperIjLb0EEEEE10hipError_tT1_PNSt15iterator_traitsISK_E10value_typeET2_T3_PNSL_ISQ_E10value_typeET4_T5_PSV_SW_PNS1_23onesweep_lookback_stateEbbT6_jjT7_P12ihipStream_tbENKUlT_T0_SK_SP_E_clISE_SE_SF_SF_EEDaS13_S14_SK_SP_EUlS13_E_NS1_11comp_targetILNS1_3genE6ELNS1_11target_archE950ELNS1_3gpuE13ELNS1_3repE0EEENS1_47radix_sort_onesweep_sort_config_static_selectorELNS0_4arch9wavefront6targetE1EEEvSK_,@function
_ZN7rocprim17ROCPRIM_400000_NS6detail17trampoline_kernelINS0_14default_configENS1_35radix_sort_onesweep_config_selectorIiNS0_10empty_typeEEEZZNS1_29radix_sort_onesweep_iterationIS3_Lb0EN6thrust23THRUST_200600_302600_NS6detail15normal_iteratorINS9_10device_ptrIiEEEESE_PS5_SF_jNS0_19identity_decomposerENS1_16block_id_wrapperIjLb0EEEEE10hipError_tT1_PNSt15iterator_traitsISK_E10value_typeET2_T3_PNSL_ISQ_E10value_typeET4_T5_PSV_SW_PNS1_23onesweep_lookback_stateEbbT6_jjT7_P12ihipStream_tbENKUlT_T0_SK_SP_E_clISE_SE_SF_SF_EEDaS13_S14_SK_SP_EUlS13_E_NS1_11comp_targetILNS1_3genE6ELNS1_11target_archE950ELNS1_3gpuE13ELNS1_3repE0EEENS1_47radix_sort_onesweep_sort_config_static_selectorELNS0_4arch9wavefront6targetE1EEEvSK_: ; @_ZN7rocprim17ROCPRIM_400000_NS6detail17trampoline_kernelINS0_14default_configENS1_35radix_sort_onesweep_config_selectorIiNS0_10empty_typeEEEZZNS1_29radix_sort_onesweep_iterationIS3_Lb0EN6thrust23THRUST_200600_302600_NS6detail15normal_iteratorINS9_10device_ptrIiEEEESE_PS5_SF_jNS0_19identity_decomposerENS1_16block_id_wrapperIjLb0EEEEE10hipError_tT1_PNSt15iterator_traitsISK_E10value_typeET2_T3_PNSL_ISQ_E10value_typeET4_T5_PSV_SW_PNS1_23onesweep_lookback_stateEbbT6_jjT7_P12ihipStream_tbENKUlT_T0_SK_SP_E_clISE_SE_SF_SF_EEDaS13_S14_SK_SP_EUlS13_E_NS1_11comp_targetILNS1_3genE6ELNS1_11target_archE950ELNS1_3gpuE13ELNS1_3repE0EEENS1_47radix_sort_onesweep_sort_config_static_selectorELNS0_4arch9wavefront6targetE1EEEvSK_
; %bb.0:
	.section	.rodata,"a",@progbits
	.p2align	6, 0x0
	.amdhsa_kernel _ZN7rocprim17ROCPRIM_400000_NS6detail17trampoline_kernelINS0_14default_configENS1_35radix_sort_onesweep_config_selectorIiNS0_10empty_typeEEEZZNS1_29radix_sort_onesweep_iterationIS3_Lb0EN6thrust23THRUST_200600_302600_NS6detail15normal_iteratorINS9_10device_ptrIiEEEESE_PS5_SF_jNS0_19identity_decomposerENS1_16block_id_wrapperIjLb0EEEEE10hipError_tT1_PNSt15iterator_traitsISK_E10value_typeET2_T3_PNSL_ISQ_E10value_typeET4_T5_PSV_SW_PNS1_23onesweep_lookback_stateEbbT6_jjT7_P12ihipStream_tbENKUlT_T0_SK_SP_E_clISE_SE_SF_SF_EEDaS13_S14_SK_SP_EUlS13_E_NS1_11comp_targetILNS1_3genE6ELNS1_11target_archE950ELNS1_3gpuE13ELNS1_3repE0EEENS1_47radix_sort_onesweep_sort_config_static_selectorELNS0_4arch9wavefront6targetE1EEEvSK_
		.amdhsa_group_segment_fixed_size 0
		.amdhsa_private_segment_fixed_size 0
		.amdhsa_kernarg_size 88
		.amdhsa_user_sgpr_count 6
		.amdhsa_user_sgpr_private_segment_buffer 1
		.amdhsa_user_sgpr_dispatch_ptr 0
		.amdhsa_user_sgpr_queue_ptr 0
		.amdhsa_user_sgpr_kernarg_segment_ptr 1
		.amdhsa_user_sgpr_dispatch_id 0
		.amdhsa_user_sgpr_flat_scratch_init 0
		.amdhsa_user_sgpr_kernarg_preload_length 0
		.amdhsa_user_sgpr_kernarg_preload_offset 0
		.amdhsa_user_sgpr_private_segment_size 0
		.amdhsa_uses_dynamic_stack 0
		.amdhsa_system_sgpr_private_segment_wavefront_offset 0
		.amdhsa_system_sgpr_workgroup_id_x 1
		.amdhsa_system_sgpr_workgroup_id_y 0
		.amdhsa_system_sgpr_workgroup_id_z 0
		.amdhsa_system_sgpr_workgroup_info 0
		.amdhsa_system_vgpr_workitem_id 0
		.amdhsa_next_free_vgpr 1
		.amdhsa_next_free_sgpr 0
		.amdhsa_accum_offset 4
		.amdhsa_reserve_vcc 0
		.amdhsa_reserve_flat_scratch 0
		.amdhsa_float_round_mode_32 0
		.amdhsa_float_round_mode_16_64 0
		.amdhsa_float_denorm_mode_32 3
		.amdhsa_float_denorm_mode_16_64 3
		.amdhsa_dx10_clamp 1
		.amdhsa_ieee_mode 1
		.amdhsa_fp16_overflow 0
		.amdhsa_tg_split 0
		.amdhsa_exception_fp_ieee_invalid_op 0
		.amdhsa_exception_fp_denorm_src 0
		.amdhsa_exception_fp_ieee_div_zero 0
		.amdhsa_exception_fp_ieee_overflow 0
		.amdhsa_exception_fp_ieee_underflow 0
		.amdhsa_exception_fp_ieee_inexact 0
		.amdhsa_exception_int_div_zero 0
	.end_amdhsa_kernel
	.section	.text._ZN7rocprim17ROCPRIM_400000_NS6detail17trampoline_kernelINS0_14default_configENS1_35radix_sort_onesweep_config_selectorIiNS0_10empty_typeEEEZZNS1_29radix_sort_onesweep_iterationIS3_Lb0EN6thrust23THRUST_200600_302600_NS6detail15normal_iteratorINS9_10device_ptrIiEEEESE_PS5_SF_jNS0_19identity_decomposerENS1_16block_id_wrapperIjLb0EEEEE10hipError_tT1_PNSt15iterator_traitsISK_E10value_typeET2_T3_PNSL_ISQ_E10value_typeET4_T5_PSV_SW_PNS1_23onesweep_lookback_stateEbbT6_jjT7_P12ihipStream_tbENKUlT_T0_SK_SP_E_clISE_SE_SF_SF_EEDaS13_S14_SK_SP_EUlS13_E_NS1_11comp_targetILNS1_3genE6ELNS1_11target_archE950ELNS1_3gpuE13ELNS1_3repE0EEENS1_47radix_sort_onesweep_sort_config_static_selectorELNS0_4arch9wavefront6targetE1EEEvSK_,"axG",@progbits,_ZN7rocprim17ROCPRIM_400000_NS6detail17trampoline_kernelINS0_14default_configENS1_35radix_sort_onesweep_config_selectorIiNS0_10empty_typeEEEZZNS1_29radix_sort_onesweep_iterationIS3_Lb0EN6thrust23THRUST_200600_302600_NS6detail15normal_iteratorINS9_10device_ptrIiEEEESE_PS5_SF_jNS0_19identity_decomposerENS1_16block_id_wrapperIjLb0EEEEE10hipError_tT1_PNSt15iterator_traitsISK_E10value_typeET2_T3_PNSL_ISQ_E10value_typeET4_T5_PSV_SW_PNS1_23onesweep_lookback_stateEbbT6_jjT7_P12ihipStream_tbENKUlT_T0_SK_SP_E_clISE_SE_SF_SF_EEDaS13_S14_SK_SP_EUlS13_E_NS1_11comp_targetILNS1_3genE6ELNS1_11target_archE950ELNS1_3gpuE13ELNS1_3repE0EEENS1_47radix_sort_onesweep_sort_config_static_selectorELNS0_4arch9wavefront6targetE1EEEvSK_,comdat
.Lfunc_end1774:
	.size	_ZN7rocprim17ROCPRIM_400000_NS6detail17trampoline_kernelINS0_14default_configENS1_35radix_sort_onesweep_config_selectorIiNS0_10empty_typeEEEZZNS1_29radix_sort_onesweep_iterationIS3_Lb0EN6thrust23THRUST_200600_302600_NS6detail15normal_iteratorINS9_10device_ptrIiEEEESE_PS5_SF_jNS0_19identity_decomposerENS1_16block_id_wrapperIjLb0EEEEE10hipError_tT1_PNSt15iterator_traitsISK_E10value_typeET2_T3_PNSL_ISQ_E10value_typeET4_T5_PSV_SW_PNS1_23onesweep_lookback_stateEbbT6_jjT7_P12ihipStream_tbENKUlT_T0_SK_SP_E_clISE_SE_SF_SF_EEDaS13_S14_SK_SP_EUlS13_E_NS1_11comp_targetILNS1_3genE6ELNS1_11target_archE950ELNS1_3gpuE13ELNS1_3repE0EEENS1_47radix_sort_onesweep_sort_config_static_selectorELNS0_4arch9wavefront6targetE1EEEvSK_, .Lfunc_end1774-_ZN7rocprim17ROCPRIM_400000_NS6detail17trampoline_kernelINS0_14default_configENS1_35radix_sort_onesweep_config_selectorIiNS0_10empty_typeEEEZZNS1_29radix_sort_onesweep_iterationIS3_Lb0EN6thrust23THRUST_200600_302600_NS6detail15normal_iteratorINS9_10device_ptrIiEEEESE_PS5_SF_jNS0_19identity_decomposerENS1_16block_id_wrapperIjLb0EEEEE10hipError_tT1_PNSt15iterator_traitsISK_E10value_typeET2_T3_PNSL_ISQ_E10value_typeET4_T5_PSV_SW_PNS1_23onesweep_lookback_stateEbbT6_jjT7_P12ihipStream_tbENKUlT_T0_SK_SP_E_clISE_SE_SF_SF_EEDaS13_S14_SK_SP_EUlS13_E_NS1_11comp_targetILNS1_3genE6ELNS1_11target_archE950ELNS1_3gpuE13ELNS1_3repE0EEENS1_47radix_sort_onesweep_sort_config_static_selectorELNS0_4arch9wavefront6targetE1EEEvSK_
                                        ; -- End function
	.section	.AMDGPU.csdata,"",@progbits
; Kernel info:
; codeLenInByte = 0
; NumSgprs: 4
; NumVgprs: 0
; NumAgprs: 0
; TotalNumVgprs: 0
; ScratchSize: 0
; MemoryBound: 0
; FloatMode: 240
; IeeeMode: 1
; LDSByteSize: 0 bytes/workgroup (compile time only)
; SGPRBlocks: 0
; VGPRBlocks: 0
; NumSGPRsForWavesPerEU: 4
; NumVGPRsForWavesPerEU: 1
; AccumOffset: 4
; Occupancy: 8
; WaveLimiterHint : 0
; COMPUTE_PGM_RSRC2:SCRATCH_EN: 0
; COMPUTE_PGM_RSRC2:USER_SGPR: 6
; COMPUTE_PGM_RSRC2:TRAP_HANDLER: 0
; COMPUTE_PGM_RSRC2:TGID_X_EN: 1
; COMPUTE_PGM_RSRC2:TGID_Y_EN: 0
; COMPUTE_PGM_RSRC2:TGID_Z_EN: 0
; COMPUTE_PGM_RSRC2:TIDIG_COMP_CNT: 0
; COMPUTE_PGM_RSRC3_GFX90A:ACCUM_OFFSET: 0
; COMPUTE_PGM_RSRC3_GFX90A:TG_SPLIT: 0
	.section	.text._ZN7rocprim17ROCPRIM_400000_NS6detail17trampoline_kernelINS0_14default_configENS1_35radix_sort_onesweep_config_selectorIiNS0_10empty_typeEEEZZNS1_29radix_sort_onesweep_iterationIS3_Lb0EN6thrust23THRUST_200600_302600_NS6detail15normal_iteratorINS9_10device_ptrIiEEEESE_PS5_SF_jNS0_19identity_decomposerENS1_16block_id_wrapperIjLb0EEEEE10hipError_tT1_PNSt15iterator_traitsISK_E10value_typeET2_T3_PNSL_ISQ_E10value_typeET4_T5_PSV_SW_PNS1_23onesweep_lookback_stateEbbT6_jjT7_P12ihipStream_tbENKUlT_T0_SK_SP_E_clISE_SE_SF_SF_EEDaS13_S14_SK_SP_EUlS13_E_NS1_11comp_targetILNS1_3genE5ELNS1_11target_archE942ELNS1_3gpuE9ELNS1_3repE0EEENS1_47radix_sort_onesweep_sort_config_static_selectorELNS0_4arch9wavefront6targetE1EEEvSK_,"axG",@progbits,_ZN7rocprim17ROCPRIM_400000_NS6detail17trampoline_kernelINS0_14default_configENS1_35radix_sort_onesweep_config_selectorIiNS0_10empty_typeEEEZZNS1_29radix_sort_onesweep_iterationIS3_Lb0EN6thrust23THRUST_200600_302600_NS6detail15normal_iteratorINS9_10device_ptrIiEEEESE_PS5_SF_jNS0_19identity_decomposerENS1_16block_id_wrapperIjLb0EEEEE10hipError_tT1_PNSt15iterator_traitsISK_E10value_typeET2_T3_PNSL_ISQ_E10value_typeET4_T5_PSV_SW_PNS1_23onesweep_lookback_stateEbbT6_jjT7_P12ihipStream_tbENKUlT_T0_SK_SP_E_clISE_SE_SF_SF_EEDaS13_S14_SK_SP_EUlS13_E_NS1_11comp_targetILNS1_3genE5ELNS1_11target_archE942ELNS1_3gpuE9ELNS1_3repE0EEENS1_47radix_sort_onesweep_sort_config_static_selectorELNS0_4arch9wavefront6targetE1EEEvSK_,comdat
	.protected	_ZN7rocprim17ROCPRIM_400000_NS6detail17trampoline_kernelINS0_14default_configENS1_35radix_sort_onesweep_config_selectorIiNS0_10empty_typeEEEZZNS1_29radix_sort_onesweep_iterationIS3_Lb0EN6thrust23THRUST_200600_302600_NS6detail15normal_iteratorINS9_10device_ptrIiEEEESE_PS5_SF_jNS0_19identity_decomposerENS1_16block_id_wrapperIjLb0EEEEE10hipError_tT1_PNSt15iterator_traitsISK_E10value_typeET2_T3_PNSL_ISQ_E10value_typeET4_T5_PSV_SW_PNS1_23onesweep_lookback_stateEbbT6_jjT7_P12ihipStream_tbENKUlT_T0_SK_SP_E_clISE_SE_SF_SF_EEDaS13_S14_SK_SP_EUlS13_E_NS1_11comp_targetILNS1_3genE5ELNS1_11target_archE942ELNS1_3gpuE9ELNS1_3repE0EEENS1_47radix_sort_onesweep_sort_config_static_selectorELNS0_4arch9wavefront6targetE1EEEvSK_ ; -- Begin function _ZN7rocprim17ROCPRIM_400000_NS6detail17trampoline_kernelINS0_14default_configENS1_35radix_sort_onesweep_config_selectorIiNS0_10empty_typeEEEZZNS1_29radix_sort_onesweep_iterationIS3_Lb0EN6thrust23THRUST_200600_302600_NS6detail15normal_iteratorINS9_10device_ptrIiEEEESE_PS5_SF_jNS0_19identity_decomposerENS1_16block_id_wrapperIjLb0EEEEE10hipError_tT1_PNSt15iterator_traitsISK_E10value_typeET2_T3_PNSL_ISQ_E10value_typeET4_T5_PSV_SW_PNS1_23onesweep_lookback_stateEbbT6_jjT7_P12ihipStream_tbENKUlT_T0_SK_SP_E_clISE_SE_SF_SF_EEDaS13_S14_SK_SP_EUlS13_E_NS1_11comp_targetILNS1_3genE5ELNS1_11target_archE942ELNS1_3gpuE9ELNS1_3repE0EEENS1_47radix_sort_onesweep_sort_config_static_selectorELNS0_4arch9wavefront6targetE1EEEvSK_
	.globl	_ZN7rocprim17ROCPRIM_400000_NS6detail17trampoline_kernelINS0_14default_configENS1_35radix_sort_onesweep_config_selectorIiNS0_10empty_typeEEEZZNS1_29radix_sort_onesweep_iterationIS3_Lb0EN6thrust23THRUST_200600_302600_NS6detail15normal_iteratorINS9_10device_ptrIiEEEESE_PS5_SF_jNS0_19identity_decomposerENS1_16block_id_wrapperIjLb0EEEEE10hipError_tT1_PNSt15iterator_traitsISK_E10value_typeET2_T3_PNSL_ISQ_E10value_typeET4_T5_PSV_SW_PNS1_23onesweep_lookback_stateEbbT6_jjT7_P12ihipStream_tbENKUlT_T0_SK_SP_E_clISE_SE_SF_SF_EEDaS13_S14_SK_SP_EUlS13_E_NS1_11comp_targetILNS1_3genE5ELNS1_11target_archE942ELNS1_3gpuE9ELNS1_3repE0EEENS1_47radix_sort_onesweep_sort_config_static_selectorELNS0_4arch9wavefront6targetE1EEEvSK_
	.p2align	8
	.type	_ZN7rocprim17ROCPRIM_400000_NS6detail17trampoline_kernelINS0_14default_configENS1_35radix_sort_onesweep_config_selectorIiNS0_10empty_typeEEEZZNS1_29radix_sort_onesweep_iterationIS3_Lb0EN6thrust23THRUST_200600_302600_NS6detail15normal_iteratorINS9_10device_ptrIiEEEESE_PS5_SF_jNS0_19identity_decomposerENS1_16block_id_wrapperIjLb0EEEEE10hipError_tT1_PNSt15iterator_traitsISK_E10value_typeET2_T3_PNSL_ISQ_E10value_typeET4_T5_PSV_SW_PNS1_23onesweep_lookback_stateEbbT6_jjT7_P12ihipStream_tbENKUlT_T0_SK_SP_E_clISE_SE_SF_SF_EEDaS13_S14_SK_SP_EUlS13_E_NS1_11comp_targetILNS1_3genE5ELNS1_11target_archE942ELNS1_3gpuE9ELNS1_3repE0EEENS1_47radix_sort_onesweep_sort_config_static_selectorELNS0_4arch9wavefront6targetE1EEEvSK_,@function
_ZN7rocprim17ROCPRIM_400000_NS6detail17trampoline_kernelINS0_14default_configENS1_35radix_sort_onesweep_config_selectorIiNS0_10empty_typeEEEZZNS1_29radix_sort_onesweep_iterationIS3_Lb0EN6thrust23THRUST_200600_302600_NS6detail15normal_iteratorINS9_10device_ptrIiEEEESE_PS5_SF_jNS0_19identity_decomposerENS1_16block_id_wrapperIjLb0EEEEE10hipError_tT1_PNSt15iterator_traitsISK_E10value_typeET2_T3_PNSL_ISQ_E10value_typeET4_T5_PSV_SW_PNS1_23onesweep_lookback_stateEbbT6_jjT7_P12ihipStream_tbENKUlT_T0_SK_SP_E_clISE_SE_SF_SF_EEDaS13_S14_SK_SP_EUlS13_E_NS1_11comp_targetILNS1_3genE5ELNS1_11target_archE942ELNS1_3gpuE9ELNS1_3repE0EEENS1_47radix_sort_onesweep_sort_config_static_selectorELNS0_4arch9wavefront6targetE1EEEvSK_: ; @_ZN7rocprim17ROCPRIM_400000_NS6detail17trampoline_kernelINS0_14default_configENS1_35radix_sort_onesweep_config_selectorIiNS0_10empty_typeEEEZZNS1_29radix_sort_onesweep_iterationIS3_Lb0EN6thrust23THRUST_200600_302600_NS6detail15normal_iteratorINS9_10device_ptrIiEEEESE_PS5_SF_jNS0_19identity_decomposerENS1_16block_id_wrapperIjLb0EEEEE10hipError_tT1_PNSt15iterator_traitsISK_E10value_typeET2_T3_PNSL_ISQ_E10value_typeET4_T5_PSV_SW_PNS1_23onesweep_lookback_stateEbbT6_jjT7_P12ihipStream_tbENKUlT_T0_SK_SP_E_clISE_SE_SF_SF_EEDaS13_S14_SK_SP_EUlS13_E_NS1_11comp_targetILNS1_3genE5ELNS1_11target_archE942ELNS1_3gpuE9ELNS1_3repE0EEENS1_47radix_sort_onesweep_sort_config_static_selectorELNS0_4arch9wavefront6targetE1EEEvSK_
; %bb.0:
	.section	.rodata,"a",@progbits
	.p2align	6, 0x0
	.amdhsa_kernel _ZN7rocprim17ROCPRIM_400000_NS6detail17trampoline_kernelINS0_14default_configENS1_35radix_sort_onesweep_config_selectorIiNS0_10empty_typeEEEZZNS1_29radix_sort_onesweep_iterationIS3_Lb0EN6thrust23THRUST_200600_302600_NS6detail15normal_iteratorINS9_10device_ptrIiEEEESE_PS5_SF_jNS0_19identity_decomposerENS1_16block_id_wrapperIjLb0EEEEE10hipError_tT1_PNSt15iterator_traitsISK_E10value_typeET2_T3_PNSL_ISQ_E10value_typeET4_T5_PSV_SW_PNS1_23onesweep_lookback_stateEbbT6_jjT7_P12ihipStream_tbENKUlT_T0_SK_SP_E_clISE_SE_SF_SF_EEDaS13_S14_SK_SP_EUlS13_E_NS1_11comp_targetILNS1_3genE5ELNS1_11target_archE942ELNS1_3gpuE9ELNS1_3repE0EEENS1_47radix_sort_onesweep_sort_config_static_selectorELNS0_4arch9wavefront6targetE1EEEvSK_
		.amdhsa_group_segment_fixed_size 0
		.amdhsa_private_segment_fixed_size 0
		.amdhsa_kernarg_size 88
		.amdhsa_user_sgpr_count 6
		.amdhsa_user_sgpr_private_segment_buffer 1
		.amdhsa_user_sgpr_dispatch_ptr 0
		.amdhsa_user_sgpr_queue_ptr 0
		.amdhsa_user_sgpr_kernarg_segment_ptr 1
		.amdhsa_user_sgpr_dispatch_id 0
		.amdhsa_user_sgpr_flat_scratch_init 0
		.amdhsa_user_sgpr_kernarg_preload_length 0
		.amdhsa_user_sgpr_kernarg_preload_offset 0
		.amdhsa_user_sgpr_private_segment_size 0
		.amdhsa_uses_dynamic_stack 0
		.amdhsa_system_sgpr_private_segment_wavefront_offset 0
		.amdhsa_system_sgpr_workgroup_id_x 1
		.amdhsa_system_sgpr_workgroup_id_y 0
		.amdhsa_system_sgpr_workgroup_id_z 0
		.amdhsa_system_sgpr_workgroup_info 0
		.amdhsa_system_vgpr_workitem_id 0
		.amdhsa_next_free_vgpr 1
		.amdhsa_next_free_sgpr 0
		.amdhsa_accum_offset 4
		.amdhsa_reserve_vcc 0
		.amdhsa_reserve_flat_scratch 0
		.amdhsa_float_round_mode_32 0
		.amdhsa_float_round_mode_16_64 0
		.amdhsa_float_denorm_mode_32 3
		.amdhsa_float_denorm_mode_16_64 3
		.amdhsa_dx10_clamp 1
		.amdhsa_ieee_mode 1
		.amdhsa_fp16_overflow 0
		.amdhsa_tg_split 0
		.amdhsa_exception_fp_ieee_invalid_op 0
		.amdhsa_exception_fp_denorm_src 0
		.amdhsa_exception_fp_ieee_div_zero 0
		.amdhsa_exception_fp_ieee_overflow 0
		.amdhsa_exception_fp_ieee_underflow 0
		.amdhsa_exception_fp_ieee_inexact 0
		.amdhsa_exception_int_div_zero 0
	.end_amdhsa_kernel
	.section	.text._ZN7rocprim17ROCPRIM_400000_NS6detail17trampoline_kernelINS0_14default_configENS1_35radix_sort_onesweep_config_selectorIiNS0_10empty_typeEEEZZNS1_29radix_sort_onesweep_iterationIS3_Lb0EN6thrust23THRUST_200600_302600_NS6detail15normal_iteratorINS9_10device_ptrIiEEEESE_PS5_SF_jNS0_19identity_decomposerENS1_16block_id_wrapperIjLb0EEEEE10hipError_tT1_PNSt15iterator_traitsISK_E10value_typeET2_T3_PNSL_ISQ_E10value_typeET4_T5_PSV_SW_PNS1_23onesweep_lookback_stateEbbT6_jjT7_P12ihipStream_tbENKUlT_T0_SK_SP_E_clISE_SE_SF_SF_EEDaS13_S14_SK_SP_EUlS13_E_NS1_11comp_targetILNS1_3genE5ELNS1_11target_archE942ELNS1_3gpuE9ELNS1_3repE0EEENS1_47radix_sort_onesweep_sort_config_static_selectorELNS0_4arch9wavefront6targetE1EEEvSK_,"axG",@progbits,_ZN7rocprim17ROCPRIM_400000_NS6detail17trampoline_kernelINS0_14default_configENS1_35radix_sort_onesweep_config_selectorIiNS0_10empty_typeEEEZZNS1_29radix_sort_onesweep_iterationIS3_Lb0EN6thrust23THRUST_200600_302600_NS6detail15normal_iteratorINS9_10device_ptrIiEEEESE_PS5_SF_jNS0_19identity_decomposerENS1_16block_id_wrapperIjLb0EEEEE10hipError_tT1_PNSt15iterator_traitsISK_E10value_typeET2_T3_PNSL_ISQ_E10value_typeET4_T5_PSV_SW_PNS1_23onesweep_lookback_stateEbbT6_jjT7_P12ihipStream_tbENKUlT_T0_SK_SP_E_clISE_SE_SF_SF_EEDaS13_S14_SK_SP_EUlS13_E_NS1_11comp_targetILNS1_3genE5ELNS1_11target_archE942ELNS1_3gpuE9ELNS1_3repE0EEENS1_47radix_sort_onesweep_sort_config_static_selectorELNS0_4arch9wavefront6targetE1EEEvSK_,comdat
.Lfunc_end1775:
	.size	_ZN7rocprim17ROCPRIM_400000_NS6detail17trampoline_kernelINS0_14default_configENS1_35radix_sort_onesweep_config_selectorIiNS0_10empty_typeEEEZZNS1_29radix_sort_onesweep_iterationIS3_Lb0EN6thrust23THRUST_200600_302600_NS6detail15normal_iteratorINS9_10device_ptrIiEEEESE_PS5_SF_jNS0_19identity_decomposerENS1_16block_id_wrapperIjLb0EEEEE10hipError_tT1_PNSt15iterator_traitsISK_E10value_typeET2_T3_PNSL_ISQ_E10value_typeET4_T5_PSV_SW_PNS1_23onesweep_lookback_stateEbbT6_jjT7_P12ihipStream_tbENKUlT_T0_SK_SP_E_clISE_SE_SF_SF_EEDaS13_S14_SK_SP_EUlS13_E_NS1_11comp_targetILNS1_3genE5ELNS1_11target_archE942ELNS1_3gpuE9ELNS1_3repE0EEENS1_47radix_sort_onesweep_sort_config_static_selectorELNS0_4arch9wavefront6targetE1EEEvSK_, .Lfunc_end1775-_ZN7rocprim17ROCPRIM_400000_NS6detail17trampoline_kernelINS0_14default_configENS1_35radix_sort_onesweep_config_selectorIiNS0_10empty_typeEEEZZNS1_29radix_sort_onesweep_iterationIS3_Lb0EN6thrust23THRUST_200600_302600_NS6detail15normal_iteratorINS9_10device_ptrIiEEEESE_PS5_SF_jNS0_19identity_decomposerENS1_16block_id_wrapperIjLb0EEEEE10hipError_tT1_PNSt15iterator_traitsISK_E10value_typeET2_T3_PNSL_ISQ_E10value_typeET4_T5_PSV_SW_PNS1_23onesweep_lookback_stateEbbT6_jjT7_P12ihipStream_tbENKUlT_T0_SK_SP_E_clISE_SE_SF_SF_EEDaS13_S14_SK_SP_EUlS13_E_NS1_11comp_targetILNS1_3genE5ELNS1_11target_archE942ELNS1_3gpuE9ELNS1_3repE0EEENS1_47radix_sort_onesweep_sort_config_static_selectorELNS0_4arch9wavefront6targetE1EEEvSK_
                                        ; -- End function
	.section	.AMDGPU.csdata,"",@progbits
; Kernel info:
; codeLenInByte = 0
; NumSgprs: 4
; NumVgprs: 0
; NumAgprs: 0
; TotalNumVgprs: 0
; ScratchSize: 0
; MemoryBound: 0
; FloatMode: 240
; IeeeMode: 1
; LDSByteSize: 0 bytes/workgroup (compile time only)
; SGPRBlocks: 0
; VGPRBlocks: 0
; NumSGPRsForWavesPerEU: 4
; NumVGPRsForWavesPerEU: 1
; AccumOffset: 4
; Occupancy: 8
; WaveLimiterHint : 0
; COMPUTE_PGM_RSRC2:SCRATCH_EN: 0
; COMPUTE_PGM_RSRC2:USER_SGPR: 6
; COMPUTE_PGM_RSRC2:TRAP_HANDLER: 0
; COMPUTE_PGM_RSRC2:TGID_X_EN: 1
; COMPUTE_PGM_RSRC2:TGID_Y_EN: 0
; COMPUTE_PGM_RSRC2:TGID_Z_EN: 0
; COMPUTE_PGM_RSRC2:TIDIG_COMP_CNT: 0
; COMPUTE_PGM_RSRC3_GFX90A:ACCUM_OFFSET: 0
; COMPUTE_PGM_RSRC3_GFX90A:TG_SPLIT: 0
	.section	.text._ZN7rocprim17ROCPRIM_400000_NS6detail17trampoline_kernelINS0_14default_configENS1_35radix_sort_onesweep_config_selectorIiNS0_10empty_typeEEEZZNS1_29radix_sort_onesweep_iterationIS3_Lb0EN6thrust23THRUST_200600_302600_NS6detail15normal_iteratorINS9_10device_ptrIiEEEESE_PS5_SF_jNS0_19identity_decomposerENS1_16block_id_wrapperIjLb0EEEEE10hipError_tT1_PNSt15iterator_traitsISK_E10value_typeET2_T3_PNSL_ISQ_E10value_typeET4_T5_PSV_SW_PNS1_23onesweep_lookback_stateEbbT6_jjT7_P12ihipStream_tbENKUlT_T0_SK_SP_E_clISE_SE_SF_SF_EEDaS13_S14_SK_SP_EUlS13_E_NS1_11comp_targetILNS1_3genE2ELNS1_11target_archE906ELNS1_3gpuE6ELNS1_3repE0EEENS1_47radix_sort_onesweep_sort_config_static_selectorELNS0_4arch9wavefront6targetE1EEEvSK_,"axG",@progbits,_ZN7rocprim17ROCPRIM_400000_NS6detail17trampoline_kernelINS0_14default_configENS1_35radix_sort_onesweep_config_selectorIiNS0_10empty_typeEEEZZNS1_29radix_sort_onesweep_iterationIS3_Lb0EN6thrust23THRUST_200600_302600_NS6detail15normal_iteratorINS9_10device_ptrIiEEEESE_PS5_SF_jNS0_19identity_decomposerENS1_16block_id_wrapperIjLb0EEEEE10hipError_tT1_PNSt15iterator_traitsISK_E10value_typeET2_T3_PNSL_ISQ_E10value_typeET4_T5_PSV_SW_PNS1_23onesweep_lookback_stateEbbT6_jjT7_P12ihipStream_tbENKUlT_T0_SK_SP_E_clISE_SE_SF_SF_EEDaS13_S14_SK_SP_EUlS13_E_NS1_11comp_targetILNS1_3genE2ELNS1_11target_archE906ELNS1_3gpuE6ELNS1_3repE0EEENS1_47radix_sort_onesweep_sort_config_static_selectorELNS0_4arch9wavefront6targetE1EEEvSK_,comdat
	.protected	_ZN7rocprim17ROCPRIM_400000_NS6detail17trampoline_kernelINS0_14default_configENS1_35radix_sort_onesweep_config_selectorIiNS0_10empty_typeEEEZZNS1_29radix_sort_onesweep_iterationIS3_Lb0EN6thrust23THRUST_200600_302600_NS6detail15normal_iteratorINS9_10device_ptrIiEEEESE_PS5_SF_jNS0_19identity_decomposerENS1_16block_id_wrapperIjLb0EEEEE10hipError_tT1_PNSt15iterator_traitsISK_E10value_typeET2_T3_PNSL_ISQ_E10value_typeET4_T5_PSV_SW_PNS1_23onesweep_lookback_stateEbbT6_jjT7_P12ihipStream_tbENKUlT_T0_SK_SP_E_clISE_SE_SF_SF_EEDaS13_S14_SK_SP_EUlS13_E_NS1_11comp_targetILNS1_3genE2ELNS1_11target_archE906ELNS1_3gpuE6ELNS1_3repE0EEENS1_47radix_sort_onesweep_sort_config_static_selectorELNS0_4arch9wavefront6targetE1EEEvSK_ ; -- Begin function _ZN7rocprim17ROCPRIM_400000_NS6detail17trampoline_kernelINS0_14default_configENS1_35radix_sort_onesweep_config_selectorIiNS0_10empty_typeEEEZZNS1_29radix_sort_onesweep_iterationIS3_Lb0EN6thrust23THRUST_200600_302600_NS6detail15normal_iteratorINS9_10device_ptrIiEEEESE_PS5_SF_jNS0_19identity_decomposerENS1_16block_id_wrapperIjLb0EEEEE10hipError_tT1_PNSt15iterator_traitsISK_E10value_typeET2_T3_PNSL_ISQ_E10value_typeET4_T5_PSV_SW_PNS1_23onesweep_lookback_stateEbbT6_jjT7_P12ihipStream_tbENKUlT_T0_SK_SP_E_clISE_SE_SF_SF_EEDaS13_S14_SK_SP_EUlS13_E_NS1_11comp_targetILNS1_3genE2ELNS1_11target_archE906ELNS1_3gpuE6ELNS1_3repE0EEENS1_47radix_sort_onesweep_sort_config_static_selectorELNS0_4arch9wavefront6targetE1EEEvSK_
	.globl	_ZN7rocprim17ROCPRIM_400000_NS6detail17trampoline_kernelINS0_14default_configENS1_35radix_sort_onesweep_config_selectorIiNS0_10empty_typeEEEZZNS1_29radix_sort_onesweep_iterationIS3_Lb0EN6thrust23THRUST_200600_302600_NS6detail15normal_iteratorINS9_10device_ptrIiEEEESE_PS5_SF_jNS0_19identity_decomposerENS1_16block_id_wrapperIjLb0EEEEE10hipError_tT1_PNSt15iterator_traitsISK_E10value_typeET2_T3_PNSL_ISQ_E10value_typeET4_T5_PSV_SW_PNS1_23onesweep_lookback_stateEbbT6_jjT7_P12ihipStream_tbENKUlT_T0_SK_SP_E_clISE_SE_SF_SF_EEDaS13_S14_SK_SP_EUlS13_E_NS1_11comp_targetILNS1_3genE2ELNS1_11target_archE906ELNS1_3gpuE6ELNS1_3repE0EEENS1_47radix_sort_onesweep_sort_config_static_selectorELNS0_4arch9wavefront6targetE1EEEvSK_
	.p2align	8
	.type	_ZN7rocprim17ROCPRIM_400000_NS6detail17trampoline_kernelINS0_14default_configENS1_35radix_sort_onesweep_config_selectorIiNS0_10empty_typeEEEZZNS1_29radix_sort_onesweep_iterationIS3_Lb0EN6thrust23THRUST_200600_302600_NS6detail15normal_iteratorINS9_10device_ptrIiEEEESE_PS5_SF_jNS0_19identity_decomposerENS1_16block_id_wrapperIjLb0EEEEE10hipError_tT1_PNSt15iterator_traitsISK_E10value_typeET2_T3_PNSL_ISQ_E10value_typeET4_T5_PSV_SW_PNS1_23onesweep_lookback_stateEbbT6_jjT7_P12ihipStream_tbENKUlT_T0_SK_SP_E_clISE_SE_SF_SF_EEDaS13_S14_SK_SP_EUlS13_E_NS1_11comp_targetILNS1_3genE2ELNS1_11target_archE906ELNS1_3gpuE6ELNS1_3repE0EEENS1_47radix_sort_onesweep_sort_config_static_selectorELNS0_4arch9wavefront6targetE1EEEvSK_,@function
_ZN7rocprim17ROCPRIM_400000_NS6detail17trampoline_kernelINS0_14default_configENS1_35radix_sort_onesweep_config_selectorIiNS0_10empty_typeEEEZZNS1_29radix_sort_onesweep_iterationIS3_Lb0EN6thrust23THRUST_200600_302600_NS6detail15normal_iteratorINS9_10device_ptrIiEEEESE_PS5_SF_jNS0_19identity_decomposerENS1_16block_id_wrapperIjLb0EEEEE10hipError_tT1_PNSt15iterator_traitsISK_E10value_typeET2_T3_PNSL_ISQ_E10value_typeET4_T5_PSV_SW_PNS1_23onesweep_lookback_stateEbbT6_jjT7_P12ihipStream_tbENKUlT_T0_SK_SP_E_clISE_SE_SF_SF_EEDaS13_S14_SK_SP_EUlS13_E_NS1_11comp_targetILNS1_3genE2ELNS1_11target_archE906ELNS1_3gpuE6ELNS1_3repE0EEENS1_47radix_sort_onesweep_sort_config_static_selectorELNS0_4arch9wavefront6targetE1EEEvSK_: ; @_ZN7rocprim17ROCPRIM_400000_NS6detail17trampoline_kernelINS0_14default_configENS1_35radix_sort_onesweep_config_selectorIiNS0_10empty_typeEEEZZNS1_29radix_sort_onesweep_iterationIS3_Lb0EN6thrust23THRUST_200600_302600_NS6detail15normal_iteratorINS9_10device_ptrIiEEEESE_PS5_SF_jNS0_19identity_decomposerENS1_16block_id_wrapperIjLb0EEEEE10hipError_tT1_PNSt15iterator_traitsISK_E10value_typeET2_T3_PNSL_ISQ_E10value_typeET4_T5_PSV_SW_PNS1_23onesweep_lookback_stateEbbT6_jjT7_P12ihipStream_tbENKUlT_T0_SK_SP_E_clISE_SE_SF_SF_EEDaS13_S14_SK_SP_EUlS13_E_NS1_11comp_targetILNS1_3genE2ELNS1_11target_archE906ELNS1_3gpuE6ELNS1_3repE0EEENS1_47radix_sort_onesweep_sort_config_static_selectorELNS0_4arch9wavefront6targetE1EEEvSK_
; %bb.0:
	.section	.rodata,"a",@progbits
	.p2align	6, 0x0
	.amdhsa_kernel _ZN7rocprim17ROCPRIM_400000_NS6detail17trampoline_kernelINS0_14default_configENS1_35radix_sort_onesweep_config_selectorIiNS0_10empty_typeEEEZZNS1_29radix_sort_onesweep_iterationIS3_Lb0EN6thrust23THRUST_200600_302600_NS6detail15normal_iteratorINS9_10device_ptrIiEEEESE_PS5_SF_jNS0_19identity_decomposerENS1_16block_id_wrapperIjLb0EEEEE10hipError_tT1_PNSt15iterator_traitsISK_E10value_typeET2_T3_PNSL_ISQ_E10value_typeET4_T5_PSV_SW_PNS1_23onesweep_lookback_stateEbbT6_jjT7_P12ihipStream_tbENKUlT_T0_SK_SP_E_clISE_SE_SF_SF_EEDaS13_S14_SK_SP_EUlS13_E_NS1_11comp_targetILNS1_3genE2ELNS1_11target_archE906ELNS1_3gpuE6ELNS1_3repE0EEENS1_47radix_sort_onesweep_sort_config_static_selectorELNS0_4arch9wavefront6targetE1EEEvSK_
		.amdhsa_group_segment_fixed_size 0
		.amdhsa_private_segment_fixed_size 0
		.amdhsa_kernarg_size 88
		.amdhsa_user_sgpr_count 6
		.amdhsa_user_sgpr_private_segment_buffer 1
		.amdhsa_user_sgpr_dispatch_ptr 0
		.amdhsa_user_sgpr_queue_ptr 0
		.amdhsa_user_sgpr_kernarg_segment_ptr 1
		.amdhsa_user_sgpr_dispatch_id 0
		.amdhsa_user_sgpr_flat_scratch_init 0
		.amdhsa_user_sgpr_kernarg_preload_length 0
		.amdhsa_user_sgpr_kernarg_preload_offset 0
		.amdhsa_user_sgpr_private_segment_size 0
		.amdhsa_uses_dynamic_stack 0
		.amdhsa_system_sgpr_private_segment_wavefront_offset 0
		.amdhsa_system_sgpr_workgroup_id_x 1
		.amdhsa_system_sgpr_workgroup_id_y 0
		.amdhsa_system_sgpr_workgroup_id_z 0
		.amdhsa_system_sgpr_workgroup_info 0
		.amdhsa_system_vgpr_workitem_id 0
		.amdhsa_next_free_vgpr 1
		.amdhsa_next_free_sgpr 0
		.amdhsa_accum_offset 4
		.amdhsa_reserve_vcc 0
		.amdhsa_reserve_flat_scratch 0
		.amdhsa_float_round_mode_32 0
		.amdhsa_float_round_mode_16_64 0
		.amdhsa_float_denorm_mode_32 3
		.amdhsa_float_denorm_mode_16_64 3
		.amdhsa_dx10_clamp 1
		.amdhsa_ieee_mode 1
		.amdhsa_fp16_overflow 0
		.amdhsa_tg_split 0
		.amdhsa_exception_fp_ieee_invalid_op 0
		.amdhsa_exception_fp_denorm_src 0
		.amdhsa_exception_fp_ieee_div_zero 0
		.amdhsa_exception_fp_ieee_overflow 0
		.amdhsa_exception_fp_ieee_underflow 0
		.amdhsa_exception_fp_ieee_inexact 0
		.amdhsa_exception_int_div_zero 0
	.end_amdhsa_kernel
	.section	.text._ZN7rocprim17ROCPRIM_400000_NS6detail17trampoline_kernelINS0_14default_configENS1_35radix_sort_onesweep_config_selectorIiNS0_10empty_typeEEEZZNS1_29radix_sort_onesweep_iterationIS3_Lb0EN6thrust23THRUST_200600_302600_NS6detail15normal_iteratorINS9_10device_ptrIiEEEESE_PS5_SF_jNS0_19identity_decomposerENS1_16block_id_wrapperIjLb0EEEEE10hipError_tT1_PNSt15iterator_traitsISK_E10value_typeET2_T3_PNSL_ISQ_E10value_typeET4_T5_PSV_SW_PNS1_23onesweep_lookback_stateEbbT6_jjT7_P12ihipStream_tbENKUlT_T0_SK_SP_E_clISE_SE_SF_SF_EEDaS13_S14_SK_SP_EUlS13_E_NS1_11comp_targetILNS1_3genE2ELNS1_11target_archE906ELNS1_3gpuE6ELNS1_3repE0EEENS1_47radix_sort_onesweep_sort_config_static_selectorELNS0_4arch9wavefront6targetE1EEEvSK_,"axG",@progbits,_ZN7rocprim17ROCPRIM_400000_NS6detail17trampoline_kernelINS0_14default_configENS1_35radix_sort_onesweep_config_selectorIiNS0_10empty_typeEEEZZNS1_29radix_sort_onesweep_iterationIS3_Lb0EN6thrust23THRUST_200600_302600_NS6detail15normal_iteratorINS9_10device_ptrIiEEEESE_PS5_SF_jNS0_19identity_decomposerENS1_16block_id_wrapperIjLb0EEEEE10hipError_tT1_PNSt15iterator_traitsISK_E10value_typeET2_T3_PNSL_ISQ_E10value_typeET4_T5_PSV_SW_PNS1_23onesweep_lookback_stateEbbT6_jjT7_P12ihipStream_tbENKUlT_T0_SK_SP_E_clISE_SE_SF_SF_EEDaS13_S14_SK_SP_EUlS13_E_NS1_11comp_targetILNS1_3genE2ELNS1_11target_archE906ELNS1_3gpuE6ELNS1_3repE0EEENS1_47radix_sort_onesweep_sort_config_static_selectorELNS0_4arch9wavefront6targetE1EEEvSK_,comdat
.Lfunc_end1776:
	.size	_ZN7rocprim17ROCPRIM_400000_NS6detail17trampoline_kernelINS0_14default_configENS1_35radix_sort_onesweep_config_selectorIiNS0_10empty_typeEEEZZNS1_29radix_sort_onesweep_iterationIS3_Lb0EN6thrust23THRUST_200600_302600_NS6detail15normal_iteratorINS9_10device_ptrIiEEEESE_PS5_SF_jNS0_19identity_decomposerENS1_16block_id_wrapperIjLb0EEEEE10hipError_tT1_PNSt15iterator_traitsISK_E10value_typeET2_T3_PNSL_ISQ_E10value_typeET4_T5_PSV_SW_PNS1_23onesweep_lookback_stateEbbT6_jjT7_P12ihipStream_tbENKUlT_T0_SK_SP_E_clISE_SE_SF_SF_EEDaS13_S14_SK_SP_EUlS13_E_NS1_11comp_targetILNS1_3genE2ELNS1_11target_archE906ELNS1_3gpuE6ELNS1_3repE0EEENS1_47radix_sort_onesweep_sort_config_static_selectorELNS0_4arch9wavefront6targetE1EEEvSK_, .Lfunc_end1776-_ZN7rocprim17ROCPRIM_400000_NS6detail17trampoline_kernelINS0_14default_configENS1_35radix_sort_onesweep_config_selectorIiNS0_10empty_typeEEEZZNS1_29radix_sort_onesweep_iterationIS3_Lb0EN6thrust23THRUST_200600_302600_NS6detail15normal_iteratorINS9_10device_ptrIiEEEESE_PS5_SF_jNS0_19identity_decomposerENS1_16block_id_wrapperIjLb0EEEEE10hipError_tT1_PNSt15iterator_traitsISK_E10value_typeET2_T3_PNSL_ISQ_E10value_typeET4_T5_PSV_SW_PNS1_23onesweep_lookback_stateEbbT6_jjT7_P12ihipStream_tbENKUlT_T0_SK_SP_E_clISE_SE_SF_SF_EEDaS13_S14_SK_SP_EUlS13_E_NS1_11comp_targetILNS1_3genE2ELNS1_11target_archE906ELNS1_3gpuE6ELNS1_3repE0EEENS1_47radix_sort_onesweep_sort_config_static_selectorELNS0_4arch9wavefront6targetE1EEEvSK_
                                        ; -- End function
	.section	.AMDGPU.csdata,"",@progbits
; Kernel info:
; codeLenInByte = 0
; NumSgprs: 4
; NumVgprs: 0
; NumAgprs: 0
; TotalNumVgprs: 0
; ScratchSize: 0
; MemoryBound: 0
; FloatMode: 240
; IeeeMode: 1
; LDSByteSize: 0 bytes/workgroup (compile time only)
; SGPRBlocks: 0
; VGPRBlocks: 0
; NumSGPRsForWavesPerEU: 4
; NumVGPRsForWavesPerEU: 1
; AccumOffset: 4
; Occupancy: 8
; WaveLimiterHint : 0
; COMPUTE_PGM_RSRC2:SCRATCH_EN: 0
; COMPUTE_PGM_RSRC2:USER_SGPR: 6
; COMPUTE_PGM_RSRC2:TRAP_HANDLER: 0
; COMPUTE_PGM_RSRC2:TGID_X_EN: 1
; COMPUTE_PGM_RSRC2:TGID_Y_EN: 0
; COMPUTE_PGM_RSRC2:TGID_Z_EN: 0
; COMPUTE_PGM_RSRC2:TIDIG_COMP_CNT: 0
; COMPUTE_PGM_RSRC3_GFX90A:ACCUM_OFFSET: 0
; COMPUTE_PGM_RSRC3_GFX90A:TG_SPLIT: 0
	.section	.text._ZN7rocprim17ROCPRIM_400000_NS6detail17trampoline_kernelINS0_14default_configENS1_35radix_sort_onesweep_config_selectorIiNS0_10empty_typeEEEZZNS1_29radix_sort_onesweep_iterationIS3_Lb0EN6thrust23THRUST_200600_302600_NS6detail15normal_iteratorINS9_10device_ptrIiEEEESE_PS5_SF_jNS0_19identity_decomposerENS1_16block_id_wrapperIjLb0EEEEE10hipError_tT1_PNSt15iterator_traitsISK_E10value_typeET2_T3_PNSL_ISQ_E10value_typeET4_T5_PSV_SW_PNS1_23onesweep_lookback_stateEbbT6_jjT7_P12ihipStream_tbENKUlT_T0_SK_SP_E_clISE_SE_SF_SF_EEDaS13_S14_SK_SP_EUlS13_E_NS1_11comp_targetILNS1_3genE4ELNS1_11target_archE910ELNS1_3gpuE8ELNS1_3repE0EEENS1_47radix_sort_onesweep_sort_config_static_selectorELNS0_4arch9wavefront6targetE1EEEvSK_,"axG",@progbits,_ZN7rocprim17ROCPRIM_400000_NS6detail17trampoline_kernelINS0_14default_configENS1_35radix_sort_onesweep_config_selectorIiNS0_10empty_typeEEEZZNS1_29radix_sort_onesweep_iterationIS3_Lb0EN6thrust23THRUST_200600_302600_NS6detail15normal_iteratorINS9_10device_ptrIiEEEESE_PS5_SF_jNS0_19identity_decomposerENS1_16block_id_wrapperIjLb0EEEEE10hipError_tT1_PNSt15iterator_traitsISK_E10value_typeET2_T3_PNSL_ISQ_E10value_typeET4_T5_PSV_SW_PNS1_23onesweep_lookback_stateEbbT6_jjT7_P12ihipStream_tbENKUlT_T0_SK_SP_E_clISE_SE_SF_SF_EEDaS13_S14_SK_SP_EUlS13_E_NS1_11comp_targetILNS1_3genE4ELNS1_11target_archE910ELNS1_3gpuE8ELNS1_3repE0EEENS1_47radix_sort_onesweep_sort_config_static_selectorELNS0_4arch9wavefront6targetE1EEEvSK_,comdat
	.protected	_ZN7rocprim17ROCPRIM_400000_NS6detail17trampoline_kernelINS0_14default_configENS1_35radix_sort_onesweep_config_selectorIiNS0_10empty_typeEEEZZNS1_29radix_sort_onesweep_iterationIS3_Lb0EN6thrust23THRUST_200600_302600_NS6detail15normal_iteratorINS9_10device_ptrIiEEEESE_PS5_SF_jNS0_19identity_decomposerENS1_16block_id_wrapperIjLb0EEEEE10hipError_tT1_PNSt15iterator_traitsISK_E10value_typeET2_T3_PNSL_ISQ_E10value_typeET4_T5_PSV_SW_PNS1_23onesweep_lookback_stateEbbT6_jjT7_P12ihipStream_tbENKUlT_T0_SK_SP_E_clISE_SE_SF_SF_EEDaS13_S14_SK_SP_EUlS13_E_NS1_11comp_targetILNS1_3genE4ELNS1_11target_archE910ELNS1_3gpuE8ELNS1_3repE0EEENS1_47radix_sort_onesweep_sort_config_static_selectorELNS0_4arch9wavefront6targetE1EEEvSK_ ; -- Begin function _ZN7rocprim17ROCPRIM_400000_NS6detail17trampoline_kernelINS0_14default_configENS1_35radix_sort_onesweep_config_selectorIiNS0_10empty_typeEEEZZNS1_29radix_sort_onesweep_iterationIS3_Lb0EN6thrust23THRUST_200600_302600_NS6detail15normal_iteratorINS9_10device_ptrIiEEEESE_PS5_SF_jNS0_19identity_decomposerENS1_16block_id_wrapperIjLb0EEEEE10hipError_tT1_PNSt15iterator_traitsISK_E10value_typeET2_T3_PNSL_ISQ_E10value_typeET4_T5_PSV_SW_PNS1_23onesweep_lookback_stateEbbT6_jjT7_P12ihipStream_tbENKUlT_T0_SK_SP_E_clISE_SE_SF_SF_EEDaS13_S14_SK_SP_EUlS13_E_NS1_11comp_targetILNS1_3genE4ELNS1_11target_archE910ELNS1_3gpuE8ELNS1_3repE0EEENS1_47radix_sort_onesweep_sort_config_static_selectorELNS0_4arch9wavefront6targetE1EEEvSK_
	.globl	_ZN7rocprim17ROCPRIM_400000_NS6detail17trampoline_kernelINS0_14default_configENS1_35radix_sort_onesweep_config_selectorIiNS0_10empty_typeEEEZZNS1_29radix_sort_onesweep_iterationIS3_Lb0EN6thrust23THRUST_200600_302600_NS6detail15normal_iteratorINS9_10device_ptrIiEEEESE_PS5_SF_jNS0_19identity_decomposerENS1_16block_id_wrapperIjLb0EEEEE10hipError_tT1_PNSt15iterator_traitsISK_E10value_typeET2_T3_PNSL_ISQ_E10value_typeET4_T5_PSV_SW_PNS1_23onesweep_lookback_stateEbbT6_jjT7_P12ihipStream_tbENKUlT_T0_SK_SP_E_clISE_SE_SF_SF_EEDaS13_S14_SK_SP_EUlS13_E_NS1_11comp_targetILNS1_3genE4ELNS1_11target_archE910ELNS1_3gpuE8ELNS1_3repE0EEENS1_47radix_sort_onesweep_sort_config_static_selectorELNS0_4arch9wavefront6targetE1EEEvSK_
	.p2align	8
	.type	_ZN7rocprim17ROCPRIM_400000_NS6detail17trampoline_kernelINS0_14default_configENS1_35radix_sort_onesweep_config_selectorIiNS0_10empty_typeEEEZZNS1_29radix_sort_onesweep_iterationIS3_Lb0EN6thrust23THRUST_200600_302600_NS6detail15normal_iteratorINS9_10device_ptrIiEEEESE_PS5_SF_jNS0_19identity_decomposerENS1_16block_id_wrapperIjLb0EEEEE10hipError_tT1_PNSt15iterator_traitsISK_E10value_typeET2_T3_PNSL_ISQ_E10value_typeET4_T5_PSV_SW_PNS1_23onesweep_lookback_stateEbbT6_jjT7_P12ihipStream_tbENKUlT_T0_SK_SP_E_clISE_SE_SF_SF_EEDaS13_S14_SK_SP_EUlS13_E_NS1_11comp_targetILNS1_3genE4ELNS1_11target_archE910ELNS1_3gpuE8ELNS1_3repE0EEENS1_47radix_sort_onesweep_sort_config_static_selectorELNS0_4arch9wavefront6targetE1EEEvSK_,@function
_ZN7rocprim17ROCPRIM_400000_NS6detail17trampoline_kernelINS0_14default_configENS1_35radix_sort_onesweep_config_selectorIiNS0_10empty_typeEEEZZNS1_29radix_sort_onesweep_iterationIS3_Lb0EN6thrust23THRUST_200600_302600_NS6detail15normal_iteratorINS9_10device_ptrIiEEEESE_PS5_SF_jNS0_19identity_decomposerENS1_16block_id_wrapperIjLb0EEEEE10hipError_tT1_PNSt15iterator_traitsISK_E10value_typeET2_T3_PNSL_ISQ_E10value_typeET4_T5_PSV_SW_PNS1_23onesweep_lookback_stateEbbT6_jjT7_P12ihipStream_tbENKUlT_T0_SK_SP_E_clISE_SE_SF_SF_EEDaS13_S14_SK_SP_EUlS13_E_NS1_11comp_targetILNS1_3genE4ELNS1_11target_archE910ELNS1_3gpuE8ELNS1_3repE0EEENS1_47radix_sort_onesweep_sort_config_static_selectorELNS0_4arch9wavefront6targetE1EEEvSK_: ; @_ZN7rocprim17ROCPRIM_400000_NS6detail17trampoline_kernelINS0_14default_configENS1_35radix_sort_onesweep_config_selectorIiNS0_10empty_typeEEEZZNS1_29radix_sort_onesweep_iterationIS3_Lb0EN6thrust23THRUST_200600_302600_NS6detail15normal_iteratorINS9_10device_ptrIiEEEESE_PS5_SF_jNS0_19identity_decomposerENS1_16block_id_wrapperIjLb0EEEEE10hipError_tT1_PNSt15iterator_traitsISK_E10value_typeET2_T3_PNSL_ISQ_E10value_typeET4_T5_PSV_SW_PNS1_23onesweep_lookback_stateEbbT6_jjT7_P12ihipStream_tbENKUlT_T0_SK_SP_E_clISE_SE_SF_SF_EEDaS13_S14_SK_SP_EUlS13_E_NS1_11comp_targetILNS1_3genE4ELNS1_11target_archE910ELNS1_3gpuE8ELNS1_3repE0EEENS1_47radix_sort_onesweep_sort_config_static_selectorELNS0_4arch9wavefront6targetE1EEEvSK_
; %bb.0:
	s_load_dwordx4 s[16:19], s[4:5], 0x44
	s_load_dwordx2 s[24:25], s[4:5], 0x38
	s_load_dwordx4 s[20:23], s[4:5], 0x0
	s_load_dwordx4 s[12:15], s[4:5], 0x28
	s_mul_i32 s26, s6, 0x3000
	s_waitcnt lgkmcnt(0)
	s_cmp_ge_u32 s6, s18
	v_mbcnt_lo_u32_b32 v1, -1, 0
	s_cbranch_scc0 .LBB1777_79
; %bb.1:
	s_load_dword s7, s[4:5], 0x20
	s_mul_i32 s2, s18, 0xffffd000
	s_mov_b32 s27, 0
	v_and_b32_e32 v2, 0x3ff, v0
	s_lshl_b64 s[0:1], s[26:27], 2
	s_waitcnt lgkmcnt(0)
	s_add_i32 s7, s7, s2
	v_mbcnt_hi_u32_b32 v8, -1, v1
	s_add_u32 s0, s20, s0
	v_and_b32_e32 v3, 63, v8
	v_and_b32_e32 v4, 0x3c0, v2
	s_addc_u32 s1, s21, s1
	v_mul_u32_u24_e32 v6, 12, v4
	v_lshlrev_b32_e32 v4, 2, v3
	v_mov_b32_e32 v5, s1
	v_add_co_u32_e32 v4, vcc, s0, v4
	v_addc_co_u32_e32 v5, vcc, 0, v5, vcc
	v_lshlrev_b32_e32 v7, 2, v6
	v_add_co_u32_e32 v4, vcc, v4, v7
	v_addc_co_u32_e32 v5, vcc, 0, v5, vcc
	v_or_b32_e32 v6, v3, v6
	v_cmp_gt_u32_e32 vcc, s7, v6
	v_bfrev_b32_e32 v10, -2
	v_bfrev_b32_e32 v3, -2
	s_and_saveexec_b64 s[0:1], vcc
	s_cbranch_execz .LBB1777_3
; %bb.2:
	global_load_dword v3, v[4:5], off
.LBB1777_3:
	s_or_b64 exec, exec, s[0:1]
	v_or_b32_e32 v7, 64, v6
	v_cmp_gt_u32_e32 vcc, s7, v7
	s_and_saveexec_b64 s[0:1], vcc
	s_cbranch_execz .LBB1777_5
; %bb.4:
	global_load_dword v10, v[4:5], off offset:256
.LBB1777_5:
	s_or_b64 exec, exec, s[0:1]
	v_or_b32_e32 v7, 0x80, v6
	v_cmp_gt_u32_e32 vcc, s7, v7
	v_bfrev_b32_e32 v14, -2
	v_bfrev_b32_e32 v11, -2
	s_and_saveexec_b64 s[0:1], vcc
	s_cbranch_execz .LBB1777_7
; %bb.6:
	global_load_dword v11, v[4:5], off offset:512
.LBB1777_7:
	s_or_b64 exec, exec, s[0:1]
	v_or_b32_e32 v7, 0xc0, v6
	v_cmp_gt_u32_e32 vcc, s7, v7
	s_and_saveexec_b64 s[0:1], vcc
	s_cbranch_execz .LBB1777_9
; %bb.8:
	global_load_dword v14, v[4:5], off offset:768
.LBB1777_9:
	s_or_b64 exec, exec, s[0:1]
	v_add_u32_e32 v7, 0x100, v6
	v_cmp_gt_u32_e32 vcc, s7, v7
	v_bfrev_b32_e32 v23, -2
	v_bfrev_b32_e32 v17, -2
	s_and_saveexec_b64 s[0:1], vcc
	s_cbranch_execz .LBB1777_11
; %bb.10:
	global_load_dword v17, v[4:5], off offset:1024
.LBB1777_11:
	s_or_b64 exec, exec, s[0:1]
	v_add_u32_e32 v7, 0x140, v6
	v_cmp_gt_u32_e32 vcc, s7, v7
	s_and_saveexec_b64 s[0:1], vcc
	s_cbranch_execz .LBB1777_13
; %bb.12:
	global_load_dword v23, v[4:5], off offset:1280
.LBB1777_13:
	s_or_b64 exec, exec, s[0:1]
	v_add_u32_e32 v7, 0x180, v6
	v_cmp_gt_u32_e32 vcc, s7, v7
	v_bfrev_b32_e32 v34, -2
	v_bfrev_b32_e32 v28, -2
	s_and_saveexec_b64 s[0:1], vcc
	s_cbranch_execz .LBB1777_15
; %bb.14:
	global_load_dword v28, v[4:5], off offset:1536
.LBB1777_15:
	s_or_b64 exec, exec, s[0:1]
	v_add_u32_e32 v7, 0x1c0, v6
	;; [unrolled: 18-line block ×4, first 2 shown]
	v_cmp_gt_u32_e32 vcc, s7, v6
	s_and_saveexec_b64 s[0:1], vcc
	s_cbranch_execz .LBB1777_25
; %bb.24:
	global_load_dword v20, v[4:5], off offset:2816
.LBB1777_25:
	s_or_b64 exec, exec, s[0:1]
	s_load_dword s0, s[4:5], 0x64
	s_load_dword s27, s[4:5], 0x58
	s_add_u32 s1, s4, 0x58
	s_addc_u32 s2, s5, 0
	v_mov_b32_e32 v4, 0
	s_waitcnt lgkmcnt(0)
	s_lshr_b32 s3, s0, 16
	s_cmp_lt_u32 s6, s27
	s_cselect_b32 s0, 12, 18
	s_add_u32 s0, s1, s0
	s_addc_u32 s1, s2, 0
	global_load_ushort v6, v4, s[0:1]
	s_waitcnt vmcnt(1)
	v_xor_b32_e32 v3, 0x80000000, v3
	s_lshl_b32 s0, -1, s17
	v_lshrrev_b32_e32 v12, s16, v3
	s_not_b32 s28, s0
	v_and_b32_e32 v12, s28, v12
	v_and_b32_e32 v15, 1, v12
	v_bfe_u32 v5, v0, 10, 10
	v_bfe_u32 v7, v0, 20, 10
	v_add_co_u32_e32 v16, vcc, -1, v15
	v_mad_u32_u24 v7, v7, s3, v5
	v_lshlrev_b32_e32 v5, 30, v12
	v_addc_co_u32_e64 v18, s[0:1], 0, -1, vcc
	v_cmp_ne_u32_e32 vcc, 0, v15
	v_cmp_gt_i64_e64 s[0:1], 0, v[4:5]
	v_not_b32_e32 v15, v5
	v_lshlrev_b32_e32 v5, 29, v12
	v_xor_b32_e32 v18, vcc_hi, v18
	v_xor_b32_e32 v16, vcc_lo, v16
	v_ashrrev_i32_e32 v15, 31, v15
	v_cmp_gt_i64_e32 vcc, 0, v[4:5]
	v_not_b32_e32 v19, v5
	v_lshlrev_b32_e32 v5, 28, v12
	v_and_b32_e32 v18, exec_hi, v18
	v_and_b32_e32 v16, exec_lo, v16
	v_xor_b32_e32 v21, s1, v15
	v_xor_b32_e32 v15, s0, v15
	v_ashrrev_i32_e32 v19, 31, v19
	v_cmp_gt_i64_e64 s[0:1], 0, v[4:5]
	v_not_b32_e32 v22, v5
	v_lshlrev_b32_e32 v5, 27, v12
	v_and_b32_e32 v18, v18, v21
	v_and_b32_e32 v15, v16, v15
	v_xor_b32_e32 v16, vcc_hi, v19
	v_xor_b32_e32 v19, vcc_lo, v19
	v_ashrrev_i32_e32 v21, 31, v22
	v_cmp_gt_i64_e32 vcc, 0, v[4:5]
	v_not_b32_e32 v22, v5
	v_lshlrev_b32_e32 v5, 26, v12
	v_and_b32_e32 v16, v18, v16
	v_and_b32_e32 v15, v15, v19
	v_xor_b32_e32 v18, s1, v21
	v_xor_b32_e32 v19, s0, v21
	v_ashrrev_i32_e32 v21, 31, v22
	v_cmp_gt_i64_e64 s[0:1], 0, v[4:5]
	v_not_b32_e32 v22, v5
	v_lshlrev_b32_e32 v5, 25, v12
	v_and_b32_e32 v16, v16, v18
	v_and_b32_e32 v15, v15, v19
	v_xor_b32_e32 v18, vcc_hi, v21
	v_xor_b32_e32 v19, vcc_lo, v21
	v_ashrrev_i32_e32 v21, 31, v22
	v_cmp_gt_i64_e32 vcc, 0, v[4:5]
	v_not_b32_e32 v22, v5
	v_lshlrev_b32_e32 v5, 24, v12
	v_lshl_add_u32 v13, v12, 4, v12
	v_and_b32_e32 v12, v16, v18
	v_and_b32_e32 v15, v15, v19
	v_xor_b32_e32 v16, s1, v21
	v_xor_b32_e32 v18, s0, v21
	v_ashrrev_i32_e32 v19, 31, v22
	v_cmp_gt_i64_e64 s[0:1], 0, v[4:5]
	v_not_b32_e32 v5, v5
	v_and_b32_e32 v12, v12, v16
	v_and_b32_e32 v15, v15, v18
	v_xor_b32_e32 v16, vcc_hi, v19
	v_xor_b32_e32 v18, vcc_lo, v19
	v_ashrrev_i32_e32 v5, 31, v5
	v_and_b32_e32 v12, v12, v16
	v_and_b32_e32 v15, v15, v18
	v_mul_u32_u24_e32 v9, 5, v2
	v_lshlrev_b32_e32 v9, 2, v9
	ds_write2_b32 v9, v4, v4 offset0:16 offset1:17
	ds_write2_b32 v9, v4, v4 offset0:18 offset1:19
	ds_write_b32 v9, v4 offset:80
	s_waitcnt lgkmcnt(0)
	s_barrier
	s_waitcnt lgkmcnt(0)
	; wave barrier
	s_waitcnt vmcnt(0)
	v_mad_u64_u32 v[6:7], s[2:3], v7, v6, v[2:3]
	v_lshrrev_b32_e32 v29, 6, v6
	v_xor_b32_e32 v6, s1, v5
	v_xor_b32_e32 v5, s0, v5
	v_and_b32_e32 v7, v12, v6
	v_and_b32_e32 v6, v15, v5
	v_mbcnt_lo_u32_b32 v5, v6, 0
	v_mbcnt_hi_u32_b32 v12, v7, v5
	v_cmp_eq_u32_e32 vcc, 0, v12
	v_cmp_ne_u64_e64 s[0:1], 0, v[6:7]
	v_add_lshl_u32 v18, v29, v13, 2
	s_and_b64 s[2:3], s[0:1], vcc
	s_and_saveexec_b64 s[0:1], s[2:3]
	s_cbranch_execz .LBB1777_27
; %bb.26:
	v_bcnt_u32_b32 v5, v6, 0
	v_bcnt_u32_b32 v5, v7, v5
	ds_write_b32 v18, v5 offset:64
.LBB1777_27:
	s_or_b64 exec, exec, s[0:1]
	v_xor_b32_e32 v10, 0x80000000, v10
	v_lshrrev_b32_e32 v5, s16, v10
	v_and_b32_e32 v6, s28, v5
	v_lshl_add_u32 v5, v6, 4, v6
	v_add_lshl_u32 v19, v29, v5, 2
	v_and_b32_e32 v5, 1, v6
	v_add_co_u32_e32 v7, vcc, -1, v5
	v_addc_co_u32_e64 v15, s[0:1], 0, -1, vcc
	v_cmp_ne_u32_e32 vcc, 0, v5
	v_xor_b32_e32 v5, vcc_hi, v15
	v_and_b32_e32 v15, exec_hi, v5
	v_lshlrev_b32_e32 v5, 30, v6
	v_xor_b32_e32 v7, vcc_lo, v7
	v_cmp_gt_i64_e32 vcc, 0, v[4:5]
	v_not_b32_e32 v5, v5
	v_ashrrev_i32_e32 v5, 31, v5
	v_and_b32_e32 v7, exec_lo, v7
	v_xor_b32_e32 v16, vcc_hi, v5
	v_xor_b32_e32 v5, vcc_lo, v5
	v_and_b32_e32 v7, v7, v5
	v_lshlrev_b32_e32 v5, 29, v6
	v_cmp_gt_i64_e32 vcc, 0, v[4:5]
	v_not_b32_e32 v5, v5
	v_ashrrev_i32_e32 v5, 31, v5
	v_and_b32_e32 v15, v15, v16
	v_xor_b32_e32 v16, vcc_hi, v5
	v_xor_b32_e32 v5, vcc_lo, v5
	v_and_b32_e32 v7, v7, v5
	v_lshlrev_b32_e32 v5, 28, v6
	v_cmp_gt_i64_e32 vcc, 0, v[4:5]
	v_not_b32_e32 v5, v5
	v_ashrrev_i32_e32 v5, 31, v5
	v_and_b32_e32 v15, v15, v16
	;; [unrolled: 8-line block ×5, first 2 shown]
	v_xor_b32_e32 v16, vcc_hi, v5
	v_xor_b32_e32 v5, vcc_lo, v5
	v_and_b32_e32 v7, v7, v5
	v_lshlrev_b32_e32 v5, 24, v6
	v_cmp_gt_i64_e32 vcc, 0, v[4:5]
	v_not_b32_e32 v4, v5
	v_ashrrev_i32_e32 v4, 31, v4
	v_xor_b32_e32 v5, vcc_hi, v4
	v_xor_b32_e32 v4, vcc_lo, v4
	; wave barrier
	ds_read_b32 v13, v19 offset:64
	v_and_b32_e32 v15, v15, v16
	v_and_b32_e32 v4, v7, v4
	;; [unrolled: 1-line block ×3, first 2 shown]
	v_mbcnt_lo_u32_b32 v6, v4, 0
	v_mbcnt_hi_u32_b32 v15, v5, v6
	v_cmp_eq_u32_e32 vcc, 0, v15
	v_cmp_ne_u64_e64 s[0:1], 0, v[4:5]
	s_and_b64 s[2:3], s[0:1], vcc
	; wave barrier
	s_and_saveexec_b64 s[0:1], s[2:3]
	s_cbranch_execz .LBB1777_29
; %bb.28:
	v_bcnt_u32_b32 v4, v4, 0
	v_bcnt_u32_b32 v4, v5, v4
	s_waitcnt lgkmcnt(0)
	v_add_u32_e32 v4, v13, v4
	ds_write_b32 v19, v4 offset:64
.LBB1777_29:
	s_or_b64 exec, exec, s[0:1]
	v_xor_b32_e32 v11, 0x80000000, v11
	v_lshrrev_b32_e32 v4, s16, v11
	v_and_b32_e32 v6, s28, v4
	v_and_b32_e32 v5, 1, v6
	v_add_co_u32_e32 v7, vcc, -1, v5
	v_addc_co_u32_e64 v21, s[0:1], 0, -1, vcc
	v_cmp_ne_u32_e32 vcc, 0, v5
	v_lshl_add_u32 v4, v6, 4, v6
	v_xor_b32_e32 v5, vcc_hi, v21
	v_add_lshl_u32 v24, v29, v4, 2
	v_mov_b32_e32 v4, 0
	v_and_b32_e32 v21, exec_hi, v5
	v_lshlrev_b32_e32 v5, 30, v6
	v_xor_b32_e32 v7, vcc_lo, v7
	v_cmp_gt_i64_e32 vcc, 0, v[4:5]
	v_not_b32_e32 v5, v5
	v_ashrrev_i32_e32 v5, 31, v5
	v_and_b32_e32 v7, exec_lo, v7
	v_xor_b32_e32 v22, vcc_hi, v5
	v_xor_b32_e32 v5, vcc_lo, v5
	v_and_b32_e32 v7, v7, v5
	v_lshlrev_b32_e32 v5, 29, v6
	v_cmp_gt_i64_e32 vcc, 0, v[4:5]
	v_not_b32_e32 v5, v5
	v_ashrrev_i32_e32 v5, 31, v5
	v_and_b32_e32 v21, v21, v22
	v_xor_b32_e32 v22, vcc_hi, v5
	v_xor_b32_e32 v5, vcc_lo, v5
	v_and_b32_e32 v7, v7, v5
	v_lshlrev_b32_e32 v5, 28, v6
	v_cmp_gt_i64_e32 vcc, 0, v[4:5]
	v_not_b32_e32 v5, v5
	v_ashrrev_i32_e32 v5, 31, v5
	v_and_b32_e32 v21, v21, v22
	;; [unrolled: 8-line block ×5, first 2 shown]
	v_xor_b32_e32 v22, vcc_hi, v5
	v_xor_b32_e32 v5, vcc_lo, v5
	v_and_b32_e32 v21, v21, v22
	v_and_b32_e32 v22, v7, v5
	v_lshlrev_b32_e32 v5, 24, v6
	v_cmp_gt_i64_e32 vcc, 0, v[4:5]
	v_not_b32_e32 v5, v5
	v_ashrrev_i32_e32 v5, 31, v5
	v_xor_b32_e32 v6, vcc_hi, v5
	v_xor_b32_e32 v5, vcc_lo, v5
	; wave barrier
	ds_read_b32 v16, v24 offset:64
	v_and_b32_e32 v7, v21, v6
	v_and_b32_e32 v6, v22, v5
	v_mbcnt_lo_u32_b32 v5, v6, 0
	v_mbcnt_hi_u32_b32 v21, v7, v5
	v_cmp_eq_u32_e32 vcc, 0, v21
	v_cmp_ne_u64_e64 s[0:1], 0, v[6:7]
	s_and_b64 s[2:3], s[0:1], vcc
	; wave barrier
	s_and_saveexec_b64 s[0:1], s[2:3]
	s_cbranch_execz .LBB1777_31
; %bb.30:
	v_bcnt_u32_b32 v5, v6, 0
	v_bcnt_u32_b32 v5, v7, v5
	s_waitcnt lgkmcnt(0)
	v_add_u32_e32 v5, v16, v5
	ds_write_b32 v24, v5 offset:64
.LBB1777_31:
	s_or_b64 exec, exec, s[0:1]
	v_xor_b32_e32 v14, 0x80000000, v14
	v_lshrrev_b32_e32 v5, s16, v14
	v_and_b32_e32 v6, s28, v5
	v_lshl_add_u32 v5, v6, 4, v6
	v_add_lshl_u32 v31, v29, v5, 2
	v_and_b32_e32 v5, 1, v6
	v_add_co_u32_e32 v7, vcc, -1, v5
	v_addc_co_u32_e64 v26, s[0:1], 0, -1, vcc
	v_cmp_ne_u32_e32 vcc, 0, v5
	v_xor_b32_e32 v5, vcc_hi, v26
	v_and_b32_e32 v26, exec_hi, v5
	v_lshlrev_b32_e32 v5, 30, v6
	v_xor_b32_e32 v7, vcc_lo, v7
	v_cmp_gt_i64_e32 vcc, 0, v[4:5]
	v_not_b32_e32 v5, v5
	v_ashrrev_i32_e32 v5, 31, v5
	v_and_b32_e32 v7, exec_lo, v7
	v_xor_b32_e32 v27, vcc_hi, v5
	v_xor_b32_e32 v5, vcc_lo, v5
	v_and_b32_e32 v7, v7, v5
	v_lshlrev_b32_e32 v5, 29, v6
	v_cmp_gt_i64_e32 vcc, 0, v[4:5]
	v_not_b32_e32 v5, v5
	v_ashrrev_i32_e32 v5, 31, v5
	v_and_b32_e32 v26, v26, v27
	v_xor_b32_e32 v27, vcc_hi, v5
	v_xor_b32_e32 v5, vcc_lo, v5
	v_and_b32_e32 v7, v7, v5
	v_lshlrev_b32_e32 v5, 28, v6
	v_cmp_gt_i64_e32 vcc, 0, v[4:5]
	v_not_b32_e32 v5, v5
	v_ashrrev_i32_e32 v5, 31, v5
	v_and_b32_e32 v26, v26, v27
	;; [unrolled: 8-line block ×5, first 2 shown]
	v_xor_b32_e32 v27, vcc_hi, v5
	v_xor_b32_e32 v5, vcc_lo, v5
	v_and_b32_e32 v7, v7, v5
	v_lshlrev_b32_e32 v5, 24, v6
	v_cmp_gt_i64_e32 vcc, 0, v[4:5]
	v_not_b32_e32 v4, v5
	v_ashrrev_i32_e32 v4, 31, v4
	v_xor_b32_e32 v5, vcc_hi, v4
	v_xor_b32_e32 v4, vcc_lo, v4
	; wave barrier
	ds_read_b32 v22, v31 offset:64
	v_and_b32_e32 v26, v26, v27
	v_and_b32_e32 v4, v7, v4
	;; [unrolled: 1-line block ×3, first 2 shown]
	v_mbcnt_lo_u32_b32 v6, v4, 0
	v_mbcnt_hi_u32_b32 v26, v5, v6
	v_cmp_eq_u32_e32 vcc, 0, v26
	v_cmp_ne_u64_e64 s[0:1], 0, v[4:5]
	s_and_b64 s[2:3], s[0:1], vcc
	; wave barrier
	s_and_saveexec_b64 s[0:1], s[2:3]
	s_cbranch_execz .LBB1777_33
; %bb.32:
	v_bcnt_u32_b32 v4, v4, 0
	v_bcnt_u32_b32 v4, v5, v4
	s_waitcnt lgkmcnt(0)
	v_add_u32_e32 v4, v22, v4
	ds_write_b32 v31, v4 offset:64
.LBB1777_33:
	s_or_b64 exec, exec, s[0:1]
	v_xor_b32_e32 v17, 0x80000000, v17
	v_lshrrev_b32_e32 v4, s16, v17
	v_and_b32_e32 v6, s28, v4
	v_and_b32_e32 v5, 1, v6
	v_add_co_u32_e32 v7, vcc, -1, v5
	v_addc_co_u32_e64 v32, s[0:1], 0, -1, vcc
	v_cmp_ne_u32_e32 vcc, 0, v5
	v_lshl_add_u32 v4, v6, 4, v6
	v_xor_b32_e32 v5, vcc_hi, v32
	v_add_lshl_u32 v36, v29, v4, 2
	v_mov_b32_e32 v4, 0
	v_and_b32_e32 v32, exec_hi, v5
	v_lshlrev_b32_e32 v5, 30, v6
	v_xor_b32_e32 v7, vcc_lo, v7
	v_cmp_gt_i64_e32 vcc, 0, v[4:5]
	v_not_b32_e32 v5, v5
	v_ashrrev_i32_e32 v5, 31, v5
	v_and_b32_e32 v7, exec_lo, v7
	v_xor_b32_e32 v33, vcc_hi, v5
	v_xor_b32_e32 v5, vcc_lo, v5
	v_and_b32_e32 v7, v7, v5
	v_lshlrev_b32_e32 v5, 29, v6
	v_cmp_gt_i64_e32 vcc, 0, v[4:5]
	v_not_b32_e32 v5, v5
	v_ashrrev_i32_e32 v5, 31, v5
	v_and_b32_e32 v32, v32, v33
	v_xor_b32_e32 v33, vcc_hi, v5
	v_xor_b32_e32 v5, vcc_lo, v5
	v_and_b32_e32 v7, v7, v5
	v_lshlrev_b32_e32 v5, 28, v6
	v_cmp_gt_i64_e32 vcc, 0, v[4:5]
	v_not_b32_e32 v5, v5
	v_ashrrev_i32_e32 v5, 31, v5
	v_and_b32_e32 v32, v32, v33
	;; [unrolled: 8-line block ×5, first 2 shown]
	v_xor_b32_e32 v33, vcc_hi, v5
	v_xor_b32_e32 v5, vcc_lo, v5
	v_and_b32_e32 v32, v32, v33
	v_and_b32_e32 v33, v7, v5
	v_lshlrev_b32_e32 v5, 24, v6
	v_cmp_gt_i64_e32 vcc, 0, v[4:5]
	v_not_b32_e32 v5, v5
	v_ashrrev_i32_e32 v5, 31, v5
	v_xor_b32_e32 v6, vcc_hi, v5
	v_xor_b32_e32 v5, vcc_lo, v5
	; wave barrier
	ds_read_b32 v27, v36 offset:64
	v_and_b32_e32 v7, v32, v6
	v_and_b32_e32 v6, v33, v5
	v_mbcnt_lo_u32_b32 v5, v6, 0
	v_mbcnt_hi_u32_b32 v32, v7, v5
	v_cmp_eq_u32_e32 vcc, 0, v32
	v_cmp_ne_u64_e64 s[0:1], 0, v[6:7]
	s_and_b64 s[2:3], s[0:1], vcc
	; wave barrier
	s_and_saveexec_b64 s[0:1], s[2:3]
	s_cbranch_execz .LBB1777_35
; %bb.34:
	v_bcnt_u32_b32 v5, v6, 0
	v_bcnt_u32_b32 v5, v7, v5
	s_waitcnt lgkmcnt(0)
	v_add_u32_e32 v5, v27, v5
	ds_write_b32 v36, v5 offset:64
.LBB1777_35:
	s_or_b64 exec, exec, s[0:1]
	v_xor_b32_e32 v23, 0x80000000, v23
	v_lshrrev_b32_e32 v5, s16, v23
	v_and_b32_e32 v6, s28, v5
	v_lshl_add_u32 v5, v6, 4, v6
	v_add_lshl_u32 v39, v29, v5, 2
	v_and_b32_e32 v5, 1, v6
	v_add_co_u32_e32 v7, vcc, -1, v5
	v_addc_co_u32_e64 v37, s[0:1], 0, -1, vcc
	v_cmp_ne_u32_e32 vcc, 0, v5
	v_xor_b32_e32 v5, vcc_hi, v37
	v_and_b32_e32 v37, exec_hi, v5
	v_lshlrev_b32_e32 v5, 30, v6
	v_xor_b32_e32 v7, vcc_lo, v7
	v_cmp_gt_i64_e32 vcc, 0, v[4:5]
	v_not_b32_e32 v5, v5
	v_ashrrev_i32_e32 v5, 31, v5
	v_and_b32_e32 v7, exec_lo, v7
	v_xor_b32_e32 v38, vcc_hi, v5
	v_xor_b32_e32 v5, vcc_lo, v5
	v_and_b32_e32 v7, v7, v5
	v_lshlrev_b32_e32 v5, 29, v6
	v_cmp_gt_i64_e32 vcc, 0, v[4:5]
	v_not_b32_e32 v5, v5
	v_ashrrev_i32_e32 v5, 31, v5
	v_and_b32_e32 v37, v37, v38
	v_xor_b32_e32 v38, vcc_hi, v5
	v_xor_b32_e32 v5, vcc_lo, v5
	v_and_b32_e32 v7, v7, v5
	v_lshlrev_b32_e32 v5, 28, v6
	v_cmp_gt_i64_e32 vcc, 0, v[4:5]
	v_not_b32_e32 v5, v5
	v_ashrrev_i32_e32 v5, 31, v5
	v_and_b32_e32 v37, v37, v38
	;; [unrolled: 8-line block ×5, first 2 shown]
	v_xor_b32_e32 v38, vcc_hi, v5
	v_xor_b32_e32 v5, vcc_lo, v5
	v_and_b32_e32 v7, v7, v5
	v_lshlrev_b32_e32 v5, 24, v6
	v_cmp_gt_i64_e32 vcc, 0, v[4:5]
	v_not_b32_e32 v4, v5
	v_ashrrev_i32_e32 v4, 31, v4
	v_xor_b32_e32 v5, vcc_hi, v4
	v_xor_b32_e32 v4, vcc_lo, v4
	; wave barrier
	ds_read_b32 v33, v39 offset:64
	v_and_b32_e32 v37, v37, v38
	v_and_b32_e32 v4, v7, v4
	;; [unrolled: 1-line block ×3, first 2 shown]
	v_mbcnt_lo_u32_b32 v6, v4, 0
	v_mbcnt_hi_u32_b32 v37, v5, v6
	v_cmp_eq_u32_e32 vcc, 0, v37
	v_cmp_ne_u64_e64 s[0:1], 0, v[4:5]
	s_and_b64 s[2:3], s[0:1], vcc
	; wave barrier
	s_and_saveexec_b64 s[0:1], s[2:3]
	s_cbranch_execz .LBB1777_37
; %bb.36:
	v_bcnt_u32_b32 v4, v4, 0
	v_bcnt_u32_b32 v4, v5, v4
	s_waitcnt lgkmcnt(0)
	v_add_u32_e32 v4, v33, v4
	ds_write_b32 v39, v4 offset:64
.LBB1777_37:
	s_or_b64 exec, exec, s[0:1]
	v_xor_b32_e32 v28, 0x80000000, v28
	v_lshrrev_b32_e32 v4, s16, v28
	v_and_b32_e32 v6, s28, v4
	v_and_b32_e32 v5, 1, v6
	v_add_co_u32_e32 v7, vcc, -1, v5
	v_addc_co_u32_e64 v40, s[0:1], 0, -1, vcc
	v_cmp_ne_u32_e32 vcc, 0, v5
	v_lshl_add_u32 v4, v6, 4, v6
	v_xor_b32_e32 v5, vcc_hi, v40
	v_add_lshl_u32 v42, v29, v4, 2
	v_mov_b32_e32 v4, 0
	v_and_b32_e32 v40, exec_hi, v5
	v_lshlrev_b32_e32 v5, 30, v6
	v_xor_b32_e32 v7, vcc_lo, v7
	v_cmp_gt_i64_e32 vcc, 0, v[4:5]
	v_not_b32_e32 v5, v5
	v_ashrrev_i32_e32 v5, 31, v5
	v_and_b32_e32 v7, exec_lo, v7
	v_xor_b32_e32 v41, vcc_hi, v5
	v_xor_b32_e32 v5, vcc_lo, v5
	v_and_b32_e32 v7, v7, v5
	v_lshlrev_b32_e32 v5, 29, v6
	v_cmp_gt_i64_e32 vcc, 0, v[4:5]
	v_not_b32_e32 v5, v5
	v_ashrrev_i32_e32 v5, 31, v5
	v_and_b32_e32 v40, v40, v41
	v_xor_b32_e32 v41, vcc_hi, v5
	v_xor_b32_e32 v5, vcc_lo, v5
	v_and_b32_e32 v7, v7, v5
	v_lshlrev_b32_e32 v5, 28, v6
	v_cmp_gt_i64_e32 vcc, 0, v[4:5]
	v_not_b32_e32 v5, v5
	v_ashrrev_i32_e32 v5, 31, v5
	v_and_b32_e32 v40, v40, v41
	;; [unrolled: 8-line block ×5, first 2 shown]
	v_xor_b32_e32 v41, vcc_hi, v5
	v_xor_b32_e32 v5, vcc_lo, v5
	v_and_b32_e32 v40, v40, v41
	v_and_b32_e32 v41, v7, v5
	v_lshlrev_b32_e32 v5, 24, v6
	v_cmp_gt_i64_e32 vcc, 0, v[4:5]
	v_not_b32_e32 v5, v5
	v_ashrrev_i32_e32 v5, 31, v5
	v_xor_b32_e32 v6, vcc_hi, v5
	v_xor_b32_e32 v5, vcc_lo, v5
	; wave barrier
	ds_read_b32 v38, v42 offset:64
	v_and_b32_e32 v7, v40, v6
	v_and_b32_e32 v6, v41, v5
	v_mbcnt_lo_u32_b32 v5, v6, 0
	v_mbcnt_hi_u32_b32 v40, v7, v5
	v_cmp_eq_u32_e32 vcc, 0, v40
	v_cmp_ne_u64_e64 s[0:1], 0, v[6:7]
	s_and_b64 s[2:3], s[0:1], vcc
	; wave barrier
	s_and_saveexec_b64 s[0:1], s[2:3]
	s_cbranch_execz .LBB1777_39
; %bb.38:
	v_bcnt_u32_b32 v5, v6, 0
	v_bcnt_u32_b32 v5, v7, v5
	s_waitcnt lgkmcnt(0)
	v_add_u32_e32 v5, v38, v5
	ds_write_b32 v42, v5 offset:64
.LBB1777_39:
	s_or_b64 exec, exec, s[0:1]
	v_xor_b32_e32 v34, 0x80000000, v34
	v_lshrrev_b32_e32 v5, s16, v34
	v_and_b32_e32 v6, s28, v5
	v_lshl_add_u32 v5, v6, 4, v6
	v_add_lshl_u32 v45, v29, v5, 2
	v_and_b32_e32 v5, 1, v6
	v_add_co_u32_e32 v7, vcc, -1, v5
	v_addc_co_u32_e64 v43, s[0:1], 0, -1, vcc
	v_cmp_ne_u32_e32 vcc, 0, v5
	v_xor_b32_e32 v5, vcc_hi, v43
	v_and_b32_e32 v43, exec_hi, v5
	v_lshlrev_b32_e32 v5, 30, v6
	v_xor_b32_e32 v7, vcc_lo, v7
	v_cmp_gt_i64_e32 vcc, 0, v[4:5]
	v_not_b32_e32 v5, v5
	v_ashrrev_i32_e32 v5, 31, v5
	v_and_b32_e32 v7, exec_lo, v7
	v_xor_b32_e32 v44, vcc_hi, v5
	v_xor_b32_e32 v5, vcc_lo, v5
	v_and_b32_e32 v7, v7, v5
	v_lshlrev_b32_e32 v5, 29, v6
	v_cmp_gt_i64_e32 vcc, 0, v[4:5]
	v_not_b32_e32 v5, v5
	v_ashrrev_i32_e32 v5, 31, v5
	v_and_b32_e32 v43, v43, v44
	v_xor_b32_e32 v44, vcc_hi, v5
	v_xor_b32_e32 v5, vcc_lo, v5
	v_and_b32_e32 v7, v7, v5
	v_lshlrev_b32_e32 v5, 28, v6
	v_cmp_gt_i64_e32 vcc, 0, v[4:5]
	v_not_b32_e32 v5, v5
	v_ashrrev_i32_e32 v5, 31, v5
	v_and_b32_e32 v43, v43, v44
	v_xor_b32_e32 v44, vcc_hi, v5
	v_xor_b32_e32 v5, vcc_lo, v5
	v_and_b32_e32 v7, v7, v5
	v_lshlrev_b32_e32 v5, 27, v6
	v_cmp_gt_i64_e32 vcc, 0, v[4:5]
	v_not_b32_e32 v5, v5
	v_ashrrev_i32_e32 v5, 31, v5
	v_and_b32_e32 v43, v43, v44
	v_xor_b32_e32 v44, vcc_hi, v5
	v_xor_b32_e32 v5, vcc_lo, v5
	v_and_b32_e32 v7, v7, v5
	v_lshlrev_b32_e32 v5, 26, v6
	v_cmp_gt_i64_e32 vcc, 0, v[4:5]
	v_not_b32_e32 v5, v5
	v_ashrrev_i32_e32 v5, 31, v5
	v_and_b32_e32 v43, v43, v44
	v_xor_b32_e32 v44, vcc_hi, v5
	v_xor_b32_e32 v5, vcc_lo, v5
	v_and_b32_e32 v7, v7, v5
	v_lshlrev_b32_e32 v5, 25, v6
	v_cmp_gt_i64_e32 vcc, 0, v[4:5]
	v_not_b32_e32 v5, v5
	v_ashrrev_i32_e32 v5, 31, v5
	v_and_b32_e32 v43, v43, v44
	v_xor_b32_e32 v44, vcc_hi, v5
	v_xor_b32_e32 v5, vcc_lo, v5
	v_and_b32_e32 v7, v7, v5
	v_lshlrev_b32_e32 v5, 24, v6
	v_cmp_gt_i64_e32 vcc, 0, v[4:5]
	v_not_b32_e32 v4, v5
	v_ashrrev_i32_e32 v4, 31, v4
	v_xor_b32_e32 v5, vcc_hi, v4
	v_xor_b32_e32 v4, vcc_lo, v4
	; wave barrier
	ds_read_b32 v41, v45 offset:64
	v_and_b32_e32 v43, v43, v44
	v_and_b32_e32 v4, v7, v4
	;; [unrolled: 1-line block ×3, first 2 shown]
	v_mbcnt_lo_u32_b32 v6, v4, 0
	v_mbcnt_hi_u32_b32 v43, v5, v6
	v_cmp_eq_u32_e32 vcc, 0, v43
	v_cmp_ne_u64_e64 s[0:1], 0, v[4:5]
	s_and_b64 s[2:3], s[0:1], vcc
	; wave barrier
	s_and_saveexec_b64 s[0:1], s[2:3]
	s_cbranch_execz .LBB1777_41
; %bb.40:
	v_bcnt_u32_b32 v4, v4, 0
	v_bcnt_u32_b32 v4, v5, v4
	s_waitcnt lgkmcnt(0)
	v_add_u32_e32 v4, v41, v4
	ds_write_b32 v45, v4 offset:64
.LBB1777_41:
	s_or_b64 exec, exec, s[0:1]
	v_xor_b32_e32 v35, 0x80000000, v35
	v_lshrrev_b32_e32 v4, s16, v35
	v_and_b32_e32 v6, s28, v4
	v_and_b32_e32 v5, 1, v6
	v_add_co_u32_e32 v7, vcc, -1, v5
	v_addc_co_u32_e64 v46, s[0:1], 0, -1, vcc
	v_cmp_ne_u32_e32 vcc, 0, v5
	v_lshl_add_u32 v4, v6, 4, v6
	v_xor_b32_e32 v5, vcc_hi, v46
	v_add_lshl_u32 v48, v29, v4, 2
	v_mov_b32_e32 v4, 0
	v_and_b32_e32 v46, exec_hi, v5
	v_lshlrev_b32_e32 v5, 30, v6
	v_xor_b32_e32 v7, vcc_lo, v7
	v_cmp_gt_i64_e32 vcc, 0, v[4:5]
	v_not_b32_e32 v5, v5
	v_ashrrev_i32_e32 v5, 31, v5
	v_and_b32_e32 v7, exec_lo, v7
	v_xor_b32_e32 v47, vcc_hi, v5
	v_xor_b32_e32 v5, vcc_lo, v5
	v_and_b32_e32 v7, v7, v5
	v_lshlrev_b32_e32 v5, 29, v6
	v_cmp_gt_i64_e32 vcc, 0, v[4:5]
	v_not_b32_e32 v5, v5
	v_ashrrev_i32_e32 v5, 31, v5
	v_and_b32_e32 v46, v46, v47
	v_xor_b32_e32 v47, vcc_hi, v5
	v_xor_b32_e32 v5, vcc_lo, v5
	v_and_b32_e32 v7, v7, v5
	v_lshlrev_b32_e32 v5, 28, v6
	v_cmp_gt_i64_e32 vcc, 0, v[4:5]
	v_not_b32_e32 v5, v5
	v_ashrrev_i32_e32 v5, 31, v5
	v_and_b32_e32 v46, v46, v47
	;; [unrolled: 8-line block ×5, first 2 shown]
	v_xor_b32_e32 v47, vcc_hi, v5
	v_xor_b32_e32 v5, vcc_lo, v5
	v_and_b32_e32 v46, v46, v47
	v_and_b32_e32 v47, v7, v5
	v_lshlrev_b32_e32 v5, 24, v6
	v_cmp_gt_i64_e32 vcc, 0, v[4:5]
	v_not_b32_e32 v5, v5
	v_ashrrev_i32_e32 v5, 31, v5
	v_xor_b32_e32 v6, vcc_hi, v5
	v_xor_b32_e32 v5, vcc_lo, v5
	; wave barrier
	ds_read_b32 v44, v48 offset:64
	v_and_b32_e32 v7, v46, v6
	v_and_b32_e32 v6, v47, v5
	v_mbcnt_lo_u32_b32 v5, v6, 0
	v_mbcnt_hi_u32_b32 v46, v7, v5
	v_cmp_eq_u32_e32 vcc, 0, v46
	v_cmp_ne_u64_e64 s[0:1], 0, v[6:7]
	s_and_b64 s[2:3], s[0:1], vcc
	; wave barrier
	s_and_saveexec_b64 s[0:1], s[2:3]
	s_cbranch_execz .LBB1777_43
; %bb.42:
	v_bcnt_u32_b32 v5, v6, 0
	v_bcnt_u32_b32 v5, v7, v5
	s_waitcnt lgkmcnt(0)
	v_add_u32_e32 v5, v44, v5
	ds_write_b32 v48, v5 offset:64
.LBB1777_43:
	s_or_b64 exec, exec, s[0:1]
	v_xor_b32_e32 v30, 0x80000000, v30
	v_lshrrev_b32_e32 v5, s16, v30
	v_and_b32_e32 v6, s28, v5
	v_lshl_add_u32 v5, v6, 4, v6
	v_add_lshl_u32 v51, v29, v5, 2
	v_and_b32_e32 v5, 1, v6
	v_add_co_u32_e32 v7, vcc, -1, v5
	v_addc_co_u32_e64 v49, s[0:1], 0, -1, vcc
	v_cmp_ne_u32_e32 vcc, 0, v5
	v_xor_b32_e32 v5, vcc_hi, v49
	v_and_b32_e32 v49, exec_hi, v5
	v_lshlrev_b32_e32 v5, 30, v6
	v_xor_b32_e32 v7, vcc_lo, v7
	v_cmp_gt_i64_e32 vcc, 0, v[4:5]
	v_not_b32_e32 v5, v5
	v_ashrrev_i32_e32 v5, 31, v5
	v_and_b32_e32 v7, exec_lo, v7
	v_xor_b32_e32 v50, vcc_hi, v5
	v_xor_b32_e32 v5, vcc_lo, v5
	v_and_b32_e32 v7, v7, v5
	v_lshlrev_b32_e32 v5, 29, v6
	v_cmp_gt_i64_e32 vcc, 0, v[4:5]
	v_not_b32_e32 v5, v5
	v_ashrrev_i32_e32 v5, 31, v5
	v_and_b32_e32 v49, v49, v50
	v_xor_b32_e32 v50, vcc_hi, v5
	v_xor_b32_e32 v5, vcc_lo, v5
	v_and_b32_e32 v7, v7, v5
	v_lshlrev_b32_e32 v5, 28, v6
	v_cmp_gt_i64_e32 vcc, 0, v[4:5]
	v_not_b32_e32 v5, v5
	v_ashrrev_i32_e32 v5, 31, v5
	v_and_b32_e32 v49, v49, v50
	;; [unrolled: 8-line block ×5, first 2 shown]
	v_xor_b32_e32 v50, vcc_hi, v5
	v_xor_b32_e32 v5, vcc_lo, v5
	v_and_b32_e32 v7, v7, v5
	v_lshlrev_b32_e32 v5, 24, v6
	v_cmp_gt_i64_e32 vcc, 0, v[4:5]
	v_not_b32_e32 v4, v5
	v_ashrrev_i32_e32 v4, 31, v4
	v_xor_b32_e32 v5, vcc_hi, v4
	v_xor_b32_e32 v4, vcc_lo, v4
	; wave barrier
	ds_read_b32 v47, v51 offset:64
	v_and_b32_e32 v49, v49, v50
	v_and_b32_e32 v4, v7, v4
	;; [unrolled: 1-line block ×3, first 2 shown]
	v_mbcnt_lo_u32_b32 v6, v4, 0
	v_mbcnt_hi_u32_b32 v49, v5, v6
	v_cmp_eq_u32_e32 vcc, 0, v49
	v_cmp_ne_u64_e64 s[0:1], 0, v[4:5]
	s_and_b64 s[2:3], s[0:1], vcc
	; wave barrier
	s_and_saveexec_b64 s[0:1], s[2:3]
	s_cbranch_execz .LBB1777_45
; %bb.44:
	v_bcnt_u32_b32 v4, v4, 0
	v_bcnt_u32_b32 v4, v5, v4
	s_waitcnt lgkmcnt(0)
	v_add_u32_e32 v4, v47, v4
	ds_write_b32 v51, v4 offset:64
.LBB1777_45:
	s_or_b64 exec, exec, s[0:1]
	v_xor_b32_e32 v25, 0x80000000, v25
	v_lshrrev_b32_e32 v4, s16, v25
	v_and_b32_e32 v6, s28, v4
	v_and_b32_e32 v5, 1, v6
	v_add_co_u32_e32 v7, vcc, -1, v5
	v_addc_co_u32_e64 v52, s[0:1], 0, -1, vcc
	v_cmp_ne_u32_e32 vcc, 0, v5
	v_lshl_add_u32 v4, v6, 4, v6
	v_xor_b32_e32 v5, vcc_hi, v52
	v_add_lshl_u32 v54, v29, v4, 2
	v_mov_b32_e32 v4, 0
	v_and_b32_e32 v52, exec_hi, v5
	v_lshlrev_b32_e32 v5, 30, v6
	v_xor_b32_e32 v7, vcc_lo, v7
	v_cmp_gt_i64_e32 vcc, 0, v[4:5]
	v_not_b32_e32 v5, v5
	v_ashrrev_i32_e32 v5, 31, v5
	v_and_b32_e32 v7, exec_lo, v7
	v_xor_b32_e32 v53, vcc_hi, v5
	v_xor_b32_e32 v5, vcc_lo, v5
	v_and_b32_e32 v7, v7, v5
	v_lshlrev_b32_e32 v5, 29, v6
	v_cmp_gt_i64_e32 vcc, 0, v[4:5]
	v_not_b32_e32 v5, v5
	v_ashrrev_i32_e32 v5, 31, v5
	v_and_b32_e32 v52, v52, v53
	v_xor_b32_e32 v53, vcc_hi, v5
	v_xor_b32_e32 v5, vcc_lo, v5
	v_and_b32_e32 v7, v7, v5
	v_lshlrev_b32_e32 v5, 28, v6
	v_cmp_gt_i64_e32 vcc, 0, v[4:5]
	v_not_b32_e32 v5, v5
	v_ashrrev_i32_e32 v5, 31, v5
	v_and_b32_e32 v52, v52, v53
	;; [unrolled: 8-line block ×5, first 2 shown]
	v_xor_b32_e32 v53, vcc_hi, v5
	v_xor_b32_e32 v5, vcc_lo, v5
	v_and_b32_e32 v52, v52, v53
	v_and_b32_e32 v53, v7, v5
	v_lshlrev_b32_e32 v5, 24, v6
	v_cmp_gt_i64_e32 vcc, 0, v[4:5]
	v_not_b32_e32 v5, v5
	v_ashrrev_i32_e32 v5, 31, v5
	v_xor_b32_e32 v6, vcc_hi, v5
	v_xor_b32_e32 v5, vcc_lo, v5
	; wave barrier
	ds_read_b32 v50, v54 offset:64
	v_and_b32_e32 v7, v52, v6
	v_and_b32_e32 v6, v53, v5
	v_mbcnt_lo_u32_b32 v5, v6, 0
	v_mbcnt_hi_u32_b32 v52, v7, v5
	v_cmp_eq_u32_e32 vcc, 0, v52
	v_cmp_ne_u64_e64 s[0:1], 0, v[6:7]
	s_and_b64 s[2:3], s[0:1], vcc
	; wave barrier
	s_and_saveexec_b64 s[0:1], s[2:3]
	s_cbranch_execz .LBB1777_47
; %bb.46:
	v_bcnt_u32_b32 v5, v6, 0
	v_bcnt_u32_b32 v5, v7, v5
	s_waitcnt lgkmcnt(0)
	v_add_u32_e32 v5, v50, v5
	ds_write_b32 v54, v5 offset:64
.LBB1777_47:
	s_or_b64 exec, exec, s[0:1]
	v_xor_b32_e32 v20, 0x80000000, v20
	v_lshrrev_b32_e32 v5, s16, v20
	v_and_b32_e32 v6, s28, v5
	v_lshl_add_u32 v5, v6, 4, v6
	v_add_lshl_u32 v56, v29, v5, 2
	v_and_b32_e32 v5, 1, v6
	v_add_co_u32_e32 v7, vcc, -1, v5
	v_addc_co_u32_e64 v29, s[0:1], 0, -1, vcc
	v_cmp_ne_u32_e32 vcc, 0, v5
	v_xor_b32_e32 v5, vcc_hi, v29
	v_and_b32_e32 v29, exec_hi, v5
	v_lshlrev_b32_e32 v5, 30, v6
	v_xor_b32_e32 v7, vcc_lo, v7
	v_cmp_gt_i64_e32 vcc, 0, v[4:5]
	v_not_b32_e32 v5, v5
	v_ashrrev_i32_e32 v5, 31, v5
	v_and_b32_e32 v7, exec_lo, v7
	v_xor_b32_e32 v55, vcc_hi, v5
	v_xor_b32_e32 v5, vcc_lo, v5
	v_and_b32_e32 v7, v7, v5
	v_lshlrev_b32_e32 v5, 29, v6
	v_cmp_gt_i64_e32 vcc, 0, v[4:5]
	v_not_b32_e32 v5, v5
	v_ashrrev_i32_e32 v5, 31, v5
	v_and_b32_e32 v29, v29, v55
	v_xor_b32_e32 v55, vcc_hi, v5
	v_xor_b32_e32 v5, vcc_lo, v5
	v_and_b32_e32 v7, v7, v5
	v_lshlrev_b32_e32 v5, 28, v6
	v_cmp_gt_i64_e32 vcc, 0, v[4:5]
	v_not_b32_e32 v5, v5
	v_ashrrev_i32_e32 v5, 31, v5
	v_and_b32_e32 v29, v29, v55
	;; [unrolled: 8-line block ×5, first 2 shown]
	v_xor_b32_e32 v55, vcc_hi, v5
	v_xor_b32_e32 v5, vcc_lo, v5
	v_and_b32_e32 v7, v7, v5
	v_lshlrev_b32_e32 v5, 24, v6
	v_cmp_gt_i64_e32 vcc, 0, v[4:5]
	v_not_b32_e32 v4, v5
	v_ashrrev_i32_e32 v4, 31, v4
	v_xor_b32_e32 v5, vcc_hi, v4
	v_xor_b32_e32 v4, vcc_lo, v4
	; wave barrier
	ds_read_b32 v53, v56 offset:64
	v_and_b32_e32 v29, v29, v55
	v_and_b32_e32 v4, v7, v4
	;; [unrolled: 1-line block ×3, first 2 shown]
	v_mbcnt_lo_u32_b32 v6, v4, 0
	v_mbcnt_hi_u32_b32 v55, v5, v6
	v_cmp_eq_u32_e32 vcc, 0, v55
	v_cmp_ne_u64_e64 s[0:1], 0, v[4:5]
	v_add_u32_e32 v57, 64, v9
	s_and_b64 s[2:3], s[0:1], vcc
	; wave barrier
	s_and_saveexec_b64 s[0:1], s[2:3]
	s_cbranch_execz .LBB1777_49
; %bb.48:
	v_bcnt_u32_b32 v4, v4, 0
	v_bcnt_u32_b32 v4, v5, v4
	s_waitcnt lgkmcnt(0)
	v_add_u32_e32 v4, v53, v4
	ds_write_b32 v56, v4 offset:64
.LBB1777_49:
	s_or_b64 exec, exec, s[0:1]
	; wave barrier
	s_waitcnt lgkmcnt(0)
	s_barrier
	ds_read2_b32 v[6:7], v9 offset0:16 offset1:17
	ds_read2_b32 v[4:5], v57 offset0:2 offset1:3
	ds_read_b32 v29, v57 offset:16
	v_cmp_lt_u32_e64 s[10:11], 31, v8
	s_waitcnt lgkmcnt(1)
	v_add3_u32 v58, v7, v6, v4
	s_waitcnt lgkmcnt(0)
	v_add3_u32 v29, v58, v5, v29
	v_and_b32_e32 v58, 15, v8
	v_cmp_eq_u32_e32 vcc, 0, v58
	v_mov_b32_dpp v59, v29 row_shr:1 row_mask:0xf bank_mask:0xf
	v_cndmask_b32_e64 v59, v59, 0, vcc
	v_add_u32_e32 v29, v59, v29
	v_cmp_lt_u32_e64 s[0:1], 1, v58
	v_cmp_lt_u32_e64 s[2:3], 3, v58
	v_mov_b32_dpp v59, v29 row_shr:2 row_mask:0xf bank_mask:0xf
	v_cndmask_b32_e64 v59, 0, v59, s[0:1]
	v_add_u32_e32 v29, v29, v59
	v_cmp_lt_u32_e64 s[8:9], 7, v58
	s_nop 0
	v_mov_b32_dpp v59, v29 row_shr:4 row_mask:0xf bank_mask:0xf
	v_cndmask_b32_e64 v59, 0, v59, s[2:3]
	v_add_u32_e32 v29, v29, v59
	s_nop 1
	v_mov_b32_dpp v59, v29 row_shr:8 row_mask:0xf bank_mask:0xf
	v_cndmask_b32_e64 v58, 0, v59, s[8:9]
	v_add_u32_e32 v29, v29, v58
	v_bfe_i32 v59, v8, 4, 1
	s_nop 0
	v_mov_b32_dpp v58, v29 row_bcast:15 row_mask:0xf bank_mask:0xf
	v_and_b32_e32 v58, v59, v58
	v_add_u32_e32 v29, v29, v58
	v_lshrrev_b32_e32 v59, 6, v2
	s_nop 0
	v_mov_b32_dpp v58, v29 row_bcast:31 row_mask:0xf bank_mask:0xf
	v_cndmask_b32_e64 v58, 0, v58, s[10:11]
	v_add_u32_e32 v58, v29, v58
	v_and_b32_e32 v29, 63, v2
	v_cmp_eq_u32_e64 s[10:11], 63, v29
	s_and_saveexec_b64 s[18:19], s[10:11]
	s_cbranch_execz .LBB1777_51
; %bb.50:
	v_lshlrev_b32_e32 v29, 2, v59
	ds_write_b32 v29, v58
.LBB1777_51:
	s_or_b64 exec, exec, s[18:19]
	v_cmp_gt_u32_e64 s[10:11], 16, v2
	v_lshlrev_b32_e32 v29, 2, v2
	s_waitcnt lgkmcnt(0)
	s_barrier
	s_and_saveexec_b64 s[18:19], s[10:11]
	s_cbranch_execz .LBB1777_53
; %bb.52:
	ds_read_b32 v60, v29
	s_waitcnt lgkmcnt(0)
	s_nop 0
	v_mov_b32_dpp v61, v60 row_shr:1 row_mask:0xf bank_mask:0xf
	v_cndmask_b32_e64 v61, v61, 0, vcc
	v_add_u32_e32 v60, v61, v60
	s_nop 1
	v_mov_b32_dpp v61, v60 row_shr:2 row_mask:0xf bank_mask:0xf
	v_cndmask_b32_e64 v61, 0, v61, s[0:1]
	v_add_u32_e32 v60, v60, v61
	s_nop 1
	v_mov_b32_dpp v61, v60 row_shr:4 row_mask:0xf bank_mask:0xf
	v_cndmask_b32_e64 v61, 0, v61, s[2:3]
	;; [unrolled: 4-line block ×3, first 2 shown]
	v_add_u32_e32 v60, v60, v61
	ds_write_b32 v29, v60
.LBB1777_53:
	s_or_b64 exec, exec, s[18:19]
	v_cmp_lt_u32_e32 vcc, 63, v2
	v_mov_b32_e32 v60, 0
	s_waitcnt lgkmcnt(0)
	s_barrier
	s_and_saveexec_b64 s[0:1], vcc
	s_cbranch_execz .LBB1777_55
; %bb.54:
	v_lshl_add_u32 v59, v59, 2, -4
	ds_read_b32 v60, v59
.LBB1777_55:
	s_or_b64 exec, exec, s[0:1]
	v_add_u32_e32 v59, -1, v8
	v_and_b32_e32 v61, 64, v8
	v_cmp_lt_i32_e32 vcc, v59, v61
	v_cndmask_b32_e32 v59, v59, v8, vcc
	s_waitcnt lgkmcnt(0)
	v_add_u32_e32 v58, v60, v58
	v_lshlrev_b32_e32 v59, 2, v59
	ds_bpermute_b32 v58, v59, v58
	v_cmp_eq_u32_e32 vcc, 0, v8
	s_movk_i32 s0, 0x100
	s_waitcnt lgkmcnt(0)
	v_cndmask_b32_e32 v8, v58, v60, vcc
	v_cmp_ne_u32_e32 vcc, 0, v2
	v_cndmask_b32_e32 v8, 0, v8, vcc
	v_add_u32_e32 v6, v8, v6
	v_add_u32_e32 v7, v6, v7
	;; [unrolled: 1-line block ×4, first 2 shown]
	ds_write2_b32 v9, v8, v6 offset0:16 offset1:17
	ds_write2_b32 v57, v7, v4 offset0:2 offset1:3
	ds_write_b32 v57, v5 offset:16
	s_waitcnt lgkmcnt(0)
	s_barrier
	ds_read_b32 v61, v18 offset:64
	ds_read_b32 v57, v19 offset:64
	;; [unrolled: 1-line block ×12, first 2 shown]
	v_cmp_gt_u32_e32 vcc, s0, v2
                                        ; implicit-def: $vgpr18
                                        ; implicit-def: $vgpr19
	s_and_saveexec_b64 s[2:3], vcc
	s_cbranch_execz .LBB1777_59
; %bb.56:
	v_mul_u32_u24_e32 v4, 17, v2
	v_lshlrev_b32_e32 v5, 2, v4
	ds_read_b32 v18, v5 offset:64
	s_movk_i32 s0, 0xff
	v_cmp_ne_u32_e64 s[0:1], s0, v2
	v_mov_b32_e32 v4, 0x3000
	s_and_saveexec_b64 s[8:9], s[0:1]
	s_cbranch_execz .LBB1777_58
; %bb.57:
	ds_read_b32 v4, v5 offset:132
.LBB1777_58:
	s_or_b64 exec, exec, s[8:9]
	s_waitcnt lgkmcnt(0)
	v_sub_u32_e32 v19, v4, v18
.LBB1777_59:
	s_or_b64 exec, exec, s[2:3]
	s_waitcnt lgkmcnt(0)
	s_barrier
	s_and_saveexec_b64 s[2:3], vcc
	s_cbranch_execz .LBB1777_69
; %bb.60:
	v_lshl_or_b32 v4, s6, 8, v2
	v_mov_b32_e32 v5, 0
	v_lshlrev_b64 v[6:7], 2, v[4:5]
	v_mov_b32_e32 v51, s25
	v_add_co_u32_e64 v6, s[0:1], s24, v6
	v_addc_co_u32_e64 v7, s[0:1], v51, v7, s[0:1]
	v_or_b32_e32 v4, 2.0, v19
	s_mov_b64 s[8:9], 0
	s_brev_b32 s29, 1
	s_mov_b32 s30, s6
	v_mov_b32_e32 v54, 0
	global_store_dword v[6:7], v4, off
                                        ; implicit-def: $sgpr0_sgpr1
	s_branch .LBB1777_62
.LBB1777_61:                            ;   in Loop: Header=BB1777_62 Depth=1
	s_or_b64 exec, exec, s[10:11]
	v_and_b32_e32 v8, 0x3fffffff, v56
	v_add_u32_e32 v54, v8, v54
	v_cmp_eq_u32_e64 s[0:1], s29, v4
	s_and_b64 s[10:11], exec, s[0:1]
	s_or_b64 s[8:9], s[10:11], s[8:9]
	s_andn2_b64 exec, exec, s[8:9]
	s_cbranch_execz .LBB1777_68
.LBB1777_62:                            ; =>This Loop Header: Depth=1
                                        ;     Child Loop BB1777_65 Depth 2
	s_or_b64 s[0:1], s[0:1], exec
	s_cmp_eq_u32 s30, 0
	s_cbranch_scc1 .LBB1777_67
; %bb.63:                               ;   in Loop: Header=BB1777_62 Depth=1
	s_add_i32 s30, s30, -1
	v_lshl_or_b32 v4, s30, 8, v2
	v_lshlrev_b64 v[8:9], 2, v[4:5]
	v_add_co_u32_e64 v8, s[0:1], s24, v8
	v_addc_co_u32_e64 v9, s[0:1], v51, v9, s[0:1]
	global_load_dword v56, v[8:9], off glc
	s_waitcnt vmcnt(0)
	v_and_b32_e32 v4, -2.0, v56
	v_cmp_eq_u32_e64 s[0:1], 0, v4
	s_and_saveexec_b64 s[10:11], s[0:1]
	s_cbranch_execz .LBB1777_61
; %bb.64:                               ;   in Loop: Header=BB1777_62 Depth=1
	s_mov_b64 s[18:19], 0
.LBB1777_65:                            ;   Parent Loop BB1777_62 Depth=1
                                        ; =>  This Inner Loop Header: Depth=2
	global_load_dword v56, v[8:9], off glc
	s_waitcnt vmcnt(0)
	v_and_b32_e32 v4, -2.0, v56
	v_cmp_ne_u32_e64 s[0:1], 0, v4
	s_or_b64 s[18:19], s[0:1], s[18:19]
	s_andn2_b64 exec, exec, s[18:19]
	s_cbranch_execnz .LBB1777_65
; %bb.66:                               ;   in Loop: Header=BB1777_62 Depth=1
	s_or_b64 exec, exec, s[18:19]
	s_branch .LBB1777_61
.LBB1777_67:                            ;   in Loop: Header=BB1777_62 Depth=1
                                        ; implicit-def: $sgpr30
	s_and_b64 s[10:11], exec, s[0:1]
	s_or_b64 s[8:9], s[10:11], s[8:9]
	s_andn2_b64 exec, exec, s[8:9]
	s_cbranch_execnz .LBB1777_62
.LBB1777_68:
	s_or_b64 exec, exec, s[8:9]
	v_add_u32_e32 v4, v54, v19
	v_or_b32_e32 v4, 0x80000000, v4
	global_store_dword v[6:7], v4, off
	global_load_dword v4, v29, s[12:13]
	v_sub_u32_e32 v5, v54, v18
	s_waitcnt vmcnt(0)
	v_add_u32_e32 v4, v5, v4
	ds_write_b32 v29, v4
.LBB1777_69:
	s_or_b64 exec, exec, s[2:3]
	v_add_u32_e32 v6, v61, v12
	s_movk_i32 s8, 0x400
	v_add_u32_e32 v7, 0x400, v29
	v_add3_u32 v8, v55, v48, v53
	v_add3_u32 v9, v52, v45, v50
	;; [unrolled: 1-line block ×11, first 2 shown]
	s_mov_b32 s9, 0
	v_mov_b32_e32 v5, 0
	s_movk_i32 s10, 0x800
	s_movk_i32 s11, 0xc00
	s_mov_b32 s18, 0
	s_branch .LBB1777_71
.LBB1777_70:                            ;   in Loop: Header=BB1777_71 Depth=1
	s_or_b64 exec, exec, s[2:3]
	s_addk_i32 s18, 0x1000
	s_addk_i32 s9, 0xf000
	s_cmpk_eq_i32 s9, 0xd000
	s_barrier
	s_cbranch_scc1 .LBB1777_80
.LBB1777_71:                            ; =>This Inner Loop Header: Depth=1
	v_add_u32_e32 v4, s9, v6
	v_min_u32_e32 v4, 0x1000, v4
	v_lshlrev_b32_e32 v4, 2, v4
	ds_write_b32 v4, v3 offset:1024
	v_add_u32_e32 v4, s9, v13
	v_min_u32_e32 v4, 0x1000, v4
	v_lshlrev_b32_e32 v4, 2, v4
	ds_write_b32 v4, v10 offset:1024
	;; [unrolled: 4-line block ×11, first 2 shown]
	v_add_u32_e32 v4, s9, v8
	v_min_u32_e32 v4, 0x1000, v4
	v_add_u32_e32 v15, s18, v2
	v_lshlrev_b32_e32 v4, 2, v4
	v_cmp_gt_u32_e64 s[0:1], s7, v15
	ds_write_b32 v4, v20 offset:1024
	s_waitcnt lgkmcnt(0)
	s_barrier
	s_and_saveexec_b64 s[2:3], s[0:1]
	s_cbranch_execz .LBB1777_73
; %bb.72:                               ;   in Loop: Header=BB1777_71 Depth=1
	ds_read_b32 v4, v29 offset:1024
	v_mov_b32_e32 v26, s23
	s_waitcnt lgkmcnt(0)
	v_lshrrev_b32_e32 v21, s16, v4
	v_and_b32_e32 v21, s28, v21
	v_lshlrev_b32_e32 v21, 2, v21
	ds_read_b32 v21, v21
	v_xor_b32_e32 v32, 0x80000000, v4
	s_waitcnt lgkmcnt(0)
	v_add_u32_e32 v4, v15, v21
	v_lshlrev_b64 v[38:39], 2, v[4:5]
	v_add_co_u32_e64 v38, s[0:1], s22, v38
	v_addc_co_u32_e64 v39, s[0:1], v26, v39, s[0:1]
	global_store_dword v[38:39], v32, off
.LBB1777_73:                            ;   in Loop: Header=BB1777_71 Depth=1
	s_or_b64 exec, exec, s[2:3]
	v_add_u32_e32 v4, 0x400, v15
	v_cmp_gt_u32_e64 s[0:1], s7, v4
	s_and_saveexec_b64 s[2:3], s[0:1]
	s_cbranch_execz .LBB1777_75
; %bb.74:                               ;   in Loop: Header=BB1777_71 Depth=1
	ds_read_b32 v4, v7 offset:4096
	v_mov_b32_e32 v26, s23
	s_waitcnt lgkmcnt(0)
	v_lshrrev_b32_e32 v21, s16, v4
	v_and_b32_e32 v21, s28, v21
	v_lshlrev_b32_e32 v21, 2, v21
	ds_read_b32 v21, v21
	v_xor_b32_e32 v32, 0x80000000, v4
	s_waitcnt lgkmcnt(0)
	v_add3_u32 v4, v15, v21, s8
	v_lshlrev_b64 v[38:39], 2, v[4:5]
	v_add_co_u32_e64 v38, s[0:1], s22, v38
	v_addc_co_u32_e64 v39, s[0:1], v26, v39, s[0:1]
	global_store_dword v[38:39], v32, off
.LBB1777_75:                            ;   in Loop: Header=BB1777_71 Depth=1
	s_or_b64 exec, exec, s[2:3]
	v_add_u32_e32 v4, 0x800, v15
	v_cmp_gt_u32_e64 s[0:1], s7, v4
	s_and_saveexec_b64 s[2:3], s[0:1]
	s_cbranch_execz .LBB1777_77
; %bb.76:                               ;   in Loop: Header=BB1777_71 Depth=1
	ds_read_b32 v4, v7 offset:8192
	v_mov_b32_e32 v26, s23
	s_waitcnt lgkmcnt(0)
	v_lshrrev_b32_e32 v21, s16, v4
	v_and_b32_e32 v21, s28, v21
	v_lshlrev_b32_e32 v21, 2, v21
	ds_read_b32 v21, v21
	v_xor_b32_e32 v32, 0x80000000, v4
	s_waitcnt lgkmcnt(0)
	v_add3_u32 v4, v15, v21, s10
	v_lshlrev_b64 v[38:39], 2, v[4:5]
	v_add_co_u32_e64 v38, s[0:1], s22, v38
	v_addc_co_u32_e64 v39, s[0:1], v26, v39, s[0:1]
	global_store_dword v[38:39], v32, off
.LBB1777_77:                            ;   in Loop: Header=BB1777_71 Depth=1
	s_or_b64 exec, exec, s[2:3]
	v_add_u32_e32 v4, 0xc00, v15
	v_cmp_gt_u32_e64 s[0:1], s7, v4
	s_and_saveexec_b64 s[2:3], s[0:1]
	s_cbranch_execz .LBB1777_70
; %bb.78:                               ;   in Loop: Header=BB1777_71 Depth=1
	ds_read_b32 v4, v7 offset:12288
	v_mov_b32_e32 v26, s23
	s_waitcnt lgkmcnt(0)
	v_lshrrev_b32_e32 v21, s16, v4
	v_and_b32_e32 v21, s28, v21
	v_lshlrev_b32_e32 v21, 2, v21
	ds_read_b32 v21, v21
	v_xor_b32_e32 v32, 0x80000000, v4
	s_waitcnt lgkmcnt(0)
	v_add3_u32 v4, v15, v21, s11
	v_lshlrev_b64 v[38:39], 2, v[4:5]
	v_add_co_u32_e64 v38, s[0:1], s22, v38
	v_addc_co_u32_e64 v39, s[0:1], v26, v39, s[0:1]
	global_store_dword v[38:39], v32, off
	s_branch .LBB1777_70
.LBB1777_79:
	s_mov_b64 s[10:11], 0
                                        ; implicit-def: $vgpr4
                                        ; implicit-def: $vgpr2
	s_cbranch_execnz .LBB1777_83
	s_branch .LBB1777_132
.LBB1777_80:
	s_add_i32 s27, s27, -1
	s_cmp_eq_u32 s27, s6
	s_cselect_b64 s[0:1], -1, 0
	s_and_b64 s[2:3], vcc, s[0:1]
	s_mov_b64 s[0:1], 0
	s_mov_b64 s[10:11], 0
                                        ; implicit-def: $vgpr4
	s_and_saveexec_b64 s[8:9], s[2:3]
	s_xor_b64 s[2:3], exec, s[8:9]
; %bb.81:
	s_mov_b64 s[10:11], exec
	v_add_u32_e32 v4, v18, v19
; %bb.82:
	s_or_b64 exec, exec, s[2:3]
	s_and_b64 vcc, exec, s[0:1]
	s_cbranch_vccz .LBB1777_132
.LBB1777_83:
	s_mov_b32 s27, 0
	v_mbcnt_hi_u32_b32 v6, -1, v1
	s_lshl_b64 s[0:1], s[26:27], 2
	v_and_b32_e32 v1, 63, v6
	s_add_u32 s0, s20, s0
	v_lshlrev_b32_e32 v1, 2, v1
	v_add_co_u32_e32 v1, vcc, s0, v1
	s_load_dword s7, s[4:5], 0x58
	s_load_dword s0, s[4:5], 0x64
	v_and_b32_e32 v2, 0x3ff, v0
	s_addc_u32 s1, s21, s1
	v_and_b32_e32 v3, 0x3c0, v2
	v_mul_u32_u24_e32 v3, 12, v3
	v_mov_b32_e32 v5, s1
	v_addc_co_u32_e32 v5, vcc, 0, v5, vcc
	v_lshlrev_b32_e32 v3, 2, v3
	s_add_u32 s1, s4, 0x58
	v_add_co_u32_e32 v12, vcc, v1, v3
	s_addc_u32 s2, s5, 0
	s_waitcnt lgkmcnt(0)
	s_lshr_b32 s3, s0, 16
	v_addc_co_u32_e32 v13, vcc, 0, v5, vcc
	s_cmp_lt_u32 s6, s7
	global_load_dword v1, v[12:13], off
	s_cselect_b32 s0, 12, 18
	s_add_u32 s0, s1, s0
	v_mov_b32_e32 v4, 0
	s_addc_u32 s1, s2, 0
	global_load_ushort v5, v4, s[0:1]
	v_mul_u32_u24_e32 v7, 5, v2
	v_lshlrev_b32_e32 v7, 2, v7
	ds_write2_b32 v7, v4, v4 offset0:16 offset1:17
	ds_write2_b32 v7, v4, v4 offset0:18 offset1:19
	ds_write_b32 v7, v4 offset:80
	global_load_dword v8, v[12:13], off offset:256
	global_load_dword v9, v[12:13], off offset:512
	;; [unrolled: 1-line block ×11, first 2 shown]
	v_bfe_u32 v3, v0, 10, 10
	v_bfe_u32 v0, v0, 20, 10
	v_mad_u32_u24 v0, v0, s3, v3
	s_lshl_b32 s0, -1, s17
	s_not_b32 s17, s0
	s_waitcnt lgkmcnt(0)
	s_barrier
	s_waitcnt lgkmcnt(0)
	; wave barrier
	s_waitcnt vmcnt(12)
	v_xor_b32_e32 v3, 0x80000000, v1
	v_lshrrev_b32_e32 v1, s16, v3
	v_and_b32_e32 v10, s17, v1
	v_and_b32_e32 v12, 1, v10
	s_waitcnt vmcnt(11)
	v_mad_u64_u32 v[0:1], s[0:1], v0, v5, v[2:3]
	v_lshrrev_b32_e32 v22, 6, v0
	v_add_co_u32_e32 v0, vcc, -1, v12
	v_lshlrev_b32_e32 v5, 30, v10
	v_addc_co_u32_e64 v14, s[0:1], 0, -1, vcc
	v_lshl_add_u32 v1, v10, 4, v10
	v_cmp_ne_u32_e32 vcc, 0, v12
	v_cmp_gt_i64_e64 s[0:1], 0, v[4:5]
	v_not_b32_e32 v12, v5
	v_lshlrev_b32_e32 v5, 29, v10
	v_add_lshl_u32 v13, v22, v1, 2
	v_xor_b32_e32 v1, vcc_hi, v14
	v_xor_b32_e32 v0, vcc_lo, v0
	v_ashrrev_i32_e32 v12, 31, v12
	v_cmp_gt_i64_e32 vcc, 0, v[4:5]
	v_not_b32_e32 v14, v5
	v_lshlrev_b32_e32 v5, 28, v10
	v_and_b32_e32 v1, exec_hi, v1
	v_and_b32_e32 v0, exec_lo, v0
	v_xor_b32_e32 v16, s1, v12
	v_xor_b32_e32 v12, s0, v12
	v_ashrrev_i32_e32 v14, 31, v14
	v_cmp_gt_i64_e64 s[0:1], 0, v[4:5]
	v_not_b32_e32 v5, v5
	v_and_b32_e32 v1, v1, v16
	v_and_b32_e32 v0, v0, v12
	v_xor_b32_e32 v12, vcc_hi, v14
	v_xor_b32_e32 v14, vcc_lo, v14
	v_ashrrev_i32_e32 v5, 31, v5
	v_and_b32_e32 v1, v1, v12
	v_and_b32_e32 v0, v0, v14
	v_xor_b32_e32 v12, s1, v5
	v_xor_b32_e32 v5, s0, v5
	v_and_b32_e32 v0, v0, v5
	v_lshlrev_b32_e32 v5, 27, v10
	v_cmp_gt_i64_e32 vcc, 0, v[4:5]
	v_not_b32_e32 v5, v5
	v_ashrrev_i32_e32 v5, 31, v5
	v_and_b32_e32 v1, v1, v12
	v_xor_b32_e32 v12, vcc_hi, v5
	v_xor_b32_e32 v5, vcc_lo, v5
	v_and_b32_e32 v0, v0, v5
	v_lshlrev_b32_e32 v5, 26, v10
	v_cmp_gt_i64_e32 vcc, 0, v[4:5]
	v_not_b32_e32 v5, v5
	v_ashrrev_i32_e32 v5, 31, v5
	v_and_b32_e32 v1, v1, v12
	v_xor_b32_e32 v12, vcc_hi, v5
	v_xor_b32_e32 v5, vcc_lo, v5
	;; [unrolled: 8-line block ×3, first 2 shown]
	v_and_b32_e32 v0, v0, v5
	v_lshlrev_b32_e32 v5, 24, v10
	v_cmp_gt_i64_e32 vcc, 0, v[4:5]
	v_not_b32_e32 v5, v5
	v_ashrrev_i32_e32 v5, 31, v5
	v_xor_b32_e32 v10, vcc_hi, v5
	v_xor_b32_e32 v5, vcc_lo, v5
	v_and_b32_e32 v1, v1, v12
	v_and_b32_e32 v0, v0, v5
	;; [unrolled: 1-line block ×3, first 2 shown]
	v_mbcnt_lo_u32_b32 v5, v0, 0
	v_mbcnt_hi_u32_b32 v10, v1, v5
	v_cmp_eq_u32_e32 vcc, 0, v10
	v_cmp_ne_u64_e64 s[0:1], 0, v[0:1]
	s_and_b64 s[2:3], s[0:1], vcc
	s_and_saveexec_b64 s[0:1], s[2:3]
	s_cbranch_execz .LBB1777_85
; %bb.84:
	v_bcnt_u32_b32 v0, v0, 0
	v_bcnt_u32_b32 v0, v1, v0
	ds_write_b32 v13, v0 offset:64
.LBB1777_85:
	s_or_b64 exec, exec, s[0:1]
	s_waitcnt vmcnt(10)
	v_xor_b32_e32 v8, 0x80000000, v8
	v_lshrrev_b32_e32 v0, s16, v8
	v_and_b32_e32 v0, s17, v0
	v_lshl_add_u32 v1, v0, 4, v0
	v_add_lshl_u32 v17, v22, v1, 2
	v_and_b32_e32 v1, 1, v0
	v_add_co_u32_e32 v5, vcc, -1, v1
	v_addc_co_u32_e64 v14, s[0:1], 0, -1, vcc
	v_cmp_ne_u32_e32 vcc, 0, v1
	v_xor_b32_e32 v5, vcc_lo, v5
	v_xor_b32_e32 v1, vcc_hi, v14
	v_and_b32_e32 v14, exec_lo, v5
	v_lshlrev_b32_e32 v5, 30, v0
	v_cmp_gt_i64_e32 vcc, 0, v[4:5]
	v_not_b32_e32 v5, v5
	v_ashrrev_i32_e32 v5, 31, v5
	v_xor_b32_e32 v16, vcc_hi, v5
	v_xor_b32_e32 v5, vcc_lo, v5
	v_and_b32_e32 v14, v14, v5
	v_lshlrev_b32_e32 v5, 29, v0
	v_cmp_gt_i64_e32 vcc, 0, v[4:5]
	v_not_b32_e32 v5, v5
	v_and_b32_e32 v1, exec_hi, v1
	v_ashrrev_i32_e32 v5, 31, v5
	v_and_b32_e32 v1, v1, v16
	v_xor_b32_e32 v16, vcc_hi, v5
	v_xor_b32_e32 v5, vcc_lo, v5
	v_and_b32_e32 v14, v14, v5
	v_lshlrev_b32_e32 v5, 28, v0
	v_cmp_gt_i64_e32 vcc, 0, v[4:5]
	v_not_b32_e32 v5, v5
	v_ashrrev_i32_e32 v5, 31, v5
	v_and_b32_e32 v1, v1, v16
	v_xor_b32_e32 v16, vcc_hi, v5
	v_xor_b32_e32 v5, vcc_lo, v5
	v_and_b32_e32 v14, v14, v5
	v_lshlrev_b32_e32 v5, 27, v0
	v_cmp_gt_i64_e32 vcc, 0, v[4:5]
	v_not_b32_e32 v5, v5
	;; [unrolled: 8-line block ×4, first 2 shown]
	v_ashrrev_i32_e32 v5, 31, v5
	v_and_b32_e32 v1, v1, v16
	v_xor_b32_e32 v16, vcc_hi, v5
	v_xor_b32_e32 v5, vcc_lo, v5
	v_and_b32_e32 v14, v14, v5
	v_lshlrev_b32_e32 v5, 24, v0
	v_not_b32_e32 v0, v5
	v_cmp_gt_i64_e32 vcc, 0, v[4:5]
	v_ashrrev_i32_e32 v0, 31, v0
	v_xor_b32_e32 v4, vcc_hi, v0
	v_xor_b32_e32 v0, vcc_lo, v0
	; wave barrier
	ds_read_b32 v12, v17 offset:64
	v_and_b32_e32 v1, v1, v16
	v_and_b32_e32 v0, v14, v0
	;; [unrolled: 1-line block ×3, first 2 shown]
	v_mbcnt_lo_u32_b32 v4, v0, 0
	v_mbcnt_hi_u32_b32 v14, v1, v4
	v_cmp_eq_u32_e32 vcc, 0, v14
	v_cmp_ne_u64_e64 s[0:1], 0, v[0:1]
	s_and_b64 s[2:3], s[0:1], vcc
	; wave barrier
	s_and_saveexec_b64 s[0:1], s[2:3]
	s_cbranch_execz .LBB1777_87
; %bb.86:
	v_bcnt_u32_b32 v0, v0, 0
	v_bcnt_u32_b32 v0, v1, v0
	s_waitcnt lgkmcnt(0)
	v_add_u32_e32 v0, v12, v0
	ds_write_b32 v17, v0 offset:64
.LBB1777_87:
	s_or_b64 exec, exec, s[0:1]
	s_waitcnt vmcnt(9)
	v_xor_b32_e32 v9, 0x80000000, v9
	v_lshrrev_b32_e32 v0, s16, v9
	v_and_b32_e32 v4, s17, v0
	v_and_b32_e32 v1, 1, v4
	v_add_co_u32_e32 v5, vcc, -1, v1
	v_addc_co_u32_e64 v18, s[0:1], 0, -1, vcc
	v_cmp_ne_u32_e32 vcc, 0, v1
	v_lshl_add_u32 v0, v4, 4, v4
	v_xor_b32_e32 v1, vcc_hi, v18
	v_add_lshl_u32 v23, v22, v0, 2
	v_mov_b32_e32 v0, 0
	v_and_b32_e32 v18, exec_hi, v1
	v_lshlrev_b32_e32 v1, 30, v4
	v_xor_b32_e32 v5, vcc_lo, v5
	v_cmp_gt_i64_e32 vcc, 0, v[0:1]
	v_not_b32_e32 v1, v1
	v_ashrrev_i32_e32 v1, 31, v1
	v_and_b32_e32 v5, exec_lo, v5
	v_xor_b32_e32 v20, vcc_hi, v1
	v_xor_b32_e32 v1, vcc_lo, v1
	v_and_b32_e32 v5, v5, v1
	v_lshlrev_b32_e32 v1, 29, v4
	v_cmp_gt_i64_e32 vcc, 0, v[0:1]
	v_not_b32_e32 v1, v1
	v_ashrrev_i32_e32 v1, 31, v1
	v_and_b32_e32 v18, v18, v20
	v_xor_b32_e32 v20, vcc_hi, v1
	v_xor_b32_e32 v1, vcc_lo, v1
	v_and_b32_e32 v5, v5, v1
	v_lshlrev_b32_e32 v1, 28, v4
	v_cmp_gt_i64_e32 vcc, 0, v[0:1]
	v_not_b32_e32 v1, v1
	v_ashrrev_i32_e32 v1, 31, v1
	v_and_b32_e32 v18, v18, v20
	;; [unrolled: 8-line block ×5, first 2 shown]
	v_xor_b32_e32 v20, vcc_hi, v1
	v_xor_b32_e32 v1, vcc_lo, v1
	v_and_b32_e32 v18, v18, v20
	v_and_b32_e32 v20, v5, v1
	v_lshlrev_b32_e32 v1, 24, v4
	v_cmp_gt_i64_e32 vcc, 0, v[0:1]
	v_not_b32_e32 v1, v1
	v_ashrrev_i32_e32 v1, 31, v1
	v_xor_b32_e32 v4, vcc_hi, v1
	v_xor_b32_e32 v1, vcc_lo, v1
	; wave barrier
	ds_read_b32 v16, v23 offset:64
	v_and_b32_e32 v5, v18, v4
	v_and_b32_e32 v4, v20, v1
	v_mbcnt_lo_u32_b32 v1, v4, 0
	v_mbcnt_hi_u32_b32 v18, v5, v1
	v_cmp_eq_u32_e32 vcc, 0, v18
	v_cmp_ne_u64_e64 s[0:1], 0, v[4:5]
	s_and_b64 s[2:3], s[0:1], vcc
	; wave barrier
	s_and_saveexec_b64 s[0:1], s[2:3]
	s_cbranch_execz .LBB1777_89
; %bb.88:
	v_bcnt_u32_b32 v1, v4, 0
	v_bcnt_u32_b32 v1, v5, v1
	s_waitcnt lgkmcnt(0)
	v_add_u32_e32 v1, v16, v1
	ds_write_b32 v23, v1 offset:64
.LBB1777_89:
	s_or_b64 exec, exec, s[0:1]
	s_waitcnt vmcnt(8)
	v_xor_b32_e32 v11, 0x80000000, v11
	v_lshrrev_b32_e32 v1, s16, v11
	v_and_b32_e32 v4, s17, v1
	v_lshl_add_u32 v1, v4, 4, v4
	v_add_lshl_u32 v28, v22, v1, 2
	v_and_b32_e32 v1, 1, v4
	v_add_co_u32_e32 v5, vcc, -1, v1
	v_addc_co_u32_e64 v24, s[0:1], 0, -1, vcc
	v_cmp_ne_u32_e32 vcc, 0, v1
	v_xor_b32_e32 v1, vcc_hi, v24
	v_and_b32_e32 v24, exec_hi, v1
	v_lshlrev_b32_e32 v1, 30, v4
	v_xor_b32_e32 v5, vcc_lo, v5
	v_cmp_gt_i64_e32 vcc, 0, v[0:1]
	v_not_b32_e32 v1, v1
	v_ashrrev_i32_e32 v1, 31, v1
	v_and_b32_e32 v5, exec_lo, v5
	v_xor_b32_e32 v26, vcc_hi, v1
	v_xor_b32_e32 v1, vcc_lo, v1
	v_and_b32_e32 v5, v5, v1
	v_lshlrev_b32_e32 v1, 29, v4
	v_cmp_gt_i64_e32 vcc, 0, v[0:1]
	v_not_b32_e32 v1, v1
	v_ashrrev_i32_e32 v1, 31, v1
	v_and_b32_e32 v24, v24, v26
	v_xor_b32_e32 v26, vcc_hi, v1
	v_xor_b32_e32 v1, vcc_lo, v1
	v_and_b32_e32 v5, v5, v1
	v_lshlrev_b32_e32 v1, 28, v4
	v_cmp_gt_i64_e32 vcc, 0, v[0:1]
	v_not_b32_e32 v1, v1
	v_ashrrev_i32_e32 v1, 31, v1
	v_and_b32_e32 v24, v24, v26
	;; [unrolled: 8-line block ×5, first 2 shown]
	v_xor_b32_e32 v26, vcc_hi, v1
	v_xor_b32_e32 v1, vcc_lo, v1
	v_and_b32_e32 v5, v5, v1
	v_lshlrev_b32_e32 v1, 24, v4
	v_cmp_gt_i64_e32 vcc, 0, v[0:1]
	v_not_b32_e32 v0, v1
	v_ashrrev_i32_e32 v0, 31, v0
	v_xor_b32_e32 v1, vcc_hi, v0
	v_xor_b32_e32 v0, vcc_lo, v0
	; wave barrier
	ds_read_b32 v20, v28 offset:64
	v_and_b32_e32 v24, v24, v26
	v_and_b32_e32 v0, v5, v0
	;; [unrolled: 1-line block ×3, first 2 shown]
	v_mbcnt_lo_u32_b32 v4, v0, 0
	v_mbcnt_hi_u32_b32 v24, v1, v4
	v_cmp_eq_u32_e32 vcc, 0, v24
	v_cmp_ne_u64_e64 s[0:1], 0, v[0:1]
	s_and_b64 s[2:3], s[0:1], vcc
	; wave barrier
	s_and_saveexec_b64 s[0:1], s[2:3]
	s_cbranch_execz .LBB1777_91
; %bb.90:
	v_bcnt_u32_b32 v0, v0, 0
	v_bcnt_u32_b32 v0, v1, v0
	s_waitcnt lgkmcnt(0)
	v_add_u32_e32 v0, v20, v0
	ds_write_b32 v28, v0 offset:64
.LBB1777_91:
	s_or_b64 exec, exec, s[0:1]
	s_waitcnt vmcnt(7)
	v_xor_b32_e32 v15, 0x80000000, v15
	v_lshrrev_b32_e32 v0, s16, v15
	v_and_b32_e32 v4, s17, v0
	v_and_b32_e32 v1, 1, v4
	v_add_co_u32_e32 v5, vcc, -1, v1
	v_addc_co_u32_e64 v29, s[0:1], 0, -1, vcc
	v_cmp_ne_u32_e32 vcc, 0, v1
	v_lshl_add_u32 v0, v4, 4, v4
	v_xor_b32_e32 v1, vcc_hi, v29
	v_add_lshl_u32 v33, v22, v0, 2
	v_mov_b32_e32 v0, 0
	v_and_b32_e32 v29, exec_hi, v1
	v_lshlrev_b32_e32 v1, 30, v4
	v_xor_b32_e32 v5, vcc_lo, v5
	v_cmp_gt_i64_e32 vcc, 0, v[0:1]
	v_not_b32_e32 v1, v1
	v_ashrrev_i32_e32 v1, 31, v1
	v_and_b32_e32 v5, exec_lo, v5
	v_xor_b32_e32 v31, vcc_hi, v1
	v_xor_b32_e32 v1, vcc_lo, v1
	v_and_b32_e32 v5, v5, v1
	v_lshlrev_b32_e32 v1, 29, v4
	v_cmp_gt_i64_e32 vcc, 0, v[0:1]
	v_not_b32_e32 v1, v1
	v_ashrrev_i32_e32 v1, 31, v1
	v_and_b32_e32 v29, v29, v31
	v_xor_b32_e32 v31, vcc_hi, v1
	v_xor_b32_e32 v1, vcc_lo, v1
	v_and_b32_e32 v5, v5, v1
	v_lshlrev_b32_e32 v1, 28, v4
	v_cmp_gt_i64_e32 vcc, 0, v[0:1]
	v_not_b32_e32 v1, v1
	v_ashrrev_i32_e32 v1, 31, v1
	v_and_b32_e32 v29, v29, v31
	;; [unrolled: 8-line block ×5, first 2 shown]
	v_xor_b32_e32 v31, vcc_hi, v1
	v_xor_b32_e32 v1, vcc_lo, v1
	v_and_b32_e32 v29, v29, v31
	v_and_b32_e32 v31, v5, v1
	v_lshlrev_b32_e32 v1, 24, v4
	v_cmp_gt_i64_e32 vcc, 0, v[0:1]
	v_not_b32_e32 v1, v1
	v_ashrrev_i32_e32 v1, 31, v1
	v_xor_b32_e32 v4, vcc_hi, v1
	v_xor_b32_e32 v1, vcc_lo, v1
	; wave barrier
	ds_read_b32 v26, v33 offset:64
	v_and_b32_e32 v5, v29, v4
	v_and_b32_e32 v4, v31, v1
	v_mbcnt_lo_u32_b32 v1, v4, 0
	v_mbcnt_hi_u32_b32 v29, v5, v1
	v_cmp_eq_u32_e32 vcc, 0, v29
	v_cmp_ne_u64_e64 s[0:1], 0, v[4:5]
	s_and_b64 s[2:3], s[0:1], vcc
	; wave barrier
	s_and_saveexec_b64 s[0:1], s[2:3]
	s_cbranch_execz .LBB1777_93
; %bb.92:
	v_bcnt_u32_b32 v1, v4, 0
	v_bcnt_u32_b32 v1, v5, v1
	s_waitcnt lgkmcnt(0)
	v_add_u32_e32 v1, v26, v1
	ds_write_b32 v33, v1 offset:64
.LBB1777_93:
	s_or_b64 exec, exec, s[0:1]
	s_waitcnt vmcnt(6)
	v_xor_b32_e32 v19, 0x80000000, v19
	v_lshrrev_b32_e32 v1, s16, v19
	v_and_b32_e32 v4, s17, v1
	v_lshl_add_u32 v1, v4, 4, v4
	v_add_lshl_u32 v37, v22, v1, 2
	v_and_b32_e32 v1, 1, v4
	v_add_co_u32_e32 v5, vcc, -1, v1
	v_addc_co_u32_e64 v34, s[0:1], 0, -1, vcc
	v_cmp_ne_u32_e32 vcc, 0, v1
	v_xor_b32_e32 v1, vcc_hi, v34
	v_and_b32_e32 v34, exec_hi, v1
	v_lshlrev_b32_e32 v1, 30, v4
	v_xor_b32_e32 v5, vcc_lo, v5
	v_cmp_gt_i64_e32 vcc, 0, v[0:1]
	v_not_b32_e32 v1, v1
	v_ashrrev_i32_e32 v1, 31, v1
	v_and_b32_e32 v5, exec_lo, v5
	v_xor_b32_e32 v36, vcc_hi, v1
	v_xor_b32_e32 v1, vcc_lo, v1
	v_and_b32_e32 v5, v5, v1
	v_lshlrev_b32_e32 v1, 29, v4
	v_cmp_gt_i64_e32 vcc, 0, v[0:1]
	v_not_b32_e32 v1, v1
	v_ashrrev_i32_e32 v1, 31, v1
	v_and_b32_e32 v34, v34, v36
	v_xor_b32_e32 v36, vcc_hi, v1
	v_xor_b32_e32 v1, vcc_lo, v1
	v_and_b32_e32 v5, v5, v1
	v_lshlrev_b32_e32 v1, 28, v4
	v_cmp_gt_i64_e32 vcc, 0, v[0:1]
	v_not_b32_e32 v1, v1
	v_ashrrev_i32_e32 v1, 31, v1
	v_and_b32_e32 v34, v34, v36
	;; [unrolled: 8-line block ×5, first 2 shown]
	v_xor_b32_e32 v36, vcc_hi, v1
	v_xor_b32_e32 v1, vcc_lo, v1
	v_and_b32_e32 v5, v5, v1
	v_lshlrev_b32_e32 v1, 24, v4
	v_cmp_gt_i64_e32 vcc, 0, v[0:1]
	v_not_b32_e32 v0, v1
	v_ashrrev_i32_e32 v0, 31, v0
	v_xor_b32_e32 v1, vcc_hi, v0
	v_xor_b32_e32 v0, vcc_lo, v0
	; wave barrier
	ds_read_b32 v31, v37 offset:64
	v_and_b32_e32 v34, v34, v36
	v_and_b32_e32 v0, v5, v0
	;; [unrolled: 1-line block ×3, first 2 shown]
	v_mbcnt_lo_u32_b32 v4, v0, 0
	v_mbcnt_hi_u32_b32 v34, v1, v4
	v_cmp_eq_u32_e32 vcc, 0, v34
	v_cmp_ne_u64_e64 s[0:1], 0, v[0:1]
	s_and_b64 s[2:3], s[0:1], vcc
	; wave barrier
	s_and_saveexec_b64 s[0:1], s[2:3]
	s_cbranch_execz .LBB1777_95
; %bb.94:
	v_bcnt_u32_b32 v0, v0, 0
	v_bcnt_u32_b32 v0, v1, v0
	s_waitcnt lgkmcnt(0)
	v_add_u32_e32 v0, v31, v0
	ds_write_b32 v37, v0 offset:64
.LBB1777_95:
	s_or_b64 exec, exec, s[0:1]
	s_waitcnt vmcnt(5)
	v_xor_b32_e32 v25, 0x80000000, v25
	v_lshrrev_b32_e32 v0, s16, v25
	v_and_b32_e32 v4, s17, v0
	v_and_b32_e32 v1, 1, v4
	v_add_co_u32_e32 v5, vcc, -1, v1
	v_addc_co_u32_e64 v38, s[0:1], 0, -1, vcc
	v_cmp_ne_u32_e32 vcc, 0, v1
	v_lshl_add_u32 v0, v4, 4, v4
	v_xor_b32_e32 v1, vcc_hi, v38
	v_add_lshl_u32 v40, v22, v0, 2
	v_mov_b32_e32 v0, 0
	v_and_b32_e32 v38, exec_hi, v1
	v_lshlrev_b32_e32 v1, 30, v4
	v_xor_b32_e32 v5, vcc_lo, v5
	v_cmp_gt_i64_e32 vcc, 0, v[0:1]
	v_not_b32_e32 v1, v1
	v_ashrrev_i32_e32 v1, 31, v1
	v_and_b32_e32 v5, exec_lo, v5
	v_xor_b32_e32 v39, vcc_hi, v1
	v_xor_b32_e32 v1, vcc_lo, v1
	v_and_b32_e32 v5, v5, v1
	v_lshlrev_b32_e32 v1, 29, v4
	v_cmp_gt_i64_e32 vcc, 0, v[0:1]
	v_not_b32_e32 v1, v1
	v_ashrrev_i32_e32 v1, 31, v1
	v_and_b32_e32 v38, v38, v39
	v_xor_b32_e32 v39, vcc_hi, v1
	v_xor_b32_e32 v1, vcc_lo, v1
	v_and_b32_e32 v5, v5, v1
	v_lshlrev_b32_e32 v1, 28, v4
	v_cmp_gt_i64_e32 vcc, 0, v[0:1]
	v_not_b32_e32 v1, v1
	v_ashrrev_i32_e32 v1, 31, v1
	v_and_b32_e32 v38, v38, v39
	;; [unrolled: 8-line block ×5, first 2 shown]
	v_xor_b32_e32 v39, vcc_hi, v1
	v_xor_b32_e32 v1, vcc_lo, v1
	v_and_b32_e32 v38, v38, v39
	v_and_b32_e32 v39, v5, v1
	v_lshlrev_b32_e32 v1, 24, v4
	v_cmp_gt_i64_e32 vcc, 0, v[0:1]
	v_not_b32_e32 v1, v1
	v_ashrrev_i32_e32 v1, 31, v1
	v_xor_b32_e32 v4, vcc_hi, v1
	v_xor_b32_e32 v1, vcc_lo, v1
	; wave barrier
	ds_read_b32 v36, v40 offset:64
	v_and_b32_e32 v5, v38, v4
	v_and_b32_e32 v4, v39, v1
	v_mbcnt_lo_u32_b32 v1, v4, 0
	v_mbcnt_hi_u32_b32 v38, v5, v1
	v_cmp_eq_u32_e32 vcc, 0, v38
	v_cmp_ne_u64_e64 s[0:1], 0, v[4:5]
	s_and_b64 s[2:3], s[0:1], vcc
	; wave barrier
	s_and_saveexec_b64 s[0:1], s[2:3]
	s_cbranch_execz .LBB1777_97
; %bb.96:
	v_bcnt_u32_b32 v1, v4, 0
	v_bcnt_u32_b32 v1, v5, v1
	s_waitcnt lgkmcnt(0)
	v_add_u32_e32 v1, v36, v1
	ds_write_b32 v40, v1 offset:64
.LBB1777_97:
	s_or_b64 exec, exec, s[0:1]
	s_waitcnt vmcnt(4)
	v_xor_b32_e32 v30, 0x80000000, v30
	v_lshrrev_b32_e32 v1, s16, v30
	v_and_b32_e32 v4, s17, v1
	v_lshl_add_u32 v1, v4, 4, v4
	v_add_lshl_u32 v43, v22, v1, 2
	v_and_b32_e32 v1, 1, v4
	v_add_co_u32_e32 v5, vcc, -1, v1
	v_addc_co_u32_e64 v41, s[0:1], 0, -1, vcc
	v_cmp_ne_u32_e32 vcc, 0, v1
	v_xor_b32_e32 v1, vcc_hi, v41
	v_and_b32_e32 v41, exec_hi, v1
	v_lshlrev_b32_e32 v1, 30, v4
	v_xor_b32_e32 v5, vcc_lo, v5
	v_cmp_gt_i64_e32 vcc, 0, v[0:1]
	v_not_b32_e32 v1, v1
	v_ashrrev_i32_e32 v1, 31, v1
	v_and_b32_e32 v5, exec_lo, v5
	v_xor_b32_e32 v42, vcc_hi, v1
	v_xor_b32_e32 v1, vcc_lo, v1
	v_and_b32_e32 v5, v5, v1
	v_lshlrev_b32_e32 v1, 29, v4
	v_cmp_gt_i64_e32 vcc, 0, v[0:1]
	v_not_b32_e32 v1, v1
	v_ashrrev_i32_e32 v1, 31, v1
	v_and_b32_e32 v41, v41, v42
	v_xor_b32_e32 v42, vcc_hi, v1
	v_xor_b32_e32 v1, vcc_lo, v1
	v_and_b32_e32 v5, v5, v1
	v_lshlrev_b32_e32 v1, 28, v4
	v_cmp_gt_i64_e32 vcc, 0, v[0:1]
	v_not_b32_e32 v1, v1
	v_ashrrev_i32_e32 v1, 31, v1
	v_and_b32_e32 v41, v41, v42
	;; [unrolled: 8-line block ×5, first 2 shown]
	v_xor_b32_e32 v42, vcc_hi, v1
	v_xor_b32_e32 v1, vcc_lo, v1
	v_and_b32_e32 v5, v5, v1
	v_lshlrev_b32_e32 v1, 24, v4
	v_cmp_gt_i64_e32 vcc, 0, v[0:1]
	v_not_b32_e32 v0, v1
	v_ashrrev_i32_e32 v0, 31, v0
	v_xor_b32_e32 v1, vcc_hi, v0
	v_xor_b32_e32 v0, vcc_lo, v0
	; wave barrier
	ds_read_b32 v39, v43 offset:64
	v_and_b32_e32 v41, v41, v42
	v_and_b32_e32 v0, v5, v0
	;; [unrolled: 1-line block ×3, first 2 shown]
	v_mbcnt_lo_u32_b32 v4, v0, 0
	v_mbcnt_hi_u32_b32 v41, v1, v4
	v_cmp_eq_u32_e32 vcc, 0, v41
	v_cmp_ne_u64_e64 s[0:1], 0, v[0:1]
	s_and_b64 s[2:3], s[0:1], vcc
	; wave barrier
	s_and_saveexec_b64 s[0:1], s[2:3]
	s_cbranch_execz .LBB1777_99
; %bb.98:
	v_bcnt_u32_b32 v0, v0, 0
	v_bcnt_u32_b32 v0, v1, v0
	s_waitcnt lgkmcnt(0)
	v_add_u32_e32 v0, v39, v0
	ds_write_b32 v43, v0 offset:64
.LBB1777_99:
	s_or_b64 exec, exec, s[0:1]
	s_waitcnt vmcnt(3)
	v_xor_b32_e32 v35, 0x80000000, v35
	v_lshrrev_b32_e32 v0, s16, v35
	v_and_b32_e32 v4, s17, v0
	v_and_b32_e32 v1, 1, v4
	v_add_co_u32_e32 v5, vcc, -1, v1
	v_addc_co_u32_e64 v44, s[0:1], 0, -1, vcc
	v_cmp_ne_u32_e32 vcc, 0, v1
	v_lshl_add_u32 v0, v4, 4, v4
	v_xor_b32_e32 v1, vcc_hi, v44
	v_add_lshl_u32 v46, v22, v0, 2
	v_mov_b32_e32 v0, 0
	v_and_b32_e32 v44, exec_hi, v1
	v_lshlrev_b32_e32 v1, 30, v4
	v_xor_b32_e32 v5, vcc_lo, v5
	v_cmp_gt_i64_e32 vcc, 0, v[0:1]
	v_not_b32_e32 v1, v1
	v_ashrrev_i32_e32 v1, 31, v1
	v_and_b32_e32 v5, exec_lo, v5
	v_xor_b32_e32 v45, vcc_hi, v1
	v_xor_b32_e32 v1, vcc_lo, v1
	v_and_b32_e32 v5, v5, v1
	v_lshlrev_b32_e32 v1, 29, v4
	v_cmp_gt_i64_e32 vcc, 0, v[0:1]
	v_not_b32_e32 v1, v1
	v_ashrrev_i32_e32 v1, 31, v1
	v_and_b32_e32 v44, v44, v45
	v_xor_b32_e32 v45, vcc_hi, v1
	v_xor_b32_e32 v1, vcc_lo, v1
	v_and_b32_e32 v5, v5, v1
	v_lshlrev_b32_e32 v1, 28, v4
	v_cmp_gt_i64_e32 vcc, 0, v[0:1]
	v_not_b32_e32 v1, v1
	v_ashrrev_i32_e32 v1, 31, v1
	v_and_b32_e32 v44, v44, v45
	;; [unrolled: 8-line block ×5, first 2 shown]
	v_xor_b32_e32 v45, vcc_hi, v1
	v_xor_b32_e32 v1, vcc_lo, v1
	v_and_b32_e32 v44, v44, v45
	v_and_b32_e32 v45, v5, v1
	v_lshlrev_b32_e32 v1, 24, v4
	v_cmp_gt_i64_e32 vcc, 0, v[0:1]
	v_not_b32_e32 v1, v1
	v_ashrrev_i32_e32 v1, 31, v1
	v_xor_b32_e32 v4, vcc_hi, v1
	v_xor_b32_e32 v1, vcc_lo, v1
	; wave barrier
	ds_read_b32 v42, v46 offset:64
	v_and_b32_e32 v5, v44, v4
	v_and_b32_e32 v4, v45, v1
	v_mbcnt_lo_u32_b32 v1, v4, 0
	v_mbcnt_hi_u32_b32 v44, v5, v1
	v_cmp_eq_u32_e32 vcc, 0, v44
	v_cmp_ne_u64_e64 s[0:1], 0, v[4:5]
	s_and_b64 s[2:3], s[0:1], vcc
	; wave barrier
	s_and_saveexec_b64 s[0:1], s[2:3]
	s_cbranch_execz .LBB1777_101
; %bb.100:
	v_bcnt_u32_b32 v1, v4, 0
	v_bcnt_u32_b32 v1, v5, v1
	s_waitcnt lgkmcnt(0)
	v_add_u32_e32 v1, v42, v1
	ds_write_b32 v46, v1 offset:64
.LBB1777_101:
	s_or_b64 exec, exec, s[0:1]
	s_waitcnt vmcnt(2)
	v_xor_b32_e32 v32, 0x80000000, v32
	v_lshrrev_b32_e32 v1, s16, v32
	v_and_b32_e32 v4, s17, v1
	v_lshl_add_u32 v1, v4, 4, v4
	v_add_lshl_u32 v49, v22, v1, 2
	v_and_b32_e32 v1, 1, v4
	v_add_co_u32_e32 v5, vcc, -1, v1
	v_addc_co_u32_e64 v47, s[0:1], 0, -1, vcc
	v_cmp_ne_u32_e32 vcc, 0, v1
	v_xor_b32_e32 v1, vcc_hi, v47
	v_and_b32_e32 v47, exec_hi, v1
	v_lshlrev_b32_e32 v1, 30, v4
	v_xor_b32_e32 v5, vcc_lo, v5
	v_cmp_gt_i64_e32 vcc, 0, v[0:1]
	v_not_b32_e32 v1, v1
	v_ashrrev_i32_e32 v1, 31, v1
	v_and_b32_e32 v5, exec_lo, v5
	v_xor_b32_e32 v48, vcc_hi, v1
	v_xor_b32_e32 v1, vcc_lo, v1
	v_and_b32_e32 v5, v5, v1
	v_lshlrev_b32_e32 v1, 29, v4
	v_cmp_gt_i64_e32 vcc, 0, v[0:1]
	v_not_b32_e32 v1, v1
	v_ashrrev_i32_e32 v1, 31, v1
	v_and_b32_e32 v47, v47, v48
	v_xor_b32_e32 v48, vcc_hi, v1
	v_xor_b32_e32 v1, vcc_lo, v1
	v_and_b32_e32 v5, v5, v1
	v_lshlrev_b32_e32 v1, 28, v4
	v_cmp_gt_i64_e32 vcc, 0, v[0:1]
	v_not_b32_e32 v1, v1
	v_ashrrev_i32_e32 v1, 31, v1
	v_and_b32_e32 v47, v47, v48
	;; [unrolled: 8-line block ×5, first 2 shown]
	v_xor_b32_e32 v48, vcc_hi, v1
	v_xor_b32_e32 v1, vcc_lo, v1
	v_and_b32_e32 v5, v5, v1
	v_lshlrev_b32_e32 v1, 24, v4
	v_cmp_gt_i64_e32 vcc, 0, v[0:1]
	v_not_b32_e32 v0, v1
	v_ashrrev_i32_e32 v0, 31, v0
	v_xor_b32_e32 v1, vcc_hi, v0
	v_xor_b32_e32 v0, vcc_lo, v0
	; wave barrier
	ds_read_b32 v45, v49 offset:64
	v_and_b32_e32 v47, v47, v48
	v_and_b32_e32 v0, v5, v0
	;; [unrolled: 1-line block ×3, first 2 shown]
	v_mbcnt_lo_u32_b32 v4, v0, 0
	v_mbcnt_hi_u32_b32 v47, v1, v4
	v_cmp_eq_u32_e32 vcc, 0, v47
	v_cmp_ne_u64_e64 s[0:1], 0, v[0:1]
	s_and_b64 s[2:3], s[0:1], vcc
	; wave barrier
	s_and_saveexec_b64 s[0:1], s[2:3]
	s_cbranch_execz .LBB1777_103
; %bb.102:
	v_bcnt_u32_b32 v0, v0, 0
	v_bcnt_u32_b32 v0, v1, v0
	s_waitcnt lgkmcnt(0)
	v_add_u32_e32 v0, v45, v0
	ds_write_b32 v49, v0 offset:64
.LBB1777_103:
	s_or_b64 exec, exec, s[0:1]
	s_waitcnt vmcnt(1)
	v_xor_b32_e32 v27, 0x80000000, v27
	v_lshrrev_b32_e32 v0, s16, v27
	v_and_b32_e32 v4, s17, v0
	v_and_b32_e32 v1, 1, v4
	v_add_co_u32_e32 v5, vcc, -1, v1
	v_addc_co_u32_e64 v50, s[0:1], 0, -1, vcc
	v_cmp_ne_u32_e32 vcc, 0, v1
	v_lshl_add_u32 v0, v4, 4, v4
	v_xor_b32_e32 v1, vcc_hi, v50
	v_add_lshl_u32 v52, v22, v0, 2
	v_mov_b32_e32 v0, 0
	v_and_b32_e32 v50, exec_hi, v1
	v_lshlrev_b32_e32 v1, 30, v4
	v_xor_b32_e32 v5, vcc_lo, v5
	v_cmp_gt_i64_e32 vcc, 0, v[0:1]
	v_not_b32_e32 v1, v1
	v_ashrrev_i32_e32 v1, 31, v1
	v_and_b32_e32 v5, exec_lo, v5
	v_xor_b32_e32 v51, vcc_hi, v1
	v_xor_b32_e32 v1, vcc_lo, v1
	v_and_b32_e32 v5, v5, v1
	v_lshlrev_b32_e32 v1, 29, v4
	v_cmp_gt_i64_e32 vcc, 0, v[0:1]
	v_not_b32_e32 v1, v1
	v_ashrrev_i32_e32 v1, 31, v1
	v_and_b32_e32 v50, v50, v51
	v_xor_b32_e32 v51, vcc_hi, v1
	v_xor_b32_e32 v1, vcc_lo, v1
	v_and_b32_e32 v5, v5, v1
	v_lshlrev_b32_e32 v1, 28, v4
	v_cmp_gt_i64_e32 vcc, 0, v[0:1]
	v_not_b32_e32 v1, v1
	v_ashrrev_i32_e32 v1, 31, v1
	v_and_b32_e32 v50, v50, v51
	;; [unrolled: 8-line block ×5, first 2 shown]
	v_xor_b32_e32 v51, vcc_hi, v1
	v_xor_b32_e32 v1, vcc_lo, v1
	v_and_b32_e32 v50, v50, v51
	v_and_b32_e32 v51, v5, v1
	v_lshlrev_b32_e32 v1, 24, v4
	v_cmp_gt_i64_e32 vcc, 0, v[0:1]
	v_not_b32_e32 v1, v1
	v_ashrrev_i32_e32 v1, 31, v1
	v_xor_b32_e32 v4, vcc_hi, v1
	v_xor_b32_e32 v1, vcc_lo, v1
	; wave barrier
	ds_read_b32 v48, v52 offset:64
	v_and_b32_e32 v5, v50, v4
	v_and_b32_e32 v4, v51, v1
	v_mbcnt_lo_u32_b32 v1, v4, 0
	v_mbcnt_hi_u32_b32 v50, v5, v1
	v_cmp_eq_u32_e32 vcc, 0, v50
	v_cmp_ne_u64_e64 s[0:1], 0, v[4:5]
	s_and_b64 s[2:3], s[0:1], vcc
	; wave barrier
	s_and_saveexec_b64 s[0:1], s[2:3]
	s_cbranch_execz .LBB1777_105
; %bb.104:
	v_bcnt_u32_b32 v1, v4, 0
	v_bcnt_u32_b32 v1, v5, v1
	s_waitcnt lgkmcnt(0)
	v_add_u32_e32 v1, v48, v1
	ds_write_b32 v52, v1 offset:64
.LBB1777_105:
	s_or_b64 exec, exec, s[0:1]
	s_waitcnt vmcnt(0)
	v_xor_b32_e32 v21, 0x80000000, v21
	v_lshrrev_b32_e32 v1, s16, v21
	v_and_b32_e32 v4, s17, v1
	v_lshl_add_u32 v1, v4, 4, v4
	v_add_lshl_u32 v54, v22, v1, 2
	v_and_b32_e32 v1, 1, v4
	v_add_co_u32_e32 v5, vcc, -1, v1
	v_addc_co_u32_e64 v22, s[0:1], 0, -1, vcc
	v_cmp_ne_u32_e32 vcc, 0, v1
	v_xor_b32_e32 v1, vcc_hi, v22
	v_and_b32_e32 v22, exec_hi, v1
	v_lshlrev_b32_e32 v1, 30, v4
	v_xor_b32_e32 v5, vcc_lo, v5
	v_cmp_gt_i64_e32 vcc, 0, v[0:1]
	v_not_b32_e32 v1, v1
	v_ashrrev_i32_e32 v1, 31, v1
	v_and_b32_e32 v5, exec_lo, v5
	v_xor_b32_e32 v53, vcc_hi, v1
	v_xor_b32_e32 v1, vcc_lo, v1
	v_and_b32_e32 v5, v5, v1
	v_lshlrev_b32_e32 v1, 29, v4
	v_cmp_gt_i64_e32 vcc, 0, v[0:1]
	v_not_b32_e32 v1, v1
	v_ashrrev_i32_e32 v1, 31, v1
	v_and_b32_e32 v22, v22, v53
	v_xor_b32_e32 v53, vcc_hi, v1
	v_xor_b32_e32 v1, vcc_lo, v1
	v_and_b32_e32 v5, v5, v1
	v_lshlrev_b32_e32 v1, 28, v4
	v_cmp_gt_i64_e32 vcc, 0, v[0:1]
	v_not_b32_e32 v1, v1
	v_ashrrev_i32_e32 v1, 31, v1
	v_and_b32_e32 v22, v22, v53
	v_xor_b32_e32 v53, vcc_hi, v1
	v_xor_b32_e32 v1, vcc_lo, v1
	v_and_b32_e32 v5, v5, v1
	v_lshlrev_b32_e32 v1, 27, v4
	v_cmp_gt_i64_e32 vcc, 0, v[0:1]
	v_not_b32_e32 v1, v1
	v_ashrrev_i32_e32 v1, 31, v1
	v_and_b32_e32 v22, v22, v53
	v_xor_b32_e32 v53, vcc_hi, v1
	v_xor_b32_e32 v1, vcc_lo, v1
	v_and_b32_e32 v5, v5, v1
	v_lshlrev_b32_e32 v1, 26, v4
	v_cmp_gt_i64_e32 vcc, 0, v[0:1]
	v_not_b32_e32 v1, v1
	v_ashrrev_i32_e32 v1, 31, v1
	v_and_b32_e32 v22, v22, v53
	v_xor_b32_e32 v53, vcc_hi, v1
	v_xor_b32_e32 v1, vcc_lo, v1
	v_and_b32_e32 v5, v5, v1
	v_lshlrev_b32_e32 v1, 25, v4
	v_cmp_gt_i64_e32 vcc, 0, v[0:1]
	v_not_b32_e32 v1, v1
	v_ashrrev_i32_e32 v1, 31, v1
	v_and_b32_e32 v22, v22, v53
	v_xor_b32_e32 v53, vcc_hi, v1
	v_xor_b32_e32 v1, vcc_lo, v1
	v_and_b32_e32 v5, v5, v1
	v_lshlrev_b32_e32 v1, 24, v4
	v_cmp_gt_i64_e32 vcc, 0, v[0:1]
	v_not_b32_e32 v0, v1
	v_ashrrev_i32_e32 v0, 31, v0
	v_xor_b32_e32 v1, vcc_hi, v0
	v_xor_b32_e32 v0, vcc_lo, v0
	; wave barrier
	ds_read_b32 v51, v54 offset:64
	v_and_b32_e32 v22, v22, v53
	v_and_b32_e32 v0, v5, v0
	v_and_b32_e32 v1, v22, v1
	v_mbcnt_lo_u32_b32 v4, v0, 0
	v_mbcnt_hi_u32_b32 v53, v1, v4
	v_cmp_eq_u32_e32 vcc, 0, v53
	v_cmp_ne_u64_e64 s[0:1], 0, v[0:1]
	v_add_u32_e32 v55, 64, v7
	s_and_b64 s[2:3], s[0:1], vcc
	; wave barrier
	s_and_saveexec_b64 s[0:1], s[2:3]
	s_cbranch_execz .LBB1777_107
; %bb.106:
	v_bcnt_u32_b32 v0, v0, 0
	v_bcnt_u32_b32 v0, v1, v0
	s_waitcnt lgkmcnt(0)
	v_add_u32_e32 v0, v51, v0
	ds_write_b32 v54, v0 offset:64
.LBB1777_107:
	s_or_b64 exec, exec, s[0:1]
	; wave barrier
	s_waitcnt lgkmcnt(0)
	s_barrier
	ds_read2_b32 v[4:5], v7 offset0:16 offset1:17
	ds_read2_b32 v[0:1], v55 offset0:2 offset1:3
	ds_read_b32 v22, v55 offset:16
	v_cmp_lt_u32_e64 s[8:9], 31, v6
	s_waitcnt lgkmcnt(1)
	v_add3_u32 v56, v5, v4, v0
	s_waitcnt lgkmcnt(0)
	v_add3_u32 v22, v56, v1, v22
	v_and_b32_e32 v56, 15, v6
	v_cmp_eq_u32_e32 vcc, 0, v56
	v_mov_b32_dpp v57, v22 row_shr:1 row_mask:0xf bank_mask:0xf
	v_cndmask_b32_e64 v57, v57, 0, vcc
	v_add_u32_e32 v22, v57, v22
	v_cmp_lt_u32_e64 s[0:1], 1, v56
	v_cmp_lt_u32_e64 s[2:3], 3, v56
	v_mov_b32_dpp v57, v22 row_shr:2 row_mask:0xf bank_mask:0xf
	v_cndmask_b32_e64 v57, 0, v57, s[0:1]
	v_add_u32_e32 v22, v22, v57
	v_cmp_lt_u32_e64 s[4:5], 7, v56
	s_nop 0
	v_mov_b32_dpp v57, v22 row_shr:4 row_mask:0xf bank_mask:0xf
	v_cndmask_b32_e64 v57, 0, v57, s[2:3]
	v_add_u32_e32 v22, v22, v57
	s_nop 1
	v_mov_b32_dpp v57, v22 row_shr:8 row_mask:0xf bank_mask:0xf
	v_cndmask_b32_e64 v56, 0, v57, s[4:5]
	v_add_u32_e32 v22, v22, v56
	v_bfe_i32 v57, v6, 4, 1
	s_nop 0
	v_mov_b32_dpp v56, v22 row_bcast:15 row_mask:0xf bank_mask:0xf
	v_and_b32_e32 v56, v57, v56
	v_add_u32_e32 v22, v22, v56
	v_lshrrev_b32_e32 v57, 6, v2
	s_nop 0
	v_mov_b32_dpp v56, v22 row_bcast:31 row_mask:0xf bank_mask:0xf
	v_cndmask_b32_e64 v56, 0, v56, s[8:9]
	v_add_u32_e32 v56, v22, v56
	v_and_b32_e32 v22, 63, v2
	v_cmp_eq_u32_e64 s[8:9], 63, v22
	s_and_saveexec_b64 s[18:19], s[8:9]
	s_cbranch_execz .LBB1777_109
; %bb.108:
	v_lshlrev_b32_e32 v22, 2, v57
	ds_write_b32 v22, v56
.LBB1777_109:
	s_or_b64 exec, exec, s[18:19]
	v_cmp_gt_u32_e64 s[8:9], 16, v2
	v_lshlrev_b32_e32 v22, 2, v2
	s_waitcnt lgkmcnt(0)
	s_barrier
	s_and_saveexec_b64 s[18:19], s[8:9]
	s_cbranch_execz .LBB1777_111
; %bb.110:
	ds_read_b32 v58, v22
	s_waitcnt lgkmcnt(0)
	s_nop 0
	v_mov_b32_dpp v59, v58 row_shr:1 row_mask:0xf bank_mask:0xf
	v_cndmask_b32_e64 v59, v59, 0, vcc
	v_add_u32_e32 v58, v59, v58
	s_nop 1
	v_mov_b32_dpp v59, v58 row_shr:2 row_mask:0xf bank_mask:0xf
	v_cndmask_b32_e64 v59, 0, v59, s[0:1]
	v_add_u32_e32 v58, v58, v59
	s_nop 1
	v_mov_b32_dpp v59, v58 row_shr:4 row_mask:0xf bank_mask:0xf
	v_cndmask_b32_e64 v59, 0, v59, s[2:3]
	;; [unrolled: 4-line block ×3, first 2 shown]
	v_add_u32_e32 v58, v58, v59
	ds_write_b32 v22, v58
.LBB1777_111:
	s_or_b64 exec, exec, s[18:19]
	v_cmp_lt_u32_e32 vcc, 63, v2
	v_mov_b32_e32 v58, 0
	s_waitcnt lgkmcnt(0)
	s_barrier
	s_and_saveexec_b64 s[0:1], vcc
	s_cbranch_execz .LBB1777_113
; %bb.112:
	v_lshl_add_u32 v57, v57, 2, -4
	ds_read_b32 v58, v57
.LBB1777_113:
	s_or_b64 exec, exec, s[0:1]
	v_add_u32_e32 v57, -1, v6
	v_and_b32_e32 v59, 64, v6
	v_cmp_lt_i32_e32 vcc, v57, v59
	v_cndmask_b32_e32 v57, v57, v6, vcc
	s_waitcnt lgkmcnt(0)
	v_add_u32_e32 v56, v58, v56
	v_lshlrev_b32_e32 v57, 2, v57
	ds_bpermute_b32 v56, v57, v56
	v_cmp_eq_u32_e32 vcc, 0, v6
	s_movk_i32 s0, 0x100
	s_waitcnt lgkmcnt(0)
	v_cndmask_b32_e32 v6, v56, v58, vcc
	v_cmp_ne_u32_e32 vcc, 0, v2
	v_cndmask_b32_e32 v6, 0, v6, vcc
	v_add_u32_e32 v4, v6, v4
	v_add_u32_e32 v5, v4, v5
	;; [unrolled: 1-line block ×4, first 2 shown]
	ds_write2_b32 v7, v6, v4 offset0:16 offset1:17
	ds_write2_b32 v55, v5, v0 offset0:2 offset1:3
	ds_write_b32 v55, v1 offset:16
	s_waitcnt lgkmcnt(0)
	s_barrier
	ds_read_b32 v59, v13 offset:64
	ds_read_b32 v55, v17 offset:64
	;; [unrolled: 1-line block ×12, first 2 shown]
	v_cmp_gt_u32_e32 vcc, s0, v2
                                        ; implicit-def: $vgpr13
                                        ; implicit-def: $vgpr17
	s_and_saveexec_b64 s[2:3], vcc
	s_cbranch_execz .LBB1777_117
; %bb.114:
	v_mul_u32_u24_e32 v0, 17, v2
	v_lshlrev_b32_e32 v1, 2, v0
	ds_read_b32 v13, v1 offset:64
	s_movk_i32 s0, 0xff
	v_cmp_ne_u32_e64 s[0:1], s0, v2
	v_mov_b32_e32 v0, 0x3000
	s_and_saveexec_b64 s[4:5], s[0:1]
	s_cbranch_execz .LBB1777_116
; %bb.115:
	ds_read_b32 v0, v1 offset:132
.LBB1777_116:
	s_or_b64 exec, exec, s[4:5]
	s_waitcnt lgkmcnt(0)
	v_sub_u32_e32 v17, v0, v13
.LBB1777_117:
	s_or_b64 exec, exec, s[2:3]
	s_waitcnt lgkmcnt(0)
	s_barrier
	s_and_saveexec_b64 s[2:3], vcc
	s_cbranch_execz .LBB1777_127
; %bb.118:
	v_lshl_or_b32 v0, s6, 8, v2
	v_mov_b32_e32 v1, 0
	v_lshlrev_b64 v[4:5], 2, v[0:1]
	v_mov_b32_e32 v49, s25
	v_add_co_u32_e64 v4, s[0:1], s24, v4
	v_addc_co_u32_e64 v5, s[0:1], v49, v5, s[0:1]
	v_or_b32_e32 v0, 2.0, v17
	s_mov_b64 s[4:5], 0
	s_brev_b32 s20, 1
	s_mov_b32 s21, s6
	v_mov_b32_e32 v52, 0
	global_store_dword v[4:5], v0, off
                                        ; implicit-def: $sgpr0_sgpr1
	s_branch .LBB1777_121
.LBB1777_119:                           ;   in Loop: Header=BB1777_121 Depth=1
	s_or_b64 exec, exec, s[18:19]
.LBB1777_120:                           ;   in Loop: Header=BB1777_121 Depth=1
	s_or_b64 exec, exec, s[8:9]
	v_and_b32_e32 v6, 0x3fffffff, v54
	v_add_u32_e32 v52, v6, v52
	v_cmp_eq_u32_e64 s[0:1], s20, v0
	s_and_b64 s[8:9], exec, s[0:1]
	s_or_b64 s[4:5], s[8:9], s[4:5]
	s_andn2_b64 exec, exec, s[4:5]
	s_cbranch_execz .LBB1777_126
.LBB1777_121:                           ; =>This Loop Header: Depth=1
                                        ;     Child Loop BB1777_124 Depth 2
	s_or_b64 s[0:1], s[0:1], exec
	s_cmp_eq_u32 s21, 0
	s_cbranch_scc1 .LBB1777_125
; %bb.122:                              ;   in Loop: Header=BB1777_121 Depth=1
	s_add_i32 s21, s21, -1
	v_lshl_or_b32 v0, s21, 8, v2
	v_lshlrev_b64 v[6:7], 2, v[0:1]
	v_add_co_u32_e64 v6, s[0:1], s24, v6
	v_addc_co_u32_e64 v7, s[0:1], v49, v7, s[0:1]
	global_load_dword v54, v[6:7], off glc
	s_waitcnt vmcnt(0)
	v_and_b32_e32 v0, -2.0, v54
	v_cmp_eq_u32_e64 s[0:1], 0, v0
	s_and_saveexec_b64 s[8:9], s[0:1]
	s_cbranch_execz .LBB1777_120
; %bb.123:                              ;   in Loop: Header=BB1777_121 Depth=1
	s_mov_b64 s[18:19], 0
.LBB1777_124:                           ;   Parent Loop BB1777_121 Depth=1
                                        ; =>  This Inner Loop Header: Depth=2
	global_load_dword v54, v[6:7], off glc
	s_waitcnt vmcnt(0)
	v_and_b32_e32 v0, -2.0, v54
	v_cmp_ne_u32_e64 s[0:1], 0, v0
	s_or_b64 s[18:19], s[0:1], s[18:19]
	s_andn2_b64 exec, exec, s[18:19]
	s_cbranch_execnz .LBB1777_124
	s_branch .LBB1777_119
.LBB1777_125:                           ;   in Loop: Header=BB1777_121 Depth=1
                                        ; implicit-def: $sgpr21
	s_and_b64 s[8:9], exec, s[0:1]
	s_or_b64 s[4:5], s[8:9], s[4:5]
	s_andn2_b64 exec, exec, s[4:5]
	s_cbranch_execnz .LBB1777_121
.LBB1777_126:
	s_or_b64 exec, exec, s[4:5]
	v_add_u32_e32 v0, v52, v17
	v_or_b32_e32 v0, 0x80000000, v0
	global_store_dword v[4:5], v0, off
	global_load_dword v0, v22, s[12:13]
	v_sub_u32_e32 v1, v52, v13
	s_waitcnt vmcnt(0)
	v_add_u32_e32 v0, v1, v0
	ds_write_b32 v22, v0
.LBB1777_127:
	s_or_b64 exec, exec, s[2:3]
	v_add_u32_e32 v4, v59, v10
	s_movk_i32 s2, 0x400
	v_add_u32_e32 v5, 0x400, v22
	v_add3_u32 v6, v53, v46, v51
	v_add3_u32 v7, v50, v43, v48
	v_add3_u32 v10, v47, v40, v45
	v_add3_u32 v23, v44, v23, v42
	v_add3_u32 v28, v41, v28, v39
	v_add3_u32 v33, v38, v33, v36
	v_add3_u32 v31, v34, v37, v31
	v_add3_u32 v26, v29, v58, v26
	v_add3_u32 v20, v24, v57, v20
	v_add3_u32 v16, v18, v56, v16
	v_add3_u32 v12, v14, v55, v12
	s_mov_b32 s3, 0
	v_mov_b32_e32 v14, s23
	s_movk_i32 s4, 0x800
	s_movk_i32 s5, 0xc00
	v_mov_b32_e32 v1, 0
	v_mov_b32_e32 v18, v2
.LBB1777_128:                           ; =>This Inner Loop Header: Depth=1
	v_add_u32_e32 v0, s3, v4
	v_add_u32_e32 v36, s3, v26
	;; [unrolled: 1-line block ×12, first 2 shown]
	v_min_u32_e32 v0, 0x1000, v0
	v_min_u32_e32 v36, 0x1000, v36
	;; [unrolled: 1-line block ×12, first 2 shown]
	v_lshlrev_b32_e32 v0, 2, v0
	v_lshlrev_b32_e32 v36, 2, v36
	;; [unrolled: 1-line block ×12, first 2 shown]
	ds_write_b32 v0, v3 offset:1024
	ds_write_b32 v24, v8 offset:1024
	;; [unrolled: 1-line block ×12, first 2 shown]
	s_waitcnt lgkmcnt(0)
	s_barrier
	ds_read_b32 v0, v22 offset:1024
	ds_read2st64_b32 v[36:37], v5 offset0:16 offset1:32
	s_addk_i32 s3, 0xf000
	s_cmpk_lg_i32 s3, 0xd000
	s_waitcnt lgkmcnt(1)
	v_lshrrev_b32_e32 v24, s16, v0
	v_xor_b32_e32 v29, 0x80000000, v0
	s_waitcnt lgkmcnt(0)
	v_lshrrev_b32_e32 v0, s16, v36
	v_xor_b32_e32 v34, 0x80000000, v36
	v_lshrrev_b32_e32 v36, s16, v37
	v_and_b32_e32 v24, s17, v24
	v_and_b32_e32 v0, s17, v0
	;; [unrolled: 1-line block ×3, first 2 shown]
	v_lshlrev_b32_e32 v24, 2, v24
	v_lshlrev_b32_e32 v0, 2, v0
	;; [unrolled: 1-line block ×3, first 2 shown]
	ds_read_b32 v38, v0
	ds_read_b32 v41, v36
	ds_read_b32 v0, v24
	ds_read_b32 v24, v5 offset:12288
	v_xor_b32_e32 v40, 0x80000000, v37
	s_waitcnt lgkmcnt(1)
	v_add_u32_e32 v0, v18, v0
	v_lshlrev_b64 v[36:37], 2, v[0:1]
	s_waitcnt lgkmcnt(0)
	v_lshrrev_b32_e32 v39, s16, v24
	v_add3_u32 v0, v18, v38, s2
	v_add_co_u32_e64 v36, s[0:1], s22, v36
	v_and_b32_e32 v42, s17, v39
	v_addc_co_u32_e64 v37, s[0:1], v14, v37, s[0:1]
	v_lshlrev_b64 v[38:39], 2, v[0:1]
	v_add3_u32 v0, v18, v41, s4
	v_lshlrev_b32_e32 v41, 2, v42
	global_store_dword v[36:37], v29, off
	v_add_co_u32_e64 v36, s[0:1], s22, v38
	v_addc_co_u32_e64 v37, s[0:1], v14, v39, s[0:1]
	v_lshlrev_b64 v[38:39], 2, v[0:1]
	ds_read_b32 v0, v41
	global_store_dword v[36:37], v34, off
	v_add_co_u32_e64 v36, s[0:1], s22, v38
	v_addc_co_u32_e64 v37, s[0:1], v14, v39, s[0:1]
	s_waitcnt lgkmcnt(0)
	v_add3_u32 v0, v18, v0, s5
	global_store_dword v[36:37], v40, off
	v_lshlrev_b64 v[36:37], 2, v[0:1]
	v_add_co_u32_e64 v36, s[0:1], s22, v36
	v_xor_b32_e32 v24, 0x80000000, v24
	v_add_u32_e32 v18, 0x1000, v18
	v_addc_co_u32_e64 v37, s[0:1], v14, v37, s[0:1]
	global_store_dword v[36:37], v24, off
	s_barrier
	s_cbranch_scc1 .LBB1777_128
; %bb.129:
	s_add_i32 s7, s7, -1
	s_cmp_eq_u32 s7, s6
	s_cselect_b64 s[0:1], -1, 0
	s_and_b64 s[2:3], vcc, s[0:1]
                                        ; implicit-def: $vgpr4
	s_and_saveexec_b64 s[0:1], s[2:3]
; %bb.130:
	v_add_u32_e32 v4, v13, v17
	s_or_b64 s[10:11], s[10:11], exec
; %bb.131:
	s_or_b64 exec, exec, s[0:1]
.LBB1777_132:
	s_and_saveexec_b64 s[0:1], s[10:11]
	s_cbranch_execnz .LBB1777_134
; %bb.133:
	s_endpgm
.LBB1777_134:
	v_mov_b32_e32 v3, 0
	v_lshlrev_b32_e32 v5, 2, v2
	v_lshlrev_b64 v[0:1], 2, v[2:3]
	ds_read_b32 v3, v5
	v_mov_b32_e32 v2, s15
	v_add_co_u32_e32 v0, vcc, s14, v0
	v_addc_co_u32_e32 v1, vcc, v2, v1, vcc
	s_waitcnt lgkmcnt(0)
	v_add_u32_e32 v2, v3, v4
	global_store_dword v[0:1], v2, off
	s_endpgm
	.section	.rodata,"a",@progbits
	.p2align	6, 0x0
	.amdhsa_kernel _ZN7rocprim17ROCPRIM_400000_NS6detail17trampoline_kernelINS0_14default_configENS1_35radix_sort_onesweep_config_selectorIiNS0_10empty_typeEEEZZNS1_29radix_sort_onesweep_iterationIS3_Lb0EN6thrust23THRUST_200600_302600_NS6detail15normal_iteratorINS9_10device_ptrIiEEEESE_PS5_SF_jNS0_19identity_decomposerENS1_16block_id_wrapperIjLb0EEEEE10hipError_tT1_PNSt15iterator_traitsISK_E10value_typeET2_T3_PNSL_ISQ_E10value_typeET4_T5_PSV_SW_PNS1_23onesweep_lookback_stateEbbT6_jjT7_P12ihipStream_tbENKUlT_T0_SK_SP_E_clISE_SE_SF_SF_EEDaS13_S14_SK_SP_EUlS13_E_NS1_11comp_targetILNS1_3genE4ELNS1_11target_archE910ELNS1_3gpuE8ELNS1_3repE0EEENS1_47radix_sort_onesweep_sort_config_static_selectorELNS0_4arch9wavefront6targetE1EEEvSK_
		.amdhsa_group_segment_fixed_size 20552
		.amdhsa_private_segment_fixed_size 0
		.amdhsa_kernarg_size 344
		.amdhsa_user_sgpr_count 6
		.amdhsa_user_sgpr_private_segment_buffer 1
		.amdhsa_user_sgpr_dispatch_ptr 0
		.amdhsa_user_sgpr_queue_ptr 0
		.amdhsa_user_sgpr_kernarg_segment_ptr 1
		.amdhsa_user_sgpr_dispatch_id 0
		.amdhsa_user_sgpr_flat_scratch_init 0
		.amdhsa_user_sgpr_kernarg_preload_length 0
		.amdhsa_user_sgpr_kernarg_preload_offset 0
		.amdhsa_user_sgpr_private_segment_size 0
		.amdhsa_uses_dynamic_stack 0
		.amdhsa_system_sgpr_private_segment_wavefront_offset 0
		.amdhsa_system_sgpr_workgroup_id_x 1
		.amdhsa_system_sgpr_workgroup_id_y 0
		.amdhsa_system_sgpr_workgroup_id_z 0
		.amdhsa_system_sgpr_workgroup_info 0
		.amdhsa_system_vgpr_workitem_id 2
		.amdhsa_next_free_vgpr 62
		.amdhsa_next_free_sgpr 31
		.amdhsa_accum_offset 64
		.amdhsa_reserve_vcc 1
		.amdhsa_reserve_flat_scratch 0
		.amdhsa_float_round_mode_32 0
		.amdhsa_float_round_mode_16_64 0
		.amdhsa_float_denorm_mode_32 3
		.amdhsa_float_denorm_mode_16_64 3
		.amdhsa_dx10_clamp 1
		.amdhsa_ieee_mode 1
		.amdhsa_fp16_overflow 0
		.amdhsa_tg_split 0
		.amdhsa_exception_fp_ieee_invalid_op 0
		.amdhsa_exception_fp_denorm_src 0
		.amdhsa_exception_fp_ieee_div_zero 0
		.amdhsa_exception_fp_ieee_overflow 0
		.amdhsa_exception_fp_ieee_underflow 0
		.amdhsa_exception_fp_ieee_inexact 0
		.amdhsa_exception_int_div_zero 0
	.end_amdhsa_kernel
	.section	.text._ZN7rocprim17ROCPRIM_400000_NS6detail17trampoline_kernelINS0_14default_configENS1_35radix_sort_onesweep_config_selectorIiNS0_10empty_typeEEEZZNS1_29radix_sort_onesweep_iterationIS3_Lb0EN6thrust23THRUST_200600_302600_NS6detail15normal_iteratorINS9_10device_ptrIiEEEESE_PS5_SF_jNS0_19identity_decomposerENS1_16block_id_wrapperIjLb0EEEEE10hipError_tT1_PNSt15iterator_traitsISK_E10value_typeET2_T3_PNSL_ISQ_E10value_typeET4_T5_PSV_SW_PNS1_23onesweep_lookback_stateEbbT6_jjT7_P12ihipStream_tbENKUlT_T0_SK_SP_E_clISE_SE_SF_SF_EEDaS13_S14_SK_SP_EUlS13_E_NS1_11comp_targetILNS1_3genE4ELNS1_11target_archE910ELNS1_3gpuE8ELNS1_3repE0EEENS1_47radix_sort_onesweep_sort_config_static_selectorELNS0_4arch9wavefront6targetE1EEEvSK_,"axG",@progbits,_ZN7rocprim17ROCPRIM_400000_NS6detail17trampoline_kernelINS0_14default_configENS1_35radix_sort_onesweep_config_selectorIiNS0_10empty_typeEEEZZNS1_29radix_sort_onesweep_iterationIS3_Lb0EN6thrust23THRUST_200600_302600_NS6detail15normal_iteratorINS9_10device_ptrIiEEEESE_PS5_SF_jNS0_19identity_decomposerENS1_16block_id_wrapperIjLb0EEEEE10hipError_tT1_PNSt15iterator_traitsISK_E10value_typeET2_T3_PNSL_ISQ_E10value_typeET4_T5_PSV_SW_PNS1_23onesweep_lookback_stateEbbT6_jjT7_P12ihipStream_tbENKUlT_T0_SK_SP_E_clISE_SE_SF_SF_EEDaS13_S14_SK_SP_EUlS13_E_NS1_11comp_targetILNS1_3genE4ELNS1_11target_archE910ELNS1_3gpuE8ELNS1_3repE0EEENS1_47radix_sort_onesweep_sort_config_static_selectorELNS0_4arch9wavefront6targetE1EEEvSK_,comdat
.Lfunc_end1777:
	.size	_ZN7rocprim17ROCPRIM_400000_NS6detail17trampoline_kernelINS0_14default_configENS1_35radix_sort_onesweep_config_selectorIiNS0_10empty_typeEEEZZNS1_29radix_sort_onesweep_iterationIS3_Lb0EN6thrust23THRUST_200600_302600_NS6detail15normal_iteratorINS9_10device_ptrIiEEEESE_PS5_SF_jNS0_19identity_decomposerENS1_16block_id_wrapperIjLb0EEEEE10hipError_tT1_PNSt15iterator_traitsISK_E10value_typeET2_T3_PNSL_ISQ_E10value_typeET4_T5_PSV_SW_PNS1_23onesweep_lookback_stateEbbT6_jjT7_P12ihipStream_tbENKUlT_T0_SK_SP_E_clISE_SE_SF_SF_EEDaS13_S14_SK_SP_EUlS13_E_NS1_11comp_targetILNS1_3genE4ELNS1_11target_archE910ELNS1_3gpuE8ELNS1_3repE0EEENS1_47radix_sort_onesweep_sort_config_static_selectorELNS0_4arch9wavefront6targetE1EEEvSK_, .Lfunc_end1777-_ZN7rocprim17ROCPRIM_400000_NS6detail17trampoline_kernelINS0_14default_configENS1_35radix_sort_onesweep_config_selectorIiNS0_10empty_typeEEEZZNS1_29radix_sort_onesweep_iterationIS3_Lb0EN6thrust23THRUST_200600_302600_NS6detail15normal_iteratorINS9_10device_ptrIiEEEESE_PS5_SF_jNS0_19identity_decomposerENS1_16block_id_wrapperIjLb0EEEEE10hipError_tT1_PNSt15iterator_traitsISK_E10value_typeET2_T3_PNSL_ISQ_E10value_typeET4_T5_PSV_SW_PNS1_23onesweep_lookback_stateEbbT6_jjT7_P12ihipStream_tbENKUlT_T0_SK_SP_E_clISE_SE_SF_SF_EEDaS13_S14_SK_SP_EUlS13_E_NS1_11comp_targetILNS1_3genE4ELNS1_11target_archE910ELNS1_3gpuE8ELNS1_3repE0EEENS1_47radix_sort_onesweep_sort_config_static_selectorELNS0_4arch9wavefront6targetE1EEEvSK_
                                        ; -- End function
	.section	.AMDGPU.csdata,"",@progbits
; Kernel info:
; codeLenInByte = 14172
; NumSgprs: 35
; NumVgprs: 62
; NumAgprs: 0
; TotalNumVgprs: 62
; ScratchSize: 0
; MemoryBound: 0
; FloatMode: 240
; IeeeMode: 1
; LDSByteSize: 20552 bytes/workgroup (compile time only)
; SGPRBlocks: 4
; VGPRBlocks: 7
; NumSGPRsForWavesPerEU: 35
; NumVGPRsForWavesPerEU: 62
; AccumOffset: 64
; Occupancy: 8
; WaveLimiterHint : 1
; COMPUTE_PGM_RSRC2:SCRATCH_EN: 0
; COMPUTE_PGM_RSRC2:USER_SGPR: 6
; COMPUTE_PGM_RSRC2:TRAP_HANDLER: 0
; COMPUTE_PGM_RSRC2:TGID_X_EN: 1
; COMPUTE_PGM_RSRC2:TGID_Y_EN: 0
; COMPUTE_PGM_RSRC2:TGID_Z_EN: 0
; COMPUTE_PGM_RSRC2:TIDIG_COMP_CNT: 2
; COMPUTE_PGM_RSRC3_GFX90A:ACCUM_OFFSET: 15
; COMPUTE_PGM_RSRC3_GFX90A:TG_SPLIT: 0
	.section	.text._ZN7rocprim17ROCPRIM_400000_NS6detail17trampoline_kernelINS0_14default_configENS1_35radix_sort_onesweep_config_selectorIiNS0_10empty_typeEEEZZNS1_29radix_sort_onesweep_iterationIS3_Lb0EN6thrust23THRUST_200600_302600_NS6detail15normal_iteratorINS9_10device_ptrIiEEEESE_PS5_SF_jNS0_19identity_decomposerENS1_16block_id_wrapperIjLb0EEEEE10hipError_tT1_PNSt15iterator_traitsISK_E10value_typeET2_T3_PNSL_ISQ_E10value_typeET4_T5_PSV_SW_PNS1_23onesweep_lookback_stateEbbT6_jjT7_P12ihipStream_tbENKUlT_T0_SK_SP_E_clISE_SE_SF_SF_EEDaS13_S14_SK_SP_EUlS13_E_NS1_11comp_targetILNS1_3genE3ELNS1_11target_archE908ELNS1_3gpuE7ELNS1_3repE0EEENS1_47radix_sort_onesweep_sort_config_static_selectorELNS0_4arch9wavefront6targetE1EEEvSK_,"axG",@progbits,_ZN7rocprim17ROCPRIM_400000_NS6detail17trampoline_kernelINS0_14default_configENS1_35radix_sort_onesweep_config_selectorIiNS0_10empty_typeEEEZZNS1_29radix_sort_onesweep_iterationIS3_Lb0EN6thrust23THRUST_200600_302600_NS6detail15normal_iteratorINS9_10device_ptrIiEEEESE_PS5_SF_jNS0_19identity_decomposerENS1_16block_id_wrapperIjLb0EEEEE10hipError_tT1_PNSt15iterator_traitsISK_E10value_typeET2_T3_PNSL_ISQ_E10value_typeET4_T5_PSV_SW_PNS1_23onesweep_lookback_stateEbbT6_jjT7_P12ihipStream_tbENKUlT_T0_SK_SP_E_clISE_SE_SF_SF_EEDaS13_S14_SK_SP_EUlS13_E_NS1_11comp_targetILNS1_3genE3ELNS1_11target_archE908ELNS1_3gpuE7ELNS1_3repE0EEENS1_47radix_sort_onesweep_sort_config_static_selectorELNS0_4arch9wavefront6targetE1EEEvSK_,comdat
	.protected	_ZN7rocprim17ROCPRIM_400000_NS6detail17trampoline_kernelINS0_14default_configENS1_35radix_sort_onesweep_config_selectorIiNS0_10empty_typeEEEZZNS1_29radix_sort_onesweep_iterationIS3_Lb0EN6thrust23THRUST_200600_302600_NS6detail15normal_iteratorINS9_10device_ptrIiEEEESE_PS5_SF_jNS0_19identity_decomposerENS1_16block_id_wrapperIjLb0EEEEE10hipError_tT1_PNSt15iterator_traitsISK_E10value_typeET2_T3_PNSL_ISQ_E10value_typeET4_T5_PSV_SW_PNS1_23onesweep_lookback_stateEbbT6_jjT7_P12ihipStream_tbENKUlT_T0_SK_SP_E_clISE_SE_SF_SF_EEDaS13_S14_SK_SP_EUlS13_E_NS1_11comp_targetILNS1_3genE3ELNS1_11target_archE908ELNS1_3gpuE7ELNS1_3repE0EEENS1_47radix_sort_onesweep_sort_config_static_selectorELNS0_4arch9wavefront6targetE1EEEvSK_ ; -- Begin function _ZN7rocprim17ROCPRIM_400000_NS6detail17trampoline_kernelINS0_14default_configENS1_35radix_sort_onesweep_config_selectorIiNS0_10empty_typeEEEZZNS1_29radix_sort_onesweep_iterationIS3_Lb0EN6thrust23THRUST_200600_302600_NS6detail15normal_iteratorINS9_10device_ptrIiEEEESE_PS5_SF_jNS0_19identity_decomposerENS1_16block_id_wrapperIjLb0EEEEE10hipError_tT1_PNSt15iterator_traitsISK_E10value_typeET2_T3_PNSL_ISQ_E10value_typeET4_T5_PSV_SW_PNS1_23onesweep_lookback_stateEbbT6_jjT7_P12ihipStream_tbENKUlT_T0_SK_SP_E_clISE_SE_SF_SF_EEDaS13_S14_SK_SP_EUlS13_E_NS1_11comp_targetILNS1_3genE3ELNS1_11target_archE908ELNS1_3gpuE7ELNS1_3repE0EEENS1_47radix_sort_onesweep_sort_config_static_selectorELNS0_4arch9wavefront6targetE1EEEvSK_
	.globl	_ZN7rocprim17ROCPRIM_400000_NS6detail17trampoline_kernelINS0_14default_configENS1_35radix_sort_onesweep_config_selectorIiNS0_10empty_typeEEEZZNS1_29radix_sort_onesweep_iterationIS3_Lb0EN6thrust23THRUST_200600_302600_NS6detail15normal_iteratorINS9_10device_ptrIiEEEESE_PS5_SF_jNS0_19identity_decomposerENS1_16block_id_wrapperIjLb0EEEEE10hipError_tT1_PNSt15iterator_traitsISK_E10value_typeET2_T3_PNSL_ISQ_E10value_typeET4_T5_PSV_SW_PNS1_23onesweep_lookback_stateEbbT6_jjT7_P12ihipStream_tbENKUlT_T0_SK_SP_E_clISE_SE_SF_SF_EEDaS13_S14_SK_SP_EUlS13_E_NS1_11comp_targetILNS1_3genE3ELNS1_11target_archE908ELNS1_3gpuE7ELNS1_3repE0EEENS1_47radix_sort_onesweep_sort_config_static_selectorELNS0_4arch9wavefront6targetE1EEEvSK_
	.p2align	8
	.type	_ZN7rocprim17ROCPRIM_400000_NS6detail17trampoline_kernelINS0_14default_configENS1_35radix_sort_onesweep_config_selectorIiNS0_10empty_typeEEEZZNS1_29radix_sort_onesweep_iterationIS3_Lb0EN6thrust23THRUST_200600_302600_NS6detail15normal_iteratorINS9_10device_ptrIiEEEESE_PS5_SF_jNS0_19identity_decomposerENS1_16block_id_wrapperIjLb0EEEEE10hipError_tT1_PNSt15iterator_traitsISK_E10value_typeET2_T3_PNSL_ISQ_E10value_typeET4_T5_PSV_SW_PNS1_23onesweep_lookback_stateEbbT6_jjT7_P12ihipStream_tbENKUlT_T0_SK_SP_E_clISE_SE_SF_SF_EEDaS13_S14_SK_SP_EUlS13_E_NS1_11comp_targetILNS1_3genE3ELNS1_11target_archE908ELNS1_3gpuE7ELNS1_3repE0EEENS1_47radix_sort_onesweep_sort_config_static_selectorELNS0_4arch9wavefront6targetE1EEEvSK_,@function
_ZN7rocprim17ROCPRIM_400000_NS6detail17trampoline_kernelINS0_14default_configENS1_35radix_sort_onesweep_config_selectorIiNS0_10empty_typeEEEZZNS1_29radix_sort_onesweep_iterationIS3_Lb0EN6thrust23THRUST_200600_302600_NS6detail15normal_iteratorINS9_10device_ptrIiEEEESE_PS5_SF_jNS0_19identity_decomposerENS1_16block_id_wrapperIjLb0EEEEE10hipError_tT1_PNSt15iterator_traitsISK_E10value_typeET2_T3_PNSL_ISQ_E10value_typeET4_T5_PSV_SW_PNS1_23onesweep_lookback_stateEbbT6_jjT7_P12ihipStream_tbENKUlT_T0_SK_SP_E_clISE_SE_SF_SF_EEDaS13_S14_SK_SP_EUlS13_E_NS1_11comp_targetILNS1_3genE3ELNS1_11target_archE908ELNS1_3gpuE7ELNS1_3repE0EEENS1_47radix_sort_onesweep_sort_config_static_selectorELNS0_4arch9wavefront6targetE1EEEvSK_: ; @_ZN7rocprim17ROCPRIM_400000_NS6detail17trampoline_kernelINS0_14default_configENS1_35radix_sort_onesweep_config_selectorIiNS0_10empty_typeEEEZZNS1_29radix_sort_onesweep_iterationIS3_Lb0EN6thrust23THRUST_200600_302600_NS6detail15normal_iteratorINS9_10device_ptrIiEEEESE_PS5_SF_jNS0_19identity_decomposerENS1_16block_id_wrapperIjLb0EEEEE10hipError_tT1_PNSt15iterator_traitsISK_E10value_typeET2_T3_PNSL_ISQ_E10value_typeET4_T5_PSV_SW_PNS1_23onesweep_lookback_stateEbbT6_jjT7_P12ihipStream_tbENKUlT_T0_SK_SP_E_clISE_SE_SF_SF_EEDaS13_S14_SK_SP_EUlS13_E_NS1_11comp_targetILNS1_3genE3ELNS1_11target_archE908ELNS1_3gpuE7ELNS1_3repE0EEENS1_47radix_sort_onesweep_sort_config_static_selectorELNS0_4arch9wavefront6targetE1EEEvSK_
; %bb.0:
	.section	.rodata,"a",@progbits
	.p2align	6, 0x0
	.amdhsa_kernel _ZN7rocprim17ROCPRIM_400000_NS6detail17trampoline_kernelINS0_14default_configENS1_35radix_sort_onesweep_config_selectorIiNS0_10empty_typeEEEZZNS1_29radix_sort_onesweep_iterationIS3_Lb0EN6thrust23THRUST_200600_302600_NS6detail15normal_iteratorINS9_10device_ptrIiEEEESE_PS5_SF_jNS0_19identity_decomposerENS1_16block_id_wrapperIjLb0EEEEE10hipError_tT1_PNSt15iterator_traitsISK_E10value_typeET2_T3_PNSL_ISQ_E10value_typeET4_T5_PSV_SW_PNS1_23onesweep_lookback_stateEbbT6_jjT7_P12ihipStream_tbENKUlT_T0_SK_SP_E_clISE_SE_SF_SF_EEDaS13_S14_SK_SP_EUlS13_E_NS1_11comp_targetILNS1_3genE3ELNS1_11target_archE908ELNS1_3gpuE7ELNS1_3repE0EEENS1_47radix_sort_onesweep_sort_config_static_selectorELNS0_4arch9wavefront6targetE1EEEvSK_
		.amdhsa_group_segment_fixed_size 0
		.amdhsa_private_segment_fixed_size 0
		.amdhsa_kernarg_size 88
		.amdhsa_user_sgpr_count 6
		.amdhsa_user_sgpr_private_segment_buffer 1
		.amdhsa_user_sgpr_dispatch_ptr 0
		.amdhsa_user_sgpr_queue_ptr 0
		.amdhsa_user_sgpr_kernarg_segment_ptr 1
		.amdhsa_user_sgpr_dispatch_id 0
		.amdhsa_user_sgpr_flat_scratch_init 0
		.amdhsa_user_sgpr_kernarg_preload_length 0
		.amdhsa_user_sgpr_kernarg_preload_offset 0
		.amdhsa_user_sgpr_private_segment_size 0
		.amdhsa_uses_dynamic_stack 0
		.amdhsa_system_sgpr_private_segment_wavefront_offset 0
		.amdhsa_system_sgpr_workgroup_id_x 1
		.amdhsa_system_sgpr_workgroup_id_y 0
		.amdhsa_system_sgpr_workgroup_id_z 0
		.amdhsa_system_sgpr_workgroup_info 0
		.amdhsa_system_vgpr_workitem_id 0
		.amdhsa_next_free_vgpr 1
		.amdhsa_next_free_sgpr 0
		.amdhsa_accum_offset 4
		.amdhsa_reserve_vcc 0
		.amdhsa_reserve_flat_scratch 0
		.amdhsa_float_round_mode_32 0
		.amdhsa_float_round_mode_16_64 0
		.amdhsa_float_denorm_mode_32 3
		.amdhsa_float_denorm_mode_16_64 3
		.amdhsa_dx10_clamp 1
		.amdhsa_ieee_mode 1
		.amdhsa_fp16_overflow 0
		.amdhsa_tg_split 0
		.amdhsa_exception_fp_ieee_invalid_op 0
		.amdhsa_exception_fp_denorm_src 0
		.amdhsa_exception_fp_ieee_div_zero 0
		.amdhsa_exception_fp_ieee_overflow 0
		.amdhsa_exception_fp_ieee_underflow 0
		.amdhsa_exception_fp_ieee_inexact 0
		.amdhsa_exception_int_div_zero 0
	.end_amdhsa_kernel
	.section	.text._ZN7rocprim17ROCPRIM_400000_NS6detail17trampoline_kernelINS0_14default_configENS1_35radix_sort_onesweep_config_selectorIiNS0_10empty_typeEEEZZNS1_29radix_sort_onesweep_iterationIS3_Lb0EN6thrust23THRUST_200600_302600_NS6detail15normal_iteratorINS9_10device_ptrIiEEEESE_PS5_SF_jNS0_19identity_decomposerENS1_16block_id_wrapperIjLb0EEEEE10hipError_tT1_PNSt15iterator_traitsISK_E10value_typeET2_T3_PNSL_ISQ_E10value_typeET4_T5_PSV_SW_PNS1_23onesweep_lookback_stateEbbT6_jjT7_P12ihipStream_tbENKUlT_T0_SK_SP_E_clISE_SE_SF_SF_EEDaS13_S14_SK_SP_EUlS13_E_NS1_11comp_targetILNS1_3genE3ELNS1_11target_archE908ELNS1_3gpuE7ELNS1_3repE0EEENS1_47radix_sort_onesweep_sort_config_static_selectorELNS0_4arch9wavefront6targetE1EEEvSK_,"axG",@progbits,_ZN7rocprim17ROCPRIM_400000_NS6detail17trampoline_kernelINS0_14default_configENS1_35radix_sort_onesweep_config_selectorIiNS0_10empty_typeEEEZZNS1_29radix_sort_onesweep_iterationIS3_Lb0EN6thrust23THRUST_200600_302600_NS6detail15normal_iteratorINS9_10device_ptrIiEEEESE_PS5_SF_jNS0_19identity_decomposerENS1_16block_id_wrapperIjLb0EEEEE10hipError_tT1_PNSt15iterator_traitsISK_E10value_typeET2_T3_PNSL_ISQ_E10value_typeET4_T5_PSV_SW_PNS1_23onesweep_lookback_stateEbbT6_jjT7_P12ihipStream_tbENKUlT_T0_SK_SP_E_clISE_SE_SF_SF_EEDaS13_S14_SK_SP_EUlS13_E_NS1_11comp_targetILNS1_3genE3ELNS1_11target_archE908ELNS1_3gpuE7ELNS1_3repE0EEENS1_47radix_sort_onesweep_sort_config_static_selectorELNS0_4arch9wavefront6targetE1EEEvSK_,comdat
.Lfunc_end1778:
	.size	_ZN7rocprim17ROCPRIM_400000_NS6detail17trampoline_kernelINS0_14default_configENS1_35radix_sort_onesweep_config_selectorIiNS0_10empty_typeEEEZZNS1_29radix_sort_onesweep_iterationIS3_Lb0EN6thrust23THRUST_200600_302600_NS6detail15normal_iteratorINS9_10device_ptrIiEEEESE_PS5_SF_jNS0_19identity_decomposerENS1_16block_id_wrapperIjLb0EEEEE10hipError_tT1_PNSt15iterator_traitsISK_E10value_typeET2_T3_PNSL_ISQ_E10value_typeET4_T5_PSV_SW_PNS1_23onesweep_lookback_stateEbbT6_jjT7_P12ihipStream_tbENKUlT_T0_SK_SP_E_clISE_SE_SF_SF_EEDaS13_S14_SK_SP_EUlS13_E_NS1_11comp_targetILNS1_3genE3ELNS1_11target_archE908ELNS1_3gpuE7ELNS1_3repE0EEENS1_47radix_sort_onesweep_sort_config_static_selectorELNS0_4arch9wavefront6targetE1EEEvSK_, .Lfunc_end1778-_ZN7rocprim17ROCPRIM_400000_NS6detail17trampoline_kernelINS0_14default_configENS1_35radix_sort_onesweep_config_selectorIiNS0_10empty_typeEEEZZNS1_29radix_sort_onesweep_iterationIS3_Lb0EN6thrust23THRUST_200600_302600_NS6detail15normal_iteratorINS9_10device_ptrIiEEEESE_PS5_SF_jNS0_19identity_decomposerENS1_16block_id_wrapperIjLb0EEEEE10hipError_tT1_PNSt15iterator_traitsISK_E10value_typeET2_T3_PNSL_ISQ_E10value_typeET4_T5_PSV_SW_PNS1_23onesweep_lookback_stateEbbT6_jjT7_P12ihipStream_tbENKUlT_T0_SK_SP_E_clISE_SE_SF_SF_EEDaS13_S14_SK_SP_EUlS13_E_NS1_11comp_targetILNS1_3genE3ELNS1_11target_archE908ELNS1_3gpuE7ELNS1_3repE0EEENS1_47radix_sort_onesweep_sort_config_static_selectorELNS0_4arch9wavefront6targetE1EEEvSK_
                                        ; -- End function
	.section	.AMDGPU.csdata,"",@progbits
; Kernel info:
; codeLenInByte = 0
; NumSgprs: 4
; NumVgprs: 0
; NumAgprs: 0
; TotalNumVgprs: 0
; ScratchSize: 0
; MemoryBound: 0
; FloatMode: 240
; IeeeMode: 1
; LDSByteSize: 0 bytes/workgroup (compile time only)
; SGPRBlocks: 0
; VGPRBlocks: 0
; NumSGPRsForWavesPerEU: 4
; NumVGPRsForWavesPerEU: 1
; AccumOffset: 4
; Occupancy: 8
; WaveLimiterHint : 0
; COMPUTE_PGM_RSRC2:SCRATCH_EN: 0
; COMPUTE_PGM_RSRC2:USER_SGPR: 6
; COMPUTE_PGM_RSRC2:TRAP_HANDLER: 0
; COMPUTE_PGM_RSRC2:TGID_X_EN: 1
; COMPUTE_PGM_RSRC2:TGID_Y_EN: 0
; COMPUTE_PGM_RSRC2:TGID_Z_EN: 0
; COMPUTE_PGM_RSRC2:TIDIG_COMP_CNT: 0
; COMPUTE_PGM_RSRC3_GFX90A:ACCUM_OFFSET: 0
; COMPUTE_PGM_RSRC3_GFX90A:TG_SPLIT: 0
	.section	.text._ZN7rocprim17ROCPRIM_400000_NS6detail17trampoline_kernelINS0_14default_configENS1_35radix_sort_onesweep_config_selectorIiNS0_10empty_typeEEEZZNS1_29radix_sort_onesweep_iterationIS3_Lb0EN6thrust23THRUST_200600_302600_NS6detail15normal_iteratorINS9_10device_ptrIiEEEESE_PS5_SF_jNS0_19identity_decomposerENS1_16block_id_wrapperIjLb0EEEEE10hipError_tT1_PNSt15iterator_traitsISK_E10value_typeET2_T3_PNSL_ISQ_E10value_typeET4_T5_PSV_SW_PNS1_23onesweep_lookback_stateEbbT6_jjT7_P12ihipStream_tbENKUlT_T0_SK_SP_E_clISE_SE_SF_SF_EEDaS13_S14_SK_SP_EUlS13_E_NS1_11comp_targetILNS1_3genE10ELNS1_11target_archE1201ELNS1_3gpuE5ELNS1_3repE0EEENS1_47radix_sort_onesweep_sort_config_static_selectorELNS0_4arch9wavefront6targetE1EEEvSK_,"axG",@progbits,_ZN7rocprim17ROCPRIM_400000_NS6detail17trampoline_kernelINS0_14default_configENS1_35radix_sort_onesweep_config_selectorIiNS0_10empty_typeEEEZZNS1_29radix_sort_onesweep_iterationIS3_Lb0EN6thrust23THRUST_200600_302600_NS6detail15normal_iteratorINS9_10device_ptrIiEEEESE_PS5_SF_jNS0_19identity_decomposerENS1_16block_id_wrapperIjLb0EEEEE10hipError_tT1_PNSt15iterator_traitsISK_E10value_typeET2_T3_PNSL_ISQ_E10value_typeET4_T5_PSV_SW_PNS1_23onesweep_lookback_stateEbbT6_jjT7_P12ihipStream_tbENKUlT_T0_SK_SP_E_clISE_SE_SF_SF_EEDaS13_S14_SK_SP_EUlS13_E_NS1_11comp_targetILNS1_3genE10ELNS1_11target_archE1201ELNS1_3gpuE5ELNS1_3repE0EEENS1_47radix_sort_onesweep_sort_config_static_selectorELNS0_4arch9wavefront6targetE1EEEvSK_,comdat
	.protected	_ZN7rocprim17ROCPRIM_400000_NS6detail17trampoline_kernelINS0_14default_configENS1_35radix_sort_onesweep_config_selectorIiNS0_10empty_typeEEEZZNS1_29radix_sort_onesweep_iterationIS3_Lb0EN6thrust23THRUST_200600_302600_NS6detail15normal_iteratorINS9_10device_ptrIiEEEESE_PS5_SF_jNS0_19identity_decomposerENS1_16block_id_wrapperIjLb0EEEEE10hipError_tT1_PNSt15iterator_traitsISK_E10value_typeET2_T3_PNSL_ISQ_E10value_typeET4_T5_PSV_SW_PNS1_23onesweep_lookback_stateEbbT6_jjT7_P12ihipStream_tbENKUlT_T0_SK_SP_E_clISE_SE_SF_SF_EEDaS13_S14_SK_SP_EUlS13_E_NS1_11comp_targetILNS1_3genE10ELNS1_11target_archE1201ELNS1_3gpuE5ELNS1_3repE0EEENS1_47radix_sort_onesweep_sort_config_static_selectorELNS0_4arch9wavefront6targetE1EEEvSK_ ; -- Begin function _ZN7rocprim17ROCPRIM_400000_NS6detail17trampoline_kernelINS0_14default_configENS1_35radix_sort_onesweep_config_selectorIiNS0_10empty_typeEEEZZNS1_29radix_sort_onesweep_iterationIS3_Lb0EN6thrust23THRUST_200600_302600_NS6detail15normal_iteratorINS9_10device_ptrIiEEEESE_PS5_SF_jNS0_19identity_decomposerENS1_16block_id_wrapperIjLb0EEEEE10hipError_tT1_PNSt15iterator_traitsISK_E10value_typeET2_T3_PNSL_ISQ_E10value_typeET4_T5_PSV_SW_PNS1_23onesweep_lookback_stateEbbT6_jjT7_P12ihipStream_tbENKUlT_T0_SK_SP_E_clISE_SE_SF_SF_EEDaS13_S14_SK_SP_EUlS13_E_NS1_11comp_targetILNS1_3genE10ELNS1_11target_archE1201ELNS1_3gpuE5ELNS1_3repE0EEENS1_47radix_sort_onesweep_sort_config_static_selectorELNS0_4arch9wavefront6targetE1EEEvSK_
	.globl	_ZN7rocprim17ROCPRIM_400000_NS6detail17trampoline_kernelINS0_14default_configENS1_35radix_sort_onesweep_config_selectorIiNS0_10empty_typeEEEZZNS1_29radix_sort_onesweep_iterationIS3_Lb0EN6thrust23THRUST_200600_302600_NS6detail15normal_iteratorINS9_10device_ptrIiEEEESE_PS5_SF_jNS0_19identity_decomposerENS1_16block_id_wrapperIjLb0EEEEE10hipError_tT1_PNSt15iterator_traitsISK_E10value_typeET2_T3_PNSL_ISQ_E10value_typeET4_T5_PSV_SW_PNS1_23onesweep_lookback_stateEbbT6_jjT7_P12ihipStream_tbENKUlT_T0_SK_SP_E_clISE_SE_SF_SF_EEDaS13_S14_SK_SP_EUlS13_E_NS1_11comp_targetILNS1_3genE10ELNS1_11target_archE1201ELNS1_3gpuE5ELNS1_3repE0EEENS1_47radix_sort_onesweep_sort_config_static_selectorELNS0_4arch9wavefront6targetE1EEEvSK_
	.p2align	8
	.type	_ZN7rocprim17ROCPRIM_400000_NS6detail17trampoline_kernelINS0_14default_configENS1_35radix_sort_onesweep_config_selectorIiNS0_10empty_typeEEEZZNS1_29radix_sort_onesweep_iterationIS3_Lb0EN6thrust23THRUST_200600_302600_NS6detail15normal_iteratorINS9_10device_ptrIiEEEESE_PS5_SF_jNS0_19identity_decomposerENS1_16block_id_wrapperIjLb0EEEEE10hipError_tT1_PNSt15iterator_traitsISK_E10value_typeET2_T3_PNSL_ISQ_E10value_typeET4_T5_PSV_SW_PNS1_23onesweep_lookback_stateEbbT6_jjT7_P12ihipStream_tbENKUlT_T0_SK_SP_E_clISE_SE_SF_SF_EEDaS13_S14_SK_SP_EUlS13_E_NS1_11comp_targetILNS1_3genE10ELNS1_11target_archE1201ELNS1_3gpuE5ELNS1_3repE0EEENS1_47radix_sort_onesweep_sort_config_static_selectorELNS0_4arch9wavefront6targetE1EEEvSK_,@function
_ZN7rocprim17ROCPRIM_400000_NS6detail17trampoline_kernelINS0_14default_configENS1_35radix_sort_onesweep_config_selectorIiNS0_10empty_typeEEEZZNS1_29radix_sort_onesweep_iterationIS3_Lb0EN6thrust23THRUST_200600_302600_NS6detail15normal_iteratorINS9_10device_ptrIiEEEESE_PS5_SF_jNS0_19identity_decomposerENS1_16block_id_wrapperIjLb0EEEEE10hipError_tT1_PNSt15iterator_traitsISK_E10value_typeET2_T3_PNSL_ISQ_E10value_typeET4_T5_PSV_SW_PNS1_23onesweep_lookback_stateEbbT6_jjT7_P12ihipStream_tbENKUlT_T0_SK_SP_E_clISE_SE_SF_SF_EEDaS13_S14_SK_SP_EUlS13_E_NS1_11comp_targetILNS1_3genE10ELNS1_11target_archE1201ELNS1_3gpuE5ELNS1_3repE0EEENS1_47radix_sort_onesweep_sort_config_static_selectorELNS0_4arch9wavefront6targetE1EEEvSK_: ; @_ZN7rocprim17ROCPRIM_400000_NS6detail17trampoline_kernelINS0_14default_configENS1_35radix_sort_onesweep_config_selectorIiNS0_10empty_typeEEEZZNS1_29radix_sort_onesweep_iterationIS3_Lb0EN6thrust23THRUST_200600_302600_NS6detail15normal_iteratorINS9_10device_ptrIiEEEESE_PS5_SF_jNS0_19identity_decomposerENS1_16block_id_wrapperIjLb0EEEEE10hipError_tT1_PNSt15iterator_traitsISK_E10value_typeET2_T3_PNSL_ISQ_E10value_typeET4_T5_PSV_SW_PNS1_23onesweep_lookback_stateEbbT6_jjT7_P12ihipStream_tbENKUlT_T0_SK_SP_E_clISE_SE_SF_SF_EEDaS13_S14_SK_SP_EUlS13_E_NS1_11comp_targetILNS1_3genE10ELNS1_11target_archE1201ELNS1_3gpuE5ELNS1_3repE0EEENS1_47radix_sort_onesweep_sort_config_static_selectorELNS0_4arch9wavefront6targetE1EEEvSK_
; %bb.0:
	.section	.rodata,"a",@progbits
	.p2align	6, 0x0
	.amdhsa_kernel _ZN7rocprim17ROCPRIM_400000_NS6detail17trampoline_kernelINS0_14default_configENS1_35radix_sort_onesweep_config_selectorIiNS0_10empty_typeEEEZZNS1_29radix_sort_onesweep_iterationIS3_Lb0EN6thrust23THRUST_200600_302600_NS6detail15normal_iteratorINS9_10device_ptrIiEEEESE_PS5_SF_jNS0_19identity_decomposerENS1_16block_id_wrapperIjLb0EEEEE10hipError_tT1_PNSt15iterator_traitsISK_E10value_typeET2_T3_PNSL_ISQ_E10value_typeET4_T5_PSV_SW_PNS1_23onesweep_lookback_stateEbbT6_jjT7_P12ihipStream_tbENKUlT_T0_SK_SP_E_clISE_SE_SF_SF_EEDaS13_S14_SK_SP_EUlS13_E_NS1_11comp_targetILNS1_3genE10ELNS1_11target_archE1201ELNS1_3gpuE5ELNS1_3repE0EEENS1_47radix_sort_onesweep_sort_config_static_selectorELNS0_4arch9wavefront6targetE1EEEvSK_
		.amdhsa_group_segment_fixed_size 0
		.amdhsa_private_segment_fixed_size 0
		.amdhsa_kernarg_size 88
		.amdhsa_user_sgpr_count 6
		.amdhsa_user_sgpr_private_segment_buffer 1
		.amdhsa_user_sgpr_dispatch_ptr 0
		.amdhsa_user_sgpr_queue_ptr 0
		.amdhsa_user_sgpr_kernarg_segment_ptr 1
		.amdhsa_user_sgpr_dispatch_id 0
		.amdhsa_user_sgpr_flat_scratch_init 0
		.amdhsa_user_sgpr_kernarg_preload_length 0
		.amdhsa_user_sgpr_kernarg_preload_offset 0
		.amdhsa_user_sgpr_private_segment_size 0
		.amdhsa_uses_dynamic_stack 0
		.amdhsa_system_sgpr_private_segment_wavefront_offset 0
		.amdhsa_system_sgpr_workgroup_id_x 1
		.amdhsa_system_sgpr_workgroup_id_y 0
		.amdhsa_system_sgpr_workgroup_id_z 0
		.amdhsa_system_sgpr_workgroup_info 0
		.amdhsa_system_vgpr_workitem_id 0
		.amdhsa_next_free_vgpr 1
		.amdhsa_next_free_sgpr 0
		.amdhsa_accum_offset 4
		.amdhsa_reserve_vcc 0
		.amdhsa_reserve_flat_scratch 0
		.amdhsa_float_round_mode_32 0
		.amdhsa_float_round_mode_16_64 0
		.amdhsa_float_denorm_mode_32 3
		.amdhsa_float_denorm_mode_16_64 3
		.amdhsa_dx10_clamp 1
		.amdhsa_ieee_mode 1
		.amdhsa_fp16_overflow 0
		.amdhsa_tg_split 0
		.amdhsa_exception_fp_ieee_invalid_op 0
		.amdhsa_exception_fp_denorm_src 0
		.amdhsa_exception_fp_ieee_div_zero 0
		.amdhsa_exception_fp_ieee_overflow 0
		.amdhsa_exception_fp_ieee_underflow 0
		.amdhsa_exception_fp_ieee_inexact 0
		.amdhsa_exception_int_div_zero 0
	.end_amdhsa_kernel
	.section	.text._ZN7rocprim17ROCPRIM_400000_NS6detail17trampoline_kernelINS0_14default_configENS1_35radix_sort_onesweep_config_selectorIiNS0_10empty_typeEEEZZNS1_29radix_sort_onesweep_iterationIS3_Lb0EN6thrust23THRUST_200600_302600_NS6detail15normal_iteratorINS9_10device_ptrIiEEEESE_PS5_SF_jNS0_19identity_decomposerENS1_16block_id_wrapperIjLb0EEEEE10hipError_tT1_PNSt15iterator_traitsISK_E10value_typeET2_T3_PNSL_ISQ_E10value_typeET4_T5_PSV_SW_PNS1_23onesweep_lookback_stateEbbT6_jjT7_P12ihipStream_tbENKUlT_T0_SK_SP_E_clISE_SE_SF_SF_EEDaS13_S14_SK_SP_EUlS13_E_NS1_11comp_targetILNS1_3genE10ELNS1_11target_archE1201ELNS1_3gpuE5ELNS1_3repE0EEENS1_47radix_sort_onesweep_sort_config_static_selectorELNS0_4arch9wavefront6targetE1EEEvSK_,"axG",@progbits,_ZN7rocprim17ROCPRIM_400000_NS6detail17trampoline_kernelINS0_14default_configENS1_35radix_sort_onesweep_config_selectorIiNS0_10empty_typeEEEZZNS1_29radix_sort_onesweep_iterationIS3_Lb0EN6thrust23THRUST_200600_302600_NS6detail15normal_iteratorINS9_10device_ptrIiEEEESE_PS5_SF_jNS0_19identity_decomposerENS1_16block_id_wrapperIjLb0EEEEE10hipError_tT1_PNSt15iterator_traitsISK_E10value_typeET2_T3_PNSL_ISQ_E10value_typeET4_T5_PSV_SW_PNS1_23onesweep_lookback_stateEbbT6_jjT7_P12ihipStream_tbENKUlT_T0_SK_SP_E_clISE_SE_SF_SF_EEDaS13_S14_SK_SP_EUlS13_E_NS1_11comp_targetILNS1_3genE10ELNS1_11target_archE1201ELNS1_3gpuE5ELNS1_3repE0EEENS1_47radix_sort_onesweep_sort_config_static_selectorELNS0_4arch9wavefront6targetE1EEEvSK_,comdat
.Lfunc_end1779:
	.size	_ZN7rocprim17ROCPRIM_400000_NS6detail17trampoline_kernelINS0_14default_configENS1_35radix_sort_onesweep_config_selectorIiNS0_10empty_typeEEEZZNS1_29radix_sort_onesweep_iterationIS3_Lb0EN6thrust23THRUST_200600_302600_NS6detail15normal_iteratorINS9_10device_ptrIiEEEESE_PS5_SF_jNS0_19identity_decomposerENS1_16block_id_wrapperIjLb0EEEEE10hipError_tT1_PNSt15iterator_traitsISK_E10value_typeET2_T3_PNSL_ISQ_E10value_typeET4_T5_PSV_SW_PNS1_23onesweep_lookback_stateEbbT6_jjT7_P12ihipStream_tbENKUlT_T0_SK_SP_E_clISE_SE_SF_SF_EEDaS13_S14_SK_SP_EUlS13_E_NS1_11comp_targetILNS1_3genE10ELNS1_11target_archE1201ELNS1_3gpuE5ELNS1_3repE0EEENS1_47radix_sort_onesweep_sort_config_static_selectorELNS0_4arch9wavefront6targetE1EEEvSK_, .Lfunc_end1779-_ZN7rocprim17ROCPRIM_400000_NS6detail17trampoline_kernelINS0_14default_configENS1_35radix_sort_onesweep_config_selectorIiNS0_10empty_typeEEEZZNS1_29radix_sort_onesweep_iterationIS3_Lb0EN6thrust23THRUST_200600_302600_NS6detail15normal_iteratorINS9_10device_ptrIiEEEESE_PS5_SF_jNS0_19identity_decomposerENS1_16block_id_wrapperIjLb0EEEEE10hipError_tT1_PNSt15iterator_traitsISK_E10value_typeET2_T3_PNSL_ISQ_E10value_typeET4_T5_PSV_SW_PNS1_23onesweep_lookback_stateEbbT6_jjT7_P12ihipStream_tbENKUlT_T0_SK_SP_E_clISE_SE_SF_SF_EEDaS13_S14_SK_SP_EUlS13_E_NS1_11comp_targetILNS1_3genE10ELNS1_11target_archE1201ELNS1_3gpuE5ELNS1_3repE0EEENS1_47radix_sort_onesweep_sort_config_static_selectorELNS0_4arch9wavefront6targetE1EEEvSK_
                                        ; -- End function
	.section	.AMDGPU.csdata,"",@progbits
; Kernel info:
; codeLenInByte = 0
; NumSgprs: 4
; NumVgprs: 0
; NumAgprs: 0
; TotalNumVgprs: 0
; ScratchSize: 0
; MemoryBound: 0
; FloatMode: 240
; IeeeMode: 1
; LDSByteSize: 0 bytes/workgroup (compile time only)
; SGPRBlocks: 0
; VGPRBlocks: 0
; NumSGPRsForWavesPerEU: 4
; NumVGPRsForWavesPerEU: 1
; AccumOffset: 4
; Occupancy: 8
; WaveLimiterHint : 0
; COMPUTE_PGM_RSRC2:SCRATCH_EN: 0
; COMPUTE_PGM_RSRC2:USER_SGPR: 6
; COMPUTE_PGM_RSRC2:TRAP_HANDLER: 0
; COMPUTE_PGM_RSRC2:TGID_X_EN: 1
; COMPUTE_PGM_RSRC2:TGID_Y_EN: 0
; COMPUTE_PGM_RSRC2:TGID_Z_EN: 0
; COMPUTE_PGM_RSRC2:TIDIG_COMP_CNT: 0
; COMPUTE_PGM_RSRC3_GFX90A:ACCUM_OFFSET: 0
; COMPUTE_PGM_RSRC3_GFX90A:TG_SPLIT: 0
	.section	.text._ZN7rocprim17ROCPRIM_400000_NS6detail17trampoline_kernelINS0_14default_configENS1_35radix_sort_onesweep_config_selectorIiNS0_10empty_typeEEEZZNS1_29radix_sort_onesweep_iterationIS3_Lb0EN6thrust23THRUST_200600_302600_NS6detail15normal_iteratorINS9_10device_ptrIiEEEESE_PS5_SF_jNS0_19identity_decomposerENS1_16block_id_wrapperIjLb0EEEEE10hipError_tT1_PNSt15iterator_traitsISK_E10value_typeET2_T3_PNSL_ISQ_E10value_typeET4_T5_PSV_SW_PNS1_23onesweep_lookback_stateEbbT6_jjT7_P12ihipStream_tbENKUlT_T0_SK_SP_E_clISE_SE_SF_SF_EEDaS13_S14_SK_SP_EUlS13_E_NS1_11comp_targetILNS1_3genE9ELNS1_11target_archE1100ELNS1_3gpuE3ELNS1_3repE0EEENS1_47radix_sort_onesweep_sort_config_static_selectorELNS0_4arch9wavefront6targetE1EEEvSK_,"axG",@progbits,_ZN7rocprim17ROCPRIM_400000_NS6detail17trampoline_kernelINS0_14default_configENS1_35radix_sort_onesweep_config_selectorIiNS0_10empty_typeEEEZZNS1_29radix_sort_onesweep_iterationIS3_Lb0EN6thrust23THRUST_200600_302600_NS6detail15normal_iteratorINS9_10device_ptrIiEEEESE_PS5_SF_jNS0_19identity_decomposerENS1_16block_id_wrapperIjLb0EEEEE10hipError_tT1_PNSt15iterator_traitsISK_E10value_typeET2_T3_PNSL_ISQ_E10value_typeET4_T5_PSV_SW_PNS1_23onesweep_lookback_stateEbbT6_jjT7_P12ihipStream_tbENKUlT_T0_SK_SP_E_clISE_SE_SF_SF_EEDaS13_S14_SK_SP_EUlS13_E_NS1_11comp_targetILNS1_3genE9ELNS1_11target_archE1100ELNS1_3gpuE3ELNS1_3repE0EEENS1_47radix_sort_onesweep_sort_config_static_selectorELNS0_4arch9wavefront6targetE1EEEvSK_,comdat
	.protected	_ZN7rocprim17ROCPRIM_400000_NS6detail17trampoline_kernelINS0_14default_configENS1_35radix_sort_onesweep_config_selectorIiNS0_10empty_typeEEEZZNS1_29radix_sort_onesweep_iterationIS3_Lb0EN6thrust23THRUST_200600_302600_NS6detail15normal_iteratorINS9_10device_ptrIiEEEESE_PS5_SF_jNS0_19identity_decomposerENS1_16block_id_wrapperIjLb0EEEEE10hipError_tT1_PNSt15iterator_traitsISK_E10value_typeET2_T3_PNSL_ISQ_E10value_typeET4_T5_PSV_SW_PNS1_23onesweep_lookback_stateEbbT6_jjT7_P12ihipStream_tbENKUlT_T0_SK_SP_E_clISE_SE_SF_SF_EEDaS13_S14_SK_SP_EUlS13_E_NS1_11comp_targetILNS1_3genE9ELNS1_11target_archE1100ELNS1_3gpuE3ELNS1_3repE0EEENS1_47radix_sort_onesweep_sort_config_static_selectorELNS0_4arch9wavefront6targetE1EEEvSK_ ; -- Begin function _ZN7rocprim17ROCPRIM_400000_NS6detail17trampoline_kernelINS0_14default_configENS1_35radix_sort_onesweep_config_selectorIiNS0_10empty_typeEEEZZNS1_29radix_sort_onesweep_iterationIS3_Lb0EN6thrust23THRUST_200600_302600_NS6detail15normal_iteratorINS9_10device_ptrIiEEEESE_PS5_SF_jNS0_19identity_decomposerENS1_16block_id_wrapperIjLb0EEEEE10hipError_tT1_PNSt15iterator_traitsISK_E10value_typeET2_T3_PNSL_ISQ_E10value_typeET4_T5_PSV_SW_PNS1_23onesweep_lookback_stateEbbT6_jjT7_P12ihipStream_tbENKUlT_T0_SK_SP_E_clISE_SE_SF_SF_EEDaS13_S14_SK_SP_EUlS13_E_NS1_11comp_targetILNS1_3genE9ELNS1_11target_archE1100ELNS1_3gpuE3ELNS1_3repE0EEENS1_47radix_sort_onesweep_sort_config_static_selectorELNS0_4arch9wavefront6targetE1EEEvSK_
	.globl	_ZN7rocprim17ROCPRIM_400000_NS6detail17trampoline_kernelINS0_14default_configENS1_35radix_sort_onesweep_config_selectorIiNS0_10empty_typeEEEZZNS1_29radix_sort_onesweep_iterationIS3_Lb0EN6thrust23THRUST_200600_302600_NS6detail15normal_iteratorINS9_10device_ptrIiEEEESE_PS5_SF_jNS0_19identity_decomposerENS1_16block_id_wrapperIjLb0EEEEE10hipError_tT1_PNSt15iterator_traitsISK_E10value_typeET2_T3_PNSL_ISQ_E10value_typeET4_T5_PSV_SW_PNS1_23onesweep_lookback_stateEbbT6_jjT7_P12ihipStream_tbENKUlT_T0_SK_SP_E_clISE_SE_SF_SF_EEDaS13_S14_SK_SP_EUlS13_E_NS1_11comp_targetILNS1_3genE9ELNS1_11target_archE1100ELNS1_3gpuE3ELNS1_3repE0EEENS1_47radix_sort_onesweep_sort_config_static_selectorELNS0_4arch9wavefront6targetE1EEEvSK_
	.p2align	8
	.type	_ZN7rocprim17ROCPRIM_400000_NS6detail17trampoline_kernelINS0_14default_configENS1_35radix_sort_onesweep_config_selectorIiNS0_10empty_typeEEEZZNS1_29radix_sort_onesweep_iterationIS3_Lb0EN6thrust23THRUST_200600_302600_NS6detail15normal_iteratorINS9_10device_ptrIiEEEESE_PS5_SF_jNS0_19identity_decomposerENS1_16block_id_wrapperIjLb0EEEEE10hipError_tT1_PNSt15iterator_traitsISK_E10value_typeET2_T3_PNSL_ISQ_E10value_typeET4_T5_PSV_SW_PNS1_23onesweep_lookback_stateEbbT6_jjT7_P12ihipStream_tbENKUlT_T0_SK_SP_E_clISE_SE_SF_SF_EEDaS13_S14_SK_SP_EUlS13_E_NS1_11comp_targetILNS1_3genE9ELNS1_11target_archE1100ELNS1_3gpuE3ELNS1_3repE0EEENS1_47radix_sort_onesweep_sort_config_static_selectorELNS0_4arch9wavefront6targetE1EEEvSK_,@function
_ZN7rocprim17ROCPRIM_400000_NS6detail17trampoline_kernelINS0_14default_configENS1_35radix_sort_onesweep_config_selectorIiNS0_10empty_typeEEEZZNS1_29radix_sort_onesweep_iterationIS3_Lb0EN6thrust23THRUST_200600_302600_NS6detail15normal_iteratorINS9_10device_ptrIiEEEESE_PS5_SF_jNS0_19identity_decomposerENS1_16block_id_wrapperIjLb0EEEEE10hipError_tT1_PNSt15iterator_traitsISK_E10value_typeET2_T3_PNSL_ISQ_E10value_typeET4_T5_PSV_SW_PNS1_23onesweep_lookback_stateEbbT6_jjT7_P12ihipStream_tbENKUlT_T0_SK_SP_E_clISE_SE_SF_SF_EEDaS13_S14_SK_SP_EUlS13_E_NS1_11comp_targetILNS1_3genE9ELNS1_11target_archE1100ELNS1_3gpuE3ELNS1_3repE0EEENS1_47radix_sort_onesweep_sort_config_static_selectorELNS0_4arch9wavefront6targetE1EEEvSK_: ; @_ZN7rocprim17ROCPRIM_400000_NS6detail17trampoline_kernelINS0_14default_configENS1_35radix_sort_onesweep_config_selectorIiNS0_10empty_typeEEEZZNS1_29radix_sort_onesweep_iterationIS3_Lb0EN6thrust23THRUST_200600_302600_NS6detail15normal_iteratorINS9_10device_ptrIiEEEESE_PS5_SF_jNS0_19identity_decomposerENS1_16block_id_wrapperIjLb0EEEEE10hipError_tT1_PNSt15iterator_traitsISK_E10value_typeET2_T3_PNSL_ISQ_E10value_typeET4_T5_PSV_SW_PNS1_23onesweep_lookback_stateEbbT6_jjT7_P12ihipStream_tbENKUlT_T0_SK_SP_E_clISE_SE_SF_SF_EEDaS13_S14_SK_SP_EUlS13_E_NS1_11comp_targetILNS1_3genE9ELNS1_11target_archE1100ELNS1_3gpuE3ELNS1_3repE0EEENS1_47radix_sort_onesweep_sort_config_static_selectorELNS0_4arch9wavefront6targetE1EEEvSK_
; %bb.0:
	.section	.rodata,"a",@progbits
	.p2align	6, 0x0
	.amdhsa_kernel _ZN7rocprim17ROCPRIM_400000_NS6detail17trampoline_kernelINS0_14default_configENS1_35radix_sort_onesweep_config_selectorIiNS0_10empty_typeEEEZZNS1_29radix_sort_onesweep_iterationIS3_Lb0EN6thrust23THRUST_200600_302600_NS6detail15normal_iteratorINS9_10device_ptrIiEEEESE_PS5_SF_jNS0_19identity_decomposerENS1_16block_id_wrapperIjLb0EEEEE10hipError_tT1_PNSt15iterator_traitsISK_E10value_typeET2_T3_PNSL_ISQ_E10value_typeET4_T5_PSV_SW_PNS1_23onesweep_lookback_stateEbbT6_jjT7_P12ihipStream_tbENKUlT_T0_SK_SP_E_clISE_SE_SF_SF_EEDaS13_S14_SK_SP_EUlS13_E_NS1_11comp_targetILNS1_3genE9ELNS1_11target_archE1100ELNS1_3gpuE3ELNS1_3repE0EEENS1_47radix_sort_onesweep_sort_config_static_selectorELNS0_4arch9wavefront6targetE1EEEvSK_
		.amdhsa_group_segment_fixed_size 0
		.amdhsa_private_segment_fixed_size 0
		.amdhsa_kernarg_size 88
		.amdhsa_user_sgpr_count 6
		.amdhsa_user_sgpr_private_segment_buffer 1
		.amdhsa_user_sgpr_dispatch_ptr 0
		.amdhsa_user_sgpr_queue_ptr 0
		.amdhsa_user_sgpr_kernarg_segment_ptr 1
		.amdhsa_user_sgpr_dispatch_id 0
		.amdhsa_user_sgpr_flat_scratch_init 0
		.amdhsa_user_sgpr_kernarg_preload_length 0
		.amdhsa_user_sgpr_kernarg_preload_offset 0
		.amdhsa_user_sgpr_private_segment_size 0
		.amdhsa_uses_dynamic_stack 0
		.amdhsa_system_sgpr_private_segment_wavefront_offset 0
		.amdhsa_system_sgpr_workgroup_id_x 1
		.amdhsa_system_sgpr_workgroup_id_y 0
		.amdhsa_system_sgpr_workgroup_id_z 0
		.amdhsa_system_sgpr_workgroup_info 0
		.amdhsa_system_vgpr_workitem_id 0
		.amdhsa_next_free_vgpr 1
		.amdhsa_next_free_sgpr 0
		.amdhsa_accum_offset 4
		.amdhsa_reserve_vcc 0
		.amdhsa_reserve_flat_scratch 0
		.amdhsa_float_round_mode_32 0
		.amdhsa_float_round_mode_16_64 0
		.amdhsa_float_denorm_mode_32 3
		.amdhsa_float_denorm_mode_16_64 3
		.amdhsa_dx10_clamp 1
		.amdhsa_ieee_mode 1
		.amdhsa_fp16_overflow 0
		.amdhsa_tg_split 0
		.amdhsa_exception_fp_ieee_invalid_op 0
		.amdhsa_exception_fp_denorm_src 0
		.amdhsa_exception_fp_ieee_div_zero 0
		.amdhsa_exception_fp_ieee_overflow 0
		.amdhsa_exception_fp_ieee_underflow 0
		.amdhsa_exception_fp_ieee_inexact 0
		.amdhsa_exception_int_div_zero 0
	.end_amdhsa_kernel
	.section	.text._ZN7rocprim17ROCPRIM_400000_NS6detail17trampoline_kernelINS0_14default_configENS1_35radix_sort_onesweep_config_selectorIiNS0_10empty_typeEEEZZNS1_29radix_sort_onesweep_iterationIS3_Lb0EN6thrust23THRUST_200600_302600_NS6detail15normal_iteratorINS9_10device_ptrIiEEEESE_PS5_SF_jNS0_19identity_decomposerENS1_16block_id_wrapperIjLb0EEEEE10hipError_tT1_PNSt15iterator_traitsISK_E10value_typeET2_T3_PNSL_ISQ_E10value_typeET4_T5_PSV_SW_PNS1_23onesweep_lookback_stateEbbT6_jjT7_P12ihipStream_tbENKUlT_T0_SK_SP_E_clISE_SE_SF_SF_EEDaS13_S14_SK_SP_EUlS13_E_NS1_11comp_targetILNS1_3genE9ELNS1_11target_archE1100ELNS1_3gpuE3ELNS1_3repE0EEENS1_47radix_sort_onesweep_sort_config_static_selectorELNS0_4arch9wavefront6targetE1EEEvSK_,"axG",@progbits,_ZN7rocprim17ROCPRIM_400000_NS6detail17trampoline_kernelINS0_14default_configENS1_35radix_sort_onesweep_config_selectorIiNS0_10empty_typeEEEZZNS1_29radix_sort_onesweep_iterationIS3_Lb0EN6thrust23THRUST_200600_302600_NS6detail15normal_iteratorINS9_10device_ptrIiEEEESE_PS5_SF_jNS0_19identity_decomposerENS1_16block_id_wrapperIjLb0EEEEE10hipError_tT1_PNSt15iterator_traitsISK_E10value_typeET2_T3_PNSL_ISQ_E10value_typeET4_T5_PSV_SW_PNS1_23onesweep_lookback_stateEbbT6_jjT7_P12ihipStream_tbENKUlT_T0_SK_SP_E_clISE_SE_SF_SF_EEDaS13_S14_SK_SP_EUlS13_E_NS1_11comp_targetILNS1_3genE9ELNS1_11target_archE1100ELNS1_3gpuE3ELNS1_3repE0EEENS1_47radix_sort_onesweep_sort_config_static_selectorELNS0_4arch9wavefront6targetE1EEEvSK_,comdat
.Lfunc_end1780:
	.size	_ZN7rocprim17ROCPRIM_400000_NS6detail17trampoline_kernelINS0_14default_configENS1_35radix_sort_onesweep_config_selectorIiNS0_10empty_typeEEEZZNS1_29radix_sort_onesweep_iterationIS3_Lb0EN6thrust23THRUST_200600_302600_NS6detail15normal_iteratorINS9_10device_ptrIiEEEESE_PS5_SF_jNS0_19identity_decomposerENS1_16block_id_wrapperIjLb0EEEEE10hipError_tT1_PNSt15iterator_traitsISK_E10value_typeET2_T3_PNSL_ISQ_E10value_typeET4_T5_PSV_SW_PNS1_23onesweep_lookback_stateEbbT6_jjT7_P12ihipStream_tbENKUlT_T0_SK_SP_E_clISE_SE_SF_SF_EEDaS13_S14_SK_SP_EUlS13_E_NS1_11comp_targetILNS1_3genE9ELNS1_11target_archE1100ELNS1_3gpuE3ELNS1_3repE0EEENS1_47radix_sort_onesweep_sort_config_static_selectorELNS0_4arch9wavefront6targetE1EEEvSK_, .Lfunc_end1780-_ZN7rocprim17ROCPRIM_400000_NS6detail17trampoline_kernelINS0_14default_configENS1_35radix_sort_onesweep_config_selectorIiNS0_10empty_typeEEEZZNS1_29radix_sort_onesweep_iterationIS3_Lb0EN6thrust23THRUST_200600_302600_NS6detail15normal_iteratorINS9_10device_ptrIiEEEESE_PS5_SF_jNS0_19identity_decomposerENS1_16block_id_wrapperIjLb0EEEEE10hipError_tT1_PNSt15iterator_traitsISK_E10value_typeET2_T3_PNSL_ISQ_E10value_typeET4_T5_PSV_SW_PNS1_23onesweep_lookback_stateEbbT6_jjT7_P12ihipStream_tbENKUlT_T0_SK_SP_E_clISE_SE_SF_SF_EEDaS13_S14_SK_SP_EUlS13_E_NS1_11comp_targetILNS1_3genE9ELNS1_11target_archE1100ELNS1_3gpuE3ELNS1_3repE0EEENS1_47radix_sort_onesweep_sort_config_static_selectorELNS0_4arch9wavefront6targetE1EEEvSK_
                                        ; -- End function
	.section	.AMDGPU.csdata,"",@progbits
; Kernel info:
; codeLenInByte = 0
; NumSgprs: 4
; NumVgprs: 0
; NumAgprs: 0
; TotalNumVgprs: 0
; ScratchSize: 0
; MemoryBound: 0
; FloatMode: 240
; IeeeMode: 1
; LDSByteSize: 0 bytes/workgroup (compile time only)
; SGPRBlocks: 0
; VGPRBlocks: 0
; NumSGPRsForWavesPerEU: 4
; NumVGPRsForWavesPerEU: 1
; AccumOffset: 4
; Occupancy: 8
; WaveLimiterHint : 0
; COMPUTE_PGM_RSRC2:SCRATCH_EN: 0
; COMPUTE_PGM_RSRC2:USER_SGPR: 6
; COMPUTE_PGM_RSRC2:TRAP_HANDLER: 0
; COMPUTE_PGM_RSRC2:TGID_X_EN: 1
; COMPUTE_PGM_RSRC2:TGID_Y_EN: 0
; COMPUTE_PGM_RSRC2:TGID_Z_EN: 0
; COMPUTE_PGM_RSRC2:TIDIG_COMP_CNT: 0
; COMPUTE_PGM_RSRC3_GFX90A:ACCUM_OFFSET: 0
; COMPUTE_PGM_RSRC3_GFX90A:TG_SPLIT: 0
	.section	.text._ZN7rocprim17ROCPRIM_400000_NS6detail17trampoline_kernelINS0_14default_configENS1_35radix_sort_onesweep_config_selectorIiNS0_10empty_typeEEEZZNS1_29radix_sort_onesweep_iterationIS3_Lb0EN6thrust23THRUST_200600_302600_NS6detail15normal_iteratorINS9_10device_ptrIiEEEESE_PS5_SF_jNS0_19identity_decomposerENS1_16block_id_wrapperIjLb0EEEEE10hipError_tT1_PNSt15iterator_traitsISK_E10value_typeET2_T3_PNSL_ISQ_E10value_typeET4_T5_PSV_SW_PNS1_23onesweep_lookback_stateEbbT6_jjT7_P12ihipStream_tbENKUlT_T0_SK_SP_E_clISE_SE_SF_SF_EEDaS13_S14_SK_SP_EUlS13_E_NS1_11comp_targetILNS1_3genE8ELNS1_11target_archE1030ELNS1_3gpuE2ELNS1_3repE0EEENS1_47radix_sort_onesweep_sort_config_static_selectorELNS0_4arch9wavefront6targetE1EEEvSK_,"axG",@progbits,_ZN7rocprim17ROCPRIM_400000_NS6detail17trampoline_kernelINS0_14default_configENS1_35radix_sort_onesweep_config_selectorIiNS0_10empty_typeEEEZZNS1_29radix_sort_onesweep_iterationIS3_Lb0EN6thrust23THRUST_200600_302600_NS6detail15normal_iteratorINS9_10device_ptrIiEEEESE_PS5_SF_jNS0_19identity_decomposerENS1_16block_id_wrapperIjLb0EEEEE10hipError_tT1_PNSt15iterator_traitsISK_E10value_typeET2_T3_PNSL_ISQ_E10value_typeET4_T5_PSV_SW_PNS1_23onesweep_lookback_stateEbbT6_jjT7_P12ihipStream_tbENKUlT_T0_SK_SP_E_clISE_SE_SF_SF_EEDaS13_S14_SK_SP_EUlS13_E_NS1_11comp_targetILNS1_3genE8ELNS1_11target_archE1030ELNS1_3gpuE2ELNS1_3repE0EEENS1_47radix_sort_onesweep_sort_config_static_selectorELNS0_4arch9wavefront6targetE1EEEvSK_,comdat
	.protected	_ZN7rocprim17ROCPRIM_400000_NS6detail17trampoline_kernelINS0_14default_configENS1_35radix_sort_onesweep_config_selectorIiNS0_10empty_typeEEEZZNS1_29radix_sort_onesweep_iterationIS3_Lb0EN6thrust23THRUST_200600_302600_NS6detail15normal_iteratorINS9_10device_ptrIiEEEESE_PS5_SF_jNS0_19identity_decomposerENS1_16block_id_wrapperIjLb0EEEEE10hipError_tT1_PNSt15iterator_traitsISK_E10value_typeET2_T3_PNSL_ISQ_E10value_typeET4_T5_PSV_SW_PNS1_23onesweep_lookback_stateEbbT6_jjT7_P12ihipStream_tbENKUlT_T0_SK_SP_E_clISE_SE_SF_SF_EEDaS13_S14_SK_SP_EUlS13_E_NS1_11comp_targetILNS1_3genE8ELNS1_11target_archE1030ELNS1_3gpuE2ELNS1_3repE0EEENS1_47radix_sort_onesweep_sort_config_static_selectorELNS0_4arch9wavefront6targetE1EEEvSK_ ; -- Begin function _ZN7rocprim17ROCPRIM_400000_NS6detail17trampoline_kernelINS0_14default_configENS1_35radix_sort_onesweep_config_selectorIiNS0_10empty_typeEEEZZNS1_29radix_sort_onesweep_iterationIS3_Lb0EN6thrust23THRUST_200600_302600_NS6detail15normal_iteratorINS9_10device_ptrIiEEEESE_PS5_SF_jNS0_19identity_decomposerENS1_16block_id_wrapperIjLb0EEEEE10hipError_tT1_PNSt15iterator_traitsISK_E10value_typeET2_T3_PNSL_ISQ_E10value_typeET4_T5_PSV_SW_PNS1_23onesweep_lookback_stateEbbT6_jjT7_P12ihipStream_tbENKUlT_T0_SK_SP_E_clISE_SE_SF_SF_EEDaS13_S14_SK_SP_EUlS13_E_NS1_11comp_targetILNS1_3genE8ELNS1_11target_archE1030ELNS1_3gpuE2ELNS1_3repE0EEENS1_47radix_sort_onesweep_sort_config_static_selectorELNS0_4arch9wavefront6targetE1EEEvSK_
	.globl	_ZN7rocprim17ROCPRIM_400000_NS6detail17trampoline_kernelINS0_14default_configENS1_35radix_sort_onesweep_config_selectorIiNS0_10empty_typeEEEZZNS1_29radix_sort_onesweep_iterationIS3_Lb0EN6thrust23THRUST_200600_302600_NS6detail15normal_iteratorINS9_10device_ptrIiEEEESE_PS5_SF_jNS0_19identity_decomposerENS1_16block_id_wrapperIjLb0EEEEE10hipError_tT1_PNSt15iterator_traitsISK_E10value_typeET2_T3_PNSL_ISQ_E10value_typeET4_T5_PSV_SW_PNS1_23onesweep_lookback_stateEbbT6_jjT7_P12ihipStream_tbENKUlT_T0_SK_SP_E_clISE_SE_SF_SF_EEDaS13_S14_SK_SP_EUlS13_E_NS1_11comp_targetILNS1_3genE8ELNS1_11target_archE1030ELNS1_3gpuE2ELNS1_3repE0EEENS1_47radix_sort_onesweep_sort_config_static_selectorELNS0_4arch9wavefront6targetE1EEEvSK_
	.p2align	8
	.type	_ZN7rocprim17ROCPRIM_400000_NS6detail17trampoline_kernelINS0_14default_configENS1_35radix_sort_onesweep_config_selectorIiNS0_10empty_typeEEEZZNS1_29radix_sort_onesweep_iterationIS3_Lb0EN6thrust23THRUST_200600_302600_NS6detail15normal_iteratorINS9_10device_ptrIiEEEESE_PS5_SF_jNS0_19identity_decomposerENS1_16block_id_wrapperIjLb0EEEEE10hipError_tT1_PNSt15iterator_traitsISK_E10value_typeET2_T3_PNSL_ISQ_E10value_typeET4_T5_PSV_SW_PNS1_23onesweep_lookback_stateEbbT6_jjT7_P12ihipStream_tbENKUlT_T0_SK_SP_E_clISE_SE_SF_SF_EEDaS13_S14_SK_SP_EUlS13_E_NS1_11comp_targetILNS1_3genE8ELNS1_11target_archE1030ELNS1_3gpuE2ELNS1_3repE0EEENS1_47radix_sort_onesweep_sort_config_static_selectorELNS0_4arch9wavefront6targetE1EEEvSK_,@function
_ZN7rocprim17ROCPRIM_400000_NS6detail17trampoline_kernelINS0_14default_configENS1_35radix_sort_onesweep_config_selectorIiNS0_10empty_typeEEEZZNS1_29radix_sort_onesweep_iterationIS3_Lb0EN6thrust23THRUST_200600_302600_NS6detail15normal_iteratorINS9_10device_ptrIiEEEESE_PS5_SF_jNS0_19identity_decomposerENS1_16block_id_wrapperIjLb0EEEEE10hipError_tT1_PNSt15iterator_traitsISK_E10value_typeET2_T3_PNSL_ISQ_E10value_typeET4_T5_PSV_SW_PNS1_23onesweep_lookback_stateEbbT6_jjT7_P12ihipStream_tbENKUlT_T0_SK_SP_E_clISE_SE_SF_SF_EEDaS13_S14_SK_SP_EUlS13_E_NS1_11comp_targetILNS1_3genE8ELNS1_11target_archE1030ELNS1_3gpuE2ELNS1_3repE0EEENS1_47radix_sort_onesweep_sort_config_static_selectorELNS0_4arch9wavefront6targetE1EEEvSK_: ; @_ZN7rocprim17ROCPRIM_400000_NS6detail17trampoline_kernelINS0_14default_configENS1_35radix_sort_onesweep_config_selectorIiNS0_10empty_typeEEEZZNS1_29radix_sort_onesweep_iterationIS3_Lb0EN6thrust23THRUST_200600_302600_NS6detail15normal_iteratorINS9_10device_ptrIiEEEESE_PS5_SF_jNS0_19identity_decomposerENS1_16block_id_wrapperIjLb0EEEEE10hipError_tT1_PNSt15iterator_traitsISK_E10value_typeET2_T3_PNSL_ISQ_E10value_typeET4_T5_PSV_SW_PNS1_23onesweep_lookback_stateEbbT6_jjT7_P12ihipStream_tbENKUlT_T0_SK_SP_E_clISE_SE_SF_SF_EEDaS13_S14_SK_SP_EUlS13_E_NS1_11comp_targetILNS1_3genE8ELNS1_11target_archE1030ELNS1_3gpuE2ELNS1_3repE0EEENS1_47radix_sort_onesweep_sort_config_static_selectorELNS0_4arch9wavefront6targetE1EEEvSK_
; %bb.0:
	.section	.rodata,"a",@progbits
	.p2align	6, 0x0
	.amdhsa_kernel _ZN7rocprim17ROCPRIM_400000_NS6detail17trampoline_kernelINS0_14default_configENS1_35radix_sort_onesweep_config_selectorIiNS0_10empty_typeEEEZZNS1_29radix_sort_onesweep_iterationIS3_Lb0EN6thrust23THRUST_200600_302600_NS6detail15normal_iteratorINS9_10device_ptrIiEEEESE_PS5_SF_jNS0_19identity_decomposerENS1_16block_id_wrapperIjLb0EEEEE10hipError_tT1_PNSt15iterator_traitsISK_E10value_typeET2_T3_PNSL_ISQ_E10value_typeET4_T5_PSV_SW_PNS1_23onesweep_lookback_stateEbbT6_jjT7_P12ihipStream_tbENKUlT_T0_SK_SP_E_clISE_SE_SF_SF_EEDaS13_S14_SK_SP_EUlS13_E_NS1_11comp_targetILNS1_3genE8ELNS1_11target_archE1030ELNS1_3gpuE2ELNS1_3repE0EEENS1_47radix_sort_onesweep_sort_config_static_selectorELNS0_4arch9wavefront6targetE1EEEvSK_
		.amdhsa_group_segment_fixed_size 0
		.amdhsa_private_segment_fixed_size 0
		.amdhsa_kernarg_size 88
		.amdhsa_user_sgpr_count 6
		.amdhsa_user_sgpr_private_segment_buffer 1
		.amdhsa_user_sgpr_dispatch_ptr 0
		.amdhsa_user_sgpr_queue_ptr 0
		.amdhsa_user_sgpr_kernarg_segment_ptr 1
		.amdhsa_user_sgpr_dispatch_id 0
		.amdhsa_user_sgpr_flat_scratch_init 0
		.amdhsa_user_sgpr_kernarg_preload_length 0
		.amdhsa_user_sgpr_kernarg_preload_offset 0
		.amdhsa_user_sgpr_private_segment_size 0
		.amdhsa_uses_dynamic_stack 0
		.amdhsa_system_sgpr_private_segment_wavefront_offset 0
		.amdhsa_system_sgpr_workgroup_id_x 1
		.amdhsa_system_sgpr_workgroup_id_y 0
		.amdhsa_system_sgpr_workgroup_id_z 0
		.amdhsa_system_sgpr_workgroup_info 0
		.amdhsa_system_vgpr_workitem_id 0
		.amdhsa_next_free_vgpr 1
		.amdhsa_next_free_sgpr 0
		.amdhsa_accum_offset 4
		.amdhsa_reserve_vcc 0
		.amdhsa_reserve_flat_scratch 0
		.amdhsa_float_round_mode_32 0
		.amdhsa_float_round_mode_16_64 0
		.amdhsa_float_denorm_mode_32 3
		.amdhsa_float_denorm_mode_16_64 3
		.amdhsa_dx10_clamp 1
		.amdhsa_ieee_mode 1
		.amdhsa_fp16_overflow 0
		.amdhsa_tg_split 0
		.amdhsa_exception_fp_ieee_invalid_op 0
		.amdhsa_exception_fp_denorm_src 0
		.amdhsa_exception_fp_ieee_div_zero 0
		.amdhsa_exception_fp_ieee_overflow 0
		.amdhsa_exception_fp_ieee_underflow 0
		.amdhsa_exception_fp_ieee_inexact 0
		.amdhsa_exception_int_div_zero 0
	.end_amdhsa_kernel
	.section	.text._ZN7rocprim17ROCPRIM_400000_NS6detail17trampoline_kernelINS0_14default_configENS1_35radix_sort_onesweep_config_selectorIiNS0_10empty_typeEEEZZNS1_29radix_sort_onesweep_iterationIS3_Lb0EN6thrust23THRUST_200600_302600_NS6detail15normal_iteratorINS9_10device_ptrIiEEEESE_PS5_SF_jNS0_19identity_decomposerENS1_16block_id_wrapperIjLb0EEEEE10hipError_tT1_PNSt15iterator_traitsISK_E10value_typeET2_T3_PNSL_ISQ_E10value_typeET4_T5_PSV_SW_PNS1_23onesweep_lookback_stateEbbT6_jjT7_P12ihipStream_tbENKUlT_T0_SK_SP_E_clISE_SE_SF_SF_EEDaS13_S14_SK_SP_EUlS13_E_NS1_11comp_targetILNS1_3genE8ELNS1_11target_archE1030ELNS1_3gpuE2ELNS1_3repE0EEENS1_47radix_sort_onesweep_sort_config_static_selectorELNS0_4arch9wavefront6targetE1EEEvSK_,"axG",@progbits,_ZN7rocprim17ROCPRIM_400000_NS6detail17trampoline_kernelINS0_14default_configENS1_35radix_sort_onesweep_config_selectorIiNS0_10empty_typeEEEZZNS1_29radix_sort_onesweep_iterationIS3_Lb0EN6thrust23THRUST_200600_302600_NS6detail15normal_iteratorINS9_10device_ptrIiEEEESE_PS5_SF_jNS0_19identity_decomposerENS1_16block_id_wrapperIjLb0EEEEE10hipError_tT1_PNSt15iterator_traitsISK_E10value_typeET2_T3_PNSL_ISQ_E10value_typeET4_T5_PSV_SW_PNS1_23onesweep_lookback_stateEbbT6_jjT7_P12ihipStream_tbENKUlT_T0_SK_SP_E_clISE_SE_SF_SF_EEDaS13_S14_SK_SP_EUlS13_E_NS1_11comp_targetILNS1_3genE8ELNS1_11target_archE1030ELNS1_3gpuE2ELNS1_3repE0EEENS1_47radix_sort_onesweep_sort_config_static_selectorELNS0_4arch9wavefront6targetE1EEEvSK_,comdat
.Lfunc_end1781:
	.size	_ZN7rocprim17ROCPRIM_400000_NS6detail17trampoline_kernelINS0_14default_configENS1_35radix_sort_onesweep_config_selectorIiNS0_10empty_typeEEEZZNS1_29radix_sort_onesweep_iterationIS3_Lb0EN6thrust23THRUST_200600_302600_NS6detail15normal_iteratorINS9_10device_ptrIiEEEESE_PS5_SF_jNS0_19identity_decomposerENS1_16block_id_wrapperIjLb0EEEEE10hipError_tT1_PNSt15iterator_traitsISK_E10value_typeET2_T3_PNSL_ISQ_E10value_typeET4_T5_PSV_SW_PNS1_23onesweep_lookback_stateEbbT6_jjT7_P12ihipStream_tbENKUlT_T0_SK_SP_E_clISE_SE_SF_SF_EEDaS13_S14_SK_SP_EUlS13_E_NS1_11comp_targetILNS1_3genE8ELNS1_11target_archE1030ELNS1_3gpuE2ELNS1_3repE0EEENS1_47radix_sort_onesweep_sort_config_static_selectorELNS0_4arch9wavefront6targetE1EEEvSK_, .Lfunc_end1781-_ZN7rocprim17ROCPRIM_400000_NS6detail17trampoline_kernelINS0_14default_configENS1_35radix_sort_onesweep_config_selectorIiNS0_10empty_typeEEEZZNS1_29radix_sort_onesweep_iterationIS3_Lb0EN6thrust23THRUST_200600_302600_NS6detail15normal_iteratorINS9_10device_ptrIiEEEESE_PS5_SF_jNS0_19identity_decomposerENS1_16block_id_wrapperIjLb0EEEEE10hipError_tT1_PNSt15iterator_traitsISK_E10value_typeET2_T3_PNSL_ISQ_E10value_typeET4_T5_PSV_SW_PNS1_23onesweep_lookback_stateEbbT6_jjT7_P12ihipStream_tbENKUlT_T0_SK_SP_E_clISE_SE_SF_SF_EEDaS13_S14_SK_SP_EUlS13_E_NS1_11comp_targetILNS1_3genE8ELNS1_11target_archE1030ELNS1_3gpuE2ELNS1_3repE0EEENS1_47radix_sort_onesweep_sort_config_static_selectorELNS0_4arch9wavefront6targetE1EEEvSK_
                                        ; -- End function
	.section	.AMDGPU.csdata,"",@progbits
; Kernel info:
; codeLenInByte = 0
; NumSgprs: 4
; NumVgprs: 0
; NumAgprs: 0
; TotalNumVgprs: 0
; ScratchSize: 0
; MemoryBound: 0
; FloatMode: 240
; IeeeMode: 1
; LDSByteSize: 0 bytes/workgroup (compile time only)
; SGPRBlocks: 0
; VGPRBlocks: 0
; NumSGPRsForWavesPerEU: 4
; NumVGPRsForWavesPerEU: 1
; AccumOffset: 4
; Occupancy: 8
; WaveLimiterHint : 0
; COMPUTE_PGM_RSRC2:SCRATCH_EN: 0
; COMPUTE_PGM_RSRC2:USER_SGPR: 6
; COMPUTE_PGM_RSRC2:TRAP_HANDLER: 0
; COMPUTE_PGM_RSRC2:TGID_X_EN: 1
; COMPUTE_PGM_RSRC2:TGID_Y_EN: 0
; COMPUTE_PGM_RSRC2:TGID_Z_EN: 0
; COMPUTE_PGM_RSRC2:TIDIG_COMP_CNT: 0
; COMPUTE_PGM_RSRC3_GFX90A:ACCUM_OFFSET: 0
; COMPUTE_PGM_RSRC3_GFX90A:TG_SPLIT: 0
	.section	.text._ZN7rocprim17ROCPRIM_400000_NS6detail17trampoline_kernelINS0_14default_configENS1_35radix_sort_onesweep_config_selectorIiNS0_10empty_typeEEEZZNS1_29radix_sort_onesweep_iterationIS3_Lb0EN6thrust23THRUST_200600_302600_NS6detail15normal_iteratorINS9_10device_ptrIiEEEESE_PS5_SF_jNS0_19identity_decomposerENS1_16block_id_wrapperIjLb0EEEEE10hipError_tT1_PNSt15iterator_traitsISK_E10value_typeET2_T3_PNSL_ISQ_E10value_typeET4_T5_PSV_SW_PNS1_23onesweep_lookback_stateEbbT6_jjT7_P12ihipStream_tbENKUlT_T0_SK_SP_E_clISE_PiSF_SF_EEDaS13_S14_SK_SP_EUlS13_E_NS1_11comp_targetILNS1_3genE0ELNS1_11target_archE4294967295ELNS1_3gpuE0ELNS1_3repE0EEENS1_47radix_sort_onesweep_sort_config_static_selectorELNS0_4arch9wavefront6targetE1EEEvSK_,"axG",@progbits,_ZN7rocprim17ROCPRIM_400000_NS6detail17trampoline_kernelINS0_14default_configENS1_35radix_sort_onesweep_config_selectorIiNS0_10empty_typeEEEZZNS1_29radix_sort_onesweep_iterationIS3_Lb0EN6thrust23THRUST_200600_302600_NS6detail15normal_iteratorINS9_10device_ptrIiEEEESE_PS5_SF_jNS0_19identity_decomposerENS1_16block_id_wrapperIjLb0EEEEE10hipError_tT1_PNSt15iterator_traitsISK_E10value_typeET2_T3_PNSL_ISQ_E10value_typeET4_T5_PSV_SW_PNS1_23onesweep_lookback_stateEbbT6_jjT7_P12ihipStream_tbENKUlT_T0_SK_SP_E_clISE_PiSF_SF_EEDaS13_S14_SK_SP_EUlS13_E_NS1_11comp_targetILNS1_3genE0ELNS1_11target_archE4294967295ELNS1_3gpuE0ELNS1_3repE0EEENS1_47radix_sort_onesweep_sort_config_static_selectorELNS0_4arch9wavefront6targetE1EEEvSK_,comdat
	.protected	_ZN7rocprim17ROCPRIM_400000_NS6detail17trampoline_kernelINS0_14default_configENS1_35radix_sort_onesweep_config_selectorIiNS0_10empty_typeEEEZZNS1_29radix_sort_onesweep_iterationIS3_Lb0EN6thrust23THRUST_200600_302600_NS6detail15normal_iteratorINS9_10device_ptrIiEEEESE_PS5_SF_jNS0_19identity_decomposerENS1_16block_id_wrapperIjLb0EEEEE10hipError_tT1_PNSt15iterator_traitsISK_E10value_typeET2_T3_PNSL_ISQ_E10value_typeET4_T5_PSV_SW_PNS1_23onesweep_lookback_stateEbbT6_jjT7_P12ihipStream_tbENKUlT_T0_SK_SP_E_clISE_PiSF_SF_EEDaS13_S14_SK_SP_EUlS13_E_NS1_11comp_targetILNS1_3genE0ELNS1_11target_archE4294967295ELNS1_3gpuE0ELNS1_3repE0EEENS1_47radix_sort_onesweep_sort_config_static_selectorELNS0_4arch9wavefront6targetE1EEEvSK_ ; -- Begin function _ZN7rocprim17ROCPRIM_400000_NS6detail17trampoline_kernelINS0_14default_configENS1_35radix_sort_onesweep_config_selectorIiNS0_10empty_typeEEEZZNS1_29radix_sort_onesweep_iterationIS3_Lb0EN6thrust23THRUST_200600_302600_NS6detail15normal_iteratorINS9_10device_ptrIiEEEESE_PS5_SF_jNS0_19identity_decomposerENS1_16block_id_wrapperIjLb0EEEEE10hipError_tT1_PNSt15iterator_traitsISK_E10value_typeET2_T3_PNSL_ISQ_E10value_typeET4_T5_PSV_SW_PNS1_23onesweep_lookback_stateEbbT6_jjT7_P12ihipStream_tbENKUlT_T0_SK_SP_E_clISE_PiSF_SF_EEDaS13_S14_SK_SP_EUlS13_E_NS1_11comp_targetILNS1_3genE0ELNS1_11target_archE4294967295ELNS1_3gpuE0ELNS1_3repE0EEENS1_47radix_sort_onesweep_sort_config_static_selectorELNS0_4arch9wavefront6targetE1EEEvSK_
	.globl	_ZN7rocprim17ROCPRIM_400000_NS6detail17trampoline_kernelINS0_14default_configENS1_35radix_sort_onesweep_config_selectorIiNS0_10empty_typeEEEZZNS1_29radix_sort_onesweep_iterationIS3_Lb0EN6thrust23THRUST_200600_302600_NS6detail15normal_iteratorINS9_10device_ptrIiEEEESE_PS5_SF_jNS0_19identity_decomposerENS1_16block_id_wrapperIjLb0EEEEE10hipError_tT1_PNSt15iterator_traitsISK_E10value_typeET2_T3_PNSL_ISQ_E10value_typeET4_T5_PSV_SW_PNS1_23onesweep_lookback_stateEbbT6_jjT7_P12ihipStream_tbENKUlT_T0_SK_SP_E_clISE_PiSF_SF_EEDaS13_S14_SK_SP_EUlS13_E_NS1_11comp_targetILNS1_3genE0ELNS1_11target_archE4294967295ELNS1_3gpuE0ELNS1_3repE0EEENS1_47radix_sort_onesweep_sort_config_static_selectorELNS0_4arch9wavefront6targetE1EEEvSK_
	.p2align	8
	.type	_ZN7rocprim17ROCPRIM_400000_NS6detail17trampoline_kernelINS0_14default_configENS1_35radix_sort_onesweep_config_selectorIiNS0_10empty_typeEEEZZNS1_29radix_sort_onesweep_iterationIS3_Lb0EN6thrust23THRUST_200600_302600_NS6detail15normal_iteratorINS9_10device_ptrIiEEEESE_PS5_SF_jNS0_19identity_decomposerENS1_16block_id_wrapperIjLb0EEEEE10hipError_tT1_PNSt15iterator_traitsISK_E10value_typeET2_T3_PNSL_ISQ_E10value_typeET4_T5_PSV_SW_PNS1_23onesweep_lookback_stateEbbT6_jjT7_P12ihipStream_tbENKUlT_T0_SK_SP_E_clISE_PiSF_SF_EEDaS13_S14_SK_SP_EUlS13_E_NS1_11comp_targetILNS1_3genE0ELNS1_11target_archE4294967295ELNS1_3gpuE0ELNS1_3repE0EEENS1_47radix_sort_onesweep_sort_config_static_selectorELNS0_4arch9wavefront6targetE1EEEvSK_,@function
_ZN7rocprim17ROCPRIM_400000_NS6detail17trampoline_kernelINS0_14default_configENS1_35radix_sort_onesweep_config_selectorIiNS0_10empty_typeEEEZZNS1_29radix_sort_onesweep_iterationIS3_Lb0EN6thrust23THRUST_200600_302600_NS6detail15normal_iteratorINS9_10device_ptrIiEEEESE_PS5_SF_jNS0_19identity_decomposerENS1_16block_id_wrapperIjLb0EEEEE10hipError_tT1_PNSt15iterator_traitsISK_E10value_typeET2_T3_PNSL_ISQ_E10value_typeET4_T5_PSV_SW_PNS1_23onesweep_lookback_stateEbbT6_jjT7_P12ihipStream_tbENKUlT_T0_SK_SP_E_clISE_PiSF_SF_EEDaS13_S14_SK_SP_EUlS13_E_NS1_11comp_targetILNS1_3genE0ELNS1_11target_archE4294967295ELNS1_3gpuE0ELNS1_3repE0EEENS1_47radix_sort_onesweep_sort_config_static_selectorELNS0_4arch9wavefront6targetE1EEEvSK_: ; @_ZN7rocprim17ROCPRIM_400000_NS6detail17trampoline_kernelINS0_14default_configENS1_35radix_sort_onesweep_config_selectorIiNS0_10empty_typeEEEZZNS1_29radix_sort_onesweep_iterationIS3_Lb0EN6thrust23THRUST_200600_302600_NS6detail15normal_iteratorINS9_10device_ptrIiEEEESE_PS5_SF_jNS0_19identity_decomposerENS1_16block_id_wrapperIjLb0EEEEE10hipError_tT1_PNSt15iterator_traitsISK_E10value_typeET2_T3_PNSL_ISQ_E10value_typeET4_T5_PSV_SW_PNS1_23onesweep_lookback_stateEbbT6_jjT7_P12ihipStream_tbENKUlT_T0_SK_SP_E_clISE_PiSF_SF_EEDaS13_S14_SK_SP_EUlS13_E_NS1_11comp_targetILNS1_3genE0ELNS1_11target_archE4294967295ELNS1_3gpuE0ELNS1_3repE0EEENS1_47radix_sort_onesweep_sort_config_static_selectorELNS0_4arch9wavefront6targetE1EEEvSK_
; %bb.0:
	.section	.rodata,"a",@progbits
	.p2align	6, 0x0
	.amdhsa_kernel _ZN7rocprim17ROCPRIM_400000_NS6detail17trampoline_kernelINS0_14default_configENS1_35radix_sort_onesweep_config_selectorIiNS0_10empty_typeEEEZZNS1_29radix_sort_onesweep_iterationIS3_Lb0EN6thrust23THRUST_200600_302600_NS6detail15normal_iteratorINS9_10device_ptrIiEEEESE_PS5_SF_jNS0_19identity_decomposerENS1_16block_id_wrapperIjLb0EEEEE10hipError_tT1_PNSt15iterator_traitsISK_E10value_typeET2_T3_PNSL_ISQ_E10value_typeET4_T5_PSV_SW_PNS1_23onesweep_lookback_stateEbbT6_jjT7_P12ihipStream_tbENKUlT_T0_SK_SP_E_clISE_PiSF_SF_EEDaS13_S14_SK_SP_EUlS13_E_NS1_11comp_targetILNS1_3genE0ELNS1_11target_archE4294967295ELNS1_3gpuE0ELNS1_3repE0EEENS1_47radix_sort_onesweep_sort_config_static_selectorELNS0_4arch9wavefront6targetE1EEEvSK_
		.amdhsa_group_segment_fixed_size 0
		.amdhsa_private_segment_fixed_size 0
		.amdhsa_kernarg_size 88
		.amdhsa_user_sgpr_count 6
		.amdhsa_user_sgpr_private_segment_buffer 1
		.amdhsa_user_sgpr_dispatch_ptr 0
		.amdhsa_user_sgpr_queue_ptr 0
		.amdhsa_user_sgpr_kernarg_segment_ptr 1
		.amdhsa_user_sgpr_dispatch_id 0
		.amdhsa_user_sgpr_flat_scratch_init 0
		.amdhsa_user_sgpr_kernarg_preload_length 0
		.amdhsa_user_sgpr_kernarg_preload_offset 0
		.amdhsa_user_sgpr_private_segment_size 0
		.amdhsa_uses_dynamic_stack 0
		.amdhsa_system_sgpr_private_segment_wavefront_offset 0
		.amdhsa_system_sgpr_workgroup_id_x 1
		.amdhsa_system_sgpr_workgroup_id_y 0
		.amdhsa_system_sgpr_workgroup_id_z 0
		.amdhsa_system_sgpr_workgroup_info 0
		.amdhsa_system_vgpr_workitem_id 0
		.amdhsa_next_free_vgpr 1
		.amdhsa_next_free_sgpr 0
		.amdhsa_accum_offset 4
		.amdhsa_reserve_vcc 0
		.amdhsa_reserve_flat_scratch 0
		.amdhsa_float_round_mode_32 0
		.amdhsa_float_round_mode_16_64 0
		.amdhsa_float_denorm_mode_32 3
		.amdhsa_float_denorm_mode_16_64 3
		.amdhsa_dx10_clamp 1
		.amdhsa_ieee_mode 1
		.amdhsa_fp16_overflow 0
		.amdhsa_tg_split 0
		.amdhsa_exception_fp_ieee_invalid_op 0
		.amdhsa_exception_fp_denorm_src 0
		.amdhsa_exception_fp_ieee_div_zero 0
		.amdhsa_exception_fp_ieee_overflow 0
		.amdhsa_exception_fp_ieee_underflow 0
		.amdhsa_exception_fp_ieee_inexact 0
		.amdhsa_exception_int_div_zero 0
	.end_amdhsa_kernel
	.section	.text._ZN7rocprim17ROCPRIM_400000_NS6detail17trampoline_kernelINS0_14default_configENS1_35radix_sort_onesweep_config_selectorIiNS0_10empty_typeEEEZZNS1_29radix_sort_onesweep_iterationIS3_Lb0EN6thrust23THRUST_200600_302600_NS6detail15normal_iteratorINS9_10device_ptrIiEEEESE_PS5_SF_jNS0_19identity_decomposerENS1_16block_id_wrapperIjLb0EEEEE10hipError_tT1_PNSt15iterator_traitsISK_E10value_typeET2_T3_PNSL_ISQ_E10value_typeET4_T5_PSV_SW_PNS1_23onesweep_lookback_stateEbbT6_jjT7_P12ihipStream_tbENKUlT_T0_SK_SP_E_clISE_PiSF_SF_EEDaS13_S14_SK_SP_EUlS13_E_NS1_11comp_targetILNS1_3genE0ELNS1_11target_archE4294967295ELNS1_3gpuE0ELNS1_3repE0EEENS1_47radix_sort_onesweep_sort_config_static_selectorELNS0_4arch9wavefront6targetE1EEEvSK_,"axG",@progbits,_ZN7rocprim17ROCPRIM_400000_NS6detail17trampoline_kernelINS0_14default_configENS1_35radix_sort_onesweep_config_selectorIiNS0_10empty_typeEEEZZNS1_29radix_sort_onesweep_iterationIS3_Lb0EN6thrust23THRUST_200600_302600_NS6detail15normal_iteratorINS9_10device_ptrIiEEEESE_PS5_SF_jNS0_19identity_decomposerENS1_16block_id_wrapperIjLb0EEEEE10hipError_tT1_PNSt15iterator_traitsISK_E10value_typeET2_T3_PNSL_ISQ_E10value_typeET4_T5_PSV_SW_PNS1_23onesweep_lookback_stateEbbT6_jjT7_P12ihipStream_tbENKUlT_T0_SK_SP_E_clISE_PiSF_SF_EEDaS13_S14_SK_SP_EUlS13_E_NS1_11comp_targetILNS1_3genE0ELNS1_11target_archE4294967295ELNS1_3gpuE0ELNS1_3repE0EEENS1_47radix_sort_onesweep_sort_config_static_selectorELNS0_4arch9wavefront6targetE1EEEvSK_,comdat
.Lfunc_end1782:
	.size	_ZN7rocprim17ROCPRIM_400000_NS6detail17trampoline_kernelINS0_14default_configENS1_35radix_sort_onesweep_config_selectorIiNS0_10empty_typeEEEZZNS1_29radix_sort_onesweep_iterationIS3_Lb0EN6thrust23THRUST_200600_302600_NS6detail15normal_iteratorINS9_10device_ptrIiEEEESE_PS5_SF_jNS0_19identity_decomposerENS1_16block_id_wrapperIjLb0EEEEE10hipError_tT1_PNSt15iterator_traitsISK_E10value_typeET2_T3_PNSL_ISQ_E10value_typeET4_T5_PSV_SW_PNS1_23onesweep_lookback_stateEbbT6_jjT7_P12ihipStream_tbENKUlT_T0_SK_SP_E_clISE_PiSF_SF_EEDaS13_S14_SK_SP_EUlS13_E_NS1_11comp_targetILNS1_3genE0ELNS1_11target_archE4294967295ELNS1_3gpuE0ELNS1_3repE0EEENS1_47radix_sort_onesweep_sort_config_static_selectorELNS0_4arch9wavefront6targetE1EEEvSK_, .Lfunc_end1782-_ZN7rocprim17ROCPRIM_400000_NS6detail17trampoline_kernelINS0_14default_configENS1_35radix_sort_onesweep_config_selectorIiNS0_10empty_typeEEEZZNS1_29radix_sort_onesweep_iterationIS3_Lb0EN6thrust23THRUST_200600_302600_NS6detail15normal_iteratorINS9_10device_ptrIiEEEESE_PS5_SF_jNS0_19identity_decomposerENS1_16block_id_wrapperIjLb0EEEEE10hipError_tT1_PNSt15iterator_traitsISK_E10value_typeET2_T3_PNSL_ISQ_E10value_typeET4_T5_PSV_SW_PNS1_23onesweep_lookback_stateEbbT6_jjT7_P12ihipStream_tbENKUlT_T0_SK_SP_E_clISE_PiSF_SF_EEDaS13_S14_SK_SP_EUlS13_E_NS1_11comp_targetILNS1_3genE0ELNS1_11target_archE4294967295ELNS1_3gpuE0ELNS1_3repE0EEENS1_47radix_sort_onesweep_sort_config_static_selectorELNS0_4arch9wavefront6targetE1EEEvSK_
                                        ; -- End function
	.section	.AMDGPU.csdata,"",@progbits
; Kernel info:
; codeLenInByte = 0
; NumSgprs: 4
; NumVgprs: 0
; NumAgprs: 0
; TotalNumVgprs: 0
; ScratchSize: 0
; MemoryBound: 0
; FloatMode: 240
; IeeeMode: 1
; LDSByteSize: 0 bytes/workgroup (compile time only)
; SGPRBlocks: 0
; VGPRBlocks: 0
; NumSGPRsForWavesPerEU: 4
; NumVGPRsForWavesPerEU: 1
; AccumOffset: 4
; Occupancy: 8
; WaveLimiterHint : 0
; COMPUTE_PGM_RSRC2:SCRATCH_EN: 0
; COMPUTE_PGM_RSRC2:USER_SGPR: 6
; COMPUTE_PGM_RSRC2:TRAP_HANDLER: 0
; COMPUTE_PGM_RSRC2:TGID_X_EN: 1
; COMPUTE_PGM_RSRC2:TGID_Y_EN: 0
; COMPUTE_PGM_RSRC2:TGID_Z_EN: 0
; COMPUTE_PGM_RSRC2:TIDIG_COMP_CNT: 0
; COMPUTE_PGM_RSRC3_GFX90A:ACCUM_OFFSET: 0
; COMPUTE_PGM_RSRC3_GFX90A:TG_SPLIT: 0
	.section	.text._ZN7rocprim17ROCPRIM_400000_NS6detail17trampoline_kernelINS0_14default_configENS1_35radix_sort_onesweep_config_selectorIiNS0_10empty_typeEEEZZNS1_29radix_sort_onesweep_iterationIS3_Lb0EN6thrust23THRUST_200600_302600_NS6detail15normal_iteratorINS9_10device_ptrIiEEEESE_PS5_SF_jNS0_19identity_decomposerENS1_16block_id_wrapperIjLb0EEEEE10hipError_tT1_PNSt15iterator_traitsISK_E10value_typeET2_T3_PNSL_ISQ_E10value_typeET4_T5_PSV_SW_PNS1_23onesweep_lookback_stateEbbT6_jjT7_P12ihipStream_tbENKUlT_T0_SK_SP_E_clISE_PiSF_SF_EEDaS13_S14_SK_SP_EUlS13_E_NS1_11comp_targetILNS1_3genE6ELNS1_11target_archE950ELNS1_3gpuE13ELNS1_3repE0EEENS1_47radix_sort_onesweep_sort_config_static_selectorELNS0_4arch9wavefront6targetE1EEEvSK_,"axG",@progbits,_ZN7rocprim17ROCPRIM_400000_NS6detail17trampoline_kernelINS0_14default_configENS1_35radix_sort_onesweep_config_selectorIiNS0_10empty_typeEEEZZNS1_29radix_sort_onesweep_iterationIS3_Lb0EN6thrust23THRUST_200600_302600_NS6detail15normal_iteratorINS9_10device_ptrIiEEEESE_PS5_SF_jNS0_19identity_decomposerENS1_16block_id_wrapperIjLb0EEEEE10hipError_tT1_PNSt15iterator_traitsISK_E10value_typeET2_T3_PNSL_ISQ_E10value_typeET4_T5_PSV_SW_PNS1_23onesweep_lookback_stateEbbT6_jjT7_P12ihipStream_tbENKUlT_T0_SK_SP_E_clISE_PiSF_SF_EEDaS13_S14_SK_SP_EUlS13_E_NS1_11comp_targetILNS1_3genE6ELNS1_11target_archE950ELNS1_3gpuE13ELNS1_3repE0EEENS1_47radix_sort_onesweep_sort_config_static_selectorELNS0_4arch9wavefront6targetE1EEEvSK_,comdat
	.protected	_ZN7rocprim17ROCPRIM_400000_NS6detail17trampoline_kernelINS0_14default_configENS1_35radix_sort_onesweep_config_selectorIiNS0_10empty_typeEEEZZNS1_29radix_sort_onesweep_iterationIS3_Lb0EN6thrust23THRUST_200600_302600_NS6detail15normal_iteratorINS9_10device_ptrIiEEEESE_PS5_SF_jNS0_19identity_decomposerENS1_16block_id_wrapperIjLb0EEEEE10hipError_tT1_PNSt15iterator_traitsISK_E10value_typeET2_T3_PNSL_ISQ_E10value_typeET4_T5_PSV_SW_PNS1_23onesweep_lookback_stateEbbT6_jjT7_P12ihipStream_tbENKUlT_T0_SK_SP_E_clISE_PiSF_SF_EEDaS13_S14_SK_SP_EUlS13_E_NS1_11comp_targetILNS1_3genE6ELNS1_11target_archE950ELNS1_3gpuE13ELNS1_3repE0EEENS1_47radix_sort_onesweep_sort_config_static_selectorELNS0_4arch9wavefront6targetE1EEEvSK_ ; -- Begin function _ZN7rocprim17ROCPRIM_400000_NS6detail17trampoline_kernelINS0_14default_configENS1_35radix_sort_onesweep_config_selectorIiNS0_10empty_typeEEEZZNS1_29radix_sort_onesweep_iterationIS3_Lb0EN6thrust23THRUST_200600_302600_NS6detail15normal_iteratorINS9_10device_ptrIiEEEESE_PS5_SF_jNS0_19identity_decomposerENS1_16block_id_wrapperIjLb0EEEEE10hipError_tT1_PNSt15iterator_traitsISK_E10value_typeET2_T3_PNSL_ISQ_E10value_typeET4_T5_PSV_SW_PNS1_23onesweep_lookback_stateEbbT6_jjT7_P12ihipStream_tbENKUlT_T0_SK_SP_E_clISE_PiSF_SF_EEDaS13_S14_SK_SP_EUlS13_E_NS1_11comp_targetILNS1_3genE6ELNS1_11target_archE950ELNS1_3gpuE13ELNS1_3repE0EEENS1_47radix_sort_onesweep_sort_config_static_selectorELNS0_4arch9wavefront6targetE1EEEvSK_
	.globl	_ZN7rocprim17ROCPRIM_400000_NS6detail17trampoline_kernelINS0_14default_configENS1_35radix_sort_onesweep_config_selectorIiNS0_10empty_typeEEEZZNS1_29radix_sort_onesweep_iterationIS3_Lb0EN6thrust23THRUST_200600_302600_NS6detail15normal_iteratorINS9_10device_ptrIiEEEESE_PS5_SF_jNS0_19identity_decomposerENS1_16block_id_wrapperIjLb0EEEEE10hipError_tT1_PNSt15iterator_traitsISK_E10value_typeET2_T3_PNSL_ISQ_E10value_typeET4_T5_PSV_SW_PNS1_23onesweep_lookback_stateEbbT6_jjT7_P12ihipStream_tbENKUlT_T0_SK_SP_E_clISE_PiSF_SF_EEDaS13_S14_SK_SP_EUlS13_E_NS1_11comp_targetILNS1_3genE6ELNS1_11target_archE950ELNS1_3gpuE13ELNS1_3repE0EEENS1_47radix_sort_onesweep_sort_config_static_selectorELNS0_4arch9wavefront6targetE1EEEvSK_
	.p2align	8
	.type	_ZN7rocprim17ROCPRIM_400000_NS6detail17trampoline_kernelINS0_14default_configENS1_35radix_sort_onesweep_config_selectorIiNS0_10empty_typeEEEZZNS1_29radix_sort_onesweep_iterationIS3_Lb0EN6thrust23THRUST_200600_302600_NS6detail15normal_iteratorINS9_10device_ptrIiEEEESE_PS5_SF_jNS0_19identity_decomposerENS1_16block_id_wrapperIjLb0EEEEE10hipError_tT1_PNSt15iterator_traitsISK_E10value_typeET2_T3_PNSL_ISQ_E10value_typeET4_T5_PSV_SW_PNS1_23onesweep_lookback_stateEbbT6_jjT7_P12ihipStream_tbENKUlT_T0_SK_SP_E_clISE_PiSF_SF_EEDaS13_S14_SK_SP_EUlS13_E_NS1_11comp_targetILNS1_3genE6ELNS1_11target_archE950ELNS1_3gpuE13ELNS1_3repE0EEENS1_47radix_sort_onesweep_sort_config_static_selectorELNS0_4arch9wavefront6targetE1EEEvSK_,@function
_ZN7rocprim17ROCPRIM_400000_NS6detail17trampoline_kernelINS0_14default_configENS1_35radix_sort_onesweep_config_selectorIiNS0_10empty_typeEEEZZNS1_29radix_sort_onesweep_iterationIS3_Lb0EN6thrust23THRUST_200600_302600_NS6detail15normal_iteratorINS9_10device_ptrIiEEEESE_PS5_SF_jNS0_19identity_decomposerENS1_16block_id_wrapperIjLb0EEEEE10hipError_tT1_PNSt15iterator_traitsISK_E10value_typeET2_T3_PNSL_ISQ_E10value_typeET4_T5_PSV_SW_PNS1_23onesweep_lookback_stateEbbT6_jjT7_P12ihipStream_tbENKUlT_T0_SK_SP_E_clISE_PiSF_SF_EEDaS13_S14_SK_SP_EUlS13_E_NS1_11comp_targetILNS1_3genE6ELNS1_11target_archE950ELNS1_3gpuE13ELNS1_3repE0EEENS1_47radix_sort_onesweep_sort_config_static_selectorELNS0_4arch9wavefront6targetE1EEEvSK_: ; @_ZN7rocprim17ROCPRIM_400000_NS6detail17trampoline_kernelINS0_14default_configENS1_35radix_sort_onesweep_config_selectorIiNS0_10empty_typeEEEZZNS1_29radix_sort_onesweep_iterationIS3_Lb0EN6thrust23THRUST_200600_302600_NS6detail15normal_iteratorINS9_10device_ptrIiEEEESE_PS5_SF_jNS0_19identity_decomposerENS1_16block_id_wrapperIjLb0EEEEE10hipError_tT1_PNSt15iterator_traitsISK_E10value_typeET2_T3_PNSL_ISQ_E10value_typeET4_T5_PSV_SW_PNS1_23onesweep_lookback_stateEbbT6_jjT7_P12ihipStream_tbENKUlT_T0_SK_SP_E_clISE_PiSF_SF_EEDaS13_S14_SK_SP_EUlS13_E_NS1_11comp_targetILNS1_3genE6ELNS1_11target_archE950ELNS1_3gpuE13ELNS1_3repE0EEENS1_47radix_sort_onesweep_sort_config_static_selectorELNS0_4arch9wavefront6targetE1EEEvSK_
; %bb.0:
	.section	.rodata,"a",@progbits
	.p2align	6, 0x0
	.amdhsa_kernel _ZN7rocprim17ROCPRIM_400000_NS6detail17trampoline_kernelINS0_14default_configENS1_35radix_sort_onesweep_config_selectorIiNS0_10empty_typeEEEZZNS1_29radix_sort_onesweep_iterationIS3_Lb0EN6thrust23THRUST_200600_302600_NS6detail15normal_iteratorINS9_10device_ptrIiEEEESE_PS5_SF_jNS0_19identity_decomposerENS1_16block_id_wrapperIjLb0EEEEE10hipError_tT1_PNSt15iterator_traitsISK_E10value_typeET2_T3_PNSL_ISQ_E10value_typeET4_T5_PSV_SW_PNS1_23onesweep_lookback_stateEbbT6_jjT7_P12ihipStream_tbENKUlT_T0_SK_SP_E_clISE_PiSF_SF_EEDaS13_S14_SK_SP_EUlS13_E_NS1_11comp_targetILNS1_3genE6ELNS1_11target_archE950ELNS1_3gpuE13ELNS1_3repE0EEENS1_47radix_sort_onesweep_sort_config_static_selectorELNS0_4arch9wavefront6targetE1EEEvSK_
		.amdhsa_group_segment_fixed_size 0
		.amdhsa_private_segment_fixed_size 0
		.amdhsa_kernarg_size 88
		.amdhsa_user_sgpr_count 6
		.amdhsa_user_sgpr_private_segment_buffer 1
		.amdhsa_user_sgpr_dispatch_ptr 0
		.amdhsa_user_sgpr_queue_ptr 0
		.amdhsa_user_sgpr_kernarg_segment_ptr 1
		.amdhsa_user_sgpr_dispatch_id 0
		.amdhsa_user_sgpr_flat_scratch_init 0
		.amdhsa_user_sgpr_kernarg_preload_length 0
		.amdhsa_user_sgpr_kernarg_preload_offset 0
		.amdhsa_user_sgpr_private_segment_size 0
		.amdhsa_uses_dynamic_stack 0
		.amdhsa_system_sgpr_private_segment_wavefront_offset 0
		.amdhsa_system_sgpr_workgroup_id_x 1
		.amdhsa_system_sgpr_workgroup_id_y 0
		.amdhsa_system_sgpr_workgroup_id_z 0
		.amdhsa_system_sgpr_workgroup_info 0
		.amdhsa_system_vgpr_workitem_id 0
		.amdhsa_next_free_vgpr 1
		.amdhsa_next_free_sgpr 0
		.amdhsa_accum_offset 4
		.amdhsa_reserve_vcc 0
		.amdhsa_reserve_flat_scratch 0
		.amdhsa_float_round_mode_32 0
		.amdhsa_float_round_mode_16_64 0
		.amdhsa_float_denorm_mode_32 3
		.amdhsa_float_denorm_mode_16_64 3
		.amdhsa_dx10_clamp 1
		.amdhsa_ieee_mode 1
		.amdhsa_fp16_overflow 0
		.amdhsa_tg_split 0
		.amdhsa_exception_fp_ieee_invalid_op 0
		.amdhsa_exception_fp_denorm_src 0
		.amdhsa_exception_fp_ieee_div_zero 0
		.amdhsa_exception_fp_ieee_overflow 0
		.amdhsa_exception_fp_ieee_underflow 0
		.amdhsa_exception_fp_ieee_inexact 0
		.amdhsa_exception_int_div_zero 0
	.end_amdhsa_kernel
	.section	.text._ZN7rocprim17ROCPRIM_400000_NS6detail17trampoline_kernelINS0_14default_configENS1_35radix_sort_onesweep_config_selectorIiNS0_10empty_typeEEEZZNS1_29radix_sort_onesweep_iterationIS3_Lb0EN6thrust23THRUST_200600_302600_NS6detail15normal_iteratorINS9_10device_ptrIiEEEESE_PS5_SF_jNS0_19identity_decomposerENS1_16block_id_wrapperIjLb0EEEEE10hipError_tT1_PNSt15iterator_traitsISK_E10value_typeET2_T3_PNSL_ISQ_E10value_typeET4_T5_PSV_SW_PNS1_23onesweep_lookback_stateEbbT6_jjT7_P12ihipStream_tbENKUlT_T0_SK_SP_E_clISE_PiSF_SF_EEDaS13_S14_SK_SP_EUlS13_E_NS1_11comp_targetILNS1_3genE6ELNS1_11target_archE950ELNS1_3gpuE13ELNS1_3repE0EEENS1_47radix_sort_onesweep_sort_config_static_selectorELNS0_4arch9wavefront6targetE1EEEvSK_,"axG",@progbits,_ZN7rocprim17ROCPRIM_400000_NS6detail17trampoline_kernelINS0_14default_configENS1_35radix_sort_onesweep_config_selectorIiNS0_10empty_typeEEEZZNS1_29radix_sort_onesweep_iterationIS3_Lb0EN6thrust23THRUST_200600_302600_NS6detail15normal_iteratorINS9_10device_ptrIiEEEESE_PS5_SF_jNS0_19identity_decomposerENS1_16block_id_wrapperIjLb0EEEEE10hipError_tT1_PNSt15iterator_traitsISK_E10value_typeET2_T3_PNSL_ISQ_E10value_typeET4_T5_PSV_SW_PNS1_23onesweep_lookback_stateEbbT6_jjT7_P12ihipStream_tbENKUlT_T0_SK_SP_E_clISE_PiSF_SF_EEDaS13_S14_SK_SP_EUlS13_E_NS1_11comp_targetILNS1_3genE6ELNS1_11target_archE950ELNS1_3gpuE13ELNS1_3repE0EEENS1_47radix_sort_onesweep_sort_config_static_selectorELNS0_4arch9wavefront6targetE1EEEvSK_,comdat
.Lfunc_end1783:
	.size	_ZN7rocprim17ROCPRIM_400000_NS6detail17trampoline_kernelINS0_14default_configENS1_35radix_sort_onesweep_config_selectorIiNS0_10empty_typeEEEZZNS1_29radix_sort_onesweep_iterationIS3_Lb0EN6thrust23THRUST_200600_302600_NS6detail15normal_iteratorINS9_10device_ptrIiEEEESE_PS5_SF_jNS0_19identity_decomposerENS1_16block_id_wrapperIjLb0EEEEE10hipError_tT1_PNSt15iterator_traitsISK_E10value_typeET2_T3_PNSL_ISQ_E10value_typeET4_T5_PSV_SW_PNS1_23onesweep_lookback_stateEbbT6_jjT7_P12ihipStream_tbENKUlT_T0_SK_SP_E_clISE_PiSF_SF_EEDaS13_S14_SK_SP_EUlS13_E_NS1_11comp_targetILNS1_3genE6ELNS1_11target_archE950ELNS1_3gpuE13ELNS1_3repE0EEENS1_47radix_sort_onesweep_sort_config_static_selectorELNS0_4arch9wavefront6targetE1EEEvSK_, .Lfunc_end1783-_ZN7rocprim17ROCPRIM_400000_NS6detail17trampoline_kernelINS0_14default_configENS1_35radix_sort_onesweep_config_selectorIiNS0_10empty_typeEEEZZNS1_29radix_sort_onesweep_iterationIS3_Lb0EN6thrust23THRUST_200600_302600_NS6detail15normal_iteratorINS9_10device_ptrIiEEEESE_PS5_SF_jNS0_19identity_decomposerENS1_16block_id_wrapperIjLb0EEEEE10hipError_tT1_PNSt15iterator_traitsISK_E10value_typeET2_T3_PNSL_ISQ_E10value_typeET4_T5_PSV_SW_PNS1_23onesweep_lookback_stateEbbT6_jjT7_P12ihipStream_tbENKUlT_T0_SK_SP_E_clISE_PiSF_SF_EEDaS13_S14_SK_SP_EUlS13_E_NS1_11comp_targetILNS1_3genE6ELNS1_11target_archE950ELNS1_3gpuE13ELNS1_3repE0EEENS1_47radix_sort_onesweep_sort_config_static_selectorELNS0_4arch9wavefront6targetE1EEEvSK_
                                        ; -- End function
	.section	.AMDGPU.csdata,"",@progbits
; Kernel info:
; codeLenInByte = 0
; NumSgprs: 4
; NumVgprs: 0
; NumAgprs: 0
; TotalNumVgprs: 0
; ScratchSize: 0
; MemoryBound: 0
; FloatMode: 240
; IeeeMode: 1
; LDSByteSize: 0 bytes/workgroup (compile time only)
; SGPRBlocks: 0
; VGPRBlocks: 0
; NumSGPRsForWavesPerEU: 4
; NumVGPRsForWavesPerEU: 1
; AccumOffset: 4
; Occupancy: 8
; WaveLimiterHint : 0
; COMPUTE_PGM_RSRC2:SCRATCH_EN: 0
; COMPUTE_PGM_RSRC2:USER_SGPR: 6
; COMPUTE_PGM_RSRC2:TRAP_HANDLER: 0
; COMPUTE_PGM_RSRC2:TGID_X_EN: 1
; COMPUTE_PGM_RSRC2:TGID_Y_EN: 0
; COMPUTE_PGM_RSRC2:TGID_Z_EN: 0
; COMPUTE_PGM_RSRC2:TIDIG_COMP_CNT: 0
; COMPUTE_PGM_RSRC3_GFX90A:ACCUM_OFFSET: 0
; COMPUTE_PGM_RSRC3_GFX90A:TG_SPLIT: 0
	.section	.text._ZN7rocprim17ROCPRIM_400000_NS6detail17trampoline_kernelINS0_14default_configENS1_35radix_sort_onesweep_config_selectorIiNS0_10empty_typeEEEZZNS1_29radix_sort_onesweep_iterationIS3_Lb0EN6thrust23THRUST_200600_302600_NS6detail15normal_iteratorINS9_10device_ptrIiEEEESE_PS5_SF_jNS0_19identity_decomposerENS1_16block_id_wrapperIjLb0EEEEE10hipError_tT1_PNSt15iterator_traitsISK_E10value_typeET2_T3_PNSL_ISQ_E10value_typeET4_T5_PSV_SW_PNS1_23onesweep_lookback_stateEbbT6_jjT7_P12ihipStream_tbENKUlT_T0_SK_SP_E_clISE_PiSF_SF_EEDaS13_S14_SK_SP_EUlS13_E_NS1_11comp_targetILNS1_3genE5ELNS1_11target_archE942ELNS1_3gpuE9ELNS1_3repE0EEENS1_47radix_sort_onesweep_sort_config_static_selectorELNS0_4arch9wavefront6targetE1EEEvSK_,"axG",@progbits,_ZN7rocprim17ROCPRIM_400000_NS6detail17trampoline_kernelINS0_14default_configENS1_35radix_sort_onesweep_config_selectorIiNS0_10empty_typeEEEZZNS1_29radix_sort_onesweep_iterationIS3_Lb0EN6thrust23THRUST_200600_302600_NS6detail15normal_iteratorINS9_10device_ptrIiEEEESE_PS5_SF_jNS0_19identity_decomposerENS1_16block_id_wrapperIjLb0EEEEE10hipError_tT1_PNSt15iterator_traitsISK_E10value_typeET2_T3_PNSL_ISQ_E10value_typeET4_T5_PSV_SW_PNS1_23onesweep_lookback_stateEbbT6_jjT7_P12ihipStream_tbENKUlT_T0_SK_SP_E_clISE_PiSF_SF_EEDaS13_S14_SK_SP_EUlS13_E_NS1_11comp_targetILNS1_3genE5ELNS1_11target_archE942ELNS1_3gpuE9ELNS1_3repE0EEENS1_47radix_sort_onesweep_sort_config_static_selectorELNS0_4arch9wavefront6targetE1EEEvSK_,comdat
	.protected	_ZN7rocprim17ROCPRIM_400000_NS6detail17trampoline_kernelINS0_14default_configENS1_35radix_sort_onesweep_config_selectorIiNS0_10empty_typeEEEZZNS1_29radix_sort_onesweep_iterationIS3_Lb0EN6thrust23THRUST_200600_302600_NS6detail15normal_iteratorINS9_10device_ptrIiEEEESE_PS5_SF_jNS0_19identity_decomposerENS1_16block_id_wrapperIjLb0EEEEE10hipError_tT1_PNSt15iterator_traitsISK_E10value_typeET2_T3_PNSL_ISQ_E10value_typeET4_T5_PSV_SW_PNS1_23onesweep_lookback_stateEbbT6_jjT7_P12ihipStream_tbENKUlT_T0_SK_SP_E_clISE_PiSF_SF_EEDaS13_S14_SK_SP_EUlS13_E_NS1_11comp_targetILNS1_3genE5ELNS1_11target_archE942ELNS1_3gpuE9ELNS1_3repE0EEENS1_47radix_sort_onesweep_sort_config_static_selectorELNS0_4arch9wavefront6targetE1EEEvSK_ ; -- Begin function _ZN7rocprim17ROCPRIM_400000_NS6detail17trampoline_kernelINS0_14default_configENS1_35radix_sort_onesweep_config_selectorIiNS0_10empty_typeEEEZZNS1_29radix_sort_onesweep_iterationIS3_Lb0EN6thrust23THRUST_200600_302600_NS6detail15normal_iteratorINS9_10device_ptrIiEEEESE_PS5_SF_jNS0_19identity_decomposerENS1_16block_id_wrapperIjLb0EEEEE10hipError_tT1_PNSt15iterator_traitsISK_E10value_typeET2_T3_PNSL_ISQ_E10value_typeET4_T5_PSV_SW_PNS1_23onesweep_lookback_stateEbbT6_jjT7_P12ihipStream_tbENKUlT_T0_SK_SP_E_clISE_PiSF_SF_EEDaS13_S14_SK_SP_EUlS13_E_NS1_11comp_targetILNS1_3genE5ELNS1_11target_archE942ELNS1_3gpuE9ELNS1_3repE0EEENS1_47radix_sort_onesweep_sort_config_static_selectorELNS0_4arch9wavefront6targetE1EEEvSK_
	.globl	_ZN7rocprim17ROCPRIM_400000_NS6detail17trampoline_kernelINS0_14default_configENS1_35radix_sort_onesweep_config_selectorIiNS0_10empty_typeEEEZZNS1_29radix_sort_onesweep_iterationIS3_Lb0EN6thrust23THRUST_200600_302600_NS6detail15normal_iteratorINS9_10device_ptrIiEEEESE_PS5_SF_jNS0_19identity_decomposerENS1_16block_id_wrapperIjLb0EEEEE10hipError_tT1_PNSt15iterator_traitsISK_E10value_typeET2_T3_PNSL_ISQ_E10value_typeET4_T5_PSV_SW_PNS1_23onesweep_lookback_stateEbbT6_jjT7_P12ihipStream_tbENKUlT_T0_SK_SP_E_clISE_PiSF_SF_EEDaS13_S14_SK_SP_EUlS13_E_NS1_11comp_targetILNS1_3genE5ELNS1_11target_archE942ELNS1_3gpuE9ELNS1_3repE0EEENS1_47radix_sort_onesweep_sort_config_static_selectorELNS0_4arch9wavefront6targetE1EEEvSK_
	.p2align	8
	.type	_ZN7rocprim17ROCPRIM_400000_NS6detail17trampoline_kernelINS0_14default_configENS1_35radix_sort_onesweep_config_selectorIiNS0_10empty_typeEEEZZNS1_29radix_sort_onesweep_iterationIS3_Lb0EN6thrust23THRUST_200600_302600_NS6detail15normal_iteratorINS9_10device_ptrIiEEEESE_PS5_SF_jNS0_19identity_decomposerENS1_16block_id_wrapperIjLb0EEEEE10hipError_tT1_PNSt15iterator_traitsISK_E10value_typeET2_T3_PNSL_ISQ_E10value_typeET4_T5_PSV_SW_PNS1_23onesweep_lookback_stateEbbT6_jjT7_P12ihipStream_tbENKUlT_T0_SK_SP_E_clISE_PiSF_SF_EEDaS13_S14_SK_SP_EUlS13_E_NS1_11comp_targetILNS1_3genE5ELNS1_11target_archE942ELNS1_3gpuE9ELNS1_3repE0EEENS1_47radix_sort_onesweep_sort_config_static_selectorELNS0_4arch9wavefront6targetE1EEEvSK_,@function
_ZN7rocprim17ROCPRIM_400000_NS6detail17trampoline_kernelINS0_14default_configENS1_35radix_sort_onesweep_config_selectorIiNS0_10empty_typeEEEZZNS1_29radix_sort_onesweep_iterationIS3_Lb0EN6thrust23THRUST_200600_302600_NS6detail15normal_iteratorINS9_10device_ptrIiEEEESE_PS5_SF_jNS0_19identity_decomposerENS1_16block_id_wrapperIjLb0EEEEE10hipError_tT1_PNSt15iterator_traitsISK_E10value_typeET2_T3_PNSL_ISQ_E10value_typeET4_T5_PSV_SW_PNS1_23onesweep_lookback_stateEbbT6_jjT7_P12ihipStream_tbENKUlT_T0_SK_SP_E_clISE_PiSF_SF_EEDaS13_S14_SK_SP_EUlS13_E_NS1_11comp_targetILNS1_3genE5ELNS1_11target_archE942ELNS1_3gpuE9ELNS1_3repE0EEENS1_47radix_sort_onesweep_sort_config_static_selectorELNS0_4arch9wavefront6targetE1EEEvSK_: ; @_ZN7rocprim17ROCPRIM_400000_NS6detail17trampoline_kernelINS0_14default_configENS1_35radix_sort_onesweep_config_selectorIiNS0_10empty_typeEEEZZNS1_29radix_sort_onesweep_iterationIS3_Lb0EN6thrust23THRUST_200600_302600_NS6detail15normal_iteratorINS9_10device_ptrIiEEEESE_PS5_SF_jNS0_19identity_decomposerENS1_16block_id_wrapperIjLb0EEEEE10hipError_tT1_PNSt15iterator_traitsISK_E10value_typeET2_T3_PNSL_ISQ_E10value_typeET4_T5_PSV_SW_PNS1_23onesweep_lookback_stateEbbT6_jjT7_P12ihipStream_tbENKUlT_T0_SK_SP_E_clISE_PiSF_SF_EEDaS13_S14_SK_SP_EUlS13_E_NS1_11comp_targetILNS1_3genE5ELNS1_11target_archE942ELNS1_3gpuE9ELNS1_3repE0EEENS1_47radix_sort_onesweep_sort_config_static_selectorELNS0_4arch9wavefront6targetE1EEEvSK_
; %bb.0:
	.section	.rodata,"a",@progbits
	.p2align	6, 0x0
	.amdhsa_kernel _ZN7rocprim17ROCPRIM_400000_NS6detail17trampoline_kernelINS0_14default_configENS1_35radix_sort_onesweep_config_selectorIiNS0_10empty_typeEEEZZNS1_29radix_sort_onesweep_iterationIS3_Lb0EN6thrust23THRUST_200600_302600_NS6detail15normal_iteratorINS9_10device_ptrIiEEEESE_PS5_SF_jNS0_19identity_decomposerENS1_16block_id_wrapperIjLb0EEEEE10hipError_tT1_PNSt15iterator_traitsISK_E10value_typeET2_T3_PNSL_ISQ_E10value_typeET4_T5_PSV_SW_PNS1_23onesweep_lookback_stateEbbT6_jjT7_P12ihipStream_tbENKUlT_T0_SK_SP_E_clISE_PiSF_SF_EEDaS13_S14_SK_SP_EUlS13_E_NS1_11comp_targetILNS1_3genE5ELNS1_11target_archE942ELNS1_3gpuE9ELNS1_3repE0EEENS1_47radix_sort_onesweep_sort_config_static_selectorELNS0_4arch9wavefront6targetE1EEEvSK_
		.amdhsa_group_segment_fixed_size 0
		.amdhsa_private_segment_fixed_size 0
		.amdhsa_kernarg_size 88
		.amdhsa_user_sgpr_count 6
		.amdhsa_user_sgpr_private_segment_buffer 1
		.amdhsa_user_sgpr_dispatch_ptr 0
		.amdhsa_user_sgpr_queue_ptr 0
		.amdhsa_user_sgpr_kernarg_segment_ptr 1
		.amdhsa_user_sgpr_dispatch_id 0
		.amdhsa_user_sgpr_flat_scratch_init 0
		.amdhsa_user_sgpr_kernarg_preload_length 0
		.amdhsa_user_sgpr_kernarg_preload_offset 0
		.amdhsa_user_sgpr_private_segment_size 0
		.amdhsa_uses_dynamic_stack 0
		.amdhsa_system_sgpr_private_segment_wavefront_offset 0
		.amdhsa_system_sgpr_workgroup_id_x 1
		.amdhsa_system_sgpr_workgroup_id_y 0
		.amdhsa_system_sgpr_workgroup_id_z 0
		.amdhsa_system_sgpr_workgroup_info 0
		.amdhsa_system_vgpr_workitem_id 0
		.amdhsa_next_free_vgpr 1
		.amdhsa_next_free_sgpr 0
		.amdhsa_accum_offset 4
		.amdhsa_reserve_vcc 0
		.amdhsa_reserve_flat_scratch 0
		.amdhsa_float_round_mode_32 0
		.amdhsa_float_round_mode_16_64 0
		.amdhsa_float_denorm_mode_32 3
		.amdhsa_float_denorm_mode_16_64 3
		.amdhsa_dx10_clamp 1
		.amdhsa_ieee_mode 1
		.amdhsa_fp16_overflow 0
		.amdhsa_tg_split 0
		.amdhsa_exception_fp_ieee_invalid_op 0
		.amdhsa_exception_fp_denorm_src 0
		.amdhsa_exception_fp_ieee_div_zero 0
		.amdhsa_exception_fp_ieee_overflow 0
		.amdhsa_exception_fp_ieee_underflow 0
		.amdhsa_exception_fp_ieee_inexact 0
		.amdhsa_exception_int_div_zero 0
	.end_amdhsa_kernel
	.section	.text._ZN7rocprim17ROCPRIM_400000_NS6detail17trampoline_kernelINS0_14default_configENS1_35radix_sort_onesweep_config_selectorIiNS0_10empty_typeEEEZZNS1_29radix_sort_onesweep_iterationIS3_Lb0EN6thrust23THRUST_200600_302600_NS6detail15normal_iteratorINS9_10device_ptrIiEEEESE_PS5_SF_jNS0_19identity_decomposerENS1_16block_id_wrapperIjLb0EEEEE10hipError_tT1_PNSt15iterator_traitsISK_E10value_typeET2_T3_PNSL_ISQ_E10value_typeET4_T5_PSV_SW_PNS1_23onesweep_lookback_stateEbbT6_jjT7_P12ihipStream_tbENKUlT_T0_SK_SP_E_clISE_PiSF_SF_EEDaS13_S14_SK_SP_EUlS13_E_NS1_11comp_targetILNS1_3genE5ELNS1_11target_archE942ELNS1_3gpuE9ELNS1_3repE0EEENS1_47radix_sort_onesweep_sort_config_static_selectorELNS0_4arch9wavefront6targetE1EEEvSK_,"axG",@progbits,_ZN7rocprim17ROCPRIM_400000_NS6detail17trampoline_kernelINS0_14default_configENS1_35radix_sort_onesweep_config_selectorIiNS0_10empty_typeEEEZZNS1_29radix_sort_onesweep_iterationIS3_Lb0EN6thrust23THRUST_200600_302600_NS6detail15normal_iteratorINS9_10device_ptrIiEEEESE_PS5_SF_jNS0_19identity_decomposerENS1_16block_id_wrapperIjLb0EEEEE10hipError_tT1_PNSt15iterator_traitsISK_E10value_typeET2_T3_PNSL_ISQ_E10value_typeET4_T5_PSV_SW_PNS1_23onesweep_lookback_stateEbbT6_jjT7_P12ihipStream_tbENKUlT_T0_SK_SP_E_clISE_PiSF_SF_EEDaS13_S14_SK_SP_EUlS13_E_NS1_11comp_targetILNS1_3genE5ELNS1_11target_archE942ELNS1_3gpuE9ELNS1_3repE0EEENS1_47radix_sort_onesweep_sort_config_static_selectorELNS0_4arch9wavefront6targetE1EEEvSK_,comdat
.Lfunc_end1784:
	.size	_ZN7rocprim17ROCPRIM_400000_NS6detail17trampoline_kernelINS0_14default_configENS1_35radix_sort_onesweep_config_selectorIiNS0_10empty_typeEEEZZNS1_29radix_sort_onesweep_iterationIS3_Lb0EN6thrust23THRUST_200600_302600_NS6detail15normal_iteratorINS9_10device_ptrIiEEEESE_PS5_SF_jNS0_19identity_decomposerENS1_16block_id_wrapperIjLb0EEEEE10hipError_tT1_PNSt15iterator_traitsISK_E10value_typeET2_T3_PNSL_ISQ_E10value_typeET4_T5_PSV_SW_PNS1_23onesweep_lookback_stateEbbT6_jjT7_P12ihipStream_tbENKUlT_T0_SK_SP_E_clISE_PiSF_SF_EEDaS13_S14_SK_SP_EUlS13_E_NS1_11comp_targetILNS1_3genE5ELNS1_11target_archE942ELNS1_3gpuE9ELNS1_3repE0EEENS1_47radix_sort_onesweep_sort_config_static_selectorELNS0_4arch9wavefront6targetE1EEEvSK_, .Lfunc_end1784-_ZN7rocprim17ROCPRIM_400000_NS6detail17trampoline_kernelINS0_14default_configENS1_35radix_sort_onesweep_config_selectorIiNS0_10empty_typeEEEZZNS1_29radix_sort_onesweep_iterationIS3_Lb0EN6thrust23THRUST_200600_302600_NS6detail15normal_iteratorINS9_10device_ptrIiEEEESE_PS5_SF_jNS0_19identity_decomposerENS1_16block_id_wrapperIjLb0EEEEE10hipError_tT1_PNSt15iterator_traitsISK_E10value_typeET2_T3_PNSL_ISQ_E10value_typeET4_T5_PSV_SW_PNS1_23onesweep_lookback_stateEbbT6_jjT7_P12ihipStream_tbENKUlT_T0_SK_SP_E_clISE_PiSF_SF_EEDaS13_S14_SK_SP_EUlS13_E_NS1_11comp_targetILNS1_3genE5ELNS1_11target_archE942ELNS1_3gpuE9ELNS1_3repE0EEENS1_47radix_sort_onesweep_sort_config_static_selectorELNS0_4arch9wavefront6targetE1EEEvSK_
                                        ; -- End function
	.section	.AMDGPU.csdata,"",@progbits
; Kernel info:
; codeLenInByte = 0
; NumSgprs: 4
; NumVgprs: 0
; NumAgprs: 0
; TotalNumVgprs: 0
; ScratchSize: 0
; MemoryBound: 0
; FloatMode: 240
; IeeeMode: 1
; LDSByteSize: 0 bytes/workgroup (compile time only)
; SGPRBlocks: 0
; VGPRBlocks: 0
; NumSGPRsForWavesPerEU: 4
; NumVGPRsForWavesPerEU: 1
; AccumOffset: 4
; Occupancy: 8
; WaveLimiterHint : 0
; COMPUTE_PGM_RSRC2:SCRATCH_EN: 0
; COMPUTE_PGM_RSRC2:USER_SGPR: 6
; COMPUTE_PGM_RSRC2:TRAP_HANDLER: 0
; COMPUTE_PGM_RSRC2:TGID_X_EN: 1
; COMPUTE_PGM_RSRC2:TGID_Y_EN: 0
; COMPUTE_PGM_RSRC2:TGID_Z_EN: 0
; COMPUTE_PGM_RSRC2:TIDIG_COMP_CNT: 0
; COMPUTE_PGM_RSRC3_GFX90A:ACCUM_OFFSET: 0
; COMPUTE_PGM_RSRC3_GFX90A:TG_SPLIT: 0
	.section	.text._ZN7rocprim17ROCPRIM_400000_NS6detail17trampoline_kernelINS0_14default_configENS1_35radix_sort_onesweep_config_selectorIiNS0_10empty_typeEEEZZNS1_29radix_sort_onesweep_iterationIS3_Lb0EN6thrust23THRUST_200600_302600_NS6detail15normal_iteratorINS9_10device_ptrIiEEEESE_PS5_SF_jNS0_19identity_decomposerENS1_16block_id_wrapperIjLb0EEEEE10hipError_tT1_PNSt15iterator_traitsISK_E10value_typeET2_T3_PNSL_ISQ_E10value_typeET4_T5_PSV_SW_PNS1_23onesweep_lookback_stateEbbT6_jjT7_P12ihipStream_tbENKUlT_T0_SK_SP_E_clISE_PiSF_SF_EEDaS13_S14_SK_SP_EUlS13_E_NS1_11comp_targetILNS1_3genE2ELNS1_11target_archE906ELNS1_3gpuE6ELNS1_3repE0EEENS1_47radix_sort_onesweep_sort_config_static_selectorELNS0_4arch9wavefront6targetE1EEEvSK_,"axG",@progbits,_ZN7rocprim17ROCPRIM_400000_NS6detail17trampoline_kernelINS0_14default_configENS1_35radix_sort_onesweep_config_selectorIiNS0_10empty_typeEEEZZNS1_29radix_sort_onesweep_iterationIS3_Lb0EN6thrust23THRUST_200600_302600_NS6detail15normal_iteratorINS9_10device_ptrIiEEEESE_PS5_SF_jNS0_19identity_decomposerENS1_16block_id_wrapperIjLb0EEEEE10hipError_tT1_PNSt15iterator_traitsISK_E10value_typeET2_T3_PNSL_ISQ_E10value_typeET4_T5_PSV_SW_PNS1_23onesweep_lookback_stateEbbT6_jjT7_P12ihipStream_tbENKUlT_T0_SK_SP_E_clISE_PiSF_SF_EEDaS13_S14_SK_SP_EUlS13_E_NS1_11comp_targetILNS1_3genE2ELNS1_11target_archE906ELNS1_3gpuE6ELNS1_3repE0EEENS1_47radix_sort_onesweep_sort_config_static_selectorELNS0_4arch9wavefront6targetE1EEEvSK_,comdat
	.protected	_ZN7rocprim17ROCPRIM_400000_NS6detail17trampoline_kernelINS0_14default_configENS1_35radix_sort_onesweep_config_selectorIiNS0_10empty_typeEEEZZNS1_29radix_sort_onesweep_iterationIS3_Lb0EN6thrust23THRUST_200600_302600_NS6detail15normal_iteratorINS9_10device_ptrIiEEEESE_PS5_SF_jNS0_19identity_decomposerENS1_16block_id_wrapperIjLb0EEEEE10hipError_tT1_PNSt15iterator_traitsISK_E10value_typeET2_T3_PNSL_ISQ_E10value_typeET4_T5_PSV_SW_PNS1_23onesweep_lookback_stateEbbT6_jjT7_P12ihipStream_tbENKUlT_T0_SK_SP_E_clISE_PiSF_SF_EEDaS13_S14_SK_SP_EUlS13_E_NS1_11comp_targetILNS1_3genE2ELNS1_11target_archE906ELNS1_3gpuE6ELNS1_3repE0EEENS1_47radix_sort_onesweep_sort_config_static_selectorELNS0_4arch9wavefront6targetE1EEEvSK_ ; -- Begin function _ZN7rocprim17ROCPRIM_400000_NS6detail17trampoline_kernelINS0_14default_configENS1_35radix_sort_onesweep_config_selectorIiNS0_10empty_typeEEEZZNS1_29radix_sort_onesweep_iterationIS3_Lb0EN6thrust23THRUST_200600_302600_NS6detail15normal_iteratorINS9_10device_ptrIiEEEESE_PS5_SF_jNS0_19identity_decomposerENS1_16block_id_wrapperIjLb0EEEEE10hipError_tT1_PNSt15iterator_traitsISK_E10value_typeET2_T3_PNSL_ISQ_E10value_typeET4_T5_PSV_SW_PNS1_23onesweep_lookback_stateEbbT6_jjT7_P12ihipStream_tbENKUlT_T0_SK_SP_E_clISE_PiSF_SF_EEDaS13_S14_SK_SP_EUlS13_E_NS1_11comp_targetILNS1_3genE2ELNS1_11target_archE906ELNS1_3gpuE6ELNS1_3repE0EEENS1_47radix_sort_onesweep_sort_config_static_selectorELNS0_4arch9wavefront6targetE1EEEvSK_
	.globl	_ZN7rocprim17ROCPRIM_400000_NS6detail17trampoline_kernelINS0_14default_configENS1_35radix_sort_onesweep_config_selectorIiNS0_10empty_typeEEEZZNS1_29radix_sort_onesweep_iterationIS3_Lb0EN6thrust23THRUST_200600_302600_NS6detail15normal_iteratorINS9_10device_ptrIiEEEESE_PS5_SF_jNS0_19identity_decomposerENS1_16block_id_wrapperIjLb0EEEEE10hipError_tT1_PNSt15iterator_traitsISK_E10value_typeET2_T3_PNSL_ISQ_E10value_typeET4_T5_PSV_SW_PNS1_23onesweep_lookback_stateEbbT6_jjT7_P12ihipStream_tbENKUlT_T0_SK_SP_E_clISE_PiSF_SF_EEDaS13_S14_SK_SP_EUlS13_E_NS1_11comp_targetILNS1_3genE2ELNS1_11target_archE906ELNS1_3gpuE6ELNS1_3repE0EEENS1_47radix_sort_onesweep_sort_config_static_selectorELNS0_4arch9wavefront6targetE1EEEvSK_
	.p2align	8
	.type	_ZN7rocprim17ROCPRIM_400000_NS6detail17trampoline_kernelINS0_14default_configENS1_35radix_sort_onesweep_config_selectorIiNS0_10empty_typeEEEZZNS1_29radix_sort_onesweep_iterationIS3_Lb0EN6thrust23THRUST_200600_302600_NS6detail15normal_iteratorINS9_10device_ptrIiEEEESE_PS5_SF_jNS0_19identity_decomposerENS1_16block_id_wrapperIjLb0EEEEE10hipError_tT1_PNSt15iterator_traitsISK_E10value_typeET2_T3_PNSL_ISQ_E10value_typeET4_T5_PSV_SW_PNS1_23onesweep_lookback_stateEbbT6_jjT7_P12ihipStream_tbENKUlT_T0_SK_SP_E_clISE_PiSF_SF_EEDaS13_S14_SK_SP_EUlS13_E_NS1_11comp_targetILNS1_3genE2ELNS1_11target_archE906ELNS1_3gpuE6ELNS1_3repE0EEENS1_47radix_sort_onesweep_sort_config_static_selectorELNS0_4arch9wavefront6targetE1EEEvSK_,@function
_ZN7rocprim17ROCPRIM_400000_NS6detail17trampoline_kernelINS0_14default_configENS1_35radix_sort_onesweep_config_selectorIiNS0_10empty_typeEEEZZNS1_29radix_sort_onesweep_iterationIS3_Lb0EN6thrust23THRUST_200600_302600_NS6detail15normal_iteratorINS9_10device_ptrIiEEEESE_PS5_SF_jNS0_19identity_decomposerENS1_16block_id_wrapperIjLb0EEEEE10hipError_tT1_PNSt15iterator_traitsISK_E10value_typeET2_T3_PNSL_ISQ_E10value_typeET4_T5_PSV_SW_PNS1_23onesweep_lookback_stateEbbT6_jjT7_P12ihipStream_tbENKUlT_T0_SK_SP_E_clISE_PiSF_SF_EEDaS13_S14_SK_SP_EUlS13_E_NS1_11comp_targetILNS1_3genE2ELNS1_11target_archE906ELNS1_3gpuE6ELNS1_3repE0EEENS1_47radix_sort_onesweep_sort_config_static_selectorELNS0_4arch9wavefront6targetE1EEEvSK_: ; @_ZN7rocprim17ROCPRIM_400000_NS6detail17trampoline_kernelINS0_14default_configENS1_35radix_sort_onesweep_config_selectorIiNS0_10empty_typeEEEZZNS1_29radix_sort_onesweep_iterationIS3_Lb0EN6thrust23THRUST_200600_302600_NS6detail15normal_iteratorINS9_10device_ptrIiEEEESE_PS5_SF_jNS0_19identity_decomposerENS1_16block_id_wrapperIjLb0EEEEE10hipError_tT1_PNSt15iterator_traitsISK_E10value_typeET2_T3_PNSL_ISQ_E10value_typeET4_T5_PSV_SW_PNS1_23onesweep_lookback_stateEbbT6_jjT7_P12ihipStream_tbENKUlT_T0_SK_SP_E_clISE_PiSF_SF_EEDaS13_S14_SK_SP_EUlS13_E_NS1_11comp_targetILNS1_3genE2ELNS1_11target_archE906ELNS1_3gpuE6ELNS1_3repE0EEENS1_47radix_sort_onesweep_sort_config_static_selectorELNS0_4arch9wavefront6targetE1EEEvSK_
; %bb.0:
	.section	.rodata,"a",@progbits
	.p2align	6, 0x0
	.amdhsa_kernel _ZN7rocprim17ROCPRIM_400000_NS6detail17trampoline_kernelINS0_14default_configENS1_35radix_sort_onesweep_config_selectorIiNS0_10empty_typeEEEZZNS1_29radix_sort_onesweep_iterationIS3_Lb0EN6thrust23THRUST_200600_302600_NS6detail15normal_iteratorINS9_10device_ptrIiEEEESE_PS5_SF_jNS0_19identity_decomposerENS1_16block_id_wrapperIjLb0EEEEE10hipError_tT1_PNSt15iterator_traitsISK_E10value_typeET2_T3_PNSL_ISQ_E10value_typeET4_T5_PSV_SW_PNS1_23onesweep_lookback_stateEbbT6_jjT7_P12ihipStream_tbENKUlT_T0_SK_SP_E_clISE_PiSF_SF_EEDaS13_S14_SK_SP_EUlS13_E_NS1_11comp_targetILNS1_3genE2ELNS1_11target_archE906ELNS1_3gpuE6ELNS1_3repE0EEENS1_47radix_sort_onesweep_sort_config_static_selectorELNS0_4arch9wavefront6targetE1EEEvSK_
		.amdhsa_group_segment_fixed_size 0
		.amdhsa_private_segment_fixed_size 0
		.amdhsa_kernarg_size 88
		.amdhsa_user_sgpr_count 6
		.amdhsa_user_sgpr_private_segment_buffer 1
		.amdhsa_user_sgpr_dispatch_ptr 0
		.amdhsa_user_sgpr_queue_ptr 0
		.amdhsa_user_sgpr_kernarg_segment_ptr 1
		.amdhsa_user_sgpr_dispatch_id 0
		.amdhsa_user_sgpr_flat_scratch_init 0
		.amdhsa_user_sgpr_kernarg_preload_length 0
		.amdhsa_user_sgpr_kernarg_preload_offset 0
		.amdhsa_user_sgpr_private_segment_size 0
		.amdhsa_uses_dynamic_stack 0
		.amdhsa_system_sgpr_private_segment_wavefront_offset 0
		.amdhsa_system_sgpr_workgroup_id_x 1
		.amdhsa_system_sgpr_workgroup_id_y 0
		.amdhsa_system_sgpr_workgroup_id_z 0
		.amdhsa_system_sgpr_workgroup_info 0
		.amdhsa_system_vgpr_workitem_id 0
		.amdhsa_next_free_vgpr 1
		.amdhsa_next_free_sgpr 0
		.amdhsa_accum_offset 4
		.amdhsa_reserve_vcc 0
		.amdhsa_reserve_flat_scratch 0
		.amdhsa_float_round_mode_32 0
		.amdhsa_float_round_mode_16_64 0
		.amdhsa_float_denorm_mode_32 3
		.amdhsa_float_denorm_mode_16_64 3
		.amdhsa_dx10_clamp 1
		.amdhsa_ieee_mode 1
		.amdhsa_fp16_overflow 0
		.amdhsa_tg_split 0
		.amdhsa_exception_fp_ieee_invalid_op 0
		.amdhsa_exception_fp_denorm_src 0
		.amdhsa_exception_fp_ieee_div_zero 0
		.amdhsa_exception_fp_ieee_overflow 0
		.amdhsa_exception_fp_ieee_underflow 0
		.amdhsa_exception_fp_ieee_inexact 0
		.amdhsa_exception_int_div_zero 0
	.end_amdhsa_kernel
	.section	.text._ZN7rocprim17ROCPRIM_400000_NS6detail17trampoline_kernelINS0_14default_configENS1_35radix_sort_onesweep_config_selectorIiNS0_10empty_typeEEEZZNS1_29radix_sort_onesweep_iterationIS3_Lb0EN6thrust23THRUST_200600_302600_NS6detail15normal_iteratorINS9_10device_ptrIiEEEESE_PS5_SF_jNS0_19identity_decomposerENS1_16block_id_wrapperIjLb0EEEEE10hipError_tT1_PNSt15iterator_traitsISK_E10value_typeET2_T3_PNSL_ISQ_E10value_typeET4_T5_PSV_SW_PNS1_23onesweep_lookback_stateEbbT6_jjT7_P12ihipStream_tbENKUlT_T0_SK_SP_E_clISE_PiSF_SF_EEDaS13_S14_SK_SP_EUlS13_E_NS1_11comp_targetILNS1_3genE2ELNS1_11target_archE906ELNS1_3gpuE6ELNS1_3repE0EEENS1_47radix_sort_onesweep_sort_config_static_selectorELNS0_4arch9wavefront6targetE1EEEvSK_,"axG",@progbits,_ZN7rocprim17ROCPRIM_400000_NS6detail17trampoline_kernelINS0_14default_configENS1_35radix_sort_onesweep_config_selectorIiNS0_10empty_typeEEEZZNS1_29radix_sort_onesweep_iterationIS3_Lb0EN6thrust23THRUST_200600_302600_NS6detail15normal_iteratorINS9_10device_ptrIiEEEESE_PS5_SF_jNS0_19identity_decomposerENS1_16block_id_wrapperIjLb0EEEEE10hipError_tT1_PNSt15iterator_traitsISK_E10value_typeET2_T3_PNSL_ISQ_E10value_typeET4_T5_PSV_SW_PNS1_23onesweep_lookback_stateEbbT6_jjT7_P12ihipStream_tbENKUlT_T0_SK_SP_E_clISE_PiSF_SF_EEDaS13_S14_SK_SP_EUlS13_E_NS1_11comp_targetILNS1_3genE2ELNS1_11target_archE906ELNS1_3gpuE6ELNS1_3repE0EEENS1_47radix_sort_onesweep_sort_config_static_selectorELNS0_4arch9wavefront6targetE1EEEvSK_,comdat
.Lfunc_end1785:
	.size	_ZN7rocprim17ROCPRIM_400000_NS6detail17trampoline_kernelINS0_14default_configENS1_35radix_sort_onesweep_config_selectorIiNS0_10empty_typeEEEZZNS1_29radix_sort_onesweep_iterationIS3_Lb0EN6thrust23THRUST_200600_302600_NS6detail15normal_iteratorINS9_10device_ptrIiEEEESE_PS5_SF_jNS0_19identity_decomposerENS1_16block_id_wrapperIjLb0EEEEE10hipError_tT1_PNSt15iterator_traitsISK_E10value_typeET2_T3_PNSL_ISQ_E10value_typeET4_T5_PSV_SW_PNS1_23onesweep_lookback_stateEbbT6_jjT7_P12ihipStream_tbENKUlT_T0_SK_SP_E_clISE_PiSF_SF_EEDaS13_S14_SK_SP_EUlS13_E_NS1_11comp_targetILNS1_3genE2ELNS1_11target_archE906ELNS1_3gpuE6ELNS1_3repE0EEENS1_47radix_sort_onesweep_sort_config_static_selectorELNS0_4arch9wavefront6targetE1EEEvSK_, .Lfunc_end1785-_ZN7rocprim17ROCPRIM_400000_NS6detail17trampoline_kernelINS0_14default_configENS1_35radix_sort_onesweep_config_selectorIiNS0_10empty_typeEEEZZNS1_29radix_sort_onesweep_iterationIS3_Lb0EN6thrust23THRUST_200600_302600_NS6detail15normal_iteratorINS9_10device_ptrIiEEEESE_PS5_SF_jNS0_19identity_decomposerENS1_16block_id_wrapperIjLb0EEEEE10hipError_tT1_PNSt15iterator_traitsISK_E10value_typeET2_T3_PNSL_ISQ_E10value_typeET4_T5_PSV_SW_PNS1_23onesweep_lookback_stateEbbT6_jjT7_P12ihipStream_tbENKUlT_T0_SK_SP_E_clISE_PiSF_SF_EEDaS13_S14_SK_SP_EUlS13_E_NS1_11comp_targetILNS1_3genE2ELNS1_11target_archE906ELNS1_3gpuE6ELNS1_3repE0EEENS1_47radix_sort_onesweep_sort_config_static_selectorELNS0_4arch9wavefront6targetE1EEEvSK_
                                        ; -- End function
	.section	.AMDGPU.csdata,"",@progbits
; Kernel info:
; codeLenInByte = 0
; NumSgprs: 4
; NumVgprs: 0
; NumAgprs: 0
; TotalNumVgprs: 0
; ScratchSize: 0
; MemoryBound: 0
; FloatMode: 240
; IeeeMode: 1
; LDSByteSize: 0 bytes/workgroup (compile time only)
; SGPRBlocks: 0
; VGPRBlocks: 0
; NumSGPRsForWavesPerEU: 4
; NumVGPRsForWavesPerEU: 1
; AccumOffset: 4
; Occupancy: 8
; WaveLimiterHint : 0
; COMPUTE_PGM_RSRC2:SCRATCH_EN: 0
; COMPUTE_PGM_RSRC2:USER_SGPR: 6
; COMPUTE_PGM_RSRC2:TRAP_HANDLER: 0
; COMPUTE_PGM_RSRC2:TGID_X_EN: 1
; COMPUTE_PGM_RSRC2:TGID_Y_EN: 0
; COMPUTE_PGM_RSRC2:TGID_Z_EN: 0
; COMPUTE_PGM_RSRC2:TIDIG_COMP_CNT: 0
; COMPUTE_PGM_RSRC3_GFX90A:ACCUM_OFFSET: 0
; COMPUTE_PGM_RSRC3_GFX90A:TG_SPLIT: 0
	.section	.text._ZN7rocprim17ROCPRIM_400000_NS6detail17trampoline_kernelINS0_14default_configENS1_35radix_sort_onesweep_config_selectorIiNS0_10empty_typeEEEZZNS1_29radix_sort_onesweep_iterationIS3_Lb0EN6thrust23THRUST_200600_302600_NS6detail15normal_iteratorINS9_10device_ptrIiEEEESE_PS5_SF_jNS0_19identity_decomposerENS1_16block_id_wrapperIjLb0EEEEE10hipError_tT1_PNSt15iterator_traitsISK_E10value_typeET2_T3_PNSL_ISQ_E10value_typeET4_T5_PSV_SW_PNS1_23onesweep_lookback_stateEbbT6_jjT7_P12ihipStream_tbENKUlT_T0_SK_SP_E_clISE_PiSF_SF_EEDaS13_S14_SK_SP_EUlS13_E_NS1_11comp_targetILNS1_3genE4ELNS1_11target_archE910ELNS1_3gpuE8ELNS1_3repE0EEENS1_47radix_sort_onesweep_sort_config_static_selectorELNS0_4arch9wavefront6targetE1EEEvSK_,"axG",@progbits,_ZN7rocprim17ROCPRIM_400000_NS6detail17trampoline_kernelINS0_14default_configENS1_35radix_sort_onesweep_config_selectorIiNS0_10empty_typeEEEZZNS1_29radix_sort_onesweep_iterationIS3_Lb0EN6thrust23THRUST_200600_302600_NS6detail15normal_iteratorINS9_10device_ptrIiEEEESE_PS5_SF_jNS0_19identity_decomposerENS1_16block_id_wrapperIjLb0EEEEE10hipError_tT1_PNSt15iterator_traitsISK_E10value_typeET2_T3_PNSL_ISQ_E10value_typeET4_T5_PSV_SW_PNS1_23onesweep_lookback_stateEbbT6_jjT7_P12ihipStream_tbENKUlT_T0_SK_SP_E_clISE_PiSF_SF_EEDaS13_S14_SK_SP_EUlS13_E_NS1_11comp_targetILNS1_3genE4ELNS1_11target_archE910ELNS1_3gpuE8ELNS1_3repE0EEENS1_47radix_sort_onesweep_sort_config_static_selectorELNS0_4arch9wavefront6targetE1EEEvSK_,comdat
	.protected	_ZN7rocprim17ROCPRIM_400000_NS6detail17trampoline_kernelINS0_14default_configENS1_35radix_sort_onesweep_config_selectorIiNS0_10empty_typeEEEZZNS1_29radix_sort_onesweep_iterationIS3_Lb0EN6thrust23THRUST_200600_302600_NS6detail15normal_iteratorINS9_10device_ptrIiEEEESE_PS5_SF_jNS0_19identity_decomposerENS1_16block_id_wrapperIjLb0EEEEE10hipError_tT1_PNSt15iterator_traitsISK_E10value_typeET2_T3_PNSL_ISQ_E10value_typeET4_T5_PSV_SW_PNS1_23onesweep_lookback_stateEbbT6_jjT7_P12ihipStream_tbENKUlT_T0_SK_SP_E_clISE_PiSF_SF_EEDaS13_S14_SK_SP_EUlS13_E_NS1_11comp_targetILNS1_3genE4ELNS1_11target_archE910ELNS1_3gpuE8ELNS1_3repE0EEENS1_47radix_sort_onesweep_sort_config_static_selectorELNS0_4arch9wavefront6targetE1EEEvSK_ ; -- Begin function _ZN7rocprim17ROCPRIM_400000_NS6detail17trampoline_kernelINS0_14default_configENS1_35radix_sort_onesweep_config_selectorIiNS0_10empty_typeEEEZZNS1_29radix_sort_onesweep_iterationIS3_Lb0EN6thrust23THRUST_200600_302600_NS6detail15normal_iteratorINS9_10device_ptrIiEEEESE_PS5_SF_jNS0_19identity_decomposerENS1_16block_id_wrapperIjLb0EEEEE10hipError_tT1_PNSt15iterator_traitsISK_E10value_typeET2_T3_PNSL_ISQ_E10value_typeET4_T5_PSV_SW_PNS1_23onesweep_lookback_stateEbbT6_jjT7_P12ihipStream_tbENKUlT_T0_SK_SP_E_clISE_PiSF_SF_EEDaS13_S14_SK_SP_EUlS13_E_NS1_11comp_targetILNS1_3genE4ELNS1_11target_archE910ELNS1_3gpuE8ELNS1_3repE0EEENS1_47radix_sort_onesweep_sort_config_static_selectorELNS0_4arch9wavefront6targetE1EEEvSK_
	.globl	_ZN7rocprim17ROCPRIM_400000_NS6detail17trampoline_kernelINS0_14default_configENS1_35radix_sort_onesweep_config_selectorIiNS0_10empty_typeEEEZZNS1_29radix_sort_onesweep_iterationIS3_Lb0EN6thrust23THRUST_200600_302600_NS6detail15normal_iteratorINS9_10device_ptrIiEEEESE_PS5_SF_jNS0_19identity_decomposerENS1_16block_id_wrapperIjLb0EEEEE10hipError_tT1_PNSt15iterator_traitsISK_E10value_typeET2_T3_PNSL_ISQ_E10value_typeET4_T5_PSV_SW_PNS1_23onesweep_lookback_stateEbbT6_jjT7_P12ihipStream_tbENKUlT_T0_SK_SP_E_clISE_PiSF_SF_EEDaS13_S14_SK_SP_EUlS13_E_NS1_11comp_targetILNS1_3genE4ELNS1_11target_archE910ELNS1_3gpuE8ELNS1_3repE0EEENS1_47radix_sort_onesweep_sort_config_static_selectorELNS0_4arch9wavefront6targetE1EEEvSK_
	.p2align	8
	.type	_ZN7rocprim17ROCPRIM_400000_NS6detail17trampoline_kernelINS0_14default_configENS1_35radix_sort_onesweep_config_selectorIiNS0_10empty_typeEEEZZNS1_29radix_sort_onesweep_iterationIS3_Lb0EN6thrust23THRUST_200600_302600_NS6detail15normal_iteratorINS9_10device_ptrIiEEEESE_PS5_SF_jNS0_19identity_decomposerENS1_16block_id_wrapperIjLb0EEEEE10hipError_tT1_PNSt15iterator_traitsISK_E10value_typeET2_T3_PNSL_ISQ_E10value_typeET4_T5_PSV_SW_PNS1_23onesweep_lookback_stateEbbT6_jjT7_P12ihipStream_tbENKUlT_T0_SK_SP_E_clISE_PiSF_SF_EEDaS13_S14_SK_SP_EUlS13_E_NS1_11comp_targetILNS1_3genE4ELNS1_11target_archE910ELNS1_3gpuE8ELNS1_3repE0EEENS1_47radix_sort_onesweep_sort_config_static_selectorELNS0_4arch9wavefront6targetE1EEEvSK_,@function
_ZN7rocprim17ROCPRIM_400000_NS6detail17trampoline_kernelINS0_14default_configENS1_35radix_sort_onesweep_config_selectorIiNS0_10empty_typeEEEZZNS1_29radix_sort_onesweep_iterationIS3_Lb0EN6thrust23THRUST_200600_302600_NS6detail15normal_iteratorINS9_10device_ptrIiEEEESE_PS5_SF_jNS0_19identity_decomposerENS1_16block_id_wrapperIjLb0EEEEE10hipError_tT1_PNSt15iterator_traitsISK_E10value_typeET2_T3_PNSL_ISQ_E10value_typeET4_T5_PSV_SW_PNS1_23onesweep_lookback_stateEbbT6_jjT7_P12ihipStream_tbENKUlT_T0_SK_SP_E_clISE_PiSF_SF_EEDaS13_S14_SK_SP_EUlS13_E_NS1_11comp_targetILNS1_3genE4ELNS1_11target_archE910ELNS1_3gpuE8ELNS1_3repE0EEENS1_47radix_sort_onesweep_sort_config_static_selectorELNS0_4arch9wavefront6targetE1EEEvSK_: ; @_ZN7rocprim17ROCPRIM_400000_NS6detail17trampoline_kernelINS0_14default_configENS1_35radix_sort_onesweep_config_selectorIiNS0_10empty_typeEEEZZNS1_29radix_sort_onesweep_iterationIS3_Lb0EN6thrust23THRUST_200600_302600_NS6detail15normal_iteratorINS9_10device_ptrIiEEEESE_PS5_SF_jNS0_19identity_decomposerENS1_16block_id_wrapperIjLb0EEEEE10hipError_tT1_PNSt15iterator_traitsISK_E10value_typeET2_T3_PNSL_ISQ_E10value_typeET4_T5_PSV_SW_PNS1_23onesweep_lookback_stateEbbT6_jjT7_P12ihipStream_tbENKUlT_T0_SK_SP_E_clISE_PiSF_SF_EEDaS13_S14_SK_SP_EUlS13_E_NS1_11comp_targetILNS1_3genE4ELNS1_11target_archE910ELNS1_3gpuE8ELNS1_3repE0EEENS1_47radix_sort_onesweep_sort_config_static_selectorELNS0_4arch9wavefront6targetE1EEEvSK_
; %bb.0:
	s_load_dwordx4 s[16:19], s[4:5], 0x44
	s_load_dwordx2 s[24:25], s[4:5], 0x38
	s_load_dwordx4 s[20:23], s[4:5], 0x0
	s_load_dwordx4 s[12:15], s[4:5], 0x28
	s_mul_i32 s26, s6, 0x3000
	s_waitcnt lgkmcnt(0)
	s_cmp_ge_u32 s6, s18
	v_mbcnt_lo_u32_b32 v1, -1, 0
	s_cbranch_scc0 .LBB1786_79
; %bb.1:
	s_load_dword s7, s[4:5], 0x20
	s_mul_i32 s2, s18, 0xffffd000
	s_mov_b32 s27, 0
	v_and_b32_e32 v2, 0x3ff, v0
	s_lshl_b64 s[0:1], s[26:27], 2
	s_waitcnt lgkmcnt(0)
	s_add_i32 s7, s7, s2
	v_mbcnt_hi_u32_b32 v8, -1, v1
	s_add_u32 s0, s20, s0
	v_and_b32_e32 v3, 63, v8
	v_and_b32_e32 v4, 0x3c0, v2
	s_addc_u32 s1, s21, s1
	v_mul_u32_u24_e32 v6, 12, v4
	v_lshlrev_b32_e32 v4, 2, v3
	v_mov_b32_e32 v5, s1
	v_add_co_u32_e32 v4, vcc, s0, v4
	v_addc_co_u32_e32 v5, vcc, 0, v5, vcc
	v_lshlrev_b32_e32 v7, 2, v6
	v_add_co_u32_e32 v4, vcc, v4, v7
	v_addc_co_u32_e32 v5, vcc, 0, v5, vcc
	v_or_b32_e32 v6, v3, v6
	v_cmp_gt_u32_e32 vcc, s7, v6
	v_bfrev_b32_e32 v10, -2
	v_bfrev_b32_e32 v3, -2
	s_and_saveexec_b64 s[0:1], vcc
	s_cbranch_execz .LBB1786_3
; %bb.2:
	global_load_dword v3, v[4:5], off
.LBB1786_3:
	s_or_b64 exec, exec, s[0:1]
	v_or_b32_e32 v7, 64, v6
	v_cmp_gt_u32_e32 vcc, s7, v7
	s_and_saveexec_b64 s[0:1], vcc
	s_cbranch_execz .LBB1786_5
; %bb.4:
	global_load_dword v10, v[4:5], off offset:256
.LBB1786_5:
	s_or_b64 exec, exec, s[0:1]
	v_or_b32_e32 v7, 0x80, v6
	v_cmp_gt_u32_e32 vcc, s7, v7
	v_bfrev_b32_e32 v14, -2
	v_bfrev_b32_e32 v11, -2
	s_and_saveexec_b64 s[0:1], vcc
	s_cbranch_execz .LBB1786_7
; %bb.6:
	global_load_dword v11, v[4:5], off offset:512
.LBB1786_7:
	s_or_b64 exec, exec, s[0:1]
	v_or_b32_e32 v7, 0xc0, v6
	v_cmp_gt_u32_e32 vcc, s7, v7
	s_and_saveexec_b64 s[0:1], vcc
	s_cbranch_execz .LBB1786_9
; %bb.8:
	global_load_dword v14, v[4:5], off offset:768
.LBB1786_9:
	s_or_b64 exec, exec, s[0:1]
	v_add_u32_e32 v7, 0x100, v6
	v_cmp_gt_u32_e32 vcc, s7, v7
	v_bfrev_b32_e32 v23, -2
	v_bfrev_b32_e32 v17, -2
	s_and_saveexec_b64 s[0:1], vcc
	s_cbranch_execz .LBB1786_11
; %bb.10:
	global_load_dword v17, v[4:5], off offset:1024
.LBB1786_11:
	s_or_b64 exec, exec, s[0:1]
	v_add_u32_e32 v7, 0x140, v6
	v_cmp_gt_u32_e32 vcc, s7, v7
	s_and_saveexec_b64 s[0:1], vcc
	s_cbranch_execz .LBB1786_13
; %bb.12:
	global_load_dword v23, v[4:5], off offset:1280
.LBB1786_13:
	s_or_b64 exec, exec, s[0:1]
	v_add_u32_e32 v7, 0x180, v6
	v_cmp_gt_u32_e32 vcc, s7, v7
	v_bfrev_b32_e32 v34, -2
	v_bfrev_b32_e32 v28, -2
	s_and_saveexec_b64 s[0:1], vcc
	s_cbranch_execz .LBB1786_15
; %bb.14:
	global_load_dword v28, v[4:5], off offset:1536
.LBB1786_15:
	s_or_b64 exec, exec, s[0:1]
	v_add_u32_e32 v7, 0x1c0, v6
	;; [unrolled: 18-line block ×4, first 2 shown]
	v_cmp_gt_u32_e32 vcc, s7, v6
	s_and_saveexec_b64 s[0:1], vcc
	s_cbranch_execz .LBB1786_25
; %bb.24:
	global_load_dword v20, v[4:5], off offset:2816
.LBB1786_25:
	s_or_b64 exec, exec, s[0:1]
	s_load_dword s0, s[4:5], 0x64
	s_load_dword s27, s[4:5], 0x58
	s_add_u32 s1, s4, 0x58
	s_addc_u32 s2, s5, 0
	v_mov_b32_e32 v4, 0
	s_waitcnt lgkmcnt(0)
	s_lshr_b32 s3, s0, 16
	s_cmp_lt_u32 s6, s27
	s_cselect_b32 s0, 12, 18
	s_add_u32 s0, s1, s0
	s_addc_u32 s1, s2, 0
	global_load_ushort v6, v4, s[0:1]
	s_waitcnt vmcnt(1)
	v_xor_b32_e32 v3, 0x80000000, v3
	s_lshl_b32 s0, -1, s17
	v_lshrrev_b32_e32 v12, s16, v3
	s_not_b32 s28, s0
	v_and_b32_e32 v12, s28, v12
	v_and_b32_e32 v15, 1, v12
	v_bfe_u32 v5, v0, 10, 10
	v_bfe_u32 v7, v0, 20, 10
	v_add_co_u32_e32 v16, vcc, -1, v15
	v_mad_u32_u24 v7, v7, s3, v5
	v_lshlrev_b32_e32 v5, 30, v12
	v_addc_co_u32_e64 v18, s[0:1], 0, -1, vcc
	v_cmp_ne_u32_e32 vcc, 0, v15
	v_cmp_gt_i64_e64 s[0:1], 0, v[4:5]
	v_not_b32_e32 v15, v5
	v_lshlrev_b32_e32 v5, 29, v12
	v_xor_b32_e32 v18, vcc_hi, v18
	v_xor_b32_e32 v16, vcc_lo, v16
	v_ashrrev_i32_e32 v15, 31, v15
	v_cmp_gt_i64_e32 vcc, 0, v[4:5]
	v_not_b32_e32 v19, v5
	v_lshlrev_b32_e32 v5, 28, v12
	v_and_b32_e32 v18, exec_hi, v18
	v_and_b32_e32 v16, exec_lo, v16
	v_xor_b32_e32 v21, s1, v15
	v_xor_b32_e32 v15, s0, v15
	v_ashrrev_i32_e32 v19, 31, v19
	v_cmp_gt_i64_e64 s[0:1], 0, v[4:5]
	v_not_b32_e32 v22, v5
	v_lshlrev_b32_e32 v5, 27, v12
	v_and_b32_e32 v18, v18, v21
	v_and_b32_e32 v15, v16, v15
	v_xor_b32_e32 v16, vcc_hi, v19
	v_xor_b32_e32 v19, vcc_lo, v19
	v_ashrrev_i32_e32 v21, 31, v22
	v_cmp_gt_i64_e32 vcc, 0, v[4:5]
	v_not_b32_e32 v22, v5
	v_lshlrev_b32_e32 v5, 26, v12
	v_and_b32_e32 v16, v18, v16
	v_and_b32_e32 v15, v15, v19
	v_xor_b32_e32 v18, s1, v21
	v_xor_b32_e32 v19, s0, v21
	v_ashrrev_i32_e32 v21, 31, v22
	v_cmp_gt_i64_e64 s[0:1], 0, v[4:5]
	v_not_b32_e32 v22, v5
	v_lshlrev_b32_e32 v5, 25, v12
	v_and_b32_e32 v16, v16, v18
	v_and_b32_e32 v15, v15, v19
	v_xor_b32_e32 v18, vcc_hi, v21
	v_xor_b32_e32 v19, vcc_lo, v21
	v_ashrrev_i32_e32 v21, 31, v22
	v_cmp_gt_i64_e32 vcc, 0, v[4:5]
	v_not_b32_e32 v22, v5
	v_lshlrev_b32_e32 v5, 24, v12
	v_lshl_add_u32 v13, v12, 4, v12
	v_and_b32_e32 v12, v16, v18
	v_and_b32_e32 v15, v15, v19
	v_xor_b32_e32 v16, s1, v21
	v_xor_b32_e32 v18, s0, v21
	v_ashrrev_i32_e32 v19, 31, v22
	v_cmp_gt_i64_e64 s[0:1], 0, v[4:5]
	v_not_b32_e32 v5, v5
	v_and_b32_e32 v12, v12, v16
	v_and_b32_e32 v15, v15, v18
	v_xor_b32_e32 v16, vcc_hi, v19
	v_xor_b32_e32 v18, vcc_lo, v19
	v_ashrrev_i32_e32 v5, 31, v5
	v_and_b32_e32 v12, v12, v16
	v_and_b32_e32 v15, v15, v18
	v_mul_u32_u24_e32 v9, 5, v2
	v_lshlrev_b32_e32 v9, 2, v9
	ds_write2_b32 v9, v4, v4 offset0:16 offset1:17
	ds_write2_b32 v9, v4, v4 offset0:18 offset1:19
	ds_write_b32 v9, v4 offset:80
	s_waitcnt lgkmcnt(0)
	s_barrier
	s_waitcnt lgkmcnt(0)
	; wave barrier
	s_waitcnt vmcnt(0)
	v_mad_u64_u32 v[6:7], s[2:3], v7, v6, v[2:3]
	v_lshrrev_b32_e32 v29, 6, v6
	v_xor_b32_e32 v6, s1, v5
	v_xor_b32_e32 v5, s0, v5
	v_and_b32_e32 v7, v12, v6
	v_and_b32_e32 v6, v15, v5
	v_mbcnt_lo_u32_b32 v5, v6, 0
	v_mbcnt_hi_u32_b32 v12, v7, v5
	v_cmp_eq_u32_e32 vcc, 0, v12
	v_cmp_ne_u64_e64 s[0:1], 0, v[6:7]
	v_add_lshl_u32 v18, v29, v13, 2
	s_and_b64 s[2:3], s[0:1], vcc
	s_and_saveexec_b64 s[0:1], s[2:3]
	s_cbranch_execz .LBB1786_27
; %bb.26:
	v_bcnt_u32_b32 v5, v6, 0
	v_bcnt_u32_b32 v5, v7, v5
	ds_write_b32 v18, v5 offset:64
.LBB1786_27:
	s_or_b64 exec, exec, s[0:1]
	v_xor_b32_e32 v10, 0x80000000, v10
	v_lshrrev_b32_e32 v5, s16, v10
	v_and_b32_e32 v6, s28, v5
	v_lshl_add_u32 v5, v6, 4, v6
	v_add_lshl_u32 v19, v29, v5, 2
	v_and_b32_e32 v5, 1, v6
	v_add_co_u32_e32 v7, vcc, -1, v5
	v_addc_co_u32_e64 v15, s[0:1], 0, -1, vcc
	v_cmp_ne_u32_e32 vcc, 0, v5
	v_xor_b32_e32 v5, vcc_hi, v15
	v_and_b32_e32 v15, exec_hi, v5
	v_lshlrev_b32_e32 v5, 30, v6
	v_xor_b32_e32 v7, vcc_lo, v7
	v_cmp_gt_i64_e32 vcc, 0, v[4:5]
	v_not_b32_e32 v5, v5
	v_ashrrev_i32_e32 v5, 31, v5
	v_and_b32_e32 v7, exec_lo, v7
	v_xor_b32_e32 v16, vcc_hi, v5
	v_xor_b32_e32 v5, vcc_lo, v5
	v_and_b32_e32 v7, v7, v5
	v_lshlrev_b32_e32 v5, 29, v6
	v_cmp_gt_i64_e32 vcc, 0, v[4:5]
	v_not_b32_e32 v5, v5
	v_ashrrev_i32_e32 v5, 31, v5
	v_and_b32_e32 v15, v15, v16
	v_xor_b32_e32 v16, vcc_hi, v5
	v_xor_b32_e32 v5, vcc_lo, v5
	v_and_b32_e32 v7, v7, v5
	v_lshlrev_b32_e32 v5, 28, v6
	v_cmp_gt_i64_e32 vcc, 0, v[4:5]
	v_not_b32_e32 v5, v5
	v_ashrrev_i32_e32 v5, 31, v5
	v_and_b32_e32 v15, v15, v16
	;; [unrolled: 8-line block ×5, first 2 shown]
	v_xor_b32_e32 v16, vcc_hi, v5
	v_xor_b32_e32 v5, vcc_lo, v5
	v_and_b32_e32 v7, v7, v5
	v_lshlrev_b32_e32 v5, 24, v6
	v_cmp_gt_i64_e32 vcc, 0, v[4:5]
	v_not_b32_e32 v4, v5
	v_ashrrev_i32_e32 v4, 31, v4
	v_xor_b32_e32 v5, vcc_hi, v4
	v_xor_b32_e32 v4, vcc_lo, v4
	; wave barrier
	ds_read_b32 v13, v19 offset:64
	v_and_b32_e32 v15, v15, v16
	v_and_b32_e32 v4, v7, v4
	;; [unrolled: 1-line block ×3, first 2 shown]
	v_mbcnt_lo_u32_b32 v6, v4, 0
	v_mbcnt_hi_u32_b32 v15, v5, v6
	v_cmp_eq_u32_e32 vcc, 0, v15
	v_cmp_ne_u64_e64 s[0:1], 0, v[4:5]
	s_and_b64 s[2:3], s[0:1], vcc
	; wave barrier
	s_and_saveexec_b64 s[0:1], s[2:3]
	s_cbranch_execz .LBB1786_29
; %bb.28:
	v_bcnt_u32_b32 v4, v4, 0
	v_bcnt_u32_b32 v4, v5, v4
	s_waitcnt lgkmcnt(0)
	v_add_u32_e32 v4, v13, v4
	ds_write_b32 v19, v4 offset:64
.LBB1786_29:
	s_or_b64 exec, exec, s[0:1]
	v_xor_b32_e32 v11, 0x80000000, v11
	v_lshrrev_b32_e32 v4, s16, v11
	v_and_b32_e32 v6, s28, v4
	v_and_b32_e32 v5, 1, v6
	v_add_co_u32_e32 v7, vcc, -1, v5
	v_addc_co_u32_e64 v21, s[0:1], 0, -1, vcc
	v_cmp_ne_u32_e32 vcc, 0, v5
	v_lshl_add_u32 v4, v6, 4, v6
	v_xor_b32_e32 v5, vcc_hi, v21
	v_add_lshl_u32 v24, v29, v4, 2
	v_mov_b32_e32 v4, 0
	v_and_b32_e32 v21, exec_hi, v5
	v_lshlrev_b32_e32 v5, 30, v6
	v_xor_b32_e32 v7, vcc_lo, v7
	v_cmp_gt_i64_e32 vcc, 0, v[4:5]
	v_not_b32_e32 v5, v5
	v_ashrrev_i32_e32 v5, 31, v5
	v_and_b32_e32 v7, exec_lo, v7
	v_xor_b32_e32 v22, vcc_hi, v5
	v_xor_b32_e32 v5, vcc_lo, v5
	v_and_b32_e32 v7, v7, v5
	v_lshlrev_b32_e32 v5, 29, v6
	v_cmp_gt_i64_e32 vcc, 0, v[4:5]
	v_not_b32_e32 v5, v5
	v_ashrrev_i32_e32 v5, 31, v5
	v_and_b32_e32 v21, v21, v22
	v_xor_b32_e32 v22, vcc_hi, v5
	v_xor_b32_e32 v5, vcc_lo, v5
	v_and_b32_e32 v7, v7, v5
	v_lshlrev_b32_e32 v5, 28, v6
	v_cmp_gt_i64_e32 vcc, 0, v[4:5]
	v_not_b32_e32 v5, v5
	v_ashrrev_i32_e32 v5, 31, v5
	v_and_b32_e32 v21, v21, v22
	v_xor_b32_e32 v22, vcc_hi, v5
	v_xor_b32_e32 v5, vcc_lo, v5
	v_and_b32_e32 v7, v7, v5
	v_lshlrev_b32_e32 v5, 27, v6
	v_cmp_gt_i64_e32 vcc, 0, v[4:5]
	v_not_b32_e32 v5, v5
	v_ashrrev_i32_e32 v5, 31, v5
	v_and_b32_e32 v21, v21, v22
	v_xor_b32_e32 v22, vcc_hi, v5
	v_xor_b32_e32 v5, vcc_lo, v5
	v_and_b32_e32 v7, v7, v5
	v_lshlrev_b32_e32 v5, 26, v6
	v_cmp_gt_i64_e32 vcc, 0, v[4:5]
	v_not_b32_e32 v5, v5
	v_ashrrev_i32_e32 v5, 31, v5
	v_and_b32_e32 v21, v21, v22
	v_xor_b32_e32 v22, vcc_hi, v5
	v_xor_b32_e32 v5, vcc_lo, v5
	v_and_b32_e32 v7, v7, v5
	v_lshlrev_b32_e32 v5, 25, v6
	v_cmp_gt_i64_e32 vcc, 0, v[4:5]
	v_not_b32_e32 v5, v5
	v_ashrrev_i32_e32 v5, 31, v5
	v_and_b32_e32 v21, v21, v22
	v_xor_b32_e32 v22, vcc_hi, v5
	v_xor_b32_e32 v5, vcc_lo, v5
	v_and_b32_e32 v21, v21, v22
	v_and_b32_e32 v22, v7, v5
	v_lshlrev_b32_e32 v5, 24, v6
	v_cmp_gt_i64_e32 vcc, 0, v[4:5]
	v_not_b32_e32 v5, v5
	v_ashrrev_i32_e32 v5, 31, v5
	v_xor_b32_e32 v6, vcc_hi, v5
	v_xor_b32_e32 v5, vcc_lo, v5
	; wave barrier
	ds_read_b32 v16, v24 offset:64
	v_and_b32_e32 v7, v21, v6
	v_and_b32_e32 v6, v22, v5
	v_mbcnt_lo_u32_b32 v5, v6, 0
	v_mbcnt_hi_u32_b32 v21, v7, v5
	v_cmp_eq_u32_e32 vcc, 0, v21
	v_cmp_ne_u64_e64 s[0:1], 0, v[6:7]
	s_and_b64 s[2:3], s[0:1], vcc
	; wave barrier
	s_and_saveexec_b64 s[0:1], s[2:3]
	s_cbranch_execz .LBB1786_31
; %bb.30:
	v_bcnt_u32_b32 v5, v6, 0
	v_bcnt_u32_b32 v5, v7, v5
	s_waitcnt lgkmcnt(0)
	v_add_u32_e32 v5, v16, v5
	ds_write_b32 v24, v5 offset:64
.LBB1786_31:
	s_or_b64 exec, exec, s[0:1]
	v_xor_b32_e32 v14, 0x80000000, v14
	v_lshrrev_b32_e32 v5, s16, v14
	v_and_b32_e32 v6, s28, v5
	v_lshl_add_u32 v5, v6, 4, v6
	v_add_lshl_u32 v31, v29, v5, 2
	v_and_b32_e32 v5, 1, v6
	v_add_co_u32_e32 v7, vcc, -1, v5
	v_addc_co_u32_e64 v26, s[0:1], 0, -1, vcc
	v_cmp_ne_u32_e32 vcc, 0, v5
	v_xor_b32_e32 v5, vcc_hi, v26
	v_and_b32_e32 v26, exec_hi, v5
	v_lshlrev_b32_e32 v5, 30, v6
	v_xor_b32_e32 v7, vcc_lo, v7
	v_cmp_gt_i64_e32 vcc, 0, v[4:5]
	v_not_b32_e32 v5, v5
	v_ashrrev_i32_e32 v5, 31, v5
	v_and_b32_e32 v7, exec_lo, v7
	v_xor_b32_e32 v27, vcc_hi, v5
	v_xor_b32_e32 v5, vcc_lo, v5
	v_and_b32_e32 v7, v7, v5
	v_lshlrev_b32_e32 v5, 29, v6
	v_cmp_gt_i64_e32 vcc, 0, v[4:5]
	v_not_b32_e32 v5, v5
	v_ashrrev_i32_e32 v5, 31, v5
	v_and_b32_e32 v26, v26, v27
	v_xor_b32_e32 v27, vcc_hi, v5
	v_xor_b32_e32 v5, vcc_lo, v5
	v_and_b32_e32 v7, v7, v5
	v_lshlrev_b32_e32 v5, 28, v6
	v_cmp_gt_i64_e32 vcc, 0, v[4:5]
	v_not_b32_e32 v5, v5
	v_ashrrev_i32_e32 v5, 31, v5
	v_and_b32_e32 v26, v26, v27
	;; [unrolled: 8-line block ×5, first 2 shown]
	v_xor_b32_e32 v27, vcc_hi, v5
	v_xor_b32_e32 v5, vcc_lo, v5
	v_and_b32_e32 v7, v7, v5
	v_lshlrev_b32_e32 v5, 24, v6
	v_cmp_gt_i64_e32 vcc, 0, v[4:5]
	v_not_b32_e32 v4, v5
	v_ashrrev_i32_e32 v4, 31, v4
	v_xor_b32_e32 v5, vcc_hi, v4
	v_xor_b32_e32 v4, vcc_lo, v4
	; wave barrier
	ds_read_b32 v22, v31 offset:64
	v_and_b32_e32 v26, v26, v27
	v_and_b32_e32 v4, v7, v4
	;; [unrolled: 1-line block ×3, first 2 shown]
	v_mbcnt_lo_u32_b32 v6, v4, 0
	v_mbcnt_hi_u32_b32 v26, v5, v6
	v_cmp_eq_u32_e32 vcc, 0, v26
	v_cmp_ne_u64_e64 s[0:1], 0, v[4:5]
	s_and_b64 s[2:3], s[0:1], vcc
	; wave barrier
	s_and_saveexec_b64 s[0:1], s[2:3]
	s_cbranch_execz .LBB1786_33
; %bb.32:
	v_bcnt_u32_b32 v4, v4, 0
	v_bcnt_u32_b32 v4, v5, v4
	s_waitcnt lgkmcnt(0)
	v_add_u32_e32 v4, v22, v4
	ds_write_b32 v31, v4 offset:64
.LBB1786_33:
	s_or_b64 exec, exec, s[0:1]
	v_xor_b32_e32 v17, 0x80000000, v17
	v_lshrrev_b32_e32 v4, s16, v17
	v_and_b32_e32 v6, s28, v4
	v_and_b32_e32 v5, 1, v6
	v_add_co_u32_e32 v7, vcc, -1, v5
	v_addc_co_u32_e64 v32, s[0:1], 0, -1, vcc
	v_cmp_ne_u32_e32 vcc, 0, v5
	v_lshl_add_u32 v4, v6, 4, v6
	v_xor_b32_e32 v5, vcc_hi, v32
	v_add_lshl_u32 v36, v29, v4, 2
	v_mov_b32_e32 v4, 0
	v_and_b32_e32 v32, exec_hi, v5
	v_lshlrev_b32_e32 v5, 30, v6
	v_xor_b32_e32 v7, vcc_lo, v7
	v_cmp_gt_i64_e32 vcc, 0, v[4:5]
	v_not_b32_e32 v5, v5
	v_ashrrev_i32_e32 v5, 31, v5
	v_and_b32_e32 v7, exec_lo, v7
	v_xor_b32_e32 v33, vcc_hi, v5
	v_xor_b32_e32 v5, vcc_lo, v5
	v_and_b32_e32 v7, v7, v5
	v_lshlrev_b32_e32 v5, 29, v6
	v_cmp_gt_i64_e32 vcc, 0, v[4:5]
	v_not_b32_e32 v5, v5
	v_ashrrev_i32_e32 v5, 31, v5
	v_and_b32_e32 v32, v32, v33
	v_xor_b32_e32 v33, vcc_hi, v5
	v_xor_b32_e32 v5, vcc_lo, v5
	v_and_b32_e32 v7, v7, v5
	v_lshlrev_b32_e32 v5, 28, v6
	v_cmp_gt_i64_e32 vcc, 0, v[4:5]
	v_not_b32_e32 v5, v5
	v_ashrrev_i32_e32 v5, 31, v5
	v_and_b32_e32 v32, v32, v33
	;; [unrolled: 8-line block ×5, first 2 shown]
	v_xor_b32_e32 v33, vcc_hi, v5
	v_xor_b32_e32 v5, vcc_lo, v5
	v_and_b32_e32 v32, v32, v33
	v_and_b32_e32 v33, v7, v5
	v_lshlrev_b32_e32 v5, 24, v6
	v_cmp_gt_i64_e32 vcc, 0, v[4:5]
	v_not_b32_e32 v5, v5
	v_ashrrev_i32_e32 v5, 31, v5
	v_xor_b32_e32 v6, vcc_hi, v5
	v_xor_b32_e32 v5, vcc_lo, v5
	; wave barrier
	ds_read_b32 v27, v36 offset:64
	v_and_b32_e32 v7, v32, v6
	v_and_b32_e32 v6, v33, v5
	v_mbcnt_lo_u32_b32 v5, v6, 0
	v_mbcnt_hi_u32_b32 v32, v7, v5
	v_cmp_eq_u32_e32 vcc, 0, v32
	v_cmp_ne_u64_e64 s[0:1], 0, v[6:7]
	s_and_b64 s[2:3], s[0:1], vcc
	; wave barrier
	s_and_saveexec_b64 s[0:1], s[2:3]
	s_cbranch_execz .LBB1786_35
; %bb.34:
	v_bcnt_u32_b32 v5, v6, 0
	v_bcnt_u32_b32 v5, v7, v5
	s_waitcnt lgkmcnt(0)
	v_add_u32_e32 v5, v27, v5
	ds_write_b32 v36, v5 offset:64
.LBB1786_35:
	s_or_b64 exec, exec, s[0:1]
	v_xor_b32_e32 v23, 0x80000000, v23
	v_lshrrev_b32_e32 v5, s16, v23
	v_and_b32_e32 v6, s28, v5
	v_lshl_add_u32 v5, v6, 4, v6
	v_add_lshl_u32 v39, v29, v5, 2
	v_and_b32_e32 v5, 1, v6
	v_add_co_u32_e32 v7, vcc, -1, v5
	v_addc_co_u32_e64 v37, s[0:1], 0, -1, vcc
	v_cmp_ne_u32_e32 vcc, 0, v5
	v_xor_b32_e32 v5, vcc_hi, v37
	v_and_b32_e32 v37, exec_hi, v5
	v_lshlrev_b32_e32 v5, 30, v6
	v_xor_b32_e32 v7, vcc_lo, v7
	v_cmp_gt_i64_e32 vcc, 0, v[4:5]
	v_not_b32_e32 v5, v5
	v_ashrrev_i32_e32 v5, 31, v5
	v_and_b32_e32 v7, exec_lo, v7
	v_xor_b32_e32 v38, vcc_hi, v5
	v_xor_b32_e32 v5, vcc_lo, v5
	v_and_b32_e32 v7, v7, v5
	v_lshlrev_b32_e32 v5, 29, v6
	v_cmp_gt_i64_e32 vcc, 0, v[4:5]
	v_not_b32_e32 v5, v5
	v_ashrrev_i32_e32 v5, 31, v5
	v_and_b32_e32 v37, v37, v38
	v_xor_b32_e32 v38, vcc_hi, v5
	v_xor_b32_e32 v5, vcc_lo, v5
	v_and_b32_e32 v7, v7, v5
	v_lshlrev_b32_e32 v5, 28, v6
	v_cmp_gt_i64_e32 vcc, 0, v[4:5]
	v_not_b32_e32 v5, v5
	v_ashrrev_i32_e32 v5, 31, v5
	v_and_b32_e32 v37, v37, v38
	;; [unrolled: 8-line block ×5, first 2 shown]
	v_xor_b32_e32 v38, vcc_hi, v5
	v_xor_b32_e32 v5, vcc_lo, v5
	v_and_b32_e32 v7, v7, v5
	v_lshlrev_b32_e32 v5, 24, v6
	v_cmp_gt_i64_e32 vcc, 0, v[4:5]
	v_not_b32_e32 v4, v5
	v_ashrrev_i32_e32 v4, 31, v4
	v_xor_b32_e32 v5, vcc_hi, v4
	v_xor_b32_e32 v4, vcc_lo, v4
	; wave barrier
	ds_read_b32 v33, v39 offset:64
	v_and_b32_e32 v37, v37, v38
	v_and_b32_e32 v4, v7, v4
	;; [unrolled: 1-line block ×3, first 2 shown]
	v_mbcnt_lo_u32_b32 v6, v4, 0
	v_mbcnt_hi_u32_b32 v37, v5, v6
	v_cmp_eq_u32_e32 vcc, 0, v37
	v_cmp_ne_u64_e64 s[0:1], 0, v[4:5]
	s_and_b64 s[2:3], s[0:1], vcc
	; wave barrier
	s_and_saveexec_b64 s[0:1], s[2:3]
	s_cbranch_execz .LBB1786_37
; %bb.36:
	v_bcnt_u32_b32 v4, v4, 0
	v_bcnt_u32_b32 v4, v5, v4
	s_waitcnt lgkmcnt(0)
	v_add_u32_e32 v4, v33, v4
	ds_write_b32 v39, v4 offset:64
.LBB1786_37:
	s_or_b64 exec, exec, s[0:1]
	v_xor_b32_e32 v28, 0x80000000, v28
	v_lshrrev_b32_e32 v4, s16, v28
	v_and_b32_e32 v6, s28, v4
	v_and_b32_e32 v5, 1, v6
	v_add_co_u32_e32 v7, vcc, -1, v5
	v_addc_co_u32_e64 v40, s[0:1], 0, -1, vcc
	v_cmp_ne_u32_e32 vcc, 0, v5
	v_lshl_add_u32 v4, v6, 4, v6
	v_xor_b32_e32 v5, vcc_hi, v40
	v_add_lshl_u32 v42, v29, v4, 2
	v_mov_b32_e32 v4, 0
	v_and_b32_e32 v40, exec_hi, v5
	v_lshlrev_b32_e32 v5, 30, v6
	v_xor_b32_e32 v7, vcc_lo, v7
	v_cmp_gt_i64_e32 vcc, 0, v[4:5]
	v_not_b32_e32 v5, v5
	v_ashrrev_i32_e32 v5, 31, v5
	v_and_b32_e32 v7, exec_lo, v7
	v_xor_b32_e32 v41, vcc_hi, v5
	v_xor_b32_e32 v5, vcc_lo, v5
	v_and_b32_e32 v7, v7, v5
	v_lshlrev_b32_e32 v5, 29, v6
	v_cmp_gt_i64_e32 vcc, 0, v[4:5]
	v_not_b32_e32 v5, v5
	v_ashrrev_i32_e32 v5, 31, v5
	v_and_b32_e32 v40, v40, v41
	v_xor_b32_e32 v41, vcc_hi, v5
	v_xor_b32_e32 v5, vcc_lo, v5
	v_and_b32_e32 v7, v7, v5
	v_lshlrev_b32_e32 v5, 28, v6
	v_cmp_gt_i64_e32 vcc, 0, v[4:5]
	v_not_b32_e32 v5, v5
	v_ashrrev_i32_e32 v5, 31, v5
	v_and_b32_e32 v40, v40, v41
	v_xor_b32_e32 v41, vcc_hi, v5
	v_xor_b32_e32 v5, vcc_lo, v5
	v_and_b32_e32 v7, v7, v5
	v_lshlrev_b32_e32 v5, 27, v6
	v_cmp_gt_i64_e32 vcc, 0, v[4:5]
	v_not_b32_e32 v5, v5
	v_ashrrev_i32_e32 v5, 31, v5
	v_and_b32_e32 v40, v40, v41
	v_xor_b32_e32 v41, vcc_hi, v5
	v_xor_b32_e32 v5, vcc_lo, v5
	v_and_b32_e32 v7, v7, v5
	v_lshlrev_b32_e32 v5, 26, v6
	v_cmp_gt_i64_e32 vcc, 0, v[4:5]
	v_not_b32_e32 v5, v5
	v_ashrrev_i32_e32 v5, 31, v5
	v_and_b32_e32 v40, v40, v41
	v_xor_b32_e32 v41, vcc_hi, v5
	v_xor_b32_e32 v5, vcc_lo, v5
	v_and_b32_e32 v7, v7, v5
	v_lshlrev_b32_e32 v5, 25, v6
	v_cmp_gt_i64_e32 vcc, 0, v[4:5]
	v_not_b32_e32 v5, v5
	v_ashrrev_i32_e32 v5, 31, v5
	v_and_b32_e32 v40, v40, v41
	v_xor_b32_e32 v41, vcc_hi, v5
	v_xor_b32_e32 v5, vcc_lo, v5
	v_and_b32_e32 v40, v40, v41
	v_and_b32_e32 v41, v7, v5
	v_lshlrev_b32_e32 v5, 24, v6
	v_cmp_gt_i64_e32 vcc, 0, v[4:5]
	v_not_b32_e32 v5, v5
	v_ashrrev_i32_e32 v5, 31, v5
	v_xor_b32_e32 v6, vcc_hi, v5
	v_xor_b32_e32 v5, vcc_lo, v5
	; wave barrier
	ds_read_b32 v38, v42 offset:64
	v_and_b32_e32 v7, v40, v6
	v_and_b32_e32 v6, v41, v5
	v_mbcnt_lo_u32_b32 v5, v6, 0
	v_mbcnt_hi_u32_b32 v40, v7, v5
	v_cmp_eq_u32_e32 vcc, 0, v40
	v_cmp_ne_u64_e64 s[0:1], 0, v[6:7]
	s_and_b64 s[2:3], s[0:1], vcc
	; wave barrier
	s_and_saveexec_b64 s[0:1], s[2:3]
	s_cbranch_execz .LBB1786_39
; %bb.38:
	v_bcnt_u32_b32 v5, v6, 0
	v_bcnt_u32_b32 v5, v7, v5
	s_waitcnt lgkmcnt(0)
	v_add_u32_e32 v5, v38, v5
	ds_write_b32 v42, v5 offset:64
.LBB1786_39:
	s_or_b64 exec, exec, s[0:1]
	v_xor_b32_e32 v34, 0x80000000, v34
	v_lshrrev_b32_e32 v5, s16, v34
	v_and_b32_e32 v6, s28, v5
	v_lshl_add_u32 v5, v6, 4, v6
	v_add_lshl_u32 v45, v29, v5, 2
	v_and_b32_e32 v5, 1, v6
	v_add_co_u32_e32 v7, vcc, -1, v5
	v_addc_co_u32_e64 v43, s[0:1], 0, -1, vcc
	v_cmp_ne_u32_e32 vcc, 0, v5
	v_xor_b32_e32 v5, vcc_hi, v43
	v_and_b32_e32 v43, exec_hi, v5
	v_lshlrev_b32_e32 v5, 30, v6
	v_xor_b32_e32 v7, vcc_lo, v7
	v_cmp_gt_i64_e32 vcc, 0, v[4:5]
	v_not_b32_e32 v5, v5
	v_ashrrev_i32_e32 v5, 31, v5
	v_and_b32_e32 v7, exec_lo, v7
	v_xor_b32_e32 v44, vcc_hi, v5
	v_xor_b32_e32 v5, vcc_lo, v5
	v_and_b32_e32 v7, v7, v5
	v_lshlrev_b32_e32 v5, 29, v6
	v_cmp_gt_i64_e32 vcc, 0, v[4:5]
	v_not_b32_e32 v5, v5
	v_ashrrev_i32_e32 v5, 31, v5
	v_and_b32_e32 v43, v43, v44
	v_xor_b32_e32 v44, vcc_hi, v5
	v_xor_b32_e32 v5, vcc_lo, v5
	v_and_b32_e32 v7, v7, v5
	v_lshlrev_b32_e32 v5, 28, v6
	v_cmp_gt_i64_e32 vcc, 0, v[4:5]
	v_not_b32_e32 v5, v5
	v_ashrrev_i32_e32 v5, 31, v5
	v_and_b32_e32 v43, v43, v44
	;; [unrolled: 8-line block ×5, first 2 shown]
	v_xor_b32_e32 v44, vcc_hi, v5
	v_xor_b32_e32 v5, vcc_lo, v5
	v_and_b32_e32 v7, v7, v5
	v_lshlrev_b32_e32 v5, 24, v6
	v_cmp_gt_i64_e32 vcc, 0, v[4:5]
	v_not_b32_e32 v4, v5
	v_ashrrev_i32_e32 v4, 31, v4
	v_xor_b32_e32 v5, vcc_hi, v4
	v_xor_b32_e32 v4, vcc_lo, v4
	; wave barrier
	ds_read_b32 v41, v45 offset:64
	v_and_b32_e32 v43, v43, v44
	v_and_b32_e32 v4, v7, v4
	;; [unrolled: 1-line block ×3, first 2 shown]
	v_mbcnt_lo_u32_b32 v6, v4, 0
	v_mbcnt_hi_u32_b32 v43, v5, v6
	v_cmp_eq_u32_e32 vcc, 0, v43
	v_cmp_ne_u64_e64 s[0:1], 0, v[4:5]
	s_and_b64 s[2:3], s[0:1], vcc
	; wave barrier
	s_and_saveexec_b64 s[0:1], s[2:3]
	s_cbranch_execz .LBB1786_41
; %bb.40:
	v_bcnt_u32_b32 v4, v4, 0
	v_bcnt_u32_b32 v4, v5, v4
	s_waitcnt lgkmcnt(0)
	v_add_u32_e32 v4, v41, v4
	ds_write_b32 v45, v4 offset:64
.LBB1786_41:
	s_or_b64 exec, exec, s[0:1]
	v_xor_b32_e32 v35, 0x80000000, v35
	v_lshrrev_b32_e32 v4, s16, v35
	v_and_b32_e32 v6, s28, v4
	v_and_b32_e32 v5, 1, v6
	v_add_co_u32_e32 v7, vcc, -1, v5
	v_addc_co_u32_e64 v46, s[0:1], 0, -1, vcc
	v_cmp_ne_u32_e32 vcc, 0, v5
	v_lshl_add_u32 v4, v6, 4, v6
	v_xor_b32_e32 v5, vcc_hi, v46
	v_add_lshl_u32 v48, v29, v4, 2
	v_mov_b32_e32 v4, 0
	v_and_b32_e32 v46, exec_hi, v5
	v_lshlrev_b32_e32 v5, 30, v6
	v_xor_b32_e32 v7, vcc_lo, v7
	v_cmp_gt_i64_e32 vcc, 0, v[4:5]
	v_not_b32_e32 v5, v5
	v_ashrrev_i32_e32 v5, 31, v5
	v_and_b32_e32 v7, exec_lo, v7
	v_xor_b32_e32 v47, vcc_hi, v5
	v_xor_b32_e32 v5, vcc_lo, v5
	v_and_b32_e32 v7, v7, v5
	v_lshlrev_b32_e32 v5, 29, v6
	v_cmp_gt_i64_e32 vcc, 0, v[4:5]
	v_not_b32_e32 v5, v5
	v_ashrrev_i32_e32 v5, 31, v5
	v_and_b32_e32 v46, v46, v47
	v_xor_b32_e32 v47, vcc_hi, v5
	v_xor_b32_e32 v5, vcc_lo, v5
	v_and_b32_e32 v7, v7, v5
	v_lshlrev_b32_e32 v5, 28, v6
	v_cmp_gt_i64_e32 vcc, 0, v[4:5]
	v_not_b32_e32 v5, v5
	v_ashrrev_i32_e32 v5, 31, v5
	v_and_b32_e32 v46, v46, v47
	v_xor_b32_e32 v47, vcc_hi, v5
	v_xor_b32_e32 v5, vcc_lo, v5
	v_and_b32_e32 v7, v7, v5
	v_lshlrev_b32_e32 v5, 27, v6
	v_cmp_gt_i64_e32 vcc, 0, v[4:5]
	v_not_b32_e32 v5, v5
	v_ashrrev_i32_e32 v5, 31, v5
	v_and_b32_e32 v46, v46, v47
	v_xor_b32_e32 v47, vcc_hi, v5
	v_xor_b32_e32 v5, vcc_lo, v5
	v_and_b32_e32 v7, v7, v5
	v_lshlrev_b32_e32 v5, 26, v6
	v_cmp_gt_i64_e32 vcc, 0, v[4:5]
	v_not_b32_e32 v5, v5
	v_ashrrev_i32_e32 v5, 31, v5
	v_and_b32_e32 v46, v46, v47
	v_xor_b32_e32 v47, vcc_hi, v5
	v_xor_b32_e32 v5, vcc_lo, v5
	v_and_b32_e32 v7, v7, v5
	v_lshlrev_b32_e32 v5, 25, v6
	v_cmp_gt_i64_e32 vcc, 0, v[4:5]
	v_not_b32_e32 v5, v5
	v_ashrrev_i32_e32 v5, 31, v5
	v_and_b32_e32 v46, v46, v47
	v_xor_b32_e32 v47, vcc_hi, v5
	v_xor_b32_e32 v5, vcc_lo, v5
	v_and_b32_e32 v46, v46, v47
	v_and_b32_e32 v47, v7, v5
	v_lshlrev_b32_e32 v5, 24, v6
	v_cmp_gt_i64_e32 vcc, 0, v[4:5]
	v_not_b32_e32 v5, v5
	v_ashrrev_i32_e32 v5, 31, v5
	v_xor_b32_e32 v6, vcc_hi, v5
	v_xor_b32_e32 v5, vcc_lo, v5
	; wave barrier
	ds_read_b32 v44, v48 offset:64
	v_and_b32_e32 v7, v46, v6
	v_and_b32_e32 v6, v47, v5
	v_mbcnt_lo_u32_b32 v5, v6, 0
	v_mbcnt_hi_u32_b32 v46, v7, v5
	v_cmp_eq_u32_e32 vcc, 0, v46
	v_cmp_ne_u64_e64 s[0:1], 0, v[6:7]
	s_and_b64 s[2:3], s[0:1], vcc
	; wave barrier
	s_and_saveexec_b64 s[0:1], s[2:3]
	s_cbranch_execz .LBB1786_43
; %bb.42:
	v_bcnt_u32_b32 v5, v6, 0
	v_bcnt_u32_b32 v5, v7, v5
	s_waitcnt lgkmcnt(0)
	v_add_u32_e32 v5, v44, v5
	ds_write_b32 v48, v5 offset:64
.LBB1786_43:
	s_or_b64 exec, exec, s[0:1]
	v_xor_b32_e32 v30, 0x80000000, v30
	v_lshrrev_b32_e32 v5, s16, v30
	v_and_b32_e32 v6, s28, v5
	v_lshl_add_u32 v5, v6, 4, v6
	v_add_lshl_u32 v51, v29, v5, 2
	v_and_b32_e32 v5, 1, v6
	v_add_co_u32_e32 v7, vcc, -1, v5
	v_addc_co_u32_e64 v49, s[0:1], 0, -1, vcc
	v_cmp_ne_u32_e32 vcc, 0, v5
	v_xor_b32_e32 v5, vcc_hi, v49
	v_and_b32_e32 v49, exec_hi, v5
	v_lshlrev_b32_e32 v5, 30, v6
	v_xor_b32_e32 v7, vcc_lo, v7
	v_cmp_gt_i64_e32 vcc, 0, v[4:5]
	v_not_b32_e32 v5, v5
	v_ashrrev_i32_e32 v5, 31, v5
	v_and_b32_e32 v7, exec_lo, v7
	v_xor_b32_e32 v50, vcc_hi, v5
	v_xor_b32_e32 v5, vcc_lo, v5
	v_and_b32_e32 v7, v7, v5
	v_lshlrev_b32_e32 v5, 29, v6
	v_cmp_gt_i64_e32 vcc, 0, v[4:5]
	v_not_b32_e32 v5, v5
	v_ashrrev_i32_e32 v5, 31, v5
	v_and_b32_e32 v49, v49, v50
	v_xor_b32_e32 v50, vcc_hi, v5
	v_xor_b32_e32 v5, vcc_lo, v5
	v_and_b32_e32 v7, v7, v5
	v_lshlrev_b32_e32 v5, 28, v6
	v_cmp_gt_i64_e32 vcc, 0, v[4:5]
	v_not_b32_e32 v5, v5
	v_ashrrev_i32_e32 v5, 31, v5
	v_and_b32_e32 v49, v49, v50
	;; [unrolled: 8-line block ×5, first 2 shown]
	v_xor_b32_e32 v50, vcc_hi, v5
	v_xor_b32_e32 v5, vcc_lo, v5
	v_and_b32_e32 v7, v7, v5
	v_lshlrev_b32_e32 v5, 24, v6
	v_cmp_gt_i64_e32 vcc, 0, v[4:5]
	v_not_b32_e32 v4, v5
	v_ashrrev_i32_e32 v4, 31, v4
	v_xor_b32_e32 v5, vcc_hi, v4
	v_xor_b32_e32 v4, vcc_lo, v4
	; wave barrier
	ds_read_b32 v47, v51 offset:64
	v_and_b32_e32 v49, v49, v50
	v_and_b32_e32 v4, v7, v4
	;; [unrolled: 1-line block ×3, first 2 shown]
	v_mbcnt_lo_u32_b32 v6, v4, 0
	v_mbcnt_hi_u32_b32 v49, v5, v6
	v_cmp_eq_u32_e32 vcc, 0, v49
	v_cmp_ne_u64_e64 s[0:1], 0, v[4:5]
	s_and_b64 s[2:3], s[0:1], vcc
	; wave barrier
	s_and_saveexec_b64 s[0:1], s[2:3]
	s_cbranch_execz .LBB1786_45
; %bb.44:
	v_bcnt_u32_b32 v4, v4, 0
	v_bcnt_u32_b32 v4, v5, v4
	s_waitcnt lgkmcnt(0)
	v_add_u32_e32 v4, v47, v4
	ds_write_b32 v51, v4 offset:64
.LBB1786_45:
	s_or_b64 exec, exec, s[0:1]
	v_xor_b32_e32 v25, 0x80000000, v25
	v_lshrrev_b32_e32 v4, s16, v25
	v_and_b32_e32 v6, s28, v4
	v_and_b32_e32 v5, 1, v6
	v_add_co_u32_e32 v7, vcc, -1, v5
	v_addc_co_u32_e64 v52, s[0:1], 0, -1, vcc
	v_cmp_ne_u32_e32 vcc, 0, v5
	v_lshl_add_u32 v4, v6, 4, v6
	v_xor_b32_e32 v5, vcc_hi, v52
	v_add_lshl_u32 v54, v29, v4, 2
	v_mov_b32_e32 v4, 0
	v_and_b32_e32 v52, exec_hi, v5
	v_lshlrev_b32_e32 v5, 30, v6
	v_xor_b32_e32 v7, vcc_lo, v7
	v_cmp_gt_i64_e32 vcc, 0, v[4:5]
	v_not_b32_e32 v5, v5
	v_ashrrev_i32_e32 v5, 31, v5
	v_and_b32_e32 v7, exec_lo, v7
	v_xor_b32_e32 v53, vcc_hi, v5
	v_xor_b32_e32 v5, vcc_lo, v5
	v_and_b32_e32 v7, v7, v5
	v_lshlrev_b32_e32 v5, 29, v6
	v_cmp_gt_i64_e32 vcc, 0, v[4:5]
	v_not_b32_e32 v5, v5
	v_ashrrev_i32_e32 v5, 31, v5
	v_and_b32_e32 v52, v52, v53
	v_xor_b32_e32 v53, vcc_hi, v5
	v_xor_b32_e32 v5, vcc_lo, v5
	v_and_b32_e32 v7, v7, v5
	v_lshlrev_b32_e32 v5, 28, v6
	v_cmp_gt_i64_e32 vcc, 0, v[4:5]
	v_not_b32_e32 v5, v5
	v_ashrrev_i32_e32 v5, 31, v5
	v_and_b32_e32 v52, v52, v53
	;; [unrolled: 8-line block ×5, first 2 shown]
	v_xor_b32_e32 v53, vcc_hi, v5
	v_xor_b32_e32 v5, vcc_lo, v5
	v_and_b32_e32 v52, v52, v53
	v_and_b32_e32 v53, v7, v5
	v_lshlrev_b32_e32 v5, 24, v6
	v_cmp_gt_i64_e32 vcc, 0, v[4:5]
	v_not_b32_e32 v5, v5
	v_ashrrev_i32_e32 v5, 31, v5
	v_xor_b32_e32 v6, vcc_hi, v5
	v_xor_b32_e32 v5, vcc_lo, v5
	; wave barrier
	ds_read_b32 v50, v54 offset:64
	v_and_b32_e32 v7, v52, v6
	v_and_b32_e32 v6, v53, v5
	v_mbcnt_lo_u32_b32 v5, v6, 0
	v_mbcnt_hi_u32_b32 v52, v7, v5
	v_cmp_eq_u32_e32 vcc, 0, v52
	v_cmp_ne_u64_e64 s[0:1], 0, v[6:7]
	s_and_b64 s[2:3], s[0:1], vcc
	; wave barrier
	s_and_saveexec_b64 s[0:1], s[2:3]
	s_cbranch_execz .LBB1786_47
; %bb.46:
	v_bcnt_u32_b32 v5, v6, 0
	v_bcnt_u32_b32 v5, v7, v5
	s_waitcnt lgkmcnt(0)
	v_add_u32_e32 v5, v50, v5
	ds_write_b32 v54, v5 offset:64
.LBB1786_47:
	s_or_b64 exec, exec, s[0:1]
	v_xor_b32_e32 v20, 0x80000000, v20
	v_lshrrev_b32_e32 v5, s16, v20
	v_and_b32_e32 v6, s28, v5
	v_lshl_add_u32 v5, v6, 4, v6
	v_add_lshl_u32 v56, v29, v5, 2
	v_and_b32_e32 v5, 1, v6
	v_add_co_u32_e32 v7, vcc, -1, v5
	v_addc_co_u32_e64 v29, s[0:1], 0, -1, vcc
	v_cmp_ne_u32_e32 vcc, 0, v5
	v_xor_b32_e32 v5, vcc_hi, v29
	v_and_b32_e32 v29, exec_hi, v5
	v_lshlrev_b32_e32 v5, 30, v6
	v_xor_b32_e32 v7, vcc_lo, v7
	v_cmp_gt_i64_e32 vcc, 0, v[4:5]
	v_not_b32_e32 v5, v5
	v_ashrrev_i32_e32 v5, 31, v5
	v_and_b32_e32 v7, exec_lo, v7
	v_xor_b32_e32 v55, vcc_hi, v5
	v_xor_b32_e32 v5, vcc_lo, v5
	v_and_b32_e32 v7, v7, v5
	v_lshlrev_b32_e32 v5, 29, v6
	v_cmp_gt_i64_e32 vcc, 0, v[4:5]
	v_not_b32_e32 v5, v5
	v_ashrrev_i32_e32 v5, 31, v5
	v_and_b32_e32 v29, v29, v55
	v_xor_b32_e32 v55, vcc_hi, v5
	v_xor_b32_e32 v5, vcc_lo, v5
	v_and_b32_e32 v7, v7, v5
	v_lshlrev_b32_e32 v5, 28, v6
	v_cmp_gt_i64_e32 vcc, 0, v[4:5]
	v_not_b32_e32 v5, v5
	v_ashrrev_i32_e32 v5, 31, v5
	v_and_b32_e32 v29, v29, v55
	;; [unrolled: 8-line block ×5, first 2 shown]
	v_xor_b32_e32 v55, vcc_hi, v5
	v_xor_b32_e32 v5, vcc_lo, v5
	v_and_b32_e32 v7, v7, v5
	v_lshlrev_b32_e32 v5, 24, v6
	v_cmp_gt_i64_e32 vcc, 0, v[4:5]
	v_not_b32_e32 v4, v5
	v_ashrrev_i32_e32 v4, 31, v4
	v_xor_b32_e32 v5, vcc_hi, v4
	v_xor_b32_e32 v4, vcc_lo, v4
	; wave barrier
	ds_read_b32 v53, v56 offset:64
	v_and_b32_e32 v29, v29, v55
	v_and_b32_e32 v4, v7, v4
	;; [unrolled: 1-line block ×3, first 2 shown]
	v_mbcnt_lo_u32_b32 v6, v4, 0
	v_mbcnt_hi_u32_b32 v55, v5, v6
	v_cmp_eq_u32_e32 vcc, 0, v55
	v_cmp_ne_u64_e64 s[0:1], 0, v[4:5]
	v_add_u32_e32 v57, 64, v9
	s_and_b64 s[2:3], s[0:1], vcc
	; wave barrier
	s_and_saveexec_b64 s[0:1], s[2:3]
	s_cbranch_execz .LBB1786_49
; %bb.48:
	v_bcnt_u32_b32 v4, v4, 0
	v_bcnt_u32_b32 v4, v5, v4
	s_waitcnt lgkmcnt(0)
	v_add_u32_e32 v4, v53, v4
	ds_write_b32 v56, v4 offset:64
.LBB1786_49:
	s_or_b64 exec, exec, s[0:1]
	; wave barrier
	s_waitcnt lgkmcnt(0)
	s_barrier
	ds_read2_b32 v[6:7], v9 offset0:16 offset1:17
	ds_read2_b32 v[4:5], v57 offset0:2 offset1:3
	ds_read_b32 v29, v57 offset:16
	v_cmp_lt_u32_e64 s[10:11], 31, v8
	s_waitcnt lgkmcnt(1)
	v_add3_u32 v58, v7, v6, v4
	s_waitcnt lgkmcnt(0)
	v_add3_u32 v29, v58, v5, v29
	v_and_b32_e32 v58, 15, v8
	v_cmp_eq_u32_e32 vcc, 0, v58
	v_mov_b32_dpp v59, v29 row_shr:1 row_mask:0xf bank_mask:0xf
	v_cndmask_b32_e64 v59, v59, 0, vcc
	v_add_u32_e32 v29, v59, v29
	v_cmp_lt_u32_e64 s[0:1], 1, v58
	v_cmp_lt_u32_e64 s[2:3], 3, v58
	v_mov_b32_dpp v59, v29 row_shr:2 row_mask:0xf bank_mask:0xf
	v_cndmask_b32_e64 v59, 0, v59, s[0:1]
	v_add_u32_e32 v29, v29, v59
	v_cmp_lt_u32_e64 s[8:9], 7, v58
	s_nop 0
	v_mov_b32_dpp v59, v29 row_shr:4 row_mask:0xf bank_mask:0xf
	v_cndmask_b32_e64 v59, 0, v59, s[2:3]
	v_add_u32_e32 v29, v29, v59
	s_nop 1
	v_mov_b32_dpp v59, v29 row_shr:8 row_mask:0xf bank_mask:0xf
	v_cndmask_b32_e64 v58, 0, v59, s[8:9]
	v_add_u32_e32 v29, v29, v58
	v_bfe_i32 v59, v8, 4, 1
	s_nop 0
	v_mov_b32_dpp v58, v29 row_bcast:15 row_mask:0xf bank_mask:0xf
	v_and_b32_e32 v58, v59, v58
	v_add_u32_e32 v29, v29, v58
	v_lshrrev_b32_e32 v59, 6, v2
	s_nop 0
	v_mov_b32_dpp v58, v29 row_bcast:31 row_mask:0xf bank_mask:0xf
	v_cndmask_b32_e64 v58, 0, v58, s[10:11]
	v_add_u32_e32 v58, v29, v58
	v_and_b32_e32 v29, 63, v2
	v_cmp_eq_u32_e64 s[10:11], 63, v29
	s_and_saveexec_b64 s[18:19], s[10:11]
	s_cbranch_execz .LBB1786_51
; %bb.50:
	v_lshlrev_b32_e32 v29, 2, v59
	ds_write_b32 v29, v58
.LBB1786_51:
	s_or_b64 exec, exec, s[18:19]
	v_cmp_gt_u32_e64 s[10:11], 16, v2
	v_lshlrev_b32_e32 v29, 2, v2
	s_waitcnt lgkmcnt(0)
	s_barrier
	s_and_saveexec_b64 s[18:19], s[10:11]
	s_cbranch_execz .LBB1786_53
; %bb.52:
	ds_read_b32 v60, v29
	s_waitcnt lgkmcnt(0)
	s_nop 0
	v_mov_b32_dpp v61, v60 row_shr:1 row_mask:0xf bank_mask:0xf
	v_cndmask_b32_e64 v61, v61, 0, vcc
	v_add_u32_e32 v60, v61, v60
	s_nop 1
	v_mov_b32_dpp v61, v60 row_shr:2 row_mask:0xf bank_mask:0xf
	v_cndmask_b32_e64 v61, 0, v61, s[0:1]
	v_add_u32_e32 v60, v60, v61
	s_nop 1
	v_mov_b32_dpp v61, v60 row_shr:4 row_mask:0xf bank_mask:0xf
	v_cndmask_b32_e64 v61, 0, v61, s[2:3]
	;; [unrolled: 4-line block ×3, first 2 shown]
	v_add_u32_e32 v60, v60, v61
	ds_write_b32 v29, v60
.LBB1786_53:
	s_or_b64 exec, exec, s[18:19]
	v_cmp_lt_u32_e32 vcc, 63, v2
	v_mov_b32_e32 v60, 0
	s_waitcnt lgkmcnt(0)
	s_barrier
	s_and_saveexec_b64 s[0:1], vcc
	s_cbranch_execz .LBB1786_55
; %bb.54:
	v_lshl_add_u32 v59, v59, 2, -4
	ds_read_b32 v60, v59
.LBB1786_55:
	s_or_b64 exec, exec, s[0:1]
	v_add_u32_e32 v59, -1, v8
	v_and_b32_e32 v61, 64, v8
	v_cmp_lt_i32_e32 vcc, v59, v61
	v_cndmask_b32_e32 v59, v59, v8, vcc
	s_waitcnt lgkmcnt(0)
	v_add_u32_e32 v58, v60, v58
	v_lshlrev_b32_e32 v59, 2, v59
	ds_bpermute_b32 v58, v59, v58
	v_cmp_eq_u32_e32 vcc, 0, v8
	s_movk_i32 s0, 0x100
	s_waitcnt lgkmcnt(0)
	v_cndmask_b32_e32 v8, v58, v60, vcc
	v_cmp_ne_u32_e32 vcc, 0, v2
	v_cndmask_b32_e32 v8, 0, v8, vcc
	v_add_u32_e32 v6, v8, v6
	v_add_u32_e32 v7, v6, v7
	;; [unrolled: 1-line block ×4, first 2 shown]
	ds_write2_b32 v9, v8, v6 offset0:16 offset1:17
	ds_write2_b32 v57, v7, v4 offset0:2 offset1:3
	ds_write_b32 v57, v5 offset:16
	s_waitcnt lgkmcnt(0)
	s_barrier
	ds_read_b32 v61, v18 offset:64
	ds_read_b32 v57, v19 offset:64
	ds_read_b32 v58, v24 offset:64
	ds_read_b32 v59, v31 offset:64
	ds_read_b32 v60, v36 offset:64
	ds_read_b32 v39, v39 offset:64
	ds_read_b32 v36, v42 offset:64
	ds_read_b32 v31, v45 offset:64
	ds_read_b32 v24, v48 offset:64
	ds_read_b32 v42, v51 offset:64
	ds_read_b32 v45, v54 offset:64
	ds_read_b32 v48, v56 offset:64
	v_cmp_gt_u32_e32 vcc, s0, v2
                                        ; implicit-def: $vgpr18
                                        ; implicit-def: $vgpr19
	s_and_saveexec_b64 s[2:3], vcc
	s_cbranch_execz .LBB1786_59
; %bb.56:
	v_mul_u32_u24_e32 v4, 17, v2
	v_lshlrev_b32_e32 v5, 2, v4
	ds_read_b32 v18, v5 offset:64
	s_movk_i32 s0, 0xff
	v_cmp_ne_u32_e64 s[0:1], s0, v2
	v_mov_b32_e32 v4, 0x3000
	s_and_saveexec_b64 s[8:9], s[0:1]
	s_cbranch_execz .LBB1786_58
; %bb.57:
	ds_read_b32 v4, v5 offset:132
.LBB1786_58:
	s_or_b64 exec, exec, s[8:9]
	s_waitcnt lgkmcnt(0)
	v_sub_u32_e32 v19, v4, v18
.LBB1786_59:
	s_or_b64 exec, exec, s[2:3]
	s_waitcnt lgkmcnt(0)
	s_barrier
	s_and_saveexec_b64 s[2:3], vcc
	s_cbranch_execz .LBB1786_69
; %bb.60:
	v_lshl_or_b32 v4, s6, 8, v2
	v_mov_b32_e32 v5, 0
	v_lshlrev_b64 v[6:7], 2, v[4:5]
	v_mov_b32_e32 v51, s25
	v_add_co_u32_e64 v6, s[0:1], s24, v6
	v_addc_co_u32_e64 v7, s[0:1], v51, v7, s[0:1]
	v_or_b32_e32 v4, 2.0, v19
	s_mov_b64 s[8:9], 0
	s_brev_b32 s29, 1
	s_mov_b32 s30, s6
	v_mov_b32_e32 v54, 0
	global_store_dword v[6:7], v4, off
                                        ; implicit-def: $sgpr0_sgpr1
	s_branch .LBB1786_62
.LBB1786_61:                            ;   in Loop: Header=BB1786_62 Depth=1
	s_or_b64 exec, exec, s[10:11]
	v_and_b32_e32 v8, 0x3fffffff, v56
	v_add_u32_e32 v54, v8, v54
	v_cmp_eq_u32_e64 s[0:1], s29, v4
	s_and_b64 s[10:11], exec, s[0:1]
	s_or_b64 s[8:9], s[10:11], s[8:9]
	s_andn2_b64 exec, exec, s[8:9]
	s_cbranch_execz .LBB1786_68
.LBB1786_62:                            ; =>This Loop Header: Depth=1
                                        ;     Child Loop BB1786_65 Depth 2
	s_or_b64 s[0:1], s[0:1], exec
	s_cmp_eq_u32 s30, 0
	s_cbranch_scc1 .LBB1786_67
; %bb.63:                               ;   in Loop: Header=BB1786_62 Depth=1
	s_add_i32 s30, s30, -1
	v_lshl_or_b32 v4, s30, 8, v2
	v_lshlrev_b64 v[8:9], 2, v[4:5]
	v_add_co_u32_e64 v8, s[0:1], s24, v8
	v_addc_co_u32_e64 v9, s[0:1], v51, v9, s[0:1]
	global_load_dword v56, v[8:9], off glc
	s_waitcnt vmcnt(0)
	v_and_b32_e32 v4, -2.0, v56
	v_cmp_eq_u32_e64 s[0:1], 0, v4
	s_and_saveexec_b64 s[10:11], s[0:1]
	s_cbranch_execz .LBB1786_61
; %bb.64:                               ;   in Loop: Header=BB1786_62 Depth=1
	s_mov_b64 s[18:19], 0
.LBB1786_65:                            ;   Parent Loop BB1786_62 Depth=1
                                        ; =>  This Inner Loop Header: Depth=2
	global_load_dword v56, v[8:9], off glc
	s_waitcnt vmcnt(0)
	v_and_b32_e32 v4, -2.0, v56
	v_cmp_ne_u32_e64 s[0:1], 0, v4
	s_or_b64 s[18:19], s[0:1], s[18:19]
	s_andn2_b64 exec, exec, s[18:19]
	s_cbranch_execnz .LBB1786_65
; %bb.66:                               ;   in Loop: Header=BB1786_62 Depth=1
	s_or_b64 exec, exec, s[18:19]
	s_branch .LBB1786_61
.LBB1786_67:                            ;   in Loop: Header=BB1786_62 Depth=1
                                        ; implicit-def: $sgpr30
	s_and_b64 s[10:11], exec, s[0:1]
	s_or_b64 s[8:9], s[10:11], s[8:9]
	s_andn2_b64 exec, exec, s[8:9]
	s_cbranch_execnz .LBB1786_62
.LBB1786_68:
	s_or_b64 exec, exec, s[8:9]
	v_add_u32_e32 v4, v54, v19
	v_or_b32_e32 v4, 0x80000000, v4
	global_store_dword v[6:7], v4, off
	global_load_dword v4, v29, s[12:13]
	v_sub_u32_e32 v5, v54, v18
	s_waitcnt vmcnt(0)
	v_add_u32_e32 v4, v5, v4
	ds_write_b32 v29, v4
.LBB1786_69:
	s_or_b64 exec, exec, s[2:3]
	v_add_u32_e32 v6, v61, v12
	s_movk_i32 s8, 0x400
	v_add_u32_e32 v7, 0x400, v29
	v_add3_u32 v8, v55, v48, v53
	v_add3_u32 v9, v52, v45, v50
	;; [unrolled: 1-line block ×11, first 2 shown]
	s_mov_b32 s9, 0
	v_mov_b32_e32 v5, 0
	s_movk_i32 s10, 0x800
	s_movk_i32 s11, 0xc00
	s_mov_b32 s18, 0
	s_branch .LBB1786_71
.LBB1786_70:                            ;   in Loop: Header=BB1786_71 Depth=1
	s_or_b64 exec, exec, s[2:3]
	s_addk_i32 s18, 0x1000
	s_addk_i32 s9, 0xf000
	s_cmpk_eq_i32 s9, 0xd000
	s_barrier
	s_cbranch_scc1 .LBB1786_80
.LBB1786_71:                            ; =>This Inner Loop Header: Depth=1
	v_add_u32_e32 v4, s9, v6
	v_min_u32_e32 v4, 0x1000, v4
	v_lshlrev_b32_e32 v4, 2, v4
	ds_write_b32 v4, v3 offset:1024
	v_add_u32_e32 v4, s9, v13
	v_min_u32_e32 v4, 0x1000, v4
	v_lshlrev_b32_e32 v4, 2, v4
	ds_write_b32 v4, v10 offset:1024
	;; [unrolled: 4-line block ×11, first 2 shown]
	v_add_u32_e32 v4, s9, v8
	v_min_u32_e32 v4, 0x1000, v4
	v_add_u32_e32 v15, s18, v2
	v_lshlrev_b32_e32 v4, 2, v4
	v_cmp_gt_u32_e64 s[0:1], s7, v15
	ds_write_b32 v4, v20 offset:1024
	s_waitcnt lgkmcnt(0)
	s_barrier
	s_and_saveexec_b64 s[2:3], s[0:1]
	s_cbranch_execz .LBB1786_73
; %bb.72:                               ;   in Loop: Header=BB1786_71 Depth=1
	ds_read_b32 v4, v29 offset:1024
	v_mov_b32_e32 v26, s23
	s_waitcnt lgkmcnt(0)
	v_lshrrev_b32_e32 v21, s16, v4
	v_and_b32_e32 v21, s28, v21
	v_lshlrev_b32_e32 v21, 2, v21
	ds_read_b32 v21, v21
	v_xor_b32_e32 v32, 0x80000000, v4
	s_waitcnt lgkmcnt(0)
	v_add_u32_e32 v4, v15, v21
	v_lshlrev_b64 v[38:39], 2, v[4:5]
	v_add_co_u32_e64 v38, s[0:1], s22, v38
	v_addc_co_u32_e64 v39, s[0:1], v26, v39, s[0:1]
	global_store_dword v[38:39], v32, off
.LBB1786_73:                            ;   in Loop: Header=BB1786_71 Depth=1
	s_or_b64 exec, exec, s[2:3]
	v_add_u32_e32 v4, 0x400, v15
	v_cmp_gt_u32_e64 s[0:1], s7, v4
	s_and_saveexec_b64 s[2:3], s[0:1]
	s_cbranch_execz .LBB1786_75
; %bb.74:                               ;   in Loop: Header=BB1786_71 Depth=1
	ds_read_b32 v4, v7 offset:4096
	v_mov_b32_e32 v26, s23
	s_waitcnt lgkmcnt(0)
	v_lshrrev_b32_e32 v21, s16, v4
	v_and_b32_e32 v21, s28, v21
	v_lshlrev_b32_e32 v21, 2, v21
	ds_read_b32 v21, v21
	v_xor_b32_e32 v32, 0x80000000, v4
	s_waitcnt lgkmcnt(0)
	v_add3_u32 v4, v15, v21, s8
	v_lshlrev_b64 v[38:39], 2, v[4:5]
	v_add_co_u32_e64 v38, s[0:1], s22, v38
	v_addc_co_u32_e64 v39, s[0:1], v26, v39, s[0:1]
	global_store_dword v[38:39], v32, off
.LBB1786_75:                            ;   in Loop: Header=BB1786_71 Depth=1
	s_or_b64 exec, exec, s[2:3]
	v_add_u32_e32 v4, 0x800, v15
	v_cmp_gt_u32_e64 s[0:1], s7, v4
	s_and_saveexec_b64 s[2:3], s[0:1]
	s_cbranch_execz .LBB1786_77
; %bb.76:                               ;   in Loop: Header=BB1786_71 Depth=1
	ds_read_b32 v4, v7 offset:8192
	v_mov_b32_e32 v26, s23
	s_waitcnt lgkmcnt(0)
	v_lshrrev_b32_e32 v21, s16, v4
	v_and_b32_e32 v21, s28, v21
	v_lshlrev_b32_e32 v21, 2, v21
	ds_read_b32 v21, v21
	v_xor_b32_e32 v32, 0x80000000, v4
	s_waitcnt lgkmcnt(0)
	v_add3_u32 v4, v15, v21, s10
	v_lshlrev_b64 v[38:39], 2, v[4:5]
	v_add_co_u32_e64 v38, s[0:1], s22, v38
	v_addc_co_u32_e64 v39, s[0:1], v26, v39, s[0:1]
	global_store_dword v[38:39], v32, off
.LBB1786_77:                            ;   in Loop: Header=BB1786_71 Depth=1
	s_or_b64 exec, exec, s[2:3]
	v_add_u32_e32 v4, 0xc00, v15
	v_cmp_gt_u32_e64 s[0:1], s7, v4
	s_and_saveexec_b64 s[2:3], s[0:1]
	s_cbranch_execz .LBB1786_70
; %bb.78:                               ;   in Loop: Header=BB1786_71 Depth=1
	ds_read_b32 v4, v7 offset:12288
	v_mov_b32_e32 v26, s23
	s_waitcnt lgkmcnt(0)
	v_lshrrev_b32_e32 v21, s16, v4
	v_and_b32_e32 v21, s28, v21
	v_lshlrev_b32_e32 v21, 2, v21
	ds_read_b32 v21, v21
	v_xor_b32_e32 v32, 0x80000000, v4
	s_waitcnt lgkmcnt(0)
	v_add3_u32 v4, v15, v21, s11
	v_lshlrev_b64 v[38:39], 2, v[4:5]
	v_add_co_u32_e64 v38, s[0:1], s22, v38
	v_addc_co_u32_e64 v39, s[0:1], v26, v39, s[0:1]
	global_store_dword v[38:39], v32, off
	s_branch .LBB1786_70
.LBB1786_79:
	s_mov_b64 s[10:11], 0
                                        ; implicit-def: $vgpr4
                                        ; implicit-def: $vgpr2
	s_cbranch_execnz .LBB1786_83
	s_branch .LBB1786_132
.LBB1786_80:
	s_add_i32 s27, s27, -1
	s_cmp_eq_u32 s27, s6
	s_cselect_b64 s[0:1], -1, 0
	s_and_b64 s[2:3], vcc, s[0:1]
	s_mov_b64 s[0:1], 0
	s_mov_b64 s[10:11], 0
                                        ; implicit-def: $vgpr4
	s_and_saveexec_b64 s[8:9], s[2:3]
	s_xor_b64 s[2:3], exec, s[8:9]
; %bb.81:
	s_mov_b64 s[10:11], exec
	v_add_u32_e32 v4, v18, v19
; %bb.82:
	s_or_b64 exec, exec, s[2:3]
	s_and_b64 vcc, exec, s[0:1]
	s_cbranch_vccz .LBB1786_132
.LBB1786_83:
	s_mov_b32 s27, 0
	v_mbcnt_hi_u32_b32 v6, -1, v1
	s_lshl_b64 s[0:1], s[26:27], 2
	v_and_b32_e32 v1, 63, v6
	s_add_u32 s0, s20, s0
	v_lshlrev_b32_e32 v1, 2, v1
	v_add_co_u32_e32 v1, vcc, s0, v1
	s_load_dword s7, s[4:5], 0x58
	s_load_dword s0, s[4:5], 0x64
	v_and_b32_e32 v2, 0x3ff, v0
	s_addc_u32 s1, s21, s1
	v_and_b32_e32 v3, 0x3c0, v2
	v_mul_u32_u24_e32 v3, 12, v3
	v_mov_b32_e32 v5, s1
	v_addc_co_u32_e32 v5, vcc, 0, v5, vcc
	v_lshlrev_b32_e32 v3, 2, v3
	s_add_u32 s1, s4, 0x58
	v_add_co_u32_e32 v12, vcc, v1, v3
	s_addc_u32 s2, s5, 0
	s_waitcnt lgkmcnt(0)
	s_lshr_b32 s3, s0, 16
	v_addc_co_u32_e32 v13, vcc, 0, v5, vcc
	s_cmp_lt_u32 s6, s7
	global_load_dword v1, v[12:13], off
	s_cselect_b32 s0, 12, 18
	s_add_u32 s0, s1, s0
	v_mov_b32_e32 v4, 0
	s_addc_u32 s1, s2, 0
	global_load_ushort v5, v4, s[0:1]
	v_mul_u32_u24_e32 v7, 5, v2
	v_lshlrev_b32_e32 v7, 2, v7
	ds_write2_b32 v7, v4, v4 offset0:16 offset1:17
	ds_write2_b32 v7, v4, v4 offset0:18 offset1:19
	ds_write_b32 v7, v4 offset:80
	global_load_dword v8, v[12:13], off offset:256
	global_load_dword v9, v[12:13], off offset:512
	;; [unrolled: 1-line block ×11, first 2 shown]
	v_bfe_u32 v3, v0, 10, 10
	v_bfe_u32 v0, v0, 20, 10
	v_mad_u32_u24 v0, v0, s3, v3
	s_lshl_b32 s0, -1, s17
	s_not_b32 s17, s0
	s_waitcnt lgkmcnt(0)
	s_barrier
	s_waitcnt lgkmcnt(0)
	; wave barrier
	s_waitcnt vmcnt(12)
	v_xor_b32_e32 v3, 0x80000000, v1
	v_lshrrev_b32_e32 v1, s16, v3
	v_and_b32_e32 v10, s17, v1
	v_and_b32_e32 v12, 1, v10
	s_waitcnt vmcnt(11)
	v_mad_u64_u32 v[0:1], s[0:1], v0, v5, v[2:3]
	v_lshrrev_b32_e32 v22, 6, v0
	v_add_co_u32_e32 v0, vcc, -1, v12
	v_lshlrev_b32_e32 v5, 30, v10
	v_addc_co_u32_e64 v14, s[0:1], 0, -1, vcc
	v_lshl_add_u32 v1, v10, 4, v10
	v_cmp_ne_u32_e32 vcc, 0, v12
	v_cmp_gt_i64_e64 s[0:1], 0, v[4:5]
	v_not_b32_e32 v12, v5
	v_lshlrev_b32_e32 v5, 29, v10
	v_add_lshl_u32 v13, v22, v1, 2
	v_xor_b32_e32 v1, vcc_hi, v14
	v_xor_b32_e32 v0, vcc_lo, v0
	v_ashrrev_i32_e32 v12, 31, v12
	v_cmp_gt_i64_e32 vcc, 0, v[4:5]
	v_not_b32_e32 v14, v5
	v_lshlrev_b32_e32 v5, 28, v10
	v_and_b32_e32 v1, exec_hi, v1
	v_and_b32_e32 v0, exec_lo, v0
	v_xor_b32_e32 v16, s1, v12
	v_xor_b32_e32 v12, s0, v12
	v_ashrrev_i32_e32 v14, 31, v14
	v_cmp_gt_i64_e64 s[0:1], 0, v[4:5]
	v_not_b32_e32 v5, v5
	v_and_b32_e32 v1, v1, v16
	v_and_b32_e32 v0, v0, v12
	v_xor_b32_e32 v12, vcc_hi, v14
	v_xor_b32_e32 v14, vcc_lo, v14
	v_ashrrev_i32_e32 v5, 31, v5
	v_and_b32_e32 v1, v1, v12
	v_and_b32_e32 v0, v0, v14
	v_xor_b32_e32 v12, s1, v5
	v_xor_b32_e32 v5, s0, v5
	v_and_b32_e32 v0, v0, v5
	v_lshlrev_b32_e32 v5, 27, v10
	v_cmp_gt_i64_e32 vcc, 0, v[4:5]
	v_not_b32_e32 v5, v5
	v_ashrrev_i32_e32 v5, 31, v5
	v_and_b32_e32 v1, v1, v12
	v_xor_b32_e32 v12, vcc_hi, v5
	v_xor_b32_e32 v5, vcc_lo, v5
	v_and_b32_e32 v0, v0, v5
	v_lshlrev_b32_e32 v5, 26, v10
	v_cmp_gt_i64_e32 vcc, 0, v[4:5]
	v_not_b32_e32 v5, v5
	v_ashrrev_i32_e32 v5, 31, v5
	v_and_b32_e32 v1, v1, v12
	v_xor_b32_e32 v12, vcc_hi, v5
	v_xor_b32_e32 v5, vcc_lo, v5
	;; [unrolled: 8-line block ×3, first 2 shown]
	v_and_b32_e32 v0, v0, v5
	v_lshlrev_b32_e32 v5, 24, v10
	v_cmp_gt_i64_e32 vcc, 0, v[4:5]
	v_not_b32_e32 v5, v5
	v_ashrrev_i32_e32 v5, 31, v5
	v_xor_b32_e32 v10, vcc_hi, v5
	v_xor_b32_e32 v5, vcc_lo, v5
	v_and_b32_e32 v1, v1, v12
	v_and_b32_e32 v0, v0, v5
	;; [unrolled: 1-line block ×3, first 2 shown]
	v_mbcnt_lo_u32_b32 v5, v0, 0
	v_mbcnt_hi_u32_b32 v10, v1, v5
	v_cmp_eq_u32_e32 vcc, 0, v10
	v_cmp_ne_u64_e64 s[0:1], 0, v[0:1]
	s_and_b64 s[2:3], s[0:1], vcc
	s_and_saveexec_b64 s[0:1], s[2:3]
	s_cbranch_execz .LBB1786_85
; %bb.84:
	v_bcnt_u32_b32 v0, v0, 0
	v_bcnt_u32_b32 v0, v1, v0
	ds_write_b32 v13, v0 offset:64
.LBB1786_85:
	s_or_b64 exec, exec, s[0:1]
	s_waitcnt vmcnt(10)
	v_xor_b32_e32 v8, 0x80000000, v8
	v_lshrrev_b32_e32 v0, s16, v8
	v_and_b32_e32 v0, s17, v0
	v_lshl_add_u32 v1, v0, 4, v0
	v_add_lshl_u32 v17, v22, v1, 2
	v_and_b32_e32 v1, 1, v0
	v_add_co_u32_e32 v5, vcc, -1, v1
	v_addc_co_u32_e64 v14, s[0:1], 0, -1, vcc
	v_cmp_ne_u32_e32 vcc, 0, v1
	v_xor_b32_e32 v5, vcc_lo, v5
	v_xor_b32_e32 v1, vcc_hi, v14
	v_and_b32_e32 v14, exec_lo, v5
	v_lshlrev_b32_e32 v5, 30, v0
	v_cmp_gt_i64_e32 vcc, 0, v[4:5]
	v_not_b32_e32 v5, v5
	v_ashrrev_i32_e32 v5, 31, v5
	v_xor_b32_e32 v16, vcc_hi, v5
	v_xor_b32_e32 v5, vcc_lo, v5
	v_and_b32_e32 v14, v14, v5
	v_lshlrev_b32_e32 v5, 29, v0
	v_cmp_gt_i64_e32 vcc, 0, v[4:5]
	v_not_b32_e32 v5, v5
	v_and_b32_e32 v1, exec_hi, v1
	v_ashrrev_i32_e32 v5, 31, v5
	v_and_b32_e32 v1, v1, v16
	v_xor_b32_e32 v16, vcc_hi, v5
	v_xor_b32_e32 v5, vcc_lo, v5
	v_and_b32_e32 v14, v14, v5
	v_lshlrev_b32_e32 v5, 28, v0
	v_cmp_gt_i64_e32 vcc, 0, v[4:5]
	v_not_b32_e32 v5, v5
	v_ashrrev_i32_e32 v5, 31, v5
	v_and_b32_e32 v1, v1, v16
	v_xor_b32_e32 v16, vcc_hi, v5
	v_xor_b32_e32 v5, vcc_lo, v5
	v_and_b32_e32 v14, v14, v5
	v_lshlrev_b32_e32 v5, 27, v0
	v_cmp_gt_i64_e32 vcc, 0, v[4:5]
	v_not_b32_e32 v5, v5
	;; [unrolled: 8-line block ×4, first 2 shown]
	v_ashrrev_i32_e32 v5, 31, v5
	v_and_b32_e32 v1, v1, v16
	v_xor_b32_e32 v16, vcc_hi, v5
	v_xor_b32_e32 v5, vcc_lo, v5
	v_and_b32_e32 v14, v14, v5
	v_lshlrev_b32_e32 v5, 24, v0
	v_not_b32_e32 v0, v5
	v_cmp_gt_i64_e32 vcc, 0, v[4:5]
	v_ashrrev_i32_e32 v0, 31, v0
	v_xor_b32_e32 v4, vcc_hi, v0
	v_xor_b32_e32 v0, vcc_lo, v0
	; wave barrier
	ds_read_b32 v12, v17 offset:64
	v_and_b32_e32 v1, v1, v16
	v_and_b32_e32 v0, v14, v0
	;; [unrolled: 1-line block ×3, first 2 shown]
	v_mbcnt_lo_u32_b32 v4, v0, 0
	v_mbcnt_hi_u32_b32 v14, v1, v4
	v_cmp_eq_u32_e32 vcc, 0, v14
	v_cmp_ne_u64_e64 s[0:1], 0, v[0:1]
	s_and_b64 s[2:3], s[0:1], vcc
	; wave barrier
	s_and_saveexec_b64 s[0:1], s[2:3]
	s_cbranch_execz .LBB1786_87
; %bb.86:
	v_bcnt_u32_b32 v0, v0, 0
	v_bcnt_u32_b32 v0, v1, v0
	s_waitcnt lgkmcnt(0)
	v_add_u32_e32 v0, v12, v0
	ds_write_b32 v17, v0 offset:64
.LBB1786_87:
	s_or_b64 exec, exec, s[0:1]
	s_waitcnt vmcnt(9)
	v_xor_b32_e32 v9, 0x80000000, v9
	v_lshrrev_b32_e32 v0, s16, v9
	v_and_b32_e32 v4, s17, v0
	v_and_b32_e32 v1, 1, v4
	v_add_co_u32_e32 v5, vcc, -1, v1
	v_addc_co_u32_e64 v18, s[0:1], 0, -1, vcc
	v_cmp_ne_u32_e32 vcc, 0, v1
	v_lshl_add_u32 v0, v4, 4, v4
	v_xor_b32_e32 v1, vcc_hi, v18
	v_add_lshl_u32 v23, v22, v0, 2
	v_mov_b32_e32 v0, 0
	v_and_b32_e32 v18, exec_hi, v1
	v_lshlrev_b32_e32 v1, 30, v4
	v_xor_b32_e32 v5, vcc_lo, v5
	v_cmp_gt_i64_e32 vcc, 0, v[0:1]
	v_not_b32_e32 v1, v1
	v_ashrrev_i32_e32 v1, 31, v1
	v_and_b32_e32 v5, exec_lo, v5
	v_xor_b32_e32 v20, vcc_hi, v1
	v_xor_b32_e32 v1, vcc_lo, v1
	v_and_b32_e32 v5, v5, v1
	v_lshlrev_b32_e32 v1, 29, v4
	v_cmp_gt_i64_e32 vcc, 0, v[0:1]
	v_not_b32_e32 v1, v1
	v_ashrrev_i32_e32 v1, 31, v1
	v_and_b32_e32 v18, v18, v20
	v_xor_b32_e32 v20, vcc_hi, v1
	v_xor_b32_e32 v1, vcc_lo, v1
	v_and_b32_e32 v5, v5, v1
	v_lshlrev_b32_e32 v1, 28, v4
	v_cmp_gt_i64_e32 vcc, 0, v[0:1]
	v_not_b32_e32 v1, v1
	v_ashrrev_i32_e32 v1, 31, v1
	v_and_b32_e32 v18, v18, v20
	;; [unrolled: 8-line block ×5, first 2 shown]
	v_xor_b32_e32 v20, vcc_hi, v1
	v_xor_b32_e32 v1, vcc_lo, v1
	v_and_b32_e32 v18, v18, v20
	v_and_b32_e32 v20, v5, v1
	v_lshlrev_b32_e32 v1, 24, v4
	v_cmp_gt_i64_e32 vcc, 0, v[0:1]
	v_not_b32_e32 v1, v1
	v_ashrrev_i32_e32 v1, 31, v1
	v_xor_b32_e32 v4, vcc_hi, v1
	v_xor_b32_e32 v1, vcc_lo, v1
	; wave barrier
	ds_read_b32 v16, v23 offset:64
	v_and_b32_e32 v5, v18, v4
	v_and_b32_e32 v4, v20, v1
	v_mbcnt_lo_u32_b32 v1, v4, 0
	v_mbcnt_hi_u32_b32 v18, v5, v1
	v_cmp_eq_u32_e32 vcc, 0, v18
	v_cmp_ne_u64_e64 s[0:1], 0, v[4:5]
	s_and_b64 s[2:3], s[0:1], vcc
	; wave barrier
	s_and_saveexec_b64 s[0:1], s[2:3]
	s_cbranch_execz .LBB1786_89
; %bb.88:
	v_bcnt_u32_b32 v1, v4, 0
	v_bcnt_u32_b32 v1, v5, v1
	s_waitcnt lgkmcnt(0)
	v_add_u32_e32 v1, v16, v1
	ds_write_b32 v23, v1 offset:64
.LBB1786_89:
	s_or_b64 exec, exec, s[0:1]
	s_waitcnt vmcnt(8)
	v_xor_b32_e32 v11, 0x80000000, v11
	v_lshrrev_b32_e32 v1, s16, v11
	v_and_b32_e32 v4, s17, v1
	v_lshl_add_u32 v1, v4, 4, v4
	v_add_lshl_u32 v28, v22, v1, 2
	v_and_b32_e32 v1, 1, v4
	v_add_co_u32_e32 v5, vcc, -1, v1
	v_addc_co_u32_e64 v24, s[0:1], 0, -1, vcc
	v_cmp_ne_u32_e32 vcc, 0, v1
	v_xor_b32_e32 v1, vcc_hi, v24
	v_and_b32_e32 v24, exec_hi, v1
	v_lshlrev_b32_e32 v1, 30, v4
	v_xor_b32_e32 v5, vcc_lo, v5
	v_cmp_gt_i64_e32 vcc, 0, v[0:1]
	v_not_b32_e32 v1, v1
	v_ashrrev_i32_e32 v1, 31, v1
	v_and_b32_e32 v5, exec_lo, v5
	v_xor_b32_e32 v26, vcc_hi, v1
	v_xor_b32_e32 v1, vcc_lo, v1
	v_and_b32_e32 v5, v5, v1
	v_lshlrev_b32_e32 v1, 29, v4
	v_cmp_gt_i64_e32 vcc, 0, v[0:1]
	v_not_b32_e32 v1, v1
	v_ashrrev_i32_e32 v1, 31, v1
	v_and_b32_e32 v24, v24, v26
	v_xor_b32_e32 v26, vcc_hi, v1
	v_xor_b32_e32 v1, vcc_lo, v1
	v_and_b32_e32 v5, v5, v1
	v_lshlrev_b32_e32 v1, 28, v4
	v_cmp_gt_i64_e32 vcc, 0, v[0:1]
	v_not_b32_e32 v1, v1
	v_ashrrev_i32_e32 v1, 31, v1
	v_and_b32_e32 v24, v24, v26
	;; [unrolled: 8-line block ×5, first 2 shown]
	v_xor_b32_e32 v26, vcc_hi, v1
	v_xor_b32_e32 v1, vcc_lo, v1
	v_and_b32_e32 v5, v5, v1
	v_lshlrev_b32_e32 v1, 24, v4
	v_cmp_gt_i64_e32 vcc, 0, v[0:1]
	v_not_b32_e32 v0, v1
	v_ashrrev_i32_e32 v0, 31, v0
	v_xor_b32_e32 v1, vcc_hi, v0
	v_xor_b32_e32 v0, vcc_lo, v0
	; wave barrier
	ds_read_b32 v20, v28 offset:64
	v_and_b32_e32 v24, v24, v26
	v_and_b32_e32 v0, v5, v0
	;; [unrolled: 1-line block ×3, first 2 shown]
	v_mbcnt_lo_u32_b32 v4, v0, 0
	v_mbcnt_hi_u32_b32 v24, v1, v4
	v_cmp_eq_u32_e32 vcc, 0, v24
	v_cmp_ne_u64_e64 s[0:1], 0, v[0:1]
	s_and_b64 s[2:3], s[0:1], vcc
	; wave barrier
	s_and_saveexec_b64 s[0:1], s[2:3]
	s_cbranch_execz .LBB1786_91
; %bb.90:
	v_bcnt_u32_b32 v0, v0, 0
	v_bcnt_u32_b32 v0, v1, v0
	s_waitcnt lgkmcnt(0)
	v_add_u32_e32 v0, v20, v0
	ds_write_b32 v28, v0 offset:64
.LBB1786_91:
	s_or_b64 exec, exec, s[0:1]
	s_waitcnt vmcnt(7)
	v_xor_b32_e32 v15, 0x80000000, v15
	v_lshrrev_b32_e32 v0, s16, v15
	v_and_b32_e32 v4, s17, v0
	v_and_b32_e32 v1, 1, v4
	v_add_co_u32_e32 v5, vcc, -1, v1
	v_addc_co_u32_e64 v29, s[0:1], 0, -1, vcc
	v_cmp_ne_u32_e32 vcc, 0, v1
	v_lshl_add_u32 v0, v4, 4, v4
	v_xor_b32_e32 v1, vcc_hi, v29
	v_add_lshl_u32 v33, v22, v0, 2
	v_mov_b32_e32 v0, 0
	v_and_b32_e32 v29, exec_hi, v1
	v_lshlrev_b32_e32 v1, 30, v4
	v_xor_b32_e32 v5, vcc_lo, v5
	v_cmp_gt_i64_e32 vcc, 0, v[0:1]
	v_not_b32_e32 v1, v1
	v_ashrrev_i32_e32 v1, 31, v1
	v_and_b32_e32 v5, exec_lo, v5
	v_xor_b32_e32 v31, vcc_hi, v1
	v_xor_b32_e32 v1, vcc_lo, v1
	v_and_b32_e32 v5, v5, v1
	v_lshlrev_b32_e32 v1, 29, v4
	v_cmp_gt_i64_e32 vcc, 0, v[0:1]
	v_not_b32_e32 v1, v1
	v_ashrrev_i32_e32 v1, 31, v1
	v_and_b32_e32 v29, v29, v31
	v_xor_b32_e32 v31, vcc_hi, v1
	v_xor_b32_e32 v1, vcc_lo, v1
	v_and_b32_e32 v5, v5, v1
	v_lshlrev_b32_e32 v1, 28, v4
	v_cmp_gt_i64_e32 vcc, 0, v[0:1]
	v_not_b32_e32 v1, v1
	v_ashrrev_i32_e32 v1, 31, v1
	v_and_b32_e32 v29, v29, v31
	;; [unrolled: 8-line block ×5, first 2 shown]
	v_xor_b32_e32 v31, vcc_hi, v1
	v_xor_b32_e32 v1, vcc_lo, v1
	v_and_b32_e32 v29, v29, v31
	v_and_b32_e32 v31, v5, v1
	v_lshlrev_b32_e32 v1, 24, v4
	v_cmp_gt_i64_e32 vcc, 0, v[0:1]
	v_not_b32_e32 v1, v1
	v_ashrrev_i32_e32 v1, 31, v1
	v_xor_b32_e32 v4, vcc_hi, v1
	v_xor_b32_e32 v1, vcc_lo, v1
	; wave barrier
	ds_read_b32 v26, v33 offset:64
	v_and_b32_e32 v5, v29, v4
	v_and_b32_e32 v4, v31, v1
	v_mbcnt_lo_u32_b32 v1, v4, 0
	v_mbcnt_hi_u32_b32 v29, v5, v1
	v_cmp_eq_u32_e32 vcc, 0, v29
	v_cmp_ne_u64_e64 s[0:1], 0, v[4:5]
	s_and_b64 s[2:3], s[0:1], vcc
	; wave barrier
	s_and_saveexec_b64 s[0:1], s[2:3]
	s_cbranch_execz .LBB1786_93
; %bb.92:
	v_bcnt_u32_b32 v1, v4, 0
	v_bcnt_u32_b32 v1, v5, v1
	s_waitcnt lgkmcnt(0)
	v_add_u32_e32 v1, v26, v1
	ds_write_b32 v33, v1 offset:64
.LBB1786_93:
	s_or_b64 exec, exec, s[0:1]
	s_waitcnt vmcnt(6)
	v_xor_b32_e32 v19, 0x80000000, v19
	v_lshrrev_b32_e32 v1, s16, v19
	v_and_b32_e32 v4, s17, v1
	v_lshl_add_u32 v1, v4, 4, v4
	v_add_lshl_u32 v37, v22, v1, 2
	v_and_b32_e32 v1, 1, v4
	v_add_co_u32_e32 v5, vcc, -1, v1
	v_addc_co_u32_e64 v34, s[0:1], 0, -1, vcc
	v_cmp_ne_u32_e32 vcc, 0, v1
	v_xor_b32_e32 v1, vcc_hi, v34
	v_and_b32_e32 v34, exec_hi, v1
	v_lshlrev_b32_e32 v1, 30, v4
	v_xor_b32_e32 v5, vcc_lo, v5
	v_cmp_gt_i64_e32 vcc, 0, v[0:1]
	v_not_b32_e32 v1, v1
	v_ashrrev_i32_e32 v1, 31, v1
	v_and_b32_e32 v5, exec_lo, v5
	v_xor_b32_e32 v36, vcc_hi, v1
	v_xor_b32_e32 v1, vcc_lo, v1
	v_and_b32_e32 v5, v5, v1
	v_lshlrev_b32_e32 v1, 29, v4
	v_cmp_gt_i64_e32 vcc, 0, v[0:1]
	v_not_b32_e32 v1, v1
	v_ashrrev_i32_e32 v1, 31, v1
	v_and_b32_e32 v34, v34, v36
	v_xor_b32_e32 v36, vcc_hi, v1
	v_xor_b32_e32 v1, vcc_lo, v1
	v_and_b32_e32 v5, v5, v1
	v_lshlrev_b32_e32 v1, 28, v4
	v_cmp_gt_i64_e32 vcc, 0, v[0:1]
	v_not_b32_e32 v1, v1
	v_ashrrev_i32_e32 v1, 31, v1
	v_and_b32_e32 v34, v34, v36
	;; [unrolled: 8-line block ×5, first 2 shown]
	v_xor_b32_e32 v36, vcc_hi, v1
	v_xor_b32_e32 v1, vcc_lo, v1
	v_and_b32_e32 v5, v5, v1
	v_lshlrev_b32_e32 v1, 24, v4
	v_cmp_gt_i64_e32 vcc, 0, v[0:1]
	v_not_b32_e32 v0, v1
	v_ashrrev_i32_e32 v0, 31, v0
	v_xor_b32_e32 v1, vcc_hi, v0
	v_xor_b32_e32 v0, vcc_lo, v0
	; wave barrier
	ds_read_b32 v31, v37 offset:64
	v_and_b32_e32 v34, v34, v36
	v_and_b32_e32 v0, v5, v0
	;; [unrolled: 1-line block ×3, first 2 shown]
	v_mbcnt_lo_u32_b32 v4, v0, 0
	v_mbcnt_hi_u32_b32 v34, v1, v4
	v_cmp_eq_u32_e32 vcc, 0, v34
	v_cmp_ne_u64_e64 s[0:1], 0, v[0:1]
	s_and_b64 s[2:3], s[0:1], vcc
	; wave barrier
	s_and_saveexec_b64 s[0:1], s[2:3]
	s_cbranch_execz .LBB1786_95
; %bb.94:
	v_bcnt_u32_b32 v0, v0, 0
	v_bcnt_u32_b32 v0, v1, v0
	s_waitcnt lgkmcnt(0)
	v_add_u32_e32 v0, v31, v0
	ds_write_b32 v37, v0 offset:64
.LBB1786_95:
	s_or_b64 exec, exec, s[0:1]
	s_waitcnt vmcnt(5)
	v_xor_b32_e32 v25, 0x80000000, v25
	v_lshrrev_b32_e32 v0, s16, v25
	v_and_b32_e32 v4, s17, v0
	v_and_b32_e32 v1, 1, v4
	v_add_co_u32_e32 v5, vcc, -1, v1
	v_addc_co_u32_e64 v38, s[0:1], 0, -1, vcc
	v_cmp_ne_u32_e32 vcc, 0, v1
	v_lshl_add_u32 v0, v4, 4, v4
	v_xor_b32_e32 v1, vcc_hi, v38
	v_add_lshl_u32 v40, v22, v0, 2
	v_mov_b32_e32 v0, 0
	v_and_b32_e32 v38, exec_hi, v1
	v_lshlrev_b32_e32 v1, 30, v4
	v_xor_b32_e32 v5, vcc_lo, v5
	v_cmp_gt_i64_e32 vcc, 0, v[0:1]
	v_not_b32_e32 v1, v1
	v_ashrrev_i32_e32 v1, 31, v1
	v_and_b32_e32 v5, exec_lo, v5
	v_xor_b32_e32 v39, vcc_hi, v1
	v_xor_b32_e32 v1, vcc_lo, v1
	v_and_b32_e32 v5, v5, v1
	v_lshlrev_b32_e32 v1, 29, v4
	v_cmp_gt_i64_e32 vcc, 0, v[0:1]
	v_not_b32_e32 v1, v1
	v_ashrrev_i32_e32 v1, 31, v1
	v_and_b32_e32 v38, v38, v39
	v_xor_b32_e32 v39, vcc_hi, v1
	v_xor_b32_e32 v1, vcc_lo, v1
	v_and_b32_e32 v5, v5, v1
	v_lshlrev_b32_e32 v1, 28, v4
	v_cmp_gt_i64_e32 vcc, 0, v[0:1]
	v_not_b32_e32 v1, v1
	v_ashrrev_i32_e32 v1, 31, v1
	v_and_b32_e32 v38, v38, v39
	;; [unrolled: 8-line block ×5, first 2 shown]
	v_xor_b32_e32 v39, vcc_hi, v1
	v_xor_b32_e32 v1, vcc_lo, v1
	v_and_b32_e32 v38, v38, v39
	v_and_b32_e32 v39, v5, v1
	v_lshlrev_b32_e32 v1, 24, v4
	v_cmp_gt_i64_e32 vcc, 0, v[0:1]
	v_not_b32_e32 v1, v1
	v_ashrrev_i32_e32 v1, 31, v1
	v_xor_b32_e32 v4, vcc_hi, v1
	v_xor_b32_e32 v1, vcc_lo, v1
	; wave barrier
	ds_read_b32 v36, v40 offset:64
	v_and_b32_e32 v5, v38, v4
	v_and_b32_e32 v4, v39, v1
	v_mbcnt_lo_u32_b32 v1, v4, 0
	v_mbcnt_hi_u32_b32 v38, v5, v1
	v_cmp_eq_u32_e32 vcc, 0, v38
	v_cmp_ne_u64_e64 s[0:1], 0, v[4:5]
	s_and_b64 s[2:3], s[0:1], vcc
	; wave barrier
	s_and_saveexec_b64 s[0:1], s[2:3]
	s_cbranch_execz .LBB1786_97
; %bb.96:
	v_bcnt_u32_b32 v1, v4, 0
	v_bcnt_u32_b32 v1, v5, v1
	s_waitcnt lgkmcnt(0)
	v_add_u32_e32 v1, v36, v1
	ds_write_b32 v40, v1 offset:64
.LBB1786_97:
	s_or_b64 exec, exec, s[0:1]
	s_waitcnt vmcnt(4)
	v_xor_b32_e32 v30, 0x80000000, v30
	v_lshrrev_b32_e32 v1, s16, v30
	v_and_b32_e32 v4, s17, v1
	v_lshl_add_u32 v1, v4, 4, v4
	v_add_lshl_u32 v43, v22, v1, 2
	v_and_b32_e32 v1, 1, v4
	v_add_co_u32_e32 v5, vcc, -1, v1
	v_addc_co_u32_e64 v41, s[0:1], 0, -1, vcc
	v_cmp_ne_u32_e32 vcc, 0, v1
	v_xor_b32_e32 v1, vcc_hi, v41
	v_and_b32_e32 v41, exec_hi, v1
	v_lshlrev_b32_e32 v1, 30, v4
	v_xor_b32_e32 v5, vcc_lo, v5
	v_cmp_gt_i64_e32 vcc, 0, v[0:1]
	v_not_b32_e32 v1, v1
	v_ashrrev_i32_e32 v1, 31, v1
	v_and_b32_e32 v5, exec_lo, v5
	v_xor_b32_e32 v42, vcc_hi, v1
	v_xor_b32_e32 v1, vcc_lo, v1
	v_and_b32_e32 v5, v5, v1
	v_lshlrev_b32_e32 v1, 29, v4
	v_cmp_gt_i64_e32 vcc, 0, v[0:1]
	v_not_b32_e32 v1, v1
	v_ashrrev_i32_e32 v1, 31, v1
	v_and_b32_e32 v41, v41, v42
	v_xor_b32_e32 v42, vcc_hi, v1
	v_xor_b32_e32 v1, vcc_lo, v1
	v_and_b32_e32 v5, v5, v1
	v_lshlrev_b32_e32 v1, 28, v4
	v_cmp_gt_i64_e32 vcc, 0, v[0:1]
	v_not_b32_e32 v1, v1
	v_ashrrev_i32_e32 v1, 31, v1
	v_and_b32_e32 v41, v41, v42
	;; [unrolled: 8-line block ×5, first 2 shown]
	v_xor_b32_e32 v42, vcc_hi, v1
	v_xor_b32_e32 v1, vcc_lo, v1
	v_and_b32_e32 v5, v5, v1
	v_lshlrev_b32_e32 v1, 24, v4
	v_cmp_gt_i64_e32 vcc, 0, v[0:1]
	v_not_b32_e32 v0, v1
	v_ashrrev_i32_e32 v0, 31, v0
	v_xor_b32_e32 v1, vcc_hi, v0
	v_xor_b32_e32 v0, vcc_lo, v0
	; wave barrier
	ds_read_b32 v39, v43 offset:64
	v_and_b32_e32 v41, v41, v42
	v_and_b32_e32 v0, v5, v0
	;; [unrolled: 1-line block ×3, first 2 shown]
	v_mbcnt_lo_u32_b32 v4, v0, 0
	v_mbcnt_hi_u32_b32 v41, v1, v4
	v_cmp_eq_u32_e32 vcc, 0, v41
	v_cmp_ne_u64_e64 s[0:1], 0, v[0:1]
	s_and_b64 s[2:3], s[0:1], vcc
	; wave barrier
	s_and_saveexec_b64 s[0:1], s[2:3]
	s_cbranch_execz .LBB1786_99
; %bb.98:
	v_bcnt_u32_b32 v0, v0, 0
	v_bcnt_u32_b32 v0, v1, v0
	s_waitcnt lgkmcnt(0)
	v_add_u32_e32 v0, v39, v0
	ds_write_b32 v43, v0 offset:64
.LBB1786_99:
	s_or_b64 exec, exec, s[0:1]
	s_waitcnt vmcnt(3)
	v_xor_b32_e32 v35, 0x80000000, v35
	v_lshrrev_b32_e32 v0, s16, v35
	v_and_b32_e32 v4, s17, v0
	v_and_b32_e32 v1, 1, v4
	v_add_co_u32_e32 v5, vcc, -1, v1
	v_addc_co_u32_e64 v44, s[0:1], 0, -1, vcc
	v_cmp_ne_u32_e32 vcc, 0, v1
	v_lshl_add_u32 v0, v4, 4, v4
	v_xor_b32_e32 v1, vcc_hi, v44
	v_add_lshl_u32 v46, v22, v0, 2
	v_mov_b32_e32 v0, 0
	v_and_b32_e32 v44, exec_hi, v1
	v_lshlrev_b32_e32 v1, 30, v4
	v_xor_b32_e32 v5, vcc_lo, v5
	v_cmp_gt_i64_e32 vcc, 0, v[0:1]
	v_not_b32_e32 v1, v1
	v_ashrrev_i32_e32 v1, 31, v1
	v_and_b32_e32 v5, exec_lo, v5
	v_xor_b32_e32 v45, vcc_hi, v1
	v_xor_b32_e32 v1, vcc_lo, v1
	v_and_b32_e32 v5, v5, v1
	v_lshlrev_b32_e32 v1, 29, v4
	v_cmp_gt_i64_e32 vcc, 0, v[0:1]
	v_not_b32_e32 v1, v1
	v_ashrrev_i32_e32 v1, 31, v1
	v_and_b32_e32 v44, v44, v45
	v_xor_b32_e32 v45, vcc_hi, v1
	v_xor_b32_e32 v1, vcc_lo, v1
	v_and_b32_e32 v5, v5, v1
	v_lshlrev_b32_e32 v1, 28, v4
	v_cmp_gt_i64_e32 vcc, 0, v[0:1]
	v_not_b32_e32 v1, v1
	v_ashrrev_i32_e32 v1, 31, v1
	v_and_b32_e32 v44, v44, v45
	;; [unrolled: 8-line block ×5, first 2 shown]
	v_xor_b32_e32 v45, vcc_hi, v1
	v_xor_b32_e32 v1, vcc_lo, v1
	v_and_b32_e32 v44, v44, v45
	v_and_b32_e32 v45, v5, v1
	v_lshlrev_b32_e32 v1, 24, v4
	v_cmp_gt_i64_e32 vcc, 0, v[0:1]
	v_not_b32_e32 v1, v1
	v_ashrrev_i32_e32 v1, 31, v1
	v_xor_b32_e32 v4, vcc_hi, v1
	v_xor_b32_e32 v1, vcc_lo, v1
	; wave barrier
	ds_read_b32 v42, v46 offset:64
	v_and_b32_e32 v5, v44, v4
	v_and_b32_e32 v4, v45, v1
	v_mbcnt_lo_u32_b32 v1, v4, 0
	v_mbcnt_hi_u32_b32 v44, v5, v1
	v_cmp_eq_u32_e32 vcc, 0, v44
	v_cmp_ne_u64_e64 s[0:1], 0, v[4:5]
	s_and_b64 s[2:3], s[0:1], vcc
	; wave barrier
	s_and_saveexec_b64 s[0:1], s[2:3]
	s_cbranch_execz .LBB1786_101
; %bb.100:
	v_bcnt_u32_b32 v1, v4, 0
	v_bcnt_u32_b32 v1, v5, v1
	s_waitcnt lgkmcnt(0)
	v_add_u32_e32 v1, v42, v1
	ds_write_b32 v46, v1 offset:64
.LBB1786_101:
	s_or_b64 exec, exec, s[0:1]
	s_waitcnt vmcnt(2)
	v_xor_b32_e32 v32, 0x80000000, v32
	v_lshrrev_b32_e32 v1, s16, v32
	v_and_b32_e32 v4, s17, v1
	v_lshl_add_u32 v1, v4, 4, v4
	v_add_lshl_u32 v49, v22, v1, 2
	v_and_b32_e32 v1, 1, v4
	v_add_co_u32_e32 v5, vcc, -1, v1
	v_addc_co_u32_e64 v47, s[0:1], 0, -1, vcc
	v_cmp_ne_u32_e32 vcc, 0, v1
	v_xor_b32_e32 v1, vcc_hi, v47
	v_and_b32_e32 v47, exec_hi, v1
	v_lshlrev_b32_e32 v1, 30, v4
	v_xor_b32_e32 v5, vcc_lo, v5
	v_cmp_gt_i64_e32 vcc, 0, v[0:1]
	v_not_b32_e32 v1, v1
	v_ashrrev_i32_e32 v1, 31, v1
	v_and_b32_e32 v5, exec_lo, v5
	v_xor_b32_e32 v48, vcc_hi, v1
	v_xor_b32_e32 v1, vcc_lo, v1
	v_and_b32_e32 v5, v5, v1
	v_lshlrev_b32_e32 v1, 29, v4
	v_cmp_gt_i64_e32 vcc, 0, v[0:1]
	v_not_b32_e32 v1, v1
	v_ashrrev_i32_e32 v1, 31, v1
	v_and_b32_e32 v47, v47, v48
	v_xor_b32_e32 v48, vcc_hi, v1
	v_xor_b32_e32 v1, vcc_lo, v1
	v_and_b32_e32 v5, v5, v1
	v_lshlrev_b32_e32 v1, 28, v4
	v_cmp_gt_i64_e32 vcc, 0, v[0:1]
	v_not_b32_e32 v1, v1
	v_ashrrev_i32_e32 v1, 31, v1
	v_and_b32_e32 v47, v47, v48
	;; [unrolled: 8-line block ×5, first 2 shown]
	v_xor_b32_e32 v48, vcc_hi, v1
	v_xor_b32_e32 v1, vcc_lo, v1
	v_and_b32_e32 v5, v5, v1
	v_lshlrev_b32_e32 v1, 24, v4
	v_cmp_gt_i64_e32 vcc, 0, v[0:1]
	v_not_b32_e32 v0, v1
	v_ashrrev_i32_e32 v0, 31, v0
	v_xor_b32_e32 v1, vcc_hi, v0
	v_xor_b32_e32 v0, vcc_lo, v0
	; wave barrier
	ds_read_b32 v45, v49 offset:64
	v_and_b32_e32 v47, v47, v48
	v_and_b32_e32 v0, v5, v0
	;; [unrolled: 1-line block ×3, first 2 shown]
	v_mbcnt_lo_u32_b32 v4, v0, 0
	v_mbcnt_hi_u32_b32 v47, v1, v4
	v_cmp_eq_u32_e32 vcc, 0, v47
	v_cmp_ne_u64_e64 s[0:1], 0, v[0:1]
	s_and_b64 s[2:3], s[0:1], vcc
	; wave barrier
	s_and_saveexec_b64 s[0:1], s[2:3]
	s_cbranch_execz .LBB1786_103
; %bb.102:
	v_bcnt_u32_b32 v0, v0, 0
	v_bcnt_u32_b32 v0, v1, v0
	s_waitcnt lgkmcnt(0)
	v_add_u32_e32 v0, v45, v0
	ds_write_b32 v49, v0 offset:64
.LBB1786_103:
	s_or_b64 exec, exec, s[0:1]
	s_waitcnt vmcnt(1)
	v_xor_b32_e32 v27, 0x80000000, v27
	v_lshrrev_b32_e32 v0, s16, v27
	v_and_b32_e32 v4, s17, v0
	v_and_b32_e32 v1, 1, v4
	v_add_co_u32_e32 v5, vcc, -1, v1
	v_addc_co_u32_e64 v50, s[0:1], 0, -1, vcc
	v_cmp_ne_u32_e32 vcc, 0, v1
	v_lshl_add_u32 v0, v4, 4, v4
	v_xor_b32_e32 v1, vcc_hi, v50
	v_add_lshl_u32 v52, v22, v0, 2
	v_mov_b32_e32 v0, 0
	v_and_b32_e32 v50, exec_hi, v1
	v_lshlrev_b32_e32 v1, 30, v4
	v_xor_b32_e32 v5, vcc_lo, v5
	v_cmp_gt_i64_e32 vcc, 0, v[0:1]
	v_not_b32_e32 v1, v1
	v_ashrrev_i32_e32 v1, 31, v1
	v_and_b32_e32 v5, exec_lo, v5
	v_xor_b32_e32 v51, vcc_hi, v1
	v_xor_b32_e32 v1, vcc_lo, v1
	v_and_b32_e32 v5, v5, v1
	v_lshlrev_b32_e32 v1, 29, v4
	v_cmp_gt_i64_e32 vcc, 0, v[0:1]
	v_not_b32_e32 v1, v1
	v_ashrrev_i32_e32 v1, 31, v1
	v_and_b32_e32 v50, v50, v51
	v_xor_b32_e32 v51, vcc_hi, v1
	v_xor_b32_e32 v1, vcc_lo, v1
	v_and_b32_e32 v5, v5, v1
	v_lshlrev_b32_e32 v1, 28, v4
	v_cmp_gt_i64_e32 vcc, 0, v[0:1]
	v_not_b32_e32 v1, v1
	v_ashrrev_i32_e32 v1, 31, v1
	v_and_b32_e32 v50, v50, v51
	v_xor_b32_e32 v51, vcc_hi, v1
	v_xor_b32_e32 v1, vcc_lo, v1
	v_and_b32_e32 v5, v5, v1
	v_lshlrev_b32_e32 v1, 27, v4
	v_cmp_gt_i64_e32 vcc, 0, v[0:1]
	v_not_b32_e32 v1, v1
	v_ashrrev_i32_e32 v1, 31, v1
	v_and_b32_e32 v50, v50, v51
	v_xor_b32_e32 v51, vcc_hi, v1
	v_xor_b32_e32 v1, vcc_lo, v1
	v_and_b32_e32 v5, v5, v1
	v_lshlrev_b32_e32 v1, 26, v4
	v_cmp_gt_i64_e32 vcc, 0, v[0:1]
	v_not_b32_e32 v1, v1
	v_ashrrev_i32_e32 v1, 31, v1
	v_and_b32_e32 v50, v50, v51
	v_xor_b32_e32 v51, vcc_hi, v1
	v_xor_b32_e32 v1, vcc_lo, v1
	v_and_b32_e32 v5, v5, v1
	v_lshlrev_b32_e32 v1, 25, v4
	v_cmp_gt_i64_e32 vcc, 0, v[0:1]
	v_not_b32_e32 v1, v1
	v_ashrrev_i32_e32 v1, 31, v1
	v_and_b32_e32 v50, v50, v51
	v_xor_b32_e32 v51, vcc_hi, v1
	v_xor_b32_e32 v1, vcc_lo, v1
	v_and_b32_e32 v50, v50, v51
	v_and_b32_e32 v51, v5, v1
	v_lshlrev_b32_e32 v1, 24, v4
	v_cmp_gt_i64_e32 vcc, 0, v[0:1]
	v_not_b32_e32 v1, v1
	v_ashrrev_i32_e32 v1, 31, v1
	v_xor_b32_e32 v4, vcc_hi, v1
	v_xor_b32_e32 v1, vcc_lo, v1
	; wave barrier
	ds_read_b32 v48, v52 offset:64
	v_and_b32_e32 v5, v50, v4
	v_and_b32_e32 v4, v51, v1
	v_mbcnt_lo_u32_b32 v1, v4, 0
	v_mbcnt_hi_u32_b32 v50, v5, v1
	v_cmp_eq_u32_e32 vcc, 0, v50
	v_cmp_ne_u64_e64 s[0:1], 0, v[4:5]
	s_and_b64 s[2:3], s[0:1], vcc
	; wave barrier
	s_and_saveexec_b64 s[0:1], s[2:3]
	s_cbranch_execz .LBB1786_105
; %bb.104:
	v_bcnt_u32_b32 v1, v4, 0
	v_bcnt_u32_b32 v1, v5, v1
	s_waitcnt lgkmcnt(0)
	v_add_u32_e32 v1, v48, v1
	ds_write_b32 v52, v1 offset:64
.LBB1786_105:
	s_or_b64 exec, exec, s[0:1]
	s_waitcnt vmcnt(0)
	v_xor_b32_e32 v21, 0x80000000, v21
	v_lshrrev_b32_e32 v1, s16, v21
	v_and_b32_e32 v4, s17, v1
	v_lshl_add_u32 v1, v4, 4, v4
	v_add_lshl_u32 v54, v22, v1, 2
	v_and_b32_e32 v1, 1, v4
	v_add_co_u32_e32 v5, vcc, -1, v1
	v_addc_co_u32_e64 v22, s[0:1], 0, -1, vcc
	v_cmp_ne_u32_e32 vcc, 0, v1
	v_xor_b32_e32 v1, vcc_hi, v22
	v_and_b32_e32 v22, exec_hi, v1
	v_lshlrev_b32_e32 v1, 30, v4
	v_xor_b32_e32 v5, vcc_lo, v5
	v_cmp_gt_i64_e32 vcc, 0, v[0:1]
	v_not_b32_e32 v1, v1
	v_ashrrev_i32_e32 v1, 31, v1
	v_and_b32_e32 v5, exec_lo, v5
	v_xor_b32_e32 v53, vcc_hi, v1
	v_xor_b32_e32 v1, vcc_lo, v1
	v_and_b32_e32 v5, v5, v1
	v_lshlrev_b32_e32 v1, 29, v4
	v_cmp_gt_i64_e32 vcc, 0, v[0:1]
	v_not_b32_e32 v1, v1
	v_ashrrev_i32_e32 v1, 31, v1
	v_and_b32_e32 v22, v22, v53
	v_xor_b32_e32 v53, vcc_hi, v1
	v_xor_b32_e32 v1, vcc_lo, v1
	v_and_b32_e32 v5, v5, v1
	v_lshlrev_b32_e32 v1, 28, v4
	v_cmp_gt_i64_e32 vcc, 0, v[0:1]
	v_not_b32_e32 v1, v1
	v_ashrrev_i32_e32 v1, 31, v1
	v_and_b32_e32 v22, v22, v53
	;; [unrolled: 8-line block ×5, first 2 shown]
	v_xor_b32_e32 v53, vcc_hi, v1
	v_xor_b32_e32 v1, vcc_lo, v1
	v_and_b32_e32 v5, v5, v1
	v_lshlrev_b32_e32 v1, 24, v4
	v_cmp_gt_i64_e32 vcc, 0, v[0:1]
	v_not_b32_e32 v0, v1
	v_ashrrev_i32_e32 v0, 31, v0
	v_xor_b32_e32 v1, vcc_hi, v0
	v_xor_b32_e32 v0, vcc_lo, v0
	; wave barrier
	ds_read_b32 v51, v54 offset:64
	v_and_b32_e32 v22, v22, v53
	v_and_b32_e32 v0, v5, v0
	;; [unrolled: 1-line block ×3, first 2 shown]
	v_mbcnt_lo_u32_b32 v4, v0, 0
	v_mbcnt_hi_u32_b32 v53, v1, v4
	v_cmp_eq_u32_e32 vcc, 0, v53
	v_cmp_ne_u64_e64 s[0:1], 0, v[0:1]
	v_add_u32_e32 v55, 64, v7
	s_and_b64 s[2:3], s[0:1], vcc
	; wave barrier
	s_and_saveexec_b64 s[0:1], s[2:3]
	s_cbranch_execz .LBB1786_107
; %bb.106:
	v_bcnt_u32_b32 v0, v0, 0
	v_bcnt_u32_b32 v0, v1, v0
	s_waitcnt lgkmcnt(0)
	v_add_u32_e32 v0, v51, v0
	ds_write_b32 v54, v0 offset:64
.LBB1786_107:
	s_or_b64 exec, exec, s[0:1]
	; wave barrier
	s_waitcnt lgkmcnt(0)
	s_barrier
	ds_read2_b32 v[4:5], v7 offset0:16 offset1:17
	ds_read2_b32 v[0:1], v55 offset0:2 offset1:3
	ds_read_b32 v22, v55 offset:16
	v_cmp_lt_u32_e64 s[8:9], 31, v6
	s_waitcnt lgkmcnt(1)
	v_add3_u32 v56, v5, v4, v0
	s_waitcnt lgkmcnt(0)
	v_add3_u32 v22, v56, v1, v22
	v_and_b32_e32 v56, 15, v6
	v_cmp_eq_u32_e32 vcc, 0, v56
	v_mov_b32_dpp v57, v22 row_shr:1 row_mask:0xf bank_mask:0xf
	v_cndmask_b32_e64 v57, v57, 0, vcc
	v_add_u32_e32 v22, v57, v22
	v_cmp_lt_u32_e64 s[0:1], 1, v56
	v_cmp_lt_u32_e64 s[2:3], 3, v56
	v_mov_b32_dpp v57, v22 row_shr:2 row_mask:0xf bank_mask:0xf
	v_cndmask_b32_e64 v57, 0, v57, s[0:1]
	v_add_u32_e32 v22, v22, v57
	v_cmp_lt_u32_e64 s[4:5], 7, v56
	s_nop 0
	v_mov_b32_dpp v57, v22 row_shr:4 row_mask:0xf bank_mask:0xf
	v_cndmask_b32_e64 v57, 0, v57, s[2:3]
	v_add_u32_e32 v22, v22, v57
	s_nop 1
	v_mov_b32_dpp v57, v22 row_shr:8 row_mask:0xf bank_mask:0xf
	v_cndmask_b32_e64 v56, 0, v57, s[4:5]
	v_add_u32_e32 v22, v22, v56
	v_bfe_i32 v57, v6, 4, 1
	s_nop 0
	v_mov_b32_dpp v56, v22 row_bcast:15 row_mask:0xf bank_mask:0xf
	v_and_b32_e32 v56, v57, v56
	v_add_u32_e32 v22, v22, v56
	v_lshrrev_b32_e32 v57, 6, v2
	s_nop 0
	v_mov_b32_dpp v56, v22 row_bcast:31 row_mask:0xf bank_mask:0xf
	v_cndmask_b32_e64 v56, 0, v56, s[8:9]
	v_add_u32_e32 v56, v22, v56
	v_and_b32_e32 v22, 63, v2
	v_cmp_eq_u32_e64 s[8:9], 63, v22
	s_and_saveexec_b64 s[18:19], s[8:9]
	s_cbranch_execz .LBB1786_109
; %bb.108:
	v_lshlrev_b32_e32 v22, 2, v57
	ds_write_b32 v22, v56
.LBB1786_109:
	s_or_b64 exec, exec, s[18:19]
	v_cmp_gt_u32_e64 s[8:9], 16, v2
	v_lshlrev_b32_e32 v22, 2, v2
	s_waitcnt lgkmcnt(0)
	s_barrier
	s_and_saveexec_b64 s[18:19], s[8:9]
	s_cbranch_execz .LBB1786_111
; %bb.110:
	ds_read_b32 v58, v22
	s_waitcnt lgkmcnt(0)
	s_nop 0
	v_mov_b32_dpp v59, v58 row_shr:1 row_mask:0xf bank_mask:0xf
	v_cndmask_b32_e64 v59, v59, 0, vcc
	v_add_u32_e32 v58, v59, v58
	s_nop 1
	v_mov_b32_dpp v59, v58 row_shr:2 row_mask:0xf bank_mask:0xf
	v_cndmask_b32_e64 v59, 0, v59, s[0:1]
	v_add_u32_e32 v58, v58, v59
	s_nop 1
	v_mov_b32_dpp v59, v58 row_shr:4 row_mask:0xf bank_mask:0xf
	v_cndmask_b32_e64 v59, 0, v59, s[2:3]
	;; [unrolled: 4-line block ×3, first 2 shown]
	v_add_u32_e32 v58, v58, v59
	ds_write_b32 v22, v58
.LBB1786_111:
	s_or_b64 exec, exec, s[18:19]
	v_cmp_lt_u32_e32 vcc, 63, v2
	v_mov_b32_e32 v58, 0
	s_waitcnt lgkmcnt(0)
	s_barrier
	s_and_saveexec_b64 s[0:1], vcc
	s_cbranch_execz .LBB1786_113
; %bb.112:
	v_lshl_add_u32 v57, v57, 2, -4
	ds_read_b32 v58, v57
.LBB1786_113:
	s_or_b64 exec, exec, s[0:1]
	v_add_u32_e32 v57, -1, v6
	v_and_b32_e32 v59, 64, v6
	v_cmp_lt_i32_e32 vcc, v57, v59
	v_cndmask_b32_e32 v57, v57, v6, vcc
	s_waitcnt lgkmcnt(0)
	v_add_u32_e32 v56, v58, v56
	v_lshlrev_b32_e32 v57, 2, v57
	ds_bpermute_b32 v56, v57, v56
	v_cmp_eq_u32_e32 vcc, 0, v6
	s_movk_i32 s0, 0x100
	s_waitcnt lgkmcnt(0)
	v_cndmask_b32_e32 v6, v56, v58, vcc
	v_cmp_ne_u32_e32 vcc, 0, v2
	v_cndmask_b32_e32 v6, 0, v6, vcc
	v_add_u32_e32 v4, v6, v4
	v_add_u32_e32 v5, v4, v5
	;; [unrolled: 1-line block ×4, first 2 shown]
	ds_write2_b32 v7, v6, v4 offset0:16 offset1:17
	ds_write2_b32 v55, v5, v0 offset0:2 offset1:3
	ds_write_b32 v55, v1 offset:16
	s_waitcnt lgkmcnt(0)
	s_barrier
	ds_read_b32 v59, v13 offset:64
	ds_read_b32 v55, v17 offset:64
	ds_read_b32 v56, v23 offset:64
	ds_read_b32 v57, v28 offset:64
	ds_read_b32 v58, v33 offset:64
	ds_read_b32 v37, v37 offset:64
	ds_read_b32 v33, v40 offset:64
	ds_read_b32 v28, v43 offset:64
	ds_read_b32 v23, v46 offset:64
	ds_read_b32 v40, v49 offset:64
	ds_read_b32 v43, v52 offset:64
	ds_read_b32 v46, v54 offset:64
	v_cmp_gt_u32_e32 vcc, s0, v2
                                        ; implicit-def: $vgpr13
                                        ; implicit-def: $vgpr17
	s_and_saveexec_b64 s[2:3], vcc
	s_cbranch_execz .LBB1786_117
; %bb.114:
	v_mul_u32_u24_e32 v0, 17, v2
	v_lshlrev_b32_e32 v1, 2, v0
	ds_read_b32 v13, v1 offset:64
	s_movk_i32 s0, 0xff
	v_cmp_ne_u32_e64 s[0:1], s0, v2
	v_mov_b32_e32 v0, 0x3000
	s_and_saveexec_b64 s[4:5], s[0:1]
	s_cbranch_execz .LBB1786_116
; %bb.115:
	ds_read_b32 v0, v1 offset:132
.LBB1786_116:
	s_or_b64 exec, exec, s[4:5]
	s_waitcnt lgkmcnt(0)
	v_sub_u32_e32 v17, v0, v13
.LBB1786_117:
	s_or_b64 exec, exec, s[2:3]
	s_waitcnt lgkmcnt(0)
	s_barrier
	s_and_saveexec_b64 s[2:3], vcc
	s_cbranch_execz .LBB1786_127
; %bb.118:
	v_lshl_or_b32 v0, s6, 8, v2
	v_mov_b32_e32 v1, 0
	v_lshlrev_b64 v[4:5], 2, v[0:1]
	v_mov_b32_e32 v49, s25
	v_add_co_u32_e64 v4, s[0:1], s24, v4
	v_addc_co_u32_e64 v5, s[0:1], v49, v5, s[0:1]
	v_or_b32_e32 v0, 2.0, v17
	s_mov_b64 s[4:5], 0
	s_brev_b32 s20, 1
	s_mov_b32 s21, s6
	v_mov_b32_e32 v52, 0
	global_store_dword v[4:5], v0, off
                                        ; implicit-def: $sgpr0_sgpr1
	s_branch .LBB1786_121
.LBB1786_119:                           ;   in Loop: Header=BB1786_121 Depth=1
	s_or_b64 exec, exec, s[18:19]
.LBB1786_120:                           ;   in Loop: Header=BB1786_121 Depth=1
	s_or_b64 exec, exec, s[8:9]
	v_and_b32_e32 v6, 0x3fffffff, v54
	v_add_u32_e32 v52, v6, v52
	v_cmp_eq_u32_e64 s[0:1], s20, v0
	s_and_b64 s[8:9], exec, s[0:1]
	s_or_b64 s[4:5], s[8:9], s[4:5]
	s_andn2_b64 exec, exec, s[4:5]
	s_cbranch_execz .LBB1786_126
.LBB1786_121:                           ; =>This Loop Header: Depth=1
                                        ;     Child Loop BB1786_124 Depth 2
	s_or_b64 s[0:1], s[0:1], exec
	s_cmp_eq_u32 s21, 0
	s_cbranch_scc1 .LBB1786_125
; %bb.122:                              ;   in Loop: Header=BB1786_121 Depth=1
	s_add_i32 s21, s21, -1
	v_lshl_or_b32 v0, s21, 8, v2
	v_lshlrev_b64 v[6:7], 2, v[0:1]
	v_add_co_u32_e64 v6, s[0:1], s24, v6
	v_addc_co_u32_e64 v7, s[0:1], v49, v7, s[0:1]
	global_load_dword v54, v[6:7], off glc
	s_waitcnt vmcnt(0)
	v_and_b32_e32 v0, -2.0, v54
	v_cmp_eq_u32_e64 s[0:1], 0, v0
	s_and_saveexec_b64 s[8:9], s[0:1]
	s_cbranch_execz .LBB1786_120
; %bb.123:                              ;   in Loop: Header=BB1786_121 Depth=1
	s_mov_b64 s[18:19], 0
.LBB1786_124:                           ;   Parent Loop BB1786_121 Depth=1
                                        ; =>  This Inner Loop Header: Depth=2
	global_load_dword v54, v[6:7], off glc
	s_waitcnt vmcnt(0)
	v_and_b32_e32 v0, -2.0, v54
	v_cmp_ne_u32_e64 s[0:1], 0, v0
	s_or_b64 s[18:19], s[0:1], s[18:19]
	s_andn2_b64 exec, exec, s[18:19]
	s_cbranch_execnz .LBB1786_124
	s_branch .LBB1786_119
.LBB1786_125:                           ;   in Loop: Header=BB1786_121 Depth=1
                                        ; implicit-def: $sgpr21
	s_and_b64 s[8:9], exec, s[0:1]
	s_or_b64 s[4:5], s[8:9], s[4:5]
	s_andn2_b64 exec, exec, s[4:5]
	s_cbranch_execnz .LBB1786_121
.LBB1786_126:
	s_or_b64 exec, exec, s[4:5]
	v_add_u32_e32 v0, v52, v17
	v_or_b32_e32 v0, 0x80000000, v0
	global_store_dword v[4:5], v0, off
	global_load_dword v0, v22, s[12:13]
	v_sub_u32_e32 v1, v52, v13
	s_waitcnt vmcnt(0)
	v_add_u32_e32 v0, v1, v0
	ds_write_b32 v22, v0
.LBB1786_127:
	s_or_b64 exec, exec, s[2:3]
	v_add_u32_e32 v4, v59, v10
	s_movk_i32 s2, 0x400
	v_add_u32_e32 v5, 0x400, v22
	v_add3_u32 v6, v53, v46, v51
	v_add3_u32 v7, v50, v43, v48
	;; [unrolled: 1-line block ×11, first 2 shown]
	s_mov_b32 s3, 0
	v_mov_b32_e32 v14, s23
	s_movk_i32 s4, 0x800
	s_movk_i32 s5, 0xc00
	v_mov_b32_e32 v1, 0
	v_mov_b32_e32 v18, v2
.LBB1786_128:                           ; =>This Inner Loop Header: Depth=1
	v_add_u32_e32 v0, s3, v4
	v_add_u32_e32 v36, s3, v26
	;; [unrolled: 1-line block ×12, first 2 shown]
	v_min_u32_e32 v0, 0x1000, v0
	v_min_u32_e32 v36, 0x1000, v36
	;; [unrolled: 1-line block ×12, first 2 shown]
	v_lshlrev_b32_e32 v0, 2, v0
	v_lshlrev_b32_e32 v36, 2, v36
	;; [unrolled: 1-line block ×12, first 2 shown]
	ds_write_b32 v0, v3 offset:1024
	ds_write_b32 v24, v8 offset:1024
	;; [unrolled: 1-line block ×12, first 2 shown]
	s_waitcnt lgkmcnt(0)
	s_barrier
	ds_read_b32 v0, v22 offset:1024
	ds_read2st64_b32 v[36:37], v5 offset0:16 offset1:32
	s_addk_i32 s3, 0xf000
	s_cmpk_lg_i32 s3, 0xd000
	s_waitcnt lgkmcnt(1)
	v_lshrrev_b32_e32 v24, s16, v0
	v_xor_b32_e32 v29, 0x80000000, v0
	s_waitcnt lgkmcnt(0)
	v_lshrrev_b32_e32 v0, s16, v36
	v_xor_b32_e32 v34, 0x80000000, v36
	v_lshrrev_b32_e32 v36, s16, v37
	v_and_b32_e32 v24, s17, v24
	v_and_b32_e32 v0, s17, v0
	;; [unrolled: 1-line block ×3, first 2 shown]
	v_lshlrev_b32_e32 v24, 2, v24
	v_lshlrev_b32_e32 v0, 2, v0
	;; [unrolled: 1-line block ×3, first 2 shown]
	ds_read_b32 v38, v0
	ds_read_b32 v41, v36
	;; [unrolled: 1-line block ×3, first 2 shown]
	ds_read_b32 v24, v5 offset:12288
	v_xor_b32_e32 v40, 0x80000000, v37
	s_waitcnt lgkmcnt(1)
	v_add_u32_e32 v0, v18, v0
	v_lshlrev_b64 v[36:37], 2, v[0:1]
	s_waitcnt lgkmcnt(0)
	v_lshrrev_b32_e32 v39, s16, v24
	v_add3_u32 v0, v18, v38, s2
	v_add_co_u32_e64 v36, s[0:1], s22, v36
	v_and_b32_e32 v42, s17, v39
	v_addc_co_u32_e64 v37, s[0:1], v14, v37, s[0:1]
	v_lshlrev_b64 v[38:39], 2, v[0:1]
	v_add3_u32 v0, v18, v41, s4
	v_lshlrev_b32_e32 v41, 2, v42
	global_store_dword v[36:37], v29, off
	v_add_co_u32_e64 v36, s[0:1], s22, v38
	v_addc_co_u32_e64 v37, s[0:1], v14, v39, s[0:1]
	v_lshlrev_b64 v[38:39], 2, v[0:1]
	ds_read_b32 v0, v41
	global_store_dword v[36:37], v34, off
	v_add_co_u32_e64 v36, s[0:1], s22, v38
	v_addc_co_u32_e64 v37, s[0:1], v14, v39, s[0:1]
	s_waitcnt lgkmcnt(0)
	v_add3_u32 v0, v18, v0, s5
	global_store_dword v[36:37], v40, off
	v_lshlrev_b64 v[36:37], 2, v[0:1]
	v_add_co_u32_e64 v36, s[0:1], s22, v36
	v_xor_b32_e32 v24, 0x80000000, v24
	v_add_u32_e32 v18, 0x1000, v18
	v_addc_co_u32_e64 v37, s[0:1], v14, v37, s[0:1]
	global_store_dword v[36:37], v24, off
	s_barrier
	s_cbranch_scc1 .LBB1786_128
; %bb.129:
	s_add_i32 s7, s7, -1
	s_cmp_eq_u32 s7, s6
	s_cselect_b64 s[0:1], -1, 0
	s_and_b64 s[2:3], vcc, s[0:1]
                                        ; implicit-def: $vgpr4
	s_and_saveexec_b64 s[0:1], s[2:3]
; %bb.130:
	v_add_u32_e32 v4, v13, v17
	s_or_b64 s[10:11], s[10:11], exec
; %bb.131:
	s_or_b64 exec, exec, s[0:1]
.LBB1786_132:
	s_and_saveexec_b64 s[0:1], s[10:11]
	s_cbranch_execnz .LBB1786_134
; %bb.133:
	s_endpgm
.LBB1786_134:
	v_mov_b32_e32 v3, 0
	v_lshlrev_b32_e32 v5, 2, v2
	v_lshlrev_b64 v[0:1], 2, v[2:3]
	ds_read_b32 v3, v5
	v_mov_b32_e32 v2, s15
	v_add_co_u32_e32 v0, vcc, s14, v0
	v_addc_co_u32_e32 v1, vcc, v2, v1, vcc
	s_waitcnt lgkmcnt(0)
	v_add_u32_e32 v2, v3, v4
	global_store_dword v[0:1], v2, off
	s_endpgm
	.section	.rodata,"a",@progbits
	.p2align	6, 0x0
	.amdhsa_kernel _ZN7rocprim17ROCPRIM_400000_NS6detail17trampoline_kernelINS0_14default_configENS1_35radix_sort_onesweep_config_selectorIiNS0_10empty_typeEEEZZNS1_29radix_sort_onesweep_iterationIS3_Lb0EN6thrust23THRUST_200600_302600_NS6detail15normal_iteratorINS9_10device_ptrIiEEEESE_PS5_SF_jNS0_19identity_decomposerENS1_16block_id_wrapperIjLb0EEEEE10hipError_tT1_PNSt15iterator_traitsISK_E10value_typeET2_T3_PNSL_ISQ_E10value_typeET4_T5_PSV_SW_PNS1_23onesweep_lookback_stateEbbT6_jjT7_P12ihipStream_tbENKUlT_T0_SK_SP_E_clISE_PiSF_SF_EEDaS13_S14_SK_SP_EUlS13_E_NS1_11comp_targetILNS1_3genE4ELNS1_11target_archE910ELNS1_3gpuE8ELNS1_3repE0EEENS1_47radix_sort_onesweep_sort_config_static_selectorELNS0_4arch9wavefront6targetE1EEEvSK_
		.amdhsa_group_segment_fixed_size 20552
		.amdhsa_private_segment_fixed_size 0
		.amdhsa_kernarg_size 344
		.amdhsa_user_sgpr_count 6
		.amdhsa_user_sgpr_private_segment_buffer 1
		.amdhsa_user_sgpr_dispatch_ptr 0
		.amdhsa_user_sgpr_queue_ptr 0
		.amdhsa_user_sgpr_kernarg_segment_ptr 1
		.amdhsa_user_sgpr_dispatch_id 0
		.amdhsa_user_sgpr_flat_scratch_init 0
		.amdhsa_user_sgpr_kernarg_preload_length 0
		.amdhsa_user_sgpr_kernarg_preload_offset 0
		.amdhsa_user_sgpr_private_segment_size 0
		.amdhsa_uses_dynamic_stack 0
		.amdhsa_system_sgpr_private_segment_wavefront_offset 0
		.amdhsa_system_sgpr_workgroup_id_x 1
		.amdhsa_system_sgpr_workgroup_id_y 0
		.amdhsa_system_sgpr_workgroup_id_z 0
		.amdhsa_system_sgpr_workgroup_info 0
		.amdhsa_system_vgpr_workitem_id 2
		.amdhsa_next_free_vgpr 62
		.amdhsa_next_free_sgpr 31
		.amdhsa_accum_offset 64
		.amdhsa_reserve_vcc 1
		.amdhsa_reserve_flat_scratch 0
		.amdhsa_float_round_mode_32 0
		.amdhsa_float_round_mode_16_64 0
		.amdhsa_float_denorm_mode_32 3
		.amdhsa_float_denorm_mode_16_64 3
		.amdhsa_dx10_clamp 1
		.amdhsa_ieee_mode 1
		.amdhsa_fp16_overflow 0
		.amdhsa_tg_split 0
		.amdhsa_exception_fp_ieee_invalid_op 0
		.amdhsa_exception_fp_denorm_src 0
		.amdhsa_exception_fp_ieee_div_zero 0
		.amdhsa_exception_fp_ieee_overflow 0
		.amdhsa_exception_fp_ieee_underflow 0
		.amdhsa_exception_fp_ieee_inexact 0
		.amdhsa_exception_int_div_zero 0
	.end_amdhsa_kernel
	.section	.text._ZN7rocprim17ROCPRIM_400000_NS6detail17trampoline_kernelINS0_14default_configENS1_35radix_sort_onesweep_config_selectorIiNS0_10empty_typeEEEZZNS1_29radix_sort_onesweep_iterationIS3_Lb0EN6thrust23THRUST_200600_302600_NS6detail15normal_iteratorINS9_10device_ptrIiEEEESE_PS5_SF_jNS0_19identity_decomposerENS1_16block_id_wrapperIjLb0EEEEE10hipError_tT1_PNSt15iterator_traitsISK_E10value_typeET2_T3_PNSL_ISQ_E10value_typeET4_T5_PSV_SW_PNS1_23onesweep_lookback_stateEbbT6_jjT7_P12ihipStream_tbENKUlT_T0_SK_SP_E_clISE_PiSF_SF_EEDaS13_S14_SK_SP_EUlS13_E_NS1_11comp_targetILNS1_3genE4ELNS1_11target_archE910ELNS1_3gpuE8ELNS1_3repE0EEENS1_47radix_sort_onesweep_sort_config_static_selectorELNS0_4arch9wavefront6targetE1EEEvSK_,"axG",@progbits,_ZN7rocprim17ROCPRIM_400000_NS6detail17trampoline_kernelINS0_14default_configENS1_35radix_sort_onesweep_config_selectorIiNS0_10empty_typeEEEZZNS1_29radix_sort_onesweep_iterationIS3_Lb0EN6thrust23THRUST_200600_302600_NS6detail15normal_iteratorINS9_10device_ptrIiEEEESE_PS5_SF_jNS0_19identity_decomposerENS1_16block_id_wrapperIjLb0EEEEE10hipError_tT1_PNSt15iterator_traitsISK_E10value_typeET2_T3_PNSL_ISQ_E10value_typeET4_T5_PSV_SW_PNS1_23onesweep_lookback_stateEbbT6_jjT7_P12ihipStream_tbENKUlT_T0_SK_SP_E_clISE_PiSF_SF_EEDaS13_S14_SK_SP_EUlS13_E_NS1_11comp_targetILNS1_3genE4ELNS1_11target_archE910ELNS1_3gpuE8ELNS1_3repE0EEENS1_47radix_sort_onesweep_sort_config_static_selectorELNS0_4arch9wavefront6targetE1EEEvSK_,comdat
.Lfunc_end1786:
	.size	_ZN7rocprim17ROCPRIM_400000_NS6detail17trampoline_kernelINS0_14default_configENS1_35radix_sort_onesweep_config_selectorIiNS0_10empty_typeEEEZZNS1_29radix_sort_onesweep_iterationIS3_Lb0EN6thrust23THRUST_200600_302600_NS6detail15normal_iteratorINS9_10device_ptrIiEEEESE_PS5_SF_jNS0_19identity_decomposerENS1_16block_id_wrapperIjLb0EEEEE10hipError_tT1_PNSt15iterator_traitsISK_E10value_typeET2_T3_PNSL_ISQ_E10value_typeET4_T5_PSV_SW_PNS1_23onesweep_lookback_stateEbbT6_jjT7_P12ihipStream_tbENKUlT_T0_SK_SP_E_clISE_PiSF_SF_EEDaS13_S14_SK_SP_EUlS13_E_NS1_11comp_targetILNS1_3genE4ELNS1_11target_archE910ELNS1_3gpuE8ELNS1_3repE0EEENS1_47radix_sort_onesweep_sort_config_static_selectorELNS0_4arch9wavefront6targetE1EEEvSK_, .Lfunc_end1786-_ZN7rocprim17ROCPRIM_400000_NS6detail17trampoline_kernelINS0_14default_configENS1_35radix_sort_onesweep_config_selectorIiNS0_10empty_typeEEEZZNS1_29radix_sort_onesweep_iterationIS3_Lb0EN6thrust23THRUST_200600_302600_NS6detail15normal_iteratorINS9_10device_ptrIiEEEESE_PS5_SF_jNS0_19identity_decomposerENS1_16block_id_wrapperIjLb0EEEEE10hipError_tT1_PNSt15iterator_traitsISK_E10value_typeET2_T3_PNSL_ISQ_E10value_typeET4_T5_PSV_SW_PNS1_23onesweep_lookback_stateEbbT6_jjT7_P12ihipStream_tbENKUlT_T0_SK_SP_E_clISE_PiSF_SF_EEDaS13_S14_SK_SP_EUlS13_E_NS1_11comp_targetILNS1_3genE4ELNS1_11target_archE910ELNS1_3gpuE8ELNS1_3repE0EEENS1_47radix_sort_onesweep_sort_config_static_selectorELNS0_4arch9wavefront6targetE1EEEvSK_
                                        ; -- End function
	.section	.AMDGPU.csdata,"",@progbits
; Kernel info:
; codeLenInByte = 14172
; NumSgprs: 35
; NumVgprs: 62
; NumAgprs: 0
; TotalNumVgprs: 62
; ScratchSize: 0
; MemoryBound: 0
; FloatMode: 240
; IeeeMode: 1
; LDSByteSize: 20552 bytes/workgroup (compile time only)
; SGPRBlocks: 4
; VGPRBlocks: 7
; NumSGPRsForWavesPerEU: 35
; NumVGPRsForWavesPerEU: 62
; AccumOffset: 64
; Occupancy: 8
; WaveLimiterHint : 1
; COMPUTE_PGM_RSRC2:SCRATCH_EN: 0
; COMPUTE_PGM_RSRC2:USER_SGPR: 6
; COMPUTE_PGM_RSRC2:TRAP_HANDLER: 0
; COMPUTE_PGM_RSRC2:TGID_X_EN: 1
; COMPUTE_PGM_RSRC2:TGID_Y_EN: 0
; COMPUTE_PGM_RSRC2:TGID_Z_EN: 0
; COMPUTE_PGM_RSRC2:TIDIG_COMP_CNT: 2
; COMPUTE_PGM_RSRC3_GFX90A:ACCUM_OFFSET: 15
; COMPUTE_PGM_RSRC3_GFX90A:TG_SPLIT: 0
	.section	.text._ZN7rocprim17ROCPRIM_400000_NS6detail17trampoline_kernelINS0_14default_configENS1_35radix_sort_onesweep_config_selectorIiNS0_10empty_typeEEEZZNS1_29radix_sort_onesweep_iterationIS3_Lb0EN6thrust23THRUST_200600_302600_NS6detail15normal_iteratorINS9_10device_ptrIiEEEESE_PS5_SF_jNS0_19identity_decomposerENS1_16block_id_wrapperIjLb0EEEEE10hipError_tT1_PNSt15iterator_traitsISK_E10value_typeET2_T3_PNSL_ISQ_E10value_typeET4_T5_PSV_SW_PNS1_23onesweep_lookback_stateEbbT6_jjT7_P12ihipStream_tbENKUlT_T0_SK_SP_E_clISE_PiSF_SF_EEDaS13_S14_SK_SP_EUlS13_E_NS1_11comp_targetILNS1_3genE3ELNS1_11target_archE908ELNS1_3gpuE7ELNS1_3repE0EEENS1_47radix_sort_onesweep_sort_config_static_selectorELNS0_4arch9wavefront6targetE1EEEvSK_,"axG",@progbits,_ZN7rocprim17ROCPRIM_400000_NS6detail17trampoline_kernelINS0_14default_configENS1_35radix_sort_onesweep_config_selectorIiNS0_10empty_typeEEEZZNS1_29radix_sort_onesweep_iterationIS3_Lb0EN6thrust23THRUST_200600_302600_NS6detail15normal_iteratorINS9_10device_ptrIiEEEESE_PS5_SF_jNS0_19identity_decomposerENS1_16block_id_wrapperIjLb0EEEEE10hipError_tT1_PNSt15iterator_traitsISK_E10value_typeET2_T3_PNSL_ISQ_E10value_typeET4_T5_PSV_SW_PNS1_23onesweep_lookback_stateEbbT6_jjT7_P12ihipStream_tbENKUlT_T0_SK_SP_E_clISE_PiSF_SF_EEDaS13_S14_SK_SP_EUlS13_E_NS1_11comp_targetILNS1_3genE3ELNS1_11target_archE908ELNS1_3gpuE7ELNS1_3repE0EEENS1_47radix_sort_onesweep_sort_config_static_selectorELNS0_4arch9wavefront6targetE1EEEvSK_,comdat
	.protected	_ZN7rocprim17ROCPRIM_400000_NS6detail17trampoline_kernelINS0_14default_configENS1_35radix_sort_onesweep_config_selectorIiNS0_10empty_typeEEEZZNS1_29radix_sort_onesweep_iterationIS3_Lb0EN6thrust23THRUST_200600_302600_NS6detail15normal_iteratorINS9_10device_ptrIiEEEESE_PS5_SF_jNS0_19identity_decomposerENS1_16block_id_wrapperIjLb0EEEEE10hipError_tT1_PNSt15iterator_traitsISK_E10value_typeET2_T3_PNSL_ISQ_E10value_typeET4_T5_PSV_SW_PNS1_23onesweep_lookback_stateEbbT6_jjT7_P12ihipStream_tbENKUlT_T0_SK_SP_E_clISE_PiSF_SF_EEDaS13_S14_SK_SP_EUlS13_E_NS1_11comp_targetILNS1_3genE3ELNS1_11target_archE908ELNS1_3gpuE7ELNS1_3repE0EEENS1_47radix_sort_onesweep_sort_config_static_selectorELNS0_4arch9wavefront6targetE1EEEvSK_ ; -- Begin function _ZN7rocprim17ROCPRIM_400000_NS6detail17trampoline_kernelINS0_14default_configENS1_35radix_sort_onesweep_config_selectorIiNS0_10empty_typeEEEZZNS1_29radix_sort_onesweep_iterationIS3_Lb0EN6thrust23THRUST_200600_302600_NS6detail15normal_iteratorINS9_10device_ptrIiEEEESE_PS5_SF_jNS0_19identity_decomposerENS1_16block_id_wrapperIjLb0EEEEE10hipError_tT1_PNSt15iterator_traitsISK_E10value_typeET2_T3_PNSL_ISQ_E10value_typeET4_T5_PSV_SW_PNS1_23onesweep_lookback_stateEbbT6_jjT7_P12ihipStream_tbENKUlT_T0_SK_SP_E_clISE_PiSF_SF_EEDaS13_S14_SK_SP_EUlS13_E_NS1_11comp_targetILNS1_3genE3ELNS1_11target_archE908ELNS1_3gpuE7ELNS1_3repE0EEENS1_47radix_sort_onesweep_sort_config_static_selectorELNS0_4arch9wavefront6targetE1EEEvSK_
	.globl	_ZN7rocprim17ROCPRIM_400000_NS6detail17trampoline_kernelINS0_14default_configENS1_35radix_sort_onesweep_config_selectorIiNS0_10empty_typeEEEZZNS1_29radix_sort_onesweep_iterationIS3_Lb0EN6thrust23THRUST_200600_302600_NS6detail15normal_iteratorINS9_10device_ptrIiEEEESE_PS5_SF_jNS0_19identity_decomposerENS1_16block_id_wrapperIjLb0EEEEE10hipError_tT1_PNSt15iterator_traitsISK_E10value_typeET2_T3_PNSL_ISQ_E10value_typeET4_T5_PSV_SW_PNS1_23onesweep_lookback_stateEbbT6_jjT7_P12ihipStream_tbENKUlT_T0_SK_SP_E_clISE_PiSF_SF_EEDaS13_S14_SK_SP_EUlS13_E_NS1_11comp_targetILNS1_3genE3ELNS1_11target_archE908ELNS1_3gpuE7ELNS1_3repE0EEENS1_47radix_sort_onesweep_sort_config_static_selectorELNS0_4arch9wavefront6targetE1EEEvSK_
	.p2align	8
	.type	_ZN7rocprim17ROCPRIM_400000_NS6detail17trampoline_kernelINS0_14default_configENS1_35radix_sort_onesweep_config_selectorIiNS0_10empty_typeEEEZZNS1_29radix_sort_onesweep_iterationIS3_Lb0EN6thrust23THRUST_200600_302600_NS6detail15normal_iteratorINS9_10device_ptrIiEEEESE_PS5_SF_jNS0_19identity_decomposerENS1_16block_id_wrapperIjLb0EEEEE10hipError_tT1_PNSt15iterator_traitsISK_E10value_typeET2_T3_PNSL_ISQ_E10value_typeET4_T5_PSV_SW_PNS1_23onesweep_lookback_stateEbbT6_jjT7_P12ihipStream_tbENKUlT_T0_SK_SP_E_clISE_PiSF_SF_EEDaS13_S14_SK_SP_EUlS13_E_NS1_11comp_targetILNS1_3genE3ELNS1_11target_archE908ELNS1_3gpuE7ELNS1_3repE0EEENS1_47radix_sort_onesweep_sort_config_static_selectorELNS0_4arch9wavefront6targetE1EEEvSK_,@function
_ZN7rocprim17ROCPRIM_400000_NS6detail17trampoline_kernelINS0_14default_configENS1_35radix_sort_onesweep_config_selectorIiNS0_10empty_typeEEEZZNS1_29radix_sort_onesweep_iterationIS3_Lb0EN6thrust23THRUST_200600_302600_NS6detail15normal_iteratorINS9_10device_ptrIiEEEESE_PS5_SF_jNS0_19identity_decomposerENS1_16block_id_wrapperIjLb0EEEEE10hipError_tT1_PNSt15iterator_traitsISK_E10value_typeET2_T3_PNSL_ISQ_E10value_typeET4_T5_PSV_SW_PNS1_23onesweep_lookback_stateEbbT6_jjT7_P12ihipStream_tbENKUlT_T0_SK_SP_E_clISE_PiSF_SF_EEDaS13_S14_SK_SP_EUlS13_E_NS1_11comp_targetILNS1_3genE3ELNS1_11target_archE908ELNS1_3gpuE7ELNS1_3repE0EEENS1_47radix_sort_onesweep_sort_config_static_selectorELNS0_4arch9wavefront6targetE1EEEvSK_: ; @_ZN7rocprim17ROCPRIM_400000_NS6detail17trampoline_kernelINS0_14default_configENS1_35radix_sort_onesweep_config_selectorIiNS0_10empty_typeEEEZZNS1_29radix_sort_onesweep_iterationIS3_Lb0EN6thrust23THRUST_200600_302600_NS6detail15normal_iteratorINS9_10device_ptrIiEEEESE_PS5_SF_jNS0_19identity_decomposerENS1_16block_id_wrapperIjLb0EEEEE10hipError_tT1_PNSt15iterator_traitsISK_E10value_typeET2_T3_PNSL_ISQ_E10value_typeET4_T5_PSV_SW_PNS1_23onesweep_lookback_stateEbbT6_jjT7_P12ihipStream_tbENKUlT_T0_SK_SP_E_clISE_PiSF_SF_EEDaS13_S14_SK_SP_EUlS13_E_NS1_11comp_targetILNS1_3genE3ELNS1_11target_archE908ELNS1_3gpuE7ELNS1_3repE0EEENS1_47radix_sort_onesweep_sort_config_static_selectorELNS0_4arch9wavefront6targetE1EEEvSK_
; %bb.0:
	.section	.rodata,"a",@progbits
	.p2align	6, 0x0
	.amdhsa_kernel _ZN7rocprim17ROCPRIM_400000_NS6detail17trampoline_kernelINS0_14default_configENS1_35radix_sort_onesweep_config_selectorIiNS0_10empty_typeEEEZZNS1_29radix_sort_onesweep_iterationIS3_Lb0EN6thrust23THRUST_200600_302600_NS6detail15normal_iteratorINS9_10device_ptrIiEEEESE_PS5_SF_jNS0_19identity_decomposerENS1_16block_id_wrapperIjLb0EEEEE10hipError_tT1_PNSt15iterator_traitsISK_E10value_typeET2_T3_PNSL_ISQ_E10value_typeET4_T5_PSV_SW_PNS1_23onesweep_lookback_stateEbbT6_jjT7_P12ihipStream_tbENKUlT_T0_SK_SP_E_clISE_PiSF_SF_EEDaS13_S14_SK_SP_EUlS13_E_NS1_11comp_targetILNS1_3genE3ELNS1_11target_archE908ELNS1_3gpuE7ELNS1_3repE0EEENS1_47radix_sort_onesweep_sort_config_static_selectorELNS0_4arch9wavefront6targetE1EEEvSK_
		.amdhsa_group_segment_fixed_size 0
		.amdhsa_private_segment_fixed_size 0
		.amdhsa_kernarg_size 88
		.amdhsa_user_sgpr_count 6
		.amdhsa_user_sgpr_private_segment_buffer 1
		.amdhsa_user_sgpr_dispatch_ptr 0
		.amdhsa_user_sgpr_queue_ptr 0
		.amdhsa_user_sgpr_kernarg_segment_ptr 1
		.amdhsa_user_sgpr_dispatch_id 0
		.amdhsa_user_sgpr_flat_scratch_init 0
		.amdhsa_user_sgpr_kernarg_preload_length 0
		.amdhsa_user_sgpr_kernarg_preload_offset 0
		.amdhsa_user_sgpr_private_segment_size 0
		.amdhsa_uses_dynamic_stack 0
		.amdhsa_system_sgpr_private_segment_wavefront_offset 0
		.amdhsa_system_sgpr_workgroup_id_x 1
		.amdhsa_system_sgpr_workgroup_id_y 0
		.amdhsa_system_sgpr_workgroup_id_z 0
		.amdhsa_system_sgpr_workgroup_info 0
		.amdhsa_system_vgpr_workitem_id 0
		.amdhsa_next_free_vgpr 1
		.amdhsa_next_free_sgpr 0
		.amdhsa_accum_offset 4
		.amdhsa_reserve_vcc 0
		.amdhsa_reserve_flat_scratch 0
		.amdhsa_float_round_mode_32 0
		.amdhsa_float_round_mode_16_64 0
		.amdhsa_float_denorm_mode_32 3
		.amdhsa_float_denorm_mode_16_64 3
		.amdhsa_dx10_clamp 1
		.amdhsa_ieee_mode 1
		.amdhsa_fp16_overflow 0
		.amdhsa_tg_split 0
		.amdhsa_exception_fp_ieee_invalid_op 0
		.amdhsa_exception_fp_denorm_src 0
		.amdhsa_exception_fp_ieee_div_zero 0
		.amdhsa_exception_fp_ieee_overflow 0
		.amdhsa_exception_fp_ieee_underflow 0
		.amdhsa_exception_fp_ieee_inexact 0
		.amdhsa_exception_int_div_zero 0
	.end_amdhsa_kernel
	.section	.text._ZN7rocprim17ROCPRIM_400000_NS6detail17trampoline_kernelINS0_14default_configENS1_35radix_sort_onesweep_config_selectorIiNS0_10empty_typeEEEZZNS1_29radix_sort_onesweep_iterationIS3_Lb0EN6thrust23THRUST_200600_302600_NS6detail15normal_iteratorINS9_10device_ptrIiEEEESE_PS5_SF_jNS0_19identity_decomposerENS1_16block_id_wrapperIjLb0EEEEE10hipError_tT1_PNSt15iterator_traitsISK_E10value_typeET2_T3_PNSL_ISQ_E10value_typeET4_T5_PSV_SW_PNS1_23onesweep_lookback_stateEbbT6_jjT7_P12ihipStream_tbENKUlT_T0_SK_SP_E_clISE_PiSF_SF_EEDaS13_S14_SK_SP_EUlS13_E_NS1_11comp_targetILNS1_3genE3ELNS1_11target_archE908ELNS1_3gpuE7ELNS1_3repE0EEENS1_47radix_sort_onesweep_sort_config_static_selectorELNS0_4arch9wavefront6targetE1EEEvSK_,"axG",@progbits,_ZN7rocprim17ROCPRIM_400000_NS6detail17trampoline_kernelINS0_14default_configENS1_35radix_sort_onesweep_config_selectorIiNS0_10empty_typeEEEZZNS1_29radix_sort_onesweep_iterationIS3_Lb0EN6thrust23THRUST_200600_302600_NS6detail15normal_iteratorINS9_10device_ptrIiEEEESE_PS5_SF_jNS0_19identity_decomposerENS1_16block_id_wrapperIjLb0EEEEE10hipError_tT1_PNSt15iterator_traitsISK_E10value_typeET2_T3_PNSL_ISQ_E10value_typeET4_T5_PSV_SW_PNS1_23onesweep_lookback_stateEbbT6_jjT7_P12ihipStream_tbENKUlT_T0_SK_SP_E_clISE_PiSF_SF_EEDaS13_S14_SK_SP_EUlS13_E_NS1_11comp_targetILNS1_3genE3ELNS1_11target_archE908ELNS1_3gpuE7ELNS1_3repE0EEENS1_47radix_sort_onesweep_sort_config_static_selectorELNS0_4arch9wavefront6targetE1EEEvSK_,comdat
.Lfunc_end1787:
	.size	_ZN7rocprim17ROCPRIM_400000_NS6detail17trampoline_kernelINS0_14default_configENS1_35radix_sort_onesweep_config_selectorIiNS0_10empty_typeEEEZZNS1_29radix_sort_onesweep_iterationIS3_Lb0EN6thrust23THRUST_200600_302600_NS6detail15normal_iteratorINS9_10device_ptrIiEEEESE_PS5_SF_jNS0_19identity_decomposerENS1_16block_id_wrapperIjLb0EEEEE10hipError_tT1_PNSt15iterator_traitsISK_E10value_typeET2_T3_PNSL_ISQ_E10value_typeET4_T5_PSV_SW_PNS1_23onesweep_lookback_stateEbbT6_jjT7_P12ihipStream_tbENKUlT_T0_SK_SP_E_clISE_PiSF_SF_EEDaS13_S14_SK_SP_EUlS13_E_NS1_11comp_targetILNS1_3genE3ELNS1_11target_archE908ELNS1_3gpuE7ELNS1_3repE0EEENS1_47radix_sort_onesweep_sort_config_static_selectorELNS0_4arch9wavefront6targetE1EEEvSK_, .Lfunc_end1787-_ZN7rocprim17ROCPRIM_400000_NS6detail17trampoline_kernelINS0_14default_configENS1_35radix_sort_onesweep_config_selectorIiNS0_10empty_typeEEEZZNS1_29radix_sort_onesweep_iterationIS3_Lb0EN6thrust23THRUST_200600_302600_NS6detail15normal_iteratorINS9_10device_ptrIiEEEESE_PS5_SF_jNS0_19identity_decomposerENS1_16block_id_wrapperIjLb0EEEEE10hipError_tT1_PNSt15iterator_traitsISK_E10value_typeET2_T3_PNSL_ISQ_E10value_typeET4_T5_PSV_SW_PNS1_23onesweep_lookback_stateEbbT6_jjT7_P12ihipStream_tbENKUlT_T0_SK_SP_E_clISE_PiSF_SF_EEDaS13_S14_SK_SP_EUlS13_E_NS1_11comp_targetILNS1_3genE3ELNS1_11target_archE908ELNS1_3gpuE7ELNS1_3repE0EEENS1_47radix_sort_onesweep_sort_config_static_selectorELNS0_4arch9wavefront6targetE1EEEvSK_
                                        ; -- End function
	.section	.AMDGPU.csdata,"",@progbits
; Kernel info:
; codeLenInByte = 0
; NumSgprs: 4
; NumVgprs: 0
; NumAgprs: 0
; TotalNumVgprs: 0
; ScratchSize: 0
; MemoryBound: 0
; FloatMode: 240
; IeeeMode: 1
; LDSByteSize: 0 bytes/workgroup (compile time only)
; SGPRBlocks: 0
; VGPRBlocks: 0
; NumSGPRsForWavesPerEU: 4
; NumVGPRsForWavesPerEU: 1
; AccumOffset: 4
; Occupancy: 8
; WaveLimiterHint : 0
; COMPUTE_PGM_RSRC2:SCRATCH_EN: 0
; COMPUTE_PGM_RSRC2:USER_SGPR: 6
; COMPUTE_PGM_RSRC2:TRAP_HANDLER: 0
; COMPUTE_PGM_RSRC2:TGID_X_EN: 1
; COMPUTE_PGM_RSRC2:TGID_Y_EN: 0
; COMPUTE_PGM_RSRC2:TGID_Z_EN: 0
; COMPUTE_PGM_RSRC2:TIDIG_COMP_CNT: 0
; COMPUTE_PGM_RSRC3_GFX90A:ACCUM_OFFSET: 0
; COMPUTE_PGM_RSRC3_GFX90A:TG_SPLIT: 0
	.section	.text._ZN7rocprim17ROCPRIM_400000_NS6detail17trampoline_kernelINS0_14default_configENS1_35radix_sort_onesweep_config_selectorIiNS0_10empty_typeEEEZZNS1_29radix_sort_onesweep_iterationIS3_Lb0EN6thrust23THRUST_200600_302600_NS6detail15normal_iteratorINS9_10device_ptrIiEEEESE_PS5_SF_jNS0_19identity_decomposerENS1_16block_id_wrapperIjLb0EEEEE10hipError_tT1_PNSt15iterator_traitsISK_E10value_typeET2_T3_PNSL_ISQ_E10value_typeET4_T5_PSV_SW_PNS1_23onesweep_lookback_stateEbbT6_jjT7_P12ihipStream_tbENKUlT_T0_SK_SP_E_clISE_PiSF_SF_EEDaS13_S14_SK_SP_EUlS13_E_NS1_11comp_targetILNS1_3genE10ELNS1_11target_archE1201ELNS1_3gpuE5ELNS1_3repE0EEENS1_47radix_sort_onesweep_sort_config_static_selectorELNS0_4arch9wavefront6targetE1EEEvSK_,"axG",@progbits,_ZN7rocprim17ROCPRIM_400000_NS6detail17trampoline_kernelINS0_14default_configENS1_35radix_sort_onesweep_config_selectorIiNS0_10empty_typeEEEZZNS1_29radix_sort_onesweep_iterationIS3_Lb0EN6thrust23THRUST_200600_302600_NS6detail15normal_iteratorINS9_10device_ptrIiEEEESE_PS5_SF_jNS0_19identity_decomposerENS1_16block_id_wrapperIjLb0EEEEE10hipError_tT1_PNSt15iterator_traitsISK_E10value_typeET2_T3_PNSL_ISQ_E10value_typeET4_T5_PSV_SW_PNS1_23onesweep_lookback_stateEbbT6_jjT7_P12ihipStream_tbENKUlT_T0_SK_SP_E_clISE_PiSF_SF_EEDaS13_S14_SK_SP_EUlS13_E_NS1_11comp_targetILNS1_3genE10ELNS1_11target_archE1201ELNS1_3gpuE5ELNS1_3repE0EEENS1_47radix_sort_onesweep_sort_config_static_selectorELNS0_4arch9wavefront6targetE1EEEvSK_,comdat
	.protected	_ZN7rocprim17ROCPRIM_400000_NS6detail17trampoline_kernelINS0_14default_configENS1_35radix_sort_onesweep_config_selectorIiNS0_10empty_typeEEEZZNS1_29radix_sort_onesweep_iterationIS3_Lb0EN6thrust23THRUST_200600_302600_NS6detail15normal_iteratorINS9_10device_ptrIiEEEESE_PS5_SF_jNS0_19identity_decomposerENS1_16block_id_wrapperIjLb0EEEEE10hipError_tT1_PNSt15iterator_traitsISK_E10value_typeET2_T3_PNSL_ISQ_E10value_typeET4_T5_PSV_SW_PNS1_23onesweep_lookback_stateEbbT6_jjT7_P12ihipStream_tbENKUlT_T0_SK_SP_E_clISE_PiSF_SF_EEDaS13_S14_SK_SP_EUlS13_E_NS1_11comp_targetILNS1_3genE10ELNS1_11target_archE1201ELNS1_3gpuE5ELNS1_3repE0EEENS1_47radix_sort_onesweep_sort_config_static_selectorELNS0_4arch9wavefront6targetE1EEEvSK_ ; -- Begin function _ZN7rocprim17ROCPRIM_400000_NS6detail17trampoline_kernelINS0_14default_configENS1_35radix_sort_onesweep_config_selectorIiNS0_10empty_typeEEEZZNS1_29radix_sort_onesweep_iterationIS3_Lb0EN6thrust23THRUST_200600_302600_NS6detail15normal_iteratorINS9_10device_ptrIiEEEESE_PS5_SF_jNS0_19identity_decomposerENS1_16block_id_wrapperIjLb0EEEEE10hipError_tT1_PNSt15iterator_traitsISK_E10value_typeET2_T3_PNSL_ISQ_E10value_typeET4_T5_PSV_SW_PNS1_23onesweep_lookback_stateEbbT6_jjT7_P12ihipStream_tbENKUlT_T0_SK_SP_E_clISE_PiSF_SF_EEDaS13_S14_SK_SP_EUlS13_E_NS1_11comp_targetILNS1_3genE10ELNS1_11target_archE1201ELNS1_3gpuE5ELNS1_3repE0EEENS1_47radix_sort_onesweep_sort_config_static_selectorELNS0_4arch9wavefront6targetE1EEEvSK_
	.globl	_ZN7rocprim17ROCPRIM_400000_NS6detail17trampoline_kernelINS0_14default_configENS1_35radix_sort_onesweep_config_selectorIiNS0_10empty_typeEEEZZNS1_29radix_sort_onesweep_iterationIS3_Lb0EN6thrust23THRUST_200600_302600_NS6detail15normal_iteratorINS9_10device_ptrIiEEEESE_PS5_SF_jNS0_19identity_decomposerENS1_16block_id_wrapperIjLb0EEEEE10hipError_tT1_PNSt15iterator_traitsISK_E10value_typeET2_T3_PNSL_ISQ_E10value_typeET4_T5_PSV_SW_PNS1_23onesweep_lookback_stateEbbT6_jjT7_P12ihipStream_tbENKUlT_T0_SK_SP_E_clISE_PiSF_SF_EEDaS13_S14_SK_SP_EUlS13_E_NS1_11comp_targetILNS1_3genE10ELNS1_11target_archE1201ELNS1_3gpuE5ELNS1_3repE0EEENS1_47radix_sort_onesweep_sort_config_static_selectorELNS0_4arch9wavefront6targetE1EEEvSK_
	.p2align	8
	.type	_ZN7rocprim17ROCPRIM_400000_NS6detail17trampoline_kernelINS0_14default_configENS1_35radix_sort_onesweep_config_selectorIiNS0_10empty_typeEEEZZNS1_29radix_sort_onesweep_iterationIS3_Lb0EN6thrust23THRUST_200600_302600_NS6detail15normal_iteratorINS9_10device_ptrIiEEEESE_PS5_SF_jNS0_19identity_decomposerENS1_16block_id_wrapperIjLb0EEEEE10hipError_tT1_PNSt15iterator_traitsISK_E10value_typeET2_T3_PNSL_ISQ_E10value_typeET4_T5_PSV_SW_PNS1_23onesweep_lookback_stateEbbT6_jjT7_P12ihipStream_tbENKUlT_T0_SK_SP_E_clISE_PiSF_SF_EEDaS13_S14_SK_SP_EUlS13_E_NS1_11comp_targetILNS1_3genE10ELNS1_11target_archE1201ELNS1_3gpuE5ELNS1_3repE0EEENS1_47radix_sort_onesweep_sort_config_static_selectorELNS0_4arch9wavefront6targetE1EEEvSK_,@function
_ZN7rocprim17ROCPRIM_400000_NS6detail17trampoline_kernelINS0_14default_configENS1_35radix_sort_onesweep_config_selectorIiNS0_10empty_typeEEEZZNS1_29radix_sort_onesweep_iterationIS3_Lb0EN6thrust23THRUST_200600_302600_NS6detail15normal_iteratorINS9_10device_ptrIiEEEESE_PS5_SF_jNS0_19identity_decomposerENS1_16block_id_wrapperIjLb0EEEEE10hipError_tT1_PNSt15iterator_traitsISK_E10value_typeET2_T3_PNSL_ISQ_E10value_typeET4_T5_PSV_SW_PNS1_23onesweep_lookback_stateEbbT6_jjT7_P12ihipStream_tbENKUlT_T0_SK_SP_E_clISE_PiSF_SF_EEDaS13_S14_SK_SP_EUlS13_E_NS1_11comp_targetILNS1_3genE10ELNS1_11target_archE1201ELNS1_3gpuE5ELNS1_3repE0EEENS1_47radix_sort_onesweep_sort_config_static_selectorELNS0_4arch9wavefront6targetE1EEEvSK_: ; @_ZN7rocprim17ROCPRIM_400000_NS6detail17trampoline_kernelINS0_14default_configENS1_35radix_sort_onesweep_config_selectorIiNS0_10empty_typeEEEZZNS1_29radix_sort_onesweep_iterationIS3_Lb0EN6thrust23THRUST_200600_302600_NS6detail15normal_iteratorINS9_10device_ptrIiEEEESE_PS5_SF_jNS0_19identity_decomposerENS1_16block_id_wrapperIjLb0EEEEE10hipError_tT1_PNSt15iterator_traitsISK_E10value_typeET2_T3_PNSL_ISQ_E10value_typeET4_T5_PSV_SW_PNS1_23onesweep_lookback_stateEbbT6_jjT7_P12ihipStream_tbENKUlT_T0_SK_SP_E_clISE_PiSF_SF_EEDaS13_S14_SK_SP_EUlS13_E_NS1_11comp_targetILNS1_3genE10ELNS1_11target_archE1201ELNS1_3gpuE5ELNS1_3repE0EEENS1_47radix_sort_onesweep_sort_config_static_selectorELNS0_4arch9wavefront6targetE1EEEvSK_
; %bb.0:
	.section	.rodata,"a",@progbits
	.p2align	6, 0x0
	.amdhsa_kernel _ZN7rocprim17ROCPRIM_400000_NS6detail17trampoline_kernelINS0_14default_configENS1_35radix_sort_onesweep_config_selectorIiNS0_10empty_typeEEEZZNS1_29radix_sort_onesweep_iterationIS3_Lb0EN6thrust23THRUST_200600_302600_NS6detail15normal_iteratorINS9_10device_ptrIiEEEESE_PS5_SF_jNS0_19identity_decomposerENS1_16block_id_wrapperIjLb0EEEEE10hipError_tT1_PNSt15iterator_traitsISK_E10value_typeET2_T3_PNSL_ISQ_E10value_typeET4_T5_PSV_SW_PNS1_23onesweep_lookback_stateEbbT6_jjT7_P12ihipStream_tbENKUlT_T0_SK_SP_E_clISE_PiSF_SF_EEDaS13_S14_SK_SP_EUlS13_E_NS1_11comp_targetILNS1_3genE10ELNS1_11target_archE1201ELNS1_3gpuE5ELNS1_3repE0EEENS1_47radix_sort_onesweep_sort_config_static_selectorELNS0_4arch9wavefront6targetE1EEEvSK_
		.amdhsa_group_segment_fixed_size 0
		.amdhsa_private_segment_fixed_size 0
		.amdhsa_kernarg_size 88
		.amdhsa_user_sgpr_count 6
		.amdhsa_user_sgpr_private_segment_buffer 1
		.amdhsa_user_sgpr_dispatch_ptr 0
		.amdhsa_user_sgpr_queue_ptr 0
		.amdhsa_user_sgpr_kernarg_segment_ptr 1
		.amdhsa_user_sgpr_dispatch_id 0
		.amdhsa_user_sgpr_flat_scratch_init 0
		.amdhsa_user_sgpr_kernarg_preload_length 0
		.amdhsa_user_sgpr_kernarg_preload_offset 0
		.amdhsa_user_sgpr_private_segment_size 0
		.amdhsa_uses_dynamic_stack 0
		.amdhsa_system_sgpr_private_segment_wavefront_offset 0
		.amdhsa_system_sgpr_workgroup_id_x 1
		.amdhsa_system_sgpr_workgroup_id_y 0
		.amdhsa_system_sgpr_workgroup_id_z 0
		.amdhsa_system_sgpr_workgroup_info 0
		.amdhsa_system_vgpr_workitem_id 0
		.amdhsa_next_free_vgpr 1
		.amdhsa_next_free_sgpr 0
		.amdhsa_accum_offset 4
		.amdhsa_reserve_vcc 0
		.amdhsa_reserve_flat_scratch 0
		.amdhsa_float_round_mode_32 0
		.amdhsa_float_round_mode_16_64 0
		.amdhsa_float_denorm_mode_32 3
		.amdhsa_float_denorm_mode_16_64 3
		.amdhsa_dx10_clamp 1
		.amdhsa_ieee_mode 1
		.amdhsa_fp16_overflow 0
		.amdhsa_tg_split 0
		.amdhsa_exception_fp_ieee_invalid_op 0
		.amdhsa_exception_fp_denorm_src 0
		.amdhsa_exception_fp_ieee_div_zero 0
		.amdhsa_exception_fp_ieee_overflow 0
		.amdhsa_exception_fp_ieee_underflow 0
		.amdhsa_exception_fp_ieee_inexact 0
		.amdhsa_exception_int_div_zero 0
	.end_amdhsa_kernel
	.section	.text._ZN7rocprim17ROCPRIM_400000_NS6detail17trampoline_kernelINS0_14default_configENS1_35radix_sort_onesweep_config_selectorIiNS0_10empty_typeEEEZZNS1_29radix_sort_onesweep_iterationIS3_Lb0EN6thrust23THRUST_200600_302600_NS6detail15normal_iteratorINS9_10device_ptrIiEEEESE_PS5_SF_jNS0_19identity_decomposerENS1_16block_id_wrapperIjLb0EEEEE10hipError_tT1_PNSt15iterator_traitsISK_E10value_typeET2_T3_PNSL_ISQ_E10value_typeET4_T5_PSV_SW_PNS1_23onesweep_lookback_stateEbbT6_jjT7_P12ihipStream_tbENKUlT_T0_SK_SP_E_clISE_PiSF_SF_EEDaS13_S14_SK_SP_EUlS13_E_NS1_11comp_targetILNS1_3genE10ELNS1_11target_archE1201ELNS1_3gpuE5ELNS1_3repE0EEENS1_47radix_sort_onesweep_sort_config_static_selectorELNS0_4arch9wavefront6targetE1EEEvSK_,"axG",@progbits,_ZN7rocprim17ROCPRIM_400000_NS6detail17trampoline_kernelINS0_14default_configENS1_35radix_sort_onesweep_config_selectorIiNS0_10empty_typeEEEZZNS1_29radix_sort_onesweep_iterationIS3_Lb0EN6thrust23THRUST_200600_302600_NS6detail15normal_iteratorINS9_10device_ptrIiEEEESE_PS5_SF_jNS0_19identity_decomposerENS1_16block_id_wrapperIjLb0EEEEE10hipError_tT1_PNSt15iterator_traitsISK_E10value_typeET2_T3_PNSL_ISQ_E10value_typeET4_T5_PSV_SW_PNS1_23onesweep_lookback_stateEbbT6_jjT7_P12ihipStream_tbENKUlT_T0_SK_SP_E_clISE_PiSF_SF_EEDaS13_S14_SK_SP_EUlS13_E_NS1_11comp_targetILNS1_3genE10ELNS1_11target_archE1201ELNS1_3gpuE5ELNS1_3repE0EEENS1_47radix_sort_onesweep_sort_config_static_selectorELNS0_4arch9wavefront6targetE1EEEvSK_,comdat
.Lfunc_end1788:
	.size	_ZN7rocprim17ROCPRIM_400000_NS6detail17trampoline_kernelINS0_14default_configENS1_35radix_sort_onesweep_config_selectorIiNS0_10empty_typeEEEZZNS1_29radix_sort_onesweep_iterationIS3_Lb0EN6thrust23THRUST_200600_302600_NS6detail15normal_iteratorINS9_10device_ptrIiEEEESE_PS5_SF_jNS0_19identity_decomposerENS1_16block_id_wrapperIjLb0EEEEE10hipError_tT1_PNSt15iterator_traitsISK_E10value_typeET2_T3_PNSL_ISQ_E10value_typeET4_T5_PSV_SW_PNS1_23onesweep_lookback_stateEbbT6_jjT7_P12ihipStream_tbENKUlT_T0_SK_SP_E_clISE_PiSF_SF_EEDaS13_S14_SK_SP_EUlS13_E_NS1_11comp_targetILNS1_3genE10ELNS1_11target_archE1201ELNS1_3gpuE5ELNS1_3repE0EEENS1_47radix_sort_onesweep_sort_config_static_selectorELNS0_4arch9wavefront6targetE1EEEvSK_, .Lfunc_end1788-_ZN7rocprim17ROCPRIM_400000_NS6detail17trampoline_kernelINS0_14default_configENS1_35radix_sort_onesweep_config_selectorIiNS0_10empty_typeEEEZZNS1_29radix_sort_onesweep_iterationIS3_Lb0EN6thrust23THRUST_200600_302600_NS6detail15normal_iteratorINS9_10device_ptrIiEEEESE_PS5_SF_jNS0_19identity_decomposerENS1_16block_id_wrapperIjLb0EEEEE10hipError_tT1_PNSt15iterator_traitsISK_E10value_typeET2_T3_PNSL_ISQ_E10value_typeET4_T5_PSV_SW_PNS1_23onesweep_lookback_stateEbbT6_jjT7_P12ihipStream_tbENKUlT_T0_SK_SP_E_clISE_PiSF_SF_EEDaS13_S14_SK_SP_EUlS13_E_NS1_11comp_targetILNS1_3genE10ELNS1_11target_archE1201ELNS1_3gpuE5ELNS1_3repE0EEENS1_47radix_sort_onesweep_sort_config_static_selectorELNS0_4arch9wavefront6targetE1EEEvSK_
                                        ; -- End function
	.section	.AMDGPU.csdata,"",@progbits
; Kernel info:
; codeLenInByte = 0
; NumSgprs: 4
; NumVgprs: 0
; NumAgprs: 0
; TotalNumVgprs: 0
; ScratchSize: 0
; MemoryBound: 0
; FloatMode: 240
; IeeeMode: 1
; LDSByteSize: 0 bytes/workgroup (compile time only)
; SGPRBlocks: 0
; VGPRBlocks: 0
; NumSGPRsForWavesPerEU: 4
; NumVGPRsForWavesPerEU: 1
; AccumOffset: 4
; Occupancy: 8
; WaveLimiterHint : 0
; COMPUTE_PGM_RSRC2:SCRATCH_EN: 0
; COMPUTE_PGM_RSRC2:USER_SGPR: 6
; COMPUTE_PGM_RSRC2:TRAP_HANDLER: 0
; COMPUTE_PGM_RSRC2:TGID_X_EN: 1
; COMPUTE_PGM_RSRC2:TGID_Y_EN: 0
; COMPUTE_PGM_RSRC2:TGID_Z_EN: 0
; COMPUTE_PGM_RSRC2:TIDIG_COMP_CNT: 0
; COMPUTE_PGM_RSRC3_GFX90A:ACCUM_OFFSET: 0
; COMPUTE_PGM_RSRC3_GFX90A:TG_SPLIT: 0
	.section	.text._ZN7rocprim17ROCPRIM_400000_NS6detail17trampoline_kernelINS0_14default_configENS1_35radix_sort_onesweep_config_selectorIiNS0_10empty_typeEEEZZNS1_29radix_sort_onesweep_iterationIS3_Lb0EN6thrust23THRUST_200600_302600_NS6detail15normal_iteratorINS9_10device_ptrIiEEEESE_PS5_SF_jNS0_19identity_decomposerENS1_16block_id_wrapperIjLb0EEEEE10hipError_tT1_PNSt15iterator_traitsISK_E10value_typeET2_T3_PNSL_ISQ_E10value_typeET4_T5_PSV_SW_PNS1_23onesweep_lookback_stateEbbT6_jjT7_P12ihipStream_tbENKUlT_T0_SK_SP_E_clISE_PiSF_SF_EEDaS13_S14_SK_SP_EUlS13_E_NS1_11comp_targetILNS1_3genE9ELNS1_11target_archE1100ELNS1_3gpuE3ELNS1_3repE0EEENS1_47radix_sort_onesweep_sort_config_static_selectorELNS0_4arch9wavefront6targetE1EEEvSK_,"axG",@progbits,_ZN7rocprim17ROCPRIM_400000_NS6detail17trampoline_kernelINS0_14default_configENS1_35radix_sort_onesweep_config_selectorIiNS0_10empty_typeEEEZZNS1_29radix_sort_onesweep_iterationIS3_Lb0EN6thrust23THRUST_200600_302600_NS6detail15normal_iteratorINS9_10device_ptrIiEEEESE_PS5_SF_jNS0_19identity_decomposerENS1_16block_id_wrapperIjLb0EEEEE10hipError_tT1_PNSt15iterator_traitsISK_E10value_typeET2_T3_PNSL_ISQ_E10value_typeET4_T5_PSV_SW_PNS1_23onesweep_lookback_stateEbbT6_jjT7_P12ihipStream_tbENKUlT_T0_SK_SP_E_clISE_PiSF_SF_EEDaS13_S14_SK_SP_EUlS13_E_NS1_11comp_targetILNS1_3genE9ELNS1_11target_archE1100ELNS1_3gpuE3ELNS1_3repE0EEENS1_47radix_sort_onesweep_sort_config_static_selectorELNS0_4arch9wavefront6targetE1EEEvSK_,comdat
	.protected	_ZN7rocprim17ROCPRIM_400000_NS6detail17trampoline_kernelINS0_14default_configENS1_35radix_sort_onesweep_config_selectorIiNS0_10empty_typeEEEZZNS1_29radix_sort_onesweep_iterationIS3_Lb0EN6thrust23THRUST_200600_302600_NS6detail15normal_iteratorINS9_10device_ptrIiEEEESE_PS5_SF_jNS0_19identity_decomposerENS1_16block_id_wrapperIjLb0EEEEE10hipError_tT1_PNSt15iterator_traitsISK_E10value_typeET2_T3_PNSL_ISQ_E10value_typeET4_T5_PSV_SW_PNS1_23onesweep_lookback_stateEbbT6_jjT7_P12ihipStream_tbENKUlT_T0_SK_SP_E_clISE_PiSF_SF_EEDaS13_S14_SK_SP_EUlS13_E_NS1_11comp_targetILNS1_3genE9ELNS1_11target_archE1100ELNS1_3gpuE3ELNS1_3repE0EEENS1_47radix_sort_onesweep_sort_config_static_selectorELNS0_4arch9wavefront6targetE1EEEvSK_ ; -- Begin function _ZN7rocprim17ROCPRIM_400000_NS6detail17trampoline_kernelINS0_14default_configENS1_35radix_sort_onesweep_config_selectorIiNS0_10empty_typeEEEZZNS1_29radix_sort_onesweep_iterationIS3_Lb0EN6thrust23THRUST_200600_302600_NS6detail15normal_iteratorINS9_10device_ptrIiEEEESE_PS5_SF_jNS0_19identity_decomposerENS1_16block_id_wrapperIjLb0EEEEE10hipError_tT1_PNSt15iterator_traitsISK_E10value_typeET2_T3_PNSL_ISQ_E10value_typeET4_T5_PSV_SW_PNS1_23onesweep_lookback_stateEbbT6_jjT7_P12ihipStream_tbENKUlT_T0_SK_SP_E_clISE_PiSF_SF_EEDaS13_S14_SK_SP_EUlS13_E_NS1_11comp_targetILNS1_3genE9ELNS1_11target_archE1100ELNS1_3gpuE3ELNS1_3repE0EEENS1_47radix_sort_onesweep_sort_config_static_selectorELNS0_4arch9wavefront6targetE1EEEvSK_
	.globl	_ZN7rocprim17ROCPRIM_400000_NS6detail17trampoline_kernelINS0_14default_configENS1_35radix_sort_onesweep_config_selectorIiNS0_10empty_typeEEEZZNS1_29radix_sort_onesweep_iterationIS3_Lb0EN6thrust23THRUST_200600_302600_NS6detail15normal_iteratorINS9_10device_ptrIiEEEESE_PS5_SF_jNS0_19identity_decomposerENS1_16block_id_wrapperIjLb0EEEEE10hipError_tT1_PNSt15iterator_traitsISK_E10value_typeET2_T3_PNSL_ISQ_E10value_typeET4_T5_PSV_SW_PNS1_23onesweep_lookback_stateEbbT6_jjT7_P12ihipStream_tbENKUlT_T0_SK_SP_E_clISE_PiSF_SF_EEDaS13_S14_SK_SP_EUlS13_E_NS1_11comp_targetILNS1_3genE9ELNS1_11target_archE1100ELNS1_3gpuE3ELNS1_3repE0EEENS1_47radix_sort_onesweep_sort_config_static_selectorELNS0_4arch9wavefront6targetE1EEEvSK_
	.p2align	8
	.type	_ZN7rocprim17ROCPRIM_400000_NS6detail17trampoline_kernelINS0_14default_configENS1_35radix_sort_onesweep_config_selectorIiNS0_10empty_typeEEEZZNS1_29radix_sort_onesweep_iterationIS3_Lb0EN6thrust23THRUST_200600_302600_NS6detail15normal_iteratorINS9_10device_ptrIiEEEESE_PS5_SF_jNS0_19identity_decomposerENS1_16block_id_wrapperIjLb0EEEEE10hipError_tT1_PNSt15iterator_traitsISK_E10value_typeET2_T3_PNSL_ISQ_E10value_typeET4_T5_PSV_SW_PNS1_23onesweep_lookback_stateEbbT6_jjT7_P12ihipStream_tbENKUlT_T0_SK_SP_E_clISE_PiSF_SF_EEDaS13_S14_SK_SP_EUlS13_E_NS1_11comp_targetILNS1_3genE9ELNS1_11target_archE1100ELNS1_3gpuE3ELNS1_3repE0EEENS1_47radix_sort_onesweep_sort_config_static_selectorELNS0_4arch9wavefront6targetE1EEEvSK_,@function
_ZN7rocprim17ROCPRIM_400000_NS6detail17trampoline_kernelINS0_14default_configENS1_35radix_sort_onesweep_config_selectorIiNS0_10empty_typeEEEZZNS1_29radix_sort_onesweep_iterationIS3_Lb0EN6thrust23THRUST_200600_302600_NS6detail15normal_iteratorINS9_10device_ptrIiEEEESE_PS5_SF_jNS0_19identity_decomposerENS1_16block_id_wrapperIjLb0EEEEE10hipError_tT1_PNSt15iterator_traitsISK_E10value_typeET2_T3_PNSL_ISQ_E10value_typeET4_T5_PSV_SW_PNS1_23onesweep_lookback_stateEbbT6_jjT7_P12ihipStream_tbENKUlT_T0_SK_SP_E_clISE_PiSF_SF_EEDaS13_S14_SK_SP_EUlS13_E_NS1_11comp_targetILNS1_3genE9ELNS1_11target_archE1100ELNS1_3gpuE3ELNS1_3repE0EEENS1_47radix_sort_onesweep_sort_config_static_selectorELNS0_4arch9wavefront6targetE1EEEvSK_: ; @_ZN7rocprim17ROCPRIM_400000_NS6detail17trampoline_kernelINS0_14default_configENS1_35radix_sort_onesweep_config_selectorIiNS0_10empty_typeEEEZZNS1_29radix_sort_onesweep_iterationIS3_Lb0EN6thrust23THRUST_200600_302600_NS6detail15normal_iteratorINS9_10device_ptrIiEEEESE_PS5_SF_jNS0_19identity_decomposerENS1_16block_id_wrapperIjLb0EEEEE10hipError_tT1_PNSt15iterator_traitsISK_E10value_typeET2_T3_PNSL_ISQ_E10value_typeET4_T5_PSV_SW_PNS1_23onesweep_lookback_stateEbbT6_jjT7_P12ihipStream_tbENKUlT_T0_SK_SP_E_clISE_PiSF_SF_EEDaS13_S14_SK_SP_EUlS13_E_NS1_11comp_targetILNS1_3genE9ELNS1_11target_archE1100ELNS1_3gpuE3ELNS1_3repE0EEENS1_47radix_sort_onesweep_sort_config_static_selectorELNS0_4arch9wavefront6targetE1EEEvSK_
; %bb.0:
	.section	.rodata,"a",@progbits
	.p2align	6, 0x0
	.amdhsa_kernel _ZN7rocprim17ROCPRIM_400000_NS6detail17trampoline_kernelINS0_14default_configENS1_35radix_sort_onesweep_config_selectorIiNS0_10empty_typeEEEZZNS1_29radix_sort_onesweep_iterationIS3_Lb0EN6thrust23THRUST_200600_302600_NS6detail15normal_iteratorINS9_10device_ptrIiEEEESE_PS5_SF_jNS0_19identity_decomposerENS1_16block_id_wrapperIjLb0EEEEE10hipError_tT1_PNSt15iterator_traitsISK_E10value_typeET2_T3_PNSL_ISQ_E10value_typeET4_T5_PSV_SW_PNS1_23onesweep_lookback_stateEbbT6_jjT7_P12ihipStream_tbENKUlT_T0_SK_SP_E_clISE_PiSF_SF_EEDaS13_S14_SK_SP_EUlS13_E_NS1_11comp_targetILNS1_3genE9ELNS1_11target_archE1100ELNS1_3gpuE3ELNS1_3repE0EEENS1_47radix_sort_onesweep_sort_config_static_selectorELNS0_4arch9wavefront6targetE1EEEvSK_
		.amdhsa_group_segment_fixed_size 0
		.amdhsa_private_segment_fixed_size 0
		.amdhsa_kernarg_size 88
		.amdhsa_user_sgpr_count 6
		.amdhsa_user_sgpr_private_segment_buffer 1
		.amdhsa_user_sgpr_dispatch_ptr 0
		.amdhsa_user_sgpr_queue_ptr 0
		.amdhsa_user_sgpr_kernarg_segment_ptr 1
		.amdhsa_user_sgpr_dispatch_id 0
		.amdhsa_user_sgpr_flat_scratch_init 0
		.amdhsa_user_sgpr_kernarg_preload_length 0
		.amdhsa_user_sgpr_kernarg_preload_offset 0
		.amdhsa_user_sgpr_private_segment_size 0
		.amdhsa_uses_dynamic_stack 0
		.amdhsa_system_sgpr_private_segment_wavefront_offset 0
		.amdhsa_system_sgpr_workgroup_id_x 1
		.amdhsa_system_sgpr_workgroup_id_y 0
		.amdhsa_system_sgpr_workgroup_id_z 0
		.amdhsa_system_sgpr_workgroup_info 0
		.amdhsa_system_vgpr_workitem_id 0
		.amdhsa_next_free_vgpr 1
		.amdhsa_next_free_sgpr 0
		.amdhsa_accum_offset 4
		.amdhsa_reserve_vcc 0
		.amdhsa_reserve_flat_scratch 0
		.amdhsa_float_round_mode_32 0
		.amdhsa_float_round_mode_16_64 0
		.amdhsa_float_denorm_mode_32 3
		.amdhsa_float_denorm_mode_16_64 3
		.amdhsa_dx10_clamp 1
		.amdhsa_ieee_mode 1
		.amdhsa_fp16_overflow 0
		.amdhsa_tg_split 0
		.amdhsa_exception_fp_ieee_invalid_op 0
		.amdhsa_exception_fp_denorm_src 0
		.amdhsa_exception_fp_ieee_div_zero 0
		.amdhsa_exception_fp_ieee_overflow 0
		.amdhsa_exception_fp_ieee_underflow 0
		.amdhsa_exception_fp_ieee_inexact 0
		.amdhsa_exception_int_div_zero 0
	.end_amdhsa_kernel
	.section	.text._ZN7rocprim17ROCPRIM_400000_NS6detail17trampoline_kernelINS0_14default_configENS1_35radix_sort_onesweep_config_selectorIiNS0_10empty_typeEEEZZNS1_29radix_sort_onesweep_iterationIS3_Lb0EN6thrust23THRUST_200600_302600_NS6detail15normal_iteratorINS9_10device_ptrIiEEEESE_PS5_SF_jNS0_19identity_decomposerENS1_16block_id_wrapperIjLb0EEEEE10hipError_tT1_PNSt15iterator_traitsISK_E10value_typeET2_T3_PNSL_ISQ_E10value_typeET4_T5_PSV_SW_PNS1_23onesweep_lookback_stateEbbT6_jjT7_P12ihipStream_tbENKUlT_T0_SK_SP_E_clISE_PiSF_SF_EEDaS13_S14_SK_SP_EUlS13_E_NS1_11comp_targetILNS1_3genE9ELNS1_11target_archE1100ELNS1_3gpuE3ELNS1_3repE0EEENS1_47radix_sort_onesweep_sort_config_static_selectorELNS0_4arch9wavefront6targetE1EEEvSK_,"axG",@progbits,_ZN7rocprim17ROCPRIM_400000_NS6detail17trampoline_kernelINS0_14default_configENS1_35radix_sort_onesweep_config_selectorIiNS0_10empty_typeEEEZZNS1_29radix_sort_onesweep_iterationIS3_Lb0EN6thrust23THRUST_200600_302600_NS6detail15normal_iteratorINS9_10device_ptrIiEEEESE_PS5_SF_jNS0_19identity_decomposerENS1_16block_id_wrapperIjLb0EEEEE10hipError_tT1_PNSt15iterator_traitsISK_E10value_typeET2_T3_PNSL_ISQ_E10value_typeET4_T5_PSV_SW_PNS1_23onesweep_lookback_stateEbbT6_jjT7_P12ihipStream_tbENKUlT_T0_SK_SP_E_clISE_PiSF_SF_EEDaS13_S14_SK_SP_EUlS13_E_NS1_11comp_targetILNS1_3genE9ELNS1_11target_archE1100ELNS1_3gpuE3ELNS1_3repE0EEENS1_47radix_sort_onesweep_sort_config_static_selectorELNS0_4arch9wavefront6targetE1EEEvSK_,comdat
.Lfunc_end1789:
	.size	_ZN7rocprim17ROCPRIM_400000_NS6detail17trampoline_kernelINS0_14default_configENS1_35radix_sort_onesweep_config_selectorIiNS0_10empty_typeEEEZZNS1_29radix_sort_onesweep_iterationIS3_Lb0EN6thrust23THRUST_200600_302600_NS6detail15normal_iteratorINS9_10device_ptrIiEEEESE_PS5_SF_jNS0_19identity_decomposerENS1_16block_id_wrapperIjLb0EEEEE10hipError_tT1_PNSt15iterator_traitsISK_E10value_typeET2_T3_PNSL_ISQ_E10value_typeET4_T5_PSV_SW_PNS1_23onesweep_lookback_stateEbbT6_jjT7_P12ihipStream_tbENKUlT_T0_SK_SP_E_clISE_PiSF_SF_EEDaS13_S14_SK_SP_EUlS13_E_NS1_11comp_targetILNS1_3genE9ELNS1_11target_archE1100ELNS1_3gpuE3ELNS1_3repE0EEENS1_47radix_sort_onesweep_sort_config_static_selectorELNS0_4arch9wavefront6targetE1EEEvSK_, .Lfunc_end1789-_ZN7rocprim17ROCPRIM_400000_NS6detail17trampoline_kernelINS0_14default_configENS1_35radix_sort_onesweep_config_selectorIiNS0_10empty_typeEEEZZNS1_29radix_sort_onesweep_iterationIS3_Lb0EN6thrust23THRUST_200600_302600_NS6detail15normal_iteratorINS9_10device_ptrIiEEEESE_PS5_SF_jNS0_19identity_decomposerENS1_16block_id_wrapperIjLb0EEEEE10hipError_tT1_PNSt15iterator_traitsISK_E10value_typeET2_T3_PNSL_ISQ_E10value_typeET4_T5_PSV_SW_PNS1_23onesweep_lookback_stateEbbT6_jjT7_P12ihipStream_tbENKUlT_T0_SK_SP_E_clISE_PiSF_SF_EEDaS13_S14_SK_SP_EUlS13_E_NS1_11comp_targetILNS1_3genE9ELNS1_11target_archE1100ELNS1_3gpuE3ELNS1_3repE0EEENS1_47radix_sort_onesweep_sort_config_static_selectorELNS0_4arch9wavefront6targetE1EEEvSK_
                                        ; -- End function
	.section	.AMDGPU.csdata,"",@progbits
; Kernel info:
; codeLenInByte = 0
; NumSgprs: 4
; NumVgprs: 0
; NumAgprs: 0
; TotalNumVgprs: 0
; ScratchSize: 0
; MemoryBound: 0
; FloatMode: 240
; IeeeMode: 1
; LDSByteSize: 0 bytes/workgroup (compile time only)
; SGPRBlocks: 0
; VGPRBlocks: 0
; NumSGPRsForWavesPerEU: 4
; NumVGPRsForWavesPerEU: 1
; AccumOffset: 4
; Occupancy: 8
; WaveLimiterHint : 0
; COMPUTE_PGM_RSRC2:SCRATCH_EN: 0
; COMPUTE_PGM_RSRC2:USER_SGPR: 6
; COMPUTE_PGM_RSRC2:TRAP_HANDLER: 0
; COMPUTE_PGM_RSRC2:TGID_X_EN: 1
; COMPUTE_PGM_RSRC2:TGID_Y_EN: 0
; COMPUTE_PGM_RSRC2:TGID_Z_EN: 0
; COMPUTE_PGM_RSRC2:TIDIG_COMP_CNT: 0
; COMPUTE_PGM_RSRC3_GFX90A:ACCUM_OFFSET: 0
; COMPUTE_PGM_RSRC3_GFX90A:TG_SPLIT: 0
	.section	.text._ZN7rocprim17ROCPRIM_400000_NS6detail17trampoline_kernelINS0_14default_configENS1_35radix_sort_onesweep_config_selectorIiNS0_10empty_typeEEEZZNS1_29radix_sort_onesweep_iterationIS3_Lb0EN6thrust23THRUST_200600_302600_NS6detail15normal_iteratorINS9_10device_ptrIiEEEESE_PS5_SF_jNS0_19identity_decomposerENS1_16block_id_wrapperIjLb0EEEEE10hipError_tT1_PNSt15iterator_traitsISK_E10value_typeET2_T3_PNSL_ISQ_E10value_typeET4_T5_PSV_SW_PNS1_23onesweep_lookback_stateEbbT6_jjT7_P12ihipStream_tbENKUlT_T0_SK_SP_E_clISE_PiSF_SF_EEDaS13_S14_SK_SP_EUlS13_E_NS1_11comp_targetILNS1_3genE8ELNS1_11target_archE1030ELNS1_3gpuE2ELNS1_3repE0EEENS1_47radix_sort_onesweep_sort_config_static_selectorELNS0_4arch9wavefront6targetE1EEEvSK_,"axG",@progbits,_ZN7rocprim17ROCPRIM_400000_NS6detail17trampoline_kernelINS0_14default_configENS1_35radix_sort_onesweep_config_selectorIiNS0_10empty_typeEEEZZNS1_29radix_sort_onesweep_iterationIS3_Lb0EN6thrust23THRUST_200600_302600_NS6detail15normal_iteratorINS9_10device_ptrIiEEEESE_PS5_SF_jNS0_19identity_decomposerENS1_16block_id_wrapperIjLb0EEEEE10hipError_tT1_PNSt15iterator_traitsISK_E10value_typeET2_T3_PNSL_ISQ_E10value_typeET4_T5_PSV_SW_PNS1_23onesweep_lookback_stateEbbT6_jjT7_P12ihipStream_tbENKUlT_T0_SK_SP_E_clISE_PiSF_SF_EEDaS13_S14_SK_SP_EUlS13_E_NS1_11comp_targetILNS1_3genE8ELNS1_11target_archE1030ELNS1_3gpuE2ELNS1_3repE0EEENS1_47radix_sort_onesweep_sort_config_static_selectorELNS0_4arch9wavefront6targetE1EEEvSK_,comdat
	.protected	_ZN7rocprim17ROCPRIM_400000_NS6detail17trampoline_kernelINS0_14default_configENS1_35radix_sort_onesweep_config_selectorIiNS0_10empty_typeEEEZZNS1_29radix_sort_onesweep_iterationIS3_Lb0EN6thrust23THRUST_200600_302600_NS6detail15normal_iteratorINS9_10device_ptrIiEEEESE_PS5_SF_jNS0_19identity_decomposerENS1_16block_id_wrapperIjLb0EEEEE10hipError_tT1_PNSt15iterator_traitsISK_E10value_typeET2_T3_PNSL_ISQ_E10value_typeET4_T5_PSV_SW_PNS1_23onesweep_lookback_stateEbbT6_jjT7_P12ihipStream_tbENKUlT_T0_SK_SP_E_clISE_PiSF_SF_EEDaS13_S14_SK_SP_EUlS13_E_NS1_11comp_targetILNS1_3genE8ELNS1_11target_archE1030ELNS1_3gpuE2ELNS1_3repE0EEENS1_47radix_sort_onesweep_sort_config_static_selectorELNS0_4arch9wavefront6targetE1EEEvSK_ ; -- Begin function _ZN7rocprim17ROCPRIM_400000_NS6detail17trampoline_kernelINS0_14default_configENS1_35radix_sort_onesweep_config_selectorIiNS0_10empty_typeEEEZZNS1_29radix_sort_onesweep_iterationIS3_Lb0EN6thrust23THRUST_200600_302600_NS6detail15normal_iteratorINS9_10device_ptrIiEEEESE_PS5_SF_jNS0_19identity_decomposerENS1_16block_id_wrapperIjLb0EEEEE10hipError_tT1_PNSt15iterator_traitsISK_E10value_typeET2_T3_PNSL_ISQ_E10value_typeET4_T5_PSV_SW_PNS1_23onesweep_lookback_stateEbbT6_jjT7_P12ihipStream_tbENKUlT_T0_SK_SP_E_clISE_PiSF_SF_EEDaS13_S14_SK_SP_EUlS13_E_NS1_11comp_targetILNS1_3genE8ELNS1_11target_archE1030ELNS1_3gpuE2ELNS1_3repE0EEENS1_47radix_sort_onesweep_sort_config_static_selectorELNS0_4arch9wavefront6targetE1EEEvSK_
	.globl	_ZN7rocprim17ROCPRIM_400000_NS6detail17trampoline_kernelINS0_14default_configENS1_35radix_sort_onesweep_config_selectorIiNS0_10empty_typeEEEZZNS1_29radix_sort_onesweep_iterationIS3_Lb0EN6thrust23THRUST_200600_302600_NS6detail15normal_iteratorINS9_10device_ptrIiEEEESE_PS5_SF_jNS0_19identity_decomposerENS1_16block_id_wrapperIjLb0EEEEE10hipError_tT1_PNSt15iterator_traitsISK_E10value_typeET2_T3_PNSL_ISQ_E10value_typeET4_T5_PSV_SW_PNS1_23onesweep_lookback_stateEbbT6_jjT7_P12ihipStream_tbENKUlT_T0_SK_SP_E_clISE_PiSF_SF_EEDaS13_S14_SK_SP_EUlS13_E_NS1_11comp_targetILNS1_3genE8ELNS1_11target_archE1030ELNS1_3gpuE2ELNS1_3repE0EEENS1_47radix_sort_onesweep_sort_config_static_selectorELNS0_4arch9wavefront6targetE1EEEvSK_
	.p2align	8
	.type	_ZN7rocprim17ROCPRIM_400000_NS6detail17trampoline_kernelINS0_14default_configENS1_35radix_sort_onesweep_config_selectorIiNS0_10empty_typeEEEZZNS1_29radix_sort_onesweep_iterationIS3_Lb0EN6thrust23THRUST_200600_302600_NS6detail15normal_iteratorINS9_10device_ptrIiEEEESE_PS5_SF_jNS0_19identity_decomposerENS1_16block_id_wrapperIjLb0EEEEE10hipError_tT1_PNSt15iterator_traitsISK_E10value_typeET2_T3_PNSL_ISQ_E10value_typeET4_T5_PSV_SW_PNS1_23onesweep_lookback_stateEbbT6_jjT7_P12ihipStream_tbENKUlT_T0_SK_SP_E_clISE_PiSF_SF_EEDaS13_S14_SK_SP_EUlS13_E_NS1_11comp_targetILNS1_3genE8ELNS1_11target_archE1030ELNS1_3gpuE2ELNS1_3repE0EEENS1_47radix_sort_onesweep_sort_config_static_selectorELNS0_4arch9wavefront6targetE1EEEvSK_,@function
_ZN7rocprim17ROCPRIM_400000_NS6detail17trampoline_kernelINS0_14default_configENS1_35radix_sort_onesweep_config_selectorIiNS0_10empty_typeEEEZZNS1_29radix_sort_onesweep_iterationIS3_Lb0EN6thrust23THRUST_200600_302600_NS6detail15normal_iteratorINS9_10device_ptrIiEEEESE_PS5_SF_jNS0_19identity_decomposerENS1_16block_id_wrapperIjLb0EEEEE10hipError_tT1_PNSt15iterator_traitsISK_E10value_typeET2_T3_PNSL_ISQ_E10value_typeET4_T5_PSV_SW_PNS1_23onesweep_lookback_stateEbbT6_jjT7_P12ihipStream_tbENKUlT_T0_SK_SP_E_clISE_PiSF_SF_EEDaS13_S14_SK_SP_EUlS13_E_NS1_11comp_targetILNS1_3genE8ELNS1_11target_archE1030ELNS1_3gpuE2ELNS1_3repE0EEENS1_47radix_sort_onesweep_sort_config_static_selectorELNS0_4arch9wavefront6targetE1EEEvSK_: ; @_ZN7rocprim17ROCPRIM_400000_NS6detail17trampoline_kernelINS0_14default_configENS1_35radix_sort_onesweep_config_selectorIiNS0_10empty_typeEEEZZNS1_29radix_sort_onesweep_iterationIS3_Lb0EN6thrust23THRUST_200600_302600_NS6detail15normal_iteratorINS9_10device_ptrIiEEEESE_PS5_SF_jNS0_19identity_decomposerENS1_16block_id_wrapperIjLb0EEEEE10hipError_tT1_PNSt15iterator_traitsISK_E10value_typeET2_T3_PNSL_ISQ_E10value_typeET4_T5_PSV_SW_PNS1_23onesweep_lookback_stateEbbT6_jjT7_P12ihipStream_tbENKUlT_T0_SK_SP_E_clISE_PiSF_SF_EEDaS13_S14_SK_SP_EUlS13_E_NS1_11comp_targetILNS1_3genE8ELNS1_11target_archE1030ELNS1_3gpuE2ELNS1_3repE0EEENS1_47radix_sort_onesweep_sort_config_static_selectorELNS0_4arch9wavefront6targetE1EEEvSK_
; %bb.0:
	.section	.rodata,"a",@progbits
	.p2align	6, 0x0
	.amdhsa_kernel _ZN7rocprim17ROCPRIM_400000_NS6detail17trampoline_kernelINS0_14default_configENS1_35radix_sort_onesweep_config_selectorIiNS0_10empty_typeEEEZZNS1_29radix_sort_onesweep_iterationIS3_Lb0EN6thrust23THRUST_200600_302600_NS6detail15normal_iteratorINS9_10device_ptrIiEEEESE_PS5_SF_jNS0_19identity_decomposerENS1_16block_id_wrapperIjLb0EEEEE10hipError_tT1_PNSt15iterator_traitsISK_E10value_typeET2_T3_PNSL_ISQ_E10value_typeET4_T5_PSV_SW_PNS1_23onesweep_lookback_stateEbbT6_jjT7_P12ihipStream_tbENKUlT_T0_SK_SP_E_clISE_PiSF_SF_EEDaS13_S14_SK_SP_EUlS13_E_NS1_11comp_targetILNS1_3genE8ELNS1_11target_archE1030ELNS1_3gpuE2ELNS1_3repE0EEENS1_47radix_sort_onesweep_sort_config_static_selectorELNS0_4arch9wavefront6targetE1EEEvSK_
		.amdhsa_group_segment_fixed_size 0
		.amdhsa_private_segment_fixed_size 0
		.amdhsa_kernarg_size 88
		.amdhsa_user_sgpr_count 6
		.amdhsa_user_sgpr_private_segment_buffer 1
		.amdhsa_user_sgpr_dispatch_ptr 0
		.amdhsa_user_sgpr_queue_ptr 0
		.amdhsa_user_sgpr_kernarg_segment_ptr 1
		.amdhsa_user_sgpr_dispatch_id 0
		.amdhsa_user_sgpr_flat_scratch_init 0
		.amdhsa_user_sgpr_kernarg_preload_length 0
		.amdhsa_user_sgpr_kernarg_preload_offset 0
		.amdhsa_user_sgpr_private_segment_size 0
		.amdhsa_uses_dynamic_stack 0
		.amdhsa_system_sgpr_private_segment_wavefront_offset 0
		.amdhsa_system_sgpr_workgroup_id_x 1
		.amdhsa_system_sgpr_workgroup_id_y 0
		.amdhsa_system_sgpr_workgroup_id_z 0
		.amdhsa_system_sgpr_workgroup_info 0
		.amdhsa_system_vgpr_workitem_id 0
		.amdhsa_next_free_vgpr 1
		.amdhsa_next_free_sgpr 0
		.amdhsa_accum_offset 4
		.amdhsa_reserve_vcc 0
		.amdhsa_reserve_flat_scratch 0
		.amdhsa_float_round_mode_32 0
		.amdhsa_float_round_mode_16_64 0
		.amdhsa_float_denorm_mode_32 3
		.amdhsa_float_denorm_mode_16_64 3
		.amdhsa_dx10_clamp 1
		.amdhsa_ieee_mode 1
		.amdhsa_fp16_overflow 0
		.amdhsa_tg_split 0
		.amdhsa_exception_fp_ieee_invalid_op 0
		.amdhsa_exception_fp_denorm_src 0
		.amdhsa_exception_fp_ieee_div_zero 0
		.amdhsa_exception_fp_ieee_overflow 0
		.amdhsa_exception_fp_ieee_underflow 0
		.amdhsa_exception_fp_ieee_inexact 0
		.amdhsa_exception_int_div_zero 0
	.end_amdhsa_kernel
	.section	.text._ZN7rocprim17ROCPRIM_400000_NS6detail17trampoline_kernelINS0_14default_configENS1_35radix_sort_onesweep_config_selectorIiNS0_10empty_typeEEEZZNS1_29radix_sort_onesweep_iterationIS3_Lb0EN6thrust23THRUST_200600_302600_NS6detail15normal_iteratorINS9_10device_ptrIiEEEESE_PS5_SF_jNS0_19identity_decomposerENS1_16block_id_wrapperIjLb0EEEEE10hipError_tT1_PNSt15iterator_traitsISK_E10value_typeET2_T3_PNSL_ISQ_E10value_typeET4_T5_PSV_SW_PNS1_23onesweep_lookback_stateEbbT6_jjT7_P12ihipStream_tbENKUlT_T0_SK_SP_E_clISE_PiSF_SF_EEDaS13_S14_SK_SP_EUlS13_E_NS1_11comp_targetILNS1_3genE8ELNS1_11target_archE1030ELNS1_3gpuE2ELNS1_3repE0EEENS1_47radix_sort_onesweep_sort_config_static_selectorELNS0_4arch9wavefront6targetE1EEEvSK_,"axG",@progbits,_ZN7rocprim17ROCPRIM_400000_NS6detail17trampoline_kernelINS0_14default_configENS1_35radix_sort_onesweep_config_selectorIiNS0_10empty_typeEEEZZNS1_29radix_sort_onesweep_iterationIS3_Lb0EN6thrust23THRUST_200600_302600_NS6detail15normal_iteratorINS9_10device_ptrIiEEEESE_PS5_SF_jNS0_19identity_decomposerENS1_16block_id_wrapperIjLb0EEEEE10hipError_tT1_PNSt15iterator_traitsISK_E10value_typeET2_T3_PNSL_ISQ_E10value_typeET4_T5_PSV_SW_PNS1_23onesweep_lookback_stateEbbT6_jjT7_P12ihipStream_tbENKUlT_T0_SK_SP_E_clISE_PiSF_SF_EEDaS13_S14_SK_SP_EUlS13_E_NS1_11comp_targetILNS1_3genE8ELNS1_11target_archE1030ELNS1_3gpuE2ELNS1_3repE0EEENS1_47radix_sort_onesweep_sort_config_static_selectorELNS0_4arch9wavefront6targetE1EEEvSK_,comdat
.Lfunc_end1790:
	.size	_ZN7rocprim17ROCPRIM_400000_NS6detail17trampoline_kernelINS0_14default_configENS1_35radix_sort_onesweep_config_selectorIiNS0_10empty_typeEEEZZNS1_29radix_sort_onesweep_iterationIS3_Lb0EN6thrust23THRUST_200600_302600_NS6detail15normal_iteratorINS9_10device_ptrIiEEEESE_PS5_SF_jNS0_19identity_decomposerENS1_16block_id_wrapperIjLb0EEEEE10hipError_tT1_PNSt15iterator_traitsISK_E10value_typeET2_T3_PNSL_ISQ_E10value_typeET4_T5_PSV_SW_PNS1_23onesweep_lookback_stateEbbT6_jjT7_P12ihipStream_tbENKUlT_T0_SK_SP_E_clISE_PiSF_SF_EEDaS13_S14_SK_SP_EUlS13_E_NS1_11comp_targetILNS1_3genE8ELNS1_11target_archE1030ELNS1_3gpuE2ELNS1_3repE0EEENS1_47radix_sort_onesweep_sort_config_static_selectorELNS0_4arch9wavefront6targetE1EEEvSK_, .Lfunc_end1790-_ZN7rocprim17ROCPRIM_400000_NS6detail17trampoline_kernelINS0_14default_configENS1_35radix_sort_onesweep_config_selectorIiNS0_10empty_typeEEEZZNS1_29radix_sort_onesweep_iterationIS3_Lb0EN6thrust23THRUST_200600_302600_NS6detail15normal_iteratorINS9_10device_ptrIiEEEESE_PS5_SF_jNS0_19identity_decomposerENS1_16block_id_wrapperIjLb0EEEEE10hipError_tT1_PNSt15iterator_traitsISK_E10value_typeET2_T3_PNSL_ISQ_E10value_typeET4_T5_PSV_SW_PNS1_23onesweep_lookback_stateEbbT6_jjT7_P12ihipStream_tbENKUlT_T0_SK_SP_E_clISE_PiSF_SF_EEDaS13_S14_SK_SP_EUlS13_E_NS1_11comp_targetILNS1_3genE8ELNS1_11target_archE1030ELNS1_3gpuE2ELNS1_3repE0EEENS1_47radix_sort_onesweep_sort_config_static_selectorELNS0_4arch9wavefront6targetE1EEEvSK_
                                        ; -- End function
	.section	.AMDGPU.csdata,"",@progbits
; Kernel info:
; codeLenInByte = 0
; NumSgprs: 4
; NumVgprs: 0
; NumAgprs: 0
; TotalNumVgprs: 0
; ScratchSize: 0
; MemoryBound: 0
; FloatMode: 240
; IeeeMode: 1
; LDSByteSize: 0 bytes/workgroup (compile time only)
; SGPRBlocks: 0
; VGPRBlocks: 0
; NumSGPRsForWavesPerEU: 4
; NumVGPRsForWavesPerEU: 1
; AccumOffset: 4
; Occupancy: 8
; WaveLimiterHint : 0
; COMPUTE_PGM_RSRC2:SCRATCH_EN: 0
; COMPUTE_PGM_RSRC2:USER_SGPR: 6
; COMPUTE_PGM_RSRC2:TRAP_HANDLER: 0
; COMPUTE_PGM_RSRC2:TGID_X_EN: 1
; COMPUTE_PGM_RSRC2:TGID_Y_EN: 0
; COMPUTE_PGM_RSRC2:TGID_Z_EN: 0
; COMPUTE_PGM_RSRC2:TIDIG_COMP_CNT: 0
; COMPUTE_PGM_RSRC3_GFX90A:ACCUM_OFFSET: 0
; COMPUTE_PGM_RSRC3_GFX90A:TG_SPLIT: 0
	.section	.text._ZN7rocprim17ROCPRIM_400000_NS6detail17trampoline_kernelINS0_14default_configENS1_35radix_sort_onesweep_config_selectorIiNS0_10empty_typeEEEZZNS1_29radix_sort_onesweep_iterationIS3_Lb0EN6thrust23THRUST_200600_302600_NS6detail15normal_iteratorINS9_10device_ptrIiEEEESE_PS5_SF_jNS0_19identity_decomposerENS1_16block_id_wrapperIjLb0EEEEE10hipError_tT1_PNSt15iterator_traitsISK_E10value_typeET2_T3_PNSL_ISQ_E10value_typeET4_T5_PSV_SW_PNS1_23onesweep_lookback_stateEbbT6_jjT7_P12ihipStream_tbENKUlT_T0_SK_SP_E_clIPiSE_SF_SF_EEDaS13_S14_SK_SP_EUlS13_E_NS1_11comp_targetILNS1_3genE0ELNS1_11target_archE4294967295ELNS1_3gpuE0ELNS1_3repE0EEENS1_47radix_sort_onesweep_sort_config_static_selectorELNS0_4arch9wavefront6targetE1EEEvSK_,"axG",@progbits,_ZN7rocprim17ROCPRIM_400000_NS6detail17trampoline_kernelINS0_14default_configENS1_35radix_sort_onesweep_config_selectorIiNS0_10empty_typeEEEZZNS1_29radix_sort_onesweep_iterationIS3_Lb0EN6thrust23THRUST_200600_302600_NS6detail15normal_iteratorINS9_10device_ptrIiEEEESE_PS5_SF_jNS0_19identity_decomposerENS1_16block_id_wrapperIjLb0EEEEE10hipError_tT1_PNSt15iterator_traitsISK_E10value_typeET2_T3_PNSL_ISQ_E10value_typeET4_T5_PSV_SW_PNS1_23onesweep_lookback_stateEbbT6_jjT7_P12ihipStream_tbENKUlT_T0_SK_SP_E_clIPiSE_SF_SF_EEDaS13_S14_SK_SP_EUlS13_E_NS1_11comp_targetILNS1_3genE0ELNS1_11target_archE4294967295ELNS1_3gpuE0ELNS1_3repE0EEENS1_47radix_sort_onesweep_sort_config_static_selectorELNS0_4arch9wavefront6targetE1EEEvSK_,comdat
	.protected	_ZN7rocprim17ROCPRIM_400000_NS6detail17trampoline_kernelINS0_14default_configENS1_35radix_sort_onesweep_config_selectorIiNS0_10empty_typeEEEZZNS1_29radix_sort_onesweep_iterationIS3_Lb0EN6thrust23THRUST_200600_302600_NS6detail15normal_iteratorINS9_10device_ptrIiEEEESE_PS5_SF_jNS0_19identity_decomposerENS1_16block_id_wrapperIjLb0EEEEE10hipError_tT1_PNSt15iterator_traitsISK_E10value_typeET2_T3_PNSL_ISQ_E10value_typeET4_T5_PSV_SW_PNS1_23onesweep_lookback_stateEbbT6_jjT7_P12ihipStream_tbENKUlT_T0_SK_SP_E_clIPiSE_SF_SF_EEDaS13_S14_SK_SP_EUlS13_E_NS1_11comp_targetILNS1_3genE0ELNS1_11target_archE4294967295ELNS1_3gpuE0ELNS1_3repE0EEENS1_47radix_sort_onesweep_sort_config_static_selectorELNS0_4arch9wavefront6targetE1EEEvSK_ ; -- Begin function _ZN7rocprim17ROCPRIM_400000_NS6detail17trampoline_kernelINS0_14default_configENS1_35radix_sort_onesweep_config_selectorIiNS0_10empty_typeEEEZZNS1_29radix_sort_onesweep_iterationIS3_Lb0EN6thrust23THRUST_200600_302600_NS6detail15normal_iteratorINS9_10device_ptrIiEEEESE_PS5_SF_jNS0_19identity_decomposerENS1_16block_id_wrapperIjLb0EEEEE10hipError_tT1_PNSt15iterator_traitsISK_E10value_typeET2_T3_PNSL_ISQ_E10value_typeET4_T5_PSV_SW_PNS1_23onesweep_lookback_stateEbbT6_jjT7_P12ihipStream_tbENKUlT_T0_SK_SP_E_clIPiSE_SF_SF_EEDaS13_S14_SK_SP_EUlS13_E_NS1_11comp_targetILNS1_3genE0ELNS1_11target_archE4294967295ELNS1_3gpuE0ELNS1_3repE0EEENS1_47radix_sort_onesweep_sort_config_static_selectorELNS0_4arch9wavefront6targetE1EEEvSK_
	.globl	_ZN7rocprim17ROCPRIM_400000_NS6detail17trampoline_kernelINS0_14default_configENS1_35radix_sort_onesweep_config_selectorIiNS0_10empty_typeEEEZZNS1_29radix_sort_onesweep_iterationIS3_Lb0EN6thrust23THRUST_200600_302600_NS6detail15normal_iteratorINS9_10device_ptrIiEEEESE_PS5_SF_jNS0_19identity_decomposerENS1_16block_id_wrapperIjLb0EEEEE10hipError_tT1_PNSt15iterator_traitsISK_E10value_typeET2_T3_PNSL_ISQ_E10value_typeET4_T5_PSV_SW_PNS1_23onesweep_lookback_stateEbbT6_jjT7_P12ihipStream_tbENKUlT_T0_SK_SP_E_clIPiSE_SF_SF_EEDaS13_S14_SK_SP_EUlS13_E_NS1_11comp_targetILNS1_3genE0ELNS1_11target_archE4294967295ELNS1_3gpuE0ELNS1_3repE0EEENS1_47radix_sort_onesweep_sort_config_static_selectorELNS0_4arch9wavefront6targetE1EEEvSK_
	.p2align	8
	.type	_ZN7rocprim17ROCPRIM_400000_NS6detail17trampoline_kernelINS0_14default_configENS1_35radix_sort_onesweep_config_selectorIiNS0_10empty_typeEEEZZNS1_29radix_sort_onesweep_iterationIS3_Lb0EN6thrust23THRUST_200600_302600_NS6detail15normal_iteratorINS9_10device_ptrIiEEEESE_PS5_SF_jNS0_19identity_decomposerENS1_16block_id_wrapperIjLb0EEEEE10hipError_tT1_PNSt15iterator_traitsISK_E10value_typeET2_T3_PNSL_ISQ_E10value_typeET4_T5_PSV_SW_PNS1_23onesweep_lookback_stateEbbT6_jjT7_P12ihipStream_tbENKUlT_T0_SK_SP_E_clIPiSE_SF_SF_EEDaS13_S14_SK_SP_EUlS13_E_NS1_11comp_targetILNS1_3genE0ELNS1_11target_archE4294967295ELNS1_3gpuE0ELNS1_3repE0EEENS1_47radix_sort_onesweep_sort_config_static_selectorELNS0_4arch9wavefront6targetE1EEEvSK_,@function
_ZN7rocprim17ROCPRIM_400000_NS6detail17trampoline_kernelINS0_14default_configENS1_35radix_sort_onesweep_config_selectorIiNS0_10empty_typeEEEZZNS1_29radix_sort_onesweep_iterationIS3_Lb0EN6thrust23THRUST_200600_302600_NS6detail15normal_iteratorINS9_10device_ptrIiEEEESE_PS5_SF_jNS0_19identity_decomposerENS1_16block_id_wrapperIjLb0EEEEE10hipError_tT1_PNSt15iterator_traitsISK_E10value_typeET2_T3_PNSL_ISQ_E10value_typeET4_T5_PSV_SW_PNS1_23onesweep_lookback_stateEbbT6_jjT7_P12ihipStream_tbENKUlT_T0_SK_SP_E_clIPiSE_SF_SF_EEDaS13_S14_SK_SP_EUlS13_E_NS1_11comp_targetILNS1_3genE0ELNS1_11target_archE4294967295ELNS1_3gpuE0ELNS1_3repE0EEENS1_47radix_sort_onesweep_sort_config_static_selectorELNS0_4arch9wavefront6targetE1EEEvSK_: ; @_ZN7rocprim17ROCPRIM_400000_NS6detail17trampoline_kernelINS0_14default_configENS1_35radix_sort_onesweep_config_selectorIiNS0_10empty_typeEEEZZNS1_29radix_sort_onesweep_iterationIS3_Lb0EN6thrust23THRUST_200600_302600_NS6detail15normal_iteratorINS9_10device_ptrIiEEEESE_PS5_SF_jNS0_19identity_decomposerENS1_16block_id_wrapperIjLb0EEEEE10hipError_tT1_PNSt15iterator_traitsISK_E10value_typeET2_T3_PNSL_ISQ_E10value_typeET4_T5_PSV_SW_PNS1_23onesweep_lookback_stateEbbT6_jjT7_P12ihipStream_tbENKUlT_T0_SK_SP_E_clIPiSE_SF_SF_EEDaS13_S14_SK_SP_EUlS13_E_NS1_11comp_targetILNS1_3genE0ELNS1_11target_archE4294967295ELNS1_3gpuE0ELNS1_3repE0EEENS1_47radix_sort_onesweep_sort_config_static_selectorELNS0_4arch9wavefront6targetE1EEEvSK_
; %bb.0:
	.section	.rodata,"a",@progbits
	.p2align	6, 0x0
	.amdhsa_kernel _ZN7rocprim17ROCPRIM_400000_NS6detail17trampoline_kernelINS0_14default_configENS1_35radix_sort_onesweep_config_selectorIiNS0_10empty_typeEEEZZNS1_29radix_sort_onesweep_iterationIS3_Lb0EN6thrust23THRUST_200600_302600_NS6detail15normal_iteratorINS9_10device_ptrIiEEEESE_PS5_SF_jNS0_19identity_decomposerENS1_16block_id_wrapperIjLb0EEEEE10hipError_tT1_PNSt15iterator_traitsISK_E10value_typeET2_T3_PNSL_ISQ_E10value_typeET4_T5_PSV_SW_PNS1_23onesweep_lookback_stateEbbT6_jjT7_P12ihipStream_tbENKUlT_T0_SK_SP_E_clIPiSE_SF_SF_EEDaS13_S14_SK_SP_EUlS13_E_NS1_11comp_targetILNS1_3genE0ELNS1_11target_archE4294967295ELNS1_3gpuE0ELNS1_3repE0EEENS1_47radix_sort_onesweep_sort_config_static_selectorELNS0_4arch9wavefront6targetE1EEEvSK_
		.amdhsa_group_segment_fixed_size 0
		.amdhsa_private_segment_fixed_size 0
		.amdhsa_kernarg_size 88
		.amdhsa_user_sgpr_count 6
		.amdhsa_user_sgpr_private_segment_buffer 1
		.amdhsa_user_sgpr_dispatch_ptr 0
		.amdhsa_user_sgpr_queue_ptr 0
		.amdhsa_user_sgpr_kernarg_segment_ptr 1
		.amdhsa_user_sgpr_dispatch_id 0
		.amdhsa_user_sgpr_flat_scratch_init 0
		.amdhsa_user_sgpr_kernarg_preload_length 0
		.amdhsa_user_sgpr_kernarg_preload_offset 0
		.amdhsa_user_sgpr_private_segment_size 0
		.amdhsa_uses_dynamic_stack 0
		.amdhsa_system_sgpr_private_segment_wavefront_offset 0
		.amdhsa_system_sgpr_workgroup_id_x 1
		.amdhsa_system_sgpr_workgroup_id_y 0
		.amdhsa_system_sgpr_workgroup_id_z 0
		.amdhsa_system_sgpr_workgroup_info 0
		.amdhsa_system_vgpr_workitem_id 0
		.amdhsa_next_free_vgpr 1
		.amdhsa_next_free_sgpr 0
		.amdhsa_accum_offset 4
		.amdhsa_reserve_vcc 0
		.amdhsa_reserve_flat_scratch 0
		.amdhsa_float_round_mode_32 0
		.amdhsa_float_round_mode_16_64 0
		.amdhsa_float_denorm_mode_32 3
		.amdhsa_float_denorm_mode_16_64 3
		.amdhsa_dx10_clamp 1
		.amdhsa_ieee_mode 1
		.amdhsa_fp16_overflow 0
		.amdhsa_tg_split 0
		.amdhsa_exception_fp_ieee_invalid_op 0
		.amdhsa_exception_fp_denorm_src 0
		.amdhsa_exception_fp_ieee_div_zero 0
		.amdhsa_exception_fp_ieee_overflow 0
		.amdhsa_exception_fp_ieee_underflow 0
		.amdhsa_exception_fp_ieee_inexact 0
		.amdhsa_exception_int_div_zero 0
	.end_amdhsa_kernel
	.section	.text._ZN7rocprim17ROCPRIM_400000_NS6detail17trampoline_kernelINS0_14default_configENS1_35radix_sort_onesweep_config_selectorIiNS0_10empty_typeEEEZZNS1_29radix_sort_onesweep_iterationIS3_Lb0EN6thrust23THRUST_200600_302600_NS6detail15normal_iteratorINS9_10device_ptrIiEEEESE_PS5_SF_jNS0_19identity_decomposerENS1_16block_id_wrapperIjLb0EEEEE10hipError_tT1_PNSt15iterator_traitsISK_E10value_typeET2_T3_PNSL_ISQ_E10value_typeET4_T5_PSV_SW_PNS1_23onesweep_lookback_stateEbbT6_jjT7_P12ihipStream_tbENKUlT_T0_SK_SP_E_clIPiSE_SF_SF_EEDaS13_S14_SK_SP_EUlS13_E_NS1_11comp_targetILNS1_3genE0ELNS1_11target_archE4294967295ELNS1_3gpuE0ELNS1_3repE0EEENS1_47radix_sort_onesweep_sort_config_static_selectorELNS0_4arch9wavefront6targetE1EEEvSK_,"axG",@progbits,_ZN7rocprim17ROCPRIM_400000_NS6detail17trampoline_kernelINS0_14default_configENS1_35radix_sort_onesweep_config_selectorIiNS0_10empty_typeEEEZZNS1_29radix_sort_onesweep_iterationIS3_Lb0EN6thrust23THRUST_200600_302600_NS6detail15normal_iteratorINS9_10device_ptrIiEEEESE_PS5_SF_jNS0_19identity_decomposerENS1_16block_id_wrapperIjLb0EEEEE10hipError_tT1_PNSt15iterator_traitsISK_E10value_typeET2_T3_PNSL_ISQ_E10value_typeET4_T5_PSV_SW_PNS1_23onesweep_lookback_stateEbbT6_jjT7_P12ihipStream_tbENKUlT_T0_SK_SP_E_clIPiSE_SF_SF_EEDaS13_S14_SK_SP_EUlS13_E_NS1_11comp_targetILNS1_3genE0ELNS1_11target_archE4294967295ELNS1_3gpuE0ELNS1_3repE0EEENS1_47radix_sort_onesweep_sort_config_static_selectorELNS0_4arch9wavefront6targetE1EEEvSK_,comdat
.Lfunc_end1791:
	.size	_ZN7rocprim17ROCPRIM_400000_NS6detail17trampoline_kernelINS0_14default_configENS1_35radix_sort_onesweep_config_selectorIiNS0_10empty_typeEEEZZNS1_29radix_sort_onesweep_iterationIS3_Lb0EN6thrust23THRUST_200600_302600_NS6detail15normal_iteratorINS9_10device_ptrIiEEEESE_PS5_SF_jNS0_19identity_decomposerENS1_16block_id_wrapperIjLb0EEEEE10hipError_tT1_PNSt15iterator_traitsISK_E10value_typeET2_T3_PNSL_ISQ_E10value_typeET4_T5_PSV_SW_PNS1_23onesweep_lookback_stateEbbT6_jjT7_P12ihipStream_tbENKUlT_T0_SK_SP_E_clIPiSE_SF_SF_EEDaS13_S14_SK_SP_EUlS13_E_NS1_11comp_targetILNS1_3genE0ELNS1_11target_archE4294967295ELNS1_3gpuE0ELNS1_3repE0EEENS1_47radix_sort_onesweep_sort_config_static_selectorELNS0_4arch9wavefront6targetE1EEEvSK_, .Lfunc_end1791-_ZN7rocprim17ROCPRIM_400000_NS6detail17trampoline_kernelINS0_14default_configENS1_35radix_sort_onesweep_config_selectorIiNS0_10empty_typeEEEZZNS1_29radix_sort_onesweep_iterationIS3_Lb0EN6thrust23THRUST_200600_302600_NS6detail15normal_iteratorINS9_10device_ptrIiEEEESE_PS5_SF_jNS0_19identity_decomposerENS1_16block_id_wrapperIjLb0EEEEE10hipError_tT1_PNSt15iterator_traitsISK_E10value_typeET2_T3_PNSL_ISQ_E10value_typeET4_T5_PSV_SW_PNS1_23onesweep_lookback_stateEbbT6_jjT7_P12ihipStream_tbENKUlT_T0_SK_SP_E_clIPiSE_SF_SF_EEDaS13_S14_SK_SP_EUlS13_E_NS1_11comp_targetILNS1_3genE0ELNS1_11target_archE4294967295ELNS1_3gpuE0ELNS1_3repE0EEENS1_47radix_sort_onesweep_sort_config_static_selectorELNS0_4arch9wavefront6targetE1EEEvSK_
                                        ; -- End function
	.section	.AMDGPU.csdata,"",@progbits
; Kernel info:
; codeLenInByte = 0
; NumSgprs: 4
; NumVgprs: 0
; NumAgprs: 0
; TotalNumVgprs: 0
; ScratchSize: 0
; MemoryBound: 0
; FloatMode: 240
; IeeeMode: 1
; LDSByteSize: 0 bytes/workgroup (compile time only)
; SGPRBlocks: 0
; VGPRBlocks: 0
; NumSGPRsForWavesPerEU: 4
; NumVGPRsForWavesPerEU: 1
; AccumOffset: 4
; Occupancy: 8
; WaveLimiterHint : 0
; COMPUTE_PGM_RSRC2:SCRATCH_EN: 0
; COMPUTE_PGM_RSRC2:USER_SGPR: 6
; COMPUTE_PGM_RSRC2:TRAP_HANDLER: 0
; COMPUTE_PGM_RSRC2:TGID_X_EN: 1
; COMPUTE_PGM_RSRC2:TGID_Y_EN: 0
; COMPUTE_PGM_RSRC2:TGID_Z_EN: 0
; COMPUTE_PGM_RSRC2:TIDIG_COMP_CNT: 0
; COMPUTE_PGM_RSRC3_GFX90A:ACCUM_OFFSET: 0
; COMPUTE_PGM_RSRC3_GFX90A:TG_SPLIT: 0
	.section	.text._ZN7rocprim17ROCPRIM_400000_NS6detail17trampoline_kernelINS0_14default_configENS1_35radix_sort_onesweep_config_selectorIiNS0_10empty_typeEEEZZNS1_29radix_sort_onesweep_iterationIS3_Lb0EN6thrust23THRUST_200600_302600_NS6detail15normal_iteratorINS9_10device_ptrIiEEEESE_PS5_SF_jNS0_19identity_decomposerENS1_16block_id_wrapperIjLb0EEEEE10hipError_tT1_PNSt15iterator_traitsISK_E10value_typeET2_T3_PNSL_ISQ_E10value_typeET4_T5_PSV_SW_PNS1_23onesweep_lookback_stateEbbT6_jjT7_P12ihipStream_tbENKUlT_T0_SK_SP_E_clIPiSE_SF_SF_EEDaS13_S14_SK_SP_EUlS13_E_NS1_11comp_targetILNS1_3genE6ELNS1_11target_archE950ELNS1_3gpuE13ELNS1_3repE0EEENS1_47radix_sort_onesweep_sort_config_static_selectorELNS0_4arch9wavefront6targetE1EEEvSK_,"axG",@progbits,_ZN7rocprim17ROCPRIM_400000_NS6detail17trampoline_kernelINS0_14default_configENS1_35radix_sort_onesweep_config_selectorIiNS0_10empty_typeEEEZZNS1_29radix_sort_onesweep_iterationIS3_Lb0EN6thrust23THRUST_200600_302600_NS6detail15normal_iteratorINS9_10device_ptrIiEEEESE_PS5_SF_jNS0_19identity_decomposerENS1_16block_id_wrapperIjLb0EEEEE10hipError_tT1_PNSt15iterator_traitsISK_E10value_typeET2_T3_PNSL_ISQ_E10value_typeET4_T5_PSV_SW_PNS1_23onesweep_lookback_stateEbbT6_jjT7_P12ihipStream_tbENKUlT_T0_SK_SP_E_clIPiSE_SF_SF_EEDaS13_S14_SK_SP_EUlS13_E_NS1_11comp_targetILNS1_3genE6ELNS1_11target_archE950ELNS1_3gpuE13ELNS1_3repE0EEENS1_47radix_sort_onesweep_sort_config_static_selectorELNS0_4arch9wavefront6targetE1EEEvSK_,comdat
	.protected	_ZN7rocprim17ROCPRIM_400000_NS6detail17trampoline_kernelINS0_14default_configENS1_35radix_sort_onesweep_config_selectorIiNS0_10empty_typeEEEZZNS1_29radix_sort_onesweep_iterationIS3_Lb0EN6thrust23THRUST_200600_302600_NS6detail15normal_iteratorINS9_10device_ptrIiEEEESE_PS5_SF_jNS0_19identity_decomposerENS1_16block_id_wrapperIjLb0EEEEE10hipError_tT1_PNSt15iterator_traitsISK_E10value_typeET2_T3_PNSL_ISQ_E10value_typeET4_T5_PSV_SW_PNS1_23onesweep_lookback_stateEbbT6_jjT7_P12ihipStream_tbENKUlT_T0_SK_SP_E_clIPiSE_SF_SF_EEDaS13_S14_SK_SP_EUlS13_E_NS1_11comp_targetILNS1_3genE6ELNS1_11target_archE950ELNS1_3gpuE13ELNS1_3repE0EEENS1_47radix_sort_onesweep_sort_config_static_selectorELNS0_4arch9wavefront6targetE1EEEvSK_ ; -- Begin function _ZN7rocprim17ROCPRIM_400000_NS6detail17trampoline_kernelINS0_14default_configENS1_35radix_sort_onesweep_config_selectorIiNS0_10empty_typeEEEZZNS1_29radix_sort_onesweep_iterationIS3_Lb0EN6thrust23THRUST_200600_302600_NS6detail15normal_iteratorINS9_10device_ptrIiEEEESE_PS5_SF_jNS0_19identity_decomposerENS1_16block_id_wrapperIjLb0EEEEE10hipError_tT1_PNSt15iterator_traitsISK_E10value_typeET2_T3_PNSL_ISQ_E10value_typeET4_T5_PSV_SW_PNS1_23onesweep_lookback_stateEbbT6_jjT7_P12ihipStream_tbENKUlT_T0_SK_SP_E_clIPiSE_SF_SF_EEDaS13_S14_SK_SP_EUlS13_E_NS1_11comp_targetILNS1_3genE6ELNS1_11target_archE950ELNS1_3gpuE13ELNS1_3repE0EEENS1_47radix_sort_onesweep_sort_config_static_selectorELNS0_4arch9wavefront6targetE1EEEvSK_
	.globl	_ZN7rocprim17ROCPRIM_400000_NS6detail17trampoline_kernelINS0_14default_configENS1_35radix_sort_onesweep_config_selectorIiNS0_10empty_typeEEEZZNS1_29radix_sort_onesweep_iterationIS3_Lb0EN6thrust23THRUST_200600_302600_NS6detail15normal_iteratorINS9_10device_ptrIiEEEESE_PS5_SF_jNS0_19identity_decomposerENS1_16block_id_wrapperIjLb0EEEEE10hipError_tT1_PNSt15iterator_traitsISK_E10value_typeET2_T3_PNSL_ISQ_E10value_typeET4_T5_PSV_SW_PNS1_23onesweep_lookback_stateEbbT6_jjT7_P12ihipStream_tbENKUlT_T0_SK_SP_E_clIPiSE_SF_SF_EEDaS13_S14_SK_SP_EUlS13_E_NS1_11comp_targetILNS1_3genE6ELNS1_11target_archE950ELNS1_3gpuE13ELNS1_3repE0EEENS1_47radix_sort_onesweep_sort_config_static_selectorELNS0_4arch9wavefront6targetE1EEEvSK_
	.p2align	8
	.type	_ZN7rocprim17ROCPRIM_400000_NS6detail17trampoline_kernelINS0_14default_configENS1_35radix_sort_onesweep_config_selectorIiNS0_10empty_typeEEEZZNS1_29radix_sort_onesweep_iterationIS3_Lb0EN6thrust23THRUST_200600_302600_NS6detail15normal_iteratorINS9_10device_ptrIiEEEESE_PS5_SF_jNS0_19identity_decomposerENS1_16block_id_wrapperIjLb0EEEEE10hipError_tT1_PNSt15iterator_traitsISK_E10value_typeET2_T3_PNSL_ISQ_E10value_typeET4_T5_PSV_SW_PNS1_23onesweep_lookback_stateEbbT6_jjT7_P12ihipStream_tbENKUlT_T0_SK_SP_E_clIPiSE_SF_SF_EEDaS13_S14_SK_SP_EUlS13_E_NS1_11comp_targetILNS1_3genE6ELNS1_11target_archE950ELNS1_3gpuE13ELNS1_3repE0EEENS1_47radix_sort_onesweep_sort_config_static_selectorELNS0_4arch9wavefront6targetE1EEEvSK_,@function
_ZN7rocprim17ROCPRIM_400000_NS6detail17trampoline_kernelINS0_14default_configENS1_35radix_sort_onesweep_config_selectorIiNS0_10empty_typeEEEZZNS1_29radix_sort_onesweep_iterationIS3_Lb0EN6thrust23THRUST_200600_302600_NS6detail15normal_iteratorINS9_10device_ptrIiEEEESE_PS5_SF_jNS0_19identity_decomposerENS1_16block_id_wrapperIjLb0EEEEE10hipError_tT1_PNSt15iterator_traitsISK_E10value_typeET2_T3_PNSL_ISQ_E10value_typeET4_T5_PSV_SW_PNS1_23onesweep_lookback_stateEbbT6_jjT7_P12ihipStream_tbENKUlT_T0_SK_SP_E_clIPiSE_SF_SF_EEDaS13_S14_SK_SP_EUlS13_E_NS1_11comp_targetILNS1_3genE6ELNS1_11target_archE950ELNS1_3gpuE13ELNS1_3repE0EEENS1_47radix_sort_onesweep_sort_config_static_selectorELNS0_4arch9wavefront6targetE1EEEvSK_: ; @_ZN7rocprim17ROCPRIM_400000_NS6detail17trampoline_kernelINS0_14default_configENS1_35radix_sort_onesweep_config_selectorIiNS0_10empty_typeEEEZZNS1_29radix_sort_onesweep_iterationIS3_Lb0EN6thrust23THRUST_200600_302600_NS6detail15normal_iteratorINS9_10device_ptrIiEEEESE_PS5_SF_jNS0_19identity_decomposerENS1_16block_id_wrapperIjLb0EEEEE10hipError_tT1_PNSt15iterator_traitsISK_E10value_typeET2_T3_PNSL_ISQ_E10value_typeET4_T5_PSV_SW_PNS1_23onesweep_lookback_stateEbbT6_jjT7_P12ihipStream_tbENKUlT_T0_SK_SP_E_clIPiSE_SF_SF_EEDaS13_S14_SK_SP_EUlS13_E_NS1_11comp_targetILNS1_3genE6ELNS1_11target_archE950ELNS1_3gpuE13ELNS1_3repE0EEENS1_47radix_sort_onesweep_sort_config_static_selectorELNS0_4arch9wavefront6targetE1EEEvSK_
; %bb.0:
	.section	.rodata,"a",@progbits
	.p2align	6, 0x0
	.amdhsa_kernel _ZN7rocprim17ROCPRIM_400000_NS6detail17trampoline_kernelINS0_14default_configENS1_35radix_sort_onesweep_config_selectorIiNS0_10empty_typeEEEZZNS1_29radix_sort_onesweep_iterationIS3_Lb0EN6thrust23THRUST_200600_302600_NS6detail15normal_iteratorINS9_10device_ptrIiEEEESE_PS5_SF_jNS0_19identity_decomposerENS1_16block_id_wrapperIjLb0EEEEE10hipError_tT1_PNSt15iterator_traitsISK_E10value_typeET2_T3_PNSL_ISQ_E10value_typeET4_T5_PSV_SW_PNS1_23onesweep_lookback_stateEbbT6_jjT7_P12ihipStream_tbENKUlT_T0_SK_SP_E_clIPiSE_SF_SF_EEDaS13_S14_SK_SP_EUlS13_E_NS1_11comp_targetILNS1_3genE6ELNS1_11target_archE950ELNS1_3gpuE13ELNS1_3repE0EEENS1_47radix_sort_onesweep_sort_config_static_selectorELNS0_4arch9wavefront6targetE1EEEvSK_
		.amdhsa_group_segment_fixed_size 0
		.amdhsa_private_segment_fixed_size 0
		.amdhsa_kernarg_size 88
		.amdhsa_user_sgpr_count 6
		.amdhsa_user_sgpr_private_segment_buffer 1
		.amdhsa_user_sgpr_dispatch_ptr 0
		.amdhsa_user_sgpr_queue_ptr 0
		.amdhsa_user_sgpr_kernarg_segment_ptr 1
		.amdhsa_user_sgpr_dispatch_id 0
		.amdhsa_user_sgpr_flat_scratch_init 0
		.amdhsa_user_sgpr_kernarg_preload_length 0
		.amdhsa_user_sgpr_kernarg_preload_offset 0
		.amdhsa_user_sgpr_private_segment_size 0
		.amdhsa_uses_dynamic_stack 0
		.amdhsa_system_sgpr_private_segment_wavefront_offset 0
		.amdhsa_system_sgpr_workgroup_id_x 1
		.amdhsa_system_sgpr_workgroup_id_y 0
		.amdhsa_system_sgpr_workgroup_id_z 0
		.amdhsa_system_sgpr_workgroup_info 0
		.amdhsa_system_vgpr_workitem_id 0
		.amdhsa_next_free_vgpr 1
		.amdhsa_next_free_sgpr 0
		.amdhsa_accum_offset 4
		.amdhsa_reserve_vcc 0
		.amdhsa_reserve_flat_scratch 0
		.amdhsa_float_round_mode_32 0
		.amdhsa_float_round_mode_16_64 0
		.amdhsa_float_denorm_mode_32 3
		.amdhsa_float_denorm_mode_16_64 3
		.amdhsa_dx10_clamp 1
		.amdhsa_ieee_mode 1
		.amdhsa_fp16_overflow 0
		.amdhsa_tg_split 0
		.amdhsa_exception_fp_ieee_invalid_op 0
		.amdhsa_exception_fp_denorm_src 0
		.amdhsa_exception_fp_ieee_div_zero 0
		.amdhsa_exception_fp_ieee_overflow 0
		.amdhsa_exception_fp_ieee_underflow 0
		.amdhsa_exception_fp_ieee_inexact 0
		.amdhsa_exception_int_div_zero 0
	.end_amdhsa_kernel
	.section	.text._ZN7rocprim17ROCPRIM_400000_NS6detail17trampoline_kernelINS0_14default_configENS1_35radix_sort_onesweep_config_selectorIiNS0_10empty_typeEEEZZNS1_29radix_sort_onesweep_iterationIS3_Lb0EN6thrust23THRUST_200600_302600_NS6detail15normal_iteratorINS9_10device_ptrIiEEEESE_PS5_SF_jNS0_19identity_decomposerENS1_16block_id_wrapperIjLb0EEEEE10hipError_tT1_PNSt15iterator_traitsISK_E10value_typeET2_T3_PNSL_ISQ_E10value_typeET4_T5_PSV_SW_PNS1_23onesweep_lookback_stateEbbT6_jjT7_P12ihipStream_tbENKUlT_T0_SK_SP_E_clIPiSE_SF_SF_EEDaS13_S14_SK_SP_EUlS13_E_NS1_11comp_targetILNS1_3genE6ELNS1_11target_archE950ELNS1_3gpuE13ELNS1_3repE0EEENS1_47radix_sort_onesweep_sort_config_static_selectorELNS0_4arch9wavefront6targetE1EEEvSK_,"axG",@progbits,_ZN7rocprim17ROCPRIM_400000_NS6detail17trampoline_kernelINS0_14default_configENS1_35radix_sort_onesweep_config_selectorIiNS0_10empty_typeEEEZZNS1_29radix_sort_onesweep_iterationIS3_Lb0EN6thrust23THRUST_200600_302600_NS6detail15normal_iteratorINS9_10device_ptrIiEEEESE_PS5_SF_jNS0_19identity_decomposerENS1_16block_id_wrapperIjLb0EEEEE10hipError_tT1_PNSt15iterator_traitsISK_E10value_typeET2_T3_PNSL_ISQ_E10value_typeET4_T5_PSV_SW_PNS1_23onesweep_lookback_stateEbbT6_jjT7_P12ihipStream_tbENKUlT_T0_SK_SP_E_clIPiSE_SF_SF_EEDaS13_S14_SK_SP_EUlS13_E_NS1_11comp_targetILNS1_3genE6ELNS1_11target_archE950ELNS1_3gpuE13ELNS1_3repE0EEENS1_47radix_sort_onesweep_sort_config_static_selectorELNS0_4arch9wavefront6targetE1EEEvSK_,comdat
.Lfunc_end1792:
	.size	_ZN7rocprim17ROCPRIM_400000_NS6detail17trampoline_kernelINS0_14default_configENS1_35radix_sort_onesweep_config_selectorIiNS0_10empty_typeEEEZZNS1_29radix_sort_onesweep_iterationIS3_Lb0EN6thrust23THRUST_200600_302600_NS6detail15normal_iteratorINS9_10device_ptrIiEEEESE_PS5_SF_jNS0_19identity_decomposerENS1_16block_id_wrapperIjLb0EEEEE10hipError_tT1_PNSt15iterator_traitsISK_E10value_typeET2_T3_PNSL_ISQ_E10value_typeET4_T5_PSV_SW_PNS1_23onesweep_lookback_stateEbbT6_jjT7_P12ihipStream_tbENKUlT_T0_SK_SP_E_clIPiSE_SF_SF_EEDaS13_S14_SK_SP_EUlS13_E_NS1_11comp_targetILNS1_3genE6ELNS1_11target_archE950ELNS1_3gpuE13ELNS1_3repE0EEENS1_47radix_sort_onesweep_sort_config_static_selectorELNS0_4arch9wavefront6targetE1EEEvSK_, .Lfunc_end1792-_ZN7rocprim17ROCPRIM_400000_NS6detail17trampoline_kernelINS0_14default_configENS1_35radix_sort_onesweep_config_selectorIiNS0_10empty_typeEEEZZNS1_29radix_sort_onesweep_iterationIS3_Lb0EN6thrust23THRUST_200600_302600_NS6detail15normal_iteratorINS9_10device_ptrIiEEEESE_PS5_SF_jNS0_19identity_decomposerENS1_16block_id_wrapperIjLb0EEEEE10hipError_tT1_PNSt15iterator_traitsISK_E10value_typeET2_T3_PNSL_ISQ_E10value_typeET4_T5_PSV_SW_PNS1_23onesweep_lookback_stateEbbT6_jjT7_P12ihipStream_tbENKUlT_T0_SK_SP_E_clIPiSE_SF_SF_EEDaS13_S14_SK_SP_EUlS13_E_NS1_11comp_targetILNS1_3genE6ELNS1_11target_archE950ELNS1_3gpuE13ELNS1_3repE0EEENS1_47radix_sort_onesweep_sort_config_static_selectorELNS0_4arch9wavefront6targetE1EEEvSK_
                                        ; -- End function
	.section	.AMDGPU.csdata,"",@progbits
; Kernel info:
; codeLenInByte = 0
; NumSgprs: 4
; NumVgprs: 0
; NumAgprs: 0
; TotalNumVgprs: 0
; ScratchSize: 0
; MemoryBound: 0
; FloatMode: 240
; IeeeMode: 1
; LDSByteSize: 0 bytes/workgroup (compile time only)
; SGPRBlocks: 0
; VGPRBlocks: 0
; NumSGPRsForWavesPerEU: 4
; NumVGPRsForWavesPerEU: 1
; AccumOffset: 4
; Occupancy: 8
; WaveLimiterHint : 0
; COMPUTE_PGM_RSRC2:SCRATCH_EN: 0
; COMPUTE_PGM_RSRC2:USER_SGPR: 6
; COMPUTE_PGM_RSRC2:TRAP_HANDLER: 0
; COMPUTE_PGM_RSRC2:TGID_X_EN: 1
; COMPUTE_PGM_RSRC2:TGID_Y_EN: 0
; COMPUTE_PGM_RSRC2:TGID_Z_EN: 0
; COMPUTE_PGM_RSRC2:TIDIG_COMP_CNT: 0
; COMPUTE_PGM_RSRC3_GFX90A:ACCUM_OFFSET: 0
; COMPUTE_PGM_RSRC3_GFX90A:TG_SPLIT: 0
	.section	.text._ZN7rocprim17ROCPRIM_400000_NS6detail17trampoline_kernelINS0_14default_configENS1_35radix_sort_onesweep_config_selectorIiNS0_10empty_typeEEEZZNS1_29radix_sort_onesweep_iterationIS3_Lb0EN6thrust23THRUST_200600_302600_NS6detail15normal_iteratorINS9_10device_ptrIiEEEESE_PS5_SF_jNS0_19identity_decomposerENS1_16block_id_wrapperIjLb0EEEEE10hipError_tT1_PNSt15iterator_traitsISK_E10value_typeET2_T3_PNSL_ISQ_E10value_typeET4_T5_PSV_SW_PNS1_23onesweep_lookback_stateEbbT6_jjT7_P12ihipStream_tbENKUlT_T0_SK_SP_E_clIPiSE_SF_SF_EEDaS13_S14_SK_SP_EUlS13_E_NS1_11comp_targetILNS1_3genE5ELNS1_11target_archE942ELNS1_3gpuE9ELNS1_3repE0EEENS1_47radix_sort_onesweep_sort_config_static_selectorELNS0_4arch9wavefront6targetE1EEEvSK_,"axG",@progbits,_ZN7rocprim17ROCPRIM_400000_NS6detail17trampoline_kernelINS0_14default_configENS1_35radix_sort_onesweep_config_selectorIiNS0_10empty_typeEEEZZNS1_29radix_sort_onesweep_iterationIS3_Lb0EN6thrust23THRUST_200600_302600_NS6detail15normal_iteratorINS9_10device_ptrIiEEEESE_PS5_SF_jNS0_19identity_decomposerENS1_16block_id_wrapperIjLb0EEEEE10hipError_tT1_PNSt15iterator_traitsISK_E10value_typeET2_T3_PNSL_ISQ_E10value_typeET4_T5_PSV_SW_PNS1_23onesweep_lookback_stateEbbT6_jjT7_P12ihipStream_tbENKUlT_T0_SK_SP_E_clIPiSE_SF_SF_EEDaS13_S14_SK_SP_EUlS13_E_NS1_11comp_targetILNS1_3genE5ELNS1_11target_archE942ELNS1_3gpuE9ELNS1_3repE0EEENS1_47radix_sort_onesweep_sort_config_static_selectorELNS0_4arch9wavefront6targetE1EEEvSK_,comdat
	.protected	_ZN7rocprim17ROCPRIM_400000_NS6detail17trampoline_kernelINS0_14default_configENS1_35radix_sort_onesweep_config_selectorIiNS0_10empty_typeEEEZZNS1_29radix_sort_onesweep_iterationIS3_Lb0EN6thrust23THRUST_200600_302600_NS6detail15normal_iteratorINS9_10device_ptrIiEEEESE_PS5_SF_jNS0_19identity_decomposerENS1_16block_id_wrapperIjLb0EEEEE10hipError_tT1_PNSt15iterator_traitsISK_E10value_typeET2_T3_PNSL_ISQ_E10value_typeET4_T5_PSV_SW_PNS1_23onesweep_lookback_stateEbbT6_jjT7_P12ihipStream_tbENKUlT_T0_SK_SP_E_clIPiSE_SF_SF_EEDaS13_S14_SK_SP_EUlS13_E_NS1_11comp_targetILNS1_3genE5ELNS1_11target_archE942ELNS1_3gpuE9ELNS1_3repE0EEENS1_47radix_sort_onesweep_sort_config_static_selectorELNS0_4arch9wavefront6targetE1EEEvSK_ ; -- Begin function _ZN7rocprim17ROCPRIM_400000_NS6detail17trampoline_kernelINS0_14default_configENS1_35radix_sort_onesweep_config_selectorIiNS0_10empty_typeEEEZZNS1_29radix_sort_onesweep_iterationIS3_Lb0EN6thrust23THRUST_200600_302600_NS6detail15normal_iteratorINS9_10device_ptrIiEEEESE_PS5_SF_jNS0_19identity_decomposerENS1_16block_id_wrapperIjLb0EEEEE10hipError_tT1_PNSt15iterator_traitsISK_E10value_typeET2_T3_PNSL_ISQ_E10value_typeET4_T5_PSV_SW_PNS1_23onesweep_lookback_stateEbbT6_jjT7_P12ihipStream_tbENKUlT_T0_SK_SP_E_clIPiSE_SF_SF_EEDaS13_S14_SK_SP_EUlS13_E_NS1_11comp_targetILNS1_3genE5ELNS1_11target_archE942ELNS1_3gpuE9ELNS1_3repE0EEENS1_47radix_sort_onesweep_sort_config_static_selectorELNS0_4arch9wavefront6targetE1EEEvSK_
	.globl	_ZN7rocprim17ROCPRIM_400000_NS6detail17trampoline_kernelINS0_14default_configENS1_35radix_sort_onesweep_config_selectorIiNS0_10empty_typeEEEZZNS1_29radix_sort_onesweep_iterationIS3_Lb0EN6thrust23THRUST_200600_302600_NS6detail15normal_iteratorINS9_10device_ptrIiEEEESE_PS5_SF_jNS0_19identity_decomposerENS1_16block_id_wrapperIjLb0EEEEE10hipError_tT1_PNSt15iterator_traitsISK_E10value_typeET2_T3_PNSL_ISQ_E10value_typeET4_T5_PSV_SW_PNS1_23onesweep_lookback_stateEbbT6_jjT7_P12ihipStream_tbENKUlT_T0_SK_SP_E_clIPiSE_SF_SF_EEDaS13_S14_SK_SP_EUlS13_E_NS1_11comp_targetILNS1_3genE5ELNS1_11target_archE942ELNS1_3gpuE9ELNS1_3repE0EEENS1_47radix_sort_onesweep_sort_config_static_selectorELNS0_4arch9wavefront6targetE1EEEvSK_
	.p2align	8
	.type	_ZN7rocprim17ROCPRIM_400000_NS6detail17trampoline_kernelINS0_14default_configENS1_35radix_sort_onesweep_config_selectorIiNS0_10empty_typeEEEZZNS1_29radix_sort_onesweep_iterationIS3_Lb0EN6thrust23THRUST_200600_302600_NS6detail15normal_iteratorINS9_10device_ptrIiEEEESE_PS5_SF_jNS0_19identity_decomposerENS1_16block_id_wrapperIjLb0EEEEE10hipError_tT1_PNSt15iterator_traitsISK_E10value_typeET2_T3_PNSL_ISQ_E10value_typeET4_T5_PSV_SW_PNS1_23onesweep_lookback_stateEbbT6_jjT7_P12ihipStream_tbENKUlT_T0_SK_SP_E_clIPiSE_SF_SF_EEDaS13_S14_SK_SP_EUlS13_E_NS1_11comp_targetILNS1_3genE5ELNS1_11target_archE942ELNS1_3gpuE9ELNS1_3repE0EEENS1_47radix_sort_onesweep_sort_config_static_selectorELNS0_4arch9wavefront6targetE1EEEvSK_,@function
_ZN7rocprim17ROCPRIM_400000_NS6detail17trampoline_kernelINS0_14default_configENS1_35radix_sort_onesweep_config_selectorIiNS0_10empty_typeEEEZZNS1_29radix_sort_onesweep_iterationIS3_Lb0EN6thrust23THRUST_200600_302600_NS6detail15normal_iteratorINS9_10device_ptrIiEEEESE_PS5_SF_jNS0_19identity_decomposerENS1_16block_id_wrapperIjLb0EEEEE10hipError_tT1_PNSt15iterator_traitsISK_E10value_typeET2_T3_PNSL_ISQ_E10value_typeET4_T5_PSV_SW_PNS1_23onesweep_lookback_stateEbbT6_jjT7_P12ihipStream_tbENKUlT_T0_SK_SP_E_clIPiSE_SF_SF_EEDaS13_S14_SK_SP_EUlS13_E_NS1_11comp_targetILNS1_3genE5ELNS1_11target_archE942ELNS1_3gpuE9ELNS1_3repE0EEENS1_47radix_sort_onesweep_sort_config_static_selectorELNS0_4arch9wavefront6targetE1EEEvSK_: ; @_ZN7rocprim17ROCPRIM_400000_NS6detail17trampoline_kernelINS0_14default_configENS1_35radix_sort_onesweep_config_selectorIiNS0_10empty_typeEEEZZNS1_29radix_sort_onesweep_iterationIS3_Lb0EN6thrust23THRUST_200600_302600_NS6detail15normal_iteratorINS9_10device_ptrIiEEEESE_PS5_SF_jNS0_19identity_decomposerENS1_16block_id_wrapperIjLb0EEEEE10hipError_tT1_PNSt15iterator_traitsISK_E10value_typeET2_T3_PNSL_ISQ_E10value_typeET4_T5_PSV_SW_PNS1_23onesweep_lookback_stateEbbT6_jjT7_P12ihipStream_tbENKUlT_T0_SK_SP_E_clIPiSE_SF_SF_EEDaS13_S14_SK_SP_EUlS13_E_NS1_11comp_targetILNS1_3genE5ELNS1_11target_archE942ELNS1_3gpuE9ELNS1_3repE0EEENS1_47radix_sort_onesweep_sort_config_static_selectorELNS0_4arch9wavefront6targetE1EEEvSK_
; %bb.0:
	.section	.rodata,"a",@progbits
	.p2align	6, 0x0
	.amdhsa_kernel _ZN7rocprim17ROCPRIM_400000_NS6detail17trampoline_kernelINS0_14default_configENS1_35radix_sort_onesweep_config_selectorIiNS0_10empty_typeEEEZZNS1_29radix_sort_onesweep_iterationIS3_Lb0EN6thrust23THRUST_200600_302600_NS6detail15normal_iteratorINS9_10device_ptrIiEEEESE_PS5_SF_jNS0_19identity_decomposerENS1_16block_id_wrapperIjLb0EEEEE10hipError_tT1_PNSt15iterator_traitsISK_E10value_typeET2_T3_PNSL_ISQ_E10value_typeET4_T5_PSV_SW_PNS1_23onesweep_lookback_stateEbbT6_jjT7_P12ihipStream_tbENKUlT_T0_SK_SP_E_clIPiSE_SF_SF_EEDaS13_S14_SK_SP_EUlS13_E_NS1_11comp_targetILNS1_3genE5ELNS1_11target_archE942ELNS1_3gpuE9ELNS1_3repE0EEENS1_47radix_sort_onesweep_sort_config_static_selectorELNS0_4arch9wavefront6targetE1EEEvSK_
		.amdhsa_group_segment_fixed_size 0
		.amdhsa_private_segment_fixed_size 0
		.amdhsa_kernarg_size 88
		.amdhsa_user_sgpr_count 6
		.amdhsa_user_sgpr_private_segment_buffer 1
		.amdhsa_user_sgpr_dispatch_ptr 0
		.amdhsa_user_sgpr_queue_ptr 0
		.amdhsa_user_sgpr_kernarg_segment_ptr 1
		.amdhsa_user_sgpr_dispatch_id 0
		.amdhsa_user_sgpr_flat_scratch_init 0
		.amdhsa_user_sgpr_kernarg_preload_length 0
		.amdhsa_user_sgpr_kernarg_preload_offset 0
		.amdhsa_user_sgpr_private_segment_size 0
		.amdhsa_uses_dynamic_stack 0
		.amdhsa_system_sgpr_private_segment_wavefront_offset 0
		.amdhsa_system_sgpr_workgroup_id_x 1
		.amdhsa_system_sgpr_workgroup_id_y 0
		.amdhsa_system_sgpr_workgroup_id_z 0
		.amdhsa_system_sgpr_workgroup_info 0
		.amdhsa_system_vgpr_workitem_id 0
		.amdhsa_next_free_vgpr 1
		.amdhsa_next_free_sgpr 0
		.amdhsa_accum_offset 4
		.amdhsa_reserve_vcc 0
		.amdhsa_reserve_flat_scratch 0
		.amdhsa_float_round_mode_32 0
		.amdhsa_float_round_mode_16_64 0
		.amdhsa_float_denorm_mode_32 3
		.amdhsa_float_denorm_mode_16_64 3
		.amdhsa_dx10_clamp 1
		.amdhsa_ieee_mode 1
		.amdhsa_fp16_overflow 0
		.amdhsa_tg_split 0
		.amdhsa_exception_fp_ieee_invalid_op 0
		.amdhsa_exception_fp_denorm_src 0
		.amdhsa_exception_fp_ieee_div_zero 0
		.amdhsa_exception_fp_ieee_overflow 0
		.amdhsa_exception_fp_ieee_underflow 0
		.amdhsa_exception_fp_ieee_inexact 0
		.amdhsa_exception_int_div_zero 0
	.end_amdhsa_kernel
	.section	.text._ZN7rocprim17ROCPRIM_400000_NS6detail17trampoline_kernelINS0_14default_configENS1_35radix_sort_onesweep_config_selectorIiNS0_10empty_typeEEEZZNS1_29radix_sort_onesweep_iterationIS3_Lb0EN6thrust23THRUST_200600_302600_NS6detail15normal_iteratorINS9_10device_ptrIiEEEESE_PS5_SF_jNS0_19identity_decomposerENS1_16block_id_wrapperIjLb0EEEEE10hipError_tT1_PNSt15iterator_traitsISK_E10value_typeET2_T3_PNSL_ISQ_E10value_typeET4_T5_PSV_SW_PNS1_23onesweep_lookback_stateEbbT6_jjT7_P12ihipStream_tbENKUlT_T0_SK_SP_E_clIPiSE_SF_SF_EEDaS13_S14_SK_SP_EUlS13_E_NS1_11comp_targetILNS1_3genE5ELNS1_11target_archE942ELNS1_3gpuE9ELNS1_3repE0EEENS1_47radix_sort_onesweep_sort_config_static_selectorELNS0_4arch9wavefront6targetE1EEEvSK_,"axG",@progbits,_ZN7rocprim17ROCPRIM_400000_NS6detail17trampoline_kernelINS0_14default_configENS1_35radix_sort_onesweep_config_selectorIiNS0_10empty_typeEEEZZNS1_29radix_sort_onesweep_iterationIS3_Lb0EN6thrust23THRUST_200600_302600_NS6detail15normal_iteratorINS9_10device_ptrIiEEEESE_PS5_SF_jNS0_19identity_decomposerENS1_16block_id_wrapperIjLb0EEEEE10hipError_tT1_PNSt15iterator_traitsISK_E10value_typeET2_T3_PNSL_ISQ_E10value_typeET4_T5_PSV_SW_PNS1_23onesweep_lookback_stateEbbT6_jjT7_P12ihipStream_tbENKUlT_T0_SK_SP_E_clIPiSE_SF_SF_EEDaS13_S14_SK_SP_EUlS13_E_NS1_11comp_targetILNS1_3genE5ELNS1_11target_archE942ELNS1_3gpuE9ELNS1_3repE0EEENS1_47radix_sort_onesweep_sort_config_static_selectorELNS0_4arch9wavefront6targetE1EEEvSK_,comdat
.Lfunc_end1793:
	.size	_ZN7rocprim17ROCPRIM_400000_NS6detail17trampoline_kernelINS0_14default_configENS1_35radix_sort_onesweep_config_selectorIiNS0_10empty_typeEEEZZNS1_29radix_sort_onesweep_iterationIS3_Lb0EN6thrust23THRUST_200600_302600_NS6detail15normal_iteratorINS9_10device_ptrIiEEEESE_PS5_SF_jNS0_19identity_decomposerENS1_16block_id_wrapperIjLb0EEEEE10hipError_tT1_PNSt15iterator_traitsISK_E10value_typeET2_T3_PNSL_ISQ_E10value_typeET4_T5_PSV_SW_PNS1_23onesweep_lookback_stateEbbT6_jjT7_P12ihipStream_tbENKUlT_T0_SK_SP_E_clIPiSE_SF_SF_EEDaS13_S14_SK_SP_EUlS13_E_NS1_11comp_targetILNS1_3genE5ELNS1_11target_archE942ELNS1_3gpuE9ELNS1_3repE0EEENS1_47radix_sort_onesweep_sort_config_static_selectorELNS0_4arch9wavefront6targetE1EEEvSK_, .Lfunc_end1793-_ZN7rocprim17ROCPRIM_400000_NS6detail17trampoline_kernelINS0_14default_configENS1_35radix_sort_onesweep_config_selectorIiNS0_10empty_typeEEEZZNS1_29radix_sort_onesweep_iterationIS3_Lb0EN6thrust23THRUST_200600_302600_NS6detail15normal_iteratorINS9_10device_ptrIiEEEESE_PS5_SF_jNS0_19identity_decomposerENS1_16block_id_wrapperIjLb0EEEEE10hipError_tT1_PNSt15iterator_traitsISK_E10value_typeET2_T3_PNSL_ISQ_E10value_typeET4_T5_PSV_SW_PNS1_23onesweep_lookback_stateEbbT6_jjT7_P12ihipStream_tbENKUlT_T0_SK_SP_E_clIPiSE_SF_SF_EEDaS13_S14_SK_SP_EUlS13_E_NS1_11comp_targetILNS1_3genE5ELNS1_11target_archE942ELNS1_3gpuE9ELNS1_3repE0EEENS1_47radix_sort_onesweep_sort_config_static_selectorELNS0_4arch9wavefront6targetE1EEEvSK_
                                        ; -- End function
	.section	.AMDGPU.csdata,"",@progbits
; Kernel info:
; codeLenInByte = 0
; NumSgprs: 4
; NumVgprs: 0
; NumAgprs: 0
; TotalNumVgprs: 0
; ScratchSize: 0
; MemoryBound: 0
; FloatMode: 240
; IeeeMode: 1
; LDSByteSize: 0 bytes/workgroup (compile time only)
; SGPRBlocks: 0
; VGPRBlocks: 0
; NumSGPRsForWavesPerEU: 4
; NumVGPRsForWavesPerEU: 1
; AccumOffset: 4
; Occupancy: 8
; WaveLimiterHint : 0
; COMPUTE_PGM_RSRC2:SCRATCH_EN: 0
; COMPUTE_PGM_RSRC2:USER_SGPR: 6
; COMPUTE_PGM_RSRC2:TRAP_HANDLER: 0
; COMPUTE_PGM_RSRC2:TGID_X_EN: 1
; COMPUTE_PGM_RSRC2:TGID_Y_EN: 0
; COMPUTE_PGM_RSRC2:TGID_Z_EN: 0
; COMPUTE_PGM_RSRC2:TIDIG_COMP_CNT: 0
; COMPUTE_PGM_RSRC3_GFX90A:ACCUM_OFFSET: 0
; COMPUTE_PGM_RSRC3_GFX90A:TG_SPLIT: 0
	.section	.text._ZN7rocprim17ROCPRIM_400000_NS6detail17trampoline_kernelINS0_14default_configENS1_35radix_sort_onesweep_config_selectorIiNS0_10empty_typeEEEZZNS1_29radix_sort_onesweep_iterationIS3_Lb0EN6thrust23THRUST_200600_302600_NS6detail15normal_iteratorINS9_10device_ptrIiEEEESE_PS5_SF_jNS0_19identity_decomposerENS1_16block_id_wrapperIjLb0EEEEE10hipError_tT1_PNSt15iterator_traitsISK_E10value_typeET2_T3_PNSL_ISQ_E10value_typeET4_T5_PSV_SW_PNS1_23onesweep_lookback_stateEbbT6_jjT7_P12ihipStream_tbENKUlT_T0_SK_SP_E_clIPiSE_SF_SF_EEDaS13_S14_SK_SP_EUlS13_E_NS1_11comp_targetILNS1_3genE2ELNS1_11target_archE906ELNS1_3gpuE6ELNS1_3repE0EEENS1_47radix_sort_onesweep_sort_config_static_selectorELNS0_4arch9wavefront6targetE1EEEvSK_,"axG",@progbits,_ZN7rocprim17ROCPRIM_400000_NS6detail17trampoline_kernelINS0_14default_configENS1_35radix_sort_onesweep_config_selectorIiNS0_10empty_typeEEEZZNS1_29radix_sort_onesweep_iterationIS3_Lb0EN6thrust23THRUST_200600_302600_NS6detail15normal_iteratorINS9_10device_ptrIiEEEESE_PS5_SF_jNS0_19identity_decomposerENS1_16block_id_wrapperIjLb0EEEEE10hipError_tT1_PNSt15iterator_traitsISK_E10value_typeET2_T3_PNSL_ISQ_E10value_typeET4_T5_PSV_SW_PNS1_23onesweep_lookback_stateEbbT6_jjT7_P12ihipStream_tbENKUlT_T0_SK_SP_E_clIPiSE_SF_SF_EEDaS13_S14_SK_SP_EUlS13_E_NS1_11comp_targetILNS1_3genE2ELNS1_11target_archE906ELNS1_3gpuE6ELNS1_3repE0EEENS1_47radix_sort_onesweep_sort_config_static_selectorELNS0_4arch9wavefront6targetE1EEEvSK_,comdat
	.protected	_ZN7rocprim17ROCPRIM_400000_NS6detail17trampoline_kernelINS0_14default_configENS1_35radix_sort_onesweep_config_selectorIiNS0_10empty_typeEEEZZNS1_29radix_sort_onesweep_iterationIS3_Lb0EN6thrust23THRUST_200600_302600_NS6detail15normal_iteratorINS9_10device_ptrIiEEEESE_PS5_SF_jNS0_19identity_decomposerENS1_16block_id_wrapperIjLb0EEEEE10hipError_tT1_PNSt15iterator_traitsISK_E10value_typeET2_T3_PNSL_ISQ_E10value_typeET4_T5_PSV_SW_PNS1_23onesweep_lookback_stateEbbT6_jjT7_P12ihipStream_tbENKUlT_T0_SK_SP_E_clIPiSE_SF_SF_EEDaS13_S14_SK_SP_EUlS13_E_NS1_11comp_targetILNS1_3genE2ELNS1_11target_archE906ELNS1_3gpuE6ELNS1_3repE0EEENS1_47radix_sort_onesweep_sort_config_static_selectorELNS0_4arch9wavefront6targetE1EEEvSK_ ; -- Begin function _ZN7rocprim17ROCPRIM_400000_NS6detail17trampoline_kernelINS0_14default_configENS1_35radix_sort_onesweep_config_selectorIiNS0_10empty_typeEEEZZNS1_29radix_sort_onesweep_iterationIS3_Lb0EN6thrust23THRUST_200600_302600_NS6detail15normal_iteratorINS9_10device_ptrIiEEEESE_PS5_SF_jNS0_19identity_decomposerENS1_16block_id_wrapperIjLb0EEEEE10hipError_tT1_PNSt15iterator_traitsISK_E10value_typeET2_T3_PNSL_ISQ_E10value_typeET4_T5_PSV_SW_PNS1_23onesweep_lookback_stateEbbT6_jjT7_P12ihipStream_tbENKUlT_T0_SK_SP_E_clIPiSE_SF_SF_EEDaS13_S14_SK_SP_EUlS13_E_NS1_11comp_targetILNS1_3genE2ELNS1_11target_archE906ELNS1_3gpuE6ELNS1_3repE0EEENS1_47radix_sort_onesweep_sort_config_static_selectorELNS0_4arch9wavefront6targetE1EEEvSK_
	.globl	_ZN7rocprim17ROCPRIM_400000_NS6detail17trampoline_kernelINS0_14default_configENS1_35radix_sort_onesweep_config_selectorIiNS0_10empty_typeEEEZZNS1_29radix_sort_onesweep_iterationIS3_Lb0EN6thrust23THRUST_200600_302600_NS6detail15normal_iteratorINS9_10device_ptrIiEEEESE_PS5_SF_jNS0_19identity_decomposerENS1_16block_id_wrapperIjLb0EEEEE10hipError_tT1_PNSt15iterator_traitsISK_E10value_typeET2_T3_PNSL_ISQ_E10value_typeET4_T5_PSV_SW_PNS1_23onesweep_lookback_stateEbbT6_jjT7_P12ihipStream_tbENKUlT_T0_SK_SP_E_clIPiSE_SF_SF_EEDaS13_S14_SK_SP_EUlS13_E_NS1_11comp_targetILNS1_3genE2ELNS1_11target_archE906ELNS1_3gpuE6ELNS1_3repE0EEENS1_47radix_sort_onesweep_sort_config_static_selectorELNS0_4arch9wavefront6targetE1EEEvSK_
	.p2align	8
	.type	_ZN7rocprim17ROCPRIM_400000_NS6detail17trampoline_kernelINS0_14default_configENS1_35radix_sort_onesweep_config_selectorIiNS0_10empty_typeEEEZZNS1_29radix_sort_onesweep_iterationIS3_Lb0EN6thrust23THRUST_200600_302600_NS6detail15normal_iteratorINS9_10device_ptrIiEEEESE_PS5_SF_jNS0_19identity_decomposerENS1_16block_id_wrapperIjLb0EEEEE10hipError_tT1_PNSt15iterator_traitsISK_E10value_typeET2_T3_PNSL_ISQ_E10value_typeET4_T5_PSV_SW_PNS1_23onesweep_lookback_stateEbbT6_jjT7_P12ihipStream_tbENKUlT_T0_SK_SP_E_clIPiSE_SF_SF_EEDaS13_S14_SK_SP_EUlS13_E_NS1_11comp_targetILNS1_3genE2ELNS1_11target_archE906ELNS1_3gpuE6ELNS1_3repE0EEENS1_47radix_sort_onesweep_sort_config_static_selectorELNS0_4arch9wavefront6targetE1EEEvSK_,@function
_ZN7rocprim17ROCPRIM_400000_NS6detail17trampoline_kernelINS0_14default_configENS1_35radix_sort_onesweep_config_selectorIiNS0_10empty_typeEEEZZNS1_29radix_sort_onesweep_iterationIS3_Lb0EN6thrust23THRUST_200600_302600_NS6detail15normal_iteratorINS9_10device_ptrIiEEEESE_PS5_SF_jNS0_19identity_decomposerENS1_16block_id_wrapperIjLb0EEEEE10hipError_tT1_PNSt15iterator_traitsISK_E10value_typeET2_T3_PNSL_ISQ_E10value_typeET4_T5_PSV_SW_PNS1_23onesweep_lookback_stateEbbT6_jjT7_P12ihipStream_tbENKUlT_T0_SK_SP_E_clIPiSE_SF_SF_EEDaS13_S14_SK_SP_EUlS13_E_NS1_11comp_targetILNS1_3genE2ELNS1_11target_archE906ELNS1_3gpuE6ELNS1_3repE0EEENS1_47radix_sort_onesweep_sort_config_static_selectorELNS0_4arch9wavefront6targetE1EEEvSK_: ; @_ZN7rocprim17ROCPRIM_400000_NS6detail17trampoline_kernelINS0_14default_configENS1_35radix_sort_onesweep_config_selectorIiNS0_10empty_typeEEEZZNS1_29radix_sort_onesweep_iterationIS3_Lb0EN6thrust23THRUST_200600_302600_NS6detail15normal_iteratorINS9_10device_ptrIiEEEESE_PS5_SF_jNS0_19identity_decomposerENS1_16block_id_wrapperIjLb0EEEEE10hipError_tT1_PNSt15iterator_traitsISK_E10value_typeET2_T3_PNSL_ISQ_E10value_typeET4_T5_PSV_SW_PNS1_23onesweep_lookback_stateEbbT6_jjT7_P12ihipStream_tbENKUlT_T0_SK_SP_E_clIPiSE_SF_SF_EEDaS13_S14_SK_SP_EUlS13_E_NS1_11comp_targetILNS1_3genE2ELNS1_11target_archE906ELNS1_3gpuE6ELNS1_3repE0EEENS1_47radix_sort_onesweep_sort_config_static_selectorELNS0_4arch9wavefront6targetE1EEEvSK_
; %bb.0:
	.section	.rodata,"a",@progbits
	.p2align	6, 0x0
	.amdhsa_kernel _ZN7rocprim17ROCPRIM_400000_NS6detail17trampoline_kernelINS0_14default_configENS1_35radix_sort_onesweep_config_selectorIiNS0_10empty_typeEEEZZNS1_29radix_sort_onesweep_iterationIS3_Lb0EN6thrust23THRUST_200600_302600_NS6detail15normal_iteratorINS9_10device_ptrIiEEEESE_PS5_SF_jNS0_19identity_decomposerENS1_16block_id_wrapperIjLb0EEEEE10hipError_tT1_PNSt15iterator_traitsISK_E10value_typeET2_T3_PNSL_ISQ_E10value_typeET4_T5_PSV_SW_PNS1_23onesweep_lookback_stateEbbT6_jjT7_P12ihipStream_tbENKUlT_T0_SK_SP_E_clIPiSE_SF_SF_EEDaS13_S14_SK_SP_EUlS13_E_NS1_11comp_targetILNS1_3genE2ELNS1_11target_archE906ELNS1_3gpuE6ELNS1_3repE0EEENS1_47radix_sort_onesweep_sort_config_static_selectorELNS0_4arch9wavefront6targetE1EEEvSK_
		.amdhsa_group_segment_fixed_size 0
		.amdhsa_private_segment_fixed_size 0
		.amdhsa_kernarg_size 88
		.amdhsa_user_sgpr_count 6
		.amdhsa_user_sgpr_private_segment_buffer 1
		.amdhsa_user_sgpr_dispatch_ptr 0
		.amdhsa_user_sgpr_queue_ptr 0
		.amdhsa_user_sgpr_kernarg_segment_ptr 1
		.amdhsa_user_sgpr_dispatch_id 0
		.amdhsa_user_sgpr_flat_scratch_init 0
		.amdhsa_user_sgpr_kernarg_preload_length 0
		.amdhsa_user_sgpr_kernarg_preload_offset 0
		.amdhsa_user_sgpr_private_segment_size 0
		.amdhsa_uses_dynamic_stack 0
		.amdhsa_system_sgpr_private_segment_wavefront_offset 0
		.amdhsa_system_sgpr_workgroup_id_x 1
		.amdhsa_system_sgpr_workgroup_id_y 0
		.amdhsa_system_sgpr_workgroup_id_z 0
		.amdhsa_system_sgpr_workgroup_info 0
		.amdhsa_system_vgpr_workitem_id 0
		.amdhsa_next_free_vgpr 1
		.amdhsa_next_free_sgpr 0
		.amdhsa_accum_offset 4
		.amdhsa_reserve_vcc 0
		.amdhsa_reserve_flat_scratch 0
		.amdhsa_float_round_mode_32 0
		.amdhsa_float_round_mode_16_64 0
		.amdhsa_float_denorm_mode_32 3
		.amdhsa_float_denorm_mode_16_64 3
		.amdhsa_dx10_clamp 1
		.amdhsa_ieee_mode 1
		.amdhsa_fp16_overflow 0
		.amdhsa_tg_split 0
		.amdhsa_exception_fp_ieee_invalid_op 0
		.amdhsa_exception_fp_denorm_src 0
		.amdhsa_exception_fp_ieee_div_zero 0
		.amdhsa_exception_fp_ieee_overflow 0
		.amdhsa_exception_fp_ieee_underflow 0
		.amdhsa_exception_fp_ieee_inexact 0
		.amdhsa_exception_int_div_zero 0
	.end_amdhsa_kernel
	.section	.text._ZN7rocprim17ROCPRIM_400000_NS6detail17trampoline_kernelINS0_14default_configENS1_35radix_sort_onesweep_config_selectorIiNS0_10empty_typeEEEZZNS1_29radix_sort_onesweep_iterationIS3_Lb0EN6thrust23THRUST_200600_302600_NS6detail15normal_iteratorINS9_10device_ptrIiEEEESE_PS5_SF_jNS0_19identity_decomposerENS1_16block_id_wrapperIjLb0EEEEE10hipError_tT1_PNSt15iterator_traitsISK_E10value_typeET2_T3_PNSL_ISQ_E10value_typeET4_T5_PSV_SW_PNS1_23onesweep_lookback_stateEbbT6_jjT7_P12ihipStream_tbENKUlT_T0_SK_SP_E_clIPiSE_SF_SF_EEDaS13_S14_SK_SP_EUlS13_E_NS1_11comp_targetILNS1_3genE2ELNS1_11target_archE906ELNS1_3gpuE6ELNS1_3repE0EEENS1_47radix_sort_onesweep_sort_config_static_selectorELNS0_4arch9wavefront6targetE1EEEvSK_,"axG",@progbits,_ZN7rocprim17ROCPRIM_400000_NS6detail17trampoline_kernelINS0_14default_configENS1_35radix_sort_onesweep_config_selectorIiNS0_10empty_typeEEEZZNS1_29radix_sort_onesweep_iterationIS3_Lb0EN6thrust23THRUST_200600_302600_NS6detail15normal_iteratorINS9_10device_ptrIiEEEESE_PS5_SF_jNS0_19identity_decomposerENS1_16block_id_wrapperIjLb0EEEEE10hipError_tT1_PNSt15iterator_traitsISK_E10value_typeET2_T3_PNSL_ISQ_E10value_typeET4_T5_PSV_SW_PNS1_23onesweep_lookback_stateEbbT6_jjT7_P12ihipStream_tbENKUlT_T0_SK_SP_E_clIPiSE_SF_SF_EEDaS13_S14_SK_SP_EUlS13_E_NS1_11comp_targetILNS1_3genE2ELNS1_11target_archE906ELNS1_3gpuE6ELNS1_3repE0EEENS1_47radix_sort_onesweep_sort_config_static_selectorELNS0_4arch9wavefront6targetE1EEEvSK_,comdat
.Lfunc_end1794:
	.size	_ZN7rocprim17ROCPRIM_400000_NS6detail17trampoline_kernelINS0_14default_configENS1_35radix_sort_onesweep_config_selectorIiNS0_10empty_typeEEEZZNS1_29radix_sort_onesweep_iterationIS3_Lb0EN6thrust23THRUST_200600_302600_NS6detail15normal_iteratorINS9_10device_ptrIiEEEESE_PS5_SF_jNS0_19identity_decomposerENS1_16block_id_wrapperIjLb0EEEEE10hipError_tT1_PNSt15iterator_traitsISK_E10value_typeET2_T3_PNSL_ISQ_E10value_typeET4_T5_PSV_SW_PNS1_23onesweep_lookback_stateEbbT6_jjT7_P12ihipStream_tbENKUlT_T0_SK_SP_E_clIPiSE_SF_SF_EEDaS13_S14_SK_SP_EUlS13_E_NS1_11comp_targetILNS1_3genE2ELNS1_11target_archE906ELNS1_3gpuE6ELNS1_3repE0EEENS1_47radix_sort_onesweep_sort_config_static_selectorELNS0_4arch9wavefront6targetE1EEEvSK_, .Lfunc_end1794-_ZN7rocprim17ROCPRIM_400000_NS6detail17trampoline_kernelINS0_14default_configENS1_35radix_sort_onesweep_config_selectorIiNS0_10empty_typeEEEZZNS1_29radix_sort_onesweep_iterationIS3_Lb0EN6thrust23THRUST_200600_302600_NS6detail15normal_iteratorINS9_10device_ptrIiEEEESE_PS5_SF_jNS0_19identity_decomposerENS1_16block_id_wrapperIjLb0EEEEE10hipError_tT1_PNSt15iterator_traitsISK_E10value_typeET2_T3_PNSL_ISQ_E10value_typeET4_T5_PSV_SW_PNS1_23onesweep_lookback_stateEbbT6_jjT7_P12ihipStream_tbENKUlT_T0_SK_SP_E_clIPiSE_SF_SF_EEDaS13_S14_SK_SP_EUlS13_E_NS1_11comp_targetILNS1_3genE2ELNS1_11target_archE906ELNS1_3gpuE6ELNS1_3repE0EEENS1_47radix_sort_onesweep_sort_config_static_selectorELNS0_4arch9wavefront6targetE1EEEvSK_
                                        ; -- End function
	.section	.AMDGPU.csdata,"",@progbits
; Kernel info:
; codeLenInByte = 0
; NumSgprs: 4
; NumVgprs: 0
; NumAgprs: 0
; TotalNumVgprs: 0
; ScratchSize: 0
; MemoryBound: 0
; FloatMode: 240
; IeeeMode: 1
; LDSByteSize: 0 bytes/workgroup (compile time only)
; SGPRBlocks: 0
; VGPRBlocks: 0
; NumSGPRsForWavesPerEU: 4
; NumVGPRsForWavesPerEU: 1
; AccumOffset: 4
; Occupancy: 8
; WaveLimiterHint : 0
; COMPUTE_PGM_RSRC2:SCRATCH_EN: 0
; COMPUTE_PGM_RSRC2:USER_SGPR: 6
; COMPUTE_PGM_RSRC2:TRAP_HANDLER: 0
; COMPUTE_PGM_RSRC2:TGID_X_EN: 1
; COMPUTE_PGM_RSRC2:TGID_Y_EN: 0
; COMPUTE_PGM_RSRC2:TGID_Z_EN: 0
; COMPUTE_PGM_RSRC2:TIDIG_COMP_CNT: 0
; COMPUTE_PGM_RSRC3_GFX90A:ACCUM_OFFSET: 0
; COMPUTE_PGM_RSRC3_GFX90A:TG_SPLIT: 0
	.section	.text._ZN7rocprim17ROCPRIM_400000_NS6detail17trampoline_kernelINS0_14default_configENS1_35radix_sort_onesweep_config_selectorIiNS0_10empty_typeEEEZZNS1_29radix_sort_onesweep_iterationIS3_Lb0EN6thrust23THRUST_200600_302600_NS6detail15normal_iteratorINS9_10device_ptrIiEEEESE_PS5_SF_jNS0_19identity_decomposerENS1_16block_id_wrapperIjLb0EEEEE10hipError_tT1_PNSt15iterator_traitsISK_E10value_typeET2_T3_PNSL_ISQ_E10value_typeET4_T5_PSV_SW_PNS1_23onesweep_lookback_stateEbbT6_jjT7_P12ihipStream_tbENKUlT_T0_SK_SP_E_clIPiSE_SF_SF_EEDaS13_S14_SK_SP_EUlS13_E_NS1_11comp_targetILNS1_3genE4ELNS1_11target_archE910ELNS1_3gpuE8ELNS1_3repE0EEENS1_47radix_sort_onesweep_sort_config_static_selectorELNS0_4arch9wavefront6targetE1EEEvSK_,"axG",@progbits,_ZN7rocprim17ROCPRIM_400000_NS6detail17trampoline_kernelINS0_14default_configENS1_35radix_sort_onesweep_config_selectorIiNS0_10empty_typeEEEZZNS1_29radix_sort_onesweep_iterationIS3_Lb0EN6thrust23THRUST_200600_302600_NS6detail15normal_iteratorINS9_10device_ptrIiEEEESE_PS5_SF_jNS0_19identity_decomposerENS1_16block_id_wrapperIjLb0EEEEE10hipError_tT1_PNSt15iterator_traitsISK_E10value_typeET2_T3_PNSL_ISQ_E10value_typeET4_T5_PSV_SW_PNS1_23onesweep_lookback_stateEbbT6_jjT7_P12ihipStream_tbENKUlT_T0_SK_SP_E_clIPiSE_SF_SF_EEDaS13_S14_SK_SP_EUlS13_E_NS1_11comp_targetILNS1_3genE4ELNS1_11target_archE910ELNS1_3gpuE8ELNS1_3repE0EEENS1_47radix_sort_onesweep_sort_config_static_selectorELNS0_4arch9wavefront6targetE1EEEvSK_,comdat
	.protected	_ZN7rocprim17ROCPRIM_400000_NS6detail17trampoline_kernelINS0_14default_configENS1_35radix_sort_onesweep_config_selectorIiNS0_10empty_typeEEEZZNS1_29radix_sort_onesweep_iterationIS3_Lb0EN6thrust23THRUST_200600_302600_NS6detail15normal_iteratorINS9_10device_ptrIiEEEESE_PS5_SF_jNS0_19identity_decomposerENS1_16block_id_wrapperIjLb0EEEEE10hipError_tT1_PNSt15iterator_traitsISK_E10value_typeET2_T3_PNSL_ISQ_E10value_typeET4_T5_PSV_SW_PNS1_23onesweep_lookback_stateEbbT6_jjT7_P12ihipStream_tbENKUlT_T0_SK_SP_E_clIPiSE_SF_SF_EEDaS13_S14_SK_SP_EUlS13_E_NS1_11comp_targetILNS1_3genE4ELNS1_11target_archE910ELNS1_3gpuE8ELNS1_3repE0EEENS1_47radix_sort_onesweep_sort_config_static_selectorELNS0_4arch9wavefront6targetE1EEEvSK_ ; -- Begin function _ZN7rocprim17ROCPRIM_400000_NS6detail17trampoline_kernelINS0_14default_configENS1_35radix_sort_onesweep_config_selectorIiNS0_10empty_typeEEEZZNS1_29radix_sort_onesweep_iterationIS3_Lb0EN6thrust23THRUST_200600_302600_NS6detail15normal_iteratorINS9_10device_ptrIiEEEESE_PS5_SF_jNS0_19identity_decomposerENS1_16block_id_wrapperIjLb0EEEEE10hipError_tT1_PNSt15iterator_traitsISK_E10value_typeET2_T3_PNSL_ISQ_E10value_typeET4_T5_PSV_SW_PNS1_23onesweep_lookback_stateEbbT6_jjT7_P12ihipStream_tbENKUlT_T0_SK_SP_E_clIPiSE_SF_SF_EEDaS13_S14_SK_SP_EUlS13_E_NS1_11comp_targetILNS1_3genE4ELNS1_11target_archE910ELNS1_3gpuE8ELNS1_3repE0EEENS1_47radix_sort_onesweep_sort_config_static_selectorELNS0_4arch9wavefront6targetE1EEEvSK_
	.globl	_ZN7rocprim17ROCPRIM_400000_NS6detail17trampoline_kernelINS0_14default_configENS1_35radix_sort_onesweep_config_selectorIiNS0_10empty_typeEEEZZNS1_29radix_sort_onesweep_iterationIS3_Lb0EN6thrust23THRUST_200600_302600_NS6detail15normal_iteratorINS9_10device_ptrIiEEEESE_PS5_SF_jNS0_19identity_decomposerENS1_16block_id_wrapperIjLb0EEEEE10hipError_tT1_PNSt15iterator_traitsISK_E10value_typeET2_T3_PNSL_ISQ_E10value_typeET4_T5_PSV_SW_PNS1_23onesweep_lookback_stateEbbT6_jjT7_P12ihipStream_tbENKUlT_T0_SK_SP_E_clIPiSE_SF_SF_EEDaS13_S14_SK_SP_EUlS13_E_NS1_11comp_targetILNS1_3genE4ELNS1_11target_archE910ELNS1_3gpuE8ELNS1_3repE0EEENS1_47radix_sort_onesweep_sort_config_static_selectorELNS0_4arch9wavefront6targetE1EEEvSK_
	.p2align	8
	.type	_ZN7rocprim17ROCPRIM_400000_NS6detail17trampoline_kernelINS0_14default_configENS1_35radix_sort_onesweep_config_selectorIiNS0_10empty_typeEEEZZNS1_29radix_sort_onesweep_iterationIS3_Lb0EN6thrust23THRUST_200600_302600_NS6detail15normal_iteratorINS9_10device_ptrIiEEEESE_PS5_SF_jNS0_19identity_decomposerENS1_16block_id_wrapperIjLb0EEEEE10hipError_tT1_PNSt15iterator_traitsISK_E10value_typeET2_T3_PNSL_ISQ_E10value_typeET4_T5_PSV_SW_PNS1_23onesweep_lookback_stateEbbT6_jjT7_P12ihipStream_tbENKUlT_T0_SK_SP_E_clIPiSE_SF_SF_EEDaS13_S14_SK_SP_EUlS13_E_NS1_11comp_targetILNS1_3genE4ELNS1_11target_archE910ELNS1_3gpuE8ELNS1_3repE0EEENS1_47radix_sort_onesweep_sort_config_static_selectorELNS0_4arch9wavefront6targetE1EEEvSK_,@function
_ZN7rocprim17ROCPRIM_400000_NS6detail17trampoline_kernelINS0_14default_configENS1_35radix_sort_onesweep_config_selectorIiNS0_10empty_typeEEEZZNS1_29radix_sort_onesweep_iterationIS3_Lb0EN6thrust23THRUST_200600_302600_NS6detail15normal_iteratorINS9_10device_ptrIiEEEESE_PS5_SF_jNS0_19identity_decomposerENS1_16block_id_wrapperIjLb0EEEEE10hipError_tT1_PNSt15iterator_traitsISK_E10value_typeET2_T3_PNSL_ISQ_E10value_typeET4_T5_PSV_SW_PNS1_23onesweep_lookback_stateEbbT6_jjT7_P12ihipStream_tbENKUlT_T0_SK_SP_E_clIPiSE_SF_SF_EEDaS13_S14_SK_SP_EUlS13_E_NS1_11comp_targetILNS1_3genE4ELNS1_11target_archE910ELNS1_3gpuE8ELNS1_3repE0EEENS1_47radix_sort_onesweep_sort_config_static_selectorELNS0_4arch9wavefront6targetE1EEEvSK_: ; @_ZN7rocprim17ROCPRIM_400000_NS6detail17trampoline_kernelINS0_14default_configENS1_35radix_sort_onesweep_config_selectorIiNS0_10empty_typeEEEZZNS1_29radix_sort_onesweep_iterationIS3_Lb0EN6thrust23THRUST_200600_302600_NS6detail15normal_iteratorINS9_10device_ptrIiEEEESE_PS5_SF_jNS0_19identity_decomposerENS1_16block_id_wrapperIjLb0EEEEE10hipError_tT1_PNSt15iterator_traitsISK_E10value_typeET2_T3_PNSL_ISQ_E10value_typeET4_T5_PSV_SW_PNS1_23onesweep_lookback_stateEbbT6_jjT7_P12ihipStream_tbENKUlT_T0_SK_SP_E_clIPiSE_SF_SF_EEDaS13_S14_SK_SP_EUlS13_E_NS1_11comp_targetILNS1_3genE4ELNS1_11target_archE910ELNS1_3gpuE8ELNS1_3repE0EEENS1_47radix_sort_onesweep_sort_config_static_selectorELNS0_4arch9wavefront6targetE1EEEvSK_
; %bb.0:
	s_load_dwordx4 s[16:19], s[4:5], 0x44
	s_load_dwordx2 s[24:25], s[4:5], 0x38
	s_load_dwordx4 s[20:23], s[4:5], 0x0
	s_load_dwordx4 s[12:15], s[4:5], 0x28
	s_mul_i32 s26, s6, 0x3000
	s_waitcnt lgkmcnt(0)
	s_cmp_ge_u32 s6, s18
	v_mbcnt_lo_u32_b32 v1, -1, 0
	s_cbranch_scc0 .LBB1795_79
; %bb.1:
	s_load_dword s7, s[4:5], 0x20
	s_mul_i32 s2, s18, 0xffffd000
	s_mov_b32 s27, 0
	v_and_b32_e32 v2, 0x3ff, v0
	s_lshl_b64 s[0:1], s[26:27], 2
	s_waitcnt lgkmcnt(0)
	s_add_i32 s7, s7, s2
	v_mbcnt_hi_u32_b32 v8, -1, v1
	s_add_u32 s0, s20, s0
	v_and_b32_e32 v3, 63, v8
	v_and_b32_e32 v4, 0x3c0, v2
	s_addc_u32 s1, s21, s1
	v_mul_u32_u24_e32 v6, 12, v4
	v_lshlrev_b32_e32 v4, 2, v3
	v_mov_b32_e32 v5, s1
	v_add_co_u32_e32 v4, vcc, s0, v4
	v_addc_co_u32_e32 v5, vcc, 0, v5, vcc
	v_lshlrev_b32_e32 v7, 2, v6
	v_add_co_u32_e32 v4, vcc, v4, v7
	v_addc_co_u32_e32 v5, vcc, 0, v5, vcc
	v_or_b32_e32 v6, v3, v6
	v_cmp_gt_u32_e32 vcc, s7, v6
	v_bfrev_b32_e32 v10, -2
	v_bfrev_b32_e32 v3, -2
	s_and_saveexec_b64 s[0:1], vcc
	s_cbranch_execz .LBB1795_3
; %bb.2:
	global_load_dword v3, v[4:5], off
.LBB1795_3:
	s_or_b64 exec, exec, s[0:1]
	v_or_b32_e32 v7, 64, v6
	v_cmp_gt_u32_e32 vcc, s7, v7
	s_and_saveexec_b64 s[0:1], vcc
	s_cbranch_execz .LBB1795_5
; %bb.4:
	global_load_dword v10, v[4:5], off offset:256
.LBB1795_5:
	s_or_b64 exec, exec, s[0:1]
	v_or_b32_e32 v7, 0x80, v6
	v_cmp_gt_u32_e32 vcc, s7, v7
	v_bfrev_b32_e32 v14, -2
	v_bfrev_b32_e32 v11, -2
	s_and_saveexec_b64 s[0:1], vcc
	s_cbranch_execz .LBB1795_7
; %bb.6:
	global_load_dword v11, v[4:5], off offset:512
.LBB1795_7:
	s_or_b64 exec, exec, s[0:1]
	v_or_b32_e32 v7, 0xc0, v6
	v_cmp_gt_u32_e32 vcc, s7, v7
	s_and_saveexec_b64 s[0:1], vcc
	s_cbranch_execz .LBB1795_9
; %bb.8:
	global_load_dword v14, v[4:5], off offset:768
.LBB1795_9:
	s_or_b64 exec, exec, s[0:1]
	v_add_u32_e32 v7, 0x100, v6
	v_cmp_gt_u32_e32 vcc, s7, v7
	v_bfrev_b32_e32 v23, -2
	v_bfrev_b32_e32 v17, -2
	s_and_saveexec_b64 s[0:1], vcc
	s_cbranch_execz .LBB1795_11
; %bb.10:
	global_load_dword v17, v[4:5], off offset:1024
.LBB1795_11:
	s_or_b64 exec, exec, s[0:1]
	v_add_u32_e32 v7, 0x140, v6
	v_cmp_gt_u32_e32 vcc, s7, v7
	s_and_saveexec_b64 s[0:1], vcc
	s_cbranch_execz .LBB1795_13
; %bb.12:
	global_load_dword v23, v[4:5], off offset:1280
.LBB1795_13:
	s_or_b64 exec, exec, s[0:1]
	v_add_u32_e32 v7, 0x180, v6
	v_cmp_gt_u32_e32 vcc, s7, v7
	v_bfrev_b32_e32 v34, -2
	v_bfrev_b32_e32 v28, -2
	s_and_saveexec_b64 s[0:1], vcc
	s_cbranch_execz .LBB1795_15
; %bb.14:
	global_load_dword v28, v[4:5], off offset:1536
.LBB1795_15:
	s_or_b64 exec, exec, s[0:1]
	v_add_u32_e32 v7, 0x1c0, v6
	;; [unrolled: 18-line block ×4, first 2 shown]
	v_cmp_gt_u32_e32 vcc, s7, v6
	s_and_saveexec_b64 s[0:1], vcc
	s_cbranch_execz .LBB1795_25
; %bb.24:
	global_load_dword v20, v[4:5], off offset:2816
.LBB1795_25:
	s_or_b64 exec, exec, s[0:1]
	s_load_dword s0, s[4:5], 0x64
	s_load_dword s27, s[4:5], 0x58
	s_add_u32 s1, s4, 0x58
	s_addc_u32 s2, s5, 0
	v_mov_b32_e32 v4, 0
	s_waitcnt lgkmcnt(0)
	s_lshr_b32 s3, s0, 16
	s_cmp_lt_u32 s6, s27
	s_cselect_b32 s0, 12, 18
	s_add_u32 s0, s1, s0
	s_addc_u32 s1, s2, 0
	global_load_ushort v6, v4, s[0:1]
	s_waitcnt vmcnt(1)
	v_xor_b32_e32 v3, 0x80000000, v3
	s_lshl_b32 s0, -1, s17
	v_lshrrev_b32_e32 v12, s16, v3
	s_not_b32 s28, s0
	v_and_b32_e32 v12, s28, v12
	v_and_b32_e32 v15, 1, v12
	v_bfe_u32 v5, v0, 10, 10
	v_bfe_u32 v7, v0, 20, 10
	v_add_co_u32_e32 v16, vcc, -1, v15
	v_mad_u32_u24 v7, v7, s3, v5
	v_lshlrev_b32_e32 v5, 30, v12
	v_addc_co_u32_e64 v18, s[0:1], 0, -1, vcc
	v_cmp_ne_u32_e32 vcc, 0, v15
	v_cmp_gt_i64_e64 s[0:1], 0, v[4:5]
	v_not_b32_e32 v15, v5
	v_lshlrev_b32_e32 v5, 29, v12
	v_xor_b32_e32 v18, vcc_hi, v18
	v_xor_b32_e32 v16, vcc_lo, v16
	v_ashrrev_i32_e32 v15, 31, v15
	v_cmp_gt_i64_e32 vcc, 0, v[4:5]
	v_not_b32_e32 v19, v5
	v_lshlrev_b32_e32 v5, 28, v12
	v_and_b32_e32 v18, exec_hi, v18
	v_and_b32_e32 v16, exec_lo, v16
	v_xor_b32_e32 v21, s1, v15
	v_xor_b32_e32 v15, s0, v15
	v_ashrrev_i32_e32 v19, 31, v19
	v_cmp_gt_i64_e64 s[0:1], 0, v[4:5]
	v_not_b32_e32 v22, v5
	v_lshlrev_b32_e32 v5, 27, v12
	v_and_b32_e32 v18, v18, v21
	v_and_b32_e32 v15, v16, v15
	v_xor_b32_e32 v16, vcc_hi, v19
	v_xor_b32_e32 v19, vcc_lo, v19
	v_ashrrev_i32_e32 v21, 31, v22
	v_cmp_gt_i64_e32 vcc, 0, v[4:5]
	v_not_b32_e32 v22, v5
	v_lshlrev_b32_e32 v5, 26, v12
	v_and_b32_e32 v16, v18, v16
	v_and_b32_e32 v15, v15, v19
	v_xor_b32_e32 v18, s1, v21
	v_xor_b32_e32 v19, s0, v21
	v_ashrrev_i32_e32 v21, 31, v22
	v_cmp_gt_i64_e64 s[0:1], 0, v[4:5]
	v_not_b32_e32 v22, v5
	v_lshlrev_b32_e32 v5, 25, v12
	v_and_b32_e32 v16, v16, v18
	v_and_b32_e32 v15, v15, v19
	v_xor_b32_e32 v18, vcc_hi, v21
	v_xor_b32_e32 v19, vcc_lo, v21
	v_ashrrev_i32_e32 v21, 31, v22
	v_cmp_gt_i64_e32 vcc, 0, v[4:5]
	v_not_b32_e32 v22, v5
	v_lshlrev_b32_e32 v5, 24, v12
	v_lshl_add_u32 v13, v12, 4, v12
	v_and_b32_e32 v12, v16, v18
	v_and_b32_e32 v15, v15, v19
	v_xor_b32_e32 v16, s1, v21
	v_xor_b32_e32 v18, s0, v21
	v_ashrrev_i32_e32 v19, 31, v22
	v_cmp_gt_i64_e64 s[0:1], 0, v[4:5]
	v_not_b32_e32 v5, v5
	v_and_b32_e32 v12, v12, v16
	v_and_b32_e32 v15, v15, v18
	v_xor_b32_e32 v16, vcc_hi, v19
	v_xor_b32_e32 v18, vcc_lo, v19
	v_ashrrev_i32_e32 v5, 31, v5
	v_and_b32_e32 v12, v12, v16
	v_and_b32_e32 v15, v15, v18
	v_mul_u32_u24_e32 v9, 5, v2
	v_lshlrev_b32_e32 v9, 2, v9
	ds_write2_b32 v9, v4, v4 offset0:16 offset1:17
	ds_write2_b32 v9, v4, v4 offset0:18 offset1:19
	ds_write_b32 v9, v4 offset:80
	s_waitcnt lgkmcnt(0)
	s_barrier
	s_waitcnt lgkmcnt(0)
	; wave barrier
	s_waitcnt vmcnt(0)
	v_mad_u64_u32 v[6:7], s[2:3], v7, v6, v[2:3]
	v_lshrrev_b32_e32 v29, 6, v6
	v_xor_b32_e32 v6, s1, v5
	v_xor_b32_e32 v5, s0, v5
	v_and_b32_e32 v7, v12, v6
	v_and_b32_e32 v6, v15, v5
	v_mbcnt_lo_u32_b32 v5, v6, 0
	v_mbcnt_hi_u32_b32 v12, v7, v5
	v_cmp_eq_u32_e32 vcc, 0, v12
	v_cmp_ne_u64_e64 s[0:1], 0, v[6:7]
	v_add_lshl_u32 v18, v29, v13, 2
	s_and_b64 s[2:3], s[0:1], vcc
	s_and_saveexec_b64 s[0:1], s[2:3]
	s_cbranch_execz .LBB1795_27
; %bb.26:
	v_bcnt_u32_b32 v5, v6, 0
	v_bcnt_u32_b32 v5, v7, v5
	ds_write_b32 v18, v5 offset:64
.LBB1795_27:
	s_or_b64 exec, exec, s[0:1]
	v_xor_b32_e32 v10, 0x80000000, v10
	v_lshrrev_b32_e32 v5, s16, v10
	v_and_b32_e32 v6, s28, v5
	v_lshl_add_u32 v5, v6, 4, v6
	v_add_lshl_u32 v19, v29, v5, 2
	v_and_b32_e32 v5, 1, v6
	v_add_co_u32_e32 v7, vcc, -1, v5
	v_addc_co_u32_e64 v15, s[0:1], 0, -1, vcc
	v_cmp_ne_u32_e32 vcc, 0, v5
	v_xor_b32_e32 v5, vcc_hi, v15
	v_and_b32_e32 v15, exec_hi, v5
	v_lshlrev_b32_e32 v5, 30, v6
	v_xor_b32_e32 v7, vcc_lo, v7
	v_cmp_gt_i64_e32 vcc, 0, v[4:5]
	v_not_b32_e32 v5, v5
	v_ashrrev_i32_e32 v5, 31, v5
	v_and_b32_e32 v7, exec_lo, v7
	v_xor_b32_e32 v16, vcc_hi, v5
	v_xor_b32_e32 v5, vcc_lo, v5
	v_and_b32_e32 v7, v7, v5
	v_lshlrev_b32_e32 v5, 29, v6
	v_cmp_gt_i64_e32 vcc, 0, v[4:5]
	v_not_b32_e32 v5, v5
	v_ashrrev_i32_e32 v5, 31, v5
	v_and_b32_e32 v15, v15, v16
	v_xor_b32_e32 v16, vcc_hi, v5
	v_xor_b32_e32 v5, vcc_lo, v5
	v_and_b32_e32 v7, v7, v5
	v_lshlrev_b32_e32 v5, 28, v6
	v_cmp_gt_i64_e32 vcc, 0, v[4:5]
	v_not_b32_e32 v5, v5
	v_ashrrev_i32_e32 v5, 31, v5
	v_and_b32_e32 v15, v15, v16
	;; [unrolled: 8-line block ×5, first 2 shown]
	v_xor_b32_e32 v16, vcc_hi, v5
	v_xor_b32_e32 v5, vcc_lo, v5
	v_and_b32_e32 v7, v7, v5
	v_lshlrev_b32_e32 v5, 24, v6
	v_cmp_gt_i64_e32 vcc, 0, v[4:5]
	v_not_b32_e32 v4, v5
	v_ashrrev_i32_e32 v4, 31, v4
	v_xor_b32_e32 v5, vcc_hi, v4
	v_xor_b32_e32 v4, vcc_lo, v4
	; wave barrier
	ds_read_b32 v13, v19 offset:64
	v_and_b32_e32 v15, v15, v16
	v_and_b32_e32 v4, v7, v4
	;; [unrolled: 1-line block ×3, first 2 shown]
	v_mbcnt_lo_u32_b32 v6, v4, 0
	v_mbcnt_hi_u32_b32 v15, v5, v6
	v_cmp_eq_u32_e32 vcc, 0, v15
	v_cmp_ne_u64_e64 s[0:1], 0, v[4:5]
	s_and_b64 s[2:3], s[0:1], vcc
	; wave barrier
	s_and_saveexec_b64 s[0:1], s[2:3]
	s_cbranch_execz .LBB1795_29
; %bb.28:
	v_bcnt_u32_b32 v4, v4, 0
	v_bcnt_u32_b32 v4, v5, v4
	s_waitcnt lgkmcnt(0)
	v_add_u32_e32 v4, v13, v4
	ds_write_b32 v19, v4 offset:64
.LBB1795_29:
	s_or_b64 exec, exec, s[0:1]
	v_xor_b32_e32 v11, 0x80000000, v11
	v_lshrrev_b32_e32 v4, s16, v11
	v_and_b32_e32 v6, s28, v4
	v_and_b32_e32 v5, 1, v6
	v_add_co_u32_e32 v7, vcc, -1, v5
	v_addc_co_u32_e64 v21, s[0:1], 0, -1, vcc
	v_cmp_ne_u32_e32 vcc, 0, v5
	v_lshl_add_u32 v4, v6, 4, v6
	v_xor_b32_e32 v5, vcc_hi, v21
	v_add_lshl_u32 v24, v29, v4, 2
	v_mov_b32_e32 v4, 0
	v_and_b32_e32 v21, exec_hi, v5
	v_lshlrev_b32_e32 v5, 30, v6
	v_xor_b32_e32 v7, vcc_lo, v7
	v_cmp_gt_i64_e32 vcc, 0, v[4:5]
	v_not_b32_e32 v5, v5
	v_ashrrev_i32_e32 v5, 31, v5
	v_and_b32_e32 v7, exec_lo, v7
	v_xor_b32_e32 v22, vcc_hi, v5
	v_xor_b32_e32 v5, vcc_lo, v5
	v_and_b32_e32 v7, v7, v5
	v_lshlrev_b32_e32 v5, 29, v6
	v_cmp_gt_i64_e32 vcc, 0, v[4:5]
	v_not_b32_e32 v5, v5
	v_ashrrev_i32_e32 v5, 31, v5
	v_and_b32_e32 v21, v21, v22
	v_xor_b32_e32 v22, vcc_hi, v5
	v_xor_b32_e32 v5, vcc_lo, v5
	v_and_b32_e32 v7, v7, v5
	v_lshlrev_b32_e32 v5, 28, v6
	v_cmp_gt_i64_e32 vcc, 0, v[4:5]
	v_not_b32_e32 v5, v5
	v_ashrrev_i32_e32 v5, 31, v5
	v_and_b32_e32 v21, v21, v22
	;; [unrolled: 8-line block ×5, first 2 shown]
	v_xor_b32_e32 v22, vcc_hi, v5
	v_xor_b32_e32 v5, vcc_lo, v5
	v_and_b32_e32 v21, v21, v22
	v_and_b32_e32 v22, v7, v5
	v_lshlrev_b32_e32 v5, 24, v6
	v_cmp_gt_i64_e32 vcc, 0, v[4:5]
	v_not_b32_e32 v5, v5
	v_ashrrev_i32_e32 v5, 31, v5
	v_xor_b32_e32 v6, vcc_hi, v5
	v_xor_b32_e32 v5, vcc_lo, v5
	; wave barrier
	ds_read_b32 v16, v24 offset:64
	v_and_b32_e32 v7, v21, v6
	v_and_b32_e32 v6, v22, v5
	v_mbcnt_lo_u32_b32 v5, v6, 0
	v_mbcnt_hi_u32_b32 v21, v7, v5
	v_cmp_eq_u32_e32 vcc, 0, v21
	v_cmp_ne_u64_e64 s[0:1], 0, v[6:7]
	s_and_b64 s[2:3], s[0:1], vcc
	; wave barrier
	s_and_saveexec_b64 s[0:1], s[2:3]
	s_cbranch_execz .LBB1795_31
; %bb.30:
	v_bcnt_u32_b32 v5, v6, 0
	v_bcnt_u32_b32 v5, v7, v5
	s_waitcnt lgkmcnt(0)
	v_add_u32_e32 v5, v16, v5
	ds_write_b32 v24, v5 offset:64
.LBB1795_31:
	s_or_b64 exec, exec, s[0:1]
	v_xor_b32_e32 v14, 0x80000000, v14
	v_lshrrev_b32_e32 v5, s16, v14
	v_and_b32_e32 v6, s28, v5
	v_lshl_add_u32 v5, v6, 4, v6
	v_add_lshl_u32 v31, v29, v5, 2
	v_and_b32_e32 v5, 1, v6
	v_add_co_u32_e32 v7, vcc, -1, v5
	v_addc_co_u32_e64 v26, s[0:1], 0, -1, vcc
	v_cmp_ne_u32_e32 vcc, 0, v5
	v_xor_b32_e32 v5, vcc_hi, v26
	v_and_b32_e32 v26, exec_hi, v5
	v_lshlrev_b32_e32 v5, 30, v6
	v_xor_b32_e32 v7, vcc_lo, v7
	v_cmp_gt_i64_e32 vcc, 0, v[4:5]
	v_not_b32_e32 v5, v5
	v_ashrrev_i32_e32 v5, 31, v5
	v_and_b32_e32 v7, exec_lo, v7
	v_xor_b32_e32 v27, vcc_hi, v5
	v_xor_b32_e32 v5, vcc_lo, v5
	v_and_b32_e32 v7, v7, v5
	v_lshlrev_b32_e32 v5, 29, v6
	v_cmp_gt_i64_e32 vcc, 0, v[4:5]
	v_not_b32_e32 v5, v5
	v_ashrrev_i32_e32 v5, 31, v5
	v_and_b32_e32 v26, v26, v27
	v_xor_b32_e32 v27, vcc_hi, v5
	v_xor_b32_e32 v5, vcc_lo, v5
	v_and_b32_e32 v7, v7, v5
	v_lshlrev_b32_e32 v5, 28, v6
	v_cmp_gt_i64_e32 vcc, 0, v[4:5]
	v_not_b32_e32 v5, v5
	v_ashrrev_i32_e32 v5, 31, v5
	v_and_b32_e32 v26, v26, v27
	;; [unrolled: 8-line block ×5, first 2 shown]
	v_xor_b32_e32 v27, vcc_hi, v5
	v_xor_b32_e32 v5, vcc_lo, v5
	v_and_b32_e32 v7, v7, v5
	v_lshlrev_b32_e32 v5, 24, v6
	v_cmp_gt_i64_e32 vcc, 0, v[4:5]
	v_not_b32_e32 v4, v5
	v_ashrrev_i32_e32 v4, 31, v4
	v_xor_b32_e32 v5, vcc_hi, v4
	v_xor_b32_e32 v4, vcc_lo, v4
	; wave barrier
	ds_read_b32 v22, v31 offset:64
	v_and_b32_e32 v26, v26, v27
	v_and_b32_e32 v4, v7, v4
	;; [unrolled: 1-line block ×3, first 2 shown]
	v_mbcnt_lo_u32_b32 v6, v4, 0
	v_mbcnt_hi_u32_b32 v26, v5, v6
	v_cmp_eq_u32_e32 vcc, 0, v26
	v_cmp_ne_u64_e64 s[0:1], 0, v[4:5]
	s_and_b64 s[2:3], s[0:1], vcc
	; wave barrier
	s_and_saveexec_b64 s[0:1], s[2:3]
	s_cbranch_execz .LBB1795_33
; %bb.32:
	v_bcnt_u32_b32 v4, v4, 0
	v_bcnt_u32_b32 v4, v5, v4
	s_waitcnt lgkmcnt(0)
	v_add_u32_e32 v4, v22, v4
	ds_write_b32 v31, v4 offset:64
.LBB1795_33:
	s_or_b64 exec, exec, s[0:1]
	v_xor_b32_e32 v17, 0x80000000, v17
	v_lshrrev_b32_e32 v4, s16, v17
	v_and_b32_e32 v6, s28, v4
	v_and_b32_e32 v5, 1, v6
	v_add_co_u32_e32 v7, vcc, -1, v5
	v_addc_co_u32_e64 v32, s[0:1], 0, -1, vcc
	v_cmp_ne_u32_e32 vcc, 0, v5
	v_lshl_add_u32 v4, v6, 4, v6
	v_xor_b32_e32 v5, vcc_hi, v32
	v_add_lshl_u32 v36, v29, v4, 2
	v_mov_b32_e32 v4, 0
	v_and_b32_e32 v32, exec_hi, v5
	v_lshlrev_b32_e32 v5, 30, v6
	v_xor_b32_e32 v7, vcc_lo, v7
	v_cmp_gt_i64_e32 vcc, 0, v[4:5]
	v_not_b32_e32 v5, v5
	v_ashrrev_i32_e32 v5, 31, v5
	v_and_b32_e32 v7, exec_lo, v7
	v_xor_b32_e32 v33, vcc_hi, v5
	v_xor_b32_e32 v5, vcc_lo, v5
	v_and_b32_e32 v7, v7, v5
	v_lshlrev_b32_e32 v5, 29, v6
	v_cmp_gt_i64_e32 vcc, 0, v[4:5]
	v_not_b32_e32 v5, v5
	v_ashrrev_i32_e32 v5, 31, v5
	v_and_b32_e32 v32, v32, v33
	v_xor_b32_e32 v33, vcc_hi, v5
	v_xor_b32_e32 v5, vcc_lo, v5
	v_and_b32_e32 v7, v7, v5
	v_lshlrev_b32_e32 v5, 28, v6
	v_cmp_gt_i64_e32 vcc, 0, v[4:5]
	v_not_b32_e32 v5, v5
	v_ashrrev_i32_e32 v5, 31, v5
	v_and_b32_e32 v32, v32, v33
	;; [unrolled: 8-line block ×5, first 2 shown]
	v_xor_b32_e32 v33, vcc_hi, v5
	v_xor_b32_e32 v5, vcc_lo, v5
	v_and_b32_e32 v32, v32, v33
	v_and_b32_e32 v33, v7, v5
	v_lshlrev_b32_e32 v5, 24, v6
	v_cmp_gt_i64_e32 vcc, 0, v[4:5]
	v_not_b32_e32 v5, v5
	v_ashrrev_i32_e32 v5, 31, v5
	v_xor_b32_e32 v6, vcc_hi, v5
	v_xor_b32_e32 v5, vcc_lo, v5
	; wave barrier
	ds_read_b32 v27, v36 offset:64
	v_and_b32_e32 v7, v32, v6
	v_and_b32_e32 v6, v33, v5
	v_mbcnt_lo_u32_b32 v5, v6, 0
	v_mbcnt_hi_u32_b32 v32, v7, v5
	v_cmp_eq_u32_e32 vcc, 0, v32
	v_cmp_ne_u64_e64 s[0:1], 0, v[6:7]
	s_and_b64 s[2:3], s[0:1], vcc
	; wave barrier
	s_and_saveexec_b64 s[0:1], s[2:3]
	s_cbranch_execz .LBB1795_35
; %bb.34:
	v_bcnt_u32_b32 v5, v6, 0
	v_bcnt_u32_b32 v5, v7, v5
	s_waitcnt lgkmcnt(0)
	v_add_u32_e32 v5, v27, v5
	ds_write_b32 v36, v5 offset:64
.LBB1795_35:
	s_or_b64 exec, exec, s[0:1]
	v_xor_b32_e32 v23, 0x80000000, v23
	v_lshrrev_b32_e32 v5, s16, v23
	v_and_b32_e32 v6, s28, v5
	v_lshl_add_u32 v5, v6, 4, v6
	v_add_lshl_u32 v39, v29, v5, 2
	v_and_b32_e32 v5, 1, v6
	v_add_co_u32_e32 v7, vcc, -1, v5
	v_addc_co_u32_e64 v37, s[0:1], 0, -1, vcc
	v_cmp_ne_u32_e32 vcc, 0, v5
	v_xor_b32_e32 v5, vcc_hi, v37
	v_and_b32_e32 v37, exec_hi, v5
	v_lshlrev_b32_e32 v5, 30, v6
	v_xor_b32_e32 v7, vcc_lo, v7
	v_cmp_gt_i64_e32 vcc, 0, v[4:5]
	v_not_b32_e32 v5, v5
	v_ashrrev_i32_e32 v5, 31, v5
	v_and_b32_e32 v7, exec_lo, v7
	v_xor_b32_e32 v38, vcc_hi, v5
	v_xor_b32_e32 v5, vcc_lo, v5
	v_and_b32_e32 v7, v7, v5
	v_lshlrev_b32_e32 v5, 29, v6
	v_cmp_gt_i64_e32 vcc, 0, v[4:5]
	v_not_b32_e32 v5, v5
	v_ashrrev_i32_e32 v5, 31, v5
	v_and_b32_e32 v37, v37, v38
	v_xor_b32_e32 v38, vcc_hi, v5
	v_xor_b32_e32 v5, vcc_lo, v5
	v_and_b32_e32 v7, v7, v5
	v_lshlrev_b32_e32 v5, 28, v6
	v_cmp_gt_i64_e32 vcc, 0, v[4:5]
	v_not_b32_e32 v5, v5
	v_ashrrev_i32_e32 v5, 31, v5
	v_and_b32_e32 v37, v37, v38
	;; [unrolled: 8-line block ×5, first 2 shown]
	v_xor_b32_e32 v38, vcc_hi, v5
	v_xor_b32_e32 v5, vcc_lo, v5
	v_and_b32_e32 v7, v7, v5
	v_lshlrev_b32_e32 v5, 24, v6
	v_cmp_gt_i64_e32 vcc, 0, v[4:5]
	v_not_b32_e32 v4, v5
	v_ashrrev_i32_e32 v4, 31, v4
	v_xor_b32_e32 v5, vcc_hi, v4
	v_xor_b32_e32 v4, vcc_lo, v4
	; wave barrier
	ds_read_b32 v33, v39 offset:64
	v_and_b32_e32 v37, v37, v38
	v_and_b32_e32 v4, v7, v4
	;; [unrolled: 1-line block ×3, first 2 shown]
	v_mbcnt_lo_u32_b32 v6, v4, 0
	v_mbcnt_hi_u32_b32 v37, v5, v6
	v_cmp_eq_u32_e32 vcc, 0, v37
	v_cmp_ne_u64_e64 s[0:1], 0, v[4:5]
	s_and_b64 s[2:3], s[0:1], vcc
	; wave barrier
	s_and_saveexec_b64 s[0:1], s[2:3]
	s_cbranch_execz .LBB1795_37
; %bb.36:
	v_bcnt_u32_b32 v4, v4, 0
	v_bcnt_u32_b32 v4, v5, v4
	s_waitcnt lgkmcnt(0)
	v_add_u32_e32 v4, v33, v4
	ds_write_b32 v39, v4 offset:64
.LBB1795_37:
	s_or_b64 exec, exec, s[0:1]
	v_xor_b32_e32 v28, 0x80000000, v28
	v_lshrrev_b32_e32 v4, s16, v28
	v_and_b32_e32 v6, s28, v4
	v_and_b32_e32 v5, 1, v6
	v_add_co_u32_e32 v7, vcc, -1, v5
	v_addc_co_u32_e64 v40, s[0:1], 0, -1, vcc
	v_cmp_ne_u32_e32 vcc, 0, v5
	v_lshl_add_u32 v4, v6, 4, v6
	v_xor_b32_e32 v5, vcc_hi, v40
	v_add_lshl_u32 v42, v29, v4, 2
	v_mov_b32_e32 v4, 0
	v_and_b32_e32 v40, exec_hi, v5
	v_lshlrev_b32_e32 v5, 30, v6
	v_xor_b32_e32 v7, vcc_lo, v7
	v_cmp_gt_i64_e32 vcc, 0, v[4:5]
	v_not_b32_e32 v5, v5
	v_ashrrev_i32_e32 v5, 31, v5
	v_and_b32_e32 v7, exec_lo, v7
	v_xor_b32_e32 v41, vcc_hi, v5
	v_xor_b32_e32 v5, vcc_lo, v5
	v_and_b32_e32 v7, v7, v5
	v_lshlrev_b32_e32 v5, 29, v6
	v_cmp_gt_i64_e32 vcc, 0, v[4:5]
	v_not_b32_e32 v5, v5
	v_ashrrev_i32_e32 v5, 31, v5
	v_and_b32_e32 v40, v40, v41
	v_xor_b32_e32 v41, vcc_hi, v5
	v_xor_b32_e32 v5, vcc_lo, v5
	v_and_b32_e32 v7, v7, v5
	v_lshlrev_b32_e32 v5, 28, v6
	v_cmp_gt_i64_e32 vcc, 0, v[4:5]
	v_not_b32_e32 v5, v5
	v_ashrrev_i32_e32 v5, 31, v5
	v_and_b32_e32 v40, v40, v41
	;; [unrolled: 8-line block ×5, first 2 shown]
	v_xor_b32_e32 v41, vcc_hi, v5
	v_xor_b32_e32 v5, vcc_lo, v5
	v_and_b32_e32 v40, v40, v41
	v_and_b32_e32 v41, v7, v5
	v_lshlrev_b32_e32 v5, 24, v6
	v_cmp_gt_i64_e32 vcc, 0, v[4:5]
	v_not_b32_e32 v5, v5
	v_ashrrev_i32_e32 v5, 31, v5
	v_xor_b32_e32 v6, vcc_hi, v5
	v_xor_b32_e32 v5, vcc_lo, v5
	; wave barrier
	ds_read_b32 v38, v42 offset:64
	v_and_b32_e32 v7, v40, v6
	v_and_b32_e32 v6, v41, v5
	v_mbcnt_lo_u32_b32 v5, v6, 0
	v_mbcnt_hi_u32_b32 v40, v7, v5
	v_cmp_eq_u32_e32 vcc, 0, v40
	v_cmp_ne_u64_e64 s[0:1], 0, v[6:7]
	s_and_b64 s[2:3], s[0:1], vcc
	; wave barrier
	s_and_saveexec_b64 s[0:1], s[2:3]
	s_cbranch_execz .LBB1795_39
; %bb.38:
	v_bcnt_u32_b32 v5, v6, 0
	v_bcnt_u32_b32 v5, v7, v5
	s_waitcnt lgkmcnt(0)
	v_add_u32_e32 v5, v38, v5
	ds_write_b32 v42, v5 offset:64
.LBB1795_39:
	s_or_b64 exec, exec, s[0:1]
	v_xor_b32_e32 v34, 0x80000000, v34
	v_lshrrev_b32_e32 v5, s16, v34
	v_and_b32_e32 v6, s28, v5
	v_lshl_add_u32 v5, v6, 4, v6
	v_add_lshl_u32 v45, v29, v5, 2
	v_and_b32_e32 v5, 1, v6
	v_add_co_u32_e32 v7, vcc, -1, v5
	v_addc_co_u32_e64 v43, s[0:1], 0, -1, vcc
	v_cmp_ne_u32_e32 vcc, 0, v5
	v_xor_b32_e32 v5, vcc_hi, v43
	v_and_b32_e32 v43, exec_hi, v5
	v_lshlrev_b32_e32 v5, 30, v6
	v_xor_b32_e32 v7, vcc_lo, v7
	v_cmp_gt_i64_e32 vcc, 0, v[4:5]
	v_not_b32_e32 v5, v5
	v_ashrrev_i32_e32 v5, 31, v5
	v_and_b32_e32 v7, exec_lo, v7
	v_xor_b32_e32 v44, vcc_hi, v5
	v_xor_b32_e32 v5, vcc_lo, v5
	v_and_b32_e32 v7, v7, v5
	v_lshlrev_b32_e32 v5, 29, v6
	v_cmp_gt_i64_e32 vcc, 0, v[4:5]
	v_not_b32_e32 v5, v5
	v_ashrrev_i32_e32 v5, 31, v5
	v_and_b32_e32 v43, v43, v44
	v_xor_b32_e32 v44, vcc_hi, v5
	v_xor_b32_e32 v5, vcc_lo, v5
	v_and_b32_e32 v7, v7, v5
	v_lshlrev_b32_e32 v5, 28, v6
	v_cmp_gt_i64_e32 vcc, 0, v[4:5]
	v_not_b32_e32 v5, v5
	v_ashrrev_i32_e32 v5, 31, v5
	v_and_b32_e32 v43, v43, v44
	;; [unrolled: 8-line block ×5, first 2 shown]
	v_xor_b32_e32 v44, vcc_hi, v5
	v_xor_b32_e32 v5, vcc_lo, v5
	v_and_b32_e32 v7, v7, v5
	v_lshlrev_b32_e32 v5, 24, v6
	v_cmp_gt_i64_e32 vcc, 0, v[4:5]
	v_not_b32_e32 v4, v5
	v_ashrrev_i32_e32 v4, 31, v4
	v_xor_b32_e32 v5, vcc_hi, v4
	v_xor_b32_e32 v4, vcc_lo, v4
	; wave barrier
	ds_read_b32 v41, v45 offset:64
	v_and_b32_e32 v43, v43, v44
	v_and_b32_e32 v4, v7, v4
	;; [unrolled: 1-line block ×3, first 2 shown]
	v_mbcnt_lo_u32_b32 v6, v4, 0
	v_mbcnt_hi_u32_b32 v43, v5, v6
	v_cmp_eq_u32_e32 vcc, 0, v43
	v_cmp_ne_u64_e64 s[0:1], 0, v[4:5]
	s_and_b64 s[2:3], s[0:1], vcc
	; wave barrier
	s_and_saveexec_b64 s[0:1], s[2:3]
	s_cbranch_execz .LBB1795_41
; %bb.40:
	v_bcnt_u32_b32 v4, v4, 0
	v_bcnt_u32_b32 v4, v5, v4
	s_waitcnt lgkmcnt(0)
	v_add_u32_e32 v4, v41, v4
	ds_write_b32 v45, v4 offset:64
.LBB1795_41:
	s_or_b64 exec, exec, s[0:1]
	v_xor_b32_e32 v35, 0x80000000, v35
	v_lshrrev_b32_e32 v4, s16, v35
	v_and_b32_e32 v6, s28, v4
	v_and_b32_e32 v5, 1, v6
	v_add_co_u32_e32 v7, vcc, -1, v5
	v_addc_co_u32_e64 v46, s[0:1], 0, -1, vcc
	v_cmp_ne_u32_e32 vcc, 0, v5
	v_lshl_add_u32 v4, v6, 4, v6
	v_xor_b32_e32 v5, vcc_hi, v46
	v_add_lshl_u32 v48, v29, v4, 2
	v_mov_b32_e32 v4, 0
	v_and_b32_e32 v46, exec_hi, v5
	v_lshlrev_b32_e32 v5, 30, v6
	v_xor_b32_e32 v7, vcc_lo, v7
	v_cmp_gt_i64_e32 vcc, 0, v[4:5]
	v_not_b32_e32 v5, v5
	v_ashrrev_i32_e32 v5, 31, v5
	v_and_b32_e32 v7, exec_lo, v7
	v_xor_b32_e32 v47, vcc_hi, v5
	v_xor_b32_e32 v5, vcc_lo, v5
	v_and_b32_e32 v7, v7, v5
	v_lshlrev_b32_e32 v5, 29, v6
	v_cmp_gt_i64_e32 vcc, 0, v[4:5]
	v_not_b32_e32 v5, v5
	v_ashrrev_i32_e32 v5, 31, v5
	v_and_b32_e32 v46, v46, v47
	v_xor_b32_e32 v47, vcc_hi, v5
	v_xor_b32_e32 v5, vcc_lo, v5
	v_and_b32_e32 v7, v7, v5
	v_lshlrev_b32_e32 v5, 28, v6
	v_cmp_gt_i64_e32 vcc, 0, v[4:5]
	v_not_b32_e32 v5, v5
	v_ashrrev_i32_e32 v5, 31, v5
	v_and_b32_e32 v46, v46, v47
	;; [unrolled: 8-line block ×5, first 2 shown]
	v_xor_b32_e32 v47, vcc_hi, v5
	v_xor_b32_e32 v5, vcc_lo, v5
	v_and_b32_e32 v46, v46, v47
	v_and_b32_e32 v47, v7, v5
	v_lshlrev_b32_e32 v5, 24, v6
	v_cmp_gt_i64_e32 vcc, 0, v[4:5]
	v_not_b32_e32 v5, v5
	v_ashrrev_i32_e32 v5, 31, v5
	v_xor_b32_e32 v6, vcc_hi, v5
	v_xor_b32_e32 v5, vcc_lo, v5
	; wave barrier
	ds_read_b32 v44, v48 offset:64
	v_and_b32_e32 v7, v46, v6
	v_and_b32_e32 v6, v47, v5
	v_mbcnt_lo_u32_b32 v5, v6, 0
	v_mbcnt_hi_u32_b32 v46, v7, v5
	v_cmp_eq_u32_e32 vcc, 0, v46
	v_cmp_ne_u64_e64 s[0:1], 0, v[6:7]
	s_and_b64 s[2:3], s[0:1], vcc
	; wave barrier
	s_and_saveexec_b64 s[0:1], s[2:3]
	s_cbranch_execz .LBB1795_43
; %bb.42:
	v_bcnt_u32_b32 v5, v6, 0
	v_bcnt_u32_b32 v5, v7, v5
	s_waitcnt lgkmcnt(0)
	v_add_u32_e32 v5, v44, v5
	ds_write_b32 v48, v5 offset:64
.LBB1795_43:
	s_or_b64 exec, exec, s[0:1]
	v_xor_b32_e32 v30, 0x80000000, v30
	v_lshrrev_b32_e32 v5, s16, v30
	v_and_b32_e32 v6, s28, v5
	v_lshl_add_u32 v5, v6, 4, v6
	v_add_lshl_u32 v51, v29, v5, 2
	v_and_b32_e32 v5, 1, v6
	v_add_co_u32_e32 v7, vcc, -1, v5
	v_addc_co_u32_e64 v49, s[0:1], 0, -1, vcc
	v_cmp_ne_u32_e32 vcc, 0, v5
	v_xor_b32_e32 v5, vcc_hi, v49
	v_and_b32_e32 v49, exec_hi, v5
	v_lshlrev_b32_e32 v5, 30, v6
	v_xor_b32_e32 v7, vcc_lo, v7
	v_cmp_gt_i64_e32 vcc, 0, v[4:5]
	v_not_b32_e32 v5, v5
	v_ashrrev_i32_e32 v5, 31, v5
	v_and_b32_e32 v7, exec_lo, v7
	v_xor_b32_e32 v50, vcc_hi, v5
	v_xor_b32_e32 v5, vcc_lo, v5
	v_and_b32_e32 v7, v7, v5
	v_lshlrev_b32_e32 v5, 29, v6
	v_cmp_gt_i64_e32 vcc, 0, v[4:5]
	v_not_b32_e32 v5, v5
	v_ashrrev_i32_e32 v5, 31, v5
	v_and_b32_e32 v49, v49, v50
	v_xor_b32_e32 v50, vcc_hi, v5
	v_xor_b32_e32 v5, vcc_lo, v5
	v_and_b32_e32 v7, v7, v5
	v_lshlrev_b32_e32 v5, 28, v6
	v_cmp_gt_i64_e32 vcc, 0, v[4:5]
	v_not_b32_e32 v5, v5
	v_ashrrev_i32_e32 v5, 31, v5
	v_and_b32_e32 v49, v49, v50
	;; [unrolled: 8-line block ×5, first 2 shown]
	v_xor_b32_e32 v50, vcc_hi, v5
	v_xor_b32_e32 v5, vcc_lo, v5
	v_and_b32_e32 v7, v7, v5
	v_lshlrev_b32_e32 v5, 24, v6
	v_cmp_gt_i64_e32 vcc, 0, v[4:5]
	v_not_b32_e32 v4, v5
	v_ashrrev_i32_e32 v4, 31, v4
	v_xor_b32_e32 v5, vcc_hi, v4
	v_xor_b32_e32 v4, vcc_lo, v4
	; wave barrier
	ds_read_b32 v47, v51 offset:64
	v_and_b32_e32 v49, v49, v50
	v_and_b32_e32 v4, v7, v4
	;; [unrolled: 1-line block ×3, first 2 shown]
	v_mbcnt_lo_u32_b32 v6, v4, 0
	v_mbcnt_hi_u32_b32 v49, v5, v6
	v_cmp_eq_u32_e32 vcc, 0, v49
	v_cmp_ne_u64_e64 s[0:1], 0, v[4:5]
	s_and_b64 s[2:3], s[0:1], vcc
	; wave barrier
	s_and_saveexec_b64 s[0:1], s[2:3]
	s_cbranch_execz .LBB1795_45
; %bb.44:
	v_bcnt_u32_b32 v4, v4, 0
	v_bcnt_u32_b32 v4, v5, v4
	s_waitcnt lgkmcnt(0)
	v_add_u32_e32 v4, v47, v4
	ds_write_b32 v51, v4 offset:64
.LBB1795_45:
	s_or_b64 exec, exec, s[0:1]
	v_xor_b32_e32 v25, 0x80000000, v25
	v_lshrrev_b32_e32 v4, s16, v25
	v_and_b32_e32 v6, s28, v4
	v_and_b32_e32 v5, 1, v6
	v_add_co_u32_e32 v7, vcc, -1, v5
	v_addc_co_u32_e64 v52, s[0:1], 0, -1, vcc
	v_cmp_ne_u32_e32 vcc, 0, v5
	v_lshl_add_u32 v4, v6, 4, v6
	v_xor_b32_e32 v5, vcc_hi, v52
	v_add_lshl_u32 v54, v29, v4, 2
	v_mov_b32_e32 v4, 0
	v_and_b32_e32 v52, exec_hi, v5
	v_lshlrev_b32_e32 v5, 30, v6
	v_xor_b32_e32 v7, vcc_lo, v7
	v_cmp_gt_i64_e32 vcc, 0, v[4:5]
	v_not_b32_e32 v5, v5
	v_ashrrev_i32_e32 v5, 31, v5
	v_and_b32_e32 v7, exec_lo, v7
	v_xor_b32_e32 v53, vcc_hi, v5
	v_xor_b32_e32 v5, vcc_lo, v5
	v_and_b32_e32 v7, v7, v5
	v_lshlrev_b32_e32 v5, 29, v6
	v_cmp_gt_i64_e32 vcc, 0, v[4:5]
	v_not_b32_e32 v5, v5
	v_ashrrev_i32_e32 v5, 31, v5
	v_and_b32_e32 v52, v52, v53
	v_xor_b32_e32 v53, vcc_hi, v5
	v_xor_b32_e32 v5, vcc_lo, v5
	v_and_b32_e32 v7, v7, v5
	v_lshlrev_b32_e32 v5, 28, v6
	v_cmp_gt_i64_e32 vcc, 0, v[4:5]
	v_not_b32_e32 v5, v5
	v_ashrrev_i32_e32 v5, 31, v5
	v_and_b32_e32 v52, v52, v53
	;; [unrolled: 8-line block ×5, first 2 shown]
	v_xor_b32_e32 v53, vcc_hi, v5
	v_xor_b32_e32 v5, vcc_lo, v5
	v_and_b32_e32 v52, v52, v53
	v_and_b32_e32 v53, v7, v5
	v_lshlrev_b32_e32 v5, 24, v6
	v_cmp_gt_i64_e32 vcc, 0, v[4:5]
	v_not_b32_e32 v5, v5
	v_ashrrev_i32_e32 v5, 31, v5
	v_xor_b32_e32 v6, vcc_hi, v5
	v_xor_b32_e32 v5, vcc_lo, v5
	; wave barrier
	ds_read_b32 v50, v54 offset:64
	v_and_b32_e32 v7, v52, v6
	v_and_b32_e32 v6, v53, v5
	v_mbcnt_lo_u32_b32 v5, v6, 0
	v_mbcnt_hi_u32_b32 v52, v7, v5
	v_cmp_eq_u32_e32 vcc, 0, v52
	v_cmp_ne_u64_e64 s[0:1], 0, v[6:7]
	s_and_b64 s[2:3], s[0:1], vcc
	; wave barrier
	s_and_saveexec_b64 s[0:1], s[2:3]
	s_cbranch_execz .LBB1795_47
; %bb.46:
	v_bcnt_u32_b32 v5, v6, 0
	v_bcnt_u32_b32 v5, v7, v5
	s_waitcnt lgkmcnt(0)
	v_add_u32_e32 v5, v50, v5
	ds_write_b32 v54, v5 offset:64
.LBB1795_47:
	s_or_b64 exec, exec, s[0:1]
	v_xor_b32_e32 v20, 0x80000000, v20
	v_lshrrev_b32_e32 v5, s16, v20
	v_and_b32_e32 v6, s28, v5
	v_lshl_add_u32 v5, v6, 4, v6
	v_add_lshl_u32 v56, v29, v5, 2
	v_and_b32_e32 v5, 1, v6
	v_add_co_u32_e32 v7, vcc, -1, v5
	v_addc_co_u32_e64 v29, s[0:1], 0, -1, vcc
	v_cmp_ne_u32_e32 vcc, 0, v5
	v_xor_b32_e32 v5, vcc_hi, v29
	v_and_b32_e32 v29, exec_hi, v5
	v_lshlrev_b32_e32 v5, 30, v6
	v_xor_b32_e32 v7, vcc_lo, v7
	v_cmp_gt_i64_e32 vcc, 0, v[4:5]
	v_not_b32_e32 v5, v5
	v_ashrrev_i32_e32 v5, 31, v5
	v_and_b32_e32 v7, exec_lo, v7
	v_xor_b32_e32 v55, vcc_hi, v5
	v_xor_b32_e32 v5, vcc_lo, v5
	v_and_b32_e32 v7, v7, v5
	v_lshlrev_b32_e32 v5, 29, v6
	v_cmp_gt_i64_e32 vcc, 0, v[4:5]
	v_not_b32_e32 v5, v5
	v_ashrrev_i32_e32 v5, 31, v5
	v_and_b32_e32 v29, v29, v55
	v_xor_b32_e32 v55, vcc_hi, v5
	v_xor_b32_e32 v5, vcc_lo, v5
	v_and_b32_e32 v7, v7, v5
	v_lshlrev_b32_e32 v5, 28, v6
	v_cmp_gt_i64_e32 vcc, 0, v[4:5]
	v_not_b32_e32 v5, v5
	v_ashrrev_i32_e32 v5, 31, v5
	v_and_b32_e32 v29, v29, v55
	;; [unrolled: 8-line block ×5, first 2 shown]
	v_xor_b32_e32 v55, vcc_hi, v5
	v_xor_b32_e32 v5, vcc_lo, v5
	v_and_b32_e32 v7, v7, v5
	v_lshlrev_b32_e32 v5, 24, v6
	v_cmp_gt_i64_e32 vcc, 0, v[4:5]
	v_not_b32_e32 v4, v5
	v_ashrrev_i32_e32 v4, 31, v4
	v_xor_b32_e32 v5, vcc_hi, v4
	v_xor_b32_e32 v4, vcc_lo, v4
	; wave barrier
	ds_read_b32 v53, v56 offset:64
	v_and_b32_e32 v29, v29, v55
	v_and_b32_e32 v4, v7, v4
	;; [unrolled: 1-line block ×3, first 2 shown]
	v_mbcnt_lo_u32_b32 v6, v4, 0
	v_mbcnt_hi_u32_b32 v55, v5, v6
	v_cmp_eq_u32_e32 vcc, 0, v55
	v_cmp_ne_u64_e64 s[0:1], 0, v[4:5]
	v_add_u32_e32 v57, 64, v9
	s_and_b64 s[2:3], s[0:1], vcc
	; wave barrier
	s_and_saveexec_b64 s[0:1], s[2:3]
	s_cbranch_execz .LBB1795_49
; %bb.48:
	v_bcnt_u32_b32 v4, v4, 0
	v_bcnt_u32_b32 v4, v5, v4
	s_waitcnt lgkmcnt(0)
	v_add_u32_e32 v4, v53, v4
	ds_write_b32 v56, v4 offset:64
.LBB1795_49:
	s_or_b64 exec, exec, s[0:1]
	; wave barrier
	s_waitcnt lgkmcnt(0)
	s_barrier
	ds_read2_b32 v[6:7], v9 offset0:16 offset1:17
	ds_read2_b32 v[4:5], v57 offset0:2 offset1:3
	ds_read_b32 v29, v57 offset:16
	v_cmp_lt_u32_e64 s[10:11], 31, v8
	s_waitcnt lgkmcnt(1)
	v_add3_u32 v58, v7, v6, v4
	s_waitcnt lgkmcnt(0)
	v_add3_u32 v29, v58, v5, v29
	v_and_b32_e32 v58, 15, v8
	v_cmp_eq_u32_e32 vcc, 0, v58
	v_mov_b32_dpp v59, v29 row_shr:1 row_mask:0xf bank_mask:0xf
	v_cndmask_b32_e64 v59, v59, 0, vcc
	v_add_u32_e32 v29, v59, v29
	v_cmp_lt_u32_e64 s[0:1], 1, v58
	v_cmp_lt_u32_e64 s[2:3], 3, v58
	v_mov_b32_dpp v59, v29 row_shr:2 row_mask:0xf bank_mask:0xf
	v_cndmask_b32_e64 v59, 0, v59, s[0:1]
	v_add_u32_e32 v29, v29, v59
	v_cmp_lt_u32_e64 s[8:9], 7, v58
	s_nop 0
	v_mov_b32_dpp v59, v29 row_shr:4 row_mask:0xf bank_mask:0xf
	v_cndmask_b32_e64 v59, 0, v59, s[2:3]
	v_add_u32_e32 v29, v29, v59
	s_nop 1
	v_mov_b32_dpp v59, v29 row_shr:8 row_mask:0xf bank_mask:0xf
	v_cndmask_b32_e64 v58, 0, v59, s[8:9]
	v_add_u32_e32 v29, v29, v58
	v_bfe_i32 v59, v8, 4, 1
	s_nop 0
	v_mov_b32_dpp v58, v29 row_bcast:15 row_mask:0xf bank_mask:0xf
	v_and_b32_e32 v58, v59, v58
	v_add_u32_e32 v29, v29, v58
	v_lshrrev_b32_e32 v59, 6, v2
	s_nop 0
	v_mov_b32_dpp v58, v29 row_bcast:31 row_mask:0xf bank_mask:0xf
	v_cndmask_b32_e64 v58, 0, v58, s[10:11]
	v_add_u32_e32 v58, v29, v58
	v_and_b32_e32 v29, 63, v2
	v_cmp_eq_u32_e64 s[10:11], 63, v29
	s_and_saveexec_b64 s[18:19], s[10:11]
	s_cbranch_execz .LBB1795_51
; %bb.50:
	v_lshlrev_b32_e32 v29, 2, v59
	ds_write_b32 v29, v58
.LBB1795_51:
	s_or_b64 exec, exec, s[18:19]
	v_cmp_gt_u32_e64 s[10:11], 16, v2
	v_lshlrev_b32_e32 v29, 2, v2
	s_waitcnt lgkmcnt(0)
	s_barrier
	s_and_saveexec_b64 s[18:19], s[10:11]
	s_cbranch_execz .LBB1795_53
; %bb.52:
	ds_read_b32 v60, v29
	s_waitcnt lgkmcnt(0)
	s_nop 0
	v_mov_b32_dpp v61, v60 row_shr:1 row_mask:0xf bank_mask:0xf
	v_cndmask_b32_e64 v61, v61, 0, vcc
	v_add_u32_e32 v60, v61, v60
	s_nop 1
	v_mov_b32_dpp v61, v60 row_shr:2 row_mask:0xf bank_mask:0xf
	v_cndmask_b32_e64 v61, 0, v61, s[0:1]
	v_add_u32_e32 v60, v60, v61
	s_nop 1
	v_mov_b32_dpp v61, v60 row_shr:4 row_mask:0xf bank_mask:0xf
	v_cndmask_b32_e64 v61, 0, v61, s[2:3]
	;; [unrolled: 4-line block ×3, first 2 shown]
	v_add_u32_e32 v60, v60, v61
	ds_write_b32 v29, v60
.LBB1795_53:
	s_or_b64 exec, exec, s[18:19]
	v_cmp_lt_u32_e32 vcc, 63, v2
	v_mov_b32_e32 v60, 0
	s_waitcnt lgkmcnt(0)
	s_barrier
	s_and_saveexec_b64 s[0:1], vcc
	s_cbranch_execz .LBB1795_55
; %bb.54:
	v_lshl_add_u32 v59, v59, 2, -4
	ds_read_b32 v60, v59
.LBB1795_55:
	s_or_b64 exec, exec, s[0:1]
	v_add_u32_e32 v59, -1, v8
	v_and_b32_e32 v61, 64, v8
	v_cmp_lt_i32_e32 vcc, v59, v61
	v_cndmask_b32_e32 v59, v59, v8, vcc
	s_waitcnt lgkmcnt(0)
	v_add_u32_e32 v58, v60, v58
	v_lshlrev_b32_e32 v59, 2, v59
	ds_bpermute_b32 v58, v59, v58
	v_cmp_eq_u32_e32 vcc, 0, v8
	s_movk_i32 s0, 0x100
	s_waitcnt lgkmcnt(0)
	v_cndmask_b32_e32 v8, v58, v60, vcc
	v_cmp_ne_u32_e32 vcc, 0, v2
	v_cndmask_b32_e32 v8, 0, v8, vcc
	v_add_u32_e32 v6, v8, v6
	v_add_u32_e32 v7, v6, v7
	;; [unrolled: 1-line block ×4, first 2 shown]
	ds_write2_b32 v9, v8, v6 offset0:16 offset1:17
	ds_write2_b32 v57, v7, v4 offset0:2 offset1:3
	ds_write_b32 v57, v5 offset:16
	s_waitcnt lgkmcnt(0)
	s_barrier
	ds_read_b32 v61, v18 offset:64
	ds_read_b32 v57, v19 offset:64
	;; [unrolled: 1-line block ×12, first 2 shown]
	v_cmp_gt_u32_e32 vcc, s0, v2
                                        ; implicit-def: $vgpr18
                                        ; implicit-def: $vgpr19
	s_and_saveexec_b64 s[2:3], vcc
	s_cbranch_execz .LBB1795_59
; %bb.56:
	v_mul_u32_u24_e32 v4, 17, v2
	v_lshlrev_b32_e32 v5, 2, v4
	ds_read_b32 v18, v5 offset:64
	s_movk_i32 s0, 0xff
	v_cmp_ne_u32_e64 s[0:1], s0, v2
	v_mov_b32_e32 v4, 0x3000
	s_and_saveexec_b64 s[8:9], s[0:1]
	s_cbranch_execz .LBB1795_58
; %bb.57:
	ds_read_b32 v4, v5 offset:132
.LBB1795_58:
	s_or_b64 exec, exec, s[8:9]
	s_waitcnt lgkmcnt(0)
	v_sub_u32_e32 v19, v4, v18
.LBB1795_59:
	s_or_b64 exec, exec, s[2:3]
	s_waitcnt lgkmcnt(0)
	s_barrier
	s_and_saveexec_b64 s[2:3], vcc
	s_cbranch_execz .LBB1795_69
; %bb.60:
	v_lshl_or_b32 v4, s6, 8, v2
	v_mov_b32_e32 v5, 0
	v_lshlrev_b64 v[6:7], 2, v[4:5]
	v_mov_b32_e32 v51, s25
	v_add_co_u32_e64 v6, s[0:1], s24, v6
	v_addc_co_u32_e64 v7, s[0:1], v51, v7, s[0:1]
	v_or_b32_e32 v4, 2.0, v19
	s_mov_b64 s[8:9], 0
	s_brev_b32 s29, 1
	s_mov_b32 s30, s6
	v_mov_b32_e32 v54, 0
	global_store_dword v[6:7], v4, off
                                        ; implicit-def: $sgpr0_sgpr1
	s_branch .LBB1795_62
.LBB1795_61:                            ;   in Loop: Header=BB1795_62 Depth=1
	s_or_b64 exec, exec, s[10:11]
	v_and_b32_e32 v8, 0x3fffffff, v56
	v_add_u32_e32 v54, v8, v54
	v_cmp_eq_u32_e64 s[0:1], s29, v4
	s_and_b64 s[10:11], exec, s[0:1]
	s_or_b64 s[8:9], s[10:11], s[8:9]
	s_andn2_b64 exec, exec, s[8:9]
	s_cbranch_execz .LBB1795_68
.LBB1795_62:                            ; =>This Loop Header: Depth=1
                                        ;     Child Loop BB1795_65 Depth 2
	s_or_b64 s[0:1], s[0:1], exec
	s_cmp_eq_u32 s30, 0
	s_cbranch_scc1 .LBB1795_67
; %bb.63:                               ;   in Loop: Header=BB1795_62 Depth=1
	s_add_i32 s30, s30, -1
	v_lshl_or_b32 v4, s30, 8, v2
	v_lshlrev_b64 v[8:9], 2, v[4:5]
	v_add_co_u32_e64 v8, s[0:1], s24, v8
	v_addc_co_u32_e64 v9, s[0:1], v51, v9, s[0:1]
	global_load_dword v56, v[8:9], off glc
	s_waitcnt vmcnt(0)
	v_and_b32_e32 v4, -2.0, v56
	v_cmp_eq_u32_e64 s[0:1], 0, v4
	s_and_saveexec_b64 s[10:11], s[0:1]
	s_cbranch_execz .LBB1795_61
; %bb.64:                               ;   in Loop: Header=BB1795_62 Depth=1
	s_mov_b64 s[18:19], 0
.LBB1795_65:                            ;   Parent Loop BB1795_62 Depth=1
                                        ; =>  This Inner Loop Header: Depth=2
	global_load_dword v56, v[8:9], off glc
	s_waitcnt vmcnt(0)
	v_and_b32_e32 v4, -2.0, v56
	v_cmp_ne_u32_e64 s[0:1], 0, v4
	s_or_b64 s[18:19], s[0:1], s[18:19]
	s_andn2_b64 exec, exec, s[18:19]
	s_cbranch_execnz .LBB1795_65
; %bb.66:                               ;   in Loop: Header=BB1795_62 Depth=1
	s_or_b64 exec, exec, s[18:19]
	s_branch .LBB1795_61
.LBB1795_67:                            ;   in Loop: Header=BB1795_62 Depth=1
                                        ; implicit-def: $sgpr30
	s_and_b64 s[10:11], exec, s[0:1]
	s_or_b64 s[8:9], s[10:11], s[8:9]
	s_andn2_b64 exec, exec, s[8:9]
	s_cbranch_execnz .LBB1795_62
.LBB1795_68:
	s_or_b64 exec, exec, s[8:9]
	v_add_u32_e32 v4, v54, v19
	v_or_b32_e32 v4, 0x80000000, v4
	global_store_dword v[6:7], v4, off
	global_load_dword v4, v29, s[12:13]
	v_sub_u32_e32 v5, v54, v18
	s_waitcnt vmcnt(0)
	v_add_u32_e32 v4, v5, v4
	ds_write_b32 v29, v4
.LBB1795_69:
	s_or_b64 exec, exec, s[2:3]
	v_add_u32_e32 v6, v61, v12
	s_movk_i32 s8, 0x400
	v_add_u32_e32 v7, 0x400, v29
	v_add3_u32 v8, v55, v48, v53
	v_add3_u32 v9, v52, v45, v50
	;; [unrolled: 1-line block ×11, first 2 shown]
	s_mov_b32 s9, 0
	v_mov_b32_e32 v5, 0
	s_movk_i32 s10, 0x800
	s_movk_i32 s11, 0xc00
	s_mov_b32 s18, 0
	s_branch .LBB1795_71
.LBB1795_70:                            ;   in Loop: Header=BB1795_71 Depth=1
	s_or_b64 exec, exec, s[2:3]
	s_addk_i32 s18, 0x1000
	s_addk_i32 s9, 0xf000
	s_cmpk_eq_i32 s9, 0xd000
	s_barrier
	s_cbranch_scc1 .LBB1795_80
.LBB1795_71:                            ; =>This Inner Loop Header: Depth=1
	v_add_u32_e32 v4, s9, v6
	v_min_u32_e32 v4, 0x1000, v4
	v_lshlrev_b32_e32 v4, 2, v4
	ds_write_b32 v4, v3 offset:1024
	v_add_u32_e32 v4, s9, v13
	v_min_u32_e32 v4, 0x1000, v4
	v_lshlrev_b32_e32 v4, 2, v4
	ds_write_b32 v4, v10 offset:1024
	;; [unrolled: 4-line block ×11, first 2 shown]
	v_add_u32_e32 v4, s9, v8
	v_min_u32_e32 v4, 0x1000, v4
	v_add_u32_e32 v15, s18, v2
	v_lshlrev_b32_e32 v4, 2, v4
	v_cmp_gt_u32_e64 s[0:1], s7, v15
	ds_write_b32 v4, v20 offset:1024
	s_waitcnt lgkmcnt(0)
	s_barrier
	s_and_saveexec_b64 s[2:3], s[0:1]
	s_cbranch_execz .LBB1795_73
; %bb.72:                               ;   in Loop: Header=BB1795_71 Depth=1
	ds_read_b32 v4, v29 offset:1024
	v_mov_b32_e32 v26, s23
	s_waitcnt lgkmcnt(0)
	v_lshrrev_b32_e32 v21, s16, v4
	v_and_b32_e32 v21, s28, v21
	v_lshlrev_b32_e32 v21, 2, v21
	ds_read_b32 v21, v21
	v_xor_b32_e32 v32, 0x80000000, v4
	s_waitcnt lgkmcnt(0)
	v_add_u32_e32 v4, v15, v21
	v_lshlrev_b64 v[38:39], 2, v[4:5]
	v_add_co_u32_e64 v38, s[0:1], s22, v38
	v_addc_co_u32_e64 v39, s[0:1], v26, v39, s[0:1]
	global_store_dword v[38:39], v32, off
.LBB1795_73:                            ;   in Loop: Header=BB1795_71 Depth=1
	s_or_b64 exec, exec, s[2:3]
	v_add_u32_e32 v4, 0x400, v15
	v_cmp_gt_u32_e64 s[0:1], s7, v4
	s_and_saveexec_b64 s[2:3], s[0:1]
	s_cbranch_execz .LBB1795_75
; %bb.74:                               ;   in Loop: Header=BB1795_71 Depth=1
	ds_read_b32 v4, v7 offset:4096
	v_mov_b32_e32 v26, s23
	s_waitcnt lgkmcnt(0)
	v_lshrrev_b32_e32 v21, s16, v4
	v_and_b32_e32 v21, s28, v21
	v_lshlrev_b32_e32 v21, 2, v21
	ds_read_b32 v21, v21
	v_xor_b32_e32 v32, 0x80000000, v4
	s_waitcnt lgkmcnt(0)
	v_add3_u32 v4, v15, v21, s8
	v_lshlrev_b64 v[38:39], 2, v[4:5]
	v_add_co_u32_e64 v38, s[0:1], s22, v38
	v_addc_co_u32_e64 v39, s[0:1], v26, v39, s[0:1]
	global_store_dword v[38:39], v32, off
.LBB1795_75:                            ;   in Loop: Header=BB1795_71 Depth=1
	s_or_b64 exec, exec, s[2:3]
	v_add_u32_e32 v4, 0x800, v15
	v_cmp_gt_u32_e64 s[0:1], s7, v4
	s_and_saveexec_b64 s[2:3], s[0:1]
	s_cbranch_execz .LBB1795_77
; %bb.76:                               ;   in Loop: Header=BB1795_71 Depth=1
	ds_read_b32 v4, v7 offset:8192
	v_mov_b32_e32 v26, s23
	s_waitcnt lgkmcnt(0)
	v_lshrrev_b32_e32 v21, s16, v4
	v_and_b32_e32 v21, s28, v21
	v_lshlrev_b32_e32 v21, 2, v21
	ds_read_b32 v21, v21
	v_xor_b32_e32 v32, 0x80000000, v4
	s_waitcnt lgkmcnt(0)
	v_add3_u32 v4, v15, v21, s10
	v_lshlrev_b64 v[38:39], 2, v[4:5]
	v_add_co_u32_e64 v38, s[0:1], s22, v38
	v_addc_co_u32_e64 v39, s[0:1], v26, v39, s[0:1]
	global_store_dword v[38:39], v32, off
.LBB1795_77:                            ;   in Loop: Header=BB1795_71 Depth=1
	s_or_b64 exec, exec, s[2:3]
	v_add_u32_e32 v4, 0xc00, v15
	v_cmp_gt_u32_e64 s[0:1], s7, v4
	s_and_saveexec_b64 s[2:3], s[0:1]
	s_cbranch_execz .LBB1795_70
; %bb.78:                               ;   in Loop: Header=BB1795_71 Depth=1
	ds_read_b32 v4, v7 offset:12288
	v_mov_b32_e32 v26, s23
	s_waitcnt lgkmcnt(0)
	v_lshrrev_b32_e32 v21, s16, v4
	v_and_b32_e32 v21, s28, v21
	v_lshlrev_b32_e32 v21, 2, v21
	ds_read_b32 v21, v21
	v_xor_b32_e32 v32, 0x80000000, v4
	s_waitcnt lgkmcnt(0)
	v_add3_u32 v4, v15, v21, s11
	v_lshlrev_b64 v[38:39], 2, v[4:5]
	v_add_co_u32_e64 v38, s[0:1], s22, v38
	v_addc_co_u32_e64 v39, s[0:1], v26, v39, s[0:1]
	global_store_dword v[38:39], v32, off
	s_branch .LBB1795_70
.LBB1795_79:
	s_mov_b64 s[10:11], 0
                                        ; implicit-def: $vgpr4
                                        ; implicit-def: $vgpr2
	s_cbranch_execnz .LBB1795_83
	s_branch .LBB1795_132
.LBB1795_80:
	s_add_i32 s27, s27, -1
	s_cmp_eq_u32 s27, s6
	s_cselect_b64 s[0:1], -1, 0
	s_and_b64 s[2:3], vcc, s[0:1]
	s_mov_b64 s[0:1], 0
	s_mov_b64 s[10:11], 0
                                        ; implicit-def: $vgpr4
	s_and_saveexec_b64 s[8:9], s[2:3]
	s_xor_b64 s[2:3], exec, s[8:9]
; %bb.81:
	s_mov_b64 s[10:11], exec
	v_add_u32_e32 v4, v18, v19
; %bb.82:
	s_or_b64 exec, exec, s[2:3]
	s_and_b64 vcc, exec, s[0:1]
	s_cbranch_vccz .LBB1795_132
.LBB1795_83:
	s_mov_b32 s27, 0
	v_mbcnt_hi_u32_b32 v6, -1, v1
	s_lshl_b64 s[0:1], s[26:27], 2
	v_and_b32_e32 v1, 63, v6
	s_add_u32 s0, s20, s0
	v_lshlrev_b32_e32 v1, 2, v1
	v_add_co_u32_e32 v1, vcc, s0, v1
	s_load_dword s7, s[4:5], 0x58
	s_load_dword s0, s[4:5], 0x64
	v_and_b32_e32 v2, 0x3ff, v0
	s_addc_u32 s1, s21, s1
	v_and_b32_e32 v3, 0x3c0, v2
	v_mul_u32_u24_e32 v3, 12, v3
	v_mov_b32_e32 v5, s1
	v_addc_co_u32_e32 v5, vcc, 0, v5, vcc
	v_lshlrev_b32_e32 v3, 2, v3
	s_add_u32 s1, s4, 0x58
	v_add_co_u32_e32 v12, vcc, v1, v3
	s_addc_u32 s2, s5, 0
	s_waitcnt lgkmcnt(0)
	s_lshr_b32 s3, s0, 16
	v_addc_co_u32_e32 v13, vcc, 0, v5, vcc
	s_cmp_lt_u32 s6, s7
	global_load_dword v1, v[12:13], off
	s_cselect_b32 s0, 12, 18
	s_add_u32 s0, s1, s0
	v_mov_b32_e32 v4, 0
	s_addc_u32 s1, s2, 0
	global_load_ushort v5, v4, s[0:1]
	v_mul_u32_u24_e32 v7, 5, v2
	v_lshlrev_b32_e32 v7, 2, v7
	ds_write2_b32 v7, v4, v4 offset0:16 offset1:17
	ds_write2_b32 v7, v4, v4 offset0:18 offset1:19
	ds_write_b32 v7, v4 offset:80
	global_load_dword v8, v[12:13], off offset:256
	global_load_dword v9, v[12:13], off offset:512
	;; [unrolled: 1-line block ×11, first 2 shown]
	v_bfe_u32 v3, v0, 10, 10
	v_bfe_u32 v0, v0, 20, 10
	v_mad_u32_u24 v0, v0, s3, v3
	s_lshl_b32 s0, -1, s17
	s_not_b32 s17, s0
	s_waitcnt lgkmcnt(0)
	s_barrier
	s_waitcnt lgkmcnt(0)
	; wave barrier
	s_waitcnt vmcnt(12)
	v_xor_b32_e32 v3, 0x80000000, v1
	v_lshrrev_b32_e32 v1, s16, v3
	v_and_b32_e32 v10, s17, v1
	v_and_b32_e32 v12, 1, v10
	s_waitcnt vmcnt(11)
	v_mad_u64_u32 v[0:1], s[0:1], v0, v5, v[2:3]
	v_lshrrev_b32_e32 v22, 6, v0
	v_add_co_u32_e32 v0, vcc, -1, v12
	v_lshlrev_b32_e32 v5, 30, v10
	v_addc_co_u32_e64 v14, s[0:1], 0, -1, vcc
	v_lshl_add_u32 v1, v10, 4, v10
	v_cmp_ne_u32_e32 vcc, 0, v12
	v_cmp_gt_i64_e64 s[0:1], 0, v[4:5]
	v_not_b32_e32 v12, v5
	v_lshlrev_b32_e32 v5, 29, v10
	v_add_lshl_u32 v13, v22, v1, 2
	v_xor_b32_e32 v1, vcc_hi, v14
	v_xor_b32_e32 v0, vcc_lo, v0
	v_ashrrev_i32_e32 v12, 31, v12
	v_cmp_gt_i64_e32 vcc, 0, v[4:5]
	v_not_b32_e32 v14, v5
	v_lshlrev_b32_e32 v5, 28, v10
	v_and_b32_e32 v1, exec_hi, v1
	v_and_b32_e32 v0, exec_lo, v0
	v_xor_b32_e32 v16, s1, v12
	v_xor_b32_e32 v12, s0, v12
	v_ashrrev_i32_e32 v14, 31, v14
	v_cmp_gt_i64_e64 s[0:1], 0, v[4:5]
	v_not_b32_e32 v5, v5
	v_and_b32_e32 v1, v1, v16
	v_and_b32_e32 v0, v0, v12
	v_xor_b32_e32 v12, vcc_hi, v14
	v_xor_b32_e32 v14, vcc_lo, v14
	v_ashrrev_i32_e32 v5, 31, v5
	v_and_b32_e32 v1, v1, v12
	v_and_b32_e32 v0, v0, v14
	v_xor_b32_e32 v12, s1, v5
	v_xor_b32_e32 v5, s0, v5
	v_and_b32_e32 v0, v0, v5
	v_lshlrev_b32_e32 v5, 27, v10
	v_cmp_gt_i64_e32 vcc, 0, v[4:5]
	v_not_b32_e32 v5, v5
	v_ashrrev_i32_e32 v5, 31, v5
	v_and_b32_e32 v1, v1, v12
	v_xor_b32_e32 v12, vcc_hi, v5
	v_xor_b32_e32 v5, vcc_lo, v5
	v_and_b32_e32 v0, v0, v5
	v_lshlrev_b32_e32 v5, 26, v10
	v_cmp_gt_i64_e32 vcc, 0, v[4:5]
	v_not_b32_e32 v5, v5
	v_ashrrev_i32_e32 v5, 31, v5
	v_and_b32_e32 v1, v1, v12
	v_xor_b32_e32 v12, vcc_hi, v5
	v_xor_b32_e32 v5, vcc_lo, v5
	;; [unrolled: 8-line block ×3, first 2 shown]
	v_and_b32_e32 v0, v0, v5
	v_lshlrev_b32_e32 v5, 24, v10
	v_cmp_gt_i64_e32 vcc, 0, v[4:5]
	v_not_b32_e32 v5, v5
	v_ashrrev_i32_e32 v5, 31, v5
	v_xor_b32_e32 v10, vcc_hi, v5
	v_xor_b32_e32 v5, vcc_lo, v5
	v_and_b32_e32 v1, v1, v12
	v_and_b32_e32 v0, v0, v5
	;; [unrolled: 1-line block ×3, first 2 shown]
	v_mbcnt_lo_u32_b32 v5, v0, 0
	v_mbcnt_hi_u32_b32 v10, v1, v5
	v_cmp_eq_u32_e32 vcc, 0, v10
	v_cmp_ne_u64_e64 s[0:1], 0, v[0:1]
	s_and_b64 s[2:3], s[0:1], vcc
	s_and_saveexec_b64 s[0:1], s[2:3]
	s_cbranch_execz .LBB1795_85
; %bb.84:
	v_bcnt_u32_b32 v0, v0, 0
	v_bcnt_u32_b32 v0, v1, v0
	ds_write_b32 v13, v0 offset:64
.LBB1795_85:
	s_or_b64 exec, exec, s[0:1]
	s_waitcnt vmcnt(10)
	v_xor_b32_e32 v8, 0x80000000, v8
	v_lshrrev_b32_e32 v0, s16, v8
	v_and_b32_e32 v0, s17, v0
	v_lshl_add_u32 v1, v0, 4, v0
	v_add_lshl_u32 v17, v22, v1, 2
	v_and_b32_e32 v1, 1, v0
	v_add_co_u32_e32 v5, vcc, -1, v1
	v_addc_co_u32_e64 v14, s[0:1], 0, -1, vcc
	v_cmp_ne_u32_e32 vcc, 0, v1
	v_xor_b32_e32 v5, vcc_lo, v5
	v_xor_b32_e32 v1, vcc_hi, v14
	v_and_b32_e32 v14, exec_lo, v5
	v_lshlrev_b32_e32 v5, 30, v0
	v_cmp_gt_i64_e32 vcc, 0, v[4:5]
	v_not_b32_e32 v5, v5
	v_ashrrev_i32_e32 v5, 31, v5
	v_xor_b32_e32 v16, vcc_hi, v5
	v_xor_b32_e32 v5, vcc_lo, v5
	v_and_b32_e32 v14, v14, v5
	v_lshlrev_b32_e32 v5, 29, v0
	v_cmp_gt_i64_e32 vcc, 0, v[4:5]
	v_not_b32_e32 v5, v5
	v_and_b32_e32 v1, exec_hi, v1
	v_ashrrev_i32_e32 v5, 31, v5
	v_and_b32_e32 v1, v1, v16
	v_xor_b32_e32 v16, vcc_hi, v5
	v_xor_b32_e32 v5, vcc_lo, v5
	v_and_b32_e32 v14, v14, v5
	v_lshlrev_b32_e32 v5, 28, v0
	v_cmp_gt_i64_e32 vcc, 0, v[4:5]
	v_not_b32_e32 v5, v5
	v_ashrrev_i32_e32 v5, 31, v5
	v_and_b32_e32 v1, v1, v16
	v_xor_b32_e32 v16, vcc_hi, v5
	v_xor_b32_e32 v5, vcc_lo, v5
	v_and_b32_e32 v14, v14, v5
	v_lshlrev_b32_e32 v5, 27, v0
	v_cmp_gt_i64_e32 vcc, 0, v[4:5]
	v_not_b32_e32 v5, v5
	;; [unrolled: 8-line block ×4, first 2 shown]
	v_ashrrev_i32_e32 v5, 31, v5
	v_and_b32_e32 v1, v1, v16
	v_xor_b32_e32 v16, vcc_hi, v5
	v_xor_b32_e32 v5, vcc_lo, v5
	v_and_b32_e32 v14, v14, v5
	v_lshlrev_b32_e32 v5, 24, v0
	v_not_b32_e32 v0, v5
	v_cmp_gt_i64_e32 vcc, 0, v[4:5]
	v_ashrrev_i32_e32 v0, 31, v0
	v_xor_b32_e32 v4, vcc_hi, v0
	v_xor_b32_e32 v0, vcc_lo, v0
	; wave barrier
	ds_read_b32 v12, v17 offset:64
	v_and_b32_e32 v1, v1, v16
	v_and_b32_e32 v0, v14, v0
	;; [unrolled: 1-line block ×3, first 2 shown]
	v_mbcnt_lo_u32_b32 v4, v0, 0
	v_mbcnt_hi_u32_b32 v14, v1, v4
	v_cmp_eq_u32_e32 vcc, 0, v14
	v_cmp_ne_u64_e64 s[0:1], 0, v[0:1]
	s_and_b64 s[2:3], s[0:1], vcc
	; wave barrier
	s_and_saveexec_b64 s[0:1], s[2:3]
	s_cbranch_execz .LBB1795_87
; %bb.86:
	v_bcnt_u32_b32 v0, v0, 0
	v_bcnt_u32_b32 v0, v1, v0
	s_waitcnt lgkmcnt(0)
	v_add_u32_e32 v0, v12, v0
	ds_write_b32 v17, v0 offset:64
.LBB1795_87:
	s_or_b64 exec, exec, s[0:1]
	s_waitcnt vmcnt(9)
	v_xor_b32_e32 v9, 0x80000000, v9
	v_lshrrev_b32_e32 v0, s16, v9
	v_and_b32_e32 v4, s17, v0
	v_and_b32_e32 v1, 1, v4
	v_add_co_u32_e32 v5, vcc, -1, v1
	v_addc_co_u32_e64 v18, s[0:1], 0, -1, vcc
	v_cmp_ne_u32_e32 vcc, 0, v1
	v_lshl_add_u32 v0, v4, 4, v4
	v_xor_b32_e32 v1, vcc_hi, v18
	v_add_lshl_u32 v23, v22, v0, 2
	v_mov_b32_e32 v0, 0
	v_and_b32_e32 v18, exec_hi, v1
	v_lshlrev_b32_e32 v1, 30, v4
	v_xor_b32_e32 v5, vcc_lo, v5
	v_cmp_gt_i64_e32 vcc, 0, v[0:1]
	v_not_b32_e32 v1, v1
	v_ashrrev_i32_e32 v1, 31, v1
	v_and_b32_e32 v5, exec_lo, v5
	v_xor_b32_e32 v20, vcc_hi, v1
	v_xor_b32_e32 v1, vcc_lo, v1
	v_and_b32_e32 v5, v5, v1
	v_lshlrev_b32_e32 v1, 29, v4
	v_cmp_gt_i64_e32 vcc, 0, v[0:1]
	v_not_b32_e32 v1, v1
	v_ashrrev_i32_e32 v1, 31, v1
	v_and_b32_e32 v18, v18, v20
	v_xor_b32_e32 v20, vcc_hi, v1
	v_xor_b32_e32 v1, vcc_lo, v1
	v_and_b32_e32 v5, v5, v1
	v_lshlrev_b32_e32 v1, 28, v4
	v_cmp_gt_i64_e32 vcc, 0, v[0:1]
	v_not_b32_e32 v1, v1
	v_ashrrev_i32_e32 v1, 31, v1
	v_and_b32_e32 v18, v18, v20
	;; [unrolled: 8-line block ×5, first 2 shown]
	v_xor_b32_e32 v20, vcc_hi, v1
	v_xor_b32_e32 v1, vcc_lo, v1
	v_and_b32_e32 v18, v18, v20
	v_and_b32_e32 v20, v5, v1
	v_lshlrev_b32_e32 v1, 24, v4
	v_cmp_gt_i64_e32 vcc, 0, v[0:1]
	v_not_b32_e32 v1, v1
	v_ashrrev_i32_e32 v1, 31, v1
	v_xor_b32_e32 v4, vcc_hi, v1
	v_xor_b32_e32 v1, vcc_lo, v1
	; wave barrier
	ds_read_b32 v16, v23 offset:64
	v_and_b32_e32 v5, v18, v4
	v_and_b32_e32 v4, v20, v1
	v_mbcnt_lo_u32_b32 v1, v4, 0
	v_mbcnt_hi_u32_b32 v18, v5, v1
	v_cmp_eq_u32_e32 vcc, 0, v18
	v_cmp_ne_u64_e64 s[0:1], 0, v[4:5]
	s_and_b64 s[2:3], s[0:1], vcc
	; wave barrier
	s_and_saveexec_b64 s[0:1], s[2:3]
	s_cbranch_execz .LBB1795_89
; %bb.88:
	v_bcnt_u32_b32 v1, v4, 0
	v_bcnt_u32_b32 v1, v5, v1
	s_waitcnt lgkmcnt(0)
	v_add_u32_e32 v1, v16, v1
	ds_write_b32 v23, v1 offset:64
.LBB1795_89:
	s_or_b64 exec, exec, s[0:1]
	s_waitcnt vmcnt(8)
	v_xor_b32_e32 v11, 0x80000000, v11
	v_lshrrev_b32_e32 v1, s16, v11
	v_and_b32_e32 v4, s17, v1
	v_lshl_add_u32 v1, v4, 4, v4
	v_add_lshl_u32 v28, v22, v1, 2
	v_and_b32_e32 v1, 1, v4
	v_add_co_u32_e32 v5, vcc, -1, v1
	v_addc_co_u32_e64 v24, s[0:1], 0, -1, vcc
	v_cmp_ne_u32_e32 vcc, 0, v1
	v_xor_b32_e32 v1, vcc_hi, v24
	v_and_b32_e32 v24, exec_hi, v1
	v_lshlrev_b32_e32 v1, 30, v4
	v_xor_b32_e32 v5, vcc_lo, v5
	v_cmp_gt_i64_e32 vcc, 0, v[0:1]
	v_not_b32_e32 v1, v1
	v_ashrrev_i32_e32 v1, 31, v1
	v_and_b32_e32 v5, exec_lo, v5
	v_xor_b32_e32 v26, vcc_hi, v1
	v_xor_b32_e32 v1, vcc_lo, v1
	v_and_b32_e32 v5, v5, v1
	v_lshlrev_b32_e32 v1, 29, v4
	v_cmp_gt_i64_e32 vcc, 0, v[0:1]
	v_not_b32_e32 v1, v1
	v_ashrrev_i32_e32 v1, 31, v1
	v_and_b32_e32 v24, v24, v26
	v_xor_b32_e32 v26, vcc_hi, v1
	v_xor_b32_e32 v1, vcc_lo, v1
	v_and_b32_e32 v5, v5, v1
	v_lshlrev_b32_e32 v1, 28, v4
	v_cmp_gt_i64_e32 vcc, 0, v[0:1]
	v_not_b32_e32 v1, v1
	v_ashrrev_i32_e32 v1, 31, v1
	v_and_b32_e32 v24, v24, v26
	;; [unrolled: 8-line block ×5, first 2 shown]
	v_xor_b32_e32 v26, vcc_hi, v1
	v_xor_b32_e32 v1, vcc_lo, v1
	v_and_b32_e32 v5, v5, v1
	v_lshlrev_b32_e32 v1, 24, v4
	v_cmp_gt_i64_e32 vcc, 0, v[0:1]
	v_not_b32_e32 v0, v1
	v_ashrrev_i32_e32 v0, 31, v0
	v_xor_b32_e32 v1, vcc_hi, v0
	v_xor_b32_e32 v0, vcc_lo, v0
	; wave barrier
	ds_read_b32 v20, v28 offset:64
	v_and_b32_e32 v24, v24, v26
	v_and_b32_e32 v0, v5, v0
	;; [unrolled: 1-line block ×3, first 2 shown]
	v_mbcnt_lo_u32_b32 v4, v0, 0
	v_mbcnt_hi_u32_b32 v24, v1, v4
	v_cmp_eq_u32_e32 vcc, 0, v24
	v_cmp_ne_u64_e64 s[0:1], 0, v[0:1]
	s_and_b64 s[2:3], s[0:1], vcc
	; wave barrier
	s_and_saveexec_b64 s[0:1], s[2:3]
	s_cbranch_execz .LBB1795_91
; %bb.90:
	v_bcnt_u32_b32 v0, v0, 0
	v_bcnt_u32_b32 v0, v1, v0
	s_waitcnt lgkmcnt(0)
	v_add_u32_e32 v0, v20, v0
	ds_write_b32 v28, v0 offset:64
.LBB1795_91:
	s_or_b64 exec, exec, s[0:1]
	s_waitcnt vmcnt(7)
	v_xor_b32_e32 v15, 0x80000000, v15
	v_lshrrev_b32_e32 v0, s16, v15
	v_and_b32_e32 v4, s17, v0
	v_and_b32_e32 v1, 1, v4
	v_add_co_u32_e32 v5, vcc, -1, v1
	v_addc_co_u32_e64 v29, s[0:1], 0, -1, vcc
	v_cmp_ne_u32_e32 vcc, 0, v1
	v_lshl_add_u32 v0, v4, 4, v4
	v_xor_b32_e32 v1, vcc_hi, v29
	v_add_lshl_u32 v33, v22, v0, 2
	v_mov_b32_e32 v0, 0
	v_and_b32_e32 v29, exec_hi, v1
	v_lshlrev_b32_e32 v1, 30, v4
	v_xor_b32_e32 v5, vcc_lo, v5
	v_cmp_gt_i64_e32 vcc, 0, v[0:1]
	v_not_b32_e32 v1, v1
	v_ashrrev_i32_e32 v1, 31, v1
	v_and_b32_e32 v5, exec_lo, v5
	v_xor_b32_e32 v31, vcc_hi, v1
	v_xor_b32_e32 v1, vcc_lo, v1
	v_and_b32_e32 v5, v5, v1
	v_lshlrev_b32_e32 v1, 29, v4
	v_cmp_gt_i64_e32 vcc, 0, v[0:1]
	v_not_b32_e32 v1, v1
	v_ashrrev_i32_e32 v1, 31, v1
	v_and_b32_e32 v29, v29, v31
	v_xor_b32_e32 v31, vcc_hi, v1
	v_xor_b32_e32 v1, vcc_lo, v1
	v_and_b32_e32 v5, v5, v1
	v_lshlrev_b32_e32 v1, 28, v4
	v_cmp_gt_i64_e32 vcc, 0, v[0:1]
	v_not_b32_e32 v1, v1
	v_ashrrev_i32_e32 v1, 31, v1
	v_and_b32_e32 v29, v29, v31
	;; [unrolled: 8-line block ×5, first 2 shown]
	v_xor_b32_e32 v31, vcc_hi, v1
	v_xor_b32_e32 v1, vcc_lo, v1
	v_and_b32_e32 v29, v29, v31
	v_and_b32_e32 v31, v5, v1
	v_lshlrev_b32_e32 v1, 24, v4
	v_cmp_gt_i64_e32 vcc, 0, v[0:1]
	v_not_b32_e32 v1, v1
	v_ashrrev_i32_e32 v1, 31, v1
	v_xor_b32_e32 v4, vcc_hi, v1
	v_xor_b32_e32 v1, vcc_lo, v1
	; wave barrier
	ds_read_b32 v26, v33 offset:64
	v_and_b32_e32 v5, v29, v4
	v_and_b32_e32 v4, v31, v1
	v_mbcnt_lo_u32_b32 v1, v4, 0
	v_mbcnt_hi_u32_b32 v29, v5, v1
	v_cmp_eq_u32_e32 vcc, 0, v29
	v_cmp_ne_u64_e64 s[0:1], 0, v[4:5]
	s_and_b64 s[2:3], s[0:1], vcc
	; wave barrier
	s_and_saveexec_b64 s[0:1], s[2:3]
	s_cbranch_execz .LBB1795_93
; %bb.92:
	v_bcnt_u32_b32 v1, v4, 0
	v_bcnt_u32_b32 v1, v5, v1
	s_waitcnt lgkmcnt(0)
	v_add_u32_e32 v1, v26, v1
	ds_write_b32 v33, v1 offset:64
.LBB1795_93:
	s_or_b64 exec, exec, s[0:1]
	s_waitcnt vmcnt(6)
	v_xor_b32_e32 v19, 0x80000000, v19
	v_lshrrev_b32_e32 v1, s16, v19
	v_and_b32_e32 v4, s17, v1
	v_lshl_add_u32 v1, v4, 4, v4
	v_add_lshl_u32 v37, v22, v1, 2
	v_and_b32_e32 v1, 1, v4
	v_add_co_u32_e32 v5, vcc, -1, v1
	v_addc_co_u32_e64 v34, s[0:1], 0, -1, vcc
	v_cmp_ne_u32_e32 vcc, 0, v1
	v_xor_b32_e32 v1, vcc_hi, v34
	v_and_b32_e32 v34, exec_hi, v1
	v_lshlrev_b32_e32 v1, 30, v4
	v_xor_b32_e32 v5, vcc_lo, v5
	v_cmp_gt_i64_e32 vcc, 0, v[0:1]
	v_not_b32_e32 v1, v1
	v_ashrrev_i32_e32 v1, 31, v1
	v_and_b32_e32 v5, exec_lo, v5
	v_xor_b32_e32 v36, vcc_hi, v1
	v_xor_b32_e32 v1, vcc_lo, v1
	v_and_b32_e32 v5, v5, v1
	v_lshlrev_b32_e32 v1, 29, v4
	v_cmp_gt_i64_e32 vcc, 0, v[0:1]
	v_not_b32_e32 v1, v1
	v_ashrrev_i32_e32 v1, 31, v1
	v_and_b32_e32 v34, v34, v36
	v_xor_b32_e32 v36, vcc_hi, v1
	v_xor_b32_e32 v1, vcc_lo, v1
	v_and_b32_e32 v5, v5, v1
	v_lshlrev_b32_e32 v1, 28, v4
	v_cmp_gt_i64_e32 vcc, 0, v[0:1]
	v_not_b32_e32 v1, v1
	v_ashrrev_i32_e32 v1, 31, v1
	v_and_b32_e32 v34, v34, v36
	;; [unrolled: 8-line block ×5, first 2 shown]
	v_xor_b32_e32 v36, vcc_hi, v1
	v_xor_b32_e32 v1, vcc_lo, v1
	v_and_b32_e32 v5, v5, v1
	v_lshlrev_b32_e32 v1, 24, v4
	v_cmp_gt_i64_e32 vcc, 0, v[0:1]
	v_not_b32_e32 v0, v1
	v_ashrrev_i32_e32 v0, 31, v0
	v_xor_b32_e32 v1, vcc_hi, v0
	v_xor_b32_e32 v0, vcc_lo, v0
	; wave barrier
	ds_read_b32 v31, v37 offset:64
	v_and_b32_e32 v34, v34, v36
	v_and_b32_e32 v0, v5, v0
	;; [unrolled: 1-line block ×3, first 2 shown]
	v_mbcnt_lo_u32_b32 v4, v0, 0
	v_mbcnt_hi_u32_b32 v34, v1, v4
	v_cmp_eq_u32_e32 vcc, 0, v34
	v_cmp_ne_u64_e64 s[0:1], 0, v[0:1]
	s_and_b64 s[2:3], s[0:1], vcc
	; wave barrier
	s_and_saveexec_b64 s[0:1], s[2:3]
	s_cbranch_execz .LBB1795_95
; %bb.94:
	v_bcnt_u32_b32 v0, v0, 0
	v_bcnt_u32_b32 v0, v1, v0
	s_waitcnt lgkmcnt(0)
	v_add_u32_e32 v0, v31, v0
	ds_write_b32 v37, v0 offset:64
.LBB1795_95:
	s_or_b64 exec, exec, s[0:1]
	s_waitcnt vmcnt(5)
	v_xor_b32_e32 v25, 0x80000000, v25
	v_lshrrev_b32_e32 v0, s16, v25
	v_and_b32_e32 v4, s17, v0
	v_and_b32_e32 v1, 1, v4
	v_add_co_u32_e32 v5, vcc, -1, v1
	v_addc_co_u32_e64 v38, s[0:1], 0, -1, vcc
	v_cmp_ne_u32_e32 vcc, 0, v1
	v_lshl_add_u32 v0, v4, 4, v4
	v_xor_b32_e32 v1, vcc_hi, v38
	v_add_lshl_u32 v40, v22, v0, 2
	v_mov_b32_e32 v0, 0
	v_and_b32_e32 v38, exec_hi, v1
	v_lshlrev_b32_e32 v1, 30, v4
	v_xor_b32_e32 v5, vcc_lo, v5
	v_cmp_gt_i64_e32 vcc, 0, v[0:1]
	v_not_b32_e32 v1, v1
	v_ashrrev_i32_e32 v1, 31, v1
	v_and_b32_e32 v5, exec_lo, v5
	v_xor_b32_e32 v39, vcc_hi, v1
	v_xor_b32_e32 v1, vcc_lo, v1
	v_and_b32_e32 v5, v5, v1
	v_lshlrev_b32_e32 v1, 29, v4
	v_cmp_gt_i64_e32 vcc, 0, v[0:1]
	v_not_b32_e32 v1, v1
	v_ashrrev_i32_e32 v1, 31, v1
	v_and_b32_e32 v38, v38, v39
	v_xor_b32_e32 v39, vcc_hi, v1
	v_xor_b32_e32 v1, vcc_lo, v1
	v_and_b32_e32 v5, v5, v1
	v_lshlrev_b32_e32 v1, 28, v4
	v_cmp_gt_i64_e32 vcc, 0, v[0:1]
	v_not_b32_e32 v1, v1
	v_ashrrev_i32_e32 v1, 31, v1
	v_and_b32_e32 v38, v38, v39
	;; [unrolled: 8-line block ×5, first 2 shown]
	v_xor_b32_e32 v39, vcc_hi, v1
	v_xor_b32_e32 v1, vcc_lo, v1
	v_and_b32_e32 v38, v38, v39
	v_and_b32_e32 v39, v5, v1
	v_lshlrev_b32_e32 v1, 24, v4
	v_cmp_gt_i64_e32 vcc, 0, v[0:1]
	v_not_b32_e32 v1, v1
	v_ashrrev_i32_e32 v1, 31, v1
	v_xor_b32_e32 v4, vcc_hi, v1
	v_xor_b32_e32 v1, vcc_lo, v1
	; wave barrier
	ds_read_b32 v36, v40 offset:64
	v_and_b32_e32 v5, v38, v4
	v_and_b32_e32 v4, v39, v1
	v_mbcnt_lo_u32_b32 v1, v4, 0
	v_mbcnt_hi_u32_b32 v38, v5, v1
	v_cmp_eq_u32_e32 vcc, 0, v38
	v_cmp_ne_u64_e64 s[0:1], 0, v[4:5]
	s_and_b64 s[2:3], s[0:1], vcc
	; wave barrier
	s_and_saveexec_b64 s[0:1], s[2:3]
	s_cbranch_execz .LBB1795_97
; %bb.96:
	v_bcnt_u32_b32 v1, v4, 0
	v_bcnt_u32_b32 v1, v5, v1
	s_waitcnt lgkmcnt(0)
	v_add_u32_e32 v1, v36, v1
	ds_write_b32 v40, v1 offset:64
.LBB1795_97:
	s_or_b64 exec, exec, s[0:1]
	s_waitcnt vmcnt(4)
	v_xor_b32_e32 v30, 0x80000000, v30
	v_lshrrev_b32_e32 v1, s16, v30
	v_and_b32_e32 v4, s17, v1
	v_lshl_add_u32 v1, v4, 4, v4
	v_add_lshl_u32 v43, v22, v1, 2
	v_and_b32_e32 v1, 1, v4
	v_add_co_u32_e32 v5, vcc, -1, v1
	v_addc_co_u32_e64 v41, s[0:1], 0, -1, vcc
	v_cmp_ne_u32_e32 vcc, 0, v1
	v_xor_b32_e32 v1, vcc_hi, v41
	v_and_b32_e32 v41, exec_hi, v1
	v_lshlrev_b32_e32 v1, 30, v4
	v_xor_b32_e32 v5, vcc_lo, v5
	v_cmp_gt_i64_e32 vcc, 0, v[0:1]
	v_not_b32_e32 v1, v1
	v_ashrrev_i32_e32 v1, 31, v1
	v_and_b32_e32 v5, exec_lo, v5
	v_xor_b32_e32 v42, vcc_hi, v1
	v_xor_b32_e32 v1, vcc_lo, v1
	v_and_b32_e32 v5, v5, v1
	v_lshlrev_b32_e32 v1, 29, v4
	v_cmp_gt_i64_e32 vcc, 0, v[0:1]
	v_not_b32_e32 v1, v1
	v_ashrrev_i32_e32 v1, 31, v1
	v_and_b32_e32 v41, v41, v42
	v_xor_b32_e32 v42, vcc_hi, v1
	v_xor_b32_e32 v1, vcc_lo, v1
	v_and_b32_e32 v5, v5, v1
	v_lshlrev_b32_e32 v1, 28, v4
	v_cmp_gt_i64_e32 vcc, 0, v[0:1]
	v_not_b32_e32 v1, v1
	v_ashrrev_i32_e32 v1, 31, v1
	v_and_b32_e32 v41, v41, v42
	;; [unrolled: 8-line block ×5, first 2 shown]
	v_xor_b32_e32 v42, vcc_hi, v1
	v_xor_b32_e32 v1, vcc_lo, v1
	v_and_b32_e32 v5, v5, v1
	v_lshlrev_b32_e32 v1, 24, v4
	v_cmp_gt_i64_e32 vcc, 0, v[0:1]
	v_not_b32_e32 v0, v1
	v_ashrrev_i32_e32 v0, 31, v0
	v_xor_b32_e32 v1, vcc_hi, v0
	v_xor_b32_e32 v0, vcc_lo, v0
	; wave barrier
	ds_read_b32 v39, v43 offset:64
	v_and_b32_e32 v41, v41, v42
	v_and_b32_e32 v0, v5, v0
	v_and_b32_e32 v1, v41, v1
	v_mbcnt_lo_u32_b32 v4, v0, 0
	v_mbcnt_hi_u32_b32 v41, v1, v4
	v_cmp_eq_u32_e32 vcc, 0, v41
	v_cmp_ne_u64_e64 s[0:1], 0, v[0:1]
	s_and_b64 s[2:3], s[0:1], vcc
	; wave barrier
	s_and_saveexec_b64 s[0:1], s[2:3]
	s_cbranch_execz .LBB1795_99
; %bb.98:
	v_bcnt_u32_b32 v0, v0, 0
	v_bcnt_u32_b32 v0, v1, v0
	s_waitcnt lgkmcnt(0)
	v_add_u32_e32 v0, v39, v0
	ds_write_b32 v43, v0 offset:64
.LBB1795_99:
	s_or_b64 exec, exec, s[0:1]
	s_waitcnt vmcnt(3)
	v_xor_b32_e32 v35, 0x80000000, v35
	v_lshrrev_b32_e32 v0, s16, v35
	v_and_b32_e32 v4, s17, v0
	v_and_b32_e32 v1, 1, v4
	v_add_co_u32_e32 v5, vcc, -1, v1
	v_addc_co_u32_e64 v44, s[0:1], 0, -1, vcc
	v_cmp_ne_u32_e32 vcc, 0, v1
	v_lshl_add_u32 v0, v4, 4, v4
	v_xor_b32_e32 v1, vcc_hi, v44
	v_add_lshl_u32 v46, v22, v0, 2
	v_mov_b32_e32 v0, 0
	v_and_b32_e32 v44, exec_hi, v1
	v_lshlrev_b32_e32 v1, 30, v4
	v_xor_b32_e32 v5, vcc_lo, v5
	v_cmp_gt_i64_e32 vcc, 0, v[0:1]
	v_not_b32_e32 v1, v1
	v_ashrrev_i32_e32 v1, 31, v1
	v_and_b32_e32 v5, exec_lo, v5
	v_xor_b32_e32 v45, vcc_hi, v1
	v_xor_b32_e32 v1, vcc_lo, v1
	v_and_b32_e32 v5, v5, v1
	v_lshlrev_b32_e32 v1, 29, v4
	v_cmp_gt_i64_e32 vcc, 0, v[0:1]
	v_not_b32_e32 v1, v1
	v_ashrrev_i32_e32 v1, 31, v1
	v_and_b32_e32 v44, v44, v45
	v_xor_b32_e32 v45, vcc_hi, v1
	v_xor_b32_e32 v1, vcc_lo, v1
	v_and_b32_e32 v5, v5, v1
	v_lshlrev_b32_e32 v1, 28, v4
	v_cmp_gt_i64_e32 vcc, 0, v[0:1]
	v_not_b32_e32 v1, v1
	v_ashrrev_i32_e32 v1, 31, v1
	v_and_b32_e32 v44, v44, v45
	;; [unrolled: 8-line block ×5, first 2 shown]
	v_xor_b32_e32 v45, vcc_hi, v1
	v_xor_b32_e32 v1, vcc_lo, v1
	v_and_b32_e32 v44, v44, v45
	v_and_b32_e32 v45, v5, v1
	v_lshlrev_b32_e32 v1, 24, v4
	v_cmp_gt_i64_e32 vcc, 0, v[0:1]
	v_not_b32_e32 v1, v1
	v_ashrrev_i32_e32 v1, 31, v1
	v_xor_b32_e32 v4, vcc_hi, v1
	v_xor_b32_e32 v1, vcc_lo, v1
	; wave barrier
	ds_read_b32 v42, v46 offset:64
	v_and_b32_e32 v5, v44, v4
	v_and_b32_e32 v4, v45, v1
	v_mbcnt_lo_u32_b32 v1, v4, 0
	v_mbcnt_hi_u32_b32 v44, v5, v1
	v_cmp_eq_u32_e32 vcc, 0, v44
	v_cmp_ne_u64_e64 s[0:1], 0, v[4:5]
	s_and_b64 s[2:3], s[0:1], vcc
	; wave barrier
	s_and_saveexec_b64 s[0:1], s[2:3]
	s_cbranch_execz .LBB1795_101
; %bb.100:
	v_bcnt_u32_b32 v1, v4, 0
	v_bcnt_u32_b32 v1, v5, v1
	s_waitcnt lgkmcnt(0)
	v_add_u32_e32 v1, v42, v1
	ds_write_b32 v46, v1 offset:64
.LBB1795_101:
	s_or_b64 exec, exec, s[0:1]
	s_waitcnt vmcnt(2)
	v_xor_b32_e32 v32, 0x80000000, v32
	v_lshrrev_b32_e32 v1, s16, v32
	v_and_b32_e32 v4, s17, v1
	v_lshl_add_u32 v1, v4, 4, v4
	v_add_lshl_u32 v49, v22, v1, 2
	v_and_b32_e32 v1, 1, v4
	v_add_co_u32_e32 v5, vcc, -1, v1
	v_addc_co_u32_e64 v47, s[0:1], 0, -1, vcc
	v_cmp_ne_u32_e32 vcc, 0, v1
	v_xor_b32_e32 v1, vcc_hi, v47
	v_and_b32_e32 v47, exec_hi, v1
	v_lshlrev_b32_e32 v1, 30, v4
	v_xor_b32_e32 v5, vcc_lo, v5
	v_cmp_gt_i64_e32 vcc, 0, v[0:1]
	v_not_b32_e32 v1, v1
	v_ashrrev_i32_e32 v1, 31, v1
	v_and_b32_e32 v5, exec_lo, v5
	v_xor_b32_e32 v48, vcc_hi, v1
	v_xor_b32_e32 v1, vcc_lo, v1
	v_and_b32_e32 v5, v5, v1
	v_lshlrev_b32_e32 v1, 29, v4
	v_cmp_gt_i64_e32 vcc, 0, v[0:1]
	v_not_b32_e32 v1, v1
	v_ashrrev_i32_e32 v1, 31, v1
	v_and_b32_e32 v47, v47, v48
	v_xor_b32_e32 v48, vcc_hi, v1
	v_xor_b32_e32 v1, vcc_lo, v1
	v_and_b32_e32 v5, v5, v1
	v_lshlrev_b32_e32 v1, 28, v4
	v_cmp_gt_i64_e32 vcc, 0, v[0:1]
	v_not_b32_e32 v1, v1
	v_ashrrev_i32_e32 v1, 31, v1
	v_and_b32_e32 v47, v47, v48
	v_xor_b32_e32 v48, vcc_hi, v1
	v_xor_b32_e32 v1, vcc_lo, v1
	v_and_b32_e32 v5, v5, v1
	v_lshlrev_b32_e32 v1, 27, v4
	v_cmp_gt_i64_e32 vcc, 0, v[0:1]
	v_not_b32_e32 v1, v1
	v_ashrrev_i32_e32 v1, 31, v1
	v_and_b32_e32 v47, v47, v48
	v_xor_b32_e32 v48, vcc_hi, v1
	v_xor_b32_e32 v1, vcc_lo, v1
	v_and_b32_e32 v5, v5, v1
	v_lshlrev_b32_e32 v1, 26, v4
	v_cmp_gt_i64_e32 vcc, 0, v[0:1]
	v_not_b32_e32 v1, v1
	v_ashrrev_i32_e32 v1, 31, v1
	v_and_b32_e32 v47, v47, v48
	v_xor_b32_e32 v48, vcc_hi, v1
	v_xor_b32_e32 v1, vcc_lo, v1
	v_and_b32_e32 v5, v5, v1
	v_lshlrev_b32_e32 v1, 25, v4
	v_cmp_gt_i64_e32 vcc, 0, v[0:1]
	v_not_b32_e32 v1, v1
	v_ashrrev_i32_e32 v1, 31, v1
	v_and_b32_e32 v47, v47, v48
	v_xor_b32_e32 v48, vcc_hi, v1
	v_xor_b32_e32 v1, vcc_lo, v1
	v_and_b32_e32 v5, v5, v1
	v_lshlrev_b32_e32 v1, 24, v4
	v_cmp_gt_i64_e32 vcc, 0, v[0:1]
	v_not_b32_e32 v0, v1
	v_ashrrev_i32_e32 v0, 31, v0
	v_xor_b32_e32 v1, vcc_hi, v0
	v_xor_b32_e32 v0, vcc_lo, v0
	; wave barrier
	ds_read_b32 v45, v49 offset:64
	v_and_b32_e32 v47, v47, v48
	v_and_b32_e32 v0, v5, v0
	;; [unrolled: 1-line block ×3, first 2 shown]
	v_mbcnt_lo_u32_b32 v4, v0, 0
	v_mbcnt_hi_u32_b32 v47, v1, v4
	v_cmp_eq_u32_e32 vcc, 0, v47
	v_cmp_ne_u64_e64 s[0:1], 0, v[0:1]
	s_and_b64 s[2:3], s[0:1], vcc
	; wave barrier
	s_and_saveexec_b64 s[0:1], s[2:3]
	s_cbranch_execz .LBB1795_103
; %bb.102:
	v_bcnt_u32_b32 v0, v0, 0
	v_bcnt_u32_b32 v0, v1, v0
	s_waitcnt lgkmcnt(0)
	v_add_u32_e32 v0, v45, v0
	ds_write_b32 v49, v0 offset:64
.LBB1795_103:
	s_or_b64 exec, exec, s[0:1]
	s_waitcnt vmcnt(1)
	v_xor_b32_e32 v27, 0x80000000, v27
	v_lshrrev_b32_e32 v0, s16, v27
	v_and_b32_e32 v4, s17, v0
	v_and_b32_e32 v1, 1, v4
	v_add_co_u32_e32 v5, vcc, -1, v1
	v_addc_co_u32_e64 v50, s[0:1], 0, -1, vcc
	v_cmp_ne_u32_e32 vcc, 0, v1
	v_lshl_add_u32 v0, v4, 4, v4
	v_xor_b32_e32 v1, vcc_hi, v50
	v_add_lshl_u32 v52, v22, v0, 2
	v_mov_b32_e32 v0, 0
	v_and_b32_e32 v50, exec_hi, v1
	v_lshlrev_b32_e32 v1, 30, v4
	v_xor_b32_e32 v5, vcc_lo, v5
	v_cmp_gt_i64_e32 vcc, 0, v[0:1]
	v_not_b32_e32 v1, v1
	v_ashrrev_i32_e32 v1, 31, v1
	v_and_b32_e32 v5, exec_lo, v5
	v_xor_b32_e32 v51, vcc_hi, v1
	v_xor_b32_e32 v1, vcc_lo, v1
	v_and_b32_e32 v5, v5, v1
	v_lshlrev_b32_e32 v1, 29, v4
	v_cmp_gt_i64_e32 vcc, 0, v[0:1]
	v_not_b32_e32 v1, v1
	v_ashrrev_i32_e32 v1, 31, v1
	v_and_b32_e32 v50, v50, v51
	v_xor_b32_e32 v51, vcc_hi, v1
	v_xor_b32_e32 v1, vcc_lo, v1
	v_and_b32_e32 v5, v5, v1
	v_lshlrev_b32_e32 v1, 28, v4
	v_cmp_gt_i64_e32 vcc, 0, v[0:1]
	v_not_b32_e32 v1, v1
	v_ashrrev_i32_e32 v1, 31, v1
	v_and_b32_e32 v50, v50, v51
	;; [unrolled: 8-line block ×5, first 2 shown]
	v_xor_b32_e32 v51, vcc_hi, v1
	v_xor_b32_e32 v1, vcc_lo, v1
	v_and_b32_e32 v50, v50, v51
	v_and_b32_e32 v51, v5, v1
	v_lshlrev_b32_e32 v1, 24, v4
	v_cmp_gt_i64_e32 vcc, 0, v[0:1]
	v_not_b32_e32 v1, v1
	v_ashrrev_i32_e32 v1, 31, v1
	v_xor_b32_e32 v4, vcc_hi, v1
	v_xor_b32_e32 v1, vcc_lo, v1
	; wave barrier
	ds_read_b32 v48, v52 offset:64
	v_and_b32_e32 v5, v50, v4
	v_and_b32_e32 v4, v51, v1
	v_mbcnt_lo_u32_b32 v1, v4, 0
	v_mbcnt_hi_u32_b32 v50, v5, v1
	v_cmp_eq_u32_e32 vcc, 0, v50
	v_cmp_ne_u64_e64 s[0:1], 0, v[4:5]
	s_and_b64 s[2:3], s[0:1], vcc
	; wave barrier
	s_and_saveexec_b64 s[0:1], s[2:3]
	s_cbranch_execz .LBB1795_105
; %bb.104:
	v_bcnt_u32_b32 v1, v4, 0
	v_bcnt_u32_b32 v1, v5, v1
	s_waitcnt lgkmcnt(0)
	v_add_u32_e32 v1, v48, v1
	ds_write_b32 v52, v1 offset:64
.LBB1795_105:
	s_or_b64 exec, exec, s[0:1]
	s_waitcnt vmcnt(0)
	v_xor_b32_e32 v21, 0x80000000, v21
	v_lshrrev_b32_e32 v1, s16, v21
	v_and_b32_e32 v4, s17, v1
	v_lshl_add_u32 v1, v4, 4, v4
	v_add_lshl_u32 v54, v22, v1, 2
	v_and_b32_e32 v1, 1, v4
	v_add_co_u32_e32 v5, vcc, -1, v1
	v_addc_co_u32_e64 v22, s[0:1], 0, -1, vcc
	v_cmp_ne_u32_e32 vcc, 0, v1
	v_xor_b32_e32 v1, vcc_hi, v22
	v_and_b32_e32 v22, exec_hi, v1
	v_lshlrev_b32_e32 v1, 30, v4
	v_xor_b32_e32 v5, vcc_lo, v5
	v_cmp_gt_i64_e32 vcc, 0, v[0:1]
	v_not_b32_e32 v1, v1
	v_ashrrev_i32_e32 v1, 31, v1
	v_and_b32_e32 v5, exec_lo, v5
	v_xor_b32_e32 v53, vcc_hi, v1
	v_xor_b32_e32 v1, vcc_lo, v1
	v_and_b32_e32 v5, v5, v1
	v_lshlrev_b32_e32 v1, 29, v4
	v_cmp_gt_i64_e32 vcc, 0, v[0:1]
	v_not_b32_e32 v1, v1
	v_ashrrev_i32_e32 v1, 31, v1
	v_and_b32_e32 v22, v22, v53
	v_xor_b32_e32 v53, vcc_hi, v1
	v_xor_b32_e32 v1, vcc_lo, v1
	v_and_b32_e32 v5, v5, v1
	v_lshlrev_b32_e32 v1, 28, v4
	v_cmp_gt_i64_e32 vcc, 0, v[0:1]
	v_not_b32_e32 v1, v1
	v_ashrrev_i32_e32 v1, 31, v1
	v_and_b32_e32 v22, v22, v53
	v_xor_b32_e32 v53, vcc_hi, v1
	v_xor_b32_e32 v1, vcc_lo, v1
	v_and_b32_e32 v5, v5, v1
	v_lshlrev_b32_e32 v1, 27, v4
	v_cmp_gt_i64_e32 vcc, 0, v[0:1]
	v_not_b32_e32 v1, v1
	v_ashrrev_i32_e32 v1, 31, v1
	v_and_b32_e32 v22, v22, v53
	v_xor_b32_e32 v53, vcc_hi, v1
	v_xor_b32_e32 v1, vcc_lo, v1
	v_and_b32_e32 v5, v5, v1
	v_lshlrev_b32_e32 v1, 26, v4
	v_cmp_gt_i64_e32 vcc, 0, v[0:1]
	v_not_b32_e32 v1, v1
	v_ashrrev_i32_e32 v1, 31, v1
	v_and_b32_e32 v22, v22, v53
	v_xor_b32_e32 v53, vcc_hi, v1
	v_xor_b32_e32 v1, vcc_lo, v1
	v_and_b32_e32 v5, v5, v1
	v_lshlrev_b32_e32 v1, 25, v4
	v_cmp_gt_i64_e32 vcc, 0, v[0:1]
	v_not_b32_e32 v1, v1
	v_ashrrev_i32_e32 v1, 31, v1
	v_and_b32_e32 v22, v22, v53
	v_xor_b32_e32 v53, vcc_hi, v1
	v_xor_b32_e32 v1, vcc_lo, v1
	v_and_b32_e32 v5, v5, v1
	v_lshlrev_b32_e32 v1, 24, v4
	v_cmp_gt_i64_e32 vcc, 0, v[0:1]
	v_not_b32_e32 v0, v1
	v_ashrrev_i32_e32 v0, 31, v0
	v_xor_b32_e32 v1, vcc_hi, v0
	v_xor_b32_e32 v0, vcc_lo, v0
	; wave barrier
	ds_read_b32 v51, v54 offset:64
	v_and_b32_e32 v22, v22, v53
	v_and_b32_e32 v0, v5, v0
	;; [unrolled: 1-line block ×3, first 2 shown]
	v_mbcnt_lo_u32_b32 v4, v0, 0
	v_mbcnt_hi_u32_b32 v53, v1, v4
	v_cmp_eq_u32_e32 vcc, 0, v53
	v_cmp_ne_u64_e64 s[0:1], 0, v[0:1]
	v_add_u32_e32 v55, 64, v7
	s_and_b64 s[2:3], s[0:1], vcc
	; wave barrier
	s_and_saveexec_b64 s[0:1], s[2:3]
	s_cbranch_execz .LBB1795_107
; %bb.106:
	v_bcnt_u32_b32 v0, v0, 0
	v_bcnt_u32_b32 v0, v1, v0
	s_waitcnt lgkmcnt(0)
	v_add_u32_e32 v0, v51, v0
	ds_write_b32 v54, v0 offset:64
.LBB1795_107:
	s_or_b64 exec, exec, s[0:1]
	; wave barrier
	s_waitcnt lgkmcnt(0)
	s_barrier
	ds_read2_b32 v[4:5], v7 offset0:16 offset1:17
	ds_read2_b32 v[0:1], v55 offset0:2 offset1:3
	ds_read_b32 v22, v55 offset:16
	v_cmp_lt_u32_e64 s[8:9], 31, v6
	s_waitcnt lgkmcnt(1)
	v_add3_u32 v56, v5, v4, v0
	s_waitcnt lgkmcnt(0)
	v_add3_u32 v22, v56, v1, v22
	v_and_b32_e32 v56, 15, v6
	v_cmp_eq_u32_e32 vcc, 0, v56
	v_mov_b32_dpp v57, v22 row_shr:1 row_mask:0xf bank_mask:0xf
	v_cndmask_b32_e64 v57, v57, 0, vcc
	v_add_u32_e32 v22, v57, v22
	v_cmp_lt_u32_e64 s[0:1], 1, v56
	v_cmp_lt_u32_e64 s[2:3], 3, v56
	v_mov_b32_dpp v57, v22 row_shr:2 row_mask:0xf bank_mask:0xf
	v_cndmask_b32_e64 v57, 0, v57, s[0:1]
	v_add_u32_e32 v22, v22, v57
	v_cmp_lt_u32_e64 s[4:5], 7, v56
	s_nop 0
	v_mov_b32_dpp v57, v22 row_shr:4 row_mask:0xf bank_mask:0xf
	v_cndmask_b32_e64 v57, 0, v57, s[2:3]
	v_add_u32_e32 v22, v22, v57
	s_nop 1
	v_mov_b32_dpp v57, v22 row_shr:8 row_mask:0xf bank_mask:0xf
	v_cndmask_b32_e64 v56, 0, v57, s[4:5]
	v_add_u32_e32 v22, v22, v56
	v_bfe_i32 v57, v6, 4, 1
	s_nop 0
	v_mov_b32_dpp v56, v22 row_bcast:15 row_mask:0xf bank_mask:0xf
	v_and_b32_e32 v56, v57, v56
	v_add_u32_e32 v22, v22, v56
	v_lshrrev_b32_e32 v57, 6, v2
	s_nop 0
	v_mov_b32_dpp v56, v22 row_bcast:31 row_mask:0xf bank_mask:0xf
	v_cndmask_b32_e64 v56, 0, v56, s[8:9]
	v_add_u32_e32 v56, v22, v56
	v_and_b32_e32 v22, 63, v2
	v_cmp_eq_u32_e64 s[8:9], 63, v22
	s_and_saveexec_b64 s[18:19], s[8:9]
	s_cbranch_execz .LBB1795_109
; %bb.108:
	v_lshlrev_b32_e32 v22, 2, v57
	ds_write_b32 v22, v56
.LBB1795_109:
	s_or_b64 exec, exec, s[18:19]
	v_cmp_gt_u32_e64 s[8:9], 16, v2
	v_lshlrev_b32_e32 v22, 2, v2
	s_waitcnt lgkmcnt(0)
	s_barrier
	s_and_saveexec_b64 s[18:19], s[8:9]
	s_cbranch_execz .LBB1795_111
; %bb.110:
	ds_read_b32 v58, v22
	s_waitcnt lgkmcnt(0)
	s_nop 0
	v_mov_b32_dpp v59, v58 row_shr:1 row_mask:0xf bank_mask:0xf
	v_cndmask_b32_e64 v59, v59, 0, vcc
	v_add_u32_e32 v58, v59, v58
	s_nop 1
	v_mov_b32_dpp v59, v58 row_shr:2 row_mask:0xf bank_mask:0xf
	v_cndmask_b32_e64 v59, 0, v59, s[0:1]
	v_add_u32_e32 v58, v58, v59
	s_nop 1
	v_mov_b32_dpp v59, v58 row_shr:4 row_mask:0xf bank_mask:0xf
	v_cndmask_b32_e64 v59, 0, v59, s[2:3]
	;; [unrolled: 4-line block ×3, first 2 shown]
	v_add_u32_e32 v58, v58, v59
	ds_write_b32 v22, v58
.LBB1795_111:
	s_or_b64 exec, exec, s[18:19]
	v_cmp_lt_u32_e32 vcc, 63, v2
	v_mov_b32_e32 v58, 0
	s_waitcnt lgkmcnt(0)
	s_barrier
	s_and_saveexec_b64 s[0:1], vcc
	s_cbranch_execz .LBB1795_113
; %bb.112:
	v_lshl_add_u32 v57, v57, 2, -4
	ds_read_b32 v58, v57
.LBB1795_113:
	s_or_b64 exec, exec, s[0:1]
	v_add_u32_e32 v57, -1, v6
	v_and_b32_e32 v59, 64, v6
	v_cmp_lt_i32_e32 vcc, v57, v59
	v_cndmask_b32_e32 v57, v57, v6, vcc
	s_waitcnt lgkmcnt(0)
	v_add_u32_e32 v56, v58, v56
	v_lshlrev_b32_e32 v57, 2, v57
	ds_bpermute_b32 v56, v57, v56
	v_cmp_eq_u32_e32 vcc, 0, v6
	s_movk_i32 s0, 0x100
	s_waitcnt lgkmcnt(0)
	v_cndmask_b32_e32 v6, v56, v58, vcc
	v_cmp_ne_u32_e32 vcc, 0, v2
	v_cndmask_b32_e32 v6, 0, v6, vcc
	v_add_u32_e32 v4, v6, v4
	v_add_u32_e32 v5, v4, v5
	;; [unrolled: 1-line block ×4, first 2 shown]
	ds_write2_b32 v7, v6, v4 offset0:16 offset1:17
	ds_write2_b32 v55, v5, v0 offset0:2 offset1:3
	ds_write_b32 v55, v1 offset:16
	s_waitcnt lgkmcnt(0)
	s_barrier
	ds_read_b32 v59, v13 offset:64
	ds_read_b32 v55, v17 offset:64
	ds_read_b32 v56, v23 offset:64
	ds_read_b32 v57, v28 offset:64
	ds_read_b32 v58, v33 offset:64
	ds_read_b32 v37, v37 offset:64
	ds_read_b32 v33, v40 offset:64
	ds_read_b32 v28, v43 offset:64
	ds_read_b32 v23, v46 offset:64
	ds_read_b32 v40, v49 offset:64
	ds_read_b32 v43, v52 offset:64
	ds_read_b32 v46, v54 offset:64
	v_cmp_gt_u32_e32 vcc, s0, v2
                                        ; implicit-def: $vgpr13
                                        ; implicit-def: $vgpr17
	s_and_saveexec_b64 s[2:3], vcc
	s_cbranch_execz .LBB1795_117
; %bb.114:
	v_mul_u32_u24_e32 v0, 17, v2
	v_lshlrev_b32_e32 v1, 2, v0
	ds_read_b32 v13, v1 offset:64
	s_movk_i32 s0, 0xff
	v_cmp_ne_u32_e64 s[0:1], s0, v2
	v_mov_b32_e32 v0, 0x3000
	s_and_saveexec_b64 s[4:5], s[0:1]
	s_cbranch_execz .LBB1795_116
; %bb.115:
	ds_read_b32 v0, v1 offset:132
.LBB1795_116:
	s_or_b64 exec, exec, s[4:5]
	s_waitcnt lgkmcnt(0)
	v_sub_u32_e32 v17, v0, v13
.LBB1795_117:
	s_or_b64 exec, exec, s[2:3]
	s_waitcnt lgkmcnt(0)
	s_barrier
	s_and_saveexec_b64 s[2:3], vcc
	s_cbranch_execz .LBB1795_127
; %bb.118:
	v_lshl_or_b32 v0, s6, 8, v2
	v_mov_b32_e32 v1, 0
	v_lshlrev_b64 v[4:5], 2, v[0:1]
	v_mov_b32_e32 v49, s25
	v_add_co_u32_e64 v4, s[0:1], s24, v4
	v_addc_co_u32_e64 v5, s[0:1], v49, v5, s[0:1]
	v_or_b32_e32 v0, 2.0, v17
	s_mov_b64 s[4:5], 0
	s_brev_b32 s20, 1
	s_mov_b32 s21, s6
	v_mov_b32_e32 v52, 0
	global_store_dword v[4:5], v0, off
                                        ; implicit-def: $sgpr0_sgpr1
	s_branch .LBB1795_121
.LBB1795_119:                           ;   in Loop: Header=BB1795_121 Depth=1
	s_or_b64 exec, exec, s[18:19]
.LBB1795_120:                           ;   in Loop: Header=BB1795_121 Depth=1
	s_or_b64 exec, exec, s[8:9]
	v_and_b32_e32 v6, 0x3fffffff, v54
	v_add_u32_e32 v52, v6, v52
	v_cmp_eq_u32_e64 s[0:1], s20, v0
	s_and_b64 s[8:9], exec, s[0:1]
	s_or_b64 s[4:5], s[8:9], s[4:5]
	s_andn2_b64 exec, exec, s[4:5]
	s_cbranch_execz .LBB1795_126
.LBB1795_121:                           ; =>This Loop Header: Depth=1
                                        ;     Child Loop BB1795_124 Depth 2
	s_or_b64 s[0:1], s[0:1], exec
	s_cmp_eq_u32 s21, 0
	s_cbranch_scc1 .LBB1795_125
; %bb.122:                              ;   in Loop: Header=BB1795_121 Depth=1
	s_add_i32 s21, s21, -1
	v_lshl_or_b32 v0, s21, 8, v2
	v_lshlrev_b64 v[6:7], 2, v[0:1]
	v_add_co_u32_e64 v6, s[0:1], s24, v6
	v_addc_co_u32_e64 v7, s[0:1], v49, v7, s[0:1]
	global_load_dword v54, v[6:7], off glc
	s_waitcnt vmcnt(0)
	v_and_b32_e32 v0, -2.0, v54
	v_cmp_eq_u32_e64 s[0:1], 0, v0
	s_and_saveexec_b64 s[8:9], s[0:1]
	s_cbranch_execz .LBB1795_120
; %bb.123:                              ;   in Loop: Header=BB1795_121 Depth=1
	s_mov_b64 s[18:19], 0
.LBB1795_124:                           ;   Parent Loop BB1795_121 Depth=1
                                        ; =>  This Inner Loop Header: Depth=2
	global_load_dword v54, v[6:7], off glc
	s_waitcnt vmcnt(0)
	v_and_b32_e32 v0, -2.0, v54
	v_cmp_ne_u32_e64 s[0:1], 0, v0
	s_or_b64 s[18:19], s[0:1], s[18:19]
	s_andn2_b64 exec, exec, s[18:19]
	s_cbranch_execnz .LBB1795_124
	s_branch .LBB1795_119
.LBB1795_125:                           ;   in Loop: Header=BB1795_121 Depth=1
                                        ; implicit-def: $sgpr21
	s_and_b64 s[8:9], exec, s[0:1]
	s_or_b64 s[4:5], s[8:9], s[4:5]
	s_andn2_b64 exec, exec, s[4:5]
	s_cbranch_execnz .LBB1795_121
.LBB1795_126:
	s_or_b64 exec, exec, s[4:5]
	v_add_u32_e32 v0, v52, v17
	v_or_b32_e32 v0, 0x80000000, v0
	global_store_dword v[4:5], v0, off
	global_load_dword v0, v22, s[12:13]
	v_sub_u32_e32 v1, v52, v13
	s_waitcnt vmcnt(0)
	v_add_u32_e32 v0, v1, v0
	ds_write_b32 v22, v0
.LBB1795_127:
	s_or_b64 exec, exec, s[2:3]
	v_add_u32_e32 v4, v59, v10
	s_movk_i32 s2, 0x400
	v_add_u32_e32 v5, 0x400, v22
	v_add3_u32 v6, v53, v46, v51
	v_add3_u32 v7, v50, v43, v48
	;; [unrolled: 1-line block ×11, first 2 shown]
	s_mov_b32 s3, 0
	v_mov_b32_e32 v14, s23
	s_movk_i32 s4, 0x800
	s_movk_i32 s5, 0xc00
	v_mov_b32_e32 v1, 0
	v_mov_b32_e32 v18, v2
.LBB1795_128:                           ; =>This Inner Loop Header: Depth=1
	v_add_u32_e32 v0, s3, v4
	v_add_u32_e32 v36, s3, v26
	;; [unrolled: 1-line block ×12, first 2 shown]
	v_min_u32_e32 v0, 0x1000, v0
	v_min_u32_e32 v36, 0x1000, v36
	;; [unrolled: 1-line block ×12, first 2 shown]
	v_lshlrev_b32_e32 v0, 2, v0
	v_lshlrev_b32_e32 v36, 2, v36
	;; [unrolled: 1-line block ×12, first 2 shown]
	ds_write_b32 v0, v3 offset:1024
	ds_write_b32 v24, v8 offset:1024
	;; [unrolled: 1-line block ×12, first 2 shown]
	s_waitcnt lgkmcnt(0)
	s_barrier
	ds_read_b32 v0, v22 offset:1024
	ds_read2st64_b32 v[36:37], v5 offset0:16 offset1:32
	s_addk_i32 s3, 0xf000
	s_cmpk_lg_i32 s3, 0xd000
	s_waitcnt lgkmcnt(1)
	v_lshrrev_b32_e32 v24, s16, v0
	v_xor_b32_e32 v29, 0x80000000, v0
	s_waitcnt lgkmcnt(0)
	v_lshrrev_b32_e32 v0, s16, v36
	v_xor_b32_e32 v34, 0x80000000, v36
	v_lshrrev_b32_e32 v36, s16, v37
	v_and_b32_e32 v24, s17, v24
	v_and_b32_e32 v0, s17, v0
	;; [unrolled: 1-line block ×3, first 2 shown]
	v_lshlrev_b32_e32 v24, 2, v24
	v_lshlrev_b32_e32 v0, 2, v0
	;; [unrolled: 1-line block ×3, first 2 shown]
	ds_read_b32 v38, v0
	ds_read_b32 v41, v36
	;; [unrolled: 1-line block ×3, first 2 shown]
	ds_read_b32 v24, v5 offset:12288
	v_xor_b32_e32 v40, 0x80000000, v37
	s_waitcnt lgkmcnt(1)
	v_add_u32_e32 v0, v18, v0
	v_lshlrev_b64 v[36:37], 2, v[0:1]
	s_waitcnt lgkmcnt(0)
	v_lshrrev_b32_e32 v39, s16, v24
	v_add3_u32 v0, v18, v38, s2
	v_add_co_u32_e64 v36, s[0:1], s22, v36
	v_and_b32_e32 v42, s17, v39
	v_addc_co_u32_e64 v37, s[0:1], v14, v37, s[0:1]
	v_lshlrev_b64 v[38:39], 2, v[0:1]
	v_add3_u32 v0, v18, v41, s4
	v_lshlrev_b32_e32 v41, 2, v42
	global_store_dword v[36:37], v29, off
	v_add_co_u32_e64 v36, s[0:1], s22, v38
	v_addc_co_u32_e64 v37, s[0:1], v14, v39, s[0:1]
	v_lshlrev_b64 v[38:39], 2, v[0:1]
	ds_read_b32 v0, v41
	global_store_dword v[36:37], v34, off
	v_add_co_u32_e64 v36, s[0:1], s22, v38
	v_addc_co_u32_e64 v37, s[0:1], v14, v39, s[0:1]
	s_waitcnt lgkmcnt(0)
	v_add3_u32 v0, v18, v0, s5
	global_store_dword v[36:37], v40, off
	v_lshlrev_b64 v[36:37], 2, v[0:1]
	v_add_co_u32_e64 v36, s[0:1], s22, v36
	v_xor_b32_e32 v24, 0x80000000, v24
	v_add_u32_e32 v18, 0x1000, v18
	v_addc_co_u32_e64 v37, s[0:1], v14, v37, s[0:1]
	global_store_dword v[36:37], v24, off
	s_barrier
	s_cbranch_scc1 .LBB1795_128
; %bb.129:
	s_add_i32 s7, s7, -1
	s_cmp_eq_u32 s7, s6
	s_cselect_b64 s[0:1], -1, 0
	s_and_b64 s[2:3], vcc, s[0:1]
                                        ; implicit-def: $vgpr4
	s_and_saveexec_b64 s[0:1], s[2:3]
; %bb.130:
	v_add_u32_e32 v4, v13, v17
	s_or_b64 s[10:11], s[10:11], exec
; %bb.131:
	s_or_b64 exec, exec, s[0:1]
.LBB1795_132:
	s_and_saveexec_b64 s[0:1], s[10:11]
	s_cbranch_execnz .LBB1795_134
; %bb.133:
	s_endpgm
.LBB1795_134:
	v_mov_b32_e32 v3, 0
	v_lshlrev_b32_e32 v5, 2, v2
	v_lshlrev_b64 v[0:1], 2, v[2:3]
	ds_read_b32 v3, v5
	v_mov_b32_e32 v2, s15
	v_add_co_u32_e32 v0, vcc, s14, v0
	v_addc_co_u32_e32 v1, vcc, v2, v1, vcc
	s_waitcnt lgkmcnt(0)
	v_add_u32_e32 v2, v3, v4
	global_store_dword v[0:1], v2, off
	s_endpgm
	.section	.rodata,"a",@progbits
	.p2align	6, 0x0
	.amdhsa_kernel _ZN7rocprim17ROCPRIM_400000_NS6detail17trampoline_kernelINS0_14default_configENS1_35radix_sort_onesweep_config_selectorIiNS0_10empty_typeEEEZZNS1_29radix_sort_onesweep_iterationIS3_Lb0EN6thrust23THRUST_200600_302600_NS6detail15normal_iteratorINS9_10device_ptrIiEEEESE_PS5_SF_jNS0_19identity_decomposerENS1_16block_id_wrapperIjLb0EEEEE10hipError_tT1_PNSt15iterator_traitsISK_E10value_typeET2_T3_PNSL_ISQ_E10value_typeET4_T5_PSV_SW_PNS1_23onesweep_lookback_stateEbbT6_jjT7_P12ihipStream_tbENKUlT_T0_SK_SP_E_clIPiSE_SF_SF_EEDaS13_S14_SK_SP_EUlS13_E_NS1_11comp_targetILNS1_3genE4ELNS1_11target_archE910ELNS1_3gpuE8ELNS1_3repE0EEENS1_47radix_sort_onesweep_sort_config_static_selectorELNS0_4arch9wavefront6targetE1EEEvSK_
		.amdhsa_group_segment_fixed_size 20552
		.amdhsa_private_segment_fixed_size 0
		.amdhsa_kernarg_size 344
		.amdhsa_user_sgpr_count 6
		.amdhsa_user_sgpr_private_segment_buffer 1
		.amdhsa_user_sgpr_dispatch_ptr 0
		.amdhsa_user_sgpr_queue_ptr 0
		.amdhsa_user_sgpr_kernarg_segment_ptr 1
		.amdhsa_user_sgpr_dispatch_id 0
		.amdhsa_user_sgpr_flat_scratch_init 0
		.amdhsa_user_sgpr_kernarg_preload_length 0
		.amdhsa_user_sgpr_kernarg_preload_offset 0
		.amdhsa_user_sgpr_private_segment_size 0
		.amdhsa_uses_dynamic_stack 0
		.amdhsa_system_sgpr_private_segment_wavefront_offset 0
		.amdhsa_system_sgpr_workgroup_id_x 1
		.amdhsa_system_sgpr_workgroup_id_y 0
		.amdhsa_system_sgpr_workgroup_id_z 0
		.amdhsa_system_sgpr_workgroup_info 0
		.amdhsa_system_vgpr_workitem_id 2
		.amdhsa_next_free_vgpr 62
		.amdhsa_next_free_sgpr 31
		.amdhsa_accum_offset 64
		.amdhsa_reserve_vcc 1
		.amdhsa_reserve_flat_scratch 0
		.amdhsa_float_round_mode_32 0
		.amdhsa_float_round_mode_16_64 0
		.amdhsa_float_denorm_mode_32 3
		.amdhsa_float_denorm_mode_16_64 3
		.amdhsa_dx10_clamp 1
		.amdhsa_ieee_mode 1
		.amdhsa_fp16_overflow 0
		.amdhsa_tg_split 0
		.amdhsa_exception_fp_ieee_invalid_op 0
		.amdhsa_exception_fp_denorm_src 0
		.amdhsa_exception_fp_ieee_div_zero 0
		.amdhsa_exception_fp_ieee_overflow 0
		.amdhsa_exception_fp_ieee_underflow 0
		.amdhsa_exception_fp_ieee_inexact 0
		.amdhsa_exception_int_div_zero 0
	.end_amdhsa_kernel
	.section	.text._ZN7rocprim17ROCPRIM_400000_NS6detail17trampoline_kernelINS0_14default_configENS1_35radix_sort_onesweep_config_selectorIiNS0_10empty_typeEEEZZNS1_29radix_sort_onesweep_iterationIS3_Lb0EN6thrust23THRUST_200600_302600_NS6detail15normal_iteratorINS9_10device_ptrIiEEEESE_PS5_SF_jNS0_19identity_decomposerENS1_16block_id_wrapperIjLb0EEEEE10hipError_tT1_PNSt15iterator_traitsISK_E10value_typeET2_T3_PNSL_ISQ_E10value_typeET4_T5_PSV_SW_PNS1_23onesweep_lookback_stateEbbT6_jjT7_P12ihipStream_tbENKUlT_T0_SK_SP_E_clIPiSE_SF_SF_EEDaS13_S14_SK_SP_EUlS13_E_NS1_11comp_targetILNS1_3genE4ELNS1_11target_archE910ELNS1_3gpuE8ELNS1_3repE0EEENS1_47radix_sort_onesweep_sort_config_static_selectorELNS0_4arch9wavefront6targetE1EEEvSK_,"axG",@progbits,_ZN7rocprim17ROCPRIM_400000_NS6detail17trampoline_kernelINS0_14default_configENS1_35radix_sort_onesweep_config_selectorIiNS0_10empty_typeEEEZZNS1_29radix_sort_onesweep_iterationIS3_Lb0EN6thrust23THRUST_200600_302600_NS6detail15normal_iteratorINS9_10device_ptrIiEEEESE_PS5_SF_jNS0_19identity_decomposerENS1_16block_id_wrapperIjLb0EEEEE10hipError_tT1_PNSt15iterator_traitsISK_E10value_typeET2_T3_PNSL_ISQ_E10value_typeET4_T5_PSV_SW_PNS1_23onesweep_lookback_stateEbbT6_jjT7_P12ihipStream_tbENKUlT_T0_SK_SP_E_clIPiSE_SF_SF_EEDaS13_S14_SK_SP_EUlS13_E_NS1_11comp_targetILNS1_3genE4ELNS1_11target_archE910ELNS1_3gpuE8ELNS1_3repE0EEENS1_47radix_sort_onesweep_sort_config_static_selectorELNS0_4arch9wavefront6targetE1EEEvSK_,comdat
.Lfunc_end1795:
	.size	_ZN7rocprim17ROCPRIM_400000_NS6detail17trampoline_kernelINS0_14default_configENS1_35radix_sort_onesweep_config_selectorIiNS0_10empty_typeEEEZZNS1_29radix_sort_onesweep_iterationIS3_Lb0EN6thrust23THRUST_200600_302600_NS6detail15normal_iteratorINS9_10device_ptrIiEEEESE_PS5_SF_jNS0_19identity_decomposerENS1_16block_id_wrapperIjLb0EEEEE10hipError_tT1_PNSt15iterator_traitsISK_E10value_typeET2_T3_PNSL_ISQ_E10value_typeET4_T5_PSV_SW_PNS1_23onesweep_lookback_stateEbbT6_jjT7_P12ihipStream_tbENKUlT_T0_SK_SP_E_clIPiSE_SF_SF_EEDaS13_S14_SK_SP_EUlS13_E_NS1_11comp_targetILNS1_3genE4ELNS1_11target_archE910ELNS1_3gpuE8ELNS1_3repE0EEENS1_47radix_sort_onesweep_sort_config_static_selectorELNS0_4arch9wavefront6targetE1EEEvSK_, .Lfunc_end1795-_ZN7rocprim17ROCPRIM_400000_NS6detail17trampoline_kernelINS0_14default_configENS1_35radix_sort_onesweep_config_selectorIiNS0_10empty_typeEEEZZNS1_29radix_sort_onesweep_iterationIS3_Lb0EN6thrust23THRUST_200600_302600_NS6detail15normal_iteratorINS9_10device_ptrIiEEEESE_PS5_SF_jNS0_19identity_decomposerENS1_16block_id_wrapperIjLb0EEEEE10hipError_tT1_PNSt15iterator_traitsISK_E10value_typeET2_T3_PNSL_ISQ_E10value_typeET4_T5_PSV_SW_PNS1_23onesweep_lookback_stateEbbT6_jjT7_P12ihipStream_tbENKUlT_T0_SK_SP_E_clIPiSE_SF_SF_EEDaS13_S14_SK_SP_EUlS13_E_NS1_11comp_targetILNS1_3genE4ELNS1_11target_archE910ELNS1_3gpuE8ELNS1_3repE0EEENS1_47radix_sort_onesweep_sort_config_static_selectorELNS0_4arch9wavefront6targetE1EEEvSK_
                                        ; -- End function
	.section	.AMDGPU.csdata,"",@progbits
; Kernel info:
; codeLenInByte = 14172
; NumSgprs: 35
; NumVgprs: 62
; NumAgprs: 0
; TotalNumVgprs: 62
; ScratchSize: 0
; MemoryBound: 0
; FloatMode: 240
; IeeeMode: 1
; LDSByteSize: 20552 bytes/workgroup (compile time only)
; SGPRBlocks: 4
; VGPRBlocks: 7
; NumSGPRsForWavesPerEU: 35
; NumVGPRsForWavesPerEU: 62
; AccumOffset: 64
; Occupancy: 8
; WaveLimiterHint : 1
; COMPUTE_PGM_RSRC2:SCRATCH_EN: 0
; COMPUTE_PGM_RSRC2:USER_SGPR: 6
; COMPUTE_PGM_RSRC2:TRAP_HANDLER: 0
; COMPUTE_PGM_RSRC2:TGID_X_EN: 1
; COMPUTE_PGM_RSRC2:TGID_Y_EN: 0
; COMPUTE_PGM_RSRC2:TGID_Z_EN: 0
; COMPUTE_PGM_RSRC2:TIDIG_COMP_CNT: 2
; COMPUTE_PGM_RSRC3_GFX90A:ACCUM_OFFSET: 15
; COMPUTE_PGM_RSRC3_GFX90A:TG_SPLIT: 0
	.section	.text._ZN7rocprim17ROCPRIM_400000_NS6detail17trampoline_kernelINS0_14default_configENS1_35radix_sort_onesweep_config_selectorIiNS0_10empty_typeEEEZZNS1_29radix_sort_onesweep_iterationIS3_Lb0EN6thrust23THRUST_200600_302600_NS6detail15normal_iteratorINS9_10device_ptrIiEEEESE_PS5_SF_jNS0_19identity_decomposerENS1_16block_id_wrapperIjLb0EEEEE10hipError_tT1_PNSt15iterator_traitsISK_E10value_typeET2_T3_PNSL_ISQ_E10value_typeET4_T5_PSV_SW_PNS1_23onesweep_lookback_stateEbbT6_jjT7_P12ihipStream_tbENKUlT_T0_SK_SP_E_clIPiSE_SF_SF_EEDaS13_S14_SK_SP_EUlS13_E_NS1_11comp_targetILNS1_3genE3ELNS1_11target_archE908ELNS1_3gpuE7ELNS1_3repE0EEENS1_47radix_sort_onesweep_sort_config_static_selectorELNS0_4arch9wavefront6targetE1EEEvSK_,"axG",@progbits,_ZN7rocprim17ROCPRIM_400000_NS6detail17trampoline_kernelINS0_14default_configENS1_35radix_sort_onesweep_config_selectorIiNS0_10empty_typeEEEZZNS1_29radix_sort_onesweep_iterationIS3_Lb0EN6thrust23THRUST_200600_302600_NS6detail15normal_iteratorINS9_10device_ptrIiEEEESE_PS5_SF_jNS0_19identity_decomposerENS1_16block_id_wrapperIjLb0EEEEE10hipError_tT1_PNSt15iterator_traitsISK_E10value_typeET2_T3_PNSL_ISQ_E10value_typeET4_T5_PSV_SW_PNS1_23onesweep_lookback_stateEbbT6_jjT7_P12ihipStream_tbENKUlT_T0_SK_SP_E_clIPiSE_SF_SF_EEDaS13_S14_SK_SP_EUlS13_E_NS1_11comp_targetILNS1_3genE3ELNS1_11target_archE908ELNS1_3gpuE7ELNS1_3repE0EEENS1_47radix_sort_onesweep_sort_config_static_selectorELNS0_4arch9wavefront6targetE1EEEvSK_,comdat
	.protected	_ZN7rocprim17ROCPRIM_400000_NS6detail17trampoline_kernelINS0_14default_configENS1_35radix_sort_onesweep_config_selectorIiNS0_10empty_typeEEEZZNS1_29radix_sort_onesweep_iterationIS3_Lb0EN6thrust23THRUST_200600_302600_NS6detail15normal_iteratorINS9_10device_ptrIiEEEESE_PS5_SF_jNS0_19identity_decomposerENS1_16block_id_wrapperIjLb0EEEEE10hipError_tT1_PNSt15iterator_traitsISK_E10value_typeET2_T3_PNSL_ISQ_E10value_typeET4_T5_PSV_SW_PNS1_23onesweep_lookback_stateEbbT6_jjT7_P12ihipStream_tbENKUlT_T0_SK_SP_E_clIPiSE_SF_SF_EEDaS13_S14_SK_SP_EUlS13_E_NS1_11comp_targetILNS1_3genE3ELNS1_11target_archE908ELNS1_3gpuE7ELNS1_3repE0EEENS1_47radix_sort_onesweep_sort_config_static_selectorELNS0_4arch9wavefront6targetE1EEEvSK_ ; -- Begin function _ZN7rocprim17ROCPRIM_400000_NS6detail17trampoline_kernelINS0_14default_configENS1_35radix_sort_onesweep_config_selectorIiNS0_10empty_typeEEEZZNS1_29radix_sort_onesweep_iterationIS3_Lb0EN6thrust23THRUST_200600_302600_NS6detail15normal_iteratorINS9_10device_ptrIiEEEESE_PS5_SF_jNS0_19identity_decomposerENS1_16block_id_wrapperIjLb0EEEEE10hipError_tT1_PNSt15iterator_traitsISK_E10value_typeET2_T3_PNSL_ISQ_E10value_typeET4_T5_PSV_SW_PNS1_23onesweep_lookback_stateEbbT6_jjT7_P12ihipStream_tbENKUlT_T0_SK_SP_E_clIPiSE_SF_SF_EEDaS13_S14_SK_SP_EUlS13_E_NS1_11comp_targetILNS1_3genE3ELNS1_11target_archE908ELNS1_3gpuE7ELNS1_3repE0EEENS1_47radix_sort_onesweep_sort_config_static_selectorELNS0_4arch9wavefront6targetE1EEEvSK_
	.globl	_ZN7rocprim17ROCPRIM_400000_NS6detail17trampoline_kernelINS0_14default_configENS1_35radix_sort_onesweep_config_selectorIiNS0_10empty_typeEEEZZNS1_29radix_sort_onesweep_iterationIS3_Lb0EN6thrust23THRUST_200600_302600_NS6detail15normal_iteratorINS9_10device_ptrIiEEEESE_PS5_SF_jNS0_19identity_decomposerENS1_16block_id_wrapperIjLb0EEEEE10hipError_tT1_PNSt15iterator_traitsISK_E10value_typeET2_T3_PNSL_ISQ_E10value_typeET4_T5_PSV_SW_PNS1_23onesweep_lookback_stateEbbT6_jjT7_P12ihipStream_tbENKUlT_T0_SK_SP_E_clIPiSE_SF_SF_EEDaS13_S14_SK_SP_EUlS13_E_NS1_11comp_targetILNS1_3genE3ELNS1_11target_archE908ELNS1_3gpuE7ELNS1_3repE0EEENS1_47radix_sort_onesweep_sort_config_static_selectorELNS0_4arch9wavefront6targetE1EEEvSK_
	.p2align	8
	.type	_ZN7rocprim17ROCPRIM_400000_NS6detail17trampoline_kernelINS0_14default_configENS1_35radix_sort_onesweep_config_selectorIiNS0_10empty_typeEEEZZNS1_29radix_sort_onesweep_iterationIS3_Lb0EN6thrust23THRUST_200600_302600_NS6detail15normal_iteratorINS9_10device_ptrIiEEEESE_PS5_SF_jNS0_19identity_decomposerENS1_16block_id_wrapperIjLb0EEEEE10hipError_tT1_PNSt15iterator_traitsISK_E10value_typeET2_T3_PNSL_ISQ_E10value_typeET4_T5_PSV_SW_PNS1_23onesweep_lookback_stateEbbT6_jjT7_P12ihipStream_tbENKUlT_T0_SK_SP_E_clIPiSE_SF_SF_EEDaS13_S14_SK_SP_EUlS13_E_NS1_11comp_targetILNS1_3genE3ELNS1_11target_archE908ELNS1_3gpuE7ELNS1_3repE0EEENS1_47radix_sort_onesweep_sort_config_static_selectorELNS0_4arch9wavefront6targetE1EEEvSK_,@function
_ZN7rocprim17ROCPRIM_400000_NS6detail17trampoline_kernelINS0_14default_configENS1_35radix_sort_onesweep_config_selectorIiNS0_10empty_typeEEEZZNS1_29radix_sort_onesweep_iterationIS3_Lb0EN6thrust23THRUST_200600_302600_NS6detail15normal_iteratorINS9_10device_ptrIiEEEESE_PS5_SF_jNS0_19identity_decomposerENS1_16block_id_wrapperIjLb0EEEEE10hipError_tT1_PNSt15iterator_traitsISK_E10value_typeET2_T3_PNSL_ISQ_E10value_typeET4_T5_PSV_SW_PNS1_23onesweep_lookback_stateEbbT6_jjT7_P12ihipStream_tbENKUlT_T0_SK_SP_E_clIPiSE_SF_SF_EEDaS13_S14_SK_SP_EUlS13_E_NS1_11comp_targetILNS1_3genE3ELNS1_11target_archE908ELNS1_3gpuE7ELNS1_3repE0EEENS1_47radix_sort_onesweep_sort_config_static_selectorELNS0_4arch9wavefront6targetE1EEEvSK_: ; @_ZN7rocprim17ROCPRIM_400000_NS6detail17trampoline_kernelINS0_14default_configENS1_35radix_sort_onesweep_config_selectorIiNS0_10empty_typeEEEZZNS1_29radix_sort_onesweep_iterationIS3_Lb0EN6thrust23THRUST_200600_302600_NS6detail15normal_iteratorINS9_10device_ptrIiEEEESE_PS5_SF_jNS0_19identity_decomposerENS1_16block_id_wrapperIjLb0EEEEE10hipError_tT1_PNSt15iterator_traitsISK_E10value_typeET2_T3_PNSL_ISQ_E10value_typeET4_T5_PSV_SW_PNS1_23onesweep_lookback_stateEbbT6_jjT7_P12ihipStream_tbENKUlT_T0_SK_SP_E_clIPiSE_SF_SF_EEDaS13_S14_SK_SP_EUlS13_E_NS1_11comp_targetILNS1_3genE3ELNS1_11target_archE908ELNS1_3gpuE7ELNS1_3repE0EEENS1_47radix_sort_onesweep_sort_config_static_selectorELNS0_4arch9wavefront6targetE1EEEvSK_
; %bb.0:
	.section	.rodata,"a",@progbits
	.p2align	6, 0x0
	.amdhsa_kernel _ZN7rocprim17ROCPRIM_400000_NS6detail17trampoline_kernelINS0_14default_configENS1_35radix_sort_onesweep_config_selectorIiNS0_10empty_typeEEEZZNS1_29radix_sort_onesweep_iterationIS3_Lb0EN6thrust23THRUST_200600_302600_NS6detail15normal_iteratorINS9_10device_ptrIiEEEESE_PS5_SF_jNS0_19identity_decomposerENS1_16block_id_wrapperIjLb0EEEEE10hipError_tT1_PNSt15iterator_traitsISK_E10value_typeET2_T3_PNSL_ISQ_E10value_typeET4_T5_PSV_SW_PNS1_23onesweep_lookback_stateEbbT6_jjT7_P12ihipStream_tbENKUlT_T0_SK_SP_E_clIPiSE_SF_SF_EEDaS13_S14_SK_SP_EUlS13_E_NS1_11comp_targetILNS1_3genE3ELNS1_11target_archE908ELNS1_3gpuE7ELNS1_3repE0EEENS1_47radix_sort_onesweep_sort_config_static_selectorELNS0_4arch9wavefront6targetE1EEEvSK_
		.amdhsa_group_segment_fixed_size 0
		.amdhsa_private_segment_fixed_size 0
		.amdhsa_kernarg_size 88
		.amdhsa_user_sgpr_count 6
		.amdhsa_user_sgpr_private_segment_buffer 1
		.amdhsa_user_sgpr_dispatch_ptr 0
		.amdhsa_user_sgpr_queue_ptr 0
		.amdhsa_user_sgpr_kernarg_segment_ptr 1
		.amdhsa_user_sgpr_dispatch_id 0
		.amdhsa_user_sgpr_flat_scratch_init 0
		.amdhsa_user_sgpr_kernarg_preload_length 0
		.amdhsa_user_sgpr_kernarg_preload_offset 0
		.amdhsa_user_sgpr_private_segment_size 0
		.amdhsa_uses_dynamic_stack 0
		.amdhsa_system_sgpr_private_segment_wavefront_offset 0
		.amdhsa_system_sgpr_workgroup_id_x 1
		.amdhsa_system_sgpr_workgroup_id_y 0
		.amdhsa_system_sgpr_workgroup_id_z 0
		.amdhsa_system_sgpr_workgroup_info 0
		.amdhsa_system_vgpr_workitem_id 0
		.amdhsa_next_free_vgpr 1
		.amdhsa_next_free_sgpr 0
		.amdhsa_accum_offset 4
		.amdhsa_reserve_vcc 0
		.amdhsa_reserve_flat_scratch 0
		.amdhsa_float_round_mode_32 0
		.amdhsa_float_round_mode_16_64 0
		.amdhsa_float_denorm_mode_32 3
		.amdhsa_float_denorm_mode_16_64 3
		.amdhsa_dx10_clamp 1
		.amdhsa_ieee_mode 1
		.amdhsa_fp16_overflow 0
		.amdhsa_tg_split 0
		.amdhsa_exception_fp_ieee_invalid_op 0
		.amdhsa_exception_fp_denorm_src 0
		.amdhsa_exception_fp_ieee_div_zero 0
		.amdhsa_exception_fp_ieee_overflow 0
		.amdhsa_exception_fp_ieee_underflow 0
		.amdhsa_exception_fp_ieee_inexact 0
		.amdhsa_exception_int_div_zero 0
	.end_amdhsa_kernel
	.section	.text._ZN7rocprim17ROCPRIM_400000_NS6detail17trampoline_kernelINS0_14default_configENS1_35radix_sort_onesweep_config_selectorIiNS0_10empty_typeEEEZZNS1_29radix_sort_onesweep_iterationIS3_Lb0EN6thrust23THRUST_200600_302600_NS6detail15normal_iteratorINS9_10device_ptrIiEEEESE_PS5_SF_jNS0_19identity_decomposerENS1_16block_id_wrapperIjLb0EEEEE10hipError_tT1_PNSt15iterator_traitsISK_E10value_typeET2_T3_PNSL_ISQ_E10value_typeET4_T5_PSV_SW_PNS1_23onesweep_lookback_stateEbbT6_jjT7_P12ihipStream_tbENKUlT_T0_SK_SP_E_clIPiSE_SF_SF_EEDaS13_S14_SK_SP_EUlS13_E_NS1_11comp_targetILNS1_3genE3ELNS1_11target_archE908ELNS1_3gpuE7ELNS1_3repE0EEENS1_47radix_sort_onesweep_sort_config_static_selectorELNS0_4arch9wavefront6targetE1EEEvSK_,"axG",@progbits,_ZN7rocprim17ROCPRIM_400000_NS6detail17trampoline_kernelINS0_14default_configENS1_35radix_sort_onesweep_config_selectorIiNS0_10empty_typeEEEZZNS1_29radix_sort_onesweep_iterationIS3_Lb0EN6thrust23THRUST_200600_302600_NS6detail15normal_iteratorINS9_10device_ptrIiEEEESE_PS5_SF_jNS0_19identity_decomposerENS1_16block_id_wrapperIjLb0EEEEE10hipError_tT1_PNSt15iterator_traitsISK_E10value_typeET2_T3_PNSL_ISQ_E10value_typeET4_T5_PSV_SW_PNS1_23onesweep_lookback_stateEbbT6_jjT7_P12ihipStream_tbENKUlT_T0_SK_SP_E_clIPiSE_SF_SF_EEDaS13_S14_SK_SP_EUlS13_E_NS1_11comp_targetILNS1_3genE3ELNS1_11target_archE908ELNS1_3gpuE7ELNS1_3repE0EEENS1_47radix_sort_onesweep_sort_config_static_selectorELNS0_4arch9wavefront6targetE1EEEvSK_,comdat
.Lfunc_end1796:
	.size	_ZN7rocprim17ROCPRIM_400000_NS6detail17trampoline_kernelINS0_14default_configENS1_35radix_sort_onesweep_config_selectorIiNS0_10empty_typeEEEZZNS1_29radix_sort_onesweep_iterationIS3_Lb0EN6thrust23THRUST_200600_302600_NS6detail15normal_iteratorINS9_10device_ptrIiEEEESE_PS5_SF_jNS0_19identity_decomposerENS1_16block_id_wrapperIjLb0EEEEE10hipError_tT1_PNSt15iterator_traitsISK_E10value_typeET2_T3_PNSL_ISQ_E10value_typeET4_T5_PSV_SW_PNS1_23onesweep_lookback_stateEbbT6_jjT7_P12ihipStream_tbENKUlT_T0_SK_SP_E_clIPiSE_SF_SF_EEDaS13_S14_SK_SP_EUlS13_E_NS1_11comp_targetILNS1_3genE3ELNS1_11target_archE908ELNS1_3gpuE7ELNS1_3repE0EEENS1_47radix_sort_onesweep_sort_config_static_selectorELNS0_4arch9wavefront6targetE1EEEvSK_, .Lfunc_end1796-_ZN7rocprim17ROCPRIM_400000_NS6detail17trampoline_kernelINS0_14default_configENS1_35radix_sort_onesweep_config_selectorIiNS0_10empty_typeEEEZZNS1_29radix_sort_onesweep_iterationIS3_Lb0EN6thrust23THRUST_200600_302600_NS6detail15normal_iteratorINS9_10device_ptrIiEEEESE_PS5_SF_jNS0_19identity_decomposerENS1_16block_id_wrapperIjLb0EEEEE10hipError_tT1_PNSt15iterator_traitsISK_E10value_typeET2_T3_PNSL_ISQ_E10value_typeET4_T5_PSV_SW_PNS1_23onesweep_lookback_stateEbbT6_jjT7_P12ihipStream_tbENKUlT_T0_SK_SP_E_clIPiSE_SF_SF_EEDaS13_S14_SK_SP_EUlS13_E_NS1_11comp_targetILNS1_3genE3ELNS1_11target_archE908ELNS1_3gpuE7ELNS1_3repE0EEENS1_47radix_sort_onesweep_sort_config_static_selectorELNS0_4arch9wavefront6targetE1EEEvSK_
                                        ; -- End function
	.section	.AMDGPU.csdata,"",@progbits
; Kernel info:
; codeLenInByte = 0
; NumSgprs: 4
; NumVgprs: 0
; NumAgprs: 0
; TotalNumVgprs: 0
; ScratchSize: 0
; MemoryBound: 0
; FloatMode: 240
; IeeeMode: 1
; LDSByteSize: 0 bytes/workgroup (compile time only)
; SGPRBlocks: 0
; VGPRBlocks: 0
; NumSGPRsForWavesPerEU: 4
; NumVGPRsForWavesPerEU: 1
; AccumOffset: 4
; Occupancy: 8
; WaveLimiterHint : 0
; COMPUTE_PGM_RSRC2:SCRATCH_EN: 0
; COMPUTE_PGM_RSRC2:USER_SGPR: 6
; COMPUTE_PGM_RSRC2:TRAP_HANDLER: 0
; COMPUTE_PGM_RSRC2:TGID_X_EN: 1
; COMPUTE_PGM_RSRC2:TGID_Y_EN: 0
; COMPUTE_PGM_RSRC2:TGID_Z_EN: 0
; COMPUTE_PGM_RSRC2:TIDIG_COMP_CNT: 0
; COMPUTE_PGM_RSRC3_GFX90A:ACCUM_OFFSET: 0
; COMPUTE_PGM_RSRC3_GFX90A:TG_SPLIT: 0
	.section	.text._ZN7rocprim17ROCPRIM_400000_NS6detail17trampoline_kernelINS0_14default_configENS1_35radix_sort_onesweep_config_selectorIiNS0_10empty_typeEEEZZNS1_29radix_sort_onesweep_iterationIS3_Lb0EN6thrust23THRUST_200600_302600_NS6detail15normal_iteratorINS9_10device_ptrIiEEEESE_PS5_SF_jNS0_19identity_decomposerENS1_16block_id_wrapperIjLb0EEEEE10hipError_tT1_PNSt15iterator_traitsISK_E10value_typeET2_T3_PNSL_ISQ_E10value_typeET4_T5_PSV_SW_PNS1_23onesweep_lookback_stateEbbT6_jjT7_P12ihipStream_tbENKUlT_T0_SK_SP_E_clIPiSE_SF_SF_EEDaS13_S14_SK_SP_EUlS13_E_NS1_11comp_targetILNS1_3genE10ELNS1_11target_archE1201ELNS1_3gpuE5ELNS1_3repE0EEENS1_47radix_sort_onesweep_sort_config_static_selectorELNS0_4arch9wavefront6targetE1EEEvSK_,"axG",@progbits,_ZN7rocprim17ROCPRIM_400000_NS6detail17trampoline_kernelINS0_14default_configENS1_35radix_sort_onesweep_config_selectorIiNS0_10empty_typeEEEZZNS1_29radix_sort_onesweep_iterationIS3_Lb0EN6thrust23THRUST_200600_302600_NS6detail15normal_iteratorINS9_10device_ptrIiEEEESE_PS5_SF_jNS0_19identity_decomposerENS1_16block_id_wrapperIjLb0EEEEE10hipError_tT1_PNSt15iterator_traitsISK_E10value_typeET2_T3_PNSL_ISQ_E10value_typeET4_T5_PSV_SW_PNS1_23onesweep_lookback_stateEbbT6_jjT7_P12ihipStream_tbENKUlT_T0_SK_SP_E_clIPiSE_SF_SF_EEDaS13_S14_SK_SP_EUlS13_E_NS1_11comp_targetILNS1_3genE10ELNS1_11target_archE1201ELNS1_3gpuE5ELNS1_3repE0EEENS1_47radix_sort_onesweep_sort_config_static_selectorELNS0_4arch9wavefront6targetE1EEEvSK_,comdat
	.protected	_ZN7rocprim17ROCPRIM_400000_NS6detail17trampoline_kernelINS0_14default_configENS1_35radix_sort_onesweep_config_selectorIiNS0_10empty_typeEEEZZNS1_29radix_sort_onesweep_iterationIS3_Lb0EN6thrust23THRUST_200600_302600_NS6detail15normal_iteratorINS9_10device_ptrIiEEEESE_PS5_SF_jNS0_19identity_decomposerENS1_16block_id_wrapperIjLb0EEEEE10hipError_tT1_PNSt15iterator_traitsISK_E10value_typeET2_T3_PNSL_ISQ_E10value_typeET4_T5_PSV_SW_PNS1_23onesweep_lookback_stateEbbT6_jjT7_P12ihipStream_tbENKUlT_T0_SK_SP_E_clIPiSE_SF_SF_EEDaS13_S14_SK_SP_EUlS13_E_NS1_11comp_targetILNS1_3genE10ELNS1_11target_archE1201ELNS1_3gpuE5ELNS1_3repE0EEENS1_47radix_sort_onesweep_sort_config_static_selectorELNS0_4arch9wavefront6targetE1EEEvSK_ ; -- Begin function _ZN7rocprim17ROCPRIM_400000_NS6detail17trampoline_kernelINS0_14default_configENS1_35radix_sort_onesweep_config_selectorIiNS0_10empty_typeEEEZZNS1_29radix_sort_onesweep_iterationIS3_Lb0EN6thrust23THRUST_200600_302600_NS6detail15normal_iteratorINS9_10device_ptrIiEEEESE_PS5_SF_jNS0_19identity_decomposerENS1_16block_id_wrapperIjLb0EEEEE10hipError_tT1_PNSt15iterator_traitsISK_E10value_typeET2_T3_PNSL_ISQ_E10value_typeET4_T5_PSV_SW_PNS1_23onesweep_lookback_stateEbbT6_jjT7_P12ihipStream_tbENKUlT_T0_SK_SP_E_clIPiSE_SF_SF_EEDaS13_S14_SK_SP_EUlS13_E_NS1_11comp_targetILNS1_3genE10ELNS1_11target_archE1201ELNS1_3gpuE5ELNS1_3repE0EEENS1_47radix_sort_onesweep_sort_config_static_selectorELNS0_4arch9wavefront6targetE1EEEvSK_
	.globl	_ZN7rocprim17ROCPRIM_400000_NS6detail17trampoline_kernelINS0_14default_configENS1_35radix_sort_onesweep_config_selectorIiNS0_10empty_typeEEEZZNS1_29radix_sort_onesweep_iterationIS3_Lb0EN6thrust23THRUST_200600_302600_NS6detail15normal_iteratorINS9_10device_ptrIiEEEESE_PS5_SF_jNS0_19identity_decomposerENS1_16block_id_wrapperIjLb0EEEEE10hipError_tT1_PNSt15iterator_traitsISK_E10value_typeET2_T3_PNSL_ISQ_E10value_typeET4_T5_PSV_SW_PNS1_23onesweep_lookback_stateEbbT6_jjT7_P12ihipStream_tbENKUlT_T0_SK_SP_E_clIPiSE_SF_SF_EEDaS13_S14_SK_SP_EUlS13_E_NS1_11comp_targetILNS1_3genE10ELNS1_11target_archE1201ELNS1_3gpuE5ELNS1_3repE0EEENS1_47radix_sort_onesweep_sort_config_static_selectorELNS0_4arch9wavefront6targetE1EEEvSK_
	.p2align	8
	.type	_ZN7rocprim17ROCPRIM_400000_NS6detail17trampoline_kernelINS0_14default_configENS1_35radix_sort_onesweep_config_selectorIiNS0_10empty_typeEEEZZNS1_29radix_sort_onesweep_iterationIS3_Lb0EN6thrust23THRUST_200600_302600_NS6detail15normal_iteratorINS9_10device_ptrIiEEEESE_PS5_SF_jNS0_19identity_decomposerENS1_16block_id_wrapperIjLb0EEEEE10hipError_tT1_PNSt15iterator_traitsISK_E10value_typeET2_T3_PNSL_ISQ_E10value_typeET4_T5_PSV_SW_PNS1_23onesweep_lookback_stateEbbT6_jjT7_P12ihipStream_tbENKUlT_T0_SK_SP_E_clIPiSE_SF_SF_EEDaS13_S14_SK_SP_EUlS13_E_NS1_11comp_targetILNS1_3genE10ELNS1_11target_archE1201ELNS1_3gpuE5ELNS1_3repE0EEENS1_47radix_sort_onesweep_sort_config_static_selectorELNS0_4arch9wavefront6targetE1EEEvSK_,@function
_ZN7rocprim17ROCPRIM_400000_NS6detail17trampoline_kernelINS0_14default_configENS1_35radix_sort_onesweep_config_selectorIiNS0_10empty_typeEEEZZNS1_29radix_sort_onesweep_iterationIS3_Lb0EN6thrust23THRUST_200600_302600_NS6detail15normal_iteratorINS9_10device_ptrIiEEEESE_PS5_SF_jNS0_19identity_decomposerENS1_16block_id_wrapperIjLb0EEEEE10hipError_tT1_PNSt15iterator_traitsISK_E10value_typeET2_T3_PNSL_ISQ_E10value_typeET4_T5_PSV_SW_PNS1_23onesweep_lookback_stateEbbT6_jjT7_P12ihipStream_tbENKUlT_T0_SK_SP_E_clIPiSE_SF_SF_EEDaS13_S14_SK_SP_EUlS13_E_NS1_11comp_targetILNS1_3genE10ELNS1_11target_archE1201ELNS1_3gpuE5ELNS1_3repE0EEENS1_47radix_sort_onesweep_sort_config_static_selectorELNS0_4arch9wavefront6targetE1EEEvSK_: ; @_ZN7rocprim17ROCPRIM_400000_NS6detail17trampoline_kernelINS0_14default_configENS1_35radix_sort_onesweep_config_selectorIiNS0_10empty_typeEEEZZNS1_29radix_sort_onesweep_iterationIS3_Lb0EN6thrust23THRUST_200600_302600_NS6detail15normal_iteratorINS9_10device_ptrIiEEEESE_PS5_SF_jNS0_19identity_decomposerENS1_16block_id_wrapperIjLb0EEEEE10hipError_tT1_PNSt15iterator_traitsISK_E10value_typeET2_T3_PNSL_ISQ_E10value_typeET4_T5_PSV_SW_PNS1_23onesweep_lookback_stateEbbT6_jjT7_P12ihipStream_tbENKUlT_T0_SK_SP_E_clIPiSE_SF_SF_EEDaS13_S14_SK_SP_EUlS13_E_NS1_11comp_targetILNS1_3genE10ELNS1_11target_archE1201ELNS1_3gpuE5ELNS1_3repE0EEENS1_47radix_sort_onesweep_sort_config_static_selectorELNS0_4arch9wavefront6targetE1EEEvSK_
; %bb.0:
	.section	.rodata,"a",@progbits
	.p2align	6, 0x0
	.amdhsa_kernel _ZN7rocprim17ROCPRIM_400000_NS6detail17trampoline_kernelINS0_14default_configENS1_35radix_sort_onesweep_config_selectorIiNS0_10empty_typeEEEZZNS1_29radix_sort_onesweep_iterationIS3_Lb0EN6thrust23THRUST_200600_302600_NS6detail15normal_iteratorINS9_10device_ptrIiEEEESE_PS5_SF_jNS0_19identity_decomposerENS1_16block_id_wrapperIjLb0EEEEE10hipError_tT1_PNSt15iterator_traitsISK_E10value_typeET2_T3_PNSL_ISQ_E10value_typeET4_T5_PSV_SW_PNS1_23onesweep_lookback_stateEbbT6_jjT7_P12ihipStream_tbENKUlT_T0_SK_SP_E_clIPiSE_SF_SF_EEDaS13_S14_SK_SP_EUlS13_E_NS1_11comp_targetILNS1_3genE10ELNS1_11target_archE1201ELNS1_3gpuE5ELNS1_3repE0EEENS1_47radix_sort_onesweep_sort_config_static_selectorELNS0_4arch9wavefront6targetE1EEEvSK_
		.amdhsa_group_segment_fixed_size 0
		.amdhsa_private_segment_fixed_size 0
		.amdhsa_kernarg_size 88
		.amdhsa_user_sgpr_count 6
		.amdhsa_user_sgpr_private_segment_buffer 1
		.amdhsa_user_sgpr_dispatch_ptr 0
		.amdhsa_user_sgpr_queue_ptr 0
		.amdhsa_user_sgpr_kernarg_segment_ptr 1
		.amdhsa_user_sgpr_dispatch_id 0
		.amdhsa_user_sgpr_flat_scratch_init 0
		.amdhsa_user_sgpr_kernarg_preload_length 0
		.amdhsa_user_sgpr_kernarg_preload_offset 0
		.amdhsa_user_sgpr_private_segment_size 0
		.amdhsa_uses_dynamic_stack 0
		.amdhsa_system_sgpr_private_segment_wavefront_offset 0
		.amdhsa_system_sgpr_workgroup_id_x 1
		.amdhsa_system_sgpr_workgroup_id_y 0
		.amdhsa_system_sgpr_workgroup_id_z 0
		.amdhsa_system_sgpr_workgroup_info 0
		.amdhsa_system_vgpr_workitem_id 0
		.amdhsa_next_free_vgpr 1
		.amdhsa_next_free_sgpr 0
		.amdhsa_accum_offset 4
		.amdhsa_reserve_vcc 0
		.amdhsa_reserve_flat_scratch 0
		.amdhsa_float_round_mode_32 0
		.amdhsa_float_round_mode_16_64 0
		.amdhsa_float_denorm_mode_32 3
		.amdhsa_float_denorm_mode_16_64 3
		.amdhsa_dx10_clamp 1
		.amdhsa_ieee_mode 1
		.amdhsa_fp16_overflow 0
		.amdhsa_tg_split 0
		.amdhsa_exception_fp_ieee_invalid_op 0
		.amdhsa_exception_fp_denorm_src 0
		.amdhsa_exception_fp_ieee_div_zero 0
		.amdhsa_exception_fp_ieee_overflow 0
		.amdhsa_exception_fp_ieee_underflow 0
		.amdhsa_exception_fp_ieee_inexact 0
		.amdhsa_exception_int_div_zero 0
	.end_amdhsa_kernel
	.section	.text._ZN7rocprim17ROCPRIM_400000_NS6detail17trampoline_kernelINS0_14default_configENS1_35radix_sort_onesweep_config_selectorIiNS0_10empty_typeEEEZZNS1_29radix_sort_onesweep_iterationIS3_Lb0EN6thrust23THRUST_200600_302600_NS6detail15normal_iteratorINS9_10device_ptrIiEEEESE_PS5_SF_jNS0_19identity_decomposerENS1_16block_id_wrapperIjLb0EEEEE10hipError_tT1_PNSt15iterator_traitsISK_E10value_typeET2_T3_PNSL_ISQ_E10value_typeET4_T5_PSV_SW_PNS1_23onesweep_lookback_stateEbbT6_jjT7_P12ihipStream_tbENKUlT_T0_SK_SP_E_clIPiSE_SF_SF_EEDaS13_S14_SK_SP_EUlS13_E_NS1_11comp_targetILNS1_3genE10ELNS1_11target_archE1201ELNS1_3gpuE5ELNS1_3repE0EEENS1_47radix_sort_onesweep_sort_config_static_selectorELNS0_4arch9wavefront6targetE1EEEvSK_,"axG",@progbits,_ZN7rocprim17ROCPRIM_400000_NS6detail17trampoline_kernelINS0_14default_configENS1_35radix_sort_onesweep_config_selectorIiNS0_10empty_typeEEEZZNS1_29radix_sort_onesweep_iterationIS3_Lb0EN6thrust23THRUST_200600_302600_NS6detail15normal_iteratorINS9_10device_ptrIiEEEESE_PS5_SF_jNS0_19identity_decomposerENS1_16block_id_wrapperIjLb0EEEEE10hipError_tT1_PNSt15iterator_traitsISK_E10value_typeET2_T3_PNSL_ISQ_E10value_typeET4_T5_PSV_SW_PNS1_23onesweep_lookback_stateEbbT6_jjT7_P12ihipStream_tbENKUlT_T0_SK_SP_E_clIPiSE_SF_SF_EEDaS13_S14_SK_SP_EUlS13_E_NS1_11comp_targetILNS1_3genE10ELNS1_11target_archE1201ELNS1_3gpuE5ELNS1_3repE0EEENS1_47radix_sort_onesweep_sort_config_static_selectorELNS0_4arch9wavefront6targetE1EEEvSK_,comdat
.Lfunc_end1797:
	.size	_ZN7rocprim17ROCPRIM_400000_NS6detail17trampoline_kernelINS0_14default_configENS1_35radix_sort_onesweep_config_selectorIiNS0_10empty_typeEEEZZNS1_29radix_sort_onesweep_iterationIS3_Lb0EN6thrust23THRUST_200600_302600_NS6detail15normal_iteratorINS9_10device_ptrIiEEEESE_PS5_SF_jNS0_19identity_decomposerENS1_16block_id_wrapperIjLb0EEEEE10hipError_tT1_PNSt15iterator_traitsISK_E10value_typeET2_T3_PNSL_ISQ_E10value_typeET4_T5_PSV_SW_PNS1_23onesweep_lookback_stateEbbT6_jjT7_P12ihipStream_tbENKUlT_T0_SK_SP_E_clIPiSE_SF_SF_EEDaS13_S14_SK_SP_EUlS13_E_NS1_11comp_targetILNS1_3genE10ELNS1_11target_archE1201ELNS1_3gpuE5ELNS1_3repE0EEENS1_47radix_sort_onesweep_sort_config_static_selectorELNS0_4arch9wavefront6targetE1EEEvSK_, .Lfunc_end1797-_ZN7rocprim17ROCPRIM_400000_NS6detail17trampoline_kernelINS0_14default_configENS1_35radix_sort_onesweep_config_selectorIiNS0_10empty_typeEEEZZNS1_29radix_sort_onesweep_iterationIS3_Lb0EN6thrust23THRUST_200600_302600_NS6detail15normal_iteratorINS9_10device_ptrIiEEEESE_PS5_SF_jNS0_19identity_decomposerENS1_16block_id_wrapperIjLb0EEEEE10hipError_tT1_PNSt15iterator_traitsISK_E10value_typeET2_T3_PNSL_ISQ_E10value_typeET4_T5_PSV_SW_PNS1_23onesweep_lookback_stateEbbT6_jjT7_P12ihipStream_tbENKUlT_T0_SK_SP_E_clIPiSE_SF_SF_EEDaS13_S14_SK_SP_EUlS13_E_NS1_11comp_targetILNS1_3genE10ELNS1_11target_archE1201ELNS1_3gpuE5ELNS1_3repE0EEENS1_47radix_sort_onesweep_sort_config_static_selectorELNS0_4arch9wavefront6targetE1EEEvSK_
                                        ; -- End function
	.section	.AMDGPU.csdata,"",@progbits
; Kernel info:
; codeLenInByte = 0
; NumSgprs: 4
; NumVgprs: 0
; NumAgprs: 0
; TotalNumVgprs: 0
; ScratchSize: 0
; MemoryBound: 0
; FloatMode: 240
; IeeeMode: 1
; LDSByteSize: 0 bytes/workgroup (compile time only)
; SGPRBlocks: 0
; VGPRBlocks: 0
; NumSGPRsForWavesPerEU: 4
; NumVGPRsForWavesPerEU: 1
; AccumOffset: 4
; Occupancy: 8
; WaveLimiterHint : 0
; COMPUTE_PGM_RSRC2:SCRATCH_EN: 0
; COMPUTE_PGM_RSRC2:USER_SGPR: 6
; COMPUTE_PGM_RSRC2:TRAP_HANDLER: 0
; COMPUTE_PGM_RSRC2:TGID_X_EN: 1
; COMPUTE_PGM_RSRC2:TGID_Y_EN: 0
; COMPUTE_PGM_RSRC2:TGID_Z_EN: 0
; COMPUTE_PGM_RSRC2:TIDIG_COMP_CNT: 0
; COMPUTE_PGM_RSRC3_GFX90A:ACCUM_OFFSET: 0
; COMPUTE_PGM_RSRC3_GFX90A:TG_SPLIT: 0
	.section	.text._ZN7rocprim17ROCPRIM_400000_NS6detail17trampoline_kernelINS0_14default_configENS1_35radix_sort_onesweep_config_selectorIiNS0_10empty_typeEEEZZNS1_29radix_sort_onesweep_iterationIS3_Lb0EN6thrust23THRUST_200600_302600_NS6detail15normal_iteratorINS9_10device_ptrIiEEEESE_PS5_SF_jNS0_19identity_decomposerENS1_16block_id_wrapperIjLb0EEEEE10hipError_tT1_PNSt15iterator_traitsISK_E10value_typeET2_T3_PNSL_ISQ_E10value_typeET4_T5_PSV_SW_PNS1_23onesweep_lookback_stateEbbT6_jjT7_P12ihipStream_tbENKUlT_T0_SK_SP_E_clIPiSE_SF_SF_EEDaS13_S14_SK_SP_EUlS13_E_NS1_11comp_targetILNS1_3genE9ELNS1_11target_archE1100ELNS1_3gpuE3ELNS1_3repE0EEENS1_47radix_sort_onesweep_sort_config_static_selectorELNS0_4arch9wavefront6targetE1EEEvSK_,"axG",@progbits,_ZN7rocprim17ROCPRIM_400000_NS6detail17trampoline_kernelINS0_14default_configENS1_35radix_sort_onesweep_config_selectorIiNS0_10empty_typeEEEZZNS1_29radix_sort_onesweep_iterationIS3_Lb0EN6thrust23THRUST_200600_302600_NS6detail15normal_iteratorINS9_10device_ptrIiEEEESE_PS5_SF_jNS0_19identity_decomposerENS1_16block_id_wrapperIjLb0EEEEE10hipError_tT1_PNSt15iterator_traitsISK_E10value_typeET2_T3_PNSL_ISQ_E10value_typeET4_T5_PSV_SW_PNS1_23onesweep_lookback_stateEbbT6_jjT7_P12ihipStream_tbENKUlT_T0_SK_SP_E_clIPiSE_SF_SF_EEDaS13_S14_SK_SP_EUlS13_E_NS1_11comp_targetILNS1_3genE9ELNS1_11target_archE1100ELNS1_3gpuE3ELNS1_3repE0EEENS1_47radix_sort_onesweep_sort_config_static_selectorELNS0_4arch9wavefront6targetE1EEEvSK_,comdat
	.protected	_ZN7rocprim17ROCPRIM_400000_NS6detail17trampoline_kernelINS0_14default_configENS1_35radix_sort_onesweep_config_selectorIiNS0_10empty_typeEEEZZNS1_29radix_sort_onesweep_iterationIS3_Lb0EN6thrust23THRUST_200600_302600_NS6detail15normal_iteratorINS9_10device_ptrIiEEEESE_PS5_SF_jNS0_19identity_decomposerENS1_16block_id_wrapperIjLb0EEEEE10hipError_tT1_PNSt15iterator_traitsISK_E10value_typeET2_T3_PNSL_ISQ_E10value_typeET4_T5_PSV_SW_PNS1_23onesweep_lookback_stateEbbT6_jjT7_P12ihipStream_tbENKUlT_T0_SK_SP_E_clIPiSE_SF_SF_EEDaS13_S14_SK_SP_EUlS13_E_NS1_11comp_targetILNS1_3genE9ELNS1_11target_archE1100ELNS1_3gpuE3ELNS1_3repE0EEENS1_47radix_sort_onesweep_sort_config_static_selectorELNS0_4arch9wavefront6targetE1EEEvSK_ ; -- Begin function _ZN7rocprim17ROCPRIM_400000_NS6detail17trampoline_kernelINS0_14default_configENS1_35radix_sort_onesweep_config_selectorIiNS0_10empty_typeEEEZZNS1_29radix_sort_onesweep_iterationIS3_Lb0EN6thrust23THRUST_200600_302600_NS6detail15normal_iteratorINS9_10device_ptrIiEEEESE_PS5_SF_jNS0_19identity_decomposerENS1_16block_id_wrapperIjLb0EEEEE10hipError_tT1_PNSt15iterator_traitsISK_E10value_typeET2_T3_PNSL_ISQ_E10value_typeET4_T5_PSV_SW_PNS1_23onesweep_lookback_stateEbbT6_jjT7_P12ihipStream_tbENKUlT_T0_SK_SP_E_clIPiSE_SF_SF_EEDaS13_S14_SK_SP_EUlS13_E_NS1_11comp_targetILNS1_3genE9ELNS1_11target_archE1100ELNS1_3gpuE3ELNS1_3repE0EEENS1_47radix_sort_onesweep_sort_config_static_selectorELNS0_4arch9wavefront6targetE1EEEvSK_
	.globl	_ZN7rocprim17ROCPRIM_400000_NS6detail17trampoline_kernelINS0_14default_configENS1_35radix_sort_onesweep_config_selectorIiNS0_10empty_typeEEEZZNS1_29radix_sort_onesweep_iterationIS3_Lb0EN6thrust23THRUST_200600_302600_NS6detail15normal_iteratorINS9_10device_ptrIiEEEESE_PS5_SF_jNS0_19identity_decomposerENS1_16block_id_wrapperIjLb0EEEEE10hipError_tT1_PNSt15iterator_traitsISK_E10value_typeET2_T3_PNSL_ISQ_E10value_typeET4_T5_PSV_SW_PNS1_23onesweep_lookback_stateEbbT6_jjT7_P12ihipStream_tbENKUlT_T0_SK_SP_E_clIPiSE_SF_SF_EEDaS13_S14_SK_SP_EUlS13_E_NS1_11comp_targetILNS1_3genE9ELNS1_11target_archE1100ELNS1_3gpuE3ELNS1_3repE0EEENS1_47radix_sort_onesweep_sort_config_static_selectorELNS0_4arch9wavefront6targetE1EEEvSK_
	.p2align	8
	.type	_ZN7rocprim17ROCPRIM_400000_NS6detail17trampoline_kernelINS0_14default_configENS1_35radix_sort_onesweep_config_selectorIiNS0_10empty_typeEEEZZNS1_29radix_sort_onesweep_iterationIS3_Lb0EN6thrust23THRUST_200600_302600_NS6detail15normal_iteratorINS9_10device_ptrIiEEEESE_PS5_SF_jNS0_19identity_decomposerENS1_16block_id_wrapperIjLb0EEEEE10hipError_tT1_PNSt15iterator_traitsISK_E10value_typeET2_T3_PNSL_ISQ_E10value_typeET4_T5_PSV_SW_PNS1_23onesweep_lookback_stateEbbT6_jjT7_P12ihipStream_tbENKUlT_T0_SK_SP_E_clIPiSE_SF_SF_EEDaS13_S14_SK_SP_EUlS13_E_NS1_11comp_targetILNS1_3genE9ELNS1_11target_archE1100ELNS1_3gpuE3ELNS1_3repE0EEENS1_47radix_sort_onesweep_sort_config_static_selectorELNS0_4arch9wavefront6targetE1EEEvSK_,@function
_ZN7rocprim17ROCPRIM_400000_NS6detail17trampoline_kernelINS0_14default_configENS1_35radix_sort_onesweep_config_selectorIiNS0_10empty_typeEEEZZNS1_29radix_sort_onesweep_iterationIS3_Lb0EN6thrust23THRUST_200600_302600_NS6detail15normal_iteratorINS9_10device_ptrIiEEEESE_PS5_SF_jNS0_19identity_decomposerENS1_16block_id_wrapperIjLb0EEEEE10hipError_tT1_PNSt15iterator_traitsISK_E10value_typeET2_T3_PNSL_ISQ_E10value_typeET4_T5_PSV_SW_PNS1_23onesweep_lookback_stateEbbT6_jjT7_P12ihipStream_tbENKUlT_T0_SK_SP_E_clIPiSE_SF_SF_EEDaS13_S14_SK_SP_EUlS13_E_NS1_11comp_targetILNS1_3genE9ELNS1_11target_archE1100ELNS1_3gpuE3ELNS1_3repE0EEENS1_47radix_sort_onesweep_sort_config_static_selectorELNS0_4arch9wavefront6targetE1EEEvSK_: ; @_ZN7rocprim17ROCPRIM_400000_NS6detail17trampoline_kernelINS0_14default_configENS1_35radix_sort_onesweep_config_selectorIiNS0_10empty_typeEEEZZNS1_29radix_sort_onesweep_iterationIS3_Lb0EN6thrust23THRUST_200600_302600_NS6detail15normal_iteratorINS9_10device_ptrIiEEEESE_PS5_SF_jNS0_19identity_decomposerENS1_16block_id_wrapperIjLb0EEEEE10hipError_tT1_PNSt15iterator_traitsISK_E10value_typeET2_T3_PNSL_ISQ_E10value_typeET4_T5_PSV_SW_PNS1_23onesweep_lookback_stateEbbT6_jjT7_P12ihipStream_tbENKUlT_T0_SK_SP_E_clIPiSE_SF_SF_EEDaS13_S14_SK_SP_EUlS13_E_NS1_11comp_targetILNS1_3genE9ELNS1_11target_archE1100ELNS1_3gpuE3ELNS1_3repE0EEENS1_47radix_sort_onesweep_sort_config_static_selectorELNS0_4arch9wavefront6targetE1EEEvSK_
; %bb.0:
	.section	.rodata,"a",@progbits
	.p2align	6, 0x0
	.amdhsa_kernel _ZN7rocprim17ROCPRIM_400000_NS6detail17trampoline_kernelINS0_14default_configENS1_35radix_sort_onesweep_config_selectorIiNS0_10empty_typeEEEZZNS1_29radix_sort_onesweep_iterationIS3_Lb0EN6thrust23THRUST_200600_302600_NS6detail15normal_iteratorINS9_10device_ptrIiEEEESE_PS5_SF_jNS0_19identity_decomposerENS1_16block_id_wrapperIjLb0EEEEE10hipError_tT1_PNSt15iterator_traitsISK_E10value_typeET2_T3_PNSL_ISQ_E10value_typeET4_T5_PSV_SW_PNS1_23onesweep_lookback_stateEbbT6_jjT7_P12ihipStream_tbENKUlT_T0_SK_SP_E_clIPiSE_SF_SF_EEDaS13_S14_SK_SP_EUlS13_E_NS1_11comp_targetILNS1_3genE9ELNS1_11target_archE1100ELNS1_3gpuE3ELNS1_3repE0EEENS1_47radix_sort_onesweep_sort_config_static_selectorELNS0_4arch9wavefront6targetE1EEEvSK_
		.amdhsa_group_segment_fixed_size 0
		.amdhsa_private_segment_fixed_size 0
		.amdhsa_kernarg_size 88
		.amdhsa_user_sgpr_count 6
		.amdhsa_user_sgpr_private_segment_buffer 1
		.amdhsa_user_sgpr_dispatch_ptr 0
		.amdhsa_user_sgpr_queue_ptr 0
		.amdhsa_user_sgpr_kernarg_segment_ptr 1
		.amdhsa_user_sgpr_dispatch_id 0
		.amdhsa_user_sgpr_flat_scratch_init 0
		.amdhsa_user_sgpr_kernarg_preload_length 0
		.amdhsa_user_sgpr_kernarg_preload_offset 0
		.amdhsa_user_sgpr_private_segment_size 0
		.amdhsa_uses_dynamic_stack 0
		.amdhsa_system_sgpr_private_segment_wavefront_offset 0
		.amdhsa_system_sgpr_workgroup_id_x 1
		.amdhsa_system_sgpr_workgroup_id_y 0
		.amdhsa_system_sgpr_workgroup_id_z 0
		.amdhsa_system_sgpr_workgroup_info 0
		.amdhsa_system_vgpr_workitem_id 0
		.amdhsa_next_free_vgpr 1
		.amdhsa_next_free_sgpr 0
		.amdhsa_accum_offset 4
		.amdhsa_reserve_vcc 0
		.amdhsa_reserve_flat_scratch 0
		.amdhsa_float_round_mode_32 0
		.amdhsa_float_round_mode_16_64 0
		.amdhsa_float_denorm_mode_32 3
		.amdhsa_float_denorm_mode_16_64 3
		.amdhsa_dx10_clamp 1
		.amdhsa_ieee_mode 1
		.amdhsa_fp16_overflow 0
		.amdhsa_tg_split 0
		.amdhsa_exception_fp_ieee_invalid_op 0
		.amdhsa_exception_fp_denorm_src 0
		.amdhsa_exception_fp_ieee_div_zero 0
		.amdhsa_exception_fp_ieee_overflow 0
		.amdhsa_exception_fp_ieee_underflow 0
		.amdhsa_exception_fp_ieee_inexact 0
		.amdhsa_exception_int_div_zero 0
	.end_amdhsa_kernel
	.section	.text._ZN7rocprim17ROCPRIM_400000_NS6detail17trampoline_kernelINS0_14default_configENS1_35radix_sort_onesweep_config_selectorIiNS0_10empty_typeEEEZZNS1_29radix_sort_onesweep_iterationIS3_Lb0EN6thrust23THRUST_200600_302600_NS6detail15normal_iteratorINS9_10device_ptrIiEEEESE_PS5_SF_jNS0_19identity_decomposerENS1_16block_id_wrapperIjLb0EEEEE10hipError_tT1_PNSt15iterator_traitsISK_E10value_typeET2_T3_PNSL_ISQ_E10value_typeET4_T5_PSV_SW_PNS1_23onesweep_lookback_stateEbbT6_jjT7_P12ihipStream_tbENKUlT_T0_SK_SP_E_clIPiSE_SF_SF_EEDaS13_S14_SK_SP_EUlS13_E_NS1_11comp_targetILNS1_3genE9ELNS1_11target_archE1100ELNS1_3gpuE3ELNS1_3repE0EEENS1_47radix_sort_onesweep_sort_config_static_selectorELNS0_4arch9wavefront6targetE1EEEvSK_,"axG",@progbits,_ZN7rocprim17ROCPRIM_400000_NS6detail17trampoline_kernelINS0_14default_configENS1_35radix_sort_onesweep_config_selectorIiNS0_10empty_typeEEEZZNS1_29radix_sort_onesweep_iterationIS3_Lb0EN6thrust23THRUST_200600_302600_NS6detail15normal_iteratorINS9_10device_ptrIiEEEESE_PS5_SF_jNS0_19identity_decomposerENS1_16block_id_wrapperIjLb0EEEEE10hipError_tT1_PNSt15iterator_traitsISK_E10value_typeET2_T3_PNSL_ISQ_E10value_typeET4_T5_PSV_SW_PNS1_23onesweep_lookback_stateEbbT6_jjT7_P12ihipStream_tbENKUlT_T0_SK_SP_E_clIPiSE_SF_SF_EEDaS13_S14_SK_SP_EUlS13_E_NS1_11comp_targetILNS1_3genE9ELNS1_11target_archE1100ELNS1_3gpuE3ELNS1_3repE0EEENS1_47radix_sort_onesweep_sort_config_static_selectorELNS0_4arch9wavefront6targetE1EEEvSK_,comdat
.Lfunc_end1798:
	.size	_ZN7rocprim17ROCPRIM_400000_NS6detail17trampoline_kernelINS0_14default_configENS1_35radix_sort_onesweep_config_selectorIiNS0_10empty_typeEEEZZNS1_29radix_sort_onesweep_iterationIS3_Lb0EN6thrust23THRUST_200600_302600_NS6detail15normal_iteratorINS9_10device_ptrIiEEEESE_PS5_SF_jNS0_19identity_decomposerENS1_16block_id_wrapperIjLb0EEEEE10hipError_tT1_PNSt15iterator_traitsISK_E10value_typeET2_T3_PNSL_ISQ_E10value_typeET4_T5_PSV_SW_PNS1_23onesweep_lookback_stateEbbT6_jjT7_P12ihipStream_tbENKUlT_T0_SK_SP_E_clIPiSE_SF_SF_EEDaS13_S14_SK_SP_EUlS13_E_NS1_11comp_targetILNS1_3genE9ELNS1_11target_archE1100ELNS1_3gpuE3ELNS1_3repE0EEENS1_47radix_sort_onesweep_sort_config_static_selectorELNS0_4arch9wavefront6targetE1EEEvSK_, .Lfunc_end1798-_ZN7rocprim17ROCPRIM_400000_NS6detail17trampoline_kernelINS0_14default_configENS1_35radix_sort_onesweep_config_selectorIiNS0_10empty_typeEEEZZNS1_29radix_sort_onesweep_iterationIS3_Lb0EN6thrust23THRUST_200600_302600_NS6detail15normal_iteratorINS9_10device_ptrIiEEEESE_PS5_SF_jNS0_19identity_decomposerENS1_16block_id_wrapperIjLb0EEEEE10hipError_tT1_PNSt15iterator_traitsISK_E10value_typeET2_T3_PNSL_ISQ_E10value_typeET4_T5_PSV_SW_PNS1_23onesweep_lookback_stateEbbT6_jjT7_P12ihipStream_tbENKUlT_T0_SK_SP_E_clIPiSE_SF_SF_EEDaS13_S14_SK_SP_EUlS13_E_NS1_11comp_targetILNS1_3genE9ELNS1_11target_archE1100ELNS1_3gpuE3ELNS1_3repE0EEENS1_47radix_sort_onesweep_sort_config_static_selectorELNS0_4arch9wavefront6targetE1EEEvSK_
                                        ; -- End function
	.section	.AMDGPU.csdata,"",@progbits
; Kernel info:
; codeLenInByte = 0
; NumSgprs: 4
; NumVgprs: 0
; NumAgprs: 0
; TotalNumVgprs: 0
; ScratchSize: 0
; MemoryBound: 0
; FloatMode: 240
; IeeeMode: 1
; LDSByteSize: 0 bytes/workgroup (compile time only)
; SGPRBlocks: 0
; VGPRBlocks: 0
; NumSGPRsForWavesPerEU: 4
; NumVGPRsForWavesPerEU: 1
; AccumOffset: 4
; Occupancy: 8
; WaveLimiterHint : 0
; COMPUTE_PGM_RSRC2:SCRATCH_EN: 0
; COMPUTE_PGM_RSRC2:USER_SGPR: 6
; COMPUTE_PGM_RSRC2:TRAP_HANDLER: 0
; COMPUTE_PGM_RSRC2:TGID_X_EN: 1
; COMPUTE_PGM_RSRC2:TGID_Y_EN: 0
; COMPUTE_PGM_RSRC2:TGID_Z_EN: 0
; COMPUTE_PGM_RSRC2:TIDIG_COMP_CNT: 0
; COMPUTE_PGM_RSRC3_GFX90A:ACCUM_OFFSET: 0
; COMPUTE_PGM_RSRC3_GFX90A:TG_SPLIT: 0
	.section	.text._ZN7rocprim17ROCPRIM_400000_NS6detail17trampoline_kernelINS0_14default_configENS1_35radix_sort_onesweep_config_selectorIiNS0_10empty_typeEEEZZNS1_29radix_sort_onesweep_iterationIS3_Lb0EN6thrust23THRUST_200600_302600_NS6detail15normal_iteratorINS9_10device_ptrIiEEEESE_PS5_SF_jNS0_19identity_decomposerENS1_16block_id_wrapperIjLb0EEEEE10hipError_tT1_PNSt15iterator_traitsISK_E10value_typeET2_T3_PNSL_ISQ_E10value_typeET4_T5_PSV_SW_PNS1_23onesweep_lookback_stateEbbT6_jjT7_P12ihipStream_tbENKUlT_T0_SK_SP_E_clIPiSE_SF_SF_EEDaS13_S14_SK_SP_EUlS13_E_NS1_11comp_targetILNS1_3genE8ELNS1_11target_archE1030ELNS1_3gpuE2ELNS1_3repE0EEENS1_47radix_sort_onesweep_sort_config_static_selectorELNS0_4arch9wavefront6targetE1EEEvSK_,"axG",@progbits,_ZN7rocprim17ROCPRIM_400000_NS6detail17trampoline_kernelINS0_14default_configENS1_35radix_sort_onesweep_config_selectorIiNS0_10empty_typeEEEZZNS1_29radix_sort_onesweep_iterationIS3_Lb0EN6thrust23THRUST_200600_302600_NS6detail15normal_iteratorINS9_10device_ptrIiEEEESE_PS5_SF_jNS0_19identity_decomposerENS1_16block_id_wrapperIjLb0EEEEE10hipError_tT1_PNSt15iterator_traitsISK_E10value_typeET2_T3_PNSL_ISQ_E10value_typeET4_T5_PSV_SW_PNS1_23onesweep_lookback_stateEbbT6_jjT7_P12ihipStream_tbENKUlT_T0_SK_SP_E_clIPiSE_SF_SF_EEDaS13_S14_SK_SP_EUlS13_E_NS1_11comp_targetILNS1_3genE8ELNS1_11target_archE1030ELNS1_3gpuE2ELNS1_3repE0EEENS1_47radix_sort_onesweep_sort_config_static_selectorELNS0_4arch9wavefront6targetE1EEEvSK_,comdat
	.protected	_ZN7rocprim17ROCPRIM_400000_NS6detail17trampoline_kernelINS0_14default_configENS1_35radix_sort_onesweep_config_selectorIiNS0_10empty_typeEEEZZNS1_29radix_sort_onesweep_iterationIS3_Lb0EN6thrust23THRUST_200600_302600_NS6detail15normal_iteratorINS9_10device_ptrIiEEEESE_PS5_SF_jNS0_19identity_decomposerENS1_16block_id_wrapperIjLb0EEEEE10hipError_tT1_PNSt15iterator_traitsISK_E10value_typeET2_T3_PNSL_ISQ_E10value_typeET4_T5_PSV_SW_PNS1_23onesweep_lookback_stateEbbT6_jjT7_P12ihipStream_tbENKUlT_T0_SK_SP_E_clIPiSE_SF_SF_EEDaS13_S14_SK_SP_EUlS13_E_NS1_11comp_targetILNS1_3genE8ELNS1_11target_archE1030ELNS1_3gpuE2ELNS1_3repE0EEENS1_47radix_sort_onesweep_sort_config_static_selectorELNS0_4arch9wavefront6targetE1EEEvSK_ ; -- Begin function _ZN7rocprim17ROCPRIM_400000_NS6detail17trampoline_kernelINS0_14default_configENS1_35radix_sort_onesweep_config_selectorIiNS0_10empty_typeEEEZZNS1_29radix_sort_onesweep_iterationIS3_Lb0EN6thrust23THRUST_200600_302600_NS6detail15normal_iteratorINS9_10device_ptrIiEEEESE_PS5_SF_jNS0_19identity_decomposerENS1_16block_id_wrapperIjLb0EEEEE10hipError_tT1_PNSt15iterator_traitsISK_E10value_typeET2_T3_PNSL_ISQ_E10value_typeET4_T5_PSV_SW_PNS1_23onesweep_lookback_stateEbbT6_jjT7_P12ihipStream_tbENKUlT_T0_SK_SP_E_clIPiSE_SF_SF_EEDaS13_S14_SK_SP_EUlS13_E_NS1_11comp_targetILNS1_3genE8ELNS1_11target_archE1030ELNS1_3gpuE2ELNS1_3repE0EEENS1_47radix_sort_onesweep_sort_config_static_selectorELNS0_4arch9wavefront6targetE1EEEvSK_
	.globl	_ZN7rocprim17ROCPRIM_400000_NS6detail17trampoline_kernelINS0_14default_configENS1_35radix_sort_onesweep_config_selectorIiNS0_10empty_typeEEEZZNS1_29radix_sort_onesweep_iterationIS3_Lb0EN6thrust23THRUST_200600_302600_NS6detail15normal_iteratorINS9_10device_ptrIiEEEESE_PS5_SF_jNS0_19identity_decomposerENS1_16block_id_wrapperIjLb0EEEEE10hipError_tT1_PNSt15iterator_traitsISK_E10value_typeET2_T3_PNSL_ISQ_E10value_typeET4_T5_PSV_SW_PNS1_23onesweep_lookback_stateEbbT6_jjT7_P12ihipStream_tbENKUlT_T0_SK_SP_E_clIPiSE_SF_SF_EEDaS13_S14_SK_SP_EUlS13_E_NS1_11comp_targetILNS1_3genE8ELNS1_11target_archE1030ELNS1_3gpuE2ELNS1_3repE0EEENS1_47radix_sort_onesweep_sort_config_static_selectorELNS0_4arch9wavefront6targetE1EEEvSK_
	.p2align	8
	.type	_ZN7rocprim17ROCPRIM_400000_NS6detail17trampoline_kernelINS0_14default_configENS1_35radix_sort_onesweep_config_selectorIiNS0_10empty_typeEEEZZNS1_29radix_sort_onesweep_iterationIS3_Lb0EN6thrust23THRUST_200600_302600_NS6detail15normal_iteratorINS9_10device_ptrIiEEEESE_PS5_SF_jNS0_19identity_decomposerENS1_16block_id_wrapperIjLb0EEEEE10hipError_tT1_PNSt15iterator_traitsISK_E10value_typeET2_T3_PNSL_ISQ_E10value_typeET4_T5_PSV_SW_PNS1_23onesweep_lookback_stateEbbT6_jjT7_P12ihipStream_tbENKUlT_T0_SK_SP_E_clIPiSE_SF_SF_EEDaS13_S14_SK_SP_EUlS13_E_NS1_11comp_targetILNS1_3genE8ELNS1_11target_archE1030ELNS1_3gpuE2ELNS1_3repE0EEENS1_47radix_sort_onesweep_sort_config_static_selectorELNS0_4arch9wavefront6targetE1EEEvSK_,@function
_ZN7rocprim17ROCPRIM_400000_NS6detail17trampoline_kernelINS0_14default_configENS1_35radix_sort_onesweep_config_selectorIiNS0_10empty_typeEEEZZNS1_29radix_sort_onesweep_iterationIS3_Lb0EN6thrust23THRUST_200600_302600_NS6detail15normal_iteratorINS9_10device_ptrIiEEEESE_PS5_SF_jNS0_19identity_decomposerENS1_16block_id_wrapperIjLb0EEEEE10hipError_tT1_PNSt15iterator_traitsISK_E10value_typeET2_T3_PNSL_ISQ_E10value_typeET4_T5_PSV_SW_PNS1_23onesweep_lookback_stateEbbT6_jjT7_P12ihipStream_tbENKUlT_T0_SK_SP_E_clIPiSE_SF_SF_EEDaS13_S14_SK_SP_EUlS13_E_NS1_11comp_targetILNS1_3genE8ELNS1_11target_archE1030ELNS1_3gpuE2ELNS1_3repE0EEENS1_47radix_sort_onesweep_sort_config_static_selectorELNS0_4arch9wavefront6targetE1EEEvSK_: ; @_ZN7rocprim17ROCPRIM_400000_NS6detail17trampoline_kernelINS0_14default_configENS1_35radix_sort_onesweep_config_selectorIiNS0_10empty_typeEEEZZNS1_29radix_sort_onesweep_iterationIS3_Lb0EN6thrust23THRUST_200600_302600_NS6detail15normal_iteratorINS9_10device_ptrIiEEEESE_PS5_SF_jNS0_19identity_decomposerENS1_16block_id_wrapperIjLb0EEEEE10hipError_tT1_PNSt15iterator_traitsISK_E10value_typeET2_T3_PNSL_ISQ_E10value_typeET4_T5_PSV_SW_PNS1_23onesweep_lookback_stateEbbT6_jjT7_P12ihipStream_tbENKUlT_T0_SK_SP_E_clIPiSE_SF_SF_EEDaS13_S14_SK_SP_EUlS13_E_NS1_11comp_targetILNS1_3genE8ELNS1_11target_archE1030ELNS1_3gpuE2ELNS1_3repE0EEENS1_47radix_sort_onesweep_sort_config_static_selectorELNS0_4arch9wavefront6targetE1EEEvSK_
; %bb.0:
	.section	.rodata,"a",@progbits
	.p2align	6, 0x0
	.amdhsa_kernel _ZN7rocprim17ROCPRIM_400000_NS6detail17trampoline_kernelINS0_14default_configENS1_35radix_sort_onesweep_config_selectorIiNS0_10empty_typeEEEZZNS1_29radix_sort_onesweep_iterationIS3_Lb0EN6thrust23THRUST_200600_302600_NS6detail15normal_iteratorINS9_10device_ptrIiEEEESE_PS5_SF_jNS0_19identity_decomposerENS1_16block_id_wrapperIjLb0EEEEE10hipError_tT1_PNSt15iterator_traitsISK_E10value_typeET2_T3_PNSL_ISQ_E10value_typeET4_T5_PSV_SW_PNS1_23onesweep_lookback_stateEbbT6_jjT7_P12ihipStream_tbENKUlT_T0_SK_SP_E_clIPiSE_SF_SF_EEDaS13_S14_SK_SP_EUlS13_E_NS1_11comp_targetILNS1_3genE8ELNS1_11target_archE1030ELNS1_3gpuE2ELNS1_3repE0EEENS1_47radix_sort_onesweep_sort_config_static_selectorELNS0_4arch9wavefront6targetE1EEEvSK_
		.amdhsa_group_segment_fixed_size 0
		.amdhsa_private_segment_fixed_size 0
		.amdhsa_kernarg_size 88
		.amdhsa_user_sgpr_count 6
		.amdhsa_user_sgpr_private_segment_buffer 1
		.amdhsa_user_sgpr_dispatch_ptr 0
		.amdhsa_user_sgpr_queue_ptr 0
		.amdhsa_user_sgpr_kernarg_segment_ptr 1
		.amdhsa_user_sgpr_dispatch_id 0
		.amdhsa_user_sgpr_flat_scratch_init 0
		.amdhsa_user_sgpr_kernarg_preload_length 0
		.amdhsa_user_sgpr_kernarg_preload_offset 0
		.amdhsa_user_sgpr_private_segment_size 0
		.amdhsa_uses_dynamic_stack 0
		.amdhsa_system_sgpr_private_segment_wavefront_offset 0
		.amdhsa_system_sgpr_workgroup_id_x 1
		.amdhsa_system_sgpr_workgroup_id_y 0
		.amdhsa_system_sgpr_workgroup_id_z 0
		.amdhsa_system_sgpr_workgroup_info 0
		.amdhsa_system_vgpr_workitem_id 0
		.amdhsa_next_free_vgpr 1
		.amdhsa_next_free_sgpr 0
		.amdhsa_accum_offset 4
		.amdhsa_reserve_vcc 0
		.amdhsa_reserve_flat_scratch 0
		.amdhsa_float_round_mode_32 0
		.amdhsa_float_round_mode_16_64 0
		.amdhsa_float_denorm_mode_32 3
		.amdhsa_float_denorm_mode_16_64 3
		.amdhsa_dx10_clamp 1
		.amdhsa_ieee_mode 1
		.amdhsa_fp16_overflow 0
		.amdhsa_tg_split 0
		.amdhsa_exception_fp_ieee_invalid_op 0
		.amdhsa_exception_fp_denorm_src 0
		.amdhsa_exception_fp_ieee_div_zero 0
		.amdhsa_exception_fp_ieee_overflow 0
		.amdhsa_exception_fp_ieee_underflow 0
		.amdhsa_exception_fp_ieee_inexact 0
		.amdhsa_exception_int_div_zero 0
	.end_amdhsa_kernel
	.section	.text._ZN7rocprim17ROCPRIM_400000_NS6detail17trampoline_kernelINS0_14default_configENS1_35radix_sort_onesweep_config_selectorIiNS0_10empty_typeEEEZZNS1_29radix_sort_onesweep_iterationIS3_Lb0EN6thrust23THRUST_200600_302600_NS6detail15normal_iteratorINS9_10device_ptrIiEEEESE_PS5_SF_jNS0_19identity_decomposerENS1_16block_id_wrapperIjLb0EEEEE10hipError_tT1_PNSt15iterator_traitsISK_E10value_typeET2_T3_PNSL_ISQ_E10value_typeET4_T5_PSV_SW_PNS1_23onesweep_lookback_stateEbbT6_jjT7_P12ihipStream_tbENKUlT_T0_SK_SP_E_clIPiSE_SF_SF_EEDaS13_S14_SK_SP_EUlS13_E_NS1_11comp_targetILNS1_3genE8ELNS1_11target_archE1030ELNS1_3gpuE2ELNS1_3repE0EEENS1_47radix_sort_onesweep_sort_config_static_selectorELNS0_4arch9wavefront6targetE1EEEvSK_,"axG",@progbits,_ZN7rocprim17ROCPRIM_400000_NS6detail17trampoline_kernelINS0_14default_configENS1_35radix_sort_onesweep_config_selectorIiNS0_10empty_typeEEEZZNS1_29radix_sort_onesweep_iterationIS3_Lb0EN6thrust23THRUST_200600_302600_NS6detail15normal_iteratorINS9_10device_ptrIiEEEESE_PS5_SF_jNS0_19identity_decomposerENS1_16block_id_wrapperIjLb0EEEEE10hipError_tT1_PNSt15iterator_traitsISK_E10value_typeET2_T3_PNSL_ISQ_E10value_typeET4_T5_PSV_SW_PNS1_23onesweep_lookback_stateEbbT6_jjT7_P12ihipStream_tbENKUlT_T0_SK_SP_E_clIPiSE_SF_SF_EEDaS13_S14_SK_SP_EUlS13_E_NS1_11comp_targetILNS1_3genE8ELNS1_11target_archE1030ELNS1_3gpuE2ELNS1_3repE0EEENS1_47radix_sort_onesweep_sort_config_static_selectorELNS0_4arch9wavefront6targetE1EEEvSK_,comdat
.Lfunc_end1799:
	.size	_ZN7rocprim17ROCPRIM_400000_NS6detail17trampoline_kernelINS0_14default_configENS1_35radix_sort_onesweep_config_selectorIiNS0_10empty_typeEEEZZNS1_29radix_sort_onesweep_iterationIS3_Lb0EN6thrust23THRUST_200600_302600_NS6detail15normal_iteratorINS9_10device_ptrIiEEEESE_PS5_SF_jNS0_19identity_decomposerENS1_16block_id_wrapperIjLb0EEEEE10hipError_tT1_PNSt15iterator_traitsISK_E10value_typeET2_T3_PNSL_ISQ_E10value_typeET4_T5_PSV_SW_PNS1_23onesweep_lookback_stateEbbT6_jjT7_P12ihipStream_tbENKUlT_T0_SK_SP_E_clIPiSE_SF_SF_EEDaS13_S14_SK_SP_EUlS13_E_NS1_11comp_targetILNS1_3genE8ELNS1_11target_archE1030ELNS1_3gpuE2ELNS1_3repE0EEENS1_47radix_sort_onesweep_sort_config_static_selectorELNS0_4arch9wavefront6targetE1EEEvSK_, .Lfunc_end1799-_ZN7rocprim17ROCPRIM_400000_NS6detail17trampoline_kernelINS0_14default_configENS1_35radix_sort_onesweep_config_selectorIiNS0_10empty_typeEEEZZNS1_29radix_sort_onesweep_iterationIS3_Lb0EN6thrust23THRUST_200600_302600_NS6detail15normal_iteratorINS9_10device_ptrIiEEEESE_PS5_SF_jNS0_19identity_decomposerENS1_16block_id_wrapperIjLb0EEEEE10hipError_tT1_PNSt15iterator_traitsISK_E10value_typeET2_T3_PNSL_ISQ_E10value_typeET4_T5_PSV_SW_PNS1_23onesweep_lookback_stateEbbT6_jjT7_P12ihipStream_tbENKUlT_T0_SK_SP_E_clIPiSE_SF_SF_EEDaS13_S14_SK_SP_EUlS13_E_NS1_11comp_targetILNS1_3genE8ELNS1_11target_archE1030ELNS1_3gpuE2ELNS1_3repE0EEENS1_47radix_sort_onesweep_sort_config_static_selectorELNS0_4arch9wavefront6targetE1EEEvSK_
                                        ; -- End function
	.section	.AMDGPU.csdata,"",@progbits
; Kernel info:
; codeLenInByte = 0
; NumSgprs: 4
; NumVgprs: 0
; NumAgprs: 0
; TotalNumVgprs: 0
; ScratchSize: 0
; MemoryBound: 0
; FloatMode: 240
; IeeeMode: 1
; LDSByteSize: 0 bytes/workgroup (compile time only)
; SGPRBlocks: 0
; VGPRBlocks: 0
; NumSGPRsForWavesPerEU: 4
; NumVGPRsForWavesPerEU: 1
; AccumOffset: 4
; Occupancy: 8
; WaveLimiterHint : 0
; COMPUTE_PGM_RSRC2:SCRATCH_EN: 0
; COMPUTE_PGM_RSRC2:USER_SGPR: 6
; COMPUTE_PGM_RSRC2:TRAP_HANDLER: 0
; COMPUTE_PGM_RSRC2:TGID_X_EN: 1
; COMPUTE_PGM_RSRC2:TGID_Y_EN: 0
; COMPUTE_PGM_RSRC2:TGID_Z_EN: 0
; COMPUTE_PGM_RSRC2:TIDIG_COMP_CNT: 0
; COMPUTE_PGM_RSRC3_GFX90A:ACCUM_OFFSET: 0
; COMPUTE_PGM_RSRC3_GFX90A:TG_SPLIT: 0
	.section	.text._ZN7rocprim17ROCPRIM_400000_NS6detail17trampoline_kernelINS0_13kernel_configILj256ELj4ELj4294967295EEENS1_37radix_sort_block_sort_config_selectorIsNS0_10empty_typeEEEZNS1_21radix_sort_block_sortIS4_Lb0EN6thrust23THRUST_200600_302600_NS6detail15normal_iteratorINSA_10device_ptrIsEEEESF_PS6_SG_NS0_19identity_decomposerEEE10hipError_tT1_T2_T3_T4_jRjT5_jjP12ihipStream_tbEUlT_E_NS1_11comp_targetILNS1_3genE0ELNS1_11target_archE4294967295ELNS1_3gpuE0ELNS1_3repE0EEENS1_44radix_sort_block_sort_config_static_selectorELNS0_4arch9wavefront6targetE1EEEvSJ_,"axG",@progbits,_ZN7rocprim17ROCPRIM_400000_NS6detail17trampoline_kernelINS0_13kernel_configILj256ELj4ELj4294967295EEENS1_37radix_sort_block_sort_config_selectorIsNS0_10empty_typeEEEZNS1_21radix_sort_block_sortIS4_Lb0EN6thrust23THRUST_200600_302600_NS6detail15normal_iteratorINSA_10device_ptrIsEEEESF_PS6_SG_NS0_19identity_decomposerEEE10hipError_tT1_T2_T3_T4_jRjT5_jjP12ihipStream_tbEUlT_E_NS1_11comp_targetILNS1_3genE0ELNS1_11target_archE4294967295ELNS1_3gpuE0ELNS1_3repE0EEENS1_44radix_sort_block_sort_config_static_selectorELNS0_4arch9wavefront6targetE1EEEvSJ_,comdat
	.protected	_ZN7rocprim17ROCPRIM_400000_NS6detail17trampoline_kernelINS0_13kernel_configILj256ELj4ELj4294967295EEENS1_37radix_sort_block_sort_config_selectorIsNS0_10empty_typeEEEZNS1_21radix_sort_block_sortIS4_Lb0EN6thrust23THRUST_200600_302600_NS6detail15normal_iteratorINSA_10device_ptrIsEEEESF_PS6_SG_NS0_19identity_decomposerEEE10hipError_tT1_T2_T3_T4_jRjT5_jjP12ihipStream_tbEUlT_E_NS1_11comp_targetILNS1_3genE0ELNS1_11target_archE4294967295ELNS1_3gpuE0ELNS1_3repE0EEENS1_44radix_sort_block_sort_config_static_selectorELNS0_4arch9wavefront6targetE1EEEvSJ_ ; -- Begin function _ZN7rocprim17ROCPRIM_400000_NS6detail17trampoline_kernelINS0_13kernel_configILj256ELj4ELj4294967295EEENS1_37radix_sort_block_sort_config_selectorIsNS0_10empty_typeEEEZNS1_21radix_sort_block_sortIS4_Lb0EN6thrust23THRUST_200600_302600_NS6detail15normal_iteratorINSA_10device_ptrIsEEEESF_PS6_SG_NS0_19identity_decomposerEEE10hipError_tT1_T2_T3_T4_jRjT5_jjP12ihipStream_tbEUlT_E_NS1_11comp_targetILNS1_3genE0ELNS1_11target_archE4294967295ELNS1_3gpuE0ELNS1_3repE0EEENS1_44radix_sort_block_sort_config_static_selectorELNS0_4arch9wavefront6targetE1EEEvSJ_
	.globl	_ZN7rocprim17ROCPRIM_400000_NS6detail17trampoline_kernelINS0_13kernel_configILj256ELj4ELj4294967295EEENS1_37radix_sort_block_sort_config_selectorIsNS0_10empty_typeEEEZNS1_21radix_sort_block_sortIS4_Lb0EN6thrust23THRUST_200600_302600_NS6detail15normal_iteratorINSA_10device_ptrIsEEEESF_PS6_SG_NS0_19identity_decomposerEEE10hipError_tT1_T2_T3_T4_jRjT5_jjP12ihipStream_tbEUlT_E_NS1_11comp_targetILNS1_3genE0ELNS1_11target_archE4294967295ELNS1_3gpuE0ELNS1_3repE0EEENS1_44radix_sort_block_sort_config_static_selectorELNS0_4arch9wavefront6targetE1EEEvSJ_
	.p2align	8
	.type	_ZN7rocprim17ROCPRIM_400000_NS6detail17trampoline_kernelINS0_13kernel_configILj256ELj4ELj4294967295EEENS1_37radix_sort_block_sort_config_selectorIsNS0_10empty_typeEEEZNS1_21radix_sort_block_sortIS4_Lb0EN6thrust23THRUST_200600_302600_NS6detail15normal_iteratorINSA_10device_ptrIsEEEESF_PS6_SG_NS0_19identity_decomposerEEE10hipError_tT1_T2_T3_T4_jRjT5_jjP12ihipStream_tbEUlT_E_NS1_11comp_targetILNS1_3genE0ELNS1_11target_archE4294967295ELNS1_3gpuE0ELNS1_3repE0EEENS1_44radix_sort_block_sort_config_static_selectorELNS0_4arch9wavefront6targetE1EEEvSJ_,@function
_ZN7rocprim17ROCPRIM_400000_NS6detail17trampoline_kernelINS0_13kernel_configILj256ELj4ELj4294967295EEENS1_37radix_sort_block_sort_config_selectorIsNS0_10empty_typeEEEZNS1_21radix_sort_block_sortIS4_Lb0EN6thrust23THRUST_200600_302600_NS6detail15normal_iteratorINSA_10device_ptrIsEEEESF_PS6_SG_NS0_19identity_decomposerEEE10hipError_tT1_T2_T3_T4_jRjT5_jjP12ihipStream_tbEUlT_E_NS1_11comp_targetILNS1_3genE0ELNS1_11target_archE4294967295ELNS1_3gpuE0ELNS1_3repE0EEENS1_44radix_sort_block_sort_config_static_selectorELNS0_4arch9wavefront6targetE1EEEvSJ_: ; @_ZN7rocprim17ROCPRIM_400000_NS6detail17trampoline_kernelINS0_13kernel_configILj256ELj4ELj4294967295EEENS1_37radix_sort_block_sort_config_selectorIsNS0_10empty_typeEEEZNS1_21radix_sort_block_sortIS4_Lb0EN6thrust23THRUST_200600_302600_NS6detail15normal_iteratorINSA_10device_ptrIsEEEESF_PS6_SG_NS0_19identity_decomposerEEE10hipError_tT1_T2_T3_T4_jRjT5_jjP12ihipStream_tbEUlT_E_NS1_11comp_targetILNS1_3genE0ELNS1_11target_archE4294967295ELNS1_3gpuE0ELNS1_3repE0EEENS1_44radix_sort_block_sort_config_static_selectorELNS0_4arch9wavefront6targetE1EEEvSJ_
; %bb.0:
	.section	.rodata,"a",@progbits
	.p2align	6, 0x0
	.amdhsa_kernel _ZN7rocprim17ROCPRIM_400000_NS6detail17trampoline_kernelINS0_13kernel_configILj256ELj4ELj4294967295EEENS1_37radix_sort_block_sort_config_selectorIsNS0_10empty_typeEEEZNS1_21radix_sort_block_sortIS4_Lb0EN6thrust23THRUST_200600_302600_NS6detail15normal_iteratorINSA_10device_ptrIsEEEESF_PS6_SG_NS0_19identity_decomposerEEE10hipError_tT1_T2_T3_T4_jRjT5_jjP12ihipStream_tbEUlT_E_NS1_11comp_targetILNS1_3genE0ELNS1_11target_archE4294967295ELNS1_3gpuE0ELNS1_3repE0EEENS1_44radix_sort_block_sort_config_static_selectorELNS0_4arch9wavefront6targetE1EEEvSJ_
		.amdhsa_group_segment_fixed_size 0
		.amdhsa_private_segment_fixed_size 0
		.amdhsa_kernarg_size 48
		.amdhsa_user_sgpr_count 6
		.amdhsa_user_sgpr_private_segment_buffer 1
		.amdhsa_user_sgpr_dispatch_ptr 0
		.amdhsa_user_sgpr_queue_ptr 0
		.amdhsa_user_sgpr_kernarg_segment_ptr 1
		.amdhsa_user_sgpr_dispatch_id 0
		.amdhsa_user_sgpr_flat_scratch_init 0
		.amdhsa_user_sgpr_kernarg_preload_length 0
		.amdhsa_user_sgpr_kernarg_preload_offset 0
		.amdhsa_user_sgpr_private_segment_size 0
		.amdhsa_uses_dynamic_stack 0
		.amdhsa_system_sgpr_private_segment_wavefront_offset 0
		.amdhsa_system_sgpr_workgroup_id_x 1
		.amdhsa_system_sgpr_workgroup_id_y 0
		.amdhsa_system_sgpr_workgroup_id_z 0
		.amdhsa_system_sgpr_workgroup_info 0
		.amdhsa_system_vgpr_workitem_id 0
		.amdhsa_next_free_vgpr 1
		.amdhsa_next_free_sgpr 0
		.amdhsa_accum_offset 4
		.amdhsa_reserve_vcc 0
		.amdhsa_reserve_flat_scratch 0
		.amdhsa_float_round_mode_32 0
		.amdhsa_float_round_mode_16_64 0
		.amdhsa_float_denorm_mode_32 3
		.amdhsa_float_denorm_mode_16_64 3
		.amdhsa_dx10_clamp 1
		.amdhsa_ieee_mode 1
		.amdhsa_fp16_overflow 0
		.amdhsa_tg_split 0
		.amdhsa_exception_fp_ieee_invalid_op 0
		.amdhsa_exception_fp_denorm_src 0
		.amdhsa_exception_fp_ieee_div_zero 0
		.amdhsa_exception_fp_ieee_overflow 0
		.amdhsa_exception_fp_ieee_underflow 0
		.amdhsa_exception_fp_ieee_inexact 0
		.amdhsa_exception_int_div_zero 0
	.end_amdhsa_kernel
	.section	.text._ZN7rocprim17ROCPRIM_400000_NS6detail17trampoline_kernelINS0_13kernel_configILj256ELj4ELj4294967295EEENS1_37radix_sort_block_sort_config_selectorIsNS0_10empty_typeEEEZNS1_21radix_sort_block_sortIS4_Lb0EN6thrust23THRUST_200600_302600_NS6detail15normal_iteratorINSA_10device_ptrIsEEEESF_PS6_SG_NS0_19identity_decomposerEEE10hipError_tT1_T2_T3_T4_jRjT5_jjP12ihipStream_tbEUlT_E_NS1_11comp_targetILNS1_3genE0ELNS1_11target_archE4294967295ELNS1_3gpuE0ELNS1_3repE0EEENS1_44radix_sort_block_sort_config_static_selectorELNS0_4arch9wavefront6targetE1EEEvSJ_,"axG",@progbits,_ZN7rocprim17ROCPRIM_400000_NS6detail17trampoline_kernelINS0_13kernel_configILj256ELj4ELj4294967295EEENS1_37radix_sort_block_sort_config_selectorIsNS0_10empty_typeEEEZNS1_21radix_sort_block_sortIS4_Lb0EN6thrust23THRUST_200600_302600_NS6detail15normal_iteratorINSA_10device_ptrIsEEEESF_PS6_SG_NS0_19identity_decomposerEEE10hipError_tT1_T2_T3_T4_jRjT5_jjP12ihipStream_tbEUlT_E_NS1_11comp_targetILNS1_3genE0ELNS1_11target_archE4294967295ELNS1_3gpuE0ELNS1_3repE0EEENS1_44radix_sort_block_sort_config_static_selectorELNS0_4arch9wavefront6targetE1EEEvSJ_,comdat
.Lfunc_end1800:
	.size	_ZN7rocprim17ROCPRIM_400000_NS6detail17trampoline_kernelINS0_13kernel_configILj256ELj4ELj4294967295EEENS1_37radix_sort_block_sort_config_selectorIsNS0_10empty_typeEEEZNS1_21radix_sort_block_sortIS4_Lb0EN6thrust23THRUST_200600_302600_NS6detail15normal_iteratorINSA_10device_ptrIsEEEESF_PS6_SG_NS0_19identity_decomposerEEE10hipError_tT1_T2_T3_T4_jRjT5_jjP12ihipStream_tbEUlT_E_NS1_11comp_targetILNS1_3genE0ELNS1_11target_archE4294967295ELNS1_3gpuE0ELNS1_3repE0EEENS1_44radix_sort_block_sort_config_static_selectorELNS0_4arch9wavefront6targetE1EEEvSJ_, .Lfunc_end1800-_ZN7rocprim17ROCPRIM_400000_NS6detail17trampoline_kernelINS0_13kernel_configILj256ELj4ELj4294967295EEENS1_37radix_sort_block_sort_config_selectorIsNS0_10empty_typeEEEZNS1_21radix_sort_block_sortIS4_Lb0EN6thrust23THRUST_200600_302600_NS6detail15normal_iteratorINSA_10device_ptrIsEEEESF_PS6_SG_NS0_19identity_decomposerEEE10hipError_tT1_T2_T3_T4_jRjT5_jjP12ihipStream_tbEUlT_E_NS1_11comp_targetILNS1_3genE0ELNS1_11target_archE4294967295ELNS1_3gpuE0ELNS1_3repE0EEENS1_44radix_sort_block_sort_config_static_selectorELNS0_4arch9wavefront6targetE1EEEvSJ_
                                        ; -- End function
	.section	.AMDGPU.csdata,"",@progbits
; Kernel info:
; codeLenInByte = 0
; NumSgprs: 4
; NumVgprs: 0
; NumAgprs: 0
; TotalNumVgprs: 0
; ScratchSize: 0
; MemoryBound: 0
; FloatMode: 240
; IeeeMode: 1
; LDSByteSize: 0 bytes/workgroup (compile time only)
; SGPRBlocks: 0
; VGPRBlocks: 0
; NumSGPRsForWavesPerEU: 4
; NumVGPRsForWavesPerEU: 1
; AccumOffset: 4
; Occupancy: 8
; WaveLimiterHint : 0
; COMPUTE_PGM_RSRC2:SCRATCH_EN: 0
; COMPUTE_PGM_RSRC2:USER_SGPR: 6
; COMPUTE_PGM_RSRC2:TRAP_HANDLER: 0
; COMPUTE_PGM_RSRC2:TGID_X_EN: 1
; COMPUTE_PGM_RSRC2:TGID_Y_EN: 0
; COMPUTE_PGM_RSRC2:TGID_Z_EN: 0
; COMPUTE_PGM_RSRC2:TIDIG_COMP_CNT: 0
; COMPUTE_PGM_RSRC3_GFX90A:ACCUM_OFFSET: 0
; COMPUTE_PGM_RSRC3_GFX90A:TG_SPLIT: 0
	.section	.text._ZN7rocprim17ROCPRIM_400000_NS6detail17trampoline_kernelINS0_13kernel_configILj256ELj4ELj4294967295EEENS1_37radix_sort_block_sort_config_selectorIsNS0_10empty_typeEEEZNS1_21radix_sort_block_sortIS4_Lb0EN6thrust23THRUST_200600_302600_NS6detail15normal_iteratorINSA_10device_ptrIsEEEESF_PS6_SG_NS0_19identity_decomposerEEE10hipError_tT1_T2_T3_T4_jRjT5_jjP12ihipStream_tbEUlT_E_NS1_11comp_targetILNS1_3genE5ELNS1_11target_archE942ELNS1_3gpuE9ELNS1_3repE0EEENS1_44radix_sort_block_sort_config_static_selectorELNS0_4arch9wavefront6targetE1EEEvSJ_,"axG",@progbits,_ZN7rocprim17ROCPRIM_400000_NS6detail17trampoline_kernelINS0_13kernel_configILj256ELj4ELj4294967295EEENS1_37radix_sort_block_sort_config_selectorIsNS0_10empty_typeEEEZNS1_21radix_sort_block_sortIS4_Lb0EN6thrust23THRUST_200600_302600_NS6detail15normal_iteratorINSA_10device_ptrIsEEEESF_PS6_SG_NS0_19identity_decomposerEEE10hipError_tT1_T2_T3_T4_jRjT5_jjP12ihipStream_tbEUlT_E_NS1_11comp_targetILNS1_3genE5ELNS1_11target_archE942ELNS1_3gpuE9ELNS1_3repE0EEENS1_44radix_sort_block_sort_config_static_selectorELNS0_4arch9wavefront6targetE1EEEvSJ_,comdat
	.protected	_ZN7rocprim17ROCPRIM_400000_NS6detail17trampoline_kernelINS0_13kernel_configILj256ELj4ELj4294967295EEENS1_37radix_sort_block_sort_config_selectorIsNS0_10empty_typeEEEZNS1_21radix_sort_block_sortIS4_Lb0EN6thrust23THRUST_200600_302600_NS6detail15normal_iteratorINSA_10device_ptrIsEEEESF_PS6_SG_NS0_19identity_decomposerEEE10hipError_tT1_T2_T3_T4_jRjT5_jjP12ihipStream_tbEUlT_E_NS1_11comp_targetILNS1_3genE5ELNS1_11target_archE942ELNS1_3gpuE9ELNS1_3repE0EEENS1_44radix_sort_block_sort_config_static_selectorELNS0_4arch9wavefront6targetE1EEEvSJ_ ; -- Begin function _ZN7rocprim17ROCPRIM_400000_NS6detail17trampoline_kernelINS0_13kernel_configILj256ELj4ELj4294967295EEENS1_37radix_sort_block_sort_config_selectorIsNS0_10empty_typeEEEZNS1_21radix_sort_block_sortIS4_Lb0EN6thrust23THRUST_200600_302600_NS6detail15normal_iteratorINSA_10device_ptrIsEEEESF_PS6_SG_NS0_19identity_decomposerEEE10hipError_tT1_T2_T3_T4_jRjT5_jjP12ihipStream_tbEUlT_E_NS1_11comp_targetILNS1_3genE5ELNS1_11target_archE942ELNS1_3gpuE9ELNS1_3repE0EEENS1_44radix_sort_block_sort_config_static_selectorELNS0_4arch9wavefront6targetE1EEEvSJ_
	.globl	_ZN7rocprim17ROCPRIM_400000_NS6detail17trampoline_kernelINS0_13kernel_configILj256ELj4ELj4294967295EEENS1_37radix_sort_block_sort_config_selectorIsNS0_10empty_typeEEEZNS1_21radix_sort_block_sortIS4_Lb0EN6thrust23THRUST_200600_302600_NS6detail15normal_iteratorINSA_10device_ptrIsEEEESF_PS6_SG_NS0_19identity_decomposerEEE10hipError_tT1_T2_T3_T4_jRjT5_jjP12ihipStream_tbEUlT_E_NS1_11comp_targetILNS1_3genE5ELNS1_11target_archE942ELNS1_3gpuE9ELNS1_3repE0EEENS1_44radix_sort_block_sort_config_static_selectorELNS0_4arch9wavefront6targetE1EEEvSJ_
	.p2align	8
	.type	_ZN7rocprim17ROCPRIM_400000_NS6detail17trampoline_kernelINS0_13kernel_configILj256ELj4ELj4294967295EEENS1_37radix_sort_block_sort_config_selectorIsNS0_10empty_typeEEEZNS1_21radix_sort_block_sortIS4_Lb0EN6thrust23THRUST_200600_302600_NS6detail15normal_iteratorINSA_10device_ptrIsEEEESF_PS6_SG_NS0_19identity_decomposerEEE10hipError_tT1_T2_T3_T4_jRjT5_jjP12ihipStream_tbEUlT_E_NS1_11comp_targetILNS1_3genE5ELNS1_11target_archE942ELNS1_3gpuE9ELNS1_3repE0EEENS1_44radix_sort_block_sort_config_static_selectorELNS0_4arch9wavefront6targetE1EEEvSJ_,@function
_ZN7rocprim17ROCPRIM_400000_NS6detail17trampoline_kernelINS0_13kernel_configILj256ELj4ELj4294967295EEENS1_37radix_sort_block_sort_config_selectorIsNS0_10empty_typeEEEZNS1_21radix_sort_block_sortIS4_Lb0EN6thrust23THRUST_200600_302600_NS6detail15normal_iteratorINSA_10device_ptrIsEEEESF_PS6_SG_NS0_19identity_decomposerEEE10hipError_tT1_T2_T3_T4_jRjT5_jjP12ihipStream_tbEUlT_E_NS1_11comp_targetILNS1_3genE5ELNS1_11target_archE942ELNS1_3gpuE9ELNS1_3repE0EEENS1_44radix_sort_block_sort_config_static_selectorELNS0_4arch9wavefront6targetE1EEEvSJ_: ; @_ZN7rocprim17ROCPRIM_400000_NS6detail17trampoline_kernelINS0_13kernel_configILj256ELj4ELj4294967295EEENS1_37radix_sort_block_sort_config_selectorIsNS0_10empty_typeEEEZNS1_21radix_sort_block_sortIS4_Lb0EN6thrust23THRUST_200600_302600_NS6detail15normal_iteratorINSA_10device_ptrIsEEEESF_PS6_SG_NS0_19identity_decomposerEEE10hipError_tT1_T2_T3_T4_jRjT5_jjP12ihipStream_tbEUlT_E_NS1_11comp_targetILNS1_3genE5ELNS1_11target_archE942ELNS1_3gpuE9ELNS1_3repE0EEENS1_44radix_sort_block_sort_config_static_selectorELNS0_4arch9wavefront6targetE1EEEvSJ_
; %bb.0:
	.section	.rodata,"a",@progbits
	.p2align	6, 0x0
	.amdhsa_kernel _ZN7rocprim17ROCPRIM_400000_NS6detail17trampoline_kernelINS0_13kernel_configILj256ELj4ELj4294967295EEENS1_37radix_sort_block_sort_config_selectorIsNS0_10empty_typeEEEZNS1_21radix_sort_block_sortIS4_Lb0EN6thrust23THRUST_200600_302600_NS6detail15normal_iteratorINSA_10device_ptrIsEEEESF_PS6_SG_NS0_19identity_decomposerEEE10hipError_tT1_T2_T3_T4_jRjT5_jjP12ihipStream_tbEUlT_E_NS1_11comp_targetILNS1_3genE5ELNS1_11target_archE942ELNS1_3gpuE9ELNS1_3repE0EEENS1_44radix_sort_block_sort_config_static_selectorELNS0_4arch9wavefront6targetE1EEEvSJ_
		.amdhsa_group_segment_fixed_size 0
		.amdhsa_private_segment_fixed_size 0
		.amdhsa_kernarg_size 48
		.amdhsa_user_sgpr_count 6
		.amdhsa_user_sgpr_private_segment_buffer 1
		.amdhsa_user_sgpr_dispatch_ptr 0
		.amdhsa_user_sgpr_queue_ptr 0
		.amdhsa_user_sgpr_kernarg_segment_ptr 1
		.amdhsa_user_sgpr_dispatch_id 0
		.amdhsa_user_sgpr_flat_scratch_init 0
		.amdhsa_user_sgpr_kernarg_preload_length 0
		.amdhsa_user_sgpr_kernarg_preload_offset 0
		.amdhsa_user_sgpr_private_segment_size 0
		.amdhsa_uses_dynamic_stack 0
		.amdhsa_system_sgpr_private_segment_wavefront_offset 0
		.amdhsa_system_sgpr_workgroup_id_x 1
		.amdhsa_system_sgpr_workgroup_id_y 0
		.amdhsa_system_sgpr_workgroup_id_z 0
		.amdhsa_system_sgpr_workgroup_info 0
		.amdhsa_system_vgpr_workitem_id 0
		.amdhsa_next_free_vgpr 1
		.amdhsa_next_free_sgpr 0
		.amdhsa_accum_offset 4
		.amdhsa_reserve_vcc 0
		.amdhsa_reserve_flat_scratch 0
		.amdhsa_float_round_mode_32 0
		.amdhsa_float_round_mode_16_64 0
		.amdhsa_float_denorm_mode_32 3
		.amdhsa_float_denorm_mode_16_64 3
		.amdhsa_dx10_clamp 1
		.amdhsa_ieee_mode 1
		.amdhsa_fp16_overflow 0
		.amdhsa_tg_split 0
		.amdhsa_exception_fp_ieee_invalid_op 0
		.amdhsa_exception_fp_denorm_src 0
		.amdhsa_exception_fp_ieee_div_zero 0
		.amdhsa_exception_fp_ieee_overflow 0
		.amdhsa_exception_fp_ieee_underflow 0
		.amdhsa_exception_fp_ieee_inexact 0
		.amdhsa_exception_int_div_zero 0
	.end_amdhsa_kernel
	.section	.text._ZN7rocprim17ROCPRIM_400000_NS6detail17trampoline_kernelINS0_13kernel_configILj256ELj4ELj4294967295EEENS1_37radix_sort_block_sort_config_selectorIsNS0_10empty_typeEEEZNS1_21radix_sort_block_sortIS4_Lb0EN6thrust23THRUST_200600_302600_NS6detail15normal_iteratorINSA_10device_ptrIsEEEESF_PS6_SG_NS0_19identity_decomposerEEE10hipError_tT1_T2_T3_T4_jRjT5_jjP12ihipStream_tbEUlT_E_NS1_11comp_targetILNS1_3genE5ELNS1_11target_archE942ELNS1_3gpuE9ELNS1_3repE0EEENS1_44radix_sort_block_sort_config_static_selectorELNS0_4arch9wavefront6targetE1EEEvSJ_,"axG",@progbits,_ZN7rocprim17ROCPRIM_400000_NS6detail17trampoline_kernelINS0_13kernel_configILj256ELj4ELj4294967295EEENS1_37radix_sort_block_sort_config_selectorIsNS0_10empty_typeEEEZNS1_21radix_sort_block_sortIS4_Lb0EN6thrust23THRUST_200600_302600_NS6detail15normal_iteratorINSA_10device_ptrIsEEEESF_PS6_SG_NS0_19identity_decomposerEEE10hipError_tT1_T2_T3_T4_jRjT5_jjP12ihipStream_tbEUlT_E_NS1_11comp_targetILNS1_3genE5ELNS1_11target_archE942ELNS1_3gpuE9ELNS1_3repE0EEENS1_44radix_sort_block_sort_config_static_selectorELNS0_4arch9wavefront6targetE1EEEvSJ_,comdat
.Lfunc_end1801:
	.size	_ZN7rocprim17ROCPRIM_400000_NS6detail17trampoline_kernelINS0_13kernel_configILj256ELj4ELj4294967295EEENS1_37radix_sort_block_sort_config_selectorIsNS0_10empty_typeEEEZNS1_21radix_sort_block_sortIS4_Lb0EN6thrust23THRUST_200600_302600_NS6detail15normal_iteratorINSA_10device_ptrIsEEEESF_PS6_SG_NS0_19identity_decomposerEEE10hipError_tT1_T2_T3_T4_jRjT5_jjP12ihipStream_tbEUlT_E_NS1_11comp_targetILNS1_3genE5ELNS1_11target_archE942ELNS1_3gpuE9ELNS1_3repE0EEENS1_44radix_sort_block_sort_config_static_selectorELNS0_4arch9wavefront6targetE1EEEvSJ_, .Lfunc_end1801-_ZN7rocprim17ROCPRIM_400000_NS6detail17trampoline_kernelINS0_13kernel_configILj256ELj4ELj4294967295EEENS1_37radix_sort_block_sort_config_selectorIsNS0_10empty_typeEEEZNS1_21radix_sort_block_sortIS4_Lb0EN6thrust23THRUST_200600_302600_NS6detail15normal_iteratorINSA_10device_ptrIsEEEESF_PS6_SG_NS0_19identity_decomposerEEE10hipError_tT1_T2_T3_T4_jRjT5_jjP12ihipStream_tbEUlT_E_NS1_11comp_targetILNS1_3genE5ELNS1_11target_archE942ELNS1_3gpuE9ELNS1_3repE0EEENS1_44radix_sort_block_sort_config_static_selectorELNS0_4arch9wavefront6targetE1EEEvSJ_
                                        ; -- End function
	.section	.AMDGPU.csdata,"",@progbits
; Kernel info:
; codeLenInByte = 0
; NumSgprs: 4
; NumVgprs: 0
; NumAgprs: 0
; TotalNumVgprs: 0
; ScratchSize: 0
; MemoryBound: 0
; FloatMode: 240
; IeeeMode: 1
; LDSByteSize: 0 bytes/workgroup (compile time only)
; SGPRBlocks: 0
; VGPRBlocks: 0
; NumSGPRsForWavesPerEU: 4
; NumVGPRsForWavesPerEU: 1
; AccumOffset: 4
; Occupancy: 8
; WaveLimiterHint : 0
; COMPUTE_PGM_RSRC2:SCRATCH_EN: 0
; COMPUTE_PGM_RSRC2:USER_SGPR: 6
; COMPUTE_PGM_RSRC2:TRAP_HANDLER: 0
; COMPUTE_PGM_RSRC2:TGID_X_EN: 1
; COMPUTE_PGM_RSRC2:TGID_Y_EN: 0
; COMPUTE_PGM_RSRC2:TGID_Z_EN: 0
; COMPUTE_PGM_RSRC2:TIDIG_COMP_CNT: 0
; COMPUTE_PGM_RSRC3_GFX90A:ACCUM_OFFSET: 0
; COMPUTE_PGM_RSRC3_GFX90A:TG_SPLIT: 0
	.section	.text._ZN7rocprim17ROCPRIM_400000_NS6detail17trampoline_kernelINS0_13kernel_configILj256ELj4ELj4294967295EEENS1_37radix_sort_block_sort_config_selectorIsNS0_10empty_typeEEEZNS1_21radix_sort_block_sortIS4_Lb0EN6thrust23THRUST_200600_302600_NS6detail15normal_iteratorINSA_10device_ptrIsEEEESF_PS6_SG_NS0_19identity_decomposerEEE10hipError_tT1_T2_T3_T4_jRjT5_jjP12ihipStream_tbEUlT_E_NS1_11comp_targetILNS1_3genE4ELNS1_11target_archE910ELNS1_3gpuE8ELNS1_3repE0EEENS1_44radix_sort_block_sort_config_static_selectorELNS0_4arch9wavefront6targetE1EEEvSJ_,"axG",@progbits,_ZN7rocprim17ROCPRIM_400000_NS6detail17trampoline_kernelINS0_13kernel_configILj256ELj4ELj4294967295EEENS1_37radix_sort_block_sort_config_selectorIsNS0_10empty_typeEEEZNS1_21radix_sort_block_sortIS4_Lb0EN6thrust23THRUST_200600_302600_NS6detail15normal_iteratorINSA_10device_ptrIsEEEESF_PS6_SG_NS0_19identity_decomposerEEE10hipError_tT1_T2_T3_T4_jRjT5_jjP12ihipStream_tbEUlT_E_NS1_11comp_targetILNS1_3genE4ELNS1_11target_archE910ELNS1_3gpuE8ELNS1_3repE0EEENS1_44radix_sort_block_sort_config_static_selectorELNS0_4arch9wavefront6targetE1EEEvSJ_,comdat
	.protected	_ZN7rocprim17ROCPRIM_400000_NS6detail17trampoline_kernelINS0_13kernel_configILj256ELj4ELj4294967295EEENS1_37radix_sort_block_sort_config_selectorIsNS0_10empty_typeEEEZNS1_21radix_sort_block_sortIS4_Lb0EN6thrust23THRUST_200600_302600_NS6detail15normal_iteratorINSA_10device_ptrIsEEEESF_PS6_SG_NS0_19identity_decomposerEEE10hipError_tT1_T2_T3_T4_jRjT5_jjP12ihipStream_tbEUlT_E_NS1_11comp_targetILNS1_3genE4ELNS1_11target_archE910ELNS1_3gpuE8ELNS1_3repE0EEENS1_44radix_sort_block_sort_config_static_selectorELNS0_4arch9wavefront6targetE1EEEvSJ_ ; -- Begin function _ZN7rocprim17ROCPRIM_400000_NS6detail17trampoline_kernelINS0_13kernel_configILj256ELj4ELj4294967295EEENS1_37radix_sort_block_sort_config_selectorIsNS0_10empty_typeEEEZNS1_21radix_sort_block_sortIS4_Lb0EN6thrust23THRUST_200600_302600_NS6detail15normal_iteratorINSA_10device_ptrIsEEEESF_PS6_SG_NS0_19identity_decomposerEEE10hipError_tT1_T2_T3_T4_jRjT5_jjP12ihipStream_tbEUlT_E_NS1_11comp_targetILNS1_3genE4ELNS1_11target_archE910ELNS1_3gpuE8ELNS1_3repE0EEENS1_44radix_sort_block_sort_config_static_selectorELNS0_4arch9wavefront6targetE1EEEvSJ_
	.globl	_ZN7rocprim17ROCPRIM_400000_NS6detail17trampoline_kernelINS0_13kernel_configILj256ELj4ELj4294967295EEENS1_37radix_sort_block_sort_config_selectorIsNS0_10empty_typeEEEZNS1_21radix_sort_block_sortIS4_Lb0EN6thrust23THRUST_200600_302600_NS6detail15normal_iteratorINSA_10device_ptrIsEEEESF_PS6_SG_NS0_19identity_decomposerEEE10hipError_tT1_T2_T3_T4_jRjT5_jjP12ihipStream_tbEUlT_E_NS1_11comp_targetILNS1_3genE4ELNS1_11target_archE910ELNS1_3gpuE8ELNS1_3repE0EEENS1_44radix_sort_block_sort_config_static_selectorELNS0_4arch9wavefront6targetE1EEEvSJ_
	.p2align	8
	.type	_ZN7rocprim17ROCPRIM_400000_NS6detail17trampoline_kernelINS0_13kernel_configILj256ELj4ELj4294967295EEENS1_37radix_sort_block_sort_config_selectorIsNS0_10empty_typeEEEZNS1_21radix_sort_block_sortIS4_Lb0EN6thrust23THRUST_200600_302600_NS6detail15normal_iteratorINSA_10device_ptrIsEEEESF_PS6_SG_NS0_19identity_decomposerEEE10hipError_tT1_T2_T3_T4_jRjT5_jjP12ihipStream_tbEUlT_E_NS1_11comp_targetILNS1_3genE4ELNS1_11target_archE910ELNS1_3gpuE8ELNS1_3repE0EEENS1_44radix_sort_block_sort_config_static_selectorELNS0_4arch9wavefront6targetE1EEEvSJ_,@function
_ZN7rocprim17ROCPRIM_400000_NS6detail17trampoline_kernelINS0_13kernel_configILj256ELj4ELj4294967295EEENS1_37radix_sort_block_sort_config_selectorIsNS0_10empty_typeEEEZNS1_21radix_sort_block_sortIS4_Lb0EN6thrust23THRUST_200600_302600_NS6detail15normal_iteratorINSA_10device_ptrIsEEEESF_PS6_SG_NS0_19identity_decomposerEEE10hipError_tT1_T2_T3_T4_jRjT5_jjP12ihipStream_tbEUlT_E_NS1_11comp_targetILNS1_3genE4ELNS1_11target_archE910ELNS1_3gpuE8ELNS1_3repE0EEENS1_44radix_sort_block_sort_config_static_selectorELNS0_4arch9wavefront6targetE1EEEvSJ_: ; @_ZN7rocprim17ROCPRIM_400000_NS6detail17trampoline_kernelINS0_13kernel_configILj256ELj4ELj4294967295EEENS1_37radix_sort_block_sort_config_selectorIsNS0_10empty_typeEEEZNS1_21radix_sort_block_sortIS4_Lb0EN6thrust23THRUST_200600_302600_NS6detail15normal_iteratorINSA_10device_ptrIsEEEESF_PS6_SG_NS0_19identity_decomposerEEE10hipError_tT1_T2_T3_T4_jRjT5_jjP12ihipStream_tbEUlT_E_NS1_11comp_targetILNS1_3genE4ELNS1_11target_archE910ELNS1_3gpuE8ELNS1_3repE0EEENS1_44radix_sort_block_sort_config_static_selectorELNS0_4arch9wavefront6targetE1EEEvSJ_
; %bb.0:
	s_load_dword s7, s[4:5], 0x20
	s_load_dwordx4 s[28:31], s[4:5], 0x0
	s_lshl_b32 s0, s6, 10
	s_mov_b32 s1, 0
	v_mbcnt_lo_u32_b32 v1, -1, 0
	s_waitcnt lgkmcnt(0)
	s_lshr_b32 s2, s7, 10
	s_cmp_lg_u32 s6, s2
	s_cselect_b64 s[34:35], -1, 0
	s_lshl_b64 s[36:37], s[0:1], 1
	v_mbcnt_hi_u32_b32 v1, -1, v1
	v_and_b32_e32 v4, 0x3ff, v0
	s_add_u32 s1, s28, s36
	v_and_b32_e32 v2, 63, v1
	s_addc_u32 s3, s29, s37
	v_lshlrev_b32_e32 v5, 2, v4
	v_lshlrev_b32_e32 v6, 1, v2
	v_and_b32_e32 v3, 0x300, v5
	v_mov_b32_e32 v7, s3
	v_add_co_u32_e32 v6, vcc, s1, v6
	v_addc_co_u32_e32 v7, vcc, 0, v7, vcc
	v_lshlrev_b32_e32 v8, 1, v3
	v_add_co_u32_e32 v6, vcc, v6, v8
	s_cmp_eq_u32 s6, s2
	v_addc_co_u32_e32 v7, vcc, 0, v7, vcc
	v_or_b32_e32 v9, v2, v3
	s_cbranch_scc1 .LBB1802_2
; %bb.1:
	global_load_ushort v12, v[6:7], off offset:256
	global_load_ushort v13, v[6:7], off offset:384
	global_load_ushort v14, v[6:7], off
	global_load_ushort v15, v[6:7], off offset:128
	s_mov_b32 s1, 0x5040100
	v_or_b32_e32 v16, v2, v3
	v_or_b32_e32 v8, 64, v16
	;; [unrolled: 1-line block ×4, first 2 shown]
	s_waitcnt vmcnt(2)
	v_perm_b32 v3, v13, v12, s1
	s_waitcnt vmcnt(0)
	v_perm_b32 v2, v15, v14, s1
	s_load_dwordx2 s[28:29], s[4:5], 0x28
	s_sub_i32 s33, s7, s0
	s_cbranch_execz .LBB1802_3
	s_branch .LBB1802_12
.LBB1802_2:
                                        ; implicit-def: $vgpr2_vgpr3
                                        ; implicit-def: $vgpr16
                                        ; implicit-def: $vgpr8
                                        ; implicit-def: $vgpr10
                                        ; implicit-def: $vgpr11
	s_load_dwordx2 s[28:29], s[4:5], 0x28
	s_sub_i32 s33, s7, s0
.LBB1802_3:
	s_mov_b32 s0, 0x7fff7fff
	s_mov_b32 s1, s0
	v_cmp_gt_u32_e32 vcc, s33, v9
	v_pk_mov_b32 v[2:3], s[0:1], s[0:1] op_sel:[0,1]
	s_and_saveexec_b64 s[0:1], vcc
	s_cbranch_execz .LBB1802_5
; %bb.4:
	global_load_ushort v2, v[6:7], off
	s_movk_i32 s2, 0x7fff
	v_mov_b32_e32 v3, 0x5040100
	s_waitcnt vmcnt(0)
	v_perm_b32 v2, s2, v2, v3
	v_mov_b32_e32 v3, 0x7fff7fff
.LBB1802_5:
	s_or_b64 exec, exec, s[0:1]
	v_or_b32_e32 v8, 64, v9
	v_cmp_gt_u32_e32 vcc, s33, v8
	s_and_saveexec_b64 s[0:1], vcc
	s_cbranch_execz .LBB1802_7
; %bb.6:
	global_load_ushort v10, v[6:7], off offset:128
	s_mov_b32 s2, 0x5040100
	s_waitcnt vmcnt(0)
	v_perm_b32 v2, v10, v2, s2
.LBB1802_7:
	s_or_b64 exec, exec, s[0:1]
	v_or_b32_e32 v10, 0x80, v9
	v_cmp_gt_u32_e32 vcc, s33, v10
	s_and_saveexec_b64 s[0:1], vcc
	s_cbranch_execz .LBB1802_9
; %bb.8:
	global_load_ushort v11, v[6:7], off offset:256
	s_mov_b32 s2, 0xffff
	s_waitcnt vmcnt(0)
	v_bfi_b32 v3, s2, v11, v3
.LBB1802_9:
	s_or_b64 exec, exec, s[0:1]
	v_or_b32_e32 v11, 0xc0, v9
	v_cmp_gt_u32_e32 vcc, s33, v11
	s_and_saveexec_b64 s[0:1], vcc
	s_cbranch_execz .LBB1802_11
; %bb.10:
	global_load_ushort v6, v[6:7], off offset:384
	s_mov_b32 s2, 0x5040100
	s_waitcnt vmcnt(0)
	v_perm_b32 v3, v6, v3, s2
.LBB1802_11:
	s_or_b64 exec, exec, s[0:1]
	v_mov_b32_e32 v16, v9
.LBB1802_12:
	s_load_dword s2, s[4:5], 0x3c
	s_waitcnt lgkmcnt(0)
	s_add_i32 s38, s29, s28
	s_getpc_b64 s[0:1]
	s_add_u32 s0, s0, _ZN7rocprim17ROCPRIM_400000_NS16block_radix_sortIsLj256ELj4ENS0_10empty_typeELj1ELj1ELj0ELNS0_26block_radix_rank_algorithmE1ELNS0_18block_padding_hintE2ELNS0_4arch9wavefront6targetE1EE19radix_bits_per_passE@rel32@lo+4
	s_addc_u32 s1, s1, _ZN7rocprim17ROCPRIM_400000_NS16block_radix_sortIsLj256ELj4ENS0_10empty_typeELj1ELj1ELj0ELNS0_26block_radix_rank_algorithmE1ELNS0_18block_padding_hintE2ELNS0_4arch9wavefront6targetE1EE19radix_bits_per_passE@rel32@hi+12
	s_load_dword s39, s[0:1], 0x0
	v_bfe_u32 v6, v0, 10, 10
	s_lshr_b32 s0, s2, 16
	v_bfe_u32 v0, v0, 20, 10
	s_and_b32 s1, s2, 0xffff
	v_mad_u32_u24 v0, v0, s0, v6
	v_mad_u64_u32 v[6:7], s[0:1], v0, s1, v[4:5]
	v_and_b32_e32 v0, 15, v1
	v_cmp_eq_u32_e64 s[0:1], 0, v0
	v_cmp_lt_u32_e64 s[2:3], 1, v0
	v_cmp_lt_u32_e64 s[4:5], 3, v0
	;; [unrolled: 1-line block ×3, first 2 shown]
	v_and_b32_e32 v0, 16, v1
	v_cmp_eq_u32_e64 s[8:9], 0, v0
	v_and_b32_e32 v0, 0x3c0, v4
	v_min_u32_e32 v0, 0xc0, v0
	v_or_b32_e32 v0, 63, v0
	v_lshrrev_b32_e32 v12, 6, v6
	v_cmp_eq_u32_e64 s[12:13], v0, v4
	v_add_u32_e32 v0, -1, v1
	v_and_b32_e32 v6, 64, v1
	v_cmp_lt_i32_e32 vcc, v0, v6
	v_cndmask_b32_e32 v0, v0, v1, vcc
	s_mov_b32 s26, 0
	v_lshlrev_b32_e32 v13, 2, v0
	v_lshrrev_b32_e32 v0, 4, v4
	v_lshlrev_b32_e32 v5, 2, v5
	v_cmp_lt_u32_e64 s[10:11], 31, v1
	v_cmp_eq_u32_e64 s[18:19], 0, v1
	v_and_b32_e32 v14, 60, v0
	v_mul_i32_i24_e32 v0, -12, v4
	v_and_b32_e32 v1, 3, v1
	s_mov_b32 s27, s26
	s_mov_b32 s40, s26
	;; [unrolled: 1-line block ×3, first 2 shown]
	v_xor_b32_e32 v3, 0x80008000, v3
	v_cmp_gt_u32_e64 s[14:15], 4, v4
	v_cmp_lt_u32_e64 s[16:17], 63, v4
	v_cmp_eq_u32_e64 s[20:21], 0, v4
	v_cmp_eq_u32_e64 s[22:23], 0, v1
	v_cmp_lt_u32_e64 s[24:25], 1, v1
	v_add_u32_e32 v15, -4, v14
	v_lshlrev_b32_e32 v16, 1, v16
	v_lshlrev_b32_e32 v17, 1, v8
	;; [unrolled: 1-line block ×4, first 2 shown]
	v_xor_b32_e32 v22, 0x80008000, v2
	v_pk_mov_b32 v[6:7], s[26:27], s[26:27] op_sel:[0,1]
	v_pk_mov_b32 v[8:9], s[40:41], s[40:41] op_sel:[0,1]
	v_add_u32_e32 v20, v5, v0
	s_mov_b32 s40, 0x5040100
	v_mov_b32_e32 v10, 0
	s_branch .LBB1802_14
.LBB1802_13:                            ;   in Loop: Header=BB1802_14 Depth=1
	s_barrier
	ds_write_b16 v0, v22
	ds_write_b16 v1, v24
	;; [unrolled: 1-line block ×4, first 2 shown]
	s_waitcnt lgkmcnt(0)
	s_barrier
	ds_read_u16 v3, v16
	ds_read_u16 v22, v17
	;; [unrolled: 1-line block ×4, first 2 shown]
	s_add_i32 s29, s29, -8
	s_waitcnt lgkmcnt(2)
	v_perm_b32 v22, v22, v3, s40
	s_waitcnt lgkmcnt(0)
	v_perm_b32 v3, v25, v23, s40
	s_barrier
	s_cbranch_execz .LBB1802_30
.LBB1802_14:                            ; =>This Inner Loop Header: Depth=1
	s_waitcnt lgkmcnt(0)
	s_min_u32 s26, s39, s29
	s_lshl_b32 s26, -1, s26
	s_not_b32 s41, s26
	v_lshrrev_b32_sdwa v0, s28, v22 dst_sel:DWORD dst_unused:UNUSED_PAD src0_sel:DWORD src1_sel:WORD_0
	v_and_b32_e32 v0, s41, v0
	v_lshl_add_u32 v1, v0, 2, v12
	v_lshl_add_u32 v23, v1, 2, 16
	v_and_b32_e32 v1, 1, v0
	v_add_co_u32_e32 v2, vcc, -1, v1
	v_mov_b32_e32 v21, v3
	v_addc_co_u32_e64 v3, s[26:27], 0, -1, vcc
	v_cmp_ne_u32_e32 vcc, 0, v1
	v_lshlrev_b32_e32 v11, 30, v0
	v_xor_b32_e32 v1, vcc_hi, v3
	v_not_b32_e32 v3, v11
	v_xor_b32_e32 v2, vcc_lo, v2
	v_cmp_gt_i64_e32 vcc, 0, v[10:11]
	v_ashrrev_i32_e32 v3, 31, v3
	v_and_b32_e32 v1, exec_hi, v1
	v_xor_b32_e32 v11, vcc_hi, v3
	v_and_b32_e32 v2, exec_lo, v2
	v_xor_b32_e32 v3, vcc_lo, v3
	v_and_b32_e32 v1, v1, v11
	v_lshlrev_b32_e32 v11, 29, v0
	v_and_b32_e32 v2, v2, v3
	v_not_b32_e32 v3, v11
	v_cmp_gt_i64_e32 vcc, 0, v[10:11]
	v_ashrrev_i32_e32 v3, 31, v3
	v_xor_b32_e32 v11, vcc_hi, v3
	v_xor_b32_e32 v3, vcc_lo, v3
	v_and_b32_e32 v1, v1, v11
	v_lshlrev_b32_e32 v11, 28, v0
	v_and_b32_e32 v2, v2, v3
	v_not_b32_e32 v3, v11
	v_cmp_gt_i64_e32 vcc, 0, v[10:11]
	v_ashrrev_i32_e32 v3, 31, v3
	v_xor_b32_e32 v11, vcc_hi, v3
	;; [unrolled: 8-line block ×5, first 2 shown]
	v_and_b32_e32 v1, v1, v11
	v_lshlrev_b32_e32 v11, 24, v0
	v_not_b32_e32 v0, v11
	v_xor_b32_e32 v3, vcc_lo, v3
	v_cmp_gt_i64_e32 vcc, 0, v[10:11]
	v_ashrrev_i32_e32 v0, 31, v0
	v_and_b32_e32 v2, v2, v3
	v_xor_b32_e32 v3, vcc_hi, v0
	v_xor_b32_e32 v0, vcc_lo, v0
	v_and_b32_e32 v0, v2, v0
	v_and_b32_e32 v1, v1, v3
	v_mbcnt_lo_u32_b32 v2, v0, 0
	v_mbcnt_hi_u32_b32 v25, v1, v2
	v_cmp_eq_u32_e32 vcc, 0, v25
	v_cmp_ne_u64_e64 s[26:27], 0, v[0:1]
	s_and_b64 s[42:43], s[26:27], vcc
	ds_write2_b64 v5, v[6:7], v[8:9] offset0:2 offset1:3
	s_waitcnt lgkmcnt(0)
	s_barrier
	s_waitcnt lgkmcnt(0)
	; wave barrier
	s_and_saveexec_b64 s[26:27], s[42:43]
	s_cbranch_execz .LBB1802_16
; %bb.15:                               ;   in Loop: Header=BB1802_14 Depth=1
	v_bcnt_u32_b32 v0, v0, 0
	v_bcnt_u32_b32 v0, v1, v0
	ds_write_b32 v23, v0
.LBB1802_16:                            ;   in Loop: Header=BB1802_14 Depth=1
	s_or_b64 exec, exec, s[26:27]
	v_lshrrev_b32_e32 v24, 16, v22
	v_lshrrev_b32_e32 v0, s28, v24
	v_and_b32_e32 v0, s41, v0
	v_lshlrev_b32_e32 v1, 2, v0
	v_add_lshl_u32 v1, v1, v12, 2
	; wave barrier
	v_add_u32_e32 v27, 16, v1
	ds_read_b32 v26, v1 offset:16
	v_and_b32_e32 v1, 1, v0
	v_add_co_u32_e32 v2, vcc, -1, v1
	v_addc_co_u32_e64 v3, s[26:27], 0, -1, vcc
	v_cmp_ne_u32_e32 vcc, 0, v1
	v_lshlrev_b32_e32 v11, 30, v0
	v_xor_b32_e32 v1, vcc_hi, v3
	v_not_b32_e32 v3, v11
	v_xor_b32_e32 v2, vcc_lo, v2
	v_cmp_gt_i64_e32 vcc, 0, v[10:11]
	v_ashrrev_i32_e32 v3, 31, v3
	v_and_b32_e32 v1, exec_hi, v1
	v_xor_b32_e32 v11, vcc_hi, v3
	v_and_b32_e32 v2, exec_lo, v2
	v_xor_b32_e32 v3, vcc_lo, v3
	v_and_b32_e32 v1, v1, v11
	v_lshlrev_b32_e32 v11, 29, v0
	v_and_b32_e32 v2, v2, v3
	v_not_b32_e32 v3, v11
	v_cmp_gt_i64_e32 vcc, 0, v[10:11]
	v_ashrrev_i32_e32 v3, 31, v3
	v_xor_b32_e32 v11, vcc_hi, v3
	v_xor_b32_e32 v3, vcc_lo, v3
	v_and_b32_e32 v1, v1, v11
	v_lshlrev_b32_e32 v11, 28, v0
	v_and_b32_e32 v2, v2, v3
	v_not_b32_e32 v3, v11
	v_cmp_gt_i64_e32 vcc, 0, v[10:11]
	v_ashrrev_i32_e32 v3, 31, v3
	v_xor_b32_e32 v11, vcc_hi, v3
	;; [unrolled: 8-line block ×5, first 2 shown]
	v_and_b32_e32 v1, v1, v11
	v_lshlrev_b32_e32 v11, 24, v0
	v_not_b32_e32 v0, v11
	v_xor_b32_e32 v3, vcc_lo, v3
	v_cmp_gt_i64_e32 vcc, 0, v[10:11]
	v_ashrrev_i32_e32 v0, 31, v0
	v_and_b32_e32 v2, v2, v3
	v_xor_b32_e32 v3, vcc_hi, v0
	v_xor_b32_e32 v0, vcc_lo, v0
	v_and_b32_e32 v0, v2, v0
	v_and_b32_e32 v1, v1, v3
	v_mbcnt_lo_u32_b32 v2, v0, 0
	v_mbcnt_hi_u32_b32 v28, v1, v2
	v_cmp_eq_u32_e32 vcc, 0, v28
	v_cmp_ne_u64_e64 s[26:27], 0, v[0:1]
	s_and_b64 s[42:43], s[26:27], vcc
	; wave barrier
	s_and_saveexec_b64 s[26:27], s[42:43]
	s_cbranch_execz .LBB1802_18
; %bb.17:                               ;   in Loop: Header=BB1802_14 Depth=1
	v_bcnt_u32_b32 v0, v0, 0
	v_bcnt_u32_b32 v0, v1, v0
	s_waitcnt lgkmcnt(0)
	v_add_u32_e32 v0, v26, v0
	ds_write_b32 v27, v0
.LBB1802_18:                            ;   in Loop: Header=BB1802_14 Depth=1
	s_or_b64 exec, exec, s[26:27]
	v_lshrrev_b32_sdwa v0, s28, v21 dst_sel:DWORD dst_unused:UNUSED_PAD src0_sel:DWORD src1_sel:WORD_0
	v_and_b32_e32 v0, s41, v0
	v_lshlrev_b32_e32 v1, 2, v0
	v_add_lshl_u32 v1, v1, v12, 2
	; wave barrier
	v_add_u32_e32 v30, 16, v1
	ds_read_b32 v29, v1 offset:16
	v_and_b32_e32 v1, 1, v0
	v_add_co_u32_e32 v2, vcc, -1, v1
	v_addc_co_u32_e64 v3, s[26:27], 0, -1, vcc
	v_cmp_ne_u32_e32 vcc, 0, v1
	v_lshlrev_b32_e32 v11, 30, v0
	v_xor_b32_e32 v1, vcc_hi, v3
	v_not_b32_e32 v3, v11
	v_xor_b32_e32 v2, vcc_lo, v2
	v_cmp_gt_i64_e32 vcc, 0, v[10:11]
	v_ashrrev_i32_e32 v3, 31, v3
	v_and_b32_e32 v1, exec_hi, v1
	v_xor_b32_e32 v11, vcc_hi, v3
	v_and_b32_e32 v2, exec_lo, v2
	v_xor_b32_e32 v3, vcc_lo, v3
	v_and_b32_e32 v1, v1, v11
	v_lshlrev_b32_e32 v11, 29, v0
	v_and_b32_e32 v2, v2, v3
	v_not_b32_e32 v3, v11
	v_cmp_gt_i64_e32 vcc, 0, v[10:11]
	v_ashrrev_i32_e32 v3, 31, v3
	v_xor_b32_e32 v11, vcc_hi, v3
	v_xor_b32_e32 v3, vcc_lo, v3
	v_and_b32_e32 v1, v1, v11
	v_lshlrev_b32_e32 v11, 28, v0
	v_and_b32_e32 v2, v2, v3
	v_not_b32_e32 v3, v11
	v_cmp_gt_i64_e32 vcc, 0, v[10:11]
	v_ashrrev_i32_e32 v3, 31, v3
	v_xor_b32_e32 v11, vcc_hi, v3
	;; [unrolled: 8-line block ×5, first 2 shown]
	v_and_b32_e32 v1, v1, v11
	v_lshlrev_b32_e32 v11, 24, v0
	v_not_b32_e32 v0, v11
	v_xor_b32_e32 v3, vcc_lo, v3
	v_cmp_gt_i64_e32 vcc, 0, v[10:11]
	v_ashrrev_i32_e32 v0, 31, v0
	v_and_b32_e32 v2, v2, v3
	v_xor_b32_e32 v3, vcc_hi, v0
	v_xor_b32_e32 v0, vcc_lo, v0
	v_and_b32_e32 v0, v2, v0
	v_and_b32_e32 v1, v1, v3
	v_mbcnt_lo_u32_b32 v2, v0, 0
	v_mbcnt_hi_u32_b32 v32, v1, v2
	v_cmp_eq_u32_e32 vcc, 0, v32
	v_cmp_ne_u64_e64 s[26:27], 0, v[0:1]
	s_and_b64 s[42:43], s[26:27], vcc
	; wave barrier
	s_and_saveexec_b64 s[26:27], s[42:43]
	s_cbranch_execz .LBB1802_20
; %bb.19:                               ;   in Loop: Header=BB1802_14 Depth=1
	v_bcnt_u32_b32 v0, v0, 0
	v_bcnt_u32_b32 v0, v1, v0
	s_waitcnt lgkmcnt(0)
	v_add_u32_e32 v0, v29, v0
	ds_write_b32 v30, v0
.LBB1802_20:                            ;   in Loop: Header=BB1802_14 Depth=1
	s_or_b64 exec, exec, s[26:27]
	v_lshrrev_b32_e32 v31, 16, v21
	v_lshrrev_b32_e32 v0, s28, v31
	v_and_b32_e32 v0, s41, v0
	v_lshlrev_b32_e32 v1, 2, v0
	v_add_lshl_u32 v1, v1, v12, 2
	; wave barrier
	v_add_u32_e32 v34, 16, v1
	ds_read_b32 v33, v1 offset:16
	v_and_b32_e32 v1, 1, v0
	v_add_co_u32_e32 v2, vcc, -1, v1
	v_addc_co_u32_e64 v3, s[26:27], 0, -1, vcc
	v_cmp_ne_u32_e32 vcc, 0, v1
	v_lshlrev_b32_e32 v11, 30, v0
	v_xor_b32_e32 v1, vcc_hi, v3
	v_not_b32_e32 v3, v11
	v_xor_b32_e32 v2, vcc_lo, v2
	v_cmp_gt_i64_e32 vcc, 0, v[10:11]
	v_ashrrev_i32_e32 v3, 31, v3
	v_and_b32_e32 v1, exec_hi, v1
	v_xor_b32_e32 v11, vcc_hi, v3
	v_and_b32_e32 v2, exec_lo, v2
	v_xor_b32_e32 v3, vcc_lo, v3
	v_and_b32_e32 v1, v1, v11
	v_lshlrev_b32_e32 v11, 29, v0
	v_and_b32_e32 v2, v2, v3
	v_not_b32_e32 v3, v11
	v_cmp_gt_i64_e32 vcc, 0, v[10:11]
	v_ashrrev_i32_e32 v3, 31, v3
	v_xor_b32_e32 v11, vcc_hi, v3
	v_xor_b32_e32 v3, vcc_lo, v3
	v_and_b32_e32 v1, v1, v11
	v_lshlrev_b32_e32 v11, 28, v0
	v_and_b32_e32 v2, v2, v3
	v_not_b32_e32 v3, v11
	v_cmp_gt_i64_e32 vcc, 0, v[10:11]
	v_ashrrev_i32_e32 v3, 31, v3
	v_xor_b32_e32 v11, vcc_hi, v3
	;; [unrolled: 8-line block ×5, first 2 shown]
	v_and_b32_e32 v1, v1, v11
	v_lshlrev_b32_e32 v11, 24, v0
	v_not_b32_e32 v0, v11
	v_xor_b32_e32 v3, vcc_lo, v3
	v_cmp_gt_i64_e32 vcc, 0, v[10:11]
	v_ashrrev_i32_e32 v0, 31, v0
	v_and_b32_e32 v2, v2, v3
	v_xor_b32_e32 v3, vcc_hi, v0
	v_xor_b32_e32 v0, vcc_lo, v0
	v_and_b32_e32 v0, v2, v0
	v_and_b32_e32 v1, v1, v3
	v_mbcnt_lo_u32_b32 v2, v0, 0
	v_mbcnt_hi_u32_b32 v11, v1, v2
	v_cmp_eq_u32_e32 vcc, 0, v11
	v_cmp_ne_u64_e64 s[26:27], 0, v[0:1]
	s_and_b64 s[42:43], s[26:27], vcc
	; wave barrier
	s_and_saveexec_b64 s[26:27], s[42:43]
	s_cbranch_execz .LBB1802_22
; %bb.21:                               ;   in Loop: Header=BB1802_14 Depth=1
	v_bcnt_u32_b32 v0, v0, 0
	v_bcnt_u32_b32 v0, v1, v0
	s_waitcnt lgkmcnt(0)
	v_add_u32_e32 v0, v33, v0
	ds_write_b32 v34, v0
.LBB1802_22:                            ;   in Loop: Header=BB1802_14 Depth=1
	s_or_b64 exec, exec, s[26:27]
	; wave barrier
	s_waitcnt lgkmcnt(0)
	s_barrier
	ds_read2_b64 v[0:3], v5 offset0:2 offset1:3
	s_waitcnt lgkmcnt(0)
	v_add_u32_e32 v35, v1, v0
	v_add3_u32 v3, v35, v2, v3
	s_nop 1
	v_mov_b32_dpp v35, v3 row_shr:1 row_mask:0xf bank_mask:0xf
	v_cndmask_b32_e64 v35, v35, 0, s[0:1]
	v_add_u32_e32 v3, v35, v3
	s_nop 1
	v_mov_b32_dpp v35, v3 row_shr:2 row_mask:0xf bank_mask:0xf
	v_cndmask_b32_e64 v35, 0, v35, s[2:3]
	v_add_u32_e32 v3, v3, v35
	;; [unrolled: 4-line block ×4, first 2 shown]
	s_nop 1
	v_mov_b32_dpp v35, v3 row_bcast:15 row_mask:0xf bank_mask:0xf
	v_cndmask_b32_e64 v35, v35, 0, s[8:9]
	v_add_u32_e32 v3, v3, v35
	s_nop 1
	v_mov_b32_dpp v35, v3 row_bcast:31 row_mask:0xf bank_mask:0xf
	v_cndmask_b32_e64 v35, 0, v35, s[10:11]
	v_add_u32_e32 v3, v3, v35
	s_and_saveexec_b64 s[26:27], s[12:13]
	s_cbranch_execz .LBB1802_24
; %bb.23:                               ;   in Loop: Header=BB1802_14 Depth=1
	ds_write_b32 v14, v3
.LBB1802_24:                            ;   in Loop: Header=BB1802_14 Depth=1
	s_or_b64 exec, exec, s[26:27]
	s_waitcnt lgkmcnt(0)
	s_barrier
	s_and_saveexec_b64 s[26:27], s[14:15]
	s_cbranch_execz .LBB1802_26
; %bb.25:                               ;   in Loop: Header=BB1802_14 Depth=1
	ds_read_b32 v35, v20
	s_waitcnt lgkmcnt(0)
	s_nop 0
	v_mov_b32_dpp v36, v35 row_shr:1 row_mask:0xf bank_mask:0xf
	v_cndmask_b32_e64 v36, v36, 0, s[22:23]
	v_add_u32_e32 v35, v36, v35
	s_nop 1
	v_mov_b32_dpp v36, v35 row_shr:2 row_mask:0xf bank_mask:0xf
	v_cndmask_b32_e64 v36, 0, v36, s[24:25]
	v_add_u32_e32 v35, v35, v36
	ds_write_b32 v20, v35
.LBB1802_26:                            ;   in Loop: Header=BB1802_14 Depth=1
	s_or_b64 exec, exec, s[26:27]
	v_mov_b32_e32 v36, 0
	s_waitcnt lgkmcnt(0)
	s_barrier
	s_and_saveexec_b64 s[26:27], s[16:17]
	s_cbranch_execz .LBB1802_28
; %bb.27:                               ;   in Loop: Header=BB1802_14 Depth=1
	ds_read_b32 v36, v15
.LBB1802_28:                            ;   in Loop: Header=BB1802_14 Depth=1
	s_or_b64 exec, exec, s[26:27]
	s_waitcnt lgkmcnt(0)
	v_add_u32_e32 v3, v36, v3
	ds_bpermute_b32 v3, v13, v3
	s_add_i32 s28, s28, 8
	v_lshlrev_b32_e32 v11, 1, v11
	v_mov_b32_e32 v35, v22
	s_cmp_ge_u32 s28, s38
	s_waitcnt lgkmcnt(0)
	v_cndmask_b32_e64 v3, v3, v36, s[18:19]
	v_cndmask_b32_e64 v36, v3, 0, s[20:21]
	v_add_u32_e32 v37, v36, v0
	v_add_u32_e32 v0, v37, v1
	;; [unrolled: 1-line block ×3, first 2 shown]
	ds_write2_b64 v5, v[36:37], v[0:1] offset0:2 offset1:3
	s_waitcnt lgkmcnt(0)
	s_barrier
	ds_read_b32 v0, v23
	ds_read_b32 v1, v27
	;; [unrolled: 1-line block ×4, first 2 shown]
	v_lshlrev_b32_e32 v23, 1, v25
	s_waitcnt lgkmcnt(3)
	v_lshl_add_u32 v0, v0, 1, v23
	v_lshlrev_b32_e32 v23, 1, v28
	v_lshlrev_b32_e32 v25, 1, v26
	s_waitcnt lgkmcnt(2)
	v_lshlrev_b32_e32 v1, 1, v1
	v_add3_u32 v1, v23, v25, v1
	v_lshlrev_b32_e32 v23, 1, v32
	v_lshlrev_b32_e32 v25, 1, v29
	s_waitcnt lgkmcnt(1)
	v_lshlrev_b32_e32 v2, 1, v2
	v_add3_u32 v2, v23, v25, v2
	v_lshlrev_b32_e32 v23, 1, v33
	s_waitcnt lgkmcnt(0)
	v_lshlrev_b32_e32 v3, 1, v3
	v_add3_u32 v11, v11, v23, v3
	s_cbranch_scc0 .LBB1802_13
; %bb.29:
                                        ; implicit-def: $vgpr3
                                        ; implicit-def: $vgpr22
                                        ; implicit-def: $sgpr28
.LBB1802_30:
	s_barrier
	ds_write_b16 v0, v35
	ds_write_b16 v1, v24
	;; [unrolled: 1-line block ×4, first 2 shown]
	v_lshlrev_b32_e32 v0, 1, v4
	s_waitcnt lgkmcnt(0)
	s_barrier
	ds_read_u16 v1, v0
	ds_read_u16 v3, v0 offset:512
	ds_read_u16 v7, v0 offset:1024
	ds_read_u16 v2, v0 offset:1536
	s_add_u32 s0, s30, s36
	s_addc_u32 s1, s31, s37
	s_waitcnt lgkmcnt(3)
	v_xor_b32_e32 v6, 0xffff8000, v1
	v_mov_b32_e32 v1, s1
	v_add_co_u32_e64 v0, s[0:1], s0, v0
	s_waitcnt lgkmcnt(2)
	v_xor_b32_e32 v5, 0xffff8000, v3
	s_waitcnt lgkmcnt(1)
	v_xor_b32_e32 v3, 0xffff8000, v7
	s_andn2_b64 vcc, exec, s[34:35]
	v_addc_co_u32_e64 v1, s[0:1], 0, v1, s[0:1]
	s_cbranch_vccnz .LBB1802_32
; %bb.31:
	s_mov_b64 s[0:1], -1
	global_store_short v[0:1], v6, off
	global_store_short v[0:1], v5, off offset:512
	global_store_short v[0:1], v3, off offset:1024
	s_cbranch_execz .LBB1802_33
	s_branch .LBB1802_40
.LBB1802_32:
	s_mov_b64 s[0:1], 0
.LBB1802_33:
	v_cmp_gt_u32_e32 vcc, s33, v4
	s_and_saveexec_b64 s[0:1], vcc
	s_cbranch_execz .LBB1802_35
; %bb.34:
	global_store_short v[0:1], v6, off
.LBB1802_35:
	s_or_b64 exec, exec, s[0:1]
	v_add_u32_e32 v6, 0x100, v4
	v_cmp_gt_u32_e32 vcc, s33, v6
	s_and_saveexec_b64 s[0:1], vcc
	s_cbranch_execz .LBB1802_37
; %bb.36:
	global_store_short v[0:1], v5, off offset:512
.LBB1802_37:
	s_or_b64 exec, exec, s[0:1]
	v_add_u32_e32 v5, 0x200, v4
	v_cmp_gt_u32_e32 vcc, s33, v5
	s_and_saveexec_b64 s[0:1], vcc
	s_cbranch_execz .LBB1802_39
; %bb.38:
	global_store_short v[0:1], v3, off offset:1024
.LBB1802_39:
	s_or_b64 exec, exec, s[0:1]
	v_add_u32_e32 v3, 0x300, v4
	v_cmp_gt_u32_e64 s[0:1], s33, v3
.LBB1802_40:
	s_and_saveexec_b64 s[2:3], s[0:1]
	s_cbranch_execnz .LBB1802_42
; %bb.41:
	s_endpgm
.LBB1802_42:
	s_waitcnt lgkmcnt(0)
	v_xor_b32_e32 v2, 0xffff8000, v2
	global_store_short v[0:1], v2, off offset:1536
	s_endpgm
	.section	.rodata,"a",@progbits
	.p2align	6, 0x0
	.amdhsa_kernel _ZN7rocprim17ROCPRIM_400000_NS6detail17trampoline_kernelINS0_13kernel_configILj256ELj4ELj4294967295EEENS1_37radix_sort_block_sort_config_selectorIsNS0_10empty_typeEEEZNS1_21radix_sort_block_sortIS4_Lb0EN6thrust23THRUST_200600_302600_NS6detail15normal_iteratorINSA_10device_ptrIsEEEESF_PS6_SG_NS0_19identity_decomposerEEE10hipError_tT1_T2_T3_T4_jRjT5_jjP12ihipStream_tbEUlT_E_NS1_11comp_targetILNS1_3genE4ELNS1_11target_archE910ELNS1_3gpuE8ELNS1_3repE0EEENS1_44radix_sort_block_sort_config_static_selectorELNS0_4arch9wavefront6targetE1EEEvSJ_
		.amdhsa_group_segment_fixed_size 4112
		.amdhsa_private_segment_fixed_size 0
		.amdhsa_kernarg_size 304
		.amdhsa_user_sgpr_count 6
		.amdhsa_user_sgpr_private_segment_buffer 1
		.amdhsa_user_sgpr_dispatch_ptr 0
		.amdhsa_user_sgpr_queue_ptr 0
		.amdhsa_user_sgpr_kernarg_segment_ptr 1
		.amdhsa_user_sgpr_dispatch_id 0
		.amdhsa_user_sgpr_flat_scratch_init 0
		.amdhsa_user_sgpr_kernarg_preload_length 0
		.amdhsa_user_sgpr_kernarg_preload_offset 0
		.amdhsa_user_sgpr_private_segment_size 0
		.amdhsa_uses_dynamic_stack 0
		.amdhsa_system_sgpr_private_segment_wavefront_offset 0
		.amdhsa_system_sgpr_workgroup_id_x 1
		.amdhsa_system_sgpr_workgroup_id_y 0
		.amdhsa_system_sgpr_workgroup_id_z 0
		.amdhsa_system_sgpr_workgroup_info 0
		.amdhsa_system_vgpr_workitem_id 2
		.amdhsa_next_free_vgpr 38
		.amdhsa_next_free_sgpr 44
		.amdhsa_accum_offset 40
		.amdhsa_reserve_vcc 1
		.amdhsa_reserve_flat_scratch 0
		.amdhsa_float_round_mode_32 0
		.amdhsa_float_round_mode_16_64 0
		.amdhsa_float_denorm_mode_32 3
		.amdhsa_float_denorm_mode_16_64 3
		.amdhsa_dx10_clamp 1
		.amdhsa_ieee_mode 1
		.amdhsa_fp16_overflow 0
		.amdhsa_tg_split 0
		.amdhsa_exception_fp_ieee_invalid_op 0
		.amdhsa_exception_fp_denorm_src 0
		.amdhsa_exception_fp_ieee_div_zero 0
		.amdhsa_exception_fp_ieee_overflow 0
		.amdhsa_exception_fp_ieee_underflow 0
		.amdhsa_exception_fp_ieee_inexact 0
		.amdhsa_exception_int_div_zero 0
	.end_amdhsa_kernel
	.section	.text._ZN7rocprim17ROCPRIM_400000_NS6detail17trampoline_kernelINS0_13kernel_configILj256ELj4ELj4294967295EEENS1_37radix_sort_block_sort_config_selectorIsNS0_10empty_typeEEEZNS1_21radix_sort_block_sortIS4_Lb0EN6thrust23THRUST_200600_302600_NS6detail15normal_iteratorINSA_10device_ptrIsEEEESF_PS6_SG_NS0_19identity_decomposerEEE10hipError_tT1_T2_T3_T4_jRjT5_jjP12ihipStream_tbEUlT_E_NS1_11comp_targetILNS1_3genE4ELNS1_11target_archE910ELNS1_3gpuE8ELNS1_3repE0EEENS1_44radix_sort_block_sort_config_static_selectorELNS0_4arch9wavefront6targetE1EEEvSJ_,"axG",@progbits,_ZN7rocprim17ROCPRIM_400000_NS6detail17trampoline_kernelINS0_13kernel_configILj256ELj4ELj4294967295EEENS1_37radix_sort_block_sort_config_selectorIsNS0_10empty_typeEEEZNS1_21radix_sort_block_sortIS4_Lb0EN6thrust23THRUST_200600_302600_NS6detail15normal_iteratorINSA_10device_ptrIsEEEESF_PS6_SG_NS0_19identity_decomposerEEE10hipError_tT1_T2_T3_T4_jRjT5_jjP12ihipStream_tbEUlT_E_NS1_11comp_targetILNS1_3genE4ELNS1_11target_archE910ELNS1_3gpuE8ELNS1_3repE0EEENS1_44radix_sort_block_sort_config_static_selectorELNS0_4arch9wavefront6targetE1EEEvSJ_,comdat
.Lfunc_end1802:
	.size	_ZN7rocprim17ROCPRIM_400000_NS6detail17trampoline_kernelINS0_13kernel_configILj256ELj4ELj4294967295EEENS1_37radix_sort_block_sort_config_selectorIsNS0_10empty_typeEEEZNS1_21radix_sort_block_sortIS4_Lb0EN6thrust23THRUST_200600_302600_NS6detail15normal_iteratorINSA_10device_ptrIsEEEESF_PS6_SG_NS0_19identity_decomposerEEE10hipError_tT1_T2_T3_T4_jRjT5_jjP12ihipStream_tbEUlT_E_NS1_11comp_targetILNS1_3genE4ELNS1_11target_archE910ELNS1_3gpuE8ELNS1_3repE0EEENS1_44radix_sort_block_sort_config_static_selectorELNS0_4arch9wavefront6targetE1EEEvSJ_, .Lfunc_end1802-_ZN7rocprim17ROCPRIM_400000_NS6detail17trampoline_kernelINS0_13kernel_configILj256ELj4ELj4294967295EEENS1_37radix_sort_block_sort_config_selectorIsNS0_10empty_typeEEEZNS1_21radix_sort_block_sortIS4_Lb0EN6thrust23THRUST_200600_302600_NS6detail15normal_iteratorINSA_10device_ptrIsEEEESF_PS6_SG_NS0_19identity_decomposerEEE10hipError_tT1_T2_T3_T4_jRjT5_jjP12ihipStream_tbEUlT_E_NS1_11comp_targetILNS1_3genE4ELNS1_11target_archE910ELNS1_3gpuE8ELNS1_3repE0EEENS1_44radix_sort_block_sort_config_static_selectorELNS0_4arch9wavefront6targetE1EEEvSJ_
                                        ; -- End function
	.section	.AMDGPU.csdata,"",@progbits
; Kernel info:
; codeLenInByte = 3308
; NumSgprs: 48
; NumVgprs: 38
; NumAgprs: 0
; TotalNumVgprs: 38
; ScratchSize: 0
; MemoryBound: 0
; FloatMode: 240
; IeeeMode: 1
; LDSByteSize: 4112 bytes/workgroup (compile time only)
; SGPRBlocks: 5
; VGPRBlocks: 4
; NumSGPRsForWavesPerEU: 48
; NumVGPRsForWavesPerEU: 38
; AccumOffset: 40
; Occupancy: 8
; WaveLimiterHint : 1
; COMPUTE_PGM_RSRC2:SCRATCH_EN: 0
; COMPUTE_PGM_RSRC2:USER_SGPR: 6
; COMPUTE_PGM_RSRC2:TRAP_HANDLER: 0
; COMPUTE_PGM_RSRC2:TGID_X_EN: 1
; COMPUTE_PGM_RSRC2:TGID_Y_EN: 0
; COMPUTE_PGM_RSRC2:TGID_Z_EN: 0
; COMPUTE_PGM_RSRC2:TIDIG_COMP_CNT: 2
; COMPUTE_PGM_RSRC3_GFX90A:ACCUM_OFFSET: 9
; COMPUTE_PGM_RSRC3_GFX90A:TG_SPLIT: 0
	.section	.text._ZN7rocprim17ROCPRIM_400000_NS6detail17trampoline_kernelINS0_13kernel_configILj256ELj4ELj4294967295EEENS1_37radix_sort_block_sort_config_selectorIsNS0_10empty_typeEEEZNS1_21radix_sort_block_sortIS4_Lb0EN6thrust23THRUST_200600_302600_NS6detail15normal_iteratorINSA_10device_ptrIsEEEESF_PS6_SG_NS0_19identity_decomposerEEE10hipError_tT1_T2_T3_T4_jRjT5_jjP12ihipStream_tbEUlT_E_NS1_11comp_targetILNS1_3genE3ELNS1_11target_archE908ELNS1_3gpuE7ELNS1_3repE0EEENS1_44radix_sort_block_sort_config_static_selectorELNS0_4arch9wavefront6targetE1EEEvSJ_,"axG",@progbits,_ZN7rocprim17ROCPRIM_400000_NS6detail17trampoline_kernelINS0_13kernel_configILj256ELj4ELj4294967295EEENS1_37radix_sort_block_sort_config_selectorIsNS0_10empty_typeEEEZNS1_21radix_sort_block_sortIS4_Lb0EN6thrust23THRUST_200600_302600_NS6detail15normal_iteratorINSA_10device_ptrIsEEEESF_PS6_SG_NS0_19identity_decomposerEEE10hipError_tT1_T2_T3_T4_jRjT5_jjP12ihipStream_tbEUlT_E_NS1_11comp_targetILNS1_3genE3ELNS1_11target_archE908ELNS1_3gpuE7ELNS1_3repE0EEENS1_44radix_sort_block_sort_config_static_selectorELNS0_4arch9wavefront6targetE1EEEvSJ_,comdat
	.protected	_ZN7rocprim17ROCPRIM_400000_NS6detail17trampoline_kernelINS0_13kernel_configILj256ELj4ELj4294967295EEENS1_37radix_sort_block_sort_config_selectorIsNS0_10empty_typeEEEZNS1_21radix_sort_block_sortIS4_Lb0EN6thrust23THRUST_200600_302600_NS6detail15normal_iteratorINSA_10device_ptrIsEEEESF_PS6_SG_NS0_19identity_decomposerEEE10hipError_tT1_T2_T3_T4_jRjT5_jjP12ihipStream_tbEUlT_E_NS1_11comp_targetILNS1_3genE3ELNS1_11target_archE908ELNS1_3gpuE7ELNS1_3repE0EEENS1_44radix_sort_block_sort_config_static_selectorELNS0_4arch9wavefront6targetE1EEEvSJ_ ; -- Begin function _ZN7rocprim17ROCPRIM_400000_NS6detail17trampoline_kernelINS0_13kernel_configILj256ELj4ELj4294967295EEENS1_37radix_sort_block_sort_config_selectorIsNS0_10empty_typeEEEZNS1_21radix_sort_block_sortIS4_Lb0EN6thrust23THRUST_200600_302600_NS6detail15normal_iteratorINSA_10device_ptrIsEEEESF_PS6_SG_NS0_19identity_decomposerEEE10hipError_tT1_T2_T3_T4_jRjT5_jjP12ihipStream_tbEUlT_E_NS1_11comp_targetILNS1_3genE3ELNS1_11target_archE908ELNS1_3gpuE7ELNS1_3repE0EEENS1_44radix_sort_block_sort_config_static_selectorELNS0_4arch9wavefront6targetE1EEEvSJ_
	.globl	_ZN7rocprim17ROCPRIM_400000_NS6detail17trampoline_kernelINS0_13kernel_configILj256ELj4ELj4294967295EEENS1_37radix_sort_block_sort_config_selectorIsNS0_10empty_typeEEEZNS1_21radix_sort_block_sortIS4_Lb0EN6thrust23THRUST_200600_302600_NS6detail15normal_iteratorINSA_10device_ptrIsEEEESF_PS6_SG_NS0_19identity_decomposerEEE10hipError_tT1_T2_T3_T4_jRjT5_jjP12ihipStream_tbEUlT_E_NS1_11comp_targetILNS1_3genE3ELNS1_11target_archE908ELNS1_3gpuE7ELNS1_3repE0EEENS1_44radix_sort_block_sort_config_static_selectorELNS0_4arch9wavefront6targetE1EEEvSJ_
	.p2align	8
	.type	_ZN7rocprim17ROCPRIM_400000_NS6detail17trampoline_kernelINS0_13kernel_configILj256ELj4ELj4294967295EEENS1_37radix_sort_block_sort_config_selectorIsNS0_10empty_typeEEEZNS1_21radix_sort_block_sortIS4_Lb0EN6thrust23THRUST_200600_302600_NS6detail15normal_iteratorINSA_10device_ptrIsEEEESF_PS6_SG_NS0_19identity_decomposerEEE10hipError_tT1_T2_T3_T4_jRjT5_jjP12ihipStream_tbEUlT_E_NS1_11comp_targetILNS1_3genE3ELNS1_11target_archE908ELNS1_3gpuE7ELNS1_3repE0EEENS1_44radix_sort_block_sort_config_static_selectorELNS0_4arch9wavefront6targetE1EEEvSJ_,@function
_ZN7rocprim17ROCPRIM_400000_NS6detail17trampoline_kernelINS0_13kernel_configILj256ELj4ELj4294967295EEENS1_37radix_sort_block_sort_config_selectorIsNS0_10empty_typeEEEZNS1_21radix_sort_block_sortIS4_Lb0EN6thrust23THRUST_200600_302600_NS6detail15normal_iteratorINSA_10device_ptrIsEEEESF_PS6_SG_NS0_19identity_decomposerEEE10hipError_tT1_T2_T3_T4_jRjT5_jjP12ihipStream_tbEUlT_E_NS1_11comp_targetILNS1_3genE3ELNS1_11target_archE908ELNS1_3gpuE7ELNS1_3repE0EEENS1_44radix_sort_block_sort_config_static_selectorELNS0_4arch9wavefront6targetE1EEEvSJ_: ; @_ZN7rocprim17ROCPRIM_400000_NS6detail17trampoline_kernelINS0_13kernel_configILj256ELj4ELj4294967295EEENS1_37radix_sort_block_sort_config_selectorIsNS0_10empty_typeEEEZNS1_21radix_sort_block_sortIS4_Lb0EN6thrust23THRUST_200600_302600_NS6detail15normal_iteratorINSA_10device_ptrIsEEEESF_PS6_SG_NS0_19identity_decomposerEEE10hipError_tT1_T2_T3_T4_jRjT5_jjP12ihipStream_tbEUlT_E_NS1_11comp_targetILNS1_3genE3ELNS1_11target_archE908ELNS1_3gpuE7ELNS1_3repE0EEENS1_44radix_sort_block_sort_config_static_selectorELNS0_4arch9wavefront6targetE1EEEvSJ_
; %bb.0:
	.section	.rodata,"a",@progbits
	.p2align	6, 0x0
	.amdhsa_kernel _ZN7rocprim17ROCPRIM_400000_NS6detail17trampoline_kernelINS0_13kernel_configILj256ELj4ELj4294967295EEENS1_37radix_sort_block_sort_config_selectorIsNS0_10empty_typeEEEZNS1_21radix_sort_block_sortIS4_Lb0EN6thrust23THRUST_200600_302600_NS6detail15normal_iteratorINSA_10device_ptrIsEEEESF_PS6_SG_NS0_19identity_decomposerEEE10hipError_tT1_T2_T3_T4_jRjT5_jjP12ihipStream_tbEUlT_E_NS1_11comp_targetILNS1_3genE3ELNS1_11target_archE908ELNS1_3gpuE7ELNS1_3repE0EEENS1_44radix_sort_block_sort_config_static_selectorELNS0_4arch9wavefront6targetE1EEEvSJ_
		.amdhsa_group_segment_fixed_size 0
		.amdhsa_private_segment_fixed_size 0
		.amdhsa_kernarg_size 48
		.amdhsa_user_sgpr_count 6
		.amdhsa_user_sgpr_private_segment_buffer 1
		.amdhsa_user_sgpr_dispatch_ptr 0
		.amdhsa_user_sgpr_queue_ptr 0
		.amdhsa_user_sgpr_kernarg_segment_ptr 1
		.amdhsa_user_sgpr_dispatch_id 0
		.amdhsa_user_sgpr_flat_scratch_init 0
		.amdhsa_user_sgpr_kernarg_preload_length 0
		.amdhsa_user_sgpr_kernarg_preload_offset 0
		.amdhsa_user_sgpr_private_segment_size 0
		.amdhsa_uses_dynamic_stack 0
		.amdhsa_system_sgpr_private_segment_wavefront_offset 0
		.amdhsa_system_sgpr_workgroup_id_x 1
		.amdhsa_system_sgpr_workgroup_id_y 0
		.amdhsa_system_sgpr_workgroup_id_z 0
		.amdhsa_system_sgpr_workgroup_info 0
		.amdhsa_system_vgpr_workitem_id 0
		.amdhsa_next_free_vgpr 1
		.amdhsa_next_free_sgpr 0
		.amdhsa_accum_offset 4
		.amdhsa_reserve_vcc 0
		.amdhsa_reserve_flat_scratch 0
		.amdhsa_float_round_mode_32 0
		.amdhsa_float_round_mode_16_64 0
		.amdhsa_float_denorm_mode_32 3
		.amdhsa_float_denorm_mode_16_64 3
		.amdhsa_dx10_clamp 1
		.amdhsa_ieee_mode 1
		.amdhsa_fp16_overflow 0
		.amdhsa_tg_split 0
		.amdhsa_exception_fp_ieee_invalid_op 0
		.amdhsa_exception_fp_denorm_src 0
		.amdhsa_exception_fp_ieee_div_zero 0
		.amdhsa_exception_fp_ieee_overflow 0
		.amdhsa_exception_fp_ieee_underflow 0
		.amdhsa_exception_fp_ieee_inexact 0
		.amdhsa_exception_int_div_zero 0
	.end_amdhsa_kernel
	.section	.text._ZN7rocprim17ROCPRIM_400000_NS6detail17trampoline_kernelINS0_13kernel_configILj256ELj4ELj4294967295EEENS1_37radix_sort_block_sort_config_selectorIsNS0_10empty_typeEEEZNS1_21radix_sort_block_sortIS4_Lb0EN6thrust23THRUST_200600_302600_NS6detail15normal_iteratorINSA_10device_ptrIsEEEESF_PS6_SG_NS0_19identity_decomposerEEE10hipError_tT1_T2_T3_T4_jRjT5_jjP12ihipStream_tbEUlT_E_NS1_11comp_targetILNS1_3genE3ELNS1_11target_archE908ELNS1_3gpuE7ELNS1_3repE0EEENS1_44radix_sort_block_sort_config_static_selectorELNS0_4arch9wavefront6targetE1EEEvSJ_,"axG",@progbits,_ZN7rocprim17ROCPRIM_400000_NS6detail17trampoline_kernelINS0_13kernel_configILj256ELj4ELj4294967295EEENS1_37radix_sort_block_sort_config_selectorIsNS0_10empty_typeEEEZNS1_21radix_sort_block_sortIS4_Lb0EN6thrust23THRUST_200600_302600_NS6detail15normal_iteratorINSA_10device_ptrIsEEEESF_PS6_SG_NS0_19identity_decomposerEEE10hipError_tT1_T2_T3_T4_jRjT5_jjP12ihipStream_tbEUlT_E_NS1_11comp_targetILNS1_3genE3ELNS1_11target_archE908ELNS1_3gpuE7ELNS1_3repE0EEENS1_44radix_sort_block_sort_config_static_selectorELNS0_4arch9wavefront6targetE1EEEvSJ_,comdat
.Lfunc_end1803:
	.size	_ZN7rocprim17ROCPRIM_400000_NS6detail17trampoline_kernelINS0_13kernel_configILj256ELj4ELj4294967295EEENS1_37radix_sort_block_sort_config_selectorIsNS0_10empty_typeEEEZNS1_21radix_sort_block_sortIS4_Lb0EN6thrust23THRUST_200600_302600_NS6detail15normal_iteratorINSA_10device_ptrIsEEEESF_PS6_SG_NS0_19identity_decomposerEEE10hipError_tT1_T2_T3_T4_jRjT5_jjP12ihipStream_tbEUlT_E_NS1_11comp_targetILNS1_3genE3ELNS1_11target_archE908ELNS1_3gpuE7ELNS1_3repE0EEENS1_44radix_sort_block_sort_config_static_selectorELNS0_4arch9wavefront6targetE1EEEvSJ_, .Lfunc_end1803-_ZN7rocprim17ROCPRIM_400000_NS6detail17trampoline_kernelINS0_13kernel_configILj256ELj4ELj4294967295EEENS1_37radix_sort_block_sort_config_selectorIsNS0_10empty_typeEEEZNS1_21radix_sort_block_sortIS4_Lb0EN6thrust23THRUST_200600_302600_NS6detail15normal_iteratorINSA_10device_ptrIsEEEESF_PS6_SG_NS0_19identity_decomposerEEE10hipError_tT1_T2_T3_T4_jRjT5_jjP12ihipStream_tbEUlT_E_NS1_11comp_targetILNS1_3genE3ELNS1_11target_archE908ELNS1_3gpuE7ELNS1_3repE0EEENS1_44radix_sort_block_sort_config_static_selectorELNS0_4arch9wavefront6targetE1EEEvSJ_
                                        ; -- End function
	.section	.AMDGPU.csdata,"",@progbits
; Kernel info:
; codeLenInByte = 0
; NumSgprs: 4
; NumVgprs: 0
; NumAgprs: 0
; TotalNumVgprs: 0
; ScratchSize: 0
; MemoryBound: 0
; FloatMode: 240
; IeeeMode: 1
; LDSByteSize: 0 bytes/workgroup (compile time only)
; SGPRBlocks: 0
; VGPRBlocks: 0
; NumSGPRsForWavesPerEU: 4
; NumVGPRsForWavesPerEU: 1
; AccumOffset: 4
; Occupancy: 8
; WaveLimiterHint : 0
; COMPUTE_PGM_RSRC2:SCRATCH_EN: 0
; COMPUTE_PGM_RSRC2:USER_SGPR: 6
; COMPUTE_PGM_RSRC2:TRAP_HANDLER: 0
; COMPUTE_PGM_RSRC2:TGID_X_EN: 1
; COMPUTE_PGM_RSRC2:TGID_Y_EN: 0
; COMPUTE_PGM_RSRC2:TGID_Z_EN: 0
; COMPUTE_PGM_RSRC2:TIDIG_COMP_CNT: 0
; COMPUTE_PGM_RSRC3_GFX90A:ACCUM_OFFSET: 0
; COMPUTE_PGM_RSRC3_GFX90A:TG_SPLIT: 0
	.section	.text._ZN7rocprim17ROCPRIM_400000_NS6detail17trampoline_kernelINS0_13kernel_configILj256ELj4ELj4294967295EEENS1_37radix_sort_block_sort_config_selectorIsNS0_10empty_typeEEEZNS1_21radix_sort_block_sortIS4_Lb0EN6thrust23THRUST_200600_302600_NS6detail15normal_iteratorINSA_10device_ptrIsEEEESF_PS6_SG_NS0_19identity_decomposerEEE10hipError_tT1_T2_T3_T4_jRjT5_jjP12ihipStream_tbEUlT_E_NS1_11comp_targetILNS1_3genE2ELNS1_11target_archE906ELNS1_3gpuE6ELNS1_3repE0EEENS1_44radix_sort_block_sort_config_static_selectorELNS0_4arch9wavefront6targetE1EEEvSJ_,"axG",@progbits,_ZN7rocprim17ROCPRIM_400000_NS6detail17trampoline_kernelINS0_13kernel_configILj256ELj4ELj4294967295EEENS1_37radix_sort_block_sort_config_selectorIsNS0_10empty_typeEEEZNS1_21radix_sort_block_sortIS4_Lb0EN6thrust23THRUST_200600_302600_NS6detail15normal_iteratorINSA_10device_ptrIsEEEESF_PS6_SG_NS0_19identity_decomposerEEE10hipError_tT1_T2_T3_T4_jRjT5_jjP12ihipStream_tbEUlT_E_NS1_11comp_targetILNS1_3genE2ELNS1_11target_archE906ELNS1_3gpuE6ELNS1_3repE0EEENS1_44radix_sort_block_sort_config_static_selectorELNS0_4arch9wavefront6targetE1EEEvSJ_,comdat
	.protected	_ZN7rocprim17ROCPRIM_400000_NS6detail17trampoline_kernelINS0_13kernel_configILj256ELj4ELj4294967295EEENS1_37radix_sort_block_sort_config_selectorIsNS0_10empty_typeEEEZNS1_21radix_sort_block_sortIS4_Lb0EN6thrust23THRUST_200600_302600_NS6detail15normal_iteratorINSA_10device_ptrIsEEEESF_PS6_SG_NS0_19identity_decomposerEEE10hipError_tT1_T2_T3_T4_jRjT5_jjP12ihipStream_tbEUlT_E_NS1_11comp_targetILNS1_3genE2ELNS1_11target_archE906ELNS1_3gpuE6ELNS1_3repE0EEENS1_44radix_sort_block_sort_config_static_selectorELNS0_4arch9wavefront6targetE1EEEvSJ_ ; -- Begin function _ZN7rocprim17ROCPRIM_400000_NS6detail17trampoline_kernelINS0_13kernel_configILj256ELj4ELj4294967295EEENS1_37radix_sort_block_sort_config_selectorIsNS0_10empty_typeEEEZNS1_21radix_sort_block_sortIS4_Lb0EN6thrust23THRUST_200600_302600_NS6detail15normal_iteratorINSA_10device_ptrIsEEEESF_PS6_SG_NS0_19identity_decomposerEEE10hipError_tT1_T2_T3_T4_jRjT5_jjP12ihipStream_tbEUlT_E_NS1_11comp_targetILNS1_3genE2ELNS1_11target_archE906ELNS1_3gpuE6ELNS1_3repE0EEENS1_44radix_sort_block_sort_config_static_selectorELNS0_4arch9wavefront6targetE1EEEvSJ_
	.globl	_ZN7rocprim17ROCPRIM_400000_NS6detail17trampoline_kernelINS0_13kernel_configILj256ELj4ELj4294967295EEENS1_37radix_sort_block_sort_config_selectorIsNS0_10empty_typeEEEZNS1_21radix_sort_block_sortIS4_Lb0EN6thrust23THRUST_200600_302600_NS6detail15normal_iteratorINSA_10device_ptrIsEEEESF_PS6_SG_NS0_19identity_decomposerEEE10hipError_tT1_T2_T3_T4_jRjT5_jjP12ihipStream_tbEUlT_E_NS1_11comp_targetILNS1_3genE2ELNS1_11target_archE906ELNS1_3gpuE6ELNS1_3repE0EEENS1_44radix_sort_block_sort_config_static_selectorELNS0_4arch9wavefront6targetE1EEEvSJ_
	.p2align	8
	.type	_ZN7rocprim17ROCPRIM_400000_NS6detail17trampoline_kernelINS0_13kernel_configILj256ELj4ELj4294967295EEENS1_37radix_sort_block_sort_config_selectorIsNS0_10empty_typeEEEZNS1_21radix_sort_block_sortIS4_Lb0EN6thrust23THRUST_200600_302600_NS6detail15normal_iteratorINSA_10device_ptrIsEEEESF_PS6_SG_NS0_19identity_decomposerEEE10hipError_tT1_T2_T3_T4_jRjT5_jjP12ihipStream_tbEUlT_E_NS1_11comp_targetILNS1_3genE2ELNS1_11target_archE906ELNS1_3gpuE6ELNS1_3repE0EEENS1_44radix_sort_block_sort_config_static_selectorELNS0_4arch9wavefront6targetE1EEEvSJ_,@function
_ZN7rocprim17ROCPRIM_400000_NS6detail17trampoline_kernelINS0_13kernel_configILj256ELj4ELj4294967295EEENS1_37radix_sort_block_sort_config_selectorIsNS0_10empty_typeEEEZNS1_21radix_sort_block_sortIS4_Lb0EN6thrust23THRUST_200600_302600_NS6detail15normal_iteratorINSA_10device_ptrIsEEEESF_PS6_SG_NS0_19identity_decomposerEEE10hipError_tT1_T2_T3_T4_jRjT5_jjP12ihipStream_tbEUlT_E_NS1_11comp_targetILNS1_3genE2ELNS1_11target_archE906ELNS1_3gpuE6ELNS1_3repE0EEENS1_44radix_sort_block_sort_config_static_selectorELNS0_4arch9wavefront6targetE1EEEvSJ_: ; @_ZN7rocprim17ROCPRIM_400000_NS6detail17trampoline_kernelINS0_13kernel_configILj256ELj4ELj4294967295EEENS1_37radix_sort_block_sort_config_selectorIsNS0_10empty_typeEEEZNS1_21radix_sort_block_sortIS4_Lb0EN6thrust23THRUST_200600_302600_NS6detail15normal_iteratorINSA_10device_ptrIsEEEESF_PS6_SG_NS0_19identity_decomposerEEE10hipError_tT1_T2_T3_T4_jRjT5_jjP12ihipStream_tbEUlT_E_NS1_11comp_targetILNS1_3genE2ELNS1_11target_archE906ELNS1_3gpuE6ELNS1_3repE0EEENS1_44radix_sort_block_sort_config_static_selectorELNS0_4arch9wavefront6targetE1EEEvSJ_
; %bb.0:
	.section	.rodata,"a",@progbits
	.p2align	6, 0x0
	.amdhsa_kernel _ZN7rocprim17ROCPRIM_400000_NS6detail17trampoline_kernelINS0_13kernel_configILj256ELj4ELj4294967295EEENS1_37radix_sort_block_sort_config_selectorIsNS0_10empty_typeEEEZNS1_21radix_sort_block_sortIS4_Lb0EN6thrust23THRUST_200600_302600_NS6detail15normal_iteratorINSA_10device_ptrIsEEEESF_PS6_SG_NS0_19identity_decomposerEEE10hipError_tT1_T2_T3_T4_jRjT5_jjP12ihipStream_tbEUlT_E_NS1_11comp_targetILNS1_3genE2ELNS1_11target_archE906ELNS1_3gpuE6ELNS1_3repE0EEENS1_44radix_sort_block_sort_config_static_selectorELNS0_4arch9wavefront6targetE1EEEvSJ_
		.amdhsa_group_segment_fixed_size 0
		.amdhsa_private_segment_fixed_size 0
		.amdhsa_kernarg_size 48
		.amdhsa_user_sgpr_count 6
		.amdhsa_user_sgpr_private_segment_buffer 1
		.amdhsa_user_sgpr_dispatch_ptr 0
		.amdhsa_user_sgpr_queue_ptr 0
		.amdhsa_user_sgpr_kernarg_segment_ptr 1
		.amdhsa_user_sgpr_dispatch_id 0
		.amdhsa_user_sgpr_flat_scratch_init 0
		.amdhsa_user_sgpr_kernarg_preload_length 0
		.amdhsa_user_sgpr_kernarg_preload_offset 0
		.amdhsa_user_sgpr_private_segment_size 0
		.amdhsa_uses_dynamic_stack 0
		.amdhsa_system_sgpr_private_segment_wavefront_offset 0
		.amdhsa_system_sgpr_workgroup_id_x 1
		.amdhsa_system_sgpr_workgroup_id_y 0
		.amdhsa_system_sgpr_workgroup_id_z 0
		.amdhsa_system_sgpr_workgroup_info 0
		.amdhsa_system_vgpr_workitem_id 0
		.amdhsa_next_free_vgpr 1
		.amdhsa_next_free_sgpr 0
		.amdhsa_accum_offset 4
		.amdhsa_reserve_vcc 0
		.amdhsa_reserve_flat_scratch 0
		.amdhsa_float_round_mode_32 0
		.amdhsa_float_round_mode_16_64 0
		.amdhsa_float_denorm_mode_32 3
		.amdhsa_float_denorm_mode_16_64 3
		.amdhsa_dx10_clamp 1
		.amdhsa_ieee_mode 1
		.amdhsa_fp16_overflow 0
		.amdhsa_tg_split 0
		.amdhsa_exception_fp_ieee_invalid_op 0
		.amdhsa_exception_fp_denorm_src 0
		.amdhsa_exception_fp_ieee_div_zero 0
		.amdhsa_exception_fp_ieee_overflow 0
		.amdhsa_exception_fp_ieee_underflow 0
		.amdhsa_exception_fp_ieee_inexact 0
		.amdhsa_exception_int_div_zero 0
	.end_amdhsa_kernel
	.section	.text._ZN7rocprim17ROCPRIM_400000_NS6detail17trampoline_kernelINS0_13kernel_configILj256ELj4ELj4294967295EEENS1_37radix_sort_block_sort_config_selectorIsNS0_10empty_typeEEEZNS1_21radix_sort_block_sortIS4_Lb0EN6thrust23THRUST_200600_302600_NS6detail15normal_iteratorINSA_10device_ptrIsEEEESF_PS6_SG_NS0_19identity_decomposerEEE10hipError_tT1_T2_T3_T4_jRjT5_jjP12ihipStream_tbEUlT_E_NS1_11comp_targetILNS1_3genE2ELNS1_11target_archE906ELNS1_3gpuE6ELNS1_3repE0EEENS1_44radix_sort_block_sort_config_static_selectorELNS0_4arch9wavefront6targetE1EEEvSJ_,"axG",@progbits,_ZN7rocprim17ROCPRIM_400000_NS6detail17trampoline_kernelINS0_13kernel_configILj256ELj4ELj4294967295EEENS1_37radix_sort_block_sort_config_selectorIsNS0_10empty_typeEEEZNS1_21radix_sort_block_sortIS4_Lb0EN6thrust23THRUST_200600_302600_NS6detail15normal_iteratorINSA_10device_ptrIsEEEESF_PS6_SG_NS0_19identity_decomposerEEE10hipError_tT1_T2_T3_T4_jRjT5_jjP12ihipStream_tbEUlT_E_NS1_11comp_targetILNS1_3genE2ELNS1_11target_archE906ELNS1_3gpuE6ELNS1_3repE0EEENS1_44radix_sort_block_sort_config_static_selectorELNS0_4arch9wavefront6targetE1EEEvSJ_,comdat
.Lfunc_end1804:
	.size	_ZN7rocprim17ROCPRIM_400000_NS6detail17trampoline_kernelINS0_13kernel_configILj256ELj4ELj4294967295EEENS1_37radix_sort_block_sort_config_selectorIsNS0_10empty_typeEEEZNS1_21radix_sort_block_sortIS4_Lb0EN6thrust23THRUST_200600_302600_NS6detail15normal_iteratorINSA_10device_ptrIsEEEESF_PS6_SG_NS0_19identity_decomposerEEE10hipError_tT1_T2_T3_T4_jRjT5_jjP12ihipStream_tbEUlT_E_NS1_11comp_targetILNS1_3genE2ELNS1_11target_archE906ELNS1_3gpuE6ELNS1_3repE0EEENS1_44radix_sort_block_sort_config_static_selectorELNS0_4arch9wavefront6targetE1EEEvSJ_, .Lfunc_end1804-_ZN7rocprim17ROCPRIM_400000_NS6detail17trampoline_kernelINS0_13kernel_configILj256ELj4ELj4294967295EEENS1_37radix_sort_block_sort_config_selectorIsNS0_10empty_typeEEEZNS1_21radix_sort_block_sortIS4_Lb0EN6thrust23THRUST_200600_302600_NS6detail15normal_iteratorINSA_10device_ptrIsEEEESF_PS6_SG_NS0_19identity_decomposerEEE10hipError_tT1_T2_T3_T4_jRjT5_jjP12ihipStream_tbEUlT_E_NS1_11comp_targetILNS1_3genE2ELNS1_11target_archE906ELNS1_3gpuE6ELNS1_3repE0EEENS1_44radix_sort_block_sort_config_static_selectorELNS0_4arch9wavefront6targetE1EEEvSJ_
                                        ; -- End function
	.section	.AMDGPU.csdata,"",@progbits
; Kernel info:
; codeLenInByte = 0
; NumSgprs: 4
; NumVgprs: 0
; NumAgprs: 0
; TotalNumVgprs: 0
; ScratchSize: 0
; MemoryBound: 0
; FloatMode: 240
; IeeeMode: 1
; LDSByteSize: 0 bytes/workgroup (compile time only)
; SGPRBlocks: 0
; VGPRBlocks: 0
; NumSGPRsForWavesPerEU: 4
; NumVGPRsForWavesPerEU: 1
; AccumOffset: 4
; Occupancy: 8
; WaveLimiterHint : 0
; COMPUTE_PGM_RSRC2:SCRATCH_EN: 0
; COMPUTE_PGM_RSRC2:USER_SGPR: 6
; COMPUTE_PGM_RSRC2:TRAP_HANDLER: 0
; COMPUTE_PGM_RSRC2:TGID_X_EN: 1
; COMPUTE_PGM_RSRC2:TGID_Y_EN: 0
; COMPUTE_PGM_RSRC2:TGID_Z_EN: 0
; COMPUTE_PGM_RSRC2:TIDIG_COMP_CNT: 0
; COMPUTE_PGM_RSRC3_GFX90A:ACCUM_OFFSET: 0
; COMPUTE_PGM_RSRC3_GFX90A:TG_SPLIT: 0
	.section	.text._ZN7rocprim17ROCPRIM_400000_NS6detail17trampoline_kernelINS0_13kernel_configILj256ELj4ELj4294967295EEENS1_37radix_sort_block_sort_config_selectorIsNS0_10empty_typeEEEZNS1_21radix_sort_block_sortIS4_Lb0EN6thrust23THRUST_200600_302600_NS6detail15normal_iteratorINSA_10device_ptrIsEEEESF_PS6_SG_NS0_19identity_decomposerEEE10hipError_tT1_T2_T3_T4_jRjT5_jjP12ihipStream_tbEUlT_E_NS1_11comp_targetILNS1_3genE10ELNS1_11target_archE1201ELNS1_3gpuE5ELNS1_3repE0EEENS1_44radix_sort_block_sort_config_static_selectorELNS0_4arch9wavefront6targetE1EEEvSJ_,"axG",@progbits,_ZN7rocprim17ROCPRIM_400000_NS6detail17trampoline_kernelINS0_13kernel_configILj256ELj4ELj4294967295EEENS1_37radix_sort_block_sort_config_selectorIsNS0_10empty_typeEEEZNS1_21radix_sort_block_sortIS4_Lb0EN6thrust23THRUST_200600_302600_NS6detail15normal_iteratorINSA_10device_ptrIsEEEESF_PS6_SG_NS0_19identity_decomposerEEE10hipError_tT1_T2_T3_T4_jRjT5_jjP12ihipStream_tbEUlT_E_NS1_11comp_targetILNS1_3genE10ELNS1_11target_archE1201ELNS1_3gpuE5ELNS1_3repE0EEENS1_44radix_sort_block_sort_config_static_selectorELNS0_4arch9wavefront6targetE1EEEvSJ_,comdat
	.protected	_ZN7rocprim17ROCPRIM_400000_NS6detail17trampoline_kernelINS0_13kernel_configILj256ELj4ELj4294967295EEENS1_37radix_sort_block_sort_config_selectorIsNS0_10empty_typeEEEZNS1_21radix_sort_block_sortIS4_Lb0EN6thrust23THRUST_200600_302600_NS6detail15normal_iteratorINSA_10device_ptrIsEEEESF_PS6_SG_NS0_19identity_decomposerEEE10hipError_tT1_T2_T3_T4_jRjT5_jjP12ihipStream_tbEUlT_E_NS1_11comp_targetILNS1_3genE10ELNS1_11target_archE1201ELNS1_3gpuE5ELNS1_3repE0EEENS1_44radix_sort_block_sort_config_static_selectorELNS0_4arch9wavefront6targetE1EEEvSJ_ ; -- Begin function _ZN7rocprim17ROCPRIM_400000_NS6detail17trampoline_kernelINS0_13kernel_configILj256ELj4ELj4294967295EEENS1_37radix_sort_block_sort_config_selectorIsNS0_10empty_typeEEEZNS1_21radix_sort_block_sortIS4_Lb0EN6thrust23THRUST_200600_302600_NS6detail15normal_iteratorINSA_10device_ptrIsEEEESF_PS6_SG_NS0_19identity_decomposerEEE10hipError_tT1_T2_T3_T4_jRjT5_jjP12ihipStream_tbEUlT_E_NS1_11comp_targetILNS1_3genE10ELNS1_11target_archE1201ELNS1_3gpuE5ELNS1_3repE0EEENS1_44radix_sort_block_sort_config_static_selectorELNS0_4arch9wavefront6targetE1EEEvSJ_
	.globl	_ZN7rocprim17ROCPRIM_400000_NS6detail17trampoline_kernelINS0_13kernel_configILj256ELj4ELj4294967295EEENS1_37radix_sort_block_sort_config_selectorIsNS0_10empty_typeEEEZNS1_21radix_sort_block_sortIS4_Lb0EN6thrust23THRUST_200600_302600_NS6detail15normal_iteratorINSA_10device_ptrIsEEEESF_PS6_SG_NS0_19identity_decomposerEEE10hipError_tT1_T2_T3_T4_jRjT5_jjP12ihipStream_tbEUlT_E_NS1_11comp_targetILNS1_3genE10ELNS1_11target_archE1201ELNS1_3gpuE5ELNS1_3repE0EEENS1_44radix_sort_block_sort_config_static_selectorELNS0_4arch9wavefront6targetE1EEEvSJ_
	.p2align	8
	.type	_ZN7rocprim17ROCPRIM_400000_NS6detail17trampoline_kernelINS0_13kernel_configILj256ELj4ELj4294967295EEENS1_37radix_sort_block_sort_config_selectorIsNS0_10empty_typeEEEZNS1_21radix_sort_block_sortIS4_Lb0EN6thrust23THRUST_200600_302600_NS6detail15normal_iteratorINSA_10device_ptrIsEEEESF_PS6_SG_NS0_19identity_decomposerEEE10hipError_tT1_T2_T3_T4_jRjT5_jjP12ihipStream_tbEUlT_E_NS1_11comp_targetILNS1_3genE10ELNS1_11target_archE1201ELNS1_3gpuE5ELNS1_3repE0EEENS1_44radix_sort_block_sort_config_static_selectorELNS0_4arch9wavefront6targetE1EEEvSJ_,@function
_ZN7rocprim17ROCPRIM_400000_NS6detail17trampoline_kernelINS0_13kernel_configILj256ELj4ELj4294967295EEENS1_37radix_sort_block_sort_config_selectorIsNS0_10empty_typeEEEZNS1_21radix_sort_block_sortIS4_Lb0EN6thrust23THRUST_200600_302600_NS6detail15normal_iteratorINSA_10device_ptrIsEEEESF_PS6_SG_NS0_19identity_decomposerEEE10hipError_tT1_T2_T3_T4_jRjT5_jjP12ihipStream_tbEUlT_E_NS1_11comp_targetILNS1_3genE10ELNS1_11target_archE1201ELNS1_3gpuE5ELNS1_3repE0EEENS1_44radix_sort_block_sort_config_static_selectorELNS0_4arch9wavefront6targetE1EEEvSJ_: ; @_ZN7rocprim17ROCPRIM_400000_NS6detail17trampoline_kernelINS0_13kernel_configILj256ELj4ELj4294967295EEENS1_37radix_sort_block_sort_config_selectorIsNS0_10empty_typeEEEZNS1_21radix_sort_block_sortIS4_Lb0EN6thrust23THRUST_200600_302600_NS6detail15normal_iteratorINSA_10device_ptrIsEEEESF_PS6_SG_NS0_19identity_decomposerEEE10hipError_tT1_T2_T3_T4_jRjT5_jjP12ihipStream_tbEUlT_E_NS1_11comp_targetILNS1_3genE10ELNS1_11target_archE1201ELNS1_3gpuE5ELNS1_3repE0EEENS1_44radix_sort_block_sort_config_static_selectorELNS0_4arch9wavefront6targetE1EEEvSJ_
; %bb.0:
	.section	.rodata,"a",@progbits
	.p2align	6, 0x0
	.amdhsa_kernel _ZN7rocprim17ROCPRIM_400000_NS6detail17trampoline_kernelINS0_13kernel_configILj256ELj4ELj4294967295EEENS1_37radix_sort_block_sort_config_selectorIsNS0_10empty_typeEEEZNS1_21radix_sort_block_sortIS4_Lb0EN6thrust23THRUST_200600_302600_NS6detail15normal_iteratorINSA_10device_ptrIsEEEESF_PS6_SG_NS0_19identity_decomposerEEE10hipError_tT1_T2_T3_T4_jRjT5_jjP12ihipStream_tbEUlT_E_NS1_11comp_targetILNS1_3genE10ELNS1_11target_archE1201ELNS1_3gpuE5ELNS1_3repE0EEENS1_44radix_sort_block_sort_config_static_selectorELNS0_4arch9wavefront6targetE1EEEvSJ_
		.amdhsa_group_segment_fixed_size 0
		.amdhsa_private_segment_fixed_size 0
		.amdhsa_kernarg_size 48
		.amdhsa_user_sgpr_count 6
		.amdhsa_user_sgpr_private_segment_buffer 1
		.amdhsa_user_sgpr_dispatch_ptr 0
		.amdhsa_user_sgpr_queue_ptr 0
		.amdhsa_user_sgpr_kernarg_segment_ptr 1
		.amdhsa_user_sgpr_dispatch_id 0
		.amdhsa_user_sgpr_flat_scratch_init 0
		.amdhsa_user_sgpr_kernarg_preload_length 0
		.amdhsa_user_sgpr_kernarg_preload_offset 0
		.amdhsa_user_sgpr_private_segment_size 0
		.amdhsa_uses_dynamic_stack 0
		.amdhsa_system_sgpr_private_segment_wavefront_offset 0
		.amdhsa_system_sgpr_workgroup_id_x 1
		.amdhsa_system_sgpr_workgroup_id_y 0
		.amdhsa_system_sgpr_workgroup_id_z 0
		.amdhsa_system_sgpr_workgroup_info 0
		.amdhsa_system_vgpr_workitem_id 0
		.amdhsa_next_free_vgpr 1
		.amdhsa_next_free_sgpr 0
		.amdhsa_accum_offset 4
		.amdhsa_reserve_vcc 0
		.amdhsa_reserve_flat_scratch 0
		.amdhsa_float_round_mode_32 0
		.amdhsa_float_round_mode_16_64 0
		.amdhsa_float_denorm_mode_32 3
		.amdhsa_float_denorm_mode_16_64 3
		.amdhsa_dx10_clamp 1
		.amdhsa_ieee_mode 1
		.amdhsa_fp16_overflow 0
		.amdhsa_tg_split 0
		.amdhsa_exception_fp_ieee_invalid_op 0
		.amdhsa_exception_fp_denorm_src 0
		.amdhsa_exception_fp_ieee_div_zero 0
		.amdhsa_exception_fp_ieee_overflow 0
		.amdhsa_exception_fp_ieee_underflow 0
		.amdhsa_exception_fp_ieee_inexact 0
		.amdhsa_exception_int_div_zero 0
	.end_amdhsa_kernel
	.section	.text._ZN7rocprim17ROCPRIM_400000_NS6detail17trampoline_kernelINS0_13kernel_configILj256ELj4ELj4294967295EEENS1_37radix_sort_block_sort_config_selectorIsNS0_10empty_typeEEEZNS1_21radix_sort_block_sortIS4_Lb0EN6thrust23THRUST_200600_302600_NS6detail15normal_iteratorINSA_10device_ptrIsEEEESF_PS6_SG_NS0_19identity_decomposerEEE10hipError_tT1_T2_T3_T4_jRjT5_jjP12ihipStream_tbEUlT_E_NS1_11comp_targetILNS1_3genE10ELNS1_11target_archE1201ELNS1_3gpuE5ELNS1_3repE0EEENS1_44radix_sort_block_sort_config_static_selectorELNS0_4arch9wavefront6targetE1EEEvSJ_,"axG",@progbits,_ZN7rocprim17ROCPRIM_400000_NS6detail17trampoline_kernelINS0_13kernel_configILj256ELj4ELj4294967295EEENS1_37radix_sort_block_sort_config_selectorIsNS0_10empty_typeEEEZNS1_21radix_sort_block_sortIS4_Lb0EN6thrust23THRUST_200600_302600_NS6detail15normal_iteratorINSA_10device_ptrIsEEEESF_PS6_SG_NS0_19identity_decomposerEEE10hipError_tT1_T2_T3_T4_jRjT5_jjP12ihipStream_tbEUlT_E_NS1_11comp_targetILNS1_3genE10ELNS1_11target_archE1201ELNS1_3gpuE5ELNS1_3repE0EEENS1_44radix_sort_block_sort_config_static_selectorELNS0_4arch9wavefront6targetE1EEEvSJ_,comdat
.Lfunc_end1805:
	.size	_ZN7rocprim17ROCPRIM_400000_NS6detail17trampoline_kernelINS0_13kernel_configILj256ELj4ELj4294967295EEENS1_37radix_sort_block_sort_config_selectorIsNS0_10empty_typeEEEZNS1_21radix_sort_block_sortIS4_Lb0EN6thrust23THRUST_200600_302600_NS6detail15normal_iteratorINSA_10device_ptrIsEEEESF_PS6_SG_NS0_19identity_decomposerEEE10hipError_tT1_T2_T3_T4_jRjT5_jjP12ihipStream_tbEUlT_E_NS1_11comp_targetILNS1_3genE10ELNS1_11target_archE1201ELNS1_3gpuE5ELNS1_3repE0EEENS1_44radix_sort_block_sort_config_static_selectorELNS0_4arch9wavefront6targetE1EEEvSJ_, .Lfunc_end1805-_ZN7rocprim17ROCPRIM_400000_NS6detail17trampoline_kernelINS0_13kernel_configILj256ELj4ELj4294967295EEENS1_37radix_sort_block_sort_config_selectorIsNS0_10empty_typeEEEZNS1_21radix_sort_block_sortIS4_Lb0EN6thrust23THRUST_200600_302600_NS6detail15normal_iteratorINSA_10device_ptrIsEEEESF_PS6_SG_NS0_19identity_decomposerEEE10hipError_tT1_T2_T3_T4_jRjT5_jjP12ihipStream_tbEUlT_E_NS1_11comp_targetILNS1_3genE10ELNS1_11target_archE1201ELNS1_3gpuE5ELNS1_3repE0EEENS1_44radix_sort_block_sort_config_static_selectorELNS0_4arch9wavefront6targetE1EEEvSJ_
                                        ; -- End function
	.section	.AMDGPU.csdata,"",@progbits
; Kernel info:
; codeLenInByte = 0
; NumSgprs: 4
; NumVgprs: 0
; NumAgprs: 0
; TotalNumVgprs: 0
; ScratchSize: 0
; MemoryBound: 0
; FloatMode: 240
; IeeeMode: 1
; LDSByteSize: 0 bytes/workgroup (compile time only)
; SGPRBlocks: 0
; VGPRBlocks: 0
; NumSGPRsForWavesPerEU: 4
; NumVGPRsForWavesPerEU: 1
; AccumOffset: 4
; Occupancy: 8
; WaveLimiterHint : 0
; COMPUTE_PGM_RSRC2:SCRATCH_EN: 0
; COMPUTE_PGM_RSRC2:USER_SGPR: 6
; COMPUTE_PGM_RSRC2:TRAP_HANDLER: 0
; COMPUTE_PGM_RSRC2:TGID_X_EN: 1
; COMPUTE_PGM_RSRC2:TGID_Y_EN: 0
; COMPUTE_PGM_RSRC2:TGID_Z_EN: 0
; COMPUTE_PGM_RSRC2:TIDIG_COMP_CNT: 0
; COMPUTE_PGM_RSRC3_GFX90A:ACCUM_OFFSET: 0
; COMPUTE_PGM_RSRC3_GFX90A:TG_SPLIT: 0
	.section	.text._ZN7rocprim17ROCPRIM_400000_NS6detail17trampoline_kernelINS0_13kernel_configILj256ELj4ELj4294967295EEENS1_37radix_sort_block_sort_config_selectorIsNS0_10empty_typeEEEZNS1_21radix_sort_block_sortIS4_Lb0EN6thrust23THRUST_200600_302600_NS6detail15normal_iteratorINSA_10device_ptrIsEEEESF_PS6_SG_NS0_19identity_decomposerEEE10hipError_tT1_T2_T3_T4_jRjT5_jjP12ihipStream_tbEUlT_E_NS1_11comp_targetILNS1_3genE10ELNS1_11target_archE1200ELNS1_3gpuE4ELNS1_3repE0EEENS1_44radix_sort_block_sort_config_static_selectorELNS0_4arch9wavefront6targetE1EEEvSJ_,"axG",@progbits,_ZN7rocprim17ROCPRIM_400000_NS6detail17trampoline_kernelINS0_13kernel_configILj256ELj4ELj4294967295EEENS1_37radix_sort_block_sort_config_selectorIsNS0_10empty_typeEEEZNS1_21radix_sort_block_sortIS4_Lb0EN6thrust23THRUST_200600_302600_NS6detail15normal_iteratorINSA_10device_ptrIsEEEESF_PS6_SG_NS0_19identity_decomposerEEE10hipError_tT1_T2_T3_T4_jRjT5_jjP12ihipStream_tbEUlT_E_NS1_11comp_targetILNS1_3genE10ELNS1_11target_archE1200ELNS1_3gpuE4ELNS1_3repE0EEENS1_44radix_sort_block_sort_config_static_selectorELNS0_4arch9wavefront6targetE1EEEvSJ_,comdat
	.protected	_ZN7rocprim17ROCPRIM_400000_NS6detail17trampoline_kernelINS0_13kernel_configILj256ELj4ELj4294967295EEENS1_37radix_sort_block_sort_config_selectorIsNS0_10empty_typeEEEZNS1_21radix_sort_block_sortIS4_Lb0EN6thrust23THRUST_200600_302600_NS6detail15normal_iteratorINSA_10device_ptrIsEEEESF_PS6_SG_NS0_19identity_decomposerEEE10hipError_tT1_T2_T3_T4_jRjT5_jjP12ihipStream_tbEUlT_E_NS1_11comp_targetILNS1_3genE10ELNS1_11target_archE1200ELNS1_3gpuE4ELNS1_3repE0EEENS1_44radix_sort_block_sort_config_static_selectorELNS0_4arch9wavefront6targetE1EEEvSJ_ ; -- Begin function _ZN7rocprim17ROCPRIM_400000_NS6detail17trampoline_kernelINS0_13kernel_configILj256ELj4ELj4294967295EEENS1_37radix_sort_block_sort_config_selectorIsNS0_10empty_typeEEEZNS1_21radix_sort_block_sortIS4_Lb0EN6thrust23THRUST_200600_302600_NS6detail15normal_iteratorINSA_10device_ptrIsEEEESF_PS6_SG_NS0_19identity_decomposerEEE10hipError_tT1_T2_T3_T4_jRjT5_jjP12ihipStream_tbEUlT_E_NS1_11comp_targetILNS1_3genE10ELNS1_11target_archE1200ELNS1_3gpuE4ELNS1_3repE0EEENS1_44radix_sort_block_sort_config_static_selectorELNS0_4arch9wavefront6targetE1EEEvSJ_
	.globl	_ZN7rocprim17ROCPRIM_400000_NS6detail17trampoline_kernelINS0_13kernel_configILj256ELj4ELj4294967295EEENS1_37radix_sort_block_sort_config_selectorIsNS0_10empty_typeEEEZNS1_21radix_sort_block_sortIS4_Lb0EN6thrust23THRUST_200600_302600_NS6detail15normal_iteratorINSA_10device_ptrIsEEEESF_PS6_SG_NS0_19identity_decomposerEEE10hipError_tT1_T2_T3_T4_jRjT5_jjP12ihipStream_tbEUlT_E_NS1_11comp_targetILNS1_3genE10ELNS1_11target_archE1200ELNS1_3gpuE4ELNS1_3repE0EEENS1_44radix_sort_block_sort_config_static_selectorELNS0_4arch9wavefront6targetE1EEEvSJ_
	.p2align	8
	.type	_ZN7rocprim17ROCPRIM_400000_NS6detail17trampoline_kernelINS0_13kernel_configILj256ELj4ELj4294967295EEENS1_37radix_sort_block_sort_config_selectorIsNS0_10empty_typeEEEZNS1_21radix_sort_block_sortIS4_Lb0EN6thrust23THRUST_200600_302600_NS6detail15normal_iteratorINSA_10device_ptrIsEEEESF_PS6_SG_NS0_19identity_decomposerEEE10hipError_tT1_T2_T3_T4_jRjT5_jjP12ihipStream_tbEUlT_E_NS1_11comp_targetILNS1_3genE10ELNS1_11target_archE1200ELNS1_3gpuE4ELNS1_3repE0EEENS1_44radix_sort_block_sort_config_static_selectorELNS0_4arch9wavefront6targetE1EEEvSJ_,@function
_ZN7rocprim17ROCPRIM_400000_NS6detail17trampoline_kernelINS0_13kernel_configILj256ELj4ELj4294967295EEENS1_37radix_sort_block_sort_config_selectorIsNS0_10empty_typeEEEZNS1_21radix_sort_block_sortIS4_Lb0EN6thrust23THRUST_200600_302600_NS6detail15normal_iteratorINSA_10device_ptrIsEEEESF_PS6_SG_NS0_19identity_decomposerEEE10hipError_tT1_T2_T3_T4_jRjT5_jjP12ihipStream_tbEUlT_E_NS1_11comp_targetILNS1_3genE10ELNS1_11target_archE1200ELNS1_3gpuE4ELNS1_3repE0EEENS1_44radix_sort_block_sort_config_static_selectorELNS0_4arch9wavefront6targetE1EEEvSJ_: ; @_ZN7rocprim17ROCPRIM_400000_NS6detail17trampoline_kernelINS0_13kernel_configILj256ELj4ELj4294967295EEENS1_37radix_sort_block_sort_config_selectorIsNS0_10empty_typeEEEZNS1_21radix_sort_block_sortIS4_Lb0EN6thrust23THRUST_200600_302600_NS6detail15normal_iteratorINSA_10device_ptrIsEEEESF_PS6_SG_NS0_19identity_decomposerEEE10hipError_tT1_T2_T3_T4_jRjT5_jjP12ihipStream_tbEUlT_E_NS1_11comp_targetILNS1_3genE10ELNS1_11target_archE1200ELNS1_3gpuE4ELNS1_3repE0EEENS1_44radix_sort_block_sort_config_static_selectorELNS0_4arch9wavefront6targetE1EEEvSJ_
; %bb.0:
	.section	.rodata,"a",@progbits
	.p2align	6, 0x0
	.amdhsa_kernel _ZN7rocprim17ROCPRIM_400000_NS6detail17trampoline_kernelINS0_13kernel_configILj256ELj4ELj4294967295EEENS1_37radix_sort_block_sort_config_selectorIsNS0_10empty_typeEEEZNS1_21radix_sort_block_sortIS4_Lb0EN6thrust23THRUST_200600_302600_NS6detail15normal_iteratorINSA_10device_ptrIsEEEESF_PS6_SG_NS0_19identity_decomposerEEE10hipError_tT1_T2_T3_T4_jRjT5_jjP12ihipStream_tbEUlT_E_NS1_11comp_targetILNS1_3genE10ELNS1_11target_archE1200ELNS1_3gpuE4ELNS1_3repE0EEENS1_44radix_sort_block_sort_config_static_selectorELNS0_4arch9wavefront6targetE1EEEvSJ_
		.amdhsa_group_segment_fixed_size 0
		.amdhsa_private_segment_fixed_size 0
		.amdhsa_kernarg_size 48
		.amdhsa_user_sgpr_count 6
		.amdhsa_user_sgpr_private_segment_buffer 1
		.amdhsa_user_sgpr_dispatch_ptr 0
		.amdhsa_user_sgpr_queue_ptr 0
		.amdhsa_user_sgpr_kernarg_segment_ptr 1
		.amdhsa_user_sgpr_dispatch_id 0
		.amdhsa_user_sgpr_flat_scratch_init 0
		.amdhsa_user_sgpr_kernarg_preload_length 0
		.amdhsa_user_sgpr_kernarg_preload_offset 0
		.amdhsa_user_sgpr_private_segment_size 0
		.amdhsa_uses_dynamic_stack 0
		.amdhsa_system_sgpr_private_segment_wavefront_offset 0
		.amdhsa_system_sgpr_workgroup_id_x 1
		.amdhsa_system_sgpr_workgroup_id_y 0
		.amdhsa_system_sgpr_workgroup_id_z 0
		.amdhsa_system_sgpr_workgroup_info 0
		.amdhsa_system_vgpr_workitem_id 0
		.amdhsa_next_free_vgpr 1
		.amdhsa_next_free_sgpr 0
		.amdhsa_accum_offset 4
		.amdhsa_reserve_vcc 0
		.amdhsa_reserve_flat_scratch 0
		.amdhsa_float_round_mode_32 0
		.amdhsa_float_round_mode_16_64 0
		.amdhsa_float_denorm_mode_32 3
		.amdhsa_float_denorm_mode_16_64 3
		.amdhsa_dx10_clamp 1
		.amdhsa_ieee_mode 1
		.amdhsa_fp16_overflow 0
		.amdhsa_tg_split 0
		.amdhsa_exception_fp_ieee_invalid_op 0
		.amdhsa_exception_fp_denorm_src 0
		.amdhsa_exception_fp_ieee_div_zero 0
		.amdhsa_exception_fp_ieee_overflow 0
		.amdhsa_exception_fp_ieee_underflow 0
		.amdhsa_exception_fp_ieee_inexact 0
		.amdhsa_exception_int_div_zero 0
	.end_amdhsa_kernel
	.section	.text._ZN7rocprim17ROCPRIM_400000_NS6detail17trampoline_kernelINS0_13kernel_configILj256ELj4ELj4294967295EEENS1_37radix_sort_block_sort_config_selectorIsNS0_10empty_typeEEEZNS1_21radix_sort_block_sortIS4_Lb0EN6thrust23THRUST_200600_302600_NS6detail15normal_iteratorINSA_10device_ptrIsEEEESF_PS6_SG_NS0_19identity_decomposerEEE10hipError_tT1_T2_T3_T4_jRjT5_jjP12ihipStream_tbEUlT_E_NS1_11comp_targetILNS1_3genE10ELNS1_11target_archE1200ELNS1_3gpuE4ELNS1_3repE0EEENS1_44radix_sort_block_sort_config_static_selectorELNS0_4arch9wavefront6targetE1EEEvSJ_,"axG",@progbits,_ZN7rocprim17ROCPRIM_400000_NS6detail17trampoline_kernelINS0_13kernel_configILj256ELj4ELj4294967295EEENS1_37radix_sort_block_sort_config_selectorIsNS0_10empty_typeEEEZNS1_21radix_sort_block_sortIS4_Lb0EN6thrust23THRUST_200600_302600_NS6detail15normal_iteratorINSA_10device_ptrIsEEEESF_PS6_SG_NS0_19identity_decomposerEEE10hipError_tT1_T2_T3_T4_jRjT5_jjP12ihipStream_tbEUlT_E_NS1_11comp_targetILNS1_3genE10ELNS1_11target_archE1200ELNS1_3gpuE4ELNS1_3repE0EEENS1_44radix_sort_block_sort_config_static_selectorELNS0_4arch9wavefront6targetE1EEEvSJ_,comdat
.Lfunc_end1806:
	.size	_ZN7rocprim17ROCPRIM_400000_NS6detail17trampoline_kernelINS0_13kernel_configILj256ELj4ELj4294967295EEENS1_37radix_sort_block_sort_config_selectorIsNS0_10empty_typeEEEZNS1_21radix_sort_block_sortIS4_Lb0EN6thrust23THRUST_200600_302600_NS6detail15normal_iteratorINSA_10device_ptrIsEEEESF_PS6_SG_NS0_19identity_decomposerEEE10hipError_tT1_T2_T3_T4_jRjT5_jjP12ihipStream_tbEUlT_E_NS1_11comp_targetILNS1_3genE10ELNS1_11target_archE1200ELNS1_3gpuE4ELNS1_3repE0EEENS1_44radix_sort_block_sort_config_static_selectorELNS0_4arch9wavefront6targetE1EEEvSJ_, .Lfunc_end1806-_ZN7rocprim17ROCPRIM_400000_NS6detail17trampoline_kernelINS0_13kernel_configILj256ELj4ELj4294967295EEENS1_37radix_sort_block_sort_config_selectorIsNS0_10empty_typeEEEZNS1_21radix_sort_block_sortIS4_Lb0EN6thrust23THRUST_200600_302600_NS6detail15normal_iteratorINSA_10device_ptrIsEEEESF_PS6_SG_NS0_19identity_decomposerEEE10hipError_tT1_T2_T3_T4_jRjT5_jjP12ihipStream_tbEUlT_E_NS1_11comp_targetILNS1_3genE10ELNS1_11target_archE1200ELNS1_3gpuE4ELNS1_3repE0EEENS1_44radix_sort_block_sort_config_static_selectorELNS0_4arch9wavefront6targetE1EEEvSJ_
                                        ; -- End function
	.section	.AMDGPU.csdata,"",@progbits
; Kernel info:
; codeLenInByte = 0
; NumSgprs: 4
; NumVgprs: 0
; NumAgprs: 0
; TotalNumVgprs: 0
; ScratchSize: 0
; MemoryBound: 0
; FloatMode: 240
; IeeeMode: 1
; LDSByteSize: 0 bytes/workgroup (compile time only)
; SGPRBlocks: 0
; VGPRBlocks: 0
; NumSGPRsForWavesPerEU: 4
; NumVGPRsForWavesPerEU: 1
; AccumOffset: 4
; Occupancy: 8
; WaveLimiterHint : 0
; COMPUTE_PGM_RSRC2:SCRATCH_EN: 0
; COMPUTE_PGM_RSRC2:USER_SGPR: 6
; COMPUTE_PGM_RSRC2:TRAP_HANDLER: 0
; COMPUTE_PGM_RSRC2:TGID_X_EN: 1
; COMPUTE_PGM_RSRC2:TGID_Y_EN: 0
; COMPUTE_PGM_RSRC2:TGID_Z_EN: 0
; COMPUTE_PGM_RSRC2:TIDIG_COMP_CNT: 0
; COMPUTE_PGM_RSRC3_GFX90A:ACCUM_OFFSET: 0
; COMPUTE_PGM_RSRC3_GFX90A:TG_SPLIT: 0
	.section	.text._ZN7rocprim17ROCPRIM_400000_NS6detail17trampoline_kernelINS0_13kernel_configILj256ELj4ELj4294967295EEENS1_37radix_sort_block_sort_config_selectorIsNS0_10empty_typeEEEZNS1_21radix_sort_block_sortIS4_Lb0EN6thrust23THRUST_200600_302600_NS6detail15normal_iteratorINSA_10device_ptrIsEEEESF_PS6_SG_NS0_19identity_decomposerEEE10hipError_tT1_T2_T3_T4_jRjT5_jjP12ihipStream_tbEUlT_E_NS1_11comp_targetILNS1_3genE9ELNS1_11target_archE1100ELNS1_3gpuE3ELNS1_3repE0EEENS1_44radix_sort_block_sort_config_static_selectorELNS0_4arch9wavefront6targetE1EEEvSJ_,"axG",@progbits,_ZN7rocprim17ROCPRIM_400000_NS6detail17trampoline_kernelINS0_13kernel_configILj256ELj4ELj4294967295EEENS1_37radix_sort_block_sort_config_selectorIsNS0_10empty_typeEEEZNS1_21radix_sort_block_sortIS4_Lb0EN6thrust23THRUST_200600_302600_NS6detail15normal_iteratorINSA_10device_ptrIsEEEESF_PS6_SG_NS0_19identity_decomposerEEE10hipError_tT1_T2_T3_T4_jRjT5_jjP12ihipStream_tbEUlT_E_NS1_11comp_targetILNS1_3genE9ELNS1_11target_archE1100ELNS1_3gpuE3ELNS1_3repE0EEENS1_44radix_sort_block_sort_config_static_selectorELNS0_4arch9wavefront6targetE1EEEvSJ_,comdat
	.protected	_ZN7rocprim17ROCPRIM_400000_NS6detail17trampoline_kernelINS0_13kernel_configILj256ELj4ELj4294967295EEENS1_37radix_sort_block_sort_config_selectorIsNS0_10empty_typeEEEZNS1_21radix_sort_block_sortIS4_Lb0EN6thrust23THRUST_200600_302600_NS6detail15normal_iteratorINSA_10device_ptrIsEEEESF_PS6_SG_NS0_19identity_decomposerEEE10hipError_tT1_T2_T3_T4_jRjT5_jjP12ihipStream_tbEUlT_E_NS1_11comp_targetILNS1_3genE9ELNS1_11target_archE1100ELNS1_3gpuE3ELNS1_3repE0EEENS1_44radix_sort_block_sort_config_static_selectorELNS0_4arch9wavefront6targetE1EEEvSJ_ ; -- Begin function _ZN7rocprim17ROCPRIM_400000_NS6detail17trampoline_kernelINS0_13kernel_configILj256ELj4ELj4294967295EEENS1_37radix_sort_block_sort_config_selectorIsNS0_10empty_typeEEEZNS1_21radix_sort_block_sortIS4_Lb0EN6thrust23THRUST_200600_302600_NS6detail15normal_iteratorINSA_10device_ptrIsEEEESF_PS6_SG_NS0_19identity_decomposerEEE10hipError_tT1_T2_T3_T4_jRjT5_jjP12ihipStream_tbEUlT_E_NS1_11comp_targetILNS1_3genE9ELNS1_11target_archE1100ELNS1_3gpuE3ELNS1_3repE0EEENS1_44radix_sort_block_sort_config_static_selectorELNS0_4arch9wavefront6targetE1EEEvSJ_
	.globl	_ZN7rocprim17ROCPRIM_400000_NS6detail17trampoline_kernelINS0_13kernel_configILj256ELj4ELj4294967295EEENS1_37radix_sort_block_sort_config_selectorIsNS0_10empty_typeEEEZNS1_21radix_sort_block_sortIS4_Lb0EN6thrust23THRUST_200600_302600_NS6detail15normal_iteratorINSA_10device_ptrIsEEEESF_PS6_SG_NS0_19identity_decomposerEEE10hipError_tT1_T2_T3_T4_jRjT5_jjP12ihipStream_tbEUlT_E_NS1_11comp_targetILNS1_3genE9ELNS1_11target_archE1100ELNS1_3gpuE3ELNS1_3repE0EEENS1_44radix_sort_block_sort_config_static_selectorELNS0_4arch9wavefront6targetE1EEEvSJ_
	.p2align	8
	.type	_ZN7rocprim17ROCPRIM_400000_NS6detail17trampoline_kernelINS0_13kernel_configILj256ELj4ELj4294967295EEENS1_37radix_sort_block_sort_config_selectorIsNS0_10empty_typeEEEZNS1_21radix_sort_block_sortIS4_Lb0EN6thrust23THRUST_200600_302600_NS6detail15normal_iteratorINSA_10device_ptrIsEEEESF_PS6_SG_NS0_19identity_decomposerEEE10hipError_tT1_T2_T3_T4_jRjT5_jjP12ihipStream_tbEUlT_E_NS1_11comp_targetILNS1_3genE9ELNS1_11target_archE1100ELNS1_3gpuE3ELNS1_3repE0EEENS1_44radix_sort_block_sort_config_static_selectorELNS0_4arch9wavefront6targetE1EEEvSJ_,@function
_ZN7rocprim17ROCPRIM_400000_NS6detail17trampoline_kernelINS0_13kernel_configILj256ELj4ELj4294967295EEENS1_37radix_sort_block_sort_config_selectorIsNS0_10empty_typeEEEZNS1_21radix_sort_block_sortIS4_Lb0EN6thrust23THRUST_200600_302600_NS6detail15normal_iteratorINSA_10device_ptrIsEEEESF_PS6_SG_NS0_19identity_decomposerEEE10hipError_tT1_T2_T3_T4_jRjT5_jjP12ihipStream_tbEUlT_E_NS1_11comp_targetILNS1_3genE9ELNS1_11target_archE1100ELNS1_3gpuE3ELNS1_3repE0EEENS1_44radix_sort_block_sort_config_static_selectorELNS0_4arch9wavefront6targetE1EEEvSJ_: ; @_ZN7rocprim17ROCPRIM_400000_NS6detail17trampoline_kernelINS0_13kernel_configILj256ELj4ELj4294967295EEENS1_37radix_sort_block_sort_config_selectorIsNS0_10empty_typeEEEZNS1_21radix_sort_block_sortIS4_Lb0EN6thrust23THRUST_200600_302600_NS6detail15normal_iteratorINSA_10device_ptrIsEEEESF_PS6_SG_NS0_19identity_decomposerEEE10hipError_tT1_T2_T3_T4_jRjT5_jjP12ihipStream_tbEUlT_E_NS1_11comp_targetILNS1_3genE9ELNS1_11target_archE1100ELNS1_3gpuE3ELNS1_3repE0EEENS1_44radix_sort_block_sort_config_static_selectorELNS0_4arch9wavefront6targetE1EEEvSJ_
; %bb.0:
	.section	.rodata,"a",@progbits
	.p2align	6, 0x0
	.amdhsa_kernel _ZN7rocprim17ROCPRIM_400000_NS6detail17trampoline_kernelINS0_13kernel_configILj256ELj4ELj4294967295EEENS1_37radix_sort_block_sort_config_selectorIsNS0_10empty_typeEEEZNS1_21radix_sort_block_sortIS4_Lb0EN6thrust23THRUST_200600_302600_NS6detail15normal_iteratorINSA_10device_ptrIsEEEESF_PS6_SG_NS0_19identity_decomposerEEE10hipError_tT1_T2_T3_T4_jRjT5_jjP12ihipStream_tbEUlT_E_NS1_11comp_targetILNS1_3genE9ELNS1_11target_archE1100ELNS1_3gpuE3ELNS1_3repE0EEENS1_44radix_sort_block_sort_config_static_selectorELNS0_4arch9wavefront6targetE1EEEvSJ_
		.amdhsa_group_segment_fixed_size 0
		.amdhsa_private_segment_fixed_size 0
		.amdhsa_kernarg_size 48
		.amdhsa_user_sgpr_count 6
		.amdhsa_user_sgpr_private_segment_buffer 1
		.amdhsa_user_sgpr_dispatch_ptr 0
		.amdhsa_user_sgpr_queue_ptr 0
		.amdhsa_user_sgpr_kernarg_segment_ptr 1
		.amdhsa_user_sgpr_dispatch_id 0
		.amdhsa_user_sgpr_flat_scratch_init 0
		.amdhsa_user_sgpr_kernarg_preload_length 0
		.amdhsa_user_sgpr_kernarg_preload_offset 0
		.amdhsa_user_sgpr_private_segment_size 0
		.amdhsa_uses_dynamic_stack 0
		.amdhsa_system_sgpr_private_segment_wavefront_offset 0
		.amdhsa_system_sgpr_workgroup_id_x 1
		.amdhsa_system_sgpr_workgroup_id_y 0
		.amdhsa_system_sgpr_workgroup_id_z 0
		.amdhsa_system_sgpr_workgroup_info 0
		.amdhsa_system_vgpr_workitem_id 0
		.amdhsa_next_free_vgpr 1
		.amdhsa_next_free_sgpr 0
		.amdhsa_accum_offset 4
		.amdhsa_reserve_vcc 0
		.amdhsa_reserve_flat_scratch 0
		.amdhsa_float_round_mode_32 0
		.amdhsa_float_round_mode_16_64 0
		.amdhsa_float_denorm_mode_32 3
		.amdhsa_float_denorm_mode_16_64 3
		.amdhsa_dx10_clamp 1
		.amdhsa_ieee_mode 1
		.amdhsa_fp16_overflow 0
		.amdhsa_tg_split 0
		.amdhsa_exception_fp_ieee_invalid_op 0
		.amdhsa_exception_fp_denorm_src 0
		.amdhsa_exception_fp_ieee_div_zero 0
		.amdhsa_exception_fp_ieee_overflow 0
		.amdhsa_exception_fp_ieee_underflow 0
		.amdhsa_exception_fp_ieee_inexact 0
		.amdhsa_exception_int_div_zero 0
	.end_amdhsa_kernel
	.section	.text._ZN7rocprim17ROCPRIM_400000_NS6detail17trampoline_kernelINS0_13kernel_configILj256ELj4ELj4294967295EEENS1_37radix_sort_block_sort_config_selectorIsNS0_10empty_typeEEEZNS1_21radix_sort_block_sortIS4_Lb0EN6thrust23THRUST_200600_302600_NS6detail15normal_iteratorINSA_10device_ptrIsEEEESF_PS6_SG_NS0_19identity_decomposerEEE10hipError_tT1_T2_T3_T4_jRjT5_jjP12ihipStream_tbEUlT_E_NS1_11comp_targetILNS1_3genE9ELNS1_11target_archE1100ELNS1_3gpuE3ELNS1_3repE0EEENS1_44radix_sort_block_sort_config_static_selectorELNS0_4arch9wavefront6targetE1EEEvSJ_,"axG",@progbits,_ZN7rocprim17ROCPRIM_400000_NS6detail17trampoline_kernelINS0_13kernel_configILj256ELj4ELj4294967295EEENS1_37radix_sort_block_sort_config_selectorIsNS0_10empty_typeEEEZNS1_21radix_sort_block_sortIS4_Lb0EN6thrust23THRUST_200600_302600_NS6detail15normal_iteratorINSA_10device_ptrIsEEEESF_PS6_SG_NS0_19identity_decomposerEEE10hipError_tT1_T2_T3_T4_jRjT5_jjP12ihipStream_tbEUlT_E_NS1_11comp_targetILNS1_3genE9ELNS1_11target_archE1100ELNS1_3gpuE3ELNS1_3repE0EEENS1_44radix_sort_block_sort_config_static_selectorELNS0_4arch9wavefront6targetE1EEEvSJ_,comdat
.Lfunc_end1807:
	.size	_ZN7rocprim17ROCPRIM_400000_NS6detail17trampoline_kernelINS0_13kernel_configILj256ELj4ELj4294967295EEENS1_37radix_sort_block_sort_config_selectorIsNS0_10empty_typeEEEZNS1_21radix_sort_block_sortIS4_Lb0EN6thrust23THRUST_200600_302600_NS6detail15normal_iteratorINSA_10device_ptrIsEEEESF_PS6_SG_NS0_19identity_decomposerEEE10hipError_tT1_T2_T3_T4_jRjT5_jjP12ihipStream_tbEUlT_E_NS1_11comp_targetILNS1_3genE9ELNS1_11target_archE1100ELNS1_3gpuE3ELNS1_3repE0EEENS1_44radix_sort_block_sort_config_static_selectorELNS0_4arch9wavefront6targetE1EEEvSJ_, .Lfunc_end1807-_ZN7rocprim17ROCPRIM_400000_NS6detail17trampoline_kernelINS0_13kernel_configILj256ELj4ELj4294967295EEENS1_37radix_sort_block_sort_config_selectorIsNS0_10empty_typeEEEZNS1_21radix_sort_block_sortIS4_Lb0EN6thrust23THRUST_200600_302600_NS6detail15normal_iteratorINSA_10device_ptrIsEEEESF_PS6_SG_NS0_19identity_decomposerEEE10hipError_tT1_T2_T3_T4_jRjT5_jjP12ihipStream_tbEUlT_E_NS1_11comp_targetILNS1_3genE9ELNS1_11target_archE1100ELNS1_3gpuE3ELNS1_3repE0EEENS1_44radix_sort_block_sort_config_static_selectorELNS0_4arch9wavefront6targetE1EEEvSJ_
                                        ; -- End function
	.section	.AMDGPU.csdata,"",@progbits
; Kernel info:
; codeLenInByte = 0
; NumSgprs: 4
; NumVgprs: 0
; NumAgprs: 0
; TotalNumVgprs: 0
; ScratchSize: 0
; MemoryBound: 0
; FloatMode: 240
; IeeeMode: 1
; LDSByteSize: 0 bytes/workgroup (compile time only)
; SGPRBlocks: 0
; VGPRBlocks: 0
; NumSGPRsForWavesPerEU: 4
; NumVGPRsForWavesPerEU: 1
; AccumOffset: 4
; Occupancy: 8
; WaveLimiterHint : 0
; COMPUTE_PGM_RSRC2:SCRATCH_EN: 0
; COMPUTE_PGM_RSRC2:USER_SGPR: 6
; COMPUTE_PGM_RSRC2:TRAP_HANDLER: 0
; COMPUTE_PGM_RSRC2:TGID_X_EN: 1
; COMPUTE_PGM_RSRC2:TGID_Y_EN: 0
; COMPUTE_PGM_RSRC2:TGID_Z_EN: 0
; COMPUTE_PGM_RSRC2:TIDIG_COMP_CNT: 0
; COMPUTE_PGM_RSRC3_GFX90A:ACCUM_OFFSET: 0
; COMPUTE_PGM_RSRC3_GFX90A:TG_SPLIT: 0
	.section	.text._ZN7rocprim17ROCPRIM_400000_NS6detail17trampoline_kernelINS0_13kernel_configILj256ELj4ELj4294967295EEENS1_37radix_sort_block_sort_config_selectorIsNS0_10empty_typeEEEZNS1_21radix_sort_block_sortIS4_Lb0EN6thrust23THRUST_200600_302600_NS6detail15normal_iteratorINSA_10device_ptrIsEEEESF_PS6_SG_NS0_19identity_decomposerEEE10hipError_tT1_T2_T3_T4_jRjT5_jjP12ihipStream_tbEUlT_E_NS1_11comp_targetILNS1_3genE8ELNS1_11target_archE1030ELNS1_3gpuE2ELNS1_3repE0EEENS1_44radix_sort_block_sort_config_static_selectorELNS0_4arch9wavefront6targetE1EEEvSJ_,"axG",@progbits,_ZN7rocprim17ROCPRIM_400000_NS6detail17trampoline_kernelINS0_13kernel_configILj256ELj4ELj4294967295EEENS1_37radix_sort_block_sort_config_selectorIsNS0_10empty_typeEEEZNS1_21radix_sort_block_sortIS4_Lb0EN6thrust23THRUST_200600_302600_NS6detail15normal_iteratorINSA_10device_ptrIsEEEESF_PS6_SG_NS0_19identity_decomposerEEE10hipError_tT1_T2_T3_T4_jRjT5_jjP12ihipStream_tbEUlT_E_NS1_11comp_targetILNS1_3genE8ELNS1_11target_archE1030ELNS1_3gpuE2ELNS1_3repE0EEENS1_44radix_sort_block_sort_config_static_selectorELNS0_4arch9wavefront6targetE1EEEvSJ_,comdat
	.protected	_ZN7rocprim17ROCPRIM_400000_NS6detail17trampoline_kernelINS0_13kernel_configILj256ELj4ELj4294967295EEENS1_37radix_sort_block_sort_config_selectorIsNS0_10empty_typeEEEZNS1_21radix_sort_block_sortIS4_Lb0EN6thrust23THRUST_200600_302600_NS6detail15normal_iteratorINSA_10device_ptrIsEEEESF_PS6_SG_NS0_19identity_decomposerEEE10hipError_tT1_T2_T3_T4_jRjT5_jjP12ihipStream_tbEUlT_E_NS1_11comp_targetILNS1_3genE8ELNS1_11target_archE1030ELNS1_3gpuE2ELNS1_3repE0EEENS1_44radix_sort_block_sort_config_static_selectorELNS0_4arch9wavefront6targetE1EEEvSJ_ ; -- Begin function _ZN7rocprim17ROCPRIM_400000_NS6detail17trampoline_kernelINS0_13kernel_configILj256ELj4ELj4294967295EEENS1_37radix_sort_block_sort_config_selectorIsNS0_10empty_typeEEEZNS1_21radix_sort_block_sortIS4_Lb0EN6thrust23THRUST_200600_302600_NS6detail15normal_iteratorINSA_10device_ptrIsEEEESF_PS6_SG_NS0_19identity_decomposerEEE10hipError_tT1_T2_T3_T4_jRjT5_jjP12ihipStream_tbEUlT_E_NS1_11comp_targetILNS1_3genE8ELNS1_11target_archE1030ELNS1_3gpuE2ELNS1_3repE0EEENS1_44radix_sort_block_sort_config_static_selectorELNS0_4arch9wavefront6targetE1EEEvSJ_
	.globl	_ZN7rocprim17ROCPRIM_400000_NS6detail17trampoline_kernelINS0_13kernel_configILj256ELj4ELj4294967295EEENS1_37radix_sort_block_sort_config_selectorIsNS0_10empty_typeEEEZNS1_21radix_sort_block_sortIS4_Lb0EN6thrust23THRUST_200600_302600_NS6detail15normal_iteratorINSA_10device_ptrIsEEEESF_PS6_SG_NS0_19identity_decomposerEEE10hipError_tT1_T2_T3_T4_jRjT5_jjP12ihipStream_tbEUlT_E_NS1_11comp_targetILNS1_3genE8ELNS1_11target_archE1030ELNS1_3gpuE2ELNS1_3repE0EEENS1_44radix_sort_block_sort_config_static_selectorELNS0_4arch9wavefront6targetE1EEEvSJ_
	.p2align	8
	.type	_ZN7rocprim17ROCPRIM_400000_NS6detail17trampoline_kernelINS0_13kernel_configILj256ELj4ELj4294967295EEENS1_37radix_sort_block_sort_config_selectorIsNS0_10empty_typeEEEZNS1_21radix_sort_block_sortIS4_Lb0EN6thrust23THRUST_200600_302600_NS6detail15normal_iteratorINSA_10device_ptrIsEEEESF_PS6_SG_NS0_19identity_decomposerEEE10hipError_tT1_T2_T3_T4_jRjT5_jjP12ihipStream_tbEUlT_E_NS1_11comp_targetILNS1_3genE8ELNS1_11target_archE1030ELNS1_3gpuE2ELNS1_3repE0EEENS1_44radix_sort_block_sort_config_static_selectorELNS0_4arch9wavefront6targetE1EEEvSJ_,@function
_ZN7rocprim17ROCPRIM_400000_NS6detail17trampoline_kernelINS0_13kernel_configILj256ELj4ELj4294967295EEENS1_37radix_sort_block_sort_config_selectorIsNS0_10empty_typeEEEZNS1_21radix_sort_block_sortIS4_Lb0EN6thrust23THRUST_200600_302600_NS6detail15normal_iteratorINSA_10device_ptrIsEEEESF_PS6_SG_NS0_19identity_decomposerEEE10hipError_tT1_T2_T3_T4_jRjT5_jjP12ihipStream_tbEUlT_E_NS1_11comp_targetILNS1_3genE8ELNS1_11target_archE1030ELNS1_3gpuE2ELNS1_3repE0EEENS1_44radix_sort_block_sort_config_static_selectorELNS0_4arch9wavefront6targetE1EEEvSJ_: ; @_ZN7rocprim17ROCPRIM_400000_NS6detail17trampoline_kernelINS0_13kernel_configILj256ELj4ELj4294967295EEENS1_37radix_sort_block_sort_config_selectorIsNS0_10empty_typeEEEZNS1_21radix_sort_block_sortIS4_Lb0EN6thrust23THRUST_200600_302600_NS6detail15normal_iteratorINSA_10device_ptrIsEEEESF_PS6_SG_NS0_19identity_decomposerEEE10hipError_tT1_T2_T3_T4_jRjT5_jjP12ihipStream_tbEUlT_E_NS1_11comp_targetILNS1_3genE8ELNS1_11target_archE1030ELNS1_3gpuE2ELNS1_3repE0EEENS1_44radix_sort_block_sort_config_static_selectorELNS0_4arch9wavefront6targetE1EEEvSJ_
; %bb.0:
	.section	.rodata,"a",@progbits
	.p2align	6, 0x0
	.amdhsa_kernel _ZN7rocprim17ROCPRIM_400000_NS6detail17trampoline_kernelINS0_13kernel_configILj256ELj4ELj4294967295EEENS1_37radix_sort_block_sort_config_selectorIsNS0_10empty_typeEEEZNS1_21radix_sort_block_sortIS4_Lb0EN6thrust23THRUST_200600_302600_NS6detail15normal_iteratorINSA_10device_ptrIsEEEESF_PS6_SG_NS0_19identity_decomposerEEE10hipError_tT1_T2_T3_T4_jRjT5_jjP12ihipStream_tbEUlT_E_NS1_11comp_targetILNS1_3genE8ELNS1_11target_archE1030ELNS1_3gpuE2ELNS1_3repE0EEENS1_44radix_sort_block_sort_config_static_selectorELNS0_4arch9wavefront6targetE1EEEvSJ_
		.amdhsa_group_segment_fixed_size 0
		.amdhsa_private_segment_fixed_size 0
		.amdhsa_kernarg_size 48
		.amdhsa_user_sgpr_count 6
		.amdhsa_user_sgpr_private_segment_buffer 1
		.amdhsa_user_sgpr_dispatch_ptr 0
		.amdhsa_user_sgpr_queue_ptr 0
		.amdhsa_user_sgpr_kernarg_segment_ptr 1
		.amdhsa_user_sgpr_dispatch_id 0
		.amdhsa_user_sgpr_flat_scratch_init 0
		.amdhsa_user_sgpr_kernarg_preload_length 0
		.amdhsa_user_sgpr_kernarg_preload_offset 0
		.amdhsa_user_sgpr_private_segment_size 0
		.amdhsa_uses_dynamic_stack 0
		.amdhsa_system_sgpr_private_segment_wavefront_offset 0
		.amdhsa_system_sgpr_workgroup_id_x 1
		.amdhsa_system_sgpr_workgroup_id_y 0
		.amdhsa_system_sgpr_workgroup_id_z 0
		.amdhsa_system_sgpr_workgroup_info 0
		.amdhsa_system_vgpr_workitem_id 0
		.amdhsa_next_free_vgpr 1
		.amdhsa_next_free_sgpr 0
		.amdhsa_accum_offset 4
		.amdhsa_reserve_vcc 0
		.amdhsa_reserve_flat_scratch 0
		.amdhsa_float_round_mode_32 0
		.amdhsa_float_round_mode_16_64 0
		.amdhsa_float_denorm_mode_32 3
		.amdhsa_float_denorm_mode_16_64 3
		.amdhsa_dx10_clamp 1
		.amdhsa_ieee_mode 1
		.amdhsa_fp16_overflow 0
		.amdhsa_tg_split 0
		.amdhsa_exception_fp_ieee_invalid_op 0
		.amdhsa_exception_fp_denorm_src 0
		.amdhsa_exception_fp_ieee_div_zero 0
		.amdhsa_exception_fp_ieee_overflow 0
		.amdhsa_exception_fp_ieee_underflow 0
		.amdhsa_exception_fp_ieee_inexact 0
		.amdhsa_exception_int_div_zero 0
	.end_amdhsa_kernel
	.section	.text._ZN7rocprim17ROCPRIM_400000_NS6detail17trampoline_kernelINS0_13kernel_configILj256ELj4ELj4294967295EEENS1_37radix_sort_block_sort_config_selectorIsNS0_10empty_typeEEEZNS1_21radix_sort_block_sortIS4_Lb0EN6thrust23THRUST_200600_302600_NS6detail15normal_iteratorINSA_10device_ptrIsEEEESF_PS6_SG_NS0_19identity_decomposerEEE10hipError_tT1_T2_T3_T4_jRjT5_jjP12ihipStream_tbEUlT_E_NS1_11comp_targetILNS1_3genE8ELNS1_11target_archE1030ELNS1_3gpuE2ELNS1_3repE0EEENS1_44radix_sort_block_sort_config_static_selectorELNS0_4arch9wavefront6targetE1EEEvSJ_,"axG",@progbits,_ZN7rocprim17ROCPRIM_400000_NS6detail17trampoline_kernelINS0_13kernel_configILj256ELj4ELj4294967295EEENS1_37radix_sort_block_sort_config_selectorIsNS0_10empty_typeEEEZNS1_21radix_sort_block_sortIS4_Lb0EN6thrust23THRUST_200600_302600_NS6detail15normal_iteratorINSA_10device_ptrIsEEEESF_PS6_SG_NS0_19identity_decomposerEEE10hipError_tT1_T2_T3_T4_jRjT5_jjP12ihipStream_tbEUlT_E_NS1_11comp_targetILNS1_3genE8ELNS1_11target_archE1030ELNS1_3gpuE2ELNS1_3repE0EEENS1_44radix_sort_block_sort_config_static_selectorELNS0_4arch9wavefront6targetE1EEEvSJ_,comdat
.Lfunc_end1808:
	.size	_ZN7rocprim17ROCPRIM_400000_NS6detail17trampoline_kernelINS0_13kernel_configILj256ELj4ELj4294967295EEENS1_37radix_sort_block_sort_config_selectorIsNS0_10empty_typeEEEZNS1_21radix_sort_block_sortIS4_Lb0EN6thrust23THRUST_200600_302600_NS6detail15normal_iteratorINSA_10device_ptrIsEEEESF_PS6_SG_NS0_19identity_decomposerEEE10hipError_tT1_T2_T3_T4_jRjT5_jjP12ihipStream_tbEUlT_E_NS1_11comp_targetILNS1_3genE8ELNS1_11target_archE1030ELNS1_3gpuE2ELNS1_3repE0EEENS1_44radix_sort_block_sort_config_static_selectorELNS0_4arch9wavefront6targetE1EEEvSJ_, .Lfunc_end1808-_ZN7rocprim17ROCPRIM_400000_NS6detail17trampoline_kernelINS0_13kernel_configILj256ELj4ELj4294967295EEENS1_37radix_sort_block_sort_config_selectorIsNS0_10empty_typeEEEZNS1_21radix_sort_block_sortIS4_Lb0EN6thrust23THRUST_200600_302600_NS6detail15normal_iteratorINSA_10device_ptrIsEEEESF_PS6_SG_NS0_19identity_decomposerEEE10hipError_tT1_T2_T3_T4_jRjT5_jjP12ihipStream_tbEUlT_E_NS1_11comp_targetILNS1_3genE8ELNS1_11target_archE1030ELNS1_3gpuE2ELNS1_3repE0EEENS1_44radix_sort_block_sort_config_static_selectorELNS0_4arch9wavefront6targetE1EEEvSJ_
                                        ; -- End function
	.section	.AMDGPU.csdata,"",@progbits
; Kernel info:
; codeLenInByte = 0
; NumSgprs: 4
; NumVgprs: 0
; NumAgprs: 0
; TotalNumVgprs: 0
; ScratchSize: 0
; MemoryBound: 0
; FloatMode: 240
; IeeeMode: 1
; LDSByteSize: 0 bytes/workgroup (compile time only)
; SGPRBlocks: 0
; VGPRBlocks: 0
; NumSGPRsForWavesPerEU: 4
; NumVGPRsForWavesPerEU: 1
; AccumOffset: 4
; Occupancy: 8
; WaveLimiterHint : 0
; COMPUTE_PGM_RSRC2:SCRATCH_EN: 0
; COMPUTE_PGM_RSRC2:USER_SGPR: 6
; COMPUTE_PGM_RSRC2:TRAP_HANDLER: 0
; COMPUTE_PGM_RSRC2:TGID_X_EN: 1
; COMPUTE_PGM_RSRC2:TGID_Y_EN: 0
; COMPUTE_PGM_RSRC2:TGID_Z_EN: 0
; COMPUTE_PGM_RSRC2:TIDIG_COMP_CNT: 0
; COMPUTE_PGM_RSRC3_GFX90A:ACCUM_OFFSET: 0
; COMPUTE_PGM_RSRC3_GFX90A:TG_SPLIT: 0
	.section	.text._ZN7rocprim17ROCPRIM_400000_NS6detail44device_merge_sort_compile_time_verifier_archINS1_11comp_targetILNS1_3genE0ELNS1_11target_archE4294967295ELNS1_3gpuE0ELNS1_3repE0EEES8_NS1_28merge_sort_block_sort_configILj256ELj4ELNS0_20block_sort_algorithmE0EEENS0_14default_configENS1_37merge_sort_block_sort_config_selectorIsNS0_10empty_typeEEENS1_38merge_sort_block_merge_config_selectorIsSE_EEEEvv,"axG",@progbits,_ZN7rocprim17ROCPRIM_400000_NS6detail44device_merge_sort_compile_time_verifier_archINS1_11comp_targetILNS1_3genE0ELNS1_11target_archE4294967295ELNS1_3gpuE0ELNS1_3repE0EEES8_NS1_28merge_sort_block_sort_configILj256ELj4ELNS0_20block_sort_algorithmE0EEENS0_14default_configENS1_37merge_sort_block_sort_config_selectorIsNS0_10empty_typeEEENS1_38merge_sort_block_merge_config_selectorIsSE_EEEEvv,comdat
	.protected	_ZN7rocprim17ROCPRIM_400000_NS6detail44device_merge_sort_compile_time_verifier_archINS1_11comp_targetILNS1_3genE0ELNS1_11target_archE4294967295ELNS1_3gpuE0ELNS1_3repE0EEES8_NS1_28merge_sort_block_sort_configILj256ELj4ELNS0_20block_sort_algorithmE0EEENS0_14default_configENS1_37merge_sort_block_sort_config_selectorIsNS0_10empty_typeEEENS1_38merge_sort_block_merge_config_selectorIsSE_EEEEvv ; -- Begin function _ZN7rocprim17ROCPRIM_400000_NS6detail44device_merge_sort_compile_time_verifier_archINS1_11comp_targetILNS1_3genE0ELNS1_11target_archE4294967295ELNS1_3gpuE0ELNS1_3repE0EEES8_NS1_28merge_sort_block_sort_configILj256ELj4ELNS0_20block_sort_algorithmE0EEENS0_14default_configENS1_37merge_sort_block_sort_config_selectorIsNS0_10empty_typeEEENS1_38merge_sort_block_merge_config_selectorIsSE_EEEEvv
	.globl	_ZN7rocprim17ROCPRIM_400000_NS6detail44device_merge_sort_compile_time_verifier_archINS1_11comp_targetILNS1_3genE0ELNS1_11target_archE4294967295ELNS1_3gpuE0ELNS1_3repE0EEES8_NS1_28merge_sort_block_sort_configILj256ELj4ELNS0_20block_sort_algorithmE0EEENS0_14default_configENS1_37merge_sort_block_sort_config_selectorIsNS0_10empty_typeEEENS1_38merge_sort_block_merge_config_selectorIsSE_EEEEvv
	.p2align	8
	.type	_ZN7rocprim17ROCPRIM_400000_NS6detail44device_merge_sort_compile_time_verifier_archINS1_11comp_targetILNS1_3genE0ELNS1_11target_archE4294967295ELNS1_3gpuE0ELNS1_3repE0EEES8_NS1_28merge_sort_block_sort_configILj256ELj4ELNS0_20block_sort_algorithmE0EEENS0_14default_configENS1_37merge_sort_block_sort_config_selectorIsNS0_10empty_typeEEENS1_38merge_sort_block_merge_config_selectorIsSE_EEEEvv,@function
_ZN7rocprim17ROCPRIM_400000_NS6detail44device_merge_sort_compile_time_verifier_archINS1_11comp_targetILNS1_3genE0ELNS1_11target_archE4294967295ELNS1_3gpuE0ELNS1_3repE0EEES8_NS1_28merge_sort_block_sort_configILj256ELj4ELNS0_20block_sort_algorithmE0EEENS0_14default_configENS1_37merge_sort_block_sort_config_selectorIsNS0_10empty_typeEEENS1_38merge_sort_block_merge_config_selectorIsSE_EEEEvv: ; @_ZN7rocprim17ROCPRIM_400000_NS6detail44device_merge_sort_compile_time_verifier_archINS1_11comp_targetILNS1_3genE0ELNS1_11target_archE4294967295ELNS1_3gpuE0ELNS1_3repE0EEES8_NS1_28merge_sort_block_sort_configILj256ELj4ELNS0_20block_sort_algorithmE0EEENS0_14default_configENS1_37merge_sort_block_sort_config_selectorIsNS0_10empty_typeEEENS1_38merge_sort_block_merge_config_selectorIsSE_EEEEvv
; %bb.0:
	s_endpgm
	.section	.rodata,"a",@progbits
	.p2align	6, 0x0
	.amdhsa_kernel _ZN7rocprim17ROCPRIM_400000_NS6detail44device_merge_sort_compile_time_verifier_archINS1_11comp_targetILNS1_3genE0ELNS1_11target_archE4294967295ELNS1_3gpuE0ELNS1_3repE0EEES8_NS1_28merge_sort_block_sort_configILj256ELj4ELNS0_20block_sort_algorithmE0EEENS0_14default_configENS1_37merge_sort_block_sort_config_selectorIsNS0_10empty_typeEEENS1_38merge_sort_block_merge_config_selectorIsSE_EEEEvv
		.amdhsa_group_segment_fixed_size 0
		.amdhsa_private_segment_fixed_size 0
		.amdhsa_kernarg_size 0
		.amdhsa_user_sgpr_count 4
		.amdhsa_user_sgpr_private_segment_buffer 1
		.amdhsa_user_sgpr_dispatch_ptr 0
		.amdhsa_user_sgpr_queue_ptr 0
		.amdhsa_user_sgpr_kernarg_segment_ptr 0
		.amdhsa_user_sgpr_dispatch_id 0
		.amdhsa_user_sgpr_flat_scratch_init 0
		.amdhsa_user_sgpr_kernarg_preload_length 0
		.amdhsa_user_sgpr_kernarg_preload_offset 0
		.amdhsa_user_sgpr_private_segment_size 0
		.amdhsa_uses_dynamic_stack 0
		.amdhsa_system_sgpr_private_segment_wavefront_offset 0
		.amdhsa_system_sgpr_workgroup_id_x 1
		.amdhsa_system_sgpr_workgroup_id_y 0
		.amdhsa_system_sgpr_workgroup_id_z 0
		.amdhsa_system_sgpr_workgroup_info 0
		.amdhsa_system_vgpr_workitem_id 0
		.amdhsa_next_free_vgpr 1
		.amdhsa_next_free_sgpr 0
		.amdhsa_accum_offset 4
		.amdhsa_reserve_vcc 0
		.amdhsa_reserve_flat_scratch 0
		.amdhsa_float_round_mode_32 0
		.amdhsa_float_round_mode_16_64 0
		.amdhsa_float_denorm_mode_32 3
		.amdhsa_float_denorm_mode_16_64 3
		.amdhsa_dx10_clamp 1
		.amdhsa_ieee_mode 1
		.amdhsa_fp16_overflow 0
		.amdhsa_tg_split 0
		.amdhsa_exception_fp_ieee_invalid_op 0
		.amdhsa_exception_fp_denorm_src 0
		.amdhsa_exception_fp_ieee_div_zero 0
		.amdhsa_exception_fp_ieee_overflow 0
		.amdhsa_exception_fp_ieee_underflow 0
		.amdhsa_exception_fp_ieee_inexact 0
		.amdhsa_exception_int_div_zero 0
	.end_amdhsa_kernel
	.section	.text._ZN7rocprim17ROCPRIM_400000_NS6detail44device_merge_sort_compile_time_verifier_archINS1_11comp_targetILNS1_3genE0ELNS1_11target_archE4294967295ELNS1_3gpuE0ELNS1_3repE0EEES8_NS1_28merge_sort_block_sort_configILj256ELj4ELNS0_20block_sort_algorithmE0EEENS0_14default_configENS1_37merge_sort_block_sort_config_selectorIsNS0_10empty_typeEEENS1_38merge_sort_block_merge_config_selectorIsSE_EEEEvv,"axG",@progbits,_ZN7rocprim17ROCPRIM_400000_NS6detail44device_merge_sort_compile_time_verifier_archINS1_11comp_targetILNS1_3genE0ELNS1_11target_archE4294967295ELNS1_3gpuE0ELNS1_3repE0EEES8_NS1_28merge_sort_block_sort_configILj256ELj4ELNS0_20block_sort_algorithmE0EEENS0_14default_configENS1_37merge_sort_block_sort_config_selectorIsNS0_10empty_typeEEENS1_38merge_sort_block_merge_config_selectorIsSE_EEEEvv,comdat
.Lfunc_end1809:
	.size	_ZN7rocprim17ROCPRIM_400000_NS6detail44device_merge_sort_compile_time_verifier_archINS1_11comp_targetILNS1_3genE0ELNS1_11target_archE4294967295ELNS1_3gpuE0ELNS1_3repE0EEES8_NS1_28merge_sort_block_sort_configILj256ELj4ELNS0_20block_sort_algorithmE0EEENS0_14default_configENS1_37merge_sort_block_sort_config_selectorIsNS0_10empty_typeEEENS1_38merge_sort_block_merge_config_selectorIsSE_EEEEvv, .Lfunc_end1809-_ZN7rocprim17ROCPRIM_400000_NS6detail44device_merge_sort_compile_time_verifier_archINS1_11comp_targetILNS1_3genE0ELNS1_11target_archE4294967295ELNS1_3gpuE0ELNS1_3repE0EEES8_NS1_28merge_sort_block_sort_configILj256ELj4ELNS0_20block_sort_algorithmE0EEENS0_14default_configENS1_37merge_sort_block_sort_config_selectorIsNS0_10empty_typeEEENS1_38merge_sort_block_merge_config_selectorIsSE_EEEEvv
                                        ; -- End function
	.section	.AMDGPU.csdata,"",@progbits
; Kernel info:
; codeLenInByte = 4
; NumSgprs: 4
; NumVgprs: 0
; NumAgprs: 0
; TotalNumVgprs: 0
; ScratchSize: 0
; MemoryBound: 0
; FloatMode: 240
; IeeeMode: 1
; LDSByteSize: 0 bytes/workgroup (compile time only)
; SGPRBlocks: 0
; VGPRBlocks: 0
; NumSGPRsForWavesPerEU: 4
; NumVGPRsForWavesPerEU: 1
; AccumOffset: 4
; Occupancy: 8
; WaveLimiterHint : 0
; COMPUTE_PGM_RSRC2:SCRATCH_EN: 0
; COMPUTE_PGM_RSRC2:USER_SGPR: 4
; COMPUTE_PGM_RSRC2:TRAP_HANDLER: 0
; COMPUTE_PGM_RSRC2:TGID_X_EN: 1
; COMPUTE_PGM_RSRC2:TGID_Y_EN: 0
; COMPUTE_PGM_RSRC2:TGID_Z_EN: 0
; COMPUTE_PGM_RSRC2:TIDIG_COMP_CNT: 0
; COMPUTE_PGM_RSRC3_GFX90A:ACCUM_OFFSET: 0
; COMPUTE_PGM_RSRC3_GFX90A:TG_SPLIT: 0
	.section	.text._ZN7rocprim17ROCPRIM_400000_NS6detail44device_merge_sort_compile_time_verifier_archINS1_11comp_targetILNS1_3genE5ELNS1_11target_archE942ELNS1_3gpuE9ELNS1_3repE0EEES8_NS1_28merge_sort_block_sort_configILj256ELj4ELNS0_20block_sort_algorithmE0EEENS0_14default_configENS1_37merge_sort_block_sort_config_selectorIsNS0_10empty_typeEEENS1_38merge_sort_block_merge_config_selectorIsSE_EEEEvv,"axG",@progbits,_ZN7rocprim17ROCPRIM_400000_NS6detail44device_merge_sort_compile_time_verifier_archINS1_11comp_targetILNS1_3genE5ELNS1_11target_archE942ELNS1_3gpuE9ELNS1_3repE0EEES8_NS1_28merge_sort_block_sort_configILj256ELj4ELNS0_20block_sort_algorithmE0EEENS0_14default_configENS1_37merge_sort_block_sort_config_selectorIsNS0_10empty_typeEEENS1_38merge_sort_block_merge_config_selectorIsSE_EEEEvv,comdat
	.protected	_ZN7rocprim17ROCPRIM_400000_NS6detail44device_merge_sort_compile_time_verifier_archINS1_11comp_targetILNS1_3genE5ELNS1_11target_archE942ELNS1_3gpuE9ELNS1_3repE0EEES8_NS1_28merge_sort_block_sort_configILj256ELj4ELNS0_20block_sort_algorithmE0EEENS0_14default_configENS1_37merge_sort_block_sort_config_selectorIsNS0_10empty_typeEEENS1_38merge_sort_block_merge_config_selectorIsSE_EEEEvv ; -- Begin function _ZN7rocprim17ROCPRIM_400000_NS6detail44device_merge_sort_compile_time_verifier_archINS1_11comp_targetILNS1_3genE5ELNS1_11target_archE942ELNS1_3gpuE9ELNS1_3repE0EEES8_NS1_28merge_sort_block_sort_configILj256ELj4ELNS0_20block_sort_algorithmE0EEENS0_14default_configENS1_37merge_sort_block_sort_config_selectorIsNS0_10empty_typeEEENS1_38merge_sort_block_merge_config_selectorIsSE_EEEEvv
	.globl	_ZN7rocprim17ROCPRIM_400000_NS6detail44device_merge_sort_compile_time_verifier_archINS1_11comp_targetILNS1_3genE5ELNS1_11target_archE942ELNS1_3gpuE9ELNS1_3repE0EEES8_NS1_28merge_sort_block_sort_configILj256ELj4ELNS0_20block_sort_algorithmE0EEENS0_14default_configENS1_37merge_sort_block_sort_config_selectorIsNS0_10empty_typeEEENS1_38merge_sort_block_merge_config_selectorIsSE_EEEEvv
	.p2align	8
	.type	_ZN7rocprim17ROCPRIM_400000_NS6detail44device_merge_sort_compile_time_verifier_archINS1_11comp_targetILNS1_3genE5ELNS1_11target_archE942ELNS1_3gpuE9ELNS1_3repE0EEES8_NS1_28merge_sort_block_sort_configILj256ELj4ELNS0_20block_sort_algorithmE0EEENS0_14default_configENS1_37merge_sort_block_sort_config_selectorIsNS0_10empty_typeEEENS1_38merge_sort_block_merge_config_selectorIsSE_EEEEvv,@function
_ZN7rocprim17ROCPRIM_400000_NS6detail44device_merge_sort_compile_time_verifier_archINS1_11comp_targetILNS1_3genE5ELNS1_11target_archE942ELNS1_3gpuE9ELNS1_3repE0EEES8_NS1_28merge_sort_block_sort_configILj256ELj4ELNS0_20block_sort_algorithmE0EEENS0_14default_configENS1_37merge_sort_block_sort_config_selectorIsNS0_10empty_typeEEENS1_38merge_sort_block_merge_config_selectorIsSE_EEEEvv: ; @_ZN7rocprim17ROCPRIM_400000_NS6detail44device_merge_sort_compile_time_verifier_archINS1_11comp_targetILNS1_3genE5ELNS1_11target_archE942ELNS1_3gpuE9ELNS1_3repE0EEES8_NS1_28merge_sort_block_sort_configILj256ELj4ELNS0_20block_sort_algorithmE0EEENS0_14default_configENS1_37merge_sort_block_sort_config_selectorIsNS0_10empty_typeEEENS1_38merge_sort_block_merge_config_selectorIsSE_EEEEvv
; %bb.0:
	s_endpgm
	.section	.rodata,"a",@progbits
	.p2align	6, 0x0
	.amdhsa_kernel _ZN7rocprim17ROCPRIM_400000_NS6detail44device_merge_sort_compile_time_verifier_archINS1_11comp_targetILNS1_3genE5ELNS1_11target_archE942ELNS1_3gpuE9ELNS1_3repE0EEES8_NS1_28merge_sort_block_sort_configILj256ELj4ELNS0_20block_sort_algorithmE0EEENS0_14default_configENS1_37merge_sort_block_sort_config_selectorIsNS0_10empty_typeEEENS1_38merge_sort_block_merge_config_selectorIsSE_EEEEvv
		.amdhsa_group_segment_fixed_size 0
		.amdhsa_private_segment_fixed_size 0
		.amdhsa_kernarg_size 0
		.amdhsa_user_sgpr_count 4
		.amdhsa_user_sgpr_private_segment_buffer 1
		.amdhsa_user_sgpr_dispatch_ptr 0
		.amdhsa_user_sgpr_queue_ptr 0
		.amdhsa_user_sgpr_kernarg_segment_ptr 0
		.amdhsa_user_sgpr_dispatch_id 0
		.amdhsa_user_sgpr_flat_scratch_init 0
		.amdhsa_user_sgpr_kernarg_preload_length 0
		.amdhsa_user_sgpr_kernarg_preload_offset 0
		.amdhsa_user_sgpr_private_segment_size 0
		.amdhsa_uses_dynamic_stack 0
		.amdhsa_system_sgpr_private_segment_wavefront_offset 0
		.amdhsa_system_sgpr_workgroup_id_x 1
		.amdhsa_system_sgpr_workgroup_id_y 0
		.amdhsa_system_sgpr_workgroup_id_z 0
		.amdhsa_system_sgpr_workgroup_info 0
		.amdhsa_system_vgpr_workitem_id 0
		.amdhsa_next_free_vgpr 1
		.amdhsa_next_free_sgpr 0
		.amdhsa_accum_offset 4
		.amdhsa_reserve_vcc 0
		.amdhsa_reserve_flat_scratch 0
		.amdhsa_float_round_mode_32 0
		.amdhsa_float_round_mode_16_64 0
		.amdhsa_float_denorm_mode_32 3
		.amdhsa_float_denorm_mode_16_64 3
		.amdhsa_dx10_clamp 1
		.amdhsa_ieee_mode 1
		.amdhsa_fp16_overflow 0
		.amdhsa_tg_split 0
		.amdhsa_exception_fp_ieee_invalid_op 0
		.amdhsa_exception_fp_denorm_src 0
		.amdhsa_exception_fp_ieee_div_zero 0
		.amdhsa_exception_fp_ieee_overflow 0
		.amdhsa_exception_fp_ieee_underflow 0
		.amdhsa_exception_fp_ieee_inexact 0
		.amdhsa_exception_int_div_zero 0
	.end_amdhsa_kernel
	.section	.text._ZN7rocprim17ROCPRIM_400000_NS6detail44device_merge_sort_compile_time_verifier_archINS1_11comp_targetILNS1_3genE5ELNS1_11target_archE942ELNS1_3gpuE9ELNS1_3repE0EEES8_NS1_28merge_sort_block_sort_configILj256ELj4ELNS0_20block_sort_algorithmE0EEENS0_14default_configENS1_37merge_sort_block_sort_config_selectorIsNS0_10empty_typeEEENS1_38merge_sort_block_merge_config_selectorIsSE_EEEEvv,"axG",@progbits,_ZN7rocprim17ROCPRIM_400000_NS6detail44device_merge_sort_compile_time_verifier_archINS1_11comp_targetILNS1_3genE5ELNS1_11target_archE942ELNS1_3gpuE9ELNS1_3repE0EEES8_NS1_28merge_sort_block_sort_configILj256ELj4ELNS0_20block_sort_algorithmE0EEENS0_14default_configENS1_37merge_sort_block_sort_config_selectorIsNS0_10empty_typeEEENS1_38merge_sort_block_merge_config_selectorIsSE_EEEEvv,comdat
.Lfunc_end1810:
	.size	_ZN7rocprim17ROCPRIM_400000_NS6detail44device_merge_sort_compile_time_verifier_archINS1_11comp_targetILNS1_3genE5ELNS1_11target_archE942ELNS1_3gpuE9ELNS1_3repE0EEES8_NS1_28merge_sort_block_sort_configILj256ELj4ELNS0_20block_sort_algorithmE0EEENS0_14default_configENS1_37merge_sort_block_sort_config_selectorIsNS0_10empty_typeEEENS1_38merge_sort_block_merge_config_selectorIsSE_EEEEvv, .Lfunc_end1810-_ZN7rocprim17ROCPRIM_400000_NS6detail44device_merge_sort_compile_time_verifier_archINS1_11comp_targetILNS1_3genE5ELNS1_11target_archE942ELNS1_3gpuE9ELNS1_3repE0EEES8_NS1_28merge_sort_block_sort_configILj256ELj4ELNS0_20block_sort_algorithmE0EEENS0_14default_configENS1_37merge_sort_block_sort_config_selectorIsNS0_10empty_typeEEENS1_38merge_sort_block_merge_config_selectorIsSE_EEEEvv
                                        ; -- End function
	.section	.AMDGPU.csdata,"",@progbits
; Kernel info:
; codeLenInByte = 4
; NumSgprs: 4
; NumVgprs: 0
; NumAgprs: 0
; TotalNumVgprs: 0
; ScratchSize: 0
; MemoryBound: 0
; FloatMode: 240
; IeeeMode: 1
; LDSByteSize: 0 bytes/workgroup (compile time only)
; SGPRBlocks: 0
; VGPRBlocks: 0
; NumSGPRsForWavesPerEU: 4
; NumVGPRsForWavesPerEU: 1
; AccumOffset: 4
; Occupancy: 8
; WaveLimiterHint : 0
; COMPUTE_PGM_RSRC2:SCRATCH_EN: 0
; COMPUTE_PGM_RSRC2:USER_SGPR: 4
; COMPUTE_PGM_RSRC2:TRAP_HANDLER: 0
; COMPUTE_PGM_RSRC2:TGID_X_EN: 1
; COMPUTE_PGM_RSRC2:TGID_Y_EN: 0
; COMPUTE_PGM_RSRC2:TGID_Z_EN: 0
; COMPUTE_PGM_RSRC2:TIDIG_COMP_CNT: 0
; COMPUTE_PGM_RSRC3_GFX90A:ACCUM_OFFSET: 0
; COMPUTE_PGM_RSRC3_GFX90A:TG_SPLIT: 0
	.section	.text._ZN7rocprim17ROCPRIM_400000_NS6detail44device_merge_sort_compile_time_verifier_archINS1_11comp_targetILNS1_3genE4ELNS1_11target_archE910ELNS1_3gpuE8ELNS1_3repE0EEES8_NS1_28merge_sort_block_sort_configILj256ELj4ELNS0_20block_sort_algorithmE0EEENS0_14default_configENS1_37merge_sort_block_sort_config_selectorIsNS0_10empty_typeEEENS1_38merge_sort_block_merge_config_selectorIsSE_EEEEvv,"axG",@progbits,_ZN7rocprim17ROCPRIM_400000_NS6detail44device_merge_sort_compile_time_verifier_archINS1_11comp_targetILNS1_3genE4ELNS1_11target_archE910ELNS1_3gpuE8ELNS1_3repE0EEES8_NS1_28merge_sort_block_sort_configILj256ELj4ELNS0_20block_sort_algorithmE0EEENS0_14default_configENS1_37merge_sort_block_sort_config_selectorIsNS0_10empty_typeEEENS1_38merge_sort_block_merge_config_selectorIsSE_EEEEvv,comdat
	.protected	_ZN7rocprim17ROCPRIM_400000_NS6detail44device_merge_sort_compile_time_verifier_archINS1_11comp_targetILNS1_3genE4ELNS1_11target_archE910ELNS1_3gpuE8ELNS1_3repE0EEES8_NS1_28merge_sort_block_sort_configILj256ELj4ELNS0_20block_sort_algorithmE0EEENS0_14default_configENS1_37merge_sort_block_sort_config_selectorIsNS0_10empty_typeEEENS1_38merge_sort_block_merge_config_selectorIsSE_EEEEvv ; -- Begin function _ZN7rocprim17ROCPRIM_400000_NS6detail44device_merge_sort_compile_time_verifier_archINS1_11comp_targetILNS1_3genE4ELNS1_11target_archE910ELNS1_3gpuE8ELNS1_3repE0EEES8_NS1_28merge_sort_block_sort_configILj256ELj4ELNS0_20block_sort_algorithmE0EEENS0_14default_configENS1_37merge_sort_block_sort_config_selectorIsNS0_10empty_typeEEENS1_38merge_sort_block_merge_config_selectorIsSE_EEEEvv
	.globl	_ZN7rocprim17ROCPRIM_400000_NS6detail44device_merge_sort_compile_time_verifier_archINS1_11comp_targetILNS1_3genE4ELNS1_11target_archE910ELNS1_3gpuE8ELNS1_3repE0EEES8_NS1_28merge_sort_block_sort_configILj256ELj4ELNS0_20block_sort_algorithmE0EEENS0_14default_configENS1_37merge_sort_block_sort_config_selectorIsNS0_10empty_typeEEENS1_38merge_sort_block_merge_config_selectorIsSE_EEEEvv
	.p2align	8
	.type	_ZN7rocprim17ROCPRIM_400000_NS6detail44device_merge_sort_compile_time_verifier_archINS1_11comp_targetILNS1_3genE4ELNS1_11target_archE910ELNS1_3gpuE8ELNS1_3repE0EEES8_NS1_28merge_sort_block_sort_configILj256ELj4ELNS0_20block_sort_algorithmE0EEENS0_14default_configENS1_37merge_sort_block_sort_config_selectorIsNS0_10empty_typeEEENS1_38merge_sort_block_merge_config_selectorIsSE_EEEEvv,@function
_ZN7rocprim17ROCPRIM_400000_NS6detail44device_merge_sort_compile_time_verifier_archINS1_11comp_targetILNS1_3genE4ELNS1_11target_archE910ELNS1_3gpuE8ELNS1_3repE0EEES8_NS1_28merge_sort_block_sort_configILj256ELj4ELNS0_20block_sort_algorithmE0EEENS0_14default_configENS1_37merge_sort_block_sort_config_selectorIsNS0_10empty_typeEEENS1_38merge_sort_block_merge_config_selectorIsSE_EEEEvv: ; @_ZN7rocprim17ROCPRIM_400000_NS6detail44device_merge_sort_compile_time_verifier_archINS1_11comp_targetILNS1_3genE4ELNS1_11target_archE910ELNS1_3gpuE8ELNS1_3repE0EEES8_NS1_28merge_sort_block_sort_configILj256ELj4ELNS0_20block_sort_algorithmE0EEENS0_14default_configENS1_37merge_sort_block_sort_config_selectorIsNS0_10empty_typeEEENS1_38merge_sort_block_merge_config_selectorIsSE_EEEEvv
; %bb.0:
	s_endpgm
	.section	.rodata,"a",@progbits
	.p2align	6, 0x0
	.amdhsa_kernel _ZN7rocprim17ROCPRIM_400000_NS6detail44device_merge_sort_compile_time_verifier_archINS1_11comp_targetILNS1_3genE4ELNS1_11target_archE910ELNS1_3gpuE8ELNS1_3repE0EEES8_NS1_28merge_sort_block_sort_configILj256ELj4ELNS0_20block_sort_algorithmE0EEENS0_14default_configENS1_37merge_sort_block_sort_config_selectorIsNS0_10empty_typeEEENS1_38merge_sort_block_merge_config_selectorIsSE_EEEEvv
		.amdhsa_group_segment_fixed_size 0
		.amdhsa_private_segment_fixed_size 0
		.amdhsa_kernarg_size 0
		.amdhsa_user_sgpr_count 4
		.amdhsa_user_sgpr_private_segment_buffer 1
		.amdhsa_user_sgpr_dispatch_ptr 0
		.amdhsa_user_sgpr_queue_ptr 0
		.amdhsa_user_sgpr_kernarg_segment_ptr 0
		.amdhsa_user_sgpr_dispatch_id 0
		.amdhsa_user_sgpr_flat_scratch_init 0
		.amdhsa_user_sgpr_kernarg_preload_length 0
		.amdhsa_user_sgpr_kernarg_preload_offset 0
		.amdhsa_user_sgpr_private_segment_size 0
		.amdhsa_uses_dynamic_stack 0
		.amdhsa_system_sgpr_private_segment_wavefront_offset 0
		.amdhsa_system_sgpr_workgroup_id_x 1
		.amdhsa_system_sgpr_workgroup_id_y 0
		.amdhsa_system_sgpr_workgroup_id_z 0
		.amdhsa_system_sgpr_workgroup_info 0
		.amdhsa_system_vgpr_workitem_id 0
		.amdhsa_next_free_vgpr 1
		.amdhsa_next_free_sgpr 0
		.amdhsa_accum_offset 4
		.amdhsa_reserve_vcc 0
		.amdhsa_reserve_flat_scratch 0
		.amdhsa_float_round_mode_32 0
		.amdhsa_float_round_mode_16_64 0
		.amdhsa_float_denorm_mode_32 3
		.amdhsa_float_denorm_mode_16_64 3
		.amdhsa_dx10_clamp 1
		.amdhsa_ieee_mode 1
		.amdhsa_fp16_overflow 0
		.amdhsa_tg_split 0
		.amdhsa_exception_fp_ieee_invalid_op 0
		.amdhsa_exception_fp_denorm_src 0
		.amdhsa_exception_fp_ieee_div_zero 0
		.amdhsa_exception_fp_ieee_overflow 0
		.amdhsa_exception_fp_ieee_underflow 0
		.amdhsa_exception_fp_ieee_inexact 0
		.amdhsa_exception_int_div_zero 0
	.end_amdhsa_kernel
	.section	.text._ZN7rocprim17ROCPRIM_400000_NS6detail44device_merge_sort_compile_time_verifier_archINS1_11comp_targetILNS1_3genE4ELNS1_11target_archE910ELNS1_3gpuE8ELNS1_3repE0EEES8_NS1_28merge_sort_block_sort_configILj256ELj4ELNS0_20block_sort_algorithmE0EEENS0_14default_configENS1_37merge_sort_block_sort_config_selectorIsNS0_10empty_typeEEENS1_38merge_sort_block_merge_config_selectorIsSE_EEEEvv,"axG",@progbits,_ZN7rocprim17ROCPRIM_400000_NS6detail44device_merge_sort_compile_time_verifier_archINS1_11comp_targetILNS1_3genE4ELNS1_11target_archE910ELNS1_3gpuE8ELNS1_3repE0EEES8_NS1_28merge_sort_block_sort_configILj256ELj4ELNS0_20block_sort_algorithmE0EEENS0_14default_configENS1_37merge_sort_block_sort_config_selectorIsNS0_10empty_typeEEENS1_38merge_sort_block_merge_config_selectorIsSE_EEEEvv,comdat
.Lfunc_end1811:
	.size	_ZN7rocprim17ROCPRIM_400000_NS6detail44device_merge_sort_compile_time_verifier_archINS1_11comp_targetILNS1_3genE4ELNS1_11target_archE910ELNS1_3gpuE8ELNS1_3repE0EEES8_NS1_28merge_sort_block_sort_configILj256ELj4ELNS0_20block_sort_algorithmE0EEENS0_14default_configENS1_37merge_sort_block_sort_config_selectorIsNS0_10empty_typeEEENS1_38merge_sort_block_merge_config_selectorIsSE_EEEEvv, .Lfunc_end1811-_ZN7rocprim17ROCPRIM_400000_NS6detail44device_merge_sort_compile_time_verifier_archINS1_11comp_targetILNS1_3genE4ELNS1_11target_archE910ELNS1_3gpuE8ELNS1_3repE0EEES8_NS1_28merge_sort_block_sort_configILj256ELj4ELNS0_20block_sort_algorithmE0EEENS0_14default_configENS1_37merge_sort_block_sort_config_selectorIsNS0_10empty_typeEEENS1_38merge_sort_block_merge_config_selectorIsSE_EEEEvv
                                        ; -- End function
	.section	.AMDGPU.csdata,"",@progbits
; Kernel info:
; codeLenInByte = 4
; NumSgprs: 4
; NumVgprs: 0
; NumAgprs: 0
; TotalNumVgprs: 0
; ScratchSize: 0
; MemoryBound: 0
; FloatMode: 240
; IeeeMode: 1
; LDSByteSize: 0 bytes/workgroup (compile time only)
; SGPRBlocks: 0
; VGPRBlocks: 0
; NumSGPRsForWavesPerEU: 4
; NumVGPRsForWavesPerEU: 1
; AccumOffset: 4
; Occupancy: 8
; WaveLimiterHint : 0
; COMPUTE_PGM_RSRC2:SCRATCH_EN: 0
; COMPUTE_PGM_RSRC2:USER_SGPR: 4
; COMPUTE_PGM_RSRC2:TRAP_HANDLER: 0
; COMPUTE_PGM_RSRC2:TGID_X_EN: 1
; COMPUTE_PGM_RSRC2:TGID_Y_EN: 0
; COMPUTE_PGM_RSRC2:TGID_Z_EN: 0
; COMPUTE_PGM_RSRC2:TIDIG_COMP_CNT: 0
; COMPUTE_PGM_RSRC3_GFX90A:ACCUM_OFFSET: 0
; COMPUTE_PGM_RSRC3_GFX90A:TG_SPLIT: 0
	.section	.text._ZN7rocprim17ROCPRIM_400000_NS6detail44device_merge_sort_compile_time_verifier_archINS1_11comp_targetILNS1_3genE3ELNS1_11target_archE908ELNS1_3gpuE7ELNS1_3repE0EEES8_NS1_28merge_sort_block_sort_configILj256ELj4ELNS0_20block_sort_algorithmE0EEENS0_14default_configENS1_37merge_sort_block_sort_config_selectorIsNS0_10empty_typeEEENS1_38merge_sort_block_merge_config_selectorIsSE_EEEEvv,"axG",@progbits,_ZN7rocprim17ROCPRIM_400000_NS6detail44device_merge_sort_compile_time_verifier_archINS1_11comp_targetILNS1_3genE3ELNS1_11target_archE908ELNS1_3gpuE7ELNS1_3repE0EEES8_NS1_28merge_sort_block_sort_configILj256ELj4ELNS0_20block_sort_algorithmE0EEENS0_14default_configENS1_37merge_sort_block_sort_config_selectorIsNS0_10empty_typeEEENS1_38merge_sort_block_merge_config_selectorIsSE_EEEEvv,comdat
	.protected	_ZN7rocprim17ROCPRIM_400000_NS6detail44device_merge_sort_compile_time_verifier_archINS1_11comp_targetILNS1_3genE3ELNS1_11target_archE908ELNS1_3gpuE7ELNS1_3repE0EEES8_NS1_28merge_sort_block_sort_configILj256ELj4ELNS0_20block_sort_algorithmE0EEENS0_14default_configENS1_37merge_sort_block_sort_config_selectorIsNS0_10empty_typeEEENS1_38merge_sort_block_merge_config_selectorIsSE_EEEEvv ; -- Begin function _ZN7rocprim17ROCPRIM_400000_NS6detail44device_merge_sort_compile_time_verifier_archINS1_11comp_targetILNS1_3genE3ELNS1_11target_archE908ELNS1_3gpuE7ELNS1_3repE0EEES8_NS1_28merge_sort_block_sort_configILj256ELj4ELNS0_20block_sort_algorithmE0EEENS0_14default_configENS1_37merge_sort_block_sort_config_selectorIsNS0_10empty_typeEEENS1_38merge_sort_block_merge_config_selectorIsSE_EEEEvv
	.globl	_ZN7rocprim17ROCPRIM_400000_NS6detail44device_merge_sort_compile_time_verifier_archINS1_11comp_targetILNS1_3genE3ELNS1_11target_archE908ELNS1_3gpuE7ELNS1_3repE0EEES8_NS1_28merge_sort_block_sort_configILj256ELj4ELNS0_20block_sort_algorithmE0EEENS0_14default_configENS1_37merge_sort_block_sort_config_selectorIsNS0_10empty_typeEEENS1_38merge_sort_block_merge_config_selectorIsSE_EEEEvv
	.p2align	8
	.type	_ZN7rocprim17ROCPRIM_400000_NS6detail44device_merge_sort_compile_time_verifier_archINS1_11comp_targetILNS1_3genE3ELNS1_11target_archE908ELNS1_3gpuE7ELNS1_3repE0EEES8_NS1_28merge_sort_block_sort_configILj256ELj4ELNS0_20block_sort_algorithmE0EEENS0_14default_configENS1_37merge_sort_block_sort_config_selectorIsNS0_10empty_typeEEENS1_38merge_sort_block_merge_config_selectorIsSE_EEEEvv,@function
_ZN7rocprim17ROCPRIM_400000_NS6detail44device_merge_sort_compile_time_verifier_archINS1_11comp_targetILNS1_3genE3ELNS1_11target_archE908ELNS1_3gpuE7ELNS1_3repE0EEES8_NS1_28merge_sort_block_sort_configILj256ELj4ELNS0_20block_sort_algorithmE0EEENS0_14default_configENS1_37merge_sort_block_sort_config_selectorIsNS0_10empty_typeEEENS1_38merge_sort_block_merge_config_selectorIsSE_EEEEvv: ; @_ZN7rocprim17ROCPRIM_400000_NS6detail44device_merge_sort_compile_time_verifier_archINS1_11comp_targetILNS1_3genE3ELNS1_11target_archE908ELNS1_3gpuE7ELNS1_3repE0EEES8_NS1_28merge_sort_block_sort_configILj256ELj4ELNS0_20block_sort_algorithmE0EEENS0_14default_configENS1_37merge_sort_block_sort_config_selectorIsNS0_10empty_typeEEENS1_38merge_sort_block_merge_config_selectorIsSE_EEEEvv
; %bb.0:
	s_endpgm
	.section	.rodata,"a",@progbits
	.p2align	6, 0x0
	.amdhsa_kernel _ZN7rocprim17ROCPRIM_400000_NS6detail44device_merge_sort_compile_time_verifier_archINS1_11comp_targetILNS1_3genE3ELNS1_11target_archE908ELNS1_3gpuE7ELNS1_3repE0EEES8_NS1_28merge_sort_block_sort_configILj256ELj4ELNS0_20block_sort_algorithmE0EEENS0_14default_configENS1_37merge_sort_block_sort_config_selectorIsNS0_10empty_typeEEENS1_38merge_sort_block_merge_config_selectorIsSE_EEEEvv
		.amdhsa_group_segment_fixed_size 0
		.amdhsa_private_segment_fixed_size 0
		.amdhsa_kernarg_size 0
		.amdhsa_user_sgpr_count 4
		.amdhsa_user_sgpr_private_segment_buffer 1
		.amdhsa_user_sgpr_dispatch_ptr 0
		.amdhsa_user_sgpr_queue_ptr 0
		.amdhsa_user_sgpr_kernarg_segment_ptr 0
		.amdhsa_user_sgpr_dispatch_id 0
		.amdhsa_user_sgpr_flat_scratch_init 0
		.amdhsa_user_sgpr_kernarg_preload_length 0
		.amdhsa_user_sgpr_kernarg_preload_offset 0
		.amdhsa_user_sgpr_private_segment_size 0
		.amdhsa_uses_dynamic_stack 0
		.amdhsa_system_sgpr_private_segment_wavefront_offset 0
		.amdhsa_system_sgpr_workgroup_id_x 1
		.amdhsa_system_sgpr_workgroup_id_y 0
		.amdhsa_system_sgpr_workgroup_id_z 0
		.amdhsa_system_sgpr_workgroup_info 0
		.amdhsa_system_vgpr_workitem_id 0
		.amdhsa_next_free_vgpr 1
		.amdhsa_next_free_sgpr 0
		.amdhsa_accum_offset 4
		.amdhsa_reserve_vcc 0
		.amdhsa_reserve_flat_scratch 0
		.amdhsa_float_round_mode_32 0
		.amdhsa_float_round_mode_16_64 0
		.amdhsa_float_denorm_mode_32 3
		.amdhsa_float_denorm_mode_16_64 3
		.amdhsa_dx10_clamp 1
		.amdhsa_ieee_mode 1
		.amdhsa_fp16_overflow 0
		.amdhsa_tg_split 0
		.amdhsa_exception_fp_ieee_invalid_op 0
		.amdhsa_exception_fp_denorm_src 0
		.amdhsa_exception_fp_ieee_div_zero 0
		.amdhsa_exception_fp_ieee_overflow 0
		.amdhsa_exception_fp_ieee_underflow 0
		.amdhsa_exception_fp_ieee_inexact 0
		.amdhsa_exception_int_div_zero 0
	.end_amdhsa_kernel
	.section	.text._ZN7rocprim17ROCPRIM_400000_NS6detail44device_merge_sort_compile_time_verifier_archINS1_11comp_targetILNS1_3genE3ELNS1_11target_archE908ELNS1_3gpuE7ELNS1_3repE0EEES8_NS1_28merge_sort_block_sort_configILj256ELj4ELNS0_20block_sort_algorithmE0EEENS0_14default_configENS1_37merge_sort_block_sort_config_selectorIsNS0_10empty_typeEEENS1_38merge_sort_block_merge_config_selectorIsSE_EEEEvv,"axG",@progbits,_ZN7rocprim17ROCPRIM_400000_NS6detail44device_merge_sort_compile_time_verifier_archINS1_11comp_targetILNS1_3genE3ELNS1_11target_archE908ELNS1_3gpuE7ELNS1_3repE0EEES8_NS1_28merge_sort_block_sort_configILj256ELj4ELNS0_20block_sort_algorithmE0EEENS0_14default_configENS1_37merge_sort_block_sort_config_selectorIsNS0_10empty_typeEEENS1_38merge_sort_block_merge_config_selectorIsSE_EEEEvv,comdat
.Lfunc_end1812:
	.size	_ZN7rocprim17ROCPRIM_400000_NS6detail44device_merge_sort_compile_time_verifier_archINS1_11comp_targetILNS1_3genE3ELNS1_11target_archE908ELNS1_3gpuE7ELNS1_3repE0EEES8_NS1_28merge_sort_block_sort_configILj256ELj4ELNS0_20block_sort_algorithmE0EEENS0_14default_configENS1_37merge_sort_block_sort_config_selectorIsNS0_10empty_typeEEENS1_38merge_sort_block_merge_config_selectorIsSE_EEEEvv, .Lfunc_end1812-_ZN7rocprim17ROCPRIM_400000_NS6detail44device_merge_sort_compile_time_verifier_archINS1_11comp_targetILNS1_3genE3ELNS1_11target_archE908ELNS1_3gpuE7ELNS1_3repE0EEES8_NS1_28merge_sort_block_sort_configILj256ELj4ELNS0_20block_sort_algorithmE0EEENS0_14default_configENS1_37merge_sort_block_sort_config_selectorIsNS0_10empty_typeEEENS1_38merge_sort_block_merge_config_selectorIsSE_EEEEvv
                                        ; -- End function
	.section	.AMDGPU.csdata,"",@progbits
; Kernel info:
; codeLenInByte = 4
; NumSgprs: 4
; NumVgprs: 0
; NumAgprs: 0
; TotalNumVgprs: 0
; ScratchSize: 0
; MemoryBound: 0
; FloatMode: 240
; IeeeMode: 1
; LDSByteSize: 0 bytes/workgroup (compile time only)
; SGPRBlocks: 0
; VGPRBlocks: 0
; NumSGPRsForWavesPerEU: 4
; NumVGPRsForWavesPerEU: 1
; AccumOffset: 4
; Occupancy: 8
; WaveLimiterHint : 0
; COMPUTE_PGM_RSRC2:SCRATCH_EN: 0
; COMPUTE_PGM_RSRC2:USER_SGPR: 4
; COMPUTE_PGM_RSRC2:TRAP_HANDLER: 0
; COMPUTE_PGM_RSRC2:TGID_X_EN: 1
; COMPUTE_PGM_RSRC2:TGID_Y_EN: 0
; COMPUTE_PGM_RSRC2:TGID_Z_EN: 0
; COMPUTE_PGM_RSRC2:TIDIG_COMP_CNT: 0
; COMPUTE_PGM_RSRC3_GFX90A:ACCUM_OFFSET: 0
; COMPUTE_PGM_RSRC3_GFX90A:TG_SPLIT: 0
	.section	.text._ZN7rocprim17ROCPRIM_400000_NS6detail44device_merge_sort_compile_time_verifier_archINS1_11comp_targetILNS1_3genE2ELNS1_11target_archE906ELNS1_3gpuE6ELNS1_3repE0EEES8_NS1_28merge_sort_block_sort_configILj256ELj4ELNS0_20block_sort_algorithmE0EEENS0_14default_configENS1_37merge_sort_block_sort_config_selectorIsNS0_10empty_typeEEENS1_38merge_sort_block_merge_config_selectorIsSE_EEEEvv,"axG",@progbits,_ZN7rocprim17ROCPRIM_400000_NS6detail44device_merge_sort_compile_time_verifier_archINS1_11comp_targetILNS1_3genE2ELNS1_11target_archE906ELNS1_3gpuE6ELNS1_3repE0EEES8_NS1_28merge_sort_block_sort_configILj256ELj4ELNS0_20block_sort_algorithmE0EEENS0_14default_configENS1_37merge_sort_block_sort_config_selectorIsNS0_10empty_typeEEENS1_38merge_sort_block_merge_config_selectorIsSE_EEEEvv,comdat
	.protected	_ZN7rocprim17ROCPRIM_400000_NS6detail44device_merge_sort_compile_time_verifier_archINS1_11comp_targetILNS1_3genE2ELNS1_11target_archE906ELNS1_3gpuE6ELNS1_3repE0EEES8_NS1_28merge_sort_block_sort_configILj256ELj4ELNS0_20block_sort_algorithmE0EEENS0_14default_configENS1_37merge_sort_block_sort_config_selectorIsNS0_10empty_typeEEENS1_38merge_sort_block_merge_config_selectorIsSE_EEEEvv ; -- Begin function _ZN7rocprim17ROCPRIM_400000_NS6detail44device_merge_sort_compile_time_verifier_archINS1_11comp_targetILNS1_3genE2ELNS1_11target_archE906ELNS1_3gpuE6ELNS1_3repE0EEES8_NS1_28merge_sort_block_sort_configILj256ELj4ELNS0_20block_sort_algorithmE0EEENS0_14default_configENS1_37merge_sort_block_sort_config_selectorIsNS0_10empty_typeEEENS1_38merge_sort_block_merge_config_selectorIsSE_EEEEvv
	.globl	_ZN7rocprim17ROCPRIM_400000_NS6detail44device_merge_sort_compile_time_verifier_archINS1_11comp_targetILNS1_3genE2ELNS1_11target_archE906ELNS1_3gpuE6ELNS1_3repE0EEES8_NS1_28merge_sort_block_sort_configILj256ELj4ELNS0_20block_sort_algorithmE0EEENS0_14default_configENS1_37merge_sort_block_sort_config_selectorIsNS0_10empty_typeEEENS1_38merge_sort_block_merge_config_selectorIsSE_EEEEvv
	.p2align	8
	.type	_ZN7rocprim17ROCPRIM_400000_NS6detail44device_merge_sort_compile_time_verifier_archINS1_11comp_targetILNS1_3genE2ELNS1_11target_archE906ELNS1_3gpuE6ELNS1_3repE0EEES8_NS1_28merge_sort_block_sort_configILj256ELj4ELNS0_20block_sort_algorithmE0EEENS0_14default_configENS1_37merge_sort_block_sort_config_selectorIsNS0_10empty_typeEEENS1_38merge_sort_block_merge_config_selectorIsSE_EEEEvv,@function
_ZN7rocprim17ROCPRIM_400000_NS6detail44device_merge_sort_compile_time_verifier_archINS1_11comp_targetILNS1_3genE2ELNS1_11target_archE906ELNS1_3gpuE6ELNS1_3repE0EEES8_NS1_28merge_sort_block_sort_configILj256ELj4ELNS0_20block_sort_algorithmE0EEENS0_14default_configENS1_37merge_sort_block_sort_config_selectorIsNS0_10empty_typeEEENS1_38merge_sort_block_merge_config_selectorIsSE_EEEEvv: ; @_ZN7rocprim17ROCPRIM_400000_NS6detail44device_merge_sort_compile_time_verifier_archINS1_11comp_targetILNS1_3genE2ELNS1_11target_archE906ELNS1_3gpuE6ELNS1_3repE0EEES8_NS1_28merge_sort_block_sort_configILj256ELj4ELNS0_20block_sort_algorithmE0EEENS0_14default_configENS1_37merge_sort_block_sort_config_selectorIsNS0_10empty_typeEEENS1_38merge_sort_block_merge_config_selectorIsSE_EEEEvv
; %bb.0:
	s_endpgm
	.section	.rodata,"a",@progbits
	.p2align	6, 0x0
	.amdhsa_kernel _ZN7rocprim17ROCPRIM_400000_NS6detail44device_merge_sort_compile_time_verifier_archINS1_11comp_targetILNS1_3genE2ELNS1_11target_archE906ELNS1_3gpuE6ELNS1_3repE0EEES8_NS1_28merge_sort_block_sort_configILj256ELj4ELNS0_20block_sort_algorithmE0EEENS0_14default_configENS1_37merge_sort_block_sort_config_selectorIsNS0_10empty_typeEEENS1_38merge_sort_block_merge_config_selectorIsSE_EEEEvv
		.amdhsa_group_segment_fixed_size 0
		.amdhsa_private_segment_fixed_size 0
		.amdhsa_kernarg_size 0
		.amdhsa_user_sgpr_count 4
		.amdhsa_user_sgpr_private_segment_buffer 1
		.amdhsa_user_sgpr_dispatch_ptr 0
		.amdhsa_user_sgpr_queue_ptr 0
		.amdhsa_user_sgpr_kernarg_segment_ptr 0
		.amdhsa_user_sgpr_dispatch_id 0
		.amdhsa_user_sgpr_flat_scratch_init 0
		.amdhsa_user_sgpr_kernarg_preload_length 0
		.amdhsa_user_sgpr_kernarg_preload_offset 0
		.amdhsa_user_sgpr_private_segment_size 0
		.amdhsa_uses_dynamic_stack 0
		.amdhsa_system_sgpr_private_segment_wavefront_offset 0
		.amdhsa_system_sgpr_workgroup_id_x 1
		.amdhsa_system_sgpr_workgroup_id_y 0
		.amdhsa_system_sgpr_workgroup_id_z 0
		.amdhsa_system_sgpr_workgroup_info 0
		.amdhsa_system_vgpr_workitem_id 0
		.amdhsa_next_free_vgpr 1
		.amdhsa_next_free_sgpr 0
		.amdhsa_accum_offset 4
		.amdhsa_reserve_vcc 0
		.amdhsa_reserve_flat_scratch 0
		.amdhsa_float_round_mode_32 0
		.amdhsa_float_round_mode_16_64 0
		.amdhsa_float_denorm_mode_32 3
		.amdhsa_float_denorm_mode_16_64 3
		.amdhsa_dx10_clamp 1
		.amdhsa_ieee_mode 1
		.amdhsa_fp16_overflow 0
		.amdhsa_tg_split 0
		.amdhsa_exception_fp_ieee_invalid_op 0
		.amdhsa_exception_fp_denorm_src 0
		.amdhsa_exception_fp_ieee_div_zero 0
		.amdhsa_exception_fp_ieee_overflow 0
		.amdhsa_exception_fp_ieee_underflow 0
		.amdhsa_exception_fp_ieee_inexact 0
		.amdhsa_exception_int_div_zero 0
	.end_amdhsa_kernel
	.section	.text._ZN7rocprim17ROCPRIM_400000_NS6detail44device_merge_sort_compile_time_verifier_archINS1_11comp_targetILNS1_3genE2ELNS1_11target_archE906ELNS1_3gpuE6ELNS1_3repE0EEES8_NS1_28merge_sort_block_sort_configILj256ELj4ELNS0_20block_sort_algorithmE0EEENS0_14default_configENS1_37merge_sort_block_sort_config_selectorIsNS0_10empty_typeEEENS1_38merge_sort_block_merge_config_selectorIsSE_EEEEvv,"axG",@progbits,_ZN7rocprim17ROCPRIM_400000_NS6detail44device_merge_sort_compile_time_verifier_archINS1_11comp_targetILNS1_3genE2ELNS1_11target_archE906ELNS1_3gpuE6ELNS1_3repE0EEES8_NS1_28merge_sort_block_sort_configILj256ELj4ELNS0_20block_sort_algorithmE0EEENS0_14default_configENS1_37merge_sort_block_sort_config_selectorIsNS0_10empty_typeEEENS1_38merge_sort_block_merge_config_selectorIsSE_EEEEvv,comdat
.Lfunc_end1813:
	.size	_ZN7rocprim17ROCPRIM_400000_NS6detail44device_merge_sort_compile_time_verifier_archINS1_11comp_targetILNS1_3genE2ELNS1_11target_archE906ELNS1_3gpuE6ELNS1_3repE0EEES8_NS1_28merge_sort_block_sort_configILj256ELj4ELNS0_20block_sort_algorithmE0EEENS0_14default_configENS1_37merge_sort_block_sort_config_selectorIsNS0_10empty_typeEEENS1_38merge_sort_block_merge_config_selectorIsSE_EEEEvv, .Lfunc_end1813-_ZN7rocprim17ROCPRIM_400000_NS6detail44device_merge_sort_compile_time_verifier_archINS1_11comp_targetILNS1_3genE2ELNS1_11target_archE906ELNS1_3gpuE6ELNS1_3repE0EEES8_NS1_28merge_sort_block_sort_configILj256ELj4ELNS0_20block_sort_algorithmE0EEENS0_14default_configENS1_37merge_sort_block_sort_config_selectorIsNS0_10empty_typeEEENS1_38merge_sort_block_merge_config_selectorIsSE_EEEEvv
                                        ; -- End function
	.section	.AMDGPU.csdata,"",@progbits
; Kernel info:
; codeLenInByte = 4
; NumSgprs: 4
; NumVgprs: 0
; NumAgprs: 0
; TotalNumVgprs: 0
; ScratchSize: 0
; MemoryBound: 0
; FloatMode: 240
; IeeeMode: 1
; LDSByteSize: 0 bytes/workgroup (compile time only)
; SGPRBlocks: 0
; VGPRBlocks: 0
; NumSGPRsForWavesPerEU: 4
; NumVGPRsForWavesPerEU: 1
; AccumOffset: 4
; Occupancy: 8
; WaveLimiterHint : 0
; COMPUTE_PGM_RSRC2:SCRATCH_EN: 0
; COMPUTE_PGM_RSRC2:USER_SGPR: 4
; COMPUTE_PGM_RSRC2:TRAP_HANDLER: 0
; COMPUTE_PGM_RSRC2:TGID_X_EN: 1
; COMPUTE_PGM_RSRC2:TGID_Y_EN: 0
; COMPUTE_PGM_RSRC2:TGID_Z_EN: 0
; COMPUTE_PGM_RSRC2:TIDIG_COMP_CNT: 0
; COMPUTE_PGM_RSRC3_GFX90A:ACCUM_OFFSET: 0
; COMPUTE_PGM_RSRC3_GFX90A:TG_SPLIT: 0
	.section	.text._ZN7rocprim17ROCPRIM_400000_NS6detail44device_merge_sort_compile_time_verifier_archINS1_11comp_targetILNS1_3genE10ELNS1_11target_archE1201ELNS1_3gpuE5ELNS1_3repE0EEES8_NS1_28merge_sort_block_sort_configILj256ELj4ELNS0_20block_sort_algorithmE0EEENS0_14default_configENS1_37merge_sort_block_sort_config_selectorIsNS0_10empty_typeEEENS1_38merge_sort_block_merge_config_selectorIsSE_EEEEvv,"axG",@progbits,_ZN7rocprim17ROCPRIM_400000_NS6detail44device_merge_sort_compile_time_verifier_archINS1_11comp_targetILNS1_3genE10ELNS1_11target_archE1201ELNS1_3gpuE5ELNS1_3repE0EEES8_NS1_28merge_sort_block_sort_configILj256ELj4ELNS0_20block_sort_algorithmE0EEENS0_14default_configENS1_37merge_sort_block_sort_config_selectorIsNS0_10empty_typeEEENS1_38merge_sort_block_merge_config_selectorIsSE_EEEEvv,comdat
	.protected	_ZN7rocprim17ROCPRIM_400000_NS6detail44device_merge_sort_compile_time_verifier_archINS1_11comp_targetILNS1_3genE10ELNS1_11target_archE1201ELNS1_3gpuE5ELNS1_3repE0EEES8_NS1_28merge_sort_block_sort_configILj256ELj4ELNS0_20block_sort_algorithmE0EEENS0_14default_configENS1_37merge_sort_block_sort_config_selectorIsNS0_10empty_typeEEENS1_38merge_sort_block_merge_config_selectorIsSE_EEEEvv ; -- Begin function _ZN7rocprim17ROCPRIM_400000_NS6detail44device_merge_sort_compile_time_verifier_archINS1_11comp_targetILNS1_3genE10ELNS1_11target_archE1201ELNS1_3gpuE5ELNS1_3repE0EEES8_NS1_28merge_sort_block_sort_configILj256ELj4ELNS0_20block_sort_algorithmE0EEENS0_14default_configENS1_37merge_sort_block_sort_config_selectorIsNS0_10empty_typeEEENS1_38merge_sort_block_merge_config_selectorIsSE_EEEEvv
	.globl	_ZN7rocprim17ROCPRIM_400000_NS6detail44device_merge_sort_compile_time_verifier_archINS1_11comp_targetILNS1_3genE10ELNS1_11target_archE1201ELNS1_3gpuE5ELNS1_3repE0EEES8_NS1_28merge_sort_block_sort_configILj256ELj4ELNS0_20block_sort_algorithmE0EEENS0_14default_configENS1_37merge_sort_block_sort_config_selectorIsNS0_10empty_typeEEENS1_38merge_sort_block_merge_config_selectorIsSE_EEEEvv
	.p2align	8
	.type	_ZN7rocprim17ROCPRIM_400000_NS6detail44device_merge_sort_compile_time_verifier_archINS1_11comp_targetILNS1_3genE10ELNS1_11target_archE1201ELNS1_3gpuE5ELNS1_3repE0EEES8_NS1_28merge_sort_block_sort_configILj256ELj4ELNS0_20block_sort_algorithmE0EEENS0_14default_configENS1_37merge_sort_block_sort_config_selectorIsNS0_10empty_typeEEENS1_38merge_sort_block_merge_config_selectorIsSE_EEEEvv,@function
_ZN7rocprim17ROCPRIM_400000_NS6detail44device_merge_sort_compile_time_verifier_archINS1_11comp_targetILNS1_3genE10ELNS1_11target_archE1201ELNS1_3gpuE5ELNS1_3repE0EEES8_NS1_28merge_sort_block_sort_configILj256ELj4ELNS0_20block_sort_algorithmE0EEENS0_14default_configENS1_37merge_sort_block_sort_config_selectorIsNS0_10empty_typeEEENS1_38merge_sort_block_merge_config_selectorIsSE_EEEEvv: ; @_ZN7rocprim17ROCPRIM_400000_NS6detail44device_merge_sort_compile_time_verifier_archINS1_11comp_targetILNS1_3genE10ELNS1_11target_archE1201ELNS1_3gpuE5ELNS1_3repE0EEES8_NS1_28merge_sort_block_sort_configILj256ELj4ELNS0_20block_sort_algorithmE0EEENS0_14default_configENS1_37merge_sort_block_sort_config_selectorIsNS0_10empty_typeEEENS1_38merge_sort_block_merge_config_selectorIsSE_EEEEvv
; %bb.0:
	s_endpgm
	.section	.rodata,"a",@progbits
	.p2align	6, 0x0
	.amdhsa_kernel _ZN7rocprim17ROCPRIM_400000_NS6detail44device_merge_sort_compile_time_verifier_archINS1_11comp_targetILNS1_3genE10ELNS1_11target_archE1201ELNS1_3gpuE5ELNS1_3repE0EEES8_NS1_28merge_sort_block_sort_configILj256ELj4ELNS0_20block_sort_algorithmE0EEENS0_14default_configENS1_37merge_sort_block_sort_config_selectorIsNS0_10empty_typeEEENS1_38merge_sort_block_merge_config_selectorIsSE_EEEEvv
		.amdhsa_group_segment_fixed_size 0
		.amdhsa_private_segment_fixed_size 0
		.amdhsa_kernarg_size 0
		.amdhsa_user_sgpr_count 4
		.amdhsa_user_sgpr_private_segment_buffer 1
		.amdhsa_user_sgpr_dispatch_ptr 0
		.amdhsa_user_sgpr_queue_ptr 0
		.amdhsa_user_sgpr_kernarg_segment_ptr 0
		.amdhsa_user_sgpr_dispatch_id 0
		.amdhsa_user_sgpr_flat_scratch_init 0
		.amdhsa_user_sgpr_kernarg_preload_length 0
		.amdhsa_user_sgpr_kernarg_preload_offset 0
		.amdhsa_user_sgpr_private_segment_size 0
		.amdhsa_uses_dynamic_stack 0
		.amdhsa_system_sgpr_private_segment_wavefront_offset 0
		.amdhsa_system_sgpr_workgroup_id_x 1
		.amdhsa_system_sgpr_workgroup_id_y 0
		.amdhsa_system_sgpr_workgroup_id_z 0
		.amdhsa_system_sgpr_workgroup_info 0
		.amdhsa_system_vgpr_workitem_id 0
		.amdhsa_next_free_vgpr 1
		.amdhsa_next_free_sgpr 0
		.amdhsa_accum_offset 4
		.amdhsa_reserve_vcc 0
		.amdhsa_reserve_flat_scratch 0
		.amdhsa_float_round_mode_32 0
		.amdhsa_float_round_mode_16_64 0
		.amdhsa_float_denorm_mode_32 3
		.amdhsa_float_denorm_mode_16_64 3
		.amdhsa_dx10_clamp 1
		.amdhsa_ieee_mode 1
		.amdhsa_fp16_overflow 0
		.amdhsa_tg_split 0
		.amdhsa_exception_fp_ieee_invalid_op 0
		.amdhsa_exception_fp_denorm_src 0
		.amdhsa_exception_fp_ieee_div_zero 0
		.amdhsa_exception_fp_ieee_overflow 0
		.amdhsa_exception_fp_ieee_underflow 0
		.amdhsa_exception_fp_ieee_inexact 0
		.amdhsa_exception_int_div_zero 0
	.end_amdhsa_kernel
	.section	.text._ZN7rocprim17ROCPRIM_400000_NS6detail44device_merge_sort_compile_time_verifier_archINS1_11comp_targetILNS1_3genE10ELNS1_11target_archE1201ELNS1_3gpuE5ELNS1_3repE0EEES8_NS1_28merge_sort_block_sort_configILj256ELj4ELNS0_20block_sort_algorithmE0EEENS0_14default_configENS1_37merge_sort_block_sort_config_selectorIsNS0_10empty_typeEEENS1_38merge_sort_block_merge_config_selectorIsSE_EEEEvv,"axG",@progbits,_ZN7rocprim17ROCPRIM_400000_NS6detail44device_merge_sort_compile_time_verifier_archINS1_11comp_targetILNS1_3genE10ELNS1_11target_archE1201ELNS1_3gpuE5ELNS1_3repE0EEES8_NS1_28merge_sort_block_sort_configILj256ELj4ELNS0_20block_sort_algorithmE0EEENS0_14default_configENS1_37merge_sort_block_sort_config_selectorIsNS0_10empty_typeEEENS1_38merge_sort_block_merge_config_selectorIsSE_EEEEvv,comdat
.Lfunc_end1814:
	.size	_ZN7rocprim17ROCPRIM_400000_NS6detail44device_merge_sort_compile_time_verifier_archINS1_11comp_targetILNS1_3genE10ELNS1_11target_archE1201ELNS1_3gpuE5ELNS1_3repE0EEES8_NS1_28merge_sort_block_sort_configILj256ELj4ELNS0_20block_sort_algorithmE0EEENS0_14default_configENS1_37merge_sort_block_sort_config_selectorIsNS0_10empty_typeEEENS1_38merge_sort_block_merge_config_selectorIsSE_EEEEvv, .Lfunc_end1814-_ZN7rocprim17ROCPRIM_400000_NS6detail44device_merge_sort_compile_time_verifier_archINS1_11comp_targetILNS1_3genE10ELNS1_11target_archE1201ELNS1_3gpuE5ELNS1_3repE0EEES8_NS1_28merge_sort_block_sort_configILj256ELj4ELNS0_20block_sort_algorithmE0EEENS0_14default_configENS1_37merge_sort_block_sort_config_selectorIsNS0_10empty_typeEEENS1_38merge_sort_block_merge_config_selectorIsSE_EEEEvv
                                        ; -- End function
	.section	.AMDGPU.csdata,"",@progbits
; Kernel info:
; codeLenInByte = 4
; NumSgprs: 4
; NumVgprs: 0
; NumAgprs: 0
; TotalNumVgprs: 0
; ScratchSize: 0
; MemoryBound: 0
; FloatMode: 240
; IeeeMode: 1
; LDSByteSize: 0 bytes/workgroup (compile time only)
; SGPRBlocks: 0
; VGPRBlocks: 0
; NumSGPRsForWavesPerEU: 4
; NumVGPRsForWavesPerEU: 1
; AccumOffset: 4
; Occupancy: 8
; WaveLimiterHint : 0
; COMPUTE_PGM_RSRC2:SCRATCH_EN: 0
; COMPUTE_PGM_RSRC2:USER_SGPR: 4
; COMPUTE_PGM_RSRC2:TRAP_HANDLER: 0
; COMPUTE_PGM_RSRC2:TGID_X_EN: 1
; COMPUTE_PGM_RSRC2:TGID_Y_EN: 0
; COMPUTE_PGM_RSRC2:TGID_Z_EN: 0
; COMPUTE_PGM_RSRC2:TIDIG_COMP_CNT: 0
; COMPUTE_PGM_RSRC3_GFX90A:ACCUM_OFFSET: 0
; COMPUTE_PGM_RSRC3_GFX90A:TG_SPLIT: 0
	.section	.text._ZN7rocprim17ROCPRIM_400000_NS6detail44device_merge_sort_compile_time_verifier_archINS1_11comp_targetILNS1_3genE10ELNS1_11target_archE1200ELNS1_3gpuE4ELNS1_3repE0EEENS3_ILS4_10ELS5_1201ELS6_5ELS7_0EEENS1_28merge_sort_block_sort_configILj256ELj4ELNS0_20block_sort_algorithmE0EEENS0_14default_configENS1_37merge_sort_block_sort_config_selectorIsNS0_10empty_typeEEENS1_38merge_sort_block_merge_config_selectorIsSF_EEEEvv,"axG",@progbits,_ZN7rocprim17ROCPRIM_400000_NS6detail44device_merge_sort_compile_time_verifier_archINS1_11comp_targetILNS1_3genE10ELNS1_11target_archE1200ELNS1_3gpuE4ELNS1_3repE0EEENS3_ILS4_10ELS5_1201ELS6_5ELS7_0EEENS1_28merge_sort_block_sort_configILj256ELj4ELNS0_20block_sort_algorithmE0EEENS0_14default_configENS1_37merge_sort_block_sort_config_selectorIsNS0_10empty_typeEEENS1_38merge_sort_block_merge_config_selectorIsSF_EEEEvv,comdat
	.protected	_ZN7rocprim17ROCPRIM_400000_NS6detail44device_merge_sort_compile_time_verifier_archINS1_11comp_targetILNS1_3genE10ELNS1_11target_archE1200ELNS1_3gpuE4ELNS1_3repE0EEENS3_ILS4_10ELS5_1201ELS6_5ELS7_0EEENS1_28merge_sort_block_sort_configILj256ELj4ELNS0_20block_sort_algorithmE0EEENS0_14default_configENS1_37merge_sort_block_sort_config_selectorIsNS0_10empty_typeEEENS1_38merge_sort_block_merge_config_selectorIsSF_EEEEvv ; -- Begin function _ZN7rocprim17ROCPRIM_400000_NS6detail44device_merge_sort_compile_time_verifier_archINS1_11comp_targetILNS1_3genE10ELNS1_11target_archE1200ELNS1_3gpuE4ELNS1_3repE0EEENS3_ILS4_10ELS5_1201ELS6_5ELS7_0EEENS1_28merge_sort_block_sort_configILj256ELj4ELNS0_20block_sort_algorithmE0EEENS0_14default_configENS1_37merge_sort_block_sort_config_selectorIsNS0_10empty_typeEEENS1_38merge_sort_block_merge_config_selectorIsSF_EEEEvv
	.globl	_ZN7rocprim17ROCPRIM_400000_NS6detail44device_merge_sort_compile_time_verifier_archINS1_11comp_targetILNS1_3genE10ELNS1_11target_archE1200ELNS1_3gpuE4ELNS1_3repE0EEENS3_ILS4_10ELS5_1201ELS6_5ELS7_0EEENS1_28merge_sort_block_sort_configILj256ELj4ELNS0_20block_sort_algorithmE0EEENS0_14default_configENS1_37merge_sort_block_sort_config_selectorIsNS0_10empty_typeEEENS1_38merge_sort_block_merge_config_selectorIsSF_EEEEvv
	.p2align	8
	.type	_ZN7rocprim17ROCPRIM_400000_NS6detail44device_merge_sort_compile_time_verifier_archINS1_11comp_targetILNS1_3genE10ELNS1_11target_archE1200ELNS1_3gpuE4ELNS1_3repE0EEENS3_ILS4_10ELS5_1201ELS6_5ELS7_0EEENS1_28merge_sort_block_sort_configILj256ELj4ELNS0_20block_sort_algorithmE0EEENS0_14default_configENS1_37merge_sort_block_sort_config_selectorIsNS0_10empty_typeEEENS1_38merge_sort_block_merge_config_selectorIsSF_EEEEvv,@function
_ZN7rocprim17ROCPRIM_400000_NS6detail44device_merge_sort_compile_time_verifier_archINS1_11comp_targetILNS1_3genE10ELNS1_11target_archE1200ELNS1_3gpuE4ELNS1_3repE0EEENS3_ILS4_10ELS5_1201ELS6_5ELS7_0EEENS1_28merge_sort_block_sort_configILj256ELj4ELNS0_20block_sort_algorithmE0EEENS0_14default_configENS1_37merge_sort_block_sort_config_selectorIsNS0_10empty_typeEEENS1_38merge_sort_block_merge_config_selectorIsSF_EEEEvv: ; @_ZN7rocprim17ROCPRIM_400000_NS6detail44device_merge_sort_compile_time_verifier_archINS1_11comp_targetILNS1_3genE10ELNS1_11target_archE1200ELNS1_3gpuE4ELNS1_3repE0EEENS3_ILS4_10ELS5_1201ELS6_5ELS7_0EEENS1_28merge_sort_block_sort_configILj256ELj4ELNS0_20block_sort_algorithmE0EEENS0_14default_configENS1_37merge_sort_block_sort_config_selectorIsNS0_10empty_typeEEENS1_38merge_sort_block_merge_config_selectorIsSF_EEEEvv
; %bb.0:
	s_endpgm
	.section	.rodata,"a",@progbits
	.p2align	6, 0x0
	.amdhsa_kernel _ZN7rocprim17ROCPRIM_400000_NS6detail44device_merge_sort_compile_time_verifier_archINS1_11comp_targetILNS1_3genE10ELNS1_11target_archE1200ELNS1_3gpuE4ELNS1_3repE0EEENS3_ILS4_10ELS5_1201ELS6_5ELS7_0EEENS1_28merge_sort_block_sort_configILj256ELj4ELNS0_20block_sort_algorithmE0EEENS0_14default_configENS1_37merge_sort_block_sort_config_selectorIsNS0_10empty_typeEEENS1_38merge_sort_block_merge_config_selectorIsSF_EEEEvv
		.amdhsa_group_segment_fixed_size 0
		.amdhsa_private_segment_fixed_size 0
		.amdhsa_kernarg_size 0
		.amdhsa_user_sgpr_count 4
		.amdhsa_user_sgpr_private_segment_buffer 1
		.amdhsa_user_sgpr_dispatch_ptr 0
		.amdhsa_user_sgpr_queue_ptr 0
		.amdhsa_user_sgpr_kernarg_segment_ptr 0
		.amdhsa_user_sgpr_dispatch_id 0
		.amdhsa_user_sgpr_flat_scratch_init 0
		.amdhsa_user_sgpr_kernarg_preload_length 0
		.amdhsa_user_sgpr_kernarg_preload_offset 0
		.amdhsa_user_sgpr_private_segment_size 0
		.amdhsa_uses_dynamic_stack 0
		.amdhsa_system_sgpr_private_segment_wavefront_offset 0
		.amdhsa_system_sgpr_workgroup_id_x 1
		.amdhsa_system_sgpr_workgroup_id_y 0
		.amdhsa_system_sgpr_workgroup_id_z 0
		.amdhsa_system_sgpr_workgroup_info 0
		.amdhsa_system_vgpr_workitem_id 0
		.amdhsa_next_free_vgpr 1
		.amdhsa_next_free_sgpr 0
		.amdhsa_accum_offset 4
		.amdhsa_reserve_vcc 0
		.amdhsa_reserve_flat_scratch 0
		.amdhsa_float_round_mode_32 0
		.amdhsa_float_round_mode_16_64 0
		.amdhsa_float_denorm_mode_32 3
		.amdhsa_float_denorm_mode_16_64 3
		.amdhsa_dx10_clamp 1
		.amdhsa_ieee_mode 1
		.amdhsa_fp16_overflow 0
		.amdhsa_tg_split 0
		.amdhsa_exception_fp_ieee_invalid_op 0
		.amdhsa_exception_fp_denorm_src 0
		.amdhsa_exception_fp_ieee_div_zero 0
		.amdhsa_exception_fp_ieee_overflow 0
		.amdhsa_exception_fp_ieee_underflow 0
		.amdhsa_exception_fp_ieee_inexact 0
		.amdhsa_exception_int_div_zero 0
	.end_amdhsa_kernel
	.section	.text._ZN7rocprim17ROCPRIM_400000_NS6detail44device_merge_sort_compile_time_verifier_archINS1_11comp_targetILNS1_3genE10ELNS1_11target_archE1200ELNS1_3gpuE4ELNS1_3repE0EEENS3_ILS4_10ELS5_1201ELS6_5ELS7_0EEENS1_28merge_sort_block_sort_configILj256ELj4ELNS0_20block_sort_algorithmE0EEENS0_14default_configENS1_37merge_sort_block_sort_config_selectorIsNS0_10empty_typeEEENS1_38merge_sort_block_merge_config_selectorIsSF_EEEEvv,"axG",@progbits,_ZN7rocprim17ROCPRIM_400000_NS6detail44device_merge_sort_compile_time_verifier_archINS1_11comp_targetILNS1_3genE10ELNS1_11target_archE1200ELNS1_3gpuE4ELNS1_3repE0EEENS3_ILS4_10ELS5_1201ELS6_5ELS7_0EEENS1_28merge_sort_block_sort_configILj256ELj4ELNS0_20block_sort_algorithmE0EEENS0_14default_configENS1_37merge_sort_block_sort_config_selectorIsNS0_10empty_typeEEENS1_38merge_sort_block_merge_config_selectorIsSF_EEEEvv,comdat
.Lfunc_end1815:
	.size	_ZN7rocprim17ROCPRIM_400000_NS6detail44device_merge_sort_compile_time_verifier_archINS1_11comp_targetILNS1_3genE10ELNS1_11target_archE1200ELNS1_3gpuE4ELNS1_3repE0EEENS3_ILS4_10ELS5_1201ELS6_5ELS7_0EEENS1_28merge_sort_block_sort_configILj256ELj4ELNS0_20block_sort_algorithmE0EEENS0_14default_configENS1_37merge_sort_block_sort_config_selectorIsNS0_10empty_typeEEENS1_38merge_sort_block_merge_config_selectorIsSF_EEEEvv, .Lfunc_end1815-_ZN7rocprim17ROCPRIM_400000_NS6detail44device_merge_sort_compile_time_verifier_archINS1_11comp_targetILNS1_3genE10ELNS1_11target_archE1200ELNS1_3gpuE4ELNS1_3repE0EEENS3_ILS4_10ELS5_1201ELS6_5ELS7_0EEENS1_28merge_sort_block_sort_configILj256ELj4ELNS0_20block_sort_algorithmE0EEENS0_14default_configENS1_37merge_sort_block_sort_config_selectorIsNS0_10empty_typeEEENS1_38merge_sort_block_merge_config_selectorIsSF_EEEEvv
                                        ; -- End function
	.section	.AMDGPU.csdata,"",@progbits
; Kernel info:
; codeLenInByte = 4
; NumSgprs: 4
; NumVgprs: 0
; NumAgprs: 0
; TotalNumVgprs: 0
; ScratchSize: 0
; MemoryBound: 0
; FloatMode: 240
; IeeeMode: 1
; LDSByteSize: 0 bytes/workgroup (compile time only)
; SGPRBlocks: 0
; VGPRBlocks: 0
; NumSGPRsForWavesPerEU: 4
; NumVGPRsForWavesPerEU: 1
; AccumOffset: 4
; Occupancy: 8
; WaveLimiterHint : 0
; COMPUTE_PGM_RSRC2:SCRATCH_EN: 0
; COMPUTE_PGM_RSRC2:USER_SGPR: 4
; COMPUTE_PGM_RSRC2:TRAP_HANDLER: 0
; COMPUTE_PGM_RSRC2:TGID_X_EN: 1
; COMPUTE_PGM_RSRC2:TGID_Y_EN: 0
; COMPUTE_PGM_RSRC2:TGID_Z_EN: 0
; COMPUTE_PGM_RSRC2:TIDIG_COMP_CNT: 0
; COMPUTE_PGM_RSRC3_GFX90A:ACCUM_OFFSET: 0
; COMPUTE_PGM_RSRC3_GFX90A:TG_SPLIT: 0
	.section	.text._ZN7rocprim17ROCPRIM_400000_NS6detail44device_merge_sort_compile_time_verifier_archINS1_11comp_targetILNS1_3genE9ELNS1_11target_archE1100ELNS1_3gpuE3ELNS1_3repE0EEES8_NS1_28merge_sort_block_sort_configILj256ELj4ELNS0_20block_sort_algorithmE0EEENS0_14default_configENS1_37merge_sort_block_sort_config_selectorIsNS0_10empty_typeEEENS1_38merge_sort_block_merge_config_selectorIsSE_EEEEvv,"axG",@progbits,_ZN7rocprim17ROCPRIM_400000_NS6detail44device_merge_sort_compile_time_verifier_archINS1_11comp_targetILNS1_3genE9ELNS1_11target_archE1100ELNS1_3gpuE3ELNS1_3repE0EEES8_NS1_28merge_sort_block_sort_configILj256ELj4ELNS0_20block_sort_algorithmE0EEENS0_14default_configENS1_37merge_sort_block_sort_config_selectorIsNS0_10empty_typeEEENS1_38merge_sort_block_merge_config_selectorIsSE_EEEEvv,comdat
	.protected	_ZN7rocprim17ROCPRIM_400000_NS6detail44device_merge_sort_compile_time_verifier_archINS1_11comp_targetILNS1_3genE9ELNS1_11target_archE1100ELNS1_3gpuE3ELNS1_3repE0EEES8_NS1_28merge_sort_block_sort_configILj256ELj4ELNS0_20block_sort_algorithmE0EEENS0_14default_configENS1_37merge_sort_block_sort_config_selectorIsNS0_10empty_typeEEENS1_38merge_sort_block_merge_config_selectorIsSE_EEEEvv ; -- Begin function _ZN7rocprim17ROCPRIM_400000_NS6detail44device_merge_sort_compile_time_verifier_archINS1_11comp_targetILNS1_3genE9ELNS1_11target_archE1100ELNS1_3gpuE3ELNS1_3repE0EEES8_NS1_28merge_sort_block_sort_configILj256ELj4ELNS0_20block_sort_algorithmE0EEENS0_14default_configENS1_37merge_sort_block_sort_config_selectorIsNS0_10empty_typeEEENS1_38merge_sort_block_merge_config_selectorIsSE_EEEEvv
	.globl	_ZN7rocprim17ROCPRIM_400000_NS6detail44device_merge_sort_compile_time_verifier_archINS1_11comp_targetILNS1_3genE9ELNS1_11target_archE1100ELNS1_3gpuE3ELNS1_3repE0EEES8_NS1_28merge_sort_block_sort_configILj256ELj4ELNS0_20block_sort_algorithmE0EEENS0_14default_configENS1_37merge_sort_block_sort_config_selectorIsNS0_10empty_typeEEENS1_38merge_sort_block_merge_config_selectorIsSE_EEEEvv
	.p2align	8
	.type	_ZN7rocprim17ROCPRIM_400000_NS6detail44device_merge_sort_compile_time_verifier_archINS1_11comp_targetILNS1_3genE9ELNS1_11target_archE1100ELNS1_3gpuE3ELNS1_3repE0EEES8_NS1_28merge_sort_block_sort_configILj256ELj4ELNS0_20block_sort_algorithmE0EEENS0_14default_configENS1_37merge_sort_block_sort_config_selectorIsNS0_10empty_typeEEENS1_38merge_sort_block_merge_config_selectorIsSE_EEEEvv,@function
_ZN7rocprim17ROCPRIM_400000_NS6detail44device_merge_sort_compile_time_verifier_archINS1_11comp_targetILNS1_3genE9ELNS1_11target_archE1100ELNS1_3gpuE3ELNS1_3repE0EEES8_NS1_28merge_sort_block_sort_configILj256ELj4ELNS0_20block_sort_algorithmE0EEENS0_14default_configENS1_37merge_sort_block_sort_config_selectorIsNS0_10empty_typeEEENS1_38merge_sort_block_merge_config_selectorIsSE_EEEEvv: ; @_ZN7rocprim17ROCPRIM_400000_NS6detail44device_merge_sort_compile_time_verifier_archINS1_11comp_targetILNS1_3genE9ELNS1_11target_archE1100ELNS1_3gpuE3ELNS1_3repE0EEES8_NS1_28merge_sort_block_sort_configILj256ELj4ELNS0_20block_sort_algorithmE0EEENS0_14default_configENS1_37merge_sort_block_sort_config_selectorIsNS0_10empty_typeEEENS1_38merge_sort_block_merge_config_selectorIsSE_EEEEvv
; %bb.0:
	s_endpgm
	.section	.rodata,"a",@progbits
	.p2align	6, 0x0
	.amdhsa_kernel _ZN7rocprim17ROCPRIM_400000_NS6detail44device_merge_sort_compile_time_verifier_archINS1_11comp_targetILNS1_3genE9ELNS1_11target_archE1100ELNS1_3gpuE3ELNS1_3repE0EEES8_NS1_28merge_sort_block_sort_configILj256ELj4ELNS0_20block_sort_algorithmE0EEENS0_14default_configENS1_37merge_sort_block_sort_config_selectorIsNS0_10empty_typeEEENS1_38merge_sort_block_merge_config_selectorIsSE_EEEEvv
		.amdhsa_group_segment_fixed_size 0
		.amdhsa_private_segment_fixed_size 0
		.amdhsa_kernarg_size 0
		.amdhsa_user_sgpr_count 4
		.amdhsa_user_sgpr_private_segment_buffer 1
		.amdhsa_user_sgpr_dispatch_ptr 0
		.amdhsa_user_sgpr_queue_ptr 0
		.amdhsa_user_sgpr_kernarg_segment_ptr 0
		.amdhsa_user_sgpr_dispatch_id 0
		.amdhsa_user_sgpr_flat_scratch_init 0
		.amdhsa_user_sgpr_kernarg_preload_length 0
		.amdhsa_user_sgpr_kernarg_preload_offset 0
		.amdhsa_user_sgpr_private_segment_size 0
		.amdhsa_uses_dynamic_stack 0
		.amdhsa_system_sgpr_private_segment_wavefront_offset 0
		.amdhsa_system_sgpr_workgroup_id_x 1
		.amdhsa_system_sgpr_workgroup_id_y 0
		.amdhsa_system_sgpr_workgroup_id_z 0
		.amdhsa_system_sgpr_workgroup_info 0
		.amdhsa_system_vgpr_workitem_id 0
		.amdhsa_next_free_vgpr 1
		.amdhsa_next_free_sgpr 0
		.amdhsa_accum_offset 4
		.amdhsa_reserve_vcc 0
		.amdhsa_reserve_flat_scratch 0
		.amdhsa_float_round_mode_32 0
		.amdhsa_float_round_mode_16_64 0
		.amdhsa_float_denorm_mode_32 3
		.amdhsa_float_denorm_mode_16_64 3
		.amdhsa_dx10_clamp 1
		.amdhsa_ieee_mode 1
		.amdhsa_fp16_overflow 0
		.amdhsa_tg_split 0
		.amdhsa_exception_fp_ieee_invalid_op 0
		.amdhsa_exception_fp_denorm_src 0
		.amdhsa_exception_fp_ieee_div_zero 0
		.amdhsa_exception_fp_ieee_overflow 0
		.amdhsa_exception_fp_ieee_underflow 0
		.amdhsa_exception_fp_ieee_inexact 0
		.amdhsa_exception_int_div_zero 0
	.end_amdhsa_kernel
	.section	.text._ZN7rocprim17ROCPRIM_400000_NS6detail44device_merge_sort_compile_time_verifier_archINS1_11comp_targetILNS1_3genE9ELNS1_11target_archE1100ELNS1_3gpuE3ELNS1_3repE0EEES8_NS1_28merge_sort_block_sort_configILj256ELj4ELNS0_20block_sort_algorithmE0EEENS0_14default_configENS1_37merge_sort_block_sort_config_selectorIsNS0_10empty_typeEEENS1_38merge_sort_block_merge_config_selectorIsSE_EEEEvv,"axG",@progbits,_ZN7rocprim17ROCPRIM_400000_NS6detail44device_merge_sort_compile_time_verifier_archINS1_11comp_targetILNS1_3genE9ELNS1_11target_archE1100ELNS1_3gpuE3ELNS1_3repE0EEES8_NS1_28merge_sort_block_sort_configILj256ELj4ELNS0_20block_sort_algorithmE0EEENS0_14default_configENS1_37merge_sort_block_sort_config_selectorIsNS0_10empty_typeEEENS1_38merge_sort_block_merge_config_selectorIsSE_EEEEvv,comdat
.Lfunc_end1816:
	.size	_ZN7rocprim17ROCPRIM_400000_NS6detail44device_merge_sort_compile_time_verifier_archINS1_11comp_targetILNS1_3genE9ELNS1_11target_archE1100ELNS1_3gpuE3ELNS1_3repE0EEES8_NS1_28merge_sort_block_sort_configILj256ELj4ELNS0_20block_sort_algorithmE0EEENS0_14default_configENS1_37merge_sort_block_sort_config_selectorIsNS0_10empty_typeEEENS1_38merge_sort_block_merge_config_selectorIsSE_EEEEvv, .Lfunc_end1816-_ZN7rocprim17ROCPRIM_400000_NS6detail44device_merge_sort_compile_time_verifier_archINS1_11comp_targetILNS1_3genE9ELNS1_11target_archE1100ELNS1_3gpuE3ELNS1_3repE0EEES8_NS1_28merge_sort_block_sort_configILj256ELj4ELNS0_20block_sort_algorithmE0EEENS0_14default_configENS1_37merge_sort_block_sort_config_selectorIsNS0_10empty_typeEEENS1_38merge_sort_block_merge_config_selectorIsSE_EEEEvv
                                        ; -- End function
	.section	.AMDGPU.csdata,"",@progbits
; Kernel info:
; codeLenInByte = 4
; NumSgprs: 4
; NumVgprs: 0
; NumAgprs: 0
; TotalNumVgprs: 0
; ScratchSize: 0
; MemoryBound: 0
; FloatMode: 240
; IeeeMode: 1
; LDSByteSize: 0 bytes/workgroup (compile time only)
; SGPRBlocks: 0
; VGPRBlocks: 0
; NumSGPRsForWavesPerEU: 4
; NumVGPRsForWavesPerEU: 1
; AccumOffset: 4
; Occupancy: 8
; WaveLimiterHint : 0
; COMPUTE_PGM_RSRC2:SCRATCH_EN: 0
; COMPUTE_PGM_RSRC2:USER_SGPR: 4
; COMPUTE_PGM_RSRC2:TRAP_HANDLER: 0
; COMPUTE_PGM_RSRC2:TGID_X_EN: 1
; COMPUTE_PGM_RSRC2:TGID_Y_EN: 0
; COMPUTE_PGM_RSRC2:TGID_Z_EN: 0
; COMPUTE_PGM_RSRC2:TIDIG_COMP_CNT: 0
; COMPUTE_PGM_RSRC3_GFX90A:ACCUM_OFFSET: 0
; COMPUTE_PGM_RSRC3_GFX90A:TG_SPLIT: 0
	.section	.text._ZN7rocprim17ROCPRIM_400000_NS6detail44device_merge_sort_compile_time_verifier_archINS1_11comp_targetILNS1_3genE8ELNS1_11target_archE1030ELNS1_3gpuE2ELNS1_3repE0EEES8_NS1_28merge_sort_block_sort_configILj256ELj4ELNS0_20block_sort_algorithmE0EEENS0_14default_configENS1_37merge_sort_block_sort_config_selectorIsNS0_10empty_typeEEENS1_38merge_sort_block_merge_config_selectorIsSE_EEEEvv,"axG",@progbits,_ZN7rocprim17ROCPRIM_400000_NS6detail44device_merge_sort_compile_time_verifier_archINS1_11comp_targetILNS1_3genE8ELNS1_11target_archE1030ELNS1_3gpuE2ELNS1_3repE0EEES8_NS1_28merge_sort_block_sort_configILj256ELj4ELNS0_20block_sort_algorithmE0EEENS0_14default_configENS1_37merge_sort_block_sort_config_selectorIsNS0_10empty_typeEEENS1_38merge_sort_block_merge_config_selectorIsSE_EEEEvv,comdat
	.protected	_ZN7rocprim17ROCPRIM_400000_NS6detail44device_merge_sort_compile_time_verifier_archINS1_11comp_targetILNS1_3genE8ELNS1_11target_archE1030ELNS1_3gpuE2ELNS1_3repE0EEES8_NS1_28merge_sort_block_sort_configILj256ELj4ELNS0_20block_sort_algorithmE0EEENS0_14default_configENS1_37merge_sort_block_sort_config_selectorIsNS0_10empty_typeEEENS1_38merge_sort_block_merge_config_selectorIsSE_EEEEvv ; -- Begin function _ZN7rocprim17ROCPRIM_400000_NS6detail44device_merge_sort_compile_time_verifier_archINS1_11comp_targetILNS1_3genE8ELNS1_11target_archE1030ELNS1_3gpuE2ELNS1_3repE0EEES8_NS1_28merge_sort_block_sort_configILj256ELj4ELNS0_20block_sort_algorithmE0EEENS0_14default_configENS1_37merge_sort_block_sort_config_selectorIsNS0_10empty_typeEEENS1_38merge_sort_block_merge_config_selectorIsSE_EEEEvv
	.globl	_ZN7rocprim17ROCPRIM_400000_NS6detail44device_merge_sort_compile_time_verifier_archINS1_11comp_targetILNS1_3genE8ELNS1_11target_archE1030ELNS1_3gpuE2ELNS1_3repE0EEES8_NS1_28merge_sort_block_sort_configILj256ELj4ELNS0_20block_sort_algorithmE0EEENS0_14default_configENS1_37merge_sort_block_sort_config_selectorIsNS0_10empty_typeEEENS1_38merge_sort_block_merge_config_selectorIsSE_EEEEvv
	.p2align	8
	.type	_ZN7rocprim17ROCPRIM_400000_NS6detail44device_merge_sort_compile_time_verifier_archINS1_11comp_targetILNS1_3genE8ELNS1_11target_archE1030ELNS1_3gpuE2ELNS1_3repE0EEES8_NS1_28merge_sort_block_sort_configILj256ELj4ELNS0_20block_sort_algorithmE0EEENS0_14default_configENS1_37merge_sort_block_sort_config_selectorIsNS0_10empty_typeEEENS1_38merge_sort_block_merge_config_selectorIsSE_EEEEvv,@function
_ZN7rocprim17ROCPRIM_400000_NS6detail44device_merge_sort_compile_time_verifier_archINS1_11comp_targetILNS1_3genE8ELNS1_11target_archE1030ELNS1_3gpuE2ELNS1_3repE0EEES8_NS1_28merge_sort_block_sort_configILj256ELj4ELNS0_20block_sort_algorithmE0EEENS0_14default_configENS1_37merge_sort_block_sort_config_selectorIsNS0_10empty_typeEEENS1_38merge_sort_block_merge_config_selectorIsSE_EEEEvv: ; @_ZN7rocprim17ROCPRIM_400000_NS6detail44device_merge_sort_compile_time_verifier_archINS1_11comp_targetILNS1_3genE8ELNS1_11target_archE1030ELNS1_3gpuE2ELNS1_3repE0EEES8_NS1_28merge_sort_block_sort_configILj256ELj4ELNS0_20block_sort_algorithmE0EEENS0_14default_configENS1_37merge_sort_block_sort_config_selectorIsNS0_10empty_typeEEENS1_38merge_sort_block_merge_config_selectorIsSE_EEEEvv
; %bb.0:
	s_endpgm
	.section	.rodata,"a",@progbits
	.p2align	6, 0x0
	.amdhsa_kernel _ZN7rocprim17ROCPRIM_400000_NS6detail44device_merge_sort_compile_time_verifier_archINS1_11comp_targetILNS1_3genE8ELNS1_11target_archE1030ELNS1_3gpuE2ELNS1_3repE0EEES8_NS1_28merge_sort_block_sort_configILj256ELj4ELNS0_20block_sort_algorithmE0EEENS0_14default_configENS1_37merge_sort_block_sort_config_selectorIsNS0_10empty_typeEEENS1_38merge_sort_block_merge_config_selectorIsSE_EEEEvv
		.amdhsa_group_segment_fixed_size 0
		.amdhsa_private_segment_fixed_size 0
		.amdhsa_kernarg_size 0
		.amdhsa_user_sgpr_count 4
		.amdhsa_user_sgpr_private_segment_buffer 1
		.amdhsa_user_sgpr_dispatch_ptr 0
		.amdhsa_user_sgpr_queue_ptr 0
		.amdhsa_user_sgpr_kernarg_segment_ptr 0
		.amdhsa_user_sgpr_dispatch_id 0
		.amdhsa_user_sgpr_flat_scratch_init 0
		.amdhsa_user_sgpr_kernarg_preload_length 0
		.amdhsa_user_sgpr_kernarg_preload_offset 0
		.amdhsa_user_sgpr_private_segment_size 0
		.amdhsa_uses_dynamic_stack 0
		.amdhsa_system_sgpr_private_segment_wavefront_offset 0
		.amdhsa_system_sgpr_workgroup_id_x 1
		.amdhsa_system_sgpr_workgroup_id_y 0
		.amdhsa_system_sgpr_workgroup_id_z 0
		.amdhsa_system_sgpr_workgroup_info 0
		.amdhsa_system_vgpr_workitem_id 0
		.amdhsa_next_free_vgpr 1
		.amdhsa_next_free_sgpr 0
		.amdhsa_accum_offset 4
		.amdhsa_reserve_vcc 0
		.amdhsa_reserve_flat_scratch 0
		.amdhsa_float_round_mode_32 0
		.amdhsa_float_round_mode_16_64 0
		.amdhsa_float_denorm_mode_32 3
		.amdhsa_float_denorm_mode_16_64 3
		.amdhsa_dx10_clamp 1
		.amdhsa_ieee_mode 1
		.amdhsa_fp16_overflow 0
		.amdhsa_tg_split 0
		.amdhsa_exception_fp_ieee_invalid_op 0
		.amdhsa_exception_fp_denorm_src 0
		.amdhsa_exception_fp_ieee_div_zero 0
		.amdhsa_exception_fp_ieee_overflow 0
		.amdhsa_exception_fp_ieee_underflow 0
		.amdhsa_exception_fp_ieee_inexact 0
		.amdhsa_exception_int_div_zero 0
	.end_amdhsa_kernel
	.section	.text._ZN7rocprim17ROCPRIM_400000_NS6detail44device_merge_sort_compile_time_verifier_archINS1_11comp_targetILNS1_3genE8ELNS1_11target_archE1030ELNS1_3gpuE2ELNS1_3repE0EEES8_NS1_28merge_sort_block_sort_configILj256ELj4ELNS0_20block_sort_algorithmE0EEENS0_14default_configENS1_37merge_sort_block_sort_config_selectorIsNS0_10empty_typeEEENS1_38merge_sort_block_merge_config_selectorIsSE_EEEEvv,"axG",@progbits,_ZN7rocprim17ROCPRIM_400000_NS6detail44device_merge_sort_compile_time_verifier_archINS1_11comp_targetILNS1_3genE8ELNS1_11target_archE1030ELNS1_3gpuE2ELNS1_3repE0EEES8_NS1_28merge_sort_block_sort_configILj256ELj4ELNS0_20block_sort_algorithmE0EEENS0_14default_configENS1_37merge_sort_block_sort_config_selectorIsNS0_10empty_typeEEENS1_38merge_sort_block_merge_config_selectorIsSE_EEEEvv,comdat
.Lfunc_end1817:
	.size	_ZN7rocprim17ROCPRIM_400000_NS6detail44device_merge_sort_compile_time_verifier_archINS1_11comp_targetILNS1_3genE8ELNS1_11target_archE1030ELNS1_3gpuE2ELNS1_3repE0EEES8_NS1_28merge_sort_block_sort_configILj256ELj4ELNS0_20block_sort_algorithmE0EEENS0_14default_configENS1_37merge_sort_block_sort_config_selectorIsNS0_10empty_typeEEENS1_38merge_sort_block_merge_config_selectorIsSE_EEEEvv, .Lfunc_end1817-_ZN7rocprim17ROCPRIM_400000_NS6detail44device_merge_sort_compile_time_verifier_archINS1_11comp_targetILNS1_3genE8ELNS1_11target_archE1030ELNS1_3gpuE2ELNS1_3repE0EEES8_NS1_28merge_sort_block_sort_configILj256ELj4ELNS0_20block_sort_algorithmE0EEENS0_14default_configENS1_37merge_sort_block_sort_config_selectorIsNS0_10empty_typeEEENS1_38merge_sort_block_merge_config_selectorIsSE_EEEEvv
                                        ; -- End function
	.section	.AMDGPU.csdata,"",@progbits
; Kernel info:
; codeLenInByte = 4
; NumSgprs: 4
; NumVgprs: 0
; NumAgprs: 0
; TotalNumVgprs: 0
; ScratchSize: 0
; MemoryBound: 0
; FloatMode: 240
; IeeeMode: 1
; LDSByteSize: 0 bytes/workgroup (compile time only)
; SGPRBlocks: 0
; VGPRBlocks: 0
; NumSGPRsForWavesPerEU: 4
; NumVGPRsForWavesPerEU: 1
; AccumOffset: 4
; Occupancy: 8
; WaveLimiterHint : 0
; COMPUTE_PGM_RSRC2:SCRATCH_EN: 0
; COMPUTE_PGM_RSRC2:USER_SGPR: 4
; COMPUTE_PGM_RSRC2:TRAP_HANDLER: 0
; COMPUTE_PGM_RSRC2:TGID_X_EN: 1
; COMPUTE_PGM_RSRC2:TGID_Y_EN: 0
; COMPUTE_PGM_RSRC2:TGID_Z_EN: 0
; COMPUTE_PGM_RSRC2:TIDIG_COMP_CNT: 0
; COMPUTE_PGM_RSRC3_GFX90A:ACCUM_OFFSET: 0
; COMPUTE_PGM_RSRC3_GFX90A:TG_SPLIT: 0
	.section	.text._ZN7rocprim17ROCPRIM_400000_NS6detail17trampoline_kernelINS0_14default_configENS1_38merge_sort_block_merge_config_selectorIsNS0_10empty_typeEEEZZNS1_27merge_sort_block_merge_implIS3_N6thrust23THRUST_200600_302600_NS6detail15normal_iteratorINS9_10device_ptrIsEEEEPS5_jNS1_19radix_merge_compareILb0ELb0EsNS0_19identity_decomposerEEEEE10hipError_tT0_T1_T2_jT3_P12ihipStream_tbPNSt15iterator_traitsISK_E10value_typeEPNSQ_ISL_E10value_typeEPSM_NS1_7vsmem_tEENKUlT_SK_SL_SM_E_clIPsSE_SF_SF_EESJ_SZ_SK_SL_SM_EUlSZ_E_NS1_11comp_targetILNS1_3genE0ELNS1_11target_archE4294967295ELNS1_3gpuE0ELNS1_3repE0EEENS1_48merge_mergepath_partition_config_static_selectorELNS0_4arch9wavefront6targetE1EEEvSL_,"axG",@progbits,_ZN7rocprim17ROCPRIM_400000_NS6detail17trampoline_kernelINS0_14default_configENS1_38merge_sort_block_merge_config_selectorIsNS0_10empty_typeEEEZZNS1_27merge_sort_block_merge_implIS3_N6thrust23THRUST_200600_302600_NS6detail15normal_iteratorINS9_10device_ptrIsEEEEPS5_jNS1_19radix_merge_compareILb0ELb0EsNS0_19identity_decomposerEEEEE10hipError_tT0_T1_T2_jT3_P12ihipStream_tbPNSt15iterator_traitsISK_E10value_typeEPNSQ_ISL_E10value_typeEPSM_NS1_7vsmem_tEENKUlT_SK_SL_SM_E_clIPsSE_SF_SF_EESJ_SZ_SK_SL_SM_EUlSZ_E_NS1_11comp_targetILNS1_3genE0ELNS1_11target_archE4294967295ELNS1_3gpuE0ELNS1_3repE0EEENS1_48merge_mergepath_partition_config_static_selectorELNS0_4arch9wavefront6targetE1EEEvSL_,comdat
	.protected	_ZN7rocprim17ROCPRIM_400000_NS6detail17trampoline_kernelINS0_14default_configENS1_38merge_sort_block_merge_config_selectorIsNS0_10empty_typeEEEZZNS1_27merge_sort_block_merge_implIS3_N6thrust23THRUST_200600_302600_NS6detail15normal_iteratorINS9_10device_ptrIsEEEEPS5_jNS1_19radix_merge_compareILb0ELb0EsNS0_19identity_decomposerEEEEE10hipError_tT0_T1_T2_jT3_P12ihipStream_tbPNSt15iterator_traitsISK_E10value_typeEPNSQ_ISL_E10value_typeEPSM_NS1_7vsmem_tEENKUlT_SK_SL_SM_E_clIPsSE_SF_SF_EESJ_SZ_SK_SL_SM_EUlSZ_E_NS1_11comp_targetILNS1_3genE0ELNS1_11target_archE4294967295ELNS1_3gpuE0ELNS1_3repE0EEENS1_48merge_mergepath_partition_config_static_selectorELNS0_4arch9wavefront6targetE1EEEvSL_ ; -- Begin function _ZN7rocprim17ROCPRIM_400000_NS6detail17trampoline_kernelINS0_14default_configENS1_38merge_sort_block_merge_config_selectorIsNS0_10empty_typeEEEZZNS1_27merge_sort_block_merge_implIS3_N6thrust23THRUST_200600_302600_NS6detail15normal_iteratorINS9_10device_ptrIsEEEEPS5_jNS1_19radix_merge_compareILb0ELb0EsNS0_19identity_decomposerEEEEE10hipError_tT0_T1_T2_jT3_P12ihipStream_tbPNSt15iterator_traitsISK_E10value_typeEPNSQ_ISL_E10value_typeEPSM_NS1_7vsmem_tEENKUlT_SK_SL_SM_E_clIPsSE_SF_SF_EESJ_SZ_SK_SL_SM_EUlSZ_E_NS1_11comp_targetILNS1_3genE0ELNS1_11target_archE4294967295ELNS1_3gpuE0ELNS1_3repE0EEENS1_48merge_mergepath_partition_config_static_selectorELNS0_4arch9wavefront6targetE1EEEvSL_
	.globl	_ZN7rocprim17ROCPRIM_400000_NS6detail17trampoline_kernelINS0_14default_configENS1_38merge_sort_block_merge_config_selectorIsNS0_10empty_typeEEEZZNS1_27merge_sort_block_merge_implIS3_N6thrust23THRUST_200600_302600_NS6detail15normal_iteratorINS9_10device_ptrIsEEEEPS5_jNS1_19radix_merge_compareILb0ELb0EsNS0_19identity_decomposerEEEEE10hipError_tT0_T1_T2_jT3_P12ihipStream_tbPNSt15iterator_traitsISK_E10value_typeEPNSQ_ISL_E10value_typeEPSM_NS1_7vsmem_tEENKUlT_SK_SL_SM_E_clIPsSE_SF_SF_EESJ_SZ_SK_SL_SM_EUlSZ_E_NS1_11comp_targetILNS1_3genE0ELNS1_11target_archE4294967295ELNS1_3gpuE0ELNS1_3repE0EEENS1_48merge_mergepath_partition_config_static_selectorELNS0_4arch9wavefront6targetE1EEEvSL_
	.p2align	8
	.type	_ZN7rocprim17ROCPRIM_400000_NS6detail17trampoline_kernelINS0_14default_configENS1_38merge_sort_block_merge_config_selectorIsNS0_10empty_typeEEEZZNS1_27merge_sort_block_merge_implIS3_N6thrust23THRUST_200600_302600_NS6detail15normal_iteratorINS9_10device_ptrIsEEEEPS5_jNS1_19radix_merge_compareILb0ELb0EsNS0_19identity_decomposerEEEEE10hipError_tT0_T1_T2_jT3_P12ihipStream_tbPNSt15iterator_traitsISK_E10value_typeEPNSQ_ISL_E10value_typeEPSM_NS1_7vsmem_tEENKUlT_SK_SL_SM_E_clIPsSE_SF_SF_EESJ_SZ_SK_SL_SM_EUlSZ_E_NS1_11comp_targetILNS1_3genE0ELNS1_11target_archE4294967295ELNS1_3gpuE0ELNS1_3repE0EEENS1_48merge_mergepath_partition_config_static_selectorELNS0_4arch9wavefront6targetE1EEEvSL_,@function
_ZN7rocprim17ROCPRIM_400000_NS6detail17trampoline_kernelINS0_14default_configENS1_38merge_sort_block_merge_config_selectorIsNS0_10empty_typeEEEZZNS1_27merge_sort_block_merge_implIS3_N6thrust23THRUST_200600_302600_NS6detail15normal_iteratorINS9_10device_ptrIsEEEEPS5_jNS1_19radix_merge_compareILb0ELb0EsNS0_19identity_decomposerEEEEE10hipError_tT0_T1_T2_jT3_P12ihipStream_tbPNSt15iterator_traitsISK_E10value_typeEPNSQ_ISL_E10value_typeEPSM_NS1_7vsmem_tEENKUlT_SK_SL_SM_E_clIPsSE_SF_SF_EESJ_SZ_SK_SL_SM_EUlSZ_E_NS1_11comp_targetILNS1_3genE0ELNS1_11target_archE4294967295ELNS1_3gpuE0ELNS1_3repE0EEENS1_48merge_mergepath_partition_config_static_selectorELNS0_4arch9wavefront6targetE1EEEvSL_: ; @_ZN7rocprim17ROCPRIM_400000_NS6detail17trampoline_kernelINS0_14default_configENS1_38merge_sort_block_merge_config_selectorIsNS0_10empty_typeEEEZZNS1_27merge_sort_block_merge_implIS3_N6thrust23THRUST_200600_302600_NS6detail15normal_iteratorINS9_10device_ptrIsEEEEPS5_jNS1_19radix_merge_compareILb0ELb0EsNS0_19identity_decomposerEEEEE10hipError_tT0_T1_T2_jT3_P12ihipStream_tbPNSt15iterator_traitsISK_E10value_typeEPNSQ_ISL_E10value_typeEPSM_NS1_7vsmem_tEENKUlT_SK_SL_SM_E_clIPsSE_SF_SF_EESJ_SZ_SK_SL_SM_EUlSZ_E_NS1_11comp_targetILNS1_3genE0ELNS1_11target_archE4294967295ELNS1_3gpuE0ELNS1_3repE0EEENS1_48merge_mergepath_partition_config_static_selectorELNS0_4arch9wavefront6targetE1EEEvSL_
; %bb.0:
	.section	.rodata,"a",@progbits
	.p2align	6, 0x0
	.amdhsa_kernel _ZN7rocprim17ROCPRIM_400000_NS6detail17trampoline_kernelINS0_14default_configENS1_38merge_sort_block_merge_config_selectorIsNS0_10empty_typeEEEZZNS1_27merge_sort_block_merge_implIS3_N6thrust23THRUST_200600_302600_NS6detail15normal_iteratorINS9_10device_ptrIsEEEEPS5_jNS1_19radix_merge_compareILb0ELb0EsNS0_19identity_decomposerEEEEE10hipError_tT0_T1_T2_jT3_P12ihipStream_tbPNSt15iterator_traitsISK_E10value_typeEPNSQ_ISL_E10value_typeEPSM_NS1_7vsmem_tEENKUlT_SK_SL_SM_E_clIPsSE_SF_SF_EESJ_SZ_SK_SL_SM_EUlSZ_E_NS1_11comp_targetILNS1_3genE0ELNS1_11target_archE4294967295ELNS1_3gpuE0ELNS1_3repE0EEENS1_48merge_mergepath_partition_config_static_selectorELNS0_4arch9wavefront6targetE1EEEvSL_
		.amdhsa_group_segment_fixed_size 0
		.amdhsa_private_segment_fixed_size 0
		.amdhsa_kernarg_size 40
		.amdhsa_user_sgpr_count 6
		.amdhsa_user_sgpr_private_segment_buffer 1
		.amdhsa_user_sgpr_dispatch_ptr 0
		.amdhsa_user_sgpr_queue_ptr 0
		.amdhsa_user_sgpr_kernarg_segment_ptr 1
		.amdhsa_user_sgpr_dispatch_id 0
		.amdhsa_user_sgpr_flat_scratch_init 0
		.amdhsa_user_sgpr_kernarg_preload_length 0
		.amdhsa_user_sgpr_kernarg_preload_offset 0
		.amdhsa_user_sgpr_private_segment_size 0
		.amdhsa_uses_dynamic_stack 0
		.amdhsa_system_sgpr_private_segment_wavefront_offset 0
		.amdhsa_system_sgpr_workgroup_id_x 1
		.amdhsa_system_sgpr_workgroup_id_y 0
		.amdhsa_system_sgpr_workgroup_id_z 0
		.amdhsa_system_sgpr_workgroup_info 0
		.amdhsa_system_vgpr_workitem_id 0
		.amdhsa_next_free_vgpr 1
		.amdhsa_next_free_sgpr 0
		.amdhsa_accum_offset 4
		.amdhsa_reserve_vcc 0
		.amdhsa_reserve_flat_scratch 0
		.amdhsa_float_round_mode_32 0
		.amdhsa_float_round_mode_16_64 0
		.amdhsa_float_denorm_mode_32 3
		.amdhsa_float_denorm_mode_16_64 3
		.amdhsa_dx10_clamp 1
		.amdhsa_ieee_mode 1
		.amdhsa_fp16_overflow 0
		.amdhsa_tg_split 0
		.amdhsa_exception_fp_ieee_invalid_op 0
		.amdhsa_exception_fp_denorm_src 0
		.amdhsa_exception_fp_ieee_div_zero 0
		.amdhsa_exception_fp_ieee_overflow 0
		.amdhsa_exception_fp_ieee_underflow 0
		.amdhsa_exception_fp_ieee_inexact 0
		.amdhsa_exception_int_div_zero 0
	.end_amdhsa_kernel
	.section	.text._ZN7rocprim17ROCPRIM_400000_NS6detail17trampoline_kernelINS0_14default_configENS1_38merge_sort_block_merge_config_selectorIsNS0_10empty_typeEEEZZNS1_27merge_sort_block_merge_implIS3_N6thrust23THRUST_200600_302600_NS6detail15normal_iteratorINS9_10device_ptrIsEEEEPS5_jNS1_19radix_merge_compareILb0ELb0EsNS0_19identity_decomposerEEEEE10hipError_tT0_T1_T2_jT3_P12ihipStream_tbPNSt15iterator_traitsISK_E10value_typeEPNSQ_ISL_E10value_typeEPSM_NS1_7vsmem_tEENKUlT_SK_SL_SM_E_clIPsSE_SF_SF_EESJ_SZ_SK_SL_SM_EUlSZ_E_NS1_11comp_targetILNS1_3genE0ELNS1_11target_archE4294967295ELNS1_3gpuE0ELNS1_3repE0EEENS1_48merge_mergepath_partition_config_static_selectorELNS0_4arch9wavefront6targetE1EEEvSL_,"axG",@progbits,_ZN7rocprim17ROCPRIM_400000_NS6detail17trampoline_kernelINS0_14default_configENS1_38merge_sort_block_merge_config_selectorIsNS0_10empty_typeEEEZZNS1_27merge_sort_block_merge_implIS3_N6thrust23THRUST_200600_302600_NS6detail15normal_iteratorINS9_10device_ptrIsEEEEPS5_jNS1_19radix_merge_compareILb0ELb0EsNS0_19identity_decomposerEEEEE10hipError_tT0_T1_T2_jT3_P12ihipStream_tbPNSt15iterator_traitsISK_E10value_typeEPNSQ_ISL_E10value_typeEPSM_NS1_7vsmem_tEENKUlT_SK_SL_SM_E_clIPsSE_SF_SF_EESJ_SZ_SK_SL_SM_EUlSZ_E_NS1_11comp_targetILNS1_3genE0ELNS1_11target_archE4294967295ELNS1_3gpuE0ELNS1_3repE0EEENS1_48merge_mergepath_partition_config_static_selectorELNS0_4arch9wavefront6targetE1EEEvSL_,comdat
.Lfunc_end1818:
	.size	_ZN7rocprim17ROCPRIM_400000_NS6detail17trampoline_kernelINS0_14default_configENS1_38merge_sort_block_merge_config_selectorIsNS0_10empty_typeEEEZZNS1_27merge_sort_block_merge_implIS3_N6thrust23THRUST_200600_302600_NS6detail15normal_iteratorINS9_10device_ptrIsEEEEPS5_jNS1_19radix_merge_compareILb0ELb0EsNS0_19identity_decomposerEEEEE10hipError_tT0_T1_T2_jT3_P12ihipStream_tbPNSt15iterator_traitsISK_E10value_typeEPNSQ_ISL_E10value_typeEPSM_NS1_7vsmem_tEENKUlT_SK_SL_SM_E_clIPsSE_SF_SF_EESJ_SZ_SK_SL_SM_EUlSZ_E_NS1_11comp_targetILNS1_3genE0ELNS1_11target_archE4294967295ELNS1_3gpuE0ELNS1_3repE0EEENS1_48merge_mergepath_partition_config_static_selectorELNS0_4arch9wavefront6targetE1EEEvSL_, .Lfunc_end1818-_ZN7rocprim17ROCPRIM_400000_NS6detail17trampoline_kernelINS0_14default_configENS1_38merge_sort_block_merge_config_selectorIsNS0_10empty_typeEEEZZNS1_27merge_sort_block_merge_implIS3_N6thrust23THRUST_200600_302600_NS6detail15normal_iteratorINS9_10device_ptrIsEEEEPS5_jNS1_19radix_merge_compareILb0ELb0EsNS0_19identity_decomposerEEEEE10hipError_tT0_T1_T2_jT3_P12ihipStream_tbPNSt15iterator_traitsISK_E10value_typeEPNSQ_ISL_E10value_typeEPSM_NS1_7vsmem_tEENKUlT_SK_SL_SM_E_clIPsSE_SF_SF_EESJ_SZ_SK_SL_SM_EUlSZ_E_NS1_11comp_targetILNS1_3genE0ELNS1_11target_archE4294967295ELNS1_3gpuE0ELNS1_3repE0EEENS1_48merge_mergepath_partition_config_static_selectorELNS0_4arch9wavefront6targetE1EEEvSL_
                                        ; -- End function
	.section	.AMDGPU.csdata,"",@progbits
; Kernel info:
; codeLenInByte = 0
; NumSgprs: 4
; NumVgprs: 0
; NumAgprs: 0
; TotalNumVgprs: 0
; ScratchSize: 0
; MemoryBound: 0
; FloatMode: 240
; IeeeMode: 1
; LDSByteSize: 0 bytes/workgroup (compile time only)
; SGPRBlocks: 0
; VGPRBlocks: 0
; NumSGPRsForWavesPerEU: 4
; NumVGPRsForWavesPerEU: 1
; AccumOffset: 4
; Occupancy: 8
; WaveLimiterHint : 0
; COMPUTE_PGM_RSRC2:SCRATCH_EN: 0
; COMPUTE_PGM_RSRC2:USER_SGPR: 6
; COMPUTE_PGM_RSRC2:TRAP_HANDLER: 0
; COMPUTE_PGM_RSRC2:TGID_X_EN: 1
; COMPUTE_PGM_RSRC2:TGID_Y_EN: 0
; COMPUTE_PGM_RSRC2:TGID_Z_EN: 0
; COMPUTE_PGM_RSRC2:TIDIG_COMP_CNT: 0
; COMPUTE_PGM_RSRC3_GFX90A:ACCUM_OFFSET: 0
; COMPUTE_PGM_RSRC3_GFX90A:TG_SPLIT: 0
	.section	.text._ZN7rocprim17ROCPRIM_400000_NS6detail17trampoline_kernelINS0_14default_configENS1_38merge_sort_block_merge_config_selectorIsNS0_10empty_typeEEEZZNS1_27merge_sort_block_merge_implIS3_N6thrust23THRUST_200600_302600_NS6detail15normal_iteratorINS9_10device_ptrIsEEEEPS5_jNS1_19radix_merge_compareILb0ELb0EsNS0_19identity_decomposerEEEEE10hipError_tT0_T1_T2_jT3_P12ihipStream_tbPNSt15iterator_traitsISK_E10value_typeEPNSQ_ISL_E10value_typeEPSM_NS1_7vsmem_tEENKUlT_SK_SL_SM_E_clIPsSE_SF_SF_EESJ_SZ_SK_SL_SM_EUlSZ_E_NS1_11comp_targetILNS1_3genE10ELNS1_11target_archE1201ELNS1_3gpuE5ELNS1_3repE0EEENS1_48merge_mergepath_partition_config_static_selectorELNS0_4arch9wavefront6targetE1EEEvSL_,"axG",@progbits,_ZN7rocprim17ROCPRIM_400000_NS6detail17trampoline_kernelINS0_14default_configENS1_38merge_sort_block_merge_config_selectorIsNS0_10empty_typeEEEZZNS1_27merge_sort_block_merge_implIS3_N6thrust23THRUST_200600_302600_NS6detail15normal_iteratorINS9_10device_ptrIsEEEEPS5_jNS1_19radix_merge_compareILb0ELb0EsNS0_19identity_decomposerEEEEE10hipError_tT0_T1_T2_jT3_P12ihipStream_tbPNSt15iterator_traitsISK_E10value_typeEPNSQ_ISL_E10value_typeEPSM_NS1_7vsmem_tEENKUlT_SK_SL_SM_E_clIPsSE_SF_SF_EESJ_SZ_SK_SL_SM_EUlSZ_E_NS1_11comp_targetILNS1_3genE10ELNS1_11target_archE1201ELNS1_3gpuE5ELNS1_3repE0EEENS1_48merge_mergepath_partition_config_static_selectorELNS0_4arch9wavefront6targetE1EEEvSL_,comdat
	.protected	_ZN7rocprim17ROCPRIM_400000_NS6detail17trampoline_kernelINS0_14default_configENS1_38merge_sort_block_merge_config_selectorIsNS0_10empty_typeEEEZZNS1_27merge_sort_block_merge_implIS3_N6thrust23THRUST_200600_302600_NS6detail15normal_iteratorINS9_10device_ptrIsEEEEPS5_jNS1_19radix_merge_compareILb0ELb0EsNS0_19identity_decomposerEEEEE10hipError_tT0_T1_T2_jT3_P12ihipStream_tbPNSt15iterator_traitsISK_E10value_typeEPNSQ_ISL_E10value_typeEPSM_NS1_7vsmem_tEENKUlT_SK_SL_SM_E_clIPsSE_SF_SF_EESJ_SZ_SK_SL_SM_EUlSZ_E_NS1_11comp_targetILNS1_3genE10ELNS1_11target_archE1201ELNS1_3gpuE5ELNS1_3repE0EEENS1_48merge_mergepath_partition_config_static_selectorELNS0_4arch9wavefront6targetE1EEEvSL_ ; -- Begin function _ZN7rocprim17ROCPRIM_400000_NS6detail17trampoline_kernelINS0_14default_configENS1_38merge_sort_block_merge_config_selectorIsNS0_10empty_typeEEEZZNS1_27merge_sort_block_merge_implIS3_N6thrust23THRUST_200600_302600_NS6detail15normal_iteratorINS9_10device_ptrIsEEEEPS5_jNS1_19radix_merge_compareILb0ELb0EsNS0_19identity_decomposerEEEEE10hipError_tT0_T1_T2_jT3_P12ihipStream_tbPNSt15iterator_traitsISK_E10value_typeEPNSQ_ISL_E10value_typeEPSM_NS1_7vsmem_tEENKUlT_SK_SL_SM_E_clIPsSE_SF_SF_EESJ_SZ_SK_SL_SM_EUlSZ_E_NS1_11comp_targetILNS1_3genE10ELNS1_11target_archE1201ELNS1_3gpuE5ELNS1_3repE0EEENS1_48merge_mergepath_partition_config_static_selectorELNS0_4arch9wavefront6targetE1EEEvSL_
	.globl	_ZN7rocprim17ROCPRIM_400000_NS6detail17trampoline_kernelINS0_14default_configENS1_38merge_sort_block_merge_config_selectorIsNS0_10empty_typeEEEZZNS1_27merge_sort_block_merge_implIS3_N6thrust23THRUST_200600_302600_NS6detail15normal_iteratorINS9_10device_ptrIsEEEEPS5_jNS1_19radix_merge_compareILb0ELb0EsNS0_19identity_decomposerEEEEE10hipError_tT0_T1_T2_jT3_P12ihipStream_tbPNSt15iterator_traitsISK_E10value_typeEPNSQ_ISL_E10value_typeEPSM_NS1_7vsmem_tEENKUlT_SK_SL_SM_E_clIPsSE_SF_SF_EESJ_SZ_SK_SL_SM_EUlSZ_E_NS1_11comp_targetILNS1_3genE10ELNS1_11target_archE1201ELNS1_3gpuE5ELNS1_3repE0EEENS1_48merge_mergepath_partition_config_static_selectorELNS0_4arch9wavefront6targetE1EEEvSL_
	.p2align	8
	.type	_ZN7rocprim17ROCPRIM_400000_NS6detail17trampoline_kernelINS0_14default_configENS1_38merge_sort_block_merge_config_selectorIsNS0_10empty_typeEEEZZNS1_27merge_sort_block_merge_implIS3_N6thrust23THRUST_200600_302600_NS6detail15normal_iteratorINS9_10device_ptrIsEEEEPS5_jNS1_19radix_merge_compareILb0ELb0EsNS0_19identity_decomposerEEEEE10hipError_tT0_T1_T2_jT3_P12ihipStream_tbPNSt15iterator_traitsISK_E10value_typeEPNSQ_ISL_E10value_typeEPSM_NS1_7vsmem_tEENKUlT_SK_SL_SM_E_clIPsSE_SF_SF_EESJ_SZ_SK_SL_SM_EUlSZ_E_NS1_11comp_targetILNS1_3genE10ELNS1_11target_archE1201ELNS1_3gpuE5ELNS1_3repE0EEENS1_48merge_mergepath_partition_config_static_selectorELNS0_4arch9wavefront6targetE1EEEvSL_,@function
_ZN7rocprim17ROCPRIM_400000_NS6detail17trampoline_kernelINS0_14default_configENS1_38merge_sort_block_merge_config_selectorIsNS0_10empty_typeEEEZZNS1_27merge_sort_block_merge_implIS3_N6thrust23THRUST_200600_302600_NS6detail15normal_iteratorINS9_10device_ptrIsEEEEPS5_jNS1_19radix_merge_compareILb0ELb0EsNS0_19identity_decomposerEEEEE10hipError_tT0_T1_T2_jT3_P12ihipStream_tbPNSt15iterator_traitsISK_E10value_typeEPNSQ_ISL_E10value_typeEPSM_NS1_7vsmem_tEENKUlT_SK_SL_SM_E_clIPsSE_SF_SF_EESJ_SZ_SK_SL_SM_EUlSZ_E_NS1_11comp_targetILNS1_3genE10ELNS1_11target_archE1201ELNS1_3gpuE5ELNS1_3repE0EEENS1_48merge_mergepath_partition_config_static_selectorELNS0_4arch9wavefront6targetE1EEEvSL_: ; @_ZN7rocprim17ROCPRIM_400000_NS6detail17trampoline_kernelINS0_14default_configENS1_38merge_sort_block_merge_config_selectorIsNS0_10empty_typeEEEZZNS1_27merge_sort_block_merge_implIS3_N6thrust23THRUST_200600_302600_NS6detail15normal_iteratorINS9_10device_ptrIsEEEEPS5_jNS1_19radix_merge_compareILb0ELb0EsNS0_19identity_decomposerEEEEE10hipError_tT0_T1_T2_jT3_P12ihipStream_tbPNSt15iterator_traitsISK_E10value_typeEPNSQ_ISL_E10value_typeEPSM_NS1_7vsmem_tEENKUlT_SK_SL_SM_E_clIPsSE_SF_SF_EESJ_SZ_SK_SL_SM_EUlSZ_E_NS1_11comp_targetILNS1_3genE10ELNS1_11target_archE1201ELNS1_3gpuE5ELNS1_3repE0EEENS1_48merge_mergepath_partition_config_static_selectorELNS0_4arch9wavefront6targetE1EEEvSL_
; %bb.0:
	.section	.rodata,"a",@progbits
	.p2align	6, 0x0
	.amdhsa_kernel _ZN7rocprim17ROCPRIM_400000_NS6detail17trampoline_kernelINS0_14default_configENS1_38merge_sort_block_merge_config_selectorIsNS0_10empty_typeEEEZZNS1_27merge_sort_block_merge_implIS3_N6thrust23THRUST_200600_302600_NS6detail15normal_iteratorINS9_10device_ptrIsEEEEPS5_jNS1_19radix_merge_compareILb0ELb0EsNS0_19identity_decomposerEEEEE10hipError_tT0_T1_T2_jT3_P12ihipStream_tbPNSt15iterator_traitsISK_E10value_typeEPNSQ_ISL_E10value_typeEPSM_NS1_7vsmem_tEENKUlT_SK_SL_SM_E_clIPsSE_SF_SF_EESJ_SZ_SK_SL_SM_EUlSZ_E_NS1_11comp_targetILNS1_3genE10ELNS1_11target_archE1201ELNS1_3gpuE5ELNS1_3repE0EEENS1_48merge_mergepath_partition_config_static_selectorELNS0_4arch9wavefront6targetE1EEEvSL_
		.amdhsa_group_segment_fixed_size 0
		.amdhsa_private_segment_fixed_size 0
		.amdhsa_kernarg_size 40
		.amdhsa_user_sgpr_count 6
		.amdhsa_user_sgpr_private_segment_buffer 1
		.amdhsa_user_sgpr_dispatch_ptr 0
		.amdhsa_user_sgpr_queue_ptr 0
		.amdhsa_user_sgpr_kernarg_segment_ptr 1
		.amdhsa_user_sgpr_dispatch_id 0
		.amdhsa_user_sgpr_flat_scratch_init 0
		.amdhsa_user_sgpr_kernarg_preload_length 0
		.amdhsa_user_sgpr_kernarg_preload_offset 0
		.amdhsa_user_sgpr_private_segment_size 0
		.amdhsa_uses_dynamic_stack 0
		.amdhsa_system_sgpr_private_segment_wavefront_offset 0
		.amdhsa_system_sgpr_workgroup_id_x 1
		.amdhsa_system_sgpr_workgroup_id_y 0
		.amdhsa_system_sgpr_workgroup_id_z 0
		.amdhsa_system_sgpr_workgroup_info 0
		.amdhsa_system_vgpr_workitem_id 0
		.amdhsa_next_free_vgpr 1
		.amdhsa_next_free_sgpr 0
		.amdhsa_accum_offset 4
		.amdhsa_reserve_vcc 0
		.amdhsa_reserve_flat_scratch 0
		.amdhsa_float_round_mode_32 0
		.amdhsa_float_round_mode_16_64 0
		.amdhsa_float_denorm_mode_32 3
		.amdhsa_float_denorm_mode_16_64 3
		.amdhsa_dx10_clamp 1
		.amdhsa_ieee_mode 1
		.amdhsa_fp16_overflow 0
		.amdhsa_tg_split 0
		.amdhsa_exception_fp_ieee_invalid_op 0
		.amdhsa_exception_fp_denorm_src 0
		.amdhsa_exception_fp_ieee_div_zero 0
		.amdhsa_exception_fp_ieee_overflow 0
		.amdhsa_exception_fp_ieee_underflow 0
		.amdhsa_exception_fp_ieee_inexact 0
		.amdhsa_exception_int_div_zero 0
	.end_amdhsa_kernel
	.section	.text._ZN7rocprim17ROCPRIM_400000_NS6detail17trampoline_kernelINS0_14default_configENS1_38merge_sort_block_merge_config_selectorIsNS0_10empty_typeEEEZZNS1_27merge_sort_block_merge_implIS3_N6thrust23THRUST_200600_302600_NS6detail15normal_iteratorINS9_10device_ptrIsEEEEPS5_jNS1_19radix_merge_compareILb0ELb0EsNS0_19identity_decomposerEEEEE10hipError_tT0_T1_T2_jT3_P12ihipStream_tbPNSt15iterator_traitsISK_E10value_typeEPNSQ_ISL_E10value_typeEPSM_NS1_7vsmem_tEENKUlT_SK_SL_SM_E_clIPsSE_SF_SF_EESJ_SZ_SK_SL_SM_EUlSZ_E_NS1_11comp_targetILNS1_3genE10ELNS1_11target_archE1201ELNS1_3gpuE5ELNS1_3repE0EEENS1_48merge_mergepath_partition_config_static_selectorELNS0_4arch9wavefront6targetE1EEEvSL_,"axG",@progbits,_ZN7rocprim17ROCPRIM_400000_NS6detail17trampoline_kernelINS0_14default_configENS1_38merge_sort_block_merge_config_selectorIsNS0_10empty_typeEEEZZNS1_27merge_sort_block_merge_implIS3_N6thrust23THRUST_200600_302600_NS6detail15normal_iteratorINS9_10device_ptrIsEEEEPS5_jNS1_19radix_merge_compareILb0ELb0EsNS0_19identity_decomposerEEEEE10hipError_tT0_T1_T2_jT3_P12ihipStream_tbPNSt15iterator_traitsISK_E10value_typeEPNSQ_ISL_E10value_typeEPSM_NS1_7vsmem_tEENKUlT_SK_SL_SM_E_clIPsSE_SF_SF_EESJ_SZ_SK_SL_SM_EUlSZ_E_NS1_11comp_targetILNS1_3genE10ELNS1_11target_archE1201ELNS1_3gpuE5ELNS1_3repE0EEENS1_48merge_mergepath_partition_config_static_selectorELNS0_4arch9wavefront6targetE1EEEvSL_,comdat
.Lfunc_end1819:
	.size	_ZN7rocprim17ROCPRIM_400000_NS6detail17trampoline_kernelINS0_14default_configENS1_38merge_sort_block_merge_config_selectorIsNS0_10empty_typeEEEZZNS1_27merge_sort_block_merge_implIS3_N6thrust23THRUST_200600_302600_NS6detail15normal_iteratorINS9_10device_ptrIsEEEEPS5_jNS1_19radix_merge_compareILb0ELb0EsNS0_19identity_decomposerEEEEE10hipError_tT0_T1_T2_jT3_P12ihipStream_tbPNSt15iterator_traitsISK_E10value_typeEPNSQ_ISL_E10value_typeEPSM_NS1_7vsmem_tEENKUlT_SK_SL_SM_E_clIPsSE_SF_SF_EESJ_SZ_SK_SL_SM_EUlSZ_E_NS1_11comp_targetILNS1_3genE10ELNS1_11target_archE1201ELNS1_3gpuE5ELNS1_3repE0EEENS1_48merge_mergepath_partition_config_static_selectorELNS0_4arch9wavefront6targetE1EEEvSL_, .Lfunc_end1819-_ZN7rocprim17ROCPRIM_400000_NS6detail17trampoline_kernelINS0_14default_configENS1_38merge_sort_block_merge_config_selectorIsNS0_10empty_typeEEEZZNS1_27merge_sort_block_merge_implIS3_N6thrust23THRUST_200600_302600_NS6detail15normal_iteratorINS9_10device_ptrIsEEEEPS5_jNS1_19radix_merge_compareILb0ELb0EsNS0_19identity_decomposerEEEEE10hipError_tT0_T1_T2_jT3_P12ihipStream_tbPNSt15iterator_traitsISK_E10value_typeEPNSQ_ISL_E10value_typeEPSM_NS1_7vsmem_tEENKUlT_SK_SL_SM_E_clIPsSE_SF_SF_EESJ_SZ_SK_SL_SM_EUlSZ_E_NS1_11comp_targetILNS1_3genE10ELNS1_11target_archE1201ELNS1_3gpuE5ELNS1_3repE0EEENS1_48merge_mergepath_partition_config_static_selectorELNS0_4arch9wavefront6targetE1EEEvSL_
                                        ; -- End function
	.section	.AMDGPU.csdata,"",@progbits
; Kernel info:
; codeLenInByte = 0
; NumSgprs: 4
; NumVgprs: 0
; NumAgprs: 0
; TotalNumVgprs: 0
; ScratchSize: 0
; MemoryBound: 0
; FloatMode: 240
; IeeeMode: 1
; LDSByteSize: 0 bytes/workgroup (compile time only)
; SGPRBlocks: 0
; VGPRBlocks: 0
; NumSGPRsForWavesPerEU: 4
; NumVGPRsForWavesPerEU: 1
; AccumOffset: 4
; Occupancy: 8
; WaveLimiterHint : 0
; COMPUTE_PGM_RSRC2:SCRATCH_EN: 0
; COMPUTE_PGM_RSRC2:USER_SGPR: 6
; COMPUTE_PGM_RSRC2:TRAP_HANDLER: 0
; COMPUTE_PGM_RSRC2:TGID_X_EN: 1
; COMPUTE_PGM_RSRC2:TGID_Y_EN: 0
; COMPUTE_PGM_RSRC2:TGID_Z_EN: 0
; COMPUTE_PGM_RSRC2:TIDIG_COMP_CNT: 0
; COMPUTE_PGM_RSRC3_GFX90A:ACCUM_OFFSET: 0
; COMPUTE_PGM_RSRC3_GFX90A:TG_SPLIT: 0
	.section	.text._ZN7rocprim17ROCPRIM_400000_NS6detail17trampoline_kernelINS0_14default_configENS1_38merge_sort_block_merge_config_selectorIsNS0_10empty_typeEEEZZNS1_27merge_sort_block_merge_implIS3_N6thrust23THRUST_200600_302600_NS6detail15normal_iteratorINS9_10device_ptrIsEEEEPS5_jNS1_19radix_merge_compareILb0ELb0EsNS0_19identity_decomposerEEEEE10hipError_tT0_T1_T2_jT3_P12ihipStream_tbPNSt15iterator_traitsISK_E10value_typeEPNSQ_ISL_E10value_typeEPSM_NS1_7vsmem_tEENKUlT_SK_SL_SM_E_clIPsSE_SF_SF_EESJ_SZ_SK_SL_SM_EUlSZ_E_NS1_11comp_targetILNS1_3genE5ELNS1_11target_archE942ELNS1_3gpuE9ELNS1_3repE0EEENS1_48merge_mergepath_partition_config_static_selectorELNS0_4arch9wavefront6targetE1EEEvSL_,"axG",@progbits,_ZN7rocprim17ROCPRIM_400000_NS6detail17trampoline_kernelINS0_14default_configENS1_38merge_sort_block_merge_config_selectorIsNS0_10empty_typeEEEZZNS1_27merge_sort_block_merge_implIS3_N6thrust23THRUST_200600_302600_NS6detail15normal_iteratorINS9_10device_ptrIsEEEEPS5_jNS1_19radix_merge_compareILb0ELb0EsNS0_19identity_decomposerEEEEE10hipError_tT0_T1_T2_jT3_P12ihipStream_tbPNSt15iterator_traitsISK_E10value_typeEPNSQ_ISL_E10value_typeEPSM_NS1_7vsmem_tEENKUlT_SK_SL_SM_E_clIPsSE_SF_SF_EESJ_SZ_SK_SL_SM_EUlSZ_E_NS1_11comp_targetILNS1_3genE5ELNS1_11target_archE942ELNS1_3gpuE9ELNS1_3repE0EEENS1_48merge_mergepath_partition_config_static_selectorELNS0_4arch9wavefront6targetE1EEEvSL_,comdat
	.protected	_ZN7rocprim17ROCPRIM_400000_NS6detail17trampoline_kernelINS0_14default_configENS1_38merge_sort_block_merge_config_selectorIsNS0_10empty_typeEEEZZNS1_27merge_sort_block_merge_implIS3_N6thrust23THRUST_200600_302600_NS6detail15normal_iteratorINS9_10device_ptrIsEEEEPS5_jNS1_19radix_merge_compareILb0ELb0EsNS0_19identity_decomposerEEEEE10hipError_tT0_T1_T2_jT3_P12ihipStream_tbPNSt15iterator_traitsISK_E10value_typeEPNSQ_ISL_E10value_typeEPSM_NS1_7vsmem_tEENKUlT_SK_SL_SM_E_clIPsSE_SF_SF_EESJ_SZ_SK_SL_SM_EUlSZ_E_NS1_11comp_targetILNS1_3genE5ELNS1_11target_archE942ELNS1_3gpuE9ELNS1_3repE0EEENS1_48merge_mergepath_partition_config_static_selectorELNS0_4arch9wavefront6targetE1EEEvSL_ ; -- Begin function _ZN7rocprim17ROCPRIM_400000_NS6detail17trampoline_kernelINS0_14default_configENS1_38merge_sort_block_merge_config_selectorIsNS0_10empty_typeEEEZZNS1_27merge_sort_block_merge_implIS3_N6thrust23THRUST_200600_302600_NS6detail15normal_iteratorINS9_10device_ptrIsEEEEPS5_jNS1_19radix_merge_compareILb0ELb0EsNS0_19identity_decomposerEEEEE10hipError_tT0_T1_T2_jT3_P12ihipStream_tbPNSt15iterator_traitsISK_E10value_typeEPNSQ_ISL_E10value_typeEPSM_NS1_7vsmem_tEENKUlT_SK_SL_SM_E_clIPsSE_SF_SF_EESJ_SZ_SK_SL_SM_EUlSZ_E_NS1_11comp_targetILNS1_3genE5ELNS1_11target_archE942ELNS1_3gpuE9ELNS1_3repE0EEENS1_48merge_mergepath_partition_config_static_selectorELNS0_4arch9wavefront6targetE1EEEvSL_
	.globl	_ZN7rocprim17ROCPRIM_400000_NS6detail17trampoline_kernelINS0_14default_configENS1_38merge_sort_block_merge_config_selectorIsNS0_10empty_typeEEEZZNS1_27merge_sort_block_merge_implIS3_N6thrust23THRUST_200600_302600_NS6detail15normal_iteratorINS9_10device_ptrIsEEEEPS5_jNS1_19radix_merge_compareILb0ELb0EsNS0_19identity_decomposerEEEEE10hipError_tT0_T1_T2_jT3_P12ihipStream_tbPNSt15iterator_traitsISK_E10value_typeEPNSQ_ISL_E10value_typeEPSM_NS1_7vsmem_tEENKUlT_SK_SL_SM_E_clIPsSE_SF_SF_EESJ_SZ_SK_SL_SM_EUlSZ_E_NS1_11comp_targetILNS1_3genE5ELNS1_11target_archE942ELNS1_3gpuE9ELNS1_3repE0EEENS1_48merge_mergepath_partition_config_static_selectorELNS0_4arch9wavefront6targetE1EEEvSL_
	.p2align	8
	.type	_ZN7rocprim17ROCPRIM_400000_NS6detail17trampoline_kernelINS0_14default_configENS1_38merge_sort_block_merge_config_selectorIsNS0_10empty_typeEEEZZNS1_27merge_sort_block_merge_implIS3_N6thrust23THRUST_200600_302600_NS6detail15normal_iteratorINS9_10device_ptrIsEEEEPS5_jNS1_19radix_merge_compareILb0ELb0EsNS0_19identity_decomposerEEEEE10hipError_tT0_T1_T2_jT3_P12ihipStream_tbPNSt15iterator_traitsISK_E10value_typeEPNSQ_ISL_E10value_typeEPSM_NS1_7vsmem_tEENKUlT_SK_SL_SM_E_clIPsSE_SF_SF_EESJ_SZ_SK_SL_SM_EUlSZ_E_NS1_11comp_targetILNS1_3genE5ELNS1_11target_archE942ELNS1_3gpuE9ELNS1_3repE0EEENS1_48merge_mergepath_partition_config_static_selectorELNS0_4arch9wavefront6targetE1EEEvSL_,@function
_ZN7rocprim17ROCPRIM_400000_NS6detail17trampoline_kernelINS0_14default_configENS1_38merge_sort_block_merge_config_selectorIsNS0_10empty_typeEEEZZNS1_27merge_sort_block_merge_implIS3_N6thrust23THRUST_200600_302600_NS6detail15normal_iteratorINS9_10device_ptrIsEEEEPS5_jNS1_19radix_merge_compareILb0ELb0EsNS0_19identity_decomposerEEEEE10hipError_tT0_T1_T2_jT3_P12ihipStream_tbPNSt15iterator_traitsISK_E10value_typeEPNSQ_ISL_E10value_typeEPSM_NS1_7vsmem_tEENKUlT_SK_SL_SM_E_clIPsSE_SF_SF_EESJ_SZ_SK_SL_SM_EUlSZ_E_NS1_11comp_targetILNS1_3genE5ELNS1_11target_archE942ELNS1_3gpuE9ELNS1_3repE0EEENS1_48merge_mergepath_partition_config_static_selectorELNS0_4arch9wavefront6targetE1EEEvSL_: ; @_ZN7rocprim17ROCPRIM_400000_NS6detail17trampoline_kernelINS0_14default_configENS1_38merge_sort_block_merge_config_selectorIsNS0_10empty_typeEEEZZNS1_27merge_sort_block_merge_implIS3_N6thrust23THRUST_200600_302600_NS6detail15normal_iteratorINS9_10device_ptrIsEEEEPS5_jNS1_19radix_merge_compareILb0ELb0EsNS0_19identity_decomposerEEEEE10hipError_tT0_T1_T2_jT3_P12ihipStream_tbPNSt15iterator_traitsISK_E10value_typeEPNSQ_ISL_E10value_typeEPSM_NS1_7vsmem_tEENKUlT_SK_SL_SM_E_clIPsSE_SF_SF_EESJ_SZ_SK_SL_SM_EUlSZ_E_NS1_11comp_targetILNS1_3genE5ELNS1_11target_archE942ELNS1_3gpuE9ELNS1_3repE0EEENS1_48merge_mergepath_partition_config_static_selectorELNS0_4arch9wavefront6targetE1EEEvSL_
; %bb.0:
	.section	.rodata,"a",@progbits
	.p2align	6, 0x0
	.amdhsa_kernel _ZN7rocprim17ROCPRIM_400000_NS6detail17trampoline_kernelINS0_14default_configENS1_38merge_sort_block_merge_config_selectorIsNS0_10empty_typeEEEZZNS1_27merge_sort_block_merge_implIS3_N6thrust23THRUST_200600_302600_NS6detail15normal_iteratorINS9_10device_ptrIsEEEEPS5_jNS1_19radix_merge_compareILb0ELb0EsNS0_19identity_decomposerEEEEE10hipError_tT0_T1_T2_jT3_P12ihipStream_tbPNSt15iterator_traitsISK_E10value_typeEPNSQ_ISL_E10value_typeEPSM_NS1_7vsmem_tEENKUlT_SK_SL_SM_E_clIPsSE_SF_SF_EESJ_SZ_SK_SL_SM_EUlSZ_E_NS1_11comp_targetILNS1_3genE5ELNS1_11target_archE942ELNS1_3gpuE9ELNS1_3repE0EEENS1_48merge_mergepath_partition_config_static_selectorELNS0_4arch9wavefront6targetE1EEEvSL_
		.amdhsa_group_segment_fixed_size 0
		.amdhsa_private_segment_fixed_size 0
		.amdhsa_kernarg_size 40
		.amdhsa_user_sgpr_count 6
		.amdhsa_user_sgpr_private_segment_buffer 1
		.amdhsa_user_sgpr_dispatch_ptr 0
		.amdhsa_user_sgpr_queue_ptr 0
		.amdhsa_user_sgpr_kernarg_segment_ptr 1
		.amdhsa_user_sgpr_dispatch_id 0
		.amdhsa_user_sgpr_flat_scratch_init 0
		.amdhsa_user_sgpr_kernarg_preload_length 0
		.amdhsa_user_sgpr_kernarg_preload_offset 0
		.amdhsa_user_sgpr_private_segment_size 0
		.amdhsa_uses_dynamic_stack 0
		.amdhsa_system_sgpr_private_segment_wavefront_offset 0
		.amdhsa_system_sgpr_workgroup_id_x 1
		.amdhsa_system_sgpr_workgroup_id_y 0
		.amdhsa_system_sgpr_workgroup_id_z 0
		.amdhsa_system_sgpr_workgroup_info 0
		.amdhsa_system_vgpr_workitem_id 0
		.amdhsa_next_free_vgpr 1
		.amdhsa_next_free_sgpr 0
		.amdhsa_accum_offset 4
		.amdhsa_reserve_vcc 0
		.amdhsa_reserve_flat_scratch 0
		.amdhsa_float_round_mode_32 0
		.amdhsa_float_round_mode_16_64 0
		.amdhsa_float_denorm_mode_32 3
		.amdhsa_float_denorm_mode_16_64 3
		.amdhsa_dx10_clamp 1
		.amdhsa_ieee_mode 1
		.amdhsa_fp16_overflow 0
		.amdhsa_tg_split 0
		.amdhsa_exception_fp_ieee_invalid_op 0
		.amdhsa_exception_fp_denorm_src 0
		.amdhsa_exception_fp_ieee_div_zero 0
		.amdhsa_exception_fp_ieee_overflow 0
		.amdhsa_exception_fp_ieee_underflow 0
		.amdhsa_exception_fp_ieee_inexact 0
		.amdhsa_exception_int_div_zero 0
	.end_amdhsa_kernel
	.section	.text._ZN7rocprim17ROCPRIM_400000_NS6detail17trampoline_kernelINS0_14default_configENS1_38merge_sort_block_merge_config_selectorIsNS0_10empty_typeEEEZZNS1_27merge_sort_block_merge_implIS3_N6thrust23THRUST_200600_302600_NS6detail15normal_iteratorINS9_10device_ptrIsEEEEPS5_jNS1_19radix_merge_compareILb0ELb0EsNS0_19identity_decomposerEEEEE10hipError_tT0_T1_T2_jT3_P12ihipStream_tbPNSt15iterator_traitsISK_E10value_typeEPNSQ_ISL_E10value_typeEPSM_NS1_7vsmem_tEENKUlT_SK_SL_SM_E_clIPsSE_SF_SF_EESJ_SZ_SK_SL_SM_EUlSZ_E_NS1_11comp_targetILNS1_3genE5ELNS1_11target_archE942ELNS1_3gpuE9ELNS1_3repE0EEENS1_48merge_mergepath_partition_config_static_selectorELNS0_4arch9wavefront6targetE1EEEvSL_,"axG",@progbits,_ZN7rocprim17ROCPRIM_400000_NS6detail17trampoline_kernelINS0_14default_configENS1_38merge_sort_block_merge_config_selectorIsNS0_10empty_typeEEEZZNS1_27merge_sort_block_merge_implIS3_N6thrust23THRUST_200600_302600_NS6detail15normal_iteratorINS9_10device_ptrIsEEEEPS5_jNS1_19radix_merge_compareILb0ELb0EsNS0_19identity_decomposerEEEEE10hipError_tT0_T1_T2_jT3_P12ihipStream_tbPNSt15iterator_traitsISK_E10value_typeEPNSQ_ISL_E10value_typeEPSM_NS1_7vsmem_tEENKUlT_SK_SL_SM_E_clIPsSE_SF_SF_EESJ_SZ_SK_SL_SM_EUlSZ_E_NS1_11comp_targetILNS1_3genE5ELNS1_11target_archE942ELNS1_3gpuE9ELNS1_3repE0EEENS1_48merge_mergepath_partition_config_static_selectorELNS0_4arch9wavefront6targetE1EEEvSL_,comdat
.Lfunc_end1820:
	.size	_ZN7rocprim17ROCPRIM_400000_NS6detail17trampoline_kernelINS0_14default_configENS1_38merge_sort_block_merge_config_selectorIsNS0_10empty_typeEEEZZNS1_27merge_sort_block_merge_implIS3_N6thrust23THRUST_200600_302600_NS6detail15normal_iteratorINS9_10device_ptrIsEEEEPS5_jNS1_19radix_merge_compareILb0ELb0EsNS0_19identity_decomposerEEEEE10hipError_tT0_T1_T2_jT3_P12ihipStream_tbPNSt15iterator_traitsISK_E10value_typeEPNSQ_ISL_E10value_typeEPSM_NS1_7vsmem_tEENKUlT_SK_SL_SM_E_clIPsSE_SF_SF_EESJ_SZ_SK_SL_SM_EUlSZ_E_NS1_11comp_targetILNS1_3genE5ELNS1_11target_archE942ELNS1_3gpuE9ELNS1_3repE0EEENS1_48merge_mergepath_partition_config_static_selectorELNS0_4arch9wavefront6targetE1EEEvSL_, .Lfunc_end1820-_ZN7rocprim17ROCPRIM_400000_NS6detail17trampoline_kernelINS0_14default_configENS1_38merge_sort_block_merge_config_selectorIsNS0_10empty_typeEEEZZNS1_27merge_sort_block_merge_implIS3_N6thrust23THRUST_200600_302600_NS6detail15normal_iteratorINS9_10device_ptrIsEEEEPS5_jNS1_19radix_merge_compareILb0ELb0EsNS0_19identity_decomposerEEEEE10hipError_tT0_T1_T2_jT3_P12ihipStream_tbPNSt15iterator_traitsISK_E10value_typeEPNSQ_ISL_E10value_typeEPSM_NS1_7vsmem_tEENKUlT_SK_SL_SM_E_clIPsSE_SF_SF_EESJ_SZ_SK_SL_SM_EUlSZ_E_NS1_11comp_targetILNS1_3genE5ELNS1_11target_archE942ELNS1_3gpuE9ELNS1_3repE0EEENS1_48merge_mergepath_partition_config_static_selectorELNS0_4arch9wavefront6targetE1EEEvSL_
                                        ; -- End function
	.section	.AMDGPU.csdata,"",@progbits
; Kernel info:
; codeLenInByte = 0
; NumSgprs: 4
; NumVgprs: 0
; NumAgprs: 0
; TotalNumVgprs: 0
; ScratchSize: 0
; MemoryBound: 0
; FloatMode: 240
; IeeeMode: 1
; LDSByteSize: 0 bytes/workgroup (compile time only)
; SGPRBlocks: 0
; VGPRBlocks: 0
; NumSGPRsForWavesPerEU: 4
; NumVGPRsForWavesPerEU: 1
; AccumOffset: 4
; Occupancy: 8
; WaveLimiterHint : 0
; COMPUTE_PGM_RSRC2:SCRATCH_EN: 0
; COMPUTE_PGM_RSRC2:USER_SGPR: 6
; COMPUTE_PGM_RSRC2:TRAP_HANDLER: 0
; COMPUTE_PGM_RSRC2:TGID_X_EN: 1
; COMPUTE_PGM_RSRC2:TGID_Y_EN: 0
; COMPUTE_PGM_RSRC2:TGID_Z_EN: 0
; COMPUTE_PGM_RSRC2:TIDIG_COMP_CNT: 0
; COMPUTE_PGM_RSRC3_GFX90A:ACCUM_OFFSET: 0
; COMPUTE_PGM_RSRC3_GFX90A:TG_SPLIT: 0
	.section	.text._ZN7rocprim17ROCPRIM_400000_NS6detail17trampoline_kernelINS0_14default_configENS1_38merge_sort_block_merge_config_selectorIsNS0_10empty_typeEEEZZNS1_27merge_sort_block_merge_implIS3_N6thrust23THRUST_200600_302600_NS6detail15normal_iteratorINS9_10device_ptrIsEEEEPS5_jNS1_19radix_merge_compareILb0ELb0EsNS0_19identity_decomposerEEEEE10hipError_tT0_T1_T2_jT3_P12ihipStream_tbPNSt15iterator_traitsISK_E10value_typeEPNSQ_ISL_E10value_typeEPSM_NS1_7vsmem_tEENKUlT_SK_SL_SM_E_clIPsSE_SF_SF_EESJ_SZ_SK_SL_SM_EUlSZ_E_NS1_11comp_targetILNS1_3genE4ELNS1_11target_archE910ELNS1_3gpuE8ELNS1_3repE0EEENS1_48merge_mergepath_partition_config_static_selectorELNS0_4arch9wavefront6targetE1EEEvSL_,"axG",@progbits,_ZN7rocprim17ROCPRIM_400000_NS6detail17trampoline_kernelINS0_14default_configENS1_38merge_sort_block_merge_config_selectorIsNS0_10empty_typeEEEZZNS1_27merge_sort_block_merge_implIS3_N6thrust23THRUST_200600_302600_NS6detail15normal_iteratorINS9_10device_ptrIsEEEEPS5_jNS1_19radix_merge_compareILb0ELb0EsNS0_19identity_decomposerEEEEE10hipError_tT0_T1_T2_jT3_P12ihipStream_tbPNSt15iterator_traitsISK_E10value_typeEPNSQ_ISL_E10value_typeEPSM_NS1_7vsmem_tEENKUlT_SK_SL_SM_E_clIPsSE_SF_SF_EESJ_SZ_SK_SL_SM_EUlSZ_E_NS1_11comp_targetILNS1_3genE4ELNS1_11target_archE910ELNS1_3gpuE8ELNS1_3repE0EEENS1_48merge_mergepath_partition_config_static_selectorELNS0_4arch9wavefront6targetE1EEEvSL_,comdat
	.protected	_ZN7rocprim17ROCPRIM_400000_NS6detail17trampoline_kernelINS0_14default_configENS1_38merge_sort_block_merge_config_selectorIsNS0_10empty_typeEEEZZNS1_27merge_sort_block_merge_implIS3_N6thrust23THRUST_200600_302600_NS6detail15normal_iteratorINS9_10device_ptrIsEEEEPS5_jNS1_19radix_merge_compareILb0ELb0EsNS0_19identity_decomposerEEEEE10hipError_tT0_T1_T2_jT3_P12ihipStream_tbPNSt15iterator_traitsISK_E10value_typeEPNSQ_ISL_E10value_typeEPSM_NS1_7vsmem_tEENKUlT_SK_SL_SM_E_clIPsSE_SF_SF_EESJ_SZ_SK_SL_SM_EUlSZ_E_NS1_11comp_targetILNS1_3genE4ELNS1_11target_archE910ELNS1_3gpuE8ELNS1_3repE0EEENS1_48merge_mergepath_partition_config_static_selectorELNS0_4arch9wavefront6targetE1EEEvSL_ ; -- Begin function _ZN7rocprim17ROCPRIM_400000_NS6detail17trampoline_kernelINS0_14default_configENS1_38merge_sort_block_merge_config_selectorIsNS0_10empty_typeEEEZZNS1_27merge_sort_block_merge_implIS3_N6thrust23THRUST_200600_302600_NS6detail15normal_iteratorINS9_10device_ptrIsEEEEPS5_jNS1_19radix_merge_compareILb0ELb0EsNS0_19identity_decomposerEEEEE10hipError_tT0_T1_T2_jT3_P12ihipStream_tbPNSt15iterator_traitsISK_E10value_typeEPNSQ_ISL_E10value_typeEPSM_NS1_7vsmem_tEENKUlT_SK_SL_SM_E_clIPsSE_SF_SF_EESJ_SZ_SK_SL_SM_EUlSZ_E_NS1_11comp_targetILNS1_3genE4ELNS1_11target_archE910ELNS1_3gpuE8ELNS1_3repE0EEENS1_48merge_mergepath_partition_config_static_selectorELNS0_4arch9wavefront6targetE1EEEvSL_
	.globl	_ZN7rocprim17ROCPRIM_400000_NS6detail17trampoline_kernelINS0_14default_configENS1_38merge_sort_block_merge_config_selectorIsNS0_10empty_typeEEEZZNS1_27merge_sort_block_merge_implIS3_N6thrust23THRUST_200600_302600_NS6detail15normal_iteratorINS9_10device_ptrIsEEEEPS5_jNS1_19radix_merge_compareILb0ELb0EsNS0_19identity_decomposerEEEEE10hipError_tT0_T1_T2_jT3_P12ihipStream_tbPNSt15iterator_traitsISK_E10value_typeEPNSQ_ISL_E10value_typeEPSM_NS1_7vsmem_tEENKUlT_SK_SL_SM_E_clIPsSE_SF_SF_EESJ_SZ_SK_SL_SM_EUlSZ_E_NS1_11comp_targetILNS1_3genE4ELNS1_11target_archE910ELNS1_3gpuE8ELNS1_3repE0EEENS1_48merge_mergepath_partition_config_static_selectorELNS0_4arch9wavefront6targetE1EEEvSL_
	.p2align	8
	.type	_ZN7rocprim17ROCPRIM_400000_NS6detail17trampoline_kernelINS0_14default_configENS1_38merge_sort_block_merge_config_selectorIsNS0_10empty_typeEEEZZNS1_27merge_sort_block_merge_implIS3_N6thrust23THRUST_200600_302600_NS6detail15normal_iteratorINS9_10device_ptrIsEEEEPS5_jNS1_19radix_merge_compareILb0ELb0EsNS0_19identity_decomposerEEEEE10hipError_tT0_T1_T2_jT3_P12ihipStream_tbPNSt15iterator_traitsISK_E10value_typeEPNSQ_ISL_E10value_typeEPSM_NS1_7vsmem_tEENKUlT_SK_SL_SM_E_clIPsSE_SF_SF_EESJ_SZ_SK_SL_SM_EUlSZ_E_NS1_11comp_targetILNS1_3genE4ELNS1_11target_archE910ELNS1_3gpuE8ELNS1_3repE0EEENS1_48merge_mergepath_partition_config_static_selectorELNS0_4arch9wavefront6targetE1EEEvSL_,@function
_ZN7rocprim17ROCPRIM_400000_NS6detail17trampoline_kernelINS0_14default_configENS1_38merge_sort_block_merge_config_selectorIsNS0_10empty_typeEEEZZNS1_27merge_sort_block_merge_implIS3_N6thrust23THRUST_200600_302600_NS6detail15normal_iteratorINS9_10device_ptrIsEEEEPS5_jNS1_19radix_merge_compareILb0ELb0EsNS0_19identity_decomposerEEEEE10hipError_tT0_T1_T2_jT3_P12ihipStream_tbPNSt15iterator_traitsISK_E10value_typeEPNSQ_ISL_E10value_typeEPSM_NS1_7vsmem_tEENKUlT_SK_SL_SM_E_clIPsSE_SF_SF_EESJ_SZ_SK_SL_SM_EUlSZ_E_NS1_11comp_targetILNS1_3genE4ELNS1_11target_archE910ELNS1_3gpuE8ELNS1_3repE0EEENS1_48merge_mergepath_partition_config_static_selectorELNS0_4arch9wavefront6targetE1EEEvSL_: ; @_ZN7rocprim17ROCPRIM_400000_NS6detail17trampoline_kernelINS0_14default_configENS1_38merge_sort_block_merge_config_selectorIsNS0_10empty_typeEEEZZNS1_27merge_sort_block_merge_implIS3_N6thrust23THRUST_200600_302600_NS6detail15normal_iteratorINS9_10device_ptrIsEEEEPS5_jNS1_19radix_merge_compareILb0ELb0EsNS0_19identity_decomposerEEEEE10hipError_tT0_T1_T2_jT3_P12ihipStream_tbPNSt15iterator_traitsISK_E10value_typeEPNSQ_ISL_E10value_typeEPSM_NS1_7vsmem_tEENKUlT_SK_SL_SM_E_clIPsSE_SF_SF_EESJ_SZ_SK_SL_SM_EUlSZ_E_NS1_11comp_targetILNS1_3genE4ELNS1_11target_archE910ELNS1_3gpuE8ELNS1_3repE0EEENS1_48merge_mergepath_partition_config_static_selectorELNS0_4arch9wavefront6targetE1EEEvSL_
; %bb.0:
	s_load_dword s0, s[4:5], 0x0
	v_lshl_or_b32 v0, s6, 7, v0
	s_waitcnt lgkmcnt(0)
	v_cmp_gt_u32_e32 vcc, s0, v0
	s_and_saveexec_b64 s[0:1], vcc
	s_cbranch_execz .LBB1821_6
; %bb.1:
	s_load_dwordx2 s[2:3], s[4:5], 0x4
	s_load_dwordx2 s[0:1], s[4:5], 0x20
	s_waitcnt lgkmcnt(0)
	s_lshr_b32 s6, s2, 9
	s_and_b32 s6, s6, 0x7ffffe
	s_add_i32 s7, s6, -1
	s_sub_i32 s6, 0, s6
	v_and_b32_e32 v1, s6, v0
	v_lshlrev_b32_e32 v1, 10, v1
	v_min_u32_e32 v2, s3, v1
	v_add_u32_e32 v1, s2, v1
	v_min_u32_e32 v4, s3, v1
	v_add_u32_e32 v1, s2, v4
	v_and_b32_e32 v3, s7, v0
	v_min_u32_e32 v1, s3, v1
	v_sub_u32_e32 v5, v1, v2
	v_lshlrev_b32_e32 v3, 10, v3
	v_min_u32_e32 v6, v5, v3
	v_sub_u32_e32 v3, v4, v2
	v_sub_u32_e32 v1, v1, v4
	v_sub_u32_e64 v1, v6, v1 clamp
	v_min_u32_e32 v7, v6, v3
	v_cmp_lt_u32_e32 vcc, v1, v7
	s_and_saveexec_b64 s[2:3], vcc
	s_cbranch_execz .LBB1821_5
; %bb.2:
	s_load_dwordx2 s[4:5], s[4:5], 0x10
	v_mov_b32_e32 v5, 0
	v_mov_b32_e32 v3, v5
	v_lshlrev_b64 v[8:9], 1, v[2:3]
	v_lshlrev_b64 v[10:11], 1, v[4:5]
	s_waitcnt lgkmcnt(0)
	v_mov_b32_e32 v12, s5
	v_add_co_u32_e32 v3, vcc, s4, v8
	v_addc_co_u32_e32 v8, vcc, v12, v9, vcc
	v_add_co_u32_e32 v9, vcc, s4, v10
	v_addc_co_u32_e32 v10, vcc, v12, v11, vcc
	s_mov_b64 s[4:5], 0
.LBB1821_3:                             ; =>This Inner Loop Header: Depth=1
	v_add_u32_e32 v4, v7, v1
	v_and_b32_e32 v12, -2, v4
	v_lshrrev_b32_e32 v11, 1, v4
	v_add_co_u32_e32 v12, vcc, v3, v12
	v_xad_u32 v4, v11, -1, v6
	v_addc_co_u32_e32 v13, vcc, 0, v8, vcc
	global_load_ushort v14, v[12:13], off
	v_lshlrev_b64 v[12:13], 1, v[4:5]
	v_add_co_u32_e32 v12, vcc, v9, v12
	v_addc_co_u32_e32 v13, vcc, v10, v13, vcc
	global_load_ushort v4, v[12:13], off
	v_add_u32_e32 v12, 1, v11
	s_waitcnt vmcnt(0)
	v_cmp_gt_i16_e32 vcc, v14, v4
	v_cndmask_b32_e32 v7, v7, v11, vcc
	v_cndmask_b32_e32 v1, v12, v1, vcc
	v_cmp_ge_u32_e32 vcc, v1, v7
	s_or_b64 s[4:5], vcc, s[4:5]
	s_andn2_b64 exec, exec, s[4:5]
	s_cbranch_execnz .LBB1821_3
; %bb.4:
	s_or_b64 exec, exec, s[4:5]
.LBB1821_5:
	s_or_b64 exec, exec, s[2:3]
	v_add_u32_e32 v2, v1, v2
	v_mov_b32_e32 v1, 0
	v_lshlrev_b64 v[0:1], 2, v[0:1]
	v_mov_b32_e32 v3, s1
	v_add_co_u32_e32 v0, vcc, s0, v0
	v_addc_co_u32_e32 v1, vcc, v3, v1, vcc
	global_store_dword v[0:1], v2, off
.LBB1821_6:
	s_endpgm
	.section	.rodata,"a",@progbits
	.p2align	6, 0x0
	.amdhsa_kernel _ZN7rocprim17ROCPRIM_400000_NS6detail17trampoline_kernelINS0_14default_configENS1_38merge_sort_block_merge_config_selectorIsNS0_10empty_typeEEEZZNS1_27merge_sort_block_merge_implIS3_N6thrust23THRUST_200600_302600_NS6detail15normal_iteratorINS9_10device_ptrIsEEEEPS5_jNS1_19radix_merge_compareILb0ELb0EsNS0_19identity_decomposerEEEEE10hipError_tT0_T1_T2_jT3_P12ihipStream_tbPNSt15iterator_traitsISK_E10value_typeEPNSQ_ISL_E10value_typeEPSM_NS1_7vsmem_tEENKUlT_SK_SL_SM_E_clIPsSE_SF_SF_EESJ_SZ_SK_SL_SM_EUlSZ_E_NS1_11comp_targetILNS1_3genE4ELNS1_11target_archE910ELNS1_3gpuE8ELNS1_3repE0EEENS1_48merge_mergepath_partition_config_static_selectorELNS0_4arch9wavefront6targetE1EEEvSL_
		.amdhsa_group_segment_fixed_size 0
		.amdhsa_private_segment_fixed_size 0
		.amdhsa_kernarg_size 40
		.amdhsa_user_sgpr_count 6
		.amdhsa_user_sgpr_private_segment_buffer 1
		.amdhsa_user_sgpr_dispatch_ptr 0
		.amdhsa_user_sgpr_queue_ptr 0
		.amdhsa_user_sgpr_kernarg_segment_ptr 1
		.amdhsa_user_sgpr_dispatch_id 0
		.amdhsa_user_sgpr_flat_scratch_init 0
		.amdhsa_user_sgpr_kernarg_preload_length 0
		.amdhsa_user_sgpr_kernarg_preload_offset 0
		.amdhsa_user_sgpr_private_segment_size 0
		.amdhsa_uses_dynamic_stack 0
		.amdhsa_system_sgpr_private_segment_wavefront_offset 0
		.amdhsa_system_sgpr_workgroup_id_x 1
		.amdhsa_system_sgpr_workgroup_id_y 0
		.amdhsa_system_sgpr_workgroup_id_z 0
		.amdhsa_system_sgpr_workgroup_info 0
		.amdhsa_system_vgpr_workitem_id 0
		.amdhsa_next_free_vgpr 15
		.amdhsa_next_free_sgpr 8
		.amdhsa_accum_offset 16
		.amdhsa_reserve_vcc 1
		.amdhsa_reserve_flat_scratch 0
		.amdhsa_float_round_mode_32 0
		.amdhsa_float_round_mode_16_64 0
		.amdhsa_float_denorm_mode_32 3
		.amdhsa_float_denorm_mode_16_64 3
		.amdhsa_dx10_clamp 1
		.amdhsa_ieee_mode 1
		.amdhsa_fp16_overflow 0
		.amdhsa_tg_split 0
		.amdhsa_exception_fp_ieee_invalid_op 0
		.amdhsa_exception_fp_denorm_src 0
		.amdhsa_exception_fp_ieee_div_zero 0
		.amdhsa_exception_fp_ieee_overflow 0
		.amdhsa_exception_fp_ieee_underflow 0
		.amdhsa_exception_fp_ieee_inexact 0
		.amdhsa_exception_int_div_zero 0
	.end_amdhsa_kernel
	.section	.text._ZN7rocprim17ROCPRIM_400000_NS6detail17trampoline_kernelINS0_14default_configENS1_38merge_sort_block_merge_config_selectorIsNS0_10empty_typeEEEZZNS1_27merge_sort_block_merge_implIS3_N6thrust23THRUST_200600_302600_NS6detail15normal_iteratorINS9_10device_ptrIsEEEEPS5_jNS1_19radix_merge_compareILb0ELb0EsNS0_19identity_decomposerEEEEE10hipError_tT0_T1_T2_jT3_P12ihipStream_tbPNSt15iterator_traitsISK_E10value_typeEPNSQ_ISL_E10value_typeEPSM_NS1_7vsmem_tEENKUlT_SK_SL_SM_E_clIPsSE_SF_SF_EESJ_SZ_SK_SL_SM_EUlSZ_E_NS1_11comp_targetILNS1_3genE4ELNS1_11target_archE910ELNS1_3gpuE8ELNS1_3repE0EEENS1_48merge_mergepath_partition_config_static_selectorELNS0_4arch9wavefront6targetE1EEEvSL_,"axG",@progbits,_ZN7rocprim17ROCPRIM_400000_NS6detail17trampoline_kernelINS0_14default_configENS1_38merge_sort_block_merge_config_selectorIsNS0_10empty_typeEEEZZNS1_27merge_sort_block_merge_implIS3_N6thrust23THRUST_200600_302600_NS6detail15normal_iteratorINS9_10device_ptrIsEEEEPS5_jNS1_19radix_merge_compareILb0ELb0EsNS0_19identity_decomposerEEEEE10hipError_tT0_T1_T2_jT3_P12ihipStream_tbPNSt15iterator_traitsISK_E10value_typeEPNSQ_ISL_E10value_typeEPSM_NS1_7vsmem_tEENKUlT_SK_SL_SM_E_clIPsSE_SF_SF_EESJ_SZ_SK_SL_SM_EUlSZ_E_NS1_11comp_targetILNS1_3genE4ELNS1_11target_archE910ELNS1_3gpuE8ELNS1_3repE0EEENS1_48merge_mergepath_partition_config_static_selectorELNS0_4arch9wavefront6targetE1EEEvSL_,comdat
.Lfunc_end1821:
	.size	_ZN7rocprim17ROCPRIM_400000_NS6detail17trampoline_kernelINS0_14default_configENS1_38merge_sort_block_merge_config_selectorIsNS0_10empty_typeEEEZZNS1_27merge_sort_block_merge_implIS3_N6thrust23THRUST_200600_302600_NS6detail15normal_iteratorINS9_10device_ptrIsEEEEPS5_jNS1_19radix_merge_compareILb0ELb0EsNS0_19identity_decomposerEEEEE10hipError_tT0_T1_T2_jT3_P12ihipStream_tbPNSt15iterator_traitsISK_E10value_typeEPNSQ_ISL_E10value_typeEPSM_NS1_7vsmem_tEENKUlT_SK_SL_SM_E_clIPsSE_SF_SF_EESJ_SZ_SK_SL_SM_EUlSZ_E_NS1_11comp_targetILNS1_3genE4ELNS1_11target_archE910ELNS1_3gpuE8ELNS1_3repE0EEENS1_48merge_mergepath_partition_config_static_selectorELNS0_4arch9wavefront6targetE1EEEvSL_, .Lfunc_end1821-_ZN7rocprim17ROCPRIM_400000_NS6detail17trampoline_kernelINS0_14default_configENS1_38merge_sort_block_merge_config_selectorIsNS0_10empty_typeEEEZZNS1_27merge_sort_block_merge_implIS3_N6thrust23THRUST_200600_302600_NS6detail15normal_iteratorINS9_10device_ptrIsEEEEPS5_jNS1_19radix_merge_compareILb0ELb0EsNS0_19identity_decomposerEEEEE10hipError_tT0_T1_T2_jT3_P12ihipStream_tbPNSt15iterator_traitsISK_E10value_typeEPNSQ_ISL_E10value_typeEPSM_NS1_7vsmem_tEENKUlT_SK_SL_SM_E_clIPsSE_SF_SF_EESJ_SZ_SK_SL_SM_EUlSZ_E_NS1_11comp_targetILNS1_3genE4ELNS1_11target_archE910ELNS1_3gpuE8ELNS1_3repE0EEENS1_48merge_mergepath_partition_config_static_selectorELNS0_4arch9wavefront6targetE1EEEvSL_
                                        ; -- End function
	.section	.AMDGPU.csdata,"",@progbits
; Kernel info:
; codeLenInByte = 352
; NumSgprs: 12
; NumVgprs: 15
; NumAgprs: 0
; TotalNumVgprs: 15
; ScratchSize: 0
; MemoryBound: 0
; FloatMode: 240
; IeeeMode: 1
; LDSByteSize: 0 bytes/workgroup (compile time only)
; SGPRBlocks: 1
; VGPRBlocks: 1
; NumSGPRsForWavesPerEU: 12
; NumVGPRsForWavesPerEU: 15
; AccumOffset: 16
; Occupancy: 8
; WaveLimiterHint : 0
; COMPUTE_PGM_RSRC2:SCRATCH_EN: 0
; COMPUTE_PGM_RSRC2:USER_SGPR: 6
; COMPUTE_PGM_RSRC2:TRAP_HANDLER: 0
; COMPUTE_PGM_RSRC2:TGID_X_EN: 1
; COMPUTE_PGM_RSRC2:TGID_Y_EN: 0
; COMPUTE_PGM_RSRC2:TGID_Z_EN: 0
; COMPUTE_PGM_RSRC2:TIDIG_COMP_CNT: 0
; COMPUTE_PGM_RSRC3_GFX90A:ACCUM_OFFSET: 3
; COMPUTE_PGM_RSRC3_GFX90A:TG_SPLIT: 0
	.section	.text._ZN7rocprim17ROCPRIM_400000_NS6detail17trampoline_kernelINS0_14default_configENS1_38merge_sort_block_merge_config_selectorIsNS0_10empty_typeEEEZZNS1_27merge_sort_block_merge_implIS3_N6thrust23THRUST_200600_302600_NS6detail15normal_iteratorINS9_10device_ptrIsEEEEPS5_jNS1_19radix_merge_compareILb0ELb0EsNS0_19identity_decomposerEEEEE10hipError_tT0_T1_T2_jT3_P12ihipStream_tbPNSt15iterator_traitsISK_E10value_typeEPNSQ_ISL_E10value_typeEPSM_NS1_7vsmem_tEENKUlT_SK_SL_SM_E_clIPsSE_SF_SF_EESJ_SZ_SK_SL_SM_EUlSZ_E_NS1_11comp_targetILNS1_3genE3ELNS1_11target_archE908ELNS1_3gpuE7ELNS1_3repE0EEENS1_48merge_mergepath_partition_config_static_selectorELNS0_4arch9wavefront6targetE1EEEvSL_,"axG",@progbits,_ZN7rocprim17ROCPRIM_400000_NS6detail17trampoline_kernelINS0_14default_configENS1_38merge_sort_block_merge_config_selectorIsNS0_10empty_typeEEEZZNS1_27merge_sort_block_merge_implIS3_N6thrust23THRUST_200600_302600_NS6detail15normal_iteratorINS9_10device_ptrIsEEEEPS5_jNS1_19radix_merge_compareILb0ELb0EsNS0_19identity_decomposerEEEEE10hipError_tT0_T1_T2_jT3_P12ihipStream_tbPNSt15iterator_traitsISK_E10value_typeEPNSQ_ISL_E10value_typeEPSM_NS1_7vsmem_tEENKUlT_SK_SL_SM_E_clIPsSE_SF_SF_EESJ_SZ_SK_SL_SM_EUlSZ_E_NS1_11comp_targetILNS1_3genE3ELNS1_11target_archE908ELNS1_3gpuE7ELNS1_3repE0EEENS1_48merge_mergepath_partition_config_static_selectorELNS0_4arch9wavefront6targetE1EEEvSL_,comdat
	.protected	_ZN7rocprim17ROCPRIM_400000_NS6detail17trampoline_kernelINS0_14default_configENS1_38merge_sort_block_merge_config_selectorIsNS0_10empty_typeEEEZZNS1_27merge_sort_block_merge_implIS3_N6thrust23THRUST_200600_302600_NS6detail15normal_iteratorINS9_10device_ptrIsEEEEPS5_jNS1_19radix_merge_compareILb0ELb0EsNS0_19identity_decomposerEEEEE10hipError_tT0_T1_T2_jT3_P12ihipStream_tbPNSt15iterator_traitsISK_E10value_typeEPNSQ_ISL_E10value_typeEPSM_NS1_7vsmem_tEENKUlT_SK_SL_SM_E_clIPsSE_SF_SF_EESJ_SZ_SK_SL_SM_EUlSZ_E_NS1_11comp_targetILNS1_3genE3ELNS1_11target_archE908ELNS1_3gpuE7ELNS1_3repE0EEENS1_48merge_mergepath_partition_config_static_selectorELNS0_4arch9wavefront6targetE1EEEvSL_ ; -- Begin function _ZN7rocprim17ROCPRIM_400000_NS6detail17trampoline_kernelINS0_14default_configENS1_38merge_sort_block_merge_config_selectorIsNS0_10empty_typeEEEZZNS1_27merge_sort_block_merge_implIS3_N6thrust23THRUST_200600_302600_NS6detail15normal_iteratorINS9_10device_ptrIsEEEEPS5_jNS1_19radix_merge_compareILb0ELb0EsNS0_19identity_decomposerEEEEE10hipError_tT0_T1_T2_jT3_P12ihipStream_tbPNSt15iterator_traitsISK_E10value_typeEPNSQ_ISL_E10value_typeEPSM_NS1_7vsmem_tEENKUlT_SK_SL_SM_E_clIPsSE_SF_SF_EESJ_SZ_SK_SL_SM_EUlSZ_E_NS1_11comp_targetILNS1_3genE3ELNS1_11target_archE908ELNS1_3gpuE7ELNS1_3repE0EEENS1_48merge_mergepath_partition_config_static_selectorELNS0_4arch9wavefront6targetE1EEEvSL_
	.globl	_ZN7rocprim17ROCPRIM_400000_NS6detail17trampoline_kernelINS0_14default_configENS1_38merge_sort_block_merge_config_selectorIsNS0_10empty_typeEEEZZNS1_27merge_sort_block_merge_implIS3_N6thrust23THRUST_200600_302600_NS6detail15normal_iteratorINS9_10device_ptrIsEEEEPS5_jNS1_19radix_merge_compareILb0ELb0EsNS0_19identity_decomposerEEEEE10hipError_tT0_T1_T2_jT3_P12ihipStream_tbPNSt15iterator_traitsISK_E10value_typeEPNSQ_ISL_E10value_typeEPSM_NS1_7vsmem_tEENKUlT_SK_SL_SM_E_clIPsSE_SF_SF_EESJ_SZ_SK_SL_SM_EUlSZ_E_NS1_11comp_targetILNS1_3genE3ELNS1_11target_archE908ELNS1_3gpuE7ELNS1_3repE0EEENS1_48merge_mergepath_partition_config_static_selectorELNS0_4arch9wavefront6targetE1EEEvSL_
	.p2align	8
	.type	_ZN7rocprim17ROCPRIM_400000_NS6detail17trampoline_kernelINS0_14default_configENS1_38merge_sort_block_merge_config_selectorIsNS0_10empty_typeEEEZZNS1_27merge_sort_block_merge_implIS3_N6thrust23THRUST_200600_302600_NS6detail15normal_iteratorINS9_10device_ptrIsEEEEPS5_jNS1_19radix_merge_compareILb0ELb0EsNS0_19identity_decomposerEEEEE10hipError_tT0_T1_T2_jT3_P12ihipStream_tbPNSt15iterator_traitsISK_E10value_typeEPNSQ_ISL_E10value_typeEPSM_NS1_7vsmem_tEENKUlT_SK_SL_SM_E_clIPsSE_SF_SF_EESJ_SZ_SK_SL_SM_EUlSZ_E_NS1_11comp_targetILNS1_3genE3ELNS1_11target_archE908ELNS1_3gpuE7ELNS1_3repE0EEENS1_48merge_mergepath_partition_config_static_selectorELNS0_4arch9wavefront6targetE1EEEvSL_,@function
_ZN7rocprim17ROCPRIM_400000_NS6detail17trampoline_kernelINS0_14default_configENS1_38merge_sort_block_merge_config_selectorIsNS0_10empty_typeEEEZZNS1_27merge_sort_block_merge_implIS3_N6thrust23THRUST_200600_302600_NS6detail15normal_iteratorINS9_10device_ptrIsEEEEPS5_jNS1_19radix_merge_compareILb0ELb0EsNS0_19identity_decomposerEEEEE10hipError_tT0_T1_T2_jT3_P12ihipStream_tbPNSt15iterator_traitsISK_E10value_typeEPNSQ_ISL_E10value_typeEPSM_NS1_7vsmem_tEENKUlT_SK_SL_SM_E_clIPsSE_SF_SF_EESJ_SZ_SK_SL_SM_EUlSZ_E_NS1_11comp_targetILNS1_3genE3ELNS1_11target_archE908ELNS1_3gpuE7ELNS1_3repE0EEENS1_48merge_mergepath_partition_config_static_selectorELNS0_4arch9wavefront6targetE1EEEvSL_: ; @_ZN7rocprim17ROCPRIM_400000_NS6detail17trampoline_kernelINS0_14default_configENS1_38merge_sort_block_merge_config_selectorIsNS0_10empty_typeEEEZZNS1_27merge_sort_block_merge_implIS3_N6thrust23THRUST_200600_302600_NS6detail15normal_iteratorINS9_10device_ptrIsEEEEPS5_jNS1_19radix_merge_compareILb0ELb0EsNS0_19identity_decomposerEEEEE10hipError_tT0_T1_T2_jT3_P12ihipStream_tbPNSt15iterator_traitsISK_E10value_typeEPNSQ_ISL_E10value_typeEPSM_NS1_7vsmem_tEENKUlT_SK_SL_SM_E_clIPsSE_SF_SF_EESJ_SZ_SK_SL_SM_EUlSZ_E_NS1_11comp_targetILNS1_3genE3ELNS1_11target_archE908ELNS1_3gpuE7ELNS1_3repE0EEENS1_48merge_mergepath_partition_config_static_selectorELNS0_4arch9wavefront6targetE1EEEvSL_
; %bb.0:
	.section	.rodata,"a",@progbits
	.p2align	6, 0x0
	.amdhsa_kernel _ZN7rocprim17ROCPRIM_400000_NS6detail17trampoline_kernelINS0_14default_configENS1_38merge_sort_block_merge_config_selectorIsNS0_10empty_typeEEEZZNS1_27merge_sort_block_merge_implIS3_N6thrust23THRUST_200600_302600_NS6detail15normal_iteratorINS9_10device_ptrIsEEEEPS5_jNS1_19radix_merge_compareILb0ELb0EsNS0_19identity_decomposerEEEEE10hipError_tT0_T1_T2_jT3_P12ihipStream_tbPNSt15iterator_traitsISK_E10value_typeEPNSQ_ISL_E10value_typeEPSM_NS1_7vsmem_tEENKUlT_SK_SL_SM_E_clIPsSE_SF_SF_EESJ_SZ_SK_SL_SM_EUlSZ_E_NS1_11comp_targetILNS1_3genE3ELNS1_11target_archE908ELNS1_3gpuE7ELNS1_3repE0EEENS1_48merge_mergepath_partition_config_static_selectorELNS0_4arch9wavefront6targetE1EEEvSL_
		.amdhsa_group_segment_fixed_size 0
		.amdhsa_private_segment_fixed_size 0
		.amdhsa_kernarg_size 40
		.amdhsa_user_sgpr_count 6
		.amdhsa_user_sgpr_private_segment_buffer 1
		.amdhsa_user_sgpr_dispatch_ptr 0
		.amdhsa_user_sgpr_queue_ptr 0
		.amdhsa_user_sgpr_kernarg_segment_ptr 1
		.amdhsa_user_sgpr_dispatch_id 0
		.amdhsa_user_sgpr_flat_scratch_init 0
		.amdhsa_user_sgpr_kernarg_preload_length 0
		.amdhsa_user_sgpr_kernarg_preload_offset 0
		.amdhsa_user_sgpr_private_segment_size 0
		.amdhsa_uses_dynamic_stack 0
		.amdhsa_system_sgpr_private_segment_wavefront_offset 0
		.amdhsa_system_sgpr_workgroup_id_x 1
		.amdhsa_system_sgpr_workgroup_id_y 0
		.amdhsa_system_sgpr_workgroup_id_z 0
		.amdhsa_system_sgpr_workgroup_info 0
		.amdhsa_system_vgpr_workitem_id 0
		.amdhsa_next_free_vgpr 1
		.amdhsa_next_free_sgpr 0
		.amdhsa_accum_offset 4
		.amdhsa_reserve_vcc 0
		.amdhsa_reserve_flat_scratch 0
		.amdhsa_float_round_mode_32 0
		.amdhsa_float_round_mode_16_64 0
		.amdhsa_float_denorm_mode_32 3
		.amdhsa_float_denorm_mode_16_64 3
		.amdhsa_dx10_clamp 1
		.amdhsa_ieee_mode 1
		.amdhsa_fp16_overflow 0
		.amdhsa_tg_split 0
		.amdhsa_exception_fp_ieee_invalid_op 0
		.amdhsa_exception_fp_denorm_src 0
		.amdhsa_exception_fp_ieee_div_zero 0
		.amdhsa_exception_fp_ieee_overflow 0
		.amdhsa_exception_fp_ieee_underflow 0
		.amdhsa_exception_fp_ieee_inexact 0
		.amdhsa_exception_int_div_zero 0
	.end_amdhsa_kernel
	.section	.text._ZN7rocprim17ROCPRIM_400000_NS6detail17trampoline_kernelINS0_14default_configENS1_38merge_sort_block_merge_config_selectorIsNS0_10empty_typeEEEZZNS1_27merge_sort_block_merge_implIS3_N6thrust23THRUST_200600_302600_NS6detail15normal_iteratorINS9_10device_ptrIsEEEEPS5_jNS1_19radix_merge_compareILb0ELb0EsNS0_19identity_decomposerEEEEE10hipError_tT0_T1_T2_jT3_P12ihipStream_tbPNSt15iterator_traitsISK_E10value_typeEPNSQ_ISL_E10value_typeEPSM_NS1_7vsmem_tEENKUlT_SK_SL_SM_E_clIPsSE_SF_SF_EESJ_SZ_SK_SL_SM_EUlSZ_E_NS1_11comp_targetILNS1_3genE3ELNS1_11target_archE908ELNS1_3gpuE7ELNS1_3repE0EEENS1_48merge_mergepath_partition_config_static_selectorELNS0_4arch9wavefront6targetE1EEEvSL_,"axG",@progbits,_ZN7rocprim17ROCPRIM_400000_NS6detail17trampoline_kernelINS0_14default_configENS1_38merge_sort_block_merge_config_selectorIsNS0_10empty_typeEEEZZNS1_27merge_sort_block_merge_implIS3_N6thrust23THRUST_200600_302600_NS6detail15normal_iteratorINS9_10device_ptrIsEEEEPS5_jNS1_19radix_merge_compareILb0ELb0EsNS0_19identity_decomposerEEEEE10hipError_tT0_T1_T2_jT3_P12ihipStream_tbPNSt15iterator_traitsISK_E10value_typeEPNSQ_ISL_E10value_typeEPSM_NS1_7vsmem_tEENKUlT_SK_SL_SM_E_clIPsSE_SF_SF_EESJ_SZ_SK_SL_SM_EUlSZ_E_NS1_11comp_targetILNS1_3genE3ELNS1_11target_archE908ELNS1_3gpuE7ELNS1_3repE0EEENS1_48merge_mergepath_partition_config_static_selectorELNS0_4arch9wavefront6targetE1EEEvSL_,comdat
.Lfunc_end1822:
	.size	_ZN7rocprim17ROCPRIM_400000_NS6detail17trampoline_kernelINS0_14default_configENS1_38merge_sort_block_merge_config_selectorIsNS0_10empty_typeEEEZZNS1_27merge_sort_block_merge_implIS3_N6thrust23THRUST_200600_302600_NS6detail15normal_iteratorINS9_10device_ptrIsEEEEPS5_jNS1_19radix_merge_compareILb0ELb0EsNS0_19identity_decomposerEEEEE10hipError_tT0_T1_T2_jT3_P12ihipStream_tbPNSt15iterator_traitsISK_E10value_typeEPNSQ_ISL_E10value_typeEPSM_NS1_7vsmem_tEENKUlT_SK_SL_SM_E_clIPsSE_SF_SF_EESJ_SZ_SK_SL_SM_EUlSZ_E_NS1_11comp_targetILNS1_3genE3ELNS1_11target_archE908ELNS1_3gpuE7ELNS1_3repE0EEENS1_48merge_mergepath_partition_config_static_selectorELNS0_4arch9wavefront6targetE1EEEvSL_, .Lfunc_end1822-_ZN7rocprim17ROCPRIM_400000_NS6detail17trampoline_kernelINS0_14default_configENS1_38merge_sort_block_merge_config_selectorIsNS0_10empty_typeEEEZZNS1_27merge_sort_block_merge_implIS3_N6thrust23THRUST_200600_302600_NS6detail15normal_iteratorINS9_10device_ptrIsEEEEPS5_jNS1_19radix_merge_compareILb0ELb0EsNS0_19identity_decomposerEEEEE10hipError_tT0_T1_T2_jT3_P12ihipStream_tbPNSt15iterator_traitsISK_E10value_typeEPNSQ_ISL_E10value_typeEPSM_NS1_7vsmem_tEENKUlT_SK_SL_SM_E_clIPsSE_SF_SF_EESJ_SZ_SK_SL_SM_EUlSZ_E_NS1_11comp_targetILNS1_3genE3ELNS1_11target_archE908ELNS1_3gpuE7ELNS1_3repE0EEENS1_48merge_mergepath_partition_config_static_selectorELNS0_4arch9wavefront6targetE1EEEvSL_
                                        ; -- End function
	.section	.AMDGPU.csdata,"",@progbits
; Kernel info:
; codeLenInByte = 0
; NumSgprs: 4
; NumVgprs: 0
; NumAgprs: 0
; TotalNumVgprs: 0
; ScratchSize: 0
; MemoryBound: 0
; FloatMode: 240
; IeeeMode: 1
; LDSByteSize: 0 bytes/workgroup (compile time only)
; SGPRBlocks: 0
; VGPRBlocks: 0
; NumSGPRsForWavesPerEU: 4
; NumVGPRsForWavesPerEU: 1
; AccumOffset: 4
; Occupancy: 8
; WaveLimiterHint : 0
; COMPUTE_PGM_RSRC2:SCRATCH_EN: 0
; COMPUTE_PGM_RSRC2:USER_SGPR: 6
; COMPUTE_PGM_RSRC2:TRAP_HANDLER: 0
; COMPUTE_PGM_RSRC2:TGID_X_EN: 1
; COMPUTE_PGM_RSRC2:TGID_Y_EN: 0
; COMPUTE_PGM_RSRC2:TGID_Z_EN: 0
; COMPUTE_PGM_RSRC2:TIDIG_COMP_CNT: 0
; COMPUTE_PGM_RSRC3_GFX90A:ACCUM_OFFSET: 0
; COMPUTE_PGM_RSRC3_GFX90A:TG_SPLIT: 0
	.section	.text._ZN7rocprim17ROCPRIM_400000_NS6detail17trampoline_kernelINS0_14default_configENS1_38merge_sort_block_merge_config_selectorIsNS0_10empty_typeEEEZZNS1_27merge_sort_block_merge_implIS3_N6thrust23THRUST_200600_302600_NS6detail15normal_iteratorINS9_10device_ptrIsEEEEPS5_jNS1_19radix_merge_compareILb0ELb0EsNS0_19identity_decomposerEEEEE10hipError_tT0_T1_T2_jT3_P12ihipStream_tbPNSt15iterator_traitsISK_E10value_typeEPNSQ_ISL_E10value_typeEPSM_NS1_7vsmem_tEENKUlT_SK_SL_SM_E_clIPsSE_SF_SF_EESJ_SZ_SK_SL_SM_EUlSZ_E_NS1_11comp_targetILNS1_3genE2ELNS1_11target_archE906ELNS1_3gpuE6ELNS1_3repE0EEENS1_48merge_mergepath_partition_config_static_selectorELNS0_4arch9wavefront6targetE1EEEvSL_,"axG",@progbits,_ZN7rocprim17ROCPRIM_400000_NS6detail17trampoline_kernelINS0_14default_configENS1_38merge_sort_block_merge_config_selectorIsNS0_10empty_typeEEEZZNS1_27merge_sort_block_merge_implIS3_N6thrust23THRUST_200600_302600_NS6detail15normal_iteratorINS9_10device_ptrIsEEEEPS5_jNS1_19radix_merge_compareILb0ELb0EsNS0_19identity_decomposerEEEEE10hipError_tT0_T1_T2_jT3_P12ihipStream_tbPNSt15iterator_traitsISK_E10value_typeEPNSQ_ISL_E10value_typeEPSM_NS1_7vsmem_tEENKUlT_SK_SL_SM_E_clIPsSE_SF_SF_EESJ_SZ_SK_SL_SM_EUlSZ_E_NS1_11comp_targetILNS1_3genE2ELNS1_11target_archE906ELNS1_3gpuE6ELNS1_3repE0EEENS1_48merge_mergepath_partition_config_static_selectorELNS0_4arch9wavefront6targetE1EEEvSL_,comdat
	.protected	_ZN7rocprim17ROCPRIM_400000_NS6detail17trampoline_kernelINS0_14default_configENS1_38merge_sort_block_merge_config_selectorIsNS0_10empty_typeEEEZZNS1_27merge_sort_block_merge_implIS3_N6thrust23THRUST_200600_302600_NS6detail15normal_iteratorINS9_10device_ptrIsEEEEPS5_jNS1_19radix_merge_compareILb0ELb0EsNS0_19identity_decomposerEEEEE10hipError_tT0_T1_T2_jT3_P12ihipStream_tbPNSt15iterator_traitsISK_E10value_typeEPNSQ_ISL_E10value_typeEPSM_NS1_7vsmem_tEENKUlT_SK_SL_SM_E_clIPsSE_SF_SF_EESJ_SZ_SK_SL_SM_EUlSZ_E_NS1_11comp_targetILNS1_3genE2ELNS1_11target_archE906ELNS1_3gpuE6ELNS1_3repE0EEENS1_48merge_mergepath_partition_config_static_selectorELNS0_4arch9wavefront6targetE1EEEvSL_ ; -- Begin function _ZN7rocprim17ROCPRIM_400000_NS6detail17trampoline_kernelINS0_14default_configENS1_38merge_sort_block_merge_config_selectorIsNS0_10empty_typeEEEZZNS1_27merge_sort_block_merge_implIS3_N6thrust23THRUST_200600_302600_NS6detail15normal_iteratorINS9_10device_ptrIsEEEEPS5_jNS1_19radix_merge_compareILb0ELb0EsNS0_19identity_decomposerEEEEE10hipError_tT0_T1_T2_jT3_P12ihipStream_tbPNSt15iterator_traitsISK_E10value_typeEPNSQ_ISL_E10value_typeEPSM_NS1_7vsmem_tEENKUlT_SK_SL_SM_E_clIPsSE_SF_SF_EESJ_SZ_SK_SL_SM_EUlSZ_E_NS1_11comp_targetILNS1_3genE2ELNS1_11target_archE906ELNS1_3gpuE6ELNS1_3repE0EEENS1_48merge_mergepath_partition_config_static_selectorELNS0_4arch9wavefront6targetE1EEEvSL_
	.globl	_ZN7rocprim17ROCPRIM_400000_NS6detail17trampoline_kernelINS0_14default_configENS1_38merge_sort_block_merge_config_selectorIsNS0_10empty_typeEEEZZNS1_27merge_sort_block_merge_implIS3_N6thrust23THRUST_200600_302600_NS6detail15normal_iteratorINS9_10device_ptrIsEEEEPS5_jNS1_19radix_merge_compareILb0ELb0EsNS0_19identity_decomposerEEEEE10hipError_tT0_T1_T2_jT3_P12ihipStream_tbPNSt15iterator_traitsISK_E10value_typeEPNSQ_ISL_E10value_typeEPSM_NS1_7vsmem_tEENKUlT_SK_SL_SM_E_clIPsSE_SF_SF_EESJ_SZ_SK_SL_SM_EUlSZ_E_NS1_11comp_targetILNS1_3genE2ELNS1_11target_archE906ELNS1_3gpuE6ELNS1_3repE0EEENS1_48merge_mergepath_partition_config_static_selectorELNS0_4arch9wavefront6targetE1EEEvSL_
	.p2align	8
	.type	_ZN7rocprim17ROCPRIM_400000_NS6detail17trampoline_kernelINS0_14default_configENS1_38merge_sort_block_merge_config_selectorIsNS0_10empty_typeEEEZZNS1_27merge_sort_block_merge_implIS3_N6thrust23THRUST_200600_302600_NS6detail15normal_iteratorINS9_10device_ptrIsEEEEPS5_jNS1_19radix_merge_compareILb0ELb0EsNS0_19identity_decomposerEEEEE10hipError_tT0_T1_T2_jT3_P12ihipStream_tbPNSt15iterator_traitsISK_E10value_typeEPNSQ_ISL_E10value_typeEPSM_NS1_7vsmem_tEENKUlT_SK_SL_SM_E_clIPsSE_SF_SF_EESJ_SZ_SK_SL_SM_EUlSZ_E_NS1_11comp_targetILNS1_3genE2ELNS1_11target_archE906ELNS1_3gpuE6ELNS1_3repE0EEENS1_48merge_mergepath_partition_config_static_selectorELNS0_4arch9wavefront6targetE1EEEvSL_,@function
_ZN7rocprim17ROCPRIM_400000_NS6detail17trampoline_kernelINS0_14default_configENS1_38merge_sort_block_merge_config_selectorIsNS0_10empty_typeEEEZZNS1_27merge_sort_block_merge_implIS3_N6thrust23THRUST_200600_302600_NS6detail15normal_iteratorINS9_10device_ptrIsEEEEPS5_jNS1_19radix_merge_compareILb0ELb0EsNS0_19identity_decomposerEEEEE10hipError_tT0_T1_T2_jT3_P12ihipStream_tbPNSt15iterator_traitsISK_E10value_typeEPNSQ_ISL_E10value_typeEPSM_NS1_7vsmem_tEENKUlT_SK_SL_SM_E_clIPsSE_SF_SF_EESJ_SZ_SK_SL_SM_EUlSZ_E_NS1_11comp_targetILNS1_3genE2ELNS1_11target_archE906ELNS1_3gpuE6ELNS1_3repE0EEENS1_48merge_mergepath_partition_config_static_selectorELNS0_4arch9wavefront6targetE1EEEvSL_: ; @_ZN7rocprim17ROCPRIM_400000_NS6detail17trampoline_kernelINS0_14default_configENS1_38merge_sort_block_merge_config_selectorIsNS0_10empty_typeEEEZZNS1_27merge_sort_block_merge_implIS3_N6thrust23THRUST_200600_302600_NS6detail15normal_iteratorINS9_10device_ptrIsEEEEPS5_jNS1_19radix_merge_compareILb0ELb0EsNS0_19identity_decomposerEEEEE10hipError_tT0_T1_T2_jT3_P12ihipStream_tbPNSt15iterator_traitsISK_E10value_typeEPNSQ_ISL_E10value_typeEPSM_NS1_7vsmem_tEENKUlT_SK_SL_SM_E_clIPsSE_SF_SF_EESJ_SZ_SK_SL_SM_EUlSZ_E_NS1_11comp_targetILNS1_3genE2ELNS1_11target_archE906ELNS1_3gpuE6ELNS1_3repE0EEENS1_48merge_mergepath_partition_config_static_selectorELNS0_4arch9wavefront6targetE1EEEvSL_
; %bb.0:
	.section	.rodata,"a",@progbits
	.p2align	6, 0x0
	.amdhsa_kernel _ZN7rocprim17ROCPRIM_400000_NS6detail17trampoline_kernelINS0_14default_configENS1_38merge_sort_block_merge_config_selectorIsNS0_10empty_typeEEEZZNS1_27merge_sort_block_merge_implIS3_N6thrust23THRUST_200600_302600_NS6detail15normal_iteratorINS9_10device_ptrIsEEEEPS5_jNS1_19radix_merge_compareILb0ELb0EsNS0_19identity_decomposerEEEEE10hipError_tT0_T1_T2_jT3_P12ihipStream_tbPNSt15iterator_traitsISK_E10value_typeEPNSQ_ISL_E10value_typeEPSM_NS1_7vsmem_tEENKUlT_SK_SL_SM_E_clIPsSE_SF_SF_EESJ_SZ_SK_SL_SM_EUlSZ_E_NS1_11comp_targetILNS1_3genE2ELNS1_11target_archE906ELNS1_3gpuE6ELNS1_3repE0EEENS1_48merge_mergepath_partition_config_static_selectorELNS0_4arch9wavefront6targetE1EEEvSL_
		.amdhsa_group_segment_fixed_size 0
		.amdhsa_private_segment_fixed_size 0
		.amdhsa_kernarg_size 40
		.amdhsa_user_sgpr_count 6
		.amdhsa_user_sgpr_private_segment_buffer 1
		.amdhsa_user_sgpr_dispatch_ptr 0
		.amdhsa_user_sgpr_queue_ptr 0
		.amdhsa_user_sgpr_kernarg_segment_ptr 1
		.amdhsa_user_sgpr_dispatch_id 0
		.amdhsa_user_sgpr_flat_scratch_init 0
		.amdhsa_user_sgpr_kernarg_preload_length 0
		.amdhsa_user_sgpr_kernarg_preload_offset 0
		.amdhsa_user_sgpr_private_segment_size 0
		.amdhsa_uses_dynamic_stack 0
		.amdhsa_system_sgpr_private_segment_wavefront_offset 0
		.amdhsa_system_sgpr_workgroup_id_x 1
		.amdhsa_system_sgpr_workgroup_id_y 0
		.amdhsa_system_sgpr_workgroup_id_z 0
		.amdhsa_system_sgpr_workgroup_info 0
		.amdhsa_system_vgpr_workitem_id 0
		.amdhsa_next_free_vgpr 1
		.amdhsa_next_free_sgpr 0
		.amdhsa_accum_offset 4
		.amdhsa_reserve_vcc 0
		.amdhsa_reserve_flat_scratch 0
		.amdhsa_float_round_mode_32 0
		.amdhsa_float_round_mode_16_64 0
		.amdhsa_float_denorm_mode_32 3
		.amdhsa_float_denorm_mode_16_64 3
		.amdhsa_dx10_clamp 1
		.amdhsa_ieee_mode 1
		.amdhsa_fp16_overflow 0
		.amdhsa_tg_split 0
		.amdhsa_exception_fp_ieee_invalid_op 0
		.amdhsa_exception_fp_denorm_src 0
		.amdhsa_exception_fp_ieee_div_zero 0
		.amdhsa_exception_fp_ieee_overflow 0
		.amdhsa_exception_fp_ieee_underflow 0
		.amdhsa_exception_fp_ieee_inexact 0
		.amdhsa_exception_int_div_zero 0
	.end_amdhsa_kernel
	.section	.text._ZN7rocprim17ROCPRIM_400000_NS6detail17trampoline_kernelINS0_14default_configENS1_38merge_sort_block_merge_config_selectorIsNS0_10empty_typeEEEZZNS1_27merge_sort_block_merge_implIS3_N6thrust23THRUST_200600_302600_NS6detail15normal_iteratorINS9_10device_ptrIsEEEEPS5_jNS1_19radix_merge_compareILb0ELb0EsNS0_19identity_decomposerEEEEE10hipError_tT0_T1_T2_jT3_P12ihipStream_tbPNSt15iterator_traitsISK_E10value_typeEPNSQ_ISL_E10value_typeEPSM_NS1_7vsmem_tEENKUlT_SK_SL_SM_E_clIPsSE_SF_SF_EESJ_SZ_SK_SL_SM_EUlSZ_E_NS1_11comp_targetILNS1_3genE2ELNS1_11target_archE906ELNS1_3gpuE6ELNS1_3repE0EEENS1_48merge_mergepath_partition_config_static_selectorELNS0_4arch9wavefront6targetE1EEEvSL_,"axG",@progbits,_ZN7rocprim17ROCPRIM_400000_NS6detail17trampoline_kernelINS0_14default_configENS1_38merge_sort_block_merge_config_selectorIsNS0_10empty_typeEEEZZNS1_27merge_sort_block_merge_implIS3_N6thrust23THRUST_200600_302600_NS6detail15normal_iteratorINS9_10device_ptrIsEEEEPS5_jNS1_19radix_merge_compareILb0ELb0EsNS0_19identity_decomposerEEEEE10hipError_tT0_T1_T2_jT3_P12ihipStream_tbPNSt15iterator_traitsISK_E10value_typeEPNSQ_ISL_E10value_typeEPSM_NS1_7vsmem_tEENKUlT_SK_SL_SM_E_clIPsSE_SF_SF_EESJ_SZ_SK_SL_SM_EUlSZ_E_NS1_11comp_targetILNS1_3genE2ELNS1_11target_archE906ELNS1_3gpuE6ELNS1_3repE0EEENS1_48merge_mergepath_partition_config_static_selectorELNS0_4arch9wavefront6targetE1EEEvSL_,comdat
.Lfunc_end1823:
	.size	_ZN7rocprim17ROCPRIM_400000_NS6detail17trampoline_kernelINS0_14default_configENS1_38merge_sort_block_merge_config_selectorIsNS0_10empty_typeEEEZZNS1_27merge_sort_block_merge_implIS3_N6thrust23THRUST_200600_302600_NS6detail15normal_iteratorINS9_10device_ptrIsEEEEPS5_jNS1_19radix_merge_compareILb0ELb0EsNS0_19identity_decomposerEEEEE10hipError_tT0_T1_T2_jT3_P12ihipStream_tbPNSt15iterator_traitsISK_E10value_typeEPNSQ_ISL_E10value_typeEPSM_NS1_7vsmem_tEENKUlT_SK_SL_SM_E_clIPsSE_SF_SF_EESJ_SZ_SK_SL_SM_EUlSZ_E_NS1_11comp_targetILNS1_3genE2ELNS1_11target_archE906ELNS1_3gpuE6ELNS1_3repE0EEENS1_48merge_mergepath_partition_config_static_selectorELNS0_4arch9wavefront6targetE1EEEvSL_, .Lfunc_end1823-_ZN7rocprim17ROCPRIM_400000_NS6detail17trampoline_kernelINS0_14default_configENS1_38merge_sort_block_merge_config_selectorIsNS0_10empty_typeEEEZZNS1_27merge_sort_block_merge_implIS3_N6thrust23THRUST_200600_302600_NS6detail15normal_iteratorINS9_10device_ptrIsEEEEPS5_jNS1_19radix_merge_compareILb0ELb0EsNS0_19identity_decomposerEEEEE10hipError_tT0_T1_T2_jT3_P12ihipStream_tbPNSt15iterator_traitsISK_E10value_typeEPNSQ_ISL_E10value_typeEPSM_NS1_7vsmem_tEENKUlT_SK_SL_SM_E_clIPsSE_SF_SF_EESJ_SZ_SK_SL_SM_EUlSZ_E_NS1_11comp_targetILNS1_3genE2ELNS1_11target_archE906ELNS1_3gpuE6ELNS1_3repE0EEENS1_48merge_mergepath_partition_config_static_selectorELNS0_4arch9wavefront6targetE1EEEvSL_
                                        ; -- End function
	.section	.AMDGPU.csdata,"",@progbits
; Kernel info:
; codeLenInByte = 0
; NumSgprs: 4
; NumVgprs: 0
; NumAgprs: 0
; TotalNumVgprs: 0
; ScratchSize: 0
; MemoryBound: 0
; FloatMode: 240
; IeeeMode: 1
; LDSByteSize: 0 bytes/workgroup (compile time only)
; SGPRBlocks: 0
; VGPRBlocks: 0
; NumSGPRsForWavesPerEU: 4
; NumVGPRsForWavesPerEU: 1
; AccumOffset: 4
; Occupancy: 8
; WaveLimiterHint : 0
; COMPUTE_PGM_RSRC2:SCRATCH_EN: 0
; COMPUTE_PGM_RSRC2:USER_SGPR: 6
; COMPUTE_PGM_RSRC2:TRAP_HANDLER: 0
; COMPUTE_PGM_RSRC2:TGID_X_EN: 1
; COMPUTE_PGM_RSRC2:TGID_Y_EN: 0
; COMPUTE_PGM_RSRC2:TGID_Z_EN: 0
; COMPUTE_PGM_RSRC2:TIDIG_COMP_CNT: 0
; COMPUTE_PGM_RSRC3_GFX90A:ACCUM_OFFSET: 0
; COMPUTE_PGM_RSRC3_GFX90A:TG_SPLIT: 0
	.section	.text._ZN7rocprim17ROCPRIM_400000_NS6detail17trampoline_kernelINS0_14default_configENS1_38merge_sort_block_merge_config_selectorIsNS0_10empty_typeEEEZZNS1_27merge_sort_block_merge_implIS3_N6thrust23THRUST_200600_302600_NS6detail15normal_iteratorINS9_10device_ptrIsEEEEPS5_jNS1_19radix_merge_compareILb0ELb0EsNS0_19identity_decomposerEEEEE10hipError_tT0_T1_T2_jT3_P12ihipStream_tbPNSt15iterator_traitsISK_E10value_typeEPNSQ_ISL_E10value_typeEPSM_NS1_7vsmem_tEENKUlT_SK_SL_SM_E_clIPsSE_SF_SF_EESJ_SZ_SK_SL_SM_EUlSZ_E_NS1_11comp_targetILNS1_3genE9ELNS1_11target_archE1100ELNS1_3gpuE3ELNS1_3repE0EEENS1_48merge_mergepath_partition_config_static_selectorELNS0_4arch9wavefront6targetE1EEEvSL_,"axG",@progbits,_ZN7rocprim17ROCPRIM_400000_NS6detail17trampoline_kernelINS0_14default_configENS1_38merge_sort_block_merge_config_selectorIsNS0_10empty_typeEEEZZNS1_27merge_sort_block_merge_implIS3_N6thrust23THRUST_200600_302600_NS6detail15normal_iteratorINS9_10device_ptrIsEEEEPS5_jNS1_19radix_merge_compareILb0ELb0EsNS0_19identity_decomposerEEEEE10hipError_tT0_T1_T2_jT3_P12ihipStream_tbPNSt15iterator_traitsISK_E10value_typeEPNSQ_ISL_E10value_typeEPSM_NS1_7vsmem_tEENKUlT_SK_SL_SM_E_clIPsSE_SF_SF_EESJ_SZ_SK_SL_SM_EUlSZ_E_NS1_11comp_targetILNS1_3genE9ELNS1_11target_archE1100ELNS1_3gpuE3ELNS1_3repE0EEENS1_48merge_mergepath_partition_config_static_selectorELNS0_4arch9wavefront6targetE1EEEvSL_,comdat
	.protected	_ZN7rocprim17ROCPRIM_400000_NS6detail17trampoline_kernelINS0_14default_configENS1_38merge_sort_block_merge_config_selectorIsNS0_10empty_typeEEEZZNS1_27merge_sort_block_merge_implIS3_N6thrust23THRUST_200600_302600_NS6detail15normal_iteratorINS9_10device_ptrIsEEEEPS5_jNS1_19radix_merge_compareILb0ELb0EsNS0_19identity_decomposerEEEEE10hipError_tT0_T1_T2_jT3_P12ihipStream_tbPNSt15iterator_traitsISK_E10value_typeEPNSQ_ISL_E10value_typeEPSM_NS1_7vsmem_tEENKUlT_SK_SL_SM_E_clIPsSE_SF_SF_EESJ_SZ_SK_SL_SM_EUlSZ_E_NS1_11comp_targetILNS1_3genE9ELNS1_11target_archE1100ELNS1_3gpuE3ELNS1_3repE0EEENS1_48merge_mergepath_partition_config_static_selectorELNS0_4arch9wavefront6targetE1EEEvSL_ ; -- Begin function _ZN7rocprim17ROCPRIM_400000_NS6detail17trampoline_kernelINS0_14default_configENS1_38merge_sort_block_merge_config_selectorIsNS0_10empty_typeEEEZZNS1_27merge_sort_block_merge_implIS3_N6thrust23THRUST_200600_302600_NS6detail15normal_iteratorINS9_10device_ptrIsEEEEPS5_jNS1_19radix_merge_compareILb0ELb0EsNS0_19identity_decomposerEEEEE10hipError_tT0_T1_T2_jT3_P12ihipStream_tbPNSt15iterator_traitsISK_E10value_typeEPNSQ_ISL_E10value_typeEPSM_NS1_7vsmem_tEENKUlT_SK_SL_SM_E_clIPsSE_SF_SF_EESJ_SZ_SK_SL_SM_EUlSZ_E_NS1_11comp_targetILNS1_3genE9ELNS1_11target_archE1100ELNS1_3gpuE3ELNS1_3repE0EEENS1_48merge_mergepath_partition_config_static_selectorELNS0_4arch9wavefront6targetE1EEEvSL_
	.globl	_ZN7rocprim17ROCPRIM_400000_NS6detail17trampoline_kernelINS0_14default_configENS1_38merge_sort_block_merge_config_selectorIsNS0_10empty_typeEEEZZNS1_27merge_sort_block_merge_implIS3_N6thrust23THRUST_200600_302600_NS6detail15normal_iteratorINS9_10device_ptrIsEEEEPS5_jNS1_19radix_merge_compareILb0ELb0EsNS0_19identity_decomposerEEEEE10hipError_tT0_T1_T2_jT3_P12ihipStream_tbPNSt15iterator_traitsISK_E10value_typeEPNSQ_ISL_E10value_typeEPSM_NS1_7vsmem_tEENKUlT_SK_SL_SM_E_clIPsSE_SF_SF_EESJ_SZ_SK_SL_SM_EUlSZ_E_NS1_11comp_targetILNS1_3genE9ELNS1_11target_archE1100ELNS1_3gpuE3ELNS1_3repE0EEENS1_48merge_mergepath_partition_config_static_selectorELNS0_4arch9wavefront6targetE1EEEvSL_
	.p2align	8
	.type	_ZN7rocprim17ROCPRIM_400000_NS6detail17trampoline_kernelINS0_14default_configENS1_38merge_sort_block_merge_config_selectorIsNS0_10empty_typeEEEZZNS1_27merge_sort_block_merge_implIS3_N6thrust23THRUST_200600_302600_NS6detail15normal_iteratorINS9_10device_ptrIsEEEEPS5_jNS1_19radix_merge_compareILb0ELb0EsNS0_19identity_decomposerEEEEE10hipError_tT0_T1_T2_jT3_P12ihipStream_tbPNSt15iterator_traitsISK_E10value_typeEPNSQ_ISL_E10value_typeEPSM_NS1_7vsmem_tEENKUlT_SK_SL_SM_E_clIPsSE_SF_SF_EESJ_SZ_SK_SL_SM_EUlSZ_E_NS1_11comp_targetILNS1_3genE9ELNS1_11target_archE1100ELNS1_3gpuE3ELNS1_3repE0EEENS1_48merge_mergepath_partition_config_static_selectorELNS0_4arch9wavefront6targetE1EEEvSL_,@function
_ZN7rocprim17ROCPRIM_400000_NS6detail17trampoline_kernelINS0_14default_configENS1_38merge_sort_block_merge_config_selectorIsNS0_10empty_typeEEEZZNS1_27merge_sort_block_merge_implIS3_N6thrust23THRUST_200600_302600_NS6detail15normal_iteratorINS9_10device_ptrIsEEEEPS5_jNS1_19radix_merge_compareILb0ELb0EsNS0_19identity_decomposerEEEEE10hipError_tT0_T1_T2_jT3_P12ihipStream_tbPNSt15iterator_traitsISK_E10value_typeEPNSQ_ISL_E10value_typeEPSM_NS1_7vsmem_tEENKUlT_SK_SL_SM_E_clIPsSE_SF_SF_EESJ_SZ_SK_SL_SM_EUlSZ_E_NS1_11comp_targetILNS1_3genE9ELNS1_11target_archE1100ELNS1_3gpuE3ELNS1_3repE0EEENS1_48merge_mergepath_partition_config_static_selectorELNS0_4arch9wavefront6targetE1EEEvSL_: ; @_ZN7rocprim17ROCPRIM_400000_NS6detail17trampoline_kernelINS0_14default_configENS1_38merge_sort_block_merge_config_selectorIsNS0_10empty_typeEEEZZNS1_27merge_sort_block_merge_implIS3_N6thrust23THRUST_200600_302600_NS6detail15normal_iteratorINS9_10device_ptrIsEEEEPS5_jNS1_19radix_merge_compareILb0ELb0EsNS0_19identity_decomposerEEEEE10hipError_tT0_T1_T2_jT3_P12ihipStream_tbPNSt15iterator_traitsISK_E10value_typeEPNSQ_ISL_E10value_typeEPSM_NS1_7vsmem_tEENKUlT_SK_SL_SM_E_clIPsSE_SF_SF_EESJ_SZ_SK_SL_SM_EUlSZ_E_NS1_11comp_targetILNS1_3genE9ELNS1_11target_archE1100ELNS1_3gpuE3ELNS1_3repE0EEENS1_48merge_mergepath_partition_config_static_selectorELNS0_4arch9wavefront6targetE1EEEvSL_
; %bb.0:
	.section	.rodata,"a",@progbits
	.p2align	6, 0x0
	.amdhsa_kernel _ZN7rocprim17ROCPRIM_400000_NS6detail17trampoline_kernelINS0_14default_configENS1_38merge_sort_block_merge_config_selectorIsNS0_10empty_typeEEEZZNS1_27merge_sort_block_merge_implIS3_N6thrust23THRUST_200600_302600_NS6detail15normal_iteratorINS9_10device_ptrIsEEEEPS5_jNS1_19radix_merge_compareILb0ELb0EsNS0_19identity_decomposerEEEEE10hipError_tT0_T1_T2_jT3_P12ihipStream_tbPNSt15iterator_traitsISK_E10value_typeEPNSQ_ISL_E10value_typeEPSM_NS1_7vsmem_tEENKUlT_SK_SL_SM_E_clIPsSE_SF_SF_EESJ_SZ_SK_SL_SM_EUlSZ_E_NS1_11comp_targetILNS1_3genE9ELNS1_11target_archE1100ELNS1_3gpuE3ELNS1_3repE0EEENS1_48merge_mergepath_partition_config_static_selectorELNS0_4arch9wavefront6targetE1EEEvSL_
		.amdhsa_group_segment_fixed_size 0
		.amdhsa_private_segment_fixed_size 0
		.amdhsa_kernarg_size 40
		.amdhsa_user_sgpr_count 6
		.amdhsa_user_sgpr_private_segment_buffer 1
		.amdhsa_user_sgpr_dispatch_ptr 0
		.amdhsa_user_sgpr_queue_ptr 0
		.amdhsa_user_sgpr_kernarg_segment_ptr 1
		.amdhsa_user_sgpr_dispatch_id 0
		.amdhsa_user_sgpr_flat_scratch_init 0
		.amdhsa_user_sgpr_kernarg_preload_length 0
		.amdhsa_user_sgpr_kernarg_preload_offset 0
		.amdhsa_user_sgpr_private_segment_size 0
		.amdhsa_uses_dynamic_stack 0
		.amdhsa_system_sgpr_private_segment_wavefront_offset 0
		.amdhsa_system_sgpr_workgroup_id_x 1
		.amdhsa_system_sgpr_workgroup_id_y 0
		.amdhsa_system_sgpr_workgroup_id_z 0
		.amdhsa_system_sgpr_workgroup_info 0
		.amdhsa_system_vgpr_workitem_id 0
		.amdhsa_next_free_vgpr 1
		.amdhsa_next_free_sgpr 0
		.amdhsa_accum_offset 4
		.amdhsa_reserve_vcc 0
		.amdhsa_reserve_flat_scratch 0
		.amdhsa_float_round_mode_32 0
		.amdhsa_float_round_mode_16_64 0
		.amdhsa_float_denorm_mode_32 3
		.amdhsa_float_denorm_mode_16_64 3
		.amdhsa_dx10_clamp 1
		.amdhsa_ieee_mode 1
		.amdhsa_fp16_overflow 0
		.amdhsa_tg_split 0
		.amdhsa_exception_fp_ieee_invalid_op 0
		.amdhsa_exception_fp_denorm_src 0
		.amdhsa_exception_fp_ieee_div_zero 0
		.amdhsa_exception_fp_ieee_overflow 0
		.amdhsa_exception_fp_ieee_underflow 0
		.amdhsa_exception_fp_ieee_inexact 0
		.amdhsa_exception_int_div_zero 0
	.end_amdhsa_kernel
	.section	.text._ZN7rocprim17ROCPRIM_400000_NS6detail17trampoline_kernelINS0_14default_configENS1_38merge_sort_block_merge_config_selectorIsNS0_10empty_typeEEEZZNS1_27merge_sort_block_merge_implIS3_N6thrust23THRUST_200600_302600_NS6detail15normal_iteratorINS9_10device_ptrIsEEEEPS5_jNS1_19radix_merge_compareILb0ELb0EsNS0_19identity_decomposerEEEEE10hipError_tT0_T1_T2_jT3_P12ihipStream_tbPNSt15iterator_traitsISK_E10value_typeEPNSQ_ISL_E10value_typeEPSM_NS1_7vsmem_tEENKUlT_SK_SL_SM_E_clIPsSE_SF_SF_EESJ_SZ_SK_SL_SM_EUlSZ_E_NS1_11comp_targetILNS1_3genE9ELNS1_11target_archE1100ELNS1_3gpuE3ELNS1_3repE0EEENS1_48merge_mergepath_partition_config_static_selectorELNS0_4arch9wavefront6targetE1EEEvSL_,"axG",@progbits,_ZN7rocprim17ROCPRIM_400000_NS6detail17trampoline_kernelINS0_14default_configENS1_38merge_sort_block_merge_config_selectorIsNS0_10empty_typeEEEZZNS1_27merge_sort_block_merge_implIS3_N6thrust23THRUST_200600_302600_NS6detail15normal_iteratorINS9_10device_ptrIsEEEEPS5_jNS1_19radix_merge_compareILb0ELb0EsNS0_19identity_decomposerEEEEE10hipError_tT0_T1_T2_jT3_P12ihipStream_tbPNSt15iterator_traitsISK_E10value_typeEPNSQ_ISL_E10value_typeEPSM_NS1_7vsmem_tEENKUlT_SK_SL_SM_E_clIPsSE_SF_SF_EESJ_SZ_SK_SL_SM_EUlSZ_E_NS1_11comp_targetILNS1_3genE9ELNS1_11target_archE1100ELNS1_3gpuE3ELNS1_3repE0EEENS1_48merge_mergepath_partition_config_static_selectorELNS0_4arch9wavefront6targetE1EEEvSL_,comdat
.Lfunc_end1824:
	.size	_ZN7rocprim17ROCPRIM_400000_NS6detail17trampoline_kernelINS0_14default_configENS1_38merge_sort_block_merge_config_selectorIsNS0_10empty_typeEEEZZNS1_27merge_sort_block_merge_implIS3_N6thrust23THRUST_200600_302600_NS6detail15normal_iteratorINS9_10device_ptrIsEEEEPS5_jNS1_19radix_merge_compareILb0ELb0EsNS0_19identity_decomposerEEEEE10hipError_tT0_T1_T2_jT3_P12ihipStream_tbPNSt15iterator_traitsISK_E10value_typeEPNSQ_ISL_E10value_typeEPSM_NS1_7vsmem_tEENKUlT_SK_SL_SM_E_clIPsSE_SF_SF_EESJ_SZ_SK_SL_SM_EUlSZ_E_NS1_11comp_targetILNS1_3genE9ELNS1_11target_archE1100ELNS1_3gpuE3ELNS1_3repE0EEENS1_48merge_mergepath_partition_config_static_selectorELNS0_4arch9wavefront6targetE1EEEvSL_, .Lfunc_end1824-_ZN7rocprim17ROCPRIM_400000_NS6detail17trampoline_kernelINS0_14default_configENS1_38merge_sort_block_merge_config_selectorIsNS0_10empty_typeEEEZZNS1_27merge_sort_block_merge_implIS3_N6thrust23THRUST_200600_302600_NS6detail15normal_iteratorINS9_10device_ptrIsEEEEPS5_jNS1_19radix_merge_compareILb0ELb0EsNS0_19identity_decomposerEEEEE10hipError_tT0_T1_T2_jT3_P12ihipStream_tbPNSt15iterator_traitsISK_E10value_typeEPNSQ_ISL_E10value_typeEPSM_NS1_7vsmem_tEENKUlT_SK_SL_SM_E_clIPsSE_SF_SF_EESJ_SZ_SK_SL_SM_EUlSZ_E_NS1_11comp_targetILNS1_3genE9ELNS1_11target_archE1100ELNS1_3gpuE3ELNS1_3repE0EEENS1_48merge_mergepath_partition_config_static_selectorELNS0_4arch9wavefront6targetE1EEEvSL_
                                        ; -- End function
	.section	.AMDGPU.csdata,"",@progbits
; Kernel info:
; codeLenInByte = 0
; NumSgprs: 4
; NumVgprs: 0
; NumAgprs: 0
; TotalNumVgprs: 0
; ScratchSize: 0
; MemoryBound: 0
; FloatMode: 240
; IeeeMode: 1
; LDSByteSize: 0 bytes/workgroup (compile time only)
; SGPRBlocks: 0
; VGPRBlocks: 0
; NumSGPRsForWavesPerEU: 4
; NumVGPRsForWavesPerEU: 1
; AccumOffset: 4
; Occupancy: 8
; WaveLimiterHint : 0
; COMPUTE_PGM_RSRC2:SCRATCH_EN: 0
; COMPUTE_PGM_RSRC2:USER_SGPR: 6
; COMPUTE_PGM_RSRC2:TRAP_HANDLER: 0
; COMPUTE_PGM_RSRC2:TGID_X_EN: 1
; COMPUTE_PGM_RSRC2:TGID_Y_EN: 0
; COMPUTE_PGM_RSRC2:TGID_Z_EN: 0
; COMPUTE_PGM_RSRC2:TIDIG_COMP_CNT: 0
; COMPUTE_PGM_RSRC3_GFX90A:ACCUM_OFFSET: 0
; COMPUTE_PGM_RSRC3_GFX90A:TG_SPLIT: 0
	.section	.text._ZN7rocprim17ROCPRIM_400000_NS6detail17trampoline_kernelINS0_14default_configENS1_38merge_sort_block_merge_config_selectorIsNS0_10empty_typeEEEZZNS1_27merge_sort_block_merge_implIS3_N6thrust23THRUST_200600_302600_NS6detail15normal_iteratorINS9_10device_ptrIsEEEEPS5_jNS1_19radix_merge_compareILb0ELb0EsNS0_19identity_decomposerEEEEE10hipError_tT0_T1_T2_jT3_P12ihipStream_tbPNSt15iterator_traitsISK_E10value_typeEPNSQ_ISL_E10value_typeEPSM_NS1_7vsmem_tEENKUlT_SK_SL_SM_E_clIPsSE_SF_SF_EESJ_SZ_SK_SL_SM_EUlSZ_E_NS1_11comp_targetILNS1_3genE8ELNS1_11target_archE1030ELNS1_3gpuE2ELNS1_3repE0EEENS1_48merge_mergepath_partition_config_static_selectorELNS0_4arch9wavefront6targetE1EEEvSL_,"axG",@progbits,_ZN7rocprim17ROCPRIM_400000_NS6detail17trampoline_kernelINS0_14default_configENS1_38merge_sort_block_merge_config_selectorIsNS0_10empty_typeEEEZZNS1_27merge_sort_block_merge_implIS3_N6thrust23THRUST_200600_302600_NS6detail15normal_iteratorINS9_10device_ptrIsEEEEPS5_jNS1_19radix_merge_compareILb0ELb0EsNS0_19identity_decomposerEEEEE10hipError_tT0_T1_T2_jT3_P12ihipStream_tbPNSt15iterator_traitsISK_E10value_typeEPNSQ_ISL_E10value_typeEPSM_NS1_7vsmem_tEENKUlT_SK_SL_SM_E_clIPsSE_SF_SF_EESJ_SZ_SK_SL_SM_EUlSZ_E_NS1_11comp_targetILNS1_3genE8ELNS1_11target_archE1030ELNS1_3gpuE2ELNS1_3repE0EEENS1_48merge_mergepath_partition_config_static_selectorELNS0_4arch9wavefront6targetE1EEEvSL_,comdat
	.protected	_ZN7rocprim17ROCPRIM_400000_NS6detail17trampoline_kernelINS0_14default_configENS1_38merge_sort_block_merge_config_selectorIsNS0_10empty_typeEEEZZNS1_27merge_sort_block_merge_implIS3_N6thrust23THRUST_200600_302600_NS6detail15normal_iteratorINS9_10device_ptrIsEEEEPS5_jNS1_19radix_merge_compareILb0ELb0EsNS0_19identity_decomposerEEEEE10hipError_tT0_T1_T2_jT3_P12ihipStream_tbPNSt15iterator_traitsISK_E10value_typeEPNSQ_ISL_E10value_typeEPSM_NS1_7vsmem_tEENKUlT_SK_SL_SM_E_clIPsSE_SF_SF_EESJ_SZ_SK_SL_SM_EUlSZ_E_NS1_11comp_targetILNS1_3genE8ELNS1_11target_archE1030ELNS1_3gpuE2ELNS1_3repE0EEENS1_48merge_mergepath_partition_config_static_selectorELNS0_4arch9wavefront6targetE1EEEvSL_ ; -- Begin function _ZN7rocprim17ROCPRIM_400000_NS6detail17trampoline_kernelINS0_14default_configENS1_38merge_sort_block_merge_config_selectorIsNS0_10empty_typeEEEZZNS1_27merge_sort_block_merge_implIS3_N6thrust23THRUST_200600_302600_NS6detail15normal_iteratorINS9_10device_ptrIsEEEEPS5_jNS1_19radix_merge_compareILb0ELb0EsNS0_19identity_decomposerEEEEE10hipError_tT0_T1_T2_jT3_P12ihipStream_tbPNSt15iterator_traitsISK_E10value_typeEPNSQ_ISL_E10value_typeEPSM_NS1_7vsmem_tEENKUlT_SK_SL_SM_E_clIPsSE_SF_SF_EESJ_SZ_SK_SL_SM_EUlSZ_E_NS1_11comp_targetILNS1_3genE8ELNS1_11target_archE1030ELNS1_3gpuE2ELNS1_3repE0EEENS1_48merge_mergepath_partition_config_static_selectorELNS0_4arch9wavefront6targetE1EEEvSL_
	.globl	_ZN7rocprim17ROCPRIM_400000_NS6detail17trampoline_kernelINS0_14default_configENS1_38merge_sort_block_merge_config_selectorIsNS0_10empty_typeEEEZZNS1_27merge_sort_block_merge_implIS3_N6thrust23THRUST_200600_302600_NS6detail15normal_iteratorINS9_10device_ptrIsEEEEPS5_jNS1_19radix_merge_compareILb0ELb0EsNS0_19identity_decomposerEEEEE10hipError_tT0_T1_T2_jT3_P12ihipStream_tbPNSt15iterator_traitsISK_E10value_typeEPNSQ_ISL_E10value_typeEPSM_NS1_7vsmem_tEENKUlT_SK_SL_SM_E_clIPsSE_SF_SF_EESJ_SZ_SK_SL_SM_EUlSZ_E_NS1_11comp_targetILNS1_3genE8ELNS1_11target_archE1030ELNS1_3gpuE2ELNS1_3repE0EEENS1_48merge_mergepath_partition_config_static_selectorELNS0_4arch9wavefront6targetE1EEEvSL_
	.p2align	8
	.type	_ZN7rocprim17ROCPRIM_400000_NS6detail17trampoline_kernelINS0_14default_configENS1_38merge_sort_block_merge_config_selectorIsNS0_10empty_typeEEEZZNS1_27merge_sort_block_merge_implIS3_N6thrust23THRUST_200600_302600_NS6detail15normal_iteratorINS9_10device_ptrIsEEEEPS5_jNS1_19radix_merge_compareILb0ELb0EsNS0_19identity_decomposerEEEEE10hipError_tT0_T1_T2_jT3_P12ihipStream_tbPNSt15iterator_traitsISK_E10value_typeEPNSQ_ISL_E10value_typeEPSM_NS1_7vsmem_tEENKUlT_SK_SL_SM_E_clIPsSE_SF_SF_EESJ_SZ_SK_SL_SM_EUlSZ_E_NS1_11comp_targetILNS1_3genE8ELNS1_11target_archE1030ELNS1_3gpuE2ELNS1_3repE0EEENS1_48merge_mergepath_partition_config_static_selectorELNS0_4arch9wavefront6targetE1EEEvSL_,@function
_ZN7rocprim17ROCPRIM_400000_NS6detail17trampoline_kernelINS0_14default_configENS1_38merge_sort_block_merge_config_selectorIsNS0_10empty_typeEEEZZNS1_27merge_sort_block_merge_implIS3_N6thrust23THRUST_200600_302600_NS6detail15normal_iteratorINS9_10device_ptrIsEEEEPS5_jNS1_19radix_merge_compareILb0ELb0EsNS0_19identity_decomposerEEEEE10hipError_tT0_T1_T2_jT3_P12ihipStream_tbPNSt15iterator_traitsISK_E10value_typeEPNSQ_ISL_E10value_typeEPSM_NS1_7vsmem_tEENKUlT_SK_SL_SM_E_clIPsSE_SF_SF_EESJ_SZ_SK_SL_SM_EUlSZ_E_NS1_11comp_targetILNS1_3genE8ELNS1_11target_archE1030ELNS1_3gpuE2ELNS1_3repE0EEENS1_48merge_mergepath_partition_config_static_selectorELNS0_4arch9wavefront6targetE1EEEvSL_: ; @_ZN7rocprim17ROCPRIM_400000_NS6detail17trampoline_kernelINS0_14default_configENS1_38merge_sort_block_merge_config_selectorIsNS0_10empty_typeEEEZZNS1_27merge_sort_block_merge_implIS3_N6thrust23THRUST_200600_302600_NS6detail15normal_iteratorINS9_10device_ptrIsEEEEPS5_jNS1_19radix_merge_compareILb0ELb0EsNS0_19identity_decomposerEEEEE10hipError_tT0_T1_T2_jT3_P12ihipStream_tbPNSt15iterator_traitsISK_E10value_typeEPNSQ_ISL_E10value_typeEPSM_NS1_7vsmem_tEENKUlT_SK_SL_SM_E_clIPsSE_SF_SF_EESJ_SZ_SK_SL_SM_EUlSZ_E_NS1_11comp_targetILNS1_3genE8ELNS1_11target_archE1030ELNS1_3gpuE2ELNS1_3repE0EEENS1_48merge_mergepath_partition_config_static_selectorELNS0_4arch9wavefront6targetE1EEEvSL_
; %bb.0:
	.section	.rodata,"a",@progbits
	.p2align	6, 0x0
	.amdhsa_kernel _ZN7rocprim17ROCPRIM_400000_NS6detail17trampoline_kernelINS0_14default_configENS1_38merge_sort_block_merge_config_selectorIsNS0_10empty_typeEEEZZNS1_27merge_sort_block_merge_implIS3_N6thrust23THRUST_200600_302600_NS6detail15normal_iteratorINS9_10device_ptrIsEEEEPS5_jNS1_19radix_merge_compareILb0ELb0EsNS0_19identity_decomposerEEEEE10hipError_tT0_T1_T2_jT3_P12ihipStream_tbPNSt15iterator_traitsISK_E10value_typeEPNSQ_ISL_E10value_typeEPSM_NS1_7vsmem_tEENKUlT_SK_SL_SM_E_clIPsSE_SF_SF_EESJ_SZ_SK_SL_SM_EUlSZ_E_NS1_11comp_targetILNS1_3genE8ELNS1_11target_archE1030ELNS1_3gpuE2ELNS1_3repE0EEENS1_48merge_mergepath_partition_config_static_selectorELNS0_4arch9wavefront6targetE1EEEvSL_
		.amdhsa_group_segment_fixed_size 0
		.amdhsa_private_segment_fixed_size 0
		.amdhsa_kernarg_size 40
		.amdhsa_user_sgpr_count 6
		.amdhsa_user_sgpr_private_segment_buffer 1
		.amdhsa_user_sgpr_dispatch_ptr 0
		.amdhsa_user_sgpr_queue_ptr 0
		.amdhsa_user_sgpr_kernarg_segment_ptr 1
		.amdhsa_user_sgpr_dispatch_id 0
		.amdhsa_user_sgpr_flat_scratch_init 0
		.amdhsa_user_sgpr_kernarg_preload_length 0
		.amdhsa_user_sgpr_kernarg_preload_offset 0
		.amdhsa_user_sgpr_private_segment_size 0
		.amdhsa_uses_dynamic_stack 0
		.amdhsa_system_sgpr_private_segment_wavefront_offset 0
		.amdhsa_system_sgpr_workgroup_id_x 1
		.amdhsa_system_sgpr_workgroup_id_y 0
		.amdhsa_system_sgpr_workgroup_id_z 0
		.amdhsa_system_sgpr_workgroup_info 0
		.amdhsa_system_vgpr_workitem_id 0
		.amdhsa_next_free_vgpr 1
		.amdhsa_next_free_sgpr 0
		.amdhsa_accum_offset 4
		.amdhsa_reserve_vcc 0
		.amdhsa_reserve_flat_scratch 0
		.amdhsa_float_round_mode_32 0
		.amdhsa_float_round_mode_16_64 0
		.amdhsa_float_denorm_mode_32 3
		.amdhsa_float_denorm_mode_16_64 3
		.amdhsa_dx10_clamp 1
		.amdhsa_ieee_mode 1
		.amdhsa_fp16_overflow 0
		.amdhsa_tg_split 0
		.amdhsa_exception_fp_ieee_invalid_op 0
		.amdhsa_exception_fp_denorm_src 0
		.amdhsa_exception_fp_ieee_div_zero 0
		.amdhsa_exception_fp_ieee_overflow 0
		.amdhsa_exception_fp_ieee_underflow 0
		.amdhsa_exception_fp_ieee_inexact 0
		.amdhsa_exception_int_div_zero 0
	.end_amdhsa_kernel
	.section	.text._ZN7rocprim17ROCPRIM_400000_NS6detail17trampoline_kernelINS0_14default_configENS1_38merge_sort_block_merge_config_selectorIsNS0_10empty_typeEEEZZNS1_27merge_sort_block_merge_implIS3_N6thrust23THRUST_200600_302600_NS6detail15normal_iteratorINS9_10device_ptrIsEEEEPS5_jNS1_19radix_merge_compareILb0ELb0EsNS0_19identity_decomposerEEEEE10hipError_tT0_T1_T2_jT3_P12ihipStream_tbPNSt15iterator_traitsISK_E10value_typeEPNSQ_ISL_E10value_typeEPSM_NS1_7vsmem_tEENKUlT_SK_SL_SM_E_clIPsSE_SF_SF_EESJ_SZ_SK_SL_SM_EUlSZ_E_NS1_11comp_targetILNS1_3genE8ELNS1_11target_archE1030ELNS1_3gpuE2ELNS1_3repE0EEENS1_48merge_mergepath_partition_config_static_selectorELNS0_4arch9wavefront6targetE1EEEvSL_,"axG",@progbits,_ZN7rocprim17ROCPRIM_400000_NS6detail17trampoline_kernelINS0_14default_configENS1_38merge_sort_block_merge_config_selectorIsNS0_10empty_typeEEEZZNS1_27merge_sort_block_merge_implIS3_N6thrust23THRUST_200600_302600_NS6detail15normal_iteratorINS9_10device_ptrIsEEEEPS5_jNS1_19radix_merge_compareILb0ELb0EsNS0_19identity_decomposerEEEEE10hipError_tT0_T1_T2_jT3_P12ihipStream_tbPNSt15iterator_traitsISK_E10value_typeEPNSQ_ISL_E10value_typeEPSM_NS1_7vsmem_tEENKUlT_SK_SL_SM_E_clIPsSE_SF_SF_EESJ_SZ_SK_SL_SM_EUlSZ_E_NS1_11comp_targetILNS1_3genE8ELNS1_11target_archE1030ELNS1_3gpuE2ELNS1_3repE0EEENS1_48merge_mergepath_partition_config_static_selectorELNS0_4arch9wavefront6targetE1EEEvSL_,comdat
.Lfunc_end1825:
	.size	_ZN7rocprim17ROCPRIM_400000_NS6detail17trampoline_kernelINS0_14default_configENS1_38merge_sort_block_merge_config_selectorIsNS0_10empty_typeEEEZZNS1_27merge_sort_block_merge_implIS3_N6thrust23THRUST_200600_302600_NS6detail15normal_iteratorINS9_10device_ptrIsEEEEPS5_jNS1_19radix_merge_compareILb0ELb0EsNS0_19identity_decomposerEEEEE10hipError_tT0_T1_T2_jT3_P12ihipStream_tbPNSt15iterator_traitsISK_E10value_typeEPNSQ_ISL_E10value_typeEPSM_NS1_7vsmem_tEENKUlT_SK_SL_SM_E_clIPsSE_SF_SF_EESJ_SZ_SK_SL_SM_EUlSZ_E_NS1_11comp_targetILNS1_3genE8ELNS1_11target_archE1030ELNS1_3gpuE2ELNS1_3repE0EEENS1_48merge_mergepath_partition_config_static_selectorELNS0_4arch9wavefront6targetE1EEEvSL_, .Lfunc_end1825-_ZN7rocprim17ROCPRIM_400000_NS6detail17trampoline_kernelINS0_14default_configENS1_38merge_sort_block_merge_config_selectorIsNS0_10empty_typeEEEZZNS1_27merge_sort_block_merge_implIS3_N6thrust23THRUST_200600_302600_NS6detail15normal_iteratorINS9_10device_ptrIsEEEEPS5_jNS1_19radix_merge_compareILb0ELb0EsNS0_19identity_decomposerEEEEE10hipError_tT0_T1_T2_jT3_P12ihipStream_tbPNSt15iterator_traitsISK_E10value_typeEPNSQ_ISL_E10value_typeEPSM_NS1_7vsmem_tEENKUlT_SK_SL_SM_E_clIPsSE_SF_SF_EESJ_SZ_SK_SL_SM_EUlSZ_E_NS1_11comp_targetILNS1_3genE8ELNS1_11target_archE1030ELNS1_3gpuE2ELNS1_3repE0EEENS1_48merge_mergepath_partition_config_static_selectorELNS0_4arch9wavefront6targetE1EEEvSL_
                                        ; -- End function
	.section	.AMDGPU.csdata,"",@progbits
; Kernel info:
; codeLenInByte = 0
; NumSgprs: 4
; NumVgprs: 0
; NumAgprs: 0
; TotalNumVgprs: 0
; ScratchSize: 0
; MemoryBound: 0
; FloatMode: 240
; IeeeMode: 1
; LDSByteSize: 0 bytes/workgroup (compile time only)
; SGPRBlocks: 0
; VGPRBlocks: 0
; NumSGPRsForWavesPerEU: 4
; NumVGPRsForWavesPerEU: 1
; AccumOffset: 4
; Occupancy: 8
; WaveLimiterHint : 0
; COMPUTE_PGM_RSRC2:SCRATCH_EN: 0
; COMPUTE_PGM_RSRC2:USER_SGPR: 6
; COMPUTE_PGM_RSRC2:TRAP_HANDLER: 0
; COMPUTE_PGM_RSRC2:TGID_X_EN: 1
; COMPUTE_PGM_RSRC2:TGID_Y_EN: 0
; COMPUTE_PGM_RSRC2:TGID_Z_EN: 0
; COMPUTE_PGM_RSRC2:TIDIG_COMP_CNT: 0
; COMPUTE_PGM_RSRC3_GFX90A:ACCUM_OFFSET: 0
; COMPUTE_PGM_RSRC3_GFX90A:TG_SPLIT: 0
	.section	.text._ZN7rocprim17ROCPRIM_400000_NS6detail17trampoline_kernelINS0_14default_configENS1_38merge_sort_block_merge_config_selectorIsNS0_10empty_typeEEEZZNS1_27merge_sort_block_merge_implIS3_N6thrust23THRUST_200600_302600_NS6detail15normal_iteratorINS9_10device_ptrIsEEEEPS5_jNS1_19radix_merge_compareILb0ELb0EsNS0_19identity_decomposerEEEEE10hipError_tT0_T1_T2_jT3_P12ihipStream_tbPNSt15iterator_traitsISK_E10value_typeEPNSQ_ISL_E10value_typeEPSM_NS1_7vsmem_tEENKUlT_SK_SL_SM_E_clIPsSE_SF_SF_EESJ_SZ_SK_SL_SM_EUlSZ_E0_NS1_11comp_targetILNS1_3genE0ELNS1_11target_archE4294967295ELNS1_3gpuE0ELNS1_3repE0EEENS1_38merge_mergepath_config_static_selectorELNS0_4arch9wavefront6targetE1EEEvSL_,"axG",@progbits,_ZN7rocprim17ROCPRIM_400000_NS6detail17trampoline_kernelINS0_14default_configENS1_38merge_sort_block_merge_config_selectorIsNS0_10empty_typeEEEZZNS1_27merge_sort_block_merge_implIS3_N6thrust23THRUST_200600_302600_NS6detail15normal_iteratorINS9_10device_ptrIsEEEEPS5_jNS1_19radix_merge_compareILb0ELb0EsNS0_19identity_decomposerEEEEE10hipError_tT0_T1_T2_jT3_P12ihipStream_tbPNSt15iterator_traitsISK_E10value_typeEPNSQ_ISL_E10value_typeEPSM_NS1_7vsmem_tEENKUlT_SK_SL_SM_E_clIPsSE_SF_SF_EESJ_SZ_SK_SL_SM_EUlSZ_E0_NS1_11comp_targetILNS1_3genE0ELNS1_11target_archE4294967295ELNS1_3gpuE0ELNS1_3repE0EEENS1_38merge_mergepath_config_static_selectorELNS0_4arch9wavefront6targetE1EEEvSL_,comdat
	.protected	_ZN7rocprim17ROCPRIM_400000_NS6detail17trampoline_kernelINS0_14default_configENS1_38merge_sort_block_merge_config_selectorIsNS0_10empty_typeEEEZZNS1_27merge_sort_block_merge_implIS3_N6thrust23THRUST_200600_302600_NS6detail15normal_iteratorINS9_10device_ptrIsEEEEPS5_jNS1_19radix_merge_compareILb0ELb0EsNS0_19identity_decomposerEEEEE10hipError_tT0_T1_T2_jT3_P12ihipStream_tbPNSt15iterator_traitsISK_E10value_typeEPNSQ_ISL_E10value_typeEPSM_NS1_7vsmem_tEENKUlT_SK_SL_SM_E_clIPsSE_SF_SF_EESJ_SZ_SK_SL_SM_EUlSZ_E0_NS1_11comp_targetILNS1_3genE0ELNS1_11target_archE4294967295ELNS1_3gpuE0ELNS1_3repE0EEENS1_38merge_mergepath_config_static_selectorELNS0_4arch9wavefront6targetE1EEEvSL_ ; -- Begin function _ZN7rocprim17ROCPRIM_400000_NS6detail17trampoline_kernelINS0_14default_configENS1_38merge_sort_block_merge_config_selectorIsNS0_10empty_typeEEEZZNS1_27merge_sort_block_merge_implIS3_N6thrust23THRUST_200600_302600_NS6detail15normal_iteratorINS9_10device_ptrIsEEEEPS5_jNS1_19radix_merge_compareILb0ELb0EsNS0_19identity_decomposerEEEEE10hipError_tT0_T1_T2_jT3_P12ihipStream_tbPNSt15iterator_traitsISK_E10value_typeEPNSQ_ISL_E10value_typeEPSM_NS1_7vsmem_tEENKUlT_SK_SL_SM_E_clIPsSE_SF_SF_EESJ_SZ_SK_SL_SM_EUlSZ_E0_NS1_11comp_targetILNS1_3genE0ELNS1_11target_archE4294967295ELNS1_3gpuE0ELNS1_3repE0EEENS1_38merge_mergepath_config_static_selectorELNS0_4arch9wavefront6targetE1EEEvSL_
	.globl	_ZN7rocprim17ROCPRIM_400000_NS6detail17trampoline_kernelINS0_14default_configENS1_38merge_sort_block_merge_config_selectorIsNS0_10empty_typeEEEZZNS1_27merge_sort_block_merge_implIS3_N6thrust23THRUST_200600_302600_NS6detail15normal_iteratorINS9_10device_ptrIsEEEEPS5_jNS1_19radix_merge_compareILb0ELb0EsNS0_19identity_decomposerEEEEE10hipError_tT0_T1_T2_jT3_P12ihipStream_tbPNSt15iterator_traitsISK_E10value_typeEPNSQ_ISL_E10value_typeEPSM_NS1_7vsmem_tEENKUlT_SK_SL_SM_E_clIPsSE_SF_SF_EESJ_SZ_SK_SL_SM_EUlSZ_E0_NS1_11comp_targetILNS1_3genE0ELNS1_11target_archE4294967295ELNS1_3gpuE0ELNS1_3repE0EEENS1_38merge_mergepath_config_static_selectorELNS0_4arch9wavefront6targetE1EEEvSL_
	.p2align	8
	.type	_ZN7rocprim17ROCPRIM_400000_NS6detail17trampoline_kernelINS0_14default_configENS1_38merge_sort_block_merge_config_selectorIsNS0_10empty_typeEEEZZNS1_27merge_sort_block_merge_implIS3_N6thrust23THRUST_200600_302600_NS6detail15normal_iteratorINS9_10device_ptrIsEEEEPS5_jNS1_19radix_merge_compareILb0ELb0EsNS0_19identity_decomposerEEEEE10hipError_tT0_T1_T2_jT3_P12ihipStream_tbPNSt15iterator_traitsISK_E10value_typeEPNSQ_ISL_E10value_typeEPSM_NS1_7vsmem_tEENKUlT_SK_SL_SM_E_clIPsSE_SF_SF_EESJ_SZ_SK_SL_SM_EUlSZ_E0_NS1_11comp_targetILNS1_3genE0ELNS1_11target_archE4294967295ELNS1_3gpuE0ELNS1_3repE0EEENS1_38merge_mergepath_config_static_selectorELNS0_4arch9wavefront6targetE1EEEvSL_,@function
_ZN7rocprim17ROCPRIM_400000_NS6detail17trampoline_kernelINS0_14default_configENS1_38merge_sort_block_merge_config_selectorIsNS0_10empty_typeEEEZZNS1_27merge_sort_block_merge_implIS3_N6thrust23THRUST_200600_302600_NS6detail15normal_iteratorINS9_10device_ptrIsEEEEPS5_jNS1_19radix_merge_compareILb0ELb0EsNS0_19identity_decomposerEEEEE10hipError_tT0_T1_T2_jT3_P12ihipStream_tbPNSt15iterator_traitsISK_E10value_typeEPNSQ_ISL_E10value_typeEPSM_NS1_7vsmem_tEENKUlT_SK_SL_SM_E_clIPsSE_SF_SF_EESJ_SZ_SK_SL_SM_EUlSZ_E0_NS1_11comp_targetILNS1_3genE0ELNS1_11target_archE4294967295ELNS1_3gpuE0ELNS1_3repE0EEENS1_38merge_mergepath_config_static_selectorELNS0_4arch9wavefront6targetE1EEEvSL_: ; @_ZN7rocprim17ROCPRIM_400000_NS6detail17trampoline_kernelINS0_14default_configENS1_38merge_sort_block_merge_config_selectorIsNS0_10empty_typeEEEZZNS1_27merge_sort_block_merge_implIS3_N6thrust23THRUST_200600_302600_NS6detail15normal_iteratorINS9_10device_ptrIsEEEEPS5_jNS1_19radix_merge_compareILb0ELb0EsNS0_19identity_decomposerEEEEE10hipError_tT0_T1_T2_jT3_P12ihipStream_tbPNSt15iterator_traitsISK_E10value_typeEPNSQ_ISL_E10value_typeEPSM_NS1_7vsmem_tEENKUlT_SK_SL_SM_E_clIPsSE_SF_SF_EESJ_SZ_SK_SL_SM_EUlSZ_E0_NS1_11comp_targetILNS1_3genE0ELNS1_11target_archE4294967295ELNS1_3gpuE0ELNS1_3repE0EEENS1_38merge_mergepath_config_static_selectorELNS0_4arch9wavefront6targetE1EEEvSL_
; %bb.0:
	.section	.rodata,"a",@progbits
	.p2align	6, 0x0
	.amdhsa_kernel _ZN7rocprim17ROCPRIM_400000_NS6detail17trampoline_kernelINS0_14default_configENS1_38merge_sort_block_merge_config_selectorIsNS0_10empty_typeEEEZZNS1_27merge_sort_block_merge_implIS3_N6thrust23THRUST_200600_302600_NS6detail15normal_iteratorINS9_10device_ptrIsEEEEPS5_jNS1_19radix_merge_compareILb0ELb0EsNS0_19identity_decomposerEEEEE10hipError_tT0_T1_T2_jT3_P12ihipStream_tbPNSt15iterator_traitsISK_E10value_typeEPNSQ_ISL_E10value_typeEPSM_NS1_7vsmem_tEENKUlT_SK_SL_SM_E_clIPsSE_SF_SF_EESJ_SZ_SK_SL_SM_EUlSZ_E0_NS1_11comp_targetILNS1_3genE0ELNS1_11target_archE4294967295ELNS1_3gpuE0ELNS1_3repE0EEENS1_38merge_mergepath_config_static_selectorELNS0_4arch9wavefront6targetE1EEEvSL_
		.amdhsa_group_segment_fixed_size 0
		.amdhsa_private_segment_fixed_size 0
		.amdhsa_kernarg_size 64
		.amdhsa_user_sgpr_count 6
		.amdhsa_user_sgpr_private_segment_buffer 1
		.amdhsa_user_sgpr_dispatch_ptr 0
		.amdhsa_user_sgpr_queue_ptr 0
		.amdhsa_user_sgpr_kernarg_segment_ptr 1
		.amdhsa_user_sgpr_dispatch_id 0
		.amdhsa_user_sgpr_flat_scratch_init 0
		.amdhsa_user_sgpr_kernarg_preload_length 0
		.amdhsa_user_sgpr_kernarg_preload_offset 0
		.amdhsa_user_sgpr_private_segment_size 0
		.amdhsa_uses_dynamic_stack 0
		.amdhsa_system_sgpr_private_segment_wavefront_offset 0
		.amdhsa_system_sgpr_workgroup_id_x 1
		.amdhsa_system_sgpr_workgroup_id_y 0
		.amdhsa_system_sgpr_workgroup_id_z 0
		.amdhsa_system_sgpr_workgroup_info 0
		.amdhsa_system_vgpr_workitem_id 0
		.amdhsa_next_free_vgpr 1
		.amdhsa_next_free_sgpr 0
		.amdhsa_accum_offset 4
		.amdhsa_reserve_vcc 0
		.amdhsa_reserve_flat_scratch 0
		.amdhsa_float_round_mode_32 0
		.amdhsa_float_round_mode_16_64 0
		.amdhsa_float_denorm_mode_32 3
		.amdhsa_float_denorm_mode_16_64 3
		.amdhsa_dx10_clamp 1
		.amdhsa_ieee_mode 1
		.amdhsa_fp16_overflow 0
		.amdhsa_tg_split 0
		.amdhsa_exception_fp_ieee_invalid_op 0
		.amdhsa_exception_fp_denorm_src 0
		.amdhsa_exception_fp_ieee_div_zero 0
		.amdhsa_exception_fp_ieee_overflow 0
		.amdhsa_exception_fp_ieee_underflow 0
		.amdhsa_exception_fp_ieee_inexact 0
		.amdhsa_exception_int_div_zero 0
	.end_amdhsa_kernel
	.section	.text._ZN7rocprim17ROCPRIM_400000_NS6detail17trampoline_kernelINS0_14default_configENS1_38merge_sort_block_merge_config_selectorIsNS0_10empty_typeEEEZZNS1_27merge_sort_block_merge_implIS3_N6thrust23THRUST_200600_302600_NS6detail15normal_iteratorINS9_10device_ptrIsEEEEPS5_jNS1_19radix_merge_compareILb0ELb0EsNS0_19identity_decomposerEEEEE10hipError_tT0_T1_T2_jT3_P12ihipStream_tbPNSt15iterator_traitsISK_E10value_typeEPNSQ_ISL_E10value_typeEPSM_NS1_7vsmem_tEENKUlT_SK_SL_SM_E_clIPsSE_SF_SF_EESJ_SZ_SK_SL_SM_EUlSZ_E0_NS1_11comp_targetILNS1_3genE0ELNS1_11target_archE4294967295ELNS1_3gpuE0ELNS1_3repE0EEENS1_38merge_mergepath_config_static_selectorELNS0_4arch9wavefront6targetE1EEEvSL_,"axG",@progbits,_ZN7rocprim17ROCPRIM_400000_NS6detail17trampoline_kernelINS0_14default_configENS1_38merge_sort_block_merge_config_selectorIsNS0_10empty_typeEEEZZNS1_27merge_sort_block_merge_implIS3_N6thrust23THRUST_200600_302600_NS6detail15normal_iteratorINS9_10device_ptrIsEEEEPS5_jNS1_19radix_merge_compareILb0ELb0EsNS0_19identity_decomposerEEEEE10hipError_tT0_T1_T2_jT3_P12ihipStream_tbPNSt15iterator_traitsISK_E10value_typeEPNSQ_ISL_E10value_typeEPSM_NS1_7vsmem_tEENKUlT_SK_SL_SM_E_clIPsSE_SF_SF_EESJ_SZ_SK_SL_SM_EUlSZ_E0_NS1_11comp_targetILNS1_3genE0ELNS1_11target_archE4294967295ELNS1_3gpuE0ELNS1_3repE0EEENS1_38merge_mergepath_config_static_selectorELNS0_4arch9wavefront6targetE1EEEvSL_,comdat
.Lfunc_end1826:
	.size	_ZN7rocprim17ROCPRIM_400000_NS6detail17trampoline_kernelINS0_14default_configENS1_38merge_sort_block_merge_config_selectorIsNS0_10empty_typeEEEZZNS1_27merge_sort_block_merge_implIS3_N6thrust23THRUST_200600_302600_NS6detail15normal_iteratorINS9_10device_ptrIsEEEEPS5_jNS1_19radix_merge_compareILb0ELb0EsNS0_19identity_decomposerEEEEE10hipError_tT0_T1_T2_jT3_P12ihipStream_tbPNSt15iterator_traitsISK_E10value_typeEPNSQ_ISL_E10value_typeEPSM_NS1_7vsmem_tEENKUlT_SK_SL_SM_E_clIPsSE_SF_SF_EESJ_SZ_SK_SL_SM_EUlSZ_E0_NS1_11comp_targetILNS1_3genE0ELNS1_11target_archE4294967295ELNS1_3gpuE0ELNS1_3repE0EEENS1_38merge_mergepath_config_static_selectorELNS0_4arch9wavefront6targetE1EEEvSL_, .Lfunc_end1826-_ZN7rocprim17ROCPRIM_400000_NS6detail17trampoline_kernelINS0_14default_configENS1_38merge_sort_block_merge_config_selectorIsNS0_10empty_typeEEEZZNS1_27merge_sort_block_merge_implIS3_N6thrust23THRUST_200600_302600_NS6detail15normal_iteratorINS9_10device_ptrIsEEEEPS5_jNS1_19radix_merge_compareILb0ELb0EsNS0_19identity_decomposerEEEEE10hipError_tT0_T1_T2_jT3_P12ihipStream_tbPNSt15iterator_traitsISK_E10value_typeEPNSQ_ISL_E10value_typeEPSM_NS1_7vsmem_tEENKUlT_SK_SL_SM_E_clIPsSE_SF_SF_EESJ_SZ_SK_SL_SM_EUlSZ_E0_NS1_11comp_targetILNS1_3genE0ELNS1_11target_archE4294967295ELNS1_3gpuE0ELNS1_3repE0EEENS1_38merge_mergepath_config_static_selectorELNS0_4arch9wavefront6targetE1EEEvSL_
                                        ; -- End function
	.section	.AMDGPU.csdata,"",@progbits
; Kernel info:
; codeLenInByte = 0
; NumSgprs: 4
; NumVgprs: 0
; NumAgprs: 0
; TotalNumVgprs: 0
; ScratchSize: 0
; MemoryBound: 0
; FloatMode: 240
; IeeeMode: 1
; LDSByteSize: 0 bytes/workgroup (compile time only)
; SGPRBlocks: 0
; VGPRBlocks: 0
; NumSGPRsForWavesPerEU: 4
; NumVGPRsForWavesPerEU: 1
; AccumOffset: 4
; Occupancy: 8
; WaveLimiterHint : 0
; COMPUTE_PGM_RSRC2:SCRATCH_EN: 0
; COMPUTE_PGM_RSRC2:USER_SGPR: 6
; COMPUTE_PGM_RSRC2:TRAP_HANDLER: 0
; COMPUTE_PGM_RSRC2:TGID_X_EN: 1
; COMPUTE_PGM_RSRC2:TGID_Y_EN: 0
; COMPUTE_PGM_RSRC2:TGID_Z_EN: 0
; COMPUTE_PGM_RSRC2:TIDIG_COMP_CNT: 0
; COMPUTE_PGM_RSRC3_GFX90A:ACCUM_OFFSET: 0
; COMPUTE_PGM_RSRC3_GFX90A:TG_SPLIT: 0
	.section	.text._ZN7rocprim17ROCPRIM_400000_NS6detail17trampoline_kernelINS0_14default_configENS1_38merge_sort_block_merge_config_selectorIsNS0_10empty_typeEEEZZNS1_27merge_sort_block_merge_implIS3_N6thrust23THRUST_200600_302600_NS6detail15normal_iteratorINS9_10device_ptrIsEEEEPS5_jNS1_19radix_merge_compareILb0ELb0EsNS0_19identity_decomposerEEEEE10hipError_tT0_T1_T2_jT3_P12ihipStream_tbPNSt15iterator_traitsISK_E10value_typeEPNSQ_ISL_E10value_typeEPSM_NS1_7vsmem_tEENKUlT_SK_SL_SM_E_clIPsSE_SF_SF_EESJ_SZ_SK_SL_SM_EUlSZ_E0_NS1_11comp_targetILNS1_3genE10ELNS1_11target_archE1201ELNS1_3gpuE5ELNS1_3repE0EEENS1_38merge_mergepath_config_static_selectorELNS0_4arch9wavefront6targetE1EEEvSL_,"axG",@progbits,_ZN7rocprim17ROCPRIM_400000_NS6detail17trampoline_kernelINS0_14default_configENS1_38merge_sort_block_merge_config_selectorIsNS0_10empty_typeEEEZZNS1_27merge_sort_block_merge_implIS3_N6thrust23THRUST_200600_302600_NS6detail15normal_iteratorINS9_10device_ptrIsEEEEPS5_jNS1_19radix_merge_compareILb0ELb0EsNS0_19identity_decomposerEEEEE10hipError_tT0_T1_T2_jT3_P12ihipStream_tbPNSt15iterator_traitsISK_E10value_typeEPNSQ_ISL_E10value_typeEPSM_NS1_7vsmem_tEENKUlT_SK_SL_SM_E_clIPsSE_SF_SF_EESJ_SZ_SK_SL_SM_EUlSZ_E0_NS1_11comp_targetILNS1_3genE10ELNS1_11target_archE1201ELNS1_3gpuE5ELNS1_3repE0EEENS1_38merge_mergepath_config_static_selectorELNS0_4arch9wavefront6targetE1EEEvSL_,comdat
	.protected	_ZN7rocprim17ROCPRIM_400000_NS6detail17trampoline_kernelINS0_14default_configENS1_38merge_sort_block_merge_config_selectorIsNS0_10empty_typeEEEZZNS1_27merge_sort_block_merge_implIS3_N6thrust23THRUST_200600_302600_NS6detail15normal_iteratorINS9_10device_ptrIsEEEEPS5_jNS1_19radix_merge_compareILb0ELb0EsNS0_19identity_decomposerEEEEE10hipError_tT0_T1_T2_jT3_P12ihipStream_tbPNSt15iterator_traitsISK_E10value_typeEPNSQ_ISL_E10value_typeEPSM_NS1_7vsmem_tEENKUlT_SK_SL_SM_E_clIPsSE_SF_SF_EESJ_SZ_SK_SL_SM_EUlSZ_E0_NS1_11comp_targetILNS1_3genE10ELNS1_11target_archE1201ELNS1_3gpuE5ELNS1_3repE0EEENS1_38merge_mergepath_config_static_selectorELNS0_4arch9wavefront6targetE1EEEvSL_ ; -- Begin function _ZN7rocprim17ROCPRIM_400000_NS6detail17trampoline_kernelINS0_14default_configENS1_38merge_sort_block_merge_config_selectorIsNS0_10empty_typeEEEZZNS1_27merge_sort_block_merge_implIS3_N6thrust23THRUST_200600_302600_NS6detail15normal_iteratorINS9_10device_ptrIsEEEEPS5_jNS1_19radix_merge_compareILb0ELb0EsNS0_19identity_decomposerEEEEE10hipError_tT0_T1_T2_jT3_P12ihipStream_tbPNSt15iterator_traitsISK_E10value_typeEPNSQ_ISL_E10value_typeEPSM_NS1_7vsmem_tEENKUlT_SK_SL_SM_E_clIPsSE_SF_SF_EESJ_SZ_SK_SL_SM_EUlSZ_E0_NS1_11comp_targetILNS1_3genE10ELNS1_11target_archE1201ELNS1_3gpuE5ELNS1_3repE0EEENS1_38merge_mergepath_config_static_selectorELNS0_4arch9wavefront6targetE1EEEvSL_
	.globl	_ZN7rocprim17ROCPRIM_400000_NS6detail17trampoline_kernelINS0_14default_configENS1_38merge_sort_block_merge_config_selectorIsNS0_10empty_typeEEEZZNS1_27merge_sort_block_merge_implIS3_N6thrust23THRUST_200600_302600_NS6detail15normal_iteratorINS9_10device_ptrIsEEEEPS5_jNS1_19radix_merge_compareILb0ELb0EsNS0_19identity_decomposerEEEEE10hipError_tT0_T1_T2_jT3_P12ihipStream_tbPNSt15iterator_traitsISK_E10value_typeEPNSQ_ISL_E10value_typeEPSM_NS1_7vsmem_tEENKUlT_SK_SL_SM_E_clIPsSE_SF_SF_EESJ_SZ_SK_SL_SM_EUlSZ_E0_NS1_11comp_targetILNS1_3genE10ELNS1_11target_archE1201ELNS1_3gpuE5ELNS1_3repE0EEENS1_38merge_mergepath_config_static_selectorELNS0_4arch9wavefront6targetE1EEEvSL_
	.p2align	8
	.type	_ZN7rocprim17ROCPRIM_400000_NS6detail17trampoline_kernelINS0_14default_configENS1_38merge_sort_block_merge_config_selectorIsNS0_10empty_typeEEEZZNS1_27merge_sort_block_merge_implIS3_N6thrust23THRUST_200600_302600_NS6detail15normal_iteratorINS9_10device_ptrIsEEEEPS5_jNS1_19radix_merge_compareILb0ELb0EsNS0_19identity_decomposerEEEEE10hipError_tT0_T1_T2_jT3_P12ihipStream_tbPNSt15iterator_traitsISK_E10value_typeEPNSQ_ISL_E10value_typeEPSM_NS1_7vsmem_tEENKUlT_SK_SL_SM_E_clIPsSE_SF_SF_EESJ_SZ_SK_SL_SM_EUlSZ_E0_NS1_11comp_targetILNS1_3genE10ELNS1_11target_archE1201ELNS1_3gpuE5ELNS1_3repE0EEENS1_38merge_mergepath_config_static_selectorELNS0_4arch9wavefront6targetE1EEEvSL_,@function
_ZN7rocprim17ROCPRIM_400000_NS6detail17trampoline_kernelINS0_14default_configENS1_38merge_sort_block_merge_config_selectorIsNS0_10empty_typeEEEZZNS1_27merge_sort_block_merge_implIS3_N6thrust23THRUST_200600_302600_NS6detail15normal_iteratorINS9_10device_ptrIsEEEEPS5_jNS1_19radix_merge_compareILb0ELb0EsNS0_19identity_decomposerEEEEE10hipError_tT0_T1_T2_jT3_P12ihipStream_tbPNSt15iterator_traitsISK_E10value_typeEPNSQ_ISL_E10value_typeEPSM_NS1_7vsmem_tEENKUlT_SK_SL_SM_E_clIPsSE_SF_SF_EESJ_SZ_SK_SL_SM_EUlSZ_E0_NS1_11comp_targetILNS1_3genE10ELNS1_11target_archE1201ELNS1_3gpuE5ELNS1_3repE0EEENS1_38merge_mergepath_config_static_selectorELNS0_4arch9wavefront6targetE1EEEvSL_: ; @_ZN7rocprim17ROCPRIM_400000_NS6detail17trampoline_kernelINS0_14default_configENS1_38merge_sort_block_merge_config_selectorIsNS0_10empty_typeEEEZZNS1_27merge_sort_block_merge_implIS3_N6thrust23THRUST_200600_302600_NS6detail15normal_iteratorINS9_10device_ptrIsEEEEPS5_jNS1_19radix_merge_compareILb0ELb0EsNS0_19identity_decomposerEEEEE10hipError_tT0_T1_T2_jT3_P12ihipStream_tbPNSt15iterator_traitsISK_E10value_typeEPNSQ_ISL_E10value_typeEPSM_NS1_7vsmem_tEENKUlT_SK_SL_SM_E_clIPsSE_SF_SF_EESJ_SZ_SK_SL_SM_EUlSZ_E0_NS1_11comp_targetILNS1_3genE10ELNS1_11target_archE1201ELNS1_3gpuE5ELNS1_3repE0EEENS1_38merge_mergepath_config_static_selectorELNS0_4arch9wavefront6targetE1EEEvSL_
; %bb.0:
	.section	.rodata,"a",@progbits
	.p2align	6, 0x0
	.amdhsa_kernel _ZN7rocprim17ROCPRIM_400000_NS6detail17trampoline_kernelINS0_14default_configENS1_38merge_sort_block_merge_config_selectorIsNS0_10empty_typeEEEZZNS1_27merge_sort_block_merge_implIS3_N6thrust23THRUST_200600_302600_NS6detail15normal_iteratorINS9_10device_ptrIsEEEEPS5_jNS1_19radix_merge_compareILb0ELb0EsNS0_19identity_decomposerEEEEE10hipError_tT0_T1_T2_jT3_P12ihipStream_tbPNSt15iterator_traitsISK_E10value_typeEPNSQ_ISL_E10value_typeEPSM_NS1_7vsmem_tEENKUlT_SK_SL_SM_E_clIPsSE_SF_SF_EESJ_SZ_SK_SL_SM_EUlSZ_E0_NS1_11comp_targetILNS1_3genE10ELNS1_11target_archE1201ELNS1_3gpuE5ELNS1_3repE0EEENS1_38merge_mergepath_config_static_selectorELNS0_4arch9wavefront6targetE1EEEvSL_
		.amdhsa_group_segment_fixed_size 0
		.amdhsa_private_segment_fixed_size 0
		.amdhsa_kernarg_size 64
		.amdhsa_user_sgpr_count 6
		.amdhsa_user_sgpr_private_segment_buffer 1
		.amdhsa_user_sgpr_dispatch_ptr 0
		.amdhsa_user_sgpr_queue_ptr 0
		.amdhsa_user_sgpr_kernarg_segment_ptr 1
		.amdhsa_user_sgpr_dispatch_id 0
		.amdhsa_user_sgpr_flat_scratch_init 0
		.amdhsa_user_sgpr_kernarg_preload_length 0
		.amdhsa_user_sgpr_kernarg_preload_offset 0
		.amdhsa_user_sgpr_private_segment_size 0
		.amdhsa_uses_dynamic_stack 0
		.amdhsa_system_sgpr_private_segment_wavefront_offset 0
		.amdhsa_system_sgpr_workgroup_id_x 1
		.amdhsa_system_sgpr_workgroup_id_y 0
		.amdhsa_system_sgpr_workgroup_id_z 0
		.amdhsa_system_sgpr_workgroup_info 0
		.amdhsa_system_vgpr_workitem_id 0
		.amdhsa_next_free_vgpr 1
		.amdhsa_next_free_sgpr 0
		.amdhsa_accum_offset 4
		.amdhsa_reserve_vcc 0
		.amdhsa_reserve_flat_scratch 0
		.amdhsa_float_round_mode_32 0
		.amdhsa_float_round_mode_16_64 0
		.amdhsa_float_denorm_mode_32 3
		.amdhsa_float_denorm_mode_16_64 3
		.amdhsa_dx10_clamp 1
		.amdhsa_ieee_mode 1
		.amdhsa_fp16_overflow 0
		.amdhsa_tg_split 0
		.amdhsa_exception_fp_ieee_invalid_op 0
		.amdhsa_exception_fp_denorm_src 0
		.amdhsa_exception_fp_ieee_div_zero 0
		.amdhsa_exception_fp_ieee_overflow 0
		.amdhsa_exception_fp_ieee_underflow 0
		.amdhsa_exception_fp_ieee_inexact 0
		.amdhsa_exception_int_div_zero 0
	.end_amdhsa_kernel
	.section	.text._ZN7rocprim17ROCPRIM_400000_NS6detail17trampoline_kernelINS0_14default_configENS1_38merge_sort_block_merge_config_selectorIsNS0_10empty_typeEEEZZNS1_27merge_sort_block_merge_implIS3_N6thrust23THRUST_200600_302600_NS6detail15normal_iteratorINS9_10device_ptrIsEEEEPS5_jNS1_19radix_merge_compareILb0ELb0EsNS0_19identity_decomposerEEEEE10hipError_tT0_T1_T2_jT3_P12ihipStream_tbPNSt15iterator_traitsISK_E10value_typeEPNSQ_ISL_E10value_typeEPSM_NS1_7vsmem_tEENKUlT_SK_SL_SM_E_clIPsSE_SF_SF_EESJ_SZ_SK_SL_SM_EUlSZ_E0_NS1_11comp_targetILNS1_3genE10ELNS1_11target_archE1201ELNS1_3gpuE5ELNS1_3repE0EEENS1_38merge_mergepath_config_static_selectorELNS0_4arch9wavefront6targetE1EEEvSL_,"axG",@progbits,_ZN7rocprim17ROCPRIM_400000_NS6detail17trampoline_kernelINS0_14default_configENS1_38merge_sort_block_merge_config_selectorIsNS0_10empty_typeEEEZZNS1_27merge_sort_block_merge_implIS3_N6thrust23THRUST_200600_302600_NS6detail15normal_iteratorINS9_10device_ptrIsEEEEPS5_jNS1_19radix_merge_compareILb0ELb0EsNS0_19identity_decomposerEEEEE10hipError_tT0_T1_T2_jT3_P12ihipStream_tbPNSt15iterator_traitsISK_E10value_typeEPNSQ_ISL_E10value_typeEPSM_NS1_7vsmem_tEENKUlT_SK_SL_SM_E_clIPsSE_SF_SF_EESJ_SZ_SK_SL_SM_EUlSZ_E0_NS1_11comp_targetILNS1_3genE10ELNS1_11target_archE1201ELNS1_3gpuE5ELNS1_3repE0EEENS1_38merge_mergepath_config_static_selectorELNS0_4arch9wavefront6targetE1EEEvSL_,comdat
.Lfunc_end1827:
	.size	_ZN7rocprim17ROCPRIM_400000_NS6detail17trampoline_kernelINS0_14default_configENS1_38merge_sort_block_merge_config_selectorIsNS0_10empty_typeEEEZZNS1_27merge_sort_block_merge_implIS3_N6thrust23THRUST_200600_302600_NS6detail15normal_iteratorINS9_10device_ptrIsEEEEPS5_jNS1_19radix_merge_compareILb0ELb0EsNS0_19identity_decomposerEEEEE10hipError_tT0_T1_T2_jT3_P12ihipStream_tbPNSt15iterator_traitsISK_E10value_typeEPNSQ_ISL_E10value_typeEPSM_NS1_7vsmem_tEENKUlT_SK_SL_SM_E_clIPsSE_SF_SF_EESJ_SZ_SK_SL_SM_EUlSZ_E0_NS1_11comp_targetILNS1_3genE10ELNS1_11target_archE1201ELNS1_3gpuE5ELNS1_3repE0EEENS1_38merge_mergepath_config_static_selectorELNS0_4arch9wavefront6targetE1EEEvSL_, .Lfunc_end1827-_ZN7rocprim17ROCPRIM_400000_NS6detail17trampoline_kernelINS0_14default_configENS1_38merge_sort_block_merge_config_selectorIsNS0_10empty_typeEEEZZNS1_27merge_sort_block_merge_implIS3_N6thrust23THRUST_200600_302600_NS6detail15normal_iteratorINS9_10device_ptrIsEEEEPS5_jNS1_19radix_merge_compareILb0ELb0EsNS0_19identity_decomposerEEEEE10hipError_tT0_T1_T2_jT3_P12ihipStream_tbPNSt15iterator_traitsISK_E10value_typeEPNSQ_ISL_E10value_typeEPSM_NS1_7vsmem_tEENKUlT_SK_SL_SM_E_clIPsSE_SF_SF_EESJ_SZ_SK_SL_SM_EUlSZ_E0_NS1_11comp_targetILNS1_3genE10ELNS1_11target_archE1201ELNS1_3gpuE5ELNS1_3repE0EEENS1_38merge_mergepath_config_static_selectorELNS0_4arch9wavefront6targetE1EEEvSL_
                                        ; -- End function
	.section	.AMDGPU.csdata,"",@progbits
; Kernel info:
; codeLenInByte = 0
; NumSgprs: 4
; NumVgprs: 0
; NumAgprs: 0
; TotalNumVgprs: 0
; ScratchSize: 0
; MemoryBound: 0
; FloatMode: 240
; IeeeMode: 1
; LDSByteSize: 0 bytes/workgroup (compile time only)
; SGPRBlocks: 0
; VGPRBlocks: 0
; NumSGPRsForWavesPerEU: 4
; NumVGPRsForWavesPerEU: 1
; AccumOffset: 4
; Occupancy: 8
; WaveLimiterHint : 0
; COMPUTE_PGM_RSRC2:SCRATCH_EN: 0
; COMPUTE_PGM_RSRC2:USER_SGPR: 6
; COMPUTE_PGM_RSRC2:TRAP_HANDLER: 0
; COMPUTE_PGM_RSRC2:TGID_X_EN: 1
; COMPUTE_PGM_RSRC2:TGID_Y_EN: 0
; COMPUTE_PGM_RSRC2:TGID_Z_EN: 0
; COMPUTE_PGM_RSRC2:TIDIG_COMP_CNT: 0
; COMPUTE_PGM_RSRC3_GFX90A:ACCUM_OFFSET: 0
; COMPUTE_PGM_RSRC3_GFX90A:TG_SPLIT: 0
	.section	.text._ZN7rocprim17ROCPRIM_400000_NS6detail17trampoline_kernelINS0_14default_configENS1_38merge_sort_block_merge_config_selectorIsNS0_10empty_typeEEEZZNS1_27merge_sort_block_merge_implIS3_N6thrust23THRUST_200600_302600_NS6detail15normal_iteratorINS9_10device_ptrIsEEEEPS5_jNS1_19radix_merge_compareILb0ELb0EsNS0_19identity_decomposerEEEEE10hipError_tT0_T1_T2_jT3_P12ihipStream_tbPNSt15iterator_traitsISK_E10value_typeEPNSQ_ISL_E10value_typeEPSM_NS1_7vsmem_tEENKUlT_SK_SL_SM_E_clIPsSE_SF_SF_EESJ_SZ_SK_SL_SM_EUlSZ_E0_NS1_11comp_targetILNS1_3genE5ELNS1_11target_archE942ELNS1_3gpuE9ELNS1_3repE0EEENS1_38merge_mergepath_config_static_selectorELNS0_4arch9wavefront6targetE1EEEvSL_,"axG",@progbits,_ZN7rocprim17ROCPRIM_400000_NS6detail17trampoline_kernelINS0_14default_configENS1_38merge_sort_block_merge_config_selectorIsNS0_10empty_typeEEEZZNS1_27merge_sort_block_merge_implIS3_N6thrust23THRUST_200600_302600_NS6detail15normal_iteratorINS9_10device_ptrIsEEEEPS5_jNS1_19radix_merge_compareILb0ELb0EsNS0_19identity_decomposerEEEEE10hipError_tT0_T1_T2_jT3_P12ihipStream_tbPNSt15iterator_traitsISK_E10value_typeEPNSQ_ISL_E10value_typeEPSM_NS1_7vsmem_tEENKUlT_SK_SL_SM_E_clIPsSE_SF_SF_EESJ_SZ_SK_SL_SM_EUlSZ_E0_NS1_11comp_targetILNS1_3genE5ELNS1_11target_archE942ELNS1_3gpuE9ELNS1_3repE0EEENS1_38merge_mergepath_config_static_selectorELNS0_4arch9wavefront6targetE1EEEvSL_,comdat
	.protected	_ZN7rocprim17ROCPRIM_400000_NS6detail17trampoline_kernelINS0_14default_configENS1_38merge_sort_block_merge_config_selectorIsNS0_10empty_typeEEEZZNS1_27merge_sort_block_merge_implIS3_N6thrust23THRUST_200600_302600_NS6detail15normal_iteratorINS9_10device_ptrIsEEEEPS5_jNS1_19radix_merge_compareILb0ELb0EsNS0_19identity_decomposerEEEEE10hipError_tT0_T1_T2_jT3_P12ihipStream_tbPNSt15iterator_traitsISK_E10value_typeEPNSQ_ISL_E10value_typeEPSM_NS1_7vsmem_tEENKUlT_SK_SL_SM_E_clIPsSE_SF_SF_EESJ_SZ_SK_SL_SM_EUlSZ_E0_NS1_11comp_targetILNS1_3genE5ELNS1_11target_archE942ELNS1_3gpuE9ELNS1_3repE0EEENS1_38merge_mergepath_config_static_selectorELNS0_4arch9wavefront6targetE1EEEvSL_ ; -- Begin function _ZN7rocprim17ROCPRIM_400000_NS6detail17trampoline_kernelINS0_14default_configENS1_38merge_sort_block_merge_config_selectorIsNS0_10empty_typeEEEZZNS1_27merge_sort_block_merge_implIS3_N6thrust23THRUST_200600_302600_NS6detail15normal_iteratorINS9_10device_ptrIsEEEEPS5_jNS1_19radix_merge_compareILb0ELb0EsNS0_19identity_decomposerEEEEE10hipError_tT0_T1_T2_jT3_P12ihipStream_tbPNSt15iterator_traitsISK_E10value_typeEPNSQ_ISL_E10value_typeEPSM_NS1_7vsmem_tEENKUlT_SK_SL_SM_E_clIPsSE_SF_SF_EESJ_SZ_SK_SL_SM_EUlSZ_E0_NS1_11comp_targetILNS1_3genE5ELNS1_11target_archE942ELNS1_3gpuE9ELNS1_3repE0EEENS1_38merge_mergepath_config_static_selectorELNS0_4arch9wavefront6targetE1EEEvSL_
	.globl	_ZN7rocprim17ROCPRIM_400000_NS6detail17trampoline_kernelINS0_14default_configENS1_38merge_sort_block_merge_config_selectorIsNS0_10empty_typeEEEZZNS1_27merge_sort_block_merge_implIS3_N6thrust23THRUST_200600_302600_NS6detail15normal_iteratorINS9_10device_ptrIsEEEEPS5_jNS1_19radix_merge_compareILb0ELb0EsNS0_19identity_decomposerEEEEE10hipError_tT0_T1_T2_jT3_P12ihipStream_tbPNSt15iterator_traitsISK_E10value_typeEPNSQ_ISL_E10value_typeEPSM_NS1_7vsmem_tEENKUlT_SK_SL_SM_E_clIPsSE_SF_SF_EESJ_SZ_SK_SL_SM_EUlSZ_E0_NS1_11comp_targetILNS1_3genE5ELNS1_11target_archE942ELNS1_3gpuE9ELNS1_3repE0EEENS1_38merge_mergepath_config_static_selectorELNS0_4arch9wavefront6targetE1EEEvSL_
	.p2align	8
	.type	_ZN7rocprim17ROCPRIM_400000_NS6detail17trampoline_kernelINS0_14default_configENS1_38merge_sort_block_merge_config_selectorIsNS0_10empty_typeEEEZZNS1_27merge_sort_block_merge_implIS3_N6thrust23THRUST_200600_302600_NS6detail15normal_iteratorINS9_10device_ptrIsEEEEPS5_jNS1_19radix_merge_compareILb0ELb0EsNS0_19identity_decomposerEEEEE10hipError_tT0_T1_T2_jT3_P12ihipStream_tbPNSt15iterator_traitsISK_E10value_typeEPNSQ_ISL_E10value_typeEPSM_NS1_7vsmem_tEENKUlT_SK_SL_SM_E_clIPsSE_SF_SF_EESJ_SZ_SK_SL_SM_EUlSZ_E0_NS1_11comp_targetILNS1_3genE5ELNS1_11target_archE942ELNS1_3gpuE9ELNS1_3repE0EEENS1_38merge_mergepath_config_static_selectorELNS0_4arch9wavefront6targetE1EEEvSL_,@function
_ZN7rocprim17ROCPRIM_400000_NS6detail17trampoline_kernelINS0_14default_configENS1_38merge_sort_block_merge_config_selectorIsNS0_10empty_typeEEEZZNS1_27merge_sort_block_merge_implIS3_N6thrust23THRUST_200600_302600_NS6detail15normal_iteratorINS9_10device_ptrIsEEEEPS5_jNS1_19radix_merge_compareILb0ELb0EsNS0_19identity_decomposerEEEEE10hipError_tT0_T1_T2_jT3_P12ihipStream_tbPNSt15iterator_traitsISK_E10value_typeEPNSQ_ISL_E10value_typeEPSM_NS1_7vsmem_tEENKUlT_SK_SL_SM_E_clIPsSE_SF_SF_EESJ_SZ_SK_SL_SM_EUlSZ_E0_NS1_11comp_targetILNS1_3genE5ELNS1_11target_archE942ELNS1_3gpuE9ELNS1_3repE0EEENS1_38merge_mergepath_config_static_selectorELNS0_4arch9wavefront6targetE1EEEvSL_: ; @_ZN7rocprim17ROCPRIM_400000_NS6detail17trampoline_kernelINS0_14default_configENS1_38merge_sort_block_merge_config_selectorIsNS0_10empty_typeEEEZZNS1_27merge_sort_block_merge_implIS3_N6thrust23THRUST_200600_302600_NS6detail15normal_iteratorINS9_10device_ptrIsEEEEPS5_jNS1_19radix_merge_compareILb0ELb0EsNS0_19identity_decomposerEEEEE10hipError_tT0_T1_T2_jT3_P12ihipStream_tbPNSt15iterator_traitsISK_E10value_typeEPNSQ_ISL_E10value_typeEPSM_NS1_7vsmem_tEENKUlT_SK_SL_SM_E_clIPsSE_SF_SF_EESJ_SZ_SK_SL_SM_EUlSZ_E0_NS1_11comp_targetILNS1_3genE5ELNS1_11target_archE942ELNS1_3gpuE9ELNS1_3repE0EEENS1_38merge_mergepath_config_static_selectorELNS0_4arch9wavefront6targetE1EEEvSL_
; %bb.0:
	.section	.rodata,"a",@progbits
	.p2align	6, 0x0
	.amdhsa_kernel _ZN7rocprim17ROCPRIM_400000_NS6detail17trampoline_kernelINS0_14default_configENS1_38merge_sort_block_merge_config_selectorIsNS0_10empty_typeEEEZZNS1_27merge_sort_block_merge_implIS3_N6thrust23THRUST_200600_302600_NS6detail15normal_iteratorINS9_10device_ptrIsEEEEPS5_jNS1_19radix_merge_compareILb0ELb0EsNS0_19identity_decomposerEEEEE10hipError_tT0_T1_T2_jT3_P12ihipStream_tbPNSt15iterator_traitsISK_E10value_typeEPNSQ_ISL_E10value_typeEPSM_NS1_7vsmem_tEENKUlT_SK_SL_SM_E_clIPsSE_SF_SF_EESJ_SZ_SK_SL_SM_EUlSZ_E0_NS1_11comp_targetILNS1_3genE5ELNS1_11target_archE942ELNS1_3gpuE9ELNS1_3repE0EEENS1_38merge_mergepath_config_static_selectorELNS0_4arch9wavefront6targetE1EEEvSL_
		.amdhsa_group_segment_fixed_size 0
		.amdhsa_private_segment_fixed_size 0
		.amdhsa_kernarg_size 64
		.amdhsa_user_sgpr_count 6
		.amdhsa_user_sgpr_private_segment_buffer 1
		.amdhsa_user_sgpr_dispatch_ptr 0
		.amdhsa_user_sgpr_queue_ptr 0
		.amdhsa_user_sgpr_kernarg_segment_ptr 1
		.amdhsa_user_sgpr_dispatch_id 0
		.amdhsa_user_sgpr_flat_scratch_init 0
		.amdhsa_user_sgpr_kernarg_preload_length 0
		.amdhsa_user_sgpr_kernarg_preload_offset 0
		.amdhsa_user_sgpr_private_segment_size 0
		.amdhsa_uses_dynamic_stack 0
		.amdhsa_system_sgpr_private_segment_wavefront_offset 0
		.amdhsa_system_sgpr_workgroup_id_x 1
		.amdhsa_system_sgpr_workgroup_id_y 0
		.amdhsa_system_sgpr_workgroup_id_z 0
		.amdhsa_system_sgpr_workgroup_info 0
		.amdhsa_system_vgpr_workitem_id 0
		.amdhsa_next_free_vgpr 1
		.amdhsa_next_free_sgpr 0
		.amdhsa_accum_offset 4
		.amdhsa_reserve_vcc 0
		.amdhsa_reserve_flat_scratch 0
		.amdhsa_float_round_mode_32 0
		.amdhsa_float_round_mode_16_64 0
		.amdhsa_float_denorm_mode_32 3
		.amdhsa_float_denorm_mode_16_64 3
		.amdhsa_dx10_clamp 1
		.amdhsa_ieee_mode 1
		.amdhsa_fp16_overflow 0
		.amdhsa_tg_split 0
		.amdhsa_exception_fp_ieee_invalid_op 0
		.amdhsa_exception_fp_denorm_src 0
		.amdhsa_exception_fp_ieee_div_zero 0
		.amdhsa_exception_fp_ieee_overflow 0
		.amdhsa_exception_fp_ieee_underflow 0
		.amdhsa_exception_fp_ieee_inexact 0
		.amdhsa_exception_int_div_zero 0
	.end_amdhsa_kernel
	.section	.text._ZN7rocprim17ROCPRIM_400000_NS6detail17trampoline_kernelINS0_14default_configENS1_38merge_sort_block_merge_config_selectorIsNS0_10empty_typeEEEZZNS1_27merge_sort_block_merge_implIS3_N6thrust23THRUST_200600_302600_NS6detail15normal_iteratorINS9_10device_ptrIsEEEEPS5_jNS1_19radix_merge_compareILb0ELb0EsNS0_19identity_decomposerEEEEE10hipError_tT0_T1_T2_jT3_P12ihipStream_tbPNSt15iterator_traitsISK_E10value_typeEPNSQ_ISL_E10value_typeEPSM_NS1_7vsmem_tEENKUlT_SK_SL_SM_E_clIPsSE_SF_SF_EESJ_SZ_SK_SL_SM_EUlSZ_E0_NS1_11comp_targetILNS1_3genE5ELNS1_11target_archE942ELNS1_3gpuE9ELNS1_3repE0EEENS1_38merge_mergepath_config_static_selectorELNS0_4arch9wavefront6targetE1EEEvSL_,"axG",@progbits,_ZN7rocprim17ROCPRIM_400000_NS6detail17trampoline_kernelINS0_14default_configENS1_38merge_sort_block_merge_config_selectorIsNS0_10empty_typeEEEZZNS1_27merge_sort_block_merge_implIS3_N6thrust23THRUST_200600_302600_NS6detail15normal_iteratorINS9_10device_ptrIsEEEEPS5_jNS1_19radix_merge_compareILb0ELb0EsNS0_19identity_decomposerEEEEE10hipError_tT0_T1_T2_jT3_P12ihipStream_tbPNSt15iterator_traitsISK_E10value_typeEPNSQ_ISL_E10value_typeEPSM_NS1_7vsmem_tEENKUlT_SK_SL_SM_E_clIPsSE_SF_SF_EESJ_SZ_SK_SL_SM_EUlSZ_E0_NS1_11comp_targetILNS1_3genE5ELNS1_11target_archE942ELNS1_3gpuE9ELNS1_3repE0EEENS1_38merge_mergepath_config_static_selectorELNS0_4arch9wavefront6targetE1EEEvSL_,comdat
.Lfunc_end1828:
	.size	_ZN7rocprim17ROCPRIM_400000_NS6detail17trampoline_kernelINS0_14default_configENS1_38merge_sort_block_merge_config_selectorIsNS0_10empty_typeEEEZZNS1_27merge_sort_block_merge_implIS3_N6thrust23THRUST_200600_302600_NS6detail15normal_iteratorINS9_10device_ptrIsEEEEPS5_jNS1_19radix_merge_compareILb0ELb0EsNS0_19identity_decomposerEEEEE10hipError_tT0_T1_T2_jT3_P12ihipStream_tbPNSt15iterator_traitsISK_E10value_typeEPNSQ_ISL_E10value_typeEPSM_NS1_7vsmem_tEENKUlT_SK_SL_SM_E_clIPsSE_SF_SF_EESJ_SZ_SK_SL_SM_EUlSZ_E0_NS1_11comp_targetILNS1_3genE5ELNS1_11target_archE942ELNS1_3gpuE9ELNS1_3repE0EEENS1_38merge_mergepath_config_static_selectorELNS0_4arch9wavefront6targetE1EEEvSL_, .Lfunc_end1828-_ZN7rocprim17ROCPRIM_400000_NS6detail17trampoline_kernelINS0_14default_configENS1_38merge_sort_block_merge_config_selectorIsNS0_10empty_typeEEEZZNS1_27merge_sort_block_merge_implIS3_N6thrust23THRUST_200600_302600_NS6detail15normal_iteratorINS9_10device_ptrIsEEEEPS5_jNS1_19radix_merge_compareILb0ELb0EsNS0_19identity_decomposerEEEEE10hipError_tT0_T1_T2_jT3_P12ihipStream_tbPNSt15iterator_traitsISK_E10value_typeEPNSQ_ISL_E10value_typeEPSM_NS1_7vsmem_tEENKUlT_SK_SL_SM_E_clIPsSE_SF_SF_EESJ_SZ_SK_SL_SM_EUlSZ_E0_NS1_11comp_targetILNS1_3genE5ELNS1_11target_archE942ELNS1_3gpuE9ELNS1_3repE0EEENS1_38merge_mergepath_config_static_selectorELNS0_4arch9wavefront6targetE1EEEvSL_
                                        ; -- End function
	.section	.AMDGPU.csdata,"",@progbits
; Kernel info:
; codeLenInByte = 0
; NumSgprs: 4
; NumVgprs: 0
; NumAgprs: 0
; TotalNumVgprs: 0
; ScratchSize: 0
; MemoryBound: 0
; FloatMode: 240
; IeeeMode: 1
; LDSByteSize: 0 bytes/workgroup (compile time only)
; SGPRBlocks: 0
; VGPRBlocks: 0
; NumSGPRsForWavesPerEU: 4
; NumVGPRsForWavesPerEU: 1
; AccumOffset: 4
; Occupancy: 8
; WaveLimiterHint : 0
; COMPUTE_PGM_RSRC2:SCRATCH_EN: 0
; COMPUTE_PGM_RSRC2:USER_SGPR: 6
; COMPUTE_PGM_RSRC2:TRAP_HANDLER: 0
; COMPUTE_PGM_RSRC2:TGID_X_EN: 1
; COMPUTE_PGM_RSRC2:TGID_Y_EN: 0
; COMPUTE_PGM_RSRC2:TGID_Z_EN: 0
; COMPUTE_PGM_RSRC2:TIDIG_COMP_CNT: 0
; COMPUTE_PGM_RSRC3_GFX90A:ACCUM_OFFSET: 0
; COMPUTE_PGM_RSRC3_GFX90A:TG_SPLIT: 0
	.section	.text._ZN7rocprim17ROCPRIM_400000_NS6detail17trampoline_kernelINS0_14default_configENS1_38merge_sort_block_merge_config_selectorIsNS0_10empty_typeEEEZZNS1_27merge_sort_block_merge_implIS3_N6thrust23THRUST_200600_302600_NS6detail15normal_iteratorINS9_10device_ptrIsEEEEPS5_jNS1_19radix_merge_compareILb0ELb0EsNS0_19identity_decomposerEEEEE10hipError_tT0_T1_T2_jT3_P12ihipStream_tbPNSt15iterator_traitsISK_E10value_typeEPNSQ_ISL_E10value_typeEPSM_NS1_7vsmem_tEENKUlT_SK_SL_SM_E_clIPsSE_SF_SF_EESJ_SZ_SK_SL_SM_EUlSZ_E0_NS1_11comp_targetILNS1_3genE4ELNS1_11target_archE910ELNS1_3gpuE8ELNS1_3repE0EEENS1_38merge_mergepath_config_static_selectorELNS0_4arch9wavefront6targetE1EEEvSL_,"axG",@progbits,_ZN7rocprim17ROCPRIM_400000_NS6detail17trampoline_kernelINS0_14default_configENS1_38merge_sort_block_merge_config_selectorIsNS0_10empty_typeEEEZZNS1_27merge_sort_block_merge_implIS3_N6thrust23THRUST_200600_302600_NS6detail15normal_iteratorINS9_10device_ptrIsEEEEPS5_jNS1_19radix_merge_compareILb0ELb0EsNS0_19identity_decomposerEEEEE10hipError_tT0_T1_T2_jT3_P12ihipStream_tbPNSt15iterator_traitsISK_E10value_typeEPNSQ_ISL_E10value_typeEPSM_NS1_7vsmem_tEENKUlT_SK_SL_SM_E_clIPsSE_SF_SF_EESJ_SZ_SK_SL_SM_EUlSZ_E0_NS1_11comp_targetILNS1_3genE4ELNS1_11target_archE910ELNS1_3gpuE8ELNS1_3repE0EEENS1_38merge_mergepath_config_static_selectorELNS0_4arch9wavefront6targetE1EEEvSL_,comdat
	.protected	_ZN7rocprim17ROCPRIM_400000_NS6detail17trampoline_kernelINS0_14default_configENS1_38merge_sort_block_merge_config_selectorIsNS0_10empty_typeEEEZZNS1_27merge_sort_block_merge_implIS3_N6thrust23THRUST_200600_302600_NS6detail15normal_iteratorINS9_10device_ptrIsEEEEPS5_jNS1_19radix_merge_compareILb0ELb0EsNS0_19identity_decomposerEEEEE10hipError_tT0_T1_T2_jT3_P12ihipStream_tbPNSt15iterator_traitsISK_E10value_typeEPNSQ_ISL_E10value_typeEPSM_NS1_7vsmem_tEENKUlT_SK_SL_SM_E_clIPsSE_SF_SF_EESJ_SZ_SK_SL_SM_EUlSZ_E0_NS1_11comp_targetILNS1_3genE4ELNS1_11target_archE910ELNS1_3gpuE8ELNS1_3repE0EEENS1_38merge_mergepath_config_static_selectorELNS0_4arch9wavefront6targetE1EEEvSL_ ; -- Begin function _ZN7rocprim17ROCPRIM_400000_NS6detail17trampoline_kernelINS0_14default_configENS1_38merge_sort_block_merge_config_selectorIsNS0_10empty_typeEEEZZNS1_27merge_sort_block_merge_implIS3_N6thrust23THRUST_200600_302600_NS6detail15normal_iteratorINS9_10device_ptrIsEEEEPS5_jNS1_19radix_merge_compareILb0ELb0EsNS0_19identity_decomposerEEEEE10hipError_tT0_T1_T2_jT3_P12ihipStream_tbPNSt15iterator_traitsISK_E10value_typeEPNSQ_ISL_E10value_typeEPSM_NS1_7vsmem_tEENKUlT_SK_SL_SM_E_clIPsSE_SF_SF_EESJ_SZ_SK_SL_SM_EUlSZ_E0_NS1_11comp_targetILNS1_3genE4ELNS1_11target_archE910ELNS1_3gpuE8ELNS1_3repE0EEENS1_38merge_mergepath_config_static_selectorELNS0_4arch9wavefront6targetE1EEEvSL_
	.globl	_ZN7rocprim17ROCPRIM_400000_NS6detail17trampoline_kernelINS0_14default_configENS1_38merge_sort_block_merge_config_selectorIsNS0_10empty_typeEEEZZNS1_27merge_sort_block_merge_implIS3_N6thrust23THRUST_200600_302600_NS6detail15normal_iteratorINS9_10device_ptrIsEEEEPS5_jNS1_19radix_merge_compareILb0ELb0EsNS0_19identity_decomposerEEEEE10hipError_tT0_T1_T2_jT3_P12ihipStream_tbPNSt15iterator_traitsISK_E10value_typeEPNSQ_ISL_E10value_typeEPSM_NS1_7vsmem_tEENKUlT_SK_SL_SM_E_clIPsSE_SF_SF_EESJ_SZ_SK_SL_SM_EUlSZ_E0_NS1_11comp_targetILNS1_3genE4ELNS1_11target_archE910ELNS1_3gpuE8ELNS1_3repE0EEENS1_38merge_mergepath_config_static_selectorELNS0_4arch9wavefront6targetE1EEEvSL_
	.p2align	8
	.type	_ZN7rocprim17ROCPRIM_400000_NS6detail17trampoline_kernelINS0_14default_configENS1_38merge_sort_block_merge_config_selectorIsNS0_10empty_typeEEEZZNS1_27merge_sort_block_merge_implIS3_N6thrust23THRUST_200600_302600_NS6detail15normal_iteratorINS9_10device_ptrIsEEEEPS5_jNS1_19radix_merge_compareILb0ELb0EsNS0_19identity_decomposerEEEEE10hipError_tT0_T1_T2_jT3_P12ihipStream_tbPNSt15iterator_traitsISK_E10value_typeEPNSQ_ISL_E10value_typeEPSM_NS1_7vsmem_tEENKUlT_SK_SL_SM_E_clIPsSE_SF_SF_EESJ_SZ_SK_SL_SM_EUlSZ_E0_NS1_11comp_targetILNS1_3genE4ELNS1_11target_archE910ELNS1_3gpuE8ELNS1_3repE0EEENS1_38merge_mergepath_config_static_selectorELNS0_4arch9wavefront6targetE1EEEvSL_,@function
_ZN7rocprim17ROCPRIM_400000_NS6detail17trampoline_kernelINS0_14default_configENS1_38merge_sort_block_merge_config_selectorIsNS0_10empty_typeEEEZZNS1_27merge_sort_block_merge_implIS3_N6thrust23THRUST_200600_302600_NS6detail15normal_iteratorINS9_10device_ptrIsEEEEPS5_jNS1_19radix_merge_compareILb0ELb0EsNS0_19identity_decomposerEEEEE10hipError_tT0_T1_T2_jT3_P12ihipStream_tbPNSt15iterator_traitsISK_E10value_typeEPNSQ_ISL_E10value_typeEPSM_NS1_7vsmem_tEENKUlT_SK_SL_SM_E_clIPsSE_SF_SF_EESJ_SZ_SK_SL_SM_EUlSZ_E0_NS1_11comp_targetILNS1_3genE4ELNS1_11target_archE910ELNS1_3gpuE8ELNS1_3repE0EEENS1_38merge_mergepath_config_static_selectorELNS0_4arch9wavefront6targetE1EEEvSL_: ; @_ZN7rocprim17ROCPRIM_400000_NS6detail17trampoline_kernelINS0_14default_configENS1_38merge_sort_block_merge_config_selectorIsNS0_10empty_typeEEEZZNS1_27merge_sort_block_merge_implIS3_N6thrust23THRUST_200600_302600_NS6detail15normal_iteratorINS9_10device_ptrIsEEEEPS5_jNS1_19radix_merge_compareILb0ELb0EsNS0_19identity_decomposerEEEEE10hipError_tT0_T1_T2_jT3_P12ihipStream_tbPNSt15iterator_traitsISK_E10value_typeEPNSQ_ISL_E10value_typeEPSM_NS1_7vsmem_tEENKUlT_SK_SL_SM_E_clIPsSE_SF_SF_EESJ_SZ_SK_SL_SM_EUlSZ_E0_NS1_11comp_targetILNS1_3genE4ELNS1_11target_archE910ELNS1_3gpuE8ELNS1_3repE0EEENS1_38merge_mergepath_config_static_selectorELNS0_4arch9wavefront6targetE1EEEvSL_
; %bb.0:
	s_load_dwordx2 s[10:11], s[4:5], 0x40
	s_load_dword s3, s[4:5], 0x30
	s_add_u32 s0, s4, 64
	s_addc_u32 s1, s5, 0
	s_waitcnt lgkmcnt(0)
	s_mul_i32 s2, s11, s8
	s_add_i32 s2, s2, s7
	s_mul_i32 s2, s2, s10
	s_add_i32 s2, s2, s6
	s_cmp_ge_u32 s2, s3
	s_cbranch_scc1 .LBB1829_43
; %bb.1:
	s_load_dwordx2 s[14:15], s[4:5], 0x28
	s_load_dwordx2 s[8:9], s[4:5], 0x38
	;; [unrolled: 1-line block ×3, first 2 shown]
	s_mov_b32 s3, 0
	s_mov_b32 s23, s3
	s_waitcnt lgkmcnt(0)
	s_lshr_b32 s17, s14, 10
	s_cmp_lg_u32 s2, s17
	s_cselect_b64 s[18:19], -1, 0
	s_lshl_b64 s[12:13], s[2:3], 2
	s_add_u32 s8, s8, s12
	s_addc_u32 s9, s9, s13
	s_lshr_b32 s7, s15, 9
	s_and_b32 s7, s7, 0x7ffffe
	s_load_dwordx2 s[8:9], s[8:9], 0x0
	s_sub_i32 s7, 0, s7
	s_and_b32 s11, s2, s7
	s_lshl_b32 s12, s11, 10
	s_lshl_b32 s16, s2, 10
	s_lshl_b32 s11, s11, 11
	s_sub_i32 s13, s16, s12
	s_add_i32 s11, s11, s15
	s_add_i32 s13, s11, s13
	s_waitcnt lgkmcnt(0)
	s_sub_i32 s22, s13, s8
	s_sub_i32 s13, s13, s9
	s_sub_i32 s11, s11, s12
	s_min_u32 s22, s14, s22
	s_addk_i32 s13, 0x400
	s_or_b32 s7, s2, s7
	s_min_u32 s12, s14, s11
	s_add_i32 s11, s11, s15
	s_cmp_eq_u32 s7, -1
	s_cselect_b32 s7, s11, s13
	s_cselect_b32 s9, s12, s9
	s_min_u32 s7, s7, s14
	s_sub_i32 s15, s9, s8
	s_mov_b32 s9, s3
	s_sub_i32 s7, s7, s22
	s_lshl_b64 s[8:9], s[8:9], 1
	s_add_u32 s11, s20, s8
	s_addc_u32 s12, s21, s9
	s_lshl_b64 s[8:9], s[22:23], 1
	s_add_u32 s8, s20, s8
	s_addc_u32 s9, s21, s9
	s_cmp_lt_u32 s6, s10
	v_mov_b32_e32 v3, 0
	s_cselect_b32 s3, 12, 18
	global_load_dword v1, v3, s[0:1] offset:14
	s_add_u32 s0, s0, s3
	s_addc_u32 s1, s1, 0
	global_load_ushort v2, v3, s[0:1]
	s_cmp_eq_u32 s2, s17
	s_waitcnt vmcnt(1)
	v_lshrrev_b32_e32 v4, 16, v1
	v_and_b32_e32 v1, 0xffff, v1
	v_mul_lo_u32 v1, v1, v4
	s_waitcnt vmcnt(0)
	v_mul_lo_u32 v10, v1, v2
	v_add_u32_e32 v8, v10, v0
	v_lshlrev_b32_e32 v1, 1, v0
	v_add_u32_e32 v6, v8, v10
	s_cbranch_scc1 .LBB1829_3
; %bb.2:
	v_mov_b32_e32 v2, s12
	v_add_co_u32_e32 v7, vcc, s11, v1
	v_addc_co_u32_e32 v9, vcc, 0, v2, vcc
	v_subrev_u32_e32 v2, s15, v0
	v_lshlrev_b64 v[4:5], 1, v[2:3]
	v_mov_b32_e32 v2, s9
	v_add_co_u32_e32 v4, vcc, s8, v4
	v_addc_co_u32_e32 v2, vcc, v2, v5, vcc
	v_cmp_gt_u32_e32 vcc, s15, v0
	v_cndmask_b32_e32 v5, v2, v9, vcc
	v_cndmask_b32_e32 v4, v4, v7, vcc
	v_mov_b32_e32 v9, v3
	global_load_ushort v11, v[4:5], off
	v_lshlrev_b64 v[4:5], 1, v[8:9]
	v_mov_b32_e32 v2, s12
	v_add_co_u32_e32 v7, vcc, s11, v4
	v_addc_co_u32_e32 v9, vcc, v2, v5, vcc
	v_subrev_u32_e32 v2, s15, v8
	v_lshlrev_b64 v[4:5], 1, v[2:3]
	v_mov_b32_e32 v2, s9
	v_add_co_u32_e32 v4, vcc, s8, v4
	v_addc_co_u32_e32 v2, vcc, v2, v5, vcc
	v_cmp_gt_u32_e32 vcc, s15, v8
	v_cndmask_b32_e32 v5, v2, v9, vcc
	v_cndmask_b32_e32 v4, v4, v7, vcc
	v_mov_b32_e32 v7, v3
	global_load_ushort v9, v[4:5], off
	v_lshlrev_b64 v[4:5], 1, v[6:7]
	v_mov_b32_e32 v2, s12
	v_add_co_u32_e32 v7, vcc, s11, v4
	v_addc_co_u32_e32 v12, vcc, v2, v5, vcc
	v_subrev_u32_e32 v2, s15, v6
	v_lshlrev_b64 v[4:5], 1, v[2:3]
	v_mov_b32_e32 v2, s9
	v_add_co_u32_e32 v4, vcc, s8, v4
	v_addc_co_u32_e32 v2, vcc, v2, v5, vcc
	v_cmp_gt_u32_e32 vcc, s15, v6
	v_cndmask_b32_e32 v5, v2, v12, vcc
	v_cndmask_b32_e32 v4, v4, v7, vcc
	v_add_u32_e32 v2, v6, v10
	global_load_ushort v7, v[4:5], off
	v_lshlrev_b64 v[4:5], 1, v[2:3]
	v_mov_b32_e32 v12, s12
	v_add_co_u32_e32 v13, vcc, s11, v4
	v_addc_co_u32_e32 v12, vcc, v12, v5, vcc
	v_subrev_u32_e32 v4, s15, v2
	v_mov_b32_e32 v5, v3
	v_lshlrev_b64 v[4:5], 1, v[4:5]
	v_mov_b32_e32 v14, s9
	v_add_co_u32_e32 v4, vcc, s8, v4
	v_addc_co_u32_e32 v5, vcc, v14, v5, vcc
	v_cmp_gt_u32_e32 vcc, s15, v2
	v_cndmask_b32_e32 v5, v5, v12, vcc
	v_cndmask_b32_e32 v4, v4, v13, vcc
	v_add_u32_e32 v2, v2, v10
	global_load_ushort v12, v[4:5], off
	v_lshlrev_b64 v[4:5], 1, v[2:3]
	v_mov_b32_e32 v13, s12
	v_add_co_u32_e32 v14, vcc, s11, v4
	v_addc_co_u32_e32 v13, vcc, v13, v5, vcc
	v_subrev_u32_e32 v4, s15, v2
	v_mov_b32_e32 v5, v3
	v_lshlrev_b64 v[4:5], 1, v[4:5]
	v_mov_b32_e32 v15, s9
	v_add_co_u32_e32 v4, vcc, s8, v4
	v_addc_co_u32_e32 v5, vcc, v15, v5, vcc
	v_cmp_gt_u32_e32 vcc, s15, v2
	v_cndmask_b32_e32 v5, v5, v13, vcc
	v_cndmask_b32_e32 v4, v4, v14, vcc
	v_add_u32_e32 v2, v2, v10
	global_load_ushort v13, v[4:5], off
	v_lshlrev_b64 v[4:5], 1, v[2:3]
	v_mov_b32_e32 v14, s12
	v_add_co_u32_e32 v15, vcc, s11, v4
	v_addc_co_u32_e32 v14, vcc, v14, v5, vcc
	v_subrev_u32_e32 v4, s15, v2
	v_mov_b32_e32 v5, v3
	v_lshlrev_b64 v[4:5], 1, v[4:5]
	v_mov_b32_e32 v16, s9
	v_add_co_u32_e32 v4, vcc, s8, v4
	v_addc_co_u32_e32 v5, vcc, v16, v5, vcc
	v_cmp_gt_u32_e32 vcc, s15, v2
	v_cndmask_b32_e32 v5, v5, v14, vcc
	v_cndmask_b32_e32 v4, v4, v15, vcc
	v_add_u32_e32 v2, v2, v10
	global_load_ushort v14, v[4:5], off
	v_lshlrev_b64 v[4:5], 1, v[2:3]
	v_mov_b32_e32 v15, s12
	v_add_co_u32_e32 v16, vcc, s11, v4
	v_addc_co_u32_e32 v15, vcc, v15, v5, vcc
	v_subrev_u32_e32 v4, s15, v2
	v_mov_b32_e32 v5, v3
	v_lshlrev_b64 v[4:5], 1, v[4:5]
	v_mov_b32_e32 v17, s9
	v_add_co_u32_e32 v4, vcc, s8, v4
	v_addc_co_u32_e32 v5, vcc, v17, v5, vcc
	v_cmp_gt_u32_e32 vcc, s15, v2
	v_cndmask_b32_e32 v5, v5, v15, vcc
	v_cndmask_b32_e32 v4, v4, v16, vcc
	v_add_u32_e32 v2, v2, v10
	global_load_ushort v15, v[4:5], off
	v_lshlrev_b64 v[4:5], 1, v[2:3]
	v_mov_b32_e32 v16, s12
	v_add_co_u32_e32 v4, vcc, s11, v4
	v_addc_co_u32_e32 v5, vcc, v16, v5, vcc
	v_cmp_gt_u32_e32 vcc, s15, v2
	v_subrev_u32_e32 v2, s15, v2
	v_lshlrev_b64 v[2:3], 1, v[2:3]
	v_mov_b32_e32 v16, s9
	v_add_co_u32_e64 v2, s[0:1], s8, v2
	v_addc_co_u32_e64 v3, s[0:1], v16, v3, s[0:1]
	v_cndmask_b32_e32 v3, v3, v5, vcc
	v_cndmask_b32_e32 v2, v2, v4, vcc
	global_load_ushort v5, v[2:3], off
	s_mov_b32 s0, 0x5040100
	s_waitcnt vmcnt(6)
	v_perm_b32 v2, v9, v11, s0
	s_add_i32 s17, s7, s15
	s_waitcnt vmcnt(4)
	v_perm_b32 v3, v12, v7, s0
	s_waitcnt vmcnt(2)
	v_perm_b32 v4, v14, v13, s0
	;; [unrolled: 2-line block ×3, first 2 shown]
	s_load_dwordx2 s[20:21], s[4:5], 0x10
	s_cbranch_execz .LBB1829_4
	s_branch .LBB1829_19
.LBB1829_3:
                                        ; implicit-def: $vgpr2_vgpr3_vgpr4_vgpr5
                                        ; implicit-def: $sgpr17
	s_load_dwordx2 s[20:21], s[4:5], 0x10
.LBB1829_4:
	s_add_i32 s17, s7, s15
	v_cmp_gt_u32_e32 vcc, s17, v0
                                        ; implicit-def: $vgpr2_vgpr3_vgpr4_vgpr5
	s_and_saveexec_b64 s[0:1], vcc
	s_cbranch_execnz .LBB1829_44
; %bb.5:
	s_or_b64 exec, exec, s[0:1]
	v_cmp_gt_u32_e32 vcc, s17, v8
	s_and_saveexec_b64 s[2:3], vcc
	s_cbranch_execnz .LBB1829_45
.LBB1829_6:
	s_or_b64 exec, exec, s[2:3]
	v_cmp_gt_u32_e32 vcc, s17, v6
	s_and_saveexec_b64 s[0:1], vcc
	s_cbranch_execz .LBB1829_8
.LBB1829_7:
	v_mov_b32_e32 v7, 0
	v_lshlrev_b64 v[8:9], 1, v[6:7]
	v_mov_b32_e32 v11, s12
	v_add_co_u32_e32 v12, vcc, s11, v8
	v_addc_co_u32_e32 v11, vcc, v11, v9, vcc
	v_subrev_u32_e32 v8, s15, v6
	v_mov_b32_e32 v9, v7
	v_lshlrev_b64 v[8:9], 1, v[8:9]
	v_mov_b32_e32 v7, s9
	v_add_co_u32_e32 v8, vcc, s8, v8
	v_addc_co_u32_e32 v7, vcc, v7, v9, vcc
	v_cmp_gt_u32_e32 vcc, s15, v6
	v_cndmask_b32_e32 v9, v7, v11, vcc
	v_cndmask_b32_e32 v8, v8, v12, vcc
	global_load_ushort v7, v[8:9], off
	s_mov_b32 s2, 0xffff
	s_waitcnt vmcnt(0)
	v_bfi_b32 v3, s2, v7, v3
.LBB1829_8:
	s_or_b64 exec, exec, s[0:1]
	v_add_u32_e32 v6, v6, v10
	v_cmp_gt_u32_e32 vcc, s17, v6
	s_and_saveexec_b64 s[0:1], vcc
	s_cbranch_execz .LBB1829_10
; %bb.9:
	v_mov_b32_e32 v7, 0
	v_lshlrev_b64 v[8:9], 1, v[6:7]
	v_mov_b32_e32 v11, s12
	v_add_co_u32_e32 v12, vcc, s11, v8
	v_addc_co_u32_e32 v11, vcc, v11, v9, vcc
	v_subrev_u32_e32 v8, s15, v6
	v_mov_b32_e32 v9, v7
	v_lshlrev_b64 v[8:9], 1, v[8:9]
	v_mov_b32_e32 v7, s9
	v_add_co_u32_e32 v8, vcc, s8, v8
	v_addc_co_u32_e32 v7, vcc, v7, v9, vcc
	v_cmp_gt_u32_e32 vcc, s15, v6
	v_cndmask_b32_e32 v9, v7, v11, vcc
	v_cndmask_b32_e32 v8, v8, v12, vcc
	global_load_ushort v7, v[8:9], off
	s_mov_b32 s2, 0x5040100
	s_waitcnt vmcnt(0)
	v_perm_b32 v3, v7, v3, s2
.LBB1829_10:
	s_or_b64 exec, exec, s[0:1]
	v_add_u32_e32 v6, v6, v10
	v_cmp_gt_u32_e32 vcc, s17, v6
	s_and_saveexec_b64 s[0:1], vcc
	s_cbranch_execz .LBB1829_12
; %bb.11:
	v_mov_b32_e32 v7, 0
	v_lshlrev_b64 v[8:9], 1, v[6:7]
	v_mov_b32_e32 v11, s12
	v_add_co_u32_e32 v12, vcc, s11, v8
	v_addc_co_u32_e32 v11, vcc, v11, v9, vcc
	v_subrev_u32_e32 v8, s15, v6
	v_mov_b32_e32 v9, v7
	v_lshlrev_b64 v[8:9], 1, v[8:9]
	v_mov_b32_e32 v7, s9
	v_add_co_u32_e32 v8, vcc, s8, v8
	v_addc_co_u32_e32 v7, vcc, v7, v9, vcc
	v_cmp_gt_u32_e32 vcc, s15, v6
	v_cndmask_b32_e32 v9, v7, v11, vcc
	v_cndmask_b32_e32 v8, v8, v12, vcc
	global_load_ushort v7, v[8:9], off
	s_mov_b32 s2, 0xffff
	s_waitcnt vmcnt(0)
	v_bfi_b32 v4, s2, v7, v4
.LBB1829_12:
	s_or_b64 exec, exec, s[0:1]
	v_add_u32_e32 v6, v6, v10
	v_cmp_gt_u32_e32 vcc, s17, v6
	s_and_saveexec_b64 s[0:1], vcc
	s_cbranch_execz .LBB1829_14
; %bb.13:
	v_mov_b32_e32 v7, 0
	v_lshlrev_b64 v[8:9], 1, v[6:7]
	v_mov_b32_e32 v11, s12
	v_add_co_u32_e32 v12, vcc, s11, v8
	v_addc_co_u32_e32 v11, vcc, v11, v9, vcc
	v_subrev_u32_e32 v8, s15, v6
	v_mov_b32_e32 v9, v7
	v_lshlrev_b64 v[8:9], 1, v[8:9]
	v_mov_b32_e32 v7, s9
	v_add_co_u32_e32 v8, vcc, s8, v8
	v_addc_co_u32_e32 v7, vcc, v7, v9, vcc
	v_cmp_gt_u32_e32 vcc, s15, v6
	v_cndmask_b32_e32 v9, v7, v11, vcc
	v_cndmask_b32_e32 v8, v8, v12, vcc
	global_load_ushort v7, v[8:9], off
	s_mov_b32 s2, 0x5040100
	s_waitcnt vmcnt(0)
	v_perm_b32 v4, v7, v4, s2
.LBB1829_14:
	s_or_b64 exec, exec, s[0:1]
	v_add_u32_e32 v6, v6, v10
	v_cmp_gt_u32_e32 vcc, s17, v6
	s_and_saveexec_b64 s[0:1], vcc
	s_cbranch_execz .LBB1829_16
; %bb.15:
	v_mov_b32_e32 v7, 0
	v_lshlrev_b64 v[8:9], 1, v[6:7]
	v_mov_b32_e32 v11, s12
	v_add_co_u32_e32 v12, vcc, s11, v8
	v_addc_co_u32_e32 v11, vcc, v11, v9, vcc
	v_subrev_u32_e32 v8, s15, v6
	v_mov_b32_e32 v9, v7
	v_lshlrev_b64 v[8:9], 1, v[8:9]
	v_mov_b32_e32 v7, s9
	v_add_co_u32_e32 v8, vcc, s8, v8
	v_addc_co_u32_e32 v7, vcc, v7, v9, vcc
	v_cmp_gt_u32_e32 vcc, s15, v6
	v_cndmask_b32_e32 v9, v7, v11, vcc
	v_cndmask_b32_e32 v8, v8, v12, vcc
	global_load_ushort v7, v[8:9], off
	s_mov_b32 s2, 0xffff
	s_waitcnt vmcnt(0)
	v_bfi_b32 v5, s2, v7, v5
.LBB1829_16:
	s_or_b64 exec, exec, s[0:1]
	v_add_u32_e32 v6, v6, v10
	v_cmp_gt_u32_e32 vcc, s17, v6
	s_and_saveexec_b64 s[2:3], vcc
	s_cbranch_execz .LBB1829_18
; %bb.17:
	v_mov_b32_e32 v7, 0
	v_lshlrev_b64 v[8:9], 1, v[6:7]
	v_mov_b32_e32 v10, s12
	v_add_co_u32_e32 v8, vcc, s11, v8
	v_addc_co_u32_e32 v9, vcc, v10, v9, vcc
	v_cmp_gt_u32_e32 vcc, s15, v6
	v_subrev_u32_e32 v6, s15, v6
	v_lshlrev_b64 v[6:7], 1, v[6:7]
	v_mov_b32_e32 v10, s9
	v_add_co_u32_e64 v6, s[0:1], s8, v6
	v_addc_co_u32_e64 v7, s[0:1], v10, v7, s[0:1]
	v_cndmask_b32_e32 v7, v7, v9, vcc
	v_cndmask_b32_e32 v6, v6, v8, vcc
	global_load_ushort v6, v[6:7], off
	s_mov_b32 s0, 0x5040100
	s_waitcnt vmcnt(0)
	v_perm_b32 v5, v6, v5, s0
.LBB1829_18:
	s_or_b64 exec, exec, s[2:3]
.LBB1829_19:
	v_lshlrev_b32_e32 v6, 3, v0
	v_min_u32_e32 v12, s17, v6
	v_sub_u32_e64 v11, v12, s7 clamp
	v_min_u32_e32 v13, s15, v12
	s_waitcnt vmcnt(0)
	v_lshrrev_b32_e32 v7, 16, v2
	v_lshrrev_b32_e32 v8, 16, v3
	;; [unrolled: 1-line block ×4, first 2 shown]
	v_cmp_lt_u32_e32 vcc, v11, v13
	ds_write_b16 v1, v2
	ds_write_b16 v1, v7 offset:256
	ds_write_b16 v1, v3 offset:512
	;; [unrolled: 1-line block ×7, first 2 shown]
	s_waitcnt lgkmcnt(0)
	s_barrier
	s_and_saveexec_b64 s[0:1], vcc
	s_cbranch_execz .LBB1829_23
; %bb.20:
	v_lshlrev_b32_e32 v14, 1, v12
	v_lshl_add_u32 v14, s15, 1, v14
	s_mov_b64 s[2:3], 0
.LBB1829_21:                            ; =>This Inner Loop Header: Depth=1
	v_add_u32_e32 v15, v13, v11
	v_lshrrev_b32_e32 v16, 1, v15
	v_not_b32_e32 v17, v16
	v_and_b32_e32 v15, -2, v15
	v_lshl_add_u32 v17, v17, 1, v14
	ds_read_u16 v15, v15
	ds_read_u16 v17, v17
	v_add_u32_e32 v18, 1, v16
	s_waitcnt lgkmcnt(0)
	v_cmp_gt_i16_e32 vcc, v15, v17
	v_cndmask_b32_e32 v13, v13, v16, vcc
	v_cndmask_b32_e32 v11, v18, v11, vcc
	v_cmp_ge_u32_e32 vcc, v11, v13
	s_or_b64 s[2:3], vcc, s[2:3]
	s_andn2_b64 exec, exec, s[2:3]
	s_cbranch_execnz .LBB1829_21
; %bb.22:
	s_or_b64 exec, exec, s[2:3]
.LBB1829_23:
	s_or_b64 exec, exec, s[0:1]
	v_sub_u32_e32 v12, v12, v11
	v_add_u32_e32 v12, s15, v12
	v_cmp_ge_u32_e32 vcc, s15, v11
	v_cmp_ge_u32_e64 s[0:1], s17, v12
	s_or_b64 s[0:1], vcc, s[0:1]
	s_and_saveexec_b64 s[22:23], s[0:1]
	s_cbranch_execz .LBB1829_29
; %bb.24:
	v_cmp_gt_u32_e32 vcc, s15, v11
                                        ; implicit-def: $vgpr2
	s_and_saveexec_b64 s[0:1], vcc
	s_cbranch_execz .LBB1829_26
; %bb.25:
	v_lshlrev_b32_e32 v2, 1, v11
	ds_read_u16 v2, v2
.LBB1829_26:
	s_or_b64 exec, exec, s[0:1]
	v_cmp_le_u32_e64 s[0:1], s17, v12
	v_cmp_gt_u32_e64 s[2:3], s17, v12
                                        ; implicit-def: $vgpr3
	s_and_saveexec_b64 s[4:5], s[2:3]
	s_cbranch_execz .LBB1829_28
; %bb.27:
	v_lshlrev_b32_e32 v3, 1, v12
	ds_read_u16 v3, v3
.LBB1829_28:
	s_or_b64 exec, exec, s[4:5]
	s_waitcnt lgkmcnt(0)
	v_cmp_le_i16_e64 s[2:3], v2, v3
	s_and_b64 s[2:3], vcc, s[2:3]
	s_or_b64 vcc, s[0:1], s[2:3]
	v_mov_b32_e32 v5, s17
	v_mov_b32_e32 v8, s15
	v_cndmask_b32_e32 v4, v12, v11, vcc
	v_cndmask_b32_e32 v7, v5, v8, vcc
	v_add_u32_e32 v4, 1, v4
	v_add_u32_e32 v7, -1, v7
	v_min_u32_e32 v7, v4, v7
	v_lshlrev_b32_e32 v7, 1, v7
	ds_read_u16 v7, v7
	v_cndmask_b32_e32 v10, v4, v12, vcc
	v_cndmask_b32_e32 v4, v11, v4, vcc
	v_cmp_gt_u32_e64 s[2:3], s15, v4
	v_cmp_le_u32_e64 s[0:1], s17, v10
	s_waitcnt lgkmcnt(0)
	v_cndmask_b32_e32 v9, v7, v3, vcc
	v_cndmask_b32_e32 v7, v2, v7, vcc
	v_cmp_le_i16_e64 s[4:5], v7, v9
	s_and_b64 s[2:3], s[2:3], s[4:5]
	s_or_b64 s[0:1], s[0:1], s[2:3]
	v_cndmask_b32_e64 v11, v10, v4, s[0:1]
	v_cndmask_b32_e64 v12, v5, v8, s[0:1]
	v_add_u32_e32 v11, 1, v11
	v_add_u32_e32 v12, -1, v12
	v_min_u32_e32 v12, v11, v12
	v_lshlrev_b32_e32 v12, 1, v12
	ds_read_u16 v12, v12
	v_cndmask_b32_e64 v4, v4, v11, s[0:1]
	v_cndmask_b32_e64 v10, v11, v10, s[0:1]
	v_cmp_gt_u32_e64 s[4:5], s15, v4
	v_cmp_le_u32_e64 s[2:3], s17, v10
	s_waitcnt lgkmcnt(0)
	v_cndmask_b32_e64 v13, v12, v9, s[0:1]
	v_cndmask_b32_e64 v12, v7, v12, s[0:1]
	v_cmp_le_i16_e64 s[6:7], v12, v13
	s_and_b64 s[4:5], s[4:5], s[6:7]
	s_or_b64 s[2:3], s[2:3], s[4:5]
	v_cndmask_b32_e64 v11, v10, v4, s[2:3]
	v_cndmask_b32_e64 v14, v5, v8, s[2:3]
	v_add_u32_e32 v11, 1, v11
	v_add_u32_e32 v14, -1, v14
	v_min_u32_e32 v14, v11, v14
	v_lshlrev_b32_e32 v14, 1, v14
	ds_read_u16 v14, v14
	v_cndmask_b32_e64 v4, v4, v11, s[2:3]
	v_cndmask_b32_e64 v10, v11, v10, s[2:3]
	v_cmp_gt_u32_e64 s[6:7], s15, v4
	v_cmp_le_u32_e64 s[4:5], s17, v10
	s_waitcnt lgkmcnt(0)
	v_cndmask_b32_e64 v15, v14, v13, s[2:3]
	v_cndmask_b32_e64 v14, v12, v14, s[2:3]
	;; [unrolled: 17-line block ×4, first 2 shown]
	v_cmp_le_i16_e64 s[12:13], v18, v19
	s_and_b64 s[10:11], s[10:11], s[12:13]
	s_or_b64 s[8:9], s[8:9], s[10:11]
	v_cndmask_b32_e64 v11, v10, v4, s[8:9]
	v_cndmask_b32_e64 v20, v5, v8, s[8:9]
	v_add_u32_e32 v11, 1, v11
	v_add_u32_e32 v20, -1, v20
	v_min_u32_e32 v20, v11, v20
	v_lshlrev_b32_e32 v20, 1, v20
	ds_read_u16 v20, v20
	v_cndmask_b32_e32 v2, v3, v2, vcc
	v_cndmask_b32_e64 v3, v13, v12, s[2:3]
	v_cndmask_b32_e64 v10, v11, v10, s[8:9]
	v_cndmask_b32_e64 v11, v4, v11, s[8:9]
	s_waitcnt lgkmcnt(0)
	v_cndmask_b32_e64 v12, v20, v19, s[8:9]
	v_cndmask_b32_e64 v13, v18, v20, s[8:9]
	v_cndmask_b32_e64 v7, v9, v7, s[0:1]
	v_cmp_gt_u32_e64 s[0:1], s15, v11
	v_cmp_le_i16_e64 s[2:3], v13, v12
	v_cmp_le_u32_e32 vcc, s17, v10
	s_and_b64 s[0:1], s[0:1], s[2:3]
	s_or_b64 vcc, vcc, s[0:1]
	v_cndmask_b32_e32 v4, v10, v11, vcc
	v_cndmask_b32_e32 v5, v5, v8, vcc
	v_add_u32_e32 v20, 1, v4
	v_add_u32_e32 v4, -1, v5
	v_min_u32_e32 v4, v20, v4
	v_lshlrev_b32_e32 v4, 1, v4
	ds_read_u16 v21, v4
	v_cndmask_b32_e32 v5, v12, v13, vcc
	v_cndmask_b32_e32 v11, v11, v20, vcc
	;; [unrolled: 1-line block ×3, first 2 shown]
	v_cmp_gt_u32_e64 s[0:1], s15, v11
	s_waitcnt lgkmcnt(0)
	v_cndmask_b32_e32 v12, v21, v12, vcc
	v_cndmask_b32_e32 v13, v13, v21, vcc
	v_cmp_le_i16_e64 s[2:3], v13, v12
	v_cmp_le_u32_e32 vcc, s17, v10
	s_and_b64 s[0:1], s[0:1], s[2:3]
	s_or_b64 vcc, vcc, s[0:1]
	v_cndmask_b32_e64 v8, v15, v14, s[4:5]
	v_cndmask_b32_e64 v4, v17, v16, s[6:7]
	;; [unrolled: 1-line block ×3, first 2 shown]
	v_cndmask_b32_e32 v10, v12, v13, vcc
.LBB1829_29:
	s_or_b64 exec, exec, s[22:23]
	s_mov_b32 s17, 0
	s_lshl_b64 s[0:1], s[16:17], 1
	v_lshrrev_b32_e32 v11, 2, v0
	s_add_u32 s2, s20, s0
	v_and_b32_e32 v11, 30, v11
	s_mov_b32 s0, 0x5040100
	v_add_lshl_u32 v6, v11, v6, 1
	v_perm_b32 v3, v8, v3, s0
	v_perm_b32 v2, v7, v2, s0
	s_barrier
	s_barrier
	ds_write2_b32 v6, v2, v3 offset1:1
	v_perm_b32 v2, v10, v5, s0
	v_perm_b32 v3, v9, v4, s0
	ds_write2_b32 v6, v3, v2 offset0:2 offset1:3
	v_lshrrev_b32_e32 v2, 4, v0
	v_and_b32_e32 v2, 4, v2
	v_or_b32_e32 v10, 0x80, v0
	v_add_u32_e32 v11, v1, v2
	v_lshrrev_b32_e32 v2, 4, v10
	v_and_b32_e32 v2, 12, v2
	v_or_b32_e32 v9, 0x100, v0
	v_add_u32_e32 v12, v1, v2
	;; [unrolled: 4-line block ×7, first 2 shown]
	v_lshrrev_b32_e32 v2, 4, v4
	s_addc_u32 s1, s21, s1
	v_and_b32_e32 v2, 60, v2
	v_add_u32_e32 v18, v1, v2
	v_mov_b32_e32 v3, s1
	v_add_co_u32_e32 v2, vcc, s2, v1
	v_addc_co_u32_e32 v3, vcc, 0, v3, vcc
	s_and_b64 vcc, exec, s[18:19]
	s_waitcnt lgkmcnt(0)
	s_cbranch_vccz .LBB1829_31
; %bb.30:
	s_barrier
	ds_read_u16 v1, v11
	ds_read_u16 v19, v12 offset:256
	ds_read_u16 v20, v13 offset:512
	;; [unrolled: 1-line block ×7, first 2 shown]
	s_waitcnt lgkmcnt(7)
	global_store_short v[2:3], v1, off
	s_waitcnt lgkmcnt(6)
	global_store_short v[2:3], v19, off offset:256
	s_waitcnt lgkmcnt(5)
	global_store_short v[2:3], v20, off offset:512
	;; [unrolled: 2-line block ×6, first 2 shown]
	s_waitcnt lgkmcnt(0)
	v_perm_b32 v1, v25, v24, s0
	s_mov_b64 s[0:1], -1
	s_cbranch_execz .LBB1829_32
	s_branch .LBB1829_41
.LBB1829_31:
	s_mov_b64 s[0:1], 0
                                        ; implicit-def: $vgpr1
.LBB1829_32:
	s_barrier
	ds_read_u16 v21, v11
	ds_read_u16 v20, v12 offset:256
	ds_read_u16 v19, v13 offset:512
	;; [unrolled: 1-line block ×7, first 2 shown]
	s_sub_i32 s2, s14, s16
	v_cmp_gt_u32_e32 vcc, s2, v0
	s_and_saveexec_b64 s[0:1], vcc
	s_cbranch_execnz .LBB1829_46
; %bb.33:
	s_or_b64 exec, exec, s[0:1]
	v_cmp_gt_u32_e32 vcc, s2, v10
	s_and_saveexec_b64 s[0:1], vcc
	s_cbranch_execnz .LBB1829_47
.LBB1829_34:
	s_or_b64 exec, exec, s[0:1]
	v_cmp_gt_u32_e32 vcc, s2, v9
	s_and_saveexec_b64 s[0:1], vcc
	s_cbranch_execnz .LBB1829_48
.LBB1829_35:
	s_or_b64 exec, exec, s[0:1]
	v_cmp_gt_u32_e32 vcc, s2, v8
	s_and_saveexec_b64 s[0:1], vcc
	s_cbranch_execnz .LBB1829_49
.LBB1829_36:
	s_or_b64 exec, exec, s[0:1]
	v_cmp_gt_u32_e32 vcc, s2, v7
	s_and_saveexec_b64 s[0:1], vcc
	s_cbranch_execnz .LBB1829_50
.LBB1829_37:
	s_or_b64 exec, exec, s[0:1]
	v_cmp_gt_u32_e32 vcc, s2, v6
	s_and_saveexec_b64 s[0:1], vcc
	s_cbranch_execnz .LBB1829_51
.LBB1829_38:
	s_or_b64 exec, exec, s[0:1]
	v_cmp_gt_u32_e32 vcc, s2, v5
	s_and_saveexec_b64 s[0:1], vcc
	s_cbranch_execz .LBB1829_40
.LBB1829_39:
	s_waitcnt lgkmcnt(1)
	global_store_short v[2:3], v1, off offset:1536
.LBB1829_40:
	s_or_b64 exec, exec, s[0:1]
	v_cmp_gt_u32_e64 s[0:1], s2, v4
	s_mov_b32 s2, 0x5040100
	s_waitcnt lgkmcnt(0)
	v_perm_b32 v1, v11, v1, s2
.LBB1829_41:
	s_and_saveexec_b64 s[2:3], s[0:1]
	s_cbranch_execz .LBB1829_43
; %bb.42:
	global_store_short_d16_hi v[2:3], v1, off offset:1792
.LBB1829_43:
	s_endpgm
.LBB1829_44:
	v_mov_b32_e32 v2, s12
	v_add_co_u32_e32 v4, vcc, s11, v1
	v_mov_b32_e32 v3, 0
	v_addc_co_u32_e32 v5, vcc, 0, v2, vcc
	v_subrev_u32_e32 v2, s15, v0
	v_lshlrev_b64 v[2:3], 1, v[2:3]
	v_mov_b32_e32 v7, s9
	v_add_co_u32_e32 v2, vcc, s8, v2
	v_addc_co_u32_e32 v3, vcc, v7, v3, vcc
	v_cmp_gt_u32_e32 vcc, s15, v0
	v_cndmask_b32_e32 v3, v3, v5, vcc
	v_cndmask_b32_e32 v2, v2, v4, vcc
	global_load_ushort v2, v[2:3], off
	s_or_b64 exec, exec, s[0:1]
	v_cmp_gt_u32_e32 vcc, s17, v8
	s_and_saveexec_b64 s[2:3], vcc
	s_cbranch_execz .LBB1829_6
.LBB1829_45:
	v_mov_b32_e32 v9, 0
	v_lshlrev_b64 v[12:13], 1, v[8:9]
	v_mov_b32_e32 v7, s12
	v_add_co_u32_e32 v11, vcc, s11, v12
	v_addc_co_u32_e32 v7, vcc, v7, v13, vcc
	v_cmp_gt_u32_e32 vcc, s15, v8
	v_subrev_u32_e32 v8, s15, v8
	v_lshlrev_b64 v[8:9], 1, v[8:9]
	v_mov_b32_e32 v12, s9
	v_add_co_u32_e64 v8, s[0:1], s8, v8
	v_addc_co_u32_e64 v9, s[0:1], v12, v9, s[0:1]
	v_cndmask_b32_e32 v9, v9, v7, vcc
	v_cndmask_b32_e32 v8, v8, v11, vcc
	global_load_ushort v7, v[8:9], off
	s_mov_b32 s0, 0x5040100
	s_waitcnt vmcnt(0)
	v_perm_b32 v2, v7, v2, s0
	s_or_b64 exec, exec, s[2:3]
	v_cmp_gt_u32_e32 vcc, s17, v6
	s_and_saveexec_b64 s[0:1], vcc
	s_cbranch_execnz .LBB1829_7
	s_branch .LBB1829_8
.LBB1829_46:
	s_waitcnt lgkmcnt(7)
	global_store_short v[2:3], v21, off
	s_or_b64 exec, exec, s[0:1]
	v_cmp_gt_u32_e32 vcc, s2, v10
	s_and_saveexec_b64 s[0:1], vcc
	s_cbranch_execz .LBB1829_34
.LBB1829_47:
	s_waitcnt lgkmcnt(6)
	global_store_short v[2:3], v20, off offset:256
	s_or_b64 exec, exec, s[0:1]
	v_cmp_gt_u32_e32 vcc, s2, v9
	s_and_saveexec_b64 s[0:1], vcc
	s_cbranch_execz .LBB1829_35
.LBB1829_48:
	s_waitcnt lgkmcnt(5)
	global_store_short v[2:3], v19, off offset:512
	s_or_b64 exec, exec, s[0:1]
	v_cmp_gt_u32_e32 vcc, s2, v8
	s_and_saveexec_b64 s[0:1], vcc
	s_cbranch_execz .LBB1829_36
.LBB1829_49:
	s_waitcnt lgkmcnt(4)
	global_store_short v[2:3], v14, off offset:768
	s_or_b64 exec, exec, s[0:1]
	v_cmp_gt_u32_e32 vcc, s2, v7
	s_and_saveexec_b64 s[0:1], vcc
	s_cbranch_execz .LBB1829_37
.LBB1829_50:
	s_waitcnt lgkmcnt(3)
	global_store_short v[2:3], v13, off offset:1024
	s_or_b64 exec, exec, s[0:1]
	v_cmp_gt_u32_e32 vcc, s2, v6
	s_and_saveexec_b64 s[0:1], vcc
	s_cbranch_execz .LBB1829_38
.LBB1829_51:
	s_waitcnt lgkmcnt(2)
	global_store_short v[2:3], v12, off offset:1280
	s_or_b64 exec, exec, s[0:1]
	v_cmp_gt_u32_e32 vcc, s2, v5
	s_and_saveexec_b64 s[0:1], vcc
	s_cbranch_execnz .LBB1829_39
	s_branch .LBB1829_40
	.section	.rodata,"a",@progbits
	.p2align	6, 0x0
	.amdhsa_kernel _ZN7rocprim17ROCPRIM_400000_NS6detail17trampoline_kernelINS0_14default_configENS1_38merge_sort_block_merge_config_selectorIsNS0_10empty_typeEEEZZNS1_27merge_sort_block_merge_implIS3_N6thrust23THRUST_200600_302600_NS6detail15normal_iteratorINS9_10device_ptrIsEEEEPS5_jNS1_19radix_merge_compareILb0ELb0EsNS0_19identity_decomposerEEEEE10hipError_tT0_T1_T2_jT3_P12ihipStream_tbPNSt15iterator_traitsISK_E10value_typeEPNSQ_ISL_E10value_typeEPSM_NS1_7vsmem_tEENKUlT_SK_SL_SM_E_clIPsSE_SF_SF_EESJ_SZ_SK_SL_SM_EUlSZ_E0_NS1_11comp_targetILNS1_3genE4ELNS1_11target_archE910ELNS1_3gpuE8ELNS1_3repE0EEENS1_38merge_mergepath_config_static_selectorELNS0_4arch9wavefront6targetE1EEEvSL_
		.amdhsa_group_segment_fixed_size 2112
		.amdhsa_private_segment_fixed_size 0
		.amdhsa_kernarg_size 320
		.amdhsa_user_sgpr_count 6
		.amdhsa_user_sgpr_private_segment_buffer 1
		.amdhsa_user_sgpr_dispatch_ptr 0
		.amdhsa_user_sgpr_queue_ptr 0
		.amdhsa_user_sgpr_kernarg_segment_ptr 1
		.amdhsa_user_sgpr_dispatch_id 0
		.amdhsa_user_sgpr_flat_scratch_init 0
		.amdhsa_user_sgpr_kernarg_preload_length 0
		.amdhsa_user_sgpr_kernarg_preload_offset 0
		.amdhsa_user_sgpr_private_segment_size 0
		.amdhsa_uses_dynamic_stack 0
		.amdhsa_system_sgpr_private_segment_wavefront_offset 0
		.amdhsa_system_sgpr_workgroup_id_x 1
		.amdhsa_system_sgpr_workgroup_id_y 1
		.amdhsa_system_sgpr_workgroup_id_z 1
		.amdhsa_system_sgpr_workgroup_info 0
		.amdhsa_system_vgpr_workitem_id 0
		.amdhsa_next_free_vgpr 26
		.amdhsa_next_free_sgpr 24
		.amdhsa_accum_offset 28
		.amdhsa_reserve_vcc 1
		.amdhsa_reserve_flat_scratch 0
		.amdhsa_float_round_mode_32 0
		.amdhsa_float_round_mode_16_64 0
		.amdhsa_float_denorm_mode_32 3
		.amdhsa_float_denorm_mode_16_64 3
		.amdhsa_dx10_clamp 1
		.amdhsa_ieee_mode 1
		.amdhsa_fp16_overflow 0
		.amdhsa_tg_split 0
		.amdhsa_exception_fp_ieee_invalid_op 0
		.amdhsa_exception_fp_denorm_src 0
		.amdhsa_exception_fp_ieee_div_zero 0
		.amdhsa_exception_fp_ieee_overflow 0
		.amdhsa_exception_fp_ieee_underflow 0
		.amdhsa_exception_fp_ieee_inexact 0
		.amdhsa_exception_int_div_zero 0
	.end_amdhsa_kernel
	.section	.text._ZN7rocprim17ROCPRIM_400000_NS6detail17trampoline_kernelINS0_14default_configENS1_38merge_sort_block_merge_config_selectorIsNS0_10empty_typeEEEZZNS1_27merge_sort_block_merge_implIS3_N6thrust23THRUST_200600_302600_NS6detail15normal_iteratorINS9_10device_ptrIsEEEEPS5_jNS1_19radix_merge_compareILb0ELb0EsNS0_19identity_decomposerEEEEE10hipError_tT0_T1_T2_jT3_P12ihipStream_tbPNSt15iterator_traitsISK_E10value_typeEPNSQ_ISL_E10value_typeEPSM_NS1_7vsmem_tEENKUlT_SK_SL_SM_E_clIPsSE_SF_SF_EESJ_SZ_SK_SL_SM_EUlSZ_E0_NS1_11comp_targetILNS1_3genE4ELNS1_11target_archE910ELNS1_3gpuE8ELNS1_3repE0EEENS1_38merge_mergepath_config_static_selectorELNS0_4arch9wavefront6targetE1EEEvSL_,"axG",@progbits,_ZN7rocprim17ROCPRIM_400000_NS6detail17trampoline_kernelINS0_14default_configENS1_38merge_sort_block_merge_config_selectorIsNS0_10empty_typeEEEZZNS1_27merge_sort_block_merge_implIS3_N6thrust23THRUST_200600_302600_NS6detail15normal_iteratorINS9_10device_ptrIsEEEEPS5_jNS1_19radix_merge_compareILb0ELb0EsNS0_19identity_decomposerEEEEE10hipError_tT0_T1_T2_jT3_P12ihipStream_tbPNSt15iterator_traitsISK_E10value_typeEPNSQ_ISL_E10value_typeEPSM_NS1_7vsmem_tEENKUlT_SK_SL_SM_E_clIPsSE_SF_SF_EESJ_SZ_SK_SL_SM_EUlSZ_E0_NS1_11comp_targetILNS1_3genE4ELNS1_11target_archE910ELNS1_3gpuE8ELNS1_3repE0EEENS1_38merge_mergepath_config_static_selectorELNS0_4arch9wavefront6targetE1EEEvSL_,comdat
.Lfunc_end1829:
	.size	_ZN7rocprim17ROCPRIM_400000_NS6detail17trampoline_kernelINS0_14default_configENS1_38merge_sort_block_merge_config_selectorIsNS0_10empty_typeEEEZZNS1_27merge_sort_block_merge_implIS3_N6thrust23THRUST_200600_302600_NS6detail15normal_iteratorINS9_10device_ptrIsEEEEPS5_jNS1_19radix_merge_compareILb0ELb0EsNS0_19identity_decomposerEEEEE10hipError_tT0_T1_T2_jT3_P12ihipStream_tbPNSt15iterator_traitsISK_E10value_typeEPNSQ_ISL_E10value_typeEPSM_NS1_7vsmem_tEENKUlT_SK_SL_SM_E_clIPsSE_SF_SF_EESJ_SZ_SK_SL_SM_EUlSZ_E0_NS1_11comp_targetILNS1_3genE4ELNS1_11target_archE910ELNS1_3gpuE8ELNS1_3repE0EEENS1_38merge_mergepath_config_static_selectorELNS0_4arch9wavefront6targetE1EEEvSL_, .Lfunc_end1829-_ZN7rocprim17ROCPRIM_400000_NS6detail17trampoline_kernelINS0_14default_configENS1_38merge_sort_block_merge_config_selectorIsNS0_10empty_typeEEEZZNS1_27merge_sort_block_merge_implIS3_N6thrust23THRUST_200600_302600_NS6detail15normal_iteratorINS9_10device_ptrIsEEEEPS5_jNS1_19radix_merge_compareILb0ELb0EsNS0_19identity_decomposerEEEEE10hipError_tT0_T1_T2_jT3_P12ihipStream_tbPNSt15iterator_traitsISK_E10value_typeEPNSQ_ISL_E10value_typeEPSM_NS1_7vsmem_tEENKUlT_SK_SL_SM_E_clIPsSE_SF_SF_EESJ_SZ_SK_SL_SM_EUlSZ_E0_NS1_11comp_targetILNS1_3genE4ELNS1_11target_archE910ELNS1_3gpuE8ELNS1_3repE0EEENS1_38merge_mergepath_config_static_selectorELNS0_4arch9wavefront6targetE1EEEvSL_
                                        ; -- End function
	.section	.AMDGPU.csdata,"",@progbits
; Kernel info:
; codeLenInByte = 3860
; NumSgprs: 28
; NumVgprs: 26
; NumAgprs: 0
; TotalNumVgprs: 26
; ScratchSize: 0
; MemoryBound: 0
; FloatMode: 240
; IeeeMode: 1
; LDSByteSize: 2112 bytes/workgroup (compile time only)
; SGPRBlocks: 3
; VGPRBlocks: 3
; NumSGPRsForWavesPerEU: 28
; NumVGPRsForWavesPerEU: 26
; AccumOffset: 28
; Occupancy: 8
; WaveLimiterHint : 1
; COMPUTE_PGM_RSRC2:SCRATCH_EN: 0
; COMPUTE_PGM_RSRC2:USER_SGPR: 6
; COMPUTE_PGM_RSRC2:TRAP_HANDLER: 0
; COMPUTE_PGM_RSRC2:TGID_X_EN: 1
; COMPUTE_PGM_RSRC2:TGID_Y_EN: 1
; COMPUTE_PGM_RSRC2:TGID_Z_EN: 1
; COMPUTE_PGM_RSRC2:TIDIG_COMP_CNT: 0
; COMPUTE_PGM_RSRC3_GFX90A:ACCUM_OFFSET: 6
; COMPUTE_PGM_RSRC3_GFX90A:TG_SPLIT: 0
	.section	.text._ZN7rocprim17ROCPRIM_400000_NS6detail17trampoline_kernelINS0_14default_configENS1_38merge_sort_block_merge_config_selectorIsNS0_10empty_typeEEEZZNS1_27merge_sort_block_merge_implIS3_N6thrust23THRUST_200600_302600_NS6detail15normal_iteratorINS9_10device_ptrIsEEEEPS5_jNS1_19radix_merge_compareILb0ELb0EsNS0_19identity_decomposerEEEEE10hipError_tT0_T1_T2_jT3_P12ihipStream_tbPNSt15iterator_traitsISK_E10value_typeEPNSQ_ISL_E10value_typeEPSM_NS1_7vsmem_tEENKUlT_SK_SL_SM_E_clIPsSE_SF_SF_EESJ_SZ_SK_SL_SM_EUlSZ_E0_NS1_11comp_targetILNS1_3genE3ELNS1_11target_archE908ELNS1_3gpuE7ELNS1_3repE0EEENS1_38merge_mergepath_config_static_selectorELNS0_4arch9wavefront6targetE1EEEvSL_,"axG",@progbits,_ZN7rocprim17ROCPRIM_400000_NS6detail17trampoline_kernelINS0_14default_configENS1_38merge_sort_block_merge_config_selectorIsNS0_10empty_typeEEEZZNS1_27merge_sort_block_merge_implIS3_N6thrust23THRUST_200600_302600_NS6detail15normal_iteratorINS9_10device_ptrIsEEEEPS5_jNS1_19radix_merge_compareILb0ELb0EsNS0_19identity_decomposerEEEEE10hipError_tT0_T1_T2_jT3_P12ihipStream_tbPNSt15iterator_traitsISK_E10value_typeEPNSQ_ISL_E10value_typeEPSM_NS1_7vsmem_tEENKUlT_SK_SL_SM_E_clIPsSE_SF_SF_EESJ_SZ_SK_SL_SM_EUlSZ_E0_NS1_11comp_targetILNS1_3genE3ELNS1_11target_archE908ELNS1_3gpuE7ELNS1_3repE0EEENS1_38merge_mergepath_config_static_selectorELNS0_4arch9wavefront6targetE1EEEvSL_,comdat
	.protected	_ZN7rocprim17ROCPRIM_400000_NS6detail17trampoline_kernelINS0_14default_configENS1_38merge_sort_block_merge_config_selectorIsNS0_10empty_typeEEEZZNS1_27merge_sort_block_merge_implIS3_N6thrust23THRUST_200600_302600_NS6detail15normal_iteratorINS9_10device_ptrIsEEEEPS5_jNS1_19radix_merge_compareILb0ELb0EsNS0_19identity_decomposerEEEEE10hipError_tT0_T1_T2_jT3_P12ihipStream_tbPNSt15iterator_traitsISK_E10value_typeEPNSQ_ISL_E10value_typeEPSM_NS1_7vsmem_tEENKUlT_SK_SL_SM_E_clIPsSE_SF_SF_EESJ_SZ_SK_SL_SM_EUlSZ_E0_NS1_11comp_targetILNS1_3genE3ELNS1_11target_archE908ELNS1_3gpuE7ELNS1_3repE0EEENS1_38merge_mergepath_config_static_selectorELNS0_4arch9wavefront6targetE1EEEvSL_ ; -- Begin function _ZN7rocprim17ROCPRIM_400000_NS6detail17trampoline_kernelINS0_14default_configENS1_38merge_sort_block_merge_config_selectorIsNS0_10empty_typeEEEZZNS1_27merge_sort_block_merge_implIS3_N6thrust23THRUST_200600_302600_NS6detail15normal_iteratorINS9_10device_ptrIsEEEEPS5_jNS1_19radix_merge_compareILb0ELb0EsNS0_19identity_decomposerEEEEE10hipError_tT0_T1_T2_jT3_P12ihipStream_tbPNSt15iterator_traitsISK_E10value_typeEPNSQ_ISL_E10value_typeEPSM_NS1_7vsmem_tEENKUlT_SK_SL_SM_E_clIPsSE_SF_SF_EESJ_SZ_SK_SL_SM_EUlSZ_E0_NS1_11comp_targetILNS1_3genE3ELNS1_11target_archE908ELNS1_3gpuE7ELNS1_3repE0EEENS1_38merge_mergepath_config_static_selectorELNS0_4arch9wavefront6targetE1EEEvSL_
	.globl	_ZN7rocprim17ROCPRIM_400000_NS6detail17trampoline_kernelINS0_14default_configENS1_38merge_sort_block_merge_config_selectorIsNS0_10empty_typeEEEZZNS1_27merge_sort_block_merge_implIS3_N6thrust23THRUST_200600_302600_NS6detail15normal_iteratorINS9_10device_ptrIsEEEEPS5_jNS1_19radix_merge_compareILb0ELb0EsNS0_19identity_decomposerEEEEE10hipError_tT0_T1_T2_jT3_P12ihipStream_tbPNSt15iterator_traitsISK_E10value_typeEPNSQ_ISL_E10value_typeEPSM_NS1_7vsmem_tEENKUlT_SK_SL_SM_E_clIPsSE_SF_SF_EESJ_SZ_SK_SL_SM_EUlSZ_E0_NS1_11comp_targetILNS1_3genE3ELNS1_11target_archE908ELNS1_3gpuE7ELNS1_3repE0EEENS1_38merge_mergepath_config_static_selectorELNS0_4arch9wavefront6targetE1EEEvSL_
	.p2align	8
	.type	_ZN7rocprim17ROCPRIM_400000_NS6detail17trampoline_kernelINS0_14default_configENS1_38merge_sort_block_merge_config_selectorIsNS0_10empty_typeEEEZZNS1_27merge_sort_block_merge_implIS3_N6thrust23THRUST_200600_302600_NS6detail15normal_iteratorINS9_10device_ptrIsEEEEPS5_jNS1_19radix_merge_compareILb0ELb0EsNS0_19identity_decomposerEEEEE10hipError_tT0_T1_T2_jT3_P12ihipStream_tbPNSt15iterator_traitsISK_E10value_typeEPNSQ_ISL_E10value_typeEPSM_NS1_7vsmem_tEENKUlT_SK_SL_SM_E_clIPsSE_SF_SF_EESJ_SZ_SK_SL_SM_EUlSZ_E0_NS1_11comp_targetILNS1_3genE3ELNS1_11target_archE908ELNS1_3gpuE7ELNS1_3repE0EEENS1_38merge_mergepath_config_static_selectorELNS0_4arch9wavefront6targetE1EEEvSL_,@function
_ZN7rocprim17ROCPRIM_400000_NS6detail17trampoline_kernelINS0_14default_configENS1_38merge_sort_block_merge_config_selectorIsNS0_10empty_typeEEEZZNS1_27merge_sort_block_merge_implIS3_N6thrust23THRUST_200600_302600_NS6detail15normal_iteratorINS9_10device_ptrIsEEEEPS5_jNS1_19radix_merge_compareILb0ELb0EsNS0_19identity_decomposerEEEEE10hipError_tT0_T1_T2_jT3_P12ihipStream_tbPNSt15iterator_traitsISK_E10value_typeEPNSQ_ISL_E10value_typeEPSM_NS1_7vsmem_tEENKUlT_SK_SL_SM_E_clIPsSE_SF_SF_EESJ_SZ_SK_SL_SM_EUlSZ_E0_NS1_11comp_targetILNS1_3genE3ELNS1_11target_archE908ELNS1_3gpuE7ELNS1_3repE0EEENS1_38merge_mergepath_config_static_selectorELNS0_4arch9wavefront6targetE1EEEvSL_: ; @_ZN7rocprim17ROCPRIM_400000_NS6detail17trampoline_kernelINS0_14default_configENS1_38merge_sort_block_merge_config_selectorIsNS0_10empty_typeEEEZZNS1_27merge_sort_block_merge_implIS3_N6thrust23THRUST_200600_302600_NS6detail15normal_iteratorINS9_10device_ptrIsEEEEPS5_jNS1_19radix_merge_compareILb0ELb0EsNS0_19identity_decomposerEEEEE10hipError_tT0_T1_T2_jT3_P12ihipStream_tbPNSt15iterator_traitsISK_E10value_typeEPNSQ_ISL_E10value_typeEPSM_NS1_7vsmem_tEENKUlT_SK_SL_SM_E_clIPsSE_SF_SF_EESJ_SZ_SK_SL_SM_EUlSZ_E0_NS1_11comp_targetILNS1_3genE3ELNS1_11target_archE908ELNS1_3gpuE7ELNS1_3repE0EEENS1_38merge_mergepath_config_static_selectorELNS0_4arch9wavefront6targetE1EEEvSL_
; %bb.0:
	.section	.rodata,"a",@progbits
	.p2align	6, 0x0
	.amdhsa_kernel _ZN7rocprim17ROCPRIM_400000_NS6detail17trampoline_kernelINS0_14default_configENS1_38merge_sort_block_merge_config_selectorIsNS0_10empty_typeEEEZZNS1_27merge_sort_block_merge_implIS3_N6thrust23THRUST_200600_302600_NS6detail15normal_iteratorINS9_10device_ptrIsEEEEPS5_jNS1_19radix_merge_compareILb0ELb0EsNS0_19identity_decomposerEEEEE10hipError_tT0_T1_T2_jT3_P12ihipStream_tbPNSt15iterator_traitsISK_E10value_typeEPNSQ_ISL_E10value_typeEPSM_NS1_7vsmem_tEENKUlT_SK_SL_SM_E_clIPsSE_SF_SF_EESJ_SZ_SK_SL_SM_EUlSZ_E0_NS1_11comp_targetILNS1_3genE3ELNS1_11target_archE908ELNS1_3gpuE7ELNS1_3repE0EEENS1_38merge_mergepath_config_static_selectorELNS0_4arch9wavefront6targetE1EEEvSL_
		.amdhsa_group_segment_fixed_size 0
		.amdhsa_private_segment_fixed_size 0
		.amdhsa_kernarg_size 64
		.amdhsa_user_sgpr_count 6
		.amdhsa_user_sgpr_private_segment_buffer 1
		.amdhsa_user_sgpr_dispatch_ptr 0
		.amdhsa_user_sgpr_queue_ptr 0
		.amdhsa_user_sgpr_kernarg_segment_ptr 1
		.amdhsa_user_sgpr_dispatch_id 0
		.amdhsa_user_sgpr_flat_scratch_init 0
		.amdhsa_user_sgpr_kernarg_preload_length 0
		.amdhsa_user_sgpr_kernarg_preload_offset 0
		.amdhsa_user_sgpr_private_segment_size 0
		.amdhsa_uses_dynamic_stack 0
		.amdhsa_system_sgpr_private_segment_wavefront_offset 0
		.amdhsa_system_sgpr_workgroup_id_x 1
		.amdhsa_system_sgpr_workgroup_id_y 0
		.amdhsa_system_sgpr_workgroup_id_z 0
		.amdhsa_system_sgpr_workgroup_info 0
		.amdhsa_system_vgpr_workitem_id 0
		.amdhsa_next_free_vgpr 1
		.amdhsa_next_free_sgpr 0
		.amdhsa_accum_offset 4
		.amdhsa_reserve_vcc 0
		.amdhsa_reserve_flat_scratch 0
		.amdhsa_float_round_mode_32 0
		.amdhsa_float_round_mode_16_64 0
		.amdhsa_float_denorm_mode_32 3
		.amdhsa_float_denorm_mode_16_64 3
		.amdhsa_dx10_clamp 1
		.amdhsa_ieee_mode 1
		.amdhsa_fp16_overflow 0
		.amdhsa_tg_split 0
		.amdhsa_exception_fp_ieee_invalid_op 0
		.amdhsa_exception_fp_denorm_src 0
		.amdhsa_exception_fp_ieee_div_zero 0
		.amdhsa_exception_fp_ieee_overflow 0
		.amdhsa_exception_fp_ieee_underflow 0
		.amdhsa_exception_fp_ieee_inexact 0
		.amdhsa_exception_int_div_zero 0
	.end_amdhsa_kernel
	.section	.text._ZN7rocprim17ROCPRIM_400000_NS6detail17trampoline_kernelINS0_14default_configENS1_38merge_sort_block_merge_config_selectorIsNS0_10empty_typeEEEZZNS1_27merge_sort_block_merge_implIS3_N6thrust23THRUST_200600_302600_NS6detail15normal_iteratorINS9_10device_ptrIsEEEEPS5_jNS1_19radix_merge_compareILb0ELb0EsNS0_19identity_decomposerEEEEE10hipError_tT0_T1_T2_jT3_P12ihipStream_tbPNSt15iterator_traitsISK_E10value_typeEPNSQ_ISL_E10value_typeEPSM_NS1_7vsmem_tEENKUlT_SK_SL_SM_E_clIPsSE_SF_SF_EESJ_SZ_SK_SL_SM_EUlSZ_E0_NS1_11comp_targetILNS1_3genE3ELNS1_11target_archE908ELNS1_3gpuE7ELNS1_3repE0EEENS1_38merge_mergepath_config_static_selectorELNS0_4arch9wavefront6targetE1EEEvSL_,"axG",@progbits,_ZN7rocprim17ROCPRIM_400000_NS6detail17trampoline_kernelINS0_14default_configENS1_38merge_sort_block_merge_config_selectorIsNS0_10empty_typeEEEZZNS1_27merge_sort_block_merge_implIS3_N6thrust23THRUST_200600_302600_NS6detail15normal_iteratorINS9_10device_ptrIsEEEEPS5_jNS1_19radix_merge_compareILb0ELb0EsNS0_19identity_decomposerEEEEE10hipError_tT0_T1_T2_jT3_P12ihipStream_tbPNSt15iterator_traitsISK_E10value_typeEPNSQ_ISL_E10value_typeEPSM_NS1_7vsmem_tEENKUlT_SK_SL_SM_E_clIPsSE_SF_SF_EESJ_SZ_SK_SL_SM_EUlSZ_E0_NS1_11comp_targetILNS1_3genE3ELNS1_11target_archE908ELNS1_3gpuE7ELNS1_3repE0EEENS1_38merge_mergepath_config_static_selectorELNS0_4arch9wavefront6targetE1EEEvSL_,comdat
.Lfunc_end1830:
	.size	_ZN7rocprim17ROCPRIM_400000_NS6detail17trampoline_kernelINS0_14default_configENS1_38merge_sort_block_merge_config_selectorIsNS0_10empty_typeEEEZZNS1_27merge_sort_block_merge_implIS3_N6thrust23THRUST_200600_302600_NS6detail15normal_iteratorINS9_10device_ptrIsEEEEPS5_jNS1_19radix_merge_compareILb0ELb0EsNS0_19identity_decomposerEEEEE10hipError_tT0_T1_T2_jT3_P12ihipStream_tbPNSt15iterator_traitsISK_E10value_typeEPNSQ_ISL_E10value_typeEPSM_NS1_7vsmem_tEENKUlT_SK_SL_SM_E_clIPsSE_SF_SF_EESJ_SZ_SK_SL_SM_EUlSZ_E0_NS1_11comp_targetILNS1_3genE3ELNS1_11target_archE908ELNS1_3gpuE7ELNS1_3repE0EEENS1_38merge_mergepath_config_static_selectorELNS0_4arch9wavefront6targetE1EEEvSL_, .Lfunc_end1830-_ZN7rocprim17ROCPRIM_400000_NS6detail17trampoline_kernelINS0_14default_configENS1_38merge_sort_block_merge_config_selectorIsNS0_10empty_typeEEEZZNS1_27merge_sort_block_merge_implIS3_N6thrust23THRUST_200600_302600_NS6detail15normal_iteratorINS9_10device_ptrIsEEEEPS5_jNS1_19radix_merge_compareILb0ELb0EsNS0_19identity_decomposerEEEEE10hipError_tT0_T1_T2_jT3_P12ihipStream_tbPNSt15iterator_traitsISK_E10value_typeEPNSQ_ISL_E10value_typeEPSM_NS1_7vsmem_tEENKUlT_SK_SL_SM_E_clIPsSE_SF_SF_EESJ_SZ_SK_SL_SM_EUlSZ_E0_NS1_11comp_targetILNS1_3genE3ELNS1_11target_archE908ELNS1_3gpuE7ELNS1_3repE0EEENS1_38merge_mergepath_config_static_selectorELNS0_4arch9wavefront6targetE1EEEvSL_
                                        ; -- End function
	.section	.AMDGPU.csdata,"",@progbits
; Kernel info:
; codeLenInByte = 0
; NumSgprs: 4
; NumVgprs: 0
; NumAgprs: 0
; TotalNumVgprs: 0
; ScratchSize: 0
; MemoryBound: 0
; FloatMode: 240
; IeeeMode: 1
; LDSByteSize: 0 bytes/workgroup (compile time only)
; SGPRBlocks: 0
; VGPRBlocks: 0
; NumSGPRsForWavesPerEU: 4
; NumVGPRsForWavesPerEU: 1
; AccumOffset: 4
; Occupancy: 8
; WaveLimiterHint : 0
; COMPUTE_PGM_RSRC2:SCRATCH_EN: 0
; COMPUTE_PGM_RSRC2:USER_SGPR: 6
; COMPUTE_PGM_RSRC2:TRAP_HANDLER: 0
; COMPUTE_PGM_RSRC2:TGID_X_EN: 1
; COMPUTE_PGM_RSRC2:TGID_Y_EN: 0
; COMPUTE_PGM_RSRC2:TGID_Z_EN: 0
; COMPUTE_PGM_RSRC2:TIDIG_COMP_CNT: 0
; COMPUTE_PGM_RSRC3_GFX90A:ACCUM_OFFSET: 0
; COMPUTE_PGM_RSRC3_GFX90A:TG_SPLIT: 0
	.section	.text._ZN7rocprim17ROCPRIM_400000_NS6detail17trampoline_kernelINS0_14default_configENS1_38merge_sort_block_merge_config_selectorIsNS0_10empty_typeEEEZZNS1_27merge_sort_block_merge_implIS3_N6thrust23THRUST_200600_302600_NS6detail15normal_iteratorINS9_10device_ptrIsEEEEPS5_jNS1_19radix_merge_compareILb0ELb0EsNS0_19identity_decomposerEEEEE10hipError_tT0_T1_T2_jT3_P12ihipStream_tbPNSt15iterator_traitsISK_E10value_typeEPNSQ_ISL_E10value_typeEPSM_NS1_7vsmem_tEENKUlT_SK_SL_SM_E_clIPsSE_SF_SF_EESJ_SZ_SK_SL_SM_EUlSZ_E0_NS1_11comp_targetILNS1_3genE2ELNS1_11target_archE906ELNS1_3gpuE6ELNS1_3repE0EEENS1_38merge_mergepath_config_static_selectorELNS0_4arch9wavefront6targetE1EEEvSL_,"axG",@progbits,_ZN7rocprim17ROCPRIM_400000_NS6detail17trampoline_kernelINS0_14default_configENS1_38merge_sort_block_merge_config_selectorIsNS0_10empty_typeEEEZZNS1_27merge_sort_block_merge_implIS3_N6thrust23THRUST_200600_302600_NS6detail15normal_iteratorINS9_10device_ptrIsEEEEPS5_jNS1_19radix_merge_compareILb0ELb0EsNS0_19identity_decomposerEEEEE10hipError_tT0_T1_T2_jT3_P12ihipStream_tbPNSt15iterator_traitsISK_E10value_typeEPNSQ_ISL_E10value_typeEPSM_NS1_7vsmem_tEENKUlT_SK_SL_SM_E_clIPsSE_SF_SF_EESJ_SZ_SK_SL_SM_EUlSZ_E0_NS1_11comp_targetILNS1_3genE2ELNS1_11target_archE906ELNS1_3gpuE6ELNS1_3repE0EEENS1_38merge_mergepath_config_static_selectorELNS0_4arch9wavefront6targetE1EEEvSL_,comdat
	.protected	_ZN7rocprim17ROCPRIM_400000_NS6detail17trampoline_kernelINS0_14default_configENS1_38merge_sort_block_merge_config_selectorIsNS0_10empty_typeEEEZZNS1_27merge_sort_block_merge_implIS3_N6thrust23THRUST_200600_302600_NS6detail15normal_iteratorINS9_10device_ptrIsEEEEPS5_jNS1_19radix_merge_compareILb0ELb0EsNS0_19identity_decomposerEEEEE10hipError_tT0_T1_T2_jT3_P12ihipStream_tbPNSt15iterator_traitsISK_E10value_typeEPNSQ_ISL_E10value_typeEPSM_NS1_7vsmem_tEENKUlT_SK_SL_SM_E_clIPsSE_SF_SF_EESJ_SZ_SK_SL_SM_EUlSZ_E0_NS1_11comp_targetILNS1_3genE2ELNS1_11target_archE906ELNS1_3gpuE6ELNS1_3repE0EEENS1_38merge_mergepath_config_static_selectorELNS0_4arch9wavefront6targetE1EEEvSL_ ; -- Begin function _ZN7rocprim17ROCPRIM_400000_NS6detail17trampoline_kernelINS0_14default_configENS1_38merge_sort_block_merge_config_selectorIsNS0_10empty_typeEEEZZNS1_27merge_sort_block_merge_implIS3_N6thrust23THRUST_200600_302600_NS6detail15normal_iteratorINS9_10device_ptrIsEEEEPS5_jNS1_19radix_merge_compareILb0ELb0EsNS0_19identity_decomposerEEEEE10hipError_tT0_T1_T2_jT3_P12ihipStream_tbPNSt15iterator_traitsISK_E10value_typeEPNSQ_ISL_E10value_typeEPSM_NS1_7vsmem_tEENKUlT_SK_SL_SM_E_clIPsSE_SF_SF_EESJ_SZ_SK_SL_SM_EUlSZ_E0_NS1_11comp_targetILNS1_3genE2ELNS1_11target_archE906ELNS1_3gpuE6ELNS1_3repE0EEENS1_38merge_mergepath_config_static_selectorELNS0_4arch9wavefront6targetE1EEEvSL_
	.globl	_ZN7rocprim17ROCPRIM_400000_NS6detail17trampoline_kernelINS0_14default_configENS1_38merge_sort_block_merge_config_selectorIsNS0_10empty_typeEEEZZNS1_27merge_sort_block_merge_implIS3_N6thrust23THRUST_200600_302600_NS6detail15normal_iteratorINS9_10device_ptrIsEEEEPS5_jNS1_19radix_merge_compareILb0ELb0EsNS0_19identity_decomposerEEEEE10hipError_tT0_T1_T2_jT3_P12ihipStream_tbPNSt15iterator_traitsISK_E10value_typeEPNSQ_ISL_E10value_typeEPSM_NS1_7vsmem_tEENKUlT_SK_SL_SM_E_clIPsSE_SF_SF_EESJ_SZ_SK_SL_SM_EUlSZ_E0_NS1_11comp_targetILNS1_3genE2ELNS1_11target_archE906ELNS1_3gpuE6ELNS1_3repE0EEENS1_38merge_mergepath_config_static_selectorELNS0_4arch9wavefront6targetE1EEEvSL_
	.p2align	8
	.type	_ZN7rocprim17ROCPRIM_400000_NS6detail17trampoline_kernelINS0_14default_configENS1_38merge_sort_block_merge_config_selectorIsNS0_10empty_typeEEEZZNS1_27merge_sort_block_merge_implIS3_N6thrust23THRUST_200600_302600_NS6detail15normal_iteratorINS9_10device_ptrIsEEEEPS5_jNS1_19radix_merge_compareILb0ELb0EsNS0_19identity_decomposerEEEEE10hipError_tT0_T1_T2_jT3_P12ihipStream_tbPNSt15iterator_traitsISK_E10value_typeEPNSQ_ISL_E10value_typeEPSM_NS1_7vsmem_tEENKUlT_SK_SL_SM_E_clIPsSE_SF_SF_EESJ_SZ_SK_SL_SM_EUlSZ_E0_NS1_11comp_targetILNS1_3genE2ELNS1_11target_archE906ELNS1_3gpuE6ELNS1_3repE0EEENS1_38merge_mergepath_config_static_selectorELNS0_4arch9wavefront6targetE1EEEvSL_,@function
_ZN7rocprim17ROCPRIM_400000_NS6detail17trampoline_kernelINS0_14default_configENS1_38merge_sort_block_merge_config_selectorIsNS0_10empty_typeEEEZZNS1_27merge_sort_block_merge_implIS3_N6thrust23THRUST_200600_302600_NS6detail15normal_iteratorINS9_10device_ptrIsEEEEPS5_jNS1_19radix_merge_compareILb0ELb0EsNS0_19identity_decomposerEEEEE10hipError_tT0_T1_T2_jT3_P12ihipStream_tbPNSt15iterator_traitsISK_E10value_typeEPNSQ_ISL_E10value_typeEPSM_NS1_7vsmem_tEENKUlT_SK_SL_SM_E_clIPsSE_SF_SF_EESJ_SZ_SK_SL_SM_EUlSZ_E0_NS1_11comp_targetILNS1_3genE2ELNS1_11target_archE906ELNS1_3gpuE6ELNS1_3repE0EEENS1_38merge_mergepath_config_static_selectorELNS0_4arch9wavefront6targetE1EEEvSL_: ; @_ZN7rocprim17ROCPRIM_400000_NS6detail17trampoline_kernelINS0_14default_configENS1_38merge_sort_block_merge_config_selectorIsNS0_10empty_typeEEEZZNS1_27merge_sort_block_merge_implIS3_N6thrust23THRUST_200600_302600_NS6detail15normal_iteratorINS9_10device_ptrIsEEEEPS5_jNS1_19radix_merge_compareILb0ELb0EsNS0_19identity_decomposerEEEEE10hipError_tT0_T1_T2_jT3_P12ihipStream_tbPNSt15iterator_traitsISK_E10value_typeEPNSQ_ISL_E10value_typeEPSM_NS1_7vsmem_tEENKUlT_SK_SL_SM_E_clIPsSE_SF_SF_EESJ_SZ_SK_SL_SM_EUlSZ_E0_NS1_11comp_targetILNS1_3genE2ELNS1_11target_archE906ELNS1_3gpuE6ELNS1_3repE0EEENS1_38merge_mergepath_config_static_selectorELNS0_4arch9wavefront6targetE1EEEvSL_
; %bb.0:
	.section	.rodata,"a",@progbits
	.p2align	6, 0x0
	.amdhsa_kernel _ZN7rocprim17ROCPRIM_400000_NS6detail17trampoline_kernelINS0_14default_configENS1_38merge_sort_block_merge_config_selectorIsNS0_10empty_typeEEEZZNS1_27merge_sort_block_merge_implIS3_N6thrust23THRUST_200600_302600_NS6detail15normal_iteratorINS9_10device_ptrIsEEEEPS5_jNS1_19radix_merge_compareILb0ELb0EsNS0_19identity_decomposerEEEEE10hipError_tT0_T1_T2_jT3_P12ihipStream_tbPNSt15iterator_traitsISK_E10value_typeEPNSQ_ISL_E10value_typeEPSM_NS1_7vsmem_tEENKUlT_SK_SL_SM_E_clIPsSE_SF_SF_EESJ_SZ_SK_SL_SM_EUlSZ_E0_NS1_11comp_targetILNS1_3genE2ELNS1_11target_archE906ELNS1_3gpuE6ELNS1_3repE0EEENS1_38merge_mergepath_config_static_selectorELNS0_4arch9wavefront6targetE1EEEvSL_
		.amdhsa_group_segment_fixed_size 0
		.amdhsa_private_segment_fixed_size 0
		.amdhsa_kernarg_size 64
		.amdhsa_user_sgpr_count 6
		.amdhsa_user_sgpr_private_segment_buffer 1
		.amdhsa_user_sgpr_dispatch_ptr 0
		.amdhsa_user_sgpr_queue_ptr 0
		.amdhsa_user_sgpr_kernarg_segment_ptr 1
		.amdhsa_user_sgpr_dispatch_id 0
		.amdhsa_user_sgpr_flat_scratch_init 0
		.amdhsa_user_sgpr_kernarg_preload_length 0
		.amdhsa_user_sgpr_kernarg_preload_offset 0
		.amdhsa_user_sgpr_private_segment_size 0
		.amdhsa_uses_dynamic_stack 0
		.amdhsa_system_sgpr_private_segment_wavefront_offset 0
		.amdhsa_system_sgpr_workgroup_id_x 1
		.amdhsa_system_sgpr_workgroup_id_y 0
		.amdhsa_system_sgpr_workgroup_id_z 0
		.amdhsa_system_sgpr_workgroup_info 0
		.amdhsa_system_vgpr_workitem_id 0
		.amdhsa_next_free_vgpr 1
		.amdhsa_next_free_sgpr 0
		.amdhsa_accum_offset 4
		.amdhsa_reserve_vcc 0
		.amdhsa_reserve_flat_scratch 0
		.amdhsa_float_round_mode_32 0
		.amdhsa_float_round_mode_16_64 0
		.amdhsa_float_denorm_mode_32 3
		.amdhsa_float_denorm_mode_16_64 3
		.amdhsa_dx10_clamp 1
		.amdhsa_ieee_mode 1
		.amdhsa_fp16_overflow 0
		.amdhsa_tg_split 0
		.amdhsa_exception_fp_ieee_invalid_op 0
		.amdhsa_exception_fp_denorm_src 0
		.amdhsa_exception_fp_ieee_div_zero 0
		.amdhsa_exception_fp_ieee_overflow 0
		.amdhsa_exception_fp_ieee_underflow 0
		.amdhsa_exception_fp_ieee_inexact 0
		.amdhsa_exception_int_div_zero 0
	.end_amdhsa_kernel
	.section	.text._ZN7rocprim17ROCPRIM_400000_NS6detail17trampoline_kernelINS0_14default_configENS1_38merge_sort_block_merge_config_selectorIsNS0_10empty_typeEEEZZNS1_27merge_sort_block_merge_implIS3_N6thrust23THRUST_200600_302600_NS6detail15normal_iteratorINS9_10device_ptrIsEEEEPS5_jNS1_19radix_merge_compareILb0ELb0EsNS0_19identity_decomposerEEEEE10hipError_tT0_T1_T2_jT3_P12ihipStream_tbPNSt15iterator_traitsISK_E10value_typeEPNSQ_ISL_E10value_typeEPSM_NS1_7vsmem_tEENKUlT_SK_SL_SM_E_clIPsSE_SF_SF_EESJ_SZ_SK_SL_SM_EUlSZ_E0_NS1_11comp_targetILNS1_3genE2ELNS1_11target_archE906ELNS1_3gpuE6ELNS1_3repE0EEENS1_38merge_mergepath_config_static_selectorELNS0_4arch9wavefront6targetE1EEEvSL_,"axG",@progbits,_ZN7rocprim17ROCPRIM_400000_NS6detail17trampoline_kernelINS0_14default_configENS1_38merge_sort_block_merge_config_selectorIsNS0_10empty_typeEEEZZNS1_27merge_sort_block_merge_implIS3_N6thrust23THRUST_200600_302600_NS6detail15normal_iteratorINS9_10device_ptrIsEEEEPS5_jNS1_19radix_merge_compareILb0ELb0EsNS0_19identity_decomposerEEEEE10hipError_tT0_T1_T2_jT3_P12ihipStream_tbPNSt15iterator_traitsISK_E10value_typeEPNSQ_ISL_E10value_typeEPSM_NS1_7vsmem_tEENKUlT_SK_SL_SM_E_clIPsSE_SF_SF_EESJ_SZ_SK_SL_SM_EUlSZ_E0_NS1_11comp_targetILNS1_3genE2ELNS1_11target_archE906ELNS1_3gpuE6ELNS1_3repE0EEENS1_38merge_mergepath_config_static_selectorELNS0_4arch9wavefront6targetE1EEEvSL_,comdat
.Lfunc_end1831:
	.size	_ZN7rocprim17ROCPRIM_400000_NS6detail17trampoline_kernelINS0_14default_configENS1_38merge_sort_block_merge_config_selectorIsNS0_10empty_typeEEEZZNS1_27merge_sort_block_merge_implIS3_N6thrust23THRUST_200600_302600_NS6detail15normal_iteratorINS9_10device_ptrIsEEEEPS5_jNS1_19radix_merge_compareILb0ELb0EsNS0_19identity_decomposerEEEEE10hipError_tT0_T1_T2_jT3_P12ihipStream_tbPNSt15iterator_traitsISK_E10value_typeEPNSQ_ISL_E10value_typeEPSM_NS1_7vsmem_tEENKUlT_SK_SL_SM_E_clIPsSE_SF_SF_EESJ_SZ_SK_SL_SM_EUlSZ_E0_NS1_11comp_targetILNS1_3genE2ELNS1_11target_archE906ELNS1_3gpuE6ELNS1_3repE0EEENS1_38merge_mergepath_config_static_selectorELNS0_4arch9wavefront6targetE1EEEvSL_, .Lfunc_end1831-_ZN7rocprim17ROCPRIM_400000_NS6detail17trampoline_kernelINS0_14default_configENS1_38merge_sort_block_merge_config_selectorIsNS0_10empty_typeEEEZZNS1_27merge_sort_block_merge_implIS3_N6thrust23THRUST_200600_302600_NS6detail15normal_iteratorINS9_10device_ptrIsEEEEPS5_jNS1_19radix_merge_compareILb0ELb0EsNS0_19identity_decomposerEEEEE10hipError_tT0_T1_T2_jT3_P12ihipStream_tbPNSt15iterator_traitsISK_E10value_typeEPNSQ_ISL_E10value_typeEPSM_NS1_7vsmem_tEENKUlT_SK_SL_SM_E_clIPsSE_SF_SF_EESJ_SZ_SK_SL_SM_EUlSZ_E0_NS1_11comp_targetILNS1_3genE2ELNS1_11target_archE906ELNS1_3gpuE6ELNS1_3repE0EEENS1_38merge_mergepath_config_static_selectorELNS0_4arch9wavefront6targetE1EEEvSL_
                                        ; -- End function
	.section	.AMDGPU.csdata,"",@progbits
; Kernel info:
; codeLenInByte = 0
; NumSgprs: 4
; NumVgprs: 0
; NumAgprs: 0
; TotalNumVgprs: 0
; ScratchSize: 0
; MemoryBound: 0
; FloatMode: 240
; IeeeMode: 1
; LDSByteSize: 0 bytes/workgroup (compile time only)
; SGPRBlocks: 0
; VGPRBlocks: 0
; NumSGPRsForWavesPerEU: 4
; NumVGPRsForWavesPerEU: 1
; AccumOffset: 4
; Occupancy: 8
; WaveLimiterHint : 0
; COMPUTE_PGM_RSRC2:SCRATCH_EN: 0
; COMPUTE_PGM_RSRC2:USER_SGPR: 6
; COMPUTE_PGM_RSRC2:TRAP_HANDLER: 0
; COMPUTE_PGM_RSRC2:TGID_X_EN: 1
; COMPUTE_PGM_RSRC2:TGID_Y_EN: 0
; COMPUTE_PGM_RSRC2:TGID_Z_EN: 0
; COMPUTE_PGM_RSRC2:TIDIG_COMP_CNT: 0
; COMPUTE_PGM_RSRC3_GFX90A:ACCUM_OFFSET: 0
; COMPUTE_PGM_RSRC3_GFX90A:TG_SPLIT: 0
	.section	.text._ZN7rocprim17ROCPRIM_400000_NS6detail17trampoline_kernelINS0_14default_configENS1_38merge_sort_block_merge_config_selectorIsNS0_10empty_typeEEEZZNS1_27merge_sort_block_merge_implIS3_N6thrust23THRUST_200600_302600_NS6detail15normal_iteratorINS9_10device_ptrIsEEEEPS5_jNS1_19radix_merge_compareILb0ELb0EsNS0_19identity_decomposerEEEEE10hipError_tT0_T1_T2_jT3_P12ihipStream_tbPNSt15iterator_traitsISK_E10value_typeEPNSQ_ISL_E10value_typeEPSM_NS1_7vsmem_tEENKUlT_SK_SL_SM_E_clIPsSE_SF_SF_EESJ_SZ_SK_SL_SM_EUlSZ_E0_NS1_11comp_targetILNS1_3genE9ELNS1_11target_archE1100ELNS1_3gpuE3ELNS1_3repE0EEENS1_38merge_mergepath_config_static_selectorELNS0_4arch9wavefront6targetE1EEEvSL_,"axG",@progbits,_ZN7rocprim17ROCPRIM_400000_NS6detail17trampoline_kernelINS0_14default_configENS1_38merge_sort_block_merge_config_selectorIsNS0_10empty_typeEEEZZNS1_27merge_sort_block_merge_implIS3_N6thrust23THRUST_200600_302600_NS6detail15normal_iteratorINS9_10device_ptrIsEEEEPS5_jNS1_19radix_merge_compareILb0ELb0EsNS0_19identity_decomposerEEEEE10hipError_tT0_T1_T2_jT3_P12ihipStream_tbPNSt15iterator_traitsISK_E10value_typeEPNSQ_ISL_E10value_typeEPSM_NS1_7vsmem_tEENKUlT_SK_SL_SM_E_clIPsSE_SF_SF_EESJ_SZ_SK_SL_SM_EUlSZ_E0_NS1_11comp_targetILNS1_3genE9ELNS1_11target_archE1100ELNS1_3gpuE3ELNS1_3repE0EEENS1_38merge_mergepath_config_static_selectorELNS0_4arch9wavefront6targetE1EEEvSL_,comdat
	.protected	_ZN7rocprim17ROCPRIM_400000_NS6detail17trampoline_kernelINS0_14default_configENS1_38merge_sort_block_merge_config_selectorIsNS0_10empty_typeEEEZZNS1_27merge_sort_block_merge_implIS3_N6thrust23THRUST_200600_302600_NS6detail15normal_iteratorINS9_10device_ptrIsEEEEPS5_jNS1_19radix_merge_compareILb0ELb0EsNS0_19identity_decomposerEEEEE10hipError_tT0_T1_T2_jT3_P12ihipStream_tbPNSt15iterator_traitsISK_E10value_typeEPNSQ_ISL_E10value_typeEPSM_NS1_7vsmem_tEENKUlT_SK_SL_SM_E_clIPsSE_SF_SF_EESJ_SZ_SK_SL_SM_EUlSZ_E0_NS1_11comp_targetILNS1_3genE9ELNS1_11target_archE1100ELNS1_3gpuE3ELNS1_3repE0EEENS1_38merge_mergepath_config_static_selectorELNS0_4arch9wavefront6targetE1EEEvSL_ ; -- Begin function _ZN7rocprim17ROCPRIM_400000_NS6detail17trampoline_kernelINS0_14default_configENS1_38merge_sort_block_merge_config_selectorIsNS0_10empty_typeEEEZZNS1_27merge_sort_block_merge_implIS3_N6thrust23THRUST_200600_302600_NS6detail15normal_iteratorINS9_10device_ptrIsEEEEPS5_jNS1_19radix_merge_compareILb0ELb0EsNS0_19identity_decomposerEEEEE10hipError_tT0_T1_T2_jT3_P12ihipStream_tbPNSt15iterator_traitsISK_E10value_typeEPNSQ_ISL_E10value_typeEPSM_NS1_7vsmem_tEENKUlT_SK_SL_SM_E_clIPsSE_SF_SF_EESJ_SZ_SK_SL_SM_EUlSZ_E0_NS1_11comp_targetILNS1_3genE9ELNS1_11target_archE1100ELNS1_3gpuE3ELNS1_3repE0EEENS1_38merge_mergepath_config_static_selectorELNS0_4arch9wavefront6targetE1EEEvSL_
	.globl	_ZN7rocprim17ROCPRIM_400000_NS6detail17trampoline_kernelINS0_14default_configENS1_38merge_sort_block_merge_config_selectorIsNS0_10empty_typeEEEZZNS1_27merge_sort_block_merge_implIS3_N6thrust23THRUST_200600_302600_NS6detail15normal_iteratorINS9_10device_ptrIsEEEEPS5_jNS1_19radix_merge_compareILb0ELb0EsNS0_19identity_decomposerEEEEE10hipError_tT0_T1_T2_jT3_P12ihipStream_tbPNSt15iterator_traitsISK_E10value_typeEPNSQ_ISL_E10value_typeEPSM_NS1_7vsmem_tEENKUlT_SK_SL_SM_E_clIPsSE_SF_SF_EESJ_SZ_SK_SL_SM_EUlSZ_E0_NS1_11comp_targetILNS1_3genE9ELNS1_11target_archE1100ELNS1_3gpuE3ELNS1_3repE0EEENS1_38merge_mergepath_config_static_selectorELNS0_4arch9wavefront6targetE1EEEvSL_
	.p2align	8
	.type	_ZN7rocprim17ROCPRIM_400000_NS6detail17trampoline_kernelINS0_14default_configENS1_38merge_sort_block_merge_config_selectorIsNS0_10empty_typeEEEZZNS1_27merge_sort_block_merge_implIS3_N6thrust23THRUST_200600_302600_NS6detail15normal_iteratorINS9_10device_ptrIsEEEEPS5_jNS1_19radix_merge_compareILb0ELb0EsNS0_19identity_decomposerEEEEE10hipError_tT0_T1_T2_jT3_P12ihipStream_tbPNSt15iterator_traitsISK_E10value_typeEPNSQ_ISL_E10value_typeEPSM_NS1_7vsmem_tEENKUlT_SK_SL_SM_E_clIPsSE_SF_SF_EESJ_SZ_SK_SL_SM_EUlSZ_E0_NS1_11comp_targetILNS1_3genE9ELNS1_11target_archE1100ELNS1_3gpuE3ELNS1_3repE0EEENS1_38merge_mergepath_config_static_selectorELNS0_4arch9wavefront6targetE1EEEvSL_,@function
_ZN7rocprim17ROCPRIM_400000_NS6detail17trampoline_kernelINS0_14default_configENS1_38merge_sort_block_merge_config_selectorIsNS0_10empty_typeEEEZZNS1_27merge_sort_block_merge_implIS3_N6thrust23THRUST_200600_302600_NS6detail15normal_iteratorINS9_10device_ptrIsEEEEPS5_jNS1_19radix_merge_compareILb0ELb0EsNS0_19identity_decomposerEEEEE10hipError_tT0_T1_T2_jT3_P12ihipStream_tbPNSt15iterator_traitsISK_E10value_typeEPNSQ_ISL_E10value_typeEPSM_NS1_7vsmem_tEENKUlT_SK_SL_SM_E_clIPsSE_SF_SF_EESJ_SZ_SK_SL_SM_EUlSZ_E0_NS1_11comp_targetILNS1_3genE9ELNS1_11target_archE1100ELNS1_3gpuE3ELNS1_3repE0EEENS1_38merge_mergepath_config_static_selectorELNS0_4arch9wavefront6targetE1EEEvSL_: ; @_ZN7rocprim17ROCPRIM_400000_NS6detail17trampoline_kernelINS0_14default_configENS1_38merge_sort_block_merge_config_selectorIsNS0_10empty_typeEEEZZNS1_27merge_sort_block_merge_implIS3_N6thrust23THRUST_200600_302600_NS6detail15normal_iteratorINS9_10device_ptrIsEEEEPS5_jNS1_19radix_merge_compareILb0ELb0EsNS0_19identity_decomposerEEEEE10hipError_tT0_T1_T2_jT3_P12ihipStream_tbPNSt15iterator_traitsISK_E10value_typeEPNSQ_ISL_E10value_typeEPSM_NS1_7vsmem_tEENKUlT_SK_SL_SM_E_clIPsSE_SF_SF_EESJ_SZ_SK_SL_SM_EUlSZ_E0_NS1_11comp_targetILNS1_3genE9ELNS1_11target_archE1100ELNS1_3gpuE3ELNS1_3repE0EEENS1_38merge_mergepath_config_static_selectorELNS0_4arch9wavefront6targetE1EEEvSL_
; %bb.0:
	.section	.rodata,"a",@progbits
	.p2align	6, 0x0
	.amdhsa_kernel _ZN7rocprim17ROCPRIM_400000_NS6detail17trampoline_kernelINS0_14default_configENS1_38merge_sort_block_merge_config_selectorIsNS0_10empty_typeEEEZZNS1_27merge_sort_block_merge_implIS3_N6thrust23THRUST_200600_302600_NS6detail15normal_iteratorINS9_10device_ptrIsEEEEPS5_jNS1_19radix_merge_compareILb0ELb0EsNS0_19identity_decomposerEEEEE10hipError_tT0_T1_T2_jT3_P12ihipStream_tbPNSt15iterator_traitsISK_E10value_typeEPNSQ_ISL_E10value_typeEPSM_NS1_7vsmem_tEENKUlT_SK_SL_SM_E_clIPsSE_SF_SF_EESJ_SZ_SK_SL_SM_EUlSZ_E0_NS1_11comp_targetILNS1_3genE9ELNS1_11target_archE1100ELNS1_3gpuE3ELNS1_3repE0EEENS1_38merge_mergepath_config_static_selectorELNS0_4arch9wavefront6targetE1EEEvSL_
		.amdhsa_group_segment_fixed_size 0
		.amdhsa_private_segment_fixed_size 0
		.amdhsa_kernarg_size 64
		.amdhsa_user_sgpr_count 6
		.amdhsa_user_sgpr_private_segment_buffer 1
		.amdhsa_user_sgpr_dispatch_ptr 0
		.amdhsa_user_sgpr_queue_ptr 0
		.amdhsa_user_sgpr_kernarg_segment_ptr 1
		.amdhsa_user_sgpr_dispatch_id 0
		.amdhsa_user_sgpr_flat_scratch_init 0
		.amdhsa_user_sgpr_kernarg_preload_length 0
		.amdhsa_user_sgpr_kernarg_preload_offset 0
		.amdhsa_user_sgpr_private_segment_size 0
		.amdhsa_uses_dynamic_stack 0
		.amdhsa_system_sgpr_private_segment_wavefront_offset 0
		.amdhsa_system_sgpr_workgroup_id_x 1
		.amdhsa_system_sgpr_workgroup_id_y 0
		.amdhsa_system_sgpr_workgroup_id_z 0
		.amdhsa_system_sgpr_workgroup_info 0
		.amdhsa_system_vgpr_workitem_id 0
		.amdhsa_next_free_vgpr 1
		.amdhsa_next_free_sgpr 0
		.amdhsa_accum_offset 4
		.amdhsa_reserve_vcc 0
		.amdhsa_reserve_flat_scratch 0
		.amdhsa_float_round_mode_32 0
		.amdhsa_float_round_mode_16_64 0
		.amdhsa_float_denorm_mode_32 3
		.amdhsa_float_denorm_mode_16_64 3
		.amdhsa_dx10_clamp 1
		.amdhsa_ieee_mode 1
		.amdhsa_fp16_overflow 0
		.amdhsa_tg_split 0
		.amdhsa_exception_fp_ieee_invalid_op 0
		.amdhsa_exception_fp_denorm_src 0
		.amdhsa_exception_fp_ieee_div_zero 0
		.amdhsa_exception_fp_ieee_overflow 0
		.amdhsa_exception_fp_ieee_underflow 0
		.amdhsa_exception_fp_ieee_inexact 0
		.amdhsa_exception_int_div_zero 0
	.end_amdhsa_kernel
	.section	.text._ZN7rocprim17ROCPRIM_400000_NS6detail17trampoline_kernelINS0_14default_configENS1_38merge_sort_block_merge_config_selectorIsNS0_10empty_typeEEEZZNS1_27merge_sort_block_merge_implIS3_N6thrust23THRUST_200600_302600_NS6detail15normal_iteratorINS9_10device_ptrIsEEEEPS5_jNS1_19radix_merge_compareILb0ELb0EsNS0_19identity_decomposerEEEEE10hipError_tT0_T1_T2_jT3_P12ihipStream_tbPNSt15iterator_traitsISK_E10value_typeEPNSQ_ISL_E10value_typeEPSM_NS1_7vsmem_tEENKUlT_SK_SL_SM_E_clIPsSE_SF_SF_EESJ_SZ_SK_SL_SM_EUlSZ_E0_NS1_11comp_targetILNS1_3genE9ELNS1_11target_archE1100ELNS1_3gpuE3ELNS1_3repE0EEENS1_38merge_mergepath_config_static_selectorELNS0_4arch9wavefront6targetE1EEEvSL_,"axG",@progbits,_ZN7rocprim17ROCPRIM_400000_NS6detail17trampoline_kernelINS0_14default_configENS1_38merge_sort_block_merge_config_selectorIsNS0_10empty_typeEEEZZNS1_27merge_sort_block_merge_implIS3_N6thrust23THRUST_200600_302600_NS6detail15normal_iteratorINS9_10device_ptrIsEEEEPS5_jNS1_19radix_merge_compareILb0ELb0EsNS0_19identity_decomposerEEEEE10hipError_tT0_T1_T2_jT3_P12ihipStream_tbPNSt15iterator_traitsISK_E10value_typeEPNSQ_ISL_E10value_typeEPSM_NS1_7vsmem_tEENKUlT_SK_SL_SM_E_clIPsSE_SF_SF_EESJ_SZ_SK_SL_SM_EUlSZ_E0_NS1_11comp_targetILNS1_3genE9ELNS1_11target_archE1100ELNS1_3gpuE3ELNS1_3repE0EEENS1_38merge_mergepath_config_static_selectorELNS0_4arch9wavefront6targetE1EEEvSL_,comdat
.Lfunc_end1832:
	.size	_ZN7rocprim17ROCPRIM_400000_NS6detail17trampoline_kernelINS0_14default_configENS1_38merge_sort_block_merge_config_selectorIsNS0_10empty_typeEEEZZNS1_27merge_sort_block_merge_implIS3_N6thrust23THRUST_200600_302600_NS6detail15normal_iteratorINS9_10device_ptrIsEEEEPS5_jNS1_19radix_merge_compareILb0ELb0EsNS0_19identity_decomposerEEEEE10hipError_tT0_T1_T2_jT3_P12ihipStream_tbPNSt15iterator_traitsISK_E10value_typeEPNSQ_ISL_E10value_typeEPSM_NS1_7vsmem_tEENKUlT_SK_SL_SM_E_clIPsSE_SF_SF_EESJ_SZ_SK_SL_SM_EUlSZ_E0_NS1_11comp_targetILNS1_3genE9ELNS1_11target_archE1100ELNS1_3gpuE3ELNS1_3repE0EEENS1_38merge_mergepath_config_static_selectorELNS0_4arch9wavefront6targetE1EEEvSL_, .Lfunc_end1832-_ZN7rocprim17ROCPRIM_400000_NS6detail17trampoline_kernelINS0_14default_configENS1_38merge_sort_block_merge_config_selectorIsNS0_10empty_typeEEEZZNS1_27merge_sort_block_merge_implIS3_N6thrust23THRUST_200600_302600_NS6detail15normal_iteratorINS9_10device_ptrIsEEEEPS5_jNS1_19radix_merge_compareILb0ELb0EsNS0_19identity_decomposerEEEEE10hipError_tT0_T1_T2_jT3_P12ihipStream_tbPNSt15iterator_traitsISK_E10value_typeEPNSQ_ISL_E10value_typeEPSM_NS1_7vsmem_tEENKUlT_SK_SL_SM_E_clIPsSE_SF_SF_EESJ_SZ_SK_SL_SM_EUlSZ_E0_NS1_11comp_targetILNS1_3genE9ELNS1_11target_archE1100ELNS1_3gpuE3ELNS1_3repE0EEENS1_38merge_mergepath_config_static_selectorELNS0_4arch9wavefront6targetE1EEEvSL_
                                        ; -- End function
	.section	.AMDGPU.csdata,"",@progbits
; Kernel info:
; codeLenInByte = 0
; NumSgprs: 4
; NumVgprs: 0
; NumAgprs: 0
; TotalNumVgprs: 0
; ScratchSize: 0
; MemoryBound: 0
; FloatMode: 240
; IeeeMode: 1
; LDSByteSize: 0 bytes/workgroup (compile time only)
; SGPRBlocks: 0
; VGPRBlocks: 0
; NumSGPRsForWavesPerEU: 4
; NumVGPRsForWavesPerEU: 1
; AccumOffset: 4
; Occupancy: 8
; WaveLimiterHint : 0
; COMPUTE_PGM_RSRC2:SCRATCH_EN: 0
; COMPUTE_PGM_RSRC2:USER_SGPR: 6
; COMPUTE_PGM_RSRC2:TRAP_HANDLER: 0
; COMPUTE_PGM_RSRC2:TGID_X_EN: 1
; COMPUTE_PGM_RSRC2:TGID_Y_EN: 0
; COMPUTE_PGM_RSRC2:TGID_Z_EN: 0
; COMPUTE_PGM_RSRC2:TIDIG_COMP_CNT: 0
; COMPUTE_PGM_RSRC3_GFX90A:ACCUM_OFFSET: 0
; COMPUTE_PGM_RSRC3_GFX90A:TG_SPLIT: 0
	.section	.text._ZN7rocprim17ROCPRIM_400000_NS6detail17trampoline_kernelINS0_14default_configENS1_38merge_sort_block_merge_config_selectorIsNS0_10empty_typeEEEZZNS1_27merge_sort_block_merge_implIS3_N6thrust23THRUST_200600_302600_NS6detail15normal_iteratorINS9_10device_ptrIsEEEEPS5_jNS1_19radix_merge_compareILb0ELb0EsNS0_19identity_decomposerEEEEE10hipError_tT0_T1_T2_jT3_P12ihipStream_tbPNSt15iterator_traitsISK_E10value_typeEPNSQ_ISL_E10value_typeEPSM_NS1_7vsmem_tEENKUlT_SK_SL_SM_E_clIPsSE_SF_SF_EESJ_SZ_SK_SL_SM_EUlSZ_E0_NS1_11comp_targetILNS1_3genE8ELNS1_11target_archE1030ELNS1_3gpuE2ELNS1_3repE0EEENS1_38merge_mergepath_config_static_selectorELNS0_4arch9wavefront6targetE1EEEvSL_,"axG",@progbits,_ZN7rocprim17ROCPRIM_400000_NS6detail17trampoline_kernelINS0_14default_configENS1_38merge_sort_block_merge_config_selectorIsNS0_10empty_typeEEEZZNS1_27merge_sort_block_merge_implIS3_N6thrust23THRUST_200600_302600_NS6detail15normal_iteratorINS9_10device_ptrIsEEEEPS5_jNS1_19radix_merge_compareILb0ELb0EsNS0_19identity_decomposerEEEEE10hipError_tT0_T1_T2_jT3_P12ihipStream_tbPNSt15iterator_traitsISK_E10value_typeEPNSQ_ISL_E10value_typeEPSM_NS1_7vsmem_tEENKUlT_SK_SL_SM_E_clIPsSE_SF_SF_EESJ_SZ_SK_SL_SM_EUlSZ_E0_NS1_11comp_targetILNS1_3genE8ELNS1_11target_archE1030ELNS1_3gpuE2ELNS1_3repE0EEENS1_38merge_mergepath_config_static_selectorELNS0_4arch9wavefront6targetE1EEEvSL_,comdat
	.protected	_ZN7rocprim17ROCPRIM_400000_NS6detail17trampoline_kernelINS0_14default_configENS1_38merge_sort_block_merge_config_selectorIsNS0_10empty_typeEEEZZNS1_27merge_sort_block_merge_implIS3_N6thrust23THRUST_200600_302600_NS6detail15normal_iteratorINS9_10device_ptrIsEEEEPS5_jNS1_19radix_merge_compareILb0ELb0EsNS0_19identity_decomposerEEEEE10hipError_tT0_T1_T2_jT3_P12ihipStream_tbPNSt15iterator_traitsISK_E10value_typeEPNSQ_ISL_E10value_typeEPSM_NS1_7vsmem_tEENKUlT_SK_SL_SM_E_clIPsSE_SF_SF_EESJ_SZ_SK_SL_SM_EUlSZ_E0_NS1_11comp_targetILNS1_3genE8ELNS1_11target_archE1030ELNS1_3gpuE2ELNS1_3repE0EEENS1_38merge_mergepath_config_static_selectorELNS0_4arch9wavefront6targetE1EEEvSL_ ; -- Begin function _ZN7rocprim17ROCPRIM_400000_NS6detail17trampoline_kernelINS0_14default_configENS1_38merge_sort_block_merge_config_selectorIsNS0_10empty_typeEEEZZNS1_27merge_sort_block_merge_implIS3_N6thrust23THRUST_200600_302600_NS6detail15normal_iteratorINS9_10device_ptrIsEEEEPS5_jNS1_19radix_merge_compareILb0ELb0EsNS0_19identity_decomposerEEEEE10hipError_tT0_T1_T2_jT3_P12ihipStream_tbPNSt15iterator_traitsISK_E10value_typeEPNSQ_ISL_E10value_typeEPSM_NS1_7vsmem_tEENKUlT_SK_SL_SM_E_clIPsSE_SF_SF_EESJ_SZ_SK_SL_SM_EUlSZ_E0_NS1_11comp_targetILNS1_3genE8ELNS1_11target_archE1030ELNS1_3gpuE2ELNS1_3repE0EEENS1_38merge_mergepath_config_static_selectorELNS0_4arch9wavefront6targetE1EEEvSL_
	.globl	_ZN7rocprim17ROCPRIM_400000_NS6detail17trampoline_kernelINS0_14default_configENS1_38merge_sort_block_merge_config_selectorIsNS0_10empty_typeEEEZZNS1_27merge_sort_block_merge_implIS3_N6thrust23THRUST_200600_302600_NS6detail15normal_iteratorINS9_10device_ptrIsEEEEPS5_jNS1_19radix_merge_compareILb0ELb0EsNS0_19identity_decomposerEEEEE10hipError_tT0_T1_T2_jT3_P12ihipStream_tbPNSt15iterator_traitsISK_E10value_typeEPNSQ_ISL_E10value_typeEPSM_NS1_7vsmem_tEENKUlT_SK_SL_SM_E_clIPsSE_SF_SF_EESJ_SZ_SK_SL_SM_EUlSZ_E0_NS1_11comp_targetILNS1_3genE8ELNS1_11target_archE1030ELNS1_3gpuE2ELNS1_3repE0EEENS1_38merge_mergepath_config_static_selectorELNS0_4arch9wavefront6targetE1EEEvSL_
	.p2align	8
	.type	_ZN7rocprim17ROCPRIM_400000_NS6detail17trampoline_kernelINS0_14default_configENS1_38merge_sort_block_merge_config_selectorIsNS0_10empty_typeEEEZZNS1_27merge_sort_block_merge_implIS3_N6thrust23THRUST_200600_302600_NS6detail15normal_iteratorINS9_10device_ptrIsEEEEPS5_jNS1_19radix_merge_compareILb0ELb0EsNS0_19identity_decomposerEEEEE10hipError_tT0_T1_T2_jT3_P12ihipStream_tbPNSt15iterator_traitsISK_E10value_typeEPNSQ_ISL_E10value_typeEPSM_NS1_7vsmem_tEENKUlT_SK_SL_SM_E_clIPsSE_SF_SF_EESJ_SZ_SK_SL_SM_EUlSZ_E0_NS1_11comp_targetILNS1_3genE8ELNS1_11target_archE1030ELNS1_3gpuE2ELNS1_3repE0EEENS1_38merge_mergepath_config_static_selectorELNS0_4arch9wavefront6targetE1EEEvSL_,@function
_ZN7rocprim17ROCPRIM_400000_NS6detail17trampoline_kernelINS0_14default_configENS1_38merge_sort_block_merge_config_selectorIsNS0_10empty_typeEEEZZNS1_27merge_sort_block_merge_implIS3_N6thrust23THRUST_200600_302600_NS6detail15normal_iteratorINS9_10device_ptrIsEEEEPS5_jNS1_19radix_merge_compareILb0ELb0EsNS0_19identity_decomposerEEEEE10hipError_tT0_T1_T2_jT3_P12ihipStream_tbPNSt15iterator_traitsISK_E10value_typeEPNSQ_ISL_E10value_typeEPSM_NS1_7vsmem_tEENKUlT_SK_SL_SM_E_clIPsSE_SF_SF_EESJ_SZ_SK_SL_SM_EUlSZ_E0_NS1_11comp_targetILNS1_3genE8ELNS1_11target_archE1030ELNS1_3gpuE2ELNS1_3repE0EEENS1_38merge_mergepath_config_static_selectorELNS0_4arch9wavefront6targetE1EEEvSL_: ; @_ZN7rocprim17ROCPRIM_400000_NS6detail17trampoline_kernelINS0_14default_configENS1_38merge_sort_block_merge_config_selectorIsNS0_10empty_typeEEEZZNS1_27merge_sort_block_merge_implIS3_N6thrust23THRUST_200600_302600_NS6detail15normal_iteratorINS9_10device_ptrIsEEEEPS5_jNS1_19radix_merge_compareILb0ELb0EsNS0_19identity_decomposerEEEEE10hipError_tT0_T1_T2_jT3_P12ihipStream_tbPNSt15iterator_traitsISK_E10value_typeEPNSQ_ISL_E10value_typeEPSM_NS1_7vsmem_tEENKUlT_SK_SL_SM_E_clIPsSE_SF_SF_EESJ_SZ_SK_SL_SM_EUlSZ_E0_NS1_11comp_targetILNS1_3genE8ELNS1_11target_archE1030ELNS1_3gpuE2ELNS1_3repE0EEENS1_38merge_mergepath_config_static_selectorELNS0_4arch9wavefront6targetE1EEEvSL_
; %bb.0:
	.section	.rodata,"a",@progbits
	.p2align	6, 0x0
	.amdhsa_kernel _ZN7rocprim17ROCPRIM_400000_NS6detail17trampoline_kernelINS0_14default_configENS1_38merge_sort_block_merge_config_selectorIsNS0_10empty_typeEEEZZNS1_27merge_sort_block_merge_implIS3_N6thrust23THRUST_200600_302600_NS6detail15normal_iteratorINS9_10device_ptrIsEEEEPS5_jNS1_19radix_merge_compareILb0ELb0EsNS0_19identity_decomposerEEEEE10hipError_tT0_T1_T2_jT3_P12ihipStream_tbPNSt15iterator_traitsISK_E10value_typeEPNSQ_ISL_E10value_typeEPSM_NS1_7vsmem_tEENKUlT_SK_SL_SM_E_clIPsSE_SF_SF_EESJ_SZ_SK_SL_SM_EUlSZ_E0_NS1_11comp_targetILNS1_3genE8ELNS1_11target_archE1030ELNS1_3gpuE2ELNS1_3repE0EEENS1_38merge_mergepath_config_static_selectorELNS0_4arch9wavefront6targetE1EEEvSL_
		.amdhsa_group_segment_fixed_size 0
		.amdhsa_private_segment_fixed_size 0
		.amdhsa_kernarg_size 64
		.amdhsa_user_sgpr_count 6
		.amdhsa_user_sgpr_private_segment_buffer 1
		.amdhsa_user_sgpr_dispatch_ptr 0
		.amdhsa_user_sgpr_queue_ptr 0
		.amdhsa_user_sgpr_kernarg_segment_ptr 1
		.amdhsa_user_sgpr_dispatch_id 0
		.amdhsa_user_sgpr_flat_scratch_init 0
		.amdhsa_user_sgpr_kernarg_preload_length 0
		.amdhsa_user_sgpr_kernarg_preload_offset 0
		.amdhsa_user_sgpr_private_segment_size 0
		.amdhsa_uses_dynamic_stack 0
		.amdhsa_system_sgpr_private_segment_wavefront_offset 0
		.amdhsa_system_sgpr_workgroup_id_x 1
		.amdhsa_system_sgpr_workgroup_id_y 0
		.amdhsa_system_sgpr_workgroup_id_z 0
		.amdhsa_system_sgpr_workgroup_info 0
		.amdhsa_system_vgpr_workitem_id 0
		.amdhsa_next_free_vgpr 1
		.amdhsa_next_free_sgpr 0
		.amdhsa_accum_offset 4
		.amdhsa_reserve_vcc 0
		.amdhsa_reserve_flat_scratch 0
		.amdhsa_float_round_mode_32 0
		.amdhsa_float_round_mode_16_64 0
		.amdhsa_float_denorm_mode_32 3
		.amdhsa_float_denorm_mode_16_64 3
		.amdhsa_dx10_clamp 1
		.amdhsa_ieee_mode 1
		.amdhsa_fp16_overflow 0
		.amdhsa_tg_split 0
		.amdhsa_exception_fp_ieee_invalid_op 0
		.amdhsa_exception_fp_denorm_src 0
		.amdhsa_exception_fp_ieee_div_zero 0
		.amdhsa_exception_fp_ieee_overflow 0
		.amdhsa_exception_fp_ieee_underflow 0
		.amdhsa_exception_fp_ieee_inexact 0
		.amdhsa_exception_int_div_zero 0
	.end_amdhsa_kernel
	.section	.text._ZN7rocprim17ROCPRIM_400000_NS6detail17trampoline_kernelINS0_14default_configENS1_38merge_sort_block_merge_config_selectorIsNS0_10empty_typeEEEZZNS1_27merge_sort_block_merge_implIS3_N6thrust23THRUST_200600_302600_NS6detail15normal_iteratorINS9_10device_ptrIsEEEEPS5_jNS1_19radix_merge_compareILb0ELb0EsNS0_19identity_decomposerEEEEE10hipError_tT0_T1_T2_jT3_P12ihipStream_tbPNSt15iterator_traitsISK_E10value_typeEPNSQ_ISL_E10value_typeEPSM_NS1_7vsmem_tEENKUlT_SK_SL_SM_E_clIPsSE_SF_SF_EESJ_SZ_SK_SL_SM_EUlSZ_E0_NS1_11comp_targetILNS1_3genE8ELNS1_11target_archE1030ELNS1_3gpuE2ELNS1_3repE0EEENS1_38merge_mergepath_config_static_selectorELNS0_4arch9wavefront6targetE1EEEvSL_,"axG",@progbits,_ZN7rocprim17ROCPRIM_400000_NS6detail17trampoline_kernelINS0_14default_configENS1_38merge_sort_block_merge_config_selectorIsNS0_10empty_typeEEEZZNS1_27merge_sort_block_merge_implIS3_N6thrust23THRUST_200600_302600_NS6detail15normal_iteratorINS9_10device_ptrIsEEEEPS5_jNS1_19radix_merge_compareILb0ELb0EsNS0_19identity_decomposerEEEEE10hipError_tT0_T1_T2_jT3_P12ihipStream_tbPNSt15iterator_traitsISK_E10value_typeEPNSQ_ISL_E10value_typeEPSM_NS1_7vsmem_tEENKUlT_SK_SL_SM_E_clIPsSE_SF_SF_EESJ_SZ_SK_SL_SM_EUlSZ_E0_NS1_11comp_targetILNS1_3genE8ELNS1_11target_archE1030ELNS1_3gpuE2ELNS1_3repE0EEENS1_38merge_mergepath_config_static_selectorELNS0_4arch9wavefront6targetE1EEEvSL_,comdat
.Lfunc_end1833:
	.size	_ZN7rocprim17ROCPRIM_400000_NS6detail17trampoline_kernelINS0_14default_configENS1_38merge_sort_block_merge_config_selectorIsNS0_10empty_typeEEEZZNS1_27merge_sort_block_merge_implIS3_N6thrust23THRUST_200600_302600_NS6detail15normal_iteratorINS9_10device_ptrIsEEEEPS5_jNS1_19radix_merge_compareILb0ELb0EsNS0_19identity_decomposerEEEEE10hipError_tT0_T1_T2_jT3_P12ihipStream_tbPNSt15iterator_traitsISK_E10value_typeEPNSQ_ISL_E10value_typeEPSM_NS1_7vsmem_tEENKUlT_SK_SL_SM_E_clIPsSE_SF_SF_EESJ_SZ_SK_SL_SM_EUlSZ_E0_NS1_11comp_targetILNS1_3genE8ELNS1_11target_archE1030ELNS1_3gpuE2ELNS1_3repE0EEENS1_38merge_mergepath_config_static_selectorELNS0_4arch9wavefront6targetE1EEEvSL_, .Lfunc_end1833-_ZN7rocprim17ROCPRIM_400000_NS6detail17trampoline_kernelINS0_14default_configENS1_38merge_sort_block_merge_config_selectorIsNS0_10empty_typeEEEZZNS1_27merge_sort_block_merge_implIS3_N6thrust23THRUST_200600_302600_NS6detail15normal_iteratorINS9_10device_ptrIsEEEEPS5_jNS1_19radix_merge_compareILb0ELb0EsNS0_19identity_decomposerEEEEE10hipError_tT0_T1_T2_jT3_P12ihipStream_tbPNSt15iterator_traitsISK_E10value_typeEPNSQ_ISL_E10value_typeEPSM_NS1_7vsmem_tEENKUlT_SK_SL_SM_E_clIPsSE_SF_SF_EESJ_SZ_SK_SL_SM_EUlSZ_E0_NS1_11comp_targetILNS1_3genE8ELNS1_11target_archE1030ELNS1_3gpuE2ELNS1_3repE0EEENS1_38merge_mergepath_config_static_selectorELNS0_4arch9wavefront6targetE1EEEvSL_
                                        ; -- End function
	.section	.AMDGPU.csdata,"",@progbits
; Kernel info:
; codeLenInByte = 0
; NumSgprs: 4
; NumVgprs: 0
; NumAgprs: 0
; TotalNumVgprs: 0
; ScratchSize: 0
; MemoryBound: 0
; FloatMode: 240
; IeeeMode: 1
; LDSByteSize: 0 bytes/workgroup (compile time only)
; SGPRBlocks: 0
; VGPRBlocks: 0
; NumSGPRsForWavesPerEU: 4
; NumVGPRsForWavesPerEU: 1
; AccumOffset: 4
; Occupancy: 8
; WaveLimiterHint : 0
; COMPUTE_PGM_RSRC2:SCRATCH_EN: 0
; COMPUTE_PGM_RSRC2:USER_SGPR: 6
; COMPUTE_PGM_RSRC2:TRAP_HANDLER: 0
; COMPUTE_PGM_RSRC2:TGID_X_EN: 1
; COMPUTE_PGM_RSRC2:TGID_Y_EN: 0
; COMPUTE_PGM_RSRC2:TGID_Z_EN: 0
; COMPUTE_PGM_RSRC2:TIDIG_COMP_CNT: 0
; COMPUTE_PGM_RSRC3_GFX90A:ACCUM_OFFSET: 0
; COMPUTE_PGM_RSRC3_GFX90A:TG_SPLIT: 0
	.section	.text._ZN7rocprim17ROCPRIM_400000_NS6detail17trampoline_kernelINS0_14default_configENS1_38merge_sort_block_merge_config_selectorIsNS0_10empty_typeEEEZZNS1_27merge_sort_block_merge_implIS3_N6thrust23THRUST_200600_302600_NS6detail15normal_iteratorINS9_10device_ptrIsEEEEPS5_jNS1_19radix_merge_compareILb0ELb0EsNS0_19identity_decomposerEEEEE10hipError_tT0_T1_T2_jT3_P12ihipStream_tbPNSt15iterator_traitsISK_E10value_typeEPNSQ_ISL_E10value_typeEPSM_NS1_7vsmem_tEENKUlT_SK_SL_SM_E_clIPsSE_SF_SF_EESJ_SZ_SK_SL_SM_EUlSZ_E1_NS1_11comp_targetILNS1_3genE0ELNS1_11target_archE4294967295ELNS1_3gpuE0ELNS1_3repE0EEENS1_36merge_oddeven_config_static_selectorELNS0_4arch9wavefront6targetE1EEEvSL_,"axG",@progbits,_ZN7rocprim17ROCPRIM_400000_NS6detail17trampoline_kernelINS0_14default_configENS1_38merge_sort_block_merge_config_selectorIsNS0_10empty_typeEEEZZNS1_27merge_sort_block_merge_implIS3_N6thrust23THRUST_200600_302600_NS6detail15normal_iteratorINS9_10device_ptrIsEEEEPS5_jNS1_19radix_merge_compareILb0ELb0EsNS0_19identity_decomposerEEEEE10hipError_tT0_T1_T2_jT3_P12ihipStream_tbPNSt15iterator_traitsISK_E10value_typeEPNSQ_ISL_E10value_typeEPSM_NS1_7vsmem_tEENKUlT_SK_SL_SM_E_clIPsSE_SF_SF_EESJ_SZ_SK_SL_SM_EUlSZ_E1_NS1_11comp_targetILNS1_3genE0ELNS1_11target_archE4294967295ELNS1_3gpuE0ELNS1_3repE0EEENS1_36merge_oddeven_config_static_selectorELNS0_4arch9wavefront6targetE1EEEvSL_,comdat
	.protected	_ZN7rocprim17ROCPRIM_400000_NS6detail17trampoline_kernelINS0_14default_configENS1_38merge_sort_block_merge_config_selectorIsNS0_10empty_typeEEEZZNS1_27merge_sort_block_merge_implIS3_N6thrust23THRUST_200600_302600_NS6detail15normal_iteratorINS9_10device_ptrIsEEEEPS5_jNS1_19radix_merge_compareILb0ELb0EsNS0_19identity_decomposerEEEEE10hipError_tT0_T1_T2_jT3_P12ihipStream_tbPNSt15iterator_traitsISK_E10value_typeEPNSQ_ISL_E10value_typeEPSM_NS1_7vsmem_tEENKUlT_SK_SL_SM_E_clIPsSE_SF_SF_EESJ_SZ_SK_SL_SM_EUlSZ_E1_NS1_11comp_targetILNS1_3genE0ELNS1_11target_archE4294967295ELNS1_3gpuE0ELNS1_3repE0EEENS1_36merge_oddeven_config_static_selectorELNS0_4arch9wavefront6targetE1EEEvSL_ ; -- Begin function _ZN7rocprim17ROCPRIM_400000_NS6detail17trampoline_kernelINS0_14default_configENS1_38merge_sort_block_merge_config_selectorIsNS0_10empty_typeEEEZZNS1_27merge_sort_block_merge_implIS3_N6thrust23THRUST_200600_302600_NS6detail15normal_iteratorINS9_10device_ptrIsEEEEPS5_jNS1_19radix_merge_compareILb0ELb0EsNS0_19identity_decomposerEEEEE10hipError_tT0_T1_T2_jT3_P12ihipStream_tbPNSt15iterator_traitsISK_E10value_typeEPNSQ_ISL_E10value_typeEPSM_NS1_7vsmem_tEENKUlT_SK_SL_SM_E_clIPsSE_SF_SF_EESJ_SZ_SK_SL_SM_EUlSZ_E1_NS1_11comp_targetILNS1_3genE0ELNS1_11target_archE4294967295ELNS1_3gpuE0ELNS1_3repE0EEENS1_36merge_oddeven_config_static_selectorELNS0_4arch9wavefront6targetE1EEEvSL_
	.globl	_ZN7rocprim17ROCPRIM_400000_NS6detail17trampoline_kernelINS0_14default_configENS1_38merge_sort_block_merge_config_selectorIsNS0_10empty_typeEEEZZNS1_27merge_sort_block_merge_implIS3_N6thrust23THRUST_200600_302600_NS6detail15normal_iteratorINS9_10device_ptrIsEEEEPS5_jNS1_19radix_merge_compareILb0ELb0EsNS0_19identity_decomposerEEEEE10hipError_tT0_T1_T2_jT3_P12ihipStream_tbPNSt15iterator_traitsISK_E10value_typeEPNSQ_ISL_E10value_typeEPSM_NS1_7vsmem_tEENKUlT_SK_SL_SM_E_clIPsSE_SF_SF_EESJ_SZ_SK_SL_SM_EUlSZ_E1_NS1_11comp_targetILNS1_3genE0ELNS1_11target_archE4294967295ELNS1_3gpuE0ELNS1_3repE0EEENS1_36merge_oddeven_config_static_selectorELNS0_4arch9wavefront6targetE1EEEvSL_
	.p2align	8
	.type	_ZN7rocprim17ROCPRIM_400000_NS6detail17trampoline_kernelINS0_14default_configENS1_38merge_sort_block_merge_config_selectorIsNS0_10empty_typeEEEZZNS1_27merge_sort_block_merge_implIS3_N6thrust23THRUST_200600_302600_NS6detail15normal_iteratorINS9_10device_ptrIsEEEEPS5_jNS1_19radix_merge_compareILb0ELb0EsNS0_19identity_decomposerEEEEE10hipError_tT0_T1_T2_jT3_P12ihipStream_tbPNSt15iterator_traitsISK_E10value_typeEPNSQ_ISL_E10value_typeEPSM_NS1_7vsmem_tEENKUlT_SK_SL_SM_E_clIPsSE_SF_SF_EESJ_SZ_SK_SL_SM_EUlSZ_E1_NS1_11comp_targetILNS1_3genE0ELNS1_11target_archE4294967295ELNS1_3gpuE0ELNS1_3repE0EEENS1_36merge_oddeven_config_static_selectorELNS0_4arch9wavefront6targetE1EEEvSL_,@function
_ZN7rocprim17ROCPRIM_400000_NS6detail17trampoline_kernelINS0_14default_configENS1_38merge_sort_block_merge_config_selectorIsNS0_10empty_typeEEEZZNS1_27merge_sort_block_merge_implIS3_N6thrust23THRUST_200600_302600_NS6detail15normal_iteratorINS9_10device_ptrIsEEEEPS5_jNS1_19radix_merge_compareILb0ELb0EsNS0_19identity_decomposerEEEEE10hipError_tT0_T1_T2_jT3_P12ihipStream_tbPNSt15iterator_traitsISK_E10value_typeEPNSQ_ISL_E10value_typeEPSM_NS1_7vsmem_tEENKUlT_SK_SL_SM_E_clIPsSE_SF_SF_EESJ_SZ_SK_SL_SM_EUlSZ_E1_NS1_11comp_targetILNS1_3genE0ELNS1_11target_archE4294967295ELNS1_3gpuE0ELNS1_3repE0EEENS1_36merge_oddeven_config_static_selectorELNS0_4arch9wavefront6targetE1EEEvSL_: ; @_ZN7rocprim17ROCPRIM_400000_NS6detail17trampoline_kernelINS0_14default_configENS1_38merge_sort_block_merge_config_selectorIsNS0_10empty_typeEEEZZNS1_27merge_sort_block_merge_implIS3_N6thrust23THRUST_200600_302600_NS6detail15normal_iteratorINS9_10device_ptrIsEEEEPS5_jNS1_19radix_merge_compareILb0ELb0EsNS0_19identity_decomposerEEEEE10hipError_tT0_T1_T2_jT3_P12ihipStream_tbPNSt15iterator_traitsISK_E10value_typeEPNSQ_ISL_E10value_typeEPSM_NS1_7vsmem_tEENKUlT_SK_SL_SM_E_clIPsSE_SF_SF_EESJ_SZ_SK_SL_SM_EUlSZ_E1_NS1_11comp_targetILNS1_3genE0ELNS1_11target_archE4294967295ELNS1_3gpuE0ELNS1_3repE0EEENS1_36merge_oddeven_config_static_selectorELNS0_4arch9wavefront6targetE1EEEvSL_
; %bb.0:
	.section	.rodata,"a",@progbits
	.p2align	6, 0x0
	.amdhsa_kernel _ZN7rocprim17ROCPRIM_400000_NS6detail17trampoline_kernelINS0_14default_configENS1_38merge_sort_block_merge_config_selectorIsNS0_10empty_typeEEEZZNS1_27merge_sort_block_merge_implIS3_N6thrust23THRUST_200600_302600_NS6detail15normal_iteratorINS9_10device_ptrIsEEEEPS5_jNS1_19radix_merge_compareILb0ELb0EsNS0_19identity_decomposerEEEEE10hipError_tT0_T1_T2_jT3_P12ihipStream_tbPNSt15iterator_traitsISK_E10value_typeEPNSQ_ISL_E10value_typeEPSM_NS1_7vsmem_tEENKUlT_SK_SL_SM_E_clIPsSE_SF_SF_EESJ_SZ_SK_SL_SM_EUlSZ_E1_NS1_11comp_targetILNS1_3genE0ELNS1_11target_archE4294967295ELNS1_3gpuE0ELNS1_3repE0EEENS1_36merge_oddeven_config_static_selectorELNS0_4arch9wavefront6targetE1EEEvSL_
		.amdhsa_group_segment_fixed_size 0
		.amdhsa_private_segment_fixed_size 0
		.amdhsa_kernarg_size 48
		.amdhsa_user_sgpr_count 6
		.amdhsa_user_sgpr_private_segment_buffer 1
		.amdhsa_user_sgpr_dispatch_ptr 0
		.amdhsa_user_sgpr_queue_ptr 0
		.amdhsa_user_sgpr_kernarg_segment_ptr 1
		.amdhsa_user_sgpr_dispatch_id 0
		.amdhsa_user_sgpr_flat_scratch_init 0
		.amdhsa_user_sgpr_kernarg_preload_length 0
		.amdhsa_user_sgpr_kernarg_preload_offset 0
		.amdhsa_user_sgpr_private_segment_size 0
		.amdhsa_uses_dynamic_stack 0
		.amdhsa_system_sgpr_private_segment_wavefront_offset 0
		.amdhsa_system_sgpr_workgroup_id_x 1
		.amdhsa_system_sgpr_workgroup_id_y 0
		.amdhsa_system_sgpr_workgroup_id_z 0
		.amdhsa_system_sgpr_workgroup_info 0
		.amdhsa_system_vgpr_workitem_id 0
		.amdhsa_next_free_vgpr 1
		.amdhsa_next_free_sgpr 0
		.amdhsa_accum_offset 4
		.amdhsa_reserve_vcc 0
		.amdhsa_reserve_flat_scratch 0
		.amdhsa_float_round_mode_32 0
		.amdhsa_float_round_mode_16_64 0
		.amdhsa_float_denorm_mode_32 3
		.amdhsa_float_denorm_mode_16_64 3
		.amdhsa_dx10_clamp 1
		.amdhsa_ieee_mode 1
		.amdhsa_fp16_overflow 0
		.amdhsa_tg_split 0
		.amdhsa_exception_fp_ieee_invalid_op 0
		.amdhsa_exception_fp_denorm_src 0
		.amdhsa_exception_fp_ieee_div_zero 0
		.amdhsa_exception_fp_ieee_overflow 0
		.amdhsa_exception_fp_ieee_underflow 0
		.amdhsa_exception_fp_ieee_inexact 0
		.amdhsa_exception_int_div_zero 0
	.end_amdhsa_kernel
	.section	.text._ZN7rocprim17ROCPRIM_400000_NS6detail17trampoline_kernelINS0_14default_configENS1_38merge_sort_block_merge_config_selectorIsNS0_10empty_typeEEEZZNS1_27merge_sort_block_merge_implIS3_N6thrust23THRUST_200600_302600_NS6detail15normal_iteratorINS9_10device_ptrIsEEEEPS5_jNS1_19radix_merge_compareILb0ELb0EsNS0_19identity_decomposerEEEEE10hipError_tT0_T1_T2_jT3_P12ihipStream_tbPNSt15iterator_traitsISK_E10value_typeEPNSQ_ISL_E10value_typeEPSM_NS1_7vsmem_tEENKUlT_SK_SL_SM_E_clIPsSE_SF_SF_EESJ_SZ_SK_SL_SM_EUlSZ_E1_NS1_11comp_targetILNS1_3genE0ELNS1_11target_archE4294967295ELNS1_3gpuE0ELNS1_3repE0EEENS1_36merge_oddeven_config_static_selectorELNS0_4arch9wavefront6targetE1EEEvSL_,"axG",@progbits,_ZN7rocprim17ROCPRIM_400000_NS6detail17trampoline_kernelINS0_14default_configENS1_38merge_sort_block_merge_config_selectorIsNS0_10empty_typeEEEZZNS1_27merge_sort_block_merge_implIS3_N6thrust23THRUST_200600_302600_NS6detail15normal_iteratorINS9_10device_ptrIsEEEEPS5_jNS1_19radix_merge_compareILb0ELb0EsNS0_19identity_decomposerEEEEE10hipError_tT0_T1_T2_jT3_P12ihipStream_tbPNSt15iterator_traitsISK_E10value_typeEPNSQ_ISL_E10value_typeEPSM_NS1_7vsmem_tEENKUlT_SK_SL_SM_E_clIPsSE_SF_SF_EESJ_SZ_SK_SL_SM_EUlSZ_E1_NS1_11comp_targetILNS1_3genE0ELNS1_11target_archE4294967295ELNS1_3gpuE0ELNS1_3repE0EEENS1_36merge_oddeven_config_static_selectorELNS0_4arch9wavefront6targetE1EEEvSL_,comdat
.Lfunc_end1834:
	.size	_ZN7rocprim17ROCPRIM_400000_NS6detail17trampoline_kernelINS0_14default_configENS1_38merge_sort_block_merge_config_selectorIsNS0_10empty_typeEEEZZNS1_27merge_sort_block_merge_implIS3_N6thrust23THRUST_200600_302600_NS6detail15normal_iteratorINS9_10device_ptrIsEEEEPS5_jNS1_19radix_merge_compareILb0ELb0EsNS0_19identity_decomposerEEEEE10hipError_tT0_T1_T2_jT3_P12ihipStream_tbPNSt15iterator_traitsISK_E10value_typeEPNSQ_ISL_E10value_typeEPSM_NS1_7vsmem_tEENKUlT_SK_SL_SM_E_clIPsSE_SF_SF_EESJ_SZ_SK_SL_SM_EUlSZ_E1_NS1_11comp_targetILNS1_3genE0ELNS1_11target_archE4294967295ELNS1_3gpuE0ELNS1_3repE0EEENS1_36merge_oddeven_config_static_selectorELNS0_4arch9wavefront6targetE1EEEvSL_, .Lfunc_end1834-_ZN7rocprim17ROCPRIM_400000_NS6detail17trampoline_kernelINS0_14default_configENS1_38merge_sort_block_merge_config_selectorIsNS0_10empty_typeEEEZZNS1_27merge_sort_block_merge_implIS3_N6thrust23THRUST_200600_302600_NS6detail15normal_iteratorINS9_10device_ptrIsEEEEPS5_jNS1_19radix_merge_compareILb0ELb0EsNS0_19identity_decomposerEEEEE10hipError_tT0_T1_T2_jT3_P12ihipStream_tbPNSt15iterator_traitsISK_E10value_typeEPNSQ_ISL_E10value_typeEPSM_NS1_7vsmem_tEENKUlT_SK_SL_SM_E_clIPsSE_SF_SF_EESJ_SZ_SK_SL_SM_EUlSZ_E1_NS1_11comp_targetILNS1_3genE0ELNS1_11target_archE4294967295ELNS1_3gpuE0ELNS1_3repE0EEENS1_36merge_oddeven_config_static_selectorELNS0_4arch9wavefront6targetE1EEEvSL_
                                        ; -- End function
	.section	.AMDGPU.csdata,"",@progbits
; Kernel info:
; codeLenInByte = 0
; NumSgprs: 4
; NumVgprs: 0
; NumAgprs: 0
; TotalNumVgprs: 0
; ScratchSize: 0
; MemoryBound: 0
; FloatMode: 240
; IeeeMode: 1
; LDSByteSize: 0 bytes/workgroup (compile time only)
; SGPRBlocks: 0
; VGPRBlocks: 0
; NumSGPRsForWavesPerEU: 4
; NumVGPRsForWavesPerEU: 1
; AccumOffset: 4
; Occupancy: 8
; WaveLimiterHint : 0
; COMPUTE_PGM_RSRC2:SCRATCH_EN: 0
; COMPUTE_PGM_RSRC2:USER_SGPR: 6
; COMPUTE_PGM_RSRC2:TRAP_HANDLER: 0
; COMPUTE_PGM_RSRC2:TGID_X_EN: 1
; COMPUTE_PGM_RSRC2:TGID_Y_EN: 0
; COMPUTE_PGM_RSRC2:TGID_Z_EN: 0
; COMPUTE_PGM_RSRC2:TIDIG_COMP_CNT: 0
; COMPUTE_PGM_RSRC3_GFX90A:ACCUM_OFFSET: 0
; COMPUTE_PGM_RSRC3_GFX90A:TG_SPLIT: 0
	.section	.text._ZN7rocprim17ROCPRIM_400000_NS6detail17trampoline_kernelINS0_14default_configENS1_38merge_sort_block_merge_config_selectorIsNS0_10empty_typeEEEZZNS1_27merge_sort_block_merge_implIS3_N6thrust23THRUST_200600_302600_NS6detail15normal_iteratorINS9_10device_ptrIsEEEEPS5_jNS1_19radix_merge_compareILb0ELb0EsNS0_19identity_decomposerEEEEE10hipError_tT0_T1_T2_jT3_P12ihipStream_tbPNSt15iterator_traitsISK_E10value_typeEPNSQ_ISL_E10value_typeEPSM_NS1_7vsmem_tEENKUlT_SK_SL_SM_E_clIPsSE_SF_SF_EESJ_SZ_SK_SL_SM_EUlSZ_E1_NS1_11comp_targetILNS1_3genE10ELNS1_11target_archE1201ELNS1_3gpuE5ELNS1_3repE0EEENS1_36merge_oddeven_config_static_selectorELNS0_4arch9wavefront6targetE1EEEvSL_,"axG",@progbits,_ZN7rocprim17ROCPRIM_400000_NS6detail17trampoline_kernelINS0_14default_configENS1_38merge_sort_block_merge_config_selectorIsNS0_10empty_typeEEEZZNS1_27merge_sort_block_merge_implIS3_N6thrust23THRUST_200600_302600_NS6detail15normal_iteratorINS9_10device_ptrIsEEEEPS5_jNS1_19radix_merge_compareILb0ELb0EsNS0_19identity_decomposerEEEEE10hipError_tT0_T1_T2_jT3_P12ihipStream_tbPNSt15iterator_traitsISK_E10value_typeEPNSQ_ISL_E10value_typeEPSM_NS1_7vsmem_tEENKUlT_SK_SL_SM_E_clIPsSE_SF_SF_EESJ_SZ_SK_SL_SM_EUlSZ_E1_NS1_11comp_targetILNS1_3genE10ELNS1_11target_archE1201ELNS1_3gpuE5ELNS1_3repE0EEENS1_36merge_oddeven_config_static_selectorELNS0_4arch9wavefront6targetE1EEEvSL_,comdat
	.protected	_ZN7rocprim17ROCPRIM_400000_NS6detail17trampoline_kernelINS0_14default_configENS1_38merge_sort_block_merge_config_selectorIsNS0_10empty_typeEEEZZNS1_27merge_sort_block_merge_implIS3_N6thrust23THRUST_200600_302600_NS6detail15normal_iteratorINS9_10device_ptrIsEEEEPS5_jNS1_19radix_merge_compareILb0ELb0EsNS0_19identity_decomposerEEEEE10hipError_tT0_T1_T2_jT3_P12ihipStream_tbPNSt15iterator_traitsISK_E10value_typeEPNSQ_ISL_E10value_typeEPSM_NS1_7vsmem_tEENKUlT_SK_SL_SM_E_clIPsSE_SF_SF_EESJ_SZ_SK_SL_SM_EUlSZ_E1_NS1_11comp_targetILNS1_3genE10ELNS1_11target_archE1201ELNS1_3gpuE5ELNS1_3repE0EEENS1_36merge_oddeven_config_static_selectorELNS0_4arch9wavefront6targetE1EEEvSL_ ; -- Begin function _ZN7rocprim17ROCPRIM_400000_NS6detail17trampoline_kernelINS0_14default_configENS1_38merge_sort_block_merge_config_selectorIsNS0_10empty_typeEEEZZNS1_27merge_sort_block_merge_implIS3_N6thrust23THRUST_200600_302600_NS6detail15normal_iteratorINS9_10device_ptrIsEEEEPS5_jNS1_19radix_merge_compareILb0ELb0EsNS0_19identity_decomposerEEEEE10hipError_tT0_T1_T2_jT3_P12ihipStream_tbPNSt15iterator_traitsISK_E10value_typeEPNSQ_ISL_E10value_typeEPSM_NS1_7vsmem_tEENKUlT_SK_SL_SM_E_clIPsSE_SF_SF_EESJ_SZ_SK_SL_SM_EUlSZ_E1_NS1_11comp_targetILNS1_3genE10ELNS1_11target_archE1201ELNS1_3gpuE5ELNS1_3repE0EEENS1_36merge_oddeven_config_static_selectorELNS0_4arch9wavefront6targetE1EEEvSL_
	.globl	_ZN7rocprim17ROCPRIM_400000_NS6detail17trampoline_kernelINS0_14default_configENS1_38merge_sort_block_merge_config_selectorIsNS0_10empty_typeEEEZZNS1_27merge_sort_block_merge_implIS3_N6thrust23THRUST_200600_302600_NS6detail15normal_iteratorINS9_10device_ptrIsEEEEPS5_jNS1_19radix_merge_compareILb0ELb0EsNS0_19identity_decomposerEEEEE10hipError_tT0_T1_T2_jT3_P12ihipStream_tbPNSt15iterator_traitsISK_E10value_typeEPNSQ_ISL_E10value_typeEPSM_NS1_7vsmem_tEENKUlT_SK_SL_SM_E_clIPsSE_SF_SF_EESJ_SZ_SK_SL_SM_EUlSZ_E1_NS1_11comp_targetILNS1_3genE10ELNS1_11target_archE1201ELNS1_3gpuE5ELNS1_3repE0EEENS1_36merge_oddeven_config_static_selectorELNS0_4arch9wavefront6targetE1EEEvSL_
	.p2align	8
	.type	_ZN7rocprim17ROCPRIM_400000_NS6detail17trampoline_kernelINS0_14default_configENS1_38merge_sort_block_merge_config_selectorIsNS0_10empty_typeEEEZZNS1_27merge_sort_block_merge_implIS3_N6thrust23THRUST_200600_302600_NS6detail15normal_iteratorINS9_10device_ptrIsEEEEPS5_jNS1_19radix_merge_compareILb0ELb0EsNS0_19identity_decomposerEEEEE10hipError_tT0_T1_T2_jT3_P12ihipStream_tbPNSt15iterator_traitsISK_E10value_typeEPNSQ_ISL_E10value_typeEPSM_NS1_7vsmem_tEENKUlT_SK_SL_SM_E_clIPsSE_SF_SF_EESJ_SZ_SK_SL_SM_EUlSZ_E1_NS1_11comp_targetILNS1_3genE10ELNS1_11target_archE1201ELNS1_3gpuE5ELNS1_3repE0EEENS1_36merge_oddeven_config_static_selectorELNS0_4arch9wavefront6targetE1EEEvSL_,@function
_ZN7rocprim17ROCPRIM_400000_NS6detail17trampoline_kernelINS0_14default_configENS1_38merge_sort_block_merge_config_selectorIsNS0_10empty_typeEEEZZNS1_27merge_sort_block_merge_implIS3_N6thrust23THRUST_200600_302600_NS6detail15normal_iteratorINS9_10device_ptrIsEEEEPS5_jNS1_19radix_merge_compareILb0ELb0EsNS0_19identity_decomposerEEEEE10hipError_tT0_T1_T2_jT3_P12ihipStream_tbPNSt15iterator_traitsISK_E10value_typeEPNSQ_ISL_E10value_typeEPSM_NS1_7vsmem_tEENKUlT_SK_SL_SM_E_clIPsSE_SF_SF_EESJ_SZ_SK_SL_SM_EUlSZ_E1_NS1_11comp_targetILNS1_3genE10ELNS1_11target_archE1201ELNS1_3gpuE5ELNS1_3repE0EEENS1_36merge_oddeven_config_static_selectorELNS0_4arch9wavefront6targetE1EEEvSL_: ; @_ZN7rocprim17ROCPRIM_400000_NS6detail17trampoline_kernelINS0_14default_configENS1_38merge_sort_block_merge_config_selectorIsNS0_10empty_typeEEEZZNS1_27merge_sort_block_merge_implIS3_N6thrust23THRUST_200600_302600_NS6detail15normal_iteratorINS9_10device_ptrIsEEEEPS5_jNS1_19radix_merge_compareILb0ELb0EsNS0_19identity_decomposerEEEEE10hipError_tT0_T1_T2_jT3_P12ihipStream_tbPNSt15iterator_traitsISK_E10value_typeEPNSQ_ISL_E10value_typeEPSM_NS1_7vsmem_tEENKUlT_SK_SL_SM_E_clIPsSE_SF_SF_EESJ_SZ_SK_SL_SM_EUlSZ_E1_NS1_11comp_targetILNS1_3genE10ELNS1_11target_archE1201ELNS1_3gpuE5ELNS1_3repE0EEENS1_36merge_oddeven_config_static_selectorELNS0_4arch9wavefront6targetE1EEEvSL_
; %bb.0:
	.section	.rodata,"a",@progbits
	.p2align	6, 0x0
	.amdhsa_kernel _ZN7rocprim17ROCPRIM_400000_NS6detail17trampoline_kernelINS0_14default_configENS1_38merge_sort_block_merge_config_selectorIsNS0_10empty_typeEEEZZNS1_27merge_sort_block_merge_implIS3_N6thrust23THRUST_200600_302600_NS6detail15normal_iteratorINS9_10device_ptrIsEEEEPS5_jNS1_19radix_merge_compareILb0ELb0EsNS0_19identity_decomposerEEEEE10hipError_tT0_T1_T2_jT3_P12ihipStream_tbPNSt15iterator_traitsISK_E10value_typeEPNSQ_ISL_E10value_typeEPSM_NS1_7vsmem_tEENKUlT_SK_SL_SM_E_clIPsSE_SF_SF_EESJ_SZ_SK_SL_SM_EUlSZ_E1_NS1_11comp_targetILNS1_3genE10ELNS1_11target_archE1201ELNS1_3gpuE5ELNS1_3repE0EEENS1_36merge_oddeven_config_static_selectorELNS0_4arch9wavefront6targetE1EEEvSL_
		.amdhsa_group_segment_fixed_size 0
		.amdhsa_private_segment_fixed_size 0
		.amdhsa_kernarg_size 48
		.amdhsa_user_sgpr_count 6
		.amdhsa_user_sgpr_private_segment_buffer 1
		.amdhsa_user_sgpr_dispatch_ptr 0
		.amdhsa_user_sgpr_queue_ptr 0
		.amdhsa_user_sgpr_kernarg_segment_ptr 1
		.amdhsa_user_sgpr_dispatch_id 0
		.amdhsa_user_sgpr_flat_scratch_init 0
		.amdhsa_user_sgpr_kernarg_preload_length 0
		.amdhsa_user_sgpr_kernarg_preload_offset 0
		.amdhsa_user_sgpr_private_segment_size 0
		.amdhsa_uses_dynamic_stack 0
		.amdhsa_system_sgpr_private_segment_wavefront_offset 0
		.amdhsa_system_sgpr_workgroup_id_x 1
		.amdhsa_system_sgpr_workgroup_id_y 0
		.amdhsa_system_sgpr_workgroup_id_z 0
		.amdhsa_system_sgpr_workgroup_info 0
		.amdhsa_system_vgpr_workitem_id 0
		.amdhsa_next_free_vgpr 1
		.amdhsa_next_free_sgpr 0
		.amdhsa_accum_offset 4
		.amdhsa_reserve_vcc 0
		.amdhsa_reserve_flat_scratch 0
		.amdhsa_float_round_mode_32 0
		.amdhsa_float_round_mode_16_64 0
		.amdhsa_float_denorm_mode_32 3
		.amdhsa_float_denorm_mode_16_64 3
		.amdhsa_dx10_clamp 1
		.amdhsa_ieee_mode 1
		.amdhsa_fp16_overflow 0
		.amdhsa_tg_split 0
		.amdhsa_exception_fp_ieee_invalid_op 0
		.amdhsa_exception_fp_denorm_src 0
		.amdhsa_exception_fp_ieee_div_zero 0
		.amdhsa_exception_fp_ieee_overflow 0
		.amdhsa_exception_fp_ieee_underflow 0
		.amdhsa_exception_fp_ieee_inexact 0
		.amdhsa_exception_int_div_zero 0
	.end_amdhsa_kernel
	.section	.text._ZN7rocprim17ROCPRIM_400000_NS6detail17trampoline_kernelINS0_14default_configENS1_38merge_sort_block_merge_config_selectorIsNS0_10empty_typeEEEZZNS1_27merge_sort_block_merge_implIS3_N6thrust23THRUST_200600_302600_NS6detail15normal_iteratorINS9_10device_ptrIsEEEEPS5_jNS1_19radix_merge_compareILb0ELb0EsNS0_19identity_decomposerEEEEE10hipError_tT0_T1_T2_jT3_P12ihipStream_tbPNSt15iterator_traitsISK_E10value_typeEPNSQ_ISL_E10value_typeEPSM_NS1_7vsmem_tEENKUlT_SK_SL_SM_E_clIPsSE_SF_SF_EESJ_SZ_SK_SL_SM_EUlSZ_E1_NS1_11comp_targetILNS1_3genE10ELNS1_11target_archE1201ELNS1_3gpuE5ELNS1_3repE0EEENS1_36merge_oddeven_config_static_selectorELNS0_4arch9wavefront6targetE1EEEvSL_,"axG",@progbits,_ZN7rocprim17ROCPRIM_400000_NS6detail17trampoline_kernelINS0_14default_configENS1_38merge_sort_block_merge_config_selectorIsNS0_10empty_typeEEEZZNS1_27merge_sort_block_merge_implIS3_N6thrust23THRUST_200600_302600_NS6detail15normal_iteratorINS9_10device_ptrIsEEEEPS5_jNS1_19radix_merge_compareILb0ELb0EsNS0_19identity_decomposerEEEEE10hipError_tT0_T1_T2_jT3_P12ihipStream_tbPNSt15iterator_traitsISK_E10value_typeEPNSQ_ISL_E10value_typeEPSM_NS1_7vsmem_tEENKUlT_SK_SL_SM_E_clIPsSE_SF_SF_EESJ_SZ_SK_SL_SM_EUlSZ_E1_NS1_11comp_targetILNS1_3genE10ELNS1_11target_archE1201ELNS1_3gpuE5ELNS1_3repE0EEENS1_36merge_oddeven_config_static_selectorELNS0_4arch9wavefront6targetE1EEEvSL_,comdat
.Lfunc_end1835:
	.size	_ZN7rocprim17ROCPRIM_400000_NS6detail17trampoline_kernelINS0_14default_configENS1_38merge_sort_block_merge_config_selectorIsNS0_10empty_typeEEEZZNS1_27merge_sort_block_merge_implIS3_N6thrust23THRUST_200600_302600_NS6detail15normal_iteratorINS9_10device_ptrIsEEEEPS5_jNS1_19radix_merge_compareILb0ELb0EsNS0_19identity_decomposerEEEEE10hipError_tT0_T1_T2_jT3_P12ihipStream_tbPNSt15iterator_traitsISK_E10value_typeEPNSQ_ISL_E10value_typeEPSM_NS1_7vsmem_tEENKUlT_SK_SL_SM_E_clIPsSE_SF_SF_EESJ_SZ_SK_SL_SM_EUlSZ_E1_NS1_11comp_targetILNS1_3genE10ELNS1_11target_archE1201ELNS1_3gpuE5ELNS1_3repE0EEENS1_36merge_oddeven_config_static_selectorELNS0_4arch9wavefront6targetE1EEEvSL_, .Lfunc_end1835-_ZN7rocprim17ROCPRIM_400000_NS6detail17trampoline_kernelINS0_14default_configENS1_38merge_sort_block_merge_config_selectorIsNS0_10empty_typeEEEZZNS1_27merge_sort_block_merge_implIS3_N6thrust23THRUST_200600_302600_NS6detail15normal_iteratorINS9_10device_ptrIsEEEEPS5_jNS1_19radix_merge_compareILb0ELb0EsNS0_19identity_decomposerEEEEE10hipError_tT0_T1_T2_jT3_P12ihipStream_tbPNSt15iterator_traitsISK_E10value_typeEPNSQ_ISL_E10value_typeEPSM_NS1_7vsmem_tEENKUlT_SK_SL_SM_E_clIPsSE_SF_SF_EESJ_SZ_SK_SL_SM_EUlSZ_E1_NS1_11comp_targetILNS1_3genE10ELNS1_11target_archE1201ELNS1_3gpuE5ELNS1_3repE0EEENS1_36merge_oddeven_config_static_selectorELNS0_4arch9wavefront6targetE1EEEvSL_
                                        ; -- End function
	.section	.AMDGPU.csdata,"",@progbits
; Kernel info:
; codeLenInByte = 0
; NumSgprs: 4
; NumVgprs: 0
; NumAgprs: 0
; TotalNumVgprs: 0
; ScratchSize: 0
; MemoryBound: 0
; FloatMode: 240
; IeeeMode: 1
; LDSByteSize: 0 bytes/workgroup (compile time only)
; SGPRBlocks: 0
; VGPRBlocks: 0
; NumSGPRsForWavesPerEU: 4
; NumVGPRsForWavesPerEU: 1
; AccumOffset: 4
; Occupancy: 8
; WaveLimiterHint : 0
; COMPUTE_PGM_RSRC2:SCRATCH_EN: 0
; COMPUTE_PGM_RSRC2:USER_SGPR: 6
; COMPUTE_PGM_RSRC2:TRAP_HANDLER: 0
; COMPUTE_PGM_RSRC2:TGID_X_EN: 1
; COMPUTE_PGM_RSRC2:TGID_Y_EN: 0
; COMPUTE_PGM_RSRC2:TGID_Z_EN: 0
; COMPUTE_PGM_RSRC2:TIDIG_COMP_CNT: 0
; COMPUTE_PGM_RSRC3_GFX90A:ACCUM_OFFSET: 0
; COMPUTE_PGM_RSRC3_GFX90A:TG_SPLIT: 0
	.section	.text._ZN7rocprim17ROCPRIM_400000_NS6detail17trampoline_kernelINS0_14default_configENS1_38merge_sort_block_merge_config_selectorIsNS0_10empty_typeEEEZZNS1_27merge_sort_block_merge_implIS3_N6thrust23THRUST_200600_302600_NS6detail15normal_iteratorINS9_10device_ptrIsEEEEPS5_jNS1_19radix_merge_compareILb0ELb0EsNS0_19identity_decomposerEEEEE10hipError_tT0_T1_T2_jT3_P12ihipStream_tbPNSt15iterator_traitsISK_E10value_typeEPNSQ_ISL_E10value_typeEPSM_NS1_7vsmem_tEENKUlT_SK_SL_SM_E_clIPsSE_SF_SF_EESJ_SZ_SK_SL_SM_EUlSZ_E1_NS1_11comp_targetILNS1_3genE5ELNS1_11target_archE942ELNS1_3gpuE9ELNS1_3repE0EEENS1_36merge_oddeven_config_static_selectorELNS0_4arch9wavefront6targetE1EEEvSL_,"axG",@progbits,_ZN7rocprim17ROCPRIM_400000_NS6detail17trampoline_kernelINS0_14default_configENS1_38merge_sort_block_merge_config_selectorIsNS0_10empty_typeEEEZZNS1_27merge_sort_block_merge_implIS3_N6thrust23THRUST_200600_302600_NS6detail15normal_iteratorINS9_10device_ptrIsEEEEPS5_jNS1_19radix_merge_compareILb0ELb0EsNS0_19identity_decomposerEEEEE10hipError_tT0_T1_T2_jT3_P12ihipStream_tbPNSt15iterator_traitsISK_E10value_typeEPNSQ_ISL_E10value_typeEPSM_NS1_7vsmem_tEENKUlT_SK_SL_SM_E_clIPsSE_SF_SF_EESJ_SZ_SK_SL_SM_EUlSZ_E1_NS1_11comp_targetILNS1_3genE5ELNS1_11target_archE942ELNS1_3gpuE9ELNS1_3repE0EEENS1_36merge_oddeven_config_static_selectorELNS0_4arch9wavefront6targetE1EEEvSL_,comdat
	.protected	_ZN7rocprim17ROCPRIM_400000_NS6detail17trampoline_kernelINS0_14default_configENS1_38merge_sort_block_merge_config_selectorIsNS0_10empty_typeEEEZZNS1_27merge_sort_block_merge_implIS3_N6thrust23THRUST_200600_302600_NS6detail15normal_iteratorINS9_10device_ptrIsEEEEPS5_jNS1_19radix_merge_compareILb0ELb0EsNS0_19identity_decomposerEEEEE10hipError_tT0_T1_T2_jT3_P12ihipStream_tbPNSt15iterator_traitsISK_E10value_typeEPNSQ_ISL_E10value_typeEPSM_NS1_7vsmem_tEENKUlT_SK_SL_SM_E_clIPsSE_SF_SF_EESJ_SZ_SK_SL_SM_EUlSZ_E1_NS1_11comp_targetILNS1_3genE5ELNS1_11target_archE942ELNS1_3gpuE9ELNS1_3repE0EEENS1_36merge_oddeven_config_static_selectorELNS0_4arch9wavefront6targetE1EEEvSL_ ; -- Begin function _ZN7rocprim17ROCPRIM_400000_NS6detail17trampoline_kernelINS0_14default_configENS1_38merge_sort_block_merge_config_selectorIsNS0_10empty_typeEEEZZNS1_27merge_sort_block_merge_implIS3_N6thrust23THRUST_200600_302600_NS6detail15normal_iteratorINS9_10device_ptrIsEEEEPS5_jNS1_19radix_merge_compareILb0ELb0EsNS0_19identity_decomposerEEEEE10hipError_tT0_T1_T2_jT3_P12ihipStream_tbPNSt15iterator_traitsISK_E10value_typeEPNSQ_ISL_E10value_typeEPSM_NS1_7vsmem_tEENKUlT_SK_SL_SM_E_clIPsSE_SF_SF_EESJ_SZ_SK_SL_SM_EUlSZ_E1_NS1_11comp_targetILNS1_3genE5ELNS1_11target_archE942ELNS1_3gpuE9ELNS1_3repE0EEENS1_36merge_oddeven_config_static_selectorELNS0_4arch9wavefront6targetE1EEEvSL_
	.globl	_ZN7rocprim17ROCPRIM_400000_NS6detail17trampoline_kernelINS0_14default_configENS1_38merge_sort_block_merge_config_selectorIsNS0_10empty_typeEEEZZNS1_27merge_sort_block_merge_implIS3_N6thrust23THRUST_200600_302600_NS6detail15normal_iteratorINS9_10device_ptrIsEEEEPS5_jNS1_19radix_merge_compareILb0ELb0EsNS0_19identity_decomposerEEEEE10hipError_tT0_T1_T2_jT3_P12ihipStream_tbPNSt15iterator_traitsISK_E10value_typeEPNSQ_ISL_E10value_typeEPSM_NS1_7vsmem_tEENKUlT_SK_SL_SM_E_clIPsSE_SF_SF_EESJ_SZ_SK_SL_SM_EUlSZ_E1_NS1_11comp_targetILNS1_3genE5ELNS1_11target_archE942ELNS1_3gpuE9ELNS1_3repE0EEENS1_36merge_oddeven_config_static_selectorELNS0_4arch9wavefront6targetE1EEEvSL_
	.p2align	8
	.type	_ZN7rocprim17ROCPRIM_400000_NS6detail17trampoline_kernelINS0_14default_configENS1_38merge_sort_block_merge_config_selectorIsNS0_10empty_typeEEEZZNS1_27merge_sort_block_merge_implIS3_N6thrust23THRUST_200600_302600_NS6detail15normal_iteratorINS9_10device_ptrIsEEEEPS5_jNS1_19radix_merge_compareILb0ELb0EsNS0_19identity_decomposerEEEEE10hipError_tT0_T1_T2_jT3_P12ihipStream_tbPNSt15iterator_traitsISK_E10value_typeEPNSQ_ISL_E10value_typeEPSM_NS1_7vsmem_tEENKUlT_SK_SL_SM_E_clIPsSE_SF_SF_EESJ_SZ_SK_SL_SM_EUlSZ_E1_NS1_11comp_targetILNS1_3genE5ELNS1_11target_archE942ELNS1_3gpuE9ELNS1_3repE0EEENS1_36merge_oddeven_config_static_selectorELNS0_4arch9wavefront6targetE1EEEvSL_,@function
_ZN7rocprim17ROCPRIM_400000_NS6detail17trampoline_kernelINS0_14default_configENS1_38merge_sort_block_merge_config_selectorIsNS0_10empty_typeEEEZZNS1_27merge_sort_block_merge_implIS3_N6thrust23THRUST_200600_302600_NS6detail15normal_iteratorINS9_10device_ptrIsEEEEPS5_jNS1_19radix_merge_compareILb0ELb0EsNS0_19identity_decomposerEEEEE10hipError_tT0_T1_T2_jT3_P12ihipStream_tbPNSt15iterator_traitsISK_E10value_typeEPNSQ_ISL_E10value_typeEPSM_NS1_7vsmem_tEENKUlT_SK_SL_SM_E_clIPsSE_SF_SF_EESJ_SZ_SK_SL_SM_EUlSZ_E1_NS1_11comp_targetILNS1_3genE5ELNS1_11target_archE942ELNS1_3gpuE9ELNS1_3repE0EEENS1_36merge_oddeven_config_static_selectorELNS0_4arch9wavefront6targetE1EEEvSL_: ; @_ZN7rocprim17ROCPRIM_400000_NS6detail17trampoline_kernelINS0_14default_configENS1_38merge_sort_block_merge_config_selectorIsNS0_10empty_typeEEEZZNS1_27merge_sort_block_merge_implIS3_N6thrust23THRUST_200600_302600_NS6detail15normal_iteratorINS9_10device_ptrIsEEEEPS5_jNS1_19radix_merge_compareILb0ELb0EsNS0_19identity_decomposerEEEEE10hipError_tT0_T1_T2_jT3_P12ihipStream_tbPNSt15iterator_traitsISK_E10value_typeEPNSQ_ISL_E10value_typeEPSM_NS1_7vsmem_tEENKUlT_SK_SL_SM_E_clIPsSE_SF_SF_EESJ_SZ_SK_SL_SM_EUlSZ_E1_NS1_11comp_targetILNS1_3genE5ELNS1_11target_archE942ELNS1_3gpuE9ELNS1_3repE0EEENS1_36merge_oddeven_config_static_selectorELNS0_4arch9wavefront6targetE1EEEvSL_
; %bb.0:
	.section	.rodata,"a",@progbits
	.p2align	6, 0x0
	.amdhsa_kernel _ZN7rocprim17ROCPRIM_400000_NS6detail17trampoline_kernelINS0_14default_configENS1_38merge_sort_block_merge_config_selectorIsNS0_10empty_typeEEEZZNS1_27merge_sort_block_merge_implIS3_N6thrust23THRUST_200600_302600_NS6detail15normal_iteratorINS9_10device_ptrIsEEEEPS5_jNS1_19radix_merge_compareILb0ELb0EsNS0_19identity_decomposerEEEEE10hipError_tT0_T1_T2_jT3_P12ihipStream_tbPNSt15iterator_traitsISK_E10value_typeEPNSQ_ISL_E10value_typeEPSM_NS1_7vsmem_tEENKUlT_SK_SL_SM_E_clIPsSE_SF_SF_EESJ_SZ_SK_SL_SM_EUlSZ_E1_NS1_11comp_targetILNS1_3genE5ELNS1_11target_archE942ELNS1_3gpuE9ELNS1_3repE0EEENS1_36merge_oddeven_config_static_selectorELNS0_4arch9wavefront6targetE1EEEvSL_
		.amdhsa_group_segment_fixed_size 0
		.amdhsa_private_segment_fixed_size 0
		.amdhsa_kernarg_size 48
		.amdhsa_user_sgpr_count 6
		.amdhsa_user_sgpr_private_segment_buffer 1
		.amdhsa_user_sgpr_dispatch_ptr 0
		.amdhsa_user_sgpr_queue_ptr 0
		.amdhsa_user_sgpr_kernarg_segment_ptr 1
		.amdhsa_user_sgpr_dispatch_id 0
		.amdhsa_user_sgpr_flat_scratch_init 0
		.amdhsa_user_sgpr_kernarg_preload_length 0
		.amdhsa_user_sgpr_kernarg_preload_offset 0
		.amdhsa_user_sgpr_private_segment_size 0
		.amdhsa_uses_dynamic_stack 0
		.amdhsa_system_sgpr_private_segment_wavefront_offset 0
		.amdhsa_system_sgpr_workgroup_id_x 1
		.amdhsa_system_sgpr_workgroup_id_y 0
		.amdhsa_system_sgpr_workgroup_id_z 0
		.amdhsa_system_sgpr_workgroup_info 0
		.amdhsa_system_vgpr_workitem_id 0
		.amdhsa_next_free_vgpr 1
		.amdhsa_next_free_sgpr 0
		.amdhsa_accum_offset 4
		.amdhsa_reserve_vcc 0
		.amdhsa_reserve_flat_scratch 0
		.amdhsa_float_round_mode_32 0
		.amdhsa_float_round_mode_16_64 0
		.amdhsa_float_denorm_mode_32 3
		.amdhsa_float_denorm_mode_16_64 3
		.amdhsa_dx10_clamp 1
		.amdhsa_ieee_mode 1
		.amdhsa_fp16_overflow 0
		.amdhsa_tg_split 0
		.amdhsa_exception_fp_ieee_invalid_op 0
		.amdhsa_exception_fp_denorm_src 0
		.amdhsa_exception_fp_ieee_div_zero 0
		.amdhsa_exception_fp_ieee_overflow 0
		.amdhsa_exception_fp_ieee_underflow 0
		.amdhsa_exception_fp_ieee_inexact 0
		.amdhsa_exception_int_div_zero 0
	.end_amdhsa_kernel
	.section	.text._ZN7rocprim17ROCPRIM_400000_NS6detail17trampoline_kernelINS0_14default_configENS1_38merge_sort_block_merge_config_selectorIsNS0_10empty_typeEEEZZNS1_27merge_sort_block_merge_implIS3_N6thrust23THRUST_200600_302600_NS6detail15normal_iteratorINS9_10device_ptrIsEEEEPS5_jNS1_19radix_merge_compareILb0ELb0EsNS0_19identity_decomposerEEEEE10hipError_tT0_T1_T2_jT3_P12ihipStream_tbPNSt15iterator_traitsISK_E10value_typeEPNSQ_ISL_E10value_typeEPSM_NS1_7vsmem_tEENKUlT_SK_SL_SM_E_clIPsSE_SF_SF_EESJ_SZ_SK_SL_SM_EUlSZ_E1_NS1_11comp_targetILNS1_3genE5ELNS1_11target_archE942ELNS1_3gpuE9ELNS1_3repE0EEENS1_36merge_oddeven_config_static_selectorELNS0_4arch9wavefront6targetE1EEEvSL_,"axG",@progbits,_ZN7rocprim17ROCPRIM_400000_NS6detail17trampoline_kernelINS0_14default_configENS1_38merge_sort_block_merge_config_selectorIsNS0_10empty_typeEEEZZNS1_27merge_sort_block_merge_implIS3_N6thrust23THRUST_200600_302600_NS6detail15normal_iteratorINS9_10device_ptrIsEEEEPS5_jNS1_19radix_merge_compareILb0ELb0EsNS0_19identity_decomposerEEEEE10hipError_tT0_T1_T2_jT3_P12ihipStream_tbPNSt15iterator_traitsISK_E10value_typeEPNSQ_ISL_E10value_typeEPSM_NS1_7vsmem_tEENKUlT_SK_SL_SM_E_clIPsSE_SF_SF_EESJ_SZ_SK_SL_SM_EUlSZ_E1_NS1_11comp_targetILNS1_3genE5ELNS1_11target_archE942ELNS1_3gpuE9ELNS1_3repE0EEENS1_36merge_oddeven_config_static_selectorELNS0_4arch9wavefront6targetE1EEEvSL_,comdat
.Lfunc_end1836:
	.size	_ZN7rocprim17ROCPRIM_400000_NS6detail17trampoline_kernelINS0_14default_configENS1_38merge_sort_block_merge_config_selectorIsNS0_10empty_typeEEEZZNS1_27merge_sort_block_merge_implIS3_N6thrust23THRUST_200600_302600_NS6detail15normal_iteratorINS9_10device_ptrIsEEEEPS5_jNS1_19radix_merge_compareILb0ELb0EsNS0_19identity_decomposerEEEEE10hipError_tT0_T1_T2_jT3_P12ihipStream_tbPNSt15iterator_traitsISK_E10value_typeEPNSQ_ISL_E10value_typeEPSM_NS1_7vsmem_tEENKUlT_SK_SL_SM_E_clIPsSE_SF_SF_EESJ_SZ_SK_SL_SM_EUlSZ_E1_NS1_11comp_targetILNS1_3genE5ELNS1_11target_archE942ELNS1_3gpuE9ELNS1_3repE0EEENS1_36merge_oddeven_config_static_selectorELNS0_4arch9wavefront6targetE1EEEvSL_, .Lfunc_end1836-_ZN7rocprim17ROCPRIM_400000_NS6detail17trampoline_kernelINS0_14default_configENS1_38merge_sort_block_merge_config_selectorIsNS0_10empty_typeEEEZZNS1_27merge_sort_block_merge_implIS3_N6thrust23THRUST_200600_302600_NS6detail15normal_iteratorINS9_10device_ptrIsEEEEPS5_jNS1_19radix_merge_compareILb0ELb0EsNS0_19identity_decomposerEEEEE10hipError_tT0_T1_T2_jT3_P12ihipStream_tbPNSt15iterator_traitsISK_E10value_typeEPNSQ_ISL_E10value_typeEPSM_NS1_7vsmem_tEENKUlT_SK_SL_SM_E_clIPsSE_SF_SF_EESJ_SZ_SK_SL_SM_EUlSZ_E1_NS1_11comp_targetILNS1_3genE5ELNS1_11target_archE942ELNS1_3gpuE9ELNS1_3repE0EEENS1_36merge_oddeven_config_static_selectorELNS0_4arch9wavefront6targetE1EEEvSL_
                                        ; -- End function
	.section	.AMDGPU.csdata,"",@progbits
; Kernel info:
; codeLenInByte = 0
; NumSgprs: 4
; NumVgprs: 0
; NumAgprs: 0
; TotalNumVgprs: 0
; ScratchSize: 0
; MemoryBound: 0
; FloatMode: 240
; IeeeMode: 1
; LDSByteSize: 0 bytes/workgroup (compile time only)
; SGPRBlocks: 0
; VGPRBlocks: 0
; NumSGPRsForWavesPerEU: 4
; NumVGPRsForWavesPerEU: 1
; AccumOffset: 4
; Occupancy: 8
; WaveLimiterHint : 0
; COMPUTE_PGM_RSRC2:SCRATCH_EN: 0
; COMPUTE_PGM_RSRC2:USER_SGPR: 6
; COMPUTE_PGM_RSRC2:TRAP_HANDLER: 0
; COMPUTE_PGM_RSRC2:TGID_X_EN: 1
; COMPUTE_PGM_RSRC2:TGID_Y_EN: 0
; COMPUTE_PGM_RSRC2:TGID_Z_EN: 0
; COMPUTE_PGM_RSRC2:TIDIG_COMP_CNT: 0
; COMPUTE_PGM_RSRC3_GFX90A:ACCUM_OFFSET: 0
; COMPUTE_PGM_RSRC3_GFX90A:TG_SPLIT: 0
	.section	.text._ZN7rocprim17ROCPRIM_400000_NS6detail17trampoline_kernelINS0_14default_configENS1_38merge_sort_block_merge_config_selectorIsNS0_10empty_typeEEEZZNS1_27merge_sort_block_merge_implIS3_N6thrust23THRUST_200600_302600_NS6detail15normal_iteratorINS9_10device_ptrIsEEEEPS5_jNS1_19radix_merge_compareILb0ELb0EsNS0_19identity_decomposerEEEEE10hipError_tT0_T1_T2_jT3_P12ihipStream_tbPNSt15iterator_traitsISK_E10value_typeEPNSQ_ISL_E10value_typeEPSM_NS1_7vsmem_tEENKUlT_SK_SL_SM_E_clIPsSE_SF_SF_EESJ_SZ_SK_SL_SM_EUlSZ_E1_NS1_11comp_targetILNS1_3genE4ELNS1_11target_archE910ELNS1_3gpuE8ELNS1_3repE0EEENS1_36merge_oddeven_config_static_selectorELNS0_4arch9wavefront6targetE1EEEvSL_,"axG",@progbits,_ZN7rocprim17ROCPRIM_400000_NS6detail17trampoline_kernelINS0_14default_configENS1_38merge_sort_block_merge_config_selectorIsNS0_10empty_typeEEEZZNS1_27merge_sort_block_merge_implIS3_N6thrust23THRUST_200600_302600_NS6detail15normal_iteratorINS9_10device_ptrIsEEEEPS5_jNS1_19radix_merge_compareILb0ELb0EsNS0_19identity_decomposerEEEEE10hipError_tT0_T1_T2_jT3_P12ihipStream_tbPNSt15iterator_traitsISK_E10value_typeEPNSQ_ISL_E10value_typeEPSM_NS1_7vsmem_tEENKUlT_SK_SL_SM_E_clIPsSE_SF_SF_EESJ_SZ_SK_SL_SM_EUlSZ_E1_NS1_11comp_targetILNS1_3genE4ELNS1_11target_archE910ELNS1_3gpuE8ELNS1_3repE0EEENS1_36merge_oddeven_config_static_selectorELNS0_4arch9wavefront6targetE1EEEvSL_,comdat
	.protected	_ZN7rocprim17ROCPRIM_400000_NS6detail17trampoline_kernelINS0_14default_configENS1_38merge_sort_block_merge_config_selectorIsNS0_10empty_typeEEEZZNS1_27merge_sort_block_merge_implIS3_N6thrust23THRUST_200600_302600_NS6detail15normal_iteratorINS9_10device_ptrIsEEEEPS5_jNS1_19radix_merge_compareILb0ELb0EsNS0_19identity_decomposerEEEEE10hipError_tT0_T1_T2_jT3_P12ihipStream_tbPNSt15iterator_traitsISK_E10value_typeEPNSQ_ISL_E10value_typeEPSM_NS1_7vsmem_tEENKUlT_SK_SL_SM_E_clIPsSE_SF_SF_EESJ_SZ_SK_SL_SM_EUlSZ_E1_NS1_11comp_targetILNS1_3genE4ELNS1_11target_archE910ELNS1_3gpuE8ELNS1_3repE0EEENS1_36merge_oddeven_config_static_selectorELNS0_4arch9wavefront6targetE1EEEvSL_ ; -- Begin function _ZN7rocprim17ROCPRIM_400000_NS6detail17trampoline_kernelINS0_14default_configENS1_38merge_sort_block_merge_config_selectorIsNS0_10empty_typeEEEZZNS1_27merge_sort_block_merge_implIS3_N6thrust23THRUST_200600_302600_NS6detail15normal_iteratorINS9_10device_ptrIsEEEEPS5_jNS1_19radix_merge_compareILb0ELb0EsNS0_19identity_decomposerEEEEE10hipError_tT0_T1_T2_jT3_P12ihipStream_tbPNSt15iterator_traitsISK_E10value_typeEPNSQ_ISL_E10value_typeEPSM_NS1_7vsmem_tEENKUlT_SK_SL_SM_E_clIPsSE_SF_SF_EESJ_SZ_SK_SL_SM_EUlSZ_E1_NS1_11comp_targetILNS1_3genE4ELNS1_11target_archE910ELNS1_3gpuE8ELNS1_3repE0EEENS1_36merge_oddeven_config_static_selectorELNS0_4arch9wavefront6targetE1EEEvSL_
	.globl	_ZN7rocprim17ROCPRIM_400000_NS6detail17trampoline_kernelINS0_14default_configENS1_38merge_sort_block_merge_config_selectorIsNS0_10empty_typeEEEZZNS1_27merge_sort_block_merge_implIS3_N6thrust23THRUST_200600_302600_NS6detail15normal_iteratorINS9_10device_ptrIsEEEEPS5_jNS1_19radix_merge_compareILb0ELb0EsNS0_19identity_decomposerEEEEE10hipError_tT0_T1_T2_jT3_P12ihipStream_tbPNSt15iterator_traitsISK_E10value_typeEPNSQ_ISL_E10value_typeEPSM_NS1_7vsmem_tEENKUlT_SK_SL_SM_E_clIPsSE_SF_SF_EESJ_SZ_SK_SL_SM_EUlSZ_E1_NS1_11comp_targetILNS1_3genE4ELNS1_11target_archE910ELNS1_3gpuE8ELNS1_3repE0EEENS1_36merge_oddeven_config_static_selectorELNS0_4arch9wavefront6targetE1EEEvSL_
	.p2align	8
	.type	_ZN7rocprim17ROCPRIM_400000_NS6detail17trampoline_kernelINS0_14default_configENS1_38merge_sort_block_merge_config_selectorIsNS0_10empty_typeEEEZZNS1_27merge_sort_block_merge_implIS3_N6thrust23THRUST_200600_302600_NS6detail15normal_iteratorINS9_10device_ptrIsEEEEPS5_jNS1_19radix_merge_compareILb0ELb0EsNS0_19identity_decomposerEEEEE10hipError_tT0_T1_T2_jT3_P12ihipStream_tbPNSt15iterator_traitsISK_E10value_typeEPNSQ_ISL_E10value_typeEPSM_NS1_7vsmem_tEENKUlT_SK_SL_SM_E_clIPsSE_SF_SF_EESJ_SZ_SK_SL_SM_EUlSZ_E1_NS1_11comp_targetILNS1_3genE4ELNS1_11target_archE910ELNS1_3gpuE8ELNS1_3repE0EEENS1_36merge_oddeven_config_static_selectorELNS0_4arch9wavefront6targetE1EEEvSL_,@function
_ZN7rocprim17ROCPRIM_400000_NS6detail17trampoline_kernelINS0_14default_configENS1_38merge_sort_block_merge_config_selectorIsNS0_10empty_typeEEEZZNS1_27merge_sort_block_merge_implIS3_N6thrust23THRUST_200600_302600_NS6detail15normal_iteratorINS9_10device_ptrIsEEEEPS5_jNS1_19radix_merge_compareILb0ELb0EsNS0_19identity_decomposerEEEEE10hipError_tT0_T1_T2_jT3_P12ihipStream_tbPNSt15iterator_traitsISK_E10value_typeEPNSQ_ISL_E10value_typeEPSM_NS1_7vsmem_tEENKUlT_SK_SL_SM_E_clIPsSE_SF_SF_EESJ_SZ_SK_SL_SM_EUlSZ_E1_NS1_11comp_targetILNS1_3genE4ELNS1_11target_archE910ELNS1_3gpuE8ELNS1_3repE0EEENS1_36merge_oddeven_config_static_selectorELNS0_4arch9wavefront6targetE1EEEvSL_: ; @_ZN7rocprim17ROCPRIM_400000_NS6detail17trampoline_kernelINS0_14default_configENS1_38merge_sort_block_merge_config_selectorIsNS0_10empty_typeEEEZZNS1_27merge_sort_block_merge_implIS3_N6thrust23THRUST_200600_302600_NS6detail15normal_iteratorINS9_10device_ptrIsEEEEPS5_jNS1_19radix_merge_compareILb0ELb0EsNS0_19identity_decomposerEEEEE10hipError_tT0_T1_T2_jT3_P12ihipStream_tbPNSt15iterator_traitsISK_E10value_typeEPNSQ_ISL_E10value_typeEPSM_NS1_7vsmem_tEENKUlT_SK_SL_SM_E_clIPsSE_SF_SF_EESJ_SZ_SK_SL_SM_EUlSZ_E1_NS1_11comp_targetILNS1_3genE4ELNS1_11target_archE910ELNS1_3gpuE8ELNS1_3repE0EEENS1_36merge_oddeven_config_static_selectorELNS0_4arch9wavefront6targetE1EEEvSL_
; %bb.0:
	s_load_dword s18, s[4:5], 0x20
	s_waitcnt lgkmcnt(0)
	s_lshr_b32 s0, s18, 8
	s_cmp_lg_u32 s6, s0
	s_cselect_b64 s[14:15], -1, 0
	s_cmp_eq_u32 s6, s0
	s_cselect_b64 s[12:13], -1, 0
	s_lshl_b32 s16, s6, 8
	s_sub_i32 s0, s18, s16
	v_cmp_gt_u32_e64 s[2:3], s0, v0
	s_or_b64 s[0:1], s[14:15], s[2:3]
	s_and_saveexec_b64 s[8:9], s[0:1]
	s_cbranch_execz .LBB1837_20
; %bb.1:
	s_load_dwordx4 s[8:11], s[4:5], 0x0
	s_load_dword s19, s[4:5], 0x24
	s_mov_b32 s17, 0
	s_lshl_b64 s[0:1], s[16:17], 1
	v_lshlrev_b32_e32 v1, 1, v0
	s_waitcnt lgkmcnt(0)
	s_add_u32 s0, s8, s0
	s_addc_u32 s1, s9, s1
	global_load_ushort v2, v1, s[0:1]
	s_lshr_b32 s0, s19, 8
	s_sub_i32 s1, 0, s0
	s_and_b32 s1, s6, s1
	s_and_b32 s0, s1, s0
	s_lshl_b32 s20, s1, 8
	s_sub_i32 s6, 0, s19
	s_cmp_eq_u32 s0, 0
	s_cselect_b64 s[0:1], -1, 0
	s_and_b64 s[4:5], s[0:1], exec
	s_cselect_b32 s17, s19, s6
	s_add_i32 s17, s17, s20
	s_cmp_lt_u32 s17, s18
	v_add_u32_e32 v0, s16, v0
	s_cbranch_scc1 .LBB1837_3
; %bb.2:
	v_cmp_gt_u32_e32 vcc, s18, v0
	s_or_b64 s[4:5], vcc, s[14:15]
	s_and_b64 s[4:5], s[4:5], exec
	s_cbranch_execz .LBB1837_4
	s_branch .LBB1837_18
.LBB1837_3:
	s_mov_b64 s[4:5], 0
.LBB1837_4:
	s_min_u32 s14, s17, s18
	s_add_i32 s6, s14, s19
	s_min_u32 s15, s6, s18
	s_min_u32 s6, s20, s14
	s_add_i32 s20, s20, s14
	v_subrev_u32_e32 v0, s20, v0
	v_add_u32_e32 v1, s6, v0
	s_and_b64 vcc, exec, s[12:13]
	s_cbranch_vccz .LBB1837_12
; %bb.5:
                                        ; implicit-def: $vgpr0
	s_and_saveexec_b64 s[6:7], s[2:3]
	s_cbranch_execz .LBB1837_11
; %bb.6:
	s_cmp_ge_u32 s17, s15
	v_mov_b32_e32 v0, s14
	s_cbranch_scc1 .LBB1837_10
; %bb.7:
	s_mov_b64 s[2:3], 0
	v_mov_b32_e32 v3, s15
	v_mov_b32_e32 v0, s14
.LBB1837_8:                             ; =>This Inner Loop Header: Depth=1
	v_add_u32_e32 v4, v0, v3
	v_and_b32_e32 v5, -2, v4
	global_load_ushort v5, v5, s[8:9]
	v_lshrrev_b32_e32 v4, 1, v4
	v_add_u32_e32 v6, 1, v4
	s_waitcnt vmcnt(0)
	v_cmp_gt_i16_e32 vcc, v2, v5
	v_cndmask_b32_e64 v7, 0, 1, vcc
	v_cmp_le_i16_e32 vcc, v5, v2
	v_cndmask_b32_e64 v5, 0, 1, vcc
	v_cndmask_b32_e64 v5, v5, v7, s[0:1]
	v_and_b32_e32 v5, 1, v5
	v_cmp_eq_u32_e32 vcc, 1, v5
	v_cndmask_b32_e32 v3, v4, v3, vcc
	v_cndmask_b32_e32 v0, v0, v6, vcc
	v_cmp_ge_u32_e32 vcc, v0, v3
	s_or_b64 s[2:3], vcc, s[2:3]
	s_andn2_b64 exec, exec, s[2:3]
	s_cbranch_execnz .LBB1837_8
; %bb.9:
	s_or_b64 exec, exec, s[2:3]
.LBB1837_10:
	v_add_u32_e32 v0, v0, v1
	s_or_b64 s[4:5], s[4:5], exec
.LBB1837_11:
	s_or_b64 exec, exec, s[6:7]
	s_branch .LBB1837_18
.LBB1837_12:
                                        ; implicit-def: $vgpr0
	s_cbranch_execz .LBB1837_18
; %bb.13:
	s_cmp_ge_u32 s17, s15
	v_mov_b32_e32 v0, s14
	s_cbranch_scc1 .LBB1837_17
; %bb.14:
	s_mov_b64 s[2:3], 0
	v_mov_b32_e32 v3, s15
	v_mov_b32_e32 v0, s14
.LBB1837_15:                            ; =>This Inner Loop Header: Depth=1
	v_add_u32_e32 v4, v0, v3
	v_and_b32_e32 v5, -2, v4
	global_load_ushort v5, v5, s[8:9]
	v_lshrrev_b32_e32 v4, 1, v4
	v_add_u32_e32 v6, 1, v4
	s_waitcnt vmcnt(0)
	v_cmp_gt_i16_e32 vcc, v2, v5
	v_cndmask_b32_e64 v7, 0, 1, vcc
	v_cmp_le_i16_e32 vcc, v5, v2
	v_cndmask_b32_e64 v5, 0, 1, vcc
	v_cndmask_b32_e64 v5, v5, v7, s[0:1]
	v_and_b32_e32 v5, 1, v5
	v_cmp_eq_u32_e32 vcc, 1, v5
	v_cndmask_b32_e32 v3, v4, v3, vcc
	v_cndmask_b32_e32 v0, v0, v6, vcc
	v_cmp_ge_u32_e32 vcc, v0, v3
	s_or_b64 s[2:3], vcc, s[2:3]
	s_andn2_b64 exec, exec, s[2:3]
	s_cbranch_execnz .LBB1837_15
; %bb.16:
	s_or_b64 exec, exec, s[2:3]
.LBB1837_17:
	v_add_u32_e32 v0, v0, v1
	s_mov_b64 s[4:5], -1
.LBB1837_18:
	s_and_b64 exec, exec, s[4:5]
	s_cbranch_execz .LBB1837_20
; %bb.19:
	v_mov_b32_e32 v1, 0
	v_lshlrev_b64 v[0:1], 1, v[0:1]
	v_mov_b32_e32 v3, s11
	v_add_co_u32_e32 v0, vcc, s10, v0
	v_addc_co_u32_e32 v1, vcc, v3, v1, vcc
	s_waitcnt vmcnt(0)
	global_store_short v[0:1], v2, off
.LBB1837_20:
	s_endpgm
	.section	.rodata,"a",@progbits
	.p2align	6, 0x0
	.amdhsa_kernel _ZN7rocprim17ROCPRIM_400000_NS6detail17trampoline_kernelINS0_14default_configENS1_38merge_sort_block_merge_config_selectorIsNS0_10empty_typeEEEZZNS1_27merge_sort_block_merge_implIS3_N6thrust23THRUST_200600_302600_NS6detail15normal_iteratorINS9_10device_ptrIsEEEEPS5_jNS1_19radix_merge_compareILb0ELb0EsNS0_19identity_decomposerEEEEE10hipError_tT0_T1_T2_jT3_P12ihipStream_tbPNSt15iterator_traitsISK_E10value_typeEPNSQ_ISL_E10value_typeEPSM_NS1_7vsmem_tEENKUlT_SK_SL_SM_E_clIPsSE_SF_SF_EESJ_SZ_SK_SL_SM_EUlSZ_E1_NS1_11comp_targetILNS1_3genE4ELNS1_11target_archE910ELNS1_3gpuE8ELNS1_3repE0EEENS1_36merge_oddeven_config_static_selectorELNS0_4arch9wavefront6targetE1EEEvSL_
		.amdhsa_group_segment_fixed_size 0
		.amdhsa_private_segment_fixed_size 0
		.amdhsa_kernarg_size 48
		.amdhsa_user_sgpr_count 6
		.amdhsa_user_sgpr_private_segment_buffer 1
		.amdhsa_user_sgpr_dispatch_ptr 0
		.amdhsa_user_sgpr_queue_ptr 0
		.amdhsa_user_sgpr_kernarg_segment_ptr 1
		.amdhsa_user_sgpr_dispatch_id 0
		.amdhsa_user_sgpr_flat_scratch_init 0
		.amdhsa_user_sgpr_kernarg_preload_length 0
		.amdhsa_user_sgpr_kernarg_preload_offset 0
		.amdhsa_user_sgpr_private_segment_size 0
		.amdhsa_uses_dynamic_stack 0
		.amdhsa_system_sgpr_private_segment_wavefront_offset 0
		.amdhsa_system_sgpr_workgroup_id_x 1
		.amdhsa_system_sgpr_workgroup_id_y 0
		.amdhsa_system_sgpr_workgroup_id_z 0
		.amdhsa_system_sgpr_workgroup_info 0
		.amdhsa_system_vgpr_workitem_id 0
		.amdhsa_next_free_vgpr 8
		.amdhsa_next_free_sgpr 21
		.amdhsa_accum_offset 8
		.amdhsa_reserve_vcc 1
		.amdhsa_reserve_flat_scratch 0
		.amdhsa_float_round_mode_32 0
		.amdhsa_float_round_mode_16_64 0
		.amdhsa_float_denorm_mode_32 3
		.amdhsa_float_denorm_mode_16_64 3
		.amdhsa_dx10_clamp 1
		.amdhsa_ieee_mode 1
		.amdhsa_fp16_overflow 0
		.amdhsa_tg_split 0
		.amdhsa_exception_fp_ieee_invalid_op 0
		.amdhsa_exception_fp_denorm_src 0
		.amdhsa_exception_fp_ieee_div_zero 0
		.amdhsa_exception_fp_ieee_overflow 0
		.amdhsa_exception_fp_ieee_underflow 0
		.amdhsa_exception_fp_ieee_inexact 0
		.amdhsa_exception_int_div_zero 0
	.end_amdhsa_kernel
	.section	.text._ZN7rocprim17ROCPRIM_400000_NS6detail17trampoline_kernelINS0_14default_configENS1_38merge_sort_block_merge_config_selectorIsNS0_10empty_typeEEEZZNS1_27merge_sort_block_merge_implIS3_N6thrust23THRUST_200600_302600_NS6detail15normal_iteratorINS9_10device_ptrIsEEEEPS5_jNS1_19radix_merge_compareILb0ELb0EsNS0_19identity_decomposerEEEEE10hipError_tT0_T1_T2_jT3_P12ihipStream_tbPNSt15iterator_traitsISK_E10value_typeEPNSQ_ISL_E10value_typeEPSM_NS1_7vsmem_tEENKUlT_SK_SL_SM_E_clIPsSE_SF_SF_EESJ_SZ_SK_SL_SM_EUlSZ_E1_NS1_11comp_targetILNS1_3genE4ELNS1_11target_archE910ELNS1_3gpuE8ELNS1_3repE0EEENS1_36merge_oddeven_config_static_selectorELNS0_4arch9wavefront6targetE1EEEvSL_,"axG",@progbits,_ZN7rocprim17ROCPRIM_400000_NS6detail17trampoline_kernelINS0_14default_configENS1_38merge_sort_block_merge_config_selectorIsNS0_10empty_typeEEEZZNS1_27merge_sort_block_merge_implIS3_N6thrust23THRUST_200600_302600_NS6detail15normal_iteratorINS9_10device_ptrIsEEEEPS5_jNS1_19radix_merge_compareILb0ELb0EsNS0_19identity_decomposerEEEEE10hipError_tT0_T1_T2_jT3_P12ihipStream_tbPNSt15iterator_traitsISK_E10value_typeEPNSQ_ISL_E10value_typeEPSM_NS1_7vsmem_tEENKUlT_SK_SL_SM_E_clIPsSE_SF_SF_EESJ_SZ_SK_SL_SM_EUlSZ_E1_NS1_11comp_targetILNS1_3genE4ELNS1_11target_archE910ELNS1_3gpuE8ELNS1_3repE0EEENS1_36merge_oddeven_config_static_selectorELNS0_4arch9wavefront6targetE1EEEvSL_,comdat
.Lfunc_end1837:
	.size	_ZN7rocprim17ROCPRIM_400000_NS6detail17trampoline_kernelINS0_14default_configENS1_38merge_sort_block_merge_config_selectorIsNS0_10empty_typeEEEZZNS1_27merge_sort_block_merge_implIS3_N6thrust23THRUST_200600_302600_NS6detail15normal_iteratorINS9_10device_ptrIsEEEEPS5_jNS1_19radix_merge_compareILb0ELb0EsNS0_19identity_decomposerEEEEE10hipError_tT0_T1_T2_jT3_P12ihipStream_tbPNSt15iterator_traitsISK_E10value_typeEPNSQ_ISL_E10value_typeEPSM_NS1_7vsmem_tEENKUlT_SK_SL_SM_E_clIPsSE_SF_SF_EESJ_SZ_SK_SL_SM_EUlSZ_E1_NS1_11comp_targetILNS1_3genE4ELNS1_11target_archE910ELNS1_3gpuE8ELNS1_3repE0EEENS1_36merge_oddeven_config_static_selectorELNS0_4arch9wavefront6targetE1EEEvSL_, .Lfunc_end1837-_ZN7rocprim17ROCPRIM_400000_NS6detail17trampoline_kernelINS0_14default_configENS1_38merge_sort_block_merge_config_selectorIsNS0_10empty_typeEEEZZNS1_27merge_sort_block_merge_implIS3_N6thrust23THRUST_200600_302600_NS6detail15normal_iteratorINS9_10device_ptrIsEEEEPS5_jNS1_19radix_merge_compareILb0ELb0EsNS0_19identity_decomposerEEEEE10hipError_tT0_T1_T2_jT3_P12ihipStream_tbPNSt15iterator_traitsISK_E10value_typeEPNSQ_ISL_E10value_typeEPSM_NS1_7vsmem_tEENKUlT_SK_SL_SM_E_clIPsSE_SF_SF_EESJ_SZ_SK_SL_SM_EUlSZ_E1_NS1_11comp_targetILNS1_3genE4ELNS1_11target_archE910ELNS1_3gpuE8ELNS1_3repE0EEENS1_36merge_oddeven_config_static_selectorELNS0_4arch9wavefront6targetE1EEEvSL_
                                        ; -- End function
	.section	.AMDGPU.csdata,"",@progbits
; Kernel info:
; codeLenInByte = 548
; NumSgprs: 25
; NumVgprs: 8
; NumAgprs: 0
; TotalNumVgprs: 8
; ScratchSize: 0
; MemoryBound: 0
; FloatMode: 240
; IeeeMode: 1
; LDSByteSize: 0 bytes/workgroup (compile time only)
; SGPRBlocks: 3
; VGPRBlocks: 0
; NumSGPRsForWavesPerEU: 25
; NumVGPRsForWavesPerEU: 8
; AccumOffset: 8
; Occupancy: 8
; WaveLimiterHint : 0
; COMPUTE_PGM_RSRC2:SCRATCH_EN: 0
; COMPUTE_PGM_RSRC2:USER_SGPR: 6
; COMPUTE_PGM_RSRC2:TRAP_HANDLER: 0
; COMPUTE_PGM_RSRC2:TGID_X_EN: 1
; COMPUTE_PGM_RSRC2:TGID_Y_EN: 0
; COMPUTE_PGM_RSRC2:TGID_Z_EN: 0
; COMPUTE_PGM_RSRC2:TIDIG_COMP_CNT: 0
; COMPUTE_PGM_RSRC3_GFX90A:ACCUM_OFFSET: 1
; COMPUTE_PGM_RSRC3_GFX90A:TG_SPLIT: 0
	.section	.text._ZN7rocprim17ROCPRIM_400000_NS6detail17trampoline_kernelINS0_14default_configENS1_38merge_sort_block_merge_config_selectorIsNS0_10empty_typeEEEZZNS1_27merge_sort_block_merge_implIS3_N6thrust23THRUST_200600_302600_NS6detail15normal_iteratorINS9_10device_ptrIsEEEEPS5_jNS1_19radix_merge_compareILb0ELb0EsNS0_19identity_decomposerEEEEE10hipError_tT0_T1_T2_jT3_P12ihipStream_tbPNSt15iterator_traitsISK_E10value_typeEPNSQ_ISL_E10value_typeEPSM_NS1_7vsmem_tEENKUlT_SK_SL_SM_E_clIPsSE_SF_SF_EESJ_SZ_SK_SL_SM_EUlSZ_E1_NS1_11comp_targetILNS1_3genE3ELNS1_11target_archE908ELNS1_3gpuE7ELNS1_3repE0EEENS1_36merge_oddeven_config_static_selectorELNS0_4arch9wavefront6targetE1EEEvSL_,"axG",@progbits,_ZN7rocprim17ROCPRIM_400000_NS6detail17trampoline_kernelINS0_14default_configENS1_38merge_sort_block_merge_config_selectorIsNS0_10empty_typeEEEZZNS1_27merge_sort_block_merge_implIS3_N6thrust23THRUST_200600_302600_NS6detail15normal_iteratorINS9_10device_ptrIsEEEEPS5_jNS1_19radix_merge_compareILb0ELb0EsNS0_19identity_decomposerEEEEE10hipError_tT0_T1_T2_jT3_P12ihipStream_tbPNSt15iterator_traitsISK_E10value_typeEPNSQ_ISL_E10value_typeEPSM_NS1_7vsmem_tEENKUlT_SK_SL_SM_E_clIPsSE_SF_SF_EESJ_SZ_SK_SL_SM_EUlSZ_E1_NS1_11comp_targetILNS1_3genE3ELNS1_11target_archE908ELNS1_3gpuE7ELNS1_3repE0EEENS1_36merge_oddeven_config_static_selectorELNS0_4arch9wavefront6targetE1EEEvSL_,comdat
	.protected	_ZN7rocprim17ROCPRIM_400000_NS6detail17trampoline_kernelINS0_14default_configENS1_38merge_sort_block_merge_config_selectorIsNS0_10empty_typeEEEZZNS1_27merge_sort_block_merge_implIS3_N6thrust23THRUST_200600_302600_NS6detail15normal_iteratorINS9_10device_ptrIsEEEEPS5_jNS1_19radix_merge_compareILb0ELb0EsNS0_19identity_decomposerEEEEE10hipError_tT0_T1_T2_jT3_P12ihipStream_tbPNSt15iterator_traitsISK_E10value_typeEPNSQ_ISL_E10value_typeEPSM_NS1_7vsmem_tEENKUlT_SK_SL_SM_E_clIPsSE_SF_SF_EESJ_SZ_SK_SL_SM_EUlSZ_E1_NS1_11comp_targetILNS1_3genE3ELNS1_11target_archE908ELNS1_3gpuE7ELNS1_3repE0EEENS1_36merge_oddeven_config_static_selectorELNS0_4arch9wavefront6targetE1EEEvSL_ ; -- Begin function _ZN7rocprim17ROCPRIM_400000_NS6detail17trampoline_kernelINS0_14default_configENS1_38merge_sort_block_merge_config_selectorIsNS0_10empty_typeEEEZZNS1_27merge_sort_block_merge_implIS3_N6thrust23THRUST_200600_302600_NS6detail15normal_iteratorINS9_10device_ptrIsEEEEPS5_jNS1_19radix_merge_compareILb0ELb0EsNS0_19identity_decomposerEEEEE10hipError_tT0_T1_T2_jT3_P12ihipStream_tbPNSt15iterator_traitsISK_E10value_typeEPNSQ_ISL_E10value_typeEPSM_NS1_7vsmem_tEENKUlT_SK_SL_SM_E_clIPsSE_SF_SF_EESJ_SZ_SK_SL_SM_EUlSZ_E1_NS1_11comp_targetILNS1_3genE3ELNS1_11target_archE908ELNS1_3gpuE7ELNS1_3repE0EEENS1_36merge_oddeven_config_static_selectorELNS0_4arch9wavefront6targetE1EEEvSL_
	.globl	_ZN7rocprim17ROCPRIM_400000_NS6detail17trampoline_kernelINS0_14default_configENS1_38merge_sort_block_merge_config_selectorIsNS0_10empty_typeEEEZZNS1_27merge_sort_block_merge_implIS3_N6thrust23THRUST_200600_302600_NS6detail15normal_iteratorINS9_10device_ptrIsEEEEPS5_jNS1_19radix_merge_compareILb0ELb0EsNS0_19identity_decomposerEEEEE10hipError_tT0_T1_T2_jT3_P12ihipStream_tbPNSt15iterator_traitsISK_E10value_typeEPNSQ_ISL_E10value_typeEPSM_NS1_7vsmem_tEENKUlT_SK_SL_SM_E_clIPsSE_SF_SF_EESJ_SZ_SK_SL_SM_EUlSZ_E1_NS1_11comp_targetILNS1_3genE3ELNS1_11target_archE908ELNS1_3gpuE7ELNS1_3repE0EEENS1_36merge_oddeven_config_static_selectorELNS0_4arch9wavefront6targetE1EEEvSL_
	.p2align	8
	.type	_ZN7rocprim17ROCPRIM_400000_NS6detail17trampoline_kernelINS0_14default_configENS1_38merge_sort_block_merge_config_selectorIsNS0_10empty_typeEEEZZNS1_27merge_sort_block_merge_implIS3_N6thrust23THRUST_200600_302600_NS6detail15normal_iteratorINS9_10device_ptrIsEEEEPS5_jNS1_19radix_merge_compareILb0ELb0EsNS0_19identity_decomposerEEEEE10hipError_tT0_T1_T2_jT3_P12ihipStream_tbPNSt15iterator_traitsISK_E10value_typeEPNSQ_ISL_E10value_typeEPSM_NS1_7vsmem_tEENKUlT_SK_SL_SM_E_clIPsSE_SF_SF_EESJ_SZ_SK_SL_SM_EUlSZ_E1_NS1_11comp_targetILNS1_3genE3ELNS1_11target_archE908ELNS1_3gpuE7ELNS1_3repE0EEENS1_36merge_oddeven_config_static_selectorELNS0_4arch9wavefront6targetE1EEEvSL_,@function
_ZN7rocprim17ROCPRIM_400000_NS6detail17trampoline_kernelINS0_14default_configENS1_38merge_sort_block_merge_config_selectorIsNS0_10empty_typeEEEZZNS1_27merge_sort_block_merge_implIS3_N6thrust23THRUST_200600_302600_NS6detail15normal_iteratorINS9_10device_ptrIsEEEEPS5_jNS1_19radix_merge_compareILb0ELb0EsNS0_19identity_decomposerEEEEE10hipError_tT0_T1_T2_jT3_P12ihipStream_tbPNSt15iterator_traitsISK_E10value_typeEPNSQ_ISL_E10value_typeEPSM_NS1_7vsmem_tEENKUlT_SK_SL_SM_E_clIPsSE_SF_SF_EESJ_SZ_SK_SL_SM_EUlSZ_E1_NS1_11comp_targetILNS1_3genE3ELNS1_11target_archE908ELNS1_3gpuE7ELNS1_3repE0EEENS1_36merge_oddeven_config_static_selectorELNS0_4arch9wavefront6targetE1EEEvSL_: ; @_ZN7rocprim17ROCPRIM_400000_NS6detail17trampoline_kernelINS0_14default_configENS1_38merge_sort_block_merge_config_selectorIsNS0_10empty_typeEEEZZNS1_27merge_sort_block_merge_implIS3_N6thrust23THRUST_200600_302600_NS6detail15normal_iteratorINS9_10device_ptrIsEEEEPS5_jNS1_19radix_merge_compareILb0ELb0EsNS0_19identity_decomposerEEEEE10hipError_tT0_T1_T2_jT3_P12ihipStream_tbPNSt15iterator_traitsISK_E10value_typeEPNSQ_ISL_E10value_typeEPSM_NS1_7vsmem_tEENKUlT_SK_SL_SM_E_clIPsSE_SF_SF_EESJ_SZ_SK_SL_SM_EUlSZ_E1_NS1_11comp_targetILNS1_3genE3ELNS1_11target_archE908ELNS1_3gpuE7ELNS1_3repE0EEENS1_36merge_oddeven_config_static_selectorELNS0_4arch9wavefront6targetE1EEEvSL_
; %bb.0:
	.section	.rodata,"a",@progbits
	.p2align	6, 0x0
	.amdhsa_kernel _ZN7rocprim17ROCPRIM_400000_NS6detail17trampoline_kernelINS0_14default_configENS1_38merge_sort_block_merge_config_selectorIsNS0_10empty_typeEEEZZNS1_27merge_sort_block_merge_implIS3_N6thrust23THRUST_200600_302600_NS6detail15normal_iteratorINS9_10device_ptrIsEEEEPS5_jNS1_19radix_merge_compareILb0ELb0EsNS0_19identity_decomposerEEEEE10hipError_tT0_T1_T2_jT3_P12ihipStream_tbPNSt15iterator_traitsISK_E10value_typeEPNSQ_ISL_E10value_typeEPSM_NS1_7vsmem_tEENKUlT_SK_SL_SM_E_clIPsSE_SF_SF_EESJ_SZ_SK_SL_SM_EUlSZ_E1_NS1_11comp_targetILNS1_3genE3ELNS1_11target_archE908ELNS1_3gpuE7ELNS1_3repE0EEENS1_36merge_oddeven_config_static_selectorELNS0_4arch9wavefront6targetE1EEEvSL_
		.amdhsa_group_segment_fixed_size 0
		.amdhsa_private_segment_fixed_size 0
		.amdhsa_kernarg_size 48
		.amdhsa_user_sgpr_count 6
		.amdhsa_user_sgpr_private_segment_buffer 1
		.amdhsa_user_sgpr_dispatch_ptr 0
		.amdhsa_user_sgpr_queue_ptr 0
		.amdhsa_user_sgpr_kernarg_segment_ptr 1
		.amdhsa_user_sgpr_dispatch_id 0
		.amdhsa_user_sgpr_flat_scratch_init 0
		.amdhsa_user_sgpr_kernarg_preload_length 0
		.amdhsa_user_sgpr_kernarg_preload_offset 0
		.amdhsa_user_sgpr_private_segment_size 0
		.amdhsa_uses_dynamic_stack 0
		.amdhsa_system_sgpr_private_segment_wavefront_offset 0
		.amdhsa_system_sgpr_workgroup_id_x 1
		.amdhsa_system_sgpr_workgroup_id_y 0
		.amdhsa_system_sgpr_workgroup_id_z 0
		.amdhsa_system_sgpr_workgroup_info 0
		.amdhsa_system_vgpr_workitem_id 0
		.amdhsa_next_free_vgpr 1
		.amdhsa_next_free_sgpr 0
		.amdhsa_accum_offset 4
		.amdhsa_reserve_vcc 0
		.amdhsa_reserve_flat_scratch 0
		.amdhsa_float_round_mode_32 0
		.amdhsa_float_round_mode_16_64 0
		.amdhsa_float_denorm_mode_32 3
		.amdhsa_float_denorm_mode_16_64 3
		.amdhsa_dx10_clamp 1
		.amdhsa_ieee_mode 1
		.amdhsa_fp16_overflow 0
		.amdhsa_tg_split 0
		.amdhsa_exception_fp_ieee_invalid_op 0
		.amdhsa_exception_fp_denorm_src 0
		.amdhsa_exception_fp_ieee_div_zero 0
		.amdhsa_exception_fp_ieee_overflow 0
		.amdhsa_exception_fp_ieee_underflow 0
		.amdhsa_exception_fp_ieee_inexact 0
		.amdhsa_exception_int_div_zero 0
	.end_amdhsa_kernel
	.section	.text._ZN7rocprim17ROCPRIM_400000_NS6detail17trampoline_kernelINS0_14default_configENS1_38merge_sort_block_merge_config_selectorIsNS0_10empty_typeEEEZZNS1_27merge_sort_block_merge_implIS3_N6thrust23THRUST_200600_302600_NS6detail15normal_iteratorINS9_10device_ptrIsEEEEPS5_jNS1_19radix_merge_compareILb0ELb0EsNS0_19identity_decomposerEEEEE10hipError_tT0_T1_T2_jT3_P12ihipStream_tbPNSt15iterator_traitsISK_E10value_typeEPNSQ_ISL_E10value_typeEPSM_NS1_7vsmem_tEENKUlT_SK_SL_SM_E_clIPsSE_SF_SF_EESJ_SZ_SK_SL_SM_EUlSZ_E1_NS1_11comp_targetILNS1_3genE3ELNS1_11target_archE908ELNS1_3gpuE7ELNS1_3repE0EEENS1_36merge_oddeven_config_static_selectorELNS0_4arch9wavefront6targetE1EEEvSL_,"axG",@progbits,_ZN7rocprim17ROCPRIM_400000_NS6detail17trampoline_kernelINS0_14default_configENS1_38merge_sort_block_merge_config_selectorIsNS0_10empty_typeEEEZZNS1_27merge_sort_block_merge_implIS3_N6thrust23THRUST_200600_302600_NS6detail15normal_iteratorINS9_10device_ptrIsEEEEPS5_jNS1_19radix_merge_compareILb0ELb0EsNS0_19identity_decomposerEEEEE10hipError_tT0_T1_T2_jT3_P12ihipStream_tbPNSt15iterator_traitsISK_E10value_typeEPNSQ_ISL_E10value_typeEPSM_NS1_7vsmem_tEENKUlT_SK_SL_SM_E_clIPsSE_SF_SF_EESJ_SZ_SK_SL_SM_EUlSZ_E1_NS1_11comp_targetILNS1_3genE3ELNS1_11target_archE908ELNS1_3gpuE7ELNS1_3repE0EEENS1_36merge_oddeven_config_static_selectorELNS0_4arch9wavefront6targetE1EEEvSL_,comdat
.Lfunc_end1838:
	.size	_ZN7rocprim17ROCPRIM_400000_NS6detail17trampoline_kernelINS0_14default_configENS1_38merge_sort_block_merge_config_selectorIsNS0_10empty_typeEEEZZNS1_27merge_sort_block_merge_implIS3_N6thrust23THRUST_200600_302600_NS6detail15normal_iteratorINS9_10device_ptrIsEEEEPS5_jNS1_19radix_merge_compareILb0ELb0EsNS0_19identity_decomposerEEEEE10hipError_tT0_T1_T2_jT3_P12ihipStream_tbPNSt15iterator_traitsISK_E10value_typeEPNSQ_ISL_E10value_typeEPSM_NS1_7vsmem_tEENKUlT_SK_SL_SM_E_clIPsSE_SF_SF_EESJ_SZ_SK_SL_SM_EUlSZ_E1_NS1_11comp_targetILNS1_3genE3ELNS1_11target_archE908ELNS1_3gpuE7ELNS1_3repE0EEENS1_36merge_oddeven_config_static_selectorELNS0_4arch9wavefront6targetE1EEEvSL_, .Lfunc_end1838-_ZN7rocprim17ROCPRIM_400000_NS6detail17trampoline_kernelINS0_14default_configENS1_38merge_sort_block_merge_config_selectorIsNS0_10empty_typeEEEZZNS1_27merge_sort_block_merge_implIS3_N6thrust23THRUST_200600_302600_NS6detail15normal_iteratorINS9_10device_ptrIsEEEEPS5_jNS1_19radix_merge_compareILb0ELb0EsNS0_19identity_decomposerEEEEE10hipError_tT0_T1_T2_jT3_P12ihipStream_tbPNSt15iterator_traitsISK_E10value_typeEPNSQ_ISL_E10value_typeEPSM_NS1_7vsmem_tEENKUlT_SK_SL_SM_E_clIPsSE_SF_SF_EESJ_SZ_SK_SL_SM_EUlSZ_E1_NS1_11comp_targetILNS1_3genE3ELNS1_11target_archE908ELNS1_3gpuE7ELNS1_3repE0EEENS1_36merge_oddeven_config_static_selectorELNS0_4arch9wavefront6targetE1EEEvSL_
                                        ; -- End function
	.section	.AMDGPU.csdata,"",@progbits
; Kernel info:
; codeLenInByte = 0
; NumSgprs: 4
; NumVgprs: 0
; NumAgprs: 0
; TotalNumVgprs: 0
; ScratchSize: 0
; MemoryBound: 0
; FloatMode: 240
; IeeeMode: 1
; LDSByteSize: 0 bytes/workgroup (compile time only)
; SGPRBlocks: 0
; VGPRBlocks: 0
; NumSGPRsForWavesPerEU: 4
; NumVGPRsForWavesPerEU: 1
; AccumOffset: 4
; Occupancy: 8
; WaveLimiterHint : 0
; COMPUTE_PGM_RSRC2:SCRATCH_EN: 0
; COMPUTE_PGM_RSRC2:USER_SGPR: 6
; COMPUTE_PGM_RSRC2:TRAP_HANDLER: 0
; COMPUTE_PGM_RSRC2:TGID_X_EN: 1
; COMPUTE_PGM_RSRC2:TGID_Y_EN: 0
; COMPUTE_PGM_RSRC2:TGID_Z_EN: 0
; COMPUTE_PGM_RSRC2:TIDIG_COMP_CNT: 0
; COMPUTE_PGM_RSRC3_GFX90A:ACCUM_OFFSET: 0
; COMPUTE_PGM_RSRC3_GFX90A:TG_SPLIT: 0
	.section	.text._ZN7rocprim17ROCPRIM_400000_NS6detail17trampoline_kernelINS0_14default_configENS1_38merge_sort_block_merge_config_selectorIsNS0_10empty_typeEEEZZNS1_27merge_sort_block_merge_implIS3_N6thrust23THRUST_200600_302600_NS6detail15normal_iteratorINS9_10device_ptrIsEEEEPS5_jNS1_19radix_merge_compareILb0ELb0EsNS0_19identity_decomposerEEEEE10hipError_tT0_T1_T2_jT3_P12ihipStream_tbPNSt15iterator_traitsISK_E10value_typeEPNSQ_ISL_E10value_typeEPSM_NS1_7vsmem_tEENKUlT_SK_SL_SM_E_clIPsSE_SF_SF_EESJ_SZ_SK_SL_SM_EUlSZ_E1_NS1_11comp_targetILNS1_3genE2ELNS1_11target_archE906ELNS1_3gpuE6ELNS1_3repE0EEENS1_36merge_oddeven_config_static_selectorELNS0_4arch9wavefront6targetE1EEEvSL_,"axG",@progbits,_ZN7rocprim17ROCPRIM_400000_NS6detail17trampoline_kernelINS0_14default_configENS1_38merge_sort_block_merge_config_selectorIsNS0_10empty_typeEEEZZNS1_27merge_sort_block_merge_implIS3_N6thrust23THRUST_200600_302600_NS6detail15normal_iteratorINS9_10device_ptrIsEEEEPS5_jNS1_19radix_merge_compareILb0ELb0EsNS0_19identity_decomposerEEEEE10hipError_tT0_T1_T2_jT3_P12ihipStream_tbPNSt15iterator_traitsISK_E10value_typeEPNSQ_ISL_E10value_typeEPSM_NS1_7vsmem_tEENKUlT_SK_SL_SM_E_clIPsSE_SF_SF_EESJ_SZ_SK_SL_SM_EUlSZ_E1_NS1_11comp_targetILNS1_3genE2ELNS1_11target_archE906ELNS1_3gpuE6ELNS1_3repE0EEENS1_36merge_oddeven_config_static_selectorELNS0_4arch9wavefront6targetE1EEEvSL_,comdat
	.protected	_ZN7rocprim17ROCPRIM_400000_NS6detail17trampoline_kernelINS0_14default_configENS1_38merge_sort_block_merge_config_selectorIsNS0_10empty_typeEEEZZNS1_27merge_sort_block_merge_implIS3_N6thrust23THRUST_200600_302600_NS6detail15normal_iteratorINS9_10device_ptrIsEEEEPS5_jNS1_19radix_merge_compareILb0ELb0EsNS0_19identity_decomposerEEEEE10hipError_tT0_T1_T2_jT3_P12ihipStream_tbPNSt15iterator_traitsISK_E10value_typeEPNSQ_ISL_E10value_typeEPSM_NS1_7vsmem_tEENKUlT_SK_SL_SM_E_clIPsSE_SF_SF_EESJ_SZ_SK_SL_SM_EUlSZ_E1_NS1_11comp_targetILNS1_3genE2ELNS1_11target_archE906ELNS1_3gpuE6ELNS1_3repE0EEENS1_36merge_oddeven_config_static_selectorELNS0_4arch9wavefront6targetE1EEEvSL_ ; -- Begin function _ZN7rocprim17ROCPRIM_400000_NS6detail17trampoline_kernelINS0_14default_configENS1_38merge_sort_block_merge_config_selectorIsNS0_10empty_typeEEEZZNS1_27merge_sort_block_merge_implIS3_N6thrust23THRUST_200600_302600_NS6detail15normal_iteratorINS9_10device_ptrIsEEEEPS5_jNS1_19radix_merge_compareILb0ELb0EsNS0_19identity_decomposerEEEEE10hipError_tT0_T1_T2_jT3_P12ihipStream_tbPNSt15iterator_traitsISK_E10value_typeEPNSQ_ISL_E10value_typeEPSM_NS1_7vsmem_tEENKUlT_SK_SL_SM_E_clIPsSE_SF_SF_EESJ_SZ_SK_SL_SM_EUlSZ_E1_NS1_11comp_targetILNS1_3genE2ELNS1_11target_archE906ELNS1_3gpuE6ELNS1_3repE0EEENS1_36merge_oddeven_config_static_selectorELNS0_4arch9wavefront6targetE1EEEvSL_
	.globl	_ZN7rocprim17ROCPRIM_400000_NS6detail17trampoline_kernelINS0_14default_configENS1_38merge_sort_block_merge_config_selectorIsNS0_10empty_typeEEEZZNS1_27merge_sort_block_merge_implIS3_N6thrust23THRUST_200600_302600_NS6detail15normal_iteratorINS9_10device_ptrIsEEEEPS5_jNS1_19radix_merge_compareILb0ELb0EsNS0_19identity_decomposerEEEEE10hipError_tT0_T1_T2_jT3_P12ihipStream_tbPNSt15iterator_traitsISK_E10value_typeEPNSQ_ISL_E10value_typeEPSM_NS1_7vsmem_tEENKUlT_SK_SL_SM_E_clIPsSE_SF_SF_EESJ_SZ_SK_SL_SM_EUlSZ_E1_NS1_11comp_targetILNS1_3genE2ELNS1_11target_archE906ELNS1_3gpuE6ELNS1_3repE0EEENS1_36merge_oddeven_config_static_selectorELNS0_4arch9wavefront6targetE1EEEvSL_
	.p2align	8
	.type	_ZN7rocprim17ROCPRIM_400000_NS6detail17trampoline_kernelINS0_14default_configENS1_38merge_sort_block_merge_config_selectorIsNS0_10empty_typeEEEZZNS1_27merge_sort_block_merge_implIS3_N6thrust23THRUST_200600_302600_NS6detail15normal_iteratorINS9_10device_ptrIsEEEEPS5_jNS1_19radix_merge_compareILb0ELb0EsNS0_19identity_decomposerEEEEE10hipError_tT0_T1_T2_jT3_P12ihipStream_tbPNSt15iterator_traitsISK_E10value_typeEPNSQ_ISL_E10value_typeEPSM_NS1_7vsmem_tEENKUlT_SK_SL_SM_E_clIPsSE_SF_SF_EESJ_SZ_SK_SL_SM_EUlSZ_E1_NS1_11comp_targetILNS1_3genE2ELNS1_11target_archE906ELNS1_3gpuE6ELNS1_3repE0EEENS1_36merge_oddeven_config_static_selectorELNS0_4arch9wavefront6targetE1EEEvSL_,@function
_ZN7rocprim17ROCPRIM_400000_NS6detail17trampoline_kernelINS0_14default_configENS1_38merge_sort_block_merge_config_selectorIsNS0_10empty_typeEEEZZNS1_27merge_sort_block_merge_implIS3_N6thrust23THRUST_200600_302600_NS6detail15normal_iteratorINS9_10device_ptrIsEEEEPS5_jNS1_19radix_merge_compareILb0ELb0EsNS0_19identity_decomposerEEEEE10hipError_tT0_T1_T2_jT3_P12ihipStream_tbPNSt15iterator_traitsISK_E10value_typeEPNSQ_ISL_E10value_typeEPSM_NS1_7vsmem_tEENKUlT_SK_SL_SM_E_clIPsSE_SF_SF_EESJ_SZ_SK_SL_SM_EUlSZ_E1_NS1_11comp_targetILNS1_3genE2ELNS1_11target_archE906ELNS1_3gpuE6ELNS1_3repE0EEENS1_36merge_oddeven_config_static_selectorELNS0_4arch9wavefront6targetE1EEEvSL_: ; @_ZN7rocprim17ROCPRIM_400000_NS6detail17trampoline_kernelINS0_14default_configENS1_38merge_sort_block_merge_config_selectorIsNS0_10empty_typeEEEZZNS1_27merge_sort_block_merge_implIS3_N6thrust23THRUST_200600_302600_NS6detail15normal_iteratorINS9_10device_ptrIsEEEEPS5_jNS1_19radix_merge_compareILb0ELb0EsNS0_19identity_decomposerEEEEE10hipError_tT0_T1_T2_jT3_P12ihipStream_tbPNSt15iterator_traitsISK_E10value_typeEPNSQ_ISL_E10value_typeEPSM_NS1_7vsmem_tEENKUlT_SK_SL_SM_E_clIPsSE_SF_SF_EESJ_SZ_SK_SL_SM_EUlSZ_E1_NS1_11comp_targetILNS1_3genE2ELNS1_11target_archE906ELNS1_3gpuE6ELNS1_3repE0EEENS1_36merge_oddeven_config_static_selectorELNS0_4arch9wavefront6targetE1EEEvSL_
; %bb.0:
	.section	.rodata,"a",@progbits
	.p2align	6, 0x0
	.amdhsa_kernel _ZN7rocprim17ROCPRIM_400000_NS6detail17trampoline_kernelINS0_14default_configENS1_38merge_sort_block_merge_config_selectorIsNS0_10empty_typeEEEZZNS1_27merge_sort_block_merge_implIS3_N6thrust23THRUST_200600_302600_NS6detail15normal_iteratorINS9_10device_ptrIsEEEEPS5_jNS1_19radix_merge_compareILb0ELb0EsNS0_19identity_decomposerEEEEE10hipError_tT0_T1_T2_jT3_P12ihipStream_tbPNSt15iterator_traitsISK_E10value_typeEPNSQ_ISL_E10value_typeEPSM_NS1_7vsmem_tEENKUlT_SK_SL_SM_E_clIPsSE_SF_SF_EESJ_SZ_SK_SL_SM_EUlSZ_E1_NS1_11comp_targetILNS1_3genE2ELNS1_11target_archE906ELNS1_3gpuE6ELNS1_3repE0EEENS1_36merge_oddeven_config_static_selectorELNS0_4arch9wavefront6targetE1EEEvSL_
		.amdhsa_group_segment_fixed_size 0
		.amdhsa_private_segment_fixed_size 0
		.amdhsa_kernarg_size 48
		.amdhsa_user_sgpr_count 6
		.amdhsa_user_sgpr_private_segment_buffer 1
		.amdhsa_user_sgpr_dispatch_ptr 0
		.amdhsa_user_sgpr_queue_ptr 0
		.amdhsa_user_sgpr_kernarg_segment_ptr 1
		.amdhsa_user_sgpr_dispatch_id 0
		.amdhsa_user_sgpr_flat_scratch_init 0
		.amdhsa_user_sgpr_kernarg_preload_length 0
		.amdhsa_user_sgpr_kernarg_preload_offset 0
		.amdhsa_user_sgpr_private_segment_size 0
		.amdhsa_uses_dynamic_stack 0
		.amdhsa_system_sgpr_private_segment_wavefront_offset 0
		.amdhsa_system_sgpr_workgroup_id_x 1
		.amdhsa_system_sgpr_workgroup_id_y 0
		.amdhsa_system_sgpr_workgroup_id_z 0
		.amdhsa_system_sgpr_workgroup_info 0
		.amdhsa_system_vgpr_workitem_id 0
		.amdhsa_next_free_vgpr 1
		.amdhsa_next_free_sgpr 0
		.amdhsa_accum_offset 4
		.amdhsa_reserve_vcc 0
		.amdhsa_reserve_flat_scratch 0
		.amdhsa_float_round_mode_32 0
		.amdhsa_float_round_mode_16_64 0
		.amdhsa_float_denorm_mode_32 3
		.amdhsa_float_denorm_mode_16_64 3
		.amdhsa_dx10_clamp 1
		.amdhsa_ieee_mode 1
		.amdhsa_fp16_overflow 0
		.amdhsa_tg_split 0
		.amdhsa_exception_fp_ieee_invalid_op 0
		.amdhsa_exception_fp_denorm_src 0
		.amdhsa_exception_fp_ieee_div_zero 0
		.amdhsa_exception_fp_ieee_overflow 0
		.amdhsa_exception_fp_ieee_underflow 0
		.amdhsa_exception_fp_ieee_inexact 0
		.amdhsa_exception_int_div_zero 0
	.end_amdhsa_kernel
	.section	.text._ZN7rocprim17ROCPRIM_400000_NS6detail17trampoline_kernelINS0_14default_configENS1_38merge_sort_block_merge_config_selectorIsNS0_10empty_typeEEEZZNS1_27merge_sort_block_merge_implIS3_N6thrust23THRUST_200600_302600_NS6detail15normal_iteratorINS9_10device_ptrIsEEEEPS5_jNS1_19radix_merge_compareILb0ELb0EsNS0_19identity_decomposerEEEEE10hipError_tT0_T1_T2_jT3_P12ihipStream_tbPNSt15iterator_traitsISK_E10value_typeEPNSQ_ISL_E10value_typeEPSM_NS1_7vsmem_tEENKUlT_SK_SL_SM_E_clIPsSE_SF_SF_EESJ_SZ_SK_SL_SM_EUlSZ_E1_NS1_11comp_targetILNS1_3genE2ELNS1_11target_archE906ELNS1_3gpuE6ELNS1_3repE0EEENS1_36merge_oddeven_config_static_selectorELNS0_4arch9wavefront6targetE1EEEvSL_,"axG",@progbits,_ZN7rocprim17ROCPRIM_400000_NS6detail17trampoline_kernelINS0_14default_configENS1_38merge_sort_block_merge_config_selectorIsNS0_10empty_typeEEEZZNS1_27merge_sort_block_merge_implIS3_N6thrust23THRUST_200600_302600_NS6detail15normal_iteratorINS9_10device_ptrIsEEEEPS5_jNS1_19radix_merge_compareILb0ELb0EsNS0_19identity_decomposerEEEEE10hipError_tT0_T1_T2_jT3_P12ihipStream_tbPNSt15iterator_traitsISK_E10value_typeEPNSQ_ISL_E10value_typeEPSM_NS1_7vsmem_tEENKUlT_SK_SL_SM_E_clIPsSE_SF_SF_EESJ_SZ_SK_SL_SM_EUlSZ_E1_NS1_11comp_targetILNS1_3genE2ELNS1_11target_archE906ELNS1_3gpuE6ELNS1_3repE0EEENS1_36merge_oddeven_config_static_selectorELNS0_4arch9wavefront6targetE1EEEvSL_,comdat
.Lfunc_end1839:
	.size	_ZN7rocprim17ROCPRIM_400000_NS6detail17trampoline_kernelINS0_14default_configENS1_38merge_sort_block_merge_config_selectorIsNS0_10empty_typeEEEZZNS1_27merge_sort_block_merge_implIS3_N6thrust23THRUST_200600_302600_NS6detail15normal_iteratorINS9_10device_ptrIsEEEEPS5_jNS1_19radix_merge_compareILb0ELb0EsNS0_19identity_decomposerEEEEE10hipError_tT0_T1_T2_jT3_P12ihipStream_tbPNSt15iterator_traitsISK_E10value_typeEPNSQ_ISL_E10value_typeEPSM_NS1_7vsmem_tEENKUlT_SK_SL_SM_E_clIPsSE_SF_SF_EESJ_SZ_SK_SL_SM_EUlSZ_E1_NS1_11comp_targetILNS1_3genE2ELNS1_11target_archE906ELNS1_3gpuE6ELNS1_3repE0EEENS1_36merge_oddeven_config_static_selectorELNS0_4arch9wavefront6targetE1EEEvSL_, .Lfunc_end1839-_ZN7rocprim17ROCPRIM_400000_NS6detail17trampoline_kernelINS0_14default_configENS1_38merge_sort_block_merge_config_selectorIsNS0_10empty_typeEEEZZNS1_27merge_sort_block_merge_implIS3_N6thrust23THRUST_200600_302600_NS6detail15normal_iteratorINS9_10device_ptrIsEEEEPS5_jNS1_19radix_merge_compareILb0ELb0EsNS0_19identity_decomposerEEEEE10hipError_tT0_T1_T2_jT3_P12ihipStream_tbPNSt15iterator_traitsISK_E10value_typeEPNSQ_ISL_E10value_typeEPSM_NS1_7vsmem_tEENKUlT_SK_SL_SM_E_clIPsSE_SF_SF_EESJ_SZ_SK_SL_SM_EUlSZ_E1_NS1_11comp_targetILNS1_3genE2ELNS1_11target_archE906ELNS1_3gpuE6ELNS1_3repE0EEENS1_36merge_oddeven_config_static_selectorELNS0_4arch9wavefront6targetE1EEEvSL_
                                        ; -- End function
	.section	.AMDGPU.csdata,"",@progbits
; Kernel info:
; codeLenInByte = 0
; NumSgprs: 4
; NumVgprs: 0
; NumAgprs: 0
; TotalNumVgprs: 0
; ScratchSize: 0
; MemoryBound: 0
; FloatMode: 240
; IeeeMode: 1
; LDSByteSize: 0 bytes/workgroup (compile time only)
; SGPRBlocks: 0
; VGPRBlocks: 0
; NumSGPRsForWavesPerEU: 4
; NumVGPRsForWavesPerEU: 1
; AccumOffset: 4
; Occupancy: 8
; WaveLimiterHint : 0
; COMPUTE_PGM_RSRC2:SCRATCH_EN: 0
; COMPUTE_PGM_RSRC2:USER_SGPR: 6
; COMPUTE_PGM_RSRC2:TRAP_HANDLER: 0
; COMPUTE_PGM_RSRC2:TGID_X_EN: 1
; COMPUTE_PGM_RSRC2:TGID_Y_EN: 0
; COMPUTE_PGM_RSRC2:TGID_Z_EN: 0
; COMPUTE_PGM_RSRC2:TIDIG_COMP_CNT: 0
; COMPUTE_PGM_RSRC3_GFX90A:ACCUM_OFFSET: 0
; COMPUTE_PGM_RSRC3_GFX90A:TG_SPLIT: 0
	.section	.text._ZN7rocprim17ROCPRIM_400000_NS6detail17trampoline_kernelINS0_14default_configENS1_38merge_sort_block_merge_config_selectorIsNS0_10empty_typeEEEZZNS1_27merge_sort_block_merge_implIS3_N6thrust23THRUST_200600_302600_NS6detail15normal_iteratorINS9_10device_ptrIsEEEEPS5_jNS1_19radix_merge_compareILb0ELb0EsNS0_19identity_decomposerEEEEE10hipError_tT0_T1_T2_jT3_P12ihipStream_tbPNSt15iterator_traitsISK_E10value_typeEPNSQ_ISL_E10value_typeEPSM_NS1_7vsmem_tEENKUlT_SK_SL_SM_E_clIPsSE_SF_SF_EESJ_SZ_SK_SL_SM_EUlSZ_E1_NS1_11comp_targetILNS1_3genE9ELNS1_11target_archE1100ELNS1_3gpuE3ELNS1_3repE0EEENS1_36merge_oddeven_config_static_selectorELNS0_4arch9wavefront6targetE1EEEvSL_,"axG",@progbits,_ZN7rocprim17ROCPRIM_400000_NS6detail17trampoline_kernelINS0_14default_configENS1_38merge_sort_block_merge_config_selectorIsNS0_10empty_typeEEEZZNS1_27merge_sort_block_merge_implIS3_N6thrust23THRUST_200600_302600_NS6detail15normal_iteratorINS9_10device_ptrIsEEEEPS5_jNS1_19radix_merge_compareILb0ELb0EsNS0_19identity_decomposerEEEEE10hipError_tT0_T1_T2_jT3_P12ihipStream_tbPNSt15iterator_traitsISK_E10value_typeEPNSQ_ISL_E10value_typeEPSM_NS1_7vsmem_tEENKUlT_SK_SL_SM_E_clIPsSE_SF_SF_EESJ_SZ_SK_SL_SM_EUlSZ_E1_NS1_11comp_targetILNS1_3genE9ELNS1_11target_archE1100ELNS1_3gpuE3ELNS1_3repE0EEENS1_36merge_oddeven_config_static_selectorELNS0_4arch9wavefront6targetE1EEEvSL_,comdat
	.protected	_ZN7rocprim17ROCPRIM_400000_NS6detail17trampoline_kernelINS0_14default_configENS1_38merge_sort_block_merge_config_selectorIsNS0_10empty_typeEEEZZNS1_27merge_sort_block_merge_implIS3_N6thrust23THRUST_200600_302600_NS6detail15normal_iteratorINS9_10device_ptrIsEEEEPS5_jNS1_19radix_merge_compareILb0ELb0EsNS0_19identity_decomposerEEEEE10hipError_tT0_T1_T2_jT3_P12ihipStream_tbPNSt15iterator_traitsISK_E10value_typeEPNSQ_ISL_E10value_typeEPSM_NS1_7vsmem_tEENKUlT_SK_SL_SM_E_clIPsSE_SF_SF_EESJ_SZ_SK_SL_SM_EUlSZ_E1_NS1_11comp_targetILNS1_3genE9ELNS1_11target_archE1100ELNS1_3gpuE3ELNS1_3repE0EEENS1_36merge_oddeven_config_static_selectorELNS0_4arch9wavefront6targetE1EEEvSL_ ; -- Begin function _ZN7rocprim17ROCPRIM_400000_NS6detail17trampoline_kernelINS0_14default_configENS1_38merge_sort_block_merge_config_selectorIsNS0_10empty_typeEEEZZNS1_27merge_sort_block_merge_implIS3_N6thrust23THRUST_200600_302600_NS6detail15normal_iteratorINS9_10device_ptrIsEEEEPS5_jNS1_19radix_merge_compareILb0ELb0EsNS0_19identity_decomposerEEEEE10hipError_tT0_T1_T2_jT3_P12ihipStream_tbPNSt15iterator_traitsISK_E10value_typeEPNSQ_ISL_E10value_typeEPSM_NS1_7vsmem_tEENKUlT_SK_SL_SM_E_clIPsSE_SF_SF_EESJ_SZ_SK_SL_SM_EUlSZ_E1_NS1_11comp_targetILNS1_3genE9ELNS1_11target_archE1100ELNS1_3gpuE3ELNS1_3repE0EEENS1_36merge_oddeven_config_static_selectorELNS0_4arch9wavefront6targetE1EEEvSL_
	.globl	_ZN7rocprim17ROCPRIM_400000_NS6detail17trampoline_kernelINS0_14default_configENS1_38merge_sort_block_merge_config_selectorIsNS0_10empty_typeEEEZZNS1_27merge_sort_block_merge_implIS3_N6thrust23THRUST_200600_302600_NS6detail15normal_iteratorINS9_10device_ptrIsEEEEPS5_jNS1_19radix_merge_compareILb0ELb0EsNS0_19identity_decomposerEEEEE10hipError_tT0_T1_T2_jT3_P12ihipStream_tbPNSt15iterator_traitsISK_E10value_typeEPNSQ_ISL_E10value_typeEPSM_NS1_7vsmem_tEENKUlT_SK_SL_SM_E_clIPsSE_SF_SF_EESJ_SZ_SK_SL_SM_EUlSZ_E1_NS1_11comp_targetILNS1_3genE9ELNS1_11target_archE1100ELNS1_3gpuE3ELNS1_3repE0EEENS1_36merge_oddeven_config_static_selectorELNS0_4arch9wavefront6targetE1EEEvSL_
	.p2align	8
	.type	_ZN7rocprim17ROCPRIM_400000_NS6detail17trampoline_kernelINS0_14default_configENS1_38merge_sort_block_merge_config_selectorIsNS0_10empty_typeEEEZZNS1_27merge_sort_block_merge_implIS3_N6thrust23THRUST_200600_302600_NS6detail15normal_iteratorINS9_10device_ptrIsEEEEPS5_jNS1_19radix_merge_compareILb0ELb0EsNS0_19identity_decomposerEEEEE10hipError_tT0_T1_T2_jT3_P12ihipStream_tbPNSt15iterator_traitsISK_E10value_typeEPNSQ_ISL_E10value_typeEPSM_NS1_7vsmem_tEENKUlT_SK_SL_SM_E_clIPsSE_SF_SF_EESJ_SZ_SK_SL_SM_EUlSZ_E1_NS1_11comp_targetILNS1_3genE9ELNS1_11target_archE1100ELNS1_3gpuE3ELNS1_3repE0EEENS1_36merge_oddeven_config_static_selectorELNS0_4arch9wavefront6targetE1EEEvSL_,@function
_ZN7rocprim17ROCPRIM_400000_NS6detail17trampoline_kernelINS0_14default_configENS1_38merge_sort_block_merge_config_selectorIsNS0_10empty_typeEEEZZNS1_27merge_sort_block_merge_implIS3_N6thrust23THRUST_200600_302600_NS6detail15normal_iteratorINS9_10device_ptrIsEEEEPS5_jNS1_19radix_merge_compareILb0ELb0EsNS0_19identity_decomposerEEEEE10hipError_tT0_T1_T2_jT3_P12ihipStream_tbPNSt15iterator_traitsISK_E10value_typeEPNSQ_ISL_E10value_typeEPSM_NS1_7vsmem_tEENKUlT_SK_SL_SM_E_clIPsSE_SF_SF_EESJ_SZ_SK_SL_SM_EUlSZ_E1_NS1_11comp_targetILNS1_3genE9ELNS1_11target_archE1100ELNS1_3gpuE3ELNS1_3repE0EEENS1_36merge_oddeven_config_static_selectorELNS0_4arch9wavefront6targetE1EEEvSL_: ; @_ZN7rocprim17ROCPRIM_400000_NS6detail17trampoline_kernelINS0_14default_configENS1_38merge_sort_block_merge_config_selectorIsNS0_10empty_typeEEEZZNS1_27merge_sort_block_merge_implIS3_N6thrust23THRUST_200600_302600_NS6detail15normal_iteratorINS9_10device_ptrIsEEEEPS5_jNS1_19radix_merge_compareILb0ELb0EsNS0_19identity_decomposerEEEEE10hipError_tT0_T1_T2_jT3_P12ihipStream_tbPNSt15iterator_traitsISK_E10value_typeEPNSQ_ISL_E10value_typeEPSM_NS1_7vsmem_tEENKUlT_SK_SL_SM_E_clIPsSE_SF_SF_EESJ_SZ_SK_SL_SM_EUlSZ_E1_NS1_11comp_targetILNS1_3genE9ELNS1_11target_archE1100ELNS1_3gpuE3ELNS1_3repE0EEENS1_36merge_oddeven_config_static_selectorELNS0_4arch9wavefront6targetE1EEEvSL_
; %bb.0:
	.section	.rodata,"a",@progbits
	.p2align	6, 0x0
	.amdhsa_kernel _ZN7rocprim17ROCPRIM_400000_NS6detail17trampoline_kernelINS0_14default_configENS1_38merge_sort_block_merge_config_selectorIsNS0_10empty_typeEEEZZNS1_27merge_sort_block_merge_implIS3_N6thrust23THRUST_200600_302600_NS6detail15normal_iteratorINS9_10device_ptrIsEEEEPS5_jNS1_19radix_merge_compareILb0ELb0EsNS0_19identity_decomposerEEEEE10hipError_tT0_T1_T2_jT3_P12ihipStream_tbPNSt15iterator_traitsISK_E10value_typeEPNSQ_ISL_E10value_typeEPSM_NS1_7vsmem_tEENKUlT_SK_SL_SM_E_clIPsSE_SF_SF_EESJ_SZ_SK_SL_SM_EUlSZ_E1_NS1_11comp_targetILNS1_3genE9ELNS1_11target_archE1100ELNS1_3gpuE3ELNS1_3repE0EEENS1_36merge_oddeven_config_static_selectorELNS0_4arch9wavefront6targetE1EEEvSL_
		.amdhsa_group_segment_fixed_size 0
		.amdhsa_private_segment_fixed_size 0
		.amdhsa_kernarg_size 48
		.amdhsa_user_sgpr_count 6
		.amdhsa_user_sgpr_private_segment_buffer 1
		.amdhsa_user_sgpr_dispatch_ptr 0
		.amdhsa_user_sgpr_queue_ptr 0
		.amdhsa_user_sgpr_kernarg_segment_ptr 1
		.amdhsa_user_sgpr_dispatch_id 0
		.amdhsa_user_sgpr_flat_scratch_init 0
		.amdhsa_user_sgpr_kernarg_preload_length 0
		.amdhsa_user_sgpr_kernarg_preload_offset 0
		.amdhsa_user_sgpr_private_segment_size 0
		.amdhsa_uses_dynamic_stack 0
		.amdhsa_system_sgpr_private_segment_wavefront_offset 0
		.amdhsa_system_sgpr_workgroup_id_x 1
		.amdhsa_system_sgpr_workgroup_id_y 0
		.amdhsa_system_sgpr_workgroup_id_z 0
		.amdhsa_system_sgpr_workgroup_info 0
		.amdhsa_system_vgpr_workitem_id 0
		.amdhsa_next_free_vgpr 1
		.amdhsa_next_free_sgpr 0
		.amdhsa_accum_offset 4
		.amdhsa_reserve_vcc 0
		.amdhsa_reserve_flat_scratch 0
		.amdhsa_float_round_mode_32 0
		.amdhsa_float_round_mode_16_64 0
		.amdhsa_float_denorm_mode_32 3
		.amdhsa_float_denorm_mode_16_64 3
		.amdhsa_dx10_clamp 1
		.amdhsa_ieee_mode 1
		.amdhsa_fp16_overflow 0
		.amdhsa_tg_split 0
		.amdhsa_exception_fp_ieee_invalid_op 0
		.amdhsa_exception_fp_denorm_src 0
		.amdhsa_exception_fp_ieee_div_zero 0
		.amdhsa_exception_fp_ieee_overflow 0
		.amdhsa_exception_fp_ieee_underflow 0
		.amdhsa_exception_fp_ieee_inexact 0
		.amdhsa_exception_int_div_zero 0
	.end_amdhsa_kernel
	.section	.text._ZN7rocprim17ROCPRIM_400000_NS6detail17trampoline_kernelINS0_14default_configENS1_38merge_sort_block_merge_config_selectorIsNS0_10empty_typeEEEZZNS1_27merge_sort_block_merge_implIS3_N6thrust23THRUST_200600_302600_NS6detail15normal_iteratorINS9_10device_ptrIsEEEEPS5_jNS1_19radix_merge_compareILb0ELb0EsNS0_19identity_decomposerEEEEE10hipError_tT0_T1_T2_jT3_P12ihipStream_tbPNSt15iterator_traitsISK_E10value_typeEPNSQ_ISL_E10value_typeEPSM_NS1_7vsmem_tEENKUlT_SK_SL_SM_E_clIPsSE_SF_SF_EESJ_SZ_SK_SL_SM_EUlSZ_E1_NS1_11comp_targetILNS1_3genE9ELNS1_11target_archE1100ELNS1_3gpuE3ELNS1_3repE0EEENS1_36merge_oddeven_config_static_selectorELNS0_4arch9wavefront6targetE1EEEvSL_,"axG",@progbits,_ZN7rocprim17ROCPRIM_400000_NS6detail17trampoline_kernelINS0_14default_configENS1_38merge_sort_block_merge_config_selectorIsNS0_10empty_typeEEEZZNS1_27merge_sort_block_merge_implIS3_N6thrust23THRUST_200600_302600_NS6detail15normal_iteratorINS9_10device_ptrIsEEEEPS5_jNS1_19radix_merge_compareILb0ELb0EsNS0_19identity_decomposerEEEEE10hipError_tT0_T1_T2_jT3_P12ihipStream_tbPNSt15iterator_traitsISK_E10value_typeEPNSQ_ISL_E10value_typeEPSM_NS1_7vsmem_tEENKUlT_SK_SL_SM_E_clIPsSE_SF_SF_EESJ_SZ_SK_SL_SM_EUlSZ_E1_NS1_11comp_targetILNS1_3genE9ELNS1_11target_archE1100ELNS1_3gpuE3ELNS1_3repE0EEENS1_36merge_oddeven_config_static_selectorELNS0_4arch9wavefront6targetE1EEEvSL_,comdat
.Lfunc_end1840:
	.size	_ZN7rocprim17ROCPRIM_400000_NS6detail17trampoline_kernelINS0_14default_configENS1_38merge_sort_block_merge_config_selectorIsNS0_10empty_typeEEEZZNS1_27merge_sort_block_merge_implIS3_N6thrust23THRUST_200600_302600_NS6detail15normal_iteratorINS9_10device_ptrIsEEEEPS5_jNS1_19radix_merge_compareILb0ELb0EsNS0_19identity_decomposerEEEEE10hipError_tT0_T1_T2_jT3_P12ihipStream_tbPNSt15iterator_traitsISK_E10value_typeEPNSQ_ISL_E10value_typeEPSM_NS1_7vsmem_tEENKUlT_SK_SL_SM_E_clIPsSE_SF_SF_EESJ_SZ_SK_SL_SM_EUlSZ_E1_NS1_11comp_targetILNS1_3genE9ELNS1_11target_archE1100ELNS1_3gpuE3ELNS1_3repE0EEENS1_36merge_oddeven_config_static_selectorELNS0_4arch9wavefront6targetE1EEEvSL_, .Lfunc_end1840-_ZN7rocprim17ROCPRIM_400000_NS6detail17trampoline_kernelINS0_14default_configENS1_38merge_sort_block_merge_config_selectorIsNS0_10empty_typeEEEZZNS1_27merge_sort_block_merge_implIS3_N6thrust23THRUST_200600_302600_NS6detail15normal_iteratorINS9_10device_ptrIsEEEEPS5_jNS1_19radix_merge_compareILb0ELb0EsNS0_19identity_decomposerEEEEE10hipError_tT0_T1_T2_jT3_P12ihipStream_tbPNSt15iterator_traitsISK_E10value_typeEPNSQ_ISL_E10value_typeEPSM_NS1_7vsmem_tEENKUlT_SK_SL_SM_E_clIPsSE_SF_SF_EESJ_SZ_SK_SL_SM_EUlSZ_E1_NS1_11comp_targetILNS1_3genE9ELNS1_11target_archE1100ELNS1_3gpuE3ELNS1_3repE0EEENS1_36merge_oddeven_config_static_selectorELNS0_4arch9wavefront6targetE1EEEvSL_
                                        ; -- End function
	.section	.AMDGPU.csdata,"",@progbits
; Kernel info:
; codeLenInByte = 0
; NumSgprs: 4
; NumVgprs: 0
; NumAgprs: 0
; TotalNumVgprs: 0
; ScratchSize: 0
; MemoryBound: 0
; FloatMode: 240
; IeeeMode: 1
; LDSByteSize: 0 bytes/workgroup (compile time only)
; SGPRBlocks: 0
; VGPRBlocks: 0
; NumSGPRsForWavesPerEU: 4
; NumVGPRsForWavesPerEU: 1
; AccumOffset: 4
; Occupancy: 8
; WaveLimiterHint : 0
; COMPUTE_PGM_RSRC2:SCRATCH_EN: 0
; COMPUTE_PGM_RSRC2:USER_SGPR: 6
; COMPUTE_PGM_RSRC2:TRAP_HANDLER: 0
; COMPUTE_PGM_RSRC2:TGID_X_EN: 1
; COMPUTE_PGM_RSRC2:TGID_Y_EN: 0
; COMPUTE_PGM_RSRC2:TGID_Z_EN: 0
; COMPUTE_PGM_RSRC2:TIDIG_COMP_CNT: 0
; COMPUTE_PGM_RSRC3_GFX90A:ACCUM_OFFSET: 0
; COMPUTE_PGM_RSRC3_GFX90A:TG_SPLIT: 0
	.section	.text._ZN7rocprim17ROCPRIM_400000_NS6detail17trampoline_kernelINS0_14default_configENS1_38merge_sort_block_merge_config_selectorIsNS0_10empty_typeEEEZZNS1_27merge_sort_block_merge_implIS3_N6thrust23THRUST_200600_302600_NS6detail15normal_iteratorINS9_10device_ptrIsEEEEPS5_jNS1_19radix_merge_compareILb0ELb0EsNS0_19identity_decomposerEEEEE10hipError_tT0_T1_T2_jT3_P12ihipStream_tbPNSt15iterator_traitsISK_E10value_typeEPNSQ_ISL_E10value_typeEPSM_NS1_7vsmem_tEENKUlT_SK_SL_SM_E_clIPsSE_SF_SF_EESJ_SZ_SK_SL_SM_EUlSZ_E1_NS1_11comp_targetILNS1_3genE8ELNS1_11target_archE1030ELNS1_3gpuE2ELNS1_3repE0EEENS1_36merge_oddeven_config_static_selectorELNS0_4arch9wavefront6targetE1EEEvSL_,"axG",@progbits,_ZN7rocprim17ROCPRIM_400000_NS6detail17trampoline_kernelINS0_14default_configENS1_38merge_sort_block_merge_config_selectorIsNS0_10empty_typeEEEZZNS1_27merge_sort_block_merge_implIS3_N6thrust23THRUST_200600_302600_NS6detail15normal_iteratorINS9_10device_ptrIsEEEEPS5_jNS1_19radix_merge_compareILb0ELb0EsNS0_19identity_decomposerEEEEE10hipError_tT0_T1_T2_jT3_P12ihipStream_tbPNSt15iterator_traitsISK_E10value_typeEPNSQ_ISL_E10value_typeEPSM_NS1_7vsmem_tEENKUlT_SK_SL_SM_E_clIPsSE_SF_SF_EESJ_SZ_SK_SL_SM_EUlSZ_E1_NS1_11comp_targetILNS1_3genE8ELNS1_11target_archE1030ELNS1_3gpuE2ELNS1_3repE0EEENS1_36merge_oddeven_config_static_selectorELNS0_4arch9wavefront6targetE1EEEvSL_,comdat
	.protected	_ZN7rocprim17ROCPRIM_400000_NS6detail17trampoline_kernelINS0_14default_configENS1_38merge_sort_block_merge_config_selectorIsNS0_10empty_typeEEEZZNS1_27merge_sort_block_merge_implIS3_N6thrust23THRUST_200600_302600_NS6detail15normal_iteratorINS9_10device_ptrIsEEEEPS5_jNS1_19radix_merge_compareILb0ELb0EsNS0_19identity_decomposerEEEEE10hipError_tT0_T1_T2_jT3_P12ihipStream_tbPNSt15iterator_traitsISK_E10value_typeEPNSQ_ISL_E10value_typeEPSM_NS1_7vsmem_tEENKUlT_SK_SL_SM_E_clIPsSE_SF_SF_EESJ_SZ_SK_SL_SM_EUlSZ_E1_NS1_11comp_targetILNS1_3genE8ELNS1_11target_archE1030ELNS1_3gpuE2ELNS1_3repE0EEENS1_36merge_oddeven_config_static_selectorELNS0_4arch9wavefront6targetE1EEEvSL_ ; -- Begin function _ZN7rocprim17ROCPRIM_400000_NS6detail17trampoline_kernelINS0_14default_configENS1_38merge_sort_block_merge_config_selectorIsNS0_10empty_typeEEEZZNS1_27merge_sort_block_merge_implIS3_N6thrust23THRUST_200600_302600_NS6detail15normal_iteratorINS9_10device_ptrIsEEEEPS5_jNS1_19radix_merge_compareILb0ELb0EsNS0_19identity_decomposerEEEEE10hipError_tT0_T1_T2_jT3_P12ihipStream_tbPNSt15iterator_traitsISK_E10value_typeEPNSQ_ISL_E10value_typeEPSM_NS1_7vsmem_tEENKUlT_SK_SL_SM_E_clIPsSE_SF_SF_EESJ_SZ_SK_SL_SM_EUlSZ_E1_NS1_11comp_targetILNS1_3genE8ELNS1_11target_archE1030ELNS1_3gpuE2ELNS1_3repE0EEENS1_36merge_oddeven_config_static_selectorELNS0_4arch9wavefront6targetE1EEEvSL_
	.globl	_ZN7rocprim17ROCPRIM_400000_NS6detail17trampoline_kernelINS0_14default_configENS1_38merge_sort_block_merge_config_selectorIsNS0_10empty_typeEEEZZNS1_27merge_sort_block_merge_implIS3_N6thrust23THRUST_200600_302600_NS6detail15normal_iteratorINS9_10device_ptrIsEEEEPS5_jNS1_19radix_merge_compareILb0ELb0EsNS0_19identity_decomposerEEEEE10hipError_tT0_T1_T2_jT3_P12ihipStream_tbPNSt15iterator_traitsISK_E10value_typeEPNSQ_ISL_E10value_typeEPSM_NS1_7vsmem_tEENKUlT_SK_SL_SM_E_clIPsSE_SF_SF_EESJ_SZ_SK_SL_SM_EUlSZ_E1_NS1_11comp_targetILNS1_3genE8ELNS1_11target_archE1030ELNS1_3gpuE2ELNS1_3repE0EEENS1_36merge_oddeven_config_static_selectorELNS0_4arch9wavefront6targetE1EEEvSL_
	.p2align	8
	.type	_ZN7rocprim17ROCPRIM_400000_NS6detail17trampoline_kernelINS0_14default_configENS1_38merge_sort_block_merge_config_selectorIsNS0_10empty_typeEEEZZNS1_27merge_sort_block_merge_implIS3_N6thrust23THRUST_200600_302600_NS6detail15normal_iteratorINS9_10device_ptrIsEEEEPS5_jNS1_19radix_merge_compareILb0ELb0EsNS0_19identity_decomposerEEEEE10hipError_tT0_T1_T2_jT3_P12ihipStream_tbPNSt15iterator_traitsISK_E10value_typeEPNSQ_ISL_E10value_typeEPSM_NS1_7vsmem_tEENKUlT_SK_SL_SM_E_clIPsSE_SF_SF_EESJ_SZ_SK_SL_SM_EUlSZ_E1_NS1_11comp_targetILNS1_3genE8ELNS1_11target_archE1030ELNS1_3gpuE2ELNS1_3repE0EEENS1_36merge_oddeven_config_static_selectorELNS0_4arch9wavefront6targetE1EEEvSL_,@function
_ZN7rocprim17ROCPRIM_400000_NS6detail17trampoline_kernelINS0_14default_configENS1_38merge_sort_block_merge_config_selectorIsNS0_10empty_typeEEEZZNS1_27merge_sort_block_merge_implIS3_N6thrust23THRUST_200600_302600_NS6detail15normal_iteratorINS9_10device_ptrIsEEEEPS5_jNS1_19radix_merge_compareILb0ELb0EsNS0_19identity_decomposerEEEEE10hipError_tT0_T1_T2_jT3_P12ihipStream_tbPNSt15iterator_traitsISK_E10value_typeEPNSQ_ISL_E10value_typeEPSM_NS1_7vsmem_tEENKUlT_SK_SL_SM_E_clIPsSE_SF_SF_EESJ_SZ_SK_SL_SM_EUlSZ_E1_NS1_11comp_targetILNS1_3genE8ELNS1_11target_archE1030ELNS1_3gpuE2ELNS1_3repE0EEENS1_36merge_oddeven_config_static_selectorELNS0_4arch9wavefront6targetE1EEEvSL_: ; @_ZN7rocprim17ROCPRIM_400000_NS6detail17trampoline_kernelINS0_14default_configENS1_38merge_sort_block_merge_config_selectorIsNS0_10empty_typeEEEZZNS1_27merge_sort_block_merge_implIS3_N6thrust23THRUST_200600_302600_NS6detail15normal_iteratorINS9_10device_ptrIsEEEEPS5_jNS1_19radix_merge_compareILb0ELb0EsNS0_19identity_decomposerEEEEE10hipError_tT0_T1_T2_jT3_P12ihipStream_tbPNSt15iterator_traitsISK_E10value_typeEPNSQ_ISL_E10value_typeEPSM_NS1_7vsmem_tEENKUlT_SK_SL_SM_E_clIPsSE_SF_SF_EESJ_SZ_SK_SL_SM_EUlSZ_E1_NS1_11comp_targetILNS1_3genE8ELNS1_11target_archE1030ELNS1_3gpuE2ELNS1_3repE0EEENS1_36merge_oddeven_config_static_selectorELNS0_4arch9wavefront6targetE1EEEvSL_
; %bb.0:
	.section	.rodata,"a",@progbits
	.p2align	6, 0x0
	.amdhsa_kernel _ZN7rocprim17ROCPRIM_400000_NS6detail17trampoline_kernelINS0_14default_configENS1_38merge_sort_block_merge_config_selectorIsNS0_10empty_typeEEEZZNS1_27merge_sort_block_merge_implIS3_N6thrust23THRUST_200600_302600_NS6detail15normal_iteratorINS9_10device_ptrIsEEEEPS5_jNS1_19radix_merge_compareILb0ELb0EsNS0_19identity_decomposerEEEEE10hipError_tT0_T1_T2_jT3_P12ihipStream_tbPNSt15iterator_traitsISK_E10value_typeEPNSQ_ISL_E10value_typeEPSM_NS1_7vsmem_tEENKUlT_SK_SL_SM_E_clIPsSE_SF_SF_EESJ_SZ_SK_SL_SM_EUlSZ_E1_NS1_11comp_targetILNS1_3genE8ELNS1_11target_archE1030ELNS1_3gpuE2ELNS1_3repE0EEENS1_36merge_oddeven_config_static_selectorELNS0_4arch9wavefront6targetE1EEEvSL_
		.amdhsa_group_segment_fixed_size 0
		.amdhsa_private_segment_fixed_size 0
		.amdhsa_kernarg_size 48
		.amdhsa_user_sgpr_count 6
		.amdhsa_user_sgpr_private_segment_buffer 1
		.amdhsa_user_sgpr_dispatch_ptr 0
		.amdhsa_user_sgpr_queue_ptr 0
		.amdhsa_user_sgpr_kernarg_segment_ptr 1
		.amdhsa_user_sgpr_dispatch_id 0
		.amdhsa_user_sgpr_flat_scratch_init 0
		.amdhsa_user_sgpr_kernarg_preload_length 0
		.amdhsa_user_sgpr_kernarg_preload_offset 0
		.amdhsa_user_sgpr_private_segment_size 0
		.amdhsa_uses_dynamic_stack 0
		.amdhsa_system_sgpr_private_segment_wavefront_offset 0
		.amdhsa_system_sgpr_workgroup_id_x 1
		.amdhsa_system_sgpr_workgroup_id_y 0
		.amdhsa_system_sgpr_workgroup_id_z 0
		.amdhsa_system_sgpr_workgroup_info 0
		.amdhsa_system_vgpr_workitem_id 0
		.amdhsa_next_free_vgpr 1
		.amdhsa_next_free_sgpr 0
		.amdhsa_accum_offset 4
		.amdhsa_reserve_vcc 0
		.amdhsa_reserve_flat_scratch 0
		.amdhsa_float_round_mode_32 0
		.amdhsa_float_round_mode_16_64 0
		.amdhsa_float_denorm_mode_32 3
		.amdhsa_float_denorm_mode_16_64 3
		.amdhsa_dx10_clamp 1
		.amdhsa_ieee_mode 1
		.amdhsa_fp16_overflow 0
		.amdhsa_tg_split 0
		.amdhsa_exception_fp_ieee_invalid_op 0
		.amdhsa_exception_fp_denorm_src 0
		.amdhsa_exception_fp_ieee_div_zero 0
		.amdhsa_exception_fp_ieee_overflow 0
		.amdhsa_exception_fp_ieee_underflow 0
		.amdhsa_exception_fp_ieee_inexact 0
		.amdhsa_exception_int_div_zero 0
	.end_amdhsa_kernel
	.section	.text._ZN7rocprim17ROCPRIM_400000_NS6detail17trampoline_kernelINS0_14default_configENS1_38merge_sort_block_merge_config_selectorIsNS0_10empty_typeEEEZZNS1_27merge_sort_block_merge_implIS3_N6thrust23THRUST_200600_302600_NS6detail15normal_iteratorINS9_10device_ptrIsEEEEPS5_jNS1_19radix_merge_compareILb0ELb0EsNS0_19identity_decomposerEEEEE10hipError_tT0_T1_T2_jT3_P12ihipStream_tbPNSt15iterator_traitsISK_E10value_typeEPNSQ_ISL_E10value_typeEPSM_NS1_7vsmem_tEENKUlT_SK_SL_SM_E_clIPsSE_SF_SF_EESJ_SZ_SK_SL_SM_EUlSZ_E1_NS1_11comp_targetILNS1_3genE8ELNS1_11target_archE1030ELNS1_3gpuE2ELNS1_3repE0EEENS1_36merge_oddeven_config_static_selectorELNS0_4arch9wavefront6targetE1EEEvSL_,"axG",@progbits,_ZN7rocprim17ROCPRIM_400000_NS6detail17trampoline_kernelINS0_14default_configENS1_38merge_sort_block_merge_config_selectorIsNS0_10empty_typeEEEZZNS1_27merge_sort_block_merge_implIS3_N6thrust23THRUST_200600_302600_NS6detail15normal_iteratorINS9_10device_ptrIsEEEEPS5_jNS1_19radix_merge_compareILb0ELb0EsNS0_19identity_decomposerEEEEE10hipError_tT0_T1_T2_jT3_P12ihipStream_tbPNSt15iterator_traitsISK_E10value_typeEPNSQ_ISL_E10value_typeEPSM_NS1_7vsmem_tEENKUlT_SK_SL_SM_E_clIPsSE_SF_SF_EESJ_SZ_SK_SL_SM_EUlSZ_E1_NS1_11comp_targetILNS1_3genE8ELNS1_11target_archE1030ELNS1_3gpuE2ELNS1_3repE0EEENS1_36merge_oddeven_config_static_selectorELNS0_4arch9wavefront6targetE1EEEvSL_,comdat
.Lfunc_end1841:
	.size	_ZN7rocprim17ROCPRIM_400000_NS6detail17trampoline_kernelINS0_14default_configENS1_38merge_sort_block_merge_config_selectorIsNS0_10empty_typeEEEZZNS1_27merge_sort_block_merge_implIS3_N6thrust23THRUST_200600_302600_NS6detail15normal_iteratorINS9_10device_ptrIsEEEEPS5_jNS1_19radix_merge_compareILb0ELb0EsNS0_19identity_decomposerEEEEE10hipError_tT0_T1_T2_jT3_P12ihipStream_tbPNSt15iterator_traitsISK_E10value_typeEPNSQ_ISL_E10value_typeEPSM_NS1_7vsmem_tEENKUlT_SK_SL_SM_E_clIPsSE_SF_SF_EESJ_SZ_SK_SL_SM_EUlSZ_E1_NS1_11comp_targetILNS1_3genE8ELNS1_11target_archE1030ELNS1_3gpuE2ELNS1_3repE0EEENS1_36merge_oddeven_config_static_selectorELNS0_4arch9wavefront6targetE1EEEvSL_, .Lfunc_end1841-_ZN7rocprim17ROCPRIM_400000_NS6detail17trampoline_kernelINS0_14default_configENS1_38merge_sort_block_merge_config_selectorIsNS0_10empty_typeEEEZZNS1_27merge_sort_block_merge_implIS3_N6thrust23THRUST_200600_302600_NS6detail15normal_iteratorINS9_10device_ptrIsEEEEPS5_jNS1_19radix_merge_compareILb0ELb0EsNS0_19identity_decomposerEEEEE10hipError_tT0_T1_T2_jT3_P12ihipStream_tbPNSt15iterator_traitsISK_E10value_typeEPNSQ_ISL_E10value_typeEPSM_NS1_7vsmem_tEENKUlT_SK_SL_SM_E_clIPsSE_SF_SF_EESJ_SZ_SK_SL_SM_EUlSZ_E1_NS1_11comp_targetILNS1_3genE8ELNS1_11target_archE1030ELNS1_3gpuE2ELNS1_3repE0EEENS1_36merge_oddeven_config_static_selectorELNS0_4arch9wavefront6targetE1EEEvSL_
                                        ; -- End function
	.section	.AMDGPU.csdata,"",@progbits
; Kernel info:
; codeLenInByte = 0
; NumSgprs: 4
; NumVgprs: 0
; NumAgprs: 0
; TotalNumVgprs: 0
; ScratchSize: 0
; MemoryBound: 0
; FloatMode: 240
; IeeeMode: 1
; LDSByteSize: 0 bytes/workgroup (compile time only)
; SGPRBlocks: 0
; VGPRBlocks: 0
; NumSGPRsForWavesPerEU: 4
; NumVGPRsForWavesPerEU: 1
; AccumOffset: 4
; Occupancy: 8
; WaveLimiterHint : 0
; COMPUTE_PGM_RSRC2:SCRATCH_EN: 0
; COMPUTE_PGM_RSRC2:USER_SGPR: 6
; COMPUTE_PGM_RSRC2:TRAP_HANDLER: 0
; COMPUTE_PGM_RSRC2:TGID_X_EN: 1
; COMPUTE_PGM_RSRC2:TGID_Y_EN: 0
; COMPUTE_PGM_RSRC2:TGID_Z_EN: 0
; COMPUTE_PGM_RSRC2:TIDIG_COMP_CNT: 0
; COMPUTE_PGM_RSRC3_GFX90A:ACCUM_OFFSET: 0
; COMPUTE_PGM_RSRC3_GFX90A:TG_SPLIT: 0
	.section	.text._ZN7rocprim17ROCPRIM_400000_NS6detail17trampoline_kernelINS0_14default_configENS1_38merge_sort_block_merge_config_selectorIsNS0_10empty_typeEEEZZNS1_27merge_sort_block_merge_implIS3_N6thrust23THRUST_200600_302600_NS6detail15normal_iteratorINS9_10device_ptrIsEEEEPS5_jNS1_19radix_merge_compareILb0ELb0EsNS0_19identity_decomposerEEEEE10hipError_tT0_T1_T2_jT3_P12ihipStream_tbPNSt15iterator_traitsISK_E10value_typeEPNSQ_ISL_E10value_typeEPSM_NS1_7vsmem_tEENKUlT_SK_SL_SM_E_clISE_PsSF_SF_EESJ_SZ_SK_SL_SM_EUlSZ_E_NS1_11comp_targetILNS1_3genE0ELNS1_11target_archE4294967295ELNS1_3gpuE0ELNS1_3repE0EEENS1_48merge_mergepath_partition_config_static_selectorELNS0_4arch9wavefront6targetE1EEEvSL_,"axG",@progbits,_ZN7rocprim17ROCPRIM_400000_NS6detail17trampoline_kernelINS0_14default_configENS1_38merge_sort_block_merge_config_selectorIsNS0_10empty_typeEEEZZNS1_27merge_sort_block_merge_implIS3_N6thrust23THRUST_200600_302600_NS6detail15normal_iteratorINS9_10device_ptrIsEEEEPS5_jNS1_19radix_merge_compareILb0ELb0EsNS0_19identity_decomposerEEEEE10hipError_tT0_T1_T2_jT3_P12ihipStream_tbPNSt15iterator_traitsISK_E10value_typeEPNSQ_ISL_E10value_typeEPSM_NS1_7vsmem_tEENKUlT_SK_SL_SM_E_clISE_PsSF_SF_EESJ_SZ_SK_SL_SM_EUlSZ_E_NS1_11comp_targetILNS1_3genE0ELNS1_11target_archE4294967295ELNS1_3gpuE0ELNS1_3repE0EEENS1_48merge_mergepath_partition_config_static_selectorELNS0_4arch9wavefront6targetE1EEEvSL_,comdat
	.protected	_ZN7rocprim17ROCPRIM_400000_NS6detail17trampoline_kernelINS0_14default_configENS1_38merge_sort_block_merge_config_selectorIsNS0_10empty_typeEEEZZNS1_27merge_sort_block_merge_implIS3_N6thrust23THRUST_200600_302600_NS6detail15normal_iteratorINS9_10device_ptrIsEEEEPS5_jNS1_19radix_merge_compareILb0ELb0EsNS0_19identity_decomposerEEEEE10hipError_tT0_T1_T2_jT3_P12ihipStream_tbPNSt15iterator_traitsISK_E10value_typeEPNSQ_ISL_E10value_typeEPSM_NS1_7vsmem_tEENKUlT_SK_SL_SM_E_clISE_PsSF_SF_EESJ_SZ_SK_SL_SM_EUlSZ_E_NS1_11comp_targetILNS1_3genE0ELNS1_11target_archE4294967295ELNS1_3gpuE0ELNS1_3repE0EEENS1_48merge_mergepath_partition_config_static_selectorELNS0_4arch9wavefront6targetE1EEEvSL_ ; -- Begin function _ZN7rocprim17ROCPRIM_400000_NS6detail17trampoline_kernelINS0_14default_configENS1_38merge_sort_block_merge_config_selectorIsNS0_10empty_typeEEEZZNS1_27merge_sort_block_merge_implIS3_N6thrust23THRUST_200600_302600_NS6detail15normal_iteratorINS9_10device_ptrIsEEEEPS5_jNS1_19radix_merge_compareILb0ELb0EsNS0_19identity_decomposerEEEEE10hipError_tT0_T1_T2_jT3_P12ihipStream_tbPNSt15iterator_traitsISK_E10value_typeEPNSQ_ISL_E10value_typeEPSM_NS1_7vsmem_tEENKUlT_SK_SL_SM_E_clISE_PsSF_SF_EESJ_SZ_SK_SL_SM_EUlSZ_E_NS1_11comp_targetILNS1_3genE0ELNS1_11target_archE4294967295ELNS1_3gpuE0ELNS1_3repE0EEENS1_48merge_mergepath_partition_config_static_selectorELNS0_4arch9wavefront6targetE1EEEvSL_
	.globl	_ZN7rocprim17ROCPRIM_400000_NS6detail17trampoline_kernelINS0_14default_configENS1_38merge_sort_block_merge_config_selectorIsNS0_10empty_typeEEEZZNS1_27merge_sort_block_merge_implIS3_N6thrust23THRUST_200600_302600_NS6detail15normal_iteratorINS9_10device_ptrIsEEEEPS5_jNS1_19radix_merge_compareILb0ELb0EsNS0_19identity_decomposerEEEEE10hipError_tT0_T1_T2_jT3_P12ihipStream_tbPNSt15iterator_traitsISK_E10value_typeEPNSQ_ISL_E10value_typeEPSM_NS1_7vsmem_tEENKUlT_SK_SL_SM_E_clISE_PsSF_SF_EESJ_SZ_SK_SL_SM_EUlSZ_E_NS1_11comp_targetILNS1_3genE0ELNS1_11target_archE4294967295ELNS1_3gpuE0ELNS1_3repE0EEENS1_48merge_mergepath_partition_config_static_selectorELNS0_4arch9wavefront6targetE1EEEvSL_
	.p2align	8
	.type	_ZN7rocprim17ROCPRIM_400000_NS6detail17trampoline_kernelINS0_14default_configENS1_38merge_sort_block_merge_config_selectorIsNS0_10empty_typeEEEZZNS1_27merge_sort_block_merge_implIS3_N6thrust23THRUST_200600_302600_NS6detail15normal_iteratorINS9_10device_ptrIsEEEEPS5_jNS1_19radix_merge_compareILb0ELb0EsNS0_19identity_decomposerEEEEE10hipError_tT0_T1_T2_jT3_P12ihipStream_tbPNSt15iterator_traitsISK_E10value_typeEPNSQ_ISL_E10value_typeEPSM_NS1_7vsmem_tEENKUlT_SK_SL_SM_E_clISE_PsSF_SF_EESJ_SZ_SK_SL_SM_EUlSZ_E_NS1_11comp_targetILNS1_3genE0ELNS1_11target_archE4294967295ELNS1_3gpuE0ELNS1_3repE0EEENS1_48merge_mergepath_partition_config_static_selectorELNS0_4arch9wavefront6targetE1EEEvSL_,@function
_ZN7rocprim17ROCPRIM_400000_NS6detail17trampoline_kernelINS0_14default_configENS1_38merge_sort_block_merge_config_selectorIsNS0_10empty_typeEEEZZNS1_27merge_sort_block_merge_implIS3_N6thrust23THRUST_200600_302600_NS6detail15normal_iteratorINS9_10device_ptrIsEEEEPS5_jNS1_19radix_merge_compareILb0ELb0EsNS0_19identity_decomposerEEEEE10hipError_tT0_T1_T2_jT3_P12ihipStream_tbPNSt15iterator_traitsISK_E10value_typeEPNSQ_ISL_E10value_typeEPSM_NS1_7vsmem_tEENKUlT_SK_SL_SM_E_clISE_PsSF_SF_EESJ_SZ_SK_SL_SM_EUlSZ_E_NS1_11comp_targetILNS1_3genE0ELNS1_11target_archE4294967295ELNS1_3gpuE0ELNS1_3repE0EEENS1_48merge_mergepath_partition_config_static_selectorELNS0_4arch9wavefront6targetE1EEEvSL_: ; @_ZN7rocprim17ROCPRIM_400000_NS6detail17trampoline_kernelINS0_14default_configENS1_38merge_sort_block_merge_config_selectorIsNS0_10empty_typeEEEZZNS1_27merge_sort_block_merge_implIS3_N6thrust23THRUST_200600_302600_NS6detail15normal_iteratorINS9_10device_ptrIsEEEEPS5_jNS1_19radix_merge_compareILb0ELb0EsNS0_19identity_decomposerEEEEE10hipError_tT0_T1_T2_jT3_P12ihipStream_tbPNSt15iterator_traitsISK_E10value_typeEPNSQ_ISL_E10value_typeEPSM_NS1_7vsmem_tEENKUlT_SK_SL_SM_E_clISE_PsSF_SF_EESJ_SZ_SK_SL_SM_EUlSZ_E_NS1_11comp_targetILNS1_3genE0ELNS1_11target_archE4294967295ELNS1_3gpuE0ELNS1_3repE0EEENS1_48merge_mergepath_partition_config_static_selectorELNS0_4arch9wavefront6targetE1EEEvSL_
; %bb.0:
	.section	.rodata,"a",@progbits
	.p2align	6, 0x0
	.amdhsa_kernel _ZN7rocprim17ROCPRIM_400000_NS6detail17trampoline_kernelINS0_14default_configENS1_38merge_sort_block_merge_config_selectorIsNS0_10empty_typeEEEZZNS1_27merge_sort_block_merge_implIS3_N6thrust23THRUST_200600_302600_NS6detail15normal_iteratorINS9_10device_ptrIsEEEEPS5_jNS1_19radix_merge_compareILb0ELb0EsNS0_19identity_decomposerEEEEE10hipError_tT0_T1_T2_jT3_P12ihipStream_tbPNSt15iterator_traitsISK_E10value_typeEPNSQ_ISL_E10value_typeEPSM_NS1_7vsmem_tEENKUlT_SK_SL_SM_E_clISE_PsSF_SF_EESJ_SZ_SK_SL_SM_EUlSZ_E_NS1_11comp_targetILNS1_3genE0ELNS1_11target_archE4294967295ELNS1_3gpuE0ELNS1_3repE0EEENS1_48merge_mergepath_partition_config_static_selectorELNS0_4arch9wavefront6targetE1EEEvSL_
		.amdhsa_group_segment_fixed_size 0
		.amdhsa_private_segment_fixed_size 0
		.amdhsa_kernarg_size 40
		.amdhsa_user_sgpr_count 6
		.amdhsa_user_sgpr_private_segment_buffer 1
		.amdhsa_user_sgpr_dispatch_ptr 0
		.amdhsa_user_sgpr_queue_ptr 0
		.amdhsa_user_sgpr_kernarg_segment_ptr 1
		.amdhsa_user_sgpr_dispatch_id 0
		.amdhsa_user_sgpr_flat_scratch_init 0
		.amdhsa_user_sgpr_kernarg_preload_length 0
		.amdhsa_user_sgpr_kernarg_preload_offset 0
		.amdhsa_user_sgpr_private_segment_size 0
		.amdhsa_uses_dynamic_stack 0
		.amdhsa_system_sgpr_private_segment_wavefront_offset 0
		.amdhsa_system_sgpr_workgroup_id_x 1
		.amdhsa_system_sgpr_workgroup_id_y 0
		.amdhsa_system_sgpr_workgroup_id_z 0
		.amdhsa_system_sgpr_workgroup_info 0
		.amdhsa_system_vgpr_workitem_id 0
		.amdhsa_next_free_vgpr 1
		.amdhsa_next_free_sgpr 0
		.amdhsa_accum_offset 4
		.amdhsa_reserve_vcc 0
		.amdhsa_reserve_flat_scratch 0
		.amdhsa_float_round_mode_32 0
		.amdhsa_float_round_mode_16_64 0
		.amdhsa_float_denorm_mode_32 3
		.amdhsa_float_denorm_mode_16_64 3
		.amdhsa_dx10_clamp 1
		.amdhsa_ieee_mode 1
		.amdhsa_fp16_overflow 0
		.amdhsa_tg_split 0
		.amdhsa_exception_fp_ieee_invalid_op 0
		.amdhsa_exception_fp_denorm_src 0
		.amdhsa_exception_fp_ieee_div_zero 0
		.amdhsa_exception_fp_ieee_overflow 0
		.amdhsa_exception_fp_ieee_underflow 0
		.amdhsa_exception_fp_ieee_inexact 0
		.amdhsa_exception_int_div_zero 0
	.end_amdhsa_kernel
	.section	.text._ZN7rocprim17ROCPRIM_400000_NS6detail17trampoline_kernelINS0_14default_configENS1_38merge_sort_block_merge_config_selectorIsNS0_10empty_typeEEEZZNS1_27merge_sort_block_merge_implIS3_N6thrust23THRUST_200600_302600_NS6detail15normal_iteratorINS9_10device_ptrIsEEEEPS5_jNS1_19radix_merge_compareILb0ELb0EsNS0_19identity_decomposerEEEEE10hipError_tT0_T1_T2_jT3_P12ihipStream_tbPNSt15iterator_traitsISK_E10value_typeEPNSQ_ISL_E10value_typeEPSM_NS1_7vsmem_tEENKUlT_SK_SL_SM_E_clISE_PsSF_SF_EESJ_SZ_SK_SL_SM_EUlSZ_E_NS1_11comp_targetILNS1_3genE0ELNS1_11target_archE4294967295ELNS1_3gpuE0ELNS1_3repE0EEENS1_48merge_mergepath_partition_config_static_selectorELNS0_4arch9wavefront6targetE1EEEvSL_,"axG",@progbits,_ZN7rocprim17ROCPRIM_400000_NS6detail17trampoline_kernelINS0_14default_configENS1_38merge_sort_block_merge_config_selectorIsNS0_10empty_typeEEEZZNS1_27merge_sort_block_merge_implIS3_N6thrust23THRUST_200600_302600_NS6detail15normal_iteratorINS9_10device_ptrIsEEEEPS5_jNS1_19radix_merge_compareILb0ELb0EsNS0_19identity_decomposerEEEEE10hipError_tT0_T1_T2_jT3_P12ihipStream_tbPNSt15iterator_traitsISK_E10value_typeEPNSQ_ISL_E10value_typeEPSM_NS1_7vsmem_tEENKUlT_SK_SL_SM_E_clISE_PsSF_SF_EESJ_SZ_SK_SL_SM_EUlSZ_E_NS1_11comp_targetILNS1_3genE0ELNS1_11target_archE4294967295ELNS1_3gpuE0ELNS1_3repE0EEENS1_48merge_mergepath_partition_config_static_selectorELNS0_4arch9wavefront6targetE1EEEvSL_,comdat
.Lfunc_end1842:
	.size	_ZN7rocprim17ROCPRIM_400000_NS6detail17trampoline_kernelINS0_14default_configENS1_38merge_sort_block_merge_config_selectorIsNS0_10empty_typeEEEZZNS1_27merge_sort_block_merge_implIS3_N6thrust23THRUST_200600_302600_NS6detail15normal_iteratorINS9_10device_ptrIsEEEEPS5_jNS1_19radix_merge_compareILb0ELb0EsNS0_19identity_decomposerEEEEE10hipError_tT0_T1_T2_jT3_P12ihipStream_tbPNSt15iterator_traitsISK_E10value_typeEPNSQ_ISL_E10value_typeEPSM_NS1_7vsmem_tEENKUlT_SK_SL_SM_E_clISE_PsSF_SF_EESJ_SZ_SK_SL_SM_EUlSZ_E_NS1_11comp_targetILNS1_3genE0ELNS1_11target_archE4294967295ELNS1_3gpuE0ELNS1_3repE0EEENS1_48merge_mergepath_partition_config_static_selectorELNS0_4arch9wavefront6targetE1EEEvSL_, .Lfunc_end1842-_ZN7rocprim17ROCPRIM_400000_NS6detail17trampoline_kernelINS0_14default_configENS1_38merge_sort_block_merge_config_selectorIsNS0_10empty_typeEEEZZNS1_27merge_sort_block_merge_implIS3_N6thrust23THRUST_200600_302600_NS6detail15normal_iteratorINS9_10device_ptrIsEEEEPS5_jNS1_19radix_merge_compareILb0ELb0EsNS0_19identity_decomposerEEEEE10hipError_tT0_T1_T2_jT3_P12ihipStream_tbPNSt15iterator_traitsISK_E10value_typeEPNSQ_ISL_E10value_typeEPSM_NS1_7vsmem_tEENKUlT_SK_SL_SM_E_clISE_PsSF_SF_EESJ_SZ_SK_SL_SM_EUlSZ_E_NS1_11comp_targetILNS1_3genE0ELNS1_11target_archE4294967295ELNS1_3gpuE0ELNS1_3repE0EEENS1_48merge_mergepath_partition_config_static_selectorELNS0_4arch9wavefront6targetE1EEEvSL_
                                        ; -- End function
	.section	.AMDGPU.csdata,"",@progbits
; Kernel info:
; codeLenInByte = 0
; NumSgprs: 4
; NumVgprs: 0
; NumAgprs: 0
; TotalNumVgprs: 0
; ScratchSize: 0
; MemoryBound: 0
; FloatMode: 240
; IeeeMode: 1
; LDSByteSize: 0 bytes/workgroup (compile time only)
; SGPRBlocks: 0
; VGPRBlocks: 0
; NumSGPRsForWavesPerEU: 4
; NumVGPRsForWavesPerEU: 1
; AccumOffset: 4
; Occupancy: 8
; WaveLimiterHint : 0
; COMPUTE_PGM_RSRC2:SCRATCH_EN: 0
; COMPUTE_PGM_RSRC2:USER_SGPR: 6
; COMPUTE_PGM_RSRC2:TRAP_HANDLER: 0
; COMPUTE_PGM_RSRC2:TGID_X_EN: 1
; COMPUTE_PGM_RSRC2:TGID_Y_EN: 0
; COMPUTE_PGM_RSRC2:TGID_Z_EN: 0
; COMPUTE_PGM_RSRC2:TIDIG_COMP_CNT: 0
; COMPUTE_PGM_RSRC3_GFX90A:ACCUM_OFFSET: 0
; COMPUTE_PGM_RSRC3_GFX90A:TG_SPLIT: 0
	.section	.text._ZN7rocprim17ROCPRIM_400000_NS6detail17trampoline_kernelINS0_14default_configENS1_38merge_sort_block_merge_config_selectorIsNS0_10empty_typeEEEZZNS1_27merge_sort_block_merge_implIS3_N6thrust23THRUST_200600_302600_NS6detail15normal_iteratorINS9_10device_ptrIsEEEEPS5_jNS1_19radix_merge_compareILb0ELb0EsNS0_19identity_decomposerEEEEE10hipError_tT0_T1_T2_jT3_P12ihipStream_tbPNSt15iterator_traitsISK_E10value_typeEPNSQ_ISL_E10value_typeEPSM_NS1_7vsmem_tEENKUlT_SK_SL_SM_E_clISE_PsSF_SF_EESJ_SZ_SK_SL_SM_EUlSZ_E_NS1_11comp_targetILNS1_3genE10ELNS1_11target_archE1201ELNS1_3gpuE5ELNS1_3repE0EEENS1_48merge_mergepath_partition_config_static_selectorELNS0_4arch9wavefront6targetE1EEEvSL_,"axG",@progbits,_ZN7rocprim17ROCPRIM_400000_NS6detail17trampoline_kernelINS0_14default_configENS1_38merge_sort_block_merge_config_selectorIsNS0_10empty_typeEEEZZNS1_27merge_sort_block_merge_implIS3_N6thrust23THRUST_200600_302600_NS6detail15normal_iteratorINS9_10device_ptrIsEEEEPS5_jNS1_19radix_merge_compareILb0ELb0EsNS0_19identity_decomposerEEEEE10hipError_tT0_T1_T2_jT3_P12ihipStream_tbPNSt15iterator_traitsISK_E10value_typeEPNSQ_ISL_E10value_typeEPSM_NS1_7vsmem_tEENKUlT_SK_SL_SM_E_clISE_PsSF_SF_EESJ_SZ_SK_SL_SM_EUlSZ_E_NS1_11comp_targetILNS1_3genE10ELNS1_11target_archE1201ELNS1_3gpuE5ELNS1_3repE0EEENS1_48merge_mergepath_partition_config_static_selectorELNS0_4arch9wavefront6targetE1EEEvSL_,comdat
	.protected	_ZN7rocprim17ROCPRIM_400000_NS6detail17trampoline_kernelINS0_14default_configENS1_38merge_sort_block_merge_config_selectorIsNS0_10empty_typeEEEZZNS1_27merge_sort_block_merge_implIS3_N6thrust23THRUST_200600_302600_NS6detail15normal_iteratorINS9_10device_ptrIsEEEEPS5_jNS1_19radix_merge_compareILb0ELb0EsNS0_19identity_decomposerEEEEE10hipError_tT0_T1_T2_jT3_P12ihipStream_tbPNSt15iterator_traitsISK_E10value_typeEPNSQ_ISL_E10value_typeEPSM_NS1_7vsmem_tEENKUlT_SK_SL_SM_E_clISE_PsSF_SF_EESJ_SZ_SK_SL_SM_EUlSZ_E_NS1_11comp_targetILNS1_3genE10ELNS1_11target_archE1201ELNS1_3gpuE5ELNS1_3repE0EEENS1_48merge_mergepath_partition_config_static_selectorELNS0_4arch9wavefront6targetE1EEEvSL_ ; -- Begin function _ZN7rocprim17ROCPRIM_400000_NS6detail17trampoline_kernelINS0_14default_configENS1_38merge_sort_block_merge_config_selectorIsNS0_10empty_typeEEEZZNS1_27merge_sort_block_merge_implIS3_N6thrust23THRUST_200600_302600_NS6detail15normal_iteratorINS9_10device_ptrIsEEEEPS5_jNS1_19radix_merge_compareILb0ELb0EsNS0_19identity_decomposerEEEEE10hipError_tT0_T1_T2_jT3_P12ihipStream_tbPNSt15iterator_traitsISK_E10value_typeEPNSQ_ISL_E10value_typeEPSM_NS1_7vsmem_tEENKUlT_SK_SL_SM_E_clISE_PsSF_SF_EESJ_SZ_SK_SL_SM_EUlSZ_E_NS1_11comp_targetILNS1_3genE10ELNS1_11target_archE1201ELNS1_3gpuE5ELNS1_3repE0EEENS1_48merge_mergepath_partition_config_static_selectorELNS0_4arch9wavefront6targetE1EEEvSL_
	.globl	_ZN7rocprim17ROCPRIM_400000_NS6detail17trampoline_kernelINS0_14default_configENS1_38merge_sort_block_merge_config_selectorIsNS0_10empty_typeEEEZZNS1_27merge_sort_block_merge_implIS3_N6thrust23THRUST_200600_302600_NS6detail15normal_iteratorINS9_10device_ptrIsEEEEPS5_jNS1_19radix_merge_compareILb0ELb0EsNS0_19identity_decomposerEEEEE10hipError_tT0_T1_T2_jT3_P12ihipStream_tbPNSt15iterator_traitsISK_E10value_typeEPNSQ_ISL_E10value_typeEPSM_NS1_7vsmem_tEENKUlT_SK_SL_SM_E_clISE_PsSF_SF_EESJ_SZ_SK_SL_SM_EUlSZ_E_NS1_11comp_targetILNS1_3genE10ELNS1_11target_archE1201ELNS1_3gpuE5ELNS1_3repE0EEENS1_48merge_mergepath_partition_config_static_selectorELNS0_4arch9wavefront6targetE1EEEvSL_
	.p2align	8
	.type	_ZN7rocprim17ROCPRIM_400000_NS6detail17trampoline_kernelINS0_14default_configENS1_38merge_sort_block_merge_config_selectorIsNS0_10empty_typeEEEZZNS1_27merge_sort_block_merge_implIS3_N6thrust23THRUST_200600_302600_NS6detail15normal_iteratorINS9_10device_ptrIsEEEEPS5_jNS1_19radix_merge_compareILb0ELb0EsNS0_19identity_decomposerEEEEE10hipError_tT0_T1_T2_jT3_P12ihipStream_tbPNSt15iterator_traitsISK_E10value_typeEPNSQ_ISL_E10value_typeEPSM_NS1_7vsmem_tEENKUlT_SK_SL_SM_E_clISE_PsSF_SF_EESJ_SZ_SK_SL_SM_EUlSZ_E_NS1_11comp_targetILNS1_3genE10ELNS1_11target_archE1201ELNS1_3gpuE5ELNS1_3repE0EEENS1_48merge_mergepath_partition_config_static_selectorELNS0_4arch9wavefront6targetE1EEEvSL_,@function
_ZN7rocprim17ROCPRIM_400000_NS6detail17trampoline_kernelINS0_14default_configENS1_38merge_sort_block_merge_config_selectorIsNS0_10empty_typeEEEZZNS1_27merge_sort_block_merge_implIS3_N6thrust23THRUST_200600_302600_NS6detail15normal_iteratorINS9_10device_ptrIsEEEEPS5_jNS1_19radix_merge_compareILb0ELb0EsNS0_19identity_decomposerEEEEE10hipError_tT0_T1_T2_jT3_P12ihipStream_tbPNSt15iterator_traitsISK_E10value_typeEPNSQ_ISL_E10value_typeEPSM_NS1_7vsmem_tEENKUlT_SK_SL_SM_E_clISE_PsSF_SF_EESJ_SZ_SK_SL_SM_EUlSZ_E_NS1_11comp_targetILNS1_3genE10ELNS1_11target_archE1201ELNS1_3gpuE5ELNS1_3repE0EEENS1_48merge_mergepath_partition_config_static_selectorELNS0_4arch9wavefront6targetE1EEEvSL_: ; @_ZN7rocprim17ROCPRIM_400000_NS6detail17trampoline_kernelINS0_14default_configENS1_38merge_sort_block_merge_config_selectorIsNS0_10empty_typeEEEZZNS1_27merge_sort_block_merge_implIS3_N6thrust23THRUST_200600_302600_NS6detail15normal_iteratorINS9_10device_ptrIsEEEEPS5_jNS1_19radix_merge_compareILb0ELb0EsNS0_19identity_decomposerEEEEE10hipError_tT0_T1_T2_jT3_P12ihipStream_tbPNSt15iterator_traitsISK_E10value_typeEPNSQ_ISL_E10value_typeEPSM_NS1_7vsmem_tEENKUlT_SK_SL_SM_E_clISE_PsSF_SF_EESJ_SZ_SK_SL_SM_EUlSZ_E_NS1_11comp_targetILNS1_3genE10ELNS1_11target_archE1201ELNS1_3gpuE5ELNS1_3repE0EEENS1_48merge_mergepath_partition_config_static_selectorELNS0_4arch9wavefront6targetE1EEEvSL_
; %bb.0:
	.section	.rodata,"a",@progbits
	.p2align	6, 0x0
	.amdhsa_kernel _ZN7rocprim17ROCPRIM_400000_NS6detail17trampoline_kernelINS0_14default_configENS1_38merge_sort_block_merge_config_selectorIsNS0_10empty_typeEEEZZNS1_27merge_sort_block_merge_implIS3_N6thrust23THRUST_200600_302600_NS6detail15normal_iteratorINS9_10device_ptrIsEEEEPS5_jNS1_19radix_merge_compareILb0ELb0EsNS0_19identity_decomposerEEEEE10hipError_tT0_T1_T2_jT3_P12ihipStream_tbPNSt15iterator_traitsISK_E10value_typeEPNSQ_ISL_E10value_typeEPSM_NS1_7vsmem_tEENKUlT_SK_SL_SM_E_clISE_PsSF_SF_EESJ_SZ_SK_SL_SM_EUlSZ_E_NS1_11comp_targetILNS1_3genE10ELNS1_11target_archE1201ELNS1_3gpuE5ELNS1_3repE0EEENS1_48merge_mergepath_partition_config_static_selectorELNS0_4arch9wavefront6targetE1EEEvSL_
		.amdhsa_group_segment_fixed_size 0
		.amdhsa_private_segment_fixed_size 0
		.amdhsa_kernarg_size 40
		.amdhsa_user_sgpr_count 6
		.amdhsa_user_sgpr_private_segment_buffer 1
		.amdhsa_user_sgpr_dispatch_ptr 0
		.amdhsa_user_sgpr_queue_ptr 0
		.amdhsa_user_sgpr_kernarg_segment_ptr 1
		.amdhsa_user_sgpr_dispatch_id 0
		.amdhsa_user_sgpr_flat_scratch_init 0
		.amdhsa_user_sgpr_kernarg_preload_length 0
		.amdhsa_user_sgpr_kernarg_preload_offset 0
		.amdhsa_user_sgpr_private_segment_size 0
		.amdhsa_uses_dynamic_stack 0
		.amdhsa_system_sgpr_private_segment_wavefront_offset 0
		.amdhsa_system_sgpr_workgroup_id_x 1
		.amdhsa_system_sgpr_workgroup_id_y 0
		.amdhsa_system_sgpr_workgroup_id_z 0
		.amdhsa_system_sgpr_workgroup_info 0
		.amdhsa_system_vgpr_workitem_id 0
		.amdhsa_next_free_vgpr 1
		.amdhsa_next_free_sgpr 0
		.amdhsa_accum_offset 4
		.amdhsa_reserve_vcc 0
		.amdhsa_reserve_flat_scratch 0
		.amdhsa_float_round_mode_32 0
		.amdhsa_float_round_mode_16_64 0
		.amdhsa_float_denorm_mode_32 3
		.amdhsa_float_denorm_mode_16_64 3
		.amdhsa_dx10_clamp 1
		.amdhsa_ieee_mode 1
		.amdhsa_fp16_overflow 0
		.amdhsa_tg_split 0
		.amdhsa_exception_fp_ieee_invalid_op 0
		.amdhsa_exception_fp_denorm_src 0
		.amdhsa_exception_fp_ieee_div_zero 0
		.amdhsa_exception_fp_ieee_overflow 0
		.amdhsa_exception_fp_ieee_underflow 0
		.amdhsa_exception_fp_ieee_inexact 0
		.amdhsa_exception_int_div_zero 0
	.end_amdhsa_kernel
	.section	.text._ZN7rocprim17ROCPRIM_400000_NS6detail17trampoline_kernelINS0_14default_configENS1_38merge_sort_block_merge_config_selectorIsNS0_10empty_typeEEEZZNS1_27merge_sort_block_merge_implIS3_N6thrust23THRUST_200600_302600_NS6detail15normal_iteratorINS9_10device_ptrIsEEEEPS5_jNS1_19radix_merge_compareILb0ELb0EsNS0_19identity_decomposerEEEEE10hipError_tT0_T1_T2_jT3_P12ihipStream_tbPNSt15iterator_traitsISK_E10value_typeEPNSQ_ISL_E10value_typeEPSM_NS1_7vsmem_tEENKUlT_SK_SL_SM_E_clISE_PsSF_SF_EESJ_SZ_SK_SL_SM_EUlSZ_E_NS1_11comp_targetILNS1_3genE10ELNS1_11target_archE1201ELNS1_3gpuE5ELNS1_3repE0EEENS1_48merge_mergepath_partition_config_static_selectorELNS0_4arch9wavefront6targetE1EEEvSL_,"axG",@progbits,_ZN7rocprim17ROCPRIM_400000_NS6detail17trampoline_kernelINS0_14default_configENS1_38merge_sort_block_merge_config_selectorIsNS0_10empty_typeEEEZZNS1_27merge_sort_block_merge_implIS3_N6thrust23THRUST_200600_302600_NS6detail15normal_iteratorINS9_10device_ptrIsEEEEPS5_jNS1_19radix_merge_compareILb0ELb0EsNS0_19identity_decomposerEEEEE10hipError_tT0_T1_T2_jT3_P12ihipStream_tbPNSt15iterator_traitsISK_E10value_typeEPNSQ_ISL_E10value_typeEPSM_NS1_7vsmem_tEENKUlT_SK_SL_SM_E_clISE_PsSF_SF_EESJ_SZ_SK_SL_SM_EUlSZ_E_NS1_11comp_targetILNS1_3genE10ELNS1_11target_archE1201ELNS1_3gpuE5ELNS1_3repE0EEENS1_48merge_mergepath_partition_config_static_selectorELNS0_4arch9wavefront6targetE1EEEvSL_,comdat
.Lfunc_end1843:
	.size	_ZN7rocprim17ROCPRIM_400000_NS6detail17trampoline_kernelINS0_14default_configENS1_38merge_sort_block_merge_config_selectorIsNS0_10empty_typeEEEZZNS1_27merge_sort_block_merge_implIS3_N6thrust23THRUST_200600_302600_NS6detail15normal_iteratorINS9_10device_ptrIsEEEEPS5_jNS1_19radix_merge_compareILb0ELb0EsNS0_19identity_decomposerEEEEE10hipError_tT0_T1_T2_jT3_P12ihipStream_tbPNSt15iterator_traitsISK_E10value_typeEPNSQ_ISL_E10value_typeEPSM_NS1_7vsmem_tEENKUlT_SK_SL_SM_E_clISE_PsSF_SF_EESJ_SZ_SK_SL_SM_EUlSZ_E_NS1_11comp_targetILNS1_3genE10ELNS1_11target_archE1201ELNS1_3gpuE5ELNS1_3repE0EEENS1_48merge_mergepath_partition_config_static_selectorELNS0_4arch9wavefront6targetE1EEEvSL_, .Lfunc_end1843-_ZN7rocprim17ROCPRIM_400000_NS6detail17trampoline_kernelINS0_14default_configENS1_38merge_sort_block_merge_config_selectorIsNS0_10empty_typeEEEZZNS1_27merge_sort_block_merge_implIS3_N6thrust23THRUST_200600_302600_NS6detail15normal_iteratorINS9_10device_ptrIsEEEEPS5_jNS1_19radix_merge_compareILb0ELb0EsNS0_19identity_decomposerEEEEE10hipError_tT0_T1_T2_jT3_P12ihipStream_tbPNSt15iterator_traitsISK_E10value_typeEPNSQ_ISL_E10value_typeEPSM_NS1_7vsmem_tEENKUlT_SK_SL_SM_E_clISE_PsSF_SF_EESJ_SZ_SK_SL_SM_EUlSZ_E_NS1_11comp_targetILNS1_3genE10ELNS1_11target_archE1201ELNS1_3gpuE5ELNS1_3repE0EEENS1_48merge_mergepath_partition_config_static_selectorELNS0_4arch9wavefront6targetE1EEEvSL_
                                        ; -- End function
	.section	.AMDGPU.csdata,"",@progbits
; Kernel info:
; codeLenInByte = 0
; NumSgprs: 4
; NumVgprs: 0
; NumAgprs: 0
; TotalNumVgprs: 0
; ScratchSize: 0
; MemoryBound: 0
; FloatMode: 240
; IeeeMode: 1
; LDSByteSize: 0 bytes/workgroup (compile time only)
; SGPRBlocks: 0
; VGPRBlocks: 0
; NumSGPRsForWavesPerEU: 4
; NumVGPRsForWavesPerEU: 1
; AccumOffset: 4
; Occupancy: 8
; WaveLimiterHint : 0
; COMPUTE_PGM_RSRC2:SCRATCH_EN: 0
; COMPUTE_PGM_RSRC2:USER_SGPR: 6
; COMPUTE_PGM_RSRC2:TRAP_HANDLER: 0
; COMPUTE_PGM_RSRC2:TGID_X_EN: 1
; COMPUTE_PGM_RSRC2:TGID_Y_EN: 0
; COMPUTE_PGM_RSRC2:TGID_Z_EN: 0
; COMPUTE_PGM_RSRC2:TIDIG_COMP_CNT: 0
; COMPUTE_PGM_RSRC3_GFX90A:ACCUM_OFFSET: 0
; COMPUTE_PGM_RSRC3_GFX90A:TG_SPLIT: 0
	.section	.text._ZN7rocprim17ROCPRIM_400000_NS6detail17trampoline_kernelINS0_14default_configENS1_38merge_sort_block_merge_config_selectorIsNS0_10empty_typeEEEZZNS1_27merge_sort_block_merge_implIS3_N6thrust23THRUST_200600_302600_NS6detail15normal_iteratorINS9_10device_ptrIsEEEEPS5_jNS1_19radix_merge_compareILb0ELb0EsNS0_19identity_decomposerEEEEE10hipError_tT0_T1_T2_jT3_P12ihipStream_tbPNSt15iterator_traitsISK_E10value_typeEPNSQ_ISL_E10value_typeEPSM_NS1_7vsmem_tEENKUlT_SK_SL_SM_E_clISE_PsSF_SF_EESJ_SZ_SK_SL_SM_EUlSZ_E_NS1_11comp_targetILNS1_3genE5ELNS1_11target_archE942ELNS1_3gpuE9ELNS1_3repE0EEENS1_48merge_mergepath_partition_config_static_selectorELNS0_4arch9wavefront6targetE1EEEvSL_,"axG",@progbits,_ZN7rocprim17ROCPRIM_400000_NS6detail17trampoline_kernelINS0_14default_configENS1_38merge_sort_block_merge_config_selectorIsNS0_10empty_typeEEEZZNS1_27merge_sort_block_merge_implIS3_N6thrust23THRUST_200600_302600_NS6detail15normal_iteratorINS9_10device_ptrIsEEEEPS5_jNS1_19radix_merge_compareILb0ELb0EsNS0_19identity_decomposerEEEEE10hipError_tT0_T1_T2_jT3_P12ihipStream_tbPNSt15iterator_traitsISK_E10value_typeEPNSQ_ISL_E10value_typeEPSM_NS1_7vsmem_tEENKUlT_SK_SL_SM_E_clISE_PsSF_SF_EESJ_SZ_SK_SL_SM_EUlSZ_E_NS1_11comp_targetILNS1_3genE5ELNS1_11target_archE942ELNS1_3gpuE9ELNS1_3repE0EEENS1_48merge_mergepath_partition_config_static_selectorELNS0_4arch9wavefront6targetE1EEEvSL_,comdat
	.protected	_ZN7rocprim17ROCPRIM_400000_NS6detail17trampoline_kernelINS0_14default_configENS1_38merge_sort_block_merge_config_selectorIsNS0_10empty_typeEEEZZNS1_27merge_sort_block_merge_implIS3_N6thrust23THRUST_200600_302600_NS6detail15normal_iteratorINS9_10device_ptrIsEEEEPS5_jNS1_19radix_merge_compareILb0ELb0EsNS0_19identity_decomposerEEEEE10hipError_tT0_T1_T2_jT3_P12ihipStream_tbPNSt15iterator_traitsISK_E10value_typeEPNSQ_ISL_E10value_typeEPSM_NS1_7vsmem_tEENKUlT_SK_SL_SM_E_clISE_PsSF_SF_EESJ_SZ_SK_SL_SM_EUlSZ_E_NS1_11comp_targetILNS1_3genE5ELNS1_11target_archE942ELNS1_3gpuE9ELNS1_3repE0EEENS1_48merge_mergepath_partition_config_static_selectorELNS0_4arch9wavefront6targetE1EEEvSL_ ; -- Begin function _ZN7rocprim17ROCPRIM_400000_NS6detail17trampoline_kernelINS0_14default_configENS1_38merge_sort_block_merge_config_selectorIsNS0_10empty_typeEEEZZNS1_27merge_sort_block_merge_implIS3_N6thrust23THRUST_200600_302600_NS6detail15normal_iteratorINS9_10device_ptrIsEEEEPS5_jNS1_19radix_merge_compareILb0ELb0EsNS0_19identity_decomposerEEEEE10hipError_tT0_T1_T2_jT3_P12ihipStream_tbPNSt15iterator_traitsISK_E10value_typeEPNSQ_ISL_E10value_typeEPSM_NS1_7vsmem_tEENKUlT_SK_SL_SM_E_clISE_PsSF_SF_EESJ_SZ_SK_SL_SM_EUlSZ_E_NS1_11comp_targetILNS1_3genE5ELNS1_11target_archE942ELNS1_3gpuE9ELNS1_3repE0EEENS1_48merge_mergepath_partition_config_static_selectorELNS0_4arch9wavefront6targetE1EEEvSL_
	.globl	_ZN7rocprim17ROCPRIM_400000_NS6detail17trampoline_kernelINS0_14default_configENS1_38merge_sort_block_merge_config_selectorIsNS0_10empty_typeEEEZZNS1_27merge_sort_block_merge_implIS3_N6thrust23THRUST_200600_302600_NS6detail15normal_iteratorINS9_10device_ptrIsEEEEPS5_jNS1_19radix_merge_compareILb0ELb0EsNS0_19identity_decomposerEEEEE10hipError_tT0_T1_T2_jT3_P12ihipStream_tbPNSt15iterator_traitsISK_E10value_typeEPNSQ_ISL_E10value_typeEPSM_NS1_7vsmem_tEENKUlT_SK_SL_SM_E_clISE_PsSF_SF_EESJ_SZ_SK_SL_SM_EUlSZ_E_NS1_11comp_targetILNS1_3genE5ELNS1_11target_archE942ELNS1_3gpuE9ELNS1_3repE0EEENS1_48merge_mergepath_partition_config_static_selectorELNS0_4arch9wavefront6targetE1EEEvSL_
	.p2align	8
	.type	_ZN7rocprim17ROCPRIM_400000_NS6detail17trampoline_kernelINS0_14default_configENS1_38merge_sort_block_merge_config_selectorIsNS0_10empty_typeEEEZZNS1_27merge_sort_block_merge_implIS3_N6thrust23THRUST_200600_302600_NS6detail15normal_iteratorINS9_10device_ptrIsEEEEPS5_jNS1_19radix_merge_compareILb0ELb0EsNS0_19identity_decomposerEEEEE10hipError_tT0_T1_T2_jT3_P12ihipStream_tbPNSt15iterator_traitsISK_E10value_typeEPNSQ_ISL_E10value_typeEPSM_NS1_7vsmem_tEENKUlT_SK_SL_SM_E_clISE_PsSF_SF_EESJ_SZ_SK_SL_SM_EUlSZ_E_NS1_11comp_targetILNS1_3genE5ELNS1_11target_archE942ELNS1_3gpuE9ELNS1_3repE0EEENS1_48merge_mergepath_partition_config_static_selectorELNS0_4arch9wavefront6targetE1EEEvSL_,@function
_ZN7rocprim17ROCPRIM_400000_NS6detail17trampoline_kernelINS0_14default_configENS1_38merge_sort_block_merge_config_selectorIsNS0_10empty_typeEEEZZNS1_27merge_sort_block_merge_implIS3_N6thrust23THRUST_200600_302600_NS6detail15normal_iteratorINS9_10device_ptrIsEEEEPS5_jNS1_19radix_merge_compareILb0ELb0EsNS0_19identity_decomposerEEEEE10hipError_tT0_T1_T2_jT3_P12ihipStream_tbPNSt15iterator_traitsISK_E10value_typeEPNSQ_ISL_E10value_typeEPSM_NS1_7vsmem_tEENKUlT_SK_SL_SM_E_clISE_PsSF_SF_EESJ_SZ_SK_SL_SM_EUlSZ_E_NS1_11comp_targetILNS1_3genE5ELNS1_11target_archE942ELNS1_3gpuE9ELNS1_3repE0EEENS1_48merge_mergepath_partition_config_static_selectorELNS0_4arch9wavefront6targetE1EEEvSL_: ; @_ZN7rocprim17ROCPRIM_400000_NS6detail17trampoline_kernelINS0_14default_configENS1_38merge_sort_block_merge_config_selectorIsNS0_10empty_typeEEEZZNS1_27merge_sort_block_merge_implIS3_N6thrust23THRUST_200600_302600_NS6detail15normal_iteratorINS9_10device_ptrIsEEEEPS5_jNS1_19radix_merge_compareILb0ELb0EsNS0_19identity_decomposerEEEEE10hipError_tT0_T1_T2_jT3_P12ihipStream_tbPNSt15iterator_traitsISK_E10value_typeEPNSQ_ISL_E10value_typeEPSM_NS1_7vsmem_tEENKUlT_SK_SL_SM_E_clISE_PsSF_SF_EESJ_SZ_SK_SL_SM_EUlSZ_E_NS1_11comp_targetILNS1_3genE5ELNS1_11target_archE942ELNS1_3gpuE9ELNS1_3repE0EEENS1_48merge_mergepath_partition_config_static_selectorELNS0_4arch9wavefront6targetE1EEEvSL_
; %bb.0:
	.section	.rodata,"a",@progbits
	.p2align	6, 0x0
	.amdhsa_kernel _ZN7rocprim17ROCPRIM_400000_NS6detail17trampoline_kernelINS0_14default_configENS1_38merge_sort_block_merge_config_selectorIsNS0_10empty_typeEEEZZNS1_27merge_sort_block_merge_implIS3_N6thrust23THRUST_200600_302600_NS6detail15normal_iteratorINS9_10device_ptrIsEEEEPS5_jNS1_19radix_merge_compareILb0ELb0EsNS0_19identity_decomposerEEEEE10hipError_tT0_T1_T2_jT3_P12ihipStream_tbPNSt15iterator_traitsISK_E10value_typeEPNSQ_ISL_E10value_typeEPSM_NS1_7vsmem_tEENKUlT_SK_SL_SM_E_clISE_PsSF_SF_EESJ_SZ_SK_SL_SM_EUlSZ_E_NS1_11comp_targetILNS1_3genE5ELNS1_11target_archE942ELNS1_3gpuE9ELNS1_3repE0EEENS1_48merge_mergepath_partition_config_static_selectorELNS0_4arch9wavefront6targetE1EEEvSL_
		.amdhsa_group_segment_fixed_size 0
		.amdhsa_private_segment_fixed_size 0
		.amdhsa_kernarg_size 40
		.amdhsa_user_sgpr_count 6
		.amdhsa_user_sgpr_private_segment_buffer 1
		.amdhsa_user_sgpr_dispatch_ptr 0
		.amdhsa_user_sgpr_queue_ptr 0
		.amdhsa_user_sgpr_kernarg_segment_ptr 1
		.amdhsa_user_sgpr_dispatch_id 0
		.amdhsa_user_sgpr_flat_scratch_init 0
		.amdhsa_user_sgpr_kernarg_preload_length 0
		.amdhsa_user_sgpr_kernarg_preload_offset 0
		.amdhsa_user_sgpr_private_segment_size 0
		.amdhsa_uses_dynamic_stack 0
		.amdhsa_system_sgpr_private_segment_wavefront_offset 0
		.amdhsa_system_sgpr_workgroup_id_x 1
		.amdhsa_system_sgpr_workgroup_id_y 0
		.amdhsa_system_sgpr_workgroup_id_z 0
		.amdhsa_system_sgpr_workgroup_info 0
		.amdhsa_system_vgpr_workitem_id 0
		.amdhsa_next_free_vgpr 1
		.amdhsa_next_free_sgpr 0
		.amdhsa_accum_offset 4
		.amdhsa_reserve_vcc 0
		.amdhsa_reserve_flat_scratch 0
		.amdhsa_float_round_mode_32 0
		.amdhsa_float_round_mode_16_64 0
		.amdhsa_float_denorm_mode_32 3
		.amdhsa_float_denorm_mode_16_64 3
		.amdhsa_dx10_clamp 1
		.amdhsa_ieee_mode 1
		.amdhsa_fp16_overflow 0
		.amdhsa_tg_split 0
		.amdhsa_exception_fp_ieee_invalid_op 0
		.amdhsa_exception_fp_denorm_src 0
		.amdhsa_exception_fp_ieee_div_zero 0
		.amdhsa_exception_fp_ieee_overflow 0
		.amdhsa_exception_fp_ieee_underflow 0
		.amdhsa_exception_fp_ieee_inexact 0
		.amdhsa_exception_int_div_zero 0
	.end_amdhsa_kernel
	.section	.text._ZN7rocprim17ROCPRIM_400000_NS6detail17trampoline_kernelINS0_14default_configENS1_38merge_sort_block_merge_config_selectorIsNS0_10empty_typeEEEZZNS1_27merge_sort_block_merge_implIS3_N6thrust23THRUST_200600_302600_NS6detail15normal_iteratorINS9_10device_ptrIsEEEEPS5_jNS1_19radix_merge_compareILb0ELb0EsNS0_19identity_decomposerEEEEE10hipError_tT0_T1_T2_jT3_P12ihipStream_tbPNSt15iterator_traitsISK_E10value_typeEPNSQ_ISL_E10value_typeEPSM_NS1_7vsmem_tEENKUlT_SK_SL_SM_E_clISE_PsSF_SF_EESJ_SZ_SK_SL_SM_EUlSZ_E_NS1_11comp_targetILNS1_3genE5ELNS1_11target_archE942ELNS1_3gpuE9ELNS1_3repE0EEENS1_48merge_mergepath_partition_config_static_selectorELNS0_4arch9wavefront6targetE1EEEvSL_,"axG",@progbits,_ZN7rocprim17ROCPRIM_400000_NS6detail17trampoline_kernelINS0_14default_configENS1_38merge_sort_block_merge_config_selectorIsNS0_10empty_typeEEEZZNS1_27merge_sort_block_merge_implIS3_N6thrust23THRUST_200600_302600_NS6detail15normal_iteratorINS9_10device_ptrIsEEEEPS5_jNS1_19radix_merge_compareILb0ELb0EsNS0_19identity_decomposerEEEEE10hipError_tT0_T1_T2_jT3_P12ihipStream_tbPNSt15iterator_traitsISK_E10value_typeEPNSQ_ISL_E10value_typeEPSM_NS1_7vsmem_tEENKUlT_SK_SL_SM_E_clISE_PsSF_SF_EESJ_SZ_SK_SL_SM_EUlSZ_E_NS1_11comp_targetILNS1_3genE5ELNS1_11target_archE942ELNS1_3gpuE9ELNS1_3repE0EEENS1_48merge_mergepath_partition_config_static_selectorELNS0_4arch9wavefront6targetE1EEEvSL_,comdat
.Lfunc_end1844:
	.size	_ZN7rocprim17ROCPRIM_400000_NS6detail17trampoline_kernelINS0_14default_configENS1_38merge_sort_block_merge_config_selectorIsNS0_10empty_typeEEEZZNS1_27merge_sort_block_merge_implIS3_N6thrust23THRUST_200600_302600_NS6detail15normal_iteratorINS9_10device_ptrIsEEEEPS5_jNS1_19radix_merge_compareILb0ELb0EsNS0_19identity_decomposerEEEEE10hipError_tT0_T1_T2_jT3_P12ihipStream_tbPNSt15iterator_traitsISK_E10value_typeEPNSQ_ISL_E10value_typeEPSM_NS1_7vsmem_tEENKUlT_SK_SL_SM_E_clISE_PsSF_SF_EESJ_SZ_SK_SL_SM_EUlSZ_E_NS1_11comp_targetILNS1_3genE5ELNS1_11target_archE942ELNS1_3gpuE9ELNS1_3repE0EEENS1_48merge_mergepath_partition_config_static_selectorELNS0_4arch9wavefront6targetE1EEEvSL_, .Lfunc_end1844-_ZN7rocprim17ROCPRIM_400000_NS6detail17trampoline_kernelINS0_14default_configENS1_38merge_sort_block_merge_config_selectorIsNS0_10empty_typeEEEZZNS1_27merge_sort_block_merge_implIS3_N6thrust23THRUST_200600_302600_NS6detail15normal_iteratorINS9_10device_ptrIsEEEEPS5_jNS1_19radix_merge_compareILb0ELb0EsNS0_19identity_decomposerEEEEE10hipError_tT0_T1_T2_jT3_P12ihipStream_tbPNSt15iterator_traitsISK_E10value_typeEPNSQ_ISL_E10value_typeEPSM_NS1_7vsmem_tEENKUlT_SK_SL_SM_E_clISE_PsSF_SF_EESJ_SZ_SK_SL_SM_EUlSZ_E_NS1_11comp_targetILNS1_3genE5ELNS1_11target_archE942ELNS1_3gpuE9ELNS1_3repE0EEENS1_48merge_mergepath_partition_config_static_selectorELNS0_4arch9wavefront6targetE1EEEvSL_
                                        ; -- End function
	.section	.AMDGPU.csdata,"",@progbits
; Kernel info:
; codeLenInByte = 0
; NumSgprs: 4
; NumVgprs: 0
; NumAgprs: 0
; TotalNumVgprs: 0
; ScratchSize: 0
; MemoryBound: 0
; FloatMode: 240
; IeeeMode: 1
; LDSByteSize: 0 bytes/workgroup (compile time only)
; SGPRBlocks: 0
; VGPRBlocks: 0
; NumSGPRsForWavesPerEU: 4
; NumVGPRsForWavesPerEU: 1
; AccumOffset: 4
; Occupancy: 8
; WaveLimiterHint : 0
; COMPUTE_PGM_RSRC2:SCRATCH_EN: 0
; COMPUTE_PGM_RSRC2:USER_SGPR: 6
; COMPUTE_PGM_RSRC2:TRAP_HANDLER: 0
; COMPUTE_PGM_RSRC2:TGID_X_EN: 1
; COMPUTE_PGM_RSRC2:TGID_Y_EN: 0
; COMPUTE_PGM_RSRC2:TGID_Z_EN: 0
; COMPUTE_PGM_RSRC2:TIDIG_COMP_CNT: 0
; COMPUTE_PGM_RSRC3_GFX90A:ACCUM_OFFSET: 0
; COMPUTE_PGM_RSRC3_GFX90A:TG_SPLIT: 0
	.section	.text._ZN7rocprim17ROCPRIM_400000_NS6detail17trampoline_kernelINS0_14default_configENS1_38merge_sort_block_merge_config_selectorIsNS0_10empty_typeEEEZZNS1_27merge_sort_block_merge_implIS3_N6thrust23THRUST_200600_302600_NS6detail15normal_iteratorINS9_10device_ptrIsEEEEPS5_jNS1_19radix_merge_compareILb0ELb0EsNS0_19identity_decomposerEEEEE10hipError_tT0_T1_T2_jT3_P12ihipStream_tbPNSt15iterator_traitsISK_E10value_typeEPNSQ_ISL_E10value_typeEPSM_NS1_7vsmem_tEENKUlT_SK_SL_SM_E_clISE_PsSF_SF_EESJ_SZ_SK_SL_SM_EUlSZ_E_NS1_11comp_targetILNS1_3genE4ELNS1_11target_archE910ELNS1_3gpuE8ELNS1_3repE0EEENS1_48merge_mergepath_partition_config_static_selectorELNS0_4arch9wavefront6targetE1EEEvSL_,"axG",@progbits,_ZN7rocprim17ROCPRIM_400000_NS6detail17trampoline_kernelINS0_14default_configENS1_38merge_sort_block_merge_config_selectorIsNS0_10empty_typeEEEZZNS1_27merge_sort_block_merge_implIS3_N6thrust23THRUST_200600_302600_NS6detail15normal_iteratorINS9_10device_ptrIsEEEEPS5_jNS1_19radix_merge_compareILb0ELb0EsNS0_19identity_decomposerEEEEE10hipError_tT0_T1_T2_jT3_P12ihipStream_tbPNSt15iterator_traitsISK_E10value_typeEPNSQ_ISL_E10value_typeEPSM_NS1_7vsmem_tEENKUlT_SK_SL_SM_E_clISE_PsSF_SF_EESJ_SZ_SK_SL_SM_EUlSZ_E_NS1_11comp_targetILNS1_3genE4ELNS1_11target_archE910ELNS1_3gpuE8ELNS1_3repE0EEENS1_48merge_mergepath_partition_config_static_selectorELNS0_4arch9wavefront6targetE1EEEvSL_,comdat
	.protected	_ZN7rocprim17ROCPRIM_400000_NS6detail17trampoline_kernelINS0_14default_configENS1_38merge_sort_block_merge_config_selectorIsNS0_10empty_typeEEEZZNS1_27merge_sort_block_merge_implIS3_N6thrust23THRUST_200600_302600_NS6detail15normal_iteratorINS9_10device_ptrIsEEEEPS5_jNS1_19radix_merge_compareILb0ELb0EsNS0_19identity_decomposerEEEEE10hipError_tT0_T1_T2_jT3_P12ihipStream_tbPNSt15iterator_traitsISK_E10value_typeEPNSQ_ISL_E10value_typeEPSM_NS1_7vsmem_tEENKUlT_SK_SL_SM_E_clISE_PsSF_SF_EESJ_SZ_SK_SL_SM_EUlSZ_E_NS1_11comp_targetILNS1_3genE4ELNS1_11target_archE910ELNS1_3gpuE8ELNS1_3repE0EEENS1_48merge_mergepath_partition_config_static_selectorELNS0_4arch9wavefront6targetE1EEEvSL_ ; -- Begin function _ZN7rocprim17ROCPRIM_400000_NS6detail17trampoline_kernelINS0_14default_configENS1_38merge_sort_block_merge_config_selectorIsNS0_10empty_typeEEEZZNS1_27merge_sort_block_merge_implIS3_N6thrust23THRUST_200600_302600_NS6detail15normal_iteratorINS9_10device_ptrIsEEEEPS5_jNS1_19radix_merge_compareILb0ELb0EsNS0_19identity_decomposerEEEEE10hipError_tT0_T1_T2_jT3_P12ihipStream_tbPNSt15iterator_traitsISK_E10value_typeEPNSQ_ISL_E10value_typeEPSM_NS1_7vsmem_tEENKUlT_SK_SL_SM_E_clISE_PsSF_SF_EESJ_SZ_SK_SL_SM_EUlSZ_E_NS1_11comp_targetILNS1_3genE4ELNS1_11target_archE910ELNS1_3gpuE8ELNS1_3repE0EEENS1_48merge_mergepath_partition_config_static_selectorELNS0_4arch9wavefront6targetE1EEEvSL_
	.globl	_ZN7rocprim17ROCPRIM_400000_NS6detail17trampoline_kernelINS0_14default_configENS1_38merge_sort_block_merge_config_selectorIsNS0_10empty_typeEEEZZNS1_27merge_sort_block_merge_implIS3_N6thrust23THRUST_200600_302600_NS6detail15normal_iteratorINS9_10device_ptrIsEEEEPS5_jNS1_19radix_merge_compareILb0ELb0EsNS0_19identity_decomposerEEEEE10hipError_tT0_T1_T2_jT3_P12ihipStream_tbPNSt15iterator_traitsISK_E10value_typeEPNSQ_ISL_E10value_typeEPSM_NS1_7vsmem_tEENKUlT_SK_SL_SM_E_clISE_PsSF_SF_EESJ_SZ_SK_SL_SM_EUlSZ_E_NS1_11comp_targetILNS1_3genE4ELNS1_11target_archE910ELNS1_3gpuE8ELNS1_3repE0EEENS1_48merge_mergepath_partition_config_static_selectorELNS0_4arch9wavefront6targetE1EEEvSL_
	.p2align	8
	.type	_ZN7rocprim17ROCPRIM_400000_NS6detail17trampoline_kernelINS0_14default_configENS1_38merge_sort_block_merge_config_selectorIsNS0_10empty_typeEEEZZNS1_27merge_sort_block_merge_implIS3_N6thrust23THRUST_200600_302600_NS6detail15normal_iteratorINS9_10device_ptrIsEEEEPS5_jNS1_19radix_merge_compareILb0ELb0EsNS0_19identity_decomposerEEEEE10hipError_tT0_T1_T2_jT3_P12ihipStream_tbPNSt15iterator_traitsISK_E10value_typeEPNSQ_ISL_E10value_typeEPSM_NS1_7vsmem_tEENKUlT_SK_SL_SM_E_clISE_PsSF_SF_EESJ_SZ_SK_SL_SM_EUlSZ_E_NS1_11comp_targetILNS1_3genE4ELNS1_11target_archE910ELNS1_3gpuE8ELNS1_3repE0EEENS1_48merge_mergepath_partition_config_static_selectorELNS0_4arch9wavefront6targetE1EEEvSL_,@function
_ZN7rocprim17ROCPRIM_400000_NS6detail17trampoline_kernelINS0_14default_configENS1_38merge_sort_block_merge_config_selectorIsNS0_10empty_typeEEEZZNS1_27merge_sort_block_merge_implIS3_N6thrust23THRUST_200600_302600_NS6detail15normal_iteratorINS9_10device_ptrIsEEEEPS5_jNS1_19radix_merge_compareILb0ELb0EsNS0_19identity_decomposerEEEEE10hipError_tT0_T1_T2_jT3_P12ihipStream_tbPNSt15iterator_traitsISK_E10value_typeEPNSQ_ISL_E10value_typeEPSM_NS1_7vsmem_tEENKUlT_SK_SL_SM_E_clISE_PsSF_SF_EESJ_SZ_SK_SL_SM_EUlSZ_E_NS1_11comp_targetILNS1_3genE4ELNS1_11target_archE910ELNS1_3gpuE8ELNS1_3repE0EEENS1_48merge_mergepath_partition_config_static_selectorELNS0_4arch9wavefront6targetE1EEEvSL_: ; @_ZN7rocprim17ROCPRIM_400000_NS6detail17trampoline_kernelINS0_14default_configENS1_38merge_sort_block_merge_config_selectorIsNS0_10empty_typeEEEZZNS1_27merge_sort_block_merge_implIS3_N6thrust23THRUST_200600_302600_NS6detail15normal_iteratorINS9_10device_ptrIsEEEEPS5_jNS1_19radix_merge_compareILb0ELb0EsNS0_19identity_decomposerEEEEE10hipError_tT0_T1_T2_jT3_P12ihipStream_tbPNSt15iterator_traitsISK_E10value_typeEPNSQ_ISL_E10value_typeEPSM_NS1_7vsmem_tEENKUlT_SK_SL_SM_E_clISE_PsSF_SF_EESJ_SZ_SK_SL_SM_EUlSZ_E_NS1_11comp_targetILNS1_3genE4ELNS1_11target_archE910ELNS1_3gpuE8ELNS1_3repE0EEENS1_48merge_mergepath_partition_config_static_selectorELNS0_4arch9wavefront6targetE1EEEvSL_
; %bb.0:
	s_load_dword s0, s[4:5], 0x0
	v_lshl_or_b32 v0, s6, 7, v0
	s_waitcnt lgkmcnt(0)
	v_cmp_gt_u32_e32 vcc, s0, v0
	s_and_saveexec_b64 s[0:1], vcc
	s_cbranch_execz .LBB1845_6
; %bb.1:
	s_load_dwordx2 s[2:3], s[4:5], 0x4
	s_load_dwordx2 s[0:1], s[4:5], 0x20
	s_waitcnt lgkmcnt(0)
	s_lshr_b32 s6, s2, 9
	s_and_b32 s6, s6, 0x7ffffe
	s_add_i32 s7, s6, -1
	s_sub_i32 s6, 0, s6
	v_and_b32_e32 v1, s6, v0
	v_lshlrev_b32_e32 v1, 10, v1
	v_min_u32_e32 v2, s3, v1
	v_add_u32_e32 v1, s2, v1
	v_min_u32_e32 v4, s3, v1
	v_add_u32_e32 v1, s2, v4
	v_and_b32_e32 v3, s7, v0
	v_min_u32_e32 v1, s3, v1
	v_sub_u32_e32 v5, v1, v2
	v_lshlrev_b32_e32 v3, 10, v3
	v_min_u32_e32 v6, v5, v3
	v_sub_u32_e32 v3, v4, v2
	v_sub_u32_e32 v1, v1, v4
	v_sub_u32_e64 v1, v6, v1 clamp
	v_min_u32_e32 v7, v6, v3
	v_cmp_lt_u32_e32 vcc, v1, v7
	s_and_saveexec_b64 s[2:3], vcc
	s_cbranch_execz .LBB1845_5
; %bb.2:
	s_load_dwordx2 s[4:5], s[4:5], 0x10
	v_mov_b32_e32 v5, 0
	v_mov_b32_e32 v3, v5
	v_lshlrev_b64 v[8:9], 1, v[2:3]
	v_lshlrev_b64 v[10:11], 1, v[4:5]
	s_waitcnt lgkmcnt(0)
	v_mov_b32_e32 v12, s5
	v_add_co_u32_e32 v3, vcc, s4, v8
	v_addc_co_u32_e32 v8, vcc, v12, v9, vcc
	v_add_co_u32_e32 v9, vcc, s4, v10
	v_addc_co_u32_e32 v10, vcc, v12, v11, vcc
	s_mov_b64 s[4:5], 0
.LBB1845_3:                             ; =>This Inner Loop Header: Depth=1
	v_add_u32_e32 v4, v7, v1
	v_and_b32_e32 v12, -2, v4
	v_lshrrev_b32_e32 v11, 1, v4
	v_add_co_u32_e32 v12, vcc, v3, v12
	v_xad_u32 v4, v11, -1, v6
	v_addc_co_u32_e32 v13, vcc, 0, v8, vcc
	flat_load_ushort v14, v[12:13]
	v_lshlrev_b64 v[12:13], 1, v[4:5]
	v_add_co_u32_e32 v12, vcc, v9, v12
	v_addc_co_u32_e32 v13, vcc, v10, v13, vcc
	flat_load_ushort v4, v[12:13]
	v_add_u32_e32 v12, 1, v11
	s_waitcnt vmcnt(0) lgkmcnt(0)
	v_cmp_gt_i16_e32 vcc, v14, v4
	v_cndmask_b32_e32 v7, v7, v11, vcc
	v_cndmask_b32_e32 v1, v12, v1, vcc
	v_cmp_ge_u32_e32 vcc, v1, v7
	s_or_b64 s[4:5], vcc, s[4:5]
	s_andn2_b64 exec, exec, s[4:5]
	s_cbranch_execnz .LBB1845_3
; %bb.4:
	s_or_b64 exec, exec, s[4:5]
.LBB1845_5:
	s_or_b64 exec, exec, s[2:3]
	v_add_u32_e32 v2, v1, v2
	v_mov_b32_e32 v1, 0
	v_lshlrev_b64 v[0:1], 2, v[0:1]
	v_mov_b32_e32 v3, s1
	v_add_co_u32_e32 v0, vcc, s0, v0
	v_addc_co_u32_e32 v1, vcc, v3, v1, vcc
	global_store_dword v[0:1], v2, off
.LBB1845_6:
	s_endpgm
	.section	.rodata,"a",@progbits
	.p2align	6, 0x0
	.amdhsa_kernel _ZN7rocprim17ROCPRIM_400000_NS6detail17trampoline_kernelINS0_14default_configENS1_38merge_sort_block_merge_config_selectorIsNS0_10empty_typeEEEZZNS1_27merge_sort_block_merge_implIS3_N6thrust23THRUST_200600_302600_NS6detail15normal_iteratorINS9_10device_ptrIsEEEEPS5_jNS1_19radix_merge_compareILb0ELb0EsNS0_19identity_decomposerEEEEE10hipError_tT0_T1_T2_jT3_P12ihipStream_tbPNSt15iterator_traitsISK_E10value_typeEPNSQ_ISL_E10value_typeEPSM_NS1_7vsmem_tEENKUlT_SK_SL_SM_E_clISE_PsSF_SF_EESJ_SZ_SK_SL_SM_EUlSZ_E_NS1_11comp_targetILNS1_3genE4ELNS1_11target_archE910ELNS1_3gpuE8ELNS1_3repE0EEENS1_48merge_mergepath_partition_config_static_selectorELNS0_4arch9wavefront6targetE1EEEvSL_
		.amdhsa_group_segment_fixed_size 0
		.amdhsa_private_segment_fixed_size 0
		.amdhsa_kernarg_size 40
		.amdhsa_user_sgpr_count 6
		.amdhsa_user_sgpr_private_segment_buffer 1
		.amdhsa_user_sgpr_dispatch_ptr 0
		.amdhsa_user_sgpr_queue_ptr 0
		.amdhsa_user_sgpr_kernarg_segment_ptr 1
		.amdhsa_user_sgpr_dispatch_id 0
		.amdhsa_user_sgpr_flat_scratch_init 0
		.amdhsa_user_sgpr_kernarg_preload_length 0
		.amdhsa_user_sgpr_kernarg_preload_offset 0
		.amdhsa_user_sgpr_private_segment_size 0
		.amdhsa_uses_dynamic_stack 0
		.amdhsa_system_sgpr_private_segment_wavefront_offset 0
		.amdhsa_system_sgpr_workgroup_id_x 1
		.amdhsa_system_sgpr_workgroup_id_y 0
		.amdhsa_system_sgpr_workgroup_id_z 0
		.amdhsa_system_sgpr_workgroup_info 0
		.amdhsa_system_vgpr_workitem_id 0
		.amdhsa_next_free_vgpr 15
		.amdhsa_next_free_sgpr 8
		.amdhsa_accum_offset 16
		.amdhsa_reserve_vcc 1
		.amdhsa_reserve_flat_scratch 0
		.amdhsa_float_round_mode_32 0
		.amdhsa_float_round_mode_16_64 0
		.amdhsa_float_denorm_mode_32 3
		.amdhsa_float_denorm_mode_16_64 3
		.amdhsa_dx10_clamp 1
		.amdhsa_ieee_mode 1
		.amdhsa_fp16_overflow 0
		.amdhsa_tg_split 0
		.amdhsa_exception_fp_ieee_invalid_op 0
		.amdhsa_exception_fp_denorm_src 0
		.amdhsa_exception_fp_ieee_div_zero 0
		.amdhsa_exception_fp_ieee_overflow 0
		.amdhsa_exception_fp_ieee_underflow 0
		.amdhsa_exception_fp_ieee_inexact 0
		.amdhsa_exception_int_div_zero 0
	.end_amdhsa_kernel
	.section	.text._ZN7rocprim17ROCPRIM_400000_NS6detail17trampoline_kernelINS0_14default_configENS1_38merge_sort_block_merge_config_selectorIsNS0_10empty_typeEEEZZNS1_27merge_sort_block_merge_implIS3_N6thrust23THRUST_200600_302600_NS6detail15normal_iteratorINS9_10device_ptrIsEEEEPS5_jNS1_19radix_merge_compareILb0ELb0EsNS0_19identity_decomposerEEEEE10hipError_tT0_T1_T2_jT3_P12ihipStream_tbPNSt15iterator_traitsISK_E10value_typeEPNSQ_ISL_E10value_typeEPSM_NS1_7vsmem_tEENKUlT_SK_SL_SM_E_clISE_PsSF_SF_EESJ_SZ_SK_SL_SM_EUlSZ_E_NS1_11comp_targetILNS1_3genE4ELNS1_11target_archE910ELNS1_3gpuE8ELNS1_3repE0EEENS1_48merge_mergepath_partition_config_static_selectorELNS0_4arch9wavefront6targetE1EEEvSL_,"axG",@progbits,_ZN7rocprim17ROCPRIM_400000_NS6detail17trampoline_kernelINS0_14default_configENS1_38merge_sort_block_merge_config_selectorIsNS0_10empty_typeEEEZZNS1_27merge_sort_block_merge_implIS3_N6thrust23THRUST_200600_302600_NS6detail15normal_iteratorINS9_10device_ptrIsEEEEPS5_jNS1_19radix_merge_compareILb0ELb0EsNS0_19identity_decomposerEEEEE10hipError_tT0_T1_T2_jT3_P12ihipStream_tbPNSt15iterator_traitsISK_E10value_typeEPNSQ_ISL_E10value_typeEPSM_NS1_7vsmem_tEENKUlT_SK_SL_SM_E_clISE_PsSF_SF_EESJ_SZ_SK_SL_SM_EUlSZ_E_NS1_11comp_targetILNS1_3genE4ELNS1_11target_archE910ELNS1_3gpuE8ELNS1_3repE0EEENS1_48merge_mergepath_partition_config_static_selectorELNS0_4arch9wavefront6targetE1EEEvSL_,comdat
.Lfunc_end1845:
	.size	_ZN7rocprim17ROCPRIM_400000_NS6detail17trampoline_kernelINS0_14default_configENS1_38merge_sort_block_merge_config_selectorIsNS0_10empty_typeEEEZZNS1_27merge_sort_block_merge_implIS3_N6thrust23THRUST_200600_302600_NS6detail15normal_iteratorINS9_10device_ptrIsEEEEPS5_jNS1_19radix_merge_compareILb0ELb0EsNS0_19identity_decomposerEEEEE10hipError_tT0_T1_T2_jT3_P12ihipStream_tbPNSt15iterator_traitsISK_E10value_typeEPNSQ_ISL_E10value_typeEPSM_NS1_7vsmem_tEENKUlT_SK_SL_SM_E_clISE_PsSF_SF_EESJ_SZ_SK_SL_SM_EUlSZ_E_NS1_11comp_targetILNS1_3genE4ELNS1_11target_archE910ELNS1_3gpuE8ELNS1_3repE0EEENS1_48merge_mergepath_partition_config_static_selectorELNS0_4arch9wavefront6targetE1EEEvSL_, .Lfunc_end1845-_ZN7rocprim17ROCPRIM_400000_NS6detail17trampoline_kernelINS0_14default_configENS1_38merge_sort_block_merge_config_selectorIsNS0_10empty_typeEEEZZNS1_27merge_sort_block_merge_implIS3_N6thrust23THRUST_200600_302600_NS6detail15normal_iteratorINS9_10device_ptrIsEEEEPS5_jNS1_19radix_merge_compareILb0ELb0EsNS0_19identity_decomposerEEEEE10hipError_tT0_T1_T2_jT3_P12ihipStream_tbPNSt15iterator_traitsISK_E10value_typeEPNSQ_ISL_E10value_typeEPSM_NS1_7vsmem_tEENKUlT_SK_SL_SM_E_clISE_PsSF_SF_EESJ_SZ_SK_SL_SM_EUlSZ_E_NS1_11comp_targetILNS1_3genE4ELNS1_11target_archE910ELNS1_3gpuE8ELNS1_3repE0EEENS1_48merge_mergepath_partition_config_static_selectorELNS0_4arch9wavefront6targetE1EEEvSL_
                                        ; -- End function
	.section	.AMDGPU.csdata,"",@progbits
; Kernel info:
; codeLenInByte = 352
; NumSgprs: 12
; NumVgprs: 15
; NumAgprs: 0
; TotalNumVgprs: 15
; ScratchSize: 0
; MemoryBound: 0
; FloatMode: 240
; IeeeMode: 1
; LDSByteSize: 0 bytes/workgroup (compile time only)
; SGPRBlocks: 1
; VGPRBlocks: 1
; NumSGPRsForWavesPerEU: 12
; NumVGPRsForWavesPerEU: 15
; AccumOffset: 16
; Occupancy: 8
; WaveLimiterHint : 0
; COMPUTE_PGM_RSRC2:SCRATCH_EN: 0
; COMPUTE_PGM_RSRC2:USER_SGPR: 6
; COMPUTE_PGM_RSRC2:TRAP_HANDLER: 0
; COMPUTE_PGM_RSRC2:TGID_X_EN: 1
; COMPUTE_PGM_RSRC2:TGID_Y_EN: 0
; COMPUTE_PGM_RSRC2:TGID_Z_EN: 0
; COMPUTE_PGM_RSRC2:TIDIG_COMP_CNT: 0
; COMPUTE_PGM_RSRC3_GFX90A:ACCUM_OFFSET: 3
; COMPUTE_PGM_RSRC3_GFX90A:TG_SPLIT: 0
	.section	.text._ZN7rocprim17ROCPRIM_400000_NS6detail17trampoline_kernelINS0_14default_configENS1_38merge_sort_block_merge_config_selectorIsNS0_10empty_typeEEEZZNS1_27merge_sort_block_merge_implIS3_N6thrust23THRUST_200600_302600_NS6detail15normal_iteratorINS9_10device_ptrIsEEEEPS5_jNS1_19radix_merge_compareILb0ELb0EsNS0_19identity_decomposerEEEEE10hipError_tT0_T1_T2_jT3_P12ihipStream_tbPNSt15iterator_traitsISK_E10value_typeEPNSQ_ISL_E10value_typeEPSM_NS1_7vsmem_tEENKUlT_SK_SL_SM_E_clISE_PsSF_SF_EESJ_SZ_SK_SL_SM_EUlSZ_E_NS1_11comp_targetILNS1_3genE3ELNS1_11target_archE908ELNS1_3gpuE7ELNS1_3repE0EEENS1_48merge_mergepath_partition_config_static_selectorELNS0_4arch9wavefront6targetE1EEEvSL_,"axG",@progbits,_ZN7rocprim17ROCPRIM_400000_NS6detail17trampoline_kernelINS0_14default_configENS1_38merge_sort_block_merge_config_selectorIsNS0_10empty_typeEEEZZNS1_27merge_sort_block_merge_implIS3_N6thrust23THRUST_200600_302600_NS6detail15normal_iteratorINS9_10device_ptrIsEEEEPS5_jNS1_19radix_merge_compareILb0ELb0EsNS0_19identity_decomposerEEEEE10hipError_tT0_T1_T2_jT3_P12ihipStream_tbPNSt15iterator_traitsISK_E10value_typeEPNSQ_ISL_E10value_typeEPSM_NS1_7vsmem_tEENKUlT_SK_SL_SM_E_clISE_PsSF_SF_EESJ_SZ_SK_SL_SM_EUlSZ_E_NS1_11comp_targetILNS1_3genE3ELNS1_11target_archE908ELNS1_3gpuE7ELNS1_3repE0EEENS1_48merge_mergepath_partition_config_static_selectorELNS0_4arch9wavefront6targetE1EEEvSL_,comdat
	.protected	_ZN7rocprim17ROCPRIM_400000_NS6detail17trampoline_kernelINS0_14default_configENS1_38merge_sort_block_merge_config_selectorIsNS0_10empty_typeEEEZZNS1_27merge_sort_block_merge_implIS3_N6thrust23THRUST_200600_302600_NS6detail15normal_iteratorINS9_10device_ptrIsEEEEPS5_jNS1_19radix_merge_compareILb0ELb0EsNS0_19identity_decomposerEEEEE10hipError_tT0_T1_T2_jT3_P12ihipStream_tbPNSt15iterator_traitsISK_E10value_typeEPNSQ_ISL_E10value_typeEPSM_NS1_7vsmem_tEENKUlT_SK_SL_SM_E_clISE_PsSF_SF_EESJ_SZ_SK_SL_SM_EUlSZ_E_NS1_11comp_targetILNS1_3genE3ELNS1_11target_archE908ELNS1_3gpuE7ELNS1_3repE0EEENS1_48merge_mergepath_partition_config_static_selectorELNS0_4arch9wavefront6targetE1EEEvSL_ ; -- Begin function _ZN7rocprim17ROCPRIM_400000_NS6detail17trampoline_kernelINS0_14default_configENS1_38merge_sort_block_merge_config_selectorIsNS0_10empty_typeEEEZZNS1_27merge_sort_block_merge_implIS3_N6thrust23THRUST_200600_302600_NS6detail15normal_iteratorINS9_10device_ptrIsEEEEPS5_jNS1_19radix_merge_compareILb0ELb0EsNS0_19identity_decomposerEEEEE10hipError_tT0_T1_T2_jT3_P12ihipStream_tbPNSt15iterator_traitsISK_E10value_typeEPNSQ_ISL_E10value_typeEPSM_NS1_7vsmem_tEENKUlT_SK_SL_SM_E_clISE_PsSF_SF_EESJ_SZ_SK_SL_SM_EUlSZ_E_NS1_11comp_targetILNS1_3genE3ELNS1_11target_archE908ELNS1_3gpuE7ELNS1_3repE0EEENS1_48merge_mergepath_partition_config_static_selectorELNS0_4arch9wavefront6targetE1EEEvSL_
	.globl	_ZN7rocprim17ROCPRIM_400000_NS6detail17trampoline_kernelINS0_14default_configENS1_38merge_sort_block_merge_config_selectorIsNS0_10empty_typeEEEZZNS1_27merge_sort_block_merge_implIS3_N6thrust23THRUST_200600_302600_NS6detail15normal_iteratorINS9_10device_ptrIsEEEEPS5_jNS1_19radix_merge_compareILb0ELb0EsNS0_19identity_decomposerEEEEE10hipError_tT0_T1_T2_jT3_P12ihipStream_tbPNSt15iterator_traitsISK_E10value_typeEPNSQ_ISL_E10value_typeEPSM_NS1_7vsmem_tEENKUlT_SK_SL_SM_E_clISE_PsSF_SF_EESJ_SZ_SK_SL_SM_EUlSZ_E_NS1_11comp_targetILNS1_3genE3ELNS1_11target_archE908ELNS1_3gpuE7ELNS1_3repE0EEENS1_48merge_mergepath_partition_config_static_selectorELNS0_4arch9wavefront6targetE1EEEvSL_
	.p2align	8
	.type	_ZN7rocprim17ROCPRIM_400000_NS6detail17trampoline_kernelINS0_14default_configENS1_38merge_sort_block_merge_config_selectorIsNS0_10empty_typeEEEZZNS1_27merge_sort_block_merge_implIS3_N6thrust23THRUST_200600_302600_NS6detail15normal_iteratorINS9_10device_ptrIsEEEEPS5_jNS1_19radix_merge_compareILb0ELb0EsNS0_19identity_decomposerEEEEE10hipError_tT0_T1_T2_jT3_P12ihipStream_tbPNSt15iterator_traitsISK_E10value_typeEPNSQ_ISL_E10value_typeEPSM_NS1_7vsmem_tEENKUlT_SK_SL_SM_E_clISE_PsSF_SF_EESJ_SZ_SK_SL_SM_EUlSZ_E_NS1_11comp_targetILNS1_3genE3ELNS1_11target_archE908ELNS1_3gpuE7ELNS1_3repE0EEENS1_48merge_mergepath_partition_config_static_selectorELNS0_4arch9wavefront6targetE1EEEvSL_,@function
_ZN7rocprim17ROCPRIM_400000_NS6detail17trampoline_kernelINS0_14default_configENS1_38merge_sort_block_merge_config_selectorIsNS0_10empty_typeEEEZZNS1_27merge_sort_block_merge_implIS3_N6thrust23THRUST_200600_302600_NS6detail15normal_iteratorINS9_10device_ptrIsEEEEPS5_jNS1_19radix_merge_compareILb0ELb0EsNS0_19identity_decomposerEEEEE10hipError_tT0_T1_T2_jT3_P12ihipStream_tbPNSt15iterator_traitsISK_E10value_typeEPNSQ_ISL_E10value_typeEPSM_NS1_7vsmem_tEENKUlT_SK_SL_SM_E_clISE_PsSF_SF_EESJ_SZ_SK_SL_SM_EUlSZ_E_NS1_11comp_targetILNS1_3genE3ELNS1_11target_archE908ELNS1_3gpuE7ELNS1_3repE0EEENS1_48merge_mergepath_partition_config_static_selectorELNS0_4arch9wavefront6targetE1EEEvSL_: ; @_ZN7rocprim17ROCPRIM_400000_NS6detail17trampoline_kernelINS0_14default_configENS1_38merge_sort_block_merge_config_selectorIsNS0_10empty_typeEEEZZNS1_27merge_sort_block_merge_implIS3_N6thrust23THRUST_200600_302600_NS6detail15normal_iteratorINS9_10device_ptrIsEEEEPS5_jNS1_19radix_merge_compareILb0ELb0EsNS0_19identity_decomposerEEEEE10hipError_tT0_T1_T2_jT3_P12ihipStream_tbPNSt15iterator_traitsISK_E10value_typeEPNSQ_ISL_E10value_typeEPSM_NS1_7vsmem_tEENKUlT_SK_SL_SM_E_clISE_PsSF_SF_EESJ_SZ_SK_SL_SM_EUlSZ_E_NS1_11comp_targetILNS1_3genE3ELNS1_11target_archE908ELNS1_3gpuE7ELNS1_3repE0EEENS1_48merge_mergepath_partition_config_static_selectorELNS0_4arch9wavefront6targetE1EEEvSL_
; %bb.0:
	.section	.rodata,"a",@progbits
	.p2align	6, 0x0
	.amdhsa_kernel _ZN7rocprim17ROCPRIM_400000_NS6detail17trampoline_kernelINS0_14default_configENS1_38merge_sort_block_merge_config_selectorIsNS0_10empty_typeEEEZZNS1_27merge_sort_block_merge_implIS3_N6thrust23THRUST_200600_302600_NS6detail15normal_iteratorINS9_10device_ptrIsEEEEPS5_jNS1_19radix_merge_compareILb0ELb0EsNS0_19identity_decomposerEEEEE10hipError_tT0_T1_T2_jT3_P12ihipStream_tbPNSt15iterator_traitsISK_E10value_typeEPNSQ_ISL_E10value_typeEPSM_NS1_7vsmem_tEENKUlT_SK_SL_SM_E_clISE_PsSF_SF_EESJ_SZ_SK_SL_SM_EUlSZ_E_NS1_11comp_targetILNS1_3genE3ELNS1_11target_archE908ELNS1_3gpuE7ELNS1_3repE0EEENS1_48merge_mergepath_partition_config_static_selectorELNS0_4arch9wavefront6targetE1EEEvSL_
		.amdhsa_group_segment_fixed_size 0
		.amdhsa_private_segment_fixed_size 0
		.amdhsa_kernarg_size 40
		.amdhsa_user_sgpr_count 6
		.amdhsa_user_sgpr_private_segment_buffer 1
		.amdhsa_user_sgpr_dispatch_ptr 0
		.amdhsa_user_sgpr_queue_ptr 0
		.amdhsa_user_sgpr_kernarg_segment_ptr 1
		.amdhsa_user_sgpr_dispatch_id 0
		.amdhsa_user_sgpr_flat_scratch_init 0
		.amdhsa_user_sgpr_kernarg_preload_length 0
		.amdhsa_user_sgpr_kernarg_preload_offset 0
		.amdhsa_user_sgpr_private_segment_size 0
		.amdhsa_uses_dynamic_stack 0
		.amdhsa_system_sgpr_private_segment_wavefront_offset 0
		.amdhsa_system_sgpr_workgroup_id_x 1
		.amdhsa_system_sgpr_workgroup_id_y 0
		.amdhsa_system_sgpr_workgroup_id_z 0
		.amdhsa_system_sgpr_workgroup_info 0
		.amdhsa_system_vgpr_workitem_id 0
		.amdhsa_next_free_vgpr 1
		.amdhsa_next_free_sgpr 0
		.amdhsa_accum_offset 4
		.amdhsa_reserve_vcc 0
		.amdhsa_reserve_flat_scratch 0
		.amdhsa_float_round_mode_32 0
		.amdhsa_float_round_mode_16_64 0
		.amdhsa_float_denorm_mode_32 3
		.amdhsa_float_denorm_mode_16_64 3
		.amdhsa_dx10_clamp 1
		.amdhsa_ieee_mode 1
		.amdhsa_fp16_overflow 0
		.amdhsa_tg_split 0
		.amdhsa_exception_fp_ieee_invalid_op 0
		.amdhsa_exception_fp_denorm_src 0
		.amdhsa_exception_fp_ieee_div_zero 0
		.amdhsa_exception_fp_ieee_overflow 0
		.amdhsa_exception_fp_ieee_underflow 0
		.amdhsa_exception_fp_ieee_inexact 0
		.amdhsa_exception_int_div_zero 0
	.end_amdhsa_kernel
	.section	.text._ZN7rocprim17ROCPRIM_400000_NS6detail17trampoline_kernelINS0_14default_configENS1_38merge_sort_block_merge_config_selectorIsNS0_10empty_typeEEEZZNS1_27merge_sort_block_merge_implIS3_N6thrust23THRUST_200600_302600_NS6detail15normal_iteratorINS9_10device_ptrIsEEEEPS5_jNS1_19radix_merge_compareILb0ELb0EsNS0_19identity_decomposerEEEEE10hipError_tT0_T1_T2_jT3_P12ihipStream_tbPNSt15iterator_traitsISK_E10value_typeEPNSQ_ISL_E10value_typeEPSM_NS1_7vsmem_tEENKUlT_SK_SL_SM_E_clISE_PsSF_SF_EESJ_SZ_SK_SL_SM_EUlSZ_E_NS1_11comp_targetILNS1_3genE3ELNS1_11target_archE908ELNS1_3gpuE7ELNS1_3repE0EEENS1_48merge_mergepath_partition_config_static_selectorELNS0_4arch9wavefront6targetE1EEEvSL_,"axG",@progbits,_ZN7rocprim17ROCPRIM_400000_NS6detail17trampoline_kernelINS0_14default_configENS1_38merge_sort_block_merge_config_selectorIsNS0_10empty_typeEEEZZNS1_27merge_sort_block_merge_implIS3_N6thrust23THRUST_200600_302600_NS6detail15normal_iteratorINS9_10device_ptrIsEEEEPS5_jNS1_19radix_merge_compareILb0ELb0EsNS0_19identity_decomposerEEEEE10hipError_tT0_T1_T2_jT3_P12ihipStream_tbPNSt15iterator_traitsISK_E10value_typeEPNSQ_ISL_E10value_typeEPSM_NS1_7vsmem_tEENKUlT_SK_SL_SM_E_clISE_PsSF_SF_EESJ_SZ_SK_SL_SM_EUlSZ_E_NS1_11comp_targetILNS1_3genE3ELNS1_11target_archE908ELNS1_3gpuE7ELNS1_3repE0EEENS1_48merge_mergepath_partition_config_static_selectorELNS0_4arch9wavefront6targetE1EEEvSL_,comdat
.Lfunc_end1846:
	.size	_ZN7rocprim17ROCPRIM_400000_NS6detail17trampoline_kernelINS0_14default_configENS1_38merge_sort_block_merge_config_selectorIsNS0_10empty_typeEEEZZNS1_27merge_sort_block_merge_implIS3_N6thrust23THRUST_200600_302600_NS6detail15normal_iteratorINS9_10device_ptrIsEEEEPS5_jNS1_19radix_merge_compareILb0ELb0EsNS0_19identity_decomposerEEEEE10hipError_tT0_T1_T2_jT3_P12ihipStream_tbPNSt15iterator_traitsISK_E10value_typeEPNSQ_ISL_E10value_typeEPSM_NS1_7vsmem_tEENKUlT_SK_SL_SM_E_clISE_PsSF_SF_EESJ_SZ_SK_SL_SM_EUlSZ_E_NS1_11comp_targetILNS1_3genE3ELNS1_11target_archE908ELNS1_3gpuE7ELNS1_3repE0EEENS1_48merge_mergepath_partition_config_static_selectorELNS0_4arch9wavefront6targetE1EEEvSL_, .Lfunc_end1846-_ZN7rocprim17ROCPRIM_400000_NS6detail17trampoline_kernelINS0_14default_configENS1_38merge_sort_block_merge_config_selectorIsNS0_10empty_typeEEEZZNS1_27merge_sort_block_merge_implIS3_N6thrust23THRUST_200600_302600_NS6detail15normal_iteratorINS9_10device_ptrIsEEEEPS5_jNS1_19radix_merge_compareILb0ELb0EsNS0_19identity_decomposerEEEEE10hipError_tT0_T1_T2_jT3_P12ihipStream_tbPNSt15iterator_traitsISK_E10value_typeEPNSQ_ISL_E10value_typeEPSM_NS1_7vsmem_tEENKUlT_SK_SL_SM_E_clISE_PsSF_SF_EESJ_SZ_SK_SL_SM_EUlSZ_E_NS1_11comp_targetILNS1_3genE3ELNS1_11target_archE908ELNS1_3gpuE7ELNS1_3repE0EEENS1_48merge_mergepath_partition_config_static_selectorELNS0_4arch9wavefront6targetE1EEEvSL_
                                        ; -- End function
	.section	.AMDGPU.csdata,"",@progbits
; Kernel info:
; codeLenInByte = 0
; NumSgprs: 4
; NumVgprs: 0
; NumAgprs: 0
; TotalNumVgprs: 0
; ScratchSize: 0
; MemoryBound: 0
; FloatMode: 240
; IeeeMode: 1
; LDSByteSize: 0 bytes/workgroup (compile time only)
; SGPRBlocks: 0
; VGPRBlocks: 0
; NumSGPRsForWavesPerEU: 4
; NumVGPRsForWavesPerEU: 1
; AccumOffset: 4
; Occupancy: 8
; WaveLimiterHint : 0
; COMPUTE_PGM_RSRC2:SCRATCH_EN: 0
; COMPUTE_PGM_RSRC2:USER_SGPR: 6
; COMPUTE_PGM_RSRC2:TRAP_HANDLER: 0
; COMPUTE_PGM_RSRC2:TGID_X_EN: 1
; COMPUTE_PGM_RSRC2:TGID_Y_EN: 0
; COMPUTE_PGM_RSRC2:TGID_Z_EN: 0
; COMPUTE_PGM_RSRC2:TIDIG_COMP_CNT: 0
; COMPUTE_PGM_RSRC3_GFX90A:ACCUM_OFFSET: 0
; COMPUTE_PGM_RSRC3_GFX90A:TG_SPLIT: 0
	.section	.text._ZN7rocprim17ROCPRIM_400000_NS6detail17trampoline_kernelINS0_14default_configENS1_38merge_sort_block_merge_config_selectorIsNS0_10empty_typeEEEZZNS1_27merge_sort_block_merge_implIS3_N6thrust23THRUST_200600_302600_NS6detail15normal_iteratorINS9_10device_ptrIsEEEEPS5_jNS1_19radix_merge_compareILb0ELb0EsNS0_19identity_decomposerEEEEE10hipError_tT0_T1_T2_jT3_P12ihipStream_tbPNSt15iterator_traitsISK_E10value_typeEPNSQ_ISL_E10value_typeEPSM_NS1_7vsmem_tEENKUlT_SK_SL_SM_E_clISE_PsSF_SF_EESJ_SZ_SK_SL_SM_EUlSZ_E_NS1_11comp_targetILNS1_3genE2ELNS1_11target_archE906ELNS1_3gpuE6ELNS1_3repE0EEENS1_48merge_mergepath_partition_config_static_selectorELNS0_4arch9wavefront6targetE1EEEvSL_,"axG",@progbits,_ZN7rocprim17ROCPRIM_400000_NS6detail17trampoline_kernelINS0_14default_configENS1_38merge_sort_block_merge_config_selectorIsNS0_10empty_typeEEEZZNS1_27merge_sort_block_merge_implIS3_N6thrust23THRUST_200600_302600_NS6detail15normal_iteratorINS9_10device_ptrIsEEEEPS5_jNS1_19radix_merge_compareILb0ELb0EsNS0_19identity_decomposerEEEEE10hipError_tT0_T1_T2_jT3_P12ihipStream_tbPNSt15iterator_traitsISK_E10value_typeEPNSQ_ISL_E10value_typeEPSM_NS1_7vsmem_tEENKUlT_SK_SL_SM_E_clISE_PsSF_SF_EESJ_SZ_SK_SL_SM_EUlSZ_E_NS1_11comp_targetILNS1_3genE2ELNS1_11target_archE906ELNS1_3gpuE6ELNS1_3repE0EEENS1_48merge_mergepath_partition_config_static_selectorELNS0_4arch9wavefront6targetE1EEEvSL_,comdat
	.protected	_ZN7rocprim17ROCPRIM_400000_NS6detail17trampoline_kernelINS0_14default_configENS1_38merge_sort_block_merge_config_selectorIsNS0_10empty_typeEEEZZNS1_27merge_sort_block_merge_implIS3_N6thrust23THRUST_200600_302600_NS6detail15normal_iteratorINS9_10device_ptrIsEEEEPS5_jNS1_19radix_merge_compareILb0ELb0EsNS0_19identity_decomposerEEEEE10hipError_tT0_T1_T2_jT3_P12ihipStream_tbPNSt15iterator_traitsISK_E10value_typeEPNSQ_ISL_E10value_typeEPSM_NS1_7vsmem_tEENKUlT_SK_SL_SM_E_clISE_PsSF_SF_EESJ_SZ_SK_SL_SM_EUlSZ_E_NS1_11comp_targetILNS1_3genE2ELNS1_11target_archE906ELNS1_3gpuE6ELNS1_3repE0EEENS1_48merge_mergepath_partition_config_static_selectorELNS0_4arch9wavefront6targetE1EEEvSL_ ; -- Begin function _ZN7rocprim17ROCPRIM_400000_NS6detail17trampoline_kernelINS0_14default_configENS1_38merge_sort_block_merge_config_selectorIsNS0_10empty_typeEEEZZNS1_27merge_sort_block_merge_implIS3_N6thrust23THRUST_200600_302600_NS6detail15normal_iteratorINS9_10device_ptrIsEEEEPS5_jNS1_19radix_merge_compareILb0ELb0EsNS0_19identity_decomposerEEEEE10hipError_tT0_T1_T2_jT3_P12ihipStream_tbPNSt15iterator_traitsISK_E10value_typeEPNSQ_ISL_E10value_typeEPSM_NS1_7vsmem_tEENKUlT_SK_SL_SM_E_clISE_PsSF_SF_EESJ_SZ_SK_SL_SM_EUlSZ_E_NS1_11comp_targetILNS1_3genE2ELNS1_11target_archE906ELNS1_3gpuE6ELNS1_3repE0EEENS1_48merge_mergepath_partition_config_static_selectorELNS0_4arch9wavefront6targetE1EEEvSL_
	.globl	_ZN7rocprim17ROCPRIM_400000_NS6detail17trampoline_kernelINS0_14default_configENS1_38merge_sort_block_merge_config_selectorIsNS0_10empty_typeEEEZZNS1_27merge_sort_block_merge_implIS3_N6thrust23THRUST_200600_302600_NS6detail15normal_iteratorINS9_10device_ptrIsEEEEPS5_jNS1_19radix_merge_compareILb0ELb0EsNS0_19identity_decomposerEEEEE10hipError_tT0_T1_T2_jT3_P12ihipStream_tbPNSt15iterator_traitsISK_E10value_typeEPNSQ_ISL_E10value_typeEPSM_NS1_7vsmem_tEENKUlT_SK_SL_SM_E_clISE_PsSF_SF_EESJ_SZ_SK_SL_SM_EUlSZ_E_NS1_11comp_targetILNS1_3genE2ELNS1_11target_archE906ELNS1_3gpuE6ELNS1_3repE0EEENS1_48merge_mergepath_partition_config_static_selectorELNS0_4arch9wavefront6targetE1EEEvSL_
	.p2align	8
	.type	_ZN7rocprim17ROCPRIM_400000_NS6detail17trampoline_kernelINS0_14default_configENS1_38merge_sort_block_merge_config_selectorIsNS0_10empty_typeEEEZZNS1_27merge_sort_block_merge_implIS3_N6thrust23THRUST_200600_302600_NS6detail15normal_iteratorINS9_10device_ptrIsEEEEPS5_jNS1_19radix_merge_compareILb0ELb0EsNS0_19identity_decomposerEEEEE10hipError_tT0_T1_T2_jT3_P12ihipStream_tbPNSt15iterator_traitsISK_E10value_typeEPNSQ_ISL_E10value_typeEPSM_NS1_7vsmem_tEENKUlT_SK_SL_SM_E_clISE_PsSF_SF_EESJ_SZ_SK_SL_SM_EUlSZ_E_NS1_11comp_targetILNS1_3genE2ELNS1_11target_archE906ELNS1_3gpuE6ELNS1_3repE0EEENS1_48merge_mergepath_partition_config_static_selectorELNS0_4arch9wavefront6targetE1EEEvSL_,@function
_ZN7rocprim17ROCPRIM_400000_NS6detail17trampoline_kernelINS0_14default_configENS1_38merge_sort_block_merge_config_selectorIsNS0_10empty_typeEEEZZNS1_27merge_sort_block_merge_implIS3_N6thrust23THRUST_200600_302600_NS6detail15normal_iteratorINS9_10device_ptrIsEEEEPS5_jNS1_19radix_merge_compareILb0ELb0EsNS0_19identity_decomposerEEEEE10hipError_tT0_T1_T2_jT3_P12ihipStream_tbPNSt15iterator_traitsISK_E10value_typeEPNSQ_ISL_E10value_typeEPSM_NS1_7vsmem_tEENKUlT_SK_SL_SM_E_clISE_PsSF_SF_EESJ_SZ_SK_SL_SM_EUlSZ_E_NS1_11comp_targetILNS1_3genE2ELNS1_11target_archE906ELNS1_3gpuE6ELNS1_3repE0EEENS1_48merge_mergepath_partition_config_static_selectorELNS0_4arch9wavefront6targetE1EEEvSL_: ; @_ZN7rocprim17ROCPRIM_400000_NS6detail17trampoline_kernelINS0_14default_configENS1_38merge_sort_block_merge_config_selectorIsNS0_10empty_typeEEEZZNS1_27merge_sort_block_merge_implIS3_N6thrust23THRUST_200600_302600_NS6detail15normal_iteratorINS9_10device_ptrIsEEEEPS5_jNS1_19radix_merge_compareILb0ELb0EsNS0_19identity_decomposerEEEEE10hipError_tT0_T1_T2_jT3_P12ihipStream_tbPNSt15iterator_traitsISK_E10value_typeEPNSQ_ISL_E10value_typeEPSM_NS1_7vsmem_tEENKUlT_SK_SL_SM_E_clISE_PsSF_SF_EESJ_SZ_SK_SL_SM_EUlSZ_E_NS1_11comp_targetILNS1_3genE2ELNS1_11target_archE906ELNS1_3gpuE6ELNS1_3repE0EEENS1_48merge_mergepath_partition_config_static_selectorELNS0_4arch9wavefront6targetE1EEEvSL_
; %bb.0:
	.section	.rodata,"a",@progbits
	.p2align	6, 0x0
	.amdhsa_kernel _ZN7rocprim17ROCPRIM_400000_NS6detail17trampoline_kernelINS0_14default_configENS1_38merge_sort_block_merge_config_selectorIsNS0_10empty_typeEEEZZNS1_27merge_sort_block_merge_implIS3_N6thrust23THRUST_200600_302600_NS6detail15normal_iteratorINS9_10device_ptrIsEEEEPS5_jNS1_19radix_merge_compareILb0ELb0EsNS0_19identity_decomposerEEEEE10hipError_tT0_T1_T2_jT3_P12ihipStream_tbPNSt15iterator_traitsISK_E10value_typeEPNSQ_ISL_E10value_typeEPSM_NS1_7vsmem_tEENKUlT_SK_SL_SM_E_clISE_PsSF_SF_EESJ_SZ_SK_SL_SM_EUlSZ_E_NS1_11comp_targetILNS1_3genE2ELNS1_11target_archE906ELNS1_3gpuE6ELNS1_3repE0EEENS1_48merge_mergepath_partition_config_static_selectorELNS0_4arch9wavefront6targetE1EEEvSL_
		.amdhsa_group_segment_fixed_size 0
		.amdhsa_private_segment_fixed_size 0
		.amdhsa_kernarg_size 40
		.amdhsa_user_sgpr_count 6
		.amdhsa_user_sgpr_private_segment_buffer 1
		.amdhsa_user_sgpr_dispatch_ptr 0
		.amdhsa_user_sgpr_queue_ptr 0
		.amdhsa_user_sgpr_kernarg_segment_ptr 1
		.amdhsa_user_sgpr_dispatch_id 0
		.amdhsa_user_sgpr_flat_scratch_init 0
		.amdhsa_user_sgpr_kernarg_preload_length 0
		.amdhsa_user_sgpr_kernarg_preload_offset 0
		.amdhsa_user_sgpr_private_segment_size 0
		.amdhsa_uses_dynamic_stack 0
		.amdhsa_system_sgpr_private_segment_wavefront_offset 0
		.amdhsa_system_sgpr_workgroup_id_x 1
		.amdhsa_system_sgpr_workgroup_id_y 0
		.amdhsa_system_sgpr_workgroup_id_z 0
		.amdhsa_system_sgpr_workgroup_info 0
		.amdhsa_system_vgpr_workitem_id 0
		.amdhsa_next_free_vgpr 1
		.amdhsa_next_free_sgpr 0
		.amdhsa_accum_offset 4
		.amdhsa_reserve_vcc 0
		.amdhsa_reserve_flat_scratch 0
		.amdhsa_float_round_mode_32 0
		.amdhsa_float_round_mode_16_64 0
		.amdhsa_float_denorm_mode_32 3
		.amdhsa_float_denorm_mode_16_64 3
		.amdhsa_dx10_clamp 1
		.amdhsa_ieee_mode 1
		.amdhsa_fp16_overflow 0
		.amdhsa_tg_split 0
		.amdhsa_exception_fp_ieee_invalid_op 0
		.amdhsa_exception_fp_denorm_src 0
		.amdhsa_exception_fp_ieee_div_zero 0
		.amdhsa_exception_fp_ieee_overflow 0
		.amdhsa_exception_fp_ieee_underflow 0
		.amdhsa_exception_fp_ieee_inexact 0
		.amdhsa_exception_int_div_zero 0
	.end_amdhsa_kernel
	.section	.text._ZN7rocprim17ROCPRIM_400000_NS6detail17trampoline_kernelINS0_14default_configENS1_38merge_sort_block_merge_config_selectorIsNS0_10empty_typeEEEZZNS1_27merge_sort_block_merge_implIS3_N6thrust23THRUST_200600_302600_NS6detail15normal_iteratorINS9_10device_ptrIsEEEEPS5_jNS1_19radix_merge_compareILb0ELb0EsNS0_19identity_decomposerEEEEE10hipError_tT0_T1_T2_jT3_P12ihipStream_tbPNSt15iterator_traitsISK_E10value_typeEPNSQ_ISL_E10value_typeEPSM_NS1_7vsmem_tEENKUlT_SK_SL_SM_E_clISE_PsSF_SF_EESJ_SZ_SK_SL_SM_EUlSZ_E_NS1_11comp_targetILNS1_3genE2ELNS1_11target_archE906ELNS1_3gpuE6ELNS1_3repE0EEENS1_48merge_mergepath_partition_config_static_selectorELNS0_4arch9wavefront6targetE1EEEvSL_,"axG",@progbits,_ZN7rocprim17ROCPRIM_400000_NS6detail17trampoline_kernelINS0_14default_configENS1_38merge_sort_block_merge_config_selectorIsNS0_10empty_typeEEEZZNS1_27merge_sort_block_merge_implIS3_N6thrust23THRUST_200600_302600_NS6detail15normal_iteratorINS9_10device_ptrIsEEEEPS5_jNS1_19radix_merge_compareILb0ELb0EsNS0_19identity_decomposerEEEEE10hipError_tT0_T1_T2_jT3_P12ihipStream_tbPNSt15iterator_traitsISK_E10value_typeEPNSQ_ISL_E10value_typeEPSM_NS1_7vsmem_tEENKUlT_SK_SL_SM_E_clISE_PsSF_SF_EESJ_SZ_SK_SL_SM_EUlSZ_E_NS1_11comp_targetILNS1_3genE2ELNS1_11target_archE906ELNS1_3gpuE6ELNS1_3repE0EEENS1_48merge_mergepath_partition_config_static_selectorELNS0_4arch9wavefront6targetE1EEEvSL_,comdat
.Lfunc_end1847:
	.size	_ZN7rocprim17ROCPRIM_400000_NS6detail17trampoline_kernelINS0_14default_configENS1_38merge_sort_block_merge_config_selectorIsNS0_10empty_typeEEEZZNS1_27merge_sort_block_merge_implIS3_N6thrust23THRUST_200600_302600_NS6detail15normal_iteratorINS9_10device_ptrIsEEEEPS5_jNS1_19radix_merge_compareILb0ELb0EsNS0_19identity_decomposerEEEEE10hipError_tT0_T1_T2_jT3_P12ihipStream_tbPNSt15iterator_traitsISK_E10value_typeEPNSQ_ISL_E10value_typeEPSM_NS1_7vsmem_tEENKUlT_SK_SL_SM_E_clISE_PsSF_SF_EESJ_SZ_SK_SL_SM_EUlSZ_E_NS1_11comp_targetILNS1_3genE2ELNS1_11target_archE906ELNS1_3gpuE6ELNS1_3repE0EEENS1_48merge_mergepath_partition_config_static_selectorELNS0_4arch9wavefront6targetE1EEEvSL_, .Lfunc_end1847-_ZN7rocprim17ROCPRIM_400000_NS6detail17trampoline_kernelINS0_14default_configENS1_38merge_sort_block_merge_config_selectorIsNS0_10empty_typeEEEZZNS1_27merge_sort_block_merge_implIS3_N6thrust23THRUST_200600_302600_NS6detail15normal_iteratorINS9_10device_ptrIsEEEEPS5_jNS1_19radix_merge_compareILb0ELb0EsNS0_19identity_decomposerEEEEE10hipError_tT0_T1_T2_jT3_P12ihipStream_tbPNSt15iterator_traitsISK_E10value_typeEPNSQ_ISL_E10value_typeEPSM_NS1_7vsmem_tEENKUlT_SK_SL_SM_E_clISE_PsSF_SF_EESJ_SZ_SK_SL_SM_EUlSZ_E_NS1_11comp_targetILNS1_3genE2ELNS1_11target_archE906ELNS1_3gpuE6ELNS1_3repE0EEENS1_48merge_mergepath_partition_config_static_selectorELNS0_4arch9wavefront6targetE1EEEvSL_
                                        ; -- End function
	.section	.AMDGPU.csdata,"",@progbits
; Kernel info:
; codeLenInByte = 0
; NumSgprs: 4
; NumVgprs: 0
; NumAgprs: 0
; TotalNumVgprs: 0
; ScratchSize: 0
; MemoryBound: 0
; FloatMode: 240
; IeeeMode: 1
; LDSByteSize: 0 bytes/workgroup (compile time only)
; SGPRBlocks: 0
; VGPRBlocks: 0
; NumSGPRsForWavesPerEU: 4
; NumVGPRsForWavesPerEU: 1
; AccumOffset: 4
; Occupancy: 8
; WaveLimiterHint : 0
; COMPUTE_PGM_RSRC2:SCRATCH_EN: 0
; COMPUTE_PGM_RSRC2:USER_SGPR: 6
; COMPUTE_PGM_RSRC2:TRAP_HANDLER: 0
; COMPUTE_PGM_RSRC2:TGID_X_EN: 1
; COMPUTE_PGM_RSRC2:TGID_Y_EN: 0
; COMPUTE_PGM_RSRC2:TGID_Z_EN: 0
; COMPUTE_PGM_RSRC2:TIDIG_COMP_CNT: 0
; COMPUTE_PGM_RSRC3_GFX90A:ACCUM_OFFSET: 0
; COMPUTE_PGM_RSRC3_GFX90A:TG_SPLIT: 0
	.section	.text._ZN7rocprim17ROCPRIM_400000_NS6detail17trampoline_kernelINS0_14default_configENS1_38merge_sort_block_merge_config_selectorIsNS0_10empty_typeEEEZZNS1_27merge_sort_block_merge_implIS3_N6thrust23THRUST_200600_302600_NS6detail15normal_iteratorINS9_10device_ptrIsEEEEPS5_jNS1_19radix_merge_compareILb0ELb0EsNS0_19identity_decomposerEEEEE10hipError_tT0_T1_T2_jT3_P12ihipStream_tbPNSt15iterator_traitsISK_E10value_typeEPNSQ_ISL_E10value_typeEPSM_NS1_7vsmem_tEENKUlT_SK_SL_SM_E_clISE_PsSF_SF_EESJ_SZ_SK_SL_SM_EUlSZ_E_NS1_11comp_targetILNS1_3genE9ELNS1_11target_archE1100ELNS1_3gpuE3ELNS1_3repE0EEENS1_48merge_mergepath_partition_config_static_selectorELNS0_4arch9wavefront6targetE1EEEvSL_,"axG",@progbits,_ZN7rocprim17ROCPRIM_400000_NS6detail17trampoline_kernelINS0_14default_configENS1_38merge_sort_block_merge_config_selectorIsNS0_10empty_typeEEEZZNS1_27merge_sort_block_merge_implIS3_N6thrust23THRUST_200600_302600_NS6detail15normal_iteratorINS9_10device_ptrIsEEEEPS5_jNS1_19radix_merge_compareILb0ELb0EsNS0_19identity_decomposerEEEEE10hipError_tT0_T1_T2_jT3_P12ihipStream_tbPNSt15iterator_traitsISK_E10value_typeEPNSQ_ISL_E10value_typeEPSM_NS1_7vsmem_tEENKUlT_SK_SL_SM_E_clISE_PsSF_SF_EESJ_SZ_SK_SL_SM_EUlSZ_E_NS1_11comp_targetILNS1_3genE9ELNS1_11target_archE1100ELNS1_3gpuE3ELNS1_3repE0EEENS1_48merge_mergepath_partition_config_static_selectorELNS0_4arch9wavefront6targetE1EEEvSL_,comdat
	.protected	_ZN7rocprim17ROCPRIM_400000_NS6detail17trampoline_kernelINS0_14default_configENS1_38merge_sort_block_merge_config_selectorIsNS0_10empty_typeEEEZZNS1_27merge_sort_block_merge_implIS3_N6thrust23THRUST_200600_302600_NS6detail15normal_iteratorINS9_10device_ptrIsEEEEPS5_jNS1_19radix_merge_compareILb0ELb0EsNS0_19identity_decomposerEEEEE10hipError_tT0_T1_T2_jT3_P12ihipStream_tbPNSt15iterator_traitsISK_E10value_typeEPNSQ_ISL_E10value_typeEPSM_NS1_7vsmem_tEENKUlT_SK_SL_SM_E_clISE_PsSF_SF_EESJ_SZ_SK_SL_SM_EUlSZ_E_NS1_11comp_targetILNS1_3genE9ELNS1_11target_archE1100ELNS1_3gpuE3ELNS1_3repE0EEENS1_48merge_mergepath_partition_config_static_selectorELNS0_4arch9wavefront6targetE1EEEvSL_ ; -- Begin function _ZN7rocprim17ROCPRIM_400000_NS6detail17trampoline_kernelINS0_14default_configENS1_38merge_sort_block_merge_config_selectorIsNS0_10empty_typeEEEZZNS1_27merge_sort_block_merge_implIS3_N6thrust23THRUST_200600_302600_NS6detail15normal_iteratorINS9_10device_ptrIsEEEEPS5_jNS1_19radix_merge_compareILb0ELb0EsNS0_19identity_decomposerEEEEE10hipError_tT0_T1_T2_jT3_P12ihipStream_tbPNSt15iterator_traitsISK_E10value_typeEPNSQ_ISL_E10value_typeEPSM_NS1_7vsmem_tEENKUlT_SK_SL_SM_E_clISE_PsSF_SF_EESJ_SZ_SK_SL_SM_EUlSZ_E_NS1_11comp_targetILNS1_3genE9ELNS1_11target_archE1100ELNS1_3gpuE3ELNS1_3repE0EEENS1_48merge_mergepath_partition_config_static_selectorELNS0_4arch9wavefront6targetE1EEEvSL_
	.globl	_ZN7rocprim17ROCPRIM_400000_NS6detail17trampoline_kernelINS0_14default_configENS1_38merge_sort_block_merge_config_selectorIsNS0_10empty_typeEEEZZNS1_27merge_sort_block_merge_implIS3_N6thrust23THRUST_200600_302600_NS6detail15normal_iteratorINS9_10device_ptrIsEEEEPS5_jNS1_19radix_merge_compareILb0ELb0EsNS0_19identity_decomposerEEEEE10hipError_tT0_T1_T2_jT3_P12ihipStream_tbPNSt15iterator_traitsISK_E10value_typeEPNSQ_ISL_E10value_typeEPSM_NS1_7vsmem_tEENKUlT_SK_SL_SM_E_clISE_PsSF_SF_EESJ_SZ_SK_SL_SM_EUlSZ_E_NS1_11comp_targetILNS1_3genE9ELNS1_11target_archE1100ELNS1_3gpuE3ELNS1_3repE0EEENS1_48merge_mergepath_partition_config_static_selectorELNS0_4arch9wavefront6targetE1EEEvSL_
	.p2align	8
	.type	_ZN7rocprim17ROCPRIM_400000_NS6detail17trampoline_kernelINS0_14default_configENS1_38merge_sort_block_merge_config_selectorIsNS0_10empty_typeEEEZZNS1_27merge_sort_block_merge_implIS3_N6thrust23THRUST_200600_302600_NS6detail15normal_iteratorINS9_10device_ptrIsEEEEPS5_jNS1_19radix_merge_compareILb0ELb0EsNS0_19identity_decomposerEEEEE10hipError_tT0_T1_T2_jT3_P12ihipStream_tbPNSt15iterator_traitsISK_E10value_typeEPNSQ_ISL_E10value_typeEPSM_NS1_7vsmem_tEENKUlT_SK_SL_SM_E_clISE_PsSF_SF_EESJ_SZ_SK_SL_SM_EUlSZ_E_NS1_11comp_targetILNS1_3genE9ELNS1_11target_archE1100ELNS1_3gpuE3ELNS1_3repE0EEENS1_48merge_mergepath_partition_config_static_selectorELNS0_4arch9wavefront6targetE1EEEvSL_,@function
_ZN7rocprim17ROCPRIM_400000_NS6detail17trampoline_kernelINS0_14default_configENS1_38merge_sort_block_merge_config_selectorIsNS0_10empty_typeEEEZZNS1_27merge_sort_block_merge_implIS3_N6thrust23THRUST_200600_302600_NS6detail15normal_iteratorINS9_10device_ptrIsEEEEPS5_jNS1_19radix_merge_compareILb0ELb0EsNS0_19identity_decomposerEEEEE10hipError_tT0_T1_T2_jT3_P12ihipStream_tbPNSt15iterator_traitsISK_E10value_typeEPNSQ_ISL_E10value_typeEPSM_NS1_7vsmem_tEENKUlT_SK_SL_SM_E_clISE_PsSF_SF_EESJ_SZ_SK_SL_SM_EUlSZ_E_NS1_11comp_targetILNS1_3genE9ELNS1_11target_archE1100ELNS1_3gpuE3ELNS1_3repE0EEENS1_48merge_mergepath_partition_config_static_selectorELNS0_4arch9wavefront6targetE1EEEvSL_: ; @_ZN7rocprim17ROCPRIM_400000_NS6detail17trampoline_kernelINS0_14default_configENS1_38merge_sort_block_merge_config_selectorIsNS0_10empty_typeEEEZZNS1_27merge_sort_block_merge_implIS3_N6thrust23THRUST_200600_302600_NS6detail15normal_iteratorINS9_10device_ptrIsEEEEPS5_jNS1_19radix_merge_compareILb0ELb0EsNS0_19identity_decomposerEEEEE10hipError_tT0_T1_T2_jT3_P12ihipStream_tbPNSt15iterator_traitsISK_E10value_typeEPNSQ_ISL_E10value_typeEPSM_NS1_7vsmem_tEENKUlT_SK_SL_SM_E_clISE_PsSF_SF_EESJ_SZ_SK_SL_SM_EUlSZ_E_NS1_11comp_targetILNS1_3genE9ELNS1_11target_archE1100ELNS1_3gpuE3ELNS1_3repE0EEENS1_48merge_mergepath_partition_config_static_selectorELNS0_4arch9wavefront6targetE1EEEvSL_
; %bb.0:
	.section	.rodata,"a",@progbits
	.p2align	6, 0x0
	.amdhsa_kernel _ZN7rocprim17ROCPRIM_400000_NS6detail17trampoline_kernelINS0_14default_configENS1_38merge_sort_block_merge_config_selectorIsNS0_10empty_typeEEEZZNS1_27merge_sort_block_merge_implIS3_N6thrust23THRUST_200600_302600_NS6detail15normal_iteratorINS9_10device_ptrIsEEEEPS5_jNS1_19radix_merge_compareILb0ELb0EsNS0_19identity_decomposerEEEEE10hipError_tT0_T1_T2_jT3_P12ihipStream_tbPNSt15iterator_traitsISK_E10value_typeEPNSQ_ISL_E10value_typeEPSM_NS1_7vsmem_tEENKUlT_SK_SL_SM_E_clISE_PsSF_SF_EESJ_SZ_SK_SL_SM_EUlSZ_E_NS1_11comp_targetILNS1_3genE9ELNS1_11target_archE1100ELNS1_3gpuE3ELNS1_3repE0EEENS1_48merge_mergepath_partition_config_static_selectorELNS0_4arch9wavefront6targetE1EEEvSL_
		.amdhsa_group_segment_fixed_size 0
		.amdhsa_private_segment_fixed_size 0
		.amdhsa_kernarg_size 40
		.amdhsa_user_sgpr_count 6
		.amdhsa_user_sgpr_private_segment_buffer 1
		.amdhsa_user_sgpr_dispatch_ptr 0
		.amdhsa_user_sgpr_queue_ptr 0
		.amdhsa_user_sgpr_kernarg_segment_ptr 1
		.amdhsa_user_sgpr_dispatch_id 0
		.amdhsa_user_sgpr_flat_scratch_init 0
		.amdhsa_user_sgpr_kernarg_preload_length 0
		.amdhsa_user_sgpr_kernarg_preload_offset 0
		.amdhsa_user_sgpr_private_segment_size 0
		.amdhsa_uses_dynamic_stack 0
		.amdhsa_system_sgpr_private_segment_wavefront_offset 0
		.amdhsa_system_sgpr_workgroup_id_x 1
		.amdhsa_system_sgpr_workgroup_id_y 0
		.amdhsa_system_sgpr_workgroup_id_z 0
		.amdhsa_system_sgpr_workgroup_info 0
		.amdhsa_system_vgpr_workitem_id 0
		.amdhsa_next_free_vgpr 1
		.amdhsa_next_free_sgpr 0
		.amdhsa_accum_offset 4
		.amdhsa_reserve_vcc 0
		.amdhsa_reserve_flat_scratch 0
		.amdhsa_float_round_mode_32 0
		.amdhsa_float_round_mode_16_64 0
		.amdhsa_float_denorm_mode_32 3
		.amdhsa_float_denorm_mode_16_64 3
		.amdhsa_dx10_clamp 1
		.amdhsa_ieee_mode 1
		.amdhsa_fp16_overflow 0
		.amdhsa_tg_split 0
		.amdhsa_exception_fp_ieee_invalid_op 0
		.amdhsa_exception_fp_denorm_src 0
		.amdhsa_exception_fp_ieee_div_zero 0
		.amdhsa_exception_fp_ieee_overflow 0
		.amdhsa_exception_fp_ieee_underflow 0
		.amdhsa_exception_fp_ieee_inexact 0
		.amdhsa_exception_int_div_zero 0
	.end_amdhsa_kernel
	.section	.text._ZN7rocprim17ROCPRIM_400000_NS6detail17trampoline_kernelINS0_14default_configENS1_38merge_sort_block_merge_config_selectorIsNS0_10empty_typeEEEZZNS1_27merge_sort_block_merge_implIS3_N6thrust23THRUST_200600_302600_NS6detail15normal_iteratorINS9_10device_ptrIsEEEEPS5_jNS1_19radix_merge_compareILb0ELb0EsNS0_19identity_decomposerEEEEE10hipError_tT0_T1_T2_jT3_P12ihipStream_tbPNSt15iterator_traitsISK_E10value_typeEPNSQ_ISL_E10value_typeEPSM_NS1_7vsmem_tEENKUlT_SK_SL_SM_E_clISE_PsSF_SF_EESJ_SZ_SK_SL_SM_EUlSZ_E_NS1_11comp_targetILNS1_3genE9ELNS1_11target_archE1100ELNS1_3gpuE3ELNS1_3repE0EEENS1_48merge_mergepath_partition_config_static_selectorELNS0_4arch9wavefront6targetE1EEEvSL_,"axG",@progbits,_ZN7rocprim17ROCPRIM_400000_NS6detail17trampoline_kernelINS0_14default_configENS1_38merge_sort_block_merge_config_selectorIsNS0_10empty_typeEEEZZNS1_27merge_sort_block_merge_implIS3_N6thrust23THRUST_200600_302600_NS6detail15normal_iteratorINS9_10device_ptrIsEEEEPS5_jNS1_19radix_merge_compareILb0ELb0EsNS0_19identity_decomposerEEEEE10hipError_tT0_T1_T2_jT3_P12ihipStream_tbPNSt15iterator_traitsISK_E10value_typeEPNSQ_ISL_E10value_typeEPSM_NS1_7vsmem_tEENKUlT_SK_SL_SM_E_clISE_PsSF_SF_EESJ_SZ_SK_SL_SM_EUlSZ_E_NS1_11comp_targetILNS1_3genE9ELNS1_11target_archE1100ELNS1_3gpuE3ELNS1_3repE0EEENS1_48merge_mergepath_partition_config_static_selectorELNS0_4arch9wavefront6targetE1EEEvSL_,comdat
.Lfunc_end1848:
	.size	_ZN7rocprim17ROCPRIM_400000_NS6detail17trampoline_kernelINS0_14default_configENS1_38merge_sort_block_merge_config_selectorIsNS0_10empty_typeEEEZZNS1_27merge_sort_block_merge_implIS3_N6thrust23THRUST_200600_302600_NS6detail15normal_iteratorINS9_10device_ptrIsEEEEPS5_jNS1_19radix_merge_compareILb0ELb0EsNS0_19identity_decomposerEEEEE10hipError_tT0_T1_T2_jT3_P12ihipStream_tbPNSt15iterator_traitsISK_E10value_typeEPNSQ_ISL_E10value_typeEPSM_NS1_7vsmem_tEENKUlT_SK_SL_SM_E_clISE_PsSF_SF_EESJ_SZ_SK_SL_SM_EUlSZ_E_NS1_11comp_targetILNS1_3genE9ELNS1_11target_archE1100ELNS1_3gpuE3ELNS1_3repE0EEENS1_48merge_mergepath_partition_config_static_selectorELNS0_4arch9wavefront6targetE1EEEvSL_, .Lfunc_end1848-_ZN7rocprim17ROCPRIM_400000_NS6detail17trampoline_kernelINS0_14default_configENS1_38merge_sort_block_merge_config_selectorIsNS0_10empty_typeEEEZZNS1_27merge_sort_block_merge_implIS3_N6thrust23THRUST_200600_302600_NS6detail15normal_iteratorINS9_10device_ptrIsEEEEPS5_jNS1_19radix_merge_compareILb0ELb0EsNS0_19identity_decomposerEEEEE10hipError_tT0_T1_T2_jT3_P12ihipStream_tbPNSt15iterator_traitsISK_E10value_typeEPNSQ_ISL_E10value_typeEPSM_NS1_7vsmem_tEENKUlT_SK_SL_SM_E_clISE_PsSF_SF_EESJ_SZ_SK_SL_SM_EUlSZ_E_NS1_11comp_targetILNS1_3genE9ELNS1_11target_archE1100ELNS1_3gpuE3ELNS1_3repE0EEENS1_48merge_mergepath_partition_config_static_selectorELNS0_4arch9wavefront6targetE1EEEvSL_
                                        ; -- End function
	.section	.AMDGPU.csdata,"",@progbits
; Kernel info:
; codeLenInByte = 0
; NumSgprs: 4
; NumVgprs: 0
; NumAgprs: 0
; TotalNumVgprs: 0
; ScratchSize: 0
; MemoryBound: 0
; FloatMode: 240
; IeeeMode: 1
; LDSByteSize: 0 bytes/workgroup (compile time only)
; SGPRBlocks: 0
; VGPRBlocks: 0
; NumSGPRsForWavesPerEU: 4
; NumVGPRsForWavesPerEU: 1
; AccumOffset: 4
; Occupancy: 8
; WaveLimiterHint : 0
; COMPUTE_PGM_RSRC2:SCRATCH_EN: 0
; COMPUTE_PGM_RSRC2:USER_SGPR: 6
; COMPUTE_PGM_RSRC2:TRAP_HANDLER: 0
; COMPUTE_PGM_RSRC2:TGID_X_EN: 1
; COMPUTE_PGM_RSRC2:TGID_Y_EN: 0
; COMPUTE_PGM_RSRC2:TGID_Z_EN: 0
; COMPUTE_PGM_RSRC2:TIDIG_COMP_CNT: 0
; COMPUTE_PGM_RSRC3_GFX90A:ACCUM_OFFSET: 0
; COMPUTE_PGM_RSRC3_GFX90A:TG_SPLIT: 0
	.section	.text._ZN7rocprim17ROCPRIM_400000_NS6detail17trampoline_kernelINS0_14default_configENS1_38merge_sort_block_merge_config_selectorIsNS0_10empty_typeEEEZZNS1_27merge_sort_block_merge_implIS3_N6thrust23THRUST_200600_302600_NS6detail15normal_iteratorINS9_10device_ptrIsEEEEPS5_jNS1_19radix_merge_compareILb0ELb0EsNS0_19identity_decomposerEEEEE10hipError_tT0_T1_T2_jT3_P12ihipStream_tbPNSt15iterator_traitsISK_E10value_typeEPNSQ_ISL_E10value_typeEPSM_NS1_7vsmem_tEENKUlT_SK_SL_SM_E_clISE_PsSF_SF_EESJ_SZ_SK_SL_SM_EUlSZ_E_NS1_11comp_targetILNS1_3genE8ELNS1_11target_archE1030ELNS1_3gpuE2ELNS1_3repE0EEENS1_48merge_mergepath_partition_config_static_selectorELNS0_4arch9wavefront6targetE1EEEvSL_,"axG",@progbits,_ZN7rocprim17ROCPRIM_400000_NS6detail17trampoline_kernelINS0_14default_configENS1_38merge_sort_block_merge_config_selectorIsNS0_10empty_typeEEEZZNS1_27merge_sort_block_merge_implIS3_N6thrust23THRUST_200600_302600_NS6detail15normal_iteratorINS9_10device_ptrIsEEEEPS5_jNS1_19radix_merge_compareILb0ELb0EsNS0_19identity_decomposerEEEEE10hipError_tT0_T1_T2_jT3_P12ihipStream_tbPNSt15iterator_traitsISK_E10value_typeEPNSQ_ISL_E10value_typeEPSM_NS1_7vsmem_tEENKUlT_SK_SL_SM_E_clISE_PsSF_SF_EESJ_SZ_SK_SL_SM_EUlSZ_E_NS1_11comp_targetILNS1_3genE8ELNS1_11target_archE1030ELNS1_3gpuE2ELNS1_3repE0EEENS1_48merge_mergepath_partition_config_static_selectorELNS0_4arch9wavefront6targetE1EEEvSL_,comdat
	.protected	_ZN7rocprim17ROCPRIM_400000_NS6detail17trampoline_kernelINS0_14default_configENS1_38merge_sort_block_merge_config_selectorIsNS0_10empty_typeEEEZZNS1_27merge_sort_block_merge_implIS3_N6thrust23THRUST_200600_302600_NS6detail15normal_iteratorINS9_10device_ptrIsEEEEPS5_jNS1_19radix_merge_compareILb0ELb0EsNS0_19identity_decomposerEEEEE10hipError_tT0_T1_T2_jT3_P12ihipStream_tbPNSt15iterator_traitsISK_E10value_typeEPNSQ_ISL_E10value_typeEPSM_NS1_7vsmem_tEENKUlT_SK_SL_SM_E_clISE_PsSF_SF_EESJ_SZ_SK_SL_SM_EUlSZ_E_NS1_11comp_targetILNS1_3genE8ELNS1_11target_archE1030ELNS1_3gpuE2ELNS1_3repE0EEENS1_48merge_mergepath_partition_config_static_selectorELNS0_4arch9wavefront6targetE1EEEvSL_ ; -- Begin function _ZN7rocprim17ROCPRIM_400000_NS6detail17trampoline_kernelINS0_14default_configENS1_38merge_sort_block_merge_config_selectorIsNS0_10empty_typeEEEZZNS1_27merge_sort_block_merge_implIS3_N6thrust23THRUST_200600_302600_NS6detail15normal_iteratorINS9_10device_ptrIsEEEEPS5_jNS1_19radix_merge_compareILb0ELb0EsNS0_19identity_decomposerEEEEE10hipError_tT0_T1_T2_jT3_P12ihipStream_tbPNSt15iterator_traitsISK_E10value_typeEPNSQ_ISL_E10value_typeEPSM_NS1_7vsmem_tEENKUlT_SK_SL_SM_E_clISE_PsSF_SF_EESJ_SZ_SK_SL_SM_EUlSZ_E_NS1_11comp_targetILNS1_3genE8ELNS1_11target_archE1030ELNS1_3gpuE2ELNS1_3repE0EEENS1_48merge_mergepath_partition_config_static_selectorELNS0_4arch9wavefront6targetE1EEEvSL_
	.globl	_ZN7rocprim17ROCPRIM_400000_NS6detail17trampoline_kernelINS0_14default_configENS1_38merge_sort_block_merge_config_selectorIsNS0_10empty_typeEEEZZNS1_27merge_sort_block_merge_implIS3_N6thrust23THRUST_200600_302600_NS6detail15normal_iteratorINS9_10device_ptrIsEEEEPS5_jNS1_19radix_merge_compareILb0ELb0EsNS0_19identity_decomposerEEEEE10hipError_tT0_T1_T2_jT3_P12ihipStream_tbPNSt15iterator_traitsISK_E10value_typeEPNSQ_ISL_E10value_typeEPSM_NS1_7vsmem_tEENKUlT_SK_SL_SM_E_clISE_PsSF_SF_EESJ_SZ_SK_SL_SM_EUlSZ_E_NS1_11comp_targetILNS1_3genE8ELNS1_11target_archE1030ELNS1_3gpuE2ELNS1_3repE0EEENS1_48merge_mergepath_partition_config_static_selectorELNS0_4arch9wavefront6targetE1EEEvSL_
	.p2align	8
	.type	_ZN7rocprim17ROCPRIM_400000_NS6detail17trampoline_kernelINS0_14default_configENS1_38merge_sort_block_merge_config_selectorIsNS0_10empty_typeEEEZZNS1_27merge_sort_block_merge_implIS3_N6thrust23THRUST_200600_302600_NS6detail15normal_iteratorINS9_10device_ptrIsEEEEPS5_jNS1_19radix_merge_compareILb0ELb0EsNS0_19identity_decomposerEEEEE10hipError_tT0_T1_T2_jT3_P12ihipStream_tbPNSt15iterator_traitsISK_E10value_typeEPNSQ_ISL_E10value_typeEPSM_NS1_7vsmem_tEENKUlT_SK_SL_SM_E_clISE_PsSF_SF_EESJ_SZ_SK_SL_SM_EUlSZ_E_NS1_11comp_targetILNS1_3genE8ELNS1_11target_archE1030ELNS1_3gpuE2ELNS1_3repE0EEENS1_48merge_mergepath_partition_config_static_selectorELNS0_4arch9wavefront6targetE1EEEvSL_,@function
_ZN7rocprim17ROCPRIM_400000_NS6detail17trampoline_kernelINS0_14default_configENS1_38merge_sort_block_merge_config_selectorIsNS0_10empty_typeEEEZZNS1_27merge_sort_block_merge_implIS3_N6thrust23THRUST_200600_302600_NS6detail15normal_iteratorINS9_10device_ptrIsEEEEPS5_jNS1_19radix_merge_compareILb0ELb0EsNS0_19identity_decomposerEEEEE10hipError_tT0_T1_T2_jT3_P12ihipStream_tbPNSt15iterator_traitsISK_E10value_typeEPNSQ_ISL_E10value_typeEPSM_NS1_7vsmem_tEENKUlT_SK_SL_SM_E_clISE_PsSF_SF_EESJ_SZ_SK_SL_SM_EUlSZ_E_NS1_11comp_targetILNS1_3genE8ELNS1_11target_archE1030ELNS1_3gpuE2ELNS1_3repE0EEENS1_48merge_mergepath_partition_config_static_selectorELNS0_4arch9wavefront6targetE1EEEvSL_: ; @_ZN7rocprim17ROCPRIM_400000_NS6detail17trampoline_kernelINS0_14default_configENS1_38merge_sort_block_merge_config_selectorIsNS0_10empty_typeEEEZZNS1_27merge_sort_block_merge_implIS3_N6thrust23THRUST_200600_302600_NS6detail15normal_iteratorINS9_10device_ptrIsEEEEPS5_jNS1_19radix_merge_compareILb0ELb0EsNS0_19identity_decomposerEEEEE10hipError_tT0_T1_T2_jT3_P12ihipStream_tbPNSt15iterator_traitsISK_E10value_typeEPNSQ_ISL_E10value_typeEPSM_NS1_7vsmem_tEENKUlT_SK_SL_SM_E_clISE_PsSF_SF_EESJ_SZ_SK_SL_SM_EUlSZ_E_NS1_11comp_targetILNS1_3genE8ELNS1_11target_archE1030ELNS1_3gpuE2ELNS1_3repE0EEENS1_48merge_mergepath_partition_config_static_selectorELNS0_4arch9wavefront6targetE1EEEvSL_
; %bb.0:
	.section	.rodata,"a",@progbits
	.p2align	6, 0x0
	.amdhsa_kernel _ZN7rocprim17ROCPRIM_400000_NS6detail17trampoline_kernelINS0_14default_configENS1_38merge_sort_block_merge_config_selectorIsNS0_10empty_typeEEEZZNS1_27merge_sort_block_merge_implIS3_N6thrust23THRUST_200600_302600_NS6detail15normal_iteratorINS9_10device_ptrIsEEEEPS5_jNS1_19radix_merge_compareILb0ELb0EsNS0_19identity_decomposerEEEEE10hipError_tT0_T1_T2_jT3_P12ihipStream_tbPNSt15iterator_traitsISK_E10value_typeEPNSQ_ISL_E10value_typeEPSM_NS1_7vsmem_tEENKUlT_SK_SL_SM_E_clISE_PsSF_SF_EESJ_SZ_SK_SL_SM_EUlSZ_E_NS1_11comp_targetILNS1_3genE8ELNS1_11target_archE1030ELNS1_3gpuE2ELNS1_3repE0EEENS1_48merge_mergepath_partition_config_static_selectorELNS0_4arch9wavefront6targetE1EEEvSL_
		.amdhsa_group_segment_fixed_size 0
		.amdhsa_private_segment_fixed_size 0
		.amdhsa_kernarg_size 40
		.amdhsa_user_sgpr_count 6
		.amdhsa_user_sgpr_private_segment_buffer 1
		.amdhsa_user_sgpr_dispatch_ptr 0
		.amdhsa_user_sgpr_queue_ptr 0
		.amdhsa_user_sgpr_kernarg_segment_ptr 1
		.amdhsa_user_sgpr_dispatch_id 0
		.amdhsa_user_sgpr_flat_scratch_init 0
		.amdhsa_user_sgpr_kernarg_preload_length 0
		.amdhsa_user_sgpr_kernarg_preload_offset 0
		.amdhsa_user_sgpr_private_segment_size 0
		.amdhsa_uses_dynamic_stack 0
		.amdhsa_system_sgpr_private_segment_wavefront_offset 0
		.amdhsa_system_sgpr_workgroup_id_x 1
		.amdhsa_system_sgpr_workgroup_id_y 0
		.amdhsa_system_sgpr_workgroup_id_z 0
		.amdhsa_system_sgpr_workgroup_info 0
		.amdhsa_system_vgpr_workitem_id 0
		.amdhsa_next_free_vgpr 1
		.amdhsa_next_free_sgpr 0
		.amdhsa_accum_offset 4
		.amdhsa_reserve_vcc 0
		.amdhsa_reserve_flat_scratch 0
		.amdhsa_float_round_mode_32 0
		.amdhsa_float_round_mode_16_64 0
		.amdhsa_float_denorm_mode_32 3
		.amdhsa_float_denorm_mode_16_64 3
		.amdhsa_dx10_clamp 1
		.amdhsa_ieee_mode 1
		.amdhsa_fp16_overflow 0
		.amdhsa_tg_split 0
		.amdhsa_exception_fp_ieee_invalid_op 0
		.amdhsa_exception_fp_denorm_src 0
		.amdhsa_exception_fp_ieee_div_zero 0
		.amdhsa_exception_fp_ieee_overflow 0
		.amdhsa_exception_fp_ieee_underflow 0
		.amdhsa_exception_fp_ieee_inexact 0
		.amdhsa_exception_int_div_zero 0
	.end_amdhsa_kernel
	.section	.text._ZN7rocprim17ROCPRIM_400000_NS6detail17trampoline_kernelINS0_14default_configENS1_38merge_sort_block_merge_config_selectorIsNS0_10empty_typeEEEZZNS1_27merge_sort_block_merge_implIS3_N6thrust23THRUST_200600_302600_NS6detail15normal_iteratorINS9_10device_ptrIsEEEEPS5_jNS1_19radix_merge_compareILb0ELb0EsNS0_19identity_decomposerEEEEE10hipError_tT0_T1_T2_jT3_P12ihipStream_tbPNSt15iterator_traitsISK_E10value_typeEPNSQ_ISL_E10value_typeEPSM_NS1_7vsmem_tEENKUlT_SK_SL_SM_E_clISE_PsSF_SF_EESJ_SZ_SK_SL_SM_EUlSZ_E_NS1_11comp_targetILNS1_3genE8ELNS1_11target_archE1030ELNS1_3gpuE2ELNS1_3repE0EEENS1_48merge_mergepath_partition_config_static_selectorELNS0_4arch9wavefront6targetE1EEEvSL_,"axG",@progbits,_ZN7rocprim17ROCPRIM_400000_NS6detail17trampoline_kernelINS0_14default_configENS1_38merge_sort_block_merge_config_selectorIsNS0_10empty_typeEEEZZNS1_27merge_sort_block_merge_implIS3_N6thrust23THRUST_200600_302600_NS6detail15normal_iteratorINS9_10device_ptrIsEEEEPS5_jNS1_19radix_merge_compareILb0ELb0EsNS0_19identity_decomposerEEEEE10hipError_tT0_T1_T2_jT3_P12ihipStream_tbPNSt15iterator_traitsISK_E10value_typeEPNSQ_ISL_E10value_typeEPSM_NS1_7vsmem_tEENKUlT_SK_SL_SM_E_clISE_PsSF_SF_EESJ_SZ_SK_SL_SM_EUlSZ_E_NS1_11comp_targetILNS1_3genE8ELNS1_11target_archE1030ELNS1_3gpuE2ELNS1_3repE0EEENS1_48merge_mergepath_partition_config_static_selectorELNS0_4arch9wavefront6targetE1EEEvSL_,comdat
.Lfunc_end1849:
	.size	_ZN7rocprim17ROCPRIM_400000_NS6detail17trampoline_kernelINS0_14default_configENS1_38merge_sort_block_merge_config_selectorIsNS0_10empty_typeEEEZZNS1_27merge_sort_block_merge_implIS3_N6thrust23THRUST_200600_302600_NS6detail15normal_iteratorINS9_10device_ptrIsEEEEPS5_jNS1_19radix_merge_compareILb0ELb0EsNS0_19identity_decomposerEEEEE10hipError_tT0_T1_T2_jT3_P12ihipStream_tbPNSt15iterator_traitsISK_E10value_typeEPNSQ_ISL_E10value_typeEPSM_NS1_7vsmem_tEENKUlT_SK_SL_SM_E_clISE_PsSF_SF_EESJ_SZ_SK_SL_SM_EUlSZ_E_NS1_11comp_targetILNS1_3genE8ELNS1_11target_archE1030ELNS1_3gpuE2ELNS1_3repE0EEENS1_48merge_mergepath_partition_config_static_selectorELNS0_4arch9wavefront6targetE1EEEvSL_, .Lfunc_end1849-_ZN7rocprim17ROCPRIM_400000_NS6detail17trampoline_kernelINS0_14default_configENS1_38merge_sort_block_merge_config_selectorIsNS0_10empty_typeEEEZZNS1_27merge_sort_block_merge_implIS3_N6thrust23THRUST_200600_302600_NS6detail15normal_iteratorINS9_10device_ptrIsEEEEPS5_jNS1_19radix_merge_compareILb0ELb0EsNS0_19identity_decomposerEEEEE10hipError_tT0_T1_T2_jT3_P12ihipStream_tbPNSt15iterator_traitsISK_E10value_typeEPNSQ_ISL_E10value_typeEPSM_NS1_7vsmem_tEENKUlT_SK_SL_SM_E_clISE_PsSF_SF_EESJ_SZ_SK_SL_SM_EUlSZ_E_NS1_11comp_targetILNS1_3genE8ELNS1_11target_archE1030ELNS1_3gpuE2ELNS1_3repE0EEENS1_48merge_mergepath_partition_config_static_selectorELNS0_4arch9wavefront6targetE1EEEvSL_
                                        ; -- End function
	.section	.AMDGPU.csdata,"",@progbits
; Kernel info:
; codeLenInByte = 0
; NumSgprs: 4
; NumVgprs: 0
; NumAgprs: 0
; TotalNumVgprs: 0
; ScratchSize: 0
; MemoryBound: 0
; FloatMode: 240
; IeeeMode: 1
; LDSByteSize: 0 bytes/workgroup (compile time only)
; SGPRBlocks: 0
; VGPRBlocks: 0
; NumSGPRsForWavesPerEU: 4
; NumVGPRsForWavesPerEU: 1
; AccumOffset: 4
; Occupancy: 8
; WaveLimiterHint : 0
; COMPUTE_PGM_RSRC2:SCRATCH_EN: 0
; COMPUTE_PGM_RSRC2:USER_SGPR: 6
; COMPUTE_PGM_RSRC2:TRAP_HANDLER: 0
; COMPUTE_PGM_RSRC2:TGID_X_EN: 1
; COMPUTE_PGM_RSRC2:TGID_Y_EN: 0
; COMPUTE_PGM_RSRC2:TGID_Z_EN: 0
; COMPUTE_PGM_RSRC2:TIDIG_COMP_CNT: 0
; COMPUTE_PGM_RSRC3_GFX90A:ACCUM_OFFSET: 0
; COMPUTE_PGM_RSRC3_GFX90A:TG_SPLIT: 0
	.section	.text._ZN7rocprim17ROCPRIM_400000_NS6detail17trampoline_kernelINS0_14default_configENS1_38merge_sort_block_merge_config_selectorIsNS0_10empty_typeEEEZZNS1_27merge_sort_block_merge_implIS3_N6thrust23THRUST_200600_302600_NS6detail15normal_iteratorINS9_10device_ptrIsEEEEPS5_jNS1_19radix_merge_compareILb0ELb0EsNS0_19identity_decomposerEEEEE10hipError_tT0_T1_T2_jT3_P12ihipStream_tbPNSt15iterator_traitsISK_E10value_typeEPNSQ_ISL_E10value_typeEPSM_NS1_7vsmem_tEENKUlT_SK_SL_SM_E_clISE_PsSF_SF_EESJ_SZ_SK_SL_SM_EUlSZ_E0_NS1_11comp_targetILNS1_3genE0ELNS1_11target_archE4294967295ELNS1_3gpuE0ELNS1_3repE0EEENS1_38merge_mergepath_config_static_selectorELNS0_4arch9wavefront6targetE1EEEvSL_,"axG",@progbits,_ZN7rocprim17ROCPRIM_400000_NS6detail17trampoline_kernelINS0_14default_configENS1_38merge_sort_block_merge_config_selectorIsNS0_10empty_typeEEEZZNS1_27merge_sort_block_merge_implIS3_N6thrust23THRUST_200600_302600_NS6detail15normal_iteratorINS9_10device_ptrIsEEEEPS5_jNS1_19radix_merge_compareILb0ELb0EsNS0_19identity_decomposerEEEEE10hipError_tT0_T1_T2_jT3_P12ihipStream_tbPNSt15iterator_traitsISK_E10value_typeEPNSQ_ISL_E10value_typeEPSM_NS1_7vsmem_tEENKUlT_SK_SL_SM_E_clISE_PsSF_SF_EESJ_SZ_SK_SL_SM_EUlSZ_E0_NS1_11comp_targetILNS1_3genE0ELNS1_11target_archE4294967295ELNS1_3gpuE0ELNS1_3repE0EEENS1_38merge_mergepath_config_static_selectorELNS0_4arch9wavefront6targetE1EEEvSL_,comdat
	.protected	_ZN7rocprim17ROCPRIM_400000_NS6detail17trampoline_kernelINS0_14default_configENS1_38merge_sort_block_merge_config_selectorIsNS0_10empty_typeEEEZZNS1_27merge_sort_block_merge_implIS3_N6thrust23THRUST_200600_302600_NS6detail15normal_iteratorINS9_10device_ptrIsEEEEPS5_jNS1_19radix_merge_compareILb0ELb0EsNS0_19identity_decomposerEEEEE10hipError_tT0_T1_T2_jT3_P12ihipStream_tbPNSt15iterator_traitsISK_E10value_typeEPNSQ_ISL_E10value_typeEPSM_NS1_7vsmem_tEENKUlT_SK_SL_SM_E_clISE_PsSF_SF_EESJ_SZ_SK_SL_SM_EUlSZ_E0_NS1_11comp_targetILNS1_3genE0ELNS1_11target_archE4294967295ELNS1_3gpuE0ELNS1_3repE0EEENS1_38merge_mergepath_config_static_selectorELNS0_4arch9wavefront6targetE1EEEvSL_ ; -- Begin function _ZN7rocprim17ROCPRIM_400000_NS6detail17trampoline_kernelINS0_14default_configENS1_38merge_sort_block_merge_config_selectorIsNS0_10empty_typeEEEZZNS1_27merge_sort_block_merge_implIS3_N6thrust23THRUST_200600_302600_NS6detail15normal_iteratorINS9_10device_ptrIsEEEEPS5_jNS1_19radix_merge_compareILb0ELb0EsNS0_19identity_decomposerEEEEE10hipError_tT0_T1_T2_jT3_P12ihipStream_tbPNSt15iterator_traitsISK_E10value_typeEPNSQ_ISL_E10value_typeEPSM_NS1_7vsmem_tEENKUlT_SK_SL_SM_E_clISE_PsSF_SF_EESJ_SZ_SK_SL_SM_EUlSZ_E0_NS1_11comp_targetILNS1_3genE0ELNS1_11target_archE4294967295ELNS1_3gpuE0ELNS1_3repE0EEENS1_38merge_mergepath_config_static_selectorELNS0_4arch9wavefront6targetE1EEEvSL_
	.globl	_ZN7rocprim17ROCPRIM_400000_NS6detail17trampoline_kernelINS0_14default_configENS1_38merge_sort_block_merge_config_selectorIsNS0_10empty_typeEEEZZNS1_27merge_sort_block_merge_implIS3_N6thrust23THRUST_200600_302600_NS6detail15normal_iteratorINS9_10device_ptrIsEEEEPS5_jNS1_19radix_merge_compareILb0ELb0EsNS0_19identity_decomposerEEEEE10hipError_tT0_T1_T2_jT3_P12ihipStream_tbPNSt15iterator_traitsISK_E10value_typeEPNSQ_ISL_E10value_typeEPSM_NS1_7vsmem_tEENKUlT_SK_SL_SM_E_clISE_PsSF_SF_EESJ_SZ_SK_SL_SM_EUlSZ_E0_NS1_11comp_targetILNS1_3genE0ELNS1_11target_archE4294967295ELNS1_3gpuE0ELNS1_3repE0EEENS1_38merge_mergepath_config_static_selectorELNS0_4arch9wavefront6targetE1EEEvSL_
	.p2align	8
	.type	_ZN7rocprim17ROCPRIM_400000_NS6detail17trampoline_kernelINS0_14default_configENS1_38merge_sort_block_merge_config_selectorIsNS0_10empty_typeEEEZZNS1_27merge_sort_block_merge_implIS3_N6thrust23THRUST_200600_302600_NS6detail15normal_iteratorINS9_10device_ptrIsEEEEPS5_jNS1_19radix_merge_compareILb0ELb0EsNS0_19identity_decomposerEEEEE10hipError_tT0_T1_T2_jT3_P12ihipStream_tbPNSt15iterator_traitsISK_E10value_typeEPNSQ_ISL_E10value_typeEPSM_NS1_7vsmem_tEENKUlT_SK_SL_SM_E_clISE_PsSF_SF_EESJ_SZ_SK_SL_SM_EUlSZ_E0_NS1_11comp_targetILNS1_3genE0ELNS1_11target_archE4294967295ELNS1_3gpuE0ELNS1_3repE0EEENS1_38merge_mergepath_config_static_selectorELNS0_4arch9wavefront6targetE1EEEvSL_,@function
_ZN7rocprim17ROCPRIM_400000_NS6detail17trampoline_kernelINS0_14default_configENS1_38merge_sort_block_merge_config_selectorIsNS0_10empty_typeEEEZZNS1_27merge_sort_block_merge_implIS3_N6thrust23THRUST_200600_302600_NS6detail15normal_iteratorINS9_10device_ptrIsEEEEPS5_jNS1_19radix_merge_compareILb0ELb0EsNS0_19identity_decomposerEEEEE10hipError_tT0_T1_T2_jT3_P12ihipStream_tbPNSt15iterator_traitsISK_E10value_typeEPNSQ_ISL_E10value_typeEPSM_NS1_7vsmem_tEENKUlT_SK_SL_SM_E_clISE_PsSF_SF_EESJ_SZ_SK_SL_SM_EUlSZ_E0_NS1_11comp_targetILNS1_3genE0ELNS1_11target_archE4294967295ELNS1_3gpuE0ELNS1_3repE0EEENS1_38merge_mergepath_config_static_selectorELNS0_4arch9wavefront6targetE1EEEvSL_: ; @_ZN7rocprim17ROCPRIM_400000_NS6detail17trampoline_kernelINS0_14default_configENS1_38merge_sort_block_merge_config_selectorIsNS0_10empty_typeEEEZZNS1_27merge_sort_block_merge_implIS3_N6thrust23THRUST_200600_302600_NS6detail15normal_iteratorINS9_10device_ptrIsEEEEPS5_jNS1_19radix_merge_compareILb0ELb0EsNS0_19identity_decomposerEEEEE10hipError_tT0_T1_T2_jT3_P12ihipStream_tbPNSt15iterator_traitsISK_E10value_typeEPNSQ_ISL_E10value_typeEPSM_NS1_7vsmem_tEENKUlT_SK_SL_SM_E_clISE_PsSF_SF_EESJ_SZ_SK_SL_SM_EUlSZ_E0_NS1_11comp_targetILNS1_3genE0ELNS1_11target_archE4294967295ELNS1_3gpuE0ELNS1_3repE0EEENS1_38merge_mergepath_config_static_selectorELNS0_4arch9wavefront6targetE1EEEvSL_
; %bb.0:
	.section	.rodata,"a",@progbits
	.p2align	6, 0x0
	.amdhsa_kernel _ZN7rocprim17ROCPRIM_400000_NS6detail17trampoline_kernelINS0_14default_configENS1_38merge_sort_block_merge_config_selectorIsNS0_10empty_typeEEEZZNS1_27merge_sort_block_merge_implIS3_N6thrust23THRUST_200600_302600_NS6detail15normal_iteratorINS9_10device_ptrIsEEEEPS5_jNS1_19radix_merge_compareILb0ELb0EsNS0_19identity_decomposerEEEEE10hipError_tT0_T1_T2_jT3_P12ihipStream_tbPNSt15iterator_traitsISK_E10value_typeEPNSQ_ISL_E10value_typeEPSM_NS1_7vsmem_tEENKUlT_SK_SL_SM_E_clISE_PsSF_SF_EESJ_SZ_SK_SL_SM_EUlSZ_E0_NS1_11comp_targetILNS1_3genE0ELNS1_11target_archE4294967295ELNS1_3gpuE0ELNS1_3repE0EEENS1_38merge_mergepath_config_static_selectorELNS0_4arch9wavefront6targetE1EEEvSL_
		.amdhsa_group_segment_fixed_size 0
		.amdhsa_private_segment_fixed_size 0
		.amdhsa_kernarg_size 64
		.amdhsa_user_sgpr_count 6
		.amdhsa_user_sgpr_private_segment_buffer 1
		.amdhsa_user_sgpr_dispatch_ptr 0
		.amdhsa_user_sgpr_queue_ptr 0
		.amdhsa_user_sgpr_kernarg_segment_ptr 1
		.amdhsa_user_sgpr_dispatch_id 0
		.amdhsa_user_sgpr_flat_scratch_init 0
		.amdhsa_user_sgpr_kernarg_preload_length 0
		.amdhsa_user_sgpr_kernarg_preload_offset 0
		.amdhsa_user_sgpr_private_segment_size 0
		.amdhsa_uses_dynamic_stack 0
		.amdhsa_system_sgpr_private_segment_wavefront_offset 0
		.amdhsa_system_sgpr_workgroup_id_x 1
		.amdhsa_system_sgpr_workgroup_id_y 0
		.amdhsa_system_sgpr_workgroup_id_z 0
		.amdhsa_system_sgpr_workgroup_info 0
		.amdhsa_system_vgpr_workitem_id 0
		.amdhsa_next_free_vgpr 1
		.amdhsa_next_free_sgpr 0
		.amdhsa_accum_offset 4
		.amdhsa_reserve_vcc 0
		.amdhsa_reserve_flat_scratch 0
		.amdhsa_float_round_mode_32 0
		.amdhsa_float_round_mode_16_64 0
		.amdhsa_float_denorm_mode_32 3
		.amdhsa_float_denorm_mode_16_64 3
		.amdhsa_dx10_clamp 1
		.amdhsa_ieee_mode 1
		.amdhsa_fp16_overflow 0
		.amdhsa_tg_split 0
		.amdhsa_exception_fp_ieee_invalid_op 0
		.amdhsa_exception_fp_denorm_src 0
		.amdhsa_exception_fp_ieee_div_zero 0
		.amdhsa_exception_fp_ieee_overflow 0
		.amdhsa_exception_fp_ieee_underflow 0
		.amdhsa_exception_fp_ieee_inexact 0
		.amdhsa_exception_int_div_zero 0
	.end_amdhsa_kernel
	.section	.text._ZN7rocprim17ROCPRIM_400000_NS6detail17trampoline_kernelINS0_14default_configENS1_38merge_sort_block_merge_config_selectorIsNS0_10empty_typeEEEZZNS1_27merge_sort_block_merge_implIS3_N6thrust23THRUST_200600_302600_NS6detail15normal_iteratorINS9_10device_ptrIsEEEEPS5_jNS1_19radix_merge_compareILb0ELb0EsNS0_19identity_decomposerEEEEE10hipError_tT0_T1_T2_jT3_P12ihipStream_tbPNSt15iterator_traitsISK_E10value_typeEPNSQ_ISL_E10value_typeEPSM_NS1_7vsmem_tEENKUlT_SK_SL_SM_E_clISE_PsSF_SF_EESJ_SZ_SK_SL_SM_EUlSZ_E0_NS1_11comp_targetILNS1_3genE0ELNS1_11target_archE4294967295ELNS1_3gpuE0ELNS1_3repE0EEENS1_38merge_mergepath_config_static_selectorELNS0_4arch9wavefront6targetE1EEEvSL_,"axG",@progbits,_ZN7rocprim17ROCPRIM_400000_NS6detail17trampoline_kernelINS0_14default_configENS1_38merge_sort_block_merge_config_selectorIsNS0_10empty_typeEEEZZNS1_27merge_sort_block_merge_implIS3_N6thrust23THRUST_200600_302600_NS6detail15normal_iteratorINS9_10device_ptrIsEEEEPS5_jNS1_19radix_merge_compareILb0ELb0EsNS0_19identity_decomposerEEEEE10hipError_tT0_T1_T2_jT3_P12ihipStream_tbPNSt15iterator_traitsISK_E10value_typeEPNSQ_ISL_E10value_typeEPSM_NS1_7vsmem_tEENKUlT_SK_SL_SM_E_clISE_PsSF_SF_EESJ_SZ_SK_SL_SM_EUlSZ_E0_NS1_11comp_targetILNS1_3genE0ELNS1_11target_archE4294967295ELNS1_3gpuE0ELNS1_3repE0EEENS1_38merge_mergepath_config_static_selectorELNS0_4arch9wavefront6targetE1EEEvSL_,comdat
.Lfunc_end1850:
	.size	_ZN7rocprim17ROCPRIM_400000_NS6detail17trampoline_kernelINS0_14default_configENS1_38merge_sort_block_merge_config_selectorIsNS0_10empty_typeEEEZZNS1_27merge_sort_block_merge_implIS3_N6thrust23THRUST_200600_302600_NS6detail15normal_iteratorINS9_10device_ptrIsEEEEPS5_jNS1_19radix_merge_compareILb0ELb0EsNS0_19identity_decomposerEEEEE10hipError_tT0_T1_T2_jT3_P12ihipStream_tbPNSt15iterator_traitsISK_E10value_typeEPNSQ_ISL_E10value_typeEPSM_NS1_7vsmem_tEENKUlT_SK_SL_SM_E_clISE_PsSF_SF_EESJ_SZ_SK_SL_SM_EUlSZ_E0_NS1_11comp_targetILNS1_3genE0ELNS1_11target_archE4294967295ELNS1_3gpuE0ELNS1_3repE0EEENS1_38merge_mergepath_config_static_selectorELNS0_4arch9wavefront6targetE1EEEvSL_, .Lfunc_end1850-_ZN7rocprim17ROCPRIM_400000_NS6detail17trampoline_kernelINS0_14default_configENS1_38merge_sort_block_merge_config_selectorIsNS0_10empty_typeEEEZZNS1_27merge_sort_block_merge_implIS3_N6thrust23THRUST_200600_302600_NS6detail15normal_iteratorINS9_10device_ptrIsEEEEPS5_jNS1_19radix_merge_compareILb0ELb0EsNS0_19identity_decomposerEEEEE10hipError_tT0_T1_T2_jT3_P12ihipStream_tbPNSt15iterator_traitsISK_E10value_typeEPNSQ_ISL_E10value_typeEPSM_NS1_7vsmem_tEENKUlT_SK_SL_SM_E_clISE_PsSF_SF_EESJ_SZ_SK_SL_SM_EUlSZ_E0_NS1_11comp_targetILNS1_3genE0ELNS1_11target_archE4294967295ELNS1_3gpuE0ELNS1_3repE0EEENS1_38merge_mergepath_config_static_selectorELNS0_4arch9wavefront6targetE1EEEvSL_
                                        ; -- End function
	.section	.AMDGPU.csdata,"",@progbits
; Kernel info:
; codeLenInByte = 0
; NumSgprs: 4
; NumVgprs: 0
; NumAgprs: 0
; TotalNumVgprs: 0
; ScratchSize: 0
; MemoryBound: 0
; FloatMode: 240
; IeeeMode: 1
; LDSByteSize: 0 bytes/workgroup (compile time only)
; SGPRBlocks: 0
; VGPRBlocks: 0
; NumSGPRsForWavesPerEU: 4
; NumVGPRsForWavesPerEU: 1
; AccumOffset: 4
; Occupancy: 8
; WaveLimiterHint : 0
; COMPUTE_PGM_RSRC2:SCRATCH_EN: 0
; COMPUTE_PGM_RSRC2:USER_SGPR: 6
; COMPUTE_PGM_RSRC2:TRAP_HANDLER: 0
; COMPUTE_PGM_RSRC2:TGID_X_EN: 1
; COMPUTE_PGM_RSRC2:TGID_Y_EN: 0
; COMPUTE_PGM_RSRC2:TGID_Z_EN: 0
; COMPUTE_PGM_RSRC2:TIDIG_COMP_CNT: 0
; COMPUTE_PGM_RSRC3_GFX90A:ACCUM_OFFSET: 0
; COMPUTE_PGM_RSRC3_GFX90A:TG_SPLIT: 0
	.section	.text._ZN7rocprim17ROCPRIM_400000_NS6detail17trampoline_kernelINS0_14default_configENS1_38merge_sort_block_merge_config_selectorIsNS0_10empty_typeEEEZZNS1_27merge_sort_block_merge_implIS3_N6thrust23THRUST_200600_302600_NS6detail15normal_iteratorINS9_10device_ptrIsEEEEPS5_jNS1_19radix_merge_compareILb0ELb0EsNS0_19identity_decomposerEEEEE10hipError_tT0_T1_T2_jT3_P12ihipStream_tbPNSt15iterator_traitsISK_E10value_typeEPNSQ_ISL_E10value_typeEPSM_NS1_7vsmem_tEENKUlT_SK_SL_SM_E_clISE_PsSF_SF_EESJ_SZ_SK_SL_SM_EUlSZ_E0_NS1_11comp_targetILNS1_3genE10ELNS1_11target_archE1201ELNS1_3gpuE5ELNS1_3repE0EEENS1_38merge_mergepath_config_static_selectorELNS0_4arch9wavefront6targetE1EEEvSL_,"axG",@progbits,_ZN7rocprim17ROCPRIM_400000_NS6detail17trampoline_kernelINS0_14default_configENS1_38merge_sort_block_merge_config_selectorIsNS0_10empty_typeEEEZZNS1_27merge_sort_block_merge_implIS3_N6thrust23THRUST_200600_302600_NS6detail15normal_iteratorINS9_10device_ptrIsEEEEPS5_jNS1_19radix_merge_compareILb0ELb0EsNS0_19identity_decomposerEEEEE10hipError_tT0_T1_T2_jT3_P12ihipStream_tbPNSt15iterator_traitsISK_E10value_typeEPNSQ_ISL_E10value_typeEPSM_NS1_7vsmem_tEENKUlT_SK_SL_SM_E_clISE_PsSF_SF_EESJ_SZ_SK_SL_SM_EUlSZ_E0_NS1_11comp_targetILNS1_3genE10ELNS1_11target_archE1201ELNS1_3gpuE5ELNS1_3repE0EEENS1_38merge_mergepath_config_static_selectorELNS0_4arch9wavefront6targetE1EEEvSL_,comdat
	.protected	_ZN7rocprim17ROCPRIM_400000_NS6detail17trampoline_kernelINS0_14default_configENS1_38merge_sort_block_merge_config_selectorIsNS0_10empty_typeEEEZZNS1_27merge_sort_block_merge_implIS3_N6thrust23THRUST_200600_302600_NS6detail15normal_iteratorINS9_10device_ptrIsEEEEPS5_jNS1_19radix_merge_compareILb0ELb0EsNS0_19identity_decomposerEEEEE10hipError_tT0_T1_T2_jT3_P12ihipStream_tbPNSt15iterator_traitsISK_E10value_typeEPNSQ_ISL_E10value_typeEPSM_NS1_7vsmem_tEENKUlT_SK_SL_SM_E_clISE_PsSF_SF_EESJ_SZ_SK_SL_SM_EUlSZ_E0_NS1_11comp_targetILNS1_3genE10ELNS1_11target_archE1201ELNS1_3gpuE5ELNS1_3repE0EEENS1_38merge_mergepath_config_static_selectorELNS0_4arch9wavefront6targetE1EEEvSL_ ; -- Begin function _ZN7rocprim17ROCPRIM_400000_NS6detail17trampoline_kernelINS0_14default_configENS1_38merge_sort_block_merge_config_selectorIsNS0_10empty_typeEEEZZNS1_27merge_sort_block_merge_implIS3_N6thrust23THRUST_200600_302600_NS6detail15normal_iteratorINS9_10device_ptrIsEEEEPS5_jNS1_19radix_merge_compareILb0ELb0EsNS0_19identity_decomposerEEEEE10hipError_tT0_T1_T2_jT3_P12ihipStream_tbPNSt15iterator_traitsISK_E10value_typeEPNSQ_ISL_E10value_typeEPSM_NS1_7vsmem_tEENKUlT_SK_SL_SM_E_clISE_PsSF_SF_EESJ_SZ_SK_SL_SM_EUlSZ_E0_NS1_11comp_targetILNS1_3genE10ELNS1_11target_archE1201ELNS1_3gpuE5ELNS1_3repE0EEENS1_38merge_mergepath_config_static_selectorELNS0_4arch9wavefront6targetE1EEEvSL_
	.globl	_ZN7rocprim17ROCPRIM_400000_NS6detail17trampoline_kernelINS0_14default_configENS1_38merge_sort_block_merge_config_selectorIsNS0_10empty_typeEEEZZNS1_27merge_sort_block_merge_implIS3_N6thrust23THRUST_200600_302600_NS6detail15normal_iteratorINS9_10device_ptrIsEEEEPS5_jNS1_19radix_merge_compareILb0ELb0EsNS0_19identity_decomposerEEEEE10hipError_tT0_T1_T2_jT3_P12ihipStream_tbPNSt15iterator_traitsISK_E10value_typeEPNSQ_ISL_E10value_typeEPSM_NS1_7vsmem_tEENKUlT_SK_SL_SM_E_clISE_PsSF_SF_EESJ_SZ_SK_SL_SM_EUlSZ_E0_NS1_11comp_targetILNS1_3genE10ELNS1_11target_archE1201ELNS1_3gpuE5ELNS1_3repE0EEENS1_38merge_mergepath_config_static_selectorELNS0_4arch9wavefront6targetE1EEEvSL_
	.p2align	8
	.type	_ZN7rocprim17ROCPRIM_400000_NS6detail17trampoline_kernelINS0_14default_configENS1_38merge_sort_block_merge_config_selectorIsNS0_10empty_typeEEEZZNS1_27merge_sort_block_merge_implIS3_N6thrust23THRUST_200600_302600_NS6detail15normal_iteratorINS9_10device_ptrIsEEEEPS5_jNS1_19radix_merge_compareILb0ELb0EsNS0_19identity_decomposerEEEEE10hipError_tT0_T1_T2_jT3_P12ihipStream_tbPNSt15iterator_traitsISK_E10value_typeEPNSQ_ISL_E10value_typeEPSM_NS1_7vsmem_tEENKUlT_SK_SL_SM_E_clISE_PsSF_SF_EESJ_SZ_SK_SL_SM_EUlSZ_E0_NS1_11comp_targetILNS1_3genE10ELNS1_11target_archE1201ELNS1_3gpuE5ELNS1_3repE0EEENS1_38merge_mergepath_config_static_selectorELNS0_4arch9wavefront6targetE1EEEvSL_,@function
_ZN7rocprim17ROCPRIM_400000_NS6detail17trampoline_kernelINS0_14default_configENS1_38merge_sort_block_merge_config_selectorIsNS0_10empty_typeEEEZZNS1_27merge_sort_block_merge_implIS3_N6thrust23THRUST_200600_302600_NS6detail15normal_iteratorINS9_10device_ptrIsEEEEPS5_jNS1_19radix_merge_compareILb0ELb0EsNS0_19identity_decomposerEEEEE10hipError_tT0_T1_T2_jT3_P12ihipStream_tbPNSt15iterator_traitsISK_E10value_typeEPNSQ_ISL_E10value_typeEPSM_NS1_7vsmem_tEENKUlT_SK_SL_SM_E_clISE_PsSF_SF_EESJ_SZ_SK_SL_SM_EUlSZ_E0_NS1_11comp_targetILNS1_3genE10ELNS1_11target_archE1201ELNS1_3gpuE5ELNS1_3repE0EEENS1_38merge_mergepath_config_static_selectorELNS0_4arch9wavefront6targetE1EEEvSL_: ; @_ZN7rocprim17ROCPRIM_400000_NS6detail17trampoline_kernelINS0_14default_configENS1_38merge_sort_block_merge_config_selectorIsNS0_10empty_typeEEEZZNS1_27merge_sort_block_merge_implIS3_N6thrust23THRUST_200600_302600_NS6detail15normal_iteratorINS9_10device_ptrIsEEEEPS5_jNS1_19radix_merge_compareILb0ELb0EsNS0_19identity_decomposerEEEEE10hipError_tT0_T1_T2_jT3_P12ihipStream_tbPNSt15iterator_traitsISK_E10value_typeEPNSQ_ISL_E10value_typeEPSM_NS1_7vsmem_tEENKUlT_SK_SL_SM_E_clISE_PsSF_SF_EESJ_SZ_SK_SL_SM_EUlSZ_E0_NS1_11comp_targetILNS1_3genE10ELNS1_11target_archE1201ELNS1_3gpuE5ELNS1_3repE0EEENS1_38merge_mergepath_config_static_selectorELNS0_4arch9wavefront6targetE1EEEvSL_
; %bb.0:
	.section	.rodata,"a",@progbits
	.p2align	6, 0x0
	.amdhsa_kernel _ZN7rocprim17ROCPRIM_400000_NS6detail17trampoline_kernelINS0_14default_configENS1_38merge_sort_block_merge_config_selectorIsNS0_10empty_typeEEEZZNS1_27merge_sort_block_merge_implIS3_N6thrust23THRUST_200600_302600_NS6detail15normal_iteratorINS9_10device_ptrIsEEEEPS5_jNS1_19radix_merge_compareILb0ELb0EsNS0_19identity_decomposerEEEEE10hipError_tT0_T1_T2_jT3_P12ihipStream_tbPNSt15iterator_traitsISK_E10value_typeEPNSQ_ISL_E10value_typeEPSM_NS1_7vsmem_tEENKUlT_SK_SL_SM_E_clISE_PsSF_SF_EESJ_SZ_SK_SL_SM_EUlSZ_E0_NS1_11comp_targetILNS1_3genE10ELNS1_11target_archE1201ELNS1_3gpuE5ELNS1_3repE0EEENS1_38merge_mergepath_config_static_selectorELNS0_4arch9wavefront6targetE1EEEvSL_
		.amdhsa_group_segment_fixed_size 0
		.amdhsa_private_segment_fixed_size 0
		.amdhsa_kernarg_size 64
		.amdhsa_user_sgpr_count 6
		.amdhsa_user_sgpr_private_segment_buffer 1
		.amdhsa_user_sgpr_dispatch_ptr 0
		.amdhsa_user_sgpr_queue_ptr 0
		.amdhsa_user_sgpr_kernarg_segment_ptr 1
		.amdhsa_user_sgpr_dispatch_id 0
		.amdhsa_user_sgpr_flat_scratch_init 0
		.amdhsa_user_sgpr_kernarg_preload_length 0
		.amdhsa_user_sgpr_kernarg_preload_offset 0
		.amdhsa_user_sgpr_private_segment_size 0
		.amdhsa_uses_dynamic_stack 0
		.amdhsa_system_sgpr_private_segment_wavefront_offset 0
		.amdhsa_system_sgpr_workgroup_id_x 1
		.amdhsa_system_sgpr_workgroup_id_y 0
		.amdhsa_system_sgpr_workgroup_id_z 0
		.amdhsa_system_sgpr_workgroup_info 0
		.amdhsa_system_vgpr_workitem_id 0
		.amdhsa_next_free_vgpr 1
		.amdhsa_next_free_sgpr 0
		.amdhsa_accum_offset 4
		.amdhsa_reserve_vcc 0
		.amdhsa_reserve_flat_scratch 0
		.amdhsa_float_round_mode_32 0
		.amdhsa_float_round_mode_16_64 0
		.amdhsa_float_denorm_mode_32 3
		.amdhsa_float_denorm_mode_16_64 3
		.amdhsa_dx10_clamp 1
		.amdhsa_ieee_mode 1
		.amdhsa_fp16_overflow 0
		.amdhsa_tg_split 0
		.amdhsa_exception_fp_ieee_invalid_op 0
		.amdhsa_exception_fp_denorm_src 0
		.amdhsa_exception_fp_ieee_div_zero 0
		.amdhsa_exception_fp_ieee_overflow 0
		.amdhsa_exception_fp_ieee_underflow 0
		.amdhsa_exception_fp_ieee_inexact 0
		.amdhsa_exception_int_div_zero 0
	.end_amdhsa_kernel
	.section	.text._ZN7rocprim17ROCPRIM_400000_NS6detail17trampoline_kernelINS0_14default_configENS1_38merge_sort_block_merge_config_selectorIsNS0_10empty_typeEEEZZNS1_27merge_sort_block_merge_implIS3_N6thrust23THRUST_200600_302600_NS6detail15normal_iteratorINS9_10device_ptrIsEEEEPS5_jNS1_19radix_merge_compareILb0ELb0EsNS0_19identity_decomposerEEEEE10hipError_tT0_T1_T2_jT3_P12ihipStream_tbPNSt15iterator_traitsISK_E10value_typeEPNSQ_ISL_E10value_typeEPSM_NS1_7vsmem_tEENKUlT_SK_SL_SM_E_clISE_PsSF_SF_EESJ_SZ_SK_SL_SM_EUlSZ_E0_NS1_11comp_targetILNS1_3genE10ELNS1_11target_archE1201ELNS1_3gpuE5ELNS1_3repE0EEENS1_38merge_mergepath_config_static_selectorELNS0_4arch9wavefront6targetE1EEEvSL_,"axG",@progbits,_ZN7rocprim17ROCPRIM_400000_NS6detail17trampoline_kernelINS0_14default_configENS1_38merge_sort_block_merge_config_selectorIsNS0_10empty_typeEEEZZNS1_27merge_sort_block_merge_implIS3_N6thrust23THRUST_200600_302600_NS6detail15normal_iteratorINS9_10device_ptrIsEEEEPS5_jNS1_19radix_merge_compareILb0ELb0EsNS0_19identity_decomposerEEEEE10hipError_tT0_T1_T2_jT3_P12ihipStream_tbPNSt15iterator_traitsISK_E10value_typeEPNSQ_ISL_E10value_typeEPSM_NS1_7vsmem_tEENKUlT_SK_SL_SM_E_clISE_PsSF_SF_EESJ_SZ_SK_SL_SM_EUlSZ_E0_NS1_11comp_targetILNS1_3genE10ELNS1_11target_archE1201ELNS1_3gpuE5ELNS1_3repE0EEENS1_38merge_mergepath_config_static_selectorELNS0_4arch9wavefront6targetE1EEEvSL_,comdat
.Lfunc_end1851:
	.size	_ZN7rocprim17ROCPRIM_400000_NS6detail17trampoline_kernelINS0_14default_configENS1_38merge_sort_block_merge_config_selectorIsNS0_10empty_typeEEEZZNS1_27merge_sort_block_merge_implIS3_N6thrust23THRUST_200600_302600_NS6detail15normal_iteratorINS9_10device_ptrIsEEEEPS5_jNS1_19radix_merge_compareILb0ELb0EsNS0_19identity_decomposerEEEEE10hipError_tT0_T1_T2_jT3_P12ihipStream_tbPNSt15iterator_traitsISK_E10value_typeEPNSQ_ISL_E10value_typeEPSM_NS1_7vsmem_tEENKUlT_SK_SL_SM_E_clISE_PsSF_SF_EESJ_SZ_SK_SL_SM_EUlSZ_E0_NS1_11comp_targetILNS1_3genE10ELNS1_11target_archE1201ELNS1_3gpuE5ELNS1_3repE0EEENS1_38merge_mergepath_config_static_selectorELNS0_4arch9wavefront6targetE1EEEvSL_, .Lfunc_end1851-_ZN7rocprim17ROCPRIM_400000_NS6detail17trampoline_kernelINS0_14default_configENS1_38merge_sort_block_merge_config_selectorIsNS0_10empty_typeEEEZZNS1_27merge_sort_block_merge_implIS3_N6thrust23THRUST_200600_302600_NS6detail15normal_iteratorINS9_10device_ptrIsEEEEPS5_jNS1_19radix_merge_compareILb0ELb0EsNS0_19identity_decomposerEEEEE10hipError_tT0_T1_T2_jT3_P12ihipStream_tbPNSt15iterator_traitsISK_E10value_typeEPNSQ_ISL_E10value_typeEPSM_NS1_7vsmem_tEENKUlT_SK_SL_SM_E_clISE_PsSF_SF_EESJ_SZ_SK_SL_SM_EUlSZ_E0_NS1_11comp_targetILNS1_3genE10ELNS1_11target_archE1201ELNS1_3gpuE5ELNS1_3repE0EEENS1_38merge_mergepath_config_static_selectorELNS0_4arch9wavefront6targetE1EEEvSL_
                                        ; -- End function
	.section	.AMDGPU.csdata,"",@progbits
; Kernel info:
; codeLenInByte = 0
; NumSgprs: 4
; NumVgprs: 0
; NumAgprs: 0
; TotalNumVgprs: 0
; ScratchSize: 0
; MemoryBound: 0
; FloatMode: 240
; IeeeMode: 1
; LDSByteSize: 0 bytes/workgroup (compile time only)
; SGPRBlocks: 0
; VGPRBlocks: 0
; NumSGPRsForWavesPerEU: 4
; NumVGPRsForWavesPerEU: 1
; AccumOffset: 4
; Occupancy: 8
; WaveLimiterHint : 0
; COMPUTE_PGM_RSRC2:SCRATCH_EN: 0
; COMPUTE_PGM_RSRC2:USER_SGPR: 6
; COMPUTE_PGM_RSRC2:TRAP_HANDLER: 0
; COMPUTE_PGM_RSRC2:TGID_X_EN: 1
; COMPUTE_PGM_RSRC2:TGID_Y_EN: 0
; COMPUTE_PGM_RSRC2:TGID_Z_EN: 0
; COMPUTE_PGM_RSRC2:TIDIG_COMP_CNT: 0
; COMPUTE_PGM_RSRC3_GFX90A:ACCUM_OFFSET: 0
; COMPUTE_PGM_RSRC3_GFX90A:TG_SPLIT: 0
	.section	.text._ZN7rocprim17ROCPRIM_400000_NS6detail17trampoline_kernelINS0_14default_configENS1_38merge_sort_block_merge_config_selectorIsNS0_10empty_typeEEEZZNS1_27merge_sort_block_merge_implIS3_N6thrust23THRUST_200600_302600_NS6detail15normal_iteratorINS9_10device_ptrIsEEEEPS5_jNS1_19radix_merge_compareILb0ELb0EsNS0_19identity_decomposerEEEEE10hipError_tT0_T1_T2_jT3_P12ihipStream_tbPNSt15iterator_traitsISK_E10value_typeEPNSQ_ISL_E10value_typeEPSM_NS1_7vsmem_tEENKUlT_SK_SL_SM_E_clISE_PsSF_SF_EESJ_SZ_SK_SL_SM_EUlSZ_E0_NS1_11comp_targetILNS1_3genE5ELNS1_11target_archE942ELNS1_3gpuE9ELNS1_3repE0EEENS1_38merge_mergepath_config_static_selectorELNS0_4arch9wavefront6targetE1EEEvSL_,"axG",@progbits,_ZN7rocprim17ROCPRIM_400000_NS6detail17trampoline_kernelINS0_14default_configENS1_38merge_sort_block_merge_config_selectorIsNS0_10empty_typeEEEZZNS1_27merge_sort_block_merge_implIS3_N6thrust23THRUST_200600_302600_NS6detail15normal_iteratorINS9_10device_ptrIsEEEEPS5_jNS1_19radix_merge_compareILb0ELb0EsNS0_19identity_decomposerEEEEE10hipError_tT0_T1_T2_jT3_P12ihipStream_tbPNSt15iterator_traitsISK_E10value_typeEPNSQ_ISL_E10value_typeEPSM_NS1_7vsmem_tEENKUlT_SK_SL_SM_E_clISE_PsSF_SF_EESJ_SZ_SK_SL_SM_EUlSZ_E0_NS1_11comp_targetILNS1_3genE5ELNS1_11target_archE942ELNS1_3gpuE9ELNS1_3repE0EEENS1_38merge_mergepath_config_static_selectorELNS0_4arch9wavefront6targetE1EEEvSL_,comdat
	.protected	_ZN7rocprim17ROCPRIM_400000_NS6detail17trampoline_kernelINS0_14default_configENS1_38merge_sort_block_merge_config_selectorIsNS0_10empty_typeEEEZZNS1_27merge_sort_block_merge_implIS3_N6thrust23THRUST_200600_302600_NS6detail15normal_iteratorINS9_10device_ptrIsEEEEPS5_jNS1_19radix_merge_compareILb0ELb0EsNS0_19identity_decomposerEEEEE10hipError_tT0_T1_T2_jT3_P12ihipStream_tbPNSt15iterator_traitsISK_E10value_typeEPNSQ_ISL_E10value_typeEPSM_NS1_7vsmem_tEENKUlT_SK_SL_SM_E_clISE_PsSF_SF_EESJ_SZ_SK_SL_SM_EUlSZ_E0_NS1_11comp_targetILNS1_3genE5ELNS1_11target_archE942ELNS1_3gpuE9ELNS1_3repE0EEENS1_38merge_mergepath_config_static_selectorELNS0_4arch9wavefront6targetE1EEEvSL_ ; -- Begin function _ZN7rocprim17ROCPRIM_400000_NS6detail17trampoline_kernelINS0_14default_configENS1_38merge_sort_block_merge_config_selectorIsNS0_10empty_typeEEEZZNS1_27merge_sort_block_merge_implIS3_N6thrust23THRUST_200600_302600_NS6detail15normal_iteratorINS9_10device_ptrIsEEEEPS5_jNS1_19radix_merge_compareILb0ELb0EsNS0_19identity_decomposerEEEEE10hipError_tT0_T1_T2_jT3_P12ihipStream_tbPNSt15iterator_traitsISK_E10value_typeEPNSQ_ISL_E10value_typeEPSM_NS1_7vsmem_tEENKUlT_SK_SL_SM_E_clISE_PsSF_SF_EESJ_SZ_SK_SL_SM_EUlSZ_E0_NS1_11comp_targetILNS1_3genE5ELNS1_11target_archE942ELNS1_3gpuE9ELNS1_3repE0EEENS1_38merge_mergepath_config_static_selectorELNS0_4arch9wavefront6targetE1EEEvSL_
	.globl	_ZN7rocprim17ROCPRIM_400000_NS6detail17trampoline_kernelINS0_14default_configENS1_38merge_sort_block_merge_config_selectorIsNS0_10empty_typeEEEZZNS1_27merge_sort_block_merge_implIS3_N6thrust23THRUST_200600_302600_NS6detail15normal_iteratorINS9_10device_ptrIsEEEEPS5_jNS1_19radix_merge_compareILb0ELb0EsNS0_19identity_decomposerEEEEE10hipError_tT0_T1_T2_jT3_P12ihipStream_tbPNSt15iterator_traitsISK_E10value_typeEPNSQ_ISL_E10value_typeEPSM_NS1_7vsmem_tEENKUlT_SK_SL_SM_E_clISE_PsSF_SF_EESJ_SZ_SK_SL_SM_EUlSZ_E0_NS1_11comp_targetILNS1_3genE5ELNS1_11target_archE942ELNS1_3gpuE9ELNS1_3repE0EEENS1_38merge_mergepath_config_static_selectorELNS0_4arch9wavefront6targetE1EEEvSL_
	.p2align	8
	.type	_ZN7rocprim17ROCPRIM_400000_NS6detail17trampoline_kernelINS0_14default_configENS1_38merge_sort_block_merge_config_selectorIsNS0_10empty_typeEEEZZNS1_27merge_sort_block_merge_implIS3_N6thrust23THRUST_200600_302600_NS6detail15normal_iteratorINS9_10device_ptrIsEEEEPS5_jNS1_19radix_merge_compareILb0ELb0EsNS0_19identity_decomposerEEEEE10hipError_tT0_T1_T2_jT3_P12ihipStream_tbPNSt15iterator_traitsISK_E10value_typeEPNSQ_ISL_E10value_typeEPSM_NS1_7vsmem_tEENKUlT_SK_SL_SM_E_clISE_PsSF_SF_EESJ_SZ_SK_SL_SM_EUlSZ_E0_NS1_11comp_targetILNS1_3genE5ELNS1_11target_archE942ELNS1_3gpuE9ELNS1_3repE0EEENS1_38merge_mergepath_config_static_selectorELNS0_4arch9wavefront6targetE1EEEvSL_,@function
_ZN7rocprim17ROCPRIM_400000_NS6detail17trampoline_kernelINS0_14default_configENS1_38merge_sort_block_merge_config_selectorIsNS0_10empty_typeEEEZZNS1_27merge_sort_block_merge_implIS3_N6thrust23THRUST_200600_302600_NS6detail15normal_iteratorINS9_10device_ptrIsEEEEPS5_jNS1_19radix_merge_compareILb0ELb0EsNS0_19identity_decomposerEEEEE10hipError_tT0_T1_T2_jT3_P12ihipStream_tbPNSt15iterator_traitsISK_E10value_typeEPNSQ_ISL_E10value_typeEPSM_NS1_7vsmem_tEENKUlT_SK_SL_SM_E_clISE_PsSF_SF_EESJ_SZ_SK_SL_SM_EUlSZ_E0_NS1_11comp_targetILNS1_3genE5ELNS1_11target_archE942ELNS1_3gpuE9ELNS1_3repE0EEENS1_38merge_mergepath_config_static_selectorELNS0_4arch9wavefront6targetE1EEEvSL_: ; @_ZN7rocprim17ROCPRIM_400000_NS6detail17trampoline_kernelINS0_14default_configENS1_38merge_sort_block_merge_config_selectorIsNS0_10empty_typeEEEZZNS1_27merge_sort_block_merge_implIS3_N6thrust23THRUST_200600_302600_NS6detail15normal_iteratorINS9_10device_ptrIsEEEEPS5_jNS1_19radix_merge_compareILb0ELb0EsNS0_19identity_decomposerEEEEE10hipError_tT0_T1_T2_jT3_P12ihipStream_tbPNSt15iterator_traitsISK_E10value_typeEPNSQ_ISL_E10value_typeEPSM_NS1_7vsmem_tEENKUlT_SK_SL_SM_E_clISE_PsSF_SF_EESJ_SZ_SK_SL_SM_EUlSZ_E0_NS1_11comp_targetILNS1_3genE5ELNS1_11target_archE942ELNS1_3gpuE9ELNS1_3repE0EEENS1_38merge_mergepath_config_static_selectorELNS0_4arch9wavefront6targetE1EEEvSL_
; %bb.0:
	.section	.rodata,"a",@progbits
	.p2align	6, 0x0
	.amdhsa_kernel _ZN7rocprim17ROCPRIM_400000_NS6detail17trampoline_kernelINS0_14default_configENS1_38merge_sort_block_merge_config_selectorIsNS0_10empty_typeEEEZZNS1_27merge_sort_block_merge_implIS3_N6thrust23THRUST_200600_302600_NS6detail15normal_iteratorINS9_10device_ptrIsEEEEPS5_jNS1_19radix_merge_compareILb0ELb0EsNS0_19identity_decomposerEEEEE10hipError_tT0_T1_T2_jT3_P12ihipStream_tbPNSt15iterator_traitsISK_E10value_typeEPNSQ_ISL_E10value_typeEPSM_NS1_7vsmem_tEENKUlT_SK_SL_SM_E_clISE_PsSF_SF_EESJ_SZ_SK_SL_SM_EUlSZ_E0_NS1_11comp_targetILNS1_3genE5ELNS1_11target_archE942ELNS1_3gpuE9ELNS1_3repE0EEENS1_38merge_mergepath_config_static_selectorELNS0_4arch9wavefront6targetE1EEEvSL_
		.amdhsa_group_segment_fixed_size 0
		.amdhsa_private_segment_fixed_size 0
		.amdhsa_kernarg_size 64
		.amdhsa_user_sgpr_count 6
		.amdhsa_user_sgpr_private_segment_buffer 1
		.amdhsa_user_sgpr_dispatch_ptr 0
		.amdhsa_user_sgpr_queue_ptr 0
		.amdhsa_user_sgpr_kernarg_segment_ptr 1
		.amdhsa_user_sgpr_dispatch_id 0
		.amdhsa_user_sgpr_flat_scratch_init 0
		.amdhsa_user_sgpr_kernarg_preload_length 0
		.amdhsa_user_sgpr_kernarg_preload_offset 0
		.amdhsa_user_sgpr_private_segment_size 0
		.amdhsa_uses_dynamic_stack 0
		.amdhsa_system_sgpr_private_segment_wavefront_offset 0
		.amdhsa_system_sgpr_workgroup_id_x 1
		.amdhsa_system_sgpr_workgroup_id_y 0
		.amdhsa_system_sgpr_workgroup_id_z 0
		.amdhsa_system_sgpr_workgroup_info 0
		.amdhsa_system_vgpr_workitem_id 0
		.amdhsa_next_free_vgpr 1
		.amdhsa_next_free_sgpr 0
		.amdhsa_accum_offset 4
		.amdhsa_reserve_vcc 0
		.amdhsa_reserve_flat_scratch 0
		.amdhsa_float_round_mode_32 0
		.amdhsa_float_round_mode_16_64 0
		.amdhsa_float_denorm_mode_32 3
		.amdhsa_float_denorm_mode_16_64 3
		.amdhsa_dx10_clamp 1
		.amdhsa_ieee_mode 1
		.amdhsa_fp16_overflow 0
		.amdhsa_tg_split 0
		.amdhsa_exception_fp_ieee_invalid_op 0
		.amdhsa_exception_fp_denorm_src 0
		.amdhsa_exception_fp_ieee_div_zero 0
		.amdhsa_exception_fp_ieee_overflow 0
		.amdhsa_exception_fp_ieee_underflow 0
		.amdhsa_exception_fp_ieee_inexact 0
		.amdhsa_exception_int_div_zero 0
	.end_amdhsa_kernel
	.section	.text._ZN7rocprim17ROCPRIM_400000_NS6detail17trampoline_kernelINS0_14default_configENS1_38merge_sort_block_merge_config_selectorIsNS0_10empty_typeEEEZZNS1_27merge_sort_block_merge_implIS3_N6thrust23THRUST_200600_302600_NS6detail15normal_iteratorINS9_10device_ptrIsEEEEPS5_jNS1_19radix_merge_compareILb0ELb0EsNS0_19identity_decomposerEEEEE10hipError_tT0_T1_T2_jT3_P12ihipStream_tbPNSt15iterator_traitsISK_E10value_typeEPNSQ_ISL_E10value_typeEPSM_NS1_7vsmem_tEENKUlT_SK_SL_SM_E_clISE_PsSF_SF_EESJ_SZ_SK_SL_SM_EUlSZ_E0_NS1_11comp_targetILNS1_3genE5ELNS1_11target_archE942ELNS1_3gpuE9ELNS1_3repE0EEENS1_38merge_mergepath_config_static_selectorELNS0_4arch9wavefront6targetE1EEEvSL_,"axG",@progbits,_ZN7rocprim17ROCPRIM_400000_NS6detail17trampoline_kernelINS0_14default_configENS1_38merge_sort_block_merge_config_selectorIsNS0_10empty_typeEEEZZNS1_27merge_sort_block_merge_implIS3_N6thrust23THRUST_200600_302600_NS6detail15normal_iteratorINS9_10device_ptrIsEEEEPS5_jNS1_19radix_merge_compareILb0ELb0EsNS0_19identity_decomposerEEEEE10hipError_tT0_T1_T2_jT3_P12ihipStream_tbPNSt15iterator_traitsISK_E10value_typeEPNSQ_ISL_E10value_typeEPSM_NS1_7vsmem_tEENKUlT_SK_SL_SM_E_clISE_PsSF_SF_EESJ_SZ_SK_SL_SM_EUlSZ_E0_NS1_11comp_targetILNS1_3genE5ELNS1_11target_archE942ELNS1_3gpuE9ELNS1_3repE0EEENS1_38merge_mergepath_config_static_selectorELNS0_4arch9wavefront6targetE1EEEvSL_,comdat
.Lfunc_end1852:
	.size	_ZN7rocprim17ROCPRIM_400000_NS6detail17trampoline_kernelINS0_14default_configENS1_38merge_sort_block_merge_config_selectorIsNS0_10empty_typeEEEZZNS1_27merge_sort_block_merge_implIS3_N6thrust23THRUST_200600_302600_NS6detail15normal_iteratorINS9_10device_ptrIsEEEEPS5_jNS1_19radix_merge_compareILb0ELb0EsNS0_19identity_decomposerEEEEE10hipError_tT0_T1_T2_jT3_P12ihipStream_tbPNSt15iterator_traitsISK_E10value_typeEPNSQ_ISL_E10value_typeEPSM_NS1_7vsmem_tEENKUlT_SK_SL_SM_E_clISE_PsSF_SF_EESJ_SZ_SK_SL_SM_EUlSZ_E0_NS1_11comp_targetILNS1_3genE5ELNS1_11target_archE942ELNS1_3gpuE9ELNS1_3repE0EEENS1_38merge_mergepath_config_static_selectorELNS0_4arch9wavefront6targetE1EEEvSL_, .Lfunc_end1852-_ZN7rocprim17ROCPRIM_400000_NS6detail17trampoline_kernelINS0_14default_configENS1_38merge_sort_block_merge_config_selectorIsNS0_10empty_typeEEEZZNS1_27merge_sort_block_merge_implIS3_N6thrust23THRUST_200600_302600_NS6detail15normal_iteratorINS9_10device_ptrIsEEEEPS5_jNS1_19radix_merge_compareILb0ELb0EsNS0_19identity_decomposerEEEEE10hipError_tT0_T1_T2_jT3_P12ihipStream_tbPNSt15iterator_traitsISK_E10value_typeEPNSQ_ISL_E10value_typeEPSM_NS1_7vsmem_tEENKUlT_SK_SL_SM_E_clISE_PsSF_SF_EESJ_SZ_SK_SL_SM_EUlSZ_E0_NS1_11comp_targetILNS1_3genE5ELNS1_11target_archE942ELNS1_3gpuE9ELNS1_3repE0EEENS1_38merge_mergepath_config_static_selectorELNS0_4arch9wavefront6targetE1EEEvSL_
                                        ; -- End function
	.section	.AMDGPU.csdata,"",@progbits
; Kernel info:
; codeLenInByte = 0
; NumSgprs: 4
; NumVgprs: 0
; NumAgprs: 0
; TotalNumVgprs: 0
; ScratchSize: 0
; MemoryBound: 0
; FloatMode: 240
; IeeeMode: 1
; LDSByteSize: 0 bytes/workgroup (compile time only)
; SGPRBlocks: 0
; VGPRBlocks: 0
; NumSGPRsForWavesPerEU: 4
; NumVGPRsForWavesPerEU: 1
; AccumOffset: 4
; Occupancy: 8
; WaveLimiterHint : 0
; COMPUTE_PGM_RSRC2:SCRATCH_EN: 0
; COMPUTE_PGM_RSRC2:USER_SGPR: 6
; COMPUTE_PGM_RSRC2:TRAP_HANDLER: 0
; COMPUTE_PGM_RSRC2:TGID_X_EN: 1
; COMPUTE_PGM_RSRC2:TGID_Y_EN: 0
; COMPUTE_PGM_RSRC2:TGID_Z_EN: 0
; COMPUTE_PGM_RSRC2:TIDIG_COMP_CNT: 0
; COMPUTE_PGM_RSRC3_GFX90A:ACCUM_OFFSET: 0
; COMPUTE_PGM_RSRC3_GFX90A:TG_SPLIT: 0
	.section	.text._ZN7rocprim17ROCPRIM_400000_NS6detail17trampoline_kernelINS0_14default_configENS1_38merge_sort_block_merge_config_selectorIsNS0_10empty_typeEEEZZNS1_27merge_sort_block_merge_implIS3_N6thrust23THRUST_200600_302600_NS6detail15normal_iteratorINS9_10device_ptrIsEEEEPS5_jNS1_19radix_merge_compareILb0ELb0EsNS0_19identity_decomposerEEEEE10hipError_tT0_T1_T2_jT3_P12ihipStream_tbPNSt15iterator_traitsISK_E10value_typeEPNSQ_ISL_E10value_typeEPSM_NS1_7vsmem_tEENKUlT_SK_SL_SM_E_clISE_PsSF_SF_EESJ_SZ_SK_SL_SM_EUlSZ_E0_NS1_11comp_targetILNS1_3genE4ELNS1_11target_archE910ELNS1_3gpuE8ELNS1_3repE0EEENS1_38merge_mergepath_config_static_selectorELNS0_4arch9wavefront6targetE1EEEvSL_,"axG",@progbits,_ZN7rocprim17ROCPRIM_400000_NS6detail17trampoline_kernelINS0_14default_configENS1_38merge_sort_block_merge_config_selectorIsNS0_10empty_typeEEEZZNS1_27merge_sort_block_merge_implIS3_N6thrust23THRUST_200600_302600_NS6detail15normal_iteratorINS9_10device_ptrIsEEEEPS5_jNS1_19radix_merge_compareILb0ELb0EsNS0_19identity_decomposerEEEEE10hipError_tT0_T1_T2_jT3_P12ihipStream_tbPNSt15iterator_traitsISK_E10value_typeEPNSQ_ISL_E10value_typeEPSM_NS1_7vsmem_tEENKUlT_SK_SL_SM_E_clISE_PsSF_SF_EESJ_SZ_SK_SL_SM_EUlSZ_E0_NS1_11comp_targetILNS1_3genE4ELNS1_11target_archE910ELNS1_3gpuE8ELNS1_3repE0EEENS1_38merge_mergepath_config_static_selectorELNS0_4arch9wavefront6targetE1EEEvSL_,comdat
	.protected	_ZN7rocprim17ROCPRIM_400000_NS6detail17trampoline_kernelINS0_14default_configENS1_38merge_sort_block_merge_config_selectorIsNS0_10empty_typeEEEZZNS1_27merge_sort_block_merge_implIS3_N6thrust23THRUST_200600_302600_NS6detail15normal_iteratorINS9_10device_ptrIsEEEEPS5_jNS1_19radix_merge_compareILb0ELb0EsNS0_19identity_decomposerEEEEE10hipError_tT0_T1_T2_jT3_P12ihipStream_tbPNSt15iterator_traitsISK_E10value_typeEPNSQ_ISL_E10value_typeEPSM_NS1_7vsmem_tEENKUlT_SK_SL_SM_E_clISE_PsSF_SF_EESJ_SZ_SK_SL_SM_EUlSZ_E0_NS1_11comp_targetILNS1_3genE4ELNS1_11target_archE910ELNS1_3gpuE8ELNS1_3repE0EEENS1_38merge_mergepath_config_static_selectorELNS0_4arch9wavefront6targetE1EEEvSL_ ; -- Begin function _ZN7rocprim17ROCPRIM_400000_NS6detail17trampoline_kernelINS0_14default_configENS1_38merge_sort_block_merge_config_selectorIsNS0_10empty_typeEEEZZNS1_27merge_sort_block_merge_implIS3_N6thrust23THRUST_200600_302600_NS6detail15normal_iteratorINS9_10device_ptrIsEEEEPS5_jNS1_19radix_merge_compareILb0ELb0EsNS0_19identity_decomposerEEEEE10hipError_tT0_T1_T2_jT3_P12ihipStream_tbPNSt15iterator_traitsISK_E10value_typeEPNSQ_ISL_E10value_typeEPSM_NS1_7vsmem_tEENKUlT_SK_SL_SM_E_clISE_PsSF_SF_EESJ_SZ_SK_SL_SM_EUlSZ_E0_NS1_11comp_targetILNS1_3genE4ELNS1_11target_archE910ELNS1_3gpuE8ELNS1_3repE0EEENS1_38merge_mergepath_config_static_selectorELNS0_4arch9wavefront6targetE1EEEvSL_
	.globl	_ZN7rocprim17ROCPRIM_400000_NS6detail17trampoline_kernelINS0_14default_configENS1_38merge_sort_block_merge_config_selectorIsNS0_10empty_typeEEEZZNS1_27merge_sort_block_merge_implIS3_N6thrust23THRUST_200600_302600_NS6detail15normal_iteratorINS9_10device_ptrIsEEEEPS5_jNS1_19radix_merge_compareILb0ELb0EsNS0_19identity_decomposerEEEEE10hipError_tT0_T1_T2_jT3_P12ihipStream_tbPNSt15iterator_traitsISK_E10value_typeEPNSQ_ISL_E10value_typeEPSM_NS1_7vsmem_tEENKUlT_SK_SL_SM_E_clISE_PsSF_SF_EESJ_SZ_SK_SL_SM_EUlSZ_E0_NS1_11comp_targetILNS1_3genE4ELNS1_11target_archE910ELNS1_3gpuE8ELNS1_3repE0EEENS1_38merge_mergepath_config_static_selectorELNS0_4arch9wavefront6targetE1EEEvSL_
	.p2align	8
	.type	_ZN7rocprim17ROCPRIM_400000_NS6detail17trampoline_kernelINS0_14default_configENS1_38merge_sort_block_merge_config_selectorIsNS0_10empty_typeEEEZZNS1_27merge_sort_block_merge_implIS3_N6thrust23THRUST_200600_302600_NS6detail15normal_iteratorINS9_10device_ptrIsEEEEPS5_jNS1_19radix_merge_compareILb0ELb0EsNS0_19identity_decomposerEEEEE10hipError_tT0_T1_T2_jT3_P12ihipStream_tbPNSt15iterator_traitsISK_E10value_typeEPNSQ_ISL_E10value_typeEPSM_NS1_7vsmem_tEENKUlT_SK_SL_SM_E_clISE_PsSF_SF_EESJ_SZ_SK_SL_SM_EUlSZ_E0_NS1_11comp_targetILNS1_3genE4ELNS1_11target_archE910ELNS1_3gpuE8ELNS1_3repE0EEENS1_38merge_mergepath_config_static_selectorELNS0_4arch9wavefront6targetE1EEEvSL_,@function
_ZN7rocprim17ROCPRIM_400000_NS6detail17trampoline_kernelINS0_14default_configENS1_38merge_sort_block_merge_config_selectorIsNS0_10empty_typeEEEZZNS1_27merge_sort_block_merge_implIS3_N6thrust23THRUST_200600_302600_NS6detail15normal_iteratorINS9_10device_ptrIsEEEEPS5_jNS1_19radix_merge_compareILb0ELb0EsNS0_19identity_decomposerEEEEE10hipError_tT0_T1_T2_jT3_P12ihipStream_tbPNSt15iterator_traitsISK_E10value_typeEPNSQ_ISL_E10value_typeEPSM_NS1_7vsmem_tEENKUlT_SK_SL_SM_E_clISE_PsSF_SF_EESJ_SZ_SK_SL_SM_EUlSZ_E0_NS1_11comp_targetILNS1_3genE4ELNS1_11target_archE910ELNS1_3gpuE8ELNS1_3repE0EEENS1_38merge_mergepath_config_static_selectorELNS0_4arch9wavefront6targetE1EEEvSL_: ; @_ZN7rocprim17ROCPRIM_400000_NS6detail17trampoline_kernelINS0_14default_configENS1_38merge_sort_block_merge_config_selectorIsNS0_10empty_typeEEEZZNS1_27merge_sort_block_merge_implIS3_N6thrust23THRUST_200600_302600_NS6detail15normal_iteratorINS9_10device_ptrIsEEEEPS5_jNS1_19radix_merge_compareILb0ELb0EsNS0_19identity_decomposerEEEEE10hipError_tT0_T1_T2_jT3_P12ihipStream_tbPNSt15iterator_traitsISK_E10value_typeEPNSQ_ISL_E10value_typeEPSM_NS1_7vsmem_tEENKUlT_SK_SL_SM_E_clISE_PsSF_SF_EESJ_SZ_SK_SL_SM_EUlSZ_E0_NS1_11comp_targetILNS1_3genE4ELNS1_11target_archE910ELNS1_3gpuE8ELNS1_3repE0EEENS1_38merge_mergepath_config_static_selectorELNS0_4arch9wavefront6targetE1EEEvSL_
; %bb.0:
	s_load_dwordx2 s[10:11], s[4:5], 0x40
	s_load_dword s3, s[4:5], 0x30
	s_add_u32 s0, s4, 64
	s_addc_u32 s1, s5, 0
	s_waitcnt lgkmcnt(0)
	s_mul_i32 s2, s11, s8
	s_add_i32 s2, s2, s7
	s_mul_i32 s2, s2, s10
	s_add_i32 s2, s2, s6
	s_cmp_ge_u32 s2, s3
	s_cbranch_scc1 .LBB1853_43
; %bb.1:
	s_load_dwordx2 s[14:15], s[4:5], 0x28
	s_load_dwordx2 s[8:9], s[4:5], 0x38
	;; [unrolled: 1-line block ×3, first 2 shown]
	s_mov_b32 s3, 0
	v_mov_b32_e32 v3, 0
	s_waitcnt lgkmcnt(0)
	s_lshr_b32 s22, s14, 10
	s_cmp_lg_u32 s2, s22
	s_cselect_b64 s[18:19], -1, 0
	s_lshl_b64 s[16:17], s[2:3], 2
	s_add_u32 s8, s8, s16
	s_addc_u32 s9, s9, s17
	s_lshr_b32 s7, s15, 9
	s_and_b32 s7, s7, 0x7ffffe
	s_load_dwordx2 s[8:9], s[8:9], 0x0
	s_sub_i32 s7, 0, s7
	s_and_b32 s11, s2, s7
	s_lshl_b32 s17, s11, 10
	s_lshl_b32 s16, s2, 10
	;; [unrolled: 1-line block ×3, first 2 shown]
	s_sub_i32 s20, s16, s17
	s_add_i32 s11, s11, s15
	s_add_i32 s21, s11, s20
	s_waitcnt lgkmcnt(0)
	s_sub_i32 s20, s21, s8
	s_sub_i32 s21, s21, s9
	;; [unrolled: 1-line block ×3, first 2 shown]
	s_min_u32 s20, s14, s20
	s_addk_i32 s21, 0x400
	s_or_b32 s7, s2, s7
	s_min_u32 s17, s14, s11
	s_add_i32 s11, s11, s15
	s_cmp_eq_u32 s7, -1
	s_cselect_b32 s7, s11, s21
	s_cselect_b32 s9, s17, s9
	s_min_u32 s7, s7, s14
	s_sub_i32 s15, s9, s8
	s_mov_b32 s9, s3
	s_sub_i32 s7, s7, s20
	s_lshl_b64 s[8:9], s[8:9], 1
	s_add_u32 s8, s12, s8
	s_mov_b32 s21, s3
	s_addc_u32 s9, s13, s9
	s_lshl_b64 s[20:21], s[20:21], 1
	s_add_u32 s11, s12, s20
	s_addc_u32 s12, s13, s21
	s_cmp_lt_u32 s6, s10
	s_cselect_b32 s3, 12, 18
	global_load_dword v1, v3, s[0:1] offset:14
	s_add_u32 s0, s0, s3
	s_addc_u32 s1, s1, 0
	global_load_ushort v2, v3, s[0:1]
	s_cmp_eq_u32 s2, s22
	s_waitcnt vmcnt(1)
	v_lshrrev_b32_e32 v4, 16, v1
	v_and_b32_e32 v1, 0xffff, v1
	v_mul_lo_u32 v1, v1, v4
	s_waitcnt vmcnt(0)
	v_mul_lo_u32 v11, v1, v2
	v_add_u32_e32 v8, v11, v0
	v_lshlrev_b32_e32 v1, 1, v0
	v_add_u32_e32 v6, v8, v11
	s_cbranch_scc1 .LBB1853_3
; %bb.2:
	v_subrev_u32_e32 v2, s15, v0
	v_lshlrev_b64 v[4:5], 1, v[2:3]
	v_mov_b32_e32 v2, s12
	v_add_co_u32_e32 v4, vcc, s11, v4
	v_addc_co_u32_e32 v2, vcc, v2, v5, vcc
	v_mov_b32_e32 v5, s9
	v_add_co_u32_e32 v7, vcc, s8, v1
	v_addc_co_u32_e32 v5, vcc, 0, v5, vcc
	v_cmp_gt_u32_e32 vcc, s15, v0
	v_cndmask_b32_e32 v5, v2, v5, vcc
	v_cndmask_b32_e32 v4, v4, v7, vcc
	v_subrev_u32_e32 v2, s15, v8
	global_load_ushort v10, v[4:5], off
	v_lshlrev_b64 v[4:5], 1, v[2:3]
	v_mov_b32_e32 v2, s12
	v_add_co_u32_e32 v7, vcc, s11, v4
	v_mov_b32_e32 v9, v3
	v_addc_co_u32_e32 v2, vcc, v2, v5, vcc
	v_lshlrev_b64 v[4:5], 1, v[8:9]
	v_mov_b32_e32 v9, s9
	v_add_co_u32_e32 v4, vcc, s8, v4
	v_addc_co_u32_e32 v5, vcc, v9, v5, vcc
	v_cmp_gt_u32_e32 vcc, s15, v8
	v_cndmask_b32_e32 v5, v2, v5, vcc
	v_cndmask_b32_e32 v4, v7, v4, vcc
	v_subrev_u32_e32 v2, s15, v6
	global_load_ushort v9, v[4:5], off
	v_lshlrev_b64 v[4:5], 1, v[2:3]
	v_mov_b32_e32 v2, s12
	v_add_co_u32_e32 v12, vcc, s11, v4
	v_mov_b32_e32 v7, v3
	v_addc_co_u32_e32 v2, vcc, v2, v5, vcc
	v_lshlrev_b64 v[4:5], 1, v[6:7]
	v_mov_b32_e32 v7, s9
	v_add_co_u32_e32 v4, vcc, s8, v4
	v_addc_co_u32_e32 v5, vcc, v7, v5, vcc
	v_cmp_gt_u32_e32 vcc, s15, v6
	v_cndmask_b32_e32 v5, v2, v5, vcc
	v_cndmask_b32_e32 v4, v12, v4, vcc
	global_load_ushort v7, v[4:5], off
	v_add_u32_e32 v4, v6, v11
	v_subrev_u32_e32 v2, s15, v4
	v_lshlrev_b64 v[12:13], 1, v[2:3]
	v_mov_b32_e32 v2, s12
	v_add_co_u32_e32 v14, vcc, s11, v12
	v_mov_b32_e32 v5, v3
	v_addc_co_u32_e32 v2, vcc, v2, v13, vcc
	v_lshlrev_b64 v[12:13], 1, v[4:5]
	v_mov_b32_e32 v5, s9
	v_add_co_u32_e32 v12, vcc, s8, v12
	v_addc_co_u32_e32 v5, vcc, v5, v13, vcc
	v_cmp_gt_u32_e32 vcc, s15, v4
	v_add_u32_e32 v4, v4, v11
	v_cndmask_b32_e32 v13, v2, v5, vcc
	v_cndmask_b32_e32 v12, v14, v12, vcc
	v_subrev_u32_e32 v2, s15, v4
	global_load_ushort v14, v[12:13], off
	v_lshlrev_b64 v[12:13], 1, v[2:3]
	v_mov_b32_e32 v2, s12
	v_add_co_u32_e32 v15, vcc, s11, v12
	v_mov_b32_e32 v5, v3
	v_addc_co_u32_e32 v2, vcc, v2, v13, vcc
	v_lshlrev_b64 v[12:13], 1, v[4:5]
	v_mov_b32_e32 v5, s9
	v_add_co_u32_e32 v12, vcc, s8, v12
	v_addc_co_u32_e32 v5, vcc, v5, v13, vcc
	v_cmp_gt_u32_e32 vcc, s15, v4
	v_add_u32_e32 v4, v4, v11
	v_cndmask_b32_e32 v13, v2, v5, vcc
	v_cndmask_b32_e32 v12, v15, v12, vcc
	v_subrev_u32_e32 v2, s15, v4
	global_load_ushort v15, v[12:13], off
	v_lshlrev_b64 v[12:13], 1, v[2:3]
	v_mov_b32_e32 v2, s12
	v_add_co_u32_e32 v16, vcc, s11, v12
	v_mov_b32_e32 v5, v3
	v_addc_co_u32_e32 v2, vcc, v2, v13, vcc
	v_lshlrev_b64 v[12:13], 1, v[4:5]
	v_mov_b32_e32 v5, s9
	v_add_co_u32_e32 v12, vcc, s8, v12
	v_addc_co_u32_e32 v5, vcc, v5, v13, vcc
	v_cmp_gt_u32_e32 vcc, s15, v4
	v_cndmask_b32_e32 v13, v2, v5, vcc
	v_cndmask_b32_e32 v12, v16, v12, vcc
	global_load_ushort v16, v[12:13], off
	v_add_u32_e32 v12, v4, v11
	v_subrev_u32_e32 v2, s15, v12
	v_lshlrev_b64 v[4:5], 1, v[2:3]
	v_mov_b32_e32 v2, s12
	v_add_co_u32_e32 v4, vcc, s11, v4
	v_mov_b32_e32 v13, v3
	v_addc_co_u32_e32 v5, vcc, v2, v5, vcc
	v_lshlrev_b64 v[2:3], 1, v[12:13]
	v_mov_b32_e32 v13, s9
	v_add_co_u32_e32 v2, vcc, s8, v2
	v_addc_co_u32_e32 v3, vcc, v13, v3, vcc
	v_cmp_gt_u32_e32 vcc, s15, v12
	v_cndmask_b32_e32 v3, v5, v3, vcc
	v_cndmask_b32_e32 v2, v4, v2, vcc
	global_load_ushort v5, v[2:3], off
	s_mov_b32 s0, 0x5040100
	s_waitcnt vmcnt(5)
	v_perm_b32 v2, v9, v10, s0
	v_add_u32_e32 v10, v12, v11
	s_add_i32 s6, s7, s15
	s_waitcnt vmcnt(3)
	v_perm_b32 v3, v14, v7, s0
	s_waitcnt vmcnt(1)
	v_perm_b32 v4, v16, v15, s0
	s_mov_b64 s[0:1], -1
	s_cbranch_execz .LBB1853_4
	s_branch .LBB1853_17
.LBB1853_3:
	s_mov_b64 s[0:1], 0
                                        ; implicit-def: $vgpr10
                                        ; implicit-def: $vgpr2_vgpr3_vgpr4_vgpr5
                                        ; implicit-def: $sgpr6
.LBB1853_4:
	s_add_i32 s6, s7, s15
	v_cmp_gt_u32_e32 vcc, s6, v0
                                        ; implicit-def: $vgpr2_vgpr3_vgpr4_vgpr5
	s_and_saveexec_b64 s[0:1], vcc
	s_cbranch_execnz .LBB1853_44
; %bb.5:
	s_or_b64 exec, exec, s[0:1]
	v_cmp_gt_u32_e32 vcc, s6, v8
	s_and_saveexec_b64 s[2:3], vcc
	s_cbranch_execnz .LBB1853_45
.LBB1853_6:
	s_or_b64 exec, exec, s[2:3]
	v_cmp_gt_u32_e32 vcc, s6, v6
	s_and_saveexec_b64 s[0:1], vcc
	s_cbranch_execz .LBB1853_8
.LBB1853_7:
	v_mov_b32_e32 v7, 0
	v_lshlrev_b64 v[8:9], 1, v[6:7]
	v_mov_b32_e32 v10, s9
	v_add_co_u32_e32 v12, vcc, s8, v8
	v_addc_co_u32_e32 v10, vcc, v10, v9, vcc
	v_subrev_u32_e32 v8, s15, v6
	v_mov_b32_e32 v9, v7
	v_lshlrev_b64 v[8:9], 1, v[8:9]
	v_mov_b32_e32 v7, s12
	v_add_co_u32_e32 v8, vcc, s11, v8
	v_addc_co_u32_e32 v7, vcc, v7, v9, vcc
	v_cmp_gt_u32_e32 vcc, s15, v6
	v_cndmask_b32_e32 v9, v7, v10, vcc
	v_cndmask_b32_e32 v8, v8, v12, vcc
	global_load_ushort v7, v[8:9], off
	s_mov_b32 s2, 0xffff
	s_waitcnt vmcnt(0)
	v_bfi_b32 v3, s2, v7, v3
.LBB1853_8:
	s_or_b64 exec, exec, s[0:1]
	v_add_u32_e32 v6, v6, v11
	v_cmp_gt_u32_e32 vcc, s6, v6
	s_and_saveexec_b64 s[0:1], vcc
	s_cbranch_execz .LBB1853_10
; %bb.9:
	v_mov_b32_e32 v7, 0
	v_lshlrev_b64 v[8:9], 1, v[6:7]
	v_mov_b32_e32 v10, s9
	v_add_co_u32_e32 v12, vcc, s8, v8
	v_addc_co_u32_e32 v10, vcc, v10, v9, vcc
	v_subrev_u32_e32 v8, s15, v6
	v_mov_b32_e32 v9, v7
	v_lshlrev_b64 v[8:9], 1, v[8:9]
	v_mov_b32_e32 v7, s12
	v_add_co_u32_e32 v8, vcc, s11, v8
	v_addc_co_u32_e32 v7, vcc, v7, v9, vcc
	v_cmp_gt_u32_e32 vcc, s15, v6
	v_cndmask_b32_e32 v9, v7, v10, vcc
	v_cndmask_b32_e32 v8, v8, v12, vcc
	global_load_ushort v7, v[8:9], off
	s_mov_b32 s2, 0x5040100
	s_waitcnt vmcnt(0)
	v_perm_b32 v3, v7, v3, s2
.LBB1853_10:
	s_or_b64 exec, exec, s[0:1]
	v_add_u32_e32 v6, v6, v11
	v_cmp_gt_u32_e32 vcc, s6, v6
	s_and_saveexec_b64 s[0:1], vcc
	s_cbranch_execz .LBB1853_12
; %bb.11:
	v_mov_b32_e32 v7, 0
	v_lshlrev_b64 v[8:9], 1, v[6:7]
	v_mov_b32_e32 v10, s9
	v_add_co_u32_e32 v12, vcc, s8, v8
	v_addc_co_u32_e32 v10, vcc, v10, v9, vcc
	v_subrev_u32_e32 v8, s15, v6
	v_mov_b32_e32 v9, v7
	v_lshlrev_b64 v[8:9], 1, v[8:9]
	v_mov_b32_e32 v7, s12
	v_add_co_u32_e32 v8, vcc, s11, v8
	v_addc_co_u32_e32 v7, vcc, v7, v9, vcc
	v_cmp_gt_u32_e32 vcc, s15, v6
	v_cndmask_b32_e32 v9, v7, v10, vcc
	v_cndmask_b32_e32 v8, v8, v12, vcc
	global_load_ushort v7, v[8:9], off
	s_mov_b32 s2, 0xffff
	s_waitcnt vmcnt(0)
	v_bfi_b32 v4, s2, v7, v4
.LBB1853_12:
	s_or_b64 exec, exec, s[0:1]
	v_add_u32_e32 v6, v6, v11
	v_cmp_gt_u32_e32 vcc, s6, v6
	s_and_saveexec_b64 s[0:1], vcc
	s_cbranch_execz .LBB1853_14
; %bb.13:
	v_mov_b32_e32 v7, 0
	v_lshlrev_b64 v[8:9], 1, v[6:7]
	v_mov_b32_e32 v10, s9
	v_add_co_u32_e32 v12, vcc, s8, v8
	v_addc_co_u32_e32 v10, vcc, v10, v9, vcc
	v_subrev_u32_e32 v8, s15, v6
	v_mov_b32_e32 v9, v7
	v_lshlrev_b64 v[8:9], 1, v[8:9]
	v_mov_b32_e32 v7, s12
	v_add_co_u32_e32 v8, vcc, s11, v8
	v_addc_co_u32_e32 v7, vcc, v7, v9, vcc
	v_cmp_gt_u32_e32 vcc, s15, v6
	v_cndmask_b32_e32 v9, v7, v10, vcc
	v_cndmask_b32_e32 v8, v8, v12, vcc
	global_load_ushort v7, v[8:9], off
	s_mov_b32 s2, 0x5040100
	s_waitcnt vmcnt(0)
	v_perm_b32 v4, v7, v4, s2
.LBB1853_14:
	s_or_b64 exec, exec, s[0:1]
	v_add_u32_e32 v6, v6, v11
	v_cmp_gt_u32_e32 vcc, s6, v6
	s_and_saveexec_b64 s[0:1], vcc
	s_cbranch_execz .LBB1853_16
; %bb.15:
	v_mov_b32_e32 v7, 0
	v_lshlrev_b64 v[8:9], 1, v[6:7]
	v_mov_b32_e32 v10, s9
	v_add_co_u32_e32 v12, vcc, s8, v8
	v_addc_co_u32_e32 v10, vcc, v10, v9, vcc
	v_subrev_u32_e32 v8, s15, v6
	v_mov_b32_e32 v9, v7
	v_lshlrev_b64 v[8:9], 1, v[8:9]
	v_mov_b32_e32 v7, s12
	v_add_co_u32_e32 v8, vcc, s11, v8
	v_addc_co_u32_e32 v7, vcc, v7, v9, vcc
	v_cmp_gt_u32_e32 vcc, s15, v6
	v_cndmask_b32_e32 v9, v7, v10, vcc
	v_cndmask_b32_e32 v8, v8, v12, vcc
	global_load_ushort v7, v[8:9], off
	s_mov_b32 s2, 0xffff
	s_waitcnt vmcnt(0)
	v_bfi_b32 v5, s2, v7, v5
.LBB1853_16:
	s_or_b64 exec, exec, s[0:1]
	v_add_u32_e32 v10, v6, v11
	v_cmp_gt_u32_e64 s[0:1], s6, v10
.LBB1853_17:
	v_mov_b32_e32 v7, s6
	s_and_saveexec_b64 s[2:3], s[0:1]
	s_cbranch_execz .LBB1853_19
; %bb.18:
	v_subrev_u32_e32 v6, s15, v10
	v_mov_b32_e32 v7, 0
	v_lshlrev_b64 v[8:9], 1, v[6:7]
	v_mov_b32_e32 v6, s12
	v_add_co_u32_e32 v8, vcc, s11, v8
	v_mov_b32_e32 v11, v7
	v_addc_co_u32_e32 v9, vcc, v6, v9, vcc
	v_lshlrev_b64 v[6:7], 1, v[10:11]
	v_mov_b32_e32 v11, s9
	v_add_co_u32_e32 v6, vcc, s8, v6
	v_addc_co_u32_e32 v7, vcc, v11, v7, vcc
	v_cmp_gt_u32_e32 vcc, s15, v10
	v_cndmask_b32_e32 v7, v9, v7, vcc
	v_cndmask_b32_e32 v6, v8, v6, vcc
	global_load_ushort v6, v[6:7], off
	s_mov_b32 s0, 0x5040100
	v_mov_b32_e32 v7, s6
	s_waitcnt vmcnt(0)
	v_perm_b32 v5, v6, v5, s0
.LBB1853_19:
	s_or_b64 exec, exec, s[2:3]
	s_load_dwordx2 s[20:21], s[4:5], 0x10
	v_lshlrev_b32_e32 v6, 3, v0
	v_min_u32_e32 v13, v7, v6
	v_sub_u32_e64 v12, v13, s7 clamp
	v_min_u32_e32 v14, s15, v13
	s_waitcnt vmcnt(0)
	v_lshrrev_b32_e32 v8, 16, v2
	v_lshrrev_b32_e32 v9, 16, v3
	;; [unrolled: 1-line block ×4, first 2 shown]
	v_cmp_lt_u32_e32 vcc, v12, v14
	ds_write_b16 v1, v2
	ds_write_b16 v1, v8 offset:256
	ds_write_b16 v1, v3 offset:512
	;; [unrolled: 1-line block ×7, first 2 shown]
	s_waitcnt lgkmcnt(0)
	s_barrier
	s_and_saveexec_b64 s[0:1], vcc
	s_cbranch_execz .LBB1853_23
; %bb.20:
	v_lshlrev_b32_e32 v15, 1, v13
	v_lshl_add_u32 v15, s15, 1, v15
	s_mov_b64 s[2:3], 0
.LBB1853_21:                            ; =>This Inner Loop Header: Depth=1
	v_add_u32_e32 v16, v14, v12
	v_lshrrev_b32_e32 v17, 1, v16
	v_not_b32_e32 v18, v17
	v_and_b32_e32 v16, -2, v16
	v_lshl_add_u32 v18, v18, 1, v15
	ds_read_u16 v16, v16
	ds_read_u16 v18, v18
	v_add_u32_e32 v19, 1, v17
	s_waitcnt lgkmcnt(0)
	v_cmp_gt_i16_e32 vcc, v16, v18
	v_cndmask_b32_e32 v14, v14, v17, vcc
	v_cndmask_b32_e32 v12, v19, v12, vcc
	v_cmp_ge_u32_e32 vcc, v12, v14
	s_or_b64 s[2:3], vcc, s[2:3]
	s_andn2_b64 exec, exec, s[2:3]
	s_cbranch_execnz .LBB1853_21
; %bb.22:
	s_or_b64 exec, exec, s[2:3]
.LBB1853_23:
	s_or_b64 exec, exec, s[0:1]
	v_sub_u32_e32 v13, v13, v12
	v_add_u32_e32 v13, s15, v13
	v_cmp_ge_u32_e32 vcc, s15, v12
	v_cmp_le_u32_e64 s[0:1], v13, v7
	s_or_b64 s[0:1], vcc, s[0:1]
	s_and_saveexec_b64 s[22:23], s[0:1]
	s_cbranch_execz .LBB1853_29
; %bb.24:
	v_cmp_gt_u32_e32 vcc, s15, v12
                                        ; implicit-def: $vgpr2
	s_and_saveexec_b64 s[0:1], vcc
	s_cbranch_execz .LBB1853_26
; %bb.25:
	v_lshlrev_b32_e32 v2, 1, v12
	ds_read_u16 v2, v2
.LBB1853_26:
	s_or_b64 exec, exec, s[0:1]
	v_cmp_ge_u32_e64 s[0:1], v13, v7
	v_cmp_lt_u32_e64 s[2:3], v13, v7
                                        ; implicit-def: $vgpr3
	s_and_saveexec_b64 s[4:5], s[2:3]
	s_cbranch_execz .LBB1853_28
; %bb.27:
	v_lshlrev_b32_e32 v3, 1, v13
	ds_read_u16 v3, v3
.LBB1853_28:
	s_or_b64 exec, exec, s[4:5]
	s_waitcnt lgkmcnt(0)
	v_cmp_le_i16_e64 s[2:3], v2, v3
	s_and_b64 s[2:3], vcc, s[2:3]
	s_or_b64 vcc, s[0:1], s[2:3]
	v_mov_b32_e32 v5, s15
	v_cndmask_b32_e32 v4, v13, v12, vcc
	v_cndmask_b32_e32 v8, v7, v5, vcc
	v_add_u32_e32 v4, 1, v4
	v_add_u32_e32 v8, -1, v8
	v_min_u32_e32 v8, v4, v8
	v_lshlrev_b32_e32 v8, 1, v8
	ds_read_u16 v8, v8
	v_cndmask_b32_e32 v10, v4, v13, vcc
	v_cndmask_b32_e32 v4, v12, v4, vcc
	v_cmp_gt_u32_e64 s[2:3], s15, v4
	v_cmp_ge_u32_e64 s[0:1], v10, v7
	s_waitcnt lgkmcnt(0)
	v_cndmask_b32_e32 v9, v8, v3, vcc
	v_cndmask_b32_e32 v8, v2, v8, vcc
	v_cmp_le_i16_e64 s[4:5], v8, v9
	s_and_b64 s[2:3], s[2:3], s[4:5]
	s_or_b64 s[0:1], s[0:1], s[2:3]
	v_cndmask_b32_e64 v11, v10, v4, s[0:1]
	v_cndmask_b32_e64 v12, v7, v5, s[0:1]
	v_add_u32_e32 v11, 1, v11
	v_add_u32_e32 v12, -1, v12
	v_min_u32_e32 v12, v11, v12
	v_lshlrev_b32_e32 v12, 1, v12
	ds_read_u16 v12, v12
	v_cndmask_b32_e64 v4, v4, v11, s[0:1]
	v_cndmask_b32_e64 v10, v11, v10, s[0:1]
	v_cmp_gt_u32_e64 s[4:5], s15, v4
	v_cmp_ge_u32_e64 s[2:3], v10, v7
	s_waitcnt lgkmcnt(0)
	v_cndmask_b32_e64 v13, v12, v9, s[0:1]
	v_cndmask_b32_e64 v12, v8, v12, s[0:1]
	v_cmp_le_i16_e64 s[6:7], v12, v13
	s_and_b64 s[4:5], s[4:5], s[6:7]
	s_or_b64 s[2:3], s[2:3], s[4:5]
	v_cndmask_b32_e64 v11, v10, v4, s[2:3]
	v_cndmask_b32_e64 v14, v7, v5, s[2:3]
	v_add_u32_e32 v11, 1, v11
	v_add_u32_e32 v14, -1, v14
	v_min_u32_e32 v14, v11, v14
	v_lshlrev_b32_e32 v14, 1, v14
	ds_read_u16 v14, v14
	v_cndmask_b32_e64 v4, v4, v11, s[2:3]
	v_cndmask_b32_e64 v10, v11, v10, s[2:3]
	v_cmp_gt_u32_e64 s[6:7], s15, v4
	v_cmp_ge_u32_e64 s[4:5], v10, v7
	s_waitcnt lgkmcnt(0)
	v_cndmask_b32_e64 v15, v14, v13, s[2:3]
	v_cndmask_b32_e64 v14, v12, v14, s[2:3]
	;; [unrolled: 17-line block ×4, first 2 shown]
	v_cmp_le_i16_e64 s[12:13], v18, v19
	s_and_b64 s[10:11], s[10:11], s[12:13]
	s_or_b64 s[8:9], s[8:9], s[10:11]
	v_cndmask_b32_e64 v11, v10, v4, s[8:9]
	v_cndmask_b32_e64 v20, v7, v5, s[8:9]
	v_add_u32_e32 v11, 1, v11
	v_add_u32_e32 v20, -1, v20
	v_min_u32_e32 v20, v11, v20
	v_lshlrev_b32_e32 v20, 1, v20
	ds_read_u16 v20, v20
	v_cndmask_b32_e32 v2, v3, v2, vcc
	v_cndmask_b32_e64 v3, v13, v12, s[2:3]
	v_cndmask_b32_e64 v8, v9, v8, s[0:1]
	;; [unrolled: 1-line block ×3, first 2 shown]
	s_waitcnt lgkmcnt(0)
	v_cndmask_b32_e64 v12, v20, v19, s[8:9]
	v_cndmask_b32_e64 v13, v18, v20, s[8:9]
	;; [unrolled: 1-line block ×4, first 2 shown]
	v_cmp_gt_u32_e64 s[0:1], s15, v11
	v_cmp_le_i16_e64 s[2:3], v13, v12
	v_cmp_ge_u32_e32 vcc, v20, v7
	s_and_b64 s[0:1], s[0:1], s[2:3]
	s_or_b64 vcc, vcc, s[0:1]
	v_cndmask_b32_e32 v4, v20, v11, vcc
	v_cndmask_b32_e32 v5, v7, v5, vcc
	v_add_u32_e32 v21, 1, v4
	v_add_u32_e32 v4, -1, v5
	v_min_u32_e32 v4, v21, v4
	v_lshlrev_b32_e32 v4, 1, v4
	ds_read_u16 v22, v4
	v_cndmask_b32_e32 v5, v12, v13, vcc
	v_cndmask_b32_e32 v11, v11, v21, vcc
	;; [unrolled: 1-line block ×3, first 2 shown]
	v_cmp_gt_u32_e64 s[0:1], s15, v11
	s_waitcnt lgkmcnt(0)
	v_cndmask_b32_e32 v12, v22, v12, vcc
	v_cndmask_b32_e32 v13, v13, v22, vcc
	v_cmp_le_i16_e64 s[2:3], v13, v12
	v_cmp_ge_u32_e32 vcc, v14, v7
	s_and_b64 s[0:1], s[0:1], s[2:3]
	s_or_b64 vcc, vcc, s[0:1]
	v_cndmask_b32_e64 v4, v17, v16, s[6:7]
	v_cndmask_b32_e64 v10, v19, v18, s[8:9]
	v_cndmask_b32_e32 v11, v12, v13, vcc
.LBB1853_29:
	s_or_b64 exec, exec, s[22:23]
	v_lshrrev_b32_e32 v7, 2, v0
	v_and_b32_e32 v7, 30, v7
	s_mov_b32 s2, 0x5040100
	v_add_lshl_u32 v6, v7, v6, 1
	v_perm_b32 v3, v9, v3, s2
	v_perm_b32 v2, v8, v2, s2
	s_barrier
	s_barrier
	ds_write2_b32 v6, v2, v3 offset1:1
	v_perm_b32 v2, v11, v5, s2
	v_perm_b32 v3, v10, v4, s2
	ds_write2_b32 v6, v3, v2 offset0:2 offset1:3
	v_lshrrev_b32_e32 v2, 4, v0
	v_and_b32_e32 v2, 4, v2
	v_or_b32_e32 v10, 0x80, v0
	v_add_u32_e32 v11, v1, v2
	v_lshrrev_b32_e32 v2, 4, v10
	v_and_b32_e32 v2, 12, v2
	v_or_b32_e32 v9, 0x100, v0
	v_add_u32_e32 v12, v1, v2
	;; [unrolled: 4-line block ×5, first 2 shown]
	v_lshrrev_b32_e32 v2, 4, v6
	v_and_b32_e32 v2, 44, v2
	v_or_b32_e32 v5, 0x300, v0
	s_mov_b32 s17, 0
	v_add_u32_e32 v16, v1, v2
	v_lshrrev_b32_e32 v2, 4, v5
	s_lshl_b64 s[0:1], s[16:17], 1
	v_and_b32_e32 v2, 52, v2
	v_or_b32_e32 v4, 0x380, v0
	s_add_u32 s0, s20, s0
	v_add_u32_e32 v17, v1, v2
	v_lshrrev_b32_e32 v2, 4, v4
	s_addc_u32 s1, s21, s1
	v_and_b32_e32 v2, 60, v2
	v_add_u32_e32 v18, v1, v2
	v_mov_b32_e32 v3, s1
	v_add_co_u32_e32 v2, vcc, s0, v1
	v_addc_co_u32_e32 v3, vcc, 0, v3, vcc
	s_and_b64 vcc, exec, s[18:19]
	s_waitcnt lgkmcnt(0)
	s_cbranch_vccz .LBB1853_31
; %bb.30:
	s_barrier
	ds_read_u16 v19, v11
	ds_read_u16 v20, v12 offset:256
	ds_read_u16 v21, v13 offset:512
	;; [unrolled: 1-line block ×7, first 2 shown]
	s_waitcnt lgkmcnt(7)
	global_store_short v[2:3], v19, off
	s_waitcnt lgkmcnt(6)
	global_store_short v[2:3], v20, off offset:256
	s_waitcnt lgkmcnt(5)
	global_store_short v[2:3], v21, off offset:512
	;; [unrolled: 2-line block ×6, first 2 shown]
	s_mov_b64 s[0:1], -1
	s_cbranch_execz .LBB1853_32
	s_branch .LBB1853_41
.LBB1853_31:
	s_mov_b64 s[0:1], 0
                                        ; implicit-def: $vgpr1
.LBB1853_32:
	s_barrier
	s_waitcnt lgkmcnt(0)
	ds_read_u16 v21, v12 offset:256
	ds_read_u16 v20, v13 offset:512
	;; [unrolled: 1-line block ×7, first 2 shown]
	s_sub_i32 s2, s14, s16
	v_cmp_gt_u32_e32 vcc, s2, v0
	s_and_saveexec_b64 s[0:1], vcc
	s_cbranch_execnz .LBB1853_46
; %bb.33:
	s_or_b64 exec, exec, s[0:1]
	v_cmp_gt_u32_e32 vcc, s2, v10
	s_and_saveexec_b64 s[0:1], vcc
	s_cbranch_execnz .LBB1853_47
.LBB1853_34:
	s_or_b64 exec, exec, s[0:1]
	v_cmp_gt_u32_e32 vcc, s2, v9
	s_and_saveexec_b64 s[0:1], vcc
	s_cbranch_execnz .LBB1853_48
.LBB1853_35:
	s_or_b64 exec, exec, s[0:1]
	v_cmp_gt_u32_e32 vcc, s2, v8
	s_and_saveexec_b64 s[0:1], vcc
	s_cbranch_execnz .LBB1853_49
.LBB1853_36:
	s_or_b64 exec, exec, s[0:1]
	v_cmp_gt_u32_e32 vcc, s2, v7
	s_and_saveexec_b64 s[0:1], vcc
	s_cbranch_execnz .LBB1853_50
.LBB1853_37:
	s_or_b64 exec, exec, s[0:1]
	v_cmp_gt_u32_e32 vcc, s2, v6
	s_and_saveexec_b64 s[0:1], vcc
	s_cbranch_execnz .LBB1853_51
.LBB1853_38:
	s_or_b64 exec, exec, s[0:1]
	v_cmp_gt_u32_e32 vcc, s2, v5
	s_and_saveexec_b64 s[0:1], vcc
	s_cbranch_execz .LBB1853_40
.LBB1853_39:
	s_waitcnt lgkmcnt(1)
	global_store_short v[2:3], v12, off offset:1536
.LBB1853_40:
	s_or_b64 exec, exec, s[0:1]
	v_cmp_gt_u32_e64 s[0:1], s2, v4
.LBB1853_41:
	s_and_saveexec_b64 s[2:3], s[0:1]
	s_cbranch_execz .LBB1853_43
; %bb.42:
	s_waitcnt lgkmcnt(0)
	global_store_short v[2:3], v1, off offset:1792
.LBB1853_43:
	s_endpgm
.LBB1853_44:
	v_mov_b32_e32 v2, s9
	v_add_co_u32_e32 v4, vcc, s8, v1
	v_mov_b32_e32 v3, 0
	s_waitcnt vmcnt(0)
	v_addc_co_u32_e32 v5, vcc, 0, v2, vcc
	v_subrev_u32_e32 v2, s15, v0
	v_lshlrev_b64 v[2:3], 1, v[2:3]
	v_mov_b32_e32 v7, s12
	v_add_co_u32_e32 v2, vcc, s11, v2
	v_addc_co_u32_e32 v3, vcc, v7, v3, vcc
	v_cmp_gt_u32_e32 vcc, s15, v0
	v_cndmask_b32_e32 v3, v3, v5, vcc
	v_cndmask_b32_e32 v2, v2, v4, vcc
	global_load_ushort v2, v[2:3], off
	s_or_b64 exec, exec, s[0:1]
	v_cmp_gt_u32_e32 vcc, s6, v8
	s_and_saveexec_b64 s[2:3], vcc
	s_cbranch_execz .LBB1853_6
.LBB1853_45:
	v_mov_b32_e32 v9, 0
	v_lshlrev_b64 v[12:13], 1, v[8:9]
	v_mov_b32_e32 v7, s9
	v_add_co_u32_e32 v10, vcc, s8, v12
	v_addc_co_u32_e32 v7, vcc, v7, v13, vcc
	v_cmp_gt_u32_e32 vcc, s15, v8
	v_subrev_u32_e32 v8, s15, v8
	v_lshlrev_b64 v[8:9], 1, v[8:9]
	v_mov_b32_e32 v12, s12
	v_add_co_u32_e64 v8, s[0:1], s11, v8
	v_addc_co_u32_e64 v9, s[0:1], v12, v9, s[0:1]
	v_cndmask_b32_e32 v9, v9, v7, vcc
	v_cndmask_b32_e32 v8, v8, v10, vcc
	global_load_ushort v7, v[8:9], off
	s_mov_b32 s0, 0x5040100
	s_waitcnt vmcnt(0)
	v_perm_b32 v2, v7, v2, s0
	s_or_b64 exec, exec, s[2:3]
	v_cmp_gt_u32_e32 vcc, s6, v6
	s_and_saveexec_b64 s[0:1], vcc
	s_cbranch_execnz .LBB1853_7
	s_branch .LBB1853_8
.LBB1853_46:
	ds_read_u16 v0, v11
	s_waitcnt lgkmcnt(0)
	global_store_short v[2:3], v0, off
	s_or_b64 exec, exec, s[0:1]
	v_cmp_gt_u32_e32 vcc, s2, v10
	s_and_saveexec_b64 s[0:1], vcc
	s_cbranch_execz .LBB1853_34
.LBB1853_47:
	s_waitcnt lgkmcnt(6)
	global_store_short v[2:3], v21, off offset:256
	s_or_b64 exec, exec, s[0:1]
	v_cmp_gt_u32_e32 vcc, s2, v9
	s_and_saveexec_b64 s[0:1], vcc
	s_cbranch_execz .LBB1853_35
.LBB1853_48:
	s_waitcnt lgkmcnt(5)
	global_store_short v[2:3], v20, off offset:512
	s_or_b64 exec, exec, s[0:1]
	v_cmp_gt_u32_e32 vcc, s2, v8
	s_and_saveexec_b64 s[0:1], vcc
	s_cbranch_execz .LBB1853_36
.LBB1853_49:
	s_waitcnt lgkmcnt(4)
	global_store_short v[2:3], v19, off offset:768
	s_or_b64 exec, exec, s[0:1]
	v_cmp_gt_u32_e32 vcc, s2, v7
	s_and_saveexec_b64 s[0:1], vcc
	s_cbranch_execz .LBB1853_37
.LBB1853_50:
	s_waitcnt lgkmcnt(3)
	global_store_short v[2:3], v14, off offset:1024
	s_or_b64 exec, exec, s[0:1]
	v_cmp_gt_u32_e32 vcc, s2, v6
	s_and_saveexec_b64 s[0:1], vcc
	s_cbranch_execz .LBB1853_38
.LBB1853_51:
	s_waitcnt lgkmcnt(2)
	global_store_short v[2:3], v13, off offset:1280
	s_or_b64 exec, exec, s[0:1]
	v_cmp_gt_u32_e32 vcc, s2, v5
	s_and_saveexec_b64 s[0:1], vcc
	s_cbranch_execnz .LBB1853_39
	s_branch .LBB1853_40
	.section	.rodata,"a",@progbits
	.p2align	6, 0x0
	.amdhsa_kernel _ZN7rocprim17ROCPRIM_400000_NS6detail17trampoline_kernelINS0_14default_configENS1_38merge_sort_block_merge_config_selectorIsNS0_10empty_typeEEEZZNS1_27merge_sort_block_merge_implIS3_N6thrust23THRUST_200600_302600_NS6detail15normal_iteratorINS9_10device_ptrIsEEEEPS5_jNS1_19radix_merge_compareILb0ELb0EsNS0_19identity_decomposerEEEEE10hipError_tT0_T1_T2_jT3_P12ihipStream_tbPNSt15iterator_traitsISK_E10value_typeEPNSQ_ISL_E10value_typeEPSM_NS1_7vsmem_tEENKUlT_SK_SL_SM_E_clISE_PsSF_SF_EESJ_SZ_SK_SL_SM_EUlSZ_E0_NS1_11comp_targetILNS1_3genE4ELNS1_11target_archE910ELNS1_3gpuE8ELNS1_3repE0EEENS1_38merge_mergepath_config_static_selectorELNS0_4arch9wavefront6targetE1EEEvSL_
		.amdhsa_group_segment_fixed_size 2112
		.amdhsa_private_segment_fixed_size 0
		.amdhsa_kernarg_size 320
		.amdhsa_user_sgpr_count 6
		.amdhsa_user_sgpr_private_segment_buffer 1
		.amdhsa_user_sgpr_dispatch_ptr 0
		.amdhsa_user_sgpr_queue_ptr 0
		.amdhsa_user_sgpr_kernarg_segment_ptr 1
		.amdhsa_user_sgpr_dispatch_id 0
		.amdhsa_user_sgpr_flat_scratch_init 0
		.amdhsa_user_sgpr_kernarg_preload_length 0
		.amdhsa_user_sgpr_kernarg_preload_offset 0
		.amdhsa_user_sgpr_private_segment_size 0
		.amdhsa_uses_dynamic_stack 0
		.amdhsa_system_sgpr_private_segment_wavefront_offset 0
		.amdhsa_system_sgpr_workgroup_id_x 1
		.amdhsa_system_sgpr_workgroup_id_y 1
		.amdhsa_system_sgpr_workgroup_id_z 1
		.amdhsa_system_sgpr_workgroup_info 0
		.amdhsa_system_vgpr_workitem_id 0
		.amdhsa_next_free_vgpr 26
		.amdhsa_next_free_sgpr 24
		.amdhsa_accum_offset 28
		.amdhsa_reserve_vcc 1
		.amdhsa_reserve_flat_scratch 0
		.amdhsa_float_round_mode_32 0
		.amdhsa_float_round_mode_16_64 0
		.amdhsa_float_denorm_mode_32 3
		.amdhsa_float_denorm_mode_16_64 3
		.amdhsa_dx10_clamp 1
		.amdhsa_ieee_mode 1
		.amdhsa_fp16_overflow 0
		.amdhsa_tg_split 0
		.amdhsa_exception_fp_ieee_invalid_op 0
		.amdhsa_exception_fp_denorm_src 0
		.amdhsa_exception_fp_ieee_div_zero 0
		.amdhsa_exception_fp_ieee_overflow 0
		.amdhsa_exception_fp_ieee_underflow 0
		.amdhsa_exception_fp_ieee_inexact 0
		.amdhsa_exception_int_div_zero 0
	.end_amdhsa_kernel
	.section	.text._ZN7rocprim17ROCPRIM_400000_NS6detail17trampoline_kernelINS0_14default_configENS1_38merge_sort_block_merge_config_selectorIsNS0_10empty_typeEEEZZNS1_27merge_sort_block_merge_implIS3_N6thrust23THRUST_200600_302600_NS6detail15normal_iteratorINS9_10device_ptrIsEEEEPS5_jNS1_19radix_merge_compareILb0ELb0EsNS0_19identity_decomposerEEEEE10hipError_tT0_T1_T2_jT3_P12ihipStream_tbPNSt15iterator_traitsISK_E10value_typeEPNSQ_ISL_E10value_typeEPSM_NS1_7vsmem_tEENKUlT_SK_SL_SM_E_clISE_PsSF_SF_EESJ_SZ_SK_SL_SM_EUlSZ_E0_NS1_11comp_targetILNS1_3genE4ELNS1_11target_archE910ELNS1_3gpuE8ELNS1_3repE0EEENS1_38merge_mergepath_config_static_selectorELNS0_4arch9wavefront6targetE1EEEvSL_,"axG",@progbits,_ZN7rocprim17ROCPRIM_400000_NS6detail17trampoline_kernelINS0_14default_configENS1_38merge_sort_block_merge_config_selectorIsNS0_10empty_typeEEEZZNS1_27merge_sort_block_merge_implIS3_N6thrust23THRUST_200600_302600_NS6detail15normal_iteratorINS9_10device_ptrIsEEEEPS5_jNS1_19radix_merge_compareILb0ELb0EsNS0_19identity_decomposerEEEEE10hipError_tT0_T1_T2_jT3_P12ihipStream_tbPNSt15iterator_traitsISK_E10value_typeEPNSQ_ISL_E10value_typeEPSM_NS1_7vsmem_tEENKUlT_SK_SL_SM_E_clISE_PsSF_SF_EESJ_SZ_SK_SL_SM_EUlSZ_E0_NS1_11comp_targetILNS1_3genE4ELNS1_11target_archE910ELNS1_3gpuE8ELNS1_3repE0EEENS1_38merge_mergepath_config_static_selectorELNS0_4arch9wavefront6targetE1EEEvSL_,comdat
.Lfunc_end1853:
	.size	_ZN7rocprim17ROCPRIM_400000_NS6detail17trampoline_kernelINS0_14default_configENS1_38merge_sort_block_merge_config_selectorIsNS0_10empty_typeEEEZZNS1_27merge_sort_block_merge_implIS3_N6thrust23THRUST_200600_302600_NS6detail15normal_iteratorINS9_10device_ptrIsEEEEPS5_jNS1_19radix_merge_compareILb0ELb0EsNS0_19identity_decomposerEEEEE10hipError_tT0_T1_T2_jT3_P12ihipStream_tbPNSt15iterator_traitsISK_E10value_typeEPNSQ_ISL_E10value_typeEPSM_NS1_7vsmem_tEENKUlT_SK_SL_SM_E_clISE_PsSF_SF_EESJ_SZ_SK_SL_SM_EUlSZ_E0_NS1_11comp_targetILNS1_3genE4ELNS1_11target_archE910ELNS1_3gpuE8ELNS1_3repE0EEENS1_38merge_mergepath_config_static_selectorELNS0_4arch9wavefront6targetE1EEEvSL_, .Lfunc_end1853-_ZN7rocprim17ROCPRIM_400000_NS6detail17trampoline_kernelINS0_14default_configENS1_38merge_sort_block_merge_config_selectorIsNS0_10empty_typeEEEZZNS1_27merge_sort_block_merge_implIS3_N6thrust23THRUST_200600_302600_NS6detail15normal_iteratorINS9_10device_ptrIsEEEEPS5_jNS1_19radix_merge_compareILb0ELb0EsNS0_19identity_decomposerEEEEE10hipError_tT0_T1_T2_jT3_P12ihipStream_tbPNSt15iterator_traitsISK_E10value_typeEPNSQ_ISL_E10value_typeEPSM_NS1_7vsmem_tEENKUlT_SK_SL_SM_E_clISE_PsSF_SF_EESJ_SZ_SK_SL_SM_EUlSZ_E0_NS1_11comp_targetILNS1_3genE4ELNS1_11target_archE910ELNS1_3gpuE8ELNS1_3repE0EEENS1_38merge_mergepath_config_static_selectorELNS0_4arch9wavefront6targetE1EEEvSL_
                                        ; -- End function
	.section	.AMDGPU.csdata,"",@progbits
; Kernel info:
; codeLenInByte = 3760
; NumSgprs: 28
; NumVgprs: 26
; NumAgprs: 0
; TotalNumVgprs: 26
; ScratchSize: 0
; MemoryBound: 0
; FloatMode: 240
; IeeeMode: 1
; LDSByteSize: 2112 bytes/workgroup (compile time only)
; SGPRBlocks: 3
; VGPRBlocks: 3
; NumSGPRsForWavesPerEU: 28
; NumVGPRsForWavesPerEU: 26
; AccumOffset: 28
; Occupancy: 8
; WaveLimiterHint : 1
; COMPUTE_PGM_RSRC2:SCRATCH_EN: 0
; COMPUTE_PGM_RSRC2:USER_SGPR: 6
; COMPUTE_PGM_RSRC2:TRAP_HANDLER: 0
; COMPUTE_PGM_RSRC2:TGID_X_EN: 1
; COMPUTE_PGM_RSRC2:TGID_Y_EN: 1
; COMPUTE_PGM_RSRC2:TGID_Z_EN: 1
; COMPUTE_PGM_RSRC2:TIDIG_COMP_CNT: 0
; COMPUTE_PGM_RSRC3_GFX90A:ACCUM_OFFSET: 6
; COMPUTE_PGM_RSRC3_GFX90A:TG_SPLIT: 0
	.section	.text._ZN7rocprim17ROCPRIM_400000_NS6detail17trampoline_kernelINS0_14default_configENS1_38merge_sort_block_merge_config_selectorIsNS0_10empty_typeEEEZZNS1_27merge_sort_block_merge_implIS3_N6thrust23THRUST_200600_302600_NS6detail15normal_iteratorINS9_10device_ptrIsEEEEPS5_jNS1_19radix_merge_compareILb0ELb0EsNS0_19identity_decomposerEEEEE10hipError_tT0_T1_T2_jT3_P12ihipStream_tbPNSt15iterator_traitsISK_E10value_typeEPNSQ_ISL_E10value_typeEPSM_NS1_7vsmem_tEENKUlT_SK_SL_SM_E_clISE_PsSF_SF_EESJ_SZ_SK_SL_SM_EUlSZ_E0_NS1_11comp_targetILNS1_3genE3ELNS1_11target_archE908ELNS1_3gpuE7ELNS1_3repE0EEENS1_38merge_mergepath_config_static_selectorELNS0_4arch9wavefront6targetE1EEEvSL_,"axG",@progbits,_ZN7rocprim17ROCPRIM_400000_NS6detail17trampoline_kernelINS0_14default_configENS1_38merge_sort_block_merge_config_selectorIsNS0_10empty_typeEEEZZNS1_27merge_sort_block_merge_implIS3_N6thrust23THRUST_200600_302600_NS6detail15normal_iteratorINS9_10device_ptrIsEEEEPS5_jNS1_19radix_merge_compareILb0ELb0EsNS0_19identity_decomposerEEEEE10hipError_tT0_T1_T2_jT3_P12ihipStream_tbPNSt15iterator_traitsISK_E10value_typeEPNSQ_ISL_E10value_typeEPSM_NS1_7vsmem_tEENKUlT_SK_SL_SM_E_clISE_PsSF_SF_EESJ_SZ_SK_SL_SM_EUlSZ_E0_NS1_11comp_targetILNS1_3genE3ELNS1_11target_archE908ELNS1_3gpuE7ELNS1_3repE0EEENS1_38merge_mergepath_config_static_selectorELNS0_4arch9wavefront6targetE1EEEvSL_,comdat
	.protected	_ZN7rocprim17ROCPRIM_400000_NS6detail17trampoline_kernelINS0_14default_configENS1_38merge_sort_block_merge_config_selectorIsNS0_10empty_typeEEEZZNS1_27merge_sort_block_merge_implIS3_N6thrust23THRUST_200600_302600_NS6detail15normal_iteratorINS9_10device_ptrIsEEEEPS5_jNS1_19radix_merge_compareILb0ELb0EsNS0_19identity_decomposerEEEEE10hipError_tT0_T1_T2_jT3_P12ihipStream_tbPNSt15iterator_traitsISK_E10value_typeEPNSQ_ISL_E10value_typeEPSM_NS1_7vsmem_tEENKUlT_SK_SL_SM_E_clISE_PsSF_SF_EESJ_SZ_SK_SL_SM_EUlSZ_E0_NS1_11comp_targetILNS1_3genE3ELNS1_11target_archE908ELNS1_3gpuE7ELNS1_3repE0EEENS1_38merge_mergepath_config_static_selectorELNS0_4arch9wavefront6targetE1EEEvSL_ ; -- Begin function _ZN7rocprim17ROCPRIM_400000_NS6detail17trampoline_kernelINS0_14default_configENS1_38merge_sort_block_merge_config_selectorIsNS0_10empty_typeEEEZZNS1_27merge_sort_block_merge_implIS3_N6thrust23THRUST_200600_302600_NS6detail15normal_iteratorINS9_10device_ptrIsEEEEPS5_jNS1_19radix_merge_compareILb0ELb0EsNS0_19identity_decomposerEEEEE10hipError_tT0_T1_T2_jT3_P12ihipStream_tbPNSt15iterator_traitsISK_E10value_typeEPNSQ_ISL_E10value_typeEPSM_NS1_7vsmem_tEENKUlT_SK_SL_SM_E_clISE_PsSF_SF_EESJ_SZ_SK_SL_SM_EUlSZ_E0_NS1_11comp_targetILNS1_3genE3ELNS1_11target_archE908ELNS1_3gpuE7ELNS1_3repE0EEENS1_38merge_mergepath_config_static_selectorELNS0_4arch9wavefront6targetE1EEEvSL_
	.globl	_ZN7rocprim17ROCPRIM_400000_NS6detail17trampoline_kernelINS0_14default_configENS1_38merge_sort_block_merge_config_selectorIsNS0_10empty_typeEEEZZNS1_27merge_sort_block_merge_implIS3_N6thrust23THRUST_200600_302600_NS6detail15normal_iteratorINS9_10device_ptrIsEEEEPS5_jNS1_19radix_merge_compareILb0ELb0EsNS0_19identity_decomposerEEEEE10hipError_tT0_T1_T2_jT3_P12ihipStream_tbPNSt15iterator_traitsISK_E10value_typeEPNSQ_ISL_E10value_typeEPSM_NS1_7vsmem_tEENKUlT_SK_SL_SM_E_clISE_PsSF_SF_EESJ_SZ_SK_SL_SM_EUlSZ_E0_NS1_11comp_targetILNS1_3genE3ELNS1_11target_archE908ELNS1_3gpuE7ELNS1_3repE0EEENS1_38merge_mergepath_config_static_selectorELNS0_4arch9wavefront6targetE1EEEvSL_
	.p2align	8
	.type	_ZN7rocprim17ROCPRIM_400000_NS6detail17trampoline_kernelINS0_14default_configENS1_38merge_sort_block_merge_config_selectorIsNS0_10empty_typeEEEZZNS1_27merge_sort_block_merge_implIS3_N6thrust23THRUST_200600_302600_NS6detail15normal_iteratorINS9_10device_ptrIsEEEEPS5_jNS1_19radix_merge_compareILb0ELb0EsNS0_19identity_decomposerEEEEE10hipError_tT0_T1_T2_jT3_P12ihipStream_tbPNSt15iterator_traitsISK_E10value_typeEPNSQ_ISL_E10value_typeEPSM_NS1_7vsmem_tEENKUlT_SK_SL_SM_E_clISE_PsSF_SF_EESJ_SZ_SK_SL_SM_EUlSZ_E0_NS1_11comp_targetILNS1_3genE3ELNS1_11target_archE908ELNS1_3gpuE7ELNS1_3repE0EEENS1_38merge_mergepath_config_static_selectorELNS0_4arch9wavefront6targetE1EEEvSL_,@function
_ZN7rocprim17ROCPRIM_400000_NS6detail17trampoline_kernelINS0_14default_configENS1_38merge_sort_block_merge_config_selectorIsNS0_10empty_typeEEEZZNS1_27merge_sort_block_merge_implIS3_N6thrust23THRUST_200600_302600_NS6detail15normal_iteratorINS9_10device_ptrIsEEEEPS5_jNS1_19radix_merge_compareILb0ELb0EsNS0_19identity_decomposerEEEEE10hipError_tT0_T1_T2_jT3_P12ihipStream_tbPNSt15iterator_traitsISK_E10value_typeEPNSQ_ISL_E10value_typeEPSM_NS1_7vsmem_tEENKUlT_SK_SL_SM_E_clISE_PsSF_SF_EESJ_SZ_SK_SL_SM_EUlSZ_E0_NS1_11comp_targetILNS1_3genE3ELNS1_11target_archE908ELNS1_3gpuE7ELNS1_3repE0EEENS1_38merge_mergepath_config_static_selectorELNS0_4arch9wavefront6targetE1EEEvSL_: ; @_ZN7rocprim17ROCPRIM_400000_NS6detail17trampoline_kernelINS0_14default_configENS1_38merge_sort_block_merge_config_selectorIsNS0_10empty_typeEEEZZNS1_27merge_sort_block_merge_implIS3_N6thrust23THRUST_200600_302600_NS6detail15normal_iteratorINS9_10device_ptrIsEEEEPS5_jNS1_19radix_merge_compareILb0ELb0EsNS0_19identity_decomposerEEEEE10hipError_tT0_T1_T2_jT3_P12ihipStream_tbPNSt15iterator_traitsISK_E10value_typeEPNSQ_ISL_E10value_typeEPSM_NS1_7vsmem_tEENKUlT_SK_SL_SM_E_clISE_PsSF_SF_EESJ_SZ_SK_SL_SM_EUlSZ_E0_NS1_11comp_targetILNS1_3genE3ELNS1_11target_archE908ELNS1_3gpuE7ELNS1_3repE0EEENS1_38merge_mergepath_config_static_selectorELNS0_4arch9wavefront6targetE1EEEvSL_
; %bb.0:
	.section	.rodata,"a",@progbits
	.p2align	6, 0x0
	.amdhsa_kernel _ZN7rocprim17ROCPRIM_400000_NS6detail17trampoline_kernelINS0_14default_configENS1_38merge_sort_block_merge_config_selectorIsNS0_10empty_typeEEEZZNS1_27merge_sort_block_merge_implIS3_N6thrust23THRUST_200600_302600_NS6detail15normal_iteratorINS9_10device_ptrIsEEEEPS5_jNS1_19radix_merge_compareILb0ELb0EsNS0_19identity_decomposerEEEEE10hipError_tT0_T1_T2_jT3_P12ihipStream_tbPNSt15iterator_traitsISK_E10value_typeEPNSQ_ISL_E10value_typeEPSM_NS1_7vsmem_tEENKUlT_SK_SL_SM_E_clISE_PsSF_SF_EESJ_SZ_SK_SL_SM_EUlSZ_E0_NS1_11comp_targetILNS1_3genE3ELNS1_11target_archE908ELNS1_3gpuE7ELNS1_3repE0EEENS1_38merge_mergepath_config_static_selectorELNS0_4arch9wavefront6targetE1EEEvSL_
		.amdhsa_group_segment_fixed_size 0
		.amdhsa_private_segment_fixed_size 0
		.amdhsa_kernarg_size 64
		.amdhsa_user_sgpr_count 6
		.amdhsa_user_sgpr_private_segment_buffer 1
		.amdhsa_user_sgpr_dispatch_ptr 0
		.amdhsa_user_sgpr_queue_ptr 0
		.amdhsa_user_sgpr_kernarg_segment_ptr 1
		.amdhsa_user_sgpr_dispatch_id 0
		.amdhsa_user_sgpr_flat_scratch_init 0
		.amdhsa_user_sgpr_kernarg_preload_length 0
		.amdhsa_user_sgpr_kernarg_preload_offset 0
		.amdhsa_user_sgpr_private_segment_size 0
		.amdhsa_uses_dynamic_stack 0
		.amdhsa_system_sgpr_private_segment_wavefront_offset 0
		.amdhsa_system_sgpr_workgroup_id_x 1
		.amdhsa_system_sgpr_workgroup_id_y 0
		.amdhsa_system_sgpr_workgroup_id_z 0
		.amdhsa_system_sgpr_workgroup_info 0
		.amdhsa_system_vgpr_workitem_id 0
		.amdhsa_next_free_vgpr 1
		.amdhsa_next_free_sgpr 0
		.amdhsa_accum_offset 4
		.amdhsa_reserve_vcc 0
		.amdhsa_reserve_flat_scratch 0
		.amdhsa_float_round_mode_32 0
		.amdhsa_float_round_mode_16_64 0
		.amdhsa_float_denorm_mode_32 3
		.amdhsa_float_denorm_mode_16_64 3
		.amdhsa_dx10_clamp 1
		.amdhsa_ieee_mode 1
		.amdhsa_fp16_overflow 0
		.amdhsa_tg_split 0
		.amdhsa_exception_fp_ieee_invalid_op 0
		.amdhsa_exception_fp_denorm_src 0
		.amdhsa_exception_fp_ieee_div_zero 0
		.amdhsa_exception_fp_ieee_overflow 0
		.amdhsa_exception_fp_ieee_underflow 0
		.amdhsa_exception_fp_ieee_inexact 0
		.amdhsa_exception_int_div_zero 0
	.end_amdhsa_kernel
	.section	.text._ZN7rocprim17ROCPRIM_400000_NS6detail17trampoline_kernelINS0_14default_configENS1_38merge_sort_block_merge_config_selectorIsNS0_10empty_typeEEEZZNS1_27merge_sort_block_merge_implIS3_N6thrust23THRUST_200600_302600_NS6detail15normal_iteratorINS9_10device_ptrIsEEEEPS5_jNS1_19radix_merge_compareILb0ELb0EsNS0_19identity_decomposerEEEEE10hipError_tT0_T1_T2_jT3_P12ihipStream_tbPNSt15iterator_traitsISK_E10value_typeEPNSQ_ISL_E10value_typeEPSM_NS1_7vsmem_tEENKUlT_SK_SL_SM_E_clISE_PsSF_SF_EESJ_SZ_SK_SL_SM_EUlSZ_E0_NS1_11comp_targetILNS1_3genE3ELNS1_11target_archE908ELNS1_3gpuE7ELNS1_3repE0EEENS1_38merge_mergepath_config_static_selectorELNS0_4arch9wavefront6targetE1EEEvSL_,"axG",@progbits,_ZN7rocprim17ROCPRIM_400000_NS6detail17trampoline_kernelINS0_14default_configENS1_38merge_sort_block_merge_config_selectorIsNS0_10empty_typeEEEZZNS1_27merge_sort_block_merge_implIS3_N6thrust23THRUST_200600_302600_NS6detail15normal_iteratorINS9_10device_ptrIsEEEEPS5_jNS1_19radix_merge_compareILb0ELb0EsNS0_19identity_decomposerEEEEE10hipError_tT0_T1_T2_jT3_P12ihipStream_tbPNSt15iterator_traitsISK_E10value_typeEPNSQ_ISL_E10value_typeEPSM_NS1_7vsmem_tEENKUlT_SK_SL_SM_E_clISE_PsSF_SF_EESJ_SZ_SK_SL_SM_EUlSZ_E0_NS1_11comp_targetILNS1_3genE3ELNS1_11target_archE908ELNS1_3gpuE7ELNS1_3repE0EEENS1_38merge_mergepath_config_static_selectorELNS0_4arch9wavefront6targetE1EEEvSL_,comdat
.Lfunc_end1854:
	.size	_ZN7rocprim17ROCPRIM_400000_NS6detail17trampoline_kernelINS0_14default_configENS1_38merge_sort_block_merge_config_selectorIsNS0_10empty_typeEEEZZNS1_27merge_sort_block_merge_implIS3_N6thrust23THRUST_200600_302600_NS6detail15normal_iteratorINS9_10device_ptrIsEEEEPS5_jNS1_19radix_merge_compareILb0ELb0EsNS0_19identity_decomposerEEEEE10hipError_tT0_T1_T2_jT3_P12ihipStream_tbPNSt15iterator_traitsISK_E10value_typeEPNSQ_ISL_E10value_typeEPSM_NS1_7vsmem_tEENKUlT_SK_SL_SM_E_clISE_PsSF_SF_EESJ_SZ_SK_SL_SM_EUlSZ_E0_NS1_11comp_targetILNS1_3genE3ELNS1_11target_archE908ELNS1_3gpuE7ELNS1_3repE0EEENS1_38merge_mergepath_config_static_selectorELNS0_4arch9wavefront6targetE1EEEvSL_, .Lfunc_end1854-_ZN7rocprim17ROCPRIM_400000_NS6detail17trampoline_kernelINS0_14default_configENS1_38merge_sort_block_merge_config_selectorIsNS0_10empty_typeEEEZZNS1_27merge_sort_block_merge_implIS3_N6thrust23THRUST_200600_302600_NS6detail15normal_iteratorINS9_10device_ptrIsEEEEPS5_jNS1_19radix_merge_compareILb0ELb0EsNS0_19identity_decomposerEEEEE10hipError_tT0_T1_T2_jT3_P12ihipStream_tbPNSt15iterator_traitsISK_E10value_typeEPNSQ_ISL_E10value_typeEPSM_NS1_7vsmem_tEENKUlT_SK_SL_SM_E_clISE_PsSF_SF_EESJ_SZ_SK_SL_SM_EUlSZ_E0_NS1_11comp_targetILNS1_3genE3ELNS1_11target_archE908ELNS1_3gpuE7ELNS1_3repE0EEENS1_38merge_mergepath_config_static_selectorELNS0_4arch9wavefront6targetE1EEEvSL_
                                        ; -- End function
	.section	.AMDGPU.csdata,"",@progbits
; Kernel info:
; codeLenInByte = 0
; NumSgprs: 4
; NumVgprs: 0
; NumAgprs: 0
; TotalNumVgprs: 0
; ScratchSize: 0
; MemoryBound: 0
; FloatMode: 240
; IeeeMode: 1
; LDSByteSize: 0 bytes/workgroup (compile time only)
; SGPRBlocks: 0
; VGPRBlocks: 0
; NumSGPRsForWavesPerEU: 4
; NumVGPRsForWavesPerEU: 1
; AccumOffset: 4
; Occupancy: 8
; WaveLimiterHint : 0
; COMPUTE_PGM_RSRC2:SCRATCH_EN: 0
; COMPUTE_PGM_RSRC2:USER_SGPR: 6
; COMPUTE_PGM_RSRC2:TRAP_HANDLER: 0
; COMPUTE_PGM_RSRC2:TGID_X_EN: 1
; COMPUTE_PGM_RSRC2:TGID_Y_EN: 0
; COMPUTE_PGM_RSRC2:TGID_Z_EN: 0
; COMPUTE_PGM_RSRC2:TIDIG_COMP_CNT: 0
; COMPUTE_PGM_RSRC3_GFX90A:ACCUM_OFFSET: 0
; COMPUTE_PGM_RSRC3_GFX90A:TG_SPLIT: 0
	.section	.text._ZN7rocprim17ROCPRIM_400000_NS6detail17trampoline_kernelINS0_14default_configENS1_38merge_sort_block_merge_config_selectorIsNS0_10empty_typeEEEZZNS1_27merge_sort_block_merge_implIS3_N6thrust23THRUST_200600_302600_NS6detail15normal_iteratorINS9_10device_ptrIsEEEEPS5_jNS1_19radix_merge_compareILb0ELb0EsNS0_19identity_decomposerEEEEE10hipError_tT0_T1_T2_jT3_P12ihipStream_tbPNSt15iterator_traitsISK_E10value_typeEPNSQ_ISL_E10value_typeEPSM_NS1_7vsmem_tEENKUlT_SK_SL_SM_E_clISE_PsSF_SF_EESJ_SZ_SK_SL_SM_EUlSZ_E0_NS1_11comp_targetILNS1_3genE2ELNS1_11target_archE906ELNS1_3gpuE6ELNS1_3repE0EEENS1_38merge_mergepath_config_static_selectorELNS0_4arch9wavefront6targetE1EEEvSL_,"axG",@progbits,_ZN7rocprim17ROCPRIM_400000_NS6detail17trampoline_kernelINS0_14default_configENS1_38merge_sort_block_merge_config_selectorIsNS0_10empty_typeEEEZZNS1_27merge_sort_block_merge_implIS3_N6thrust23THRUST_200600_302600_NS6detail15normal_iteratorINS9_10device_ptrIsEEEEPS5_jNS1_19radix_merge_compareILb0ELb0EsNS0_19identity_decomposerEEEEE10hipError_tT0_T1_T2_jT3_P12ihipStream_tbPNSt15iterator_traitsISK_E10value_typeEPNSQ_ISL_E10value_typeEPSM_NS1_7vsmem_tEENKUlT_SK_SL_SM_E_clISE_PsSF_SF_EESJ_SZ_SK_SL_SM_EUlSZ_E0_NS1_11comp_targetILNS1_3genE2ELNS1_11target_archE906ELNS1_3gpuE6ELNS1_3repE0EEENS1_38merge_mergepath_config_static_selectorELNS0_4arch9wavefront6targetE1EEEvSL_,comdat
	.protected	_ZN7rocprim17ROCPRIM_400000_NS6detail17trampoline_kernelINS0_14default_configENS1_38merge_sort_block_merge_config_selectorIsNS0_10empty_typeEEEZZNS1_27merge_sort_block_merge_implIS3_N6thrust23THRUST_200600_302600_NS6detail15normal_iteratorINS9_10device_ptrIsEEEEPS5_jNS1_19radix_merge_compareILb0ELb0EsNS0_19identity_decomposerEEEEE10hipError_tT0_T1_T2_jT3_P12ihipStream_tbPNSt15iterator_traitsISK_E10value_typeEPNSQ_ISL_E10value_typeEPSM_NS1_7vsmem_tEENKUlT_SK_SL_SM_E_clISE_PsSF_SF_EESJ_SZ_SK_SL_SM_EUlSZ_E0_NS1_11comp_targetILNS1_3genE2ELNS1_11target_archE906ELNS1_3gpuE6ELNS1_3repE0EEENS1_38merge_mergepath_config_static_selectorELNS0_4arch9wavefront6targetE1EEEvSL_ ; -- Begin function _ZN7rocprim17ROCPRIM_400000_NS6detail17trampoline_kernelINS0_14default_configENS1_38merge_sort_block_merge_config_selectorIsNS0_10empty_typeEEEZZNS1_27merge_sort_block_merge_implIS3_N6thrust23THRUST_200600_302600_NS6detail15normal_iteratorINS9_10device_ptrIsEEEEPS5_jNS1_19radix_merge_compareILb0ELb0EsNS0_19identity_decomposerEEEEE10hipError_tT0_T1_T2_jT3_P12ihipStream_tbPNSt15iterator_traitsISK_E10value_typeEPNSQ_ISL_E10value_typeEPSM_NS1_7vsmem_tEENKUlT_SK_SL_SM_E_clISE_PsSF_SF_EESJ_SZ_SK_SL_SM_EUlSZ_E0_NS1_11comp_targetILNS1_3genE2ELNS1_11target_archE906ELNS1_3gpuE6ELNS1_3repE0EEENS1_38merge_mergepath_config_static_selectorELNS0_4arch9wavefront6targetE1EEEvSL_
	.globl	_ZN7rocprim17ROCPRIM_400000_NS6detail17trampoline_kernelINS0_14default_configENS1_38merge_sort_block_merge_config_selectorIsNS0_10empty_typeEEEZZNS1_27merge_sort_block_merge_implIS3_N6thrust23THRUST_200600_302600_NS6detail15normal_iteratorINS9_10device_ptrIsEEEEPS5_jNS1_19radix_merge_compareILb0ELb0EsNS0_19identity_decomposerEEEEE10hipError_tT0_T1_T2_jT3_P12ihipStream_tbPNSt15iterator_traitsISK_E10value_typeEPNSQ_ISL_E10value_typeEPSM_NS1_7vsmem_tEENKUlT_SK_SL_SM_E_clISE_PsSF_SF_EESJ_SZ_SK_SL_SM_EUlSZ_E0_NS1_11comp_targetILNS1_3genE2ELNS1_11target_archE906ELNS1_3gpuE6ELNS1_3repE0EEENS1_38merge_mergepath_config_static_selectorELNS0_4arch9wavefront6targetE1EEEvSL_
	.p2align	8
	.type	_ZN7rocprim17ROCPRIM_400000_NS6detail17trampoline_kernelINS0_14default_configENS1_38merge_sort_block_merge_config_selectorIsNS0_10empty_typeEEEZZNS1_27merge_sort_block_merge_implIS3_N6thrust23THRUST_200600_302600_NS6detail15normal_iteratorINS9_10device_ptrIsEEEEPS5_jNS1_19radix_merge_compareILb0ELb0EsNS0_19identity_decomposerEEEEE10hipError_tT0_T1_T2_jT3_P12ihipStream_tbPNSt15iterator_traitsISK_E10value_typeEPNSQ_ISL_E10value_typeEPSM_NS1_7vsmem_tEENKUlT_SK_SL_SM_E_clISE_PsSF_SF_EESJ_SZ_SK_SL_SM_EUlSZ_E0_NS1_11comp_targetILNS1_3genE2ELNS1_11target_archE906ELNS1_3gpuE6ELNS1_3repE0EEENS1_38merge_mergepath_config_static_selectorELNS0_4arch9wavefront6targetE1EEEvSL_,@function
_ZN7rocprim17ROCPRIM_400000_NS6detail17trampoline_kernelINS0_14default_configENS1_38merge_sort_block_merge_config_selectorIsNS0_10empty_typeEEEZZNS1_27merge_sort_block_merge_implIS3_N6thrust23THRUST_200600_302600_NS6detail15normal_iteratorINS9_10device_ptrIsEEEEPS5_jNS1_19radix_merge_compareILb0ELb0EsNS0_19identity_decomposerEEEEE10hipError_tT0_T1_T2_jT3_P12ihipStream_tbPNSt15iterator_traitsISK_E10value_typeEPNSQ_ISL_E10value_typeEPSM_NS1_7vsmem_tEENKUlT_SK_SL_SM_E_clISE_PsSF_SF_EESJ_SZ_SK_SL_SM_EUlSZ_E0_NS1_11comp_targetILNS1_3genE2ELNS1_11target_archE906ELNS1_3gpuE6ELNS1_3repE0EEENS1_38merge_mergepath_config_static_selectorELNS0_4arch9wavefront6targetE1EEEvSL_: ; @_ZN7rocprim17ROCPRIM_400000_NS6detail17trampoline_kernelINS0_14default_configENS1_38merge_sort_block_merge_config_selectorIsNS0_10empty_typeEEEZZNS1_27merge_sort_block_merge_implIS3_N6thrust23THRUST_200600_302600_NS6detail15normal_iteratorINS9_10device_ptrIsEEEEPS5_jNS1_19radix_merge_compareILb0ELb0EsNS0_19identity_decomposerEEEEE10hipError_tT0_T1_T2_jT3_P12ihipStream_tbPNSt15iterator_traitsISK_E10value_typeEPNSQ_ISL_E10value_typeEPSM_NS1_7vsmem_tEENKUlT_SK_SL_SM_E_clISE_PsSF_SF_EESJ_SZ_SK_SL_SM_EUlSZ_E0_NS1_11comp_targetILNS1_3genE2ELNS1_11target_archE906ELNS1_3gpuE6ELNS1_3repE0EEENS1_38merge_mergepath_config_static_selectorELNS0_4arch9wavefront6targetE1EEEvSL_
; %bb.0:
	.section	.rodata,"a",@progbits
	.p2align	6, 0x0
	.amdhsa_kernel _ZN7rocprim17ROCPRIM_400000_NS6detail17trampoline_kernelINS0_14default_configENS1_38merge_sort_block_merge_config_selectorIsNS0_10empty_typeEEEZZNS1_27merge_sort_block_merge_implIS3_N6thrust23THRUST_200600_302600_NS6detail15normal_iteratorINS9_10device_ptrIsEEEEPS5_jNS1_19radix_merge_compareILb0ELb0EsNS0_19identity_decomposerEEEEE10hipError_tT0_T1_T2_jT3_P12ihipStream_tbPNSt15iterator_traitsISK_E10value_typeEPNSQ_ISL_E10value_typeEPSM_NS1_7vsmem_tEENKUlT_SK_SL_SM_E_clISE_PsSF_SF_EESJ_SZ_SK_SL_SM_EUlSZ_E0_NS1_11comp_targetILNS1_3genE2ELNS1_11target_archE906ELNS1_3gpuE6ELNS1_3repE0EEENS1_38merge_mergepath_config_static_selectorELNS0_4arch9wavefront6targetE1EEEvSL_
		.amdhsa_group_segment_fixed_size 0
		.amdhsa_private_segment_fixed_size 0
		.amdhsa_kernarg_size 64
		.amdhsa_user_sgpr_count 6
		.amdhsa_user_sgpr_private_segment_buffer 1
		.amdhsa_user_sgpr_dispatch_ptr 0
		.amdhsa_user_sgpr_queue_ptr 0
		.amdhsa_user_sgpr_kernarg_segment_ptr 1
		.amdhsa_user_sgpr_dispatch_id 0
		.amdhsa_user_sgpr_flat_scratch_init 0
		.amdhsa_user_sgpr_kernarg_preload_length 0
		.amdhsa_user_sgpr_kernarg_preload_offset 0
		.amdhsa_user_sgpr_private_segment_size 0
		.amdhsa_uses_dynamic_stack 0
		.amdhsa_system_sgpr_private_segment_wavefront_offset 0
		.amdhsa_system_sgpr_workgroup_id_x 1
		.amdhsa_system_sgpr_workgroup_id_y 0
		.amdhsa_system_sgpr_workgroup_id_z 0
		.amdhsa_system_sgpr_workgroup_info 0
		.amdhsa_system_vgpr_workitem_id 0
		.amdhsa_next_free_vgpr 1
		.amdhsa_next_free_sgpr 0
		.amdhsa_accum_offset 4
		.amdhsa_reserve_vcc 0
		.amdhsa_reserve_flat_scratch 0
		.amdhsa_float_round_mode_32 0
		.amdhsa_float_round_mode_16_64 0
		.amdhsa_float_denorm_mode_32 3
		.amdhsa_float_denorm_mode_16_64 3
		.amdhsa_dx10_clamp 1
		.amdhsa_ieee_mode 1
		.amdhsa_fp16_overflow 0
		.amdhsa_tg_split 0
		.amdhsa_exception_fp_ieee_invalid_op 0
		.amdhsa_exception_fp_denorm_src 0
		.amdhsa_exception_fp_ieee_div_zero 0
		.amdhsa_exception_fp_ieee_overflow 0
		.amdhsa_exception_fp_ieee_underflow 0
		.amdhsa_exception_fp_ieee_inexact 0
		.amdhsa_exception_int_div_zero 0
	.end_amdhsa_kernel
	.section	.text._ZN7rocprim17ROCPRIM_400000_NS6detail17trampoline_kernelINS0_14default_configENS1_38merge_sort_block_merge_config_selectorIsNS0_10empty_typeEEEZZNS1_27merge_sort_block_merge_implIS3_N6thrust23THRUST_200600_302600_NS6detail15normal_iteratorINS9_10device_ptrIsEEEEPS5_jNS1_19radix_merge_compareILb0ELb0EsNS0_19identity_decomposerEEEEE10hipError_tT0_T1_T2_jT3_P12ihipStream_tbPNSt15iterator_traitsISK_E10value_typeEPNSQ_ISL_E10value_typeEPSM_NS1_7vsmem_tEENKUlT_SK_SL_SM_E_clISE_PsSF_SF_EESJ_SZ_SK_SL_SM_EUlSZ_E0_NS1_11comp_targetILNS1_3genE2ELNS1_11target_archE906ELNS1_3gpuE6ELNS1_3repE0EEENS1_38merge_mergepath_config_static_selectorELNS0_4arch9wavefront6targetE1EEEvSL_,"axG",@progbits,_ZN7rocprim17ROCPRIM_400000_NS6detail17trampoline_kernelINS0_14default_configENS1_38merge_sort_block_merge_config_selectorIsNS0_10empty_typeEEEZZNS1_27merge_sort_block_merge_implIS3_N6thrust23THRUST_200600_302600_NS6detail15normal_iteratorINS9_10device_ptrIsEEEEPS5_jNS1_19radix_merge_compareILb0ELb0EsNS0_19identity_decomposerEEEEE10hipError_tT0_T1_T2_jT3_P12ihipStream_tbPNSt15iterator_traitsISK_E10value_typeEPNSQ_ISL_E10value_typeEPSM_NS1_7vsmem_tEENKUlT_SK_SL_SM_E_clISE_PsSF_SF_EESJ_SZ_SK_SL_SM_EUlSZ_E0_NS1_11comp_targetILNS1_3genE2ELNS1_11target_archE906ELNS1_3gpuE6ELNS1_3repE0EEENS1_38merge_mergepath_config_static_selectorELNS0_4arch9wavefront6targetE1EEEvSL_,comdat
.Lfunc_end1855:
	.size	_ZN7rocprim17ROCPRIM_400000_NS6detail17trampoline_kernelINS0_14default_configENS1_38merge_sort_block_merge_config_selectorIsNS0_10empty_typeEEEZZNS1_27merge_sort_block_merge_implIS3_N6thrust23THRUST_200600_302600_NS6detail15normal_iteratorINS9_10device_ptrIsEEEEPS5_jNS1_19radix_merge_compareILb0ELb0EsNS0_19identity_decomposerEEEEE10hipError_tT0_T1_T2_jT3_P12ihipStream_tbPNSt15iterator_traitsISK_E10value_typeEPNSQ_ISL_E10value_typeEPSM_NS1_7vsmem_tEENKUlT_SK_SL_SM_E_clISE_PsSF_SF_EESJ_SZ_SK_SL_SM_EUlSZ_E0_NS1_11comp_targetILNS1_3genE2ELNS1_11target_archE906ELNS1_3gpuE6ELNS1_3repE0EEENS1_38merge_mergepath_config_static_selectorELNS0_4arch9wavefront6targetE1EEEvSL_, .Lfunc_end1855-_ZN7rocprim17ROCPRIM_400000_NS6detail17trampoline_kernelINS0_14default_configENS1_38merge_sort_block_merge_config_selectorIsNS0_10empty_typeEEEZZNS1_27merge_sort_block_merge_implIS3_N6thrust23THRUST_200600_302600_NS6detail15normal_iteratorINS9_10device_ptrIsEEEEPS5_jNS1_19radix_merge_compareILb0ELb0EsNS0_19identity_decomposerEEEEE10hipError_tT0_T1_T2_jT3_P12ihipStream_tbPNSt15iterator_traitsISK_E10value_typeEPNSQ_ISL_E10value_typeEPSM_NS1_7vsmem_tEENKUlT_SK_SL_SM_E_clISE_PsSF_SF_EESJ_SZ_SK_SL_SM_EUlSZ_E0_NS1_11comp_targetILNS1_3genE2ELNS1_11target_archE906ELNS1_3gpuE6ELNS1_3repE0EEENS1_38merge_mergepath_config_static_selectorELNS0_4arch9wavefront6targetE1EEEvSL_
                                        ; -- End function
	.section	.AMDGPU.csdata,"",@progbits
; Kernel info:
; codeLenInByte = 0
; NumSgprs: 4
; NumVgprs: 0
; NumAgprs: 0
; TotalNumVgprs: 0
; ScratchSize: 0
; MemoryBound: 0
; FloatMode: 240
; IeeeMode: 1
; LDSByteSize: 0 bytes/workgroup (compile time only)
; SGPRBlocks: 0
; VGPRBlocks: 0
; NumSGPRsForWavesPerEU: 4
; NumVGPRsForWavesPerEU: 1
; AccumOffset: 4
; Occupancy: 8
; WaveLimiterHint : 0
; COMPUTE_PGM_RSRC2:SCRATCH_EN: 0
; COMPUTE_PGM_RSRC2:USER_SGPR: 6
; COMPUTE_PGM_RSRC2:TRAP_HANDLER: 0
; COMPUTE_PGM_RSRC2:TGID_X_EN: 1
; COMPUTE_PGM_RSRC2:TGID_Y_EN: 0
; COMPUTE_PGM_RSRC2:TGID_Z_EN: 0
; COMPUTE_PGM_RSRC2:TIDIG_COMP_CNT: 0
; COMPUTE_PGM_RSRC3_GFX90A:ACCUM_OFFSET: 0
; COMPUTE_PGM_RSRC3_GFX90A:TG_SPLIT: 0
	.section	.text._ZN7rocprim17ROCPRIM_400000_NS6detail17trampoline_kernelINS0_14default_configENS1_38merge_sort_block_merge_config_selectorIsNS0_10empty_typeEEEZZNS1_27merge_sort_block_merge_implIS3_N6thrust23THRUST_200600_302600_NS6detail15normal_iteratorINS9_10device_ptrIsEEEEPS5_jNS1_19radix_merge_compareILb0ELb0EsNS0_19identity_decomposerEEEEE10hipError_tT0_T1_T2_jT3_P12ihipStream_tbPNSt15iterator_traitsISK_E10value_typeEPNSQ_ISL_E10value_typeEPSM_NS1_7vsmem_tEENKUlT_SK_SL_SM_E_clISE_PsSF_SF_EESJ_SZ_SK_SL_SM_EUlSZ_E0_NS1_11comp_targetILNS1_3genE9ELNS1_11target_archE1100ELNS1_3gpuE3ELNS1_3repE0EEENS1_38merge_mergepath_config_static_selectorELNS0_4arch9wavefront6targetE1EEEvSL_,"axG",@progbits,_ZN7rocprim17ROCPRIM_400000_NS6detail17trampoline_kernelINS0_14default_configENS1_38merge_sort_block_merge_config_selectorIsNS0_10empty_typeEEEZZNS1_27merge_sort_block_merge_implIS3_N6thrust23THRUST_200600_302600_NS6detail15normal_iteratorINS9_10device_ptrIsEEEEPS5_jNS1_19radix_merge_compareILb0ELb0EsNS0_19identity_decomposerEEEEE10hipError_tT0_T1_T2_jT3_P12ihipStream_tbPNSt15iterator_traitsISK_E10value_typeEPNSQ_ISL_E10value_typeEPSM_NS1_7vsmem_tEENKUlT_SK_SL_SM_E_clISE_PsSF_SF_EESJ_SZ_SK_SL_SM_EUlSZ_E0_NS1_11comp_targetILNS1_3genE9ELNS1_11target_archE1100ELNS1_3gpuE3ELNS1_3repE0EEENS1_38merge_mergepath_config_static_selectorELNS0_4arch9wavefront6targetE1EEEvSL_,comdat
	.protected	_ZN7rocprim17ROCPRIM_400000_NS6detail17trampoline_kernelINS0_14default_configENS1_38merge_sort_block_merge_config_selectorIsNS0_10empty_typeEEEZZNS1_27merge_sort_block_merge_implIS3_N6thrust23THRUST_200600_302600_NS6detail15normal_iteratorINS9_10device_ptrIsEEEEPS5_jNS1_19radix_merge_compareILb0ELb0EsNS0_19identity_decomposerEEEEE10hipError_tT0_T1_T2_jT3_P12ihipStream_tbPNSt15iterator_traitsISK_E10value_typeEPNSQ_ISL_E10value_typeEPSM_NS1_7vsmem_tEENKUlT_SK_SL_SM_E_clISE_PsSF_SF_EESJ_SZ_SK_SL_SM_EUlSZ_E0_NS1_11comp_targetILNS1_3genE9ELNS1_11target_archE1100ELNS1_3gpuE3ELNS1_3repE0EEENS1_38merge_mergepath_config_static_selectorELNS0_4arch9wavefront6targetE1EEEvSL_ ; -- Begin function _ZN7rocprim17ROCPRIM_400000_NS6detail17trampoline_kernelINS0_14default_configENS1_38merge_sort_block_merge_config_selectorIsNS0_10empty_typeEEEZZNS1_27merge_sort_block_merge_implIS3_N6thrust23THRUST_200600_302600_NS6detail15normal_iteratorINS9_10device_ptrIsEEEEPS5_jNS1_19radix_merge_compareILb0ELb0EsNS0_19identity_decomposerEEEEE10hipError_tT0_T1_T2_jT3_P12ihipStream_tbPNSt15iterator_traitsISK_E10value_typeEPNSQ_ISL_E10value_typeEPSM_NS1_7vsmem_tEENKUlT_SK_SL_SM_E_clISE_PsSF_SF_EESJ_SZ_SK_SL_SM_EUlSZ_E0_NS1_11comp_targetILNS1_3genE9ELNS1_11target_archE1100ELNS1_3gpuE3ELNS1_3repE0EEENS1_38merge_mergepath_config_static_selectorELNS0_4arch9wavefront6targetE1EEEvSL_
	.globl	_ZN7rocprim17ROCPRIM_400000_NS6detail17trampoline_kernelINS0_14default_configENS1_38merge_sort_block_merge_config_selectorIsNS0_10empty_typeEEEZZNS1_27merge_sort_block_merge_implIS3_N6thrust23THRUST_200600_302600_NS6detail15normal_iteratorINS9_10device_ptrIsEEEEPS5_jNS1_19radix_merge_compareILb0ELb0EsNS0_19identity_decomposerEEEEE10hipError_tT0_T1_T2_jT3_P12ihipStream_tbPNSt15iterator_traitsISK_E10value_typeEPNSQ_ISL_E10value_typeEPSM_NS1_7vsmem_tEENKUlT_SK_SL_SM_E_clISE_PsSF_SF_EESJ_SZ_SK_SL_SM_EUlSZ_E0_NS1_11comp_targetILNS1_3genE9ELNS1_11target_archE1100ELNS1_3gpuE3ELNS1_3repE0EEENS1_38merge_mergepath_config_static_selectorELNS0_4arch9wavefront6targetE1EEEvSL_
	.p2align	8
	.type	_ZN7rocprim17ROCPRIM_400000_NS6detail17trampoline_kernelINS0_14default_configENS1_38merge_sort_block_merge_config_selectorIsNS0_10empty_typeEEEZZNS1_27merge_sort_block_merge_implIS3_N6thrust23THRUST_200600_302600_NS6detail15normal_iteratorINS9_10device_ptrIsEEEEPS5_jNS1_19radix_merge_compareILb0ELb0EsNS0_19identity_decomposerEEEEE10hipError_tT0_T1_T2_jT3_P12ihipStream_tbPNSt15iterator_traitsISK_E10value_typeEPNSQ_ISL_E10value_typeEPSM_NS1_7vsmem_tEENKUlT_SK_SL_SM_E_clISE_PsSF_SF_EESJ_SZ_SK_SL_SM_EUlSZ_E0_NS1_11comp_targetILNS1_3genE9ELNS1_11target_archE1100ELNS1_3gpuE3ELNS1_3repE0EEENS1_38merge_mergepath_config_static_selectorELNS0_4arch9wavefront6targetE1EEEvSL_,@function
_ZN7rocprim17ROCPRIM_400000_NS6detail17trampoline_kernelINS0_14default_configENS1_38merge_sort_block_merge_config_selectorIsNS0_10empty_typeEEEZZNS1_27merge_sort_block_merge_implIS3_N6thrust23THRUST_200600_302600_NS6detail15normal_iteratorINS9_10device_ptrIsEEEEPS5_jNS1_19radix_merge_compareILb0ELb0EsNS0_19identity_decomposerEEEEE10hipError_tT0_T1_T2_jT3_P12ihipStream_tbPNSt15iterator_traitsISK_E10value_typeEPNSQ_ISL_E10value_typeEPSM_NS1_7vsmem_tEENKUlT_SK_SL_SM_E_clISE_PsSF_SF_EESJ_SZ_SK_SL_SM_EUlSZ_E0_NS1_11comp_targetILNS1_3genE9ELNS1_11target_archE1100ELNS1_3gpuE3ELNS1_3repE0EEENS1_38merge_mergepath_config_static_selectorELNS0_4arch9wavefront6targetE1EEEvSL_: ; @_ZN7rocprim17ROCPRIM_400000_NS6detail17trampoline_kernelINS0_14default_configENS1_38merge_sort_block_merge_config_selectorIsNS0_10empty_typeEEEZZNS1_27merge_sort_block_merge_implIS3_N6thrust23THRUST_200600_302600_NS6detail15normal_iteratorINS9_10device_ptrIsEEEEPS5_jNS1_19radix_merge_compareILb0ELb0EsNS0_19identity_decomposerEEEEE10hipError_tT0_T1_T2_jT3_P12ihipStream_tbPNSt15iterator_traitsISK_E10value_typeEPNSQ_ISL_E10value_typeEPSM_NS1_7vsmem_tEENKUlT_SK_SL_SM_E_clISE_PsSF_SF_EESJ_SZ_SK_SL_SM_EUlSZ_E0_NS1_11comp_targetILNS1_3genE9ELNS1_11target_archE1100ELNS1_3gpuE3ELNS1_3repE0EEENS1_38merge_mergepath_config_static_selectorELNS0_4arch9wavefront6targetE1EEEvSL_
; %bb.0:
	.section	.rodata,"a",@progbits
	.p2align	6, 0x0
	.amdhsa_kernel _ZN7rocprim17ROCPRIM_400000_NS6detail17trampoline_kernelINS0_14default_configENS1_38merge_sort_block_merge_config_selectorIsNS0_10empty_typeEEEZZNS1_27merge_sort_block_merge_implIS3_N6thrust23THRUST_200600_302600_NS6detail15normal_iteratorINS9_10device_ptrIsEEEEPS5_jNS1_19radix_merge_compareILb0ELb0EsNS0_19identity_decomposerEEEEE10hipError_tT0_T1_T2_jT3_P12ihipStream_tbPNSt15iterator_traitsISK_E10value_typeEPNSQ_ISL_E10value_typeEPSM_NS1_7vsmem_tEENKUlT_SK_SL_SM_E_clISE_PsSF_SF_EESJ_SZ_SK_SL_SM_EUlSZ_E0_NS1_11comp_targetILNS1_3genE9ELNS1_11target_archE1100ELNS1_3gpuE3ELNS1_3repE0EEENS1_38merge_mergepath_config_static_selectorELNS0_4arch9wavefront6targetE1EEEvSL_
		.amdhsa_group_segment_fixed_size 0
		.amdhsa_private_segment_fixed_size 0
		.amdhsa_kernarg_size 64
		.amdhsa_user_sgpr_count 6
		.amdhsa_user_sgpr_private_segment_buffer 1
		.amdhsa_user_sgpr_dispatch_ptr 0
		.amdhsa_user_sgpr_queue_ptr 0
		.amdhsa_user_sgpr_kernarg_segment_ptr 1
		.amdhsa_user_sgpr_dispatch_id 0
		.amdhsa_user_sgpr_flat_scratch_init 0
		.amdhsa_user_sgpr_kernarg_preload_length 0
		.amdhsa_user_sgpr_kernarg_preload_offset 0
		.amdhsa_user_sgpr_private_segment_size 0
		.amdhsa_uses_dynamic_stack 0
		.amdhsa_system_sgpr_private_segment_wavefront_offset 0
		.amdhsa_system_sgpr_workgroup_id_x 1
		.amdhsa_system_sgpr_workgroup_id_y 0
		.amdhsa_system_sgpr_workgroup_id_z 0
		.amdhsa_system_sgpr_workgroup_info 0
		.amdhsa_system_vgpr_workitem_id 0
		.amdhsa_next_free_vgpr 1
		.amdhsa_next_free_sgpr 0
		.amdhsa_accum_offset 4
		.amdhsa_reserve_vcc 0
		.amdhsa_reserve_flat_scratch 0
		.amdhsa_float_round_mode_32 0
		.amdhsa_float_round_mode_16_64 0
		.amdhsa_float_denorm_mode_32 3
		.amdhsa_float_denorm_mode_16_64 3
		.amdhsa_dx10_clamp 1
		.amdhsa_ieee_mode 1
		.amdhsa_fp16_overflow 0
		.amdhsa_tg_split 0
		.amdhsa_exception_fp_ieee_invalid_op 0
		.amdhsa_exception_fp_denorm_src 0
		.amdhsa_exception_fp_ieee_div_zero 0
		.amdhsa_exception_fp_ieee_overflow 0
		.amdhsa_exception_fp_ieee_underflow 0
		.amdhsa_exception_fp_ieee_inexact 0
		.amdhsa_exception_int_div_zero 0
	.end_amdhsa_kernel
	.section	.text._ZN7rocprim17ROCPRIM_400000_NS6detail17trampoline_kernelINS0_14default_configENS1_38merge_sort_block_merge_config_selectorIsNS0_10empty_typeEEEZZNS1_27merge_sort_block_merge_implIS3_N6thrust23THRUST_200600_302600_NS6detail15normal_iteratorINS9_10device_ptrIsEEEEPS5_jNS1_19radix_merge_compareILb0ELb0EsNS0_19identity_decomposerEEEEE10hipError_tT0_T1_T2_jT3_P12ihipStream_tbPNSt15iterator_traitsISK_E10value_typeEPNSQ_ISL_E10value_typeEPSM_NS1_7vsmem_tEENKUlT_SK_SL_SM_E_clISE_PsSF_SF_EESJ_SZ_SK_SL_SM_EUlSZ_E0_NS1_11comp_targetILNS1_3genE9ELNS1_11target_archE1100ELNS1_3gpuE3ELNS1_3repE0EEENS1_38merge_mergepath_config_static_selectorELNS0_4arch9wavefront6targetE1EEEvSL_,"axG",@progbits,_ZN7rocprim17ROCPRIM_400000_NS6detail17trampoline_kernelINS0_14default_configENS1_38merge_sort_block_merge_config_selectorIsNS0_10empty_typeEEEZZNS1_27merge_sort_block_merge_implIS3_N6thrust23THRUST_200600_302600_NS6detail15normal_iteratorINS9_10device_ptrIsEEEEPS5_jNS1_19radix_merge_compareILb0ELb0EsNS0_19identity_decomposerEEEEE10hipError_tT0_T1_T2_jT3_P12ihipStream_tbPNSt15iterator_traitsISK_E10value_typeEPNSQ_ISL_E10value_typeEPSM_NS1_7vsmem_tEENKUlT_SK_SL_SM_E_clISE_PsSF_SF_EESJ_SZ_SK_SL_SM_EUlSZ_E0_NS1_11comp_targetILNS1_3genE9ELNS1_11target_archE1100ELNS1_3gpuE3ELNS1_3repE0EEENS1_38merge_mergepath_config_static_selectorELNS0_4arch9wavefront6targetE1EEEvSL_,comdat
.Lfunc_end1856:
	.size	_ZN7rocprim17ROCPRIM_400000_NS6detail17trampoline_kernelINS0_14default_configENS1_38merge_sort_block_merge_config_selectorIsNS0_10empty_typeEEEZZNS1_27merge_sort_block_merge_implIS3_N6thrust23THRUST_200600_302600_NS6detail15normal_iteratorINS9_10device_ptrIsEEEEPS5_jNS1_19radix_merge_compareILb0ELb0EsNS0_19identity_decomposerEEEEE10hipError_tT0_T1_T2_jT3_P12ihipStream_tbPNSt15iterator_traitsISK_E10value_typeEPNSQ_ISL_E10value_typeEPSM_NS1_7vsmem_tEENKUlT_SK_SL_SM_E_clISE_PsSF_SF_EESJ_SZ_SK_SL_SM_EUlSZ_E0_NS1_11comp_targetILNS1_3genE9ELNS1_11target_archE1100ELNS1_3gpuE3ELNS1_3repE0EEENS1_38merge_mergepath_config_static_selectorELNS0_4arch9wavefront6targetE1EEEvSL_, .Lfunc_end1856-_ZN7rocprim17ROCPRIM_400000_NS6detail17trampoline_kernelINS0_14default_configENS1_38merge_sort_block_merge_config_selectorIsNS0_10empty_typeEEEZZNS1_27merge_sort_block_merge_implIS3_N6thrust23THRUST_200600_302600_NS6detail15normal_iteratorINS9_10device_ptrIsEEEEPS5_jNS1_19radix_merge_compareILb0ELb0EsNS0_19identity_decomposerEEEEE10hipError_tT0_T1_T2_jT3_P12ihipStream_tbPNSt15iterator_traitsISK_E10value_typeEPNSQ_ISL_E10value_typeEPSM_NS1_7vsmem_tEENKUlT_SK_SL_SM_E_clISE_PsSF_SF_EESJ_SZ_SK_SL_SM_EUlSZ_E0_NS1_11comp_targetILNS1_3genE9ELNS1_11target_archE1100ELNS1_3gpuE3ELNS1_3repE0EEENS1_38merge_mergepath_config_static_selectorELNS0_4arch9wavefront6targetE1EEEvSL_
                                        ; -- End function
	.section	.AMDGPU.csdata,"",@progbits
; Kernel info:
; codeLenInByte = 0
; NumSgprs: 4
; NumVgprs: 0
; NumAgprs: 0
; TotalNumVgprs: 0
; ScratchSize: 0
; MemoryBound: 0
; FloatMode: 240
; IeeeMode: 1
; LDSByteSize: 0 bytes/workgroup (compile time only)
; SGPRBlocks: 0
; VGPRBlocks: 0
; NumSGPRsForWavesPerEU: 4
; NumVGPRsForWavesPerEU: 1
; AccumOffset: 4
; Occupancy: 8
; WaveLimiterHint : 0
; COMPUTE_PGM_RSRC2:SCRATCH_EN: 0
; COMPUTE_PGM_RSRC2:USER_SGPR: 6
; COMPUTE_PGM_RSRC2:TRAP_HANDLER: 0
; COMPUTE_PGM_RSRC2:TGID_X_EN: 1
; COMPUTE_PGM_RSRC2:TGID_Y_EN: 0
; COMPUTE_PGM_RSRC2:TGID_Z_EN: 0
; COMPUTE_PGM_RSRC2:TIDIG_COMP_CNT: 0
; COMPUTE_PGM_RSRC3_GFX90A:ACCUM_OFFSET: 0
; COMPUTE_PGM_RSRC3_GFX90A:TG_SPLIT: 0
	.section	.text._ZN7rocprim17ROCPRIM_400000_NS6detail17trampoline_kernelINS0_14default_configENS1_38merge_sort_block_merge_config_selectorIsNS0_10empty_typeEEEZZNS1_27merge_sort_block_merge_implIS3_N6thrust23THRUST_200600_302600_NS6detail15normal_iteratorINS9_10device_ptrIsEEEEPS5_jNS1_19radix_merge_compareILb0ELb0EsNS0_19identity_decomposerEEEEE10hipError_tT0_T1_T2_jT3_P12ihipStream_tbPNSt15iterator_traitsISK_E10value_typeEPNSQ_ISL_E10value_typeEPSM_NS1_7vsmem_tEENKUlT_SK_SL_SM_E_clISE_PsSF_SF_EESJ_SZ_SK_SL_SM_EUlSZ_E0_NS1_11comp_targetILNS1_3genE8ELNS1_11target_archE1030ELNS1_3gpuE2ELNS1_3repE0EEENS1_38merge_mergepath_config_static_selectorELNS0_4arch9wavefront6targetE1EEEvSL_,"axG",@progbits,_ZN7rocprim17ROCPRIM_400000_NS6detail17trampoline_kernelINS0_14default_configENS1_38merge_sort_block_merge_config_selectorIsNS0_10empty_typeEEEZZNS1_27merge_sort_block_merge_implIS3_N6thrust23THRUST_200600_302600_NS6detail15normal_iteratorINS9_10device_ptrIsEEEEPS5_jNS1_19radix_merge_compareILb0ELb0EsNS0_19identity_decomposerEEEEE10hipError_tT0_T1_T2_jT3_P12ihipStream_tbPNSt15iterator_traitsISK_E10value_typeEPNSQ_ISL_E10value_typeEPSM_NS1_7vsmem_tEENKUlT_SK_SL_SM_E_clISE_PsSF_SF_EESJ_SZ_SK_SL_SM_EUlSZ_E0_NS1_11comp_targetILNS1_3genE8ELNS1_11target_archE1030ELNS1_3gpuE2ELNS1_3repE0EEENS1_38merge_mergepath_config_static_selectorELNS0_4arch9wavefront6targetE1EEEvSL_,comdat
	.protected	_ZN7rocprim17ROCPRIM_400000_NS6detail17trampoline_kernelINS0_14default_configENS1_38merge_sort_block_merge_config_selectorIsNS0_10empty_typeEEEZZNS1_27merge_sort_block_merge_implIS3_N6thrust23THRUST_200600_302600_NS6detail15normal_iteratorINS9_10device_ptrIsEEEEPS5_jNS1_19radix_merge_compareILb0ELb0EsNS0_19identity_decomposerEEEEE10hipError_tT0_T1_T2_jT3_P12ihipStream_tbPNSt15iterator_traitsISK_E10value_typeEPNSQ_ISL_E10value_typeEPSM_NS1_7vsmem_tEENKUlT_SK_SL_SM_E_clISE_PsSF_SF_EESJ_SZ_SK_SL_SM_EUlSZ_E0_NS1_11comp_targetILNS1_3genE8ELNS1_11target_archE1030ELNS1_3gpuE2ELNS1_3repE0EEENS1_38merge_mergepath_config_static_selectorELNS0_4arch9wavefront6targetE1EEEvSL_ ; -- Begin function _ZN7rocprim17ROCPRIM_400000_NS6detail17trampoline_kernelINS0_14default_configENS1_38merge_sort_block_merge_config_selectorIsNS0_10empty_typeEEEZZNS1_27merge_sort_block_merge_implIS3_N6thrust23THRUST_200600_302600_NS6detail15normal_iteratorINS9_10device_ptrIsEEEEPS5_jNS1_19radix_merge_compareILb0ELb0EsNS0_19identity_decomposerEEEEE10hipError_tT0_T1_T2_jT3_P12ihipStream_tbPNSt15iterator_traitsISK_E10value_typeEPNSQ_ISL_E10value_typeEPSM_NS1_7vsmem_tEENKUlT_SK_SL_SM_E_clISE_PsSF_SF_EESJ_SZ_SK_SL_SM_EUlSZ_E0_NS1_11comp_targetILNS1_3genE8ELNS1_11target_archE1030ELNS1_3gpuE2ELNS1_3repE0EEENS1_38merge_mergepath_config_static_selectorELNS0_4arch9wavefront6targetE1EEEvSL_
	.globl	_ZN7rocprim17ROCPRIM_400000_NS6detail17trampoline_kernelINS0_14default_configENS1_38merge_sort_block_merge_config_selectorIsNS0_10empty_typeEEEZZNS1_27merge_sort_block_merge_implIS3_N6thrust23THRUST_200600_302600_NS6detail15normal_iteratorINS9_10device_ptrIsEEEEPS5_jNS1_19radix_merge_compareILb0ELb0EsNS0_19identity_decomposerEEEEE10hipError_tT0_T1_T2_jT3_P12ihipStream_tbPNSt15iterator_traitsISK_E10value_typeEPNSQ_ISL_E10value_typeEPSM_NS1_7vsmem_tEENKUlT_SK_SL_SM_E_clISE_PsSF_SF_EESJ_SZ_SK_SL_SM_EUlSZ_E0_NS1_11comp_targetILNS1_3genE8ELNS1_11target_archE1030ELNS1_3gpuE2ELNS1_3repE0EEENS1_38merge_mergepath_config_static_selectorELNS0_4arch9wavefront6targetE1EEEvSL_
	.p2align	8
	.type	_ZN7rocprim17ROCPRIM_400000_NS6detail17trampoline_kernelINS0_14default_configENS1_38merge_sort_block_merge_config_selectorIsNS0_10empty_typeEEEZZNS1_27merge_sort_block_merge_implIS3_N6thrust23THRUST_200600_302600_NS6detail15normal_iteratorINS9_10device_ptrIsEEEEPS5_jNS1_19radix_merge_compareILb0ELb0EsNS0_19identity_decomposerEEEEE10hipError_tT0_T1_T2_jT3_P12ihipStream_tbPNSt15iterator_traitsISK_E10value_typeEPNSQ_ISL_E10value_typeEPSM_NS1_7vsmem_tEENKUlT_SK_SL_SM_E_clISE_PsSF_SF_EESJ_SZ_SK_SL_SM_EUlSZ_E0_NS1_11comp_targetILNS1_3genE8ELNS1_11target_archE1030ELNS1_3gpuE2ELNS1_3repE0EEENS1_38merge_mergepath_config_static_selectorELNS0_4arch9wavefront6targetE1EEEvSL_,@function
_ZN7rocprim17ROCPRIM_400000_NS6detail17trampoline_kernelINS0_14default_configENS1_38merge_sort_block_merge_config_selectorIsNS0_10empty_typeEEEZZNS1_27merge_sort_block_merge_implIS3_N6thrust23THRUST_200600_302600_NS6detail15normal_iteratorINS9_10device_ptrIsEEEEPS5_jNS1_19radix_merge_compareILb0ELb0EsNS0_19identity_decomposerEEEEE10hipError_tT0_T1_T2_jT3_P12ihipStream_tbPNSt15iterator_traitsISK_E10value_typeEPNSQ_ISL_E10value_typeEPSM_NS1_7vsmem_tEENKUlT_SK_SL_SM_E_clISE_PsSF_SF_EESJ_SZ_SK_SL_SM_EUlSZ_E0_NS1_11comp_targetILNS1_3genE8ELNS1_11target_archE1030ELNS1_3gpuE2ELNS1_3repE0EEENS1_38merge_mergepath_config_static_selectorELNS0_4arch9wavefront6targetE1EEEvSL_: ; @_ZN7rocprim17ROCPRIM_400000_NS6detail17trampoline_kernelINS0_14default_configENS1_38merge_sort_block_merge_config_selectorIsNS0_10empty_typeEEEZZNS1_27merge_sort_block_merge_implIS3_N6thrust23THRUST_200600_302600_NS6detail15normal_iteratorINS9_10device_ptrIsEEEEPS5_jNS1_19radix_merge_compareILb0ELb0EsNS0_19identity_decomposerEEEEE10hipError_tT0_T1_T2_jT3_P12ihipStream_tbPNSt15iterator_traitsISK_E10value_typeEPNSQ_ISL_E10value_typeEPSM_NS1_7vsmem_tEENKUlT_SK_SL_SM_E_clISE_PsSF_SF_EESJ_SZ_SK_SL_SM_EUlSZ_E0_NS1_11comp_targetILNS1_3genE8ELNS1_11target_archE1030ELNS1_3gpuE2ELNS1_3repE0EEENS1_38merge_mergepath_config_static_selectorELNS0_4arch9wavefront6targetE1EEEvSL_
; %bb.0:
	.section	.rodata,"a",@progbits
	.p2align	6, 0x0
	.amdhsa_kernel _ZN7rocprim17ROCPRIM_400000_NS6detail17trampoline_kernelINS0_14default_configENS1_38merge_sort_block_merge_config_selectorIsNS0_10empty_typeEEEZZNS1_27merge_sort_block_merge_implIS3_N6thrust23THRUST_200600_302600_NS6detail15normal_iteratorINS9_10device_ptrIsEEEEPS5_jNS1_19radix_merge_compareILb0ELb0EsNS0_19identity_decomposerEEEEE10hipError_tT0_T1_T2_jT3_P12ihipStream_tbPNSt15iterator_traitsISK_E10value_typeEPNSQ_ISL_E10value_typeEPSM_NS1_7vsmem_tEENKUlT_SK_SL_SM_E_clISE_PsSF_SF_EESJ_SZ_SK_SL_SM_EUlSZ_E0_NS1_11comp_targetILNS1_3genE8ELNS1_11target_archE1030ELNS1_3gpuE2ELNS1_3repE0EEENS1_38merge_mergepath_config_static_selectorELNS0_4arch9wavefront6targetE1EEEvSL_
		.amdhsa_group_segment_fixed_size 0
		.amdhsa_private_segment_fixed_size 0
		.amdhsa_kernarg_size 64
		.amdhsa_user_sgpr_count 6
		.amdhsa_user_sgpr_private_segment_buffer 1
		.amdhsa_user_sgpr_dispatch_ptr 0
		.amdhsa_user_sgpr_queue_ptr 0
		.amdhsa_user_sgpr_kernarg_segment_ptr 1
		.amdhsa_user_sgpr_dispatch_id 0
		.amdhsa_user_sgpr_flat_scratch_init 0
		.amdhsa_user_sgpr_kernarg_preload_length 0
		.amdhsa_user_sgpr_kernarg_preload_offset 0
		.amdhsa_user_sgpr_private_segment_size 0
		.amdhsa_uses_dynamic_stack 0
		.amdhsa_system_sgpr_private_segment_wavefront_offset 0
		.amdhsa_system_sgpr_workgroup_id_x 1
		.amdhsa_system_sgpr_workgroup_id_y 0
		.amdhsa_system_sgpr_workgroup_id_z 0
		.amdhsa_system_sgpr_workgroup_info 0
		.amdhsa_system_vgpr_workitem_id 0
		.amdhsa_next_free_vgpr 1
		.amdhsa_next_free_sgpr 0
		.amdhsa_accum_offset 4
		.amdhsa_reserve_vcc 0
		.amdhsa_reserve_flat_scratch 0
		.amdhsa_float_round_mode_32 0
		.amdhsa_float_round_mode_16_64 0
		.amdhsa_float_denorm_mode_32 3
		.amdhsa_float_denorm_mode_16_64 3
		.amdhsa_dx10_clamp 1
		.amdhsa_ieee_mode 1
		.amdhsa_fp16_overflow 0
		.amdhsa_tg_split 0
		.amdhsa_exception_fp_ieee_invalid_op 0
		.amdhsa_exception_fp_denorm_src 0
		.amdhsa_exception_fp_ieee_div_zero 0
		.amdhsa_exception_fp_ieee_overflow 0
		.amdhsa_exception_fp_ieee_underflow 0
		.amdhsa_exception_fp_ieee_inexact 0
		.amdhsa_exception_int_div_zero 0
	.end_amdhsa_kernel
	.section	.text._ZN7rocprim17ROCPRIM_400000_NS6detail17trampoline_kernelINS0_14default_configENS1_38merge_sort_block_merge_config_selectorIsNS0_10empty_typeEEEZZNS1_27merge_sort_block_merge_implIS3_N6thrust23THRUST_200600_302600_NS6detail15normal_iteratorINS9_10device_ptrIsEEEEPS5_jNS1_19radix_merge_compareILb0ELb0EsNS0_19identity_decomposerEEEEE10hipError_tT0_T1_T2_jT3_P12ihipStream_tbPNSt15iterator_traitsISK_E10value_typeEPNSQ_ISL_E10value_typeEPSM_NS1_7vsmem_tEENKUlT_SK_SL_SM_E_clISE_PsSF_SF_EESJ_SZ_SK_SL_SM_EUlSZ_E0_NS1_11comp_targetILNS1_3genE8ELNS1_11target_archE1030ELNS1_3gpuE2ELNS1_3repE0EEENS1_38merge_mergepath_config_static_selectorELNS0_4arch9wavefront6targetE1EEEvSL_,"axG",@progbits,_ZN7rocprim17ROCPRIM_400000_NS6detail17trampoline_kernelINS0_14default_configENS1_38merge_sort_block_merge_config_selectorIsNS0_10empty_typeEEEZZNS1_27merge_sort_block_merge_implIS3_N6thrust23THRUST_200600_302600_NS6detail15normal_iteratorINS9_10device_ptrIsEEEEPS5_jNS1_19radix_merge_compareILb0ELb0EsNS0_19identity_decomposerEEEEE10hipError_tT0_T1_T2_jT3_P12ihipStream_tbPNSt15iterator_traitsISK_E10value_typeEPNSQ_ISL_E10value_typeEPSM_NS1_7vsmem_tEENKUlT_SK_SL_SM_E_clISE_PsSF_SF_EESJ_SZ_SK_SL_SM_EUlSZ_E0_NS1_11comp_targetILNS1_3genE8ELNS1_11target_archE1030ELNS1_3gpuE2ELNS1_3repE0EEENS1_38merge_mergepath_config_static_selectorELNS0_4arch9wavefront6targetE1EEEvSL_,comdat
.Lfunc_end1857:
	.size	_ZN7rocprim17ROCPRIM_400000_NS6detail17trampoline_kernelINS0_14default_configENS1_38merge_sort_block_merge_config_selectorIsNS0_10empty_typeEEEZZNS1_27merge_sort_block_merge_implIS3_N6thrust23THRUST_200600_302600_NS6detail15normal_iteratorINS9_10device_ptrIsEEEEPS5_jNS1_19radix_merge_compareILb0ELb0EsNS0_19identity_decomposerEEEEE10hipError_tT0_T1_T2_jT3_P12ihipStream_tbPNSt15iterator_traitsISK_E10value_typeEPNSQ_ISL_E10value_typeEPSM_NS1_7vsmem_tEENKUlT_SK_SL_SM_E_clISE_PsSF_SF_EESJ_SZ_SK_SL_SM_EUlSZ_E0_NS1_11comp_targetILNS1_3genE8ELNS1_11target_archE1030ELNS1_3gpuE2ELNS1_3repE0EEENS1_38merge_mergepath_config_static_selectorELNS0_4arch9wavefront6targetE1EEEvSL_, .Lfunc_end1857-_ZN7rocprim17ROCPRIM_400000_NS6detail17trampoline_kernelINS0_14default_configENS1_38merge_sort_block_merge_config_selectorIsNS0_10empty_typeEEEZZNS1_27merge_sort_block_merge_implIS3_N6thrust23THRUST_200600_302600_NS6detail15normal_iteratorINS9_10device_ptrIsEEEEPS5_jNS1_19radix_merge_compareILb0ELb0EsNS0_19identity_decomposerEEEEE10hipError_tT0_T1_T2_jT3_P12ihipStream_tbPNSt15iterator_traitsISK_E10value_typeEPNSQ_ISL_E10value_typeEPSM_NS1_7vsmem_tEENKUlT_SK_SL_SM_E_clISE_PsSF_SF_EESJ_SZ_SK_SL_SM_EUlSZ_E0_NS1_11comp_targetILNS1_3genE8ELNS1_11target_archE1030ELNS1_3gpuE2ELNS1_3repE0EEENS1_38merge_mergepath_config_static_selectorELNS0_4arch9wavefront6targetE1EEEvSL_
                                        ; -- End function
	.section	.AMDGPU.csdata,"",@progbits
; Kernel info:
; codeLenInByte = 0
; NumSgprs: 4
; NumVgprs: 0
; NumAgprs: 0
; TotalNumVgprs: 0
; ScratchSize: 0
; MemoryBound: 0
; FloatMode: 240
; IeeeMode: 1
; LDSByteSize: 0 bytes/workgroup (compile time only)
; SGPRBlocks: 0
; VGPRBlocks: 0
; NumSGPRsForWavesPerEU: 4
; NumVGPRsForWavesPerEU: 1
; AccumOffset: 4
; Occupancy: 8
; WaveLimiterHint : 0
; COMPUTE_PGM_RSRC2:SCRATCH_EN: 0
; COMPUTE_PGM_RSRC2:USER_SGPR: 6
; COMPUTE_PGM_RSRC2:TRAP_HANDLER: 0
; COMPUTE_PGM_RSRC2:TGID_X_EN: 1
; COMPUTE_PGM_RSRC2:TGID_Y_EN: 0
; COMPUTE_PGM_RSRC2:TGID_Z_EN: 0
; COMPUTE_PGM_RSRC2:TIDIG_COMP_CNT: 0
; COMPUTE_PGM_RSRC3_GFX90A:ACCUM_OFFSET: 0
; COMPUTE_PGM_RSRC3_GFX90A:TG_SPLIT: 0
	.section	.text._ZN7rocprim17ROCPRIM_400000_NS6detail17trampoline_kernelINS0_14default_configENS1_38merge_sort_block_merge_config_selectorIsNS0_10empty_typeEEEZZNS1_27merge_sort_block_merge_implIS3_N6thrust23THRUST_200600_302600_NS6detail15normal_iteratorINS9_10device_ptrIsEEEEPS5_jNS1_19radix_merge_compareILb0ELb0EsNS0_19identity_decomposerEEEEE10hipError_tT0_T1_T2_jT3_P12ihipStream_tbPNSt15iterator_traitsISK_E10value_typeEPNSQ_ISL_E10value_typeEPSM_NS1_7vsmem_tEENKUlT_SK_SL_SM_E_clISE_PsSF_SF_EESJ_SZ_SK_SL_SM_EUlSZ_E1_NS1_11comp_targetILNS1_3genE0ELNS1_11target_archE4294967295ELNS1_3gpuE0ELNS1_3repE0EEENS1_36merge_oddeven_config_static_selectorELNS0_4arch9wavefront6targetE1EEEvSL_,"axG",@progbits,_ZN7rocprim17ROCPRIM_400000_NS6detail17trampoline_kernelINS0_14default_configENS1_38merge_sort_block_merge_config_selectorIsNS0_10empty_typeEEEZZNS1_27merge_sort_block_merge_implIS3_N6thrust23THRUST_200600_302600_NS6detail15normal_iteratorINS9_10device_ptrIsEEEEPS5_jNS1_19radix_merge_compareILb0ELb0EsNS0_19identity_decomposerEEEEE10hipError_tT0_T1_T2_jT3_P12ihipStream_tbPNSt15iterator_traitsISK_E10value_typeEPNSQ_ISL_E10value_typeEPSM_NS1_7vsmem_tEENKUlT_SK_SL_SM_E_clISE_PsSF_SF_EESJ_SZ_SK_SL_SM_EUlSZ_E1_NS1_11comp_targetILNS1_3genE0ELNS1_11target_archE4294967295ELNS1_3gpuE0ELNS1_3repE0EEENS1_36merge_oddeven_config_static_selectorELNS0_4arch9wavefront6targetE1EEEvSL_,comdat
	.protected	_ZN7rocprim17ROCPRIM_400000_NS6detail17trampoline_kernelINS0_14default_configENS1_38merge_sort_block_merge_config_selectorIsNS0_10empty_typeEEEZZNS1_27merge_sort_block_merge_implIS3_N6thrust23THRUST_200600_302600_NS6detail15normal_iteratorINS9_10device_ptrIsEEEEPS5_jNS1_19radix_merge_compareILb0ELb0EsNS0_19identity_decomposerEEEEE10hipError_tT0_T1_T2_jT3_P12ihipStream_tbPNSt15iterator_traitsISK_E10value_typeEPNSQ_ISL_E10value_typeEPSM_NS1_7vsmem_tEENKUlT_SK_SL_SM_E_clISE_PsSF_SF_EESJ_SZ_SK_SL_SM_EUlSZ_E1_NS1_11comp_targetILNS1_3genE0ELNS1_11target_archE4294967295ELNS1_3gpuE0ELNS1_3repE0EEENS1_36merge_oddeven_config_static_selectorELNS0_4arch9wavefront6targetE1EEEvSL_ ; -- Begin function _ZN7rocprim17ROCPRIM_400000_NS6detail17trampoline_kernelINS0_14default_configENS1_38merge_sort_block_merge_config_selectorIsNS0_10empty_typeEEEZZNS1_27merge_sort_block_merge_implIS3_N6thrust23THRUST_200600_302600_NS6detail15normal_iteratorINS9_10device_ptrIsEEEEPS5_jNS1_19radix_merge_compareILb0ELb0EsNS0_19identity_decomposerEEEEE10hipError_tT0_T1_T2_jT3_P12ihipStream_tbPNSt15iterator_traitsISK_E10value_typeEPNSQ_ISL_E10value_typeEPSM_NS1_7vsmem_tEENKUlT_SK_SL_SM_E_clISE_PsSF_SF_EESJ_SZ_SK_SL_SM_EUlSZ_E1_NS1_11comp_targetILNS1_3genE0ELNS1_11target_archE4294967295ELNS1_3gpuE0ELNS1_3repE0EEENS1_36merge_oddeven_config_static_selectorELNS0_4arch9wavefront6targetE1EEEvSL_
	.globl	_ZN7rocprim17ROCPRIM_400000_NS6detail17trampoline_kernelINS0_14default_configENS1_38merge_sort_block_merge_config_selectorIsNS0_10empty_typeEEEZZNS1_27merge_sort_block_merge_implIS3_N6thrust23THRUST_200600_302600_NS6detail15normal_iteratorINS9_10device_ptrIsEEEEPS5_jNS1_19radix_merge_compareILb0ELb0EsNS0_19identity_decomposerEEEEE10hipError_tT0_T1_T2_jT3_P12ihipStream_tbPNSt15iterator_traitsISK_E10value_typeEPNSQ_ISL_E10value_typeEPSM_NS1_7vsmem_tEENKUlT_SK_SL_SM_E_clISE_PsSF_SF_EESJ_SZ_SK_SL_SM_EUlSZ_E1_NS1_11comp_targetILNS1_3genE0ELNS1_11target_archE4294967295ELNS1_3gpuE0ELNS1_3repE0EEENS1_36merge_oddeven_config_static_selectorELNS0_4arch9wavefront6targetE1EEEvSL_
	.p2align	8
	.type	_ZN7rocprim17ROCPRIM_400000_NS6detail17trampoline_kernelINS0_14default_configENS1_38merge_sort_block_merge_config_selectorIsNS0_10empty_typeEEEZZNS1_27merge_sort_block_merge_implIS3_N6thrust23THRUST_200600_302600_NS6detail15normal_iteratorINS9_10device_ptrIsEEEEPS5_jNS1_19radix_merge_compareILb0ELb0EsNS0_19identity_decomposerEEEEE10hipError_tT0_T1_T2_jT3_P12ihipStream_tbPNSt15iterator_traitsISK_E10value_typeEPNSQ_ISL_E10value_typeEPSM_NS1_7vsmem_tEENKUlT_SK_SL_SM_E_clISE_PsSF_SF_EESJ_SZ_SK_SL_SM_EUlSZ_E1_NS1_11comp_targetILNS1_3genE0ELNS1_11target_archE4294967295ELNS1_3gpuE0ELNS1_3repE0EEENS1_36merge_oddeven_config_static_selectorELNS0_4arch9wavefront6targetE1EEEvSL_,@function
_ZN7rocprim17ROCPRIM_400000_NS6detail17trampoline_kernelINS0_14default_configENS1_38merge_sort_block_merge_config_selectorIsNS0_10empty_typeEEEZZNS1_27merge_sort_block_merge_implIS3_N6thrust23THRUST_200600_302600_NS6detail15normal_iteratorINS9_10device_ptrIsEEEEPS5_jNS1_19radix_merge_compareILb0ELb0EsNS0_19identity_decomposerEEEEE10hipError_tT0_T1_T2_jT3_P12ihipStream_tbPNSt15iterator_traitsISK_E10value_typeEPNSQ_ISL_E10value_typeEPSM_NS1_7vsmem_tEENKUlT_SK_SL_SM_E_clISE_PsSF_SF_EESJ_SZ_SK_SL_SM_EUlSZ_E1_NS1_11comp_targetILNS1_3genE0ELNS1_11target_archE4294967295ELNS1_3gpuE0ELNS1_3repE0EEENS1_36merge_oddeven_config_static_selectorELNS0_4arch9wavefront6targetE1EEEvSL_: ; @_ZN7rocprim17ROCPRIM_400000_NS6detail17trampoline_kernelINS0_14default_configENS1_38merge_sort_block_merge_config_selectorIsNS0_10empty_typeEEEZZNS1_27merge_sort_block_merge_implIS3_N6thrust23THRUST_200600_302600_NS6detail15normal_iteratorINS9_10device_ptrIsEEEEPS5_jNS1_19radix_merge_compareILb0ELb0EsNS0_19identity_decomposerEEEEE10hipError_tT0_T1_T2_jT3_P12ihipStream_tbPNSt15iterator_traitsISK_E10value_typeEPNSQ_ISL_E10value_typeEPSM_NS1_7vsmem_tEENKUlT_SK_SL_SM_E_clISE_PsSF_SF_EESJ_SZ_SK_SL_SM_EUlSZ_E1_NS1_11comp_targetILNS1_3genE0ELNS1_11target_archE4294967295ELNS1_3gpuE0ELNS1_3repE0EEENS1_36merge_oddeven_config_static_selectorELNS0_4arch9wavefront6targetE1EEEvSL_
; %bb.0:
	.section	.rodata,"a",@progbits
	.p2align	6, 0x0
	.amdhsa_kernel _ZN7rocprim17ROCPRIM_400000_NS6detail17trampoline_kernelINS0_14default_configENS1_38merge_sort_block_merge_config_selectorIsNS0_10empty_typeEEEZZNS1_27merge_sort_block_merge_implIS3_N6thrust23THRUST_200600_302600_NS6detail15normal_iteratorINS9_10device_ptrIsEEEEPS5_jNS1_19radix_merge_compareILb0ELb0EsNS0_19identity_decomposerEEEEE10hipError_tT0_T1_T2_jT3_P12ihipStream_tbPNSt15iterator_traitsISK_E10value_typeEPNSQ_ISL_E10value_typeEPSM_NS1_7vsmem_tEENKUlT_SK_SL_SM_E_clISE_PsSF_SF_EESJ_SZ_SK_SL_SM_EUlSZ_E1_NS1_11comp_targetILNS1_3genE0ELNS1_11target_archE4294967295ELNS1_3gpuE0ELNS1_3repE0EEENS1_36merge_oddeven_config_static_selectorELNS0_4arch9wavefront6targetE1EEEvSL_
		.amdhsa_group_segment_fixed_size 0
		.amdhsa_private_segment_fixed_size 0
		.amdhsa_kernarg_size 48
		.amdhsa_user_sgpr_count 6
		.amdhsa_user_sgpr_private_segment_buffer 1
		.amdhsa_user_sgpr_dispatch_ptr 0
		.amdhsa_user_sgpr_queue_ptr 0
		.amdhsa_user_sgpr_kernarg_segment_ptr 1
		.amdhsa_user_sgpr_dispatch_id 0
		.amdhsa_user_sgpr_flat_scratch_init 0
		.amdhsa_user_sgpr_kernarg_preload_length 0
		.amdhsa_user_sgpr_kernarg_preload_offset 0
		.amdhsa_user_sgpr_private_segment_size 0
		.amdhsa_uses_dynamic_stack 0
		.amdhsa_system_sgpr_private_segment_wavefront_offset 0
		.amdhsa_system_sgpr_workgroup_id_x 1
		.amdhsa_system_sgpr_workgroup_id_y 0
		.amdhsa_system_sgpr_workgroup_id_z 0
		.amdhsa_system_sgpr_workgroup_info 0
		.amdhsa_system_vgpr_workitem_id 0
		.amdhsa_next_free_vgpr 1
		.amdhsa_next_free_sgpr 0
		.amdhsa_accum_offset 4
		.amdhsa_reserve_vcc 0
		.amdhsa_reserve_flat_scratch 0
		.amdhsa_float_round_mode_32 0
		.amdhsa_float_round_mode_16_64 0
		.amdhsa_float_denorm_mode_32 3
		.amdhsa_float_denorm_mode_16_64 3
		.amdhsa_dx10_clamp 1
		.amdhsa_ieee_mode 1
		.amdhsa_fp16_overflow 0
		.amdhsa_tg_split 0
		.amdhsa_exception_fp_ieee_invalid_op 0
		.amdhsa_exception_fp_denorm_src 0
		.amdhsa_exception_fp_ieee_div_zero 0
		.amdhsa_exception_fp_ieee_overflow 0
		.amdhsa_exception_fp_ieee_underflow 0
		.amdhsa_exception_fp_ieee_inexact 0
		.amdhsa_exception_int_div_zero 0
	.end_amdhsa_kernel
	.section	.text._ZN7rocprim17ROCPRIM_400000_NS6detail17trampoline_kernelINS0_14default_configENS1_38merge_sort_block_merge_config_selectorIsNS0_10empty_typeEEEZZNS1_27merge_sort_block_merge_implIS3_N6thrust23THRUST_200600_302600_NS6detail15normal_iteratorINS9_10device_ptrIsEEEEPS5_jNS1_19radix_merge_compareILb0ELb0EsNS0_19identity_decomposerEEEEE10hipError_tT0_T1_T2_jT3_P12ihipStream_tbPNSt15iterator_traitsISK_E10value_typeEPNSQ_ISL_E10value_typeEPSM_NS1_7vsmem_tEENKUlT_SK_SL_SM_E_clISE_PsSF_SF_EESJ_SZ_SK_SL_SM_EUlSZ_E1_NS1_11comp_targetILNS1_3genE0ELNS1_11target_archE4294967295ELNS1_3gpuE0ELNS1_3repE0EEENS1_36merge_oddeven_config_static_selectorELNS0_4arch9wavefront6targetE1EEEvSL_,"axG",@progbits,_ZN7rocprim17ROCPRIM_400000_NS6detail17trampoline_kernelINS0_14default_configENS1_38merge_sort_block_merge_config_selectorIsNS0_10empty_typeEEEZZNS1_27merge_sort_block_merge_implIS3_N6thrust23THRUST_200600_302600_NS6detail15normal_iteratorINS9_10device_ptrIsEEEEPS5_jNS1_19radix_merge_compareILb0ELb0EsNS0_19identity_decomposerEEEEE10hipError_tT0_T1_T2_jT3_P12ihipStream_tbPNSt15iterator_traitsISK_E10value_typeEPNSQ_ISL_E10value_typeEPSM_NS1_7vsmem_tEENKUlT_SK_SL_SM_E_clISE_PsSF_SF_EESJ_SZ_SK_SL_SM_EUlSZ_E1_NS1_11comp_targetILNS1_3genE0ELNS1_11target_archE4294967295ELNS1_3gpuE0ELNS1_3repE0EEENS1_36merge_oddeven_config_static_selectorELNS0_4arch9wavefront6targetE1EEEvSL_,comdat
.Lfunc_end1858:
	.size	_ZN7rocprim17ROCPRIM_400000_NS6detail17trampoline_kernelINS0_14default_configENS1_38merge_sort_block_merge_config_selectorIsNS0_10empty_typeEEEZZNS1_27merge_sort_block_merge_implIS3_N6thrust23THRUST_200600_302600_NS6detail15normal_iteratorINS9_10device_ptrIsEEEEPS5_jNS1_19radix_merge_compareILb0ELb0EsNS0_19identity_decomposerEEEEE10hipError_tT0_T1_T2_jT3_P12ihipStream_tbPNSt15iterator_traitsISK_E10value_typeEPNSQ_ISL_E10value_typeEPSM_NS1_7vsmem_tEENKUlT_SK_SL_SM_E_clISE_PsSF_SF_EESJ_SZ_SK_SL_SM_EUlSZ_E1_NS1_11comp_targetILNS1_3genE0ELNS1_11target_archE4294967295ELNS1_3gpuE0ELNS1_3repE0EEENS1_36merge_oddeven_config_static_selectorELNS0_4arch9wavefront6targetE1EEEvSL_, .Lfunc_end1858-_ZN7rocprim17ROCPRIM_400000_NS6detail17trampoline_kernelINS0_14default_configENS1_38merge_sort_block_merge_config_selectorIsNS0_10empty_typeEEEZZNS1_27merge_sort_block_merge_implIS3_N6thrust23THRUST_200600_302600_NS6detail15normal_iteratorINS9_10device_ptrIsEEEEPS5_jNS1_19radix_merge_compareILb0ELb0EsNS0_19identity_decomposerEEEEE10hipError_tT0_T1_T2_jT3_P12ihipStream_tbPNSt15iterator_traitsISK_E10value_typeEPNSQ_ISL_E10value_typeEPSM_NS1_7vsmem_tEENKUlT_SK_SL_SM_E_clISE_PsSF_SF_EESJ_SZ_SK_SL_SM_EUlSZ_E1_NS1_11comp_targetILNS1_3genE0ELNS1_11target_archE4294967295ELNS1_3gpuE0ELNS1_3repE0EEENS1_36merge_oddeven_config_static_selectorELNS0_4arch9wavefront6targetE1EEEvSL_
                                        ; -- End function
	.section	.AMDGPU.csdata,"",@progbits
; Kernel info:
; codeLenInByte = 0
; NumSgprs: 4
; NumVgprs: 0
; NumAgprs: 0
; TotalNumVgprs: 0
; ScratchSize: 0
; MemoryBound: 0
; FloatMode: 240
; IeeeMode: 1
; LDSByteSize: 0 bytes/workgroup (compile time only)
; SGPRBlocks: 0
; VGPRBlocks: 0
; NumSGPRsForWavesPerEU: 4
; NumVGPRsForWavesPerEU: 1
; AccumOffset: 4
; Occupancy: 8
; WaveLimiterHint : 0
; COMPUTE_PGM_RSRC2:SCRATCH_EN: 0
; COMPUTE_PGM_RSRC2:USER_SGPR: 6
; COMPUTE_PGM_RSRC2:TRAP_HANDLER: 0
; COMPUTE_PGM_RSRC2:TGID_X_EN: 1
; COMPUTE_PGM_RSRC2:TGID_Y_EN: 0
; COMPUTE_PGM_RSRC2:TGID_Z_EN: 0
; COMPUTE_PGM_RSRC2:TIDIG_COMP_CNT: 0
; COMPUTE_PGM_RSRC3_GFX90A:ACCUM_OFFSET: 0
; COMPUTE_PGM_RSRC3_GFX90A:TG_SPLIT: 0
	.section	.text._ZN7rocprim17ROCPRIM_400000_NS6detail17trampoline_kernelINS0_14default_configENS1_38merge_sort_block_merge_config_selectorIsNS0_10empty_typeEEEZZNS1_27merge_sort_block_merge_implIS3_N6thrust23THRUST_200600_302600_NS6detail15normal_iteratorINS9_10device_ptrIsEEEEPS5_jNS1_19radix_merge_compareILb0ELb0EsNS0_19identity_decomposerEEEEE10hipError_tT0_T1_T2_jT3_P12ihipStream_tbPNSt15iterator_traitsISK_E10value_typeEPNSQ_ISL_E10value_typeEPSM_NS1_7vsmem_tEENKUlT_SK_SL_SM_E_clISE_PsSF_SF_EESJ_SZ_SK_SL_SM_EUlSZ_E1_NS1_11comp_targetILNS1_3genE10ELNS1_11target_archE1201ELNS1_3gpuE5ELNS1_3repE0EEENS1_36merge_oddeven_config_static_selectorELNS0_4arch9wavefront6targetE1EEEvSL_,"axG",@progbits,_ZN7rocprim17ROCPRIM_400000_NS6detail17trampoline_kernelINS0_14default_configENS1_38merge_sort_block_merge_config_selectorIsNS0_10empty_typeEEEZZNS1_27merge_sort_block_merge_implIS3_N6thrust23THRUST_200600_302600_NS6detail15normal_iteratorINS9_10device_ptrIsEEEEPS5_jNS1_19radix_merge_compareILb0ELb0EsNS0_19identity_decomposerEEEEE10hipError_tT0_T1_T2_jT3_P12ihipStream_tbPNSt15iterator_traitsISK_E10value_typeEPNSQ_ISL_E10value_typeEPSM_NS1_7vsmem_tEENKUlT_SK_SL_SM_E_clISE_PsSF_SF_EESJ_SZ_SK_SL_SM_EUlSZ_E1_NS1_11comp_targetILNS1_3genE10ELNS1_11target_archE1201ELNS1_3gpuE5ELNS1_3repE0EEENS1_36merge_oddeven_config_static_selectorELNS0_4arch9wavefront6targetE1EEEvSL_,comdat
	.protected	_ZN7rocprim17ROCPRIM_400000_NS6detail17trampoline_kernelINS0_14default_configENS1_38merge_sort_block_merge_config_selectorIsNS0_10empty_typeEEEZZNS1_27merge_sort_block_merge_implIS3_N6thrust23THRUST_200600_302600_NS6detail15normal_iteratorINS9_10device_ptrIsEEEEPS5_jNS1_19radix_merge_compareILb0ELb0EsNS0_19identity_decomposerEEEEE10hipError_tT0_T1_T2_jT3_P12ihipStream_tbPNSt15iterator_traitsISK_E10value_typeEPNSQ_ISL_E10value_typeEPSM_NS1_7vsmem_tEENKUlT_SK_SL_SM_E_clISE_PsSF_SF_EESJ_SZ_SK_SL_SM_EUlSZ_E1_NS1_11comp_targetILNS1_3genE10ELNS1_11target_archE1201ELNS1_3gpuE5ELNS1_3repE0EEENS1_36merge_oddeven_config_static_selectorELNS0_4arch9wavefront6targetE1EEEvSL_ ; -- Begin function _ZN7rocprim17ROCPRIM_400000_NS6detail17trampoline_kernelINS0_14default_configENS1_38merge_sort_block_merge_config_selectorIsNS0_10empty_typeEEEZZNS1_27merge_sort_block_merge_implIS3_N6thrust23THRUST_200600_302600_NS6detail15normal_iteratorINS9_10device_ptrIsEEEEPS5_jNS1_19radix_merge_compareILb0ELb0EsNS0_19identity_decomposerEEEEE10hipError_tT0_T1_T2_jT3_P12ihipStream_tbPNSt15iterator_traitsISK_E10value_typeEPNSQ_ISL_E10value_typeEPSM_NS1_7vsmem_tEENKUlT_SK_SL_SM_E_clISE_PsSF_SF_EESJ_SZ_SK_SL_SM_EUlSZ_E1_NS1_11comp_targetILNS1_3genE10ELNS1_11target_archE1201ELNS1_3gpuE5ELNS1_3repE0EEENS1_36merge_oddeven_config_static_selectorELNS0_4arch9wavefront6targetE1EEEvSL_
	.globl	_ZN7rocprim17ROCPRIM_400000_NS6detail17trampoline_kernelINS0_14default_configENS1_38merge_sort_block_merge_config_selectorIsNS0_10empty_typeEEEZZNS1_27merge_sort_block_merge_implIS3_N6thrust23THRUST_200600_302600_NS6detail15normal_iteratorINS9_10device_ptrIsEEEEPS5_jNS1_19radix_merge_compareILb0ELb0EsNS0_19identity_decomposerEEEEE10hipError_tT0_T1_T2_jT3_P12ihipStream_tbPNSt15iterator_traitsISK_E10value_typeEPNSQ_ISL_E10value_typeEPSM_NS1_7vsmem_tEENKUlT_SK_SL_SM_E_clISE_PsSF_SF_EESJ_SZ_SK_SL_SM_EUlSZ_E1_NS1_11comp_targetILNS1_3genE10ELNS1_11target_archE1201ELNS1_3gpuE5ELNS1_3repE0EEENS1_36merge_oddeven_config_static_selectorELNS0_4arch9wavefront6targetE1EEEvSL_
	.p2align	8
	.type	_ZN7rocprim17ROCPRIM_400000_NS6detail17trampoline_kernelINS0_14default_configENS1_38merge_sort_block_merge_config_selectorIsNS0_10empty_typeEEEZZNS1_27merge_sort_block_merge_implIS3_N6thrust23THRUST_200600_302600_NS6detail15normal_iteratorINS9_10device_ptrIsEEEEPS5_jNS1_19radix_merge_compareILb0ELb0EsNS0_19identity_decomposerEEEEE10hipError_tT0_T1_T2_jT3_P12ihipStream_tbPNSt15iterator_traitsISK_E10value_typeEPNSQ_ISL_E10value_typeEPSM_NS1_7vsmem_tEENKUlT_SK_SL_SM_E_clISE_PsSF_SF_EESJ_SZ_SK_SL_SM_EUlSZ_E1_NS1_11comp_targetILNS1_3genE10ELNS1_11target_archE1201ELNS1_3gpuE5ELNS1_3repE0EEENS1_36merge_oddeven_config_static_selectorELNS0_4arch9wavefront6targetE1EEEvSL_,@function
_ZN7rocprim17ROCPRIM_400000_NS6detail17trampoline_kernelINS0_14default_configENS1_38merge_sort_block_merge_config_selectorIsNS0_10empty_typeEEEZZNS1_27merge_sort_block_merge_implIS3_N6thrust23THRUST_200600_302600_NS6detail15normal_iteratorINS9_10device_ptrIsEEEEPS5_jNS1_19radix_merge_compareILb0ELb0EsNS0_19identity_decomposerEEEEE10hipError_tT0_T1_T2_jT3_P12ihipStream_tbPNSt15iterator_traitsISK_E10value_typeEPNSQ_ISL_E10value_typeEPSM_NS1_7vsmem_tEENKUlT_SK_SL_SM_E_clISE_PsSF_SF_EESJ_SZ_SK_SL_SM_EUlSZ_E1_NS1_11comp_targetILNS1_3genE10ELNS1_11target_archE1201ELNS1_3gpuE5ELNS1_3repE0EEENS1_36merge_oddeven_config_static_selectorELNS0_4arch9wavefront6targetE1EEEvSL_: ; @_ZN7rocprim17ROCPRIM_400000_NS6detail17trampoline_kernelINS0_14default_configENS1_38merge_sort_block_merge_config_selectorIsNS0_10empty_typeEEEZZNS1_27merge_sort_block_merge_implIS3_N6thrust23THRUST_200600_302600_NS6detail15normal_iteratorINS9_10device_ptrIsEEEEPS5_jNS1_19radix_merge_compareILb0ELb0EsNS0_19identity_decomposerEEEEE10hipError_tT0_T1_T2_jT3_P12ihipStream_tbPNSt15iterator_traitsISK_E10value_typeEPNSQ_ISL_E10value_typeEPSM_NS1_7vsmem_tEENKUlT_SK_SL_SM_E_clISE_PsSF_SF_EESJ_SZ_SK_SL_SM_EUlSZ_E1_NS1_11comp_targetILNS1_3genE10ELNS1_11target_archE1201ELNS1_3gpuE5ELNS1_3repE0EEENS1_36merge_oddeven_config_static_selectorELNS0_4arch9wavefront6targetE1EEEvSL_
; %bb.0:
	.section	.rodata,"a",@progbits
	.p2align	6, 0x0
	.amdhsa_kernel _ZN7rocprim17ROCPRIM_400000_NS6detail17trampoline_kernelINS0_14default_configENS1_38merge_sort_block_merge_config_selectorIsNS0_10empty_typeEEEZZNS1_27merge_sort_block_merge_implIS3_N6thrust23THRUST_200600_302600_NS6detail15normal_iteratorINS9_10device_ptrIsEEEEPS5_jNS1_19radix_merge_compareILb0ELb0EsNS0_19identity_decomposerEEEEE10hipError_tT0_T1_T2_jT3_P12ihipStream_tbPNSt15iterator_traitsISK_E10value_typeEPNSQ_ISL_E10value_typeEPSM_NS1_7vsmem_tEENKUlT_SK_SL_SM_E_clISE_PsSF_SF_EESJ_SZ_SK_SL_SM_EUlSZ_E1_NS1_11comp_targetILNS1_3genE10ELNS1_11target_archE1201ELNS1_3gpuE5ELNS1_3repE0EEENS1_36merge_oddeven_config_static_selectorELNS0_4arch9wavefront6targetE1EEEvSL_
		.amdhsa_group_segment_fixed_size 0
		.amdhsa_private_segment_fixed_size 0
		.amdhsa_kernarg_size 48
		.amdhsa_user_sgpr_count 6
		.amdhsa_user_sgpr_private_segment_buffer 1
		.amdhsa_user_sgpr_dispatch_ptr 0
		.amdhsa_user_sgpr_queue_ptr 0
		.amdhsa_user_sgpr_kernarg_segment_ptr 1
		.amdhsa_user_sgpr_dispatch_id 0
		.amdhsa_user_sgpr_flat_scratch_init 0
		.amdhsa_user_sgpr_kernarg_preload_length 0
		.amdhsa_user_sgpr_kernarg_preload_offset 0
		.amdhsa_user_sgpr_private_segment_size 0
		.amdhsa_uses_dynamic_stack 0
		.amdhsa_system_sgpr_private_segment_wavefront_offset 0
		.amdhsa_system_sgpr_workgroup_id_x 1
		.amdhsa_system_sgpr_workgroup_id_y 0
		.amdhsa_system_sgpr_workgroup_id_z 0
		.amdhsa_system_sgpr_workgroup_info 0
		.amdhsa_system_vgpr_workitem_id 0
		.amdhsa_next_free_vgpr 1
		.amdhsa_next_free_sgpr 0
		.amdhsa_accum_offset 4
		.amdhsa_reserve_vcc 0
		.amdhsa_reserve_flat_scratch 0
		.amdhsa_float_round_mode_32 0
		.amdhsa_float_round_mode_16_64 0
		.amdhsa_float_denorm_mode_32 3
		.amdhsa_float_denorm_mode_16_64 3
		.amdhsa_dx10_clamp 1
		.amdhsa_ieee_mode 1
		.amdhsa_fp16_overflow 0
		.amdhsa_tg_split 0
		.amdhsa_exception_fp_ieee_invalid_op 0
		.amdhsa_exception_fp_denorm_src 0
		.amdhsa_exception_fp_ieee_div_zero 0
		.amdhsa_exception_fp_ieee_overflow 0
		.amdhsa_exception_fp_ieee_underflow 0
		.amdhsa_exception_fp_ieee_inexact 0
		.amdhsa_exception_int_div_zero 0
	.end_amdhsa_kernel
	.section	.text._ZN7rocprim17ROCPRIM_400000_NS6detail17trampoline_kernelINS0_14default_configENS1_38merge_sort_block_merge_config_selectorIsNS0_10empty_typeEEEZZNS1_27merge_sort_block_merge_implIS3_N6thrust23THRUST_200600_302600_NS6detail15normal_iteratorINS9_10device_ptrIsEEEEPS5_jNS1_19radix_merge_compareILb0ELb0EsNS0_19identity_decomposerEEEEE10hipError_tT0_T1_T2_jT3_P12ihipStream_tbPNSt15iterator_traitsISK_E10value_typeEPNSQ_ISL_E10value_typeEPSM_NS1_7vsmem_tEENKUlT_SK_SL_SM_E_clISE_PsSF_SF_EESJ_SZ_SK_SL_SM_EUlSZ_E1_NS1_11comp_targetILNS1_3genE10ELNS1_11target_archE1201ELNS1_3gpuE5ELNS1_3repE0EEENS1_36merge_oddeven_config_static_selectorELNS0_4arch9wavefront6targetE1EEEvSL_,"axG",@progbits,_ZN7rocprim17ROCPRIM_400000_NS6detail17trampoline_kernelINS0_14default_configENS1_38merge_sort_block_merge_config_selectorIsNS0_10empty_typeEEEZZNS1_27merge_sort_block_merge_implIS3_N6thrust23THRUST_200600_302600_NS6detail15normal_iteratorINS9_10device_ptrIsEEEEPS5_jNS1_19radix_merge_compareILb0ELb0EsNS0_19identity_decomposerEEEEE10hipError_tT0_T1_T2_jT3_P12ihipStream_tbPNSt15iterator_traitsISK_E10value_typeEPNSQ_ISL_E10value_typeEPSM_NS1_7vsmem_tEENKUlT_SK_SL_SM_E_clISE_PsSF_SF_EESJ_SZ_SK_SL_SM_EUlSZ_E1_NS1_11comp_targetILNS1_3genE10ELNS1_11target_archE1201ELNS1_3gpuE5ELNS1_3repE0EEENS1_36merge_oddeven_config_static_selectorELNS0_4arch9wavefront6targetE1EEEvSL_,comdat
.Lfunc_end1859:
	.size	_ZN7rocprim17ROCPRIM_400000_NS6detail17trampoline_kernelINS0_14default_configENS1_38merge_sort_block_merge_config_selectorIsNS0_10empty_typeEEEZZNS1_27merge_sort_block_merge_implIS3_N6thrust23THRUST_200600_302600_NS6detail15normal_iteratorINS9_10device_ptrIsEEEEPS5_jNS1_19radix_merge_compareILb0ELb0EsNS0_19identity_decomposerEEEEE10hipError_tT0_T1_T2_jT3_P12ihipStream_tbPNSt15iterator_traitsISK_E10value_typeEPNSQ_ISL_E10value_typeEPSM_NS1_7vsmem_tEENKUlT_SK_SL_SM_E_clISE_PsSF_SF_EESJ_SZ_SK_SL_SM_EUlSZ_E1_NS1_11comp_targetILNS1_3genE10ELNS1_11target_archE1201ELNS1_3gpuE5ELNS1_3repE0EEENS1_36merge_oddeven_config_static_selectorELNS0_4arch9wavefront6targetE1EEEvSL_, .Lfunc_end1859-_ZN7rocprim17ROCPRIM_400000_NS6detail17trampoline_kernelINS0_14default_configENS1_38merge_sort_block_merge_config_selectorIsNS0_10empty_typeEEEZZNS1_27merge_sort_block_merge_implIS3_N6thrust23THRUST_200600_302600_NS6detail15normal_iteratorINS9_10device_ptrIsEEEEPS5_jNS1_19radix_merge_compareILb0ELb0EsNS0_19identity_decomposerEEEEE10hipError_tT0_T1_T2_jT3_P12ihipStream_tbPNSt15iterator_traitsISK_E10value_typeEPNSQ_ISL_E10value_typeEPSM_NS1_7vsmem_tEENKUlT_SK_SL_SM_E_clISE_PsSF_SF_EESJ_SZ_SK_SL_SM_EUlSZ_E1_NS1_11comp_targetILNS1_3genE10ELNS1_11target_archE1201ELNS1_3gpuE5ELNS1_3repE0EEENS1_36merge_oddeven_config_static_selectorELNS0_4arch9wavefront6targetE1EEEvSL_
                                        ; -- End function
	.section	.AMDGPU.csdata,"",@progbits
; Kernel info:
; codeLenInByte = 0
; NumSgprs: 4
; NumVgprs: 0
; NumAgprs: 0
; TotalNumVgprs: 0
; ScratchSize: 0
; MemoryBound: 0
; FloatMode: 240
; IeeeMode: 1
; LDSByteSize: 0 bytes/workgroup (compile time only)
; SGPRBlocks: 0
; VGPRBlocks: 0
; NumSGPRsForWavesPerEU: 4
; NumVGPRsForWavesPerEU: 1
; AccumOffset: 4
; Occupancy: 8
; WaveLimiterHint : 0
; COMPUTE_PGM_RSRC2:SCRATCH_EN: 0
; COMPUTE_PGM_RSRC2:USER_SGPR: 6
; COMPUTE_PGM_RSRC2:TRAP_HANDLER: 0
; COMPUTE_PGM_RSRC2:TGID_X_EN: 1
; COMPUTE_PGM_RSRC2:TGID_Y_EN: 0
; COMPUTE_PGM_RSRC2:TGID_Z_EN: 0
; COMPUTE_PGM_RSRC2:TIDIG_COMP_CNT: 0
; COMPUTE_PGM_RSRC3_GFX90A:ACCUM_OFFSET: 0
; COMPUTE_PGM_RSRC3_GFX90A:TG_SPLIT: 0
	.section	.text._ZN7rocprim17ROCPRIM_400000_NS6detail17trampoline_kernelINS0_14default_configENS1_38merge_sort_block_merge_config_selectorIsNS0_10empty_typeEEEZZNS1_27merge_sort_block_merge_implIS3_N6thrust23THRUST_200600_302600_NS6detail15normal_iteratorINS9_10device_ptrIsEEEEPS5_jNS1_19radix_merge_compareILb0ELb0EsNS0_19identity_decomposerEEEEE10hipError_tT0_T1_T2_jT3_P12ihipStream_tbPNSt15iterator_traitsISK_E10value_typeEPNSQ_ISL_E10value_typeEPSM_NS1_7vsmem_tEENKUlT_SK_SL_SM_E_clISE_PsSF_SF_EESJ_SZ_SK_SL_SM_EUlSZ_E1_NS1_11comp_targetILNS1_3genE5ELNS1_11target_archE942ELNS1_3gpuE9ELNS1_3repE0EEENS1_36merge_oddeven_config_static_selectorELNS0_4arch9wavefront6targetE1EEEvSL_,"axG",@progbits,_ZN7rocprim17ROCPRIM_400000_NS6detail17trampoline_kernelINS0_14default_configENS1_38merge_sort_block_merge_config_selectorIsNS0_10empty_typeEEEZZNS1_27merge_sort_block_merge_implIS3_N6thrust23THRUST_200600_302600_NS6detail15normal_iteratorINS9_10device_ptrIsEEEEPS5_jNS1_19radix_merge_compareILb0ELb0EsNS0_19identity_decomposerEEEEE10hipError_tT0_T1_T2_jT3_P12ihipStream_tbPNSt15iterator_traitsISK_E10value_typeEPNSQ_ISL_E10value_typeEPSM_NS1_7vsmem_tEENKUlT_SK_SL_SM_E_clISE_PsSF_SF_EESJ_SZ_SK_SL_SM_EUlSZ_E1_NS1_11comp_targetILNS1_3genE5ELNS1_11target_archE942ELNS1_3gpuE9ELNS1_3repE0EEENS1_36merge_oddeven_config_static_selectorELNS0_4arch9wavefront6targetE1EEEvSL_,comdat
	.protected	_ZN7rocprim17ROCPRIM_400000_NS6detail17trampoline_kernelINS0_14default_configENS1_38merge_sort_block_merge_config_selectorIsNS0_10empty_typeEEEZZNS1_27merge_sort_block_merge_implIS3_N6thrust23THRUST_200600_302600_NS6detail15normal_iteratorINS9_10device_ptrIsEEEEPS5_jNS1_19radix_merge_compareILb0ELb0EsNS0_19identity_decomposerEEEEE10hipError_tT0_T1_T2_jT3_P12ihipStream_tbPNSt15iterator_traitsISK_E10value_typeEPNSQ_ISL_E10value_typeEPSM_NS1_7vsmem_tEENKUlT_SK_SL_SM_E_clISE_PsSF_SF_EESJ_SZ_SK_SL_SM_EUlSZ_E1_NS1_11comp_targetILNS1_3genE5ELNS1_11target_archE942ELNS1_3gpuE9ELNS1_3repE0EEENS1_36merge_oddeven_config_static_selectorELNS0_4arch9wavefront6targetE1EEEvSL_ ; -- Begin function _ZN7rocprim17ROCPRIM_400000_NS6detail17trampoline_kernelINS0_14default_configENS1_38merge_sort_block_merge_config_selectorIsNS0_10empty_typeEEEZZNS1_27merge_sort_block_merge_implIS3_N6thrust23THRUST_200600_302600_NS6detail15normal_iteratorINS9_10device_ptrIsEEEEPS5_jNS1_19radix_merge_compareILb0ELb0EsNS0_19identity_decomposerEEEEE10hipError_tT0_T1_T2_jT3_P12ihipStream_tbPNSt15iterator_traitsISK_E10value_typeEPNSQ_ISL_E10value_typeEPSM_NS1_7vsmem_tEENKUlT_SK_SL_SM_E_clISE_PsSF_SF_EESJ_SZ_SK_SL_SM_EUlSZ_E1_NS1_11comp_targetILNS1_3genE5ELNS1_11target_archE942ELNS1_3gpuE9ELNS1_3repE0EEENS1_36merge_oddeven_config_static_selectorELNS0_4arch9wavefront6targetE1EEEvSL_
	.globl	_ZN7rocprim17ROCPRIM_400000_NS6detail17trampoline_kernelINS0_14default_configENS1_38merge_sort_block_merge_config_selectorIsNS0_10empty_typeEEEZZNS1_27merge_sort_block_merge_implIS3_N6thrust23THRUST_200600_302600_NS6detail15normal_iteratorINS9_10device_ptrIsEEEEPS5_jNS1_19radix_merge_compareILb0ELb0EsNS0_19identity_decomposerEEEEE10hipError_tT0_T1_T2_jT3_P12ihipStream_tbPNSt15iterator_traitsISK_E10value_typeEPNSQ_ISL_E10value_typeEPSM_NS1_7vsmem_tEENKUlT_SK_SL_SM_E_clISE_PsSF_SF_EESJ_SZ_SK_SL_SM_EUlSZ_E1_NS1_11comp_targetILNS1_3genE5ELNS1_11target_archE942ELNS1_3gpuE9ELNS1_3repE0EEENS1_36merge_oddeven_config_static_selectorELNS0_4arch9wavefront6targetE1EEEvSL_
	.p2align	8
	.type	_ZN7rocprim17ROCPRIM_400000_NS6detail17trampoline_kernelINS0_14default_configENS1_38merge_sort_block_merge_config_selectorIsNS0_10empty_typeEEEZZNS1_27merge_sort_block_merge_implIS3_N6thrust23THRUST_200600_302600_NS6detail15normal_iteratorINS9_10device_ptrIsEEEEPS5_jNS1_19radix_merge_compareILb0ELb0EsNS0_19identity_decomposerEEEEE10hipError_tT0_T1_T2_jT3_P12ihipStream_tbPNSt15iterator_traitsISK_E10value_typeEPNSQ_ISL_E10value_typeEPSM_NS1_7vsmem_tEENKUlT_SK_SL_SM_E_clISE_PsSF_SF_EESJ_SZ_SK_SL_SM_EUlSZ_E1_NS1_11comp_targetILNS1_3genE5ELNS1_11target_archE942ELNS1_3gpuE9ELNS1_3repE0EEENS1_36merge_oddeven_config_static_selectorELNS0_4arch9wavefront6targetE1EEEvSL_,@function
_ZN7rocprim17ROCPRIM_400000_NS6detail17trampoline_kernelINS0_14default_configENS1_38merge_sort_block_merge_config_selectorIsNS0_10empty_typeEEEZZNS1_27merge_sort_block_merge_implIS3_N6thrust23THRUST_200600_302600_NS6detail15normal_iteratorINS9_10device_ptrIsEEEEPS5_jNS1_19radix_merge_compareILb0ELb0EsNS0_19identity_decomposerEEEEE10hipError_tT0_T1_T2_jT3_P12ihipStream_tbPNSt15iterator_traitsISK_E10value_typeEPNSQ_ISL_E10value_typeEPSM_NS1_7vsmem_tEENKUlT_SK_SL_SM_E_clISE_PsSF_SF_EESJ_SZ_SK_SL_SM_EUlSZ_E1_NS1_11comp_targetILNS1_3genE5ELNS1_11target_archE942ELNS1_3gpuE9ELNS1_3repE0EEENS1_36merge_oddeven_config_static_selectorELNS0_4arch9wavefront6targetE1EEEvSL_: ; @_ZN7rocprim17ROCPRIM_400000_NS6detail17trampoline_kernelINS0_14default_configENS1_38merge_sort_block_merge_config_selectorIsNS0_10empty_typeEEEZZNS1_27merge_sort_block_merge_implIS3_N6thrust23THRUST_200600_302600_NS6detail15normal_iteratorINS9_10device_ptrIsEEEEPS5_jNS1_19radix_merge_compareILb0ELb0EsNS0_19identity_decomposerEEEEE10hipError_tT0_T1_T2_jT3_P12ihipStream_tbPNSt15iterator_traitsISK_E10value_typeEPNSQ_ISL_E10value_typeEPSM_NS1_7vsmem_tEENKUlT_SK_SL_SM_E_clISE_PsSF_SF_EESJ_SZ_SK_SL_SM_EUlSZ_E1_NS1_11comp_targetILNS1_3genE5ELNS1_11target_archE942ELNS1_3gpuE9ELNS1_3repE0EEENS1_36merge_oddeven_config_static_selectorELNS0_4arch9wavefront6targetE1EEEvSL_
; %bb.0:
	.section	.rodata,"a",@progbits
	.p2align	6, 0x0
	.amdhsa_kernel _ZN7rocprim17ROCPRIM_400000_NS6detail17trampoline_kernelINS0_14default_configENS1_38merge_sort_block_merge_config_selectorIsNS0_10empty_typeEEEZZNS1_27merge_sort_block_merge_implIS3_N6thrust23THRUST_200600_302600_NS6detail15normal_iteratorINS9_10device_ptrIsEEEEPS5_jNS1_19radix_merge_compareILb0ELb0EsNS0_19identity_decomposerEEEEE10hipError_tT0_T1_T2_jT3_P12ihipStream_tbPNSt15iterator_traitsISK_E10value_typeEPNSQ_ISL_E10value_typeEPSM_NS1_7vsmem_tEENKUlT_SK_SL_SM_E_clISE_PsSF_SF_EESJ_SZ_SK_SL_SM_EUlSZ_E1_NS1_11comp_targetILNS1_3genE5ELNS1_11target_archE942ELNS1_3gpuE9ELNS1_3repE0EEENS1_36merge_oddeven_config_static_selectorELNS0_4arch9wavefront6targetE1EEEvSL_
		.amdhsa_group_segment_fixed_size 0
		.amdhsa_private_segment_fixed_size 0
		.amdhsa_kernarg_size 48
		.amdhsa_user_sgpr_count 6
		.amdhsa_user_sgpr_private_segment_buffer 1
		.amdhsa_user_sgpr_dispatch_ptr 0
		.amdhsa_user_sgpr_queue_ptr 0
		.amdhsa_user_sgpr_kernarg_segment_ptr 1
		.amdhsa_user_sgpr_dispatch_id 0
		.amdhsa_user_sgpr_flat_scratch_init 0
		.amdhsa_user_sgpr_kernarg_preload_length 0
		.amdhsa_user_sgpr_kernarg_preload_offset 0
		.amdhsa_user_sgpr_private_segment_size 0
		.amdhsa_uses_dynamic_stack 0
		.amdhsa_system_sgpr_private_segment_wavefront_offset 0
		.amdhsa_system_sgpr_workgroup_id_x 1
		.amdhsa_system_sgpr_workgroup_id_y 0
		.amdhsa_system_sgpr_workgroup_id_z 0
		.amdhsa_system_sgpr_workgroup_info 0
		.amdhsa_system_vgpr_workitem_id 0
		.amdhsa_next_free_vgpr 1
		.amdhsa_next_free_sgpr 0
		.amdhsa_accum_offset 4
		.amdhsa_reserve_vcc 0
		.amdhsa_reserve_flat_scratch 0
		.amdhsa_float_round_mode_32 0
		.amdhsa_float_round_mode_16_64 0
		.amdhsa_float_denorm_mode_32 3
		.amdhsa_float_denorm_mode_16_64 3
		.amdhsa_dx10_clamp 1
		.amdhsa_ieee_mode 1
		.amdhsa_fp16_overflow 0
		.amdhsa_tg_split 0
		.amdhsa_exception_fp_ieee_invalid_op 0
		.amdhsa_exception_fp_denorm_src 0
		.amdhsa_exception_fp_ieee_div_zero 0
		.amdhsa_exception_fp_ieee_overflow 0
		.amdhsa_exception_fp_ieee_underflow 0
		.amdhsa_exception_fp_ieee_inexact 0
		.amdhsa_exception_int_div_zero 0
	.end_amdhsa_kernel
	.section	.text._ZN7rocprim17ROCPRIM_400000_NS6detail17trampoline_kernelINS0_14default_configENS1_38merge_sort_block_merge_config_selectorIsNS0_10empty_typeEEEZZNS1_27merge_sort_block_merge_implIS3_N6thrust23THRUST_200600_302600_NS6detail15normal_iteratorINS9_10device_ptrIsEEEEPS5_jNS1_19radix_merge_compareILb0ELb0EsNS0_19identity_decomposerEEEEE10hipError_tT0_T1_T2_jT3_P12ihipStream_tbPNSt15iterator_traitsISK_E10value_typeEPNSQ_ISL_E10value_typeEPSM_NS1_7vsmem_tEENKUlT_SK_SL_SM_E_clISE_PsSF_SF_EESJ_SZ_SK_SL_SM_EUlSZ_E1_NS1_11comp_targetILNS1_3genE5ELNS1_11target_archE942ELNS1_3gpuE9ELNS1_3repE0EEENS1_36merge_oddeven_config_static_selectorELNS0_4arch9wavefront6targetE1EEEvSL_,"axG",@progbits,_ZN7rocprim17ROCPRIM_400000_NS6detail17trampoline_kernelINS0_14default_configENS1_38merge_sort_block_merge_config_selectorIsNS0_10empty_typeEEEZZNS1_27merge_sort_block_merge_implIS3_N6thrust23THRUST_200600_302600_NS6detail15normal_iteratorINS9_10device_ptrIsEEEEPS5_jNS1_19radix_merge_compareILb0ELb0EsNS0_19identity_decomposerEEEEE10hipError_tT0_T1_T2_jT3_P12ihipStream_tbPNSt15iterator_traitsISK_E10value_typeEPNSQ_ISL_E10value_typeEPSM_NS1_7vsmem_tEENKUlT_SK_SL_SM_E_clISE_PsSF_SF_EESJ_SZ_SK_SL_SM_EUlSZ_E1_NS1_11comp_targetILNS1_3genE5ELNS1_11target_archE942ELNS1_3gpuE9ELNS1_3repE0EEENS1_36merge_oddeven_config_static_selectorELNS0_4arch9wavefront6targetE1EEEvSL_,comdat
.Lfunc_end1860:
	.size	_ZN7rocprim17ROCPRIM_400000_NS6detail17trampoline_kernelINS0_14default_configENS1_38merge_sort_block_merge_config_selectorIsNS0_10empty_typeEEEZZNS1_27merge_sort_block_merge_implIS3_N6thrust23THRUST_200600_302600_NS6detail15normal_iteratorINS9_10device_ptrIsEEEEPS5_jNS1_19radix_merge_compareILb0ELb0EsNS0_19identity_decomposerEEEEE10hipError_tT0_T1_T2_jT3_P12ihipStream_tbPNSt15iterator_traitsISK_E10value_typeEPNSQ_ISL_E10value_typeEPSM_NS1_7vsmem_tEENKUlT_SK_SL_SM_E_clISE_PsSF_SF_EESJ_SZ_SK_SL_SM_EUlSZ_E1_NS1_11comp_targetILNS1_3genE5ELNS1_11target_archE942ELNS1_3gpuE9ELNS1_3repE0EEENS1_36merge_oddeven_config_static_selectorELNS0_4arch9wavefront6targetE1EEEvSL_, .Lfunc_end1860-_ZN7rocprim17ROCPRIM_400000_NS6detail17trampoline_kernelINS0_14default_configENS1_38merge_sort_block_merge_config_selectorIsNS0_10empty_typeEEEZZNS1_27merge_sort_block_merge_implIS3_N6thrust23THRUST_200600_302600_NS6detail15normal_iteratorINS9_10device_ptrIsEEEEPS5_jNS1_19radix_merge_compareILb0ELb0EsNS0_19identity_decomposerEEEEE10hipError_tT0_T1_T2_jT3_P12ihipStream_tbPNSt15iterator_traitsISK_E10value_typeEPNSQ_ISL_E10value_typeEPSM_NS1_7vsmem_tEENKUlT_SK_SL_SM_E_clISE_PsSF_SF_EESJ_SZ_SK_SL_SM_EUlSZ_E1_NS1_11comp_targetILNS1_3genE5ELNS1_11target_archE942ELNS1_3gpuE9ELNS1_3repE0EEENS1_36merge_oddeven_config_static_selectorELNS0_4arch9wavefront6targetE1EEEvSL_
                                        ; -- End function
	.section	.AMDGPU.csdata,"",@progbits
; Kernel info:
; codeLenInByte = 0
; NumSgprs: 4
; NumVgprs: 0
; NumAgprs: 0
; TotalNumVgprs: 0
; ScratchSize: 0
; MemoryBound: 0
; FloatMode: 240
; IeeeMode: 1
; LDSByteSize: 0 bytes/workgroup (compile time only)
; SGPRBlocks: 0
; VGPRBlocks: 0
; NumSGPRsForWavesPerEU: 4
; NumVGPRsForWavesPerEU: 1
; AccumOffset: 4
; Occupancy: 8
; WaveLimiterHint : 0
; COMPUTE_PGM_RSRC2:SCRATCH_EN: 0
; COMPUTE_PGM_RSRC2:USER_SGPR: 6
; COMPUTE_PGM_RSRC2:TRAP_HANDLER: 0
; COMPUTE_PGM_RSRC2:TGID_X_EN: 1
; COMPUTE_PGM_RSRC2:TGID_Y_EN: 0
; COMPUTE_PGM_RSRC2:TGID_Z_EN: 0
; COMPUTE_PGM_RSRC2:TIDIG_COMP_CNT: 0
; COMPUTE_PGM_RSRC3_GFX90A:ACCUM_OFFSET: 0
; COMPUTE_PGM_RSRC3_GFX90A:TG_SPLIT: 0
	.section	.text._ZN7rocprim17ROCPRIM_400000_NS6detail17trampoline_kernelINS0_14default_configENS1_38merge_sort_block_merge_config_selectorIsNS0_10empty_typeEEEZZNS1_27merge_sort_block_merge_implIS3_N6thrust23THRUST_200600_302600_NS6detail15normal_iteratorINS9_10device_ptrIsEEEEPS5_jNS1_19radix_merge_compareILb0ELb0EsNS0_19identity_decomposerEEEEE10hipError_tT0_T1_T2_jT3_P12ihipStream_tbPNSt15iterator_traitsISK_E10value_typeEPNSQ_ISL_E10value_typeEPSM_NS1_7vsmem_tEENKUlT_SK_SL_SM_E_clISE_PsSF_SF_EESJ_SZ_SK_SL_SM_EUlSZ_E1_NS1_11comp_targetILNS1_3genE4ELNS1_11target_archE910ELNS1_3gpuE8ELNS1_3repE0EEENS1_36merge_oddeven_config_static_selectorELNS0_4arch9wavefront6targetE1EEEvSL_,"axG",@progbits,_ZN7rocprim17ROCPRIM_400000_NS6detail17trampoline_kernelINS0_14default_configENS1_38merge_sort_block_merge_config_selectorIsNS0_10empty_typeEEEZZNS1_27merge_sort_block_merge_implIS3_N6thrust23THRUST_200600_302600_NS6detail15normal_iteratorINS9_10device_ptrIsEEEEPS5_jNS1_19radix_merge_compareILb0ELb0EsNS0_19identity_decomposerEEEEE10hipError_tT0_T1_T2_jT3_P12ihipStream_tbPNSt15iterator_traitsISK_E10value_typeEPNSQ_ISL_E10value_typeEPSM_NS1_7vsmem_tEENKUlT_SK_SL_SM_E_clISE_PsSF_SF_EESJ_SZ_SK_SL_SM_EUlSZ_E1_NS1_11comp_targetILNS1_3genE4ELNS1_11target_archE910ELNS1_3gpuE8ELNS1_3repE0EEENS1_36merge_oddeven_config_static_selectorELNS0_4arch9wavefront6targetE1EEEvSL_,comdat
	.protected	_ZN7rocprim17ROCPRIM_400000_NS6detail17trampoline_kernelINS0_14default_configENS1_38merge_sort_block_merge_config_selectorIsNS0_10empty_typeEEEZZNS1_27merge_sort_block_merge_implIS3_N6thrust23THRUST_200600_302600_NS6detail15normal_iteratorINS9_10device_ptrIsEEEEPS5_jNS1_19radix_merge_compareILb0ELb0EsNS0_19identity_decomposerEEEEE10hipError_tT0_T1_T2_jT3_P12ihipStream_tbPNSt15iterator_traitsISK_E10value_typeEPNSQ_ISL_E10value_typeEPSM_NS1_7vsmem_tEENKUlT_SK_SL_SM_E_clISE_PsSF_SF_EESJ_SZ_SK_SL_SM_EUlSZ_E1_NS1_11comp_targetILNS1_3genE4ELNS1_11target_archE910ELNS1_3gpuE8ELNS1_3repE0EEENS1_36merge_oddeven_config_static_selectorELNS0_4arch9wavefront6targetE1EEEvSL_ ; -- Begin function _ZN7rocprim17ROCPRIM_400000_NS6detail17trampoline_kernelINS0_14default_configENS1_38merge_sort_block_merge_config_selectorIsNS0_10empty_typeEEEZZNS1_27merge_sort_block_merge_implIS3_N6thrust23THRUST_200600_302600_NS6detail15normal_iteratorINS9_10device_ptrIsEEEEPS5_jNS1_19radix_merge_compareILb0ELb0EsNS0_19identity_decomposerEEEEE10hipError_tT0_T1_T2_jT3_P12ihipStream_tbPNSt15iterator_traitsISK_E10value_typeEPNSQ_ISL_E10value_typeEPSM_NS1_7vsmem_tEENKUlT_SK_SL_SM_E_clISE_PsSF_SF_EESJ_SZ_SK_SL_SM_EUlSZ_E1_NS1_11comp_targetILNS1_3genE4ELNS1_11target_archE910ELNS1_3gpuE8ELNS1_3repE0EEENS1_36merge_oddeven_config_static_selectorELNS0_4arch9wavefront6targetE1EEEvSL_
	.globl	_ZN7rocprim17ROCPRIM_400000_NS6detail17trampoline_kernelINS0_14default_configENS1_38merge_sort_block_merge_config_selectorIsNS0_10empty_typeEEEZZNS1_27merge_sort_block_merge_implIS3_N6thrust23THRUST_200600_302600_NS6detail15normal_iteratorINS9_10device_ptrIsEEEEPS5_jNS1_19radix_merge_compareILb0ELb0EsNS0_19identity_decomposerEEEEE10hipError_tT0_T1_T2_jT3_P12ihipStream_tbPNSt15iterator_traitsISK_E10value_typeEPNSQ_ISL_E10value_typeEPSM_NS1_7vsmem_tEENKUlT_SK_SL_SM_E_clISE_PsSF_SF_EESJ_SZ_SK_SL_SM_EUlSZ_E1_NS1_11comp_targetILNS1_3genE4ELNS1_11target_archE910ELNS1_3gpuE8ELNS1_3repE0EEENS1_36merge_oddeven_config_static_selectorELNS0_4arch9wavefront6targetE1EEEvSL_
	.p2align	8
	.type	_ZN7rocprim17ROCPRIM_400000_NS6detail17trampoline_kernelINS0_14default_configENS1_38merge_sort_block_merge_config_selectorIsNS0_10empty_typeEEEZZNS1_27merge_sort_block_merge_implIS3_N6thrust23THRUST_200600_302600_NS6detail15normal_iteratorINS9_10device_ptrIsEEEEPS5_jNS1_19radix_merge_compareILb0ELb0EsNS0_19identity_decomposerEEEEE10hipError_tT0_T1_T2_jT3_P12ihipStream_tbPNSt15iterator_traitsISK_E10value_typeEPNSQ_ISL_E10value_typeEPSM_NS1_7vsmem_tEENKUlT_SK_SL_SM_E_clISE_PsSF_SF_EESJ_SZ_SK_SL_SM_EUlSZ_E1_NS1_11comp_targetILNS1_3genE4ELNS1_11target_archE910ELNS1_3gpuE8ELNS1_3repE0EEENS1_36merge_oddeven_config_static_selectorELNS0_4arch9wavefront6targetE1EEEvSL_,@function
_ZN7rocprim17ROCPRIM_400000_NS6detail17trampoline_kernelINS0_14default_configENS1_38merge_sort_block_merge_config_selectorIsNS0_10empty_typeEEEZZNS1_27merge_sort_block_merge_implIS3_N6thrust23THRUST_200600_302600_NS6detail15normal_iteratorINS9_10device_ptrIsEEEEPS5_jNS1_19radix_merge_compareILb0ELb0EsNS0_19identity_decomposerEEEEE10hipError_tT0_T1_T2_jT3_P12ihipStream_tbPNSt15iterator_traitsISK_E10value_typeEPNSQ_ISL_E10value_typeEPSM_NS1_7vsmem_tEENKUlT_SK_SL_SM_E_clISE_PsSF_SF_EESJ_SZ_SK_SL_SM_EUlSZ_E1_NS1_11comp_targetILNS1_3genE4ELNS1_11target_archE910ELNS1_3gpuE8ELNS1_3repE0EEENS1_36merge_oddeven_config_static_selectorELNS0_4arch9wavefront6targetE1EEEvSL_: ; @_ZN7rocprim17ROCPRIM_400000_NS6detail17trampoline_kernelINS0_14default_configENS1_38merge_sort_block_merge_config_selectorIsNS0_10empty_typeEEEZZNS1_27merge_sort_block_merge_implIS3_N6thrust23THRUST_200600_302600_NS6detail15normal_iteratorINS9_10device_ptrIsEEEEPS5_jNS1_19radix_merge_compareILb0ELb0EsNS0_19identity_decomposerEEEEE10hipError_tT0_T1_T2_jT3_P12ihipStream_tbPNSt15iterator_traitsISK_E10value_typeEPNSQ_ISL_E10value_typeEPSM_NS1_7vsmem_tEENKUlT_SK_SL_SM_E_clISE_PsSF_SF_EESJ_SZ_SK_SL_SM_EUlSZ_E1_NS1_11comp_targetILNS1_3genE4ELNS1_11target_archE910ELNS1_3gpuE8ELNS1_3repE0EEENS1_36merge_oddeven_config_static_selectorELNS0_4arch9wavefront6targetE1EEEvSL_
; %bb.0:
	s_load_dword s18, s[4:5], 0x20
	s_waitcnt lgkmcnt(0)
	s_lshr_b32 s0, s18, 8
	s_cmp_lg_u32 s6, s0
	s_cselect_b64 s[14:15], -1, 0
	s_cmp_eq_u32 s6, s0
	s_cselect_b64 s[12:13], -1, 0
	s_lshl_b32 s16, s6, 8
	s_sub_i32 s0, s18, s16
	v_cmp_gt_u32_e64 s[2:3], s0, v0
	s_or_b64 s[0:1], s[14:15], s[2:3]
	s_and_saveexec_b64 s[8:9], s[0:1]
	s_cbranch_execz .LBB1861_20
; %bb.1:
	s_load_dwordx4 s[8:11], s[4:5], 0x0
	s_load_dword s19, s[4:5], 0x24
	s_mov_b32 s17, 0
	s_lshl_b64 s[0:1], s[16:17], 1
	v_lshlrev_b32_e32 v1, 1, v0
	s_waitcnt lgkmcnt(0)
	s_add_u32 s0, s8, s0
	s_addc_u32 s1, s9, s1
	global_load_ushort v2, v1, s[0:1]
	s_lshr_b32 s0, s19, 8
	s_sub_i32 s1, 0, s0
	s_and_b32 s1, s6, s1
	s_and_b32 s0, s1, s0
	s_lshl_b32 s20, s1, 8
	s_sub_i32 s6, 0, s19
	s_cmp_eq_u32 s0, 0
	s_cselect_b64 s[0:1], -1, 0
	s_and_b64 s[4:5], s[0:1], exec
	s_cselect_b32 s17, s19, s6
	s_add_i32 s17, s17, s20
	s_cmp_lt_u32 s17, s18
	v_add_u32_e32 v0, s16, v0
	s_cbranch_scc1 .LBB1861_3
; %bb.2:
	v_cmp_gt_u32_e32 vcc, s18, v0
	s_or_b64 s[4:5], vcc, s[14:15]
	s_and_b64 s[4:5], s[4:5], exec
	s_cbranch_execz .LBB1861_4
	s_branch .LBB1861_18
.LBB1861_3:
	s_mov_b64 s[4:5], 0
.LBB1861_4:
	s_min_u32 s14, s17, s18
	s_add_i32 s6, s14, s19
	s_min_u32 s15, s6, s18
	s_min_u32 s6, s20, s14
	s_add_i32 s20, s20, s14
	v_subrev_u32_e32 v0, s20, v0
	v_add_u32_e32 v1, s6, v0
	s_and_b64 vcc, exec, s[12:13]
	s_cbranch_vccz .LBB1861_12
; %bb.5:
                                        ; implicit-def: $vgpr0
	s_and_saveexec_b64 s[6:7], s[2:3]
	s_cbranch_execz .LBB1861_11
; %bb.6:
	s_cmp_ge_u32 s17, s15
	v_mov_b32_e32 v0, s14
	s_cbranch_scc1 .LBB1861_10
; %bb.7:
	s_mov_b64 s[2:3], 0
	v_mov_b32_e32 v3, s15
	v_mov_b32_e32 v0, s14
.LBB1861_8:                             ; =>This Inner Loop Header: Depth=1
	v_add_u32_e32 v4, v0, v3
	v_and_b32_e32 v5, -2, v4
	global_load_ushort v5, v5, s[8:9]
	v_lshrrev_b32_e32 v4, 1, v4
	v_add_u32_e32 v6, 1, v4
	s_waitcnt vmcnt(0)
	v_cmp_gt_i16_e32 vcc, v2, v5
	v_cndmask_b32_e64 v7, 0, 1, vcc
	v_cmp_le_i16_e32 vcc, v5, v2
	v_cndmask_b32_e64 v5, 0, 1, vcc
	v_cndmask_b32_e64 v5, v5, v7, s[0:1]
	v_and_b32_e32 v5, 1, v5
	v_cmp_eq_u32_e32 vcc, 1, v5
	v_cndmask_b32_e32 v3, v4, v3, vcc
	v_cndmask_b32_e32 v0, v0, v6, vcc
	v_cmp_ge_u32_e32 vcc, v0, v3
	s_or_b64 s[2:3], vcc, s[2:3]
	s_andn2_b64 exec, exec, s[2:3]
	s_cbranch_execnz .LBB1861_8
; %bb.9:
	s_or_b64 exec, exec, s[2:3]
.LBB1861_10:
	v_add_u32_e32 v0, v0, v1
	s_or_b64 s[4:5], s[4:5], exec
.LBB1861_11:
	s_or_b64 exec, exec, s[6:7]
	s_branch .LBB1861_18
.LBB1861_12:
                                        ; implicit-def: $vgpr0
	s_cbranch_execz .LBB1861_18
; %bb.13:
	s_cmp_ge_u32 s17, s15
	v_mov_b32_e32 v0, s14
	s_cbranch_scc1 .LBB1861_17
; %bb.14:
	s_mov_b64 s[2:3], 0
	v_mov_b32_e32 v3, s15
	v_mov_b32_e32 v0, s14
.LBB1861_15:                            ; =>This Inner Loop Header: Depth=1
	v_add_u32_e32 v4, v0, v3
	v_and_b32_e32 v5, -2, v4
	global_load_ushort v5, v5, s[8:9]
	v_lshrrev_b32_e32 v4, 1, v4
	v_add_u32_e32 v6, 1, v4
	s_waitcnt vmcnt(0)
	v_cmp_gt_i16_e32 vcc, v2, v5
	v_cndmask_b32_e64 v7, 0, 1, vcc
	v_cmp_le_i16_e32 vcc, v5, v2
	v_cndmask_b32_e64 v5, 0, 1, vcc
	v_cndmask_b32_e64 v5, v5, v7, s[0:1]
	v_and_b32_e32 v5, 1, v5
	v_cmp_eq_u32_e32 vcc, 1, v5
	v_cndmask_b32_e32 v3, v4, v3, vcc
	v_cndmask_b32_e32 v0, v0, v6, vcc
	v_cmp_ge_u32_e32 vcc, v0, v3
	s_or_b64 s[2:3], vcc, s[2:3]
	s_andn2_b64 exec, exec, s[2:3]
	s_cbranch_execnz .LBB1861_15
; %bb.16:
	s_or_b64 exec, exec, s[2:3]
.LBB1861_17:
	v_add_u32_e32 v0, v0, v1
	s_mov_b64 s[4:5], -1
.LBB1861_18:
	s_and_b64 exec, exec, s[4:5]
	s_cbranch_execz .LBB1861_20
; %bb.19:
	v_mov_b32_e32 v1, 0
	v_lshlrev_b64 v[0:1], 1, v[0:1]
	v_mov_b32_e32 v3, s11
	v_add_co_u32_e32 v0, vcc, s10, v0
	v_addc_co_u32_e32 v1, vcc, v3, v1, vcc
	s_waitcnt vmcnt(0)
	global_store_short v[0:1], v2, off
.LBB1861_20:
	s_endpgm
	.section	.rodata,"a",@progbits
	.p2align	6, 0x0
	.amdhsa_kernel _ZN7rocprim17ROCPRIM_400000_NS6detail17trampoline_kernelINS0_14default_configENS1_38merge_sort_block_merge_config_selectorIsNS0_10empty_typeEEEZZNS1_27merge_sort_block_merge_implIS3_N6thrust23THRUST_200600_302600_NS6detail15normal_iteratorINS9_10device_ptrIsEEEEPS5_jNS1_19radix_merge_compareILb0ELb0EsNS0_19identity_decomposerEEEEE10hipError_tT0_T1_T2_jT3_P12ihipStream_tbPNSt15iterator_traitsISK_E10value_typeEPNSQ_ISL_E10value_typeEPSM_NS1_7vsmem_tEENKUlT_SK_SL_SM_E_clISE_PsSF_SF_EESJ_SZ_SK_SL_SM_EUlSZ_E1_NS1_11comp_targetILNS1_3genE4ELNS1_11target_archE910ELNS1_3gpuE8ELNS1_3repE0EEENS1_36merge_oddeven_config_static_selectorELNS0_4arch9wavefront6targetE1EEEvSL_
		.amdhsa_group_segment_fixed_size 0
		.amdhsa_private_segment_fixed_size 0
		.amdhsa_kernarg_size 48
		.amdhsa_user_sgpr_count 6
		.amdhsa_user_sgpr_private_segment_buffer 1
		.amdhsa_user_sgpr_dispatch_ptr 0
		.amdhsa_user_sgpr_queue_ptr 0
		.amdhsa_user_sgpr_kernarg_segment_ptr 1
		.amdhsa_user_sgpr_dispatch_id 0
		.amdhsa_user_sgpr_flat_scratch_init 0
		.amdhsa_user_sgpr_kernarg_preload_length 0
		.amdhsa_user_sgpr_kernarg_preload_offset 0
		.amdhsa_user_sgpr_private_segment_size 0
		.amdhsa_uses_dynamic_stack 0
		.amdhsa_system_sgpr_private_segment_wavefront_offset 0
		.amdhsa_system_sgpr_workgroup_id_x 1
		.amdhsa_system_sgpr_workgroup_id_y 0
		.amdhsa_system_sgpr_workgroup_id_z 0
		.amdhsa_system_sgpr_workgroup_info 0
		.amdhsa_system_vgpr_workitem_id 0
		.amdhsa_next_free_vgpr 8
		.amdhsa_next_free_sgpr 21
		.amdhsa_accum_offset 8
		.amdhsa_reserve_vcc 1
		.amdhsa_reserve_flat_scratch 0
		.amdhsa_float_round_mode_32 0
		.amdhsa_float_round_mode_16_64 0
		.amdhsa_float_denorm_mode_32 3
		.amdhsa_float_denorm_mode_16_64 3
		.amdhsa_dx10_clamp 1
		.amdhsa_ieee_mode 1
		.amdhsa_fp16_overflow 0
		.amdhsa_tg_split 0
		.amdhsa_exception_fp_ieee_invalid_op 0
		.amdhsa_exception_fp_denorm_src 0
		.amdhsa_exception_fp_ieee_div_zero 0
		.amdhsa_exception_fp_ieee_overflow 0
		.amdhsa_exception_fp_ieee_underflow 0
		.amdhsa_exception_fp_ieee_inexact 0
		.amdhsa_exception_int_div_zero 0
	.end_amdhsa_kernel
	.section	.text._ZN7rocprim17ROCPRIM_400000_NS6detail17trampoline_kernelINS0_14default_configENS1_38merge_sort_block_merge_config_selectorIsNS0_10empty_typeEEEZZNS1_27merge_sort_block_merge_implIS3_N6thrust23THRUST_200600_302600_NS6detail15normal_iteratorINS9_10device_ptrIsEEEEPS5_jNS1_19radix_merge_compareILb0ELb0EsNS0_19identity_decomposerEEEEE10hipError_tT0_T1_T2_jT3_P12ihipStream_tbPNSt15iterator_traitsISK_E10value_typeEPNSQ_ISL_E10value_typeEPSM_NS1_7vsmem_tEENKUlT_SK_SL_SM_E_clISE_PsSF_SF_EESJ_SZ_SK_SL_SM_EUlSZ_E1_NS1_11comp_targetILNS1_3genE4ELNS1_11target_archE910ELNS1_3gpuE8ELNS1_3repE0EEENS1_36merge_oddeven_config_static_selectorELNS0_4arch9wavefront6targetE1EEEvSL_,"axG",@progbits,_ZN7rocprim17ROCPRIM_400000_NS6detail17trampoline_kernelINS0_14default_configENS1_38merge_sort_block_merge_config_selectorIsNS0_10empty_typeEEEZZNS1_27merge_sort_block_merge_implIS3_N6thrust23THRUST_200600_302600_NS6detail15normal_iteratorINS9_10device_ptrIsEEEEPS5_jNS1_19radix_merge_compareILb0ELb0EsNS0_19identity_decomposerEEEEE10hipError_tT0_T1_T2_jT3_P12ihipStream_tbPNSt15iterator_traitsISK_E10value_typeEPNSQ_ISL_E10value_typeEPSM_NS1_7vsmem_tEENKUlT_SK_SL_SM_E_clISE_PsSF_SF_EESJ_SZ_SK_SL_SM_EUlSZ_E1_NS1_11comp_targetILNS1_3genE4ELNS1_11target_archE910ELNS1_3gpuE8ELNS1_3repE0EEENS1_36merge_oddeven_config_static_selectorELNS0_4arch9wavefront6targetE1EEEvSL_,comdat
.Lfunc_end1861:
	.size	_ZN7rocprim17ROCPRIM_400000_NS6detail17trampoline_kernelINS0_14default_configENS1_38merge_sort_block_merge_config_selectorIsNS0_10empty_typeEEEZZNS1_27merge_sort_block_merge_implIS3_N6thrust23THRUST_200600_302600_NS6detail15normal_iteratorINS9_10device_ptrIsEEEEPS5_jNS1_19radix_merge_compareILb0ELb0EsNS0_19identity_decomposerEEEEE10hipError_tT0_T1_T2_jT3_P12ihipStream_tbPNSt15iterator_traitsISK_E10value_typeEPNSQ_ISL_E10value_typeEPSM_NS1_7vsmem_tEENKUlT_SK_SL_SM_E_clISE_PsSF_SF_EESJ_SZ_SK_SL_SM_EUlSZ_E1_NS1_11comp_targetILNS1_3genE4ELNS1_11target_archE910ELNS1_3gpuE8ELNS1_3repE0EEENS1_36merge_oddeven_config_static_selectorELNS0_4arch9wavefront6targetE1EEEvSL_, .Lfunc_end1861-_ZN7rocprim17ROCPRIM_400000_NS6detail17trampoline_kernelINS0_14default_configENS1_38merge_sort_block_merge_config_selectorIsNS0_10empty_typeEEEZZNS1_27merge_sort_block_merge_implIS3_N6thrust23THRUST_200600_302600_NS6detail15normal_iteratorINS9_10device_ptrIsEEEEPS5_jNS1_19radix_merge_compareILb0ELb0EsNS0_19identity_decomposerEEEEE10hipError_tT0_T1_T2_jT3_P12ihipStream_tbPNSt15iterator_traitsISK_E10value_typeEPNSQ_ISL_E10value_typeEPSM_NS1_7vsmem_tEENKUlT_SK_SL_SM_E_clISE_PsSF_SF_EESJ_SZ_SK_SL_SM_EUlSZ_E1_NS1_11comp_targetILNS1_3genE4ELNS1_11target_archE910ELNS1_3gpuE8ELNS1_3repE0EEENS1_36merge_oddeven_config_static_selectorELNS0_4arch9wavefront6targetE1EEEvSL_
                                        ; -- End function
	.section	.AMDGPU.csdata,"",@progbits
; Kernel info:
; codeLenInByte = 548
; NumSgprs: 25
; NumVgprs: 8
; NumAgprs: 0
; TotalNumVgprs: 8
; ScratchSize: 0
; MemoryBound: 0
; FloatMode: 240
; IeeeMode: 1
; LDSByteSize: 0 bytes/workgroup (compile time only)
; SGPRBlocks: 3
; VGPRBlocks: 0
; NumSGPRsForWavesPerEU: 25
; NumVGPRsForWavesPerEU: 8
; AccumOffset: 8
; Occupancy: 8
; WaveLimiterHint : 0
; COMPUTE_PGM_RSRC2:SCRATCH_EN: 0
; COMPUTE_PGM_RSRC2:USER_SGPR: 6
; COMPUTE_PGM_RSRC2:TRAP_HANDLER: 0
; COMPUTE_PGM_RSRC2:TGID_X_EN: 1
; COMPUTE_PGM_RSRC2:TGID_Y_EN: 0
; COMPUTE_PGM_RSRC2:TGID_Z_EN: 0
; COMPUTE_PGM_RSRC2:TIDIG_COMP_CNT: 0
; COMPUTE_PGM_RSRC3_GFX90A:ACCUM_OFFSET: 1
; COMPUTE_PGM_RSRC3_GFX90A:TG_SPLIT: 0
	.section	.text._ZN7rocprim17ROCPRIM_400000_NS6detail17trampoline_kernelINS0_14default_configENS1_38merge_sort_block_merge_config_selectorIsNS0_10empty_typeEEEZZNS1_27merge_sort_block_merge_implIS3_N6thrust23THRUST_200600_302600_NS6detail15normal_iteratorINS9_10device_ptrIsEEEEPS5_jNS1_19radix_merge_compareILb0ELb0EsNS0_19identity_decomposerEEEEE10hipError_tT0_T1_T2_jT3_P12ihipStream_tbPNSt15iterator_traitsISK_E10value_typeEPNSQ_ISL_E10value_typeEPSM_NS1_7vsmem_tEENKUlT_SK_SL_SM_E_clISE_PsSF_SF_EESJ_SZ_SK_SL_SM_EUlSZ_E1_NS1_11comp_targetILNS1_3genE3ELNS1_11target_archE908ELNS1_3gpuE7ELNS1_3repE0EEENS1_36merge_oddeven_config_static_selectorELNS0_4arch9wavefront6targetE1EEEvSL_,"axG",@progbits,_ZN7rocprim17ROCPRIM_400000_NS6detail17trampoline_kernelINS0_14default_configENS1_38merge_sort_block_merge_config_selectorIsNS0_10empty_typeEEEZZNS1_27merge_sort_block_merge_implIS3_N6thrust23THRUST_200600_302600_NS6detail15normal_iteratorINS9_10device_ptrIsEEEEPS5_jNS1_19radix_merge_compareILb0ELb0EsNS0_19identity_decomposerEEEEE10hipError_tT0_T1_T2_jT3_P12ihipStream_tbPNSt15iterator_traitsISK_E10value_typeEPNSQ_ISL_E10value_typeEPSM_NS1_7vsmem_tEENKUlT_SK_SL_SM_E_clISE_PsSF_SF_EESJ_SZ_SK_SL_SM_EUlSZ_E1_NS1_11comp_targetILNS1_3genE3ELNS1_11target_archE908ELNS1_3gpuE7ELNS1_3repE0EEENS1_36merge_oddeven_config_static_selectorELNS0_4arch9wavefront6targetE1EEEvSL_,comdat
	.protected	_ZN7rocprim17ROCPRIM_400000_NS6detail17trampoline_kernelINS0_14default_configENS1_38merge_sort_block_merge_config_selectorIsNS0_10empty_typeEEEZZNS1_27merge_sort_block_merge_implIS3_N6thrust23THRUST_200600_302600_NS6detail15normal_iteratorINS9_10device_ptrIsEEEEPS5_jNS1_19radix_merge_compareILb0ELb0EsNS0_19identity_decomposerEEEEE10hipError_tT0_T1_T2_jT3_P12ihipStream_tbPNSt15iterator_traitsISK_E10value_typeEPNSQ_ISL_E10value_typeEPSM_NS1_7vsmem_tEENKUlT_SK_SL_SM_E_clISE_PsSF_SF_EESJ_SZ_SK_SL_SM_EUlSZ_E1_NS1_11comp_targetILNS1_3genE3ELNS1_11target_archE908ELNS1_3gpuE7ELNS1_3repE0EEENS1_36merge_oddeven_config_static_selectorELNS0_4arch9wavefront6targetE1EEEvSL_ ; -- Begin function _ZN7rocprim17ROCPRIM_400000_NS6detail17trampoline_kernelINS0_14default_configENS1_38merge_sort_block_merge_config_selectorIsNS0_10empty_typeEEEZZNS1_27merge_sort_block_merge_implIS3_N6thrust23THRUST_200600_302600_NS6detail15normal_iteratorINS9_10device_ptrIsEEEEPS5_jNS1_19radix_merge_compareILb0ELb0EsNS0_19identity_decomposerEEEEE10hipError_tT0_T1_T2_jT3_P12ihipStream_tbPNSt15iterator_traitsISK_E10value_typeEPNSQ_ISL_E10value_typeEPSM_NS1_7vsmem_tEENKUlT_SK_SL_SM_E_clISE_PsSF_SF_EESJ_SZ_SK_SL_SM_EUlSZ_E1_NS1_11comp_targetILNS1_3genE3ELNS1_11target_archE908ELNS1_3gpuE7ELNS1_3repE0EEENS1_36merge_oddeven_config_static_selectorELNS0_4arch9wavefront6targetE1EEEvSL_
	.globl	_ZN7rocprim17ROCPRIM_400000_NS6detail17trampoline_kernelINS0_14default_configENS1_38merge_sort_block_merge_config_selectorIsNS0_10empty_typeEEEZZNS1_27merge_sort_block_merge_implIS3_N6thrust23THRUST_200600_302600_NS6detail15normal_iteratorINS9_10device_ptrIsEEEEPS5_jNS1_19radix_merge_compareILb0ELb0EsNS0_19identity_decomposerEEEEE10hipError_tT0_T1_T2_jT3_P12ihipStream_tbPNSt15iterator_traitsISK_E10value_typeEPNSQ_ISL_E10value_typeEPSM_NS1_7vsmem_tEENKUlT_SK_SL_SM_E_clISE_PsSF_SF_EESJ_SZ_SK_SL_SM_EUlSZ_E1_NS1_11comp_targetILNS1_3genE3ELNS1_11target_archE908ELNS1_3gpuE7ELNS1_3repE0EEENS1_36merge_oddeven_config_static_selectorELNS0_4arch9wavefront6targetE1EEEvSL_
	.p2align	8
	.type	_ZN7rocprim17ROCPRIM_400000_NS6detail17trampoline_kernelINS0_14default_configENS1_38merge_sort_block_merge_config_selectorIsNS0_10empty_typeEEEZZNS1_27merge_sort_block_merge_implIS3_N6thrust23THRUST_200600_302600_NS6detail15normal_iteratorINS9_10device_ptrIsEEEEPS5_jNS1_19radix_merge_compareILb0ELb0EsNS0_19identity_decomposerEEEEE10hipError_tT0_T1_T2_jT3_P12ihipStream_tbPNSt15iterator_traitsISK_E10value_typeEPNSQ_ISL_E10value_typeEPSM_NS1_7vsmem_tEENKUlT_SK_SL_SM_E_clISE_PsSF_SF_EESJ_SZ_SK_SL_SM_EUlSZ_E1_NS1_11comp_targetILNS1_3genE3ELNS1_11target_archE908ELNS1_3gpuE7ELNS1_3repE0EEENS1_36merge_oddeven_config_static_selectorELNS0_4arch9wavefront6targetE1EEEvSL_,@function
_ZN7rocprim17ROCPRIM_400000_NS6detail17trampoline_kernelINS0_14default_configENS1_38merge_sort_block_merge_config_selectorIsNS0_10empty_typeEEEZZNS1_27merge_sort_block_merge_implIS3_N6thrust23THRUST_200600_302600_NS6detail15normal_iteratorINS9_10device_ptrIsEEEEPS5_jNS1_19radix_merge_compareILb0ELb0EsNS0_19identity_decomposerEEEEE10hipError_tT0_T1_T2_jT3_P12ihipStream_tbPNSt15iterator_traitsISK_E10value_typeEPNSQ_ISL_E10value_typeEPSM_NS1_7vsmem_tEENKUlT_SK_SL_SM_E_clISE_PsSF_SF_EESJ_SZ_SK_SL_SM_EUlSZ_E1_NS1_11comp_targetILNS1_3genE3ELNS1_11target_archE908ELNS1_3gpuE7ELNS1_3repE0EEENS1_36merge_oddeven_config_static_selectorELNS0_4arch9wavefront6targetE1EEEvSL_: ; @_ZN7rocprim17ROCPRIM_400000_NS6detail17trampoline_kernelINS0_14default_configENS1_38merge_sort_block_merge_config_selectorIsNS0_10empty_typeEEEZZNS1_27merge_sort_block_merge_implIS3_N6thrust23THRUST_200600_302600_NS6detail15normal_iteratorINS9_10device_ptrIsEEEEPS5_jNS1_19radix_merge_compareILb0ELb0EsNS0_19identity_decomposerEEEEE10hipError_tT0_T1_T2_jT3_P12ihipStream_tbPNSt15iterator_traitsISK_E10value_typeEPNSQ_ISL_E10value_typeEPSM_NS1_7vsmem_tEENKUlT_SK_SL_SM_E_clISE_PsSF_SF_EESJ_SZ_SK_SL_SM_EUlSZ_E1_NS1_11comp_targetILNS1_3genE3ELNS1_11target_archE908ELNS1_3gpuE7ELNS1_3repE0EEENS1_36merge_oddeven_config_static_selectorELNS0_4arch9wavefront6targetE1EEEvSL_
; %bb.0:
	.section	.rodata,"a",@progbits
	.p2align	6, 0x0
	.amdhsa_kernel _ZN7rocprim17ROCPRIM_400000_NS6detail17trampoline_kernelINS0_14default_configENS1_38merge_sort_block_merge_config_selectorIsNS0_10empty_typeEEEZZNS1_27merge_sort_block_merge_implIS3_N6thrust23THRUST_200600_302600_NS6detail15normal_iteratorINS9_10device_ptrIsEEEEPS5_jNS1_19radix_merge_compareILb0ELb0EsNS0_19identity_decomposerEEEEE10hipError_tT0_T1_T2_jT3_P12ihipStream_tbPNSt15iterator_traitsISK_E10value_typeEPNSQ_ISL_E10value_typeEPSM_NS1_7vsmem_tEENKUlT_SK_SL_SM_E_clISE_PsSF_SF_EESJ_SZ_SK_SL_SM_EUlSZ_E1_NS1_11comp_targetILNS1_3genE3ELNS1_11target_archE908ELNS1_3gpuE7ELNS1_3repE0EEENS1_36merge_oddeven_config_static_selectorELNS0_4arch9wavefront6targetE1EEEvSL_
		.amdhsa_group_segment_fixed_size 0
		.amdhsa_private_segment_fixed_size 0
		.amdhsa_kernarg_size 48
		.amdhsa_user_sgpr_count 6
		.amdhsa_user_sgpr_private_segment_buffer 1
		.amdhsa_user_sgpr_dispatch_ptr 0
		.amdhsa_user_sgpr_queue_ptr 0
		.amdhsa_user_sgpr_kernarg_segment_ptr 1
		.amdhsa_user_sgpr_dispatch_id 0
		.amdhsa_user_sgpr_flat_scratch_init 0
		.amdhsa_user_sgpr_kernarg_preload_length 0
		.amdhsa_user_sgpr_kernarg_preload_offset 0
		.amdhsa_user_sgpr_private_segment_size 0
		.amdhsa_uses_dynamic_stack 0
		.amdhsa_system_sgpr_private_segment_wavefront_offset 0
		.amdhsa_system_sgpr_workgroup_id_x 1
		.amdhsa_system_sgpr_workgroup_id_y 0
		.amdhsa_system_sgpr_workgroup_id_z 0
		.amdhsa_system_sgpr_workgroup_info 0
		.amdhsa_system_vgpr_workitem_id 0
		.amdhsa_next_free_vgpr 1
		.amdhsa_next_free_sgpr 0
		.amdhsa_accum_offset 4
		.amdhsa_reserve_vcc 0
		.amdhsa_reserve_flat_scratch 0
		.amdhsa_float_round_mode_32 0
		.amdhsa_float_round_mode_16_64 0
		.amdhsa_float_denorm_mode_32 3
		.amdhsa_float_denorm_mode_16_64 3
		.amdhsa_dx10_clamp 1
		.amdhsa_ieee_mode 1
		.amdhsa_fp16_overflow 0
		.amdhsa_tg_split 0
		.amdhsa_exception_fp_ieee_invalid_op 0
		.amdhsa_exception_fp_denorm_src 0
		.amdhsa_exception_fp_ieee_div_zero 0
		.amdhsa_exception_fp_ieee_overflow 0
		.amdhsa_exception_fp_ieee_underflow 0
		.amdhsa_exception_fp_ieee_inexact 0
		.amdhsa_exception_int_div_zero 0
	.end_amdhsa_kernel
	.section	.text._ZN7rocprim17ROCPRIM_400000_NS6detail17trampoline_kernelINS0_14default_configENS1_38merge_sort_block_merge_config_selectorIsNS0_10empty_typeEEEZZNS1_27merge_sort_block_merge_implIS3_N6thrust23THRUST_200600_302600_NS6detail15normal_iteratorINS9_10device_ptrIsEEEEPS5_jNS1_19radix_merge_compareILb0ELb0EsNS0_19identity_decomposerEEEEE10hipError_tT0_T1_T2_jT3_P12ihipStream_tbPNSt15iterator_traitsISK_E10value_typeEPNSQ_ISL_E10value_typeEPSM_NS1_7vsmem_tEENKUlT_SK_SL_SM_E_clISE_PsSF_SF_EESJ_SZ_SK_SL_SM_EUlSZ_E1_NS1_11comp_targetILNS1_3genE3ELNS1_11target_archE908ELNS1_3gpuE7ELNS1_3repE0EEENS1_36merge_oddeven_config_static_selectorELNS0_4arch9wavefront6targetE1EEEvSL_,"axG",@progbits,_ZN7rocprim17ROCPRIM_400000_NS6detail17trampoline_kernelINS0_14default_configENS1_38merge_sort_block_merge_config_selectorIsNS0_10empty_typeEEEZZNS1_27merge_sort_block_merge_implIS3_N6thrust23THRUST_200600_302600_NS6detail15normal_iteratorINS9_10device_ptrIsEEEEPS5_jNS1_19radix_merge_compareILb0ELb0EsNS0_19identity_decomposerEEEEE10hipError_tT0_T1_T2_jT3_P12ihipStream_tbPNSt15iterator_traitsISK_E10value_typeEPNSQ_ISL_E10value_typeEPSM_NS1_7vsmem_tEENKUlT_SK_SL_SM_E_clISE_PsSF_SF_EESJ_SZ_SK_SL_SM_EUlSZ_E1_NS1_11comp_targetILNS1_3genE3ELNS1_11target_archE908ELNS1_3gpuE7ELNS1_3repE0EEENS1_36merge_oddeven_config_static_selectorELNS0_4arch9wavefront6targetE1EEEvSL_,comdat
.Lfunc_end1862:
	.size	_ZN7rocprim17ROCPRIM_400000_NS6detail17trampoline_kernelINS0_14default_configENS1_38merge_sort_block_merge_config_selectorIsNS0_10empty_typeEEEZZNS1_27merge_sort_block_merge_implIS3_N6thrust23THRUST_200600_302600_NS6detail15normal_iteratorINS9_10device_ptrIsEEEEPS5_jNS1_19radix_merge_compareILb0ELb0EsNS0_19identity_decomposerEEEEE10hipError_tT0_T1_T2_jT3_P12ihipStream_tbPNSt15iterator_traitsISK_E10value_typeEPNSQ_ISL_E10value_typeEPSM_NS1_7vsmem_tEENKUlT_SK_SL_SM_E_clISE_PsSF_SF_EESJ_SZ_SK_SL_SM_EUlSZ_E1_NS1_11comp_targetILNS1_3genE3ELNS1_11target_archE908ELNS1_3gpuE7ELNS1_3repE0EEENS1_36merge_oddeven_config_static_selectorELNS0_4arch9wavefront6targetE1EEEvSL_, .Lfunc_end1862-_ZN7rocprim17ROCPRIM_400000_NS6detail17trampoline_kernelINS0_14default_configENS1_38merge_sort_block_merge_config_selectorIsNS0_10empty_typeEEEZZNS1_27merge_sort_block_merge_implIS3_N6thrust23THRUST_200600_302600_NS6detail15normal_iteratorINS9_10device_ptrIsEEEEPS5_jNS1_19radix_merge_compareILb0ELb0EsNS0_19identity_decomposerEEEEE10hipError_tT0_T1_T2_jT3_P12ihipStream_tbPNSt15iterator_traitsISK_E10value_typeEPNSQ_ISL_E10value_typeEPSM_NS1_7vsmem_tEENKUlT_SK_SL_SM_E_clISE_PsSF_SF_EESJ_SZ_SK_SL_SM_EUlSZ_E1_NS1_11comp_targetILNS1_3genE3ELNS1_11target_archE908ELNS1_3gpuE7ELNS1_3repE0EEENS1_36merge_oddeven_config_static_selectorELNS0_4arch9wavefront6targetE1EEEvSL_
                                        ; -- End function
	.section	.AMDGPU.csdata,"",@progbits
; Kernel info:
; codeLenInByte = 0
; NumSgprs: 4
; NumVgprs: 0
; NumAgprs: 0
; TotalNumVgprs: 0
; ScratchSize: 0
; MemoryBound: 0
; FloatMode: 240
; IeeeMode: 1
; LDSByteSize: 0 bytes/workgroup (compile time only)
; SGPRBlocks: 0
; VGPRBlocks: 0
; NumSGPRsForWavesPerEU: 4
; NumVGPRsForWavesPerEU: 1
; AccumOffset: 4
; Occupancy: 8
; WaveLimiterHint : 0
; COMPUTE_PGM_RSRC2:SCRATCH_EN: 0
; COMPUTE_PGM_RSRC2:USER_SGPR: 6
; COMPUTE_PGM_RSRC2:TRAP_HANDLER: 0
; COMPUTE_PGM_RSRC2:TGID_X_EN: 1
; COMPUTE_PGM_RSRC2:TGID_Y_EN: 0
; COMPUTE_PGM_RSRC2:TGID_Z_EN: 0
; COMPUTE_PGM_RSRC2:TIDIG_COMP_CNT: 0
; COMPUTE_PGM_RSRC3_GFX90A:ACCUM_OFFSET: 0
; COMPUTE_PGM_RSRC3_GFX90A:TG_SPLIT: 0
	.section	.text._ZN7rocprim17ROCPRIM_400000_NS6detail17trampoline_kernelINS0_14default_configENS1_38merge_sort_block_merge_config_selectorIsNS0_10empty_typeEEEZZNS1_27merge_sort_block_merge_implIS3_N6thrust23THRUST_200600_302600_NS6detail15normal_iteratorINS9_10device_ptrIsEEEEPS5_jNS1_19radix_merge_compareILb0ELb0EsNS0_19identity_decomposerEEEEE10hipError_tT0_T1_T2_jT3_P12ihipStream_tbPNSt15iterator_traitsISK_E10value_typeEPNSQ_ISL_E10value_typeEPSM_NS1_7vsmem_tEENKUlT_SK_SL_SM_E_clISE_PsSF_SF_EESJ_SZ_SK_SL_SM_EUlSZ_E1_NS1_11comp_targetILNS1_3genE2ELNS1_11target_archE906ELNS1_3gpuE6ELNS1_3repE0EEENS1_36merge_oddeven_config_static_selectorELNS0_4arch9wavefront6targetE1EEEvSL_,"axG",@progbits,_ZN7rocprim17ROCPRIM_400000_NS6detail17trampoline_kernelINS0_14default_configENS1_38merge_sort_block_merge_config_selectorIsNS0_10empty_typeEEEZZNS1_27merge_sort_block_merge_implIS3_N6thrust23THRUST_200600_302600_NS6detail15normal_iteratorINS9_10device_ptrIsEEEEPS5_jNS1_19radix_merge_compareILb0ELb0EsNS0_19identity_decomposerEEEEE10hipError_tT0_T1_T2_jT3_P12ihipStream_tbPNSt15iterator_traitsISK_E10value_typeEPNSQ_ISL_E10value_typeEPSM_NS1_7vsmem_tEENKUlT_SK_SL_SM_E_clISE_PsSF_SF_EESJ_SZ_SK_SL_SM_EUlSZ_E1_NS1_11comp_targetILNS1_3genE2ELNS1_11target_archE906ELNS1_3gpuE6ELNS1_3repE0EEENS1_36merge_oddeven_config_static_selectorELNS0_4arch9wavefront6targetE1EEEvSL_,comdat
	.protected	_ZN7rocprim17ROCPRIM_400000_NS6detail17trampoline_kernelINS0_14default_configENS1_38merge_sort_block_merge_config_selectorIsNS0_10empty_typeEEEZZNS1_27merge_sort_block_merge_implIS3_N6thrust23THRUST_200600_302600_NS6detail15normal_iteratorINS9_10device_ptrIsEEEEPS5_jNS1_19radix_merge_compareILb0ELb0EsNS0_19identity_decomposerEEEEE10hipError_tT0_T1_T2_jT3_P12ihipStream_tbPNSt15iterator_traitsISK_E10value_typeEPNSQ_ISL_E10value_typeEPSM_NS1_7vsmem_tEENKUlT_SK_SL_SM_E_clISE_PsSF_SF_EESJ_SZ_SK_SL_SM_EUlSZ_E1_NS1_11comp_targetILNS1_3genE2ELNS1_11target_archE906ELNS1_3gpuE6ELNS1_3repE0EEENS1_36merge_oddeven_config_static_selectorELNS0_4arch9wavefront6targetE1EEEvSL_ ; -- Begin function _ZN7rocprim17ROCPRIM_400000_NS6detail17trampoline_kernelINS0_14default_configENS1_38merge_sort_block_merge_config_selectorIsNS0_10empty_typeEEEZZNS1_27merge_sort_block_merge_implIS3_N6thrust23THRUST_200600_302600_NS6detail15normal_iteratorINS9_10device_ptrIsEEEEPS5_jNS1_19radix_merge_compareILb0ELb0EsNS0_19identity_decomposerEEEEE10hipError_tT0_T1_T2_jT3_P12ihipStream_tbPNSt15iterator_traitsISK_E10value_typeEPNSQ_ISL_E10value_typeEPSM_NS1_7vsmem_tEENKUlT_SK_SL_SM_E_clISE_PsSF_SF_EESJ_SZ_SK_SL_SM_EUlSZ_E1_NS1_11comp_targetILNS1_3genE2ELNS1_11target_archE906ELNS1_3gpuE6ELNS1_3repE0EEENS1_36merge_oddeven_config_static_selectorELNS0_4arch9wavefront6targetE1EEEvSL_
	.globl	_ZN7rocprim17ROCPRIM_400000_NS6detail17trampoline_kernelINS0_14default_configENS1_38merge_sort_block_merge_config_selectorIsNS0_10empty_typeEEEZZNS1_27merge_sort_block_merge_implIS3_N6thrust23THRUST_200600_302600_NS6detail15normal_iteratorINS9_10device_ptrIsEEEEPS5_jNS1_19radix_merge_compareILb0ELb0EsNS0_19identity_decomposerEEEEE10hipError_tT0_T1_T2_jT3_P12ihipStream_tbPNSt15iterator_traitsISK_E10value_typeEPNSQ_ISL_E10value_typeEPSM_NS1_7vsmem_tEENKUlT_SK_SL_SM_E_clISE_PsSF_SF_EESJ_SZ_SK_SL_SM_EUlSZ_E1_NS1_11comp_targetILNS1_3genE2ELNS1_11target_archE906ELNS1_3gpuE6ELNS1_3repE0EEENS1_36merge_oddeven_config_static_selectorELNS0_4arch9wavefront6targetE1EEEvSL_
	.p2align	8
	.type	_ZN7rocprim17ROCPRIM_400000_NS6detail17trampoline_kernelINS0_14default_configENS1_38merge_sort_block_merge_config_selectorIsNS0_10empty_typeEEEZZNS1_27merge_sort_block_merge_implIS3_N6thrust23THRUST_200600_302600_NS6detail15normal_iteratorINS9_10device_ptrIsEEEEPS5_jNS1_19radix_merge_compareILb0ELb0EsNS0_19identity_decomposerEEEEE10hipError_tT0_T1_T2_jT3_P12ihipStream_tbPNSt15iterator_traitsISK_E10value_typeEPNSQ_ISL_E10value_typeEPSM_NS1_7vsmem_tEENKUlT_SK_SL_SM_E_clISE_PsSF_SF_EESJ_SZ_SK_SL_SM_EUlSZ_E1_NS1_11comp_targetILNS1_3genE2ELNS1_11target_archE906ELNS1_3gpuE6ELNS1_3repE0EEENS1_36merge_oddeven_config_static_selectorELNS0_4arch9wavefront6targetE1EEEvSL_,@function
_ZN7rocprim17ROCPRIM_400000_NS6detail17trampoline_kernelINS0_14default_configENS1_38merge_sort_block_merge_config_selectorIsNS0_10empty_typeEEEZZNS1_27merge_sort_block_merge_implIS3_N6thrust23THRUST_200600_302600_NS6detail15normal_iteratorINS9_10device_ptrIsEEEEPS5_jNS1_19radix_merge_compareILb0ELb0EsNS0_19identity_decomposerEEEEE10hipError_tT0_T1_T2_jT3_P12ihipStream_tbPNSt15iterator_traitsISK_E10value_typeEPNSQ_ISL_E10value_typeEPSM_NS1_7vsmem_tEENKUlT_SK_SL_SM_E_clISE_PsSF_SF_EESJ_SZ_SK_SL_SM_EUlSZ_E1_NS1_11comp_targetILNS1_3genE2ELNS1_11target_archE906ELNS1_3gpuE6ELNS1_3repE0EEENS1_36merge_oddeven_config_static_selectorELNS0_4arch9wavefront6targetE1EEEvSL_: ; @_ZN7rocprim17ROCPRIM_400000_NS6detail17trampoline_kernelINS0_14default_configENS1_38merge_sort_block_merge_config_selectorIsNS0_10empty_typeEEEZZNS1_27merge_sort_block_merge_implIS3_N6thrust23THRUST_200600_302600_NS6detail15normal_iteratorINS9_10device_ptrIsEEEEPS5_jNS1_19radix_merge_compareILb0ELb0EsNS0_19identity_decomposerEEEEE10hipError_tT0_T1_T2_jT3_P12ihipStream_tbPNSt15iterator_traitsISK_E10value_typeEPNSQ_ISL_E10value_typeEPSM_NS1_7vsmem_tEENKUlT_SK_SL_SM_E_clISE_PsSF_SF_EESJ_SZ_SK_SL_SM_EUlSZ_E1_NS1_11comp_targetILNS1_3genE2ELNS1_11target_archE906ELNS1_3gpuE6ELNS1_3repE0EEENS1_36merge_oddeven_config_static_selectorELNS0_4arch9wavefront6targetE1EEEvSL_
; %bb.0:
	.section	.rodata,"a",@progbits
	.p2align	6, 0x0
	.amdhsa_kernel _ZN7rocprim17ROCPRIM_400000_NS6detail17trampoline_kernelINS0_14default_configENS1_38merge_sort_block_merge_config_selectorIsNS0_10empty_typeEEEZZNS1_27merge_sort_block_merge_implIS3_N6thrust23THRUST_200600_302600_NS6detail15normal_iteratorINS9_10device_ptrIsEEEEPS5_jNS1_19radix_merge_compareILb0ELb0EsNS0_19identity_decomposerEEEEE10hipError_tT0_T1_T2_jT3_P12ihipStream_tbPNSt15iterator_traitsISK_E10value_typeEPNSQ_ISL_E10value_typeEPSM_NS1_7vsmem_tEENKUlT_SK_SL_SM_E_clISE_PsSF_SF_EESJ_SZ_SK_SL_SM_EUlSZ_E1_NS1_11comp_targetILNS1_3genE2ELNS1_11target_archE906ELNS1_3gpuE6ELNS1_3repE0EEENS1_36merge_oddeven_config_static_selectorELNS0_4arch9wavefront6targetE1EEEvSL_
		.amdhsa_group_segment_fixed_size 0
		.amdhsa_private_segment_fixed_size 0
		.amdhsa_kernarg_size 48
		.amdhsa_user_sgpr_count 6
		.amdhsa_user_sgpr_private_segment_buffer 1
		.amdhsa_user_sgpr_dispatch_ptr 0
		.amdhsa_user_sgpr_queue_ptr 0
		.amdhsa_user_sgpr_kernarg_segment_ptr 1
		.amdhsa_user_sgpr_dispatch_id 0
		.amdhsa_user_sgpr_flat_scratch_init 0
		.amdhsa_user_sgpr_kernarg_preload_length 0
		.amdhsa_user_sgpr_kernarg_preload_offset 0
		.amdhsa_user_sgpr_private_segment_size 0
		.amdhsa_uses_dynamic_stack 0
		.amdhsa_system_sgpr_private_segment_wavefront_offset 0
		.amdhsa_system_sgpr_workgroup_id_x 1
		.amdhsa_system_sgpr_workgroup_id_y 0
		.amdhsa_system_sgpr_workgroup_id_z 0
		.amdhsa_system_sgpr_workgroup_info 0
		.amdhsa_system_vgpr_workitem_id 0
		.amdhsa_next_free_vgpr 1
		.amdhsa_next_free_sgpr 0
		.amdhsa_accum_offset 4
		.amdhsa_reserve_vcc 0
		.amdhsa_reserve_flat_scratch 0
		.amdhsa_float_round_mode_32 0
		.amdhsa_float_round_mode_16_64 0
		.amdhsa_float_denorm_mode_32 3
		.amdhsa_float_denorm_mode_16_64 3
		.amdhsa_dx10_clamp 1
		.amdhsa_ieee_mode 1
		.amdhsa_fp16_overflow 0
		.amdhsa_tg_split 0
		.amdhsa_exception_fp_ieee_invalid_op 0
		.amdhsa_exception_fp_denorm_src 0
		.amdhsa_exception_fp_ieee_div_zero 0
		.amdhsa_exception_fp_ieee_overflow 0
		.amdhsa_exception_fp_ieee_underflow 0
		.amdhsa_exception_fp_ieee_inexact 0
		.amdhsa_exception_int_div_zero 0
	.end_amdhsa_kernel
	.section	.text._ZN7rocprim17ROCPRIM_400000_NS6detail17trampoline_kernelINS0_14default_configENS1_38merge_sort_block_merge_config_selectorIsNS0_10empty_typeEEEZZNS1_27merge_sort_block_merge_implIS3_N6thrust23THRUST_200600_302600_NS6detail15normal_iteratorINS9_10device_ptrIsEEEEPS5_jNS1_19radix_merge_compareILb0ELb0EsNS0_19identity_decomposerEEEEE10hipError_tT0_T1_T2_jT3_P12ihipStream_tbPNSt15iterator_traitsISK_E10value_typeEPNSQ_ISL_E10value_typeEPSM_NS1_7vsmem_tEENKUlT_SK_SL_SM_E_clISE_PsSF_SF_EESJ_SZ_SK_SL_SM_EUlSZ_E1_NS1_11comp_targetILNS1_3genE2ELNS1_11target_archE906ELNS1_3gpuE6ELNS1_3repE0EEENS1_36merge_oddeven_config_static_selectorELNS0_4arch9wavefront6targetE1EEEvSL_,"axG",@progbits,_ZN7rocprim17ROCPRIM_400000_NS6detail17trampoline_kernelINS0_14default_configENS1_38merge_sort_block_merge_config_selectorIsNS0_10empty_typeEEEZZNS1_27merge_sort_block_merge_implIS3_N6thrust23THRUST_200600_302600_NS6detail15normal_iteratorINS9_10device_ptrIsEEEEPS5_jNS1_19radix_merge_compareILb0ELb0EsNS0_19identity_decomposerEEEEE10hipError_tT0_T1_T2_jT3_P12ihipStream_tbPNSt15iterator_traitsISK_E10value_typeEPNSQ_ISL_E10value_typeEPSM_NS1_7vsmem_tEENKUlT_SK_SL_SM_E_clISE_PsSF_SF_EESJ_SZ_SK_SL_SM_EUlSZ_E1_NS1_11comp_targetILNS1_3genE2ELNS1_11target_archE906ELNS1_3gpuE6ELNS1_3repE0EEENS1_36merge_oddeven_config_static_selectorELNS0_4arch9wavefront6targetE1EEEvSL_,comdat
.Lfunc_end1863:
	.size	_ZN7rocprim17ROCPRIM_400000_NS6detail17trampoline_kernelINS0_14default_configENS1_38merge_sort_block_merge_config_selectorIsNS0_10empty_typeEEEZZNS1_27merge_sort_block_merge_implIS3_N6thrust23THRUST_200600_302600_NS6detail15normal_iteratorINS9_10device_ptrIsEEEEPS5_jNS1_19radix_merge_compareILb0ELb0EsNS0_19identity_decomposerEEEEE10hipError_tT0_T1_T2_jT3_P12ihipStream_tbPNSt15iterator_traitsISK_E10value_typeEPNSQ_ISL_E10value_typeEPSM_NS1_7vsmem_tEENKUlT_SK_SL_SM_E_clISE_PsSF_SF_EESJ_SZ_SK_SL_SM_EUlSZ_E1_NS1_11comp_targetILNS1_3genE2ELNS1_11target_archE906ELNS1_3gpuE6ELNS1_3repE0EEENS1_36merge_oddeven_config_static_selectorELNS0_4arch9wavefront6targetE1EEEvSL_, .Lfunc_end1863-_ZN7rocprim17ROCPRIM_400000_NS6detail17trampoline_kernelINS0_14default_configENS1_38merge_sort_block_merge_config_selectorIsNS0_10empty_typeEEEZZNS1_27merge_sort_block_merge_implIS3_N6thrust23THRUST_200600_302600_NS6detail15normal_iteratorINS9_10device_ptrIsEEEEPS5_jNS1_19radix_merge_compareILb0ELb0EsNS0_19identity_decomposerEEEEE10hipError_tT0_T1_T2_jT3_P12ihipStream_tbPNSt15iterator_traitsISK_E10value_typeEPNSQ_ISL_E10value_typeEPSM_NS1_7vsmem_tEENKUlT_SK_SL_SM_E_clISE_PsSF_SF_EESJ_SZ_SK_SL_SM_EUlSZ_E1_NS1_11comp_targetILNS1_3genE2ELNS1_11target_archE906ELNS1_3gpuE6ELNS1_3repE0EEENS1_36merge_oddeven_config_static_selectorELNS0_4arch9wavefront6targetE1EEEvSL_
                                        ; -- End function
	.section	.AMDGPU.csdata,"",@progbits
; Kernel info:
; codeLenInByte = 0
; NumSgprs: 4
; NumVgprs: 0
; NumAgprs: 0
; TotalNumVgprs: 0
; ScratchSize: 0
; MemoryBound: 0
; FloatMode: 240
; IeeeMode: 1
; LDSByteSize: 0 bytes/workgroup (compile time only)
; SGPRBlocks: 0
; VGPRBlocks: 0
; NumSGPRsForWavesPerEU: 4
; NumVGPRsForWavesPerEU: 1
; AccumOffset: 4
; Occupancy: 8
; WaveLimiterHint : 0
; COMPUTE_PGM_RSRC2:SCRATCH_EN: 0
; COMPUTE_PGM_RSRC2:USER_SGPR: 6
; COMPUTE_PGM_RSRC2:TRAP_HANDLER: 0
; COMPUTE_PGM_RSRC2:TGID_X_EN: 1
; COMPUTE_PGM_RSRC2:TGID_Y_EN: 0
; COMPUTE_PGM_RSRC2:TGID_Z_EN: 0
; COMPUTE_PGM_RSRC2:TIDIG_COMP_CNT: 0
; COMPUTE_PGM_RSRC3_GFX90A:ACCUM_OFFSET: 0
; COMPUTE_PGM_RSRC3_GFX90A:TG_SPLIT: 0
	.section	.text._ZN7rocprim17ROCPRIM_400000_NS6detail17trampoline_kernelINS0_14default_configENS1_38merge_sort_block_merge_config_selectorIsNS0_10empty_typeEEEZZNS1_27merge_sort_block_merge_implIS3_N6thrust23THRUST_200600_302600_NS6detail15normal_iteratorINS9_10device_ptrIsEEEEPS5_jNS1_19radix_merge_compareILb0ELb0EsNS0_19identity_decomposerEEEEE10hipError_tT0_T1_T2_jT3_P12ihipStream_tbPNSt15iterator_traitsISK_E10value_typeEPNSQ_ISL_E10value_typeEPSM_NS1_7vsmem_tEENKUlT_SK_SL_SM_E_clISE_PsSF_SF_EESJ_SZ_SK_SL_SM_EUlSZ_E1_NS1_11comp_targetILNS1_3genE9ELNS1_11target_archE1100ELNS1_3gpuE3ELNS1_3repE0EEENS1_36merge_oddeven_config_static_selectorELNS0_4arch9wavefront6targetE1EEEvSL_,"axG",@progbits,_ZN7rocprim17ROCPRIM_400000_NS6detail17trampoline_kernelINS0_14default_configENS1_38merge_sort_block_merge_config_selectorIsNS0_10empty_typeEEEZZNS1_27merge_sort_block_merge_implIS3_N6thrust23THRUST_200600_302600_NS6detail15normal_iteratorINS9_10device_ptrIsEEEEPS5_jNS1_19radix_merge_compareILb0ELb0EsNS0_19identity_decomposerEEEEE10hipError_tT0_T1_T2_jT3_P12ihipStream_tbPNSt15iterator_traitsISK_E10value_typeEPNSQ_ISL_E10value_typeEPSM_NS1_7vsmem_tEENKUlT_SK_SL_SM_E_clISE_PsSF_SF_EESJ_SZ_SK_SL_SM_EUlSZ_E1_NS1_11comp_targetILNS1_3genE9ELNS1_11target_archE1100ELNS1_3gpuE3ELNS1_3repE0EEENS1_36merge_oddeven_config_static_selectorELNS0_4arch9wavefront6targetE1EEEvSL_,comdat
	.protected	_ZN7rocprim17ROCPRIM_400000_NS6detail17trampoline_kernelINS0_14default_configENS1_38merge_sort_block_merge_config_selectorIsNS0_10empty_typeEEEZZNS1_27merge_sort_block_merge_implIS3_N6thrust23THRUST_200600_302600_NS6detail15normal_iteratorINS9_10device_ptrIsEEEEPS5_jNS1_19radix_merge_compareILb0ELb0EsNS0_19identity_decomposerEEEEE10hipError_tT0_T1_T2_jT3_P12ihipStream_tbPNSt15iterator_traitsISK_E10value_typeEPNSQ_ISL_E10value_typeEPSM_NS1_7vsmem_tEENKUlT_SK_SL_SM_E_clISE_PsSF_SF_EESJ_SZ_SK_SL_SM_EUlSZ_E1_NS1_11comp_targetILNS1_3genE9ELNS1_11target_archE1100ELNS1_3gpuE3ELNS1_3repE0EEENS1_36merge_oddeven_config_static_selectorELNS0_4arch9wavefront6targetE1EEEvSL_ ; -- Begin function _ZN7rocprim17ROCPRIM_400000_NS6detail17trampoline_kernelINS0_14default_configENS1_38merge_sort_block_merge_config_selectorIsNS0_10empty_typeEEEZZNS1_27merge_sort_block_merge_implIS3_N6thrust23THRUST_200600_302600_NS6detail15normal_iteratorINS9_10device_ptrIsEEEEPS5_jNS1_19radix_merge_compareILb0ELb0EsNS0_19identity_decomposerEEEEE10hipError_tT0_T1_T2_jT3_P12ihipStream_tbPNSt15iterator_traitsISK_E10value_typeEPNSQ_ISL_E10value_typeEPSM_NS1_7vsmem_tEENKUlT_SK_SL_SM_E_clISE_PsSF_SF_EESJ_SZ_SK_SL_SM_EUlSZ_E1_NS1_11comp_targetILNS1_3genE9ELNS1_11target_archE1100ELNS1_3gpuE3ELNS1_3repE0EEENS1_36merge_oddeven_config_static_selectorELNS0_4arch9wavefront6targetE1EEEvSL_
	.globl	_ZN7rocprim17ROCPRIM_400000_NS6detail17trampoline_kernelINS0_14default_configENS1_38merge_sort_block_merge_config_selectorIsNS0_10empty_typeEEEZZNS1_27merge_sort_block_merge_implIS3_N6thrust23THRUST_200600_302600_NS6detail15normal_iteratorINS9_10device_ptrIsEEEEPS5_jNS1_19radix_merge_compareILb0ELb0EsNS0_19identity_decomposerEEEEE10hipError_tT0_T1_T2_jT3_P12ihipStream_tbPNSt15iterator_traitsISK_E10value_typeEPNSQ_ISL_E10value_typeEPSM_NS1_7vsmem_tEENKUlT_SK_SL_SM_E_clISE_PsSF_SF_EESJ_SZ_SK_SL_SM_EUlSZ_E1_NS1_11comp_targetILNS1_3genE9ELNS1_11target_archE1100ELNS1_3gpuE3ELNS1_3repE0EEENS1_36merge_oddeven_config_static_selectorELNS0_4arch9wavefront6targetE1EEEvSL_
	.p2align	8
	.type	_ZN7rocprim17ROCPRIM_400000_NS6detail17trampoline_kernelINS0_14default_configENS1_38merge_sort_block_merge_config_selectorIsNS0_10empty_typeEEEZZNS1_27merge_sort_block_merge_implIS3_N6thrust23THRUST_200600_302600_NS6detail15normal_iteratorINS9_10device_ptrIsEEEEPS5_jNS1_19radix_merge_compareILb0ELb0EsNS0_19identity_decomposerEEEEE10hipError_tT0_T1_T2_jT3_P12ihipStream_tbPNSt15iterator_traitsISK_E10value_typeEPNSQ_ISL_E10value_typeEPSM_NS1_7vsmem_tEENKUlT_SK_SL_SM_E_clISE_PsSF_SF_EESJ_SZ_SK_SL_SM_EUlSZ_E1_NS1_11comp_targetILNS1_3genE9ELNS1_11target_archE1100ELNS1_3gpuE3ELNS1_3repE0EEENS1_36merge_oddeven_config_static_selectorELNS0_4arch9wavefront6targetE1EEEvSL_,@function
_ZN7rocprim17ROCPRIM_400000_NS6detail17trampoline_kernelINS0_14default_configENS1_38merge_sort_block_merge_config_selectorIsNS0_10empty_typeEEEZZNS1_27merge_sort_block_merge_implIS3_N6thrust23THRUST_200600_302600_NS6detail15normal_iteratorINS9_10device_ptrIsEEEEPS5_jNS1_19radix_merge_compareILb0ELb0EsNS0_19identity_decomposerEEEEE10hipError_tT0_T1_T2_jT3_P12ihipStream_tbPNSt15iterator_traitsISK_E10value_typeEPNSQ_ISL_E10value_typeEPSM_NS1_7vsmem_tEENKUlT_SK_SL_SM_E_clISE_PsSF_SF_EESJ_SZ_SK_SL_SM_EUlSZ_E1_NS1_11comp_targetILNS1_3genE9ELNS1_11target_archE1100ELNS1_3gpuE3ELNS1_3repE0EEENS1_36merge_oddeven_config_static_selectorELNS0_4arch9wavefront6targetE1EEEvSL_: ; @_ZN7rocprim17ROCPRIM_400000_NS6detail17trampoline_kernelINS0_14default_configENS1_38merge_sort_block_merge_config_selectorIsNS0_10empty_typeEEEZZNS1_27merge_sort_block_merge_implIS3_N6thrust23THRUST_200600_302600_NS6detail15normal_iteratorINS9_10device_ptrIsEEEEPS5_jNS1_19radix_merge_compareILb0ELb0EsNS0_19identity_decomposerEEEEE10hipError_tT0_T1_T2_jT3_P12ihipStream_tbPNSt15iterator_traitsISK_E10value_typeEPNSQ_ISL_E10value_typeEPSM_NS1_7vsmem_tEENKUlT_SK_SL_SM_E_clISE_PsSF_SF_EESJ_SZ_SK_SL_SM_EUlSZ_E1_NS1_11comp_targetILNS1_3genE9ELNS1_11target_archE1100ELNS1_3gpuE3ELNS1_3repE0EEENS1_36merge_oddeven_config_static_selectorELNS0_4arch9wavefront6targetE1EEEvSL_
; %bb.0:
	.section	.rodata,"a",@progbits
	.p2align	6, 0x0
	.amdhsa_kernel _ZN7rocprim17ROCPRIM_400000_NS6detail17trampoline_kernelINS0_14default_configENS1_38merge_sort_block_merge_config_selectorIsNS0_10empty_typeEEEZZNS1_27merge_sort_block_merge_implIS3_N6thrust23THRUST_200600_302600_NS6detail15normal_iteratorINS9_10device_ptrIsEEEEPS5_jNS1_19radix_merge_compareILb0ELb0EsNS0_19identity_decomposerEEEEE10hipError_tT0_T1_T2_jT3_P12ihipStream_tbPNSt15iterator_traitsISK_E10value_typeEPNSQ_ISL_E10value_typeEPSM_NS1_7vsmem_tEENKUlT_SK_SL_SM_E_clISE_PsSF_SF_EESJ_SZ_SK_SL_SM_EUlSZ_E1_NS1_11comp_targetILNS1_3genE9ELNS1_11target_archE1100ELNS1_3gpuE3ELNS1_3repE0EEENS1_36merge_oddeven_config_static_selectorELNS0_4arch9wavefront6targetE1EEEvSL_
		.amdhsa_group_segment_fixed_size 0
		.amdhsa_private_segment_fixed_size 0
		.amdhsa_kernarg_size 48
		.amdhsa_user_sgpr_count 6
		.amdhsa_user_sgpr_private_segment_buffer 1
		.amdhsa_user_sgpr_dispatch_ptr 0
		.amdhsa_user_sgpr_queue_ptr 0
		.amdhsa_user_sgpr_kernarg_segment_ptr 1
		.amdhsa_user_sgpr_dispatch_id 0
		.amdhsa_user_sgpr_flat_scratch_init 0
		.amdhsa_user_sgpr_kernarg_preload_length 0
		.amdhsa_user_sgpr_kernarg_preload_offset 0
		.amdhsa_user_sgpr_private_segment_size 0
		.amdhsa_uses_dynamic_stack 0
		.amdhsa_system_sgpr_private_segment_wavefront_offset 0
		.amdhsa_system_sgpr_workgroup_id_x 1
		.amdhsa_system_sgpr_workgroup_id_y 0
		.amdhsa_system_sgpr_workgroup_id_z 0
		.amdhsa_system_sgpr_workgroup_info 0
		.amdhsa_system_vgpr_workitem_id 0
		.amdhsa_next_free_vgpr 1
		.amdhsa_next_free_sgpr 0
		.amdhsa_accum_offset 4
		.amdhsa_reserve_vcc 0
		.amdhsa_reserve_flat_scratch 0
		.amdhsa_float_round_mode_32 0
		.amdhsa_float_round_mode_16_64 0
		.amdhsa_float_denorm_mode_32 3
		.amdhsa_float_denorm_mode_16_64 3
		.amdhsa_dx10_clamp 1
		.amdhsa_ieee_mode 1
		.amdhsa_fp16_overflow 0
		.amdhsa_tg_split 0
		.amdhsa_exception_fp_ieee_invalid_op 0
		.amdhsa_exception_fp_denorm_src 0
		.amdhsa_exception_fp_ieee_div_zero 0
		.amdhsa_exception_fp_ieee_overflow 0
		.amdhsa_exception_fp_ieee_underflow 0
		.amdhsa_exception_fp_ieee_inexact 0
		.amdhsa_exception_int_div_zero 0
	.end_amdhsa_kernel
	.section	.text._ZN7rocprim17ROCPRIM_400000_NS6detail17trampoline_kernelINS0_14default_configENS1_38merge_sort_block_merge_config_selectorIsNS0_10empty_typeEEEZZNS1_27merge_sort_block_merge_implIS3_N6thrust23THRUST_200600_302600_NS6detail15normal_iteratorINS9_10device_ptrIsEEEEPS5_jNS1_19radix_merge_compareILb0ELb0EsNS0_19identity_decomposerEEEEE10hipError_tT0_T1_T2_jT3_P12ihipStream_tbPNSt15iterator_traitsISK_E10value_typeEPNSQ_ISL_E10value_typeEPSM_NS1_7vsmem_tEENKUlT_SK_SL_SM_E_clISE_PsSF_SF_EESJ_SZ_SK_SL_SM_EUlSZ_E1_NS1_11comp_targetILNS1_3genE9ELNS1_11target_archE1100ELNS1_3gpuE3ELNS1_3repE0EEENS1_36merge_oddeven_config_static_selectorELNS0_4arch9wavefront6targetE1EEEvSL_,"axG",@progbits,_ZN7rocprim17ROCPRIM_400000_NS6detail17trampoline_kernelINS0_14default_configENS1_38merge_sort_block_merge_config_selectorIsNS0_10empty_typeEEEZZNS1_27merge_sort_block_merge_implIS3_N6thrust23THRUST_200600_302600_NS6detail15normal_iteratorINS9_10device_ptrIsEEEEPS5_jNS1_19radix_merge_compareILb0ELb0EsNS0_19identity_decomposerEEEEE10hipError_tT0_T1_T2_jT3_P12ihipStream_tbPNSt15iterator_traitsISK_E10value_typeEPNSQ_ISL_E10value_typeEPSM_NS1_7vsmem_tEENKUlT_SK_SL_SM_E_clISE_PsSF_SF_EESJ_SZ_SK_SL_SM_EUlSZ_E1_NS1_11comp_targetILNS1_3genE9ELNS1_11target_archE1100ELNS1_3gpuE3ELNS1_3repE0EEENS1_36merge_oddeven_config_static_selectorELNS0_4arch9wavefront6targetE1EEEvSL_,comdat
.Lfunc_end1864:
	.size	_ZN7rocprim17ROCPRIM_400000_NS6detail17trampoline_kernelINS0_14default_configENS1_38merge_sort_block_merge_config_selectorIsNS0_10empty_typeEEEZZNS1_27merge_sort_block_merge_implIS3_N6thrust23THRUST_200600_302600_NS6detail15normal_iteratorINS9_10device_ptrIsEEEEPS5_jNS1_19radix_merge_compareILb0ELb0EsNS0_19identity_decomposerEEEEE10hipError_tT0_T1_T2_jT3_P12ihipStream_tbPNSt15iterator_traitsISK_E10value_typeEPNSQ_ISL_E10value_typeEPSM_NS1_7vsmem_tEENKUlT_SK_SL_SM_E_clISE_PsSF_SF_EESJ_SZ_SK_SL_SM_EUlSZ_E1_NS1_11comp_targetILNS1_3genE9ELNS1_11target_archE1100ELNS1_3gpuE3ELNS1_3repE0EEENS1_36merge_oddeven_config_static_selectorELNS0_4arch9wavefront6targetE1EEEvSL_, .Lfunc_end1864-_ZN7rocprim17ROCPRIM_400000_NS6detail17trampoline_kernelINS0_14default_configENS1_38merge_sort_block_merge_config_selectorIsNS0_10empty_typeEEEZZNS1_27merge_sort_block_merge_implIS3_N6thrust23THRUST_200600_302600_NS6detail15normal_iteratorINS9_10device_ptrIsEEEEPS5_jNS1_19radix_merge_compareILb0ELb0EsNS0_19identity_decomposerEEEEE10hipError_tT0_T1_T2_jT3_P12ihipStream_tbPNSt15iterator_traitsISK_E10value_typeEPNSQ_ISL_E10value_typeEPSM_NS1_7vsmem_tEENKUlT_SK_SL_SM_E_clISE_PsSF_SF_EESJ_SZ_SK_SL_SM_EUlSZ_E1_NS1_11comp_targetILNS1_3genE9ELNS1_11target_archE1100ELNS1_3gpuE3ELNS1_3repE0EEENS1_36merge_oddeven_config_static_selectorELNS0_4arch9wavefront6targetE1EEEvSL_
                                        ; -- End function
	.section	.AMDGPU.csdata,"",@progbits
; Kernel info:
; codeLenInByte = 0
; NumSgprs: 4
; NumVgprs: 0
; NumAgprs: 0
; TotalNumVgprs: 0
; ScratchSize: 0
; MemoryBound: 0
; FloatMode: 240
; IeeeMode: 1
; LDSByteSize: 0 bytes/workgroup (compile time only)
; SGPRBlocks: 0
; VGPRBlocks: 0
; NumSGPRsForWavesPerEU: 4
; NumVGPRsForWavesPerEU: 1
; AccumOffset: 4
; Occupancy: 8
; WaveLimiterHint : 0
; COMPUTE_PGM_RSRC2:SCRATCH_EN: 0
; COMPUTE_PGM_RSRC2:USER_SGPR: 6
; COMPUTE_PGM_RSRC2:TRAP_HANDLER: 0
; COMPUTE_PGM_RSRC2:TGID_X_EN: 1
; COMPUTE_PGM_RSRC2:TGID_Y_EN: 0
; COMPUTE_PGM_RSRC2:TGID_Z_EN: 0
; COMPUTE_PGM_RSRC2:TIDIG_COMP_CNT: 0
; COMPUTE_PGM_RSRC3_GFX90A:ACCUM_OFFSET: 0
; COMPUTE_PGM_RSRC3_GFX90A:TG_SPLIT: 0
	.section	.text._ZN7rocprim17ROCPRIM_400000_NS6detail17trampoline_kernelINS0_14default_configENS1_38merge_sort_block_merge_config_selectorIsNS0_10empty_typeEEEZZNS1_27merge_sort_block_merge_implIS3_N6thrust23THRUST_200600_302600_NS6detail15normal_iteratorINS9_10device_ptrIsEEEEPS5_jNS1_19radix_merge_compareILb0ELb0EsNS0_19identity_decomposerEEEEE10hipError_tT0_T1_T2_jT3_P12ihipStream_tbPNSt15iterator_traitsISK_E10value_typeEPNSQ_ISL_E10value_typeEPSM_NS1_7vsmem_tEENKUlT_SK_SL_SM_E_clISE_PsSF_SF_EESJ_SZ_SK_SL_SM_EUlSZ_E1_NS1_11comp_targetILNS1_3genE8ELNS1_11target_archE1030ELNS1_3gpuE2ELNS1_3repE0EEENS1_36merge_oddeven_config_static_selectorELNS0_4arch9wavefront6targetE1EEEvSL_,"axG",@progbits,_ZN7rocprim17ROCPRIM_400000_NS6detail17trampoline_kernelINS0_14default_configENS1_38merge_sort_block_merge_config_selectorIsNS0_10empty_typeEEEZZNS1_27merge_sort_block_merge_implIS3_N6thrust23THRUST_200600_302600_NS6detail15normal_iteratorINS9_10device_ptrIsEEEEPS5_jNS1_19radix_merge_compareILb0ELb0EsNS0_19identity_decomposerEEEEE10hipError_tT0_T1_T2_jT3_P12ihipStream_tbPNSt15iterator_traitsISK_E10value_typeEPNSQ_ISL_E10value_typeEPSM_NS1_7vsmem_tEENKUlT_SK_SL_SM_E_clISE_PsSF_SF_EESJ_SZ_SK_SL_SM_EUlSZ_E1_NS1_11comp_targetILNS1_3genE8ELNS1_11target_archE1030ELNS1_3gpuE2ELNS1_3repE0EEENS1_36merge_oddeven_config_static_selectorELNS0_4arch9wavefront6targetE1EEEvSL_,comdat
	.protected	_ZN7rocprim17ROCPRIM_400000_NS6detail17trampoline_kernelINS0_14default_configENS1_38merge_sort_block_merge_config_selectorIsNS0_10empty_typeEEEZZNS1_27merge_sort_block_merge_implIS3_N6thrust23THRUST_200600_302600_NS6detail15normal_iteratorINS9_10device_ptrIsEEEEPS5_jNS1_19radix_merge_compareILb0ELb0EsNS0_19identity_decomposerEEEEE10hipError_tT0_T1_T2_jT3_P12ihipStream_tbPNSt15iterator_traitsISK_E10value_typeEPNSQ_ISL_E10value_typeEPSM_NS1_7vsmem_tEENKUlT_SK_SL_SM_E_clISE_PsSF_SF_EESJ_SZ_SK_SL_SM_EUlSZ_E1_NS1_11comp_targetILNS1_3genE8ELNS1_11target_archE1030ELNS1_3gpuE2ELNS1_3repE0EEENS1_36merge_oddeven_config_static_selectorELNS0_4arch9wavefront6targetE1EEEvSL_ ; -- Begin function _ZN7rocprim17ROCPRIM_400000_NS6detail17trampoline_kernelINS0_14default_configENS1_38merge_sort_block_merge_config_selectorIsNS0_10empty_typeEEEZZNS1_27merge_sort_block_merge_implIS3_N6thrust23THRUST_200600_302600_NS6detail15normal_iteratorINS9_10device_ptrIsEEEEPS5_jNS1_19radix_merge_compareILb0ELb0EsNS0_19identity_decomposerEEEEE10hipError_tT0_T1_T2_jT3_P12ihipStream_tbPNSt15iterator_traitsISK_E10value_typeEPNSQ_ISL_E10value_typeEPSM_NS1_7vsmem_tEENKUlT_SK_SL_SM_E_clISE_PsSF_SF_EESJ_SZ_SK_SL_SM_EUlSZ_E1_NS1_11comp_targetILNS1_3genE8ELNS1_11target_archE1030ELNS1_3gpuE2ELNS1_3repE0EEENS1_36merge_oddeven_config_static_selectorELNS0_4arch9wavefront6targetE1EEEvSL_
	.globl	_ZN7rocprim17ROCPRIM_400000_NS6detail17trampoline_kernelINS0_14default_configENS1_38merge_sort_block_merge_config_selectorIsNS0_10empty_typeEEEZZNS1_27merge_sort_block_merge_implIS3_N6thrust23THRUST_200600_302600_NS6detail15normal_iteratorINS9_10device_ptrIsEEEEPS5_jNS1_19radix_merge_compareILb0ELb0EsNS0_19identity_decomposerEEEEE10hipError_tT0_T1_T2_jT3_P12ihipStream_tbPNSt15iterator_traitsISK_E10value_typeEPNSQ_ISL_E10value_typeEPSM_NS1_7vsmem_tEENKUlT_SK_SL_SM_E_clISE_PsSF_SF_EESJ_SZ_SK_SL_SM_EUlSZ_E1_NS1_11comp_targetILNS1_3genE8ELNS1_11target_archE1030ELNS1_3gpuE2ELNS1_3repE0EEENS1_36merge_oddeven_config_static_selectorELNS0_4arch9wavefront6targetE1EEEvSL_
	.p2align	8
	.type	_ZN7rocprim17ROCPRIM_400000_NS6detail17trampoline_kernelINS0_14default_configENS1_38merge_sort_block_merge_config_selectorIsNS0_10empty_typeEEEZZNS1_27merge_sort_block_merge_implIS3_N6thrust23THRUST_200600_302600_NS6detail15normal_iteratorINS9_10device_ptrIsEEEEPS5_jNS1_19radix_merge_compareILb0ELb0EsNS0_19identity_decomposerEEEEE10hipError_tT0_T1_T2_jT3_P12ihipStream_tbPNSt15iterator_traitsISK_E10value_typeEPNSQ_ISL_E10value_typeEPSM_NS1_7vsmem_tEENKUlT_SK_SL_SM_E_clISE_PsSF_SF_EESJ_SZ_SK_SL_SM_EUlSZ_E1_NS1_11comp_targetILNS1_3genE8ELNS1_11target_archE1030ELNS1_3gpuE2ELNS1_3repE0EEENS1_36merge_oddeven_config_static_selectorELNS0_4arch9wavefront6targetE1EEEvSL_,@function
_ZN7rocprim17ROCPRIM_400000_NS6detail17trampoline_kernelINS0_14default_configENS1_38merge_sort_block_merge_config_selectorIsNS0_10empty_typeEEEZZNS1_27merge_sort_block_merge_implIS3_N6thrust23THRUST_200600_302600_NS6detail15normal_iteratorINS9_10device_ptrIsEEEEPS5_jNS1_19radix_merge_compareILb0ELb0EsNS0_19identity_decomposerEEEEE10hipError_tT0_T1_T2_jT3_P12ihipStream_tbPNSt15iterator_traitsISK_E10value_typeEPNSQ_ISL_E10value_typeEPSM_NS1_7vsmem_tEENKUlT_SK_SL_SM_E_clISE_PsSF_SF_EESJ_SZ_SK_SL_SM_EUlSZ_E1_NS1_11comp_targetILNS1_3genE8ELNS1_11target_archE1030ELNS1_3gpuE2ELNS1_3repE0EEENS1_36merge_oddeven_config_static_selectorELNS0_4arch9wavefront6targetE1EEEvSL_: ; @_ZN7rocprim17ROCPRIM_400000_NS6detail17trampoline_kernelINS0_14default_configENS1_38merge_sort_block_merge_config_selectorIsNS0_10empty_typeEEEZZNS1_27merge_sort_block_merge_implIS3_N6thrust23THRUST_200600_302600_NS6detail15normal_iteratorINS9_10device_ptrIsEEEEPS5_jNS1_19radix_merge_compareILb0ELb0EsNS0_19identity_decomposerEEEEE10hipError_tT0_T1_T2_jT3_P12ihipStream_tbPNSt15iterator_traitsISK_E10value_typeEPNSQ_ISL_E10value_typeEPSM_NS1_7vsmem_tEENKUlT_SK_SL_SM_E_clISE_PsSF_SF_EESJ_SZ_SK_SL_SM_EUlSZ_E1_NS1_11comp_targetILNS1_3genE8ELNS1_11target_archE1030ELNS1_3gpuE2ELNS1_3repE0EEENS1_36merge_oddeven_config_static_selectorELNS0_4arch9wavefront6targetE1EEEvSL_
; %bb.0:
	.section	.rodata,"a",@progbits
	.p2align	6, 0x0
	.amdhsa_kernel _ZN7rocprim17ROCPRIM_400000_NS6detail17trampoline_kernelINS0_14default_configENS1_38merge_sort_block_merge_config_selectorIsNS0_10empty_typeEEEZZNS1_27merge_sort_block_merge_implIS3_N6thrust23THRUST_200600_302600_NS6detail15normal_iteratorINS9_10device_ptrIsEEEEPS5_jNS1_19radix_merge_compareILb0ELb0EsNS0_19identity_decomposerEEEEE10hipError_tT0_T1_T2_jT3_P12ihipStream_tbPNSt15iterator_traitsISK_E10value_typeEPNSQ_ISL_E10value_typeEPSM_NS1_7vsmem_tEENKUlT_SK_SL_SM_E_clISE_PsSF_SF_EESJ_SZ_SK_SL_SM_EUlSZ_E1_NS1_11comp_targetILNS1_3genE8ELNS1_11target_archE1030ELNS1_3gpuE2ELNS1_3repE0EEENS1_36merge_oddeven_config_static_selectorELNS0_4arch9wavefront6targetE1EEEvSL_
		.amdhsa_group_segment_fixed_size 0
		.amdhsa_private_segment_fixed_size 0
		.amdhsa_kernarg_size 48
		.amdhsa_user_sgpr_count 6
		.amdhsa_user_sgpr_private_segment_buffer 1
		.amdhsa_user_sgpr_dispatch_ptr 0
		.amdhsa_user_sgpr_queue_ptr 0
		.amdhsa_user_sgpr_kernarg_segment_ptr 1
		.amdhsa_user_sgpr_dispatch_id 0
		.amdhsa_user_sgpr_flat_scratch_init 0
		.amdhsa_user_sgpr_kernarg_preload_length 0
		.amdhsa_user_sgpr_kernarg_preload_offset 0
		.amdhsa_user_sgpr_private_segment_size 0
		.amdhsa_uses_dynamic_stack 0
		.amdhsa_system_sgpr_private_segment_wavefront_offset 0
		.amdhsa_system_sgpr_workgroup_id_x 1
		.amdhsa_system_sgpr_workgroup_id_y 0
		.amdhsa_system_sgpr_workgroup_id_z 0
		.amdhsa_system_sgpr_workgroup_info 0
		.amdhsa_system_vgpr_workitem_id 0
		.amdhsa_next_free_vgpr 1
		.amdhsa_next_free_sgpr 0
		.amdhsa_accum_offset 4
		.amdhsa_reserve_vcc 0
		.amdhsa_reserve_flat_scratch 0
		.amdhsa_float_round_mode_32 0
		.amdhsa_float_round_mode_16_64 0
		.amdhsa_float_denorm_mode_32 3
		.amdhsa_float_denorm_mode_16_64 3
		.amdhsa_dx10_clamp 1
		.amdhsa_ieee_mode 1
		.amdhsa_fp16_overflow 0
		.amdhsa_tg_split 0
		.amdhsa_exception_fp_ieee_invalid_op 0
		.amdhsa_exception_fp_denorm_src 0
		.amdhsa_exception_fp_ieee_div_zero 0
		.amdhsa_exception_fp_ieee_overflow 0
		.amdhsa_exception_fp_ieee_underflow 0
		.amdhsa_exception_fp_ieee_inexact 0
		.amdhsa_exception_int_div_zero 0
	.end_amdhsa_kernel
	.section	.text._ZN7rocprim17ROCPRIM_400000_NS6detail17trampoline_kernelINS0_14default_configENS1_38merge_sort_block_merge_config_selectorIsNS0_10empty_typeEEEZZNS1_27merge_sort_block_merge_implIS3_N6thrust23THRUST_200600_302600_NS6detail15normal_iteratorINS9_10device_ptrIsEEEEPS5_jNS1_19radix_merge_compareILb0ELb0EsNS0_19identity_decomposerEEEEE10hipError_tT0_T1_T2_jT3_P12ihipStream_tbPNSt15iterator_traitsISK_E10value_typeEPNSQ_ISL_E10value_typeEPSM_NS1_7vsmem_tEENKUlT_SK_SL_SM_E_clISE_PsSF_SF_EESJ_SZ_SK_SL_SM_EUlSZ_E1_NS1_11comp_targetILNS1_3genE8ELNS1_11target_archE1030ELNS1_3gpuE2ELNS1_3repE0EEENS1_36merge_oddeven_config_static_selectorELNS0_4arch9wavefront6targetE1EEEvSL_,"axG",@progbits,_ZN7rocprim17ROCPRIM_400000_NS6detail17trampoline_kernelINS0_14default_configENS1_38merge_sort_block_merge_config_selectorIsNS0_10empty_typeEEEZZNS1_27merge_sort_block_merge_implIS3_N6thrust23THRUST_200600_302600_NS6detail15normal_iteratorINS9_10device_ptrIsEEEEPS5_jNS1_19radix_merge_compareILb0ELb0EsNS0_19identity_decomposerEEEEE10hipError_tT0_T1_T2_jT3_P12ihipStream_tbPNSt15iterator_traitsISK_E10value_typeEPNSQ_ISL_E10value_typeEPSM_NS1_7vsmem_tEENKUlT_SK_SL_SM_E_clISE_PsSF_SF_EESJ_SZ_SK_SL_SM_EUlSZ_E1_NS1_11comp_targetILNS1_3genE8ELNS1_11target_archE1030ELNS1_3gpuE2ELNS1_3repE0EEENS1_36merge_oddeven_config_static_selectorELNS0_4arch9wavefront6targetE1EEEvSL_,comdat
.Lfunc_end1865:
	.size	_ZN7rocprim17ROCPRIM_400000_NS6detail17trampoline_kernelINS0_14default_configENS1_38merge_sort_block_merge_config_selectorIsNS0_10empty_typeEEEZZNS1_27merge_sort_block_merge_implIS3_N6thrust23THRUST_200600_302600_NS6detail15normal_iteratorINS9_10device_ptrIsEEEEPS5_jNS1_19radix_merge_compareILb0ELb0EsNS0_19identity_decomposerEEEEE10hipError_tT0_T1_T2_jT3_P12ihipStream_tbPNSt15iterator_traitsISK_E10value_typeEPNSQ_ISL_E10value_typeEPSM_NS1_7vsmem_tEENKUlT_SK_SL_SM_E_clISE_PsSF_SF_EESJ_SZ_SK_SL_SM_EUlSZ_E1_NS1_11comp_targetILNS1_3genE8ELNS1_11target_archE1030ELNS1_3gpuE2ELNS1_3repE0EEENS1_36merge_oddeven_config_static_selectorELNS0_4arch9wavefront6targetE1EEEvSL_, .Lfunc_end1865-_ZN7rocprim17ROCPRIM_400000_NS6detail17trampoline_kernelINS0_14default_configENS1_38merge_sort_block_merge_config_selectorIsNS0_10empty_typeEEEZZNS1_27merge_sort_block_merge_implIS3_N6thrust23THRUST_200600_302600_NS6detail15normal_iteratorINS9_10device_ptrIsEEEEPS5_jNS1_19radix_merge_compareILb0ELb0EsNS0_19identity_decomposerEEEEE10hipError_tT0_T1_T2_jT3_P12ihipStream_tbPNSt15iterator_traitsISK_E10value_typeEPNSQ_ISL_E10value_typeEPSM_NS1_7vsmem_tEENKUlT_SK_SL_SM_E_clISE_PsSF_SF_EESJ_SZ_SK_SL_SM_EUlSZ_E1_NS1_11comp_targetILNS1_3genE8ELNS1_11target_archE1030ELNS1_3gpuE2ELNS1_3repE0EEENS1_36merge_oddeven_config_static_selectorELNS0_4arch9wavefront6targetE1EEEvSL_
                                        ; -- End function
	.section	.AMDGPU.csdata,"",@progbits
; Kernel info:
; codeLenInByte = 0
; NumSgprs: 4
; NumVgprs: 0
; NumAgprs: 0
; TotalNumVgprs: 0
; ScratchSize: 0
; MemoryBound: 0
; FloatMode: 240
; IeeeMode: 1
; LDSByteSize: 0 bytes/workgroup (compile time only)
; SGPRBlocks: 0
; VGPRBlocks: 0
; NumSGPRsForWavesPerEU: 4
; NumVGPRsForWavesPerEU: 1
; AccumOffset: 4
; Occupancy: 8
; WaveLimiterHint : 0
; COMPUTE_PGM_RSRC2:SCRATCH_EN: 0
; COMPUTE_PGM_RSRC2:USER_SGPR: 6
; COMPUTE_PGM_RSRC2:TRAP_HANDLER: 0
; COMPUTE_PGM_RSRC2:TGID_X_EN: 1
; COMPUTE_PGM_RSRC2:TGID_Y_EN: 0
; COMPUTE_PGM_RSRC2:TGID_Z_EN: 0
; COMPUTE_PGM_RSRC2:TIDIG_COMP_CNT: 0
; COMPUTE_PGM_RSRC3_GFX90A:ACCUM_OFFSET: 0
; COMPUTE_PGM_RSRC3_GFX90A:TG_SPLIT: 0
	.section	.text._ZN7rocprim17ROCPRIM_400000_NS6detail17trampoline_kernelINS0_14default_configENS1_25transform_config_selectorIsLb0EEEZNS1_14transform_implILb0ES3_S5_PsN6thrust23THRUST_200600_302600_NS6detail15normal_iteratorINS9_10device_ptrIsEEEENS0_8identityIsEEEE10hipError_tT2_T3_mT4_P12ihipStream_tbEUlT_E_NS1_11comp_targetILNS1_3genE0ELNS1_11target_archE4294967295ELNS1_3gpuE0ELNS1_3repE0EEENS1_30default_config_static_selectorELNS0_4arch9wavefront6targetE1EEEvT1_,"axG",@progbits,_ZN7rocprim17ROCPRIM_400000_NS6detail17trampoline_kernelINS0_14default_configENS1_25transform_config_selectorIsLb0EEEZNS1_14transform_implILb0ES3_S5_PsN6thrust23THRUST_200600_302600_NS6detail15normal_iteratorINS9_10device_ptrIsEEEENS0_8identityIsEEEE10hipError_tT2_T3_mT4_P12ihipStream_tbEUlT_E_NS1_11comp_targetILNS1_3genE0ELNS1_11target_archE4294967295ELNS1_3gpuE0ELNS1_3repE0EEENS1_30default_config_static_selectorELNS0_4arch9wavefront6targetE1EEEvT1_,comdat
	.protected	_ZN7rocprim17ROCPRIM_400000_NS6detail17trampoline_kernelINS0_14default_configENS1_25transform_config_selectorIsLb0EEEZNS1_14transform_implILb0ES3_S5_PsN6thrust23THRUST_200600_302600_NS6detail15normal_iteratorINS9_10device_ptrIsEEEENS0_8identityIsEEEE10hipError_tT2_T3_mT4_P12ihipStream_tbEUlT_E_NS1_11comp_targetILNS1_3genE0ELNS1_11target_archE4294967295ELNS1_3gpuE0ELNS1_3repE0EEENS1_30default_config_static_selectorELNS0_4arch9wavefront6targetE1EEEvT1_ ; -- Begin function _ZN7rocprim17ROCPRIM_400000_NS6detail17trampoline_kernelINS0_14default_configENS1_25transform_config_selectorIsLb0EEEZNS1_14transform_implILb0ES3_S5_PsN6thrust23THRUST_200600_302600_NS6detail15normal_iteratorINS9_10device_ptrIsEEEENS0_8identityIsEEEE10hipError_tT2_T3_mT4_P12ihipStream_tbEUlT_E_NS1_11comp_targetILNS1_3genE0ELNS1_11target_archE4294967295ELNS1_3gpuE0ELNS1_3repE0EEENS1_30default_config_static_selectorELNS0_4arch9wavefront6targetE1EEEvT1_
	.globl	_ZN7rocprim17ROCPRIM_400000_NS6detail17trampoline_kernelINS0_14default_configENS1_25transform_config_selectorIsLb0EEEZNS1_14transform_implILb0ES3_S5_PsN6thrust23THRUST_200600_302600_NS6detail15normal_iteratorINS9_10device_ptrIsEEEENS0_8identityIsEEEE10hipError_tT2_T3_mT4_P12ihipStream_tbEUlT_E_NS1_11comp_targetILNS1_3genE0ELNS1_11target_archE4294967295ELNS1_3gpuE0ELNS1_3repE0EEENS1_30default_config_static_selectorELNS0_4arch9wavefront6targetE1EEEvT1_
	.p2align	8
	.type	_ZN7rocprim17ROCPRIM_400000_NS6detail17trampoline_kernelINS0_14default_configENS1_25transform_config_selectorIsLb0EEEZNS1_14transform_implILb0ES3_S5_PsN6thrust23THRUST_200600_302600_NS6detail15normal_iteratorINS9_10device_ptrIsEEEENS0_8identityIsEEEE10hipError_tT2_T3_mT4_P12ihipStream_tbEUlT_E_NS1_11comp_targetILNS1_3genE0ELNS1_11target_archE4294967295ELNS1_3gpuE0ELNS1_3repE0EEENS1_30default_config_static_selectorELNS0_4arch9wavefront6targetE1EEEvT1_,@function
_ZN7rocprim17ROCPRIM_400000_NS6detail17trampoline_kernelINS0_14default_configENS1_25transform_config_selectorIsLb0EEEZNS1_14transform_implILb0ES3_S5_PsN6thrust23THRUST_200600_302600_NS6detail15normal_iteratorINS9_10device_ptrIsEEEENS0_8identityIsEEEE10hipError_tT2_T3_mT4_P12ihipStream_tbEUlT_E_NS1_11comp_targetILNS1_3genE0ELNS1_11target_archE4294967295ELNS1_3gpuE0ELNS1_3repE0EEENS1_30default_config_static_selectorELNS0_4arch9wavefront6targetE1EEEvT1_: ; @_ZN7rocprim17ROCPRIM_400000_NS6detail17trampoline_kernelINS0_14default_configENS1_25transform_config_selectorIsLb0EEEZNS1_14transform_implILb0ES3_S5_PsN6thrust23THRUST_200600_302600_NS6detail15normal_iteratorINS9_10device_ptrIsEEEENS0_8identityIsEEEE10hipError_tT2_T3_mT4_P12ihipStream_tbEUlT_E_NS1_11comp_targetILNS1_3genE0ELNS1_11target_archE4294967295ELNS1_3gpuE0ELNS1_3repE0EEENS1_30default_config_static_selectorELNS0_4arch9wavefront6targetE1EEEvT1_
; %bb.0:
	.section	.rodata,"a",@progbits
	.p2align	6, 0x0
	.amdhsa_kernel _ZN7rocprim17ROCPRIM_400000_NS6detail17trampoline_kernelINS0_14default_configENS1_25transform_config_selectorIsLb0EEEZNS1_14transform_implILb0ES3_S5_PsN6thrust23THRUST_200600_302600_NS6detail15normal_iteratorINS9_10device_ptrIsEEEENS0_8identityIsEEEE10hipError_tT2_T3_mT4_P12ihipStream_tbEUlT_E_NS1_11comp_targetILNS1_3genE0ELNS1_11target_archE4294967295ELNS1_3gpuE0ELNS1_3repE0EEENS1_30default_config_static_selectorELNS0_4arch9wavefront6targetE1EEEvT1_
		.amdhsa_group_segment_fixed_size 0
		.amdhsa_private_segment_fixed_size 0
		.amdhsa_kernarg_size 40
		.amdhsa_user_sgpr_count 6
		.amdhsa_user_sgpr_private_segment_buffer 1
		.amdhsa_user_sgpr_dispatch_ptr 0
		.amdhsa_user_sgpr_queue_ptr 0
		.amdhsa_user_sgpr_kernarg_segment_ptr 1
		.amdhsa_user_sgpr_dispatch_id 0
		.amdhsa_user_sgpr_flat_scratch_init 0
		.amdhsa_user_sgpr_kernarg_preload_length 0
		.amdhsa_user_sgpr_kernarg_preload_offset 0
		.amdhsa_user_sgpr_private_segment_size 0
		.amdhsa_uses_dynamic_stack 0
		.amdhsa_system_sgpr_private_segment_wavefront_offset 0
		.amdhsa_system_sgpr_workgroup_id_x 1
		.amdhsa_system_sgpr_workgroup_id_y 0
		.amdhsa_system_sgpr_workgroup_id_z 0
		.amdhsa_system_sgpr_workgroup_info 0
		.amdhsa_system_vgpr_workitem_id 0
		.amdhsa_next_free_vgpr 1
		.amdhsa_next_free_sgpr 0
		.amdhsa_accum_offset 4
		.amdhsa_reserve_vcc 0
		.amdhsa_reserve_flat_scratch 0
		.amdhsa_float_round_mode_32 0
		.amdhsa_float_round_mode_16_64 0
		.amdhsa_float_denorm_mode_32 3
		.amdhsa_float_denorm_mode_16_64 3
		.amdhsa_dx10_clamp 1
		.amdhsa_ieee_mode 1
		.amdhsa_fp16_overflow 0
		.amdhsa_tg_split 0
		.amdhsa_exception_fp_ieee_invalid_op 0
		.amdhsa_exception_fp_denorm_src 0
		.amdhsa_exception_fp_ieee_div_zero 0
		.amdhsa_exception_fp_ieee_overflow 0
		.amdhsa_exception_fp_ieee_underflow 0
		.amdhsa_exception_fp_ieee_inexact 0
		.amdhsa_exception_int_div_zero 0
	.end_amdhsa_kernel
	.section	.text._ZN7rocprim17ROCPRIM_400000_NS6detail17trampoline_kernelINS0_14default_configENS1_25transform_config_selectorIsLb0EEEZNS1_14transform_implILb0ES3_S5_PsN6thrust23THRUST_200600_302600_NS6detail15normal_iteratorINS9_10device_ptrIsEEEENS0_8identityIsEEEE10hipError_tT2_T3_mT4_P12ihipStream_tbEUlT_E_NS1_11comp_targetILNS1_3genE0ELNS1_11target_archE4294967295ELNS1_3gpuE0ELNS1_3repE0EEENS1_30default_config_static_selectorELNS0_4arch9wavefront6targetE1EEEvT1_,"axG",@progbits,_ZN7rocprim17ROCPRIM_400000_NS6detail17trampoline_kernelINS0_14default_configENS1_25transform_config_selectorIsLb0EEEZNS1_14transform_implILb0ES3_S5_PsN6thrust23THRUST_200600_302600_NS6detail15normal_iteratorINS9_10device_ptrIsEEEENS0_8identityIsEEEE10hipError_tT2_T3_mT4_P12ihipStream_tbEUlT_E_NS1_11comp_targetILNS1_3genE0ELNS1_11target_archE4294967295ELNS1_3gpuE0ELNS1_3repE0EEENS1_30default_config_static_selectorELNS0_4arch9wavefront6targetE1EEEvT1_,comdat
.Lfunc_end1866:
	.size	_ZN7rocprim17ROCPRIM_400000_NS6detail17trampoline_kernelINS0_14default_configENS1_25transform_config_selectorIsLb0EEEZNS1_14transform_implILb0ES3_S5_PsN6thrust23THRUST_200600_302600_NS6detail15normal_iteratorINS9_10device_ptrIsEEEENS0_8identityIsEEEE10hipError_tT2_T3_mT4_P12ihipStream_tbEUlT_E_NS1_11comp_targetILNS1_3genE0ELNS1_11target_archE4294967295ELNS1_3gpuE0ELNS1_3repE0EEENS1_30default_config_static_selectorELNS0_4arch9wavefront6targetE1EEEvT1_, .Lfunc_end1866-_ZN7rocprim17ROCPRIM_400000_NS6detail17trampoline_kernelINS0_14default_configENS1_25transform_config_selectorIsLb0EEEZNS1_14transform_implILb0ES3_S5_PsN6thrust23THRUST_200600_302600_NS6detail15normal_iteratorINS9_10device_ptrIsEEEENS0_8identityIsEEEE10hipError_tT2_T3_mT4_P12ihipStream_tbEUlT_E_NS1_11comp_targetILNS1_3genE0ELNS1_11target_archE4294967295ELNS1_3gpuE0ELNS1_3repE0EEENS1_30default_config_static_selectorELNS0_4arch9wavefront6targetE1EEEvT1_
                                        ; -- End function
	.section	.AMDGPU.csdata,"",@progbits
; Kernel info:
; codeLenInByte = 0
; NumSgprs: 4
; NumVgprs: 0
; NumAgprs: 0
; TotalNumVgprs: 0
; ScratchSize: 0
; MemoryBound: 0
; FloatMode: 240
; IeeeMode: 1
; LDSByteSize: 0 bytes/workgroup (compile time only)
; SGPRBlocks: 0
; VGPRBlocks: 0
; NumSGPRsForWavesPerEU: 4
; NumVGPRsForWavesPerEU: 1
; AccumOffset: 4
; Occupancy: 8
; WaveLimiterHint : 0
; COMPUTE_PGM_RSRC2:SCRATCH_EN: 0
; COMPUTE_PGM_RSRC2:USER_SGPR: 6
; COMPUTE_PGM_RSRC2:TRAP_HANDLER: 0
; COMPUTE_PGM_RSRC2:TGID_X_EN: 1
; COMPUTE_PGM_RSRC2:TGID_Y_EN: 0
; COMPUTE_PGM_RSRC2:TGID_Z_EN: 0
; COMPUTE_PGM_RSRC2:TIDIG_COMP_CNT: 0
; COMPUTE_PGM_RSRC3_GFX90A:ACCUM_OFFSET: 0
; COMPUTE_PGM_RSRC3_GFX90A:TG_SPLIT: 0
	.section	.text._ZN7rocprim17ROCPRIM_400000_NS6detail17trampoline_kernelINS0_14default_configENS1_25transform_config_selectorIsLb0EEEZNS1_14transform_implILb0ES3_S5_PsN6thrust23THRUST_200600_302600_NS6detail15normal_iteratorINS9_10device_ptrIsEEEENS0_8identityIsEEEE10hipError_tT2_T3_mT4_P12ihipStream_tbEUlT_E_NS1_11comp_targetILNS1_3genE5ELNS1_11target_archE942ELNS1_3gpuE9ELNS1_3repE0EEENS1_30default_config_static_selectorELNS0_4arch9wavefront6targetE1EEEvT1_,"axG",@progbits,_ZN7rocprim17ROCPRIM_400000_NS6detail17trampoline_kernelINS0_14default_configENS1_25transform_config_selectorIsLb0EEEZNS1_14transform_implILb0ES3_S5_PsN6thrust23THRUST_200600_302600_NS6detail15normal_iteratorINS9_10device_ptrIsEEEENS0_8identityIsEEEE10hipError_tT2_T3_mT4_P12ihipStream_tbEUlT_E_NS1_11comp_targetILNS1_3genE5ELNS1_11target_archE942ELNS1_3gpuE9ELNS1_3repE0EEENS1_30default_config_static_selectorELNS0_4arch9wavefront6targetE1EEEvT1_,comdat
	.protected	_ZN7rocprim17ROCPRIM_400000_NS6detail17trampoline_kernelINS0_14default_configENS1_25transform_config_selectorIsLb0EEEZNS1_14transform_implILb0ES3_S5_PsN6thrust23THRUST_200600_302600_NS6detail15normal_iteratorINS9_10device_ptrIsEEEENS0_8identityIsEEEE10hipError_tT2_T3_mT4_P12ihipStream_tbEUlT_E_NS1_11comp_targetILNS1_3genE5ELNS1_11target_archE942ELNS1_3gpuE9ELNS1_3repE0EEENS1_30default_config_static_selectorELNS0_4arch9wavefront6targetE1EEEvT1_ ; -- Begin function _ZN7rocprim17ROCPRIM_400000_NS6detail17trampoline_kernelINS0_14default_configENS1_25transform_config_selectorIsLb0EEEZNS1_14transform_implILb0ES3_S5_PsN6thrust23THRUST_200600_302600_NS6detail15normal_iteratorINS9_10device_ptrIsEEEENS0_8identityIsEEEE10hipError_tT2_T3_mT4_P12ihipStream_tbEUlT_E_NS1_11comp_targetILNS1_3genE5ELNS1_11target_archE942ELNS1_3gpuE9ELNS1_3repE0EEENS1_30default_config_static_selectorELNS0_4arch9wavefront6targetE1EEEvT1_
	.globl	_ZN7rocprim17ROCPRIM_400000_NS6detail17trampoline_kernelINS0_14default_configENS1_25transform_config_selectorIsLb0EEEZNS1_14transform_implILb0ES3_S5_PsN6thrust23THRUST_200600_302600_NS6detail15normal_iteratorINS9_10device_ptrIsEEEENS0_8identityIsEEEE10hipError_tT2_T3_mT4_P12ihipStream_tbEUlT_E_NS1_11comp_targetILNS1_3genE5ELNS1_11target_archE942ELNS1_3gpuE9ELNS1_3repE0EEENS1_30default_config_static_selectorELNS0_4arch9wavefront6targetE1EEEvT1_
	.p2align	8
	.type	_ZN7rocprim17ROCPRIM_400000_NS6detail17trampoline_kernelINS0_14default_configENS1_25transform_config_selectorIsLb0EEEZNS1_14transform_implILb0ES3_S5_PsN6thrust23THRUST_200600_302600_NS6detail15normal_iteratorINS9_10device_ptrIsEEEENS0_8identityIsEEEE10hipError_tT2_T3_mT4_P12ihipStream_tbEUlT_E_NS1_11comp_targetILNS1_3genE5ELNS1_11target_archE942ELNS1_3gpuE9ELNS1_3repE0EEENS1_30default_config_static_selectorELNS0_4arch9wavefront6targetE1EEEvT1_,@function
_ZN7rocprim17ROCPRIM_400000_NS6detail17trampoline_kernelINS0_14default_configENS1_25transform_config_selectorIsLb0EEEZNS1_14transform_implILb0ES3_S5_PsN6thrust23THRUST_200600_302600_NS6detail15normal_iteratorINS9_10device_ptrIsEEEENS0_8identityIsEEEE10hipError_tT2_T3_mT4_P12ihipStream_tbEUlT_E_NS1_11comp_targetILNS1_3genE5ELNS1_11target_archE942ELNS1_3gpuE9ELNS1_3repE0EEENS1_30default_config_static_selectorELNS0_4arch9wavefront6targetE1EEEvT1_: ; @_ZN7rocprim17ROCPRIM_400000_NS6detail17trampoline_kernelINS0_14default_configENS1_25transform_config_selectorIsLb0EEEZNS1_14transform_implILb0ES3_S5_PsN6thrust23THRUST_200600_302600_NS6detail15normal_iteratorINS9_10device_ptrIsEEEENS0_8identityIsEEEE10hipError_tT2_T3_mT4_P12ihipStream_tbEUlT_E_NS1_11comp_targetILNS1_3genE5ELNS1_11target_archE942ELNS1_3gpuE9ELNS1_3repE0EEENS1_30default_config_static_selectorELNS0_4arch9wavefront6targetE1EEEvT1_
; %bb.0:
	.section	.rodata,"a",@progbits
	.p2align	6, 0x0
	.amdhsa_kernel _ZN7rocprim17ROCPRIM_400000_NS6detail17trampoline_kernelINS0_14default_configENS1_25transform_config_selectorIsLb0EEEZNS1_14transform_implILb0ES3_S5_PsN6thrust23THRUST_200600_302600_NS6detail15normal_iteratorINS9_10device_ptrIsEEEENS0_8identityIsEEEE10hipError_tT2_T3_mT4_P12ihipStream_tbEUlT_E_NS1_11comp_targetILNS1_3genE5ELNS1_11target_archE942ELNS1_3gpuE9ELNS1_3repE0EEENS1_30default_config_static_selectorELNS0_4arch9wavefront6targetE1EEEvT1_
		.amdhsa_group_segment_fixed_size 0
		.amdhsa_private_segment_fixed_size 0
		.amdhsa_kernarg_size 40
		.amdhsa_user_sgpr_count 6
		.amdhsa_user_sgpr_private_segment_buffer 1
		.amdhsa_user_sgpr_dispatch_ptr 0
		.amdhsa_user_sgpr_queue_ptr 0
		.amdhsa_user_sgpr_kernarg_segment_ptr 1
		.amdhsa_user_sgpr_dispatch_id 0
		.amdhsa_user_sgpr_flat_scratch_init 0
		.amdhsa_user_sgpr_kernarg_preload_length 0
		.amdhsa_user_sgpr_kernarg_preload_offset 0
		.amdhsa_user_sgpr_private_segment_size 0
		.amdhsa_uses_dynamic_stack 0
		.amdhsa_system_sgpr_private_segment_wavefront_offset 0
		.amdhsa_system_sgpr_workgroup_id_x 1
		.amdhsa_system_sgpr_workgroup_id_y 0
		.amdhsa_system_sgpr_workgroup_id_z 0
		.amdhsa_system_sgpr_workgroup_info 0
		.amdhsa_system_vgpr_workitem_id 0
		.amdhsa_next_free_vgpr 1
		.amdhsa_next_free_sgpr 0
		.amdhsa_accum_offset 4
		.amdhsa_reserve_vcc 0
		.amdhsa_reserve_flat_scratch 0
		.amdhsa_float_round_mode_32 0
		.amdhsa_float_round_mode_16_64 0
		.amdhsa_float_denorm_mode_32 3
		.amdhsa_float_denorm_mode_16_64 3
		.amdhsa_dx10_clamp 1
		.amdhsa_ieee_mode 1
		.amdhsa_fp16_overflow 0
		.amdhsa_tg_split 0
		.amdhsa_exception_fp_ieee_invalid_op 0
		.amdhsa_exception_fp_denorm_src 0
		.amdhsa_exception_fp_ieee_div_zero 0
		.amdhsa_exception_fp_ieee_overflow 0
		.amdhsa_exception_fp_ieee_underflow 0
		.amdhsa_exception_fp_ieee_inexact 0
		.amdhsa_exception_int_div_zero 0
	.end_amdhsa_kernel
	.section	.text._ZN7rocprim17ROCPRIM_400000_NS6detail17trampoline_kernelINS0_14default_configENS1_25transform_config_selectorIsLb0EEEZNS1_14transform_implILb0ES3_S5_PsN6thrust23THRUST_200600_302600_NS6detail15normal_iteratorINS9_10device_ptrIsEEEENS0_8identityIsEEEE10hipError_tT2_T3_mT4_P12ihipStream_tbEUlT_E_NS1_11comp_targetILNS1_3genE5ELNS1_11target_archE942ELNS1_3gpuE9ELNS1_3repE0EEENS1_30default_config_static_selectorELNS0_4arch9wavefront6targetE1EEEvT1_,"axG",@progbits,_ZN7rocprim17ROCPRIM_400000_NS6detail17trampoline_kernelINS0_14default_configENS1_25transform_config_selectorIsLb0EEEZNS1_14transform_implILb0ES3_S5_PsN6thrust23THRUST_200600_302600_NS6detail15normal_iteratorINS9_10device_ptrIsEEEENS0_8identityIsEEEE10hipError_tT2_T3_mT4_P12ihipStream_tbEUlT_E_NS1_11comp_targetILNS1_3genE5ELNS1_11target_archE942ELNS1_3gpuE9ELNS1_3repE0EEENS1_30default_config_static_selectorELNS0_4arch9wavefront6targetE1EEEvT1_,comdat
.Lfunc_end1867:
	.size	_ZN7rocprim17ROCPRIM_400000_NS6detail17trampoline_kernelINS0_14default_configENS1_25transform_config_selectorIsLb0EEEZNS1_14transform_implILb0ES3_S5_PsN6thrust23THRUST_200600_302600_NS6detail15normal_iteratorINS9_10device_ptrIsEEEENS0_8identityIsEEEE10hipError_tT2_T3_mT4_P12ihipStream_tbEUlT_E_NS1_11comp_targetILNS1_3genE5ELNS1_11target_archE942ELNS1_3gpuE9ELNS1_3repE0EEENS1_30default_config_static_selectorELNS0_4arch9wavefront6targetE1EEEvT1_, .Lfunc_end1867-_ZN7rocprim17ROCPRIM_400000_NS6detail17trampoline_kernelINS0_14default_configENS1_25transform_config_selectorIsLb0EEEZNS1_14transform_implILb0ES3_S5_PsN6thrust23THRUST_200600_302600_NS6detail15normal_iteratorINS9_10device_ptrIsEEEENS0_8identityIsEEEE10hipError_tT2_T3_mT4_P12ihipStream_tbEUlT_E_NS1_11comp_targetILNS1_3genE5ELNS1_11target_archE942ELNS1_3gpuE9ELNS1_3repE0EEENS1_30default_config_static_selectorELNS0_4arch9wavefront6targetE1EEEvT1_
                                        ; -- End function
	.section	.AMDGPU.csdata,"",@progbits
; Kernel info:
; codeLenInByte = 0
; NumSgprs: 4
; NumVgprs: 0
; NumAgprs: 0
; TotalNumVgprs: 0
; ScratchSize: 0
; MemoryBound: 0
; FloatMode: 240
; IeeeMode: 1
; LDSByteSize: 0 bytes/workgroup (compile time only)
; SGPRBlocks: 0
; VGPRBlocks: 0
; NumSGPRsForWavesPerEU: 4
; NumVGPRsForWavesPerEU: 1
; AccumOffset: 4
; Occupancy: 8
; WaveLimiterHint : 0
; COMPUTE_PGM_RSRC2:SCRATCH_EN: 0
; COMPUTE_PGM_RSRC2:USER_SGPR: 6
; COMPUTE_PGM_RSRC2:TRAP_HANDLER: 0
; COMPUTE_PGM_RSRC2:TGID_X_EN: 1
; COMPUTE_PGM_RSRC2:TGID_Y_EN: 0
; COMPUTE_PGM_RSRC2:TGID_Z_EN: 0
; COMPUTE_PGM_RSRC2:TIDIG_COMP_CNT: 0
; COMPUTE_PGM_RSRC3_GFX90A:ACCUM_OFFSET: 0
; COMPUTE_PGM_RSRC3_GFX90A:TG_SPLIT: 0
	.section	.text._ZN7rocprim17ROCPRIM_400000_NS6detail17trampoline_kernelINS0_14default_configENS1_25transform_config_selectorIsLb0EEEZNS1_14transform_implILb0ES3_S5_PsN6thrust23THRUST_200600_302600_NS6detail15normal_iteratorINS9_10device_ptrIsEEEENS0_8identityIsEEEE10hipError_tT2_T3_mT4_P12ihipStream_tbEUlT_E_NS1_11comp_targetILNS1_3genE4ELNS1_11target_archE910ELNS1_3gpuE8ELNS1_3repE0EEENS1_30default_config_static_selectorELNS0_4arch9wavefront6targetE1EEEvT1_,"axG",@progbits,_ZN7rocprim17ROCPRIM_400000_NS6detail17trampoline_kernelINS0_14default_configENS1_25transform_config_selectorIsLb0EEEZNS1_14transform_implILb0ES3_S5_PsN6thrust23THRUST_200600_302600_NS6detail15normal_iteratorINS9_10device_ptrIsEEEENS0_8identityIsEEEE10hipError_tT2_T3_mT4_P12ihipStream_tbEUlT_E_NS1_11comp_targetILNS1_3genE4ELNS1_11target_archE910ELNS1_3gpuE8ELNS1_3repE0EEENS1_30default_config_static_selectorELNS0_4arch9wavefront6targetE1EEEvT1_,comdat
	.protected	_ZN7rocprim17ROCPRIM_400000_NS6detail17trampoline_kernelINS0_14default_configENS1_25transform_config_selectorIsLb0EEEZNS1_14transform_implILb0ES3_S5_PsN6thrust23THRUST_200600_302600_NS6detail15normal_iteratorINS9_10device_ptrIsEEEENS0_8identityIsEEEE10hipError_tT2_T3_mT4_P12ihipStream_tbEUlT_E_NS1_11comp_targetILNS1_3genE4ELNS1_11target_archE910ELNS1_3gpuE8ELNS1_3repE0EEENS1_30default_config_static_selectorELNS0_4arch9wavefront6targetE1EEEvT1_ ; -- Begin function _ZN7rocprim17ROCPRIM_400000_NS6detail17trampoline_kernelINS0_14default_configENS1_25transform_config_selectorIsLb0EEEZNS1_14transform_implILb0ES3_S5_PsN6thrust23THRUST_200600_302600_NS6detail15normal_iteratorINS9_10device_ptrIsEEEENS0_8identityIsEEEE10hipError_tT2_T3_mT4_P12ihipStream_tbEUlT_E_NS1_11comp_targetILNS1_3genE4ELNS1_11target_archE910ELNS1_3gpuE8ELNS1_3repE0EEENS1_30default_config_static_selectorELNS0_4arch9wavefront6targetE1EEEvT1_
	.globl	_ZN7rocprim17ROCPRIM_400000_NS6detail17trampoline_kernelINS0_14default_configENS1_25transform_config_selectorIsLb0EEEZNS1_14transform_implILb0ES3_S5_PsN6thrust23THRUST_200600_302600_NS6detail15normal_iteratorINS9_10device_ptrIsEEEENS0_8identityIsEEEE10hipError_tT2_T3_mT4_P12ihipStream_tbEUlT_E_NS1_11comp_targetILNS1_3genE4ELNS1_11target_archE910ELNS1_3gpuE8ELNS1_3repE0EEENS1_30default_config_static_selectorELNS0_4arch9wavefront6targetE1EEEvT1_
	.p2align	8
	.type	_ZN7rocprim17ROCPRIM_400000_NS6detail17trampoline_kernelINS0_14default_configENS1_25transform_config_selectorIsLb0EEEZNS1_14transform_implILb0ES3_S5_PsN6thrust23THRUST_200600_302600_NS6detail15normal_iteratorINS9_10device_ptrIsEEEENS0_8identityIsEEEE10hipError_tT2_T3_mT4_P12ihipStream_tbEUlT_E_NS1_11comp_targetILNS1_3genE4ELNS1_11target_archE910ELNS1_3gpuE8ELNS1_3repE0EEENS1_30default_config_static_selectorELNS0_4arch9wavefront6targetE1EEEvT1_,@function
_ZN7rocprim17ROCPRIM_400000_NS6detail17trampoline_kernelINS0_14default_configENS1_25transform_config_selectorIsLb0EEEZNS1_14transform_implILb0ES3_S5_PsN6thrust23THRUST_200600_302600_NS6detail15normal_iteratorINS9_10device_ptrIsEEEENS0_8identityIsEEEE10hipError_tT2_T3_mT4_P12ihipStream_tbEUlT_E_NS1_11comp_targetILNS1_3genE4ELNS1_11target_archE910ELNS1_3gpuE8ELNS1_3repE0EEENS1_30default_config_static_selectorELNS0_4arch9wavefront6targetE1EEEvT1_: ; @_ZN7rocprim17ROCPRIM_400000_NS6detail17trampoline_kernelINS0_14default_configENS1_25transform_config_selectorIsLb0EEEZNS1_14transform_implILb0ES3_S5_PsN6thrust23THRUST_200600_302600_NS6detail15normal_iteratorINS9_10device_ptrIsEEEENS0_8identityIsEEEE10hipError_tT2_T3_mT4_P12ihipStream_tbEUlT_E_NS1_11comp_targetILNS1_3genE4ELNS1_11target_archE910ELNS1_3gpuE8ELNS1_3repE0EEENS1_30default_config_static_selectorELNS0_4arch9wavefront6targetE1EEEvT1_
; %bb.0:
	s_load_dwordx8 s[8:15], s[4:5], 0x0
	s_load_dword s2, s[4:5], 0x28
	v_lshlrev_b32_e32 v8, 1, v0
	s_waitcnt lgkmcnt(0)
	s_lshl_b64 s[0:1], s[10:11], 1
	s_add_u32 s3, s8, s0
	s_addc_u32 s4, s9, s1
	s_add_u32 s22, s14, s0
	s_addc_u32 s23, s15, s1
	s_lshl_b32 s0, s6, 9
	s_mov_b32 s1, 0
	s_add_i32 s2, s2, -1
	s_lshl_b64 s[18:19], s[0:1], 1
	s_add_u32 s20, s3, s18
	s_addc_u32 s21, s4, s19
	s_cmp_lg_u32 s6, s2
	s_cbranch_scc0 .LBB1868_2
; %bb.1:
	global_load_ushort v2, v8, s[20:21]
	global_load_ushort v3, v8, s[20:21] offset:128
	global_load_ushort v4, v8, s[20:21] offset:256
	;; [unrolled: 1-line block ×7, first 2 shown]
	s_add_u32 s1, s22, s18
	s_addc_u32 s4, s23, s19
	v_mov_b32_e32 v7, s4
	v_add_co_u32_e32 v6, vcc, s1, v8
	v_addc_co_u32_e32 v7, vcc, 0, v7, vcc
	s_mov_b64 s[16:17], -1
	s_waitcnt vmcnt(7)
	flat_store_short v[6:7], v2
	s_waitcnt vmcnt(0)
	flat_store_short v[6:7], v3 offset:128
	flat_store_short v[6:7], v4 offset:256
	;; [unrolled: 1-line block ×6, first 2 shown]
	s_cbranch_execz .LBB1868_3
	s_branch .LBB1868_34
.LBB1868_2:
	s_mov_b64 s[16:17], 0
                                        ; implicit-def: $vgpr1
                                        ; implicit-def: $vgpr6_vgpr7
.LBB1868_3:
	s_sub_i32 s14, s12, s0
	v_cmp_gt_u32_e32 vcc, s14, v0
                                        ; implicit-def: $vgpr2_vgpr3_vgpr4_vgpr5
	s_and_saveexec_b64 s[0:1], vcc
	s_cbranch_execz .LBB1868_5
; %bb.4:
	global_load_ushort v2, v8, s[20:21]
.LBB1868_5:
	s_or_b64 exec, exec, s[0:1]
	v_or_b32_e32 v1, 64, v0
	v_cmp_gt_u32_e64 s[0:1], s14, v1
	s_and_saveexec_b64 s[2:3], s[0:1]
	s_cbranch_execz .LBB1868_7
; %bb.6:
	global_load_ushort v1, v8, s[20:21] offset:128
	s_mov_b32 s4, 0x5040100
	s_waitcnt vmcnt(0)
	v_perm_b32 v2, v1, v2, s4
.LBB1868_7:
	s_or_b64 exec, exec, s[2:3]
	v_or_b32_e32 v1, 0x80, v0
	v_cmp_gt_u32_e64 s[2:3], s14, v1
	s_and_saveexec_b64 s[4:5], s[2:3]
	s_cbranch_execz .LBB1868_9
; %bb.8:
	global_load_ushort v1, v8, s[20:21] offset:256
	s_mov_b32 s6, 0xffff
	s_waitcnt vmcnt(0)
	v_bfi_b32 v3, s6, v1, v3
.LBB1868_9:
	s_or_b64 exec, exec, s[4:5]
	v_or_b32_e32 v1, 0xc0, v0
	v_cmp_gt_u32_e64 s[4:5], s14, v1
	s_and_saveexec_b64 s[6:7], s[4:5]
	s_cbranch_execz .LBB1868_11
; %bb.10:
	global_load_ushort v1, v8, s[20:21] offset:384
	s_mov_b32 s8, 0x5040100
	s_waitcnt vmcnt(0)
	v_perm_b32 v3, v1, v3, s8
.LBB1868_11:
	s_or_b64 exec, exec, s[6:7]
	v_or_b32_e32 v1, 0x100, v0
	v_cmp_gt_u32_e64 s[6:7], s14, v1
	s_and_saveexec_b64 s[8:9], s[6:7]
	s_cbranch_execz .LBB1868_13
; %bb.12:
	global_load_ushort v1, v8, s[20:21] offset:512
	s_mov_b32 s10, 0xffff
	s_waitcnt vmcnt(0)
	v_bfi_b32 v4, s10, v1, v4
.LBB1868_13:
	;; [unrolled: 22-line block ×3, first 2 shown]
	s_or_b64 exec, exec, s[12:13]
	v_or_b32_e32 v1, 0x1c0, v0
	v_cmp_gt_u32_e64 s[12:13], s14, v1
	v_cmp_le_u32_e64 s[14:15], s14, v1
	s_and_saveexec_b64 s[24:25], s[14:15]
	s_xor_b64 s[14:15], exec, s[24:25]
; %bb.18:
	v_mov_b32_e32 v1, 0
                                        ; implicit-def: $vgpr8
; %bb.19:
	s_andn2_saveexec_b64 s[14:15], s[14:15]
	s_cbranch_execz .LBB1868_21
; %bb.20:
	global_load_ushort v6, v8, s[20:21] offset:896
	s_mov_b32 s20, 0x5040100
	v_mov_b32_e32 v1, 0
	s_waitcnt vmcnt(0)
	v_perm_b32 v5, v6, v5, s20
.LBB1868_21:
	s_or_b64 exec, exec, s[14:15]
	s_add_u32 s14, s22, s18
	s_addc_u32 s15, s23, s19
	v_lshlrev_b64 v[0:1], 1, v[0:1]
	v_mov_b32_e32 v7, s15
	v_add_co_u32_e64 v6, s[14:15], s14, v0
	v_addc_co_u32_e64 v7, s[14:15], v7, v1, s[14:15]
	s_and_saveexec_b64 s[14:15], vcc
	s_cbranch_execnz .LBB1868_37
; %bb.22:
	s_or_b64 exec, exec, s[14:15]
	s_and_saveexec_b64 s[14:15], s[0:1]
	s_cbranch_execnz .LBB1868_38
.LBB1868_23:
	s_or_b64 exec, exec, s[14:15]
	s_mov_b32 s14, 0xffff
	s_and_saveexec_b64 s[0:1], s[2:3]
	s_cbranch_execz .LBB1868_25
.LBB1868_24:
	flat_store_short v[6:7], v3 offset:256
.LBB1868_25:
	s_or_b64 exec, exec, s[0:1]
	v_bfi_b32 v0, s14, v3, v3
	v_cndmask_b32_e64 v0, v0, v3, s[4:5]
	s_and_saveexec_b64 s[0:1], s[4:5]
	s_cbranch_execz .LBB1868_27
; %bb.26:
	flat_store_short_d16_hi v[6:7], v0 offset:384
.LBB1868_27:
	s_or_b64 exec, exec, s[0:1]
	s_mov_b32 s2, 0xffff
	v_cndmask_b32_e64 v0, v4, v4, s[6:7]
	s_and_saveexec_b64 s[0:1], s[6:7]
	s_cbranch_execz .LBB1868_29
; %bb.28:
	flat_store_short v[6:7], v0 offset:512
.LBB1868_29:
	s_or_b64 exec, exec, s[0:1]
	v_bfi_b32 v0, s2, v0, v4
	v_cndmask_b32_e64 v0, v0, v4, s[8:9]
	s_and_saveexec_b64 s[0:1], s[8:9]
	s_cbranch_execnz .LBB1868_39
; %bb.30:
	s_or_b64 exec, exec, s[0:1]
	s_and_saveexec_b64 s[0:1], s[10:11]
	s_cbranch_execnz .LBB1868_40
.LBB1868_31:
	s_or_b64 exec, exec, s[0:1]
                                        ; implicit-def: $vgpr1
	s_and_saveexec_b64 s[0:1], s[12:13]
.LBB1868_32:
	v_cndmask_b32_e64 v0, v5, v5, s[12:13]
	v_lshrrev_b32_e32 v1, 16, v0
	s_or_b64 s[16:17], s[16:17], exec
.LBB1868_33:
	s_or_b64 exec, exec, s[0:1]
.LBB1868_34:
	s_and_saveexec_b64 s[0:1], s[16:17]
	s_cbranch_execnz .LBB1868_36
; %bb.35:
	s_endpgm
.LBB1868_36:
	flat_store_short v[6:7], v1 offset:896
	s_endpgm
.LBB1868_37:
	s_waitcnt vmcnt(0)
	flat_store_short v[6:7], v2
	s_or_b64 exec, exec, s[14:15]
	s_and_saveexec_b64 s[14:15], s[0:1]
	s_cbranch_execz .LBB1868_23
.LBB1868_38:
	s_waitcnt vmcnt(0)
	flat_store_short_d16_hi v[6:7], v2 offset:128
	s_or_b64 exec, exec, s[14:15]
	s_mov_b32 s14, 0xffff
	s_and_saveexec_b64 s[0:1], s[2:3]
	s_cbranch_execnz .LBB1868_24
	s_branch .LBB1868_25
.LBB1868_39:
	flat_store_short_d16_hi v[6:7], v0 offset:640
	s_or_b64 exec, exec, s[0:1]
	s_and_saveexec_b64 s[0:1], s[10:11]
	s_cbranch_execz .LBB1868_31
.LBB1868_40:
	v_cndmask_b32_e64 v0, v5, v5, s[10:11]
	flat_store_short v[6:7], v0 offset:768
	s_or_b64 exec, exec, s[0:1]
                                        ; implicit-def: $vgpr1
	s_and_saveexec_b64 s[0:1], s[12:13]
	s_cbranch_execnz .LBB1868_32
	s_branch .LBB1868_33
	.section	.rodata,"a",@progbits
	.p2align	6, 0x0
	.amdhsa_kernel _ZN7rocprim17ROCPRIM_400000_NS6detail17trampoline_kernelINS0_14default_configENS1_25transform_config_selectorIsLb0EEEZNS1_14transform_implILb0ES3_S5_PsN6thrust23THRUST_200600_302600_NS6detail15normal_iteratorINS9_10device_ptrIsEEEENS0_8identityIsEEEE10hipError_tT2_T3_mT4_P12ihipStream_tbEUlT_E_NS1_11comp_targetILNS1_3genE4ELNS1_11target_archE910ELNS1_3gpuE8ELNS1_3repE0EEENS1_30default_config_static_selectorELNS0_4arch9wavefront6targetE1EEEvT1_
		.amdhsa_group_segment_fixed_size 0
		.amdhsa_private_segment_fixed_size 0
		.amdhsa_kernarg_size 296
		.amdhsa_user_sgpr_count 6
		.amdhsa_user_sgpr_private_segment_buffer 1
		.amdhsa_user_sgpr_dispatch_ptr 0
		.amdhsa_user_sgpr_queue_ptr 0
		.amdhsa_user_sgpr_kernarg_segment_ptr 1
		.amdhsa_user_sgpr_dispatch_id 0
		.amdhsa_user_sgpr_flat_scratch_init 0
		.amdhsa_user_sgpr_kernarg_preload_length 0
		.amdhsa_user_sgpr_kernarg_preload_offset 0
		.amdhsa_user_sgpr_private_segment_size 0
		.amdhsa_uses_dynamic_stack 0
		.amdhsa_system_sgpr_private_segment_wavefront_offset 0
		.amdhsa_system_sgpr_workgroup_id_x 1
		.amdhsa_system_sgpr_workgroup_id_y 0
		.amdhsa_system_sgpr_workgroup_id_z 0
		.amdhsa_system_sgpr_workgroup_info 0
		.amdhsa_system_vgpr_workitem_id 0
		.amdhsa_next_free_vgpr 12
		.amdhsa_next_free_sgpr 26
		.amdhsa_accum_offset 12
		.amdhsa_reserve_vcc 1
		.amdhsa_reserve_flat_scratch 0
		.amdhsa_float_round_mode_32 0
		.amdhsa_float_round_mode_16_64 0
		.amdhsa_float_denorm_mode_32 3
		.amdhsa_float_denorm_mode_16_64 3
		.amdhsa_dx10_clamp 1
		.amdhsa_ieee_mode 1
		.amdhsa_fp16_overflow 0
		.amdhsa_tg_split 0
		.amdhsa_exception_fp_ieee_invalid_op 0
		.amdhsa_exception_fp_denorm_src 0
		.amdhsa_exception_fp_ieee_div_zero 0
		.amdhsa_exception_fp_ieee_overflow 0
		.amdhsa_exception_fp_ieee_underflow 0
		.amdhsa_exception_fp_ieee_inexact 0
		.amdhsa_exception_int_div_zero 0
	.end_amdhsa_kernel
	.section	.text._ZN7rocprim17ROCPRIM_400000_NS6detail17trampoline_kernelINS0_14default_configENS1_25transform_config_selectorIsLb0EEEZNS1_14transform_implILb0ES3_S5_PsN6thrust23THRUST_200600_302600_NS6detail15normal_iteratorINS9_10device_ptrIsEEEENS0_8identityIsEEEE10hipError_tT2_T3_mT4_P12ihipStream_tbEUlT_E_NS1_11comp_targetILNS1_3genE4ELNS1_11target_archE910ELNS1_3gpuE8ELNS1_3repE0EEENS1_30default_config_static_selectorELNS0_4arch9wavefront6targetE1EEEvT1_,"axG",@progbits,_ZN7rocprim17ROCPRIM_400000_NS6detail17trampoline_kernelINS0_14default_configENS1_25transform_config_selectorIsLb0EEEZNS1_14transform_implILb0ES3_S5_PsN6thrust23THRUST_200600_302600_NS6detail15normal_iteratorINS9_10device_ptrIsEEEENS0_8identityIsEEEE10hipError_tT2_T3_mT4_P12ihipStream_tbEUlT_E_NS1_11comp_targetILNS1_3genE4ELNS1_11target_archE910ELNS1_3gpuE8ELNS1_3repE0EEENS1_30default_config_static_selectorELNS0_4arch9wavefront6targetE1EEEvT1_,comdat
.Lfunc_end1868:
	.size	_ZN7rocprim17ROCPRIM_400000_NS6detail17trampoline_kernelINS0_14default_configENS1_25transform_config_selectorIsLb0EEEZNS1_14transform_implILb0ES3_S5_PsN6thrust23THRUST_200600_302600_NS6detail15normal_iteratorINS9_10device_ptrIsEEEENS0_8identityIsEEEE10hipError_tT2_T3_mT4_P12ihipStream_tbEUlT_E_NS1_11comp_targetILNS1_3genE4ELNS1_11target_archE910ELNS1_3gpuE8ELNS1_3repE0EEENS1_30default_config_static_selectorELNS0_4arch9wavefront6targetE1EEEvT1_, .Lfunc_end1868-_ZN7rocprim17ROCPRIM_400000_NS6detail17trampoline_kernelINS0_14default_configENS1_25transform_config_selectorIsLb0EEEZNS1_14transform_implILb0ES3_S5_PsN6thrust23THRUST_200600_302600_NS6detail15normal_iteratorINS9_10device_ptrIsEEEENS0_8identityIsEEEE10hipError_tT2_T3_mT4_P12ihipStream_tbEUlT_E_NS1_11comp_targetILNS1_3genE4ELNS1_11target_archE910ELNS1_3gpuE8ELNS1_3repE0EEENS1_30default_config_static_selectorELNS0_4arch9wavefront6targetE1EEEvT1_
                                        ; -- End function
	.section	.AMDGPU.csdata,"",@progbits
; Kernel info:
; codeLenInByte = 1040
; NumSgprs: 30
; NumVgprs: 12
; NumAgprs: 0
; TotalNumVgprs: 12
; ScratchSize: 0
; MemoryBound: 0
; FloatMode: 240
; IeeeMode: 1
; LDSByteSize: 0 bytes/workgroup (compile time only)
; SGPRBlocks: 3
; VGPRBlocks: 1
; NumSGPRsForWavesPerEU: 30
; NumVGPRsForWavesPerEU: 12
; AccumOffset: 12
; Occupancy: 8
; WaveLimiterHint : 1
; COMPUTE_PGM_RSRC2:SCRATCH_EN: 0
; COMPUTE_PGM_RSRC2:USER_SGPR: 6
; COMPUTE_PGM_RSRC2:TRAP_HANDLER: 0
; COMPUTE_PGM_RSRC2:TGID_X_EN: 1
; COMPUTE_PGM_RSRC2:TGID_Y_EN: 0
; COMPUTE_PGM_RSRC2:TGID_Z_EN: 0
; COMPUTE_PGM_RSRC2:TIDIG_COMP_CNT: 0
; COMPUTE_PGM_RSRC3_GFX90A:ACCUM_OFFSET: 2
; COMPUTE_PGM_RSRC3_GFX90A:TG_SPLIT: 0
	.section	.text._ZN7rocprim17ROCPRIM_400000_NS6detail17trampoline_kernelINS0_14default_configENS1_25transform_config_selectorIsLb0EEEZNS1_14transform_implILb0ES3_S5_PsN6thrust23THRUST_200600_302600_NS6detail15normal_iteratorINS9_10device_ptrIsEEEENS0_8identityIsEEEE10hipError_tT2_T3_mT4_P12ihipStream_tbEUlT_E_NS1_11comp_targetILNS1_3genE3ELNS1_11target_archE908ELNS1_3gpuE7ELNS1_3repE0EEENS1_30default_config_static_selectorELNS0_4arch9wavefront6targetE1EEEvT1_,"axG",@progbits,_ZN7rocprim17ROCPRIM_400000_NS6detail17trampoline_kernelINS0_14default_configENS1_25transform_config_selectorIsLb0EEEZNS1_14transform_implILb0ES3_S5_PsN6thrust23THRUST_200600_302600_NS6detail15normal_iteratorINS9_10device_ptrIsEEEENS0_8identityIsEEEE10hipError_tT2_T3_mT4_P12ihipStream_tbEUlT_E_NS1_11comp_targetILNS1_3genE3ELNS1_11target_archE908ELNS1_3gpuE7ELNS1_3repE0EEENS1_30default_config_static_selectorELNS0_4arch9wavefront6targetE1EEEvT1_,comdat
	.protected	_ZN7rocprim17ROCPRIM_400000_NS6detail17trampoline_kernelINS0_14default_configENS1_25transform_config_selectorIsLb0EEEZNS1_14transform_implILb0ES3_S5_PsN6thrust23THRUST_200600_302600_NS6detail15normal_iteratorINS9_10device_ptrIsEEEENS0_8identityIsEEEE10hipError_tT2_T3_mT4_P12ihipStream_tbEUlT_E_NS1_11comp_targetILNS1_3genE3ELNS1_11target_archE908ELNS1_3gpuE7ELNS1_3repE0EEENS1_30default_config_static_selectorELNS0_4arch9wavefront6targetE1EEEvT1_ ; -- Begin function _ZN7rocprim17ROCPRIM_400000_NS6detail17trampoline_kernelINS0_14default_configENS1_25transform_config_selectorIsLb0EEEZNS1_14transform_implILb0ES3_S5_PsN6thrust23THRUST_200600_302600_NS6detail15normal_iteratorINS9_10device_ptrIsEEEENS0_8identityIsEEEE10hipError_tT2_T3_mT4_P12ihipStream_tbEUlT_E_NS1_11comp_targetILNS1_3genE3ELNS1_11target_archE908ELNS1_3gpuE7ELNS1_3repE0EEENS1_30default_config_static_selectorELNS0_4arch9wavefront6targetE1EEEvT1_
	.globl	_ZN7rocprim17ROCPRIM_400000_NS6detail17trampoline_kernelINS0_14default_configENS1_25transform_config_selectorIsLb0EEEZNS1_14transform_implILb0ES3_S5_PsN6thrust23THRUST_200600_302600_NS6detail15normal_iteratorINS9_10device_ptrIsEEEENS0_8identityIsEEEE10hipError_tT2_T3_mT4_P12ihipStream_tbEUlT_E_NS1_11comp_targetILNS1_3genE3ELNS1_11target_archE908ELNS1_3gpuE7ELNS1_3repE0EEENS1_30default_config_static_selectorELNS0_4arch9wavefront6targetE1EEEvT1_
	.p2align	8
	.type	_ZN7rocprim17ROCPRIM_400000_NS6detail17trampoline_kernelINS0_14default_configENS1_25transform_config_selectorIsLb0EEEZNS1_14transform_implILb0ES3_S5_PsN6thrust23THRUST_200600_302600_NS6detail15normal_iteratorINS9_10device_ptrIsEEEENS0_8identityIsEEEE10hipError_tT2_T3_mT4_P12ihipStream_tbEUlT_E_NS1_11comp_targetILNS1_3genE3ELNS1_11target_archE908ELNS1_3gpuE7ELNS1_3repE0EEENS1_30default_config_static_selectorELNS0_4arch9wavefront6targetE1EEEvT1_,@function
_ZN7rocprim17ROCPRIM_400000_NS6detail17trampoline_kernelINS0_14default_configENS1_25transform_config_selectorIsLb0EEEZNS1_14transform_implILb0ES3_S5_PsN6thrust23THRUST_200600_302600_NS6detail15normal_iteratorINS9_10device_ptrIsEEEENS0_8identityIsEEEE10hipError_tT2_T3_mT4_P12ihipStream_tbEUlT_E_NS1_11comp_targetILNS1_3genE3ELNS1_11target_archE908ELNS1_3gpuE7ELNS1_3repE0EEENS1_30default_config_static_selectorELNS0_4arch9wavefront6targetE1EEEvT1_: ; @_ZN7rocprim17ROCPRIM_400000_NS6detail17trampoline_kernelINS0_14default_configENS1_25transform_config_selectorIsLb0EEEZNS1_14transform_implILb0ES3_S5_PsN6thrust23THRUST_200600_302600_NS6detail15normal_iteratorINS9_10device_ptrIsEEEENS0_8identityIsEEEE10hipError_tT2_T3_mT4_P12ihipStream_tbEUlT_E_NS1_11comp_targetILNS1_3genE3ELNS1_11target_archE908ELNS1_3gpuE7ELNS1_3repE0EEENS1_30default_config_static_selectorELNS0_4arch9wavefront6targetE1EEEvT1_
; %bb.0:
	.section	.rodata,"a",@progbits
	.p2align	6, 0x0
	.amdhsa_kernel _ZN7rocprim17ROCPRIM_400000_NS6detail17trampoline_kernelINS0_14default_configENS1_25transform_config_selectorIsLb0EEEZNS1_14transform_implILb0ES3_S5_PsN6thrust23THRUST_200600_302600_NS6detail15normal_iteratorINS9_10device_ptrIsEEEENS0_8identityIsEEEE10hipError_tT2_T3_mT4_P12ihipStream_tbEUlT_E_NS1_11comp_targetILNS1_3genE3ELNS1_11target_archE908ELNS1_3gpuE7ELNS1_3repE0EEENS1_30default_config_static_selectorELNS0_4arch9wavefront6targetE1EEEvT1_
		.amdhsa_group_segment_fixed_size 0
		.amdhsa_private_segment_fixed_size 0
		.amdhsa_kernarg_size 40
		.amdhsa_user_sgpr_count 6
		.amdhsa_user_sgpr_private_segment_buffer 1
		.amdhsa_user_sgpr_dispatch_ptr 0
		.amdhsa_user_sgpr_queue_ptr 0
		.amdhsa_user_sgpr_kernarg_segment_ptr 1
		.amdhsa_user_sgpr_dispatch_id 0
		.amdhsa_user_sgpr_flat_scratch_init 0
		.amdhsa_user_sgpr_kernarg_preload_length 0
		.amdhsa_user_sgpr_kernarg_preload_offset 0
		.amdhsa_user_sgpr_private_segment_size 0
		.amdhsa_uses_dynamic_stack 0
		.amdhsa_system_sgpr_private_segment_wavefront_offset 0
		.amdhsa_system_sgpr_workgroup_id_x 1
		.amdhsa_system_sgpr_workgroup_id_y 0
		.amdhsa_system_sgpr_workgroup_id_z 0
		.amdhsa_system_sgpr_workgroup_info 0
		.amdhsa_system_vgpr_workitem_id 0
		.amdhsa_next_free_vgpr 1
		.amdhsa_next_free_sgpr 0
		.amdhsa_accum_offset 4
		.amdhsa_reserve_vcc 0
		.amdhsa_reserve_flat_scratch 0
		.amdhsa_float_round_mode_32 0
		.amdhsa_float_round_mode_16_64 0
		.amdhsa_float_denorm_mode_32 3
		.amdhsa_float_denorm_mode_16_64 3
		.amdhsa_dx10_clamp 1
		.amdhsa_ieee_mode 1
		.amdhsa_fp16_overflow 0
		.amdhsa_tg_split 0
		.amdhsa_exception_fp_ieee_invalid_op 0
		.amdhsa_exception_fp_denorm_src 0
		.amdhsa_exception_fp_ieee_div_zero 0
		.amdhsa_exception_fp_ieee_overflow 0
		.amdhsa_exception_fp_ieee_underflow 0
		.amdhsa_exception_fp_ieee_inexact 0
		.amdhsa_exception_int_div_zero 0
	.end_amdhsa_kernel
	.section	.text._ZN7rocprim17ROCPRIM_400000_NS6detail17trampoline_kernelINS0_14default_configENS1_25transform_config_selectorIsLb0EEEZNS1_14transform_implILb0ES3_S5_PsN6thrust23THRUST_200600_302600_NS6detail15normal_iteratorINS9_10device_ptrIsEEEENS0_8identityIsEEEE10hipError_tT2_T3_mT4_P12ihipStream_tbEUlT_E_NS1_11comp_targetILNS1_3genE3ELNS1_11target_archE908ELNS1_3gpuE7ELNS1_3repE0EEENS1_30default_config_static_selectorELNS0_4arch9wavefront6targetE1EEEvT1_,"axG",@progbits,_ZN7rocprim17ROCPRIM_400000_NS6detail17trampoline_kernelINS0_14default_configENS1_25transform_config_selectorIsLb0EEEZNS1_14transform_implILb0ES3_S5_PsN6thrust23THRUST_200600_302600_NS6detail15normal_iteratorINS9_10device_ptrIsEEEENS0_8identityIsEEEE10hipError_tT2_T3_mT4_P12ihipStream_tbEUlT_E_NS1_11comp_targetILNS1_3genE3ELNS1_11target_archE908ELNS1_3gpuE7ELNS1_3repE0EEENS1_30default_config_static_selectorELNS0_4arch9wavefront6targetE1EEEvT1_,comdat
.Lfunc_end1869:
	.size	_ZN7rocprim17ROCPRIM_400000_NS6detail17trampoline_kernelINS0_14default_configENS1_25transform_config_selectorIsLb0EEEZNS1_14transform_implILb0ES3_S5_PsN6thrust23THRUST_200600_302600_NS6detail15normal_iteratorINS9_10device_ptrIsEEEENS0_8identityIsEEEE10hipError_tT2_T3_mT4_P12ihipStream_tbEUlT_E_NS1_11comp_targetILNS1_3genE3ELNS1_11target_archE908ELNS1_3gpuE7ELNS1_3repE0EEENS1_30default_config_static_selectorELNS0_4arch9wavefront6targetE1EEEvT1_, .Lfunc_end1869-_ZN7rocprim17ROCPRIM_400000_NS6detail17trampoline_kernelINS0_14default_configENS1_25transform_config_selectorIsLb0EEEZNS1_14transform_implILb0ES3_S5_PsN6thrust23THRUST_200600_302600_NS6detail15normal_iteratorINS9_10device_ptrIsEEEENS0_8identityIsEEEE10hipError_tT2_T3_mT4_P12ihipStream_tbEUlT_E_NS1_11comp_targetILNS1_3genE3ELNS1_11target_archE908ELNS1_3gpuE7ELNS1_3repE0EEENS1_30default_config_static_selectorELNS0_4arch9wavefront6targetE1EEEvT1_
                                        ; -- End function
	.section	.AMDGPU.csdata,"",@progbits
; Kernel info:
; codeLenInByte = 0
; NumSgprs: 4
; NumVgprs: 0
; NumAgprs: 0
; TotalNumVgprs: 0
; ScratchSize: 0
; MemoryBound: 0
; FloatMode: 240
; IeeeMode: 1
; LDSByteSize: 0 bytes/workgroup (compile time only)
; SGPRBlocks: 0
; VGPRBlocks: 0
; NumSGPRsForWavesPerEU: 4
; NumVGPRsForWavesPerEU: 1
; AccumOffset: 4
; Occupancy: 8
; WaveLimiterHint : 0
; COMPUTE_PGM_RSRC2:SCRATCH_EN: 0
; COMPUTE_PGM_RSRC2:USER_SGPR: 6
; COMPUTE_PGM_RSRC2:TRAP_HANDLER: 0
; COMPUTE_PGM_RSRC2:TGID_X_EN: 1
; COMPUTE_PGM_RSRC2:TGID_Y_EN: 0
; COMPUTE_PGM_RSRC2:TGID_Z_EN: 0
; COMPUTE_PGM_RSRC2:TIDIG_COMP_CNT: 0
; COMPUTE_PGM_RSRC3_GFX90A:ACCUM_OFFSET: 0
; COMPUTE_PGM_RSRC3_GFX90A:TG_SPLIT: 0
	.section	.text._ZN7rocprim17ROCPRIM_400000_NS6detail17trampoline_kernelINS0_14default_configENS1_25transform_config_selectorIsLb0EEEZNS1_14transform_implILb0ES3_S5_PsN6thrust23THRUST_200600_302600_NS6detail15normal_iteratorINS9_10device_ptrIsEEEENS0_8identityIsEEEE10hipError_tT2_T3_mT4_P12ihipStream_tbEUlT_E_NS1_11comp_targetILNS1_3genE2ELNS1_11target_archE906ELNS1_3gpuE6ELNS1_3repE0EEENS1_30default_config_static_selectorELNS0_4arch9wavefront6targetE1EEEvT1_,"axG",@progbits,_ZN7rocprim17ROCPRIM_400000_NS6detail17trampoline_kernelINS0_14default_configENS1_25transform_config_selectorIsLb0EEEZNS1_14transform_implILb0ES3_S5_PsN6thrust23THRUST_200600_302600_NS6detail15normal_iteratorINS9_10device_ptrIsEEEENS0_8identityIsEEEE10hipError_tT2_T3_mT4_P12ihipStream_tbEUlT_E_NS1_11comp_targetILNS1_3genE2ELNS1_11target_archE906ELNS1_3gpuE6ELNS1_3repE0EEENS1_30default_config_static_selectorELNS0_4arch9wavefront6targetE1EEEvT1_,comdat
	.protected	_ZN7rocprim17ROCPRIM_400000_NS6detail17trampoline_kernelINS0_14default_configENS1_25transform_config_selectorIsLb0EEEZNS1_14transform_implILb0ES3_S5_PsN6thrust23THRUST_200600_302600_NS6detail15normal_iteratorINS9_10device_ptrIsEEEENS0_8identityIsEEEE10hipError_tT2_T3_mT4_P12ihipStream_tbEUlT_E_NS1_11comp_targetILNS1_3genE2ELNS1_11target_archE906ELNS1_3gpuE6ELNS1_3repE0EEENS1_30default_config_static_selectorELNS0_4arch9wavefront6targetE1EEEvT1_ ; -- Begin function _ZN7rocprim17ROCPRIM_400000_NS6detail17trampoline_kernelINS0_14default_configENS1_25transform_config_selectorIsLb0EEEZNS1_14transform_implILb0ES3_S5_PsN6thrust23THRUST_200600_302600_NS6detail15normal_iteratorINS9_10device_ptrIsEEEENS0_8identityIsEEEE10hipError_tT2_T3_mT4_P12ihipStream_tbEUlT_E_NS1_11comp_targetILNS1_3genE2ELNS1_11target_archE906ELNS1_3gpuE6ELNS1_3repE0EEENS1_30default_config_static_selectorELNS0_4arch9wavefront6targetE1EEEvT1_
	.globl	_ZN7rocprim17ROCPRIM_400000_NS6detail17trampoline_kernelINS0_14default_configENS1_25transform_config_selectorIsLb0EEEZNS1_14transform_implILb0ES3_S5_PsN6thrust23THRUST_200600_302600_NS6detail15normal_iteratorINS9_10device_ptrIsEEEENS0_8identityIsEEEE10hipError_tT2_T3_mT4_P12ihipStream_tbEUlT_E_NS1_11comp_targetILNS1_3genE2ELNS1_11target_archE906ELNS1_3gpuE6ELNS1_3repE0EEENS1_30default_config_static_selectorELNS0_4arch9wavefront6targetE1EEEvT1_
	.p2align	8
	.type	_ZN7rocprim17ROCPRIM_400000_NS6detail17trampoline_kernelINS0_14default_configENS1_25transform_config_selectorIsLb0EEEZNS1_14transform_implILb0ES3_S5_PsN6thrust23THRUST_200600_302600_NS6detail15normal_iteratorINS9_10device_ptrIsEEEENS0_8identityIsEEEE10hipError_tT2_T3_mT4_P12ihipStream_tbEUlT_E_NS1_11comp_targetILNS1_3genE2ELNS1_11target_archE906ELNS1_3gpuE6ELNS1_3repE0EEENS1_30default_config_static_selectorELNS0_4arch9wavefront6targetE1EEEvT1_,@function
_ZN7rocprim17ROCPRIM_400000_NS6detail17trampoline_kernelINS0_14default_configENS1_25transform_config_selectorIsLb0EEEZNS1_14transform_implILb0ES3_S5_PsN6thrust23THRUST_200600_302600_NS6detail15normal_iteratorINS9_10device_ptrIsEEEENS0_8identityIsEEEE10hipError_tT2_T3_mT4_P12ihipStream_tbEUlT_E_NS1_11comp_targetILNS1_3genE2ELNS1_11target_archE906ELNS1_3gpuE6ELNS1_3repE0EEENS1_30default_config_static_selectorELNS0_4arch9wavefront6targetE1EEEvT1_: ; @_ZN7rocprim17ROCPRIM_400000_NS6detail17trampoline_kernelINS0_14default_configENS1_25transform_config_selectorIsLb0EEEZNS1_14transform_implILb0ES3_S5_PsN6thrust23THRUST_200600_302600_NS6detail15normal_iteratorINS9_10device_ptrIsEEEENS0_8identityIsEEEE10hipError_tT2_T3_mT4_P12ihipStream_tbEUlT_E_NS1_11comp_targetILNS1_3genE2ELNS1_11target_archE906ELNS1_3gpuE6ELNS1_3repE0EEENS1_30default_config_static_selectorELNS0_4arch9wavefront6targetE1EEEvT1_
; %bb.0:
	.section	.rodata,"a",@progbits
	.p2align	6, 0x0
	.amdhsa_kernel _ZN7rocprim17ROCPRIM_400000_NS6detail17trampoline_kernelINS0_14default_configENS1_25transform_config_selectorIsLb0EEEZNS1_14transform_implILb0ES3_S5_PsN6thrust23THRUST_200600_302600_NS6detail15normal_iteratorINS9_10device_ptrIsEEEENS0_8identityIsEEEE10hipError_tT2_T3_mT4_P12ihipStream_tbEUlT_E_NS1_11comp_targetILNS1_3genE2ELNS1_11target_archE906ELNS1_3gpuE6ELNS1_3repE0EEENS1_30default_config_static_selectorELNS0_4arch9wavefront6targetE1EEEvT1_
		.amdhsa_group_segment_fixed_size 0
		.amdhsa_private_segment_fixed_size 0
		.amdhsa_kernarg_size 40
		.amdhsa_user_sgpr_count 6
		.amdhsa_user_sgpr_private_segment_buffer 1
		.amdhsa_user_sgpr_dispatch_ptr 0
		.amdhsa_user_sgpr_queue_ptr 0
		.amdhsa_user_sgpr_kernarg_segment_ptr 1
		.amdhsa_user_sgpr_dispatch_id 0
		.amdhsa_user_sgpr_flat_scratch_init 0
		.amdhsa_user_sgpr_kernarg_preload_length 0
		.amdhsa_user_sgpr_kernarg_preload_offset 0
		.amdhsa_user_sgpr_private_segment_size 0
		.amdhsa_uses_dynamic_stack 0
		.amdhsa_system_sgpr_private_segment_wavefront_offset 0
		.amdhsa_system_sgpr_workgroup_id_x 1
		.amdhsa_system_sgpr_workgroup_id_y 0
		.amdhsa_system_sgpr_workgroup_id_z 0
		.amdhsa_system_sgpr_workgroup_info 0
		.amdhsa_system_vgpr_workitem_id 0
		.amdhsa_next_free_vgpr 1
		.amdhsa_next_free_sgpr 0
		.amdhsa_accum_offset 4
		.amdhsa_reserve_vcc 0
		.amdhsa_reserve_flat_scratch 0
		.amdhsa_float_round_mode_32 0
		.amdhsa_float_round_mode_16_64 0
		.amdhsa_float_denorm_mode_32 3
		.amdhsa_float_denorm_mode_16_64 3
		.amdhsa_dx10_clamp 1
		.amdhsa_ieee_mode 1
		.amdhsa_fp16_overflow 0
		.amdhsa_tg_split 0
		.amdhsa_exception_fp_ieee_invalid_op 0
		.amdhsa_exception_fp_denorm_src 0
		.amdhsa_exception_fp_ieee_div_zero 0
		.amdhsa_exception_fp_ieee_overflow 0
		.amdhsa_exception_fp_ieee_underflow 0
		.amdhsa_exception_fp_ieee_inexact 0
		.amdhsa_exception_int_div_zero 0
	.end_amdhsa_kernel
	.section	.text._ZN7rocprim17ROCPRIM_400000_NS6detail17trampoline_kernelINS0_14default_configENS1_25transform_config_selectorIsLb0EEEZNS1_14transform_implILb0ES3_S5_PsN6thrust23THRUST_200600_302600_NS6detail15normal_iteratorINS9_10device_ptrIsEEEENS0_8identityIsEEEE10hipError_tT2_T3_mT4_P12ihipStream_tbEUlT_E_NS1_11comp_targetILNS1_3genE2ELNS1_11target_archE906ELNS1_3gpuE6ELNS1_3repE0EEENS1_30default_config_static_selectorELNS0_4arch9wavefront6targetE1EEEvT1_,"axG",@progbits,_ZN7rocprim17ROCPRIM_400000_NS6detail17trampoline_kernelINS0_14default_configENS1_25transform_config_selectorIsLb0EEEZNS1_14transform_implILb0ES3_S5_PsN6thrust23THRUST_200600_302600_NS6detail15normal_iteratorINS9_10device_ptrIsEEEENS0_8identityIsEEEE10hipError_tT2_T3_mT4_P12ihipStream_tbEUlT_E_NS1_11comp_targetILNS1_3genE2ELNS1_11target_archE906ELNS1_3gpuE6ELNS1_3repE0EEENS1_30default_config_static_selectorELNS0_4arch9wavefront6targetE1EEEvT1_,comdat
.Lfunc_end1870:
	.size	_ZN7rocprim17ROCPRIM_400000_NS6detail17trampoline_kernelINS0_14default_configENS1_25transform_config_selectorIsLb0EEEZNS1_14transform_implILb0ES3_S5_PsN6thrust23THRUST_200600_302600_NS6detail15normal_iteratorINS9_10device_ptrIsEEEENS0_8identityIsEEEE10hipError_tT2_T3_mT4_P12ihipStream_tbEUlT_E_NS1_11comp_targetILNS1_3genE2ELNS1_11target_archE906ELNS1_3gpuE6ELNS1_3repE0EEENS1_30default_config_static_selectorELNS0_4arch9wavefront6targetE1EEEvT1_, .Lfunc_end1870-_ZN7rocprim17ROCPRIM_400000_NS6detail17trampoline_kernelINS0_14default_configENS1_25transform_config_selectorIsLb0EEEZNS1_14transform_implILb0ES3_S5_PsN6thrust23THRUST_200600_302600_NS6detail15normal_iteratorINS9_10device_ptrIsEEEENS0_8identityIsEEEE10hipError_tT2_T3_mT4_P12ihipStream_tbEUlT_E_NS1_11comp_targetILNS1_3genE2ELNS1_11target_archE906ELNS1_3gpuE6ELNS1_3repE0EEENS1_30default_config_static_selectorELNS0_4arch9wavefront6targetE1EEEvT1_
                                        ; -- End function
	.section	.AMDGPU.csdata,"",@progbits
; Kernel info:
; codeLenInByte = 0
; NumSgprs: 4
; NumVgprs: 0
; NumAgprs: 0
; TotalNumVgprs: 0
; ScratchSize: 0
; MemoryBound: 0
; FloatMode: 240
; IeeeMode: 1
; LDSByteSize: 0 bytes/workgroup (compile time only)
; SGPRBlocks: 0
; VGPRBlocks: 0
; NumSGPRsForWavesPerEU: 4
; NumVGPRsForWavesPerEU: 1
; AccumOffset: 4
; Occupancy: 8
; WaveLimiterHint : 0
; COMPUTE_PGM_RSRC2:SCRATCH_EN: 0
; COMPUTE_PGM_RSRC2:USER_SGPR: 6
; COMPUTE_PGM_RSRC2:TRAP_HANDLER: 0
; COMPUTE_PGM_RSRC2:TGID_X_EN: 1
; COMPUTE_PGM_RSRC2:TGID_Y_EN: 0
; COMPUTE_PGM_RSRC2:TGID_Z_EN: 0
; COMPUTE_PGM_RSRC2:TIDIG_COMP_CNT: 0
; COMPUTE_PGM_RSRC3_GFX90A:ACCUM_OFFSET: 0
; COMPUTE_PGM_RSRC3_GFX90A:TG_SPLIT: 0
	.section	.text._ZN7rocprim17ROCPRIM_400000_NS6detail17trampoline_kernelINS0_14default_configENS1_25transform_config_selectorIsLb0EEEZNS1_14transform_implILb0ES3_S5_PsN6thrust23THRUST_200600_302600_NS6detail15normal_iteratorINS9_10device_ptrIsEEEENS0_8identityIsEEEE10hipError_tT2_T3_mT4_P12ihipStream_tbEUlT_E_NS1_11comp_targetILNS1_3genE10ELNS1_11target_archE1201ELNS1_3gpuE5ELNS1_3repE0EEENS1_30default_config_static_selectorELNS0_4arch9wavefront6targetE1EEEvT1_,"axG",@progbits,_ZN7rocprim17ROCPRIM_400000_NS6detail17trampoline_kernelINS0_14default_configENS1_25transform_config_selectorIsLb0EEEZNS1_14transform_implILb0ES3_S5_PsN6thrust23THRUST_200600_302600_NS6detail15normal_iteratorINS9_10device_ptrIsEEEENS0_8identityIsEEEE10hipError_tT2_T3_mT4_P12ihipStream_tbEUlT_E_NS1_11comp_targetILNS1_3genE10ELNS1_11target_archE1201ELNS1_3gpuE5ELNS1_3repE0EEENS1_30default_config_static_selectorELNS0_4arch9wavefront6targetE1EEEvT1_,comdat
	.protected	_ZN7rocprim17ROCPRIM_400000_NS6detail17trampoline_kernelINS0_14default_configENS1_25transform_config_selectorIsLb0EEEZNS1_14transform_implILb0ES3_S5_PsN6thrust23THRUST_200600_302600_NS6detail15normal_iteratorINS9_10device_ptrIsEEEENS0_8identityIsEEEE10hipError_tT2_T3_mT4_P12ihipStream_tbEUlT_E_NS1_11comp_targetILNS1_3genE10ELNS1_11target_archE1201ELNS1_3gpuE5ELNS1_3repE0EEENS1_30default_config_static_selectorELNS0_4arch9wavefront6targetE1EEEvT1_ ; -- Begin function _ZN7rocprim17ROCPRIM_400000_NS6detail17trampoline_kernelINS0_14default_configENS1_25transform_config_selectorIsLb0EEEZNS1_14transform_implILb0ES3_S5_PsN6thrust23THRUST_200600_302600_NS6detail15normal_iteratorINS9_10device_ptrIsEEEENS0_8identityIsEEEE10hipError_tT2_T3_mT4_P12ihipStream_tbEUlT_E_NS1_11comp_targetILNS1_3genE10ELNS1_11target_archE1201ELNS1_3gpuE5ELNS1_3repE0EEENS1_30default_config_static_selectorELNS0_4arch9wavefront6targetE1EEEvT1_
	.globl	_ZN7rocprim17ROCPRIM_400000_NS6detail17trampoline_kernelINS0_14default_configENS1_25transform_config_selectorIsLb0EEEZNS1_14transform_implILb0ES3_S5_PsN6thrust23THRUST_200600_302600_NS6detail15normal_iteratorINS9_10device_ptrIsEEEENS0_8identityIsEEEE10hipError_tT2_T3_mT4_P12ihipStream_tbEUlT_E_NS1_11comp_targetILNS1_3genE10ELNS1_11target_archE1201ELNS1_3gpuE5ELNS1_3repE0EEENS1_30default_config_static_selectorELNS0_4arch9wavefront6targetE1EEEvT1_
	.p2align	8
	.type	_ZN7rocprim17ROCPRIM_400000_NS6detail17trampoline_kernelINS0_14default_configENS1_25transform_config_selectorIsLb0EEEZNS1_14transform_implILb0ES3_S5_PsN6thrust23THRUST_200600_302600_NS6detail15normal_iteratorINS9_10device_ptrIsEEEENS0_8identityIsEEEE10hipError_tT2_T3_mT4_P12ihipStream_tbEUlT_E_NS1_11comp_targetILNS1_3genE10ELNS1_11target_archE1201ELNS1_3gpuE5ELNS1_3repE0EEENS1_30default_config_static_selectorELNS0_4arch9wavefront6targetE1EEEvT1_,@function
_ZN7rocprim17ROCPRIM_400000_NS6detail17trampoline_kernelINS0_14default_configENS1_25transform_config_selectorIsLb0EEEZNS1_14transform_implILb0ES3_S5_PsN6thrust23THRUST_200600_302600_NS6detail15normal_iteratorINS9_10device_ptrIsEEEENS0_8identityIsEEEE10hipError_tT2_T3_mT4_P12ihipStream_tbEUlT_E_NS1_11comp_targetILNS1_3genE10ELNS1_11target_archE1201ELNS1_3gpuE5ELNS1_3repE0EEENS1_30default_config_static_selectorELNS0_4arch9wavefront6targetE1EEEvT1_: ; @_ZN7rocprim17ROCPRIM_400000_NS6detail17trampoline_kernelINS0_14default_configENS1_25transform_config_selectorIsLb0EEEZNS1_14transform_implILb0ES3_S5_PsN6thrust23THRUST_200600_302600_NS6detail15normal_iteratorINS9_10device_ptrIsEEEENS0_8identityIsEEEE10hipError_tT2_T3_mT4_P12ihipStream_tbEUlT_E_NS1_11comp_targetILNS1_3genE10ELNS1_11target_archE1201ELNS1_3gpuE5ELNS1_3repE0EEENS1_30default_config_static_selectorELNS0_4arch9wavefront6targetE1EEEvT1_
; %bb.0:
	.section	.rodata,"a",@progbits
	.p2align	6, 0x0
	.amdhsa_kernel _ZN7rocprim17ROCPRIM_400000_NS6detail17trampoline_kernelINS0_14default_configENS1_25transform_config_selectorIsLb0EEEZNS1_14transform_implILb0ES3_S5_PsN6thrust23THRUST_200600_302600_NS6detail15normal_iteratorINS9_10device_ptrIsEEEENS0_8identityIsEEEE10hipError_tT2_T3_mT4_P12ihipStream_tbEUlT_E_NS1_11comp_targetILNS1_3genE10ELNS1_11target_archE1201ELNS1_3gpuE5ELNS1_3repE0EEENS1_30default_config_static_selectorELNS0_4arch9wavefront6targetE1EEEvT1_
		.amdhsa_group_segment_fixed_size 0
		.amdhsa_private_segment_fixed_size 0
		.amdhsa_kernarg_size 40
		.amdhsa_user_sgpr_count 6
		.amdhsa_user_sgpr_private_segment_buffer 1
		.amdhsa_user_sgpr_dispatch_ptr 0
		.amdhsa_user_sgpr_queue_ptr 0
		.amdhsa_user_sgpr_kernarg_segment_ptr 1
		.amdhsa_user_sgpr_dispatch_id 0
		.amdhsa_user_sgpr_flat_scratch_init 0
		.amdhsa_user_sgpr_kernarg_preload_length 0
		.amdhsa_user_sgpr_kernarg_preload_offset 0
		.amdhsa_user_sgpr_private_segment_size 0
		.amdhsa_uses_dynamic_stack 0
		.amdhsa_system_sgpr_private_segment_wavefront_offset 0
		.amdhsa_system_sgpr_workgroup_id_x 1
		.amdhsa_system_sgpr_workgroup_id_y 0
		.amdhsa_system_sgpr_workgroup_id_z 0
		.amdhsa_system_sgpr_workgroup_info 0
		.amdhsa_system_vgpr_workitem_id 0
		.amdhsa_next_free_vgpr 1
		.amdhsa_next_free_sgpr 0
		.amdhsa_accum_offset 4
		.amdhsa_reserve_vcc 0
		.amdhsa_reserve_flat_scratch 0
		.amdhsa_float_round_mode_32 0
		.amdhsa_float_round_mode_16_64 0
		.amdhsa_float_denorm_mode_32 3
		.amdhsa_float_denorm_mode_16_64 3
		.amdhsa_dx10_clamp 1
		.amdhsa_ieee_mode 1
		.amdhsa_fp16_overflow 0
		.amdhsa_tg_split 0
		.amdhsa_exception_fp_ieee_invalid_op 0
		.amdhsa_exception_fp_denorm_src 0
		.amdhsa_exception_fp_ieee_div_zero 0
		.amdhsa_exception_fp_ieee_overflow 0
		.amdhsa_exception_fp_ieee_underflow 0
		.amdhsa_exception_fp_ieee_inexact 0
		.amdhsa_exception_int_div_zero 0
	.end_amdhsa_kernel
	.section	.text._ZN7rocprim17ROCPRIM_400000_NS6detail17trampoline_kernelINS0_14default_configENS1_25transform_config_selectorIsLb0EEEZNS1_14transform_implILb0ES3_S5_PsN6thrust23THRUST_200600_302600_NS6detail15normal_iteratorINS9_10device_ptrIsEEEENS0_8identityIsEEEE10hipError_tT2_T3_mT4_P12ihipStream_tbEUlT_E_NS1_11comp_targetILNS1_3genE10ELNS1_11target_archE1201ELNS1_3gpuE5ELNS1_3repE0EEENS1_30default_config_static_selectorELNS0_4arch9wavefront6targetE1EEEvT1_,"axG",@progbits,_ZN7rocprim17ROCPRIM_400000_NS6detail17trampoline_kernelINS0_14default_configENS1_25transform_config_selectorIsLb0EEEZNS1_14transform_implILb0ES3_S5_PsN6thrust23THRUST_200600_302600_NS6detail15normal_iteratorINS9_10device_ptrIsEEEENS0_8identityIsEEEE10hipError_tT2_T3_mT4_P12ihipStream_tbEUlT_E_NS1_11comp_targetILNS1_3genE10ELNS1_11target_archE1201ELNS1_3gpuE5ELNS1_3repE0EEENS1_30default_config_static_selectorELNS0_4arch9wavefront6targetE1EEEvT1_,comdat
.Lfunc_end1871:
	.size	_ZN7rocprim17ROCPRIM_400000_NS6detail17trampoline_kernelINS0_14default_configENS1_25transform_config_selectorIsLb0EEEZNS1_14transform_implILb0ES3_S5_PsN6thrust23THRUST_200600_302600_NS6detail15normal_iteratorINS9_10device_ptrIsEEEENS0_8identityIsEEEE10hipError_tT2_T3_mT4_P12ihipStream_tbEUlT_E_NS1_11comp_targetILNS1_3genE10ELNS1_11target_archE1201ELNS1_3gpuE5ELNS1_3repE0EEENS1_30default_config_static_selectorELNS0_4arch9wavefront6targetE1EEEvT1_, .Lfunc_end1871-_ZN7rocprim17ROCPRIM_400000_NS6detail17trampoline_kernelINS0_14default_configENS1_25transform_config_selectorIsLb0EEEZNS1_14transform_implILb0ES3_S5_PsN6thrust23THRUST_200600_302600_NS6detail15normal_iteratorINS9_10device_ptrIsEEEENS0_8identityIsEEEE10hipError_tT2_T3_mT4_P12ihipStream_tbEUlT_E_NS1_11comp_targetILNS1_3genE10ELNS1_11target_archE1201ELNS1_3gpuE5ELNS1_3repE0EEENS1_30default_config_static_selectorELNS0_4arch9wavefront6targetE1EEEvT1_
                                        ; -- End function
	.section	.AMDGPU.csdata,"",@progbits
; Kernel info:
; codeLenInByte = 0
; NumSgprs: 4
; NumVgprs: 0
; NumAgprs: 0
; TotalNumVgprs: 0
; ScratchSize: 0
; MemoryBound: 0
; FloatMode: 240
; IeeeMode: 1
; LDSByteSize: 0 bytes/workgroup (compile time only)
; SGPRBlocks: 0
; VGPRBlocks: 0
; NumSGPRsForWavesPerEU: 4
; NumVGPRsForWavesPerEU: 1
; AccumOffset: 4
; Occupancy: 8
; WaveLimiterHint : 0
; COMPUTE_PGM_RSRC2:SCRATCH_EN: 0
; COMPUTE_PGM_RSRC2:USER_SGPR: 6
; COMPUTE_PGM_RSRC2:TRAP_HANDLER: 0
; COMPUTE_PGM_RSRC2:TGID_X_EN: 1
; COMPUTE_PGM_RSRC2:TGID_Y_EN: 0
; COMPUTE_PGM_RSRC2:TGID_Z_EN: 0
; COMPUTE_PGM_RSRC2:TIDIG_COMP_CNT: 0
; COMPUTE_PGM_RSRC3_GFX90A:ACCUM_OFFSET: 0
; COMPUTE_PGM_RSRC3_GFX90A:TG_SPLIT: 0
	.section	.text._ZN7rocprim17ROCPRIM_400000_NS6detail17trampoline_kernelINS0_14default_configENS1_25transform_config_selectorIsLb0EEEZNS1_14transform_implILb0ES3_S5_PsN6thrust23THRUST_200600_302600_NS6detail15normal_iteratorINS9_10device_ptrIsEEEENS0_8identityIsEEEE10hipError_tT2_T3_mT4_P12ihipStream_tbEUlT_E_NS1_11comp_targetILNS1_3genE10ELNS1_11target_archE1200ELNS1_3gpuE4ELNS1_3repE0EEENS1_30default_config_static_selectorELNS0_4arch9wavefront6targetE1EEEvT1_,"axG",@progbits,_ZN7rocprim17ROCPRIM_400000_NS6detail17trampoline_kernelINS0_14default_configENS1_25transform_config_selectorIsLb0EEEZNS1_14transform_implILb0ES3_S5_PsN6thrust23THRUST_200600_302600_NS6detail15normal_iteratorINS9_10device_ptrIsEEEENS0_8identityIsEEEE10hipError_tT2_T3_mT4_P12ihipStream_tbEUlT_E_NS1_11comp_targetILNS1_3genE10ELNS1_11target_archE1200ELNS1_3gpuE4ELNS1_3repE0EEENS1_30default_config_static_selectorELNS0_4arch9wavefront6targetE1EEEvT1_,comdat
	.protected	_ZN7rocprim17ROCPRIM_400000_NS6detail17trampoline_kernelINS0_14default_configENS1_25transform_config_selectorIsLb0EEEZNS1_14transform_implILb0ES3_S5_PsN6thrust23THRUST_200600_302600_NS6detail15normal_iteratorINS9_10device_ptrIsEEEENS0_8identityIsEEEE10hipError_tT2_T3_mT4_P12ihipStream_tbEUlT_E_NS1_11comp_targetILNS1_3genE10ELNS1_11target_archE1200ELNS1_3gpuE4ELNS1_3repE0EEENS1_30default_config_static_selectorELNS0_4arch9wavefront6targetE1EEEvT1_ ; -- Begin function _ZN7rocprim17ROCPRIM_400000_NS6detail17trampoline_kernelINS0_14default_configENS1_25transform_config_selectorIsLb0EEEZNS1_14transform_implILb0ES3_S5_PsN6thrust23THRUST_200600_302600_NS6detail15normal_iteratorINS9_10device_ptrIsEEEENS0_8identityIsEEEE10hipError_tT2_T3_mT4_P12ihipStream_tbEUlT_E_NS1_11comp_targetILNS1_3genE10ELNS1_11target_archE1200ELNS1_3gpuE4ELNS1_3repE0EEENS1_30default_config_static_selectorELNS0_4arch9wavefront6targetE1EEEvT1_
	.globl	_ZN7rocprim17ROCPRIM_400000_NS6detail17trampoline_kernelINS0_14default_configENS1_25transform_config_selectorIsLb0EEEZNS1_14transform_implILb0ES3_S5_PsN6thrust23THRUST_200600_302600_NS6detail15normal_iteratorINS9_10device_ptrIsEEEENS0_8identityIsEEEE10hipError_tT2_T3_mT4_P12ihipStream_tbEUlT_E_NS1_11comp_targetILNS1_3genE10ELNS1_11target_archE1200ELNS1_3gpuE4ELNS1_3repE0EEENS1_30default_config_static_selectorELNS0_4arch9wavefront6targetE1EEEvT1_
	.p2align	8
	.type	_ZN7rocprim17ROCPRIM_400000_NS6detail17trampoline_kernelINS0_14default_configENS1_25transform_config_selectorIsLb0EEEZNS1_14transform_implILb0ES3_S5_PsN6thrust23THRUST_200600_302600_NS6detail15normal_iteratorINS9_10device_ptrIsEEEENS0_8identityIsEEEE10hipError_tT2_T3_mT4_P12ihipStream_tbEUlT_E_NS1_11comp_targetILNS1_3genE10ELNS1_11target_archE1200ELNS1_3gpuE4ELNS1_3repE0EEENS1_30default_config_static_selectorELNS0_4arch9wavefront6targetE1EEEvT1_,@function
_ZN7rocprim17ROCPRIM_400000_NS6detail17trampoline_kernelINS0_14default_configENS1_25transform_config_selectorIsLb0EEEZNS1_14transform_implILb0ES3_S5_PsN6thrust23THRUST_200600_302600_NS6detail15normal_iteratorINS9_10device_ptrIsEEEENS0_8identityIsEEEE10hipError_tT2_T3_mT4_P12ihipStream_tbEUlT_E_NS1_11comp_targetILNS1_3genE10ELNS1_11target_archE1200ELNS1_3gpuE4ELNS1_3repE0EEENS1_30default_config_static_selectorELNS0_4arch9wavefront6targetE1EEEvT1_: ; @_ZN7rocprim17ROCPRIM_400000_NS6detail17trampoline_kernelINS0_14default_configENS1_25transform_config_selectorIsLb0EEEZNS1_14transform_implILb0ES3_S5_PsN6thrust23THRUST_200600_302600_NS6detail15normal_iteratorINS9_10device_ptrIsEEEENS0_8identityIsEEEE10hipError_tT2_T3_mT4_P12ihipStream_tbEUlT_E_NS1_11comp_targetILNS1_3genE10ELNS1_11target_archE1200ELNS1_3gpuE4ELNS1_3repE0EEENS1_30default_config_static_selectorELNS0_4arch9wavefront6targetE1EEEvT1_
; %bb.0:
	.section	.rodata,"a",@progbits
	.p2align	6, 0x0
	.amdhsa_kernel _ZN7rocprim17ROCPRIM_400000_NS6detail17trampoline_kernelINS0_14default_configENS1_25transform_config_selectorIsLb0EEEZNS1_14transform_implILb0ES3_S5_PsN6thrust23THRUST_200600_302600_NS6detail15normal_iteratorINS9_10device_ptrIsEEEENS0_8identityIsEEEE10hipError_tT2_T3_mT4_P12ihipStream_tbEUlT_E_NS1_11comp_targetILNS1_3genE10ELNS1_11target_archE1200ELNS1_3gpuE4ELNS1_3repE0EEENS1_30default_config_static_selectorELNS0_4arch9wavefront6targetE1EEEvT1_
		.amdhsa_group_segment_fixed_size 0
		.amdhsa_private_segment_fixed_size 0
		.amdhsa_kernarg_size 40
		.amdhsa_user_sgpr_count 6
		.amdhsa_user_sgpr_private_segment_buffer 1
		.amdhsa_user_sgpr_dispatch_ptr 0
		.amdhsa_user_sgpr_queue_ptr 0
		.amdhsa_user_sgpr_kernarg_segment_ptr 1
		.amdhsa_user_sgpr_dispatch_id 0
		.amdhsa_user_sgpr_flat_scratch_init 0
		.amdhsa_user_sgpr_kernarg_preload_length 0
		.amdhsa_user_sgpr_kernarg_preload_offset 0
		.amdhsa_user_sgpr_private_segment_size 0
		.amdhsa_uses_dynamic_stack 0
		.amdhsa_system_sgpr_private_segment_wavefront_offset 0
		.amdhsa_system_sgpr_workgroup_id_x 1
		.amdhsa_system_sgpr_workgroup_id_y 0
		.amdhsa_system_sgpr_workgroup_id_z 0
		.amdhsa_system_sgpr_workgroup_info 0
		.amdhsa_system_vgpr_workitem_id 0
		.amdhsa_next_free_vgpr 1
		.amdhsa_next_free_sgpr 0
		.amdhsa_accum_offset 4
		.amdhsa_reserve_vcc 0
		.amdhsa_reserve_flat_scratch 0
		.amdhsa_float_round_mode_32 0
		.amdhsa_float_round_mode_16_64 0
		.amdhsa_float_denorm_mode_32 3
		.amdhsa_float_denorm_mode_16_64 3
		.amdhsa_dx10_clamp 1
		.amdhsa_ieee_mode 1
		.amdhsa_fp16_overflow 0
		.amdhsa_tg_split 0
		.amdhsa_exception_fp_ieee_invalid_op 0
		.amdhsa_exception_fp_denorm_src 0
		.amdhsa_exception_fp_ieee_div_zero 0
		.amdhsa_exception_fp_ieee_overflow 0
		.amdhsa_exception_fp_ieee_underflow 0
		.amdhsa_exception_fp_ieee_inexact 0
		.amdhsa_exception_int_div_zero 0
	.end_amdhsa_kernel
	.section	.text._ZN7rocprim17ROCPRIM_400000_NS6detail17trampoline_kernelINS0_14default_configENS1_25transform_config_selectorIsLb0EEEZNS1_14transform_implILb0ES3_S5_PsN6thrust23THRUST_200600_302600_NS6detail15normal_iteratorINS9_10device_ptrIsEEEENS0_8identityIsEEEE10hipError_tT2_T3_mT4_P12ihipStream_tbEUlT_E_NS1_11comp_targetILNS1_3genE10ELNS1_11target_archE1200ELNS1_3gpuE4ELNS1_3repE0EEENS1_30default_config_static_selectorELNS0_4arch9wavefront6targetE1EEEvT1_,"axG",@progbits,_ZN7rocprim17ROCPRIM_400000_NS6detail17trampoline_kernelINS0_14default_configENS1_25transform_config_selectorIsLb0EEEZNS1_14transform_implILb0ES3_S5_PsN6thrust23THRUST_200600_302600_NS6detail15normal_iteratorINS9_10device_ptrIsEEEENS0_8identityIsEEEE10hipError_tT2_T3_mT4_P12ihipStream_tbEUlT_E_NS1_11comp_targetILNS1_3genE10ELNS1_11target_archE1200ELNS1_3gpuE4ELNS1_3repE0EEENS1_30default_config_static_selectorELNS0_4arch9wavefront6targetE1EEEvT1_,comdat
.Lfunc_end1872:
	.size	_ZN7rocprim17ROCPRIM_400000_NS6detail17trampoline_kernelINS0_14default_configENS1_25transform_config_selectorIsLb0EEEZNS1_14transform_implILb0ES3_S5_PsN6thrust23THRUST_200600_302600_NS6detail15normal_iteratorINS9_10device_ptrIsEEEENS0_8identityIsEEEE10hipError_tT2_T3_mT4_P12ihipStream_tbEUlT_E_NS1_11comp_targetILNS1_3genE10ELNS1_11target_archE1200ELNS1_3gpuE4ELNS1_3repE0EEENS1_30default_config_static_selectorELNS0_4arch9wavefront6targetE1EEEvT1_, .Lfunc_end1872-_ZN7rocprim17ROCPRIM_400000_NS6detail17trampoline_kernelINS0_14default_configENS1_25transform_config_selectorIsLb0EEEZNS1_14transform_implILb0ES3_S5_PsN6thrust23THRUST_200600_302600_NS6detail15normal_iteratorINS9_10device_ptrIsEEEENS0_8identityIsEEEE10hipError_tT2_T3_mT4_P12ihipStream_tbEUlT_E_NS1_11comp_targetILNS1_3genE10ELNS1_11target_archE1200ELNS1_3gpuE4ELNS1_3repE0EEENS1_30default_config_static_selectorELNS0_4arch9wavefront6targetE1EEEvT1_
                                        ; -- End function
	.section	.AMDGPU.csdata,"",@progbits
; Kernel info:
; codeLenInByte = 0
; NumSgprs: 4
; NumVgprs: 0
; NumAgprs: 0
; TotalNumVgprs: 0
; ScratchSize: 0
; MemoryBound: 0
; FloatMode: 240
; IeeeMode: 1
; LDSByteSize: 0 bytes/workgroup (compile time only)
; SGPRBlocks: 0
; VGPRBlocks: 0
; NumSGPRsForWavesPerEU: 4
; NumVGPRsForWavesPerEU: 1
; AccumOffset: 4
; Occupancy: 8
; WaveLimiterHint : 0
; COMPUTE_PGM_RSRC2:SCRATCH_EN: 0
; COMPUTE_PGM_RSRC2:USER_SGPR: 6
; COMPUTE_PGM_RSRC2:TRAP_HANDLER: 0
; COMPUTE_PGM_RSRC2:TGID_X_EN: 1
; COMPUTE_PGM_RSRC2:TGID_Y_EN: 0
; COMPUTE_PGM_RSRC2:TGID_Z_EN: 0
; COMPUTE_PGM_RSRC2:TIDIG_COMP_CNT: 0
; COMPUTE_PGM_RSRC3_GFX90A:ACCUM_OFFSET: 0
; COMPUTE_PGM_RSRC3_GFX90A:TG_SPLIT: 0
	.section	.text._ZN7rocprim17ROCPRIM_400000_NS6detail17trampoline_kernelINS0_14default_configENS1_25transform_config_selectorIsLb0EEEZNS1_14transform_implILb0ES3_S5_PsN6thrust23THRUST_200600_302600_NS6detail15normal_iteratorINS9_10device_ptrIsEEEENS0_8identityIsEEEE10hipError_tT2_T3_mT4_P12ihipStream_tbEUlT_E_NS1_11comp_targetILNS1_3genE9ELNS1_11target_archE1100ELNS1_3gpuE3ELNS1_3repE0EEENS1_30default_config_static_selectorELNS0_4arch9wavefront6targetE1EEEvT1_,"axG",@progbits,_ZN7rocprim17ROCPRIM_400000_NS6detail17trampoline_kernelINS0_14default_configENS1_25transform_config_selectorIsLb0EEEZNS1_14transform_implILb0ES3_S5_PsN6thrust23THRUST_200600_302600_NS6detail15normal_iteratorINS9_10device_ptrIsEEEENS0_8identityIsEEEE10hipError_tT2_T3_mT4_P12ihipStream_tbEUlT_E_NS1_11comp_targetILNS1_3genE9ELNS1_11target_archE1100ELNS1_3gpuE3ELNS1_3repE0EEENS1_30default_config_static_selectorELNS0_4arch9wavefront6targetE1EEEvT1_,comdat
	.protected	_ZN7rocprim17ROCPRIM_400000_NS6detail17trampoline_kernelINS0_14default_configENS1_25transform_config_selectorIsLb0EEEZNS1_14transform_implILb0ES3_S5_PsN6thrust23THRUST_200600_302600_NS6detail15normal_iteratorINS9_10device_ptrIsEEEENS0_8identityIsEEEE10hipError_tT2_T3_mT4_P12ihipStream_tbEUlT_E_NS1_11comp_targetILNS1_3genE9ELNS1_11target_archE1100ELNS1_3gpuE3ELNS1_3repE0EEENS1_30default_config_static_selectorELNS0_4arch9wavefront6targetE1EEEvT1_ ; -- Begin function _ZN7rocprim17ROCPRIM_400000_NS6detail17trampoline_kernelINS0_14default_configENS1_25transform_config_selectorIsLb0EEEZNS1_14transform_implILb0ES3_S5_PsN6thrust23THRUST_200600_302600_NS6detail15normal_iteratorINS9_10device_ptrIsEEEENS0_8identityIsEEEE10hipError_tT2_T3_mT4_P12ihipStream_tbEUlT_E_NS1_11comp_targetILNS1_3genE9ELNS1_11target_archE1100ELNS1_3gpuE3ELNS1_3repE0EEENS1_30default_config_static_selectorELNS0_4arch9wavefront6targetE1EEEvT1_
	.globl	_ZN7rocprim17ROCPRIM_400000_NS6detail17trampoline_kernelINS0_14default_configENS1_25transform_config_selectorIsLb0EEEZNS1_14transform_implILb0ES3_S5_PsN6thrust23THRUST_200600_302600_NS6detail15normal_iteratorINS9_10device_ptrIsEEEENS0_8identityIsEEEE10hipError_tT2_T3_mT4_P12ihipStream_tbEUlT_E_NS1_11comp_targetILNS1_3genE9ELNS1_11target_archE1100ELNS1_3gpuE3ELNS1_3repE0EEENS1_30default_config_static_selectorELNS0_4arch9wavefront6targetE1EEEvT1_
	.p2align	8
	.type	_ZN7rocprim17ROCPRIM_400000_NS6detail17trampoline_kernelINS0_14default_configENS1_25transform_config_selectorIsLb0EEEZNS1_14transform_implILb0ES3_S5_PsN6thrust23THRUST_200600_302600_NS6detail15normal_iteratorINS9_10device_ptrIsEEEENS0_8identityIsEEEE10hipError_tT2_T3_mT4_P12ihipStream_tbEUlT_E_NS1_11comp_targetILNS1_3genE9ELNS1_11target_archE1100ELNS1_3gpuE3ELNS1_3repE0EEENS1_30default_config_static_selectorELNS0_4arch9wavefront6targetE1EEEvT1_,@function
_ZN7rocprim17ROCPRIM_400000_NS6detail17trampoline_kernelINS0_14default_configENS1_25transform_config_selectorIsLb0EEEZNS1_14transform_implILb0ES3_S5_PsN6thrust23THRUST_200600_302600_NS6detail15normal_iteratorINS9_10device_ptrIsEEEENS0_8identityIsEEEE10hipError_tT2_T3_mT4_P12ihipStream_tbEUlT_E_NS1_11comp_targetILNS1_3genE9ELNS1_11target_archE1100ELNS1_3gpuE3ELNS1_3repE0EEENS1_30default_config_static_selectorELNS0_4arch9wavefront6targetE1EEEvT1_: ; @_ZN7rocprim17ROCPRIM_400000_NS6detail17trampoline_kernelINS0_14default_configENS1_25transform_config_selectorIsLb0EEEZNS1_14transform_implILb0ES3_S5_PsN6thrust23THRUST_200600_302600_NS6detail15normal_iteratorINS9_10device_ptrIsEEEENS0_8identityIsEEEE10hipError_tT2_T3_mT4_P12ihipStream_tbEUlT_E_NS1_11comp_targetILNS1_3genE9ELNS1_11target_archE1100ELNS1_3gpuE3ELNS1_3repE0EEENS1_30default_config_static_selectorELNS0_4arch9wavefront6targetE1EEEvT1_
; %bb.0:
	.section	.rodata,"a",@progbits
	.p2align	6, 0x0
	.amdhsa_kernel _ZN7rocprim17ROCPRIM_400000_NS6detail17trampoline_kernelINS0_14default_configENS1_25transform_config_selectorIsLb0EEEZNS1_14transform_implILb0ES3_S5_PsN6thrust23THRUST_200600_302600_NS6detail15normal_iteratorINS9_10device_ptrIsEEEENS0_8identityIsEEEE10hipError_tT2_T3_mT4_P12ihipStream_tbEUlT_E_NS1_11comp_targetILNS1_3genE9ELNS1_11target_archE1100ELNS1_3gpuE3ELNS1_3repE0EEENS1_30default_config_static_selectorELNS0_4arch9wavefront6targetE1EEEvT1_
		.amdhsa_group_segment_fixed_size 0
		.amdhsa_private_segment_fixed_size 0
		.amdhsa_kernarg_size 40
		.amdhsa_user_sgpr_count 6
		.amdhsa_user_sgpr_private_segment_buffer 1
		.amdhsa_user_sgpr_dispatch_ptr 0
		.amdhsa_user_sgpr_queue_ptr 0
		.amdhsa_user_sgpr_kernarg_segment_ptr 1
		.amdhsa_user_sgpr_dispatch_id 0
		.amdhsa_user_sgpr_flat_scratch_init 0
		.amdhsa_user_sgpr_kernarg_preload_length 0
		.amdhsa_user_sgpr_kernarg_preload_offset 0
		.amdhsa_user_sgpr_private_segment_size 0
		.amdhsa_uses_dynamic_stack 0
		.amdhsa_system_sgpr_private_segment_wavefront_offset 0
		.amdhsa_system_sgpr_workgroup_id_x 1
		.amdhsa_system_sgpr_workgroup_id_y 0
		.amdhsa_system_sgpr_workgroup_id_z 0
		.amdhsa_system_sgpr_workgroup_info 0
		.amdhsa_system_vgpr_workitem_id 0
		.amdhsa_next_free_vgpr 1
		.amdhsa_next_free_sgpr 0
		.amdhsa_accum_offset 4
		.amdhsa_reserve_vcc 0
		.amdhsa_reserve_flat_scratch 0
		.amdhsa_float_round_mode_32 0
		.amdhsa_float_round_mode_16_64 0
		.amdhsa_float_denorm_mode_32 3
		.amdhsa_float_denorm_mode_16_64 3
		.amdhsa_dx10_clamp 1
		.amdhsa_ieee_mode 1
		.amdhsa_fp16_overflow 0
		.amdhsa_tg_split 0
		.amdhsa_exception_fp_ieee_invalid_op 0
		.amdhsa_exception_fp_denorm_src 0
		.amdhsa_exception_fp_ieee_div_zero 0
		.amdhsa_exception_fp_ieee_overflow 0
		.amdhsa_exception_fp_ieee_underflow 0
		.amdhsa_exception_fp_ieee_inexact 0
		.amdhsa_exception_int_div_zero 0
	.end_amdhsa_kernel
	.section	.text._ZN7rocprim17ROCPRIM_400000_NS6detail17trampoline_kernelINS0_14default_configENS1_25transform_config_selectorIsLb0EEEZNS1_14transform_implILb0ES3_S5_PsN6thrust23THRUST_200600_302600_NS6detail15normal_iteratorINS9_10device_ptrIsEEEENS0_8identityIsEEEE10hipError_tT2_T3_mT4_P12ihipStream_tbEUlT_E_NS1_11comp_targetILNS1_3genE9ELNS1_11target_archE1100ELNS1_3gpuE3ELNS1_3repE0EEENS1_30default_config_static_selectorELNS0_4arch9wavefront6targetE1EEEvT1_,"axG",@progbits,_ZN7rocprim17ROCPRIM_400000_NS6detail17trampoline_kernelINS0_14default_configENS1_25transform_config_selectorIsLb0EEEZNS1_14transform_implILb0ES3_S5_PsN6thrust23THRUST_200600_302600_NS6detail15normal_iteratorINS9_10device_ptrIsEEEENS0_8identityIsEEEE10hipError_tT2_T3_mT4_P12ihipStream_tbEUlT_E_NS1_11comp_targetILNS1_3genE9ELNS1_11target_archE1100ELNS1_3gpuE3ELNS1_3repE0EEENS1_30default_config_static_selectorELNS0_4arch9wavefront6targetE1EEEvT1_,comdat
.Lfunc_end1873:
	.size	_ZN7rocprim17ROCPRIM_400000_NS6detail17trampoline_kernelINS0_14default_configENS1_25transform_config_selectorIsLb0EEEZNS1_14transform_implILb0ES3_S5_PsN6thrust23THRUST_200600_302600_NS6detail15normal_iteratorINS9_10device_ptrIsEEEENS0_8identityIsEEEE10hipError_tT2_T3_mT4_P12ihipStream_tbEUlT_E_NS1_11comp_targetILNS1_3genE9ELNS1_11target_archE1100ELNS1_3gpuE3ELNS1_3repE0EEENS1_30default_config_static_selectorELNS0_4arch9wavefront6targetE1EEEvT1_, .Lfunc_end1873-_ZN7rocprim17ROCPRIM_400000_NS6detail17trampoline_kernelINS0_14default_configENS1_25transform_config_selectorIsLb0EEEZNS1_14transform_implILb0ES3_S5_PsN6thrust23THRUST_200600_302600_NS6detail15normal_iteratorINS9_10device_ptrIsEEEENS0_8identityIsEEEE10hipError_tT2_T3_mT4_P12ihipStream_tbEUlT_E_NS1_11comp_targetILNS1_3genE9ELNS1_11target_archE1100ELNS1_3gpuE3ELNS1_3repE0EEENS1_30default_config_static_selectorELNS0_4arch9wavefront6targetE1EEEvT1_
                                        ; -- End function
	.section	.AMDGPU.csdata,"",@progbits
; Kernel info:
; codeLenInByte = 0
; NumSgprs: 4
; NumVgprs: 0
; NumAgprs: 0
; TotalNumVgprs: 0
; ScratchSize: 0
; MemoryBound: 0
; FloatMode: 240
; IeeeMode: 1
; LDSByteSize: 0 bytes/workgroup (compile time only)
; SGPRBlocks: 0
; VGPRBlocks: 0
; NumSGPRsForWavesPerEU: 4
; NumVGPRsForWavesPerEU: 1
; AccumOffset: 4
; Occupancy: 8
; WaveLimiterHint : 0
; COMPUTE_PGM_RSRC2:SCRATCH_EN: 0
; COMPUTE_PGM_RSRC2:USER_SGPR: 6
; COMPUTE_PGM_RSRC2:TRAP_HANDLER: 0
; COMPUTE_PGM_RSRC2:TGID_X_EN: 1
; COMPUTE_PGM_RSRC2:TGID_Y_EN: 0
; COMPUTE_PGM_RSRC2:TGID_Z_EN: 0
; COMPUTE_PGM_RSRC2:TIDIG_COMP_CNT: 0
; COMPUTE_PGM_RSRC3_GFX90A:ACCUM_OFFSET: 0
; COMPUTE_PGM_RSRC3_GFX90A:TG_SPLIT: 0
	.section	.text._ZN7rocprim17ROCPRIM_400000_NS6detail17trampoline_kernelINS0_14default_configENS1_25transform_config_selectorIsLb0EEEZNS1_14transform_implILb0ES3_S5_PsN6thrust23THRUST_200600_302600_NS6detail15normal_iteratorINS9_10device_ptrIsEEEENS0_8identityIsEEEE10hipError_tT2_T3_mT4_P12ihipStream_tbEUlT_E_NS1_11comp_targetILNS1_3genE8ELNS1_11target_archE1030ELNS1_3gpuE2ELNS1_3repE0EEENS1_30default_config_static_selectorELNS0_4arch9wavefront6targetE1EEEvT1_,"axG",@progbits,_ZN7rocprim17ROCPRIM_400000_NS6detail17trampoline_kernelINS0_14default_configENS1_25transform_config_selectorIsLb0EEEZNS1_14transform_implILb0ES3_S5_PsN6thrust23THRUST_200600_302600_NS6detail15normal_iteratorINS9_10device_ptrIsEEEENS0_8identityIsEEEE10hipError_tT2_T3_mT4_P12ihipStream_tbEUlT_E_NS1_11comp_targetILNS1_3genE8ELNS1_11target_archE1030ELNS1_3gpuE2ELNS1_3repE0EEENS1_30default_config_static_selectorELNS0_4arch9wavefront6targetE1EEEvT1_,comdat
	.protected	_ZN7rocprim17ROCPRIM_400000_NS6detail17trampoline_kernelINS0_14default_configENS1_25transform_config_selectorIsLb0EEEZNS1_14transform_implILb0ES3_S5_PsN6thrust23THRUST_200600_302600_NS6detail15normal_iteratorINS9_10device_ptrIsEEEENS0_8identityIsEEEE10hipError_tT2_T3_mT4_P12ihipStream_tbEUlT_E_NS1_11comp_targetILNS1_3genE8ELNS1_11target_archE1030ELNS1_3gpuE2ELNS1_3repE0EEENS1_30default_config_static_selectorELNS0_4arch9wavefront6targetE1EEEvT1_ ; -- Begin function _ZN7rocprim17ROCPRIM_400000_NS6detail17trampoline_kernelINS0_14default_configENS1_25transform_config_selectorIsLb0EEEZNS1_14transform_implILb0ES3_S5_PsN6thrust23THRUST_200600_302600_NS6detail15normal_iteratorINS9_10device_ptrIsEEEENS0_8identityIsEEEE10hipError_tT2_T3_mT4_P12ihipStream_tbEUlT_E_NS1_11comp_targetILNS1_3genE8ELNS1_11target_archE1030ELNS1_3gpuE2ELNS1_3repE0EEENS1_30default_config_static_selectorELNS0_4arch9wavefront6targetE1EEEvT1_
	.globl	_ZN7rocprim17ROCPRIM_400000_NS6detail17trampoline_kernelINS0_14default_configENS1_25transform_config_selectorIsLb0EEEZNS1_14transform_implILb0ES3_S5_PsN6thrust23THRUST_200600_302600_NS6detail15normal_iteratorINS9_10device_ptrIsEEEENS0_8identityIsEEEE10hipError_tT2_T3_mT4_P12ihipStream_tbEUlT_E_NS1_11comp_targetILNS1_3genE8ELNS1_11target_archE1030ELNS1_3gpuE2ELNS1_3repE0EEENS1_30default_config_static_selectorELNS0_4arch9wavefront6targetE1EEEvT1_
	.p2align	8
	.type	_ZN7rocprim17ROCPRIM_400000_NS6detail17trampoline_kernelINS0_14default_configENS1_25transform_config_selectorIsLb0EEEZNS1_14transform_implILb0ES3_S5_PsN6thrust23THRUST_200600_302600_NS6detail15normal_iteratorINS9_10device_ptrIsEEEENS0_8identityIsEEEE10hipError_tT2_T3_mT4_P12ihipStream_tbEUlT_E_NS1_11comp_targetILNS1_3genE8ELNS1_11target_archE1030ELNS1_3gpuE2ELNS1_3repE0EEENS1_30default_config_static_selectorELNS0_4arch9wavefront6targetE1EEEvT1_,@function
_ZN7rocprim17ROCPRIM_400000_NS6detail17trampoline_kernelINS0_14default_configENS1_25transform_config_selectorIsLb0EEEZNS1_14transform_implILb0ES3_S5_PsN6thrust23THRUST_200600_302600_NS6detail15normal_iteratorINS9_10device_ptrIsEEEENS0_8identityIsEEEE10hipError_tT2_T3_mT4_P12ihipStream_tbEUlT_E_NS1_11comp_targetILNS1_3genE8ELNS1_11target_archE1030ELNS1_3gpuE2ELNS1_3repE0EEENS1_30default_config_static_selectorELNS0_4arch9wavefront6targetE1EEEvT1_: ; @_ZN7rocprim17ROCPRIM_400000_NS6detail17trampoline_kernelINS0_14default_configENS1_25transform_config_selectorIsLb0EEEZNS1_14transform_implILb0ES3_S5_PsN6thrust23THRUST_200600_302600_NS6detail15normal_iteratorINS9_10device_ptrIsEEEENS0_8identityIsEEEE10hipError_tT2_T3_mT4_P12ihipStream_tbEUlT_E_NS1_11comp_targetILNS1_3genE8ELNS1_11target_archE1030ELNS1_3gpuE2ELNS1_3repE0EEENS1_30default_config_static_selectorELNS0_4arch9wavefront6targetE1EEEvT1_
; %bb.0:
	.section	.rodata,"a",@progbits
	.p2align	6, 0x0
	.amdhsa_kernel _ZN7rocprim17ROCPRIM_400000_NS6detail17trampoline_kernelINS0_14default_configENS1_25transform_config_selectorIsLb0EEEZNS1_14transform_implILb0ES3_S5_PsN6thrust23THRUST_200600_302600_NS6detail15normal_iteratorINS9_10device_ptrIsEEEENS0_8identityIsEEEE10hipError_tT2_T3_mT4_P12ihipStream_tbEUlT_E_NS1_11comp_targetILNS1_3genE8ELNS1_11target_archE1030ELNS1_3gpuE2ELNS1_3repE0EEENS1_30default_config_static_selectorELNS0_4arch9wavefront6targetE1EEEvT1_
		.amdhsa_group_segment_fixed_size 0
		.amdhsa_private_segment_fixed_size 0
		.amdhsa_kernarg_size 40
		.amdhsa_user_sgpr_count 6
		.amdhsa_user_sgpr_private_segment_buffer 1
		.amdhsa_user_sgpr_dispatch_ptr 0
		.amdhsa_user_sgpr_queue_ptr 0
		.amdhsa_user_sgpr_kernarg_segment_ptr 1
		.amdhsa_user_sgpr_dispatch_id 0
		.amdhsa_user_sgpr_flat_scratch_init 0
		.amdhsa_user_sgpr_kernarg_preload_length 0
		.amdhsa_user_sgpr_kernarg_preload_offset 0
		.amdhsa_user_sgpr_private_segment_size 0
		.amdhsa_uses_dynamic_stack 0
		.amdhsa_system_sgpr_private_segment_wavefront_offset 0
		.amdhsa_system_sgpr_workgroup_id_x 1
		.amdhsa_system_sgpr_workgroup_id_y 0
		.amdhsa_system_sgpr_workgroup_id_z 0
		.amdhsa_system_sgpr_workgroup_info 0
		.amdhsa_system_vgpr_workitem_id 0
		.amdhsa_next_free_vgpr 1
		.amdhsa_next_free_sgpr 0
		.amdhsa_accum_offset 4
		.amdhsa_reserve_vcc 0
		.amdhsa_reserve_flat_scratch 0
		.amdhsa_float_round_mode_32 0
		.amdhsa_float_round_mode_16_64 0
		.amdhsa_float_denorm_mode_32 3
		.amdhsa_float_denorm_mode_16_64 3
		.amdhsa_dx10_clamp 1
		.amdhsa_ieee_mode 1
		.amdhsa_fp16_overflow 0
		.amdhsa_tg_split 0
		.amdhsa_exception_fp_ieee_invalid_op 0
		.amdhsa_exception_fp_denorm_src 0
		.amdhsa_exception_fp_ieee_div_zero 0
		.amdhsa_exception_fp_ieee_overflow 0
		.amdhsa_exception_fp_ieee_underflow 0
		.amdhsa_exception_fp_ieee_inexact 0
		.amdhsa_exception_int_div_zero 0
	.end_amdhsa_kernel
	.section	.text._ZN7rocprim17ROCPRIM_400000_NS6detail17trampoline_kernelINS0_14default_configENS1_25transform_config_selectorIsLb0EEEZNS1_14transform_implILb0ES3_S5_PsN6thrust23THRUST_200600_302600_NS6detail15normal_iteratorINS9_10device_ptrIsEEEENS0_8identityIsEEEE10hipError_tT2_T3_mT4_P12ihipStream_tbEUlT_E_NS1_11comp_targetILNS1_3genE8ELNS1_11target_archE1030ELNS1_3gpuE2ELNS1_3repE0EEENS1_30default_config_static_selectorELNS0_4arch9wavefront6targetE1EEEvT1_,"axG",@progbits,_ZN7rocprim17ROCPRIM_400000_NS6detail17trampoline_kernelINS0_14default_configENS1_25transform_config_selectorIsLb0EEEZNS1_14transform_implILb0ES3_S5_PsN6thrust23THRUST_200600_302600_NS6detail15normal_iteratorINS9_10device_ptrIsEEEENS0_8identityIsEEEE10hipError_tT2_T3_mT4_P12ihipStream_tbEUlT_E_NS1_11comp_targetILNS1_3genE8ELNS1_11target_archE1030ELNS1_3gpuE2ELNS1_3repE0EEENS1_30default_config_static_selectorELNS0_4arch9wavefront6targetE1EEEvT1_,comdat
.Lfunc_end1874:
	.size	_ZN7rocprim17ROCPRIM_400000_NS6detail17trampoline_kernelINS0_14default_configENS1_25transform_config_selectorIsLb0EEEZNS1_14transform_implILb0ES3_S5_PsN6thrust23THRUST_200600_302600_NS6detail15normal_iteratorINS9_10device_ptrIsEEEENS0_8identityIsEEEE10hipError_tT2_T3_mT4_P12ihipStream_tbEUlT_E_NS1_11comp_targetILNS1_3genE8ELNS1_11target_archE1030ELNS1_3gpuE2ELNS1_3repE0EEENS1_30default_config_static_selectorELNS0_4arch9wavefront6targetE1EEEvT1_, .Lfunc_end1874-_ZN7rocprim17ROCPRIM_400000_NS6detail17trampoline_kernelINS0_14default_configENS1_25transform_config_selectorIsLb0EEEZNS1_14transform_implILb0ES3_S5_PsN6thrust23THRUST_200600_302600_NS6detail15normal_iteratorINS9_10device_ptrIsEEEENS0_8identityIsEEEE10hipError_tT2_T3_mT4_P12ihipStream_tbEUlT_E_NS1_11comp_targetILNS1_3genE8ELNS1_11target_archE1030ELNS1_3gpuE2ELNS1_3repE0EEENS1_30default_config_static_selectorELNS0_4arch9wavefront6targetE1EEEvT1_
                                        ; -- End function
	.section	.AMDGPU.csdata,"",@progbits
; Kernel info:
; codeLenInByte = 0
; NumSgprs: 4
; NumVgprs: 0
; NumAgprs: 0
; TotalNumVgprs: 0
; ScratchSize: 0
; MemoryBound: 0
; FloatMode: 240
; IeeeMode: 1
; LDSByteSize: 0 bytes/workgroup (compile time only)
; SGPRBlocks: 0
; VGPRBlocks: 0
; NumSGPRsForWavesPerEU: 4
; NumVGPRsForWavesPerEU: 1
; AccumOffset: 4
; Occupancy: 8
; WaveLimiterHint : 0
; COMPUTE_PGM_RSRC2:SCRATCH_EN: 0
; COMPUTE_PGM_RSRC2:USER_SGPR: 6
; COMPUTE_PGM_RSRC2:TRAP_HANDLER: 0
; COMPUTE_PGM_RSRC2:TGID_X_EN: 1
; COMPUTE_PGM_RSRC2:TGID_Y_EN: 0
; COMPUTE_PGM_RSRC2:TGID_Z_EN: 0
; COMPUTE_PGM_RSRC2:TIDIG_COMP_CNT: 0
; COMPUTE_PGM_RSRC3_GFX90A:ACCUM_OFFSET: 0
; COMPUTE_PGM_RSRC3_GFX90A:TG_SPLIT: 0
	.section	.text._ZN7rocprim17ROCPRIM_400000_NS6detail17trampoline_kernelINS0_14default_configENS1_38merge_sort_block_merge_config_selectorIsNS0_10empty_typeEEEZZNS1_27merge_sort_block_merge_implIS3_N6thrust23THRUST_200600_302600_NS6detail15normal_iteratorINS9_10device_ptrIsEEEEPS5_jNS1_19radix_merge_compareILb0ELb1EsNS0_19identity_decomposerEEEEE10hipError_tT0_T1_T2_jT3_P12ihipStream_tbPNSt15iterator_traitsISK_E10value_typeEPNSQ_ISL_E10value_typeEPSM_NS1_7vsmem_tEENKUlT_SK_SL_SM_E_clIPsSE_SF_SF_EESJ_SZ_SK_SL_SM_EUlSZ_E_NS1_11comp_targetILNS1_3genE0ELNS1_11target_archE4294967295ELNS1_3gpuE0ELNS1_3repE0EEENS1_48merge_mergepath_partition_config_static_selectorELNS0_4arch9wavefront6targetE1EEEvSL_,"axG",@progbits,_ZN7rocprim17ROCPRIM_400000_NS6detail17trampoline_kernelINS0_14default_configENS1_38merge_sort_block_merge_config_selectorIsNS0_10empty_typeEEEZZNS1_27merge_sort_block_merge_implIS3_N6thrust23THRUST_200600_302600_NS6detail15normal_iteratorINS9_10device_ptrIsEEEEPS5_jNS1_19radix_merge_compareILb0ELb1EsNS0_19identity_decomposerEEEEE10hipError_tT0_T1_T2_jT3_P12ihipStream_tbPNSt15iterator_traitsISK_E10value_typeEPNSQ_ISL_E10value_typeEPSM_NS1_7vsmem_tEENKUlT_SK_SL_SM_E_clIPsSE_SF_SF_EESJ_SZ_SK_SL_SM_EUlSZ_E_NS1_11comp_targetILNS1_3genE0ELNS1_11target_archE4294967295ELNS1_3gpuE0ELNS1_3repE0EEENS1_48merge_mergepath_partition_config_static_selectorELNS0_4arch9wavefront6targetE1EEEvSL_,comdat
	.protected	_ZN7rocprim17ROCPRIM_400000_NS6detail17trampoline_kernelINS0_14default_configENS1_38merge_sort_block_merge_config_selectorIsNS0_10empty_typeEEEZZNS1_27merge_sort_block_merge_implIS3_N6thrust23THRUST_200600_302600_NS6detail15normal_iteratorINS9_10device_ptrIsEEEEPS5_jNS1_19radix_merge_compareILb0ELb1EsNS0_19identity_decomposerEEEEE10hipError_tT0_T1_T2_jT3_P12ihipStream_tbPNSt15iterator_traitsISK_E10value_typeEPNSQ_ISL_E10value_typeEPSM_NS1_7vsmem_tEENKUlT_SK_SL_SM_E_clIPsSE_SF_SF_EESJ_SZ_SK_SL_SM_EUlSZ_E_NS1_11comp_targetILNS1_3genE0ELNS1_11target_archE4294967295ELNS1_3gpuE0ELNS1_3repE0EEENS1_48merge_mergepath_partition_config_static_selectorELNS0_4arch9wavefront6targetE1EEEvSL_ ; -- Begin function _ZN7rocprim17ROCPRIM_400000_NS6detail17trampoline_kernelINS0_14default_configENS1_38merge_sort_block_merge_config_selectorIsNS0_10empty_typeEEEZZNS1_27merge_sort_block_merge_implIS3_N6thrust23THRUST_200600_302600_NS6detail15normal_iteratorINS9_10device_ptrIsEEEEPS5_jNS1_19radix_merge_compareILb0ELb1EsNS0_19identity_decomposerEEEEE10hipError_tT0_T1_T2_jT3_P12ihipStream_tbPNSt15iterator_traitsISK_E10value_typeEPNSQ_ISL_E10value_typeEPSM_NS1_7vsmem_tEENKUlT_SK_SL_SM_E_clIPsSE_SF_SF_EESJ_SZ_SK_SL_SM_EUlSZ_E_NS1_11comp_targetILNS1_3genE0ELNS1_11target_archE4294967295ELNS1_3gpuE0ELNS1_3repE0EEENS1_48merge_mergepath_partition_config_static_selectorELNS0_4arch9wavefront6targetE1EEEvSL_
	.globl	_ZN7rocprim17ROCPRIM_400000_NS6detail17trampoline_kernelINS0_14default_configENS1_38merge_sort_block_merge_config_selectorIsNS0_10empty_typeEEEZZNS1_27merge_sort_block_merge_implIS3_N6thrust23THRUST_200600_302600_NS6detail15normal_iteratorINS9_10device_ptrIsEEEEPS5_jNS1_19radix_merge_compareILb0ELb1EsNS0_19identity_decomposerEEEEE10hipError_tT0_T1_T2_jT3_P12ihipStream_tbPNSt15iterator_traitsISK_E10value_typeEPNSQ_ISL_E10value_typeEPSM_NS1_7vsmem_tEENKUlT_SK_SL_SM_E_clIPsSE_SF_SF_EESJ_SZ_SK_SL_SM_EUlSZ_E_NS1_11comp_targetILNS1_3genE0ELNS1_11target_archE4294967295ELNS1_3gpuE0ELNS1_3repE0EEENS1_48merge_mergepath_partition_config_static_selectorELNS0_4arch9wavefront6targetE1EEEvSL_
	.p2align	8
	.type	_ZN7rocprim17ROCPRIM_400000_NS6detail17trampoline_kernelINS0_14default_configENS1_38merge_sort_block_merge_config_selectorIsNS0_10empty_typeEEEZZNS1_27merge_sort_block_merge_implIS3_N6thrust23THRUST_200600_302600_NS6detail15normal_iteratorINS9_10device_ptrIsEEEEPS5_jNS1_19radix_merge_compareILb0ELb1EsNS0_19identity_decomposerEEEEE10hipError_tT0_T1_T2_jT3_P12ihipStream_tbPNSt15iterator_traitsISK_E10value_typeEPNSQ_ISL_E10value_typeEPSM_NS1_7vsmem_tEENKUlT_SK_SL_SM_E_clIPsSE_SF_SF_EESJ_SZ_SK_SL_SM_EUlSZ_E_NS1_11comp_targetILNS1_3genE0ELNS1_11target_archE4294967295ELNS1_3gpuE0ELNS1_3repE0EEENS1_48merge_mergepath_partition_config_static_selectorELNS0_4arch9wavefront6targetE1EEEvSL_,@function
_ZN7rocprim17ROCPRIM_400000_NS6detail17trampoline_kernelINS0_14default_configENS1_38merge_sort_block_merge_config_selectorIsNS0_10empty_typeEEEZZNS1_27merge_sort_block_merge_implIS3_N6thrust23THRUST_200600_302600_NS6detail15normal_iteratorINS9_10device_ptrIsEEEEPS5_jNS1_19radix_merge_compareILb0ELb1EsNS0_19identity_decomposerEEEEE10hipError_tT0_T1_T2_jT3_P12ihipStream_tbPNSt15iterator_traitsISK_E10value_typeEPNSQ_ISL_E10value_typeEPSM_NS1_7vsmem_tEENKUlT_SK_SL_SM_E_clIPsSE_SF_SF_EESJ_SZ_SK_SL_SM_EUlSZ_E_NS1_11comp_targetILNS1_3genE0ELNS1_11target_archE4294967295ELNS1_3gpuE0ELNS1_3repE0EEENS1_48merge_mergepath_partition_config_static_selectorELNS0_4arch9wavefront6targetE1EEEvSL_: ; @_ZN7rocprim17ROCPRIM_400000_NS6detail17trampoline_kernelINS0_14default_configENS1_38merge_sort_block_merge_config_selectorIsNS0_10empty_typeEEEZZNS1_27merge_sort_block_merge_implIS3_N6thrust23THRUST_200600_302600_NS6detail15normal_iteratorINS9_10device_ptrIsEEEEPS5_jNS1_19radix_merge_compareILb0ELb1EsNS0_19identity_decomposerEEEEE10hipError_tT0_T1_T2_jT3_P12ihipStream_tbPNSt15iterator_traitsISK_E10value_typeEPNSQ_ISL_E10value_typeEPSM_NS1_7vsmem_tEENKUlT_SK_SL_SM_E_clIPsSE_SF_SF_EESJ_SZ_SK_SL_SM_EUlSZ_E_NS1_11comp_targetILNS1_3genE0ELNS1_11target_archE4294967295ELNS1_3gpuE0ELNS1_3repE0EEENS1_48merge_mergepath_partition_config_static_selectorELNS0_4arch9wavefront6targetE1EEEvSL_
; %bb.0:
	.section	.rodata,"a",@progbits
	.p2align	6, 0x0
	.amdhsa_kernel _ZN7rocprim17ROCPRIM_400000_NS6detail17trampoline_kernelINS0_14default_configENS1_38merge_sort_block_merge_config_selectorIsNS0_10empty_typeEEEZZNS1_27merge_sort_block_merge_implIS3_N6thrust23THRUST_200600_302600_NS6detail15normal_iteratorINS9_10device_ptrIsEEEEPS5_jNS1_19radix_merge_compareILb0ELb1EsNS0_19identity_decomposerEEEEE10hipError_tT0_T1_T2_jT3_P12ihipStream_tbPNSt15iterator_traitsISK_E10value_typeEPNSQ_ISL_E10value_typeEPSM_NS1_7vsmem_tEENKUlT_SK_SL_SM_E_clIPsSE_SF_SF_EESJ_SZ_SK_SL_SM_EUlSZ_E_NS1_11comp_targetILNS1_3genE0ELNS1_11target_archE4294967295ELNS1_3gpuE0ELNS1_3repE0EEENS1_48merge_mergepath_partition_config_static_selectorELNS0_4arch9wavefront6targetE1EEEvSL_
		.amdhsa_group_segment_fixed_size 0
		.amdhsa_private_segment_fixed_size 0
		.amdhsa_kernarg_size 40
		.amdhsa_user_sgpr_count 6
		.amdhsa_user_sgpr_private_segment_buffer 1
		.amdhsa_user_sgpr_dispatch_ptr 0
		.amdhsa_user_sgpr_queue_ptr 0
		.amdhsa_user_sgpr_kernarg_segment_ptr 1
		.amdhsa_user_sgpr_dispatch_id 0
		.amdhsa_user_sgpr_flat_scratch_init 0
		.amdhsa_user_sgpr_kernarg_preload_length 0
		.amdhsa_user_sgpr_kernarg_preload_offset 0
		.amdhsa_user_sgpr_private_segment_size 0
		.amdhsa_uses_dynamic_stack 0
		.amdhsa_system_sgpr_private_segment_wavefront_offset 0
		.amdhsa_system_sgpr_workgroup_id_x 1
		.amdhsa_system_sgpr_workgroup_id_y 0
		.amdhsa_system_sgpr_workgroup_id_z 0
		.amdhsa_system_sgpr_workgroup_info 0
		.amdhsa_system_vgpr_workitem_id 0
		.amdhsa_next_free_vgpr 1
		.amdhsa_next_free_sgpr 0
		.amdhsa_accum_offset 4
		.amdhsa_reserve_vcc 0
		.amdhsa_reserve_flat_scratch 0
		.amdhsa_float_round_mode_32 0
		.amdhsa_float_round_mode_16_64 0
		.amdhsa_float_denorm_mode_32 3
		.amdhsa_float_denorm_mode_16_64 3
		.amdhsa_dx10_clamp 1
		.amdhsa_ieee_mode 1
		.amdhsa_fp16_overflow 0
		.amdhsa_tg_split 0
		.amdhsa_exception_fp_ieee_invalid_op 0
		.amdhsa_exception_fp_denorm_src 0
		.amdhsa_exception_fp_ieee_div_zero 0
		.amdhsa_exception_fp_ieee_overflow 0
		.amdhsa_exception_fp_ieee_underflow 0
		.amdhsa_exception_fp_ieee_inexact 0
		.amdhsa_exception_int_div_zero 0
	.end_amdhsa_kernel
	.section	.text._ZN7rocprim17ROCPRIM_400000_NS6detail17trampoline_kernelINS0_14default_configENS1_38merge_sort_block_merge_config_selectorIsNS0_10empty_typeEEEZZNS1_27merge_sort_block_merge_implIS3_N6thrust23THRUST_200600_302600_NS6detail15normal_iteratorINS9_10device_ptrIsEEEEPS5_jNS1_19radix_merge_compareILb0ELb1EsNS0_19identity_decomposerEEEEE10hipError_tT0_T1_T2_jT3_P12ihipStream_tbPNSt15iterator_traitsISK_E10value_typeEPNSQ_ISL_E10value_typeEPSM_NS1_7vsmem_tEENKUlT_SK_SL_SM_E_clIPsSE_SF_SF_EESJ_SZ_SK_SL_SM_EUlSZ_E_NS1_11comp_targetILNS1_3genE0ELNS1_11target_archE4294967295ELNS1_3gpuE0ELNS1_3repE0EEENS1_48merge_mergepath_partition_config_static_selectorELNS0_4arch9wavefront6targetE1EEEvSL_,"axG",@progbits,_ZN7rocprim17ROCPRIM_400000_NS6detail17trampoline_kernelINS0_14default_configENS1_38merge_sort_block_merge_config_selectorIsNS0_10empty_typeEEEZZNS1_27merge_sort_block_merge_implIS3_N6thrust23THRUST_200600_302600_NS6detail15normal_iteratorINS9_10device_ptrIsEEEEPS5_jNS1_19radix_merge_compareILb0ELb1EsNS0_19identity_decomposerEEEEE10hipError_tT0_T1_T2_jT3_P12ihipStream_tbPNSt15iterator_traitsISK_E10value_typeEPNSQ_ISL_E10value_typeEPSM_NS1_7vsmem_tEENKUlT_SK_SL_SM_E_clIPsSE_SF_SF_EESJ_SZ_SK_SL_SM_EUlSZ_E_NS1_11comp_targetILNS1_3genE0ELNS1_11target_archE4294967295ELNS1_3gpuE0ELNS1_3repE0EEENS1_48merge_mergepath_partition_config_static_selectorELNS0_4arch9wavefront6targetE1EEEvSL_,comdat
.Lfunc_end1875:
	.size	_ZN7rocprim17ROCPRIM_400000_NS6detail17trampoline_kernelINS0_14default_configENS1_38merge_sort_block_merge_config_selectorIsNS0_10empty_typeEEEZZNS1_27merge_sort_block_merge_implIS3_N6thrust23THRUST_200600_302600_NS6detail15normal_iteratorINS9_10device_ptrIsEEEEPS5_jNS1_19radix_merge_compareILb0ELb1EsNS0_19identity_decomposerEEEEE10hipError_tT0_T1_T2_jT3_P12ihipStream_tbPNSt15iterator_traitsISK_E10value_typeEPNSQ_ISL_E10value_typeEPSM_NS1_7vsmem_tEENKUlT_SK_SL_SM_E_clIPsSE_SF_SF_EESJ_SZ_SK_SL_SM_EUlSZ_E_NS1_11comp_targetILNS1_3genE0ELNS1_11target_archE4294967295ELNS1_3gpuE0ELNS1_3repE0EEENS1_48merge_mergepath_partition_config_static_selectorELNS0_4arch9wavefront6targetE1EEEvSL_, .Lfunc_end1875-_ZN7rocprim17ROCPRIM_400000_NS6detail17trampoline_kernelINS0_14default_configENS1_38merge_sort_block_merge_config_selectorIsNS0_10empty_typeEEEZZNS1_27merge_sort_block_merge_implIS3_N6thrust23THRUST_200600_302600_NS6detail15normal_iteratorINS9_10device_ptrIsEEEEPS5_jNS1_19radix_merge_compareILb0ELb1EsNS0_19identity_decomposerEEEEE10hipError_tT0_T1_T2_jT3_P12ihipStream_tbPNSt15iterator_traitsISK_E10value_typeEPNSQ_ISL_E10value_typeEPSM_NS1_7vsmem_tEENKUlT_SK_SL_SM_E_clIPsSE_SF_SF_EESJ_SZ_SK_SL_SM_EUlSZ_E_NS1_11comp_targetILNS1_3genE0ELNS1_11target_archE4294967295ELNS1_3gpuE0ELNS1_3repE0EEENS1_48merge_mergepath_partition_config_static_selectorELNS0_4arch9wavefront6targetE1EEEvSL_
                                        ; -- End function
	.section	.AMDGPU.csdata,"",@progbits
; Kernel info:
; codeLenInByte = 0
; NumSgprs: 4
; NumVgprs: 0
; NumAgprs: 0
; TotalNumVgprs: 0
; ScratchSize: 0
; MemoryBound: 0
; FloatMode: 240
; IeeeMode: 1
; LDSByteSize: 0 bytes/workgroup (compile time only)
; SGPRBlocks: 0
; VGPRBlocks: 0
; NumSGPRsForWavesPerEU: 4
; NumVGPRsForWavesPerEU: 1
; AccumOffset: 4
; Occupancy: 8
; WaveLimiterHint : 0
; COMPUTE_PGM_RSRC2:SCRATCH_EN: 0
; COMPUTE_PGM_RSRC2:USER_SGPR: 6
; COMPUTE_PGM_RSRC2:TRAP_HANDLER: 0
; COMPUTE_PGM_RSRC2:TGID_X_EN: 1
; COMPUTE_PGM_RSRC2:TGID_Y_EN: 0
; COMPUTE_PGM_RSRC2:TGID_Z_EN: 0
; COMPUTE_PGM_RSRC2:TIDIG_COMP_CNT: 0
; COMPUTE_PGM_RSRC3_GFX90A:ACCUM_OFFSET: 0
; COMPUTE_PGM_RSRC3_GFX90A:TG_SPLIT: 0
	.section	.text._ZN7rocprim17ROCPRIM_400000_NS6detail17trampoline_kernelINS0_14default_configENS1_38merge_sort_block_merge_config_selectorIsNS0_10empty_typeEEEZZNS1_27merge_sort_block_merge_implIS3_N6thrust23THRUST_200600_302600_NS6detail15normal_iteratorINS9_10device_ptrIsEEEEPS5_jNS1_19radix_merge_compareILb0ELb1EsNS0_19identity_decomposerEEEEE10hipError_tT0_T1_T2_jT3_P12ihipStream_tbPNSt15iterator_traitsISK_E10value_typeEPNSQ_ISL_E10value_typeEPSM_NS1_7vsmem_tEENKUlT_SK_SL_SM_E_clIPsSE_SF_SF_EESJ_SZ_SK_SL_SM_EUlSZ_E_NS1_11comp_targetILNS1_3genE10ELNS1_11target_archE1201ELNS1_3gpuE5ELNS1_3repE0EEENS1_48merge_mergepath_partition_config_static_selectorELNS0_4arch9wavefront6targetE1EEEvSL_,"axG",@progbits,_ZN7rocprim17ROCPRIM_400000_NS6detail17trampoline_kernelINS0_14default_configENS1_38merge_sort_block_merge_config_selectorIsNS0_10empty_typeEEEZZNS1_27merge_sort_block_merge_implIS3_N6thrust23THRUST_200600_302600_NS6detail15normal_iteratorINS9_10device_ptrIsEEEEPS5_jNS1_19radix_merge_compareILb0ELb1EsNS0_19identity_decomposerEEEEE10hipError_tT0_T1_T2_jT3_P12ihipStream_tbPNSt15iterator_traitsISK_E10value_typeEPNSQ_ISL_E10value_typeEPSM_NS1_7vsmem_tEENKUlT_SK_SL_SM_E_clIPsSE_SF_SF_EESJ_SZ_SK_SL_SM_EUlSZ_E_NS1_11comp_targetILNS1_3genE10ELNS1_11target_archE1201ELNS1_3gpuE5ELNS1_3repE0EEENS1_48merge_mergepath_partition_config_static_selectorELNS0_4arch9wavefront6targetE1EEEvSL_,comdat
	.protected	_ZN7rocprim17ROCPRIM_400000_NS6detail17trampoline_kernelINS0_14default_configENS1_38merge_sort_block_merge_config_selectorIsNS0_10empty_typeEEEZZNS1_27merge_sort_block_merge_implIS3_N6thrust23THRUST_200600_302600_NS6detail15normal_iteratorINS9_10device_ptrIsEEEEPS5_jNS1_19radix_merge_compareILb0ELb1EsNS0_19identity_decomposerEEEEE10hipError_tT0_T1_T2_jT3_P12ihipStream_tbPNSt15iterator_traitsISK_E10value_typeEPNSQ_ISL_E10value_typeEPSM_NS1_7vsmem_tEENKUlT_SK_SL_SM_E_clIPsSE_SF_SF_EESJ_SZ_SK_SL_SM_EUlSZ_E_NS1_11comp_targetILNS1_3genE10ELNS1_11target_archE1201ELNS1_3gpuE5ELNS1_3repE0EEENS1_48merge_mergepath_partition_config_static_selectorELNS0_4arch9wavefront6targetE1EEEvSL_ ; -- Begin function _ZN7rocprim17ROCPRIM_400000_NS6detail17trampoline_kernelINS0_14default_configENS1_38merge_sort_block_merge_config_selectorIsNS0_10empty_typeEEEZZNS1_27merge_sort_block_merge_implIS3_N6thrust23THRUST_200600_302600_NS6detail15normal_iteratorINS9_10device_ptrIsEEEEPS5_jNS1_19radix_merge_compareILb0ELb1EsNS0_19identity_decomposerEEEEE10hipError_tT0_T1_T2_jT3_P12ihipStream_tbPNSt15iterator_traitsISK_E10value_typeEPNSQ_ISL_E10value_typeEPSM_NS1_7vsmem_tEENKUlT_SK_SL_SM_E_clIPsSE_SF_SF_EESJ_SZ_SK_SL_SM_EUlSZ_E_NS1_11comp_targetILNS1_3genE10ELNS1_11target_archE1201ELNS1_3gpuE5ELNS1_3repE0EEENS1_48merge_mergepath_partition_config_static_selectorELNS0_4arch9wavefront6targetE1EEEvSL_
	.globl	_ZN7rocprim17ROCPRIM_400000_NS6detail17trampoline_kernelINS0_14default_configENS1_38merge_sort_block_merge_config_selectorIsNS0_10empty_typeEEEZZNS1_27merge_sort_block_merge_implIS3_N6thrust23THRUST_200600_302600_NS6detail15normal_iteratorINS9_10device_ptrIsEEEEPS5_jNS1_19radix_merge_compareILb0ELb1EsNS0_19identity_decomposerEEEEE10hipError_tT0_T1_T2_jT3_P12ihipStream_tbPNSt15iterator_traitsISK_E10value_typeEPNSQ_ISL_E10value_typeEPSM_NS1_7vsmem_tEENKUlT_SK_SL_SM_E_clIPsSE_SF_SF_EESJ_SZ_SK_SL_SM_EUlSZ_E_NS1_11comp_targetILNS1_3genE10ELNS1_11target_archE1201ELNS1_3gpuE5ELNS1_3repE0EEENS1_48merge_mergepath_partition_config_static_selectorELNS0_4arch9wavefront6targetE1EEEvSL_
	.p2align	8
	.type	_ZN7rocprim17ROCPRIM_400000_NS6detail17trampoline_kernelINS0_14default_configENS1_38merge_sort_block_merge_config_selectorIsNS0_10empty_typeEEEZZNS1_27merge_sort_block_merge_implIS3_N6thrust23THRUST_200600_302600_NS6detail15normal_iteratorINS9_10device_ptrIsEEEEPS5_jNS1_19radix_merge_compareILb0ELb1EsNS0_19identity_decomposerEEEEE10hipError_tT0_T1_T2_jT3_P12ihipStream_tbPNSt15iterator_traitsISK_E10value_typeEPNSQ_ISL_E10value_typeEPSM_NS1_7vsmem_tEENKUlT_SK_SL_SM_E_clIPsSE_SF_SF_EESJ_SZ_SK_SL_SM_EUlSZ_E_NS1_11comp_targetILNS1_3genE10ELNS1_11target_archE1201ELNS1_3gpuE5ELNS1_3repE0EEENS1_48merge_mergepath_partition_config_static_selectorELNS0_4arch9wavefront6targetE1EEEvSL_,@function
_ZN7rocprim17ROCPRIM_400000_NS6detail17trampoline_kernelINS0_14default_configENS1_38merge_sort_block_merge_config_selectorIsNS0_10empty_typeEEEZZNS1_27merge_sort_block_merge_implIS3_N6thrust23THRUST_200600_302600_NS6detail15normal_iteratorINS9_10device_ptrIsEEEEPS5_jNS1_19radix_merge_compareILb0ELb1EsNS0_19identity_decomposerEEEEE10hipError_tT0_T1_T2_jT3_P12ihipStream_tbPNSt15iterator_traitsISK_E10value_typeEPNSQ_ISL_E10value_typeEPSM_NS1_7vsmem_tEENKUlT_SK_SL_SM_E_clIPsSE_SF_SF_EESJ_SZ_SK_SL_SM_EUlSZ_E_NS1_11comp_targetILNS1_3genE10ELNS1_11target_archE1201ELNS1_3gpuE5ELNS1_3repE0EEENS1_48merge_mergepath_partition_config_static_selectorELNS0_4arch9wavefront6targetE1EEEvSL_: ; @_ZN7rocprim17ROCPRIM_400000_NS6detail17trampoline_kernelINS0_14default_configENS1_38merge_sort_block_merge_config_selectorIsNS0_10empty_typeEEEZZNS1_27merge_sort_block_merge_implIS3_N6thrust23THRUST_200600_302600_NS6detail15normal_iteratorINS9_10device_ptrIsEEEEPS5_jNS1_19radix_merge_compareILb0ELb1EsNS0_19identity_decomposerEEEEE10hipError_tT0_T1_T2_jT3_P12ihipStream_tbPNSt15iterator_traitsISK_E10value_typeEPNSQ_ISL_E10value_typeEPSM_NS1_7vsmem_tEENKUlT_SK_SL_SM_E_clIPsSE_SF_SF_EESJ_SZ_SK_SL_SM_EUlSZ_E_NS1_11comp_targetILNS1_3genE10ELNS1_11target_archE1201ELNS1_3gpuE5ELNS1_3repE0EEENS1_48merge_mergepath_partition_config_static_selectorELNS0_4arch9wavefront6targetE1EEEvSL_
; %bb.0:
	.section	.rodata,"a",@progbits
	.p2align	6, 0x0
	.amdhsa_kernel _ZN7rocprim17ROCPRIM_400000_NS6detail17trampoline_kernelINS0_14default_configENS1_38merge_sort_block_merge_config_selectorIsNS0_10empty_typeEEEZZNS1_27merge_sort_block_merge_implIS3_N6thrust23THRUST_200600_302600_NS6detail15normal_iteratorINS9_10device_ptrIsEEEEPS5_jNS1_19radix_merge_compareILb0ELb1EsNS0_19identity_decomposerEEEEE10hipError_tT0_T1_T2_jT3_P12ihipStream_tbPNSt15iterator_traitsISK_E10value_typeEPNSQ_ISL_E10value_typeEPSM_NS1_7vsmem_tEENKUlT_SK_SL_SM_E_clIPsSE_SF_SF_EESJ_SZ_SK_SL_SM_EUlSZ_E_NS1_11comp_targetILNS1_3genE10ELNS1_11target_archE1201ELNS1_3gpuE5ELNS1_3repE0EEENS1_48merge_mergepath_partition_config_static_selectorELNS0_4arch9wavefront6targetE1EEEvSL_
		.amdhsa_group_segment_fixed_size 0
		.amdhsa_private_segment_fixed_size 0
		.amdhsa_kernarg_size 40
		.amdhsa_user_sgpr_count 6
		.amdhsa_user_sgpr_private_segment_buffer 1
		.amdhsa_user_sgpr_dispatch_ptr 0
		.amdhsa_user_sgpr_queue_ptr 0
		.amdhsa_user_sgpr_kernarg_segment_ptr 1
		.amdhsa_user_sgpr_dispatch_id 0
		.amdhsa_user_sgpr_flat_scratch_init 0
		.amdhsa_user_sgpr_kernarg_preload_length 0
		.amdhsa_user_sgpr_kernarg_preload_offset 0
		.amdhsa_user_sgpr_private_segment_size 0
		.amdhsa_uses_dynamic_stack 0
		.amdhsa_system_sgpr_private_segment_wavefront_offset 0
		.amdhsa_system_sgpr_workgroup_id_x 1
		.amdhsa_system_sgpr_workgroup_id_y 0
		.amdhsa_system_sgpr_workgroup_id_z 0
		.amdhsa_system_sgpr_workgroup_info 0
		.amdhsa_system_vgpr_workitem_id 0
		.amdhsa_next_free_vgpr 1
		.amdhsa_next_free_sgpr 0
		.amdhsa_accum_offset 4
		.amdhsa_reserve_vcc 0
		.amdhsa_reserve_flat_scratch 0
		.amdhsa_float_round_mode_32 0
		.amdhsa_float_round_mode_16_64 0
		.amdhsa_float_denorm_mode_32 3
		.amdhsa_float_denorm_mode_16_64 3
		.amdhsa_dx10_clamp 1
		.amdhsa_ieee_mode 1
		.amdhsa_fp16_overflow 0
		.amdhsa_tg_split 0
		.amdhsa_exception_fp_ieee_invalid_op 0
		.amdhsa_exception_fp_denorm_src 0
		.amdhsa_exception_fp_ieee_div_zero 0
		.amdhsa_exception_fp_ieee_overflow 0
		.amdhsa_exception_fp_ieee_underflow 0
		.amdhsa_exception_fp_ieee_inexact 0
		.amdhsa_exception_int_div_zero 0
	.end_amdhsa_kernel
	.section	.text._ZN7rocprim17ROCPRIM_400000_NS6detail17trampoline_kernelINS0_14default_configENS1_38merge_sort_block_merge_config_selectorIsNS0_10empty_typeEEEZZNS1_27merge_sort_block_merge_implIS3_N6thrust23THRUST_200600_302600_NS6detail15normal_iteratorINS9_10device_ptrIsEEEEPS5_jNS1_19radix_merge_compareILb0ELb1EsNS0_19identity_decomposerEEEEE10hipError_tT0_T1_T2_jT3_P12ihipStream_tbPNSt15iterator_traitsISK_E10value_typeEPNSQ_ISL_E10value_typeEPSM_NS1_7vsmem_tEENKUlT_SK_SL_SM_E_clIPsSE_SF_SF_EESJ_SZ_SK_SL_SM_EUlSZ_E_NS1_11comp_targetILNS1_3genE10ELNS1_11target_archE1201ELNS1_3gpuE5ELNS1_3repE0EEENS1_48merge_mergepath_partition_config_static_selectorELNS0_4arch9wavefront6targetE1EEEvSL_,"axG",@progbits,_ZN7rocprim17ROCPRIM_400000_NS6detail17trampoline_kernelINS0_14default_configENS1_38merge_sort_block_merge_config_selectorIsNS0_10empty_typeEEEZZNS1_27merge_sort_block_merge_implIS3_N6thrust23THRUST_200600_302600_NS6detail15normal_iteratorINS9_10device_ptrIsEEEEPS5_jNS1_19radix_merge_compareILb0ELb1EsNS0_19identity_decomposerEEEEE10hipError_tT0_T1_T2_jT3_P12ihipStream_tbPNSt15iterator_traitsISK_E10value_typeEPNSQ_ISL_E10value_typeEPSM_NS1_7vsmem_tEENKUlT_SK_SL_SM_E_clIPsSE_SF_SF_EESJ_SZ_SK_SL_SM_EUlSZ_E_NS1_11comp_targetILNS1_3genE10ELNS1_11target_archE1201ELNS1_3gpuE5ELNS1_3repE0EEENS1_48merge_mergepath_partition_config_static_selectorELNS0_4arch9wavefront6targetE1EEEvSL_,comdat
.Lfunc_end1876:
	.size	_ZN7rocprim17ROCPRIM_400000_NS6detail17trampoline_kernelINS0_14default_configENS1_38merge_sort_block_merge_config_selectorIsNS0_10empty_typeEEEZZNS1_27merge_sort_block_merge_implIS3_N6thrust23THRUST_200600_302600_NS6detail15normal_iteratorINS9_10device_ptrIsEEEEPS5_jNS1_19radix_merge_compareILb0ELb1EsNS0_19identity_decomposerEEEEE10hipError_tT0_T1_T2_jT3_P12ihipStream_tbPNSt15iterator_traitsISK_E10value_typeEPNSQ_ISL_E10value_typeEPSM_NS1_7vsmem_tEENKUlT_SK_SL_SM_E_clIPsSE_SF_SF_EESJ_SZ_SK_SL_SM_EUlSZ_E_NS1_11comp_targetILNS1_3genE10ELNS1_11target_archE1201ELNS1_3gpuE5ELNS1_3repE0EEENS1_48merge_mergepath_partition_config_static_selectorELNS0_4arch9wavefront6targetE1EEEvSL_, .Lfunc_end1876-_ZN7rocprim17ROCPRIM_400000_NS6detail17trampoline_kernelINS0_14default_configENS1_38merge_sort_block_merge_config_selectorIsNS0_10empty_typeEEEZZNS1_27merge_sort_block_merge_implIS3_N6thrust23THRUST_200600_302600_NS6detail15normal_iteratorINS9_10device_ptrIsEEEEPS5_jNS1_19radix_merge_compareILb0ELb1EsNS0_19identity_decomposerEEEEE10hipError_tT0_T1_T2_jT3_P12ihipStream_tbPNSt15iterator_traitsISK_E10value_typeEPNSQ_ISL_E10value_typeEPSM_NS1_7vsmem_tEENKUlT_SK_SL_SM_E_clIPsSE_SF_SF_EESJ_SZ_SK_SL_SM_EUlSZ_E_NS1_11comp_targetILNS1_3genE10ELNS1_11target_archE1201ELNS1_3gpuE5ELNS1_3repE0EEENS1_48merge_mergepath_partition_config_static_selectorELNS0_4arch9wavefront6targetE1EEEvSL_
                                        ; -- End function
	.section	.AMDGPU.csdata,"",@progbits
; Kernel info:
; codeLenInByte = 0
; NumSgprs: 4
; NumVgprs: 0
; NumAgprs: 0
; TotalNumVgprs: 0
; ScratchSize: 0
; MemoryBound: 0
; FloatMode: 240
; IeeeMode: 1
; LDSByteSize: 0 bytes/workgroup (compile time only)
; SGPRBlocks: 0
; VGPRBlocks: 0
; NumSGPRsForWavesPerEU: 4
; NumVGPRsForWavesPerEU: 1
; AccumOffset: 4
; Occupancy: 8
; WaveLimiterHint : 0
; COMPUTE_PGM_RSRC2:SCRATCH_EN: 0
; COMPUTE_PGM_RSRC2:USER_SGPR: 6
; COMPUTE_PGM_RSRC2:TRAP_HANDLER: 0
; COMPUTE_PGM_RSRC2:TGID_X_EN: 1
; COMPUTE_PGM_RSRC2:TGID_Y_EN: 0
; COMPUTE_PGM_RSRC2:TGID_Z_EN: 0
; COMPUTE_PGM_RSRC2:TIDIG_COMP_CNT: 0
; COMPUTE_PGM_RSRC3_GFX90A:ACCUM_OFFSET: 0
; COMPUTE_PGM_RSRC3_GFX90A:TG_SPLIT: 0
	.section	.text._ZN7rocprim17ROCPRIM_400000_NS6detail17trampoline_kernelINS0_14default_configENS1_38merge_sort_block_merge_config_selectorIsNS0_10empty_typeEEEZZNS1_27merge_sort_block_merge_implIS3_N6thrust23THRUST_200600_302600_NS6detail15normal_iteratorINS9_10device_ptrIsEEEEPS5_jNS1_19radix_merge_compareILb0ELb1EsNS0_19identity_decomposerEEEEE10hipError_tT0_T1_T2_jT3_P12ihipStream_tbPNSt15iterator_traitsISK_E10value_typeEPNSQ_ISL_E10value_typeEPSM_NS1_7vsmem_tEENKUlT_SK_SL_SM_E_clIPsSE_SF_SF_EESJ_SZ_SK_SL_SM_EUlSZ_E_NS1_11comp_targetILNS1_3genE5ELNS1_11target_archE942ELNS1_3gpuE9ELNS1_3repE0EEENS1_48merge_mergepath_partition_config_static_selectorELNS0_4arch9wavefront6targetE1EEEvSL_,"axG",@progbits,_ZN7rocprim17ROCPRIM_400000_NS6detail17trampoline_kernelINS0_14default_configENS1_38merge_sort_block_merge_config_selectorIsNS0_10empty_typeEEEZZNS1_27merge_sort_block_merge_implIS3_N6thrust23THRUST_200600_302600_NS6detail15normal_iteratorINS9_10device_ptrIsEEEEPS5_jNS1_19radix_merge_compareILb0ELb1EsNS0_19identity_decomposerEEEEE10hipError_tT0_T1_T2_jT3_P12ihipStream_tbPNSt15iterator_traitsISK_E10value_typeEPNSQ_ISL_E10value_typeEPSM_NS1_7vsmem_tEENKUlT_SK_SL_SM_E_clIPsSE_SF_SF_EESJ_SZ_SK_SL_SM_EUlSZ_E_NS1_11comp_targetILNS1_3genE5ELNS1_11target_archE942ELNS1_3gpuE9ELNS1_3repE0EEENS1_48merge_mergepath_partition_config_static_selectorELNS0_4arch9wavefront6targetE1EEEvSL_,comdat
	.protected	_ZN7rocprim17ROCPRIM_400000_NS6detail17trampoline_kernelINS0_14default_configENS1_38merge_sort_block_merge_config_selectorIsNS0_10empty_typeEEEZZNS1_27merge_sort_block_merge_implIS3_N6thrust23THRUST_200600_302600_NS6detail15normal_iteratorINS9_10device_ptrIsEEEEPS5_jNS1_19radix_merge_compareILb0ELb1EsNS0_19identity_decomposerEEEEE10hipError_tT0_T1_T2_jT3_P12ihipStream_tbPNSt15iterator_traitsISK_E10value_typeEPNSQ_ISL_E10value_typeEPSM_NS1_7vsmem_tEENKUlT_SK_SL_SM_E_clIPsSE_SF_SF_EESJ_SZ_SK_SL_SM_EUlSZ_E_NS1_11comp_targetILNS1_3genE5ELNS1_11target_archE942ELNS1_3gpuE9ELNS1_3repE0EEENS1_48merge_mergepath_partition_config_static_selectorELNS0_4arch9wavefront6targetE1EEEvSL_ ; -- Begin function _ZN7rocprim17ROCPRIM_400000_NS6detail17trampoline_kernelINS0_14default_configENS1_38merge_sort_block_merge_config_selectorIsNS0_10empty_typeEEEZZNS1_27merge_sort_block_merge_implIS3_N6thrust23THRUST_200600_302600_NS6detail15normal_iteratorINS9_10device_ptrIsEEEEPS5_jNS1_19radix_merge_compareILb0ELb1EsNS0_19identity_decomposerEEEEE10hipError_tT0_T1_T2_jT3_P12ihipStream_tbPNSt15iterator_traitsISK_E10value_typeEPNSQ_ISL_E10value_typeEPSM_NS1_7vsmem_tEENKUlT_SK_SL_SM_E_clIPsSE_SF_SF_EESJ_SZ_SK_SL_SM_EUlSZ_E_NS1_11comp_targetILNS1_3genE5ELNS1_11target_archE942ELNS1_3gpuE9ELNS1_3repE0EEENS1_48merge_mergepath_partition_config_static_selectorELNS0_4arch9wavefront6targetE1EEEvSL_
	.globl	_ZN7rocprim17ROCPRIM_400000_NS6detail17trampoline_kernelINS0_14default_configENS1_38merge_sort_block_merge_config_selectorIsNS0_10empty_typeEEEZZNS1_27merge_sort_block_merge_implIS3_N6thrust23THRUST_200600_302600_NS6detail15normal_iteratorINS9_10device_ptrIsEEEEPS5_jNS1_19radix_merge_compareILb0ELb1EsNS0_19identity_decomposerEEEEE10hipError_tT0_T1_T2_jT3_P12ihipStream_tbPNSt15iterator_traitsISK_E10value_typeEPNSQ_ISL_E10value_typeEPSM_NS1_7vsmem_tEENKUlT_SK_SL_SM_E_clIPsSE_SF_SF_EESJ_SZ_SK_SL_SM_EUlSZ_E_NS1_11comp_targetILNS1_3genE5ELNS1_11target_archE942ELNS1_3gpuE9ELNS1_3repE0EEENS1_48merge_mergepath_partition_config_static_selectorELNS0_4arch9wavefront6targetE1EEEvSL_
	.p2align	8
	.type	_ZN7rocprim17ROCPRIM_400000_NS6detail17trampoline_kernelINS0_14default_configENS1_38merge_sort_block_merge_config_selectorIsNS0_10empty_typeEEEZZNS1_27merge_sort_block_merge_implIS3_N6thrust23THRUST_200600_302600_NS6detail15normal_iteratorINS9_10device_ptrIsEEEEPS5_jNS1_19radix_merge_compareILb0ELb1EsNS0_19identity_decomposerEEEEE10hipError_tT0_T1_T2_jT3_P12ihipStream_tbPNSt15iterator_traitsISK_E10value_typeEPNSQ_ISL_E10value_typeEPSM_NS1_7vsmem_tEENKUlT_SK_SL_SM_E_clIPsSE_SF_SF_EESJ_SZ_SK_SL_SM_EUlSZ_E_NS1_11comp_targetILNS1_3genE5ELNS1_11target_archE942ELNS1_3gpuE9ELNS1_3repE0EEENS1_48merge_mergepath_partition_config_static_selectorELNS0_4arch9wavefront6targetE1EEEvSL_,@function
_ZN7rocprim17ROCPRIM_400000_NS6detail17trampoline_kernelINS0_14default_configENS1_38merge_sort_block_merge_config_selectorIsNS0_10empty_typeEEEZZNS1_27merge_sort_block_merge_implIS3_N6thrust23THRUST_200600_302600_NS6detail15normal_iteratorINS9_10device_ptrIsEEEEPS5_jNS1_19radix_merge_compareILb0ELb1EsNS0_19identity_decomposerEEEEE10hipError_tT0_T1_T2_jT3_P12ihipStream_tbPNSt15iterator_traitsISK_E10value_typeEPNSQ_ISL_E10value_typeEPSM_NS1_7vsmem_tEENKUlT_SK_SL_SM_E_clIPsSE_SF_SF_EESJ_SZ_SK_SL_SM_EUlSZ_E_NS1_11comp_targetILNS1_3genE5ELNS1_11target_archE942ELNS1_3gpuE9ELNS1_3repE0EEENS1_48merge_mergepath_partition_config_static_selectorELNS0_4arch9wavefront6targetE1EEEvSL_: ; @_ZN7rocprim17ROCPRIM_400000_NS6detail17trampoline_kernelINS0_14default_configENS1_38merge_sort_block_merge_config_selectorIsNS0_10empty_typeEEEZZNS1_27merge_sort_block_merge_implIS3_N6thrust23THRUST_200600_302600_NS6detail15normal_iteratorINS9_10device_ptrIsEEEEPS5_jNS1_19radix_merge_compareILb0ELb1EsNS0_19identity_decomposerEEEEE10hipError_tT0_T1_T2_jT3_P12ihipStream_tbPNSt15iterator_traitsISK_E10value_typeEPNSQ_ISL_E10value_typeEPSM_NS1_7vsmem_tEENKUlT_SK_SL_SM_E_clIPsSE_SF_SF_EESJ_SZ_SK_SL_SM_EUlSZ_E_NS1_11comp_targetILNS1_3genE5ELNS1_11target_archE942ELNS1_3gpuE9ELNS1_3repE0EEENS1_48merge_mergepath_partition_config_static_selectorELNS0_4arch9wavefront6targetE1EEEvSL_
; %bb.0:
	.section	.rodata,"a",@progbits
	.p2align	6, 0x0
	.amdhsa_kernel _ZN7rocprim17ROCPRIM_400000_NS6detail17trampoline_kernelINS0_14default_configENS1_38merge_sort_block_merge_config_selectorIsNS0_10empty_typeEEEZZNS1_27merge_sort_block_merge_implIS3_N6thrust23THRUST_200600_302600_NS6detail15normal_iteratorINS9_10device_ptrIsEEEEPS5_jNS1_19radix_merge_compareILb0ELb1EsNS0_19identity_decomposerEEEEE10hipError_tT0_T1_T2_jT3_P12ihipStream_tbPNSt15iterator_traitsISK_E10value_typeEPNSQ_ISL_E10value_typeEPSM_NS1_7vsmem_tEENKUlT_SK_SL_SM_E_clIPsSE_SF_SF_EESJ_SZ_SK_SL_SM_EUlSZ_E_NS1_11comp_targetILNS1_3genE5ELNS1_11target_archE942ELNS1_3gpuE9ELNS1_3repE0EEENS1_48merge_mergepath_partition_config_static_selectorELNS0_4arch9wavefront6targetE1EEEvSL_
		.amdhsa_group_segment_fixed_size 0
		.amdhsa_private_segment_fixed_size 0
		.amdhsa_kernarg_size 40
		.amdhsa_user_sgpr_count 6
		.amdhsa_user_sgpr_private_segment_buffer 1
		.amdhsa_user_sgpr_dispatch_ptr 0
		.amdhsa_user_sgpr_queue_ptr 0
		.amdhsa_user_sgpr_kernarg_segment_ptr 1
		.amdhsa_user_sgpr_dispatch_id 0
		.amdhsa_user_sgpr_flat_scratch_init 0
		.amdhsa_user_sgpr_kernarg_preload_length 0
		.amdhsa_user_sgpr_kernarg_preload_offset 0
		.amdhsa_user_sgpr_private_segment_size 0
		.amdhsa_uses_dynamic_stack 0
		.amdhsa_system_sgpr_private_segment_wavefront_offset 0
		.amdhsa_system_sgpr_workgroup_id_x 1
		.amdhsa_system_sgpr_workgroup_id_y 0
		.amdhsa_system_sgpr_workgroup_id_z 0
		.amdhsa_system_sgpr_workgroup_info 0
		.amdhsa_system_vgpr_workitem_id 0
		.amdhsa_next_free_vgpr 1
		.amdhsa_next_free_sgpr 0
		.amdhsa_accum_offset 4
		.amdhsa_reserve_vcc 0
		.amdhsa_reserve_flat_scratch 0
		.amdhsa_float_round_mode_32 0
		.amdhsa_float_round_mode_16_64 0
		.amdhsa_float_denorm_mode_32 3
		.amdhsa_float_denorm_mode_16_64 3
		.amdhsa_dx10_clamp 1
		.amdhsa_ieee_mode 1
		.amdhsa_fp16_overflow 0
		.amdhsa_tg_split 0
		.amdhsa_exception_fp_ieee_invalid_op 0
		.amdhsa_exception_fp_denorm_src 0
		.amdhsa_exception_fp_ieee_div_zero 0
		.amdhsa_exception_fp_ieee_overflow 0
		.amdhsa_exception_fp_ieee_underflow 0
		.amdhsa_exception_fp_ieee_inexact 0
		.amdhsa_exception_int_div_zero 0
	.end_amdhsa_kernel
	.section	.text._ZN7rocprim17ROCPRIM_400000_NS6detail17trampoline_kernelINS0_14default_configENS1_38merge_sort_block_merge_config_selectorIsNS0_10empty_typeEEEZZNS1_27merge_sort_block_merge_implIS3_N6thrust23THRUST_200600_302600_NS6detail15normal_iteratorINS9_10device_ptrIsEEEEPS5_jNS1_19radix_merge_compareILb0ELb1EsNS0_19identity_decomposerEEEEE10hipError_tT0_T1_T2_jT3_P12ihipStream_tbPNSt15iterator_traitsISK_E10value_typeEPNSQ_ISL_E10value_typeEPSM_NS1_7vsmem_tEENKUlT_SK_SL_SM_E_clIPsSE_SF_SF_EESJ_SZ_SK_SL_SM_EUlSZ_E_NS1_11comp_targetILNS1_3genE5ELNS1_11target_archE942ELNS1_3gpuE9ELNS1_3repE0EEENS1_48merge_mergepath_partition_config_static_selectorELNS0_4arch9wavefront6targetE1EEEvSL_,"axG",@progbits,_ZN7rocprim17ROCPRIM_400000_NS6detail17trampoline_kernelINS0_14default_configENS1_38merge_sort_block_merge_config_selectorIsNS0_10empty_typeEEEZZNS1_27merge_sort_block_merge_implIS3_N6thrust23THRUST_200600_302600_NS6detail15normal_iteratorINS9_10device_ptrIsEEEEPS5_jNS1_19radix_merge_compareILb0ELb1EsNS0_19identity_decomposerEEEEE10hipError_tT0_T1_T2_jT3_P12ihipStream_tbPNSt15iterator_traitsISK_E10value_typeEPNSQ_ISL_E10value_typeEPSM_NS1_7vsmem_tEENKUlT_SK_SL_SM_E_clIPsSE_SF_SF_EESJ_SZ_SK_SL_SM_EUlSZ_E_NS1_11comp_targetILNS1_3genE5ELNS1_11target_archE942ELNS1_3gpuE9ELNS1_3repE0EEENS1_48merge_mergepath_partition_config_static_selectorELNS0_4arch9wavefront6targetE1EEEvSL_,comdat
.Lfunc_end1877:
	.size	_ZN7rocprim17ROCPRIM_400000_NS6detail17trampoline_kernelINS0_14default_configENS1_38merge_sort_block_merge_config_selectorIsNS0_10empty_typeEEEZZNS1_27merge_sort_block_merge_implIS3_N6thrust23THRUST_200600_302600_NS6detail15normal_iteratorINS9_10device_ptrIsEEEEPS5_jNS1_19radix_merge_compareILb0ELb1EsNS0_19identity_decomposerEEEEE10hipError_tT0_T1_T2_jT3_P12ihipStream_tbPNSt15iterator_traitsISK_E10value_typeEPNSQ_ISL_E10value_typeEPSM_NS1_7vsmem_tEENKUlT_SK_SL_SM_E_clIPsSE_SF_SF_EESJ_SZ_SK_SL_SM_EUlSZ_E_NS1_11comp_targetILNS1_3genE5ELNS1_11target_archE942ELNS1_3gpuE9ELNS1_3repE0EEENS1_48merge_mergepath_partition_config_static_selectorELNS0_4arch9wavefront6targetE1EEEvSL_, .Lfunc_end1877-_ZN7rocprim17ROCPRIM_400000_NS6detail17trampoline_kernelINS0_14default_configENS1_38merge_sort_block_merge_config_selectorIsNS0_10empty_typeEEEZZNS1_27merge_sort_block_merge_implIS3_N6thrust23THRUST_200600_302600_NS6detail15normal_iteratorINS9_10device_ptrIsEEEEPS5_jNS1_19radix_merge_compareILb0ELb1EsNS0_19identity_decomposerEEEEE10hipError_tT0_T1_T2_jT3_P12ihipStream_tbPNSt15iterator_traitsISK_E10value_typeEPNSQ_ISL_E10value_typeEPSM_NS1_7vsmem_tEENKUlT_SK_SL_SM_E_clIPsSE_SF_SF_EESJ_SZ_SK_SL_SM_EUlSZ_E_NS1_11comp_targetILNS1_3genE5ELNS1_11target_archE942ELNS1_3gpuE9ELNS1_3repE0EEENS1_48merge_mergepath_partition_config_static_selectorELNS0_4arch9wavefront6targetE1EEEvSL_
                                        ; -- End function
	.section	.AMDGPU.csdata,"",@progbits
; Kernel info:
; codeLenInByte = 0
; NumSgprs: 4
; NumVgprs: 0
; NumAgprs: 0
; TotalNumVgprs: 0
; ScratchSize: 0
; MemoryBound: 0
; FloatMode: 240
; IeeeMode: 1
; LDSByteSize: 0 bytes/workgroup (compile time only)
; SGPRBlocks: 0
; VGPRBlocks: 0
; NumSGPRsForWavesPerEU: 4
; NumVGPRsForWavesPerEU: 1
; AccumOffset: 4
; Occupancy: 8
; WaveLimiterHint : 0
; COMPUTE_PGM_RSRC2:SCRATCH_EN: 0
; COMPUTE_PGM_RSRC2:USER_SGPR: 6
; COMPUTE_PGM_RSRC2:TRAP_HANDLER: 0
; COMPUTE_PGM_RSRC2:TGID_X_EN: 1
; COMPUTE_PGM_RSRC2:TGID_Y_EN: 0
; COMPUTE_PGM_RSRC2:TGID_Z_EN: 0
; COMPUTE_PGM_RSRC2:TIDIG_COMP_CNT: 0
; COMPUTE_PGM_RSRC3_GFX90A:ACCUM_OFFSET: 0
; COMPUTE_PGM_RSRC3_GFX90A:TG_SPLIT: 0
	.section	.text._ZN7rocprim17ROCPRIM_400000_NS6detail17trampoline_kernelINS0_14default_configENS1_38merge_sort_block_merge_config_selectorIsNS0_10empty_typeEEEZZNS1_27merge_sort_block_merge_implIS3_N6thrust23THRUST_200600_302600_NS6detail15normal_iteratorINS9_10device_ptrIsEEEEPS5_jNS1_19radix_merge_compareILb0ELb1EsNS0_19identity_decomposerEEEEE10hipError_tT0_T1_T2_jT3_P12ihipStream_tbPNSt15iterator_traitsISK_E10value_typeEPNSQ_ISL_E10value_typeEPSM_NS1_7vsmem_tEENKUlT_SK_SL_SM_E_clIPsSE_SF_SF_EESJ_SZ_SK_SL_SM_EUlSZ_E_NS1_11comp_targetILNS1_3genE4ELNS1_11target_archE910ELNS1_3gpuE8ELNS1_3repE0EEENS1_48merge_mergepath_partition_config_static_selectorELNS0_4arch9wavefront6targetE1EEEvSL_,"axG",@progbits,_ZN7rocprim17ROCPRIM_400000_NS6detail17trampoline_kernelINS0_14default_configENS1_38merge_sort_block_merge_config_selectorIsNS0_10empty_typeEEEZZNS1_27merge_sort_block_merge_implIS3_N6thrust23THRUST_200600_302600_NS6detail15normal_iteratorINS9_10device_ptrIsEEEEPS5_jNS1_19radix_merge_compareILb0ELb1EsNS0_19identity_decomposerEEEEE10hipError_tT0_T1_T2_jT3_P12ihipStream_tbPNSt15iterator_traitsISK_E10value_typeEPNSQ_ISL_E10value_typeEPSM_NS1_7vsmem_tEENKUlT_SK_SL_SM_E_clIPsSE_SF_SF_EESJ_SZ_SK_SL_SM_EUlSZ_E_NS1_11comp_targetILNS1_3genE4ELNS1_11target_archE910ELNS1_3gpuE8ELNS1_3repE0EEENS1_48merge_mergepath_partition_config_static_selectorELNS0_4arch9wavefront6targetE1EEEvSL_,comdat
	.protected	_ZN7rocprim17ROCPRIM_400000_NS6detail17trampoline_kernelINS0_14default_configENS1_38merge_sort_block_merge_config_selectorIsNS0_10empty_typeEEEZZNS1_27merge_sort_block_merge_implIS3_N6thrust23THRUST_200600_302600_NS6detail15normal_iteratorINS9_10device_ptrIsEEEEPS5_jNS1_19radix_merge_compareILb0ELb1EsNS0_19identity_decomposerEEEEE10hipError_tT0_T1_T2_jT3_P12ihipStream_tbPNSt15iterator_traitsISK_E10value_typeEPNSQ_ISL_E10value_typeEPSM_NS1_7vsmem_tEENKUlT_SK_SL_SM_E_clIPsSE_SF_SF_EESJ_SZ_SK_SL_SM_EUlSZ_E_NS1_11comp_targetILNS1_3genE4ELNS1_11target_archE910ELNS1_3gpuE8ELNS1_3repE0EEENS1_48merge_mergepath_partition_config_static_selectorELNS0_4arch9wavefront6targetE1EEEvSL_ ; -- Begin function _ZN7rocprim17ROCPRIM_400000_NS6detail17trampoline_kernelINS0_14default_configENS1_38merge_sort_block_merge_config_selectorIsNS0_10empty_typeEEEZZNS1_27merge_sort_block_merge_implIS3_N6thrust23THRUST_200600_302600_NS6detail15normal_iteratorINS9_10device_ptrIsEEEEPS5_jNS1_19radix_merge_compareILb0ELb1EsNS0_19identity_decomposerEEEEE10hipError_tT0_T1_T2_jT3_P12ihipStream_tbPNSt15iterator_traitsISK_E10value_typeEPNSQ_ISL_E10value_typeEPSM_NS1_7vsmem_tEENKUlT_SK_SL_SM_E_clIPsSE_SF_SF_EESJ_SZ_SK_SL_SM_EUlSZ_E_NS1_11comp_targetILNS1_3genE4ELNS1_11target_archE910ELNS1_3gpuE8ELNS1_3repE0EEENS1_48merge_mergepath_partition_config_static_selectorELNS0_4arch9wavefront6targetE1EEEvSL_
	.globl	_ZN7rocprim17ROCPRIM_400000_NS6detail17trampoline_kernelINS0_14default_configENS1_38merge_sort_block_merge_config_selectorIsNS0_10empty_typeEEEZZNS1_27merge_sort_block_merge_implIS3_N6thrust23THRUST_200600_302600_NS6detail15normal_iteratorINS9_10device_ptrIsEEEEPS5_jNS1_19radix_merge_compareILb0ELb1EsNS0_19identity_decomposerEEEEE10hipError_tT0_T1_T2_jT3_P12ihipStream_tbPNSt15iterator_traitsISK_E10value_typeEPNSQ_ISL_E10value_typeEPSM_NS1_7vsmem_tEENKUlT_SK_SL_SM_E_clIPsSE_SF_SF_EESJ_SZ_SK_SL_SM_EUlSZ_E_NS1_11comp_targetILNS1_3genE4ELNS1_11target_archE910ELNS1_3gpuE8ELNS1_3repE0EEENS1_48merge_mergepath_partition_config_static_selectorELNS0_4arch9wavefront6targetE1EEEvSL_
	.p2align	8
	.type	_ZN7rocprim17ROCPRIM_400000_NS6detail17trampoline_kernelINS0_14default_configENS1_38merge_sort_block_merge_config_selectorIsNS0_10empty_typeEEEZZNS1_27merge_sort_block_merge_implIS3_N6thrust23THRUST_200600_302600_NS6detail15normal_iteratorINS9_10device_ptrIsEEEEPS5_jNS1_19radix_merge_compareILb0ELb1EsNS0_19identity_decomposerEEEEE10hipError_tT0_T1_T2_jT3_P12ihipStream_tbPNSt15iterator_traitsISK_E10value_typeEPNSQ_ISL_E10value_typeEPSM_NS1_7vsmem_tEENKUlT_SK_SL_SM_E_clIPsSE_SF_SF_EESJ_SZ_SK_SL_SM_EUlSZ_E_NS1_11comp_targetILNS1_3genE4ELNS1_11target_archE910ELNS1_3gpuE8ELNS1_3repE0EEENS1_48merge_mergepath_partition_config_static_selectorELNS0_4arch9wavefront6targetE1EEEvSL_,@function
_ZN7rocprim17ROCPRIM_400000_NS6detail17trampoline_kernelINS0_14default_configENS1_38merge_sort_block_merge_config_selectorIsNS0_10empty_typeEEEZZNS1_27merge_sort_block_merge_implIS3_N6thrust23THRUST_200600_302600_NS6detail15normal_iteratorINS9_10device_ptrIsEEEEPS5_jNS1_19radix_merge_compareILb0ELb1EsNS0_19identity_decomposerEEEEE10hipError_tT0_T1_T2_jT3_P12ihipStream_tbPNSt15iterator_traitsISK_E10value_typeEPNSQ_ISL_E10value_typeEPSM_NS1_7vsmem_tEENKUlT_SK_SL_SM_E_clIPsSE_SF_SF_EESJ_SZ_SK_SL_SM_EUlSZ_E_NS1_11comp_targetILNS1_3genE4ELNS1_11target_archE910ELNS1_3gpuE8ELNS1_3repE0EEENS1_48merge_mergepath_partition_config_static_selectorELNS0_4arch9wavefront6targetE1EEEvSL_: ; @_ZN7rocprim17ROCPRIM_400000_NS6detail17trampoline_kernelINS0_14default_configENS1_38merge_sort_block_merge_config_selectorIsNS0_10empty_typeEEEZZNS1_27merge_sort_block_merge_implIS3_N6thrust23THRUST_200600_302600_NS6detail15normal_iteratorINS9_10device_ptrIsEEEEPS5_jNS1_19radix_merge_compareILb0ELb1EsNS0_19identity_decomposerEEEEE10hipError_tT0_T1_T2_jT3_P12ihipStream_tbPNSt15iterator_traitsISK_E10value_typeEPNSQ_ISL_E10value_typeEPSM_NS1_7vsmem_tEENKUlT_SK_SL_SM_E_clIPsSE_SF_SF_EESJ_SZ_SK_SL_SM_EUlSZ_E_NS1_11comp_targetILNS1_3genE4ELNS1_11target_archE910ELNS1_3gpuE8ELNS1_3repE0EEENS1_48merge_mergepath_partition_config_static_selectorELNS0_4arch9wavefront6targetE1EEEvSL_
; %bb.0:
	s_load_dword s0, s[4:5], 0x0
	v_lshl_or_b32 v0, s6, 7, v0
	s_waitcnt lgkmcnt(0)
	v_cmp_gt_u32_e32 vcc, s0, v0
	s_and_saveexec_b64 s[0:1], vcc
	s_cbranch_execz .LBB1878_6
; %bb.1:
	s_load_dwordx2 s[2:3], s[4:5], 0x4
	s_load_dwordx2 s[0:1], s[4:5], 0x20
	s_waitcnt lgkmcnt(0)
	s_lshr_b32 s6, s2, 9
	s_and_b32 s6, s6, 0x7ffffe
	s_add_i32 s7, s6, -1
	s_sub_i32 s6, 0, s6
	v_and_b32_e32 v1, s6, v0
	v_lshlrev_b32_e32 v1, 10, v1
	v_min_u32_e32 v2, s3, v1
	v_add_u32_e32 v1, s2, v1
	v_min_u32_e32 v4, s3, v1
	v_add_u32_e32 v1, s2, v4
	v_and_b32_e32 v3, s7, v0
	v_min_u32_e32 v1, s3, v1
	v_sub_u32_e32 v5, v1, v2
	v_lshlrev_b32_e32 v3, 10, v3
	v_min_u32_e32 v6, v5, v3
	v_sub_u32_e32 v3, v4, v2
	v_sub_u32_e32 v1, v1, v4
	v_sub_u32_e64 v1, v6, v1 clamp
	v_min_u32_e32 v7, v6, v3
	v_cmp_lt_u32_e32 vcc, v1, v7
	s_and_saveexec_b64 s[2:3], vcc
	s_cbranch_execz .LBB1878_5
; %bb.2:
	s_load_dwordx2 s[8:9], s[4:5], 0x10
	s_load_dword s6, s[4:5], 0x18
	v_mov_b32_e32 v5, 0
	v_mov_b32_e32 v3, v5
	v_lshlrev_b64 v[8:9], 1, v[2:3]
	s_waitcnt lgkmcnt(0)
	v_mov_b32_e32 v12, s9
	v_add_co_u32_e32 v3, vcc, s8, v8
	v_addc_co_u32_e32 v8, vcc, v12, v9, vcc
	v_lshlrev_b64 v[10:11], 1, v[4:5]
	v_add_co_u32_e32 v9, vcc, s8, v10
	v_addc_co_u32_e32 v10, vcc, v12, v11, vcc
	s_mov_b64 s[4:5], 0
.LBB1878_3:                             ; =>This Inner Loop Header: Depth=1
	v_add_u32_e32 v4, v7, v1
	v_and_b32_e32 v12, -2, v4
	v_lshrrev_b32_e32 v11, 1, v4
	v_add_co_u32_e32 v12, vcc, v3, v12
	v_xad_u32 v4, v11, -1, v6
	v_addc_co_u32_e32 v13, vcc, 0, v8, vcc
	global_load_ushort v14, v[12:13], off
	v_lshlrev_b64 v[12:13], 1, v[4:5]
	v_add_co_u32_e32 v12, vcc, v9, v12
	v_addc_co_u32_e32 v13, vcc, v10, v13, vcc
	global_load_ushort v4, v[12:13], off
	v_add_u32_e32 v12, 1, v11
	s_waitcnt vmcnt(1)
	v_and_b32_e32 v13, s6, v14
	s_waitcnt vmcnt(0)
	v_and_b32_e32 v4, s6, v4
	v_cmp_gt_i16_e32 vcc, v13, v4
	v_cndmask_b32_e32 v7, v7, v11, vcc
	v_cndmask_b32_e32 v1, v12, v1, vcc
	v_cmp_ge_u32_e32 vcc, v1, v7
	s_or_b64 s[4:5], vcc, s[4:5]
	s_andn2_b64 exec, exec, s[4:5]
	s_cbranch_execnz .LBB1878_3
; %bb.4:
	s_or_b64 exec, exec, s[4:5]
.LBB1878_5:
	s_or_b64 exec, exec, s[2:3]
	v_add_u32_e32 v2, v1, v2
	v_mov_b32_e32 v1, 0
	v_lshlrev_b64 v[0:1], 2, v[0:1]
	v_mov_b32_e32 v3, s1
	v_add_co_u32_e32 v0, vcc, s0, v0
	v_addc_co_u32_e32 v1, vcc, v3, v1, vcc
	global_store_dword v[0:1], v2, off
.LBB1878_6:
	s_endpgm
	.section	.rodata,"a",@progbits
	.p2align	6, 0x0
	.amdhsa_kernel _ZN7rocprim17ROCPRIM_400000_NS6detail17trampoline_kernelINS0_14default_configENS1_38merge_sort_block_merge_config_selectorIsNS0_10empty_typeEEEZZNS1_27merge_sort_block_merge_implIS3_N6thrust23THRUST_200600_302600_NS6detail15normal_iteratorINS9_10device_ptrIsEEEEPS5_jNS1_19radix_merge_compareILb0ELb1EsNS0_19identity_decomposerEEEEE10hipError_tT0_T1_T2_jT3_P12ihipStream_tbPNSt15iterator_traitsISK_E10value_typeEPNSQ_ISL_E10value_typeEPSM_NS1_7vsmem_tEENKUlT_SK_SL_SM_E_clIPsSE_SF_SF_EESJ_SZ_SK_SL_SM_EUlSZ_E_NS1_11comp_targetILNS1_3genE4ELNS1_11target_archE910ELNS1_3gpuE8ELNS1_3repE0EEENS1_48merge_mergepath_partition_config_static_selectorELNS0_4arch9wavefront6targetE1EEEvSL_
		.amdhsa_group_segment_fixed_size 0
		.amdhsa_private_segment_fixed_size 0
		.amdhsa_kernarg_size 40
		.amdhsa_user_sgpr_count 6
		.amdhsa_user_sgpr_private_segment_buffer 1
		.amdhsa_user_sgpr_dispatch_ptr 0
		.amdhsa_user_sgpr_queue_ptr 0
		.amdhsa_user_sgpr_kernarg_segment_ptr 1
		.amdhsa_user_sgpr_dispatch_id 0
		.amdhsa_user_sgpr_flat_scratch_init 0
		.amdhsa_user_sgpr_kernarg_preload_length 0
		.amdhsa_user_sgpr_kernarg_preload_offset 0
		.amdhsa_user_sgpr_private_segment_size 0
		.amdhsa_uses_dynamic_stack 0
		.amdhsa_system_sgpr_private_segment_wavefront_offset 0
		.amdhsa_system_sgpr_workgroup_id_x 1
		.amdhsa_system_sgpr_workgroup_id_y 0
		.amdhsa_system_sgpr_workgroup_id_z 0
		.amdhsa_system_sgpr_workgroup_info 0
		.amdhsa_system_vgpr_workitem_id 0
		.amdhsa_next_free_vgpr 15
		.amdhsa_next_free_sgpr 10
		.amdhsa_accum_offset 16
		.amdhsa_reserve_vcc 1
		.amdhsa_reserve_flat_scratch 0
		.amdhsa_float_round_mode_32 0
		.amdhsa_float_round_mode_16_64 0
		.amdhsa_float_denorm_mode_32 3
		.amdhsa_float_denorm_mode_16_64 3
		.amdhsa_dx10_clamp 1
		.amdhsa_ieee_mode 1
		.amdhsa_fp16_overflow 0
		.amdhsa_tg_split 0
		.amdhsa_exception_fp_ieee_invalid_op 0
		.amdhsa_exception_fp_denorm_src 0
		.amdhsa_exception_fp_ieee_div_zero 0
		.amdhsa_exception_fp_ieee_overflow 0
		.amdhsa_exception_fp_ieee_underflow 0
		.amdhsa_exception_fp_ieee_inexact 0
		.amdhsa_exception_int_div_zero 0
	.end_amdhsa_kernel
	.section	.text._ZN7rocprim17ROCPRIM_400000_NS6detail17trampoline_kernelINS0_14default_configENS1_38merge_sort_block_merge_config_selectorIsNS0_10empty_typeEEEZZNS1_27merge_sort_block_merge_implIS3_N6thrust23THRUST_200600_302600_NS6detail15normal_iteratorINS9_10device_ptrIsEEEEPS5_jNS1_19radix_merge_compareILb0ELb1EsNS0_19identity_decomposerEEEEE10hipError_tT0_T1_T2_jT3_P12ihipStream_tbPNSt15iterator_traitsISK_E10value_typeEPNSQ_ISL_E10value_typeEPSM_NS1_7vsmem_tEENKUlT_SK_SL_SM_E_clIPsSE_SF_SF_EESJ_SZ_SK_SL_SM_EUlSZ_E_NS1_11comp_targetILNS1_3genE4ELNS1_11target_archE910ELNS1_3gpuE8ELNS1_3repE0EEENS1_48merge_mergepath_partition_config_static_selectorELNS0_4arch9wavefront6targetE1EEEvSL_,"axG",@progbits,_ZN7rocprim17ROCPRIM_400000_NS6detail17trampoline_kernelINS0_14default_configENS1_38merge_sort_block_merge_config_selectorIsNS0_10empty_typeEEEZZNS1_27merge_sort_block_merge_implIS3_N6thrust23THRUST_200600_302600_NS6detail15normal_iteratorINS9_10device_ptrIsEEEEPS5_jNS1_19radix_merge_compareILb0ELb1EsNS0_19identity_decomposerEEEEE10hipError_tT0_T1_T2_jT3_P12ihipStream_tbPNSt15iterator_traitsISK_E10value_typeEPNSQ_ISL_E10value_typeEPSM_NS1_7vsmem_tEENKUlT_SK_SL_SM_E_clIPsSE_SF_SF_EESJ_SZ_SK_SL_SM_EUlSZ_E_NS1_11comp_targetILNS1_3genE4ELNS1_11target_archE910ELNS1_3gpuE8ELNS1_3repE0EEENS1_48merge_mergepath_partition_config_static_selectorELNS0_4arch9wavefront6targetE1EEEvSL_,comdat
.Lfunc_end1878:
	.size	_ZN7rocprim17ROCPRIM_400000_NS6detail17trampoline_kernelINS0_14default_configENS1_38merge_sort_block_merge_config_selectorIsNS0_10empty_typeEEEZZNS1_27merge_sort_block_merge_implIS3_N6thrust23THRUST_200600_302600_NS6detail15normal_iteratorINS9_10device_ptrIsEEEEPS5_jNS1_19radix_merge_compareILb0ELb1EsNS0_19identity_decomposerEEEEE10hipError_tT0_T1_T2_jT3_P12ihipStream_tbPNSt15iterator_traitsISK_E10value_typeEPNSQ_ISL_E10value_typeEPSM_NS1_7vsmem_tEENKUlT_SK_SL_SM_E_clIPsSE_SF_SF_EESJ_SZ_SK_SL_SM_EUlSZ_E_NS1_11comp_targetILNS1_3genE4ELNS1_11target_archE910ELNS1_3gpuE8ELNS1_3repE0EEENS1_48merge_mergepath_partition_config_static_selectorELNS0_4arch9wavefront6targetE1EEEvSL_, .Lfunc_end1878-_ZN7rocprim17ROCPRIM_400000_NS6detail17trampoline_kernelINS0_14default_configENS1_38merge_sort_block_merge_config_selectorIsNS0_10empty_typeEEEZZNS1_27merge_sort_block_merge_implIS3_N6thrust23THRUST_200600_302600_NS6detail15normal_iteratorINS9_10device_ptrIsEEEEPS5_jNS1_19radix_merge_compareILb0ELb1EsNS0_19identity_decomposerEEEEE10hipError_tT0_T1_T2_jT3_P12ihipStream_tbPNSt15iterator_traitsISK_E10value_typeEPNSQ_ISL_E10value_typeEPSM_NS1_7vsmem_tEENKUlT_SK_SL_SM_E_clIPsSE_SF_SF_EESJ_SZ_SK_SL_SM_EUlSZ_E_NS1_11comp_targetILNS1_3genE4ELNS1_11target_archE910ELNS1_3gpuE8ELNS1_3repE0EEENS1_48merge_mergepath_partition_config_static_selectorELNS0_4arch9wavefront6targetE1EEEvSL_
                                        ; -- End function
	.section	.AMDGPU.csdata,"",@progbits
; Kernel info:
; codeLenInByte = 372
; NumSgprs: 14
; NumVgprs: 15
; NumAgprs: 0
; TotalNumVgprs: 15
; ScratchSize: 0
; MemoryBound: 0
; FloatMode: 240
; IeeeMode: 1
; LDSByteSize: 0 bytes/workgroup (compile time only)
; SGPRBlocks: 1
; VGPRBlocks: 1
; NumSGPRsForWavesPerEU: 14
; NumVGPRsForWavesPerEU: 15
; AccumOffset: 16
; Occupancy: 8
; WaveLimiterHint : 0
; COMPUTE_PGM_RSRC2:SCRATCH_EN: 0
; COMPUTE_PGM_RSRC2:USER_SGPR: 6
; COMPUTE_PGM_RSRC2:TRAP_HANDLER: 0
; COMPUTE_PGM_RSRC2:TGID_X_EN: 1
; COMPUTE_PGM_RSRC2:TGID_Y_EN: 0
; COMPUTE_PGM_RSRC2:TGID_Z_EN: 0
; COMPUTE_PGM_RSRC2:TIDIG_COMP_CNT: 0
; COMPUTE_PGM_RSRC3_GFX90A:ACCUM_OFFSET: 3
; COMPUTE_PGM_RSRC3_GFX90A:TG_SPLIT: 0
	.section	.text._ZN7rocprim17ROCPRIM_400000_NS6detail17trampoline_kernelINS0_14default_configENS1_38merge_sort_block_merge_config_selectorIsNS0_10empty_typeEEEZZNS1_27merge_sort_block_merge_implIS3_N6thrust23THRUST_200600_302600_NS6detail15normal_iteratorINS9_10device_ptrIsEEEEPS5_jNS1_19radix_merge_compareILb0ELb1EsNS0_19identity_decomposerEEEEE10hipError_tT0_T1_T2_jT3_P12ihipStream_tbPNSt15iterator_traitsISK_E10value_typeEPNSQ_ISL_E10value_typeEPSM_NS1_7vsmem_tEENKUlT_SK_SL_SM_E_clIPsSE_SF_SF_EESJ_SZ_SK_SL_SM_EUlSZ_E_NS1_11comp_targetILNS1_3genE3ELNS1_11target_archE908ELNS1_3gpuE7ELNS1_3repE0EEENS1_48merge_mergepath_partition_config_static_selectorELNS0_4arch9wavefront6targetE1EEEvSL_,"axG",@progbits,_ZN7rocprim17ROCPRIM_400000_NS6detail17trampoline_kernelINS0_14default_configENS1_38merge_sort_block_merge_config_selectorIsNS0_10empty_typeEEEZZNS1_27merge_sort_block_merge_implIS3_N6thrust23THRUST_200600_302600_NS6detail15normal_iteratorINS9_10device_ptrIsEEEEPS5_jNS1_19radix_merge_compareILb0ELb1EsNS0_19identity_decomposerEEEEE10hipError_tT0_T1_T2_jT3_P12ihipStream_tbPNSt15iterator_traitsISK_E10value_typeEPNSQ_ISL_E10value_typeEPSM_NS1_7vsmem_tEENKUlT_SK_SL_SM_E_clIPsSE_SF_SF_EESJ_SZ_SK_SL_SM_EUlSZ_E_NS1_11comp_targetILNS1_3genE3ELNS1_11target_archE908ELNS1_3gpuE7ELNS1_3repE0EEENS1_48merge_mergepath_partition_config_static_selectorELNS0_4arch9wavefront6targetE1EEEvSL_,comdat
	.protected	_ZN7rocprim17ROCPRIM_400000_NS6detail17trampoline_kernelINS0_14default_configENS1_38merge_sort_block_merge_config_selectorIsNS0_10empty_typeEEEZZNS1_27merge_sort_block_merge_implIS3_N6thrust23THRUST_200600_302600_NS6detail15normal_iteratorINS9_10device_ptrIsEEEEPS5_jNS1_19radix_merge_compareILb0ELb1EsNS0_19identity_decomposerEEEEE10hipError_tT0_T1_T2_jT3_P12ihipStream_tbPNSt15iterator_traitsISK_E10value_typeEPNSQ_ISL_E10value_typeEPSM_NS1_7vsmem_tEENKUlT_SK_SL_SM_E_clIPsSE_SF_SF_EESJ_SZ_SK_SL_SM_EUlSZ_E_NS1_11comp_targetILNS1_3genE3ELNS1_11target_archE908ELNS1_3gpuE7ELNS1_3repE0EEENS1_48merge_mergepath_partition_config_static_selectorELNS0_4arch9wavefront6targetE1EEEvSL_ ; -- Begin function _ZN7rocprim17ROCPRIM_400000_NS6detail17trampoline_kernelINS0_14default_configENS1_38merge_sort_block_merge_config_selectorIsNS0_10empty_typeEEEZZNS1_27merge_sort_block_merge_implIS3_N6thrust23THRUST_200600_302600_NS6detail15normal_iteratorINS9_10device_ptrIsEEEEPS5_jNS1_19radix_merge_compareILb0ELb1EsNS0_19identity_decomposerEEEEE10hipError_tT0_T1_T2_jT3_P12ihipStream_tbPNSt15iterator_traitsISK_E10value_typeEPNSQ_ISL_E10value_typeEPSM_NS1_7vsmem_tEENKUlT_SK_SL_SM_E_clIPsSE_SF_SF_EESJ_SZ_SK_SL_SM_EUlSZ_E_NS1_11comp_targetILNS1_3genE3ELNS1_11target_archE908ELNS1_3gpuE7ELNS1_3repE0EEENS1_48merge_mergepath_partition_config_static_selectorELNS0_4arch9wavefront6targetE1EEEvSL_
	.globl	_ZN7rocprim17ROCPRIM_400000_NS6detail17trampoline_kernelINS0_14default_configENS1_38merge_sort_block_merge_config_selectorIsNS0_10empty_typeEEEZZNS1_27merge_sort_block_merge_implIS3_N6thrust23THRUST_200600_302600_NS6detail15normal_iteratorINS9_10device_ptrIsEEEEPS5_jNS1_19radix_merge_compareILb0ELb1EsNS0_19identity_decomposerEEEEE10hipError_tT0_T1_T2_jT3_P12ihipStream_tbPNSt15iterator_traitsISK_E10value_typeEPNSQ_ISL_E10value_typeEPSM_NS1_7vsmem_tEENKUlT_SK_SL_SM_E_clIPsSE_SF_SF_EESJ_SZ_SK_SL_SM_EUlSZ_E_NS1_11comp_targetILNS1_3genE3ELNS1_11target_archE908ELNS1_3gpuE7ELNS1_3repE0EEENS1_48merge_mergepath_partition_config_static_selectorELNS0_4arch9wavefront6targetE1EEEvSL_
	.p2align	8
	.type	_ZN7rocprim17ROCPRIM_400000_NS6detail17trampoline_kernelINS0_14default_configENS1_38merge_sort_block_merge_config_selectorIsNS0_10empty_typeEEEZZNS1_27merge_sort_block_merge_implIS3_N6thrust23THRUST_200600_302600_NS6detail15normal_iteratorINS9_10device_ptrIsEEEEPS5_jNS1_19radix_merge_compareILb0ELb1EsNS0_19identity_decomposerEEEEE10hipError_tT0_T1_T2_jT3_P12ihipStream_tbPNSt15iterator_traitsISK_E10value_typeEPNSQ_ISL_E10value_typeEPSM_NS1_7vsmem_tEENKUlT_SK_SL_SM_E_clIPsSE_SF_SF_EESJ_SZ_SK_SL_SM_EUlSZ_E_NS1_11comp_targetILNS1_3genE3ELNS1_11target_archE908ELNS1_3gpuE7ELNS1_3repE0EEENS1_48merge_mergepath_partition_config_static_selectorELNS0_4arch9wavefront6targetE1EEEvSL_,@function
_ZN7rocprim17ROCPRIM_400000_NS6detail17trampoline_kernelINS0_14default_configENS1_38merge_sort_block_merge_config_selectorIsNS0_10empty_typeEEEZZNS1_27merge_sort_block_merge_implIS3_N6thrust23THRUST_200600_302600_NS6detail15normal_iteratorINS9_10device_ptrIsEEEEPS5_jNS1_19radix_merge_compareILb0ELb1EsNS0_19identity_decomposerEEEEE10hipError_tT0_T1_T2_jT3_P12ihipStream_tbPNSt15iterator_traitsISK_E10value_typeEPNSQ_ISL_E10value_typeEPSM_NS1_7vsmem_tEENKUlT_SK_SL_SM_E_clIPsSE_SF_SF_EESJ_SZ_SK_SL_SM_EUlSZ_E_NS1_11comp_targetILNS1_3genE3ELNS1_11target_archE908ELNS1_3gpuE7ELNS1_3repE0EEENS1_48merge_mergepath_partition_config_static_selectorELNS0_4arch9wavefront6targetE1EEEvSL_: ; @_ZN7rocprim17ROCPRIM_400000_NS6detail17trampoline_kernelINS0_14default_configENS1_38merge_sort_block_merge_config_selectorIsNS0_10empty_typeEEEZZNS1_27merge_sort_block_merge_implIS3_N6thrust23THRUST_200600_302600_NS6detail15normal_iteratorINS9_10device_ptrIsEEEEPS5_jNS1_19radix_merge_compareILb0ELb1EsNS0_19identity_decomposerEEEEE10hipError_tT0_T1_T2_jT3_P12ihipStream_tbPNSt15iterator_traitsISK_E10value_typeEPNSQ_ISL_E10value_typeEPSM_NS1_7vsmem_tEENKUlT_SK_SL_SM_E_clIPsSE_SF_SF_EESJ_SZ_SK_SL_SM_EUlSZ_E_NS1_11comp_targetILNS1_3genE3ELNS1_11target_archE908ELNS1_3gpuE7ELNS1_3repE0EEENS1_48merge_mergepath_partition_config_static_selectorELNS0_4arch9wavefront6targetE1EEEvSL_
; %bb.0:
	.section	.rodata,"a",@progbits
	.p2align	6, 0x0
	.amdhsa_kernel _ZN7rocprim17ROCPRIM_400000_NS6detail17trampoline_kernelINS0_14default_configENS1_38merge_sort_block_merge_config_selectorIsNS0_10empty_typeEEEZZNS1_27merge_sort_block_merge_implIS3_N6thrust23THRUST_200600_302600_NS6detail15normal_iteratorINS9_10device_ptrIsEEEEPS5_jNS1_19radix_merge_compareILb0ELb1EsNS0_19identity_decomposerEEEEE10hipError_tT0_T1_T2_jT3_P12ihipStream_tbPNSt15iterator_traitsISK_E10value_typeEPNSQ_ISL_E10value_typeEPSM_NS1_7vsmem_tEENKUlT_SK_SL_SM_E_clIPsSE_SF_SF_EESJ_SZ_SK_SL_SM_EUlSZ_E_NS1_11comp_targetILNS1_3genE3ELNS1_11target_archE908ELNS1_3gpuE7ELNS1_3repE0EEENS1_48merge_mergepath_partition_config_static_selectorELNS0_4arch9wavefront6targetE1EEEvSL_
		.amdhsa_group_segment_fixed_size 0
		.amdhsa_private_segment_fixed_size 0
		.amdhsa_kernarg_size 40
		.amdhsa_user_sgpr_count 6
		.amdhsa_user_sgpr_private_segment_buffer 1
		.amdhsa_user_sgpr_dispatch_ptr 0
		.amdhsa_user_sgpr_queue_ptr 0
		.amdhsa_user_sgpr_kernarg_segment_ptr 1
		.amdhsa_user_sgpr_dispatch_id 0
		.amdhsa_user_sgpr_flat_scratch_init 0
		.amdhsa_user_sgpr_kernarg_preload_length 0
		.amdhsa_user_sgpr_kernarg_preload_offset 0
		.amdhsa_user_sgpr_private_segment_size 0
		.amdhsa_uses_dynamic_stack 0
		.amdhsa_system_sgpr_private_segment_wavefront_offset 0
		.amdhsa_system_sgpr_workgroup_id_x 1
		.amdhsa_system_sgpr_workgroup_id_y 0
		.amdhsa_system_sgpr_workgroup_id_z 0
		.amdhsa_system_sgpr_workgroup_info 0
		.amdhsa_system_vgpr_workitem_id 0
		.amdhsa_next_free_vgpr 1
		.amdhsa_next_free_sgpr 0
		.amdhsa_accum_offset 4
		.amdhsa_reserve_vcc 0
		.amdhsa_reserve_flat_scratch 0
		.amdhsa_float_round_mode_32 0
		.amdhsa_float_round_mode_16_64 0
		.amdhsa_float_denorm_mode_32 3
		.amdhsa_float_denorm_mode_16_64 3
		.amdhsa_dx10_clamp 1
		.amdhsa_ieee_mode 1
		.amdhsa_fp16_overflow 0
		.amdhsa_tg_split 0
		.amdhsa_exception_fp_ieee_invalid_op 0
		.amdhsa_exception_fp_denorm_src 0
		.amdhsa_exception_fp_ieee_div_zero 0
		.amdhsa_exception_fp_ieee_overflow 0
		.amdhsa_exception_fp_ieee_underflow 0
		.amdhsa_exception_fp_ieee_inexact 0
		.amdhsa_exception_int_div_zero 0
	.end_amdhsa_kernel
	.section	.text._ZN7rocprim17ROCPRIM_400000_NS6detail17trampoline_kernelINS0_14default_configENS1_38merge_sort_block_merge_config_selectorIsNS0_10empty_typeEEEZZNS1_27merge_sort_block_merge_implIS3_N6thrust23THRUST_200600_302600_NS6detail15normal_iteratorINS9_10device_ptrIsEEEEPS5_jNS1_19radix_merge_compareILb0ELb1EsNS0_19identity_decomposerEEEEE10hipError_tT0_T1_T2_jT3_P12ihipStream_tbPNSt15iterator_traitsISK_E10value_typeEPNSQ_ISL_E10value_typeEPSM_NS1_7vsmem_tEENKUlT_SK_SL_SM_E_clIPsSE_SF_SF_EESJ_SZ_SK_SL_SM_EUlSZ_E_NS1_11comp_targetILNS1_3genE3ELNS1_11target_archE908ELNS1_3gpuE7ELNS1_3repE0EEENS1_48merge_mergepath_partition_config_static_selectorELNS0_4arch9wavefront6targetE1EEEvSL_,"axG",@progbits,_ZN7rocprim17ROCPRIM_400000_NS6detail17trampoline_kernelINS0_14default_configENS1_38merge_sort_block_merge_config_selectorIsNS0_10empty_typeEEEZZNS1_27merge_sort_block_merge_implIS3_N6thrust23THRUST_200600_302600_NS6detail15normal_iteratorINS9_10device_ptrIsEEEEPS5_jNS1_19radix_merge_compareILb0ELb1EsNS0_19identity_decomposerEEEEE10hipError_tT0_T1_T2_jT3_P12ihipStream_tbPNSt15iterator_traitsISK_E10value_typeEPNSQ_ISL_E10value_typeEPSM_NS1_7vsmem_tEENKUlT_SK_SL_SM_E_clIPsSE_SF_SF_EESJ_SZ_SK_SL_SM_EUlSZ_E_NS1_11comp_targetILNS1_3genE3ELNS1_11target_archE908ELNS1_3gpuE7ELNS1_3repE0EEENS1_48merge_mergepath_partition_config_static_selectorELNS0_4arch9wavefront6targetE1EEEvSL_,comdat
.Lfunc_end1879:
	.size	_ZN7rocprim17ROCPRIM_400000_NS6detail17trampoline_kernelINS0_14default_configENS1_38merge_sort_block_merge_config_selectorIsNS0_10empty_typeEEEZZNS1_27merge_sort_block_merge_implIS3_N6thrust23THRUST_200600_302600_NS6detail15normal_iteratorINS9_10device_ptrIsEEEEPS5_jNS1_19radix_merge_compareILb0ELb1EsNS0_19identity_decomposerEEEEE10hipError_tT0_T1_T2_jT3_P12ihipStream_tbPNSt15iterator_traitsISK_E10value_typeEPNSQ_ISL_E10value_typeEPSM_NS1_7vsmem_tEENKUlT_SK_SL_SM_E_clIPsSE_SF_SF_EESJ_SZ_SK_SL_SM_EUlSZ_E_NS1_11comp_targetILNS1_3genE3ELNS1_11target_archE908ELNS1_3gpuE7ELNS1_3repE0EEENS1_48merge_mergepath_partition_config_static_selectorELNS0_4arch9wavefront6targetE1EEEvSL_, .Lfunc_end1879-_ZN7rocprim17ROCPRIM_400000_NS6detail17trampoline_kernelINS0_14default_configENS1_38merge_sort_block_merge_config_selectorIsNS0_10empty_typeEEEZZNS1_27merge_sort_block_merge_implIS3_N6thrust23THRUST_200600_302600_NS6detail15normal_iteratorINS9_10device_ptrIsEEEEPS5_jNS1_19radix_merge_compareILb0ELb1EsNS0_19identity_decomposerEEEEE10hipError_tT0_T1_T2_jT3_P12ihipStream_tbPNSt15iterator_traitsISK_E10value_typeEPNSQ_ISL_E10value_typeEPSM_NS1_7vsmem_tEENKUlT_SK_SL_SM_E_clIPsSE_SF_SF_EESJ_SZ_SK_SL_SM_EUlSZ_E_NS1_11comp_targetILNS1_3genE3ELNS1_11target_archE908ELNS1_3gpuE7ELNS1_3repE0EEENS1_48merge_mergepath_partition_config_static_selectorELNS0_4arch9wavefront6targetE1EEEvSL_
                                        ; -- End function
	.section	.AMDGPU.csdata,"",@progbits
; Kernel info:
; codeLenInByte = 0
; NumSgprs: 4
; NumVgprs: 0
; NumAgprs: 0
; TotalNumVgprs: 0
; ScratchSize: 0
; MemoryBound: 0
; FloatMode: 240
; IeeeMode: 1
; LDSByteSize: 0 bytes/workgroup (compile time only)
; SGPRBlocks: 0
; VGPRBlocks: 0
; NumSGPRsForWavesPerEU: 4
; NumVGPRsForWavesPerEU: 1
; AccumOffset: 4
; Occupancy: 8
; WaveLimiterHint : 0
; COMPUTE_PGM_RSRC2:SCRATCH_EN: 0
; COMPUTE_PGM_RSRC2:USER_SGPR: 6
; COMPUTE_PGM_RSRC2:TRAP_HANDLER: 0
; COMPUTE_PGM_RSRC2:TGID_X_EN: 1
; COMPUTE_PGM_RSRC2:TGID_Y_EN: 0
; COMPUTE_PGM_RSRC2:TGID_Z_EN: 0
; COMPUTE_PGM_RSRC2:TIDIG_COMP_CNT: 0
; COMPUTE_PGM_RSRC3_GFX90A:ACCUM_OFFSET: 0
; COMPUTE_PGM_RSRC3_GFX90A:TG_SPLIT: 0
	.section	.text._ZN7rocprim17ROCPRIM_400000_NS6detail17trampoline_kernelINS0_14default_configENS1_38merge_sort_block_merge_config_selectorIsNS0_10empty_typeEEEZZNS1_27merge_sort_block_merge_implIS3_N6thrust23THRUST_200600_302600_NS6detail15normal_iteratorINS9_10device_ptrIsEEEEPS5_jNS1_19radix_merge_compareILb0ELb1EsNS0_19identity_decomposerEEEEE10hipError_tT0_T1_T2_jT3_P12ihipStream_tbPNSt15iterator_traitsISK_E10value_typeEPNSQ_ISL_E10value_typeEPSM_NS1_7vsmem_tEENKUlT_SK_SL_SM_E_clIPsSE_SF_SF_EESJ_SZ_SK_SL_SM_EUlSZ_E_NS1_11comp_targetILNS1_3genE2ELNS1_11target_archE906ELNS1_3gpuE6ELNS1_3repE0EEENS1_48merge_mergepath_partition_config_static_selectorELNS0_4arch9wavefront6targetE1EEEvSL_,"axG",@progbits,_ZN7rocprim17ROCPRIM_400000_NS6detail17trampoline_kernelINS0_14default_configENS1_38merge_sort_block_merge_config_selectorIsNS0_10empty_typeEEEZZNS1_27merge_sort_block_merge_implIS3_N6thrust23THRUST_200600_302600_NS6detail15normal_iteratorINS9_10device_ptrIsEEEEPS5_jNS1_19radix_merge_compareILb0ELb1EsNS0_19identity_decomposerEEEEE10hipError_tT0_T1_T2_jT3_P12ihipStream_tbPNSt15iterator_traitsISK_E10value_typeEPNSQ_ISL_E10value_typeEPSM_NS1_7vsmem_tEENKUlT_SK_SL_SM_E_clIPsSE_SF_SF_EESJ_SZ_SK_SL_SM_EUlSZ_E_NS1_11comp_targetILNS1_3genE2ELNS1_11target_archE906ELNS1_3gpuE6ELNS1_3repE0EEENS1_48merge_mergepath_partition_config_static_selectorELNS0_4arch9wavefront6targetE1EEEvSL_,comdat
	.protected	_ZN7rocprim17ROCPRIM_400000_NS6detail17trampoline_kernelINS0_14default_configENS1_38merge_sort_block_merge_config_selectorIsNS0_10empty_typeEEEZZNS1_27merge_sort_block_merge_implIS3_N6thrust23THRUST_200600_302600_NS6detail15normal_iteratorINS9_10device_ptrIsEEEEPS5_jNS1_19radix_merge_compareILb0ELb1EsNS0_19identity_decomposerEEEEE10hipError_tT0_T1_T2_jT3_P12ihipStream_tbPNSt15iterator_traitsISK_E10value_typeEPNSQ_ISL_E10value_typeEPSM_NS1_7vsmem_tEENKUlT_SK_SL_SM_E_clIPsSE_SF_SF_EESJ_SZ_SK_SL_SM_EUlSZ_E_NS1_11comp_targetILNS1_3genE2ELNS1_11target_archE906ELNS1_3gpuE6ELNS1_3repE0EEENS1_48merge_mergepath_partition_config_static_selectorELNS0_4arch9wavefront6targetE1EEEvSL_ ; -- Begin function _ZN7rocprim17ROCPRIM_400000_NS6detail17trampoline_kernelINS0_14default_configENS1_38merge_sort_block_merge_config_selectorIsNS0_10empty_typeEEEZZNS1_27merge_sort_block_merge_implIS3_N6thrust23THRUST_200600_302600_NS6detail15normal_iteratorINS9_10device_ptrIsEEEEPS5_jNS1_19radix_merge_compareILb0ELb1EsNS0_19identity_decomposerEEEEE10hipError_tT0_T1_T2_jT3_P12ihipStream_tbPNSt15iterator_traitsISK_E10value_typeEPNSQ_ISL_E10value_typeEPSM_NS1_7vsmem_tEENKUlT_SK_SL_SM_E_clIPsSE_SF_SF_EESJ_SZ_SK_SL_SM_EUlSZ_E_NS1_11comp_targetILNS1_3genE2ELNS1_11target_archE906ELNS1_3gpuE6ELNS1_3repE0EEENS1_48merge_mergepath_partition_config_static_selectorELNS0_4arch9wavefront6targetE1EEEvSL_
	.globl	_ZN7rocprim17ROCPRIM_400000_NS6detail17trampoline_kernelINS0_14default_configENS1_38merge_sort_block_merge_config_selectorIsNS0_10empty_typeEEEZZNS1_27merge_sort_block_merge_implIS3_N6thrust23THRUST_200600_302600_NS6detail15normal_iteratorINS9_10device_ptrIsEEEEPS5_jNS1_19radix_merge_compareILb0ELb1EsNS0_19identity_decomposerEEEEE10hipError_tT0_T1_T2_jT3_P12ihipStream_tbPNSt15iterator_traitsISK_E10value_typeEPNSQ_ISL_E10value_typeEPSM_NS1_7vsmem_tEENKUlT_SK_SL_SM_E_clIPsSE_SF_SF_EESJ_SZ_SK_SL_SM_EUlSZ_E_NS1_11comp_targetILNS1_3genE2ELNS1_11target_archE906ELNS1_3gpuE6ELNS1_3repE0EEENS1_48merge_mergepath_partition_config_static_selectorELNS0_4arch9wavefront6targetE1EEEvSL_
	.p2align	8
	.type	_ZN7rocprim17ROCPRIM_400000_NS6detail17trampoline_kernelINS0_14default_configENS1_38merge_sort_block_merge_config_selectorIsNS0_10empty_typeEEEZZNS1_27merge_sort_block_merge_implIS3_N6thrust23THRUST_200600_302600_NS6detail15normal_iteratorINS9_10device_ptrIsEEEEPS5_jNS1_19radix_merge_compareILb0ELb1EsNS0_19identity_decomposerEEEEE10hipError_tT0_T1_T2_jT3_P12ihipStream_tbPNSt15iterator_traitsISK_E10value_typeEPNSQ_ISL_E10value_typeEPSM_NS1_7vsmem_tEENKUlT_SK_SL_SM_E_clIPsSE_SF_SF_EESJ_SZ_SK_SL_SM_EUlSZ_E_NS1_11comp_targetILNS1_3genE2ELNS1_11target_archE906ELNS1_3gpuE6ELNS1_3repE0EEENS1_48merge_mergepath_partition_config_static_selectorELNS0_4arch9wavefront6targetE1EEEvSL_,@function
_ZN7rocprim17ROCPRIM_400000_NS6detail17trampoline_kernelINS0_14default_configENS1_38merge_sort_block_merge_config_selectorIsNS0_10empty_typeEEEZZNS1_27merge_sort_block_merge_implIS3_N6thrust23THRUST_200600_302600_NS6detail15normal_iteratorINS9_10device_ptrIsEEEEPS5_jNS1_19radix_merge_compareILb0ELb1EsNS0_19identity_decomposerEEEEE10hipError_tT0_T1_T2_jT3_P12ihipStream_tbPNSt15iterator_traitsISK_E10value_typeEPNSQ_ISL_E10value_typeEPSM_NS1_7vsmem_tEENKUlT_SK_SL_SM_E_clIPsSE_SF_SF_EESJ_SZ_SK_SL_SM_EUlSZ_E_NS1_11comp_targetILNS1_3genE2ELNS1_11target_archE906ELNS1_3gpuE6ELNS1_3repE0EEENS1_48merge_mergepath_partition_config_static_selectorELNS0_4arch9wavefront6targetE1EEEvSL_: ; @_ZN7rocprim17ROCPRIM_400000_NS6detail17trampoline_kernelINS0_14default_configENS1_38merge_sort_block_merge_config_selectorIsNS0_10empty_typeEEEZZNS1_27merge_sort_block_merge_implIS3_N6thrust23THRUST_200600_302600_NS6detail15normal_iteratorINS9_10device_ptrIsEEEEPS5_jNS1_19radix_merge_compareILb0ELb1EsNS0_19identity_decomposerEEEEE10hipError_tT0_T1_T2_jT3_P12ihipStream_tbPNSt15iterator_traitsISK_E10value_typeEPNSQ_ISL_E10value_typeEPSM_NS1_7vsmem_tEENKUlT_SK_SL_SM_E_clIPsSE_SF_SF_EESJ_SZ_SK_SL_SM_EUlSZ_E_NS1_11comp_targetILNS1_3genE2ELNS1_11target_archE906ELNS1_3gpuE6ELNS1_3repE0EEENS1_48merge_mergepath_partition_config_static_selectorELNS0_4arch9wavefront6targetE1EEEvSL_
; %bb.0:
	.section	.rodata,"a",@progbits
	.p2align	6, 0x0
	.amdhsa_kernel _ZN7rocprim17ROCPRIM_400000_NS6detail17trampoline_kernelINS0_14default_configENS1_38merge_sort_block_merge_config_selectorIsNS0_10empty_typeEEEZZNS1_27merge_sort_block_merge_implIS3_N6thrust23THRUST_200600_302600_NS6detail15normal_iteratorINS9_10device_ptrIsEEEEPS5_jNS1_19radix_merge_compareILb0ELb1EsNS0_19identity_decomposerEEEEE10hipError_tT0_T1_T2_jT3_P12ihipStream_tbPNSt15iterator_traitsISK_E10value_typeEPNSQ_ISL_E10value_typeEPSM_NS1_7vsmem_tEENKUlT_SK_SL_SM_E_clIPsSE_SF_SF_EESJ_SZ_SK_SL_SM_EUlSZ_E_NS1_11comp_targetILNS1_3genE2ELNS1_11target_archE906ELNS1_3gpuE6ELNS1_3repE0EEENS1_48merge_mergepath_partition_config_static_selectorELNS0_4arch9wavefront6targetE1EEEvSL_
		.amdhsa_group_segment_fixed_size 0
		.amdhsa_private_segment_fixed_size 0
		.amdhsa_kernarg_size 40
		.amdhsa_user_sgpr_count 6
		.amdhsa_user_sgpr_private_segment_buffer 1
		.amdhsa_user_sgpr_dispatch_ptr 0
		.amdhsa_user_sgpr_queue_ptr 0
		.amdhsa_user_sgpr_kernarg_segment_ptr 1
		.amdhsa_user_sgpr_dispatch_id 0
		.amdhsa_user_sgpr_flat_scratch_init 0
		.amdhsa_user_sgpr_kernarg_preload_length 0
		.amdhsa_user_sgpr_kernarg_preload_offset 0
		.amdhsa_user_sgpr_private_segment_size 0
		.amdhsa_uses_dynamic_stack 0
		.amdhsa_system_sgpr_private_segment_wavefront_offset 0
		.amdhsa_system_sgpr_workgroup_id_x 1
		.amdhsa_system_sgpr_workgroup_id_y 0
		.amdhsa_system_sgpr_workgroup_id_z 0
		.amdhsa_system_sgpr_workgroup_info 0
		.amdhsa_system_vgpr_workitem_id 0
		.amdhsa_next_free_vgpr 1
		.amdhsa_next_free_sgpr 0
		.amdhsa_accum_offset 4
		.amdhsa_reserve_vcc 0
		.amdhsa_reserve_flat_scratch 0
		.amdhsa_float_round_mode_32 0
		.amdhsa_float_round_mode_16_64 0
		.amdhsa_float_denorm_mode_32 3
		.amdhsa_float_denorm_mode_16_64 3
		.amdhsa_dx10_clamp 1
		.amdhsa_ieee_mode 1
		.amdhsa_fp16_overflow 0
		.amdhsa_tg_split 0
		.amdhsa_exception_fp_ieee_invalid_op 0
		.amdhsa_exception_fp_denorm_src 0
		.amdhsa_exception_fp_ieee_div_zero 0
		.amdhsa_exception_fp_ieee_overflow 0
		.amdhsa_exception_fp_ieee_underflow 0
		.amdhsa_exception_fp_ieee_inexact 0
		.amdhsa_exception_int_div_zero 0
	.end_amdhsa_kernel
	.section	.text._ZN7rocprim17ROCPRIM_400000_NS6detail17trampoline_kernelINS0_14default_configENS1_38merge_sort_block_merge_config_selectorIsNS0_10empty_typeEEEZZNS1_27merge_sort_block_merge_implIS3_N6thrust23THRUST_200600_302600_NS6detail15normal_iteratorINS9_10device_ptrIsEEEEPS5_jNS1_19radix_merge_compareILb0ELb1EsNS0_19identity_decomposerEEEEE10hipError_tT0_T1_T2_jT3_P12ihipStream_tbPNSt15iterator_traitsISK_E10value_typeEPNSQ_ISL_E10value_typeEPSM_NS1_7vsmem_tEENKUlT_SK_SL_SM_E_clIPsSE_SF_SF_EESJ_SZ_SK_SL_SM_EUlSZ_E_NS1_11comp_targetILNS1_3genE2ELNS1_11target_archE906ELNS1_3gpuE6ELNS1_3repE0EEENS1_48merge_mergepath_partition_config_static_selectorELNS0_4arch9wavefront6targetE1EEEvSL_,"axG",@progbits,_ZN7rocprim17ROCPRIM_400000_NS6detail17trampoline_kernelINS0_14default_configENS1_38merge_sort_block_merge_config_selectorIsNS0_10empty_typeEEEZZNS1_27merge_sort_block_merge_implIS3_N6thrust23THRUST_200600_302600_NS6detail15normal_iteratorINS9_10device_ptrIsEEEEPS5_jNS1_19radix_merge_compareILb0ELb1EsNS0_19identity_decomposerEEEEE10hipError_tT0_T1_T2_jT3_P12ihipStream_tbPNSt15iterator_traitsISK_E10value_typeEPNSQ_ISL_E10value_typeEPSM_NS1_7vsmem_tEENKUlT_SK_SL_SM_E_clIPsSE_SF_SF_EESJ_SZ_SK_SL_SM_EUlSZ_E_NS1_11comp_targetILNS1_3genE2ELNS1_11target_archE906ELNS1_3gpuE6ELNS1_3repE0EEENS1_48merge_mergepath_partition_config_static_selectorELNS0_4arch9wavefront6targetE1EEEvSL_,comdat
.Lfunc_end1880:
	.size	_ZN7rocprim17ROCPRIM_400000_NS6detail17trampoline_kernelINS0_14default_configENS1_38merge_sort_block_merge_config_selectorIsNS0_10empty_typeEEEZZNS1_27merge_sort_block_merge_implIS3_N6thrust23THRUST_200600_302600_NS6detail15normal_iteratorINS9_10device_ptrIsEEEEPS5_jNS1_19radix_merge_compareILb0ELb1EsNS0_19identity_decomposerEEEEE10hipError_tT0_T1_T2_jT3_P12ihipStream_tbPNSt15iterator_traitsISK_E10value_typeEPNSQ_ISL_E10value_typeEPSM_NS1_7vsmem_tEENKUlT_SK_SL_SM_E_clIPsSE_SF_SF_EESJ_SZ_SK_SL_SM_EUlSZ_E_NS1_11comp_targetILNS1_3genE2ELNS1_11target_archE906ELNS1_3gpuE6ELNS1_3repE0EEENS1_48merge_mergepath_partition_config_static_selectorELNS0_4arch9wavefront6targetE1EEEvSL_, .Lfunc_end1880-_ZN7rocprim17ROCPRIM_400000_NS6detail17trampoline_kernelINS0_14default_configENS1_38merge_sort_block_merge_config_selectorIsNS0_10empty_typeEEEZZNS1_27merge_sort_block_merge_implIS3_N6thrust23THRUST_200600_302600_NS6detail15normal_iteratorINS9_10device_ptrIsEEEEPS5_jNS1_19radix_merge_compareILb0ELb1EsNS0_19identity_decomposerEEEEE10hipError_tT0_T1_T2_jT3_P12ihipStream_tbPNSt15iterator_traitsISK_E10value_typeEPNSQ_ISL_E10value_typeEPSM_NS1_7vsmem_tEENKUlT_SK_SL_SM_E_clIPsSE_SF_SF_EESJ_SZ_SK_SL_SM_EUlSZ_E_NS1_11comp_targetILNS1_3genE2ELNS1_11target_archE906ELNS1_3gpuE6ELNS1_3repE0EEENS1_48merge_mergepath_partition_config_static_selectorELNS0_4arch9wavefront6targetE1EEEvSL_
                                        ; -- End function
	.section	.AMDGPU.csdata,"",@progbits
; Kernel info:
; codeLenInByte = 0
; NumSgprs: 4
; NumVgprs: 0
; NumAgprs: 0
; TotalNumVgprs: 0
; ScratchSize: 0
; MemoryBound: 0
; FloatMode: 240
; IeeeMode: 1
; LDSByteSize: 0 bytes/workgroup (compile time only)
; SGPRBlocks: 0
; VGPRBlocks: 0
; NumSGPRsForWavesPerEU: 4
; NumVGPRsForWavesPerEU: 1
; AccumOffset: 4
; Occupancy: 8
; WaveLimiterHint : 0
; COMPUTE_PGM_RSRC2:SCRATCH_EN: 0
; COMPUTE_PGM_RSRC2:USER_SGPR: 6
; COMPUTE_PGM_RSRC2:TRAP_HANDLER: 0
; COMPUTE_PGM_RSRC2:TGID_X_EN: 1
; COMPUTE_PGM_RSRC2:TGID_Y_EN: 0
; COMPUTE_PGM_RSRC2:TGID_Z_EN: 0
; COMPUTE_PGM_RSRC2:TIDIG_COMP_CNT: 0
; COMPUTE_PGM_RSRC3_GFX90A:ACCUM_OFFSET: 0
; COMPUTE_PGM_RSRC3_GFX90A:TG_SPLIT: 0
	.section	.text._ZN7rocprim17ROCPRIM_400000_NS6detail17trampoline_kernelINS0_14default_configENS1_38merge_sort_block_merge_config_selectorIsNS0_10empty_typeEEEZZNS1_27merge_sort_block_merge_implIS3_N6thrust23THRUST_200600_302600_NS6detail15normal_iteratorINS9_10device_ptrIsEEEEPS5_jNS1_19radix_merge_compareILb0ELb1EsNS0_19identity_decomposerEEEEE10hipError_tT0_T1_T2_jT3_P12ihipStream_tbPNSt15iterator_traitsISK_E10value_typeEPNSQ_ISL_E10value_typeEPSM_NS1_7vsmem_tEENKUlT_SK_SL_SM_E_clIPsSE_SF_SF_EESJ_SZ_SK_SL_SM_EUlSZ_E_NS1_11comp_targetILNS1_3genE9ELNS1_11target_archE1100ELNS1_3gpuE3ELNS1_3repE0EEENS1_48merge_mergepath_partition_config_static_selectorELNS0_4arch9wavefront6targetE1EEEvSL_,"axG",@progbits,_ZN7rocprim17ROCPRIM_400000_NS6detail17trampoline_kernelINS0_14default_configENS1_38merge_sort_block_merge_config_selectorIsNS0_10empty_typeEEEZZNS1_27merge_sort_block_merge_implIS3_N6thrust23THRUST_200600_302600_NS6detail15normal_iteratorINS9_10device_ptrIsEEEEPS5_jNS1_19radix_merge_compareILb0ELb1EsNS0_19identity_decomposerEEEEE10hipError_tT0_T1_T2_jT3_P12ihipStream_tbPNSt15iterator_traitsISK_E10value_typeEPNSQ_ISL_E10value_typeEPSM_NS1_7vsmem_tEENKUlT_SK_SL_SM_E_clIPsSE_SF_SF_EESJ_SZ_SK_SL_SM_EUlSZ_E_NS1_11comp_targetILNS1_3genE9ELNS1_11target_archE1100ELNS1_3gpuE3ELNS1_3repE0EEENS1_48merge_mergepath_partition_config_static_selectorELNS0_4arch9wavefront6targetE1EEEvSL_,comdat
	.protected	_ZN7rocprim17ROCPRIM_400000_NS6detail17trampoline_kernelINS0_14default_configENS1_38merge_sort_block_merge_config_selectorIsNS0_10empty_typeEEEZZNS1_27merge_sort_block_merge_implIS3_N6thrust23THRUST_200600_302600_NS6detail15normal_iteratorINS9_10device_ptrIsEEEEPS5_jNS1_19radix_merge_compareILb0ELb1EsNS0_19identity_decomposerEEEEE10hipError_tT0_T1_T2_jT3_P12ihipStream_tbPNSt15iterator_traitsISK_E10value_typeEPNSQ_ISL_E10value_typeEPSM_NS1_7vsmem_tEENKUlT_SK_SL_SM_E_clIPsSE_SF_SF_EESJ_SZ_SK_SL_SM_EUlSZ_E_NS1_11comp_targetILNS1_3genE9ELNS1_11target_archE1100ELNS1_3gpuE3ELNS1_3repE0EEENS1_48merge_mergepath_partition_config_static_selectorELNS0_4arch9wavefront6targetE1EEEvSL_ ; -- Begin function _ZN7rocprim17ROCPRIM_400000_NS6detail17trampoline_kernelINS0_14default_configENS1_38merge_sort_block_merge_config_selectorIsNS0_10empty_typeEEEZZNS1_27merge_sort_block_merge_implIS3_N6thrust23THRUST_200600_302600_NS6detail15normal_iteratorINS9_10device_ptrIsEEEEPS5_jNS1_19radix_merge_compareILb0ELb1EsNS0_19identity_decomposerEEEEE10hipError_tT0_T1_T2_jT3_P12ihipStream_tbPNSt15iterator_traitsISK_E10value_typeEPNSQ_ISL_E10value_typeEPSM_NS1_7vsmem_tEENKUlT_SK_SL_SM_E_clIPsSE_SF_SF_EESJ_SZ_SK_SL_SM_EUlSZ_E_NS1_11comp_targetILNS1_3genE9ELNS1_11target_archE1100ELNS1_3gpuE3ELNS1_3repE0EEENS1_48merge_mergepath_partition_config_static_selectorELNS0_4arch9wavefront6targetE1EEEvSL_
	.globl	_ZN7rocprim17ROCPRIM_400000_NS6detail17trampoline_kernelINS0_14default_configENS1_38merge_sort_block_merge_config_selectorIsNS0_10empty_typeEEEZZNS1_27merge_sort_block_merge_implIS3_N6thrust23THRUST_200600_302600_NS6detail15normal_iteratorINS9_10device_ptrIsEEEEPS5_jNS1_19radix_merge_compareILb0ELb1EsNS0_19identity_decomposerEEEEE10hipError_tT0_T1_T2_jT3_P12ihipStream_tbPNSt15iterator_traitsISK_E10value_typeEPNSQ_ISL_E10value_typeEPSM_NS1_7vsmem_tEENKUlT_SK_SL_SM_E_clIPsSE_SF_SF_EESJ_SZ_SK_SL_SM_EUlSZ_E_NS1_11comp_targetILNS1_3genE9ELNS1_11target_archE1100ELNS1_3gpuE3ELNS1_3repE0EEENS1_48merge_mergepath_partition_config_static_selectorELNS0_4arch9wavefront6targetE1EEEvSL_
	.p2align	8
	.type	_ZN7rocprim17ROCPRIM_400000_NS6detail17trampoline_kernelINS0_14default_configENS1_38merge_sort_block_merge_config_selectorIsNS0_10empty_typeEEEZZNS1_27merge_sort_block_merge_implIS3_N6thrust23THRUST_200600_302600_NS6detail15normal_iteratorINS9_10device_ptrIsEEEEPS5_jNS1_19radix_merge_compareILb0ELb1EsNS0_19identity_decomposerEEEEE10hipError_tT0_T1_T2_jT3_P12ihipStream_tbPNSt15iterator_traitsISK_E10value_typeEPNSQ_ISL_E10value_typeEPSM_NS1_7vsmem_tEENKUlT_SK_SL_SM_E_clIPsSE_SF_SF_EESJ_SZ_SK_SL_SM_EUlSZ_E_NS1_11comp_targetILNS1_3genE9ELNS1_11target_archE1100ELNS1_3gpuE3ELNS1_3repE0EEENS1_48merge_mergepath_partition_config_static_selectorELNS0_4arch9wavefront6targetE1EEEvSL_,@function
_ZN7rocprim17ROCPRIM_400000_NS6detail17trampoline_kernelINS0_14default_configENS1_38merge_sort_block_merge_config_selectorIsNS0_10empty_typeEEEZZNS1_27merge_sort_block_merge_implIS3_N6thrust23THRUST_200600_302600_NS6detail15normal_iteratorINS9_10device_ptrIsEEEEPS5_jNS1_19radix_merge_compareILb0ELb1EsNS0_19identity_decomposerEEEEE10hipError_tT0_T1_T2_jT3_P12ihipStream_tbPNSt15iterator_traitsISK_E10value_typeEPNSQ_ISL_E10value_typeEPSM_NS1_7vsmem_tEENKUlT_SK_SL_SM_E_clIPsSE_SF_SF_EESJ_SZ_SK_SL_SM_EUlSZ_E_NS1_11comp_targetILNS1_3genE9ELNS1_11target_archE1100ELNS1_3gpuE3ELNS1_3repE0EEENS1_48merge_mergepath_partition_config_static_selectorELNS0_4arch9wavefront6targetE1EEEvSL_: ; @_ZN7rocprim17ROCPRIM_400000_NS6detail17trampoline_kernelINS0_14default_configENS1_38merge_sort_block_merge_config_selectorIsNS0_10empty_typeEEEZZNS1_27merge_sort_block_merge_implIS3_N6thrust23THRUST_200600_302600_NS6detail15normal_iteratorINS9_10device_ptrIsEEEEPS5_jNS1_19radix_merge_compareILb0ELb1EsNS0_19identity_decomposerEEEEE10hipError_tT0_T1_T2_jT3_P12ihipStream_tbPNSt15iterator_traitsISK_E10value_typeEPNSQ_ISL_E10value_typeEPSM_NS1_7vsmem_tEENKUlT_SK_SL_SM_E_clIPsSE_SF_SF_EESJ_SZ_SK_SL_SM_EUlSZ_E_NS1_11comp_targetILNS1_3genE9ELNS1_11target_archE1100ELNS1_3gpuE3ELNS1_3repE0EEENS1_48merge_mergepath_partition_config_static_selectorELNS0_4arch9wavefront6targetE1EEEvSL_
; %bb.0:
	.section	.rodata,"a",@progbits
	.p2align	6, 0x0
	.amdhsa_kernel _ZN7rocprim17ROCPRIM_400000_NS6detail17trampoline_kernelINS0_14default_configENS1_38merge_sort_block_merge_config_selectorIsNS0_10empty_typeEEEZZNS1_27merge_sort_block_merge_implIS3_N6thrust23THRUST_200600_302600_NS6detail15normal_iteratorINS9_10device_ptrIsEEEEPS5_jNS1_19radix_merge_compareILb0ELb1EsNS0_19identity_decomposerEEEEE10hipError_tT0_T1_T2_jT3_P12ihipStream_tbPNSt15iterator_traitsISK_E10value_typeEPNSQ_ISL_E10value_typeEPSM_NS1_7vsmem_tEENKUlT_SK_SL_SM_E_clIPsSE_SF_SF_EESJ_SZ_SK_SL_SM_EUlSZ_E_NS1_11comp_targetILNS1_3genE9ELNS1_11target_archE1100ELNS1_3gpuE3ELNS1_3repE0EEENS1_48merge_mergepath_partition_config_static_selectorELNS0_4arch9wavefront6targetE1EEEvSL_
		.amdhsa_group_segment_fixed_size 0
		.amdhsa_private_segment_fixed_size 0
		.amdhsa_kernarg_size 40
		.amdhsa_user_sgpr_count 6
		.amdhsa_user_sgpr_private_segment_buffer 1
		.amdhsa_user_sgpr_dispatch_ptr 0
		.amdhsa_user_sgpr_queue_ptr 0
		.amdhsa_user_sgpr_kernarg_segment_ptr 1
		.amdhsa_user_sgpr_dispatch_id 0
		.amdhsa_user_sgpr_flat_scratch_init 0
		.amdhsa_user_sgpr_kernarg_preload_length 0
		.amdhsa_user_sgpr_kernarg_preload_offset 0
		.amdhsa_user_sgpr_private_segment_size 0
		.amdhsa_uses_dynamic_stack 0
		.amdhsa_system_sgpr_private_segment_wavefront_offset 0
		.amdhsa_system_sgpr_workgroup_id_x 1
		.amdhsa_system_sgpr_workgroup_id_y 0
		.amdhsa_system_sgpr_workgroup_id_z 0
		.amdhsa_system_sgpr_workgroup_info 0
		.amdhsa_system_vgpr_workitem_id 0
		.amdhsa_next_free_vgpr 1
		.amdhsa_next_free_sgpr 0
		.amdhsa_accum_offset 4
		.amdhsa_reserve_vcc 0
		.amdhsa_reserve_flat_scratch 0
		.amdhsa_float_round_mode_32 0
		.amdhsa_float_round_mode_16_64 0
		.amdhsa_float_denorm_mode_32 3
		.amdhsa_float_denorm_mode_16_64 3
		.amdhsa_dx10_clamp 1
		.amdhsa_ieee_mode 1
		.amdhsa_fp16_overflow 0
		.amdhsa_tg_split 0
		.amdhsa_exception_fp_ieee_invalid_op 0
		.amdhsa_exception_fp_denorm_src 0
		.amdhsa_exception_fp_ieee_div_zero 0
		.amdhsa_exception_fp_ieee_overflow 0
		.amdhsa_exception_fp_ieee_underflow 0
		.amdhsa_exception_fp_ieee_inexact 0
		.amdhsa_exception_int_div_zero 0
	.end_amdhsa_kernel
	.section	.text._ZN7rocprim17ROCPRIM_400000_NS6detail17trampoline_kernelINS0_14default_configENS1_38merge_sort_block_merge_config_selectorIsNS0_10empty_typeEEEZZNS1_27merge_sort_block_merge_implIS3_N6thrust23THRUST_200600_302600_NS6detail15normal_iteratorINS9_10device_ptrIsEEEEPS5_jNS1_19radix_merge_compareILb0ELb1EsNS0_19identity_decomposerEEEEE10hipError_tT0_T1_T2_jT3_P12ihipStream_tbPNSt15iterator_traitsISK_E10value_typeEPNSQ_ISL_E10value_typeEPSM_NS1_7vsmem_tEENKUlT_SK_SL_SM_E_clIPsSE_SF_SF_EESJ_SZ_SK_SL_SM_EUlSZ_E_NS1_11comp_targetILNS1_3genE9ELNS1_11target_archE1100ELNS1_3gpuE3ELNS1_3repE0EEENS1_48merge_mergepath_partition_config_static_selectorELNS0_4arch9wavefront6targetE1EEEvSL_,"axG",@progbits,_ZN7rocprim17ROCPRIM_400000_NS6detail17trampoline_kernelINS0_14default_configENS1_38merge_sort_block_merge_config_selectorIsNS0_10empty_typeEEEZZNS1_27merge_sort_block_merge_implIS3_N6thrust23THRUST_200600_302600_NS6detail15normal_iteratorINS9_10device_ptrIsEEEEPS5_jNS1_19radix_merge_compareILb0ELb1EsNS0_19identity_decomposerEEEEE10hipError_tT0_T1_T2_jT3_P12ihipStream_tbPNSt15iterator_traitsISK_E10value_typeEPNSQ_ISL_E10value_typeEPSM_NS1_7vsmem_tEENKUlT_SK_SL_SM_E_clIPsSE_SF_SF_EESJ_SZ_SK_SL_SM_EUlSZ_E_NS1_11comp_targetILNS1_3genE9ELNS1_11target_archE1100ELNS1_3gpuE3ELNS1_3repE0EEENS1_48merge_mergepath_partition_config_static_selectorELNS0_4arch9wavefront6targetE1EEEvSL_,comdat
.Lfunc_end1881:
	.size	_ZN7rocprim17ROCPRIM_400000_NS6detail17trampoline_kernelINS0_14default_configENS1_38merge_sort_block_merge_config_selectorIsNS0_10empty_typeEEEZZNS1_27merge_sort_block_merge_implIS3_N6thrust23THRUST_200600_302600_NS6detail15normal_iteratorINS9_10device_ptrIsEEEEPS5_jNS1_19radix_merge_compareILb0ELb1EsNS0_19identity_decomposerEEEEE10hipError_tT0_T1_T2_jT3_P12ihipStream_tbPNSt15iterator_traitsISK_E10value_typeEPNSQ_ISL_E10value_typeEPSM_NS1_7vsmem_tEENKUlT_SK_SL_SM_E_clIPsSE_SF_SF_EESJ_SZ_SK_SL_SM_EUlSZ_E_NS1_11comp_targetILNS1_3genE9ELNS1_11target_archE1100ELNS1_3gpuE3ELNS1_3repE0EEENS1_48merge_mergepath_partition_config_static_selectorELNS0_4arch9wavefront6targetE1EEEvSL_, .Lfunc_end1881-_ZN7rocprim17ROCPRIM_400000_NS6detail17trampoline_kernelINS0_14default_configENS1_38merge_sort_block_merge_config_selectorIsNS0_10empty_typeEEEZZNS1_27merge_sort_block_merge_implIS3_N6thrust23THRUST_200600_302600_NS6detail15normal_iteratorINS9_10device_ptrIsEEEEPS5_jNS1_19radix_merge_compareILb0ELb1EsNS0_19identity_decomposerEEEEE10hipError_tT0_T1_T2_jT3_P12ihipStream_tbPNSt15iterator_traitsISK_E10value_typeEPNSQ_ISL_E10value_typeEPSM_NS1_7vsmem_tEENKUlT_SK_SL_SM_E_clIPsSE_SF_SF_EESJ_SZ_SK_SL_SM_EUlSZ_E_NS1_11comp_targetILNS1_3genE9ELNS1_11target_archE1100ELNS1_3gpuE3ELNS1_3repE0EEENS1_48merge_mergepath_partition_config_static_selectorELNS0_4arch9wavefront6targetE1EEEvSL_
                                        ; -- End function
	.section	.AMDGPU.csdata,"",@progbits
; Kernel info:
; codeLenInByte = 0
; NumSgprs: 4
; NumVgprs: 0
; NumAgprs: 0
; TotalNumVgprs: 0
; ScratchSize: 0
; MemoryBound: 0
; FloatMode: 240
; IeeeMode: 1
; LDSByteSize: 0 bytes/workgroup (compile time only)
; SGPRBlocks: 0
; VGPRBlocks: 0
; NumSGPRsForWavesPerEU: 4
; NumVGPRsForWavesPerEU: 1
; AccumOffset: 4
; Occupancy: 8
; WaveLimiterHint : 0
; COMPUTE_PGM_RSRC2:SCRATCH_EN: 0
; COMPUTE_PGM_RSRC2:USER_SGPR: 6
; COMPUTE_PGM_RSRC2:TRAP_HANDLER: 0
; COMPUTE_PGM_RSRC2:TGID_X_EN: 1
; COMPUTE_PGM_RSRC2:TGID_Y_EN: 0
; COMPUTE_PGM_RSRC2:TGID_Z_EN: 0
; COMPUTE_PGM_RSRC2:TIDIG_COMP_CNT: 0
; COMPUTE_PGM_RSRC3_GFX90A:ACCUM_OFFSET: 0
; COMPUTE_PGM_RSRC3_GFX90A:TG_SPLIT: 0
	.section	.text._ZN7rocprim17ROCPRIM_400000_NS6detail17trampoline_kernelINS0_14default_configENS1_38merge_sort_block_merge_config_selectorIsNS0_10empty_typeEEEZZNS1_27merge_sort_block_merge_implIS3_N6thrust23THRUST_200600_302600_NS6detail15normal_iteratorINS9_10device_ptrIsEEEEPS5_jNS1_19radix_merge_compareILb0ELb1EsNS0_19identity_decomposerEEEEE10hipError_tT0_T1_T2_jT3_P12ihipStream_tbPNSt15iterator_traitsISK_E10value_typeEPNSQ_ISL_E10value_typeEPSM_NS1_7vsmem_tEENKUlT_SK_SL_SM_E_clIPsSE_SF_SF_EESJ_SZ_SK_SL_SM_EUlSZ_E_NS1_11comp_targetILNS1_3genE8ELNS1_11target_archE1030ELNS1_3gpuE2ELNS1_3repE0EEENS1_48merge_mergepath_partition_config_static_selectorELNS0_4arch9wavefront6targetE1EEEvSL_,"axG",@progbits,_ZN7rocprim17ROCPRIM_400000_NS6detail17trampoline_kernelINS0_14default_configENS1_38merge_sort_block_merge_config_selectorIsNS0_10empty_typeEEEZZNS1_27merge_sort_block_merge_implIS3_N6thrust23THRUST_200600_302600_NS6detail15normal_iteratorINS9_10device_ptrIsEEEEPS5_jNS1_19radix_merge_compareILb0ELb1EsNS0_19identity_decomposerEEEEE10hipError_tT0_T1_T2_jT3_P12ihipStream_tbPNSt15iterator_traitsISK_E10value_typeEPNSQ_ISL_E10value_typeEPSM_NS1_7vsmem_tEENKUlT_SK_SL_SM_E_clIPsSE_SF_SF_EESJ_SZ_SK_SL_SM_EUlSZ_E_NS1_11comp_targetILNS1_3genE8ELNS1_11target_archE1030ELNS1_3gpuE2ELNS1_3repE0EEENS1_48merge_mergepath_partition_config_static_selectorELNS0_4arch9wavefront6targetE1EEEvSL_,comdat
	.protected	_ZN7rocprim17ROCPRIM_400000_NS6detail17trampoline_kernelINS0_14default_configENS1_38merge_sort_block_merge_config_selectorIsNS0_10empty_typeEEEZZNS1_27merge_sort_block_merge_implIS3_N6thrust23THRUST_200600_302600_NS6detail15normal_iteratorINS9_10device_ptrIsEEEEPS5_jNS1_19radix_merge_compareILb0ELb1EsNS0_19identity_decomposerEEEEE10hipError_tT0_T1_T2_jT3_P12ihipStream_tbPNSt15iterator_traitsISK_E10value_typeEPNSQ_ISL_E10value_typeEPSM_NS1_7vsmem_tEENKUlT_SK_SL_SM_E_clIPsSE_SF_SF_EESJ_SZ_SK_SL_SM_EUlSZ_E_NS1_11comp_targetILNS1_3genE8ELNS1_11target_archE1030ELNS1_3gpuE2ELNS1_3repE0EEENS1_48merge_mergepath_partition_config_static_selectorELNS0_4arch9wavefront6targetE1EEEvSL_ ; -- Begin function _ZN7rocprim17ROCPRIM_400000_NS6detail17trampoline_kernelINS0_14default_configENS1_38merge_sort_block_merge_config_selectorIsNS0_10empty_typeEEEZZNS1_27merge_sort_block_merge_implIS3_N6thrust23THRUST_200600_302600_NS6detail15normal_iteratorINS9_10device_ptrIsEEEEPS5_jNS1_19radix_merge_compareILb0ELb1EsNS0_19identity_decomposerEEEEE10hipError_tT0_T1_T2_jT3_P12ihipStream_tbPNSt15iterator_traitsISK_E10value_typeEPNSQ_ISL_E10value_typeEPSM_NS1_7vsmem_tEENKUlT_SK_SL_SM_E_clIPsSE_SF_SF_EESJ_SZ_SK_SL_SM_EUlSZ_E_NS1_11comp_targetILNS1_3genE8ELNS1_11target_archE1030ELNS1_3gpuE2ELNS1_3repE0EEENS1_48merge_mergepath_partition_config_static_selectorELNS0_4arch9wavefront6targetE1EEEvSL_
	.globl	_ZN7rocprim17ROCPRIM_400000_NS6detail17trampoline_kernelINS0_14default_configENS1_38merge_sort_block_merge_config_selectorIsNS0_10empty_typeEEEZZNS1_27merge_sort_block_merge_implIS3_N6thrust23THRUST_200600_302600_NS6detail15normal_iteratorINS9_10device_ptrIsEEEEPS5_jNS1_19radix_merge_compareILb0ELb1EsNS0_19identity_decomposerEEEEE10hipError_tT0_T1_T2_jT3_P12ihipStream_tbPNSt15iterator_traitsISK_E10value_typeEPNSQ_ISL_E10value_typeEPSM_NS1_7vsmem_tEENKUlT_SK_SL_SM_E_clIPsSE_SF_SF_EESJ_SZ_SK_SL_SM_EUlSZ_E_NS1_11comp_targetILNS1_3genE8ELNS1_11target_archE1030ELNS1_3gpuE2ELNS1_3repE0EEENS1_48merge_mergepath_partition_config_static_selectorELNS0_4arch9wavefront6targetE1EEEvSL_
	.p2align	8
	.type	_ZN7rocprim17ROCPRIM_400000_NS6detail17trampoline_kernelINS0_14default_configENS1_38merge_sort_block_merge_config_selectorIsNS0_10empty_typeEEEZZNS1_27merge_sort_block_merge_implIS3_N6thrust23THRUST_200600_302600_NS6detail15normal_iteratorINS9_10device_ptrIsEEEEPS5_jNS1_19radix_merge_compareILb0ELb1EsNS0_19identity_decomposerEEEEE10hipError_tT0_T1_T2_jT3_P12ihipStream_tbPNSt15iterator_traitsISK_E10value_typeEPNSQ_ISL_E10value_typeEPSM_NS1_7vsmem_tEENKUlT_SK_SL_SM_E_clIPsSE_SF_SF_EESJ_SZ_SK_SL_SM_EUlSZ_E_NS1_11comp_targetILNS1_3genE8ELNS1_11target_archE1030ELNS1_3gpuE2ELNS1_3repE0EEENS1_48merge_mergepath_partition_config_static_selectorELNS0_4arch9wavefront6targetE1EEEvSL_,@function
_ZN7rocprim17ROCPRIM_400000_NS6detail17trampoline_kernelINS0_14default_configENS1_38merge_sort_block_merge_config_selectorIsNS0_10empty_typeEEEZZNS1_27merge_sort_block_merge_implIS3_N6thrust23THRUST_200600_302600_NS6detail15normal_iteratorINS9_10device_ptrIsEEEEPS5_jNS1_19radix_merge_compareILb0ELb1EsNS0_19identity_decomposerEEEEE10hipError_tT0_T1_T2_jT3_P12ihipStream_tbPNSt15iterator_traitsISK_E10value_typeEPNSQ_ISL_E10value_typeEPSM_NS1_7vsmem_tEENKUlT_SK_SL_SM_E_clIPsSE_SF_SF_EESJ_SZ_SK_SL_SM_EUlSZ_E_NS1_11comp_targetILNS1_3genE8ELNS1_11target_archE1030ELNS1_3gpuE2ELNS1_3repE0EEENS1_48merge_mergepath_partition_config_static_selectorELNS0_4arch9wavefront6targetE1EEEvSL_: ; @_ZN7rocprim17ROCPRIM_400000_NS6detail17trampoline_kernelINS0_14default_configENS1_38merge_sort_block_merge_config_selectorIsNS0_10empty_typeEEEZZNS1_27merge_sort_block_merge_implIS3_N6thrust23THRUST_200600_302600_NS6detail15normal_iteratorINS9_10device_ptrIsEEEEPS5_jNS1_19radix_merge_compareILb0ELb1EsNS0_19identity_decomposerEEEEE10hipError_tT0_T1_T2_jT3_P12ihipStream_tbPNSt15iterator_traitsISK_E10value_typeEPNSQ_ISL_E10value_typeEPSM_NS1_7vsmem_tEENKUlT_SK_SL_SM_E_clIPsSE_SF_SF_EESJ_SZ_SK_SL_SM_EUlSZ_E_NS1_11comp_targetILNS1_3genE8ELNS1_11target_archE1030ELNS1_3gpuE2ELNS1_3repE0EEENS1_48merge_mergepath_partition_config_static_selectorELNS0_4arch9wavefront6targetE1EEEvSL_
; %bb.0:
	.section	.rodata,"a",@progbits
	.p2align	6, 0x0
	.amdhsa_kernel _ZN7rocprim17ROCPRIM_400000_NS6detail17trampoline_kernelINS0_14default_configENS1_38merge_sort_block_merge_config_selectorIsNS0_10empty_typeEEEZZNS1_27merge_sort_block_merge_implIS3_N6thrust23THRUST_200600_302600_NS6detail15normal_iteratorINS9_10device_ptrIsEEEEPS5_jNS1_19radix_merge_compareILb0ELb1EsNS0_19identity_decomposerEEEEE10hipError_tT0_T1_T2_jT3_P12ihipStream_tbPNSt15iterator_traitsISK_E10value_typeEPNSQ_ISL_E10value_typeEPSM_NS1_7vsmem_tEENKUlT_SK_SL_SM_E_clIPsSE_SF_SF_EESJ_SZ_SK_SL_SM_EUlSZ_E_NS1_11comp_targetILNS1_3genE8ELNS1_11target_archE1030ELNS1_3gpuE2ELNS1_3repE0EEENS1_48merge_mergepath_partition_config_static_selectorELNS0_4arch9wavefront6targetE1EEEvSL_
		.amdhsa_group_segment_fixed_size 0
		.amdhsa_private_segment_fixed_size 0
		.amdhsa_kernarg_size 40
		.amdhsa_user_sgpr_count 6
		.amdhsa_user_sgpr_private_segment_buffer 1
		.amdhsa_user_sgpr_dispatch_ptr 0
		.amdhsa_user_sgpr_queue_ptr 0
		.amdhsa_user_sgpr_kernarg_segment_ptr 1
		.amdhsa_user_sgpr_dispatch_id 0
		.amdhsa_user_sgpr_flat_scratch_init 0
		.amdhsa_user_sgpr_kernarg_preload_length 0
		.amdhsa_user_sgpr_kernarg_preload_offset 0
		.amdhsa_user_sgpr_private_segment_size 0
		.amdhsa_uses_dynamic_stack 0
		.amdhsa_system_sgpr_private_segment_wavefront_offset 0
		.amdhsa_system_sgpr_workgroup_id_x 1
		.amdhsa_system_sgpr_workgroup_id_y 0
		.amdhsa_system_sgpr_workgroup_id_z 0
		.amdhsa_system_sgpr_workgroup_info 0
		.amdhsa_system_vgpr_workitem_id 0
		.amdhsa_next_free_vgpr 1
		.amdhsa_next_free_sgpr 0
		.amdhsa_accum_offset 4
		.amdhsa_reserve_vcc 0
		.amdhsa_reserve_flat_scratch 0
		.amdhsa_float_round_mode_32 0
		.amdhsa_float_round_mode_16_64 0
		.amdhsa_float_denorm_mode_32 3
		.amdhsa_float_denorm_mode_16_64 3
		.amdhsa_dx10_clamp 1
		.amdhsa_ieee_mode 1
		.amdhsa_fp16_overflow 0
		.amdhsa_tg_split 0
		.amdhsa_exception_fp_ieee_invalid_op 0
		.amdhsa_exception_fp_denorm_src 0
		.amdhsa_exception_fp_ieee_div_zero 0
		.amdhsa_exception_fp_ieee_overflow 0
		.amdhsa_exception_fp_ieee_underflow 0
		.amdhsa_exception_fp_ieee_inexact 0
		.amdhsa_exception_int_div_zero 0
	.end_amdhsa_kernel
	.section	.text._ZN7rocprim17ROCPRIM_400000_NS6detail17trampoline_kernelINS0_14default_configENS1_38merge_sort_block_merge_config_selectorIsNS0_10empty_typeEEEZZNS1_27merge_sort_block_merge_implIS3_N6thrust23THRUST_200600_302600_NS6detail15normal_iteratorINS9_10device_ptrIsEEEEPS5_jNS1_19radix_merge_compareILb0ELb1EsNS0_19identity_decomposerEEEEE10hipError_tT0_T1_T2_jT3_P12ihipStream_tbPNSt15iterator_traitsISK_E10value_typeEPNSQ_ISL_E10value_typeEPSM_NS1_7vsmem_tEENKUlT_SK_SL_SM_E_clIPsSE_SF_SF_EESJ_SZ_SK_SL_SM_EUlSZ_E_NS1_11comp_targetILNS1_3genE8ELNS1_11target_archE1030ELNS1_3gpuE2ELNS1_3repE0EEENS1_48merge_mergepath_partition_config_static_selectorELNS0_4arch9wavefront6targetE1EEEvSL_,"axG",@progbits,_ZN7rocprim17ROCPRIM_400000_NS6detail17trampoline_kernelINS0_14default_configENS1_38merge_sort_block_merge_config_selectorIsNS0_10empty_typeEEEZZNS1_27merge_sort_block_merge_implIS3_N6thrust23THRUST_200600_302600_NS6detail15normal_iteratorINS9_10device_ptrIsEEEEPS5_jNS1_19radix_merge_compareILb0ELb1EsNS0_19identity_decomposerEEEEE10hipError_tT0_T1_T2_jT3_P12ihipStream_tbPNSt15iterator_traitsISK_E10value_typeEPNSQ_ISL_E10value_typeEPSM_NS1_7vsmem_tEENKUlT_SK_SL_SM_E_clIPsSE_SF_SF_EESJ_SZ_SK_SL_SM_EUlSZ_E_NS1_11comp_targetILNS1_3genE8ELNS1_11target_archE1030ELNS1_3gpuE2ELNS1_3repE0EEENS1_48merge_mergepath_partition_config_static_selectorELNS0_4arch9wavefront6targetE1EEEvSL_,comdat
.Lfunc_end1882:
	.size	_ZN7rocprim17ROCPRIM_400000_NS6detail17trampoline_kernelINS0_14default_configENS1_38merge_sort_block_merge_config_selectorIsNS0_10empty_typeEEEZZNS1_27merge_sort_block_merge_implIS3_N6thrust23THRUST_200600_302600_NS6detail15normal_iteratorINS9_10device_ptrIsEEEEPS5_jNS1_19radix_merge_compareILb0ELb1EsNS0_19identity_decomposerEEEEE10hipError_tT0_T1_T2_jT3_P12ihipStream_tbPNSt15iterator_traitsISK_E10value_typeEPNSQ_ISL_E10value_typeEPSM_NS1_7vsmem_tEENKUlT_SK_SL_SM_E_clIPsSE_SF_SF_EESJ_SZ_SK_SL_SM_EUlSZ_E_NS1_11comp_targetILNS1_3genE8ELNS1_11target_archE1030ELNS1_3gpuE2ELNS1_3repE0EEENS1_48merge_mergepath_partition_config_static_selectorELNS0_4arch9wavefront6targetE1EEEvSL_, .Lfunc_end1882-_ZN7rocprim17ROCPRIM_400000_NS6detail17trampoline_kernelINS0_14default_configENS1_38merge_sort_block_merge_config_selectorIsNS0_10empty_typeEEEZZNS1_27merge_sort_block_merge_implIS3_N6thrust23THRUST_200600_302600_NS6detail15normal_iteratorINS9_10device_ptrIsEEEEPS5_jNS1_19radix_merge_compareILb0ELb1EsNS0_19identity_decomposerEEEEE10hipError_tT0_T1_T2_jT3_P12ihipStream_tbPNSt15iterator_traitsISK_E10value_typeEPNSQ_ISL_E10value_typeEPSM_NS1_7vsmem_tEENKUlT_SK_SL_SM_E_clIPsSE_SF_SF_EESJ_SZ_SK_SL_SM_EUlSZ_E_NS1_11comp_targetILNS1_3genE8ELNS1_11target_archE1030ELNS1_3gpuE2ELNS1_3repE0EEENS1_48merge_mergepath_partition_config_static_selectorELNS0_4arch9wavefront6targetE1EEEvSL_
                                        ; -- End function
	.section	.AMDGPU.csdata,"",@progbits
; Kernel info:
; codeLenInByte = 0
; NumSgprs: 4
; NumVgprs: 0
; NumAgprs: 0
; TotalNumVgprs: 0
; ScratchSize: 0
; MemoryBound: 0
; FloatMode: 240
; IeeeMode: 1
; LDSByteSize: 0 bytes/workgroup (compile time only)
; SGPRBlocks: 0
; VGPRBlocks: 0
; NumSGPRsForWavesPerEU: 4
; NumVGPRsForWavesPerEU: 1
; AccumOffset: 4
; Occupancy: 8
; WaveLimiterHint : 0
; COMPUTE_PGM_RSRC2:SCRATCH_EN: 0
; COMPUTE_PGM_RSRC2:USER_SGPR: 6
; COMPUTE_PGM_RSRC2:TRAP_HANDLER: 0
; COMPUTE_PGM_RSRC2:TGID_X_EN: 1
; COMPUTE_PGM_RSRC2:TGID_Y_EN: 0
; COMPUTE_PGM_RSRC2:TGID_Z_EN: 0
; COMPUTE_PGM_RSRC2:TIDIG_COMP_CNT: 0
; COMPUTE_PGM_RSRC3_GFX90A:ACCUM_OFFSET: 0
; COMPUTE_PGM_RSRC3_GFX90A:TG_SPLIT: 0
	.section	.text._ZN7rocprim17ROCPRIM_400000_NS6detail17trampoline_kernelINS0_14default_configENS1_38merge_sort_block_merge_config_selectorIsNS0_10empty_typeEEEZZNS1_27merge_sort_block_merge_implIS3_N6thrust23THRUST_200600_302600_NS6detail15normal_iteratorINS9_10device_ptrIsEEEEPS5_jNS1_19radix_merge_compareILb0ELb1EsNS0_19identity_decomposerEEEEE10hipError_tT0_T1_T2_jT3_P12ihipStream_tbPNSt15iterator_traitsISK_E10value_typeEPNSQ_ISL_E10value_typeEPSM_NS1_7vsmem_tEENKUlT_SK_SL_SM_E_clIPsSE_SF_SF_EESJ_SZ_SK_SL_SM_EUlSZ_E0_NS1_11comp_targetILNS1_3genE0ELNS1_11target_archE4294967295ELNS1_3gpuE0ELNS1_3repE0EEENS1_38merge_mergepath_config_static_selectorELNS0_4arch9wavefront6targetE1EEEvSL_,"axG",@progbits,_ZN7rocprim17ROCPRIM_400000_NS6detail17trampoline_kernelINS0_14default_configENS1_38merge_sort_block_merge_config_selectorIsNS0_10empty_typeEEEZZNS1_27merge_sort_block_merge_implIS3_N6thrust23THRUST_200600_302600_NS6detail15normal_iteratorINS9_10device_ptrIsEEEEPS5_jNS1_19radix_merge_compareILb0ELb1EsNS0_19identity_decomposerEEEEE10hipError_tT0_T1_T2_jT3_P12ihipStream_tbPNSt15iterator_traitsISK_E10value_typeEPNSQ_ISL_E10value_typeEPSM_NS1_7vsmem_tEENKUlT_SK_SL_SM_E_clIPsSE_SF_SF_EESJ_SZ_SK_SL_SM_EUlSZ_E0_NS1_11comp_targetILNS1_3genE0ELNS1_11target_archE4294967295ELNS1_3gpuE0ELNS1_3repE0EEENS1_38merge_mergepath_config_static_selectorELNS0_4arch9wavefront6targetE1EEEvSL_,comdat
	.protected	_ZN7rocprim17ROCPRIM_400000_NS6detail17trampoline_kernelINS0_14default_configENS1_38merge_sort_block_merge_config_selectorIsNS0_10empty_typeEEEZZNS1_27merge_sort_block_merge_implIS3_N6thrust23THRUST_200600_302600_NS6detail15normal_iteratorINS9_10device_ptrIsEEEEPS5_jNS1_19radix_merge_compareILb0ELb1EsNS0_19identity_decomposerEEEEE10hipError_tT0_T1_T2_jT3_P12ihipStream_tbPNSt15iterator_traitsISK_E10value_typeEPNSQ_ISL_E10value_typeEPSM_NS1_7vsmem_tEENKUlT_SK_SL_SM_E_clIPsSE_SF_SF_EESJ_SZ_SK_SL_SM_EUlSZ_E0_NS1_11comp_targetILNS1_3genE0ELNS1_11target_archE4294967295ELNS1_3gpuE0ELNS1_3repE0EEENS1_38merge_mergepath_config_static_selectorELNS0_4arch9wavefront6targetE1EEEvSL_ ; -- Begin function _ZN7rocprim17ROCPRIM_400000_NS6detail17trampoline_kernelINS0_14default_configENS1_38merge_sort_block_merge_config_selectorIsNS0_10empty_typeEEEZZNS1_27merge_sort_block_merge_implIS3_N6thrust23THRUST_200600_302600_NS6detail15normal_iteratorINS9_10device_ptrIsEEEEPS5_jNS1_19radix_merge_compareILb0ELb1EsNS0_19identity_decomposerEEEEE10hipError_tT0_T1_T2_jT3_P12ihipStream_tbPNSt15iterator_traitsISK_E10value_typeEPNSQ_ISL_E10value_typeEPSM_NS1_7vsmem_tEENKUlT_SK_SL_SM_E_clIPsSE_SF_SF_EESJ_SZ_SK_SL_SM_EUlSZ_E0_NS1_11comp_targetILNS1_3genE0ELNS1_11target_archE4294967295ELNS1_3gpuE0ELNS1_3repE0EEENS1_38merge_mergepath_config_static_selectorELNS0_4arch9wavefront6targetE1EEEvSL_
	.globl	_ZN7rocprim17ROCPRIM_400000_NS6detail17trampoline_kernelINS0_14default_configENS1_38merge_sort_block_merge_config_selectorIsNS0_10empty_typeEEEZZNS1_27merge_sort_block_merge_implIS3_N6thrust23THRUST_200600_302600_NS6detail15normal_iteratorINS9_10device_ptrIsEEEEPS5_jNS1_19radix_merge_compareILb0ELb1EsNS0_19identity_decomposerEEEEE10hipError_tT0_T1_T2_jT3_P12ihipStream_tbPNSt15iterator_traitsISK_E10value_typeEPNSQ_ISL_E10value_typeEPSM_NS1_7vsmem_tEENKUlT_SK_SL_SM_E_clIPsSE_SF_SF_EESJ_SZ_SK_SL_SM_EUlSZ_E0_NS1_11comp_targetILNS1_3genE0ELNS1_11target_archE4294967295ELNS1_3gpuE0ELNS1_3repE0EEENS1_38merge_mergepath_config_static_selectorELNS0_4arch9wavefront6targetE1EEEvSL_
	.p2align	8
	.type	_ZN7rocprim17ROCPRIM_400000_NS6detail17trampoline_kernelINS0_14default_configENS1_38merge_sort_block_merge_config_selectorIsNS0_10empty_typeEEEZZNS1_27merge_sort_block_merge_implIS3_N6thrust23THRUST_200600_302600_NS6detail15normal_iteratorINS9_10device_ptrIsEEEEPS5_jNS1_19radix_merge_compareILb0ELb1EsNS0_19identity_decomposerEEEEE10hipError_tT0_T1_T2_jT3_P12ihipStream_tbPNSt15iterator_traitsISK_E10value_typeEPNSQ_ISL_E10value_typeEPSM_NS1_7vsmem_tEENKUlT_SK_SL_SM_E_clIPsSE_SF_SF_EESJ_SZ_SK_SL_SM_EUlSZ_E0_NS1_11comp_targetILNS1_3genE0ELNS1_11target_archE4294967295ELNS1_3gpuE0ELNS1_3repE0EEENS1_38merge_mergepath_config_static_selectorELNS0_4arch9wavefront6targetE1EEEvSL_,@function
_ZN7rocprim17ROCPRIM_400000_NS6detail17trampoline_kernelINS0_14default_configENS1_38merge_sort_block_merge_config_selectorIsNS0_10empty_typeEEEZZNS1_27merge_sort_block_merge_implIS3_N6thrust23THRUST_200600_302600_NS6detail15normal_iteratorINS9_10device_ptrIsEEEEPS5_jNS1_19radix_merge_compareILb0ELb1EsNS0_19identity_decomposerEEEEE10hipError_tT0_T1_T2_jT3_P12ihipStream_tbPNSt15iterator_traitsISK_E10value_typeEPNSQ_ISL_E10value_typeEPSM_NS1_7vsmem_tEENKUlT_SK_SL_SM_E_clIPsSE_SF_SF_EESJ_SZ_SK_SL_SM_EUlSZ_E0_NS1_11comp_targetILNS1_3genE0ELNS1_11target_archE4294967295ELNS1_3gpuE0ELNS1_3repE0EEENS1_38merge_mergepath_config_static_selectorELNS0_4arch9wavefront6targetE1EEEvSL_: ; @_ZN7rocprim17ROCPRIM_400000_NS6detail17trampoline_kernelINS0_14default_configENS1_38merge_sort_block_merge_config_selectorIsNS0_10empty_typeEEEZZNS1_27merge_sort_block_merge_implIS3_N6thrust23THRUST_200600_302600_NS6detail15normal_iteratorINS9_10device_ptrIsEEEEPS5_jNS1_19radix_merge_compareILb0ELb1EsNS0_19identity_decomposerEEEEE10hipError_tT0_T1_T2_jT3_P12ihipStream_tbPNSt15iterator_traitsISK_E10value_typeEPNSQ_ISL_E10value_typeEPSM_NS1_7vsmem_tEENKUlT_SK_SL_SM_E_clIPsSE_SF_SF_EESJ_SZ_SK_SL_SM_EUlSZ_E0_NS1_11comp_targetILNS1_3genE0ELNS1_11target_archE4294967295ELNS1_3gpuE0ELNS1_3repE0EEENS1_38merge_mergepath_config_static_selectorELNS0_4arch9wavefront6targetE1EEEvSL_
; %bb.0:
	.section	.rodata,"a",@progbits
	.p2align	6, 0x0
	.amdhsa_kernel _ZN7rocprim17ROCPRIM_400000_NS6detail17trampoline_kernelINS0_14default_configENS1_38merge_sort_block_merge_config_selectorIsNS0_10empty_typeEEEZZNS1_27merge_sort_block_merge_implIS3_N6thrust23THRUST_200600_302600_NS6detail15normal_iteratorINS9_10device_ptrIsEEEEPS5_jNS1_19radix_merge_compareILb0ELb1EsNS0_19identity_decomposerEEEEE10hipError_tT0_T1_T2_jT3_P12ihipStream_tbPNSt15iterator_traitsISK_E10value_typeEPNSQ_ISL_E10value_typeEPSM_NS1_7vsmem_tEENKUlT_SK_SL_SM_E_clIPsSE_SF_SF_EESJ_SZ_SK_SL_SM_EUlSZ_E0_NS1_11comp_targetILNS1_3genE0ELNS1_11target_archE4294967295ELNS1_3gpuE0ELNS1_3repE0EEENS1_38merge_mergepath_config_static_selectorELNS0_4arch9wavefront6targetE1EEEvSL_
		.amdhsa_group_segment_fixed_size 0
		.amdhsa_private_segment_fixed_size 0
		.amdhsa_kernarg_size 64
		.amdhsa_user_sgpr_count 6
		.amdhsa_user_sgpr_private_segment_buffer 1
		.amdhsa_user_sgpr_dispatch_ptr 0
		.amdhsa_user_sgpr_queue_ptr 0
		.amdhsa_user_sgpr_kernarg_segment_ptr 1
		.amdhsa_user_sgpr_dispatch_id 0
		.amdhsa_user_sgpr_flat_scratch_init 0
		.amdhsa_user_sgpr_kernarg_preload_length 0
		.amdhsa_user_sgpr_kernarg_preload_offset 0
		.amdhsa_user_sgpr_private_segment_size 0
		.amdhsa_uses_dynamic_stack 0
		.amdhsa_system_sgpr_private_segment_wavefront_offset 0
		.amdhsa_system_sgpr_workgroup_id_x 1
		.amdhsa_system_sgpr_workgroup_id_y 0
		.amdhsa_system_sgpr_workgroup_id_z 0
		.amdhsa_system_sgpr_workgroup_info 0
		.amdhsa_system_vgpr_workitem_id 0
		.amdhsa_next_free_vgpr 1
		.amdhsa_next_free_sgpr 0
		.amdhsa_accum_offset 4
		.amdhsa_reserve_vcc 0
		.amdhsa_reserve_flat_scratch 0
		.amdhsa_float_round_mode_32 0
		.amdhsa_float_round_mode_16_64 0
		.amdhsa_float_denorm_mode_32 3
		.amdhsa_float_denorm_mode_16_64 3
		.amdhsa_dx10_clamp 1
		.amdhsa_ieee_mode 1
		.amdhsa_fp16_overflow 0
		.amdhsa_tg_split 0
		.amdhsa_exception_fp_ieee_invalid_op 0
		.amdhsa_exception_fp_denorm_src 0
		.amdhsa_exception_fp_ieee_div_zero 0
		.amdhsa_exception_fp_ieee_overflow 0
		.amdhsa_exception_fp_ieee_underflow 0
		.amdhsa_exception_fp_ieee_inexact 0
		.amdhsa_exception_int_div_zero 0
	.end_amdhsa_kernel
	.section	.text._ZN7rocprim17ROCPRIM_400000_NS6detail17trampoline_kernelINS0_14default_configENS1_38merge_sort_block_merge_config_selectorIsNS0_10empty_typeEEEZZNS1_27merge_sort_block_merge_implIS3_N6thrust23THRUST_200600_302600_NS6detail15normal_iteratorINS9_10device_ptrIsEEEEPS5_jNS1_19radix_merge_compareILb0ELb1EsNS0_19identity_decomposerEEEEE10hipError_tT0_T1_T2_jT3_P12ihipStream_tbPNSt15iterator_traitsISK_E10value_typeEPNSQ_ISL_E10value_typeEPSM_NS1_7vsmem_tEENKUlT_SK_SL_SM_E_clIPsSE_SF_SF_EESJ_SZ_SK_SL_SM_EUlSZ_E0_NS1_11comp_targetILNS1_3genE0ELNS1_11target_archE4294967295ELNS1_3gpuE0ELNS1_3repE0EEENS1_38merge_mergepath_config_static_selectorELNS0_4arch9wavefront6targetE1EEEvSL_,"axG",@progbits,_ZN7rocprim17ROCPRIM_400000_NS6detail17trampoline_kernelINS0_14default_configENS1_38merge_sort_block_merge_config_selectorIsNS0_10empty_typeEEEZZNS1_27merge_sort_block_merge_implIS3_N6thrust23THRUST_200600_302600_NS6detail15normal_iteratorINS9_10device_ptrIsEEEEPS5_jNS1_19radix_merge_compareILb0ELb1EsNS0_19identity_decomposerEEEEE10hipError_tT0_T1_T2_jT3_P12ihipStream_tbPNSt15iterator_traitsISK_E10value_typeEPNSQ_ISL_E10value_typeEPSM_NS1_7vsmem_tEENKUlT_SK_SL_SM_E_clIPsSE_SF_SF_EESJ_SZ_SK_SL_SM_EUlSZ_E0_NS1_11comp_targetILNS1_3genE0ELNS1_11target_archE4294967295ELNS1_3gpuE0ELNS1_3repE0EEENS1_38merge_mergepath_config_static_selectorELNS0_4arch9wavefront6targetE1EEEvSL_,comdat
.Lfunc_end1883:
	.size	_ZN7rocprim17ROCPRIM_400000_NS6detail17trampoline_kernelINS0_14default_configENS1_38merge_sort_block_merge_config_selectorIsNS0_10empty_typeEEEZZNS1_27merge_sort_block_merge_implIS3_N6thrust23THRUST_200600_302600_NS6detail15normal_iteratorINS9_10device_ptrIsEEEEPS5_jNS1_19radix_merge_compareILb0ELb1EsNS0_19identity_decomposerEEEEE10hipError_tT0_T1_T2_jT3_P12ihipStream_tbPNSt15iterator_traitsISK_E10value_typeEPNSQ_ISL_E10value_typeEPSM_NS1_7vsmem_tEENKUlT_SK_SL_SM_E_clIPsSE_SF_SF_EESJ_SZ_SK_SL_SM_EUlSZ_E0_NS1_11comp_targetILNS1_3genE0ELNS1_11target_archE4294967295ELNS1_3gpuE0ELNS1_3repE0EEENS1_38merge_mergepath_config_static_selectorELNS0_4arch9wavefront6targetE1EEEvSL_, .Lfunc_end1883-_ZN7rocprim17ROCPRIM_400000_NS6detail17trampoline_kernelINS0_14default_configENS1_38merge_sort_block_merge_config_selectorIsNS0_10empty_typeEEEZZNS1_27merge_sort_block_merge_implIS3_N6thrust23THRUST_200600_302600_NS6detail15normal_iteratorINS9_10device_ptrIsEEEEPS5_jNS1_19radix_merge_compareILb0ELb1EsNS0_19identity_decomposerEEEEE10hipError_tT0_T1_T2_jT3_P12ihipStream_tbPNSt15iterator_traitsISK_E10value_typeEPNSQ_ISL_E10value_typeEPSM_NS1_7vsmem_tEENKUlT_SK_SL_SM_E_clIPsSE_SF_SF_EESJ_SZ_SK_SL_SM_EUlSZ_E0_NS1_11comp_targetILNS1_3genE0ELNS1_11target_archE4294967295ELNS1_3gpuE0ELNS1_3repE0EEENS1_38merge_mergepath_config_static_selectorELNS0_4arch9wavefront6targetE1EEEvSL_
                                        ; -- End function
	.section	.AMDGPU.csdata,"",@progbits
; Kernel info:
; codeLenInByte = 0
; NumSgprs: 4
; NumVgprs: 0
; NumAgprs: 0
; TotalNumVgprs: 0
; ScratchSize: 0
; MemoryBound: 0
; FloatMode: 240
; IeeeMode: 1
; LDSByteSize: 0 bytes/workgroup (compile time only)
; SGPRBlocks: 0
; VGPRBlocks: 0
; NumSGPRsForWavesPerEU: 4
; NumVGPRsForWavesPerEU: 1
; AccumOffset: 4
; Occupancy: 8
; WaveLimiterHint : 0
; COMPUTE_PGM_RSRC2:SCRATCH_EN: 0
; COMPUTE_PGM_RSRC2:USER_SGPR: 6
; COMPUTE_PGM_RSRC2:TRAP_HANDLER: 0
; COMPUTE_PGM_RSRC2:TGID_X_EN: 1
; COMPUTE_PGM_RSRC2:TGID_Y_EN: 0
; COMPUTE_PGM_RSRC2:TGID_Z_EN: 0
; COMPUTE_PGM_RSRC2:TIDIG_COMP_CNT: 0
; COMPUTE_PGM_RSRC3_GFX90A:ACCUM_OFFSET: 0
; COMPUTE_PGM_RSRC3_GFX90A:TG_SPLIT: 0
	.section	.text._ZN7rocprim17ROCPRIM_400000_NS6detail17trampoline_kernelINS0_14default_configENS1_38merge_sort_block_merge_config_selectorIsNS0_10empty_typeEEEZZNS1_27merge_sort_block_merge_implIS3_N6thrust23THRUST_200600_302600_NS6detail15normal_iteratorINS9_10device_ptrIsEEEEPS5_jNS1_19radix_merge_compareILb0ELb1EsNS0_19identity_decomposerEEEEE10hipError_tT0_T1_T2_jT3_P12ihipStream_tbPNSt15iterator_traitsISK_E10value_typeEPNSQ_ISL_E10value_typeEPSM_NS1_7vsmem_tEENKUlT_SK_SL_SM_E_clIPsSE_SF_SF_EESJ_SZ_SK_SL_SM_EUlSZ_E0_NS1_11comp_targetILNS1_3genE10ELNS1_11target_archE1201ELNS1_3gpuE5ELNS1_3repE0EEENS1_38merge_mergepath_config_static_selectorELNS0_4arch9wavefront6targetE1EEEvSL_,"axG",@progbits,_ZN7rocprim17ROCPRIM_400000_NS6detail17trampoline_kernelINS0_14default_configENS1_38merge_sort_block_merge_config_selectorIsNS0_10empty_typeEEEZZNS1_27merge_sort_block_merge_implIS3_N6thrust23THRUST_200600_302600_NS6detail15normal_iteratorINS9_10device_ptrIsEEEEPS5_jNS1_19radix_merge_compareILb0ELb1EsNS0_19identity_decomposerEEEEE10hipError_tT0_T1_T2_jT3_P12ihipStream_tbPNSt15iterator_traitsISK_E10value_typeEPNSQ_ISL_E10value_typeEPSM_NS1_7vsmem_tEENKUlT_SK_SL_SM_E_clIPsSE_SF_SF_EESJ_SZ_SK_SL_SM_EUlSZ_E0_NS1_11comp_targetILNS1_3genE10ELNS1_11target_archE1201ELNS1_3gpuE5ELNS1_3repE0EEENS1_38merge_mergepath_config_static_selectorELNS0_4arch9wavefront6targetE1EEEvSL_,comdat
	.protected	_ZN7rocprim17ROCPRIM_400000_NS6detail17trampoline_kernelINS0_14default_configENS1_38merge_sort_block_merge_config_selectorIsNS0_10empty_typeEEEZZNS1_27merge_sort_block_merge_implIS3_N6thrust23THRUST_200600_302600_NS6detail15normal_iteratorINS9_10device_ptrIsEEEEPS5_jNS1_19radix_merge_compareILb0ELb1EsNS0_19identity_decomposerEEEEE10hipError_tT0_T1_T2_jT3_P12ihipStream_tbPNSt15iterator_traitsISK_E10value_typeEPNSQ_ISL_E10value_typeEPSM_NS1_7vsmem_tEENKUlT_SK_SL_SM_E_clIPsSE_SF_SF_EESJ_SZ_SK_SL_SM_EUlSZ_E0_NS1_11comp_targetILNS1_3genE10ELNS1_11target_archE1201ELNS1_3gpuE5ELNS1_3repE0EEENS1_38merge_mergepath_config_static_selectorELNS0_4arch9wavefront6targetE1EEEvSL_ ; -- Begin function _ZN7rocprim17ROCPRIM_400000_NS6detail17trampoline_kernelINS0_14default_configENS1_38merge_sort_block_merge_config_selectorIsNS0_10empty_typeEEEZZNS1_27merge_sort_block_merge_implIS3_N6thrust23THRUST_200600_302600_NS6detail15normal_iteratorINS9_10device_ptrIsEEEEPS5_jNS1_19radix_merge_compareILb0ELb1EsNS0_19identity_decomposerEEEEE10hipError_tT0_T1_T2_jT3_P12ihipStream_tbPNSt15iterator_traitsISK_E10value_typeEPNSQ_ISL_E10value_typeEPSM_NS1_7vsmem_tEENKUlT_SK_SL_SM_E_clIPsSE_SF_SF_EESJ_SZ_SK_SL_SM_EUlSZ_E0_NS1_11comp_targetILNS1_3genE10ELNS1_11target_archE1201ELNS1_3gpuE5ELNS1_3repE0EEENS1_38merge_mergepath_config_static_selectorELNS0_4arch9wavefront6targetE1EEEvSL_
	.globl	_ZN7rocprim17ROCPRIM_400000_NS6detail17trampoline_kernelINS0_14default_configENS1_38merge_sort_block_merge_config_selectorIsNS0_10empty_typeEEEZZNS1_27merge_sort_block_merge_implIS3_N6thrust23THRUST_200600_302600_NS6detail15normal_iteratorINS9_10device_ptrIsEEEEPS5_jNS1_19radix_merge_compareILb0ELb1EsNS0_19identity_decomposerEEEEE10hipError_tT0_T1_T2_jT3_P12ihipStream_tbPNSt15iterator_traitsISK_E10value_typeEPNSQ_ISL_E10value_typeEPSM_NS1_7vsmem_tEENKUlT_SK_SL_SM_E_clIPsSE_SF_SF_EESJ_SZ_SK_SL_SM_EUlSZ_E0_NS1_11comp_targetILNS1_3genE10ELNS1_11target_archE1201ELNS1_3gpuE5ELNS1_3repE0EEENS1_38merge_mergepath_config_static_selectorELNS0_4arch9wavefront6targetE1EEEvSL_
	.p2align	8
	.type	_ZN7rocprim17ROCPRIM_400000_NS6detail17trampoline_kernelINS0_14default_configENS1_38merge_sort_block_merge_config_selectorIsNS0_10empty_typeEEEZZNS1_27merge_sort_block_merge_implIS3_N6thrust23THRUST_200600_302600_NS6detail15normal_iteratorINS9_10device_ptrIsEEEEPS5_jNS1_19radix_merge_compareILb0ELb1EsNS0_19identity_decomposerEEEEE10hipError_tT0_T1_T2_jT3_P12ihipStream_tbPNSt15iterator_traitsISK_E10value_typeEPNSQ_ISL_E10value_typeEPSM_NS1_7vsmem_tEENKUlT_SK_SL_SM_E_clIPsSE_SF_SF_EESJ_SZ_SK_SL_SM_EUlSZ_E0_NS1_11comp_targetILNS1_3genE10ELNS1_11target_archE1201ELNS1_3gpuE5ELNS1_3repE0EEENS1_38merge_mergepath_config_static_selectorELNS0_4arch9wavefront6targetE1EEEvSL_,@function
_ZN7rocprim17ROCPRIM_400000_NS6detail17trampoline_kernelINS0_14default_configENS1_38merge_sort_block_merge_config_selectorIsNS0_10empty_typeEEEZZNS1_27merge_sort_block_merge_implIS3_N6thrust23THRUST_200600_302600_NS6detail15normal_iteratorINS9_10device_ptrIsEEEEPS5_jNS1_19radix_merge_compareILb0ELb1EsNS0_19identity_decomposerEEEEE10hipError_tT0_T1_T2_jT3_P12ihipStream_tbPNSt15iterator_traitsISK_E10value_typeEPNSQ_ISL_E10value_typeEPSM_NS1_7vsmem_tEENKUlT_SK_SL_SM_E_clIPsSE_SF_SF_EESJ_SZ_SK_SL_SM_EUlSZ_E0_NS1_11comp_targetILNS1_3genE10ELNS1_11target_archE1201ELNS1_3gpuE5ELNS1_3repE0EEENS1_38merge_mergepath_config_static_selectorELNS0_4arch9wavefront6targetE1EEEvSL_: ; @_ZN7rocprim17ROCPRIM_400000_NS6detail17trampoline_kernelINS0_14default_configENS1_38merge_sort_block_merge_config_selectorIsNS0_10empty_typeEEEZZNS1_27merge_sort_block_merge_implIS3_N6thrust23THRUST_200600_302600_NS6detail15normal_iteratorINS9_10device_ptrIsEEEEPS5_jNS1_19radix_merge_compareILb0ELb1EsNS0_19identity_decomposerEEEEE10hipError_tT0_T1_T2_jT3_P12ihipStream_tbPNSt15iterator_traitsISK_E10value_typeEPNSQ_ISL_E10value_typeEPSM_NS1_7vsmem_tEENKUlT_SK_SL_SM_E_clIPsSE_SF_SF_EESJ_SZ_SK_SL_SM_EUlSZ_E0_NS1_11comp_targetILNS1_3genE10ELNS1_11target_archE1201ELNS1_3gpuE5ELNS1_3repE0EEENS1_38merge_mergepath_config_static_selectorELNS0_4arch9wavefront6targetE1EEEvSL_
; %bb.0:
	.section	.rodata,"a",@progbits
	.p2align	6, 0x0
	.amdhsa_kernel _ZN7rocprim17ROCPRIM_400000_NS6detail17trampoline_kernelINS0_14default_configENS1_38merge_sort_block_merge_config_selectorIsNS0_10empty_typeEEEZZNS1_27merge_sort_block_merge_implIS3_N6thrust23THRUST_200600_302600_NS6detail15normal_iteratorINS9_10device_ptrIsEEEEPS5_jNS1_19radix_merge_compareILb0ELb1EsNS0_19identity_decomposerEEEEE10hipError_tT0_T1_T2_jT3_P12ihipStream_tbPNSt15iterator_traitsISK_E10value_typeEPNSQ_ISL_E10value_typeEPSM_NS1_7vsmem_tEENKUlT_SK_SL_SM_E_clIPsSE_SF_SF_EESJ_SZ_SK_SL_SM_EUlSZ_E0_NS1_11comp_targetILNS1_3genE10ELNS1_11target_archE1201ELNS1_3gpuE5ELNS1_3repE0EEENS1_38merge_mergepath_config_static_selectorELNS0_4arch9wavefront6targetE1EEEvSL_
		.amdhsa_group_segment_fixed_size 0
		.amdhsa_private_segment_fixed_size 0
		.amdhsa_kernarg_size 64
		.amdhsa_user_sgpr_count 6
		.amdhsa_user_sgpr_private_segment_buffer 1
		.amdhsa_user_sgpr_dispatch_ptr 0
		.amdhsa_user_sgpr_queue_ptr 0
		.amdhsa_user_sgpr_kernarg_segment_ptr 1
		.amdhsa_user_sgpr_dispatch_id 0
		.amdhsa_user_sgpr_flat_scratch_init 0
		.amdhsa_user_sgpr_kernarg_preload_length 0
		.amdhsa_user_sgpr_kernarg_preload_offset 0
		.amdhsa_user_sgpr_private_segment_size 0
		.amdhsa_uses_dynamic_stack 0
		.amdhsa_system_sgpr_private_segment_wavefront_offset 0
		.amdhsa_system_sgpr_workgroup_id_x 1
		.amdhsa_system_sgpr_workgroup_id_y 0
		.amdhsa_system_sgpr_workgroup_id_z 0
		.amdhsa_system_sgpr_workgroup_info 0
		.amdhsa_system_vgpr_workitem_id 0
		.amdhsa_next_free_vgpr 1
		.amdhsa_next_free_sgpr 0
		.amdhsa_accum_offset 4
		.amdhsa_reserve_vcc 0
		.amdhsa_reserve_flat_scratch 0
		.amdhsa_float_round_mode_32 0
		.amdhsa_float_round_mode_16_64 0
		.amdhsa_float_denorm_mode_32 3
		.amdhsa_float_denorm_mode_16_64 3
		.amdhsa_dx10_clamp 1
		.amdhsa_ieee_mode 1
		.amdhsa_fp16_overflow 0
		.amdhsa_tg_split 0
		.amdhsa_exception_fp_ieee_invalid_op 0
		.amdhsa_exception_fp_denorm_src 0
		.amdhsa_exception_fp_ieee_div_zero 0
		.amdhsa_exception_fp_ieee_overflow 0
		.amdhsa_exception_fp_ieee_underflow 0
		.amdhsa_exception_fp_ieee_inexact 0
		.amdhsa_exception_int_div_zero 0
	.end_amdhsa_kernel
	.section	.text._ZN7rocprim17ROCPRIM_400000_NS6detail17trampoline_kernelINS0_14default_configENS1_38merge_sort_block_merge_config_selectorIsNS0_10empty_typeEEEZZNS1_27merge_sort_block_merge_implIS3_N6thrust23THRUST_200600_302600_NS6detail15normal_iteratorINS9_10device_ptrIsEEEEPS5_jNS1_19radix_merge_compareILb0ELb1EsNS0_19identity_decomposerEEEEE10hipError_tT0_T1_T2_jT3_P12ihipStream_tbPNSt15iterator_traitsISK_E10value_typeEPNSQ_ISL_E10value_typeEPSM_NS1_7vsmem_tEENKUlT_SK_SL_SM_E_clIPsSE_SF_SF_EESJ_SZ_SK_SL_SM_EUlSZ_E0_NS1_11comp_targetILNS1_3genE10ELNS1_11target_archE1201ELNS1_3gpuE5ELNS1_3repE0EEENS1_38merge_mergepath_config_static_selectorELNS0_4arch9wavefront6targetE1EEEvSL_,"axG",@progbits,_ZN7rocprim17ROCPRIM_400000_NS6detail17trampoline_kernelINS0_14default_configENS1_38merge_sort_block_merge_config_selectorIsNS0_10empty_typeEEEZZNS1_27merge_sort_block_merge_implIS3_N6thrust23THRUST_200600_302600_NS6detail15normal_iteratorINS9_10device_ptrIsEEEEPS5_jNS1_19radix_merge_compareILb0ELb1EsNS0_19identity_decomposerEEEEE10hipError_tT0_T1_T2_jT3_P12ihipStream_tbPNSt15iterator_traitsISK_E10value_typeEPNSQ_ISL_E10value_typeEPSM_NS1_7vsmem_tEENKUlT_SK_SL_SM_E_clIPsSE_SF_SF_EESJ_SZ_SK_SL_SM_EUlSZ_E0_NS1_11comp_targetILNS1_3genE10ELNS1_11target_archE1201ELNS1_3gpuE5ELNS1_3repE0EEENS1_38merge_mergepath_config_static_selectorELNS0_4arch9wavefront6targetE1EEEvSL_,comdat
.Lfunc_end1884:
	.size	_ZN7rocprim17ROCPRIM_400000_NS6detail17trampoline_kernelINS0_14default_configENS1_38merge_sort_block_merge_config_selectorIsNS0_10empty_typeEEEZZNS1_27merge_sort_block_merge_implIS3_N6thrust23THRUST_200600_302600_NS6detail15normal_iteratorINS9_10device_ptrIsEEEEPS5_jNS1_19radix_merge_compareILb0ELb1EsNS0_19identity_decomposerEEEEE10hipError_tT0_T1_T2_jT3_P12ihipStream_tbPNSt15iterator_traitsISK_E10value_typeEPNSQ_ISL_E10value_typeEPSM_NS1_7vsmem_tEENKUlT_SK_SL_SM_E_clIPsSE_SF_SF_EESJ_SZ_SK_SL_SM_EUlSZ_E0_NS1_11comp_targetILNS1_3genE10ELNS1_11target_archE1201ELNS1_3gpuE5ELNS1_3repE0EEENS1_38merge_mergepath_config_static_selectorELNS0_4arch9wavefront6targetE1EEEvSL_, .Lfunc_end1884-_ZN7rocprim17ROCPRIM_400000_NS6detail17trampoline_kernelINS0_14default_configENS1_38merge_sort_block_merge_config_selectorIsNS0_10empty_typeEEEZZNS1_27merge_sort_block_merge_implIS3_N6thrust23THRUST_200600_302600_NS6detail15normal_iteratorINS9_10device_ptrIsEEEEPS5_jNS1_19radix_merge_compareILb0ELb1EsNS0_19identity_decomposerEEEEE10hipError_tT0_T1_T2_jT3_P12ihipStream_tbPNSt15iterator_traitsISK_E10value_typeEPNSQ_ISL_E10value_typeEPSM_NS1_7vsmem_tEENKUlT_SK_SL_SM_E_clIPsSE_SF_SF_EESJ_SZ_SK_SL_SM_EUlSZ_E0_NS1_11comp_targetILNS1_3genE10ELNS1_11target_archE1201ELNS1_3gpuE5ELNS1_3repE0EEENS1_38merge_mergepath_config_static_selectorELNS0_4arch9wavefront6targetE1EEEvSL_
                                        ; -- End function
	.section	.AMDGPU.csdata,"",@progbits
; Kernel info:
; codeLenInByte = 0
; NumSgprs: 4
; NumVgprs: 0
; NumAgprs: 0
; TotalNumVgprs: 0
; ScratchSize: 0
; MemoryBound: 0
; FloatMode: 240
; IeeeMode: 1
; LDSByteSize: 0 bytes/workgroup (compile time only)
; SGPRBlocks: 0
; VGPRBlocks: 0
; NumSGPRsForWavesPerEU: 4
; NumVGPRsForWavesPerEU: 1
; AccumOffset: 4
; Occupancy: 8
; WaveLimiterHint : 0
; COMPUTE_PGM_RSRC2:SCRATCH_EN: 0
; COMPUTE_PGM_RSRC2:USER_SGPR: 6
; COMPUTE_PGM_RSRC2:TRAP_HANDLER: 0
; COMPUTE_PGM_RSRC2:TGID_X_EN: 1
; COMPUTE_PGM_RSRC2:TGID_Y_EN: 0
; COMPUTE_PGM_RSRC2:TGID_Z_EN: 0
; COMPUTE_PGM_RSRC2:TIDIG_COMP_CNT: 0
; COMPUTE_PGM_RSRC3_GFX90A:ACCUM_OFFSET: 0
; COMPUTE_PGM_RSRC3_GFX90A:TG_SPLIT: 0
	.section	.text._ZN7rocprim17ROCPRIM_400000_NS6detail17trampoline_kernelINS0_14default_configENS1_38merge_sort_block_merge_config_selectorIsNS0_10empty_typeEEEZZNS1_27merge_sort_block_merge_implIS3_N6thrust23THRUST_200600_302600_NS6detail15normal_iteratorINS9_10device_ptrIsEEEEPS5_jNS1_19radix_merge_compareILb0ELb1EsNS0_19identity_decomposerEEEEE10hipError_tT0_T1_T2_jT3_P12ihipStream_tbPNSt15iterator_traitsISK_E10value_typeEPNSQ_ISL_E10value_typeEPSM_NS1_7vsmem_tEENKUlT_SK_SL_SM_E_clIPsSE_SF_SF_EESJ_SZ_SK_SL_SM_EUlSZ_E0_NS1_11comp_targetILNS1_3genE5ELNS1_11target_archE942ELNS1_3gpuE9ELNS1_3repE0EEENS1_38merge_mergepath_config_static_selectorELNS0_4arch9wavefront6targetE1EEEvSL_,"axG",@progbits,_ZN7rocprim17ROCPRIM_400000_NS6detail17trampoline_kernelINS0_14default_configENS1_38merge_sort_block_merge_config_selectorIsNS0_10empty_typeEEEZZNS1_27merge_sort_block_merge_implIS3_N6thrust23THRUST_200600_302600_NS6detail15normal_iteratorINS9_10device_ptrIsEEEEPS5_jNS1_19radix_merge_compareILb0ELb1EsNS0_19identity_decomposerEEEEE10hipError_tT0_T1_T2_jT3_P12ihipStream_tbPNSt15iterator_traitsISK_E10value_typeEPNSQ_ISL_E10value_typeEPSM_NS1_7vsmem_tEENKUlT_SK_SL_SM_E_clIPsSE_SF_SF_EESJ_SZ_SK_SL_SM_EUlSZ_E0_NS1_11comp_targetILNS1_3genE5ELNS1_11target_archE942ELNS1_3gpuE9ELNS1_3repE0EEENS1_38merge_mergepath_config_static_selectorELNS0_4arch9wavefront6targetE1EEEvSL_,comdat
	.protected	_ZN7rocprim17ROCPRIM_400000_NS6detail17trampoline_kernelINS0_14default_configENS1_38merge_sort_block_merge_config_selectorIsNS0_10empty_typeEEEZZNS1_27merge_sort_block_merge_implIS3_N6thrust23THRUST_200600_302600_NS6detail15normal_iteratorINS9_10device_ptrIsEEEEPS5_jNS1_19radix_merge_compareILb0ELb1EsNS0_19identity_decomposerEEEEE10hipError_tT0_T1_T2_jT3_P12ihipStream_tbPNSt15iterator_traitsISK_E10value_typeEPNSQ_ISL_E10value_typeEPSM_NS1_7vsmem_tEENKUlT_SK_SL_SM_E_clIPsSE_SF_SF_EESJ_SZ_SK_SL_SM_EUlSZ_E0_NS1_11comp_targetILNS1_3genE5ELNS1_11target_archE942ELNS1_3gpuE9ELNS1_3repE0EEENS1_38merge_mergepath_config_static_selectorELNS0_4arch9wavefront6targetE1EEEvSL_ ; -- Begin function _ZN7rocprim17ROCPRIM_400000_NS6detail17trampoline_kernelINS0_14default_configENS1_38merge_sort_block_merge_config_selectorIsNS0_10empty_typeEEEZZNS1_27merge_sort_block_merge_implIS3_N6thrust23THRUST_200600_302600_NS6detail15normal_iteratorINS9_10device_ptrIsEEEEPS5_jNS1_19radix_merge_compareILb0ELb1EsNS0_19identity_decomposerEEEEE10hipError_tT0_T1_T2_jT3_P12ihipStream_tbPNSt15iterator_traitsISK_E10value_typeEPNSQ_ISL_E10value_typeEPSM_NS1_7vsmem_tEENKUlT_SK_SL_SM_E_clIPsSE_SF_SF_EESJ_SZ_SK_SL_SM_EUlSZ_E0_NS1_11comp_targetILNS1_3genE5ELNS1_11target_archE942ELNS1_3gpuE9ELNS1_3repE0EEENS1_38merge_mergepath_config_static_selectorELNS0_4arch9wavefront6targetE1EEEvSL_
	.globl	_ZN7rocprim17ROCPRIM_400000_NS6detail17trampoline_kernelINS0_14default_configENS1_38merge_sort_block_merge_config_selectorIsNS0_10empty_typeEEEZZNS1_27merge_sort_block_merge_implIS3_N6thrust23THRUST_200600_302600_NS6detail15normal_iteratorINS9_10device_ptrIsEEEEPS5_jNS1_19radix_merge_compareILb0ELb1EsNS0_19identity_decomposerEEEEE10hipError_tT0_T1_T2_jT3_P12ihipStream_tbPNSt15iterator_traitsISK_E10value_typeEPNSQ_ISL_E10value_typeEPSM_NS1_7vsmem_tEENKUlT_SK_SL_SM_E_clIPsSE_SF_SF_EESJ_SZ_SK_SL_SM_EUlSZ_E0_NS1_11comp_targetILNS1_3genE5ELNS1_11target_archE942ELNS1_3gpuE9ELNS1_3repE0EEENS1_38merge_mergepath_config_static_selectorELNS0_4arch9wavefront6targetE1EEEvSL_
	.p2align	8
	.type	_ZN7rocprim17ROCPRIM_400000_NS6detail17trampoline_kernelINS0_14default_configENS1_38merge_sort_block_merge_config_selectorIsNS0_10empty_typeEEEZZNS1_27merge_sort_block_merge_implIS3_N6thrust23THRUST_200600_302600_NS6detail15normal_iteratorINS9_10device_ptrIsEEEEPS5_jNS1_19radix_merge_compareILb0ELb1EsNS0_19identity_decomposerEEEEE10hipError_tT0_T1_T2_jT3_P12ihipStream_tbPNSt15iterator_traitsISK_E10value_typeEPNSQ_ISL_E10value_typeEPSM_NS1_7vsmem_tEENKUlT_SK_SL_SM_E_clIPsSE_SF_SF_EESJ_SZ_SK_SL_SM_EUlSZ_E0_NS1_11comp_targetILNS1_3genE5ELNS1_11target_archE942ELNS1_3gpuE9ELNS1_3repE0EEENS1_38merge_mergepath_config_static_selectorELNS0_4arch9wavefront6targetE1EEEvSL_,@function
_ZN7rocprim17ROCPRIM_400000_NS6detail17trampoline_kernelINS0_14default_configENS1_38merge_sort_block_merge_config_selectorIsNS0_10empty_typeEEEZZNS1_27merge_sort_block_merge_implIS3_N6thrust23THRUST_200600_302600_NS6detail15normal_iteratorINS9_10device_ptrIsEEEEPS5_jNS1_19radix_merge_compareILb0ELb1EsNS0_19identity_decomposerEEEEE10hipError_tT0_T1_T2_jT3_P12ihipStream_tbPNSt15iterator_traitsISK_E10value_typeEPNSQ_ISL_E10value_typeEPSM_NS1_7vsmem_tEENKUlT_SK_SL_SM_E_clIPsSE_SF_SF_EESJ_SZ_SK_SL_SM_EUlSZ_E0_NS1_11comp_targetILNS1_3genE5ELNS1_11target_archE942ELNS1_3gpuE9ELNS1_3repE0EEENS1_38merge_mergepath_config_static_selectorELNS0_4arch9wavefront6targetE1EEEvSL_: ; @_ZN7rocprim17ROCPRIM_400000_NS6detail17trampoline_kernelINS0_14default_configENS1_38merge_sort_block_merge_config_selectorIsNS0_10empty_typeEEEZZNS1_27merge_sort_block_merge_implIS3_N6thrust23THRUST_200600_302600_NS6detail15normal_iteratorINS9_10device_ptrIsEEEEPS5_jNS1_19radix_merge_compareILb0ELb1EsNS0_19identity_decomposerEEEEE10hipError_tT0_T1_T2_jT3_P12ihipStream_tbPNSt15iterator_traitsISK_E10value_typeEPNSQ_ISL_E10value_typeEPSM_NS1_7vsmem_tEENKUlT_SK_SL_SM_E_clIPsSE_SF_SF_EESJ_SZ_SK_SL_SM_EUlSZ_E0_NS1_11comp_targetILNS1_3genE5ELNS1_11target_archE942ELNS1_3gpuE9ELNS1_3repE0EEENS1_38merge_mergepath_config_static_selectorELNS0_4arch9wavefront6targetE1EEEvSL_
; %bb.0:
	.section	.rodata,"a",@progbits
	.p2align	6, 0x0
	.amdhsa_kernel _ZN7rocprim17ROCPRIM_400000_NS6detail17trampoline_kernelINS0_14default_configENS1_38merge_sort_block_merge_config_selectorIsNS0_10empty_typeEEEZZNS1_27merge_sort_block_merge_implIS3_N6thrust23THRUST_200600_302600_NS6detail15normal_iteratorINS9_10device_ptrIsEEEEPS5_jNS1_19radix_merge_compareILb0ELb1EsNS0_19identity_decomposerEEEEE10hipError_tT0_T1_T2_jT3_P12ihipStream_tbPNSt15iterator_traitsISK_E10value_typeEPNSQ_ISL_E10value_typeEPSM_NS1_7vsmem_tEENKUlT_SK_SL_SM_E_clIPsSE_SF_SF_EESJ_SZ_SK_SL_SM_EUlSZ_E0_NS1_11comp_targetILNS1_3genE5ELNS1_11target_archE942ELNS1_3gpuE9ELNS1_3repE0EEENS1_38merge_mergepath_config_static_selectorELNS0_4arch9wavefront6targetE1EEEvSL_
		.amdhsa_group_segment_fixed_size 0
		.amdhsa_private_segment_fixed_size 0
		.amdhsa_kernarg_size 64
		.amdhsa_user_sgpr_count 6
		.amdhsa_user_sgpr_private_segment_buffer 1
		.amdhsa_user_sgpr_dispatch_ptr 0
		.amdhsa_user_sgpr_queue_ptr 0
		.amdhsa_user_sgpr_kernarg_segment_ptr 1
		.amdhsa_user_sgpr_dispatch_id 0
		.amdhsa_user_sgpr_flat_scratch_init 0
		.amdhsa_user_sgpr_kernarg_preload_length 0
		.amdhsa_user_sgpr_kernarg_preload_offset 0
		.amdhsa_user_sgpr_private_segment_size 0
		.amdhsa_uses_dynamic_stack 0
		.amdhsa_system_sgpr_private_segment_wavefront_offset 0
		.amdhsa_system_sgpr_workgroup_id_x 1
		.amdhsa_system_sgpr_workgroup_id_y 0
		.amdhsa_system_sgpr_workgroup_id_z 0
		.amdhsa_system_sgpr_workgroup_info 0
		.amdhsa_system_vgpr_workitem_id 0
		.amdhsa_next_free_vgpr 1
		.amdhsa_next_free_sgpr 0
		.amdhsa_accum_offset 4
		.amdhsa_reserve_vcc 0
		.amdhsa_reserve_flat_scratch 0
		.amdhsa_float_round_mode_32 0
		.amdhsa_float_round_mode_16_64 0
		.amdhsa_float_denorm_mode_32 3
		.amdhsa_float_denorm_mode_16_64 3
		.amdhsa_dx10_clamp 1
		.amdhsa_ieee_mode 1
		.amdhsa_fp16_overflow 0
		.amdhsa_tg_split 0
		.amdhsa_exception_fp_ieee_invalid_op 0
		.amdhsa_exception_fp_denorm_src 0
		.amdhsa_exception_fp_ieee_div_zero 0
		.amdhsa_exception_fp_ieee_overflow 0
		.amdhsa_exception_fp_ieee_underflow 0
		.amdhsa_exception_fp_ieee_inexact 0
		.amdhsa_exception_int_div_zero 0
	.end_amdhsa_kernel
	.section	.text._ZN7rocprim17ROCPRIM_400000_NS6detail17trampoline_kernelINS0_14default_configENS1_38merge_sort_block_merge_config_selectorIsNS0_10empty_typeEEEZZNS1_27merge_sort_block_merge_implIS3_N6thrust23THRUST_200600_302600_NS6detail15normal_iteratorINS9_10device_ptrIsEEEEPS5_jNS1_19radix_merge_compareILb0ELb1EsNS0_19identity_decomposerEEEEE10hipError_tT0_T1_T2_jT3_P12ihipStream_tbPNSt15iterator_traitsISK_E10value_typeEPNSQ_ISL_E10value_typeEPSM_NS1_7vsmem_tEENKUlT_SK_SL_SM_E_clIPsSE_SF_SF_EESJ_SZ_SK_SL_SM_EUlSZ_E0_NS1_11comp_targetILNS1_3genE5ELNS1_11target_archE942ELNS1_3gpuE9ELNS1_3repE0EEENS1_38merge_mergepath_config_static_selectorELNS0_4arch9wavefront6targetE1EEEvSL_,"axG",@progbits,_ZN7rocprim17ROCPRIM_400000_NS6detail17trampoline_kernelINS0_14default_configENS1_38merge_sort_block_merge_config_selectorIsNS0_10empty_typeEEEZZNS1_27merge_sort_block_merge_implIS3_N6thrust23THRUST_200600_302600_NS6detail15normal_iteratorINS9_10device_ptrIsEEEEPS5_jNS1_19radix_merge_compareILb0ELb1EsNS0_19identity_decomposerEEEEE10hipError_tT0_T1_T2_jT3_P12ihipStream_tbPNSt15iterator_traitsISK_E10value_typeEPNSQ_ISL_E10value_typeEPSM_NS1_7vsmem_tEENKUlT_SK_SL_SM_E_clIPsSE_SF_SF_EESJ_SZ_SK_SL_SM_EUlSZ_E0_NS1_11comp_targetILNS1_3genE5ELNS1_11target_archE942ELNS1_3gpuE9ELNS1_3repE0EEENS1_38merge_mergepath_config_static_selectorELNS0_4arch9wavefront6targetE1EEEvSL_,comdat
.Lfunc_end1885:
	.size	_ZN7rocprim17ROCPRIM_400000_NS6detail17trampoline_kernelINS0_14default_configENS1_38merge_sort_block_merge_config_selectorIsNS0_10empty_typeEEEZZNS1_27merge_sort_block_merge_implIS3_N6thrust23THRUST_200600_302600_NS6detail15normal_iteratorINS9_10device_ptrIsEEEEPS5_jNS1_19radix_merge_compareILb0ELb1EsNS0_19identity_decomposerEEEEE10hipError_tT0_T1_T2_jT3_P12ihipStream_tbPNSt15iterator_traitsISK_E10value_typeEPNSQ_ISL_E10value_typeEPSM_NS1_7vsmem_tEENKUlT_SK_SL_SM_E_clIPsSE_SF_SF_EESJ_SZ_SK_SL_SM_EUlSZ_E0_NS1_11comp_targetILNS1_3genE5ELNS1_11target_archE942ELNS1_3gpuE9ELNS1_3repE0EEENS1_38merge_mergepath_config_static_selectorELNS0_4arch9wavefront6targetE1EEEvSL_, .Lfunc_end1885-_ZN7rocprim17ROCPRIM_400000_NS6detail17trampoline_kernelINS0_14default_configENS1_38merge_sort_block_merge_config_selectorIsNS0_10empty_typeEEEZZNS1_27merge_sort_block_merge_implIS3_N6thrust23THRUST_200600_302600_NS6detail15normal_iteratorINS9_10device_ptrIsEEEEPS5_jNS1_19radix_merge_compareILb0ELb1EsNS0_19identity_decomposerEEEEE10hipError_tT0_T1_T2_jT3_P12ihipStream_tbPNSt15iterator_traitsISK_E10value_typeEPNSQ_ISL_E10value_typeEPSM_NS1_7vsmem_tEENKUlT_SK_SL_SM_E_clIPsSE_SF_SF_EESJ_SZ_SK_SL_SM_EUlSZ_E0_NS1_11comp_targetILNS1_3genE5ELNS1_11target_archE942ELNS1_3gpuE9ELNS1_3repE0EEENS1_38merge_mergepath_config_static_selectorELNS0_4arch9wavefront6targetE1EEEvSL_
                                        ; -- End function
	.section	.AMDGPU.csdata,"",@progbits
; Kernel info:
; codeLenInByte = 0
; NumSgprs: 4
; NumVgprs: 0
; NumAgprs: 0
; TotalNumVgprs: 0
; ScratchSize: 0
; MemoryBound: 0
; FloatMode: 240
; IeeeMode: 1
; LDSByteSize: 0 bytes/workgroup (compile time only)
; SGPRBlocks: 0
; VGPRBlocks: 0
; NumSGPRsForWavesPerEU: 4
; NumVGPRsForWavesPerEU: 1
; AccumOffset: 4
; Occupancy: 8
; WaveLimiterHint : 0
; COMPUTE_PGM_RSRC2:SCRATCH_EN: 0
; COMPUTE_PGM_RSRC2:USER_SGPR: 6
; COMPUTE_PGM_RSRC2:TRAP_HANDLER: 0
; COMPUTE_PGM_RSRC2:TGID_X_EN: 1
; COMPUTE_PGM_RSRC2:TGID_Y_EN: 0
; COMPUTE_PGM_RSRC2:TGID_Z_EN: 0
; COMPUTE_PGM_RSRC2:TIDIG_COMP_CNT: 0
; COMPUTE_PGM_RSRC3_GFX90A:ACCUM_OFFSET: 0
; COMPUTE_PGM_RSRC3_GFX90A:TG_SPLIT: 0
	.section	.text._ZN7rocprim17ROCPRIM_400000_NS6detail17trampoline_kernelINS0_14default_configENS1_38merge_sort_block_merge_config_selectorIsNS0_10empty_typeEEEZZNS1_27merge_sort_block_merge_implIS3_N6thrust23THRUST_200600_302600_NS6detail15normal_iteratorINS9_10device_ptrIsEEEEPS5_jNS1_19radix_merge_compareILb0ELb1EsNS0_19identity_decomposerEEEEE10hipError_tT0_T1_T2_jT3_P12ihipStream_tbPNSt15iterator_traitsISK_E10value_typeEPNSQ_ISL_E10value_typeEPSM_NS1_7vsmem_tEENKUlT_SK_SL_SM_E_clIPsSE_SF_SF_EESJ_SZ_SK_SL_SM_EUlSZ_E0_NS1_11comp_targetILNS1_3genE4ELNS1_11target_archE910ELNS1_3gpuE8ELNS1_3repE0EEENS1_38merge_mergepath_config_static_selectorELNS0_4arch9wavefront6targetE1EEEvSL_,"axG",@progbits,_ZN7rocprim17ROCPRIM_400000_NS6detail17trampoline_kernelINS0_14default_configENS1_38merge_sort_block_merge_config_selectorIsNS0_10empty_typeEEEZZNS1_27merge_sort_block_merge_implIS3_N6thrust23THRUST_200600_302600_NS6detail15normal_iteratorINS9_10device_ptrIsEEEEPS5_jNS1_19radix_merge_compareILb0ELb1EsNS0_19identity_decomposerEEEEE10hipError_tT0_T1_T2_jT3_P12ihipStream_tbPNSt15iterator_traitsISK_E10value_typeEPNSQ_ISL_E10value_typeEPSM_NS1_7vsmem_tEENKUlT_SK_SL_SM_E_clIPsSE_SF_SF_EESJ_SZ_SK_SL_SM_EUlSZ_E0_NS1_11comp_targetILNS1_3genE4ELNS1_11target_archE910ELNS1_3gpuE8ELNS1_3repE0EEENS1_38merge_mergepath_config_static_selectorELNS0_4arch9wavefront6targetE1EEEvSL_,comdat
	.protected	_ZN7rocprim17ROCPRIM_400000_NS6detail17trampoline_kernelINS0_14default_configENS1_38merge_sort_block_merge_config_selectorIsNS0_10empty_typeEEEZZNS1_27merge_sort_block_merge_implIS3_N6thrust23THRUST_200600_302600_NS6detail15normal_iteratorINS9_10device_ptrIsEEEEPS5_jNS1_19radix_merge_compareILb0ELb1EsNS0_19identity_decomposerEEEEE10hipError_tT0_T1_T2_jT3_P12ihipStream_tbPNSt15iterator_traitsISK_E10value_typeEPNSQ_ISL_E10value_typeEPSM_NS1_7vsmem_tEENKUlT_SK_SL_SM_E_clIPsSE_SF_SF_EESJ_SZ_SK_SL_SM_EUlSZ_E0_NS1_11comp_targetILNS1_3genE4ELNS1_11target_archE910ELNS1_3gpuE8ELNS1_3repE0EEENS1_38merge_mergepath_config_static_selectorELNS0_4arch9wavefront6targetE1EEEvSL_ ; -- Begin function _ZN7rocprim17ROCPRIM_400000_NS6detail17trampoline_kernelINS0_14default_configENS1_38merge_sort_block_merge_config_selectorIsNS0_10empty_typeEEEZZNS1_27merge_sort_block_merge_implIS3_N6thrust23THRUST_200600_302600_NS6detail15normal_iteratorINS9_10device_ptrIsEEEEPS5_jNS1_19radix_merge_compareILb0ELb1EsNS0_19identity_decomposerEEEEE10hipError_tT0_T1_T2_jT3_P12ihipStream_tbPNSt15iterator_traitsISK_E10value_typeEPNSQ_ISL_E10value_typeEPSM_NS1_7vsmem_tEENKUlT_SK_SL_SM_E_clIPsSE_SF_SF_EESJ_SZ_SK_SL_SM_EUlSZ_E0_NS1_11comp_targetILNS1_3genE4ELNS1_11target_archE910ELNS1_3gpuE8ELNS1_3repE0EEENS1_38merge_mergepath_config_static_selectorELNS0_4arch9wavefront6targetE1EEEvSL_
	.globl	_ZN7rocprim17ROCPRIM_400000_NS6detail17trampoline_kernelINS0_14default_configENS1_38merge_sort_block_merge_config_selectorIsNS0_10empty_typeEEEZZNS1_27merge_sort_block_merge_implIS3_N6thrust23THRUST_200600_302600_NS6detail15normal_iteratorINS9_10device_ptrIsEEEEPS5_jNS1_19radix_merge_compareILb0ELb1EsNS0_19identity_decomposerEEEEE10hipError_tT0_T1_T2_jT3_P12ihipStream_tbPNSt15iterator_traitsISK_E10value_typeEPNSQ_ISL_E10value_typeEPSM_NS1_7vsmem_tEENKUlT_SK_SL_SM_E_clIPsSE_SF_SF_EESJ_SZ_SK_SL_SM_EUlSZ_E0_NS1_11comp_targetILNS1_3genE4ELNS1_11target_archE910ELNS1_3gpuE8ELNS1_3repE0EEENS1_38merge_mergepath_config_static_selectorELNS0_4arch9wavefront6targetE1EEEvSL_
	.p2align	8
	.type	_ZN7rocprim17ROCPRIM_400000_NS6detail17trampoline_kernelINS0_14default_configENS1_38merge_sort_block_merge_config_selectorIsNS0_10empty_typeEEEZZNS1_27merge_sort_block_merge_implIS3_N6thrust23THRUST_200600_302600_NS6detail15normal_iteratorINS9_10device_ptrIsEEEEPS5_jNS1_19radix_merge_compareILb0ELb1EsNS0_19identity_decomposerEEEEE10hipError_tT0_T1_T2_jT3_P12ihipStream_tbPNSt15iterator_traitsISK_E10value_typeEPNSQ_ISL_E10value_typeEPSM_NS1_7vsmem_tEENKUlT_SK_SL_SM_E_clIPsSE_SF_SF_EESJ_SZ_SK_SL_SM_EUlSZ_E0_NS1_11comp_targetILNS1_3genE4ELNS1_11target_archE910ELNS1_3gpuE8ELNS1_3repE0EEENS1_38merge_mergepath_config_static_selectorELNS0_4arch9wavefront6targetE1EEEvSL_,@function
_ZN7rocprim17ROCPRIM_400000_NS6detail17trampoline_kernelINS0_14default_configENS1_38merge_sort_block_merge_config_selectorIsNS0_10empty_typeEEEZZNS1_27merge_sort_block_merge_implIS3_N6thrust23THRUST_200600_302600_NS6detail15normal_iteratorINS9_10device_ptrIsEEEEPS5_jNS1_19radix_merge_compareILb0ELb1EsNS0_19identity_decomposerEEEEE10hipError_tT0_T1_T2_jT3_P12ihipStream_tbPNSt15iterator_traitsISK_E10value_typeEPNSQ_ISL_E10value_typeEPSM_NS1_7vsmem_tEENKUlT_SK_SL_SM_E_clIPsSE_SF_SF_EESJ_SZ_SK_SL_SM_EUlSZ_E0_NS1_11comp_targetILNS1_3genE4ELNS1_11target_archE910ELNS1_3gpuE8ELNS1_3repE0EEENS1_38merge_mergepath_config_static_selectorELNS0_4arch9wavefront6targetE1EEEvSL_: ; @_ZN7rocprim17ROCPRIM_400000_NS6detail17trampoline_kernelINS0_14default_configENS1_38merge_sort_block_merge_config_selectorIsNS0_10empty_typeEEEZZNS1_27merge_sort_block_merge_implIS3_N6thrust23THRUST_200600_302600_NS6detail15normal_iteratorINS9_10device_ptrIsEEEEPS5_jNS1_19radix_merge_compareILb0ELb1EsNS0_19identity_decomposerEEEEE10hipError_tT0_T1_T2_jT3_P12ihipStream_tbPNSt15iterator_traitsISK_E10value_typeEPNSQ_ISL_E10value_typeEPSM_NS1_7vsmem_tEENKUlT_SK_SL_SM_E_clIPsSE_SF_SF_EESJ_SZ_SK_SL_SM_EUlSZ_E0_NS1_11comp_targetILNS1_3genE4ELNS1_11target_archE910ELNS1_3gpuE8ELNS1_3repE0EEENS1_38merge_mergepath_config_static_selectorELNS0_4arch9wavefront6targetE1EEEvSL_
; %bb.0:
	s_load_dwordx2 s[10:11], s[4:5], 0x40
	s_load_dword s3, s[4:5], 0x30
	s_add_u32 s0, s4, 64
	s_addc_u32 s1, s5, 0
	s_waitcnt lgkmcnt(0)
	s_mul_i32 s2, s11, s8
	s_add_i32 s2, s2, s7
	s_mul_i32 s2, s2, s10
	s_add_i32 s2, s2, s6
	s_cmp_ge_u32 s2, s3
	s_cbranch_scc1 .LBB1886_43
; %bb.1:
	s_load_dwordx2 s[14:15], s[4:5], 0x28
	s_load_dwordx2 s[8:9], s[4:5], 0x38
	;; [unrolled: 1-line block ×3, first 2 shown]
	s_mov_b32 s3, 0
	s_mov_b32 s23, s3
	s_waitcnt lgkmcnt(0)
	s_lshr_b32 s17, s14, 10
	s_cmp_lg_u32 s2, s17
	s_cselect_b64 s[18:19], -1, 0
	s_lshl_b64 s[12:13], s[2:3], 2
	s_add_u32 s8, s8, s12
	s_addc_u32 s9, s9, s13
	s_lshr_b32 s7, s15, 9
	s_and_b32 s7, s7, 0x7ffffe
	s_load_dwordx2 s[8:9], s[8:9], 0x0
	s_sub_i32 s7, 0, s7
	s_and_b32 s11, s2, s7
	s_lshl_b32 s12, s11, 10
	s_lshl_b32 s16, s2, 10
	s_lshl_b32 s11, s11, 11
	s_sub_i32 s13, s16, s12
	s_add_i32 s11, s11, s15
	s_add_i32 s13, s11, s13
	s_waitcnt lgkmcnt(0)
	s_sub_i32 s22, s13, s8
	s_sub_i32 s13, s13, s9
	;; [unrolled: 1-line block ×3, first 2 shown]
	s_min_u32 s22, s14, s22
	s_addk_i32 s13, 0x400
	s_or_b32 s7, s2, s7
	s_min_u32 s12, s14, s11
	s_add_i32 s11, s11, s15
	s_cmp_eq_u32 s7, -1
	s_cselect_b32 s7, s11, s13
	s_cselect_b32 s9, s12, s9
	s_min_u32 s7, s7, s14
	s_sub_i32 s15, s9, s8
	s_mov_b32 s9, s3
	s_sub_i32 s7, s7, s22
	s_lshl_b64 s[8:9], s[8:9], 1
	s_add_u32 s11, s20, s8
	s_addc_u32 s12, s21, s9
	s_lshl_b64 s[8:9], s[22:23], 1
	s_add_u32 s8, s20, s8
	s_addc_u32 s9, s21, s9
	s_cmp_lt_u32 s6, s10
	v_mov_b32_e32 v3, 0
	s_cselect_b32 s3, 12, 18
	global_load_dword v1, v3, s[0:1] offset:14
	s_add_u32 s0, s0, s3
	s_addc_u32 s1, s1, 0
	global_load_ushort v2, v3, s[0:1]
	s_cmp_eq_u32 s2, s17
	s_waitcnt vmcnt(1)
	v_lshrrev_b32_e32 v4, 16, v1
	v_and_b32_e32 v1, 0xffff, v1
	v_mul_lo_u32 v1, v1, v4
	s_waitcnt vmcnt(0)
	v_mul_lo_u32 v10, v1, v2
	v_add_u32_e32 v8, v10, v0
	v_lshlrev_b32_e32 v1, 1, v0
	v_add_u32_e32 v6, v8, v10
	s_cbranch_scc1 .LBB1886_3
; %bb.2:
	v_mov_b32_e32 v2, s12
	v_add_co_u32_e32 v7, vcc, s11, v1
	v_addc_co_u32_e32 v9, vcc, 0, v2, vcc
	v_subrev_u32_e32 v2, s15, v0
	v_lshlrev_b64 v[4:5], 1, v[2:3]
	v_mov_b32_e32 v2, s9
	v_add_co_u32_e32 v4, vcc, s8, v4
	v_addc_co_u32_e32 v2, vcc, v2, v5, vcc
	v_cmp_gt_u32_e32 vcc, s15, v0
	v_cndmask_b32_e32 v5, v2, v9, vcc
	v_cndmask_b32_e32 v4, v4, v7, vcc
	v_mov_b32_e32 v9, v3
	global_load_ushort v11, v[4:5], off
	v_lshlrev_b64 v[4:5], 1, v[8:9]
	v_mov_b32_e32 v2, s12
	v_add_co_u32_e32 v7, vcc, s11, v4
	v_addc_co_u32_e32 v9, vcc, v2, v5, vcc
	v_subrev_u32_e32 v2, s15, v8
	v_lshlrev_b64 v[4:5], 1, v[2:3]
	v_mov_b32_e32 v2, s9
	v_add_co_u32_e32 v4, vcc, s8, v4
	v_addc_co_u32_e32 v2, vcc, v2, v5, vcc
	v_cmp_gt_u32_e32 vcc, s15, v8
	v_cndmask_b32_e32 v5, v2, v9, vcc
	v_cndmask_b32_e32 v4, v4, v7, vcc
	v_mov_b32_e32 v7, v3
	global_load_ushort v9, v[4:5], off
	v_lshlrev_b64 v[4:5], 1, v[6:7]
	v_mov_b32_e32 v2, s12
	v_add_co_u32_e32 v7, vcc, s11, v4
	v_addc_co_u32_e32 v12, vcc, v2, v5, vcc
	v_subrev_u32_e32 v2, s15, v6
	v_lshlrev_b64 v[4:5], 1, v[2:3]
	v_mov_b32_e32 v2, s9
	v_add_co_u32_e32 v4, vcc, s8, v4
	v_addc_co_u32_e32 v2, vcc, v2, v5, vcc
	v_cmp_gt_u32_e32 vcc, s15, v6
	v_cndmask_b32_e32 v5, v2, v12, vcc
	v_cndmask_b32_e32 v4, v4, v7, vcc
	v_add_u32_e32 v2, v6, v10
	global_load_ushort v7, v[4:5], off
	v_lshlrev_b64 v[4:5], 1, v[2:3]
	v_mov_b32_e32 v12, s12
	v_add_co_u32_e32 v13, vcc, s11, v4
	v_addc_co_u32_e32 v12, vcc, v12, v5, vcc
	v_subrev_u32_e32 v4, s15, v2
	v_mov_b32_e32 v5, v3
	v_lshlrev_b64 v[4:5], 1, v[4:5]
	v_mov_b32_e32 v14, s9
	v_add_co_u32_e32 v4, vcc, s8, v4
	v_addc_co_u32_e32 v5, vcc, v14, v5, vcc
	v_cmp_gt_u32_e32 vcc, s15, v2
	v_cndmask_b32_e32 v5, v5, v12, vcc
	v_cndmask_b32_e32 v4, v4, v13, vcc
	v_add_u32_e32 v2, v2, v10
	global_load_ushort v12, v[4:5], off
	v_lshlrev_b64 v[4:5], 1, v[2:3]
	v_mov_b32_e32 v13, s12
	v_add_co_u32_e32 v14, vcc, s11, v4
	v_addc_co_u32_e32 v13, vcc, v13, v5, vcc
	v_subrev_u32_e32 v4, s15, v2
	v_mov_b32_e32 v5, v3
	;; [unrolled: 15-line block ×4, first 2 shown]
	v_lshlrev_b64 v[4:5], 1, v[4:5]
	v_mov_b32_e32 v17, s9
	v_add_co_u32_e32 v4, vcc, s8, v4
	v_addc_co_u32_e32 v5, vcc, v17, v5, vcc
	v_cmp_gt_u32_e32 vcc, s15, v2
	v_cndmask_b32_e32 v5, v5, v15, vcc
	v_cndmask_b32_e32 v4, v4, v16, vcc
	v_add_u32_e32 v2, v2, v10
	global_load_ushort v15, v[4:5], off
	v_lshlrev_b64 v[4:5], 1, v[2:3]
	v_mov_b32_e32 v16, s12
	v_add_co_u32_e32 v4, vcc, s11, v4
	v_addc_co_u32_e32 v5, vcc, v16, v5, vcc
	v_cmp_gt_u32_e32 vcc, s15, v2
	v_subrev_u32_e32 v2, s15, v2
	v_lshlrev_b64 v[2:3], 1, v[2:3]
	v_mov_b32_e32 v16, s9
	v_add_co_u32_e64 v2, s[0:1], s8, v2
	v_addc_co_u32_e64 v3, s[0:1], v16, v3, s[0:1]
	v_cndmask_b32_e32 v3, v3, v5, vcc
	v_cndmask_b32_e32 v2, v2, v4, vcc
	global_load_ushort v5, v[2:3], off
	s_mov_b32 s0, 0x5040100
	s_waitcnt vmcnt(6)
	v_perm_b32 v2, v9, v11, s0
	s_add_i32 s17, s7, s15
	s_waitcnt vmcnt(4)
	v_perm_b32 v3, v12, v7, s0
	s_waitcnt vmcnt(2)
	v_perm_b32 v4, v14, v13, s0
	;; [unrolled: 2-line block ×3, first 2 shown]
	s_load_dwordx2 s[20:21], s[4:5], 0x10
	s_cbranch_execz .LBB1886_4
	s_branch .LBB1886_19
.LBB1886_3:
                                        ; implicit-def: $vgpr2_vgpr3_vgpr4_vgpr5
                                        ; implicit-def: $sgpr17
	s_load_dwordx2 s[20:21], s[4:5], 0x10
.LBB1886_4:
	s_add_i32 s17, s7, s15
	v_cmp_gt_u32_e32 vcc, s17, v0
                                        ; implicit-def: $vgpr2_vgpr3_vgpr4_vgpr5
	s_and_saveexec_b64 s[0:1], vcc
	s_cbranch_execnz .LBB1886_44
; %bb.5:
	s_or_b64 exec, exec, s[0:1]
	v_cmp_gt_u32_e32 vcc, s17, v8
	s_and_saveexec_b64 s[2:3], vcc
	s_cbranch_execnz .LBB1886_45
.LBB1886_6:
	s_or_b64 exec, exec, s[2:3]
	v_cmp_gt_u32_e32 vcc, s17, v6
	s_and_saveexec_b64 s[0:1], vcc
	s_cbranch_execz .LBB1886_8
.LBB1886_7:
	v_mov_b32_e32 v7, 0
	v_lshlrev_b64 v[8:9], 1, v[6:7]
	v_mov_b32_e32 v11, s12
	v_add_co_u32_e32 v12, vcc, s11, v8
	v_addc_co_u32_e32 v11, vcc, v11, v9, vcc
	v_subrev_u32_e32 v8, s15, v6
	v_mov_b32_e32 v9, v7
	v_lshlrev_b64 v[8:9], 1, v[8:9]
	v_mov_b32_e32 v7, s9
	v_add_co_u32_e32 v8, vcc, s8, v8
	v_addc_co_u32_e32 v7, vcc, v7, v9, vcc
	v_cmp_gt_u32_e32 vcc, s15, v6
	v_cndmask_b32_e32 v9, v7, v11, vcc
	v_cndmask_b32_e32 v8, v8, v12, vcc
	global_load_ushort v7, v[8:9], off
	s_mov_b32 s2, 0xffff
	s_waitcnt vmcnt(0)
	v_bfi_b32 v3, s2, v7, v3
.LBB1886_8:
	s_or_b64 exec, exec, s[0:1]
	v_add_u32_e32 v6, v6, v10
	v_cmp_gt_u32_e32 vcc, s17, v6
	s_and_saveexec_b64 s[0:1], vcc
	s_cbranch_execz .LBB1886_10
; %bb.9:
	v_mov_b32_e32 v7, 0
	v_lshlrev_b64 v[8:9], 1, v[6:7]
	v_mov_b32_e32 v11, s12
	v_add_co_u32_e32 v12, vcc, s11, v8
	v_addc_co_u32_e32 v11, vcc, v11, v9, vcc
	v_subrev_u32_e32 v8, s15, v6
	v_mov_b32_e32 v9, v7
	v_lshlrev_b64 v[8:9], 1, v[8:9]
	v_mov_b32_e32 v7, s9
	v_add_co_u32_e32 v8, vcc, s8, v8
	v_addc_co_u32_e32 v7, vcc, v7, v9, vcc
	v_cmp_gt_u32_e32 vcc, s15, v6
	v_cndmask_b32_e32 v9, v7, v11, vcc
	v_cndmask_b32_e32 v8, v8, v12, vcc
	global_load_ushort v7, v[8:9], off
	s_mov_b32 s2, 0x5040100
	s_waitcnt vmcnt(0)
	v_perm_b32 v3, v7, v3, s2
.LBB1886_10:
	s_or_b64 exec, exec, s[0:1]
	v_add_u32_e32 v6, v6, v10
	v_cmp_gt_u32_e32 vcc, s17, v6
	s_and_saveexec_b64 s[0:1], vcc
	s_cbranch_execz .LBB1886_12
; %bb.11:
	v_mov_b32_e32 v7, 0
	v_lshlrev_b64 v[8:9], 1, v[6:7]
	v_mov_b32_e32 v11, s12
	v_add_co_u32_e32 v12, vcc, s11, v8
	v_addc_co_u32_e32 v11, vcc, v11, v9, vcc
	v_subrev_u32_e32 v8, s15, v6
	v_mov_b32_e32 v9, v7
	v_lshlrev_b64 v[8:9], 1, v[8:9]
	v_mov_b32_e32 v7, s9
	v_add_co_u32_e32 v8, vcc, s8, v8
	v_addc_co_u32_e32 v7, vcc, v7, v9, vcc
	v_cmp_gt_u32_e32 vcc, s15, v6
	v_cndmask_b32_e32 v9, v7, v11, vcc
	v_cndmask_b32_e32 v8, v8, v12, vcc
	global_load_ushort v7, v[8:9], off
	s_mov_b32 s2, 0xffff
	s_waitcnt vmcnt(0)
	v_bfi_b32 v4, s2, v7, v4
.LBB1886_12:
	s_or_b64 exec, exec, s[0:1]
	v_add_u32_e32 v6, v6, v10
	v_cmp_gt_u32_e32 vcc, s17, v6
	s_and_saveexec_b64 s[0:1], vcc
	s_cbranch_execz .LBB1886_14
; %bb.13:
	v_mov_b32_e32 v7, 0
	v_lshlrev_b64 v[8:9], 1, v[6:7]
	v_mov_b32_e32 v11, s12
	v_add_co_u32_e32 v12, vcc, s11, v8
	v_addc_co_u32_e32 v11, vcc, v11, v9, vcc
	v_subrev_u32_e32 v8, s15, v6
	v_mov_b32_e32 v9, v7
	v_lshlrev_b64 v[8:9], 1, v[8:9]
	v_mov_b32_e32 v7, s9
	v_add_co_u32_e32 v8, vcc, s8, v8
	v_addc_co_u32_e32 v7, vcc, v7, v9, vcc
	v_cmp_gt_u32_e32 vcc, s15, v6
	v_cndmask_b32_e32 v9, v7, v11, vcc
	v_cndmask_b32_e32 v8, v8, v12, vcc
	global_load_ushort v7, v[8:9], off
	s_mov_b32 s2, 0x5040100
	s_waitcnt vmcnt(0)
	v_perm_b32 v4, v7, v4, s2
.LBB1886_14:
	s_or_b64 exec, exec, s[0:1]
	v_add_u32_e32 v6, v6, v10
	v_cmp_gt_u32_e32 vcc, s17, v6
	s_and_saveexec_b64 s[0:1], vcc
	s_cbranch_execz .LBB1886_16
; %bb.15:
	v_mov_b32_e32 v7, 0
	v_lshlrev_b64 v[8:9], 1, v[6:7]
	v_mov_b32_e32 v11, s12
	v_add_co_u32_e32 v12, vcc, s11, v8
	v_addc_co_u32_e32 v11, vcc, v11, v9, vcc
	v_subrev_u32_e32 v8, s15, v6
	v_mov_b32_e32 v9, v7
	v_lshlrev_b64 v[8:9], 1, v[8:9]
	v_mov_b32_e32 v7, s9
	v_add_co_u32_e32 v8, vcc, s8, v8
	v_addc_co_u32_e32 v7, vcc, v7, v9, vcc
	v_cmp_gt_u32_e32 vcc, s15, v6
	v_cndmask_b32_e32 v9, v7, v11, vcc
	v_cndmask_b32_e32 v8, v8, v12, vcc
	global_load_ushort v7, v[8:9], off
	s_mov_b32 s2, 0xffff
	s_waitcnt vmcnt(0)
	v_bfi_b32 v5, s2, v7, v5
.LBB1886_16:
	s_or_b64 exec, exec, s[0:1]
	v_add_u32_e32 v6, v6, v10
	v_cmp_gt_u32_e32 vcc, s17, v6
	s_and_saveexec_b64 s[2:3], vcc
	s_cbranch_execz .LBB1886_18
; %bb.17:
	v_mov_b32_e32 v7, 0
	v_lshlrev_b64 v[8:9], 1, v[6:7]
	v_mov_b32_e32 v10, s12
	v_add_co_u32_e32 v8, vcc, s11, v8
	v_addc_co_u32_e32 v9, vcc, v10, v9, vcc
	v_cmp_gt_u32_e32 vcc, s15, v6
	v_subrev_u32_e32 v6, s15, v6
	v_lshlrev_b64 v[6:7], 1, v[6:7]
	v_mov_b32_e32 v10, s9
	v_add_co_u32_e64 v6, s[0:1], s8, v6
	v_addc_co_u32_e64 v7, s[0:1], v10, v7, s[0:1]
	v_cndmask_b32_e32 v7, v7, v9, vcc
	v_cndmask_b32_e32 v6, v6, v8, vcc
	global_load_ushort v6, v[6:7], off
	s_mov_b32 s0, 0x5040100
	s_waitcnt vmcnt(0)
	v_perm_b32 v5, v6, v5, s0
.LBB1886_18:
	s_or_b64 exec, exec, s[2:3]
.LBB1886_19:
	s_load_dword s24, s[4:5], 0x34
	v_lshlrev_b32_e32 v6, 3, v0
	v_min_u32_e32 v12, s17, v6
	v_sub_u32_e64 v10, v12, s7 clamp
	v_min_u32_e32 v13, s15, v12
	s_waitcnt vmcnt(0)
	v_lshrrev_b32_e32 v7, 16, v2
	v_lshrrev_b32_e32 v8, 16, v3
	;; [unrolled: 1-line block ×4, first 2 shown]
	v_cmp_lt_u32_e32 vcc, v10, v13
	ds_write_b16 v1, v2
	ds_write_b16 v1, v7 offset:256
	ds_write_b16 v1, v3 offset:512
	;; [unrolled: 1-line block ×7, first 2 shown]
	s_waitcnt lgkmcnt(0)
	s_barrier
	s_and_saveexec_b64 s[0:1], vcc
	s_cbranch_execz .LBB1886_23
; %bb.20:
	v_lshlrev_b32_e32 v14, 1, v12
	v_lshl_add_u32 v14, s15, 1, v14
	s_mov_b64 s[2:3], 0
.LBB1886_21:                            ; =>This Inner Loop Header: Depth=1
	v_add_u32_e32 v15, v13, v10
	v_lshrrev_b32_e32 v16, 1, v15
	v_not_b32_e32 v17, v16
	v_and_b32_e32 v15, -2, v15
	v_lshl_add_u32 v17, v17, 1, v14
	ds_read_u16 v15, v15
	ds_read_u16 v17, v17
	v_add_u32_e32 v18, 1, v16
	s_waitcnt lgkmcnt(1)
	v_and_b32_e32 v15, s24, v15
	s_waitcnt lgkmcnt(0)
	v_and_b32_e32 v17, s24, v17
	v_cmp_gt_i16_e32 vcc, v15, v17
	v_cndmask_b32_e32 v13, v13, v16, vcc
	v_cndmask_b32_e32 v10, v18, v10, vcc
	v_cmp_ge_u32_e32 vcc, v10, v13
	s_or_b64 s[2:3], vcc, s[2:3]
	s_andn2_b64 exec, exec, s[2:3]
	s_cbranch_execnz .LBB1886_21
; %bb.22:
	s_or_b64 exec, exec, s[2:3]
.LBB1886_23:
	s_or_b64 exec, exec, s[0:1]
	v_sub_u32_e32 v12, v12, v10
	v_add_u32_e32 v12, s15, v12
	v_cmp_ge_u32_e32 vcc, s15, v10
	v_cmp_ge_u32_e64 s[0:1], s17, v12
	s_or_b64 s[0:1], vcc, s[0:1]
	s_and_saveexec_b64 s[22:23], s[0:1]
	s_cbranch_execz .LBB1886_29
; %bb.24:
	v_cmp_gt_u32_e32 vcc, s15, v10
                                        ; implicit-def: $vgpr2
	s_and_saveexec_b64 s[0:1], vcc
	s_cbranch_execz .LBB1886_26
; %bb.25:
	v_lshlrev_b32_e32 v2, 1, v10
	ds_read_u16 v2, v2
.LBB1886_26:
	s_or_b64 exec, exec, s[0:1]
	v_cmp_le_u32_e64 s[0:1], s17, v12
	v_cmp_gt_u32_e64 s[2:3], s17, v12
                                        ; implicit-def: $vgpr3
	s_and_saveexec_b64 s[4:5], s[2:3]
	s_cbranch_execz .LBB1886_28
; %bb.27:
	v_lshlrev_b32_e32 v3, 1, v12
	ds_read_u16 v3, v3
.LBB1886_28:
	s_or_b64 exec, exec, s[4:5]
	s_waitcnt lgkmcnt(0)
	v_and_b32_e32 v4, s24, v3
	v_and_b32_e32 v5, s24, v2
	v_cmp_le_i16_e64 s[2:3], v5, v4
	s_and_b64 s[2:3], vcc, s[2:3]
	s_or_b64 vcc, s[0:1], s[2:3]
	v_mov_b32_e32 v5, s17
	v_mov_b32_e32 v8, s15
	v_cndmask_b32_e32 v4, v12, v10, vcc
	v_cndmask_b32_e32 v7, v5, v8, vcc
	v_add_u32_e32 v4, 1, v4
	v_add_u32_e32 v7, -1, v7
	v_min_u32_e32 v7, v4, v7
	v_lshlrev_b32_e32 v7, 1, v7
	ds_read_u16 v7, v7
	v_cndmask_b32_e32 v11, v4, v12, vcc
	v_cndmask_b32_e32 v4, v10, v4, vcc
	v_cmp_gt_u32_e64 s[2:3], s15, v4
	v_cmp_le_u32_e64 s[0:1], s17, v11
	s_waitcnt lgkmcnt(0)
	v_cndmask_b32_e32 v9, v7, v3, vcc
	v_cndmask_b32_e32 v7, v2, v7, vcc
	v_and_b32_e32 v10, s24, v9
	v_and_b32_e32 v12, s24, v7
	v_cmp_le_i16_e64 s[4:5], v12, v10
	s_and_b64 s[2:3], s[2:3], s[4:5]
	s_or_b64 s[0:1], s[0:1], s[2:3]
	v_cndmask_b32_e64 v10, v11, v4, s[0:1]
	v_cndmask_b32_e64 v12, v5, v8, s[0:1]
	v_add_u32_e32 v10, 1, v10
	v_add_u32_e32 v12, -1, v12
	v_min_u32_e32 v12, v10, v12
	v_lshlrev_b32_e32 v12, 1, v12
	ds_read_u16 v12, v12
	v_cndmask_b32_e64 v11, v10, v11, s[0:1]
	v_cndmask_b32_e64 v4, v4, v10, s[0:1]
	v_cmp_gt_u32_e64 s[4:5], s15, v4
	v_cmp_le_u32_e64 s[2:3], s17, v11
	s_waitcnt lgkmcnt(0)
	v_cndmask_b32_e64 v13, v12, v9, s[0:1]
	v_cndmask_b32_e64 v12, v7, v12, s[0:1]
	v_and_b32_e32 v10, s24, v13
	v_and_b32_e32 v14, s24, v12
	v_cmp_le_i16_e64 s[6:7], v14, v10
	s_and_b64 s[4:5], s[4:5], s[6:7]
	s_or_b64 s[2:3], s[2:3], s[4:5]
	v_cndmask_b32_e64 v10, v11, v4, s[2:3]
	v_cndmask_b32_e64 v14, v5, v8, s[2:3]
	v_add_u32_e32 v10, 1, v10
	v_add_u32_e32 v14, -1, v14
	v_min_u32_e32 v14, v10, v14
	v_lshlrev_b32_e32 v14, 1, v14
	ds_read_u16 v14, v14
	v_cndmask_b32_e64 v11, v10, v11, s[2:3]
	v_cndmask_b32_e64 v4, v4, v10, s[2:3]
	v_cmp_gt_u32_e64 s[6:7], s15, v4
	v_cmp_le_u32_e64 s[4:5], s17, v11
	s_waitcnt lgkmcnt(0)
	v_cndmask_b32_e64 v15, v14, v13, s[2:3]
	v_cndmask_b32_e64 v14, v12, v14, s[2:3]
	;; [unrolled: 19-line block ×4, first 2 shown]
	v_and_b32_e32 v10, s24, v19
	v_and_b32_e32 v20, s24, v18
	v_cmp_le_i16_e64 s[12:13], v20, v10
	s_and_b64 s[10:11], s[10:11], s[12:13]
	s_or_b64 s[8:9], s[8:9], s[10:11]
	v_cndmask_b32_e64 v10, v11, v4, s[8:9]
	v_cndmask_b32_e64 v20, v5, v8, s[8:9]
	v_add_u32_e32 v10, 1, v10
	v_add_u32_e32 v20, -1, v20
	v_min_u32_e32 v20, v10, v20
	v_lshlrev_b32_e32 v20, 1, v20
	ds_read_u16 v20, v20
	v_cndmask_b32_e32 v2, v3, v2, vcc
	v_cndmask_b32_e64 v3, v13, v12, s[2:3]
	v_cndmask_b32_e64 v7, v9, v7, s[0:1]
	;; [unrolled: 1-line block ×3, first 2 shown]
	s_waitcnt lgkmcnt(0)
	v_cndmask_b32_e64 v12, v20, v19, s[8:9]
	v_cndmask_b32_e64 v13, v18, v20, s[8:9]
	;; [unrolled: 1-line block ×3, first 2 shown]
	v_and_b32_e32 v4, s24, v12
	v_and_b32_e32 v9, s24, v13
	v_cmp_gt_u32_e64 s[0:1], s15, v10
	v_cmp_le_i16_e64 s[2:3], v9, v4
	v_cmp_le_u32_e32 vcc, s17, v11
	s_and_b64 s[0:1], s[0:1], s[2:3]
	s_or_b64 vcc, vcc, s[0:1]
	v_cndmask_b32_e32 v4, v11, v10, vcc
	v_cndmask_b32_e32 v5, v5, v8, vcc
	v_add_u32_e32 v20, 1, v4
	v_add_u32_e32 v4, -1, v5
	v_min_u32_e32 v4, v20, v4
	v_lshlrev_b32_e32 v4, 1, v4
	ds_read_u16 v21, v4
	v_cndmask_b32_e32 v5, v12, v13, vcc
	v_cndmask_b32_e32 v11, v20, v11, vcc
	;; [unrolled: 1-line block ×3, first 2 shown]
	v_cmp_gt_u32_e64 s[0:1], s15, v10
	s_waitcnt lgkmcnt(0)
	v_cndmask_b32_e32 v12, v21, v12, vcc
	v_cndmask_b32_e32 v13, v13, v21, vcc
	v_cmp_le_u32_e32 vcc, s17, v11
	v_and_b32_e32 v10, s24, v12
	v_and_b32_e32 v11, s24, v13
	v_cmp_le_i16_e64 s[2:3], v11, v10
	s_and_b64 s[0:1], s[0:1], s[2:3]
	s_or_b64 vcc, vcc, s[0:1]
	v_cndmask_b32_e64 v8, v15, v14, s[4:5]
	v_cndmask_b32_e64 v4, v17, v16, s[6:7]
	;; [unrolled: 1-line block ×3, first 2 shown]
	v_cndmask_b32_e32 v11, v12, v13, vcc
.LBB1886_29:
	s_or_b64 exec, exec, s[22:23]
	s_mov_b32 s17, 0
	s_lshl_b64 s[0:1], s[16:17], 1
	v_lshrrev_b32_e32 v10, 2, v0
	s_add_u32 s2, s20, s0
	v_and_b32_e32 v10, 30, v10
	s_mov_b32 s0, 0x5040100
	v_add_lshl_u32 v6, v10, v6, 1
	v_perm_b32 v3, v8, v3, s0
	v_perm_b32 v2, v7, v2, s0
	s_barrier
	s_barrier
	ds_write2_b32 v6, v2, v3 offset1:1
	v_perm_b32 v2, v11, v5, s0
	v_perm_b32 v3, v9, v4, s0
	ds_write2_b32 v6, v3, v2 offset0:2 offset1:3
	v_lshrrev_b32_e32 v2, 4, v0
	v_and_b32_e32 v2, 4, v2
	v_or_b32_e32 v10, 0x80, v0
	v_add_u32_e32 v11, v1, v2
	v_lshrrev_b32_e32 v2, 4, v10
	v_and_b32_e32 v2, 12, v2
	v_or_b32_e32 v9, 0x100, v0
	v_add_u32_e32 v12, v1, v2
	;; [unrolled: 4-line block ×7, first 2 shown]
	v_lshrrev_b32_e32 v2, 4, v4
	s_addc_u32 s1, s21, s1
	v_and_b32_e32 v2, 60, v2
	v_add_u32_e32 v18, v1, v2
	v_mov_b32_e32 v3, s1
	v_add_co_u32_e32 v2, vcc, s2, v1
	v_addc_co_u32_e32 v3, vcc, 0, v3, vcc
	s_and_b64 vcc, exec, s[18:19]
	s_waitcnt lgkmcnt(0)
	s_cbranch_vccz .LBB1886_31
; %bb.30:
	s_barrier
	ds_read_u16 v1, v11
	ds_read_u16 v19, v12 offset:256
	ds_read_u16 v20, v13 offset:512
	;; [unrolled: 1-line block ×7, first 2 shown]
	s_waitcnt lgkmcnt(7)
	global_store_short v[2:3], v1, off
	s_waitcnt lgkmcnt(6)
	global_store_short v[2:3], v19, off offset:256
	s_waitcnt lgkmcnt(5)
	global_store_short v[2:3], v20, off offset:512
	;; [unrolled: 2-line block ×6, first 2 shown]
	s_waitcnt lgkmcnt(0)
	v_perm_b32 v1, v25, v24, s0
	s_mov_b64 s[0:1], -1
	s_cbranch_execz .LBB1886_32
	s_branch .LBB1886_41
.LBB1886_31:
	s_mov_b64 s[0:1], 0
                                        ; implicit-def: $vgpr1
.LBB1886_32:
	s_barrier
	ds_read_u16 v21, v11
	ds_read_u16 v20, v12 offset:256
	ds_read_u16 v19, v13 offset:512
	;; [unrolled: 1-line block ×7, first 2 shown]
	s_sub_i32 s2, s14, s16
	v_cmp_gt_u32_e32 vcc, s2, v0
	s_and_saveexec_b64 s[0:1], vcc
	s_cbranch_execnz .LBB1886_46
; %bb.33:
	s_or_b64 exec, exec, s[0:1]
	v_cmp_gt_u32_e32 vcc, s2, v10
	s_and_saveexec_b64 s[0:1], vcc
	s_cbranch_execnz .LBB1886_47
.LBB1886_34:
	s_or_b64 exec, exec, s[0:1]
	v_cmp_gt_u32_e32 vcc, s2, v9
	s_and_saveexec_b64 s[0:1], vcc
	s_cbranch_execnz .LBB1886_48
.LBB1886_35:
	s_or_b64 exec, exec, s[0:1]
	v_cmp_gt_u32_e32 vcc, s2, v8
	s_and_saveexec_b64 s[0:1], vcc
	s_cbranch_execnz .LBB1886_49
.LBB1886_36:
	s_or_b64 exec, exec, s[0:1]
	v_cmp_gt_u32_e32 vcc, s2, v7
	s_and_saveexec_b64 s[0:1], vcc
	s_cbranch_execnz .LBB1886_50
.LBB1886_37:
	s_or_b64 exec, exec, s[0:1]
	v_cmp_gt_u32_e32 vcc, s2, v6
	s_and_saveexec_b64 s[0:1], vcc
	s_cbranch_execnz .LBB1886_51
.LBB1886_38:
	s_or_b64 exec, exec, s[0:1]
	v_cmp_gt_u32_e32 vcc, s2, v5
	s_and_saveexec_b64 s[0:1], vcc
	s_cbranch_execz .LBB1886_40
.LBB1886_39:
	s_waitcnt lgkmcnt(1)
	global_store_short v[2:3], v1, off offset:1536
.LBB1886_40:
	s_or_b64 exec, exec, s[0:1]
	v_cmp_gt_u32_e64 s[0:1], s2, v4
	s_mov_b32 s2, 0x5040100
	s_waitcnt lgkmcnt(0)
	v_perm_b32 v1, v11, v1, s2
.LBB1886_41:
	s_and_saveexec_b64 s[2:3], s[0:1]
	s_cbranch_execz .LBB1886_43
; %bb.42:
	global_store_short_d16_hi v[2:3], v1, off offset:1792
.LBB1886_43:
	s_endpgm
.LBB1886_44:
	v_mov_b32_e32 v2, s12
	v_add_co_u32_e32 v4, vcc, s11, v1
	v_mov_b32_e32 v3, 0
	v_addc_co_u32_e32 v5, vcc, 0, v2, vcc
	v_subrev_u32_e32 v2, s15, v0
	v_lshlrev_b64 v[2:3], 1, v[2:3]
	v_mov_b32_e32 v7, s9
	v_add_co_u32_e32 v2, vcc, s8, v2
	v_addc_co_u32_e32 v3, vcc, v7, v3, vcc
	v_cmp_gt_u32_e32 vcc, s15, v0
	v_cndmask_b32_e32 v3, v3, v5, vcc
	v_cndmask_b32_e32 v2, v2, v4, vcc
	global_load_ushort v2, v[2:3], off
	s_or_b64 exec, exec, s[0:1]
	v_cmp_gt_u32_e32 vcc, s17, v8
	s_and_saveexec_b64 s[2:3], vcc
	s_cbranch_execz .LBB1886_6
.LBB1886_45:
	v_mov_b32_e32 v9, 0
	v_lshlrev_b64 v[12:13], 1, v[8:9]
	v_mov_b32_e32 v7, s12
	v_add_co_u32_e32 v11, vcc, s11, v12
	v_addc_co_u32_e32 v7, vcc, v7, v13, vcc
	v_cmp_gt_u32_e32 vcc, s15, v8
	v_subrev_u32_e32 v8, s15, v8
	v_lshlrev_b64 v[8:9], 1, v[8:9]
	v_mov_b32_e32 v12, s9
	v_add_co_u32_e64 v8, s[0:1], s8, v8
	v_addc_co_u32_e64 v9, s[0:1], v12, v9, s[0:1]
	v_cndmask_b32_e32 v9, v9, v7, vcc
	v_cndmask_b32_e32 v8, v8, v11, vcc
	global_load_ushort v7, v[8:9], off
	s_mov_b32 s0, 0x5040100
	s_waitcnt vmcnt(0)
	v_perm_b32 v2, v7, v2, s0
	s_or_b64 exec, exec, s[2:3]
	v_cmp_gt_u32_e32 vcc, s17, v6
	s_and_saveexec_b64 s[0:1], vcc
	s_cbranch_execnz .LBB1886_7
	s_branch .LBB1886_8
.LBB1886_46:
	s_waitcnt lgkmcnt(7)
	global_store_short v[2:3], v21, off
	s_or_b64 exec, exec, s[0:1]
	v_cmp_gt_u32_e32 vcc, s2, v10
	s_and_saveexec_b64 s[0:1], vcc
	s_cbranch_execz .LBB1886_34
.LBB1886_47:
	s_waitcnt lgkmcnt(6)
	global_store_short v[2:3], v20, off offset:256
	s_or_b64 exec, exec, s[0:1]
	v_cmp_gt_u32_e32 vcc, s2, v9
	s_and_saveexec_b64 s[0:1], vcc
	s_cbranch_execz .LBB1886_35
.LBB1886_48:
	s_waitcnt lgkmcnt(5)
	global_store_short v[2:3], v19, off offset:512
	s_or_b64 exec, exec, s[0:1]
	v_cmp_gt_u32_e32 vcc, s2, v8
	s_and_saveexec_b64 s[0:1], vcc
	s_cbranch_execz .LBB1886_36
.LBB1886_49:
	s_waitcnt lgkmcnt(4)
	global_store_short v[2:3], v14, off offset:768
	s_or_b64 exec, exec, s[0:1]
	v_cmp_gt_u32_e32 vcc, s2, v7
	s_and_saveexec_b64 s[0:1], vcc
	s_cbranch_execz .LBB1886_37
.LBB1886_50:
	s_waitcnt lgkmcnt(3)
	global_store_short v[2:3], v13, off offset:1024
	s_or_b64 exec, exec, s[0:1]
	v_cmp_gt_u32_e32 vcc, s2, v6
	s_and_saveexec_b64 s[0:1], vcc
	s_cbranch_execz .LBB1886_38
.LBB1886_51:
	s_waitcnt lgkmcnt(2)
	global_store_short v[2:3], v12, off offset:1280
	s_or_b64 exec, exec, s[0:1]
	v_cmp_gt_u32_e32 vcc, s2, v5
	s_and_saveexec_b64 s[0:1], vcc
	s_cbranch_execnz .LBB1886_39
	s_branch .LBB1886_40
	.section	.rodata,"a",@progbits
	.p2align	6, 0x0
	.amdhsa_kernel _ZN7rocprim17ROCPRIM_400000_NS6detail17trampoline_kernelINS0_14default_configENS1_38merge_sort_block_merge_config_selectorIsNS0_10empty_typeEEEZZNS1_27merge_sort_block_merge_implIS3_N6thrust23THRUST_200600_302600_NS6detail15normal_iteratorINS9_10device_ptrIsEEEEPS5_jNS1_19radix_merge_compareILb0ELb1EsNS0_19identity_decomposerEEEEE10hipError_tT0_T1_T2_jT3_P12ihipStream_tbPNSt15iterator_traitsISK_E10value_typeEPNSQ_ISL_E10value_typeEPSM_NS1_7vsmem_tEENKUlT_SK_SL_SM_E_clIPsSE_SF_SF_EESJ_SZ_SK_SL_SM_EUlSZ_E0_NS1_11comp_targetILNS1_3genE4ELNS1_11target_archE910ELNS1_3gpuE8ELNS1_3repE0EEENS1_38merge_mergepath_config_static_selectorELNS0_4arch9wavefront6targetE1EEEvSL_
		.amdhsa_group_segment_fixed_size 2112
		.amdhsa_private_segment_fixed_size 0
		.amdhsa_kernarg_size 320
		.amdhsa_user_sgpr_count 6
		.amdhsa_user_sgpr_private_segment_buffer 1
		.amdhsa_user_sgpr_dispatch_ptr 0
		.amdhsa_user_sgpr_queue_ptr 0
		.amdhsa_user_sgpr_kernarg_segment_ptr 1
		.amdhsa_user_sgpr_dispatch_id 0
		.amdhsa_user_sgpr_flat_scratch_init 0
		.amdhsa_user_sgpr_kernarg_preload_length 0
		.amdhsa_user_sgpr_kernarg_preload_offset 0
		.amdhsa_user_sgpr_private_segment_size 0
		.amdhsa_uses_dynamic_stack 0
		.amdhsa_system_sgpr_private_segment_wavefront_offset 0
		.amdhsa_system_sgpr_workgroup_id_x 1
		.amdhsa_system_sgpr_workgroup_id_y 1
		.amdhsa_system_sgpr_workgroup_id_z 1
		.amdhsa_system_sgpr_workgroup_info 0
		.amdhsa_system_vgpr_workitem_id 0
		.amdhsa_next_free_vgpr 26
		.amdhsa_next_free_sgpr 25
		.amdhsa_accum_offset 28
		.amdhsa_reserve_vcc 1
		.amdhsa_reserve_flat_scratch 0
		.amdhsa_float_round_mode_32 0
		.amdhsa_float_round_mode_16_64 0
		.amdhsa_float_denorm_mode_32 3
		.amdhsa_float_denorm_mode_16_64 3
		.amdhsa_dx10_clamp 1
		.amdhsa_ieee_mode 1
		.amdhsa_fp16_overflow 0
		.amdhsa_tg_split 0
		.amdhsa_exception_fp_ieee_invalid_op 0
		.amdhsa_exception_fp_denorm_src 0
		.amdhsa_exception_fp_ieee_div_zero 0
		.amdhsa_exception_fp_ieee_overflow 0
		.amdhsa_exception_fp_ieee_underflow 0
		.amdhsa_exception_fp_ieee_inexact 0
		.amdhsa_exception_int_div_zero 0
	.end_amdhsa_kernel
	.section	.text._ZN7rocprim17ROCPRIM_400000_NS6detail17trampoline_kernelINS0_14default_configENS1_38merge_sort_block_merge_config_selectorIsNS0_10empty_typeEEEZZNS1_27merge_sort_block_merge_implIS3_N6thrust23THRUST_200600_302600_NS6detail15normal_iteratorINS9_10device_ptrIsEEEEPS5_jNS1_19radix_merge_compareILb0ELb1EsNS0_19identity_decomposerEEEEE10hipError_tT0_T1_T2_jT3_P12ihipStream_tbPNSt15iterator_traitsISK_E10value_typeEPNSQ_ISL_E10value_typeEPSM_NS1_7vsmem_tEENKUlT_SK_SL_SM_E_clIPsSE_SF_SF_EESJ_SZ_SK_SL_SM_EUlSZ_E0_NS1_11comp_targetILNS1_3genE4ELNS1_11target_archE910ELNS1_3gpuE8ELNS1_3repE0EEENS1_38merge_mergepath_config_static_selectorELNS0_4arch9wavefront6targetE1EEEvSL_,"axG",@progbits,_ZN7rocprim17ROCPRIM_400000_NS6detail17trampoline_kernelINS0_14default_configENS1_38merge_sort_block_merge_config_selectorIsNS0_10empty_typeEEEZZNS1_27merge_sort_block_merge_implIS3_N6thrust23THRUST_200600_302600_NS6detail15normal_iteratorINS9_10device_ptrIsEEEEPS5_jNS1_19radix_merge_compareILb0ELb1EsNS0_19identity_decomposerEEEEE10hipError_tT0_T1_T2_jT3_P12ihipStream_tbPNSt15iterator_traitsISK_E10value_typeEPNSQ_ISL_E10value_typeEPSM_NS1_7vsmem_tEENKUlT_SK_SL_SM_E_clIPsSE_SF_SF_EESJ_SZ_SK_SL_SM_EUlSZ_E0_NS1_11comp_targetILNS1_3genE4ELNS1_11target_archE910ELNS1_3gpuE8ELNS1_3repE0EEENS1_38merge_mergepath_config_static_selectorELNS0_4arch9wavefront6targetE1EEEvSL_,comdat
.Lfunc_end1886:
	.size	_ZN7rocprim17ROCPRIM_400000_NS6detail17trampoline_kernelINS0_14default_configENS1_38merge_sort_block_merge_config_selectorIsNS0_10empty_typeEEEZZNS1_27merge_sort_block_merge_implIS3_N6thrust23THRUST_200600_302600_NS6detail15normal_iteratorINS9_10device_ptrIsEEEEPS5_jNS1_19radix_merge_compareILb0ELb1EsNS0_19identity_decomposerEEEEE10hipError_tT0_T1_T2_jT3_P12ihipStream_tbPNSt15iterator_traitsISK_E10value_typeEPNSQ_ISL_E10value_typeEPSM_NS1_7vsmem_tEENKUlT_SK_SL_SM_E_clIPsSE_SF_SF_EESJ_SZ_SK_SL_SM_EUlSZ_E0_NS1_11comp_targetILNS1_3genE4ELNS1_11target_archE910ELNS1_3gpuE8ELNS1_3repE0EEENS1_38merge_mergepath_config_static_selectorELNS0_4arch9wavefront6targetE1EEEvSL_, .Lfunc_end1886-_ZN7rocprim17ROCPRIM_400000_NS6detail17trampoline_kernelINS0_14default_configENS1_38merge_sort_block_merge_config_selectorIsNS0_10empty_typeEEEZZNS1_27merge_sort_block_merge_implIS3_N6thrust23THRUST_200600_302600_NS6detail15normal_iteratorINS9_10device_ptrIsEEEEPS5_jNS1_19radix_merge_compareILb0ELb1EsNS0_19identity_decomposerEEEEE10hipError_tT0_T1_T2_jT3_P12ihipStream_tbPNSt15iterator_traitsISK_E10value_typeEPNSQ_ISL_E10value_typeEPSM_NS1_7vsmem_tEENKUlT_SK_SL_SM_E_clIPsSE_SF_SF_EESJ_SZ_SK_SL_SM_EUlSZ_E0_NS1_11comp_targetILNS1_3genE4ELNS1_11target_archE910ELNS1_3gpuE8ELNS1_3repE0EEENS1_38merge_mergepath_config_static_selectorELNS0_4arch9wavefront6targetE1EEEvSL_
                                        ; -- End function
	.section	.AMDGPU.csdata,"",@progbits
; Kernel info:
; codeLenInByte = 3944
; NumSgprs: 29
; NumVgprs: 26
; NumAgprs: 0
; TotalNumVgprs: 26
; ScratchSize: 0
; MemoryBound: 0
; FloatMode: 240
; IeeeMode: 1
; LDSByteSize: 2112 bytes/workgroup (compile time only)
; SGPRBlocks: 3
; VGPRBlocks: 3
; NumSGPRsForWavesPerEU: 29
; NumVGPRsForWavesPerEU: 26
; AccumOffset: 28
; Occupancy: 8
; WaveLimiterHint : 1
; COMPUTE_PGM_RSRC2:SCRATCH_EN: 0
; COMPUTE_PGM_RSRC2:USER_SGPR: 6
; COMPUTE_PGM_RSRC2:TRAP_HANDLER: 0
; COMPUTE_PGM_RSRC2:TGID_X_EN: 1
; COMPUTE_PGM_RSRC2:TGID_Y_EN: 1
; COMPUTE_PGM_RSRC2:TGID_Z_EN: 1
; COMPUTE_PGM_RSRC2:TIDIG_COMP_CNT: 0
; COMPUTE_PGM_RSRC3_GFX90A:ACCUM_OFFSET: 6
; COMPUTE_PGM_RSRC3_GFX90A:TG_SPLIT: 0
	.section	.text._ZN7rocprim17ROCPRIM_400000_NS6detail17trampoline_kernelINS0_14default_configENS1_38merge_sort_block_merge_config_selectorIsNS0_10empty_typeEEEZZNS1_27merge_sort_block_merge_implIS3_N6thrust23THRUST_200600_302600_NS6detail15normal_iteratorINS9_10device_ptrIsEEEEPS5_jNS1_19radix_merge_compareILb0ELb1EsNS0_19identity_decomposerEEEEE10hipError_tT0_T1_T2_jT3_P12ihipStream_tbPNSt15iterator_traitsISK_E10value_typeEPNSQ_ISL_E10value_typeEPSM_NS1_7vsmem_tEENKUlT_SK_SL_SM_E_clIPsSE_SF_SF_EESJ_SZ_SK_SL_SM_EUlSZ_E0_NS1_11comp_targetILNS1_3genE3ELNS1_11target_archE908ELNS1_3gpuE7ELNS1_3repE0EEENS1_38merge_mergepath_config_static_selectorELNS0_4arch9wavefront6targetE1EEEvSL_,"axG",@progbits,_ZN7rocprim17ROCPRIM_400000_NS6detail17trampoline_kernelINS0_14default_configENS1_38merge_sort_block_merge_config_selectorIsNS0_10empty_typeEEEZZNS1_27merge_sort_block_merge_implIS3_N6thrust23THRUST_200600_302600_NS6detail15normal_iteratorINS9_10device_ptrIsEEEEPS5_jNS1_19radix_merge_compareILb0ELb1EsNS0_19identity_decomposerEEEEE10hipError_tT0_T1_T2_jT3_P12ihipStream_tbPNSt15iterator_traitsISK_E10value_typeEPNSQ_ISL_E10value_typeEPSM_NS1_7vsmem_tEENKUlT_SK_SL_SM_E_clIPsSE_SF_SF_EESJ_SZ_SK_SL_SM_EUlSZ_E0_NS1_11comp_targetILNS1_3genE3ELNS1_11target_archE908ELNS1_3gpuE7ELNS1_3repE0EEENS1_38merge_mergepath_config_static_selectorELNS0_4arch9wavefront6targetE1EEEvSL_,comdat
	.protected	_ZN7rocprim17ROCPRIM_400000_NS6detail17trampoline_kernelINS0_14default_configENS1_38merge_sort_block_merge_config_selectorIsNS0_10empty_typeEEEZZNS1_27merge_sort_block_merge_implIS3_N6thrust23THRUST_200600_302600_NS6detail15normal_iteratorINS9_10device_ptrIsEEEEPS5_jNS1_19radix_merge_compareILb0ELb1EsNS0_19identity_decomposerEEEEE10hipError_tT0_T1_T2_jT3_P12ihipStream_tbPNSt15iterator_traitsISK_E10value_typeEPNSQ_ISL_E10value_typeEPSM_NS1_7vsmem_tEENKUlT_SK_SL_SM_E_clIPsSE_SF_SF_EESJ_SZ_SK_SL_SM_EUlSZ_E0_NS1_11comp_targetILNS1_3genE3ELNS1_11target_archE908ELNS1_3gpuE7ELNS1_3repE0EEENS1_38merge_mergepath_config_static_selectorELNS0_4arch9wavefront6targetE1EEEvSL_ ; -- Begin function _ZN7rocprim17ROCPRIM_400000_NS6detail17trampoline_kernelINS0_14default_configENS1_38merge_sort_block_merge_config_selectorIsNS0_10empty_typeEEEZZNS1_27merge_sort_block_merge_implIS3_N6thrust23THRUST_200600_302600_NS6detail15normal_iteratorINS9_10device_ptrIsEEEEPS5_jNS1_19radix_merge_compareILb0ELb1EsNS0_19identity_decomposerEEEEE10hipError_tT0_T1_T2_jT3_P12ihipStream_tbPNSt15iterator_traitsISK_E10value_typeEPNSQ_ISL_E10value_typeEPSM_NS1_7vsmem_tEENKUlT_SK_SL_SM_E_clIPsSE_SF_SF_EESJ_SZ_SK_SL_SM_EUlSZ_E0_NS1_11comp_targetILNS1_3genE3ELNS1_11target_archE908ELNS1_3gpuE7ELNS1_3repE0EEENS1_38merge_mergepath_config_static_selectorELNS0_4arch9wavefront6targetE1EEEvSL_
	.globl	_ZN7rocprim17ROCPRIM_400000_NS6detail17trampoline_kernelINS0_14default_configENS1_38merge_sort_block_merge_config_selectorIsNS0_10empty_typeEEEZZNS1_27merge_sort_block_merge_implIS3_N6thrust23THRUST_200600_302600_NS6detail15normal_iteratorINS9_10device_ptrIsEEEEPS5_jNS1_19radix_merge_compareILb0ELb1EsNS0_19identity_decomposerEEEEE10hipError_tT0_T1_T2_jT3_P12ihipStream_tbPNSt15iterator_traitsISK_E10value_typeEPNSQ_ISL_E10value_typeEPSM_NS1_7vsmem_tEENKUlT_SK_SL_SM_E_clIPsSE_SF_SF_EESJ_SZ_SK_SL_SM_EUlSZ_E0_NS1_11comp_targetILNS1_3genE3ELNS1_11target_archE908ELNS1_3gpuE7ELNS1_3repE0EEENS1_38merge_mergepath_config_static_selectorELNS0_4arch9wavefront6targetE1EEEvSL_
	.p2align	8
	.type	_ZN7rocprim17ROCPRIM_400000_NS6detail17trampoline_kernelINS0_14default_configENS1_38merge_sort_block_merge_config_selectorIsNS0_10empty_typeEEEZZNS1_27merge_sort_block_merge_implIS3_N6thrust23THRUST_200600_302600_NS6detail15normal_iteratorINS9_10device_ptrIsEEEEPS5_jNS1_19radix_merge_compareILb0ELb1EsNS0_19identity_decomposerEEEEE10hipError_tT0_T1_T2_jT3_P12ihipStream_tbPNSt15iterator_traitsISK_E10value_typeEPNSQ_ISL_E10value_typeEPSM_NS1_7vsmem_tEENKUlT_SK_SL_SM_E_clIPsSE_SF_SF_EESJ_SZ_SK_SL_SM_EUlSZ_E0_NS1_11comp_targetILNS1_3genE3ELNS1_11target_archE908ELNS1_3gpuE7ELNS1_3repE0EEENS1_38merge_mergepath_config_static_selectorELNS0_4arch9wavefront6targetE1EEEvSL_,@function
_ZN7rocprim17ROCPRIM_400000_NS6detail17trampoline_kernelINS0_14default_configENS1_38merge_sort_block_merge_config_selectorIsNS0_10empty_typeEEEZZNS1_27merge_sort_block_merge_implIS3_N6thrust23THRUST_200600_302600_NS6detail15normal_iteratorINS9_10device_ptrIsEEEEPS5_jNS1_19radix_merge_compareILb0ELb1EsNS0_19identity_decomposerEEEEE10hipError_tT0_T1_T2_jT3_P12ihipStream_tbPNSt15iterator_traitsISK_E10value_typeEPNSQ_ISL_E10value_typeEPSM_NS1_7vsmem_tEENKUlT_SK_SL_SM_E_clIPsSE_SF_SF_EESJ_SZ_SK_SL_SM_EUlSZ_E0_NS1_11comp_targetILNS1_3genE3ELNS1_11target_archE908ELNS1_3gpuE7ELNS1_3repE0EEENS1_38merge_mergepath_config_static_selectorELNS0_4arch9wavefront6targetE1EEEvSL_: ; @_ZN7rocprim17ROCPRIM_400000_NS6detail17trampoline_kernelINS0_14default_configENS1_38merge_sort_block_merge_config_selectorIsNS0_10empty_typeEEEZZNS1_27merge_sort_block_merge_implIS3_N6thrust23THRUST_200600_302600_NS6detail15normal_iteratorINS9_10device_ptrIsEEEEPS5_jNS1_19radix_merge_compareILb0ELb1EsNS0_19identity_decomposerEEEEE10hipError_tT0_T1_T2_jT3_P12ihipStream_tbPNSt15iterator_traitsISK_E10value_typeEPNSQ_ISL_E10value_typeEPSM_NS1_7vsmem_tEENKUlT_SK_SL_SM_E_clIPsSE_SF_SF_EESJ_SZ_SK_SL_SM_EUlSZ_E0_NS1_11comp_targetILNS1_3genE3ELNS1_11target_archE908ELNS1_3gpuE7ELNS1_3repE0EEENS1_38merge_mergepath_config_static_selectorELNS0_4arch9wavefront6targetE1EEEvSL_
; %bb.0:
	.section	.rodata,"a",@progbits
	.p2align	6, 0x0
	.amdhsa_kernel _ZN7rocprim17ROCPRIM_400000_NS6detail17trampoline_kernelINS0_14default_configENS1_38merge_sort_block_merge_config_selectorIsNS0_10empty_typeEEEZZNS1_27merge_sort_block_merge_implIS3_N6thrust23THRUST_200600_302600_NS6detail15normal_iteratorINS9_10device_ptrIsEEEEPS5_jNS1_19radix_merge_compareILb0ELb1EsNS0_19identity_decomposerEEEEE10hipError_tT0_T1_T2_jT3_P12ihipStream_tbPNSt15iterator_traitsISK_E10value_typeEPNSQ_ISL_E10value_typeEPSM_NS1_7vsmem_tEENKUlT_SK_SL_SM_E_clIPsSE_SF_SF_EESJ_SZ_SK_SL_SM_EUlSZ_E0_NS1_11comp_targetILNS1_3genE3ELNS1_11target_archE908ELNS1_3gpuE7ELNS1_3repE0EEENS1_38merge_mergepath_config_static_selectorELNS0_4arch9wavefront6targetE1EEEvSL_
		.amdhsa_group_segment_fixed_size 0
		.amdhsa_private_segment_fixed_size 0
		.amdhsa_kernarg_size 64
		.amdhsa_user_sgpr_count 6
		.amdhsa_user_sgpr_private_segment_buffer 1
		.amdhsa_user_sgpr_dispatch_ptr 0
		.amdhsa_user_sgpr_queue_ptr 0
		.amdhsa_user_sgpr_kernarg_segment_ptr 1
		.amdhsa_user_sgpr_dispatch_id 0
		.amdhsa_user_sgpr_flat_scratch_init 0
		.amdhsa_user_sgpr_kernarg_preload_length 0
		.amdhsa_user_sgpr_kernarg_preload_offset 0
		.amdhsa_user_sgpr_private_segment_size 0
		.amdhsa_uses_dynamic_stack 0
		.amdhsa_system_sgpr_private_segment_wavefront_offset 0
		.amdhsa_system_sgpr_workgroup_id_x 1
		.amdhsa_system_sgpr_workgroup_id_y 0
		.amdhsa_system_sgpr_workgroup_id_z 0
		.amdhsa_system_sgpr_workgroup_info 0
		.amdhsa_system_vgpr_workitem_id 0
		.amdhsa_next_free_vgpr 1
		.amdhsa_next_free_sgpr 0
		.amdhsa_accum_offset 4
		.amdhsa_reserve_vcc 0
		.amdhsa_reserve_flat_scratch 0
		.amdhsa_float_round_mode_32 0
		.amdhsa_float_round_mode_16_64 0
		.amdhsa_float_denorm_mode_32 3
		.amdhsa_float_denorm_mode_16_64 3
		.amdhsa_dx10_clamp 1
		.amdhsa_ieee_mode 1
		.amdhsa_fp16_overflow 0
		.amdhsa_tg_split 0
		.amdhsa_exception_fp_ieee_invalid_op 0
		.amdhsa_exception_fp_denorm_src 0
		.amdhsa_exception_fp_ieee_div_zero 0
		.amdhsa_exception_fp_ieee_overflow 0
		.amdhsa_exception_fp_ieee_underflow 0
		.amdhsa_exception_fp_ieee_inexact 0
		.amdhsa_exception_int_div_zero 0
	.end_amdhsa_kernel
	.section	.text._ZN7rocprim17ROCPRIM_400000_NS6detail17trampoline_kernelINS0_14default_configENS1_38merge_sort_block_merge_config_selectorIsNS0_10empty_typeEEEZZNS1_27merge_sort_block_merge_implIS3_N6thrust23THRUST_200600_302600_NS6detail15normal_iteratorINS9_10device_ptrIsEEEEPS5_jNS1_19radix_merge_compareILb0ELb1EsNS0_19identity_decomposerEEEEE10hipError_tT0_T1_T2_jT3_P12ihipStream_tbPNSt15iterator_traitsISK_E10value_typeEPNSQ_ISL_E10value_typeEPSM_NS1_7vsmem_tEENKUlT_SK_SL_SM_E_clIPsSE_SF_SF_EESJ_SZ_SK_SL_SM_EUlSZ_E0_NS1_11comp_targetILNS1_3genE3ELNS1_11target_archE908ELNS1_3gpuE7ELNS1_3repE0EEENS1_38merge_mergepath_config_static_selectorELNS0_4arch9wavefront6targetE1EEEvSL_,"axG",@progbits,_ZN7rocprim17ROCPRIM_400000_NS6detail17trampoline_kernelINS0_14default_configENS1_38merge_sort_block_merge_config_selectorIsNS0_10empty_typeEEEZZNS1_27merge_sort_block_merge_implIS3_N6thrust23THRUST_200600_302600_NS6detail15normal_iteratorINS9_10device_ptrIsEEEEPS5_jNS1_19radix_merge_compareILb0ELb1EsNS0_19identity_decomposerEEEEE10hipError_tT0_T1_T2_jT3_P12ihipStream_tbPNSt15iterator_traitsISK_E10value_typeEPNSQ_ISL_E10value_typeEPSM_NS1_7vsmem_tEENKUlT_SK_SL_SM_E_clIPsSE_SF_SF_EESJ_SZ_SK_SL_SM_EUlSZ_E0_NS1_11comp_targetILNS1_3genE3ELNS1_11target_archE908ELNS1_3gpuE7ELNS1_3repE0EEENS1_38merge_mergepath_config_static_selectorELNS0_4arch9wavefront6targetE1EEEvSL_,comdat
.Lfunc_end1887:
	.size	_ZN7rocprim17ROCPRIM_400000_NS6detail17trampoline_kernelINS0_14default_configENS1_38merge_sort_block_merge_config_selectorIsNS0_10empty_typeEEEZZNS1_27merge_sort_block_merge_implIS3_N6thrust23THRUST_200600_302600_NS6detail15normal_iteratorINS9_10device_ptrIsEEEEPS5_jNS1_19radix_merge_compareILb0ELb1EsNS0_19identity_decomposerEEEEE10hipError_tT0_T1_T2_jT3_P12ihipStream_tbPNSt15iterator_traitsISK_E10value_typeEPNSQ_ISL_E10value_typeEPSM_NS1_7vsmem_tEENKUlT_SK_SL_SM_E_clIPsSE_SF_SF_EESJ_SZ_SK_SL_SM_EUlSZ_E0_NS1_11comp_targetILNS1_3genE3ELNS1_11target_archE908ELNS1_3gpuE7ELNS1_3repE0EEENS1_38merge_mergepath_config_static_selectorELNS0_4arch9wavefront6targetE1EEEvSL_, .Lfunc_end1887-_ZN7rocprim17ROCPRIM_400000_NS6detail17trampoline_kernelINS0_14default_configENS1_38merge_sort_block_merge_config_selectorIsNS0_10empty_typeEEEZZNS1_27merge_sort_block_merge_implIS3_N6thrust23THRUST_200600_302600_NS6detail15normal_iteratorINS9_10device_ptrIsEEEEPS5_jNS1_19radix_merge_compareILb0ELb1EsNS0_19identity_decomposerEEEEE10hipError_tT0_T1_T2_jT3_P12ihipStream_tbPNSt15iterator_traitsISK_E10value_typeEPNSQ_ISL_E10value_typeEPSM_NS1_7vsmem_tEENKUlT_SK_SL_SM_E_clIPsSE_SF_SF_EESJ_SZ_SK_SL_SM_EUlSZ_E0_NS1_11comp_targetILNS1_3genE3ELNS1_11target_archE908ELNS1_3gpuE7ELNS1_3repE0EEENS1_38merge_mergepath_config_static_selectorELNS0_4arch9wavefront6targetE1EEEvSL_
                                        ; -- End function
	.section	.AMDGPU.csdata,"",@progbits
; Kernel info:
; codeLenInByte = 0
; NumSgprs: 4
; NumVgprs: 0
; NumAgprs: 0
; TotalNumVgprs: 0
; ScratchSize: 0
; MemoryBound: 0
; FloatMode: 240
; IeeeMode: 1
; LDSByteSize: 0 bytes/workgroup (compile time only)
; SGPRBlocks: 0
; VGPRBlocks: 0
; NumSGPRsForWavesPerEU: 4
; NumVGPRsForWavesPerEU: 1
; AccumOffset: 4
; Occupancy: 8
; WaveLimiterHint : 0
; COMPUTE_PGM_RSRC2:SCRATCH_EN: 0
; COMPUTE_PGM_RSRC2:USER_SGPR: 6
; COMPUTE_PGM_RSRC2:TRAP_HANDLER: 0
; COMPUTE_PGM_RSRC2:TGID_X_EN: 1
; COMPUTE_PGM_RSRC2:TGID_Y_EN: 0
; COMPUTE_PGM_RSRC2:TGID_Z_EN: 0
; COMPUTE_PGM_RSRC2:TIDIG_COMP_CNT: 0
; COMPUTE_PGM_RSRC3_GFX90A:ACCUM_OFFSET: 0
; COMPUTE_PGM_RSRC3_GFX90A:TG_SPLIT: 0
	.section	.text._ZN7rocprim17ROCPRIM_400000_NS6detail17trampoline_kernelINS0_14default_configENS1_38merge_sort_block_merge_config_selectorIsNS0_10empty_typeEEEZZNS1_27merge_sort_block_merge_implIS3_N6thrust23THRUST_200600_302600_NS6detail15normal_iteratorINS9_10device_ptrIsEEEEPS5_jNS1_19radix_merge_compareILb0ELb1EsNS0_19identity_decomposerEEEEE10hipError_tT0_T1_T2_jT3_P12ihipStream_tbPNSt15iterator_traitsISK_E10value_typeEPNSQ_ISL_E10value_typeEPSM_NS1_7vsmem_tEENKUlT_SK_SL_SM_E_clIPsSE_SF_SF_EESJ_SZ_SK_SL_SM_EUlSZ_E0_NS1_11comp_targetILNS1_3genE2ELNS1_11target_archE906ELNS1_3gpuE6ELNS1_3repE0EEENS1_38merge_mergepath_config_static_selectorELNS0_4arch9wavefront6targetE1EEEvSL_,"axG",@progbits,_ZN7rocprim17ROCPRIM_400000_NS6detail17trampoline_kernelINS0_14default_configENS1_38merge_sort_block_merge_config_selectorIsNS0_10empty_typeEEEZZNS1_27merge_sort_block_merge_implIS3_N6thrust23THRUST_200600_302600_NS6detail15normal_iteratorINS9_10device_ptrIsEEEEPS5_jNS1_19radix_merge_compareILb0ELb1EsNS0_19identity_decomposerEEEEE10hipError_tT0_T1_T2_jT3_P12ihipStream_tbPNSt15iterator_traitsISK_E10value_typeEPNSQ_ISL_E10value_typeEPSM_NS1_7vsmem_tEENKUlT_SK_SL_SM_E_clIPsSE_SF_SF_EESJ_SZ_SK_SL_SM_EUlSZ_E0_NS1_11comp_targetILNS1_3genE2ELNS1_11target_archE906ELNS1_3gpuE6ELNS1_3repE0EEENS1_38merge_mergepath_config_static_selectorELNS0_4arch9wavefront6targetE1EEEvSL_,comdat
	.protected	_ZN7rocprim17ROCPRIM_400000_NS6detail17trampoline_kernelINS0_14default_configENS1_38merge_sort_block_merge_config_selectorIsNS0_10empty_typeEEEZZNS1_27merge_sort_block_merge_implIS3_N6thrust23THRUST_200600_302600_NS6detail15normal_iteratorINS9_10device_ptrIsEEEEPS5_jNS1_19radix_merge_compareILb0ELb1EsNS0_19identity_decomposerEEEEE10hipError_tT0_T1_T2_jT3_P12ihipStream_tbPNSt15iterator_traitsISK_E10value_typeEPNSQ_ISL_E10value_typeEPSM_NS1_7vsmem_tEENKUlT_SK_SL_SM_E_clIPsSE_SF_SF_EESJ_SZ_SK_SL_SM_EUlSZ_E0_NS1_11comp_targetILNS1_3genE2ELNS1_11target_archE906ELNS1_3gpuE6ELNS1_3repE0EEENS1_38merge_mergepath_config_static_selectorELNS0_4arch9wavefront6targetE1EEEvSL_ ; -- Begin function _ZN7rocprim17ROCPRIM_400000_NS6detail17trampoline_kernelINS0_14default_configENS1_38merge_sort_block_merge_config_selectorIsNS0_10empty_typeEEEZZNS1_27merge_sort_block_merge_implIS3_N6thrust23THRUST_200600_302600_NS6detail15normal_iteratorINS9_10device_ptrIsEEEEPS5_jNS1_19radix_merge_compareILb0ELb1EsNS0_19identity_decomposerEEEEE10hipError_tT0_T1_T2_jT3_P12ihipStream_tbPNSt15iterator_traitsISK_E10value_typeEPNSQ_ISL_E10value_typeEPSM_NS1_7vsmem_tEENKUlT_SK_SL_SM_E_clIPsSE_SF_SF_EESJ_SZ_SK_SL_SM_EUlSZ_E0_NS1_11comp_targetILNS1_3genE2ELNS1_11target_archE906ELNS1_3gpuE6ELNS1_3repE0EEENS1_38merge_mergepath_config_static_selectorELNS0_4arch9wavefront6targetE1EEEvSL_
	.globl	_ZN7rocprim17ROCPRIM_400000_NS6detail17trampoline_kernelINS0_14default_configENS1_38merge_sort_block_merge_config_selectorIsNS0_10empty_typeEEEZZNS1_27merge_sort_block_merge_implIS3_N6thrust23THRUST_200600_302600_NS6detail15normal_iteratorINS9_10device_ptrIsEEEEPS5_jNS1_19radix_merge_compareILb0ELb1EsNS0_19identity_decomposerEEEEE10hipError_tT0_T1_T2_jT3_P12ihipStream_tbPNSt15iterator_traitsISK_E10value_typeEPNSQ_ISL_E10value_typeEPSM_NS1_7vsmem_tEENKUlT_SK_SL_SM_E_clIPsSE_SF_SF_EESJ_SZ_SK_SL_SM_EUlSZ_E0_NS1_11comp_targetILNS1_3genE2ELNS1_11target_archE906ELNS1_3gpuE6ELNS1_3repE0EEENS1_38merge_mergepath_config_static_selectorELNS0_4arch9wavefront6targetE1EEEvSL_
	.p2align	8
	.type	_ZN7rocprim17ROCPRIM_400000_NS6detail17trampoline_kernelINS0_14default_configENS1_38merge_sort_block_merge_config_selectorIsNS0_10empty_typeEEEZZNS1_27merge_sort_block_merge_implIS3_N6thrust23THRUST_200600_302600_NS6detail15normal_iteratorINS9_10device_ptrIsEEEEPS5_jNS1_19radix_merge_compareILb0ELb1EsNS0_19identity_decomposerEEEEE10hipError_tT0_T1_T2_jT3_P12ihipStream_tbPNSt15iterator_traitsISK_E10value_typeEPNSQ_ISL_E10value_typeEPSM_NS1_7vsmem_tEENKUlT_SK_SL_SM_E_clIPsSE_SF_SF_EESJ_SZ_SK_SL_SM_EUlSZ_E0_NS1_11comp_targetILNS1_3genE2ELNS1_11target_archE906ELNS1_3gpuE6ELNS1_3repE0EEENS1_38merge_mergepath_config_static_selectorELNS0_4arch9wavefront6targetE1EEEvSL_,@function
_ZN7rocprim17ROCPRIM_400000_NS6detail17trampoline_kernelINS0_14default_configENS1_38merge_sort_block_merge_config_selectorIsNS0_10empty_typeEEEZZNS1_27merge_sort_block_merge_implIS3_N6thrust23THRUST_200600_302600_NS6detail15normal_iteratorINS9_10device_ptrIsEEEEPS5_jNS1_19radix_merge_compareILb0ELb1EsNS0_19identity_decomposerEEEEE10hipError_tT0_T1_T2_jT3_P12ihipStream_tbPNSt15iterator_traitsISK_E10value_typeEPNSQ_ISL_E10value_typeEPSM_NS1_7vsmem_tEENKUlT_SK_SL_SM_E_clIPsSE_SF_SF_EESJ_SZ_SK_SL_SM_EUlSZ_E0_NS1_11comp_targetILNS1_3genE2ELNS1_11target_archE906ELNS1_3gpuE6ELNS1_3repE0EEENS1_38merge_mergepath_config_static_selectorELNS0_4arch9wavefront6targetE1EEEvSL_: ; @_ZN7rocprim17ROCPRIM_400000_NS6detail17trampoline_kernelINS0_14default_configENS1_38merge_sort_block_merge_config_selectorIsNS0_10empty_typeEEEZZNS1_27merge_sort_block_merge_implIS3_N6thrust23THRUST_200600_302600_NS6detail15normal_iteratorINS9_10device_ptrIsEEEEPS5_jNS1_19radix_merge_compareILb0ELb1EsNS0_19identity_decomposerEEEEE10hipError_tT0_T1_T2_jT3_P12ihipStream_tbPNSt15iterator_traitsISK_E10value_typeEPNSQ_ISL_E10value_typeEPSM_NS1_7vsmem_tEENKUlT_SK_SL_SM_E_clIPsSE_SF_SF_EESJ_SZ_SK_SL_SM_EUlSZ_E0_NS1_11comp_targetILNS1_3genE2ELNS1_11target_archE906ELNS1_3gpuE6ELNS1_3repE0EEENS1_38merge_mergepath_config_static_selectorELNS0_4arch9wavefront6targetE1EEEvSL_
; %bb.0:
	.section	.rodata,"a",@progbits
	.p2align	6, 0x0
	.amdhsa_kernel _ZN7rocprim17ROCPRIM_400000_NS6detail17trampoline_kernelINS0_14default_configENS1_38merge_sort_block_merge_config_selectorIsNS0_10empty_typeEEEZZNS1_27merge_sort_block_merge_implIS3_N6thrust23THRUST_200600_302600_NS6detail15normal_iteratorINS9_10device_ptrIsEEEEPS5_jNS1_19radix_merge_compareILb0ELb1EsNS0_19identity_decomposerEEEEE10hipError_tT0_T1_T2_jT3_P12ihipStream_tbPNSt15iterator_traitsISK_E10value_typeEPNSQ_ISL_E10value_typeEPSM_NS1_7vsmem_tEENKUlT_SK_SL_SM_E_clIPsSE_SF_SF_EESJ_SZ_SK_SL_SM_EUlSZ_E0_NS1_11comp_targetILNS1_3genE2ELNS1_11target_archE906ELNS1_3gpuE6ELNS1_3repE0EEENS1_38merge_mergepath_config_static_selectorELNS0_4arch9wavefront6targetE1EEEvSL_
		.amdhsa_group_segment_fixed_size 0
		.amdhsa_private_segment_fixed_size 0
		.amdhsa_kernarg_size 64
		.amdhsa_user_sgpr_count 6
		.amdhsa_user_sgpr_private_segment_buffer 1
		.amdhsa_user_sgpr_dispatch_ptr 0
		.amdhsa_user_sgpr_queue_ptr 0
		.amdhsa_user_sgpr_kernarg_segment_ptr 1
		.amdhsa_user_sgpr_dispatch_id 0
		.amdhsa_user_sgpr_flat_scratch_init 0
		.amdhsa_user_sgpr_kernarg_preload_length 0
		.amdhsa_user_sgpr_kernarg_preload_offset 0
		.amdhsa_user_sgpr_private_segment_size 0
		.amdhsa_uses_dynamic_stack 0
		.amdhsa_system_sgpr_private_segment_wavefront_offset 0
		.amdhsa_system_sgpr_workgroup_id_x 1
		.amdhsa_system_sgpr_workgroup_id_y 0
		.amdhsa_system_sgpr_workgroup_id_z 0
		.amdhsa_system_sgpr_workgroup_info 0
		.amdhsa_system_vgpr_workitem_id 0
		.amdhsa_next_free_vgpr 1
		.amdhsa_next_free_sgpr 0
		.amdhsa_accum_offset 4
		.amdhsa_reserve_vcc 0
		.amdhsa_reserve_flat_scratch 0
		.amdhsa_float_round_mode_32 0
		.amdhsa_float_round_mode_16_64 0
		.amdhsa_float_denorm_mode_32 3
		.amdhsa_float_denorm_mode_16_64 3
		.amdhsa_dx10_clamp 1
		.amdhsa_ieee_mode 1
		.amdhsa_fp16_overflow 0
		.amdhsa_tg_split 0
		.amdhsa_exception_fp_ieee_invalid_op 0
		.amdhsa_exception_fp_denorm_src 0
		.amdhsa_exception_fp_ieee_div_zero 0
		.amdhsa_exception_fp_ieee_overflow 0
		.amdhsa_exception_fp_ieee_underflow 0
		.amdhsa_exception_fp_ieee_inexact 0
		.amdhsa_exception_int_div_zero 0
	.end_amdhsa_kernel
	.section	.text._ZN7rocprim17ROCPRIM_400000_NS6detail17trampoline_kernelINS0_14default_configENS1_38merge_sort_block_merge_config_selectorIsNS0_10empty_typeEEEZZNS1_27merge_sort_block_merge_implIS3_N6thrust23THRUST_200600_302600_NS6detail15normal_iteratorINS9_10device_ptrIsEEEEPS5_jNS1_19radix_merge_compareILb0ELb1EsNS0_19identity_decomposerEEEEE10hipError_tT0_T1_T2_jT3_P12ihipStream_tbPNSt15iterator_traitsISK_E10value_typeEPNSQ_ISL_E10value_typeEPSM_NS1_7vsmem_tEENKUlT_SK_SL_SM_E_clIPsSE_SF_SF_EESJ_SZ_SK_SL_SM_EUlSZ_E0_NS1_11comp_targetILNS1_3genE2ELNS1_11target_archE906ELNS1_3gpuE6ELNS1_3repE0EEENS1_38merge_mergepath_config_static_selectorELNS0_4arch9wavefront6targetE1EEEvSL_,"axG",@progbits,_ZN7rocprim17ROCPRIM_400000_NS6detail17trampoline_kernelINS0_14default_configENS1_38merge_sort_block_merge_config_selectorIsNS0_10empty_typeEEEZZNS1_27merge_sort_block_merge_implIS3_N6thrust23THRUST_200600_302600_NS6detail15normal_iteratorINS9_10device_ptrIsEEEEPS5_jNS1_19radix_merge_compareILb0ELb1EsNS0_19identity_decomposerEEEEE10hipError_tT0_T1_T2_jT3_P12ihipStream_tbPNSt15iterator_traitsISK_E10value_typeEPNSQ_ISL_E10value_typeEPSM_NS1_7vsmem_tEENKUlT_SK_SL_SM_E_clIPsSE_SF_SF_EESJ_SZ_SK_SL_SM_EUlSZ_E0_NS1_11comp_targetILNS1_3genE2ELNS1_11target_archE906ELNS1_3gpuE6ELNS1_3repE0EEENS1_38merge_mergepath_config_static_selectorELNS0_4arch9wavefront6targetE1EEEvSL_,comdat
.Lfunc_end1888:
	.size	_ZN7rocprim17ROCPRIM_400000_NS6detail17trampoline_kernelINS0_14default_configENS1_38merge_sort_block_merge_config_selectorIsNS0_10empty_typeEEEZZNS1_27merge_sort_block_merge_implIS3_N6thrust23THRUST_200600_302600_NS6detail15normal_iteratorINS9_10device_ptrIsEEEEPS5_jNS1_19radix_merge_compareILb0ELb1EsNS0_19identity_decomposerEEEEE10hipError_tT0_T1_T2_jT3_P12ihipStream_tbPNSt15iterator_traitsISK_E10value_typeEPNSQ_ISL_E10value_typeEPSM_NS1_7vsmem_tEENKUlT_SK_SL_SM_E_clIPsSE_SF_SF_EESJ_SZ_SK_SL_SM_EUlSZ_E0_NS1_11comp_targetILNS1_3genE2ELNS1_11target_archE906ELNS1_3gpuE6ELNS1_3repE0EEENS1_38merge_mergepath_config_static_selectorELNS0_4arch9wavefront6targetE1EEEvSL_, .Lfunc_end1888-_ZN7rocprim17ROCPRIM_400000_NS6detail17trampoline_kernelINS0_14default_configENS1_38merge_sort_block_merge_config_selectorIsNS0_10empty_typeEEEZZNS1_27merge_sort_block_merge_implIS3_N6thrust23THRUST_200600_302600_NS6detail15normal_iteratorINS9_10device_ptrIsEEEEPS5_jNS1_19radix_merge_compareILb0ELb1EsNS0_19identity_decomposerEEEEE10hipError_tT0_T1_T2_jT3_P12ihipStream_tbPNSt15iterator_traitsISK_E10value_typeEPNSQ_ISL_E10value_typeEPSM_NS1_7vsmem_tEENKUlT_SK_SL_SM_E_clIPsSE_SF_SF_EESJ_SZ_SK_SL_SM_EUlSZ_E0_NS1_11comp_targetILNS1_3genE2ELNS1_11target_archE906ELNS1_3gpuE6ELNS1_3repE0EEENS1_38merge_mergepath_config_static_selectorELNS0_4arch9wavefront6targetE1EEEvSL_
                                        ; -- End function
	.section	.AMDGPU.csdata,"",@progbits
; Kernel info:
; codeLenInByte = 0
; NumSgprs: 4
; NumVgprs: 0
; NumAgprs: 0
; TotalNumVgprs: 0
; ScratchSize: 0
; MemoryBound: 0
; FloatMode: 240
; IeeeMode: 1
; LDSByteSize: 0 bytes/workgroup (compile time only)
; SGPRBlocks: 0
; VGPRBlocks: 0
; NumSGPRsForWavesPerEU: 4
; NumVGPRsForWavesPerEU: 1
; AccumOffset: 4
; Occupancy: 8
; WaveLimiterHint : 0
; COMPUTE_PGM_RSRC2:SCRATCH_EN: 0
; COMPUTE_PGM_RSRC2:USER_SGPR: 6
; COMPUTE_PGM_RSRC2:TRAP_HANDLER: 0
; COMPUTE_PGM_RSRC2:TGID_X_EN: 1
; COMPUTE_PGM_RSRC2:TGID_Y_EN: 0
; COMPUTE_PGM_RSRC2:TGID_Z_EN: 0
; COMPUTE_PGM_RSRC2:TIDIG_COMP_CNT: 0
; COMPUTE_PGM_RSRC3_GFX90A:ACCUM_OFFSET: 0
; COMPUTE_PGM_RSRC3_GFX90A:TG_SPLIT: 0
	.section	.text._ZN7rocprim17ROCPRIM_400000_NS6detail17trampoline_kernelINS0_14default_configENS1_38merge_sort_block_merge_config_selectorIsNS0_10empty_typeEEEZZNS1_27merge_sort_block_merge_implIS3_N6thrust23THRUST_200600_302600_NS6detail15normal_iteratorINS9_10device_ptrIsEEEEPS5_jNS1_19radix_merge_compareILb0ELb1EsNS0_19identity_decomposerEEEEE10hipError_tT0_T1_T2_jT3_P12ihipStream_tbPNSt15iterator_traitsISK_E10value_typeEPNSQ_ISL_E10value_typeEPSM_NS1_7vsmem_tEENKUlT_SK_SL_SM_E_clIPsSE_SF_SF_EESJ_SZ_SK_SL_SM_EUlSZ_E0_NS1_11comp_targetILNS1_3genE9ELNS1_11target_archE1100ELNS1_3gpuE3ELNS1_3repE0EEENS1_38merge_mergepath_config_static_selectorELNS0_4arch9wavefront6targetE1EEEvSL_,"axG",@progbits,_ZN7rocprim17ROCPRIM_400000_NS6detail17trampoline_kernelINS0_14default_configENS1_38merge_sort_block_merge_config_selectorIsNS0_10empty_typeEEEZZNS1_27merge_sort_block_merge_implIS3_N6thrust23THRUST_200600_302600_NS6detail15normal_iteratorINS9_10device_ptrIsEEEEPS5_jNS1_19radix_merge_compareILb0ELb1EsNS0_19identity_decomposerEEEEE10hipError_tT0_T1_T2_jT3_P12ihipStream_tbPNSt15iterator_traitsISK_E10value_typeEPNSQ_ISL_E10value_typeEPSM_NS1_7vsmem_tEENKUlT_SK_SL_SM_E_clIPsSE_SF_SF_EESJ_SZ_SK_SL_SM_EUlSZ_E0_NS1_11comp_targetILNS1_3genE9ELNS1_11target_archE1100ELNS1_3gpuE3ELNS1_3repE0EEENS1_38merge_mergepath_config_static_selectorELNS0_4arch9wavefront6targetE1EEEvSL_,comdat
	.protected	_ZN7rocprim17ROCPRIM_400000_NS6detail17trampoline_kernelINS0_14default_configENS1_38merge_sort_block_merge_config_selectorIsNS0_10empty_typeEEEZZNS1_27merge_sort_block_merge_implIS3_N6thrust23THRUST_200600_302600_NS6detail15normal_iteratorINS9_10device_ptrIsEEEEPS5_jNS1_19radix_merge_compareILb0ELb1EsNS0_19identity_decomposerEEEEE10hipError_tT0_T1_T2_jT3_P12ihipStream_tbPNSt15iterator_traitsISK_E10value_typeEPNSQ_ISL_E10value_typeEPSM_NS1_7vsmem_tEENKUlT_SK_SL_SM_E_clIPsSE_SF_SF_EESJ_SZ_SK_SL_SM_EUlSZ_E0_NS1_11comp_targetILNS1_3genE9ELNS1_11target_archE1100ELNS1_3gpuE3ELNS1_3repE0EEENS1_38merge_mergepath_config_static_selectorELNS0_4arch9wavefront6targetE1EEEvSL_ ; -- Begin function _ZN7rocprim17ROCPRIM_400000_NS6detail17trampoline_kernelINS0_14default_configENS1_38merge_sort_block_merge_config_selectorIsNS0_10empty_typeEEEZZNS1_27merge_sort_block_merge_implIS3_N6thrust23THRUST_200600_302600_NS6detail15normal_iteratorINS9_10device_ptrIsEEEEPS5_jNS1_19radix_merge_compareILb0ELb1EsNS0_19identity_decomposerEEEEE10hipError_tT0_T1_T2_jT3_P12ihipStream_tbPNSt15iterator_traitsISK_E10value_typeEPNSQ_ISL_E10value_typeEPSM_NS1_7vsmem_tEENKUlT_SK_SL_SM_E_clIPsSE_SF_SF_EESJ_SZ_SK_SL_SM_EUlSZ_E0_NS1_11comp_targetILNS1_3genE9ELNS1_11target_archE1100ELNS1_3gpuE3ELNS1_3repE0EEENS1_38merge_mergepath_config_static_selectorELNS0_4arch9wavefront6targetE1EEEvSL_
	.globl	_ZN7rocprim17ROCPRIM_400000_NS6detail17trampoline_kernelINS0_14default_configENS1_38merge_sort_block_merge_config_selectorIsNS0_10empty_typeEEEZZNS1_27merge_sort_block_merge_implIS3_N6thrust23THRUST_200600_302600_NS6detail15normal_iteratorINS9_10device_ptrIsEEEEPS5_jNS1_19radix_merge_compareILb0ELb1EsNS0_19identity_decomposerEEEEE10hipError_tT0_T1_T2_jT3_P12ihipStream_tbPNSt15iterator_traitsISK_E10value_typeEPNSQ_ISL_E10value_typeEPSM_NS1_7vsmem_tEENKUlT_SK_SL_SM_E_clIPsSE_SF_SF_EESJ_SZ_SK_SL_SM_EUlSZ_E0_NS1_11comp_targetILNS1_3genE9ELNS1_11target_archE1100ELNS1_3gpuE3ELNS1_3repE0EEENS1_38merge_mergepath_config_static_selectorELNS0_4arch9wavefront6targetE1EEEvSL_
	.p2align	8
	.type	_ZN7rocprim17ROCPRIM_400000_NS6detail17trampoline_kernelINS0_14default_configENS1_38merge_sort_block_merge_config_selectorIsNS0_10empty_typeEEEZZNS1_27merge_sort_block_merge_implIS3_N6thrust23THRUST_200600_302600_NS6detail15normal_iteratorINS9_10device_ptrIsEEEEPS5_jNS1_19radix_merge_compareILb0ELb1EsNS0_19identity_decomposerEEEEE10hipError_tT0_T1_T2_jT3_P12ihipStream_tbPNSt15iterator_traitsISK_E10value_typeEPNSQ_ISL_E10value_typeEPSM_NS1_7vsmem_tEENKUlT_SK_SL_SM_E_clIPsSE_SF_SF_EESJ_SZ_SK_SL_SM_EUlSZ_E0_NS1_11comp_targetILNS1_3genE9ELNS1_11target_archE1100ELNS1_3gpuE3ELNS1_3repE0EEENS1_38merge_mergepath_config_static_selectorELNS0_4arch9wavefront6targetE1EEEvSL_,@function
_ZN7rocprim17ROCPRIM_400000_NS6detail17trampoline_kernelINS0_14default_configENS1_38merge_sort_block_merge_config_selectorIsNS0_10empty_typeEEEZZNS1_27merge_sort_block_merge_implIS3_N6thrust23THRUST_200600_302600_NS6detail15normal_iteratorINS9_10device_ptrIsEEEEPS5_jNS1_19radix_merge_compareILb0ELb1EsNS0_19identity_decomposerEEEEE10hipError_tT0_T1_T2_jT3_P12ihipStream_tbPNSt15iterator_traitsISK_E10value_typeEPNSQ_ISL_E10value_typeEPSM_NS1_7vsmem_tEENKUlT_SK_SL_SM_E_clIPsSE_SF_SF_EESJ_SZ_SK_SL_SM_EUlSZ_E0_NS1_11comp_targetILNS1_3genE9ELNS1_11target_archE1100ELNS1_3gpuE3ELNS1_3repE0EEENS1_38merge_mergepath_config_static_selectorELNS0_4arch9wavefront6targetE1EEEvSL_: ; @_ZN7rocprim17ROCPRIM_400000_NS6detail17trampoline_kernelINS0_14default_configENS1_38merge_sort_block_merge_config_selectorIsNS0_10empty_typeEEEZZNS1_27merge_sort_block_merge_implIS3_N6thrust23THRUST_200600_302600_NS6detail15normal_iteratorINS9_10device_ptrIsEEEEPS5_jNS1_19radix_merge_compareILb0ELb1EsNS0_19identity_decomposerEEEEE10hipError_tT0_T1_T2_jT3_P12ihipStream_tbPNSt15iterator_traitsISK_E10value_typeEPNSQ_ISL_E10value_typeEPSM_NS1_7vsmem_tEENKUlT_SK_SL_SM_E_clIPsSE_SF_SF_EESJ_SZ_SK_SL_SM_EUlSZ_E0_NS1_11comp_targetILNS1_3genE9ELNS1_11target_archE1100ELNS1_3gpuE3ELNS1_3repE0EEENS1_38merge_mergepath_config_static_selectorELNS0_4arch9wavefront6targetE1EEEvSL_
; %bb.0:
	.section	.rodata,"a",@progbits
	.p2align	6, 0x0
	.amdhsa_kernel _ZN7rocprim17ROCPRIM_400000_NS6detail17trampoline_kernelINS0_14default_configENS1_38merge_sort_block_merge_config_selectorIsNS0_10empty_typeEEEZZNS1_27merge_sort_block_merge_implIS3_N6thrust23THRUST_200600_302600_NS6detail15normal_iteratorINS9_10device_ptrIsEEEEPS5_jNS1_19radix_merge_compareILb0ELb1EsNS0_19identity_decomposerEEEEE10hipError_tT0_T1_T2_jT3_P12ihipStream_tbPNSt15iterator_traitsISK_E10value_typeEPNSQ_ISL_E10value_typeEPSM_NS1_7vsmem_tEENKUlT_SK_SL_SM_E_clIPsSE_SF_SF_EESJ_SZ_SK_SL_SM_EUlSZ_E0_NS1_11comp_targetILNS1_3genE9ELNS1_11target_archE1100ELNS1_3gpuE3ELNS1_3repE0EEENS1_38merge_mergepath_config_static_selectorELNS0_4arch9wavefront6targetE1EEEvSL_
		.amdhsa_group_segment_fixed_size 0
		.amdhsa_private_segment_fixed_size 0
		.amdhsa_kernarg_size 64
		.amdhsa_user_sgpr_count 6
		.amdhsa_user_sgpr_private_segment_buffer 1
		.amdhsa_user_sgpr_dispatch_ptr 0
		.amdhsa_user_sgpr_queue_ptr 0
		.amdhsa_user_sgpr_kernarg_segment_ptr 1
		.amdhsa_user_sgpr_dispatch_id 0
		.amdhsa_user_sgpr_flat_scratch_init 0
		.amdhsa_user_sgpr_kernarg_preload_length 0
		.amdhsa_user_sgpr_kernarg_preload_offset 0
		.amdhsa_user_sgpr_private_segment_size 0
		.amdhsa_uses_dynamic_stack 0
		.amdhsa_system_sgpr_private_segment_wavefront_offset 0
		.amdhsa_system_sgpr_workgroup_id_x 1
		.amdhsa_system_sgpr_workgroup_id_y 0
		.amdhsa_system_sgpr_workgroup_id_z 0
		.amdhsa_system_sgpr_workgroup_info 0
		.amdhsa_system_vgpr_workitem_id 0
		.amdhsa_next_free_vgpr 1
		.amdhsa_next_free_sgpr 0
		.amdhsa_accum_offset 4
		.amdhsa_reserve_vcc 0
		.amdhsa_reserve_flat_scratch 0
		.amdhsa_float_round_mode_32 0
		.amdhsa_float_round_mode_16_64 0
		.amdhsa_float_denorm_mode_32 3
		.amdhsa_float_denorm_mode_16_64 3
		.amdhsa_dx10_clamp 1
		.amdhsa_ieee_mode 1
		.amdhsa_fp16_overflow 0
		.amdhsa_tg_split 0
		.amdhsa_exception_fp_ieee_invalid_op 0
		.amdhsa_exception_fp_denorm_src 0
		.amdhsa_exception_fp_ieee_div_zero 0
		.amdhsa_exception_fp_ieee_overflow 0
		.amdhsa_exception_fp_ieee_underflow 0
		.amdhsa_exception_fp_ieee_inexact 0
		.amdhsa_exception_int_div_zero 0
	.end_amdhsa_kernel
	.section	.text._ZN7rocprim17ROCPRIM_400000_NS6detail17trampoline_kernelINS0_14default_configENS1_38merge_sort_block_merge_config_selectorIsNS0_10empty_typeEEEZZNS1_27merge_sort_block_merge_implIS3_N6thrust23THRUST_200600_302600_NS6detail15normal_iteratorINS9_10device_ptrIsEEEEPS5_jNS1_19radix_merge_compareILb0ELb1EsNS0_19identity_decomposerEEEEE10hipError_tT0_T1_T2_jT3_P12ihipStream_tbPNSt15iterator_traitsISK_E10value_typeEPNSQ_ISL_E10value_typeEPSM_NS1_7vsmem_tEENKUlT_SK_SL_SM_E_clIPsSE_SF_SF_EESJ_SZ_SK_SL_SM_EUlSZ_E0_NS1_11comp_targetILNS1_3genE9ELNS1_11target_archE1100ELNS1_3gpuE3ELNS1_3repE0EEENS1_38merge_mergepath_config_static_selectorELNS0_4arch9wavefront6targetE1EEEvSL_,"axG",@progbits,_ZN7rocprim17ROCPRIM_400000_NS6detail17trampoline_kernelINS0_14default_configENS1_38merge_sort_block_merge_config_selectorIsNS0_10empty_typeEEEZZNS1_27merge_sort_block_merge_implIS3_N6thrust23THRUST_200600_302600_NS6detail15normal_iteratorINS9_10device_ptrIsEEEEPS5_jNS1_19radix_merge_compareILb0ELb1EsNS0_19identity_decomposerEEEEE10hipError_tT0_T1_T2_jT3_P12ihipStream_tbPNSt15iterator_traitsISK_E10value_typeEPNSQ_ISL_E10value_typeEPSM_NS1_7vsmem_tEENKUlT_SK_SL_SM_E_clIPsSE_SF_SF_EESJ_SZ_SK_SL_SM_EUlSZ_E0_NS1_11comp_targetILNS1_3genE9ELNS1_11target_archE1100ELNS1_3gpuE3ELNS1_3repE0EEENS1_38merge_mergepath_config_static_selectorELNS0_4arch9wavefront6targetE1EEEvSL_,comdat
.Lfunc_end1889:
	.size	_ZN7rocprim17ROCPRIM_400000_NS6detail17trampoline_kernelINS0_14default_configENS1_38merge_sort_block_merge_config_selectorIsNS0_10empty_typeEEEZZNS1_27merge_sort_block_merge_implIS3_N6thrust23THRUST_200600_302600_NS6detail15normal_iteratorINS9_10device_ptrIsEEEEPS5_jNS1_19radix_merge_compareILb0ELb1EsNS0_19identity_decomposerEEEEE10hipError_tT0_T1_T2_jT3_P12ihipStream_tbPNSt15iterator_traitsISK_E10value_typeEPNSQ_ISL_E10value_typeEPSM_NS1_7vsmem_tEENKUlT_SK_SL_SM_E_clIPsSE_SF_SF_EESJ_SZ_SK_SL_SM_EUlSZ_E0_NS1_11comp_targetILNS1_3genE9ELNS1_11target_archE1100ELNS1_3gpuE3ELNS1_3repE0EEENS1_38merge_mergepath_config_static_selectorELNS0_4arch9wavefront6targetE1EEEvSL_, .Lfunc_end1889-_ZN7rocprim17ROCPRIM_400000_NS6detail17trampoline_kernelINS0_14default_configENS1_38merge_sort_block_merge_config_selectorIsNS0_10empty_typeEEEZZNS1_27merge_sort_block_merge_implIS3_N6thrust23THRUST_200600_302600_NS6detail15normal_iteratorINS9_10device_ptrIsEEEEPS5_jNS1_19radix_merge_compareILb0ELb1EsNS0_19identity_decomposerEEEEE10hipError_tT0_T1_T2_jT3_P12ihipStream_tbPNSt15iterator_traitsISK_E10value_typeEPNSQ_ISL_E10value_typeEPSM_NS1_7vsmem_tEENKUlT_SK_SL_SM_E_clIPsSE_SF_SF_EESJ_SZ_SK_SL_SM_EUlSZ_E0_NS1_11comp_targetILNS1_3genE9ELNS1_11target_archE1100ELNS1_3gpuE3ELNS1_3repE0EEENS1_38merge_mergepath_config_static_selectorELNS0_4arch9wavefront6targetE1EEEvSL_
                                        ; -- End function
	.section	.AMDGPU.csdata,"",@progbits
; Kernel info:
; codeLenInByte = 0
; NumSgprs: 4
; NumVgprs: 0
; NumAgprs: 0
; TotalNumVgprs: 0
; ScratchSize: 0
; MemoryBound: 0
; FloatMode: 240
; IeeeMode: 1
; LDSByteSize: 0 bytes/workgroup (compile time only)
; SGPRBlocks: 0
; VGPRBlocks: 0
; NumSGPRsForWavesPerEU: 4
; NumVGPRsForWavesPerEU: 1
; AccumOffset: 4
; Occupancy: 8
; WaveLimiterHint : 0
; COMPUTE_PGM_RSRC2:SCRATCH_EN: 0
; COMPUTE_PGM_RSRC2:USER_SGPR: 6
; COMPUTE_PGM_RSRC2:TRAP_HANDLER: 0
; COMPUTE_PGM_RSRC2:TGID_X_EN: 1
; COMPUTE_PGM_RSRC2:TGID_Y_EN: 0
; COMPUTE_PGM_RSRC2:TGID_Z_EN: 0
; COMPUTE_PGM_RSRC2:TIDIG_COMP_CNT: 0
; COMPUTE_PGM_RSRC3_GFX90A:ACCUM_OFFSET: 0
; COMPUTE_PGM_RSRC3_GFX90A:TG_SPLIT: 0
	.section	.text._ZN7rocprim17ROCPRIM_400000_NS6detail17trampoline_kernelINS0_14default_configENS1_38merge_sort_block_merge_config_selectorIsNS0_10empty_typeEEEZZNS1_27merge_sort_block_merge_implIS3_N6thrust23THRUST_200600_302600_NS6detail15normal_iteratorINS9_10device_ptrIsEEEEPS5_jNS1_19radix_merge_compareILb0ELb1EsNS0_19identity_decomposerEEEEE10hipError_tT0_T1_T2_jT3_P12ihipStream_tbPNSt15iterator_traitsISK_E10value_typeEPNSQ_ISL_E10value_typeEPSM_NS1_7vsmem_tEENKUlT_SK_SL_SM_E_clIPsSE_SF_SF_EESJ_SZ_SK_SL_SM_EUlSZ_E0_NS1_11comp_targetILNS1_3genE8ELNS1_11target_archE1030ELNS1_3gpuE2ELNS1_3repE0EEENS1_38merge_mergepath_config_static_selectorELNS0_4arch9wavefront6targetE1EEEvSL_,"axG",@progbits,_ZN7rocprim17ROCPRIM_400000_NS6detail17trampoline_kernelINS0_14default_configENS1_38merge_sort_block_merge_config_selectorIsNS0_10empty_typeEEEZZNS1_27merge_sort_block_merge_implIS3_N6thrust23THRUST_200600_302600_NS6detail15normal_iteratorINS9_10device_ptrIsEEEEPS5_jNS1_19radix_merge_compareILb0ELb1EsNS0_19identity_decomposerEEEEE10hipError_tT0_T1_T2_jT3_P12ihipStream_tbPNSt15iterator_traitsISK_E10value_typeEPNSQ_ISL_E10value_typeEPSM_NS1_7vsmem_tEENKUlT_SK_SL_SM_E_clIPsSE_SF_SF_EESJ_SZ_SK_SL_SM_EUlSZ_E0_NS1_11comp_targetILNS1_3genE8ELNS1_11target_archE1030ELNS1_3gpuE2ELNS1_3repE0EEENS1_38merge_mergepath_config_static_selectorELNS0_4arch9wavefront6targetE1EEEvSL_,comdat
	.protected	_ZN7rocprim17ROCPRIM_400000_NS6detail17trampoline_kernelINS0_14default_configENS1_38merge_sort_block_merge_config_selectorIsNS0_10empty_typeEEEZZNS1_27merge_sort_block_merge_implIS3_N6thrust23THRUST_200600_302600_NS6detail15normal_iteratorINS9_10device_ptrIsEEEEPS5_jNS1_19radix_merge_compareILb0ELb1EsNS0_19identity_decomposerEEEEE10hipError_tT0_T1_T2_jT3_P12ihipStream_tbPNSt15iterator_traitsISK_E10value_typeEPNSQ_ISL_E10value_typeEPSM_NS1_7vsmem_tEENKUlT_SK_SL_SM_E_clIPsSE_SF_SF_EESJ_SZ_SK_SL_SM_EUlSZ_E0_NS1_11comp_targetILNS1_3genE8ELNS1_11target_archE1030ELNS1_3gpuE2ELNS1_3repE0EEENS1_38merge_mergepath_config_static_selectorELNS0_4arch9wavefront6targetE1EEEvSL_ ; -- Begin function _ZN7rocprim17ROCPRIM_400000_NS6detail17trampoline_kernelINS0_14default_configENS1_38merge_sort_block_merge_config_selectorIsNS0_10empty_typeEEEZZNS1_27merge_sort_block_merge_implIS3_N6thrust23THRUST_200600_302600_NS6detail15normal_iteratorINS9_10device_ptrIsEEEEPS5_jNS1_19radix_merge_compareILb0ELb1EsNS0_19identity_decomposerEEEEE10hipError_tT0_T1_T2_jT3_P12ihipStream_tbPNSt15iterator_traitsISK_E10value_typeEPNSQ_ISL_E10value_typeEPSM_NS1_7vsmem_tEENKUlT_SK_SL_SM_E_clIPsSE_SF_SF_EESJ_SZ_SK_SL_SM_EUlSZ_E0_NS1_11comp_targetILNS1_3genE8ELNS1_11target_archE1030ELNS1_3gpuE2ELNS1_3repE0EEENS1_38merge_mergepath_config_static_selectorELNS0_4arch9wavefront6targetE1EEEvSL_
	.globl	_ZN7rocprim17ROCPRIM_400000_NS6detail17trampoline_kernelINS0_14default_configENS1_38merge_sort_block_merge_config_selectorIsNS0_10empty_typeEEEZZNS1_27merge_sort_block_merge_implIS3_N6thrust23THRUST_200600_302600_NS6detail15normal_iteratorINS9_10device_ptrIsEEEEPS5_jNS1_19radix_merge_compareILb0ELb1EsNS0_19identity_decomposerEEEEE10hipError_tT0_T1_T2_jT3_P12ihipStream_tbPNSt15iterator_traitsISK_E10value_typeEPNSQ_ISL_E10value_typeEPSM_NS1_7vsmem_tEENKUlT_SK_SL_SM_E_clIPsSE_SF_SF_EESJ_SZ_SK_SL_SM_EUlSZ_E0_NS1_11comp_targetILNS1_3genE8ELNS1_11target_archE1030ELNS1_3gpuE2ELNS1_3repE0EEENS1_38merge_mergepath_config_static_selectorELNS0_4arch9wavefront6targetE1EEEvSL_
	.p2align	8
	.type	_ZN7rocprim17ROCPRIM_400000_NS6detail17trampoline_kernelINS0_14default_configENS1_38merge_sort_block_merge_config_selectorIsNS0_10empty_typeEEEZZNS1_27merge_sort_block_merge_implIS3_N6thrust23THRUST_200600_302600_NS6detail15normal_iteratorINS9_10device_ptrIsEEEEPS5_jNS1_19radix_merge_compareILb0ELb1EsNS0_19identity_decomposerEEEEE10hipError_tT0_T1_T2_jT3_P12ihipStream_tbPNSt15iterator_traitsISK_E10value_typeEPNSQ_ISL_E10value_typeEPSM_NS1_7vsmem_tEENKUlT_SK_SL_SM_E_clIPsSE_SF_SF_EESJ_SZ_SK_SL_SM_EUlSZ_E0_NS1_11comp_targetILNS1_3genE8ELNS1_11target_archE1030ELNS1_3gpuE2ELNS1_3repE0EEENS1_38merge_mergepath_config_static_selectorELNS0_4arch9wavefront6targetE1EEEvSL_,@function
_ZN7rocprim17ROCPRIM_400000_NS6detail17trampoline_kernelINS0_14default_configENS1_38merge_sort_block_merge_config_selectorIsNS0_10empty_typeEEEZZNS1_27merge_sort_block_merge_implIS3_N6thrust23THRUST_200600_302600_NS6detail15normal_iteratorINS9_10device_ptrIsEEEEPS5_jNS1_19radix_merge_compareILb0ELb1EsNS0_19identity_decomposerEEEEE10hipError_tT0_T1_T2_jT3_P12ihipStream_tbPNSt15iterator_traitsISK_E10value_typeEPNSQ_ISL_E10value_typeEPSM_NS1_7vsmem_tEENKUlT_SK_SL_SM_E_clIPsSE_SF_SF_EESJ_SZ_SK_SL_SM_EUlSZ_E0_NS1_11comp_targetILNS1_3genE8ELNS1_11target_archE1030ELNS1_3gpuE2ELNS1_3repE0EEENS1_38merge_mergepath_config_static_selectorELNS0_4arch9wavefront6targetE1EEEvSL_: ; @_ZN7rocprim17ROCPRIM_400000_NS6detail17trampoline_kernelINS0_14default_configENS1_38merge_sort_block_merge_config_selectorIsNS0_10empty_typeEEEZZNS1_27merge_sort_block_merge_implIS3_N6thrust23THRUST_200600_302600_NS6detail15normal_iteratorINS9_10device_ptrIsEEEEPS5_jNS1_19radix_merge_compareILb0ELb1EsNS0_19identity_decomposerEEEEE10hipError_tT0_T1_T2_jT3_P12ihipStream_tbPNSt15iterator_traitsISK_E10value_typeEPNSQ_ISL_E10value_typeEPSM_NS1_7vsmem_tEENKUlT_SK_SL_SM_E_clIPsSE_SF_SF_EESJ_SZ_SK_SL_SM_EUlSZ_E0_NS1_11comp_targetILNS1_3genE8ELNS1_11target_archE1030ELNS1_3gpuE2ELNS1_3repE0EEENS1_38merge_mergepath_config_static_selectorELNS0_4arch9wavefront6targetE1EEEvSL_
; %bb.0:
	.section	.rodata,"a",@progbits
	.p2align	6, 0x0
	.amdhsa_kernel _ZN7rocprim17ROCPRIM_400000_NS6detail17trampoline_kernelINS0_14default_configENS1_38merge_sort_block_merge_config_selectorIsNS0_10empty_typeEEEZZNS1_27merge_sort_block_merge_implIS3_N6thrust23THRUST_200600_302600_NS6detail15normal_iteratorINS9_10device_ptrIsEEEEPS5_jNS1_19radix_merge_compareILb0ELb1EsNS0_19identity_decomposerEEEEE10hipError_tT0_T1_T2_jT3_P12ihipStream_tbPNSt15iterator_traitsISK_E10value_typeEPNSQ_ISL_E10value_typeEPSM_NS1_7vsmem_tEENKUlT_SK_SL_SM_E_clIPsSE_SF_SF_EESJ_SZ_SK_SL_SM_EUlSZ_E0_NS1_11comp_targetILNS1_3genE8ELNS1_11target_archE1030ELNS1_3gpuE2ELNS1_3repE0EEENS1_38merge_mergepath_config_static_selectorELNS0_4arch9wavefront6targetE1EEEvSL_
		.amdhsa_group_segment_fixed_size 0
		.amdhsa_private_segment_fixed_size 0
		.amdhsa_kernarg_size 64
		.amdhsa_user_sgpr_count 6
		.amdhsa_user_sgpr_private_segment_buffer 1
		.amdhsa_user_sgpr_dispatch_ptr 0
		.amdhsa_user_sgpr_queue_ptr 0
		.amdhsa_user_sgpr_kernarg_segment_ptr 1
		.amdhsa_user_sgpr_dispatch_id 0
		.amdhsa_user_sgpr_flat_scratch_init 0
		.amdhsa_user_sgpr_kernarg_preload_length 0
		.amdhsa_user_sgpr_kernarg_preload_offset 0
		.amdhsa_user_sgpr_private_segment_size 0
		.amdhsa_uses_dynamic_stack 0
		.amdhsa_system_sgpr_private_segment_wavefront_offset 0
		.amdhsa_system_sgpr_workgroup_id_x 1
		.amdhsa_system_sgpr_workgroup_id_y 0
		.amdhsa_system_sgpr_workgroup_id_z 0
		.amdhsa_system_sgpr_workgroup_info 0
		.amdhsa_system_vgpr_workitem_id 0
		.amdhsa_next_free_vgpr 1
		.amdhsa_next_free_sgpr 0
		.amdhsa_accum_offset 4
		.amdhsa_reserve_vcc 0
		.amdhsa_reserve_flat_scratch 0
		.amdhsa_float_round_mode_32 0
		.amdhsa_float_round_mode_16_64 0
		.amdhsa_float_denorm_mode_32 3
		.amdhsa_float_denorm_mode_16_64 3
		.amdhsa_dx10_clamp 1
		.amdhsa_ieee_mode 1
		.amdhsa_fp16_overflow 0
		.amdhsa_tg_split 0
		.amdhsa_exception_fp_ieee_invalid_op 0
		.amdhsa_exception_fp_denorm_src 0
		.amdhsa_exception_fp_ieee_div_zero 0
		.amdhsa_exception_fp_ieee_overflow 0
		.amdhsa_exception_fp_ieee_underflow 0
		.amdhsa_exception_fp_ieee_inexact 0
		.amdhsa_exception_int_div_zero 0
	.end_amdhsa_kernel
	.section	.text._ZN7rocprim17ROCPRIM_400000_NS6detail17trampoline_kernelINS0_14default_configENS1_38merge_sort_block_merge_config_selectorIsNS0_10empty_typeEEEZZNS1_27merge_sort_block_merge_implIS3_N6thrust23THRUST_200600_302600_NS6detail15normal_iteratorINS9_10device_ptrIsEEEEPS5_jNS1_19radix_merge_compareILb0ELb1EsNS0_19identity_decomposerEEEEE10hipError_tT0_T1_T2_jT3_P12ihipStream_tbPNSt15iterator_traitsISK_E10value_typeEPNSQ_ISL_E10value_typeEPSM_NS1_7vsmem_tEENKUlT_SK_SL_SM_E_clIPsSE_SF_SF_EESJ_SZ_SK_SL_SM_EUlSZ_E0_NS1_11comp_targetILNS1_3genE8ELNS1_11target_archE1030ELNS1_3gpuE2ELNS1_3repE0EEENS1_38merge_mergepath_config_static_selectorELNS0_4arch9wavefront6targetE1EEEvSL_,"axG",@progbits,_ZN7rocprim17ROCPRIM_400000_NS6detail17trampoline_kernelINS0_14default_configENS1_38merge_sort_block_merge_config_selectorIsNS0_10empty_typeEEEZZNS1_27merge_sort_block_merge_implIS3_N6thrust23THRUST_200600_302600_NS6detail15normal_iteratorINS9_10device_ptrIsEEEEPS5_jNS1_19radix_merge_compareILb0ELb1EsNS0_19identity_decomposerEEEEE10hipError_tT0_T1_T2_jT3_P12ihipStream_tbPNSt15iterator_traitsISK_E10value_typeEPNSQ_ISL_E10value_typeEPSM_NS1_7vsmem_tEENKUlT_SK_SL_SM_E_clIPsSE_SF_SF_EESJ_SZ_SK_SL_SM_EUlSZ_E0_NS1_11comp_targetILNS1_3genE8ELNS1_11target_archE1030ELNS1_3gpuE2ELNS1_3repE0EEENS1_38merge_mergepath_config_static_selectorELNS0_4arch9wavefront6targetE1EEEvSL_,comdat
.Lfunc_end1890:
	.size	_ZN7rocprim17ROCPRIM_400000_NS6detail17trampoline_kernelINS0_14default_configENS1_38merge_sort_block_merge_config_selectorIsNS0_10empty_typeEEEZZNS1_27merge_sort_block_merge_implIS3_N6thrust23THRUST_200600_302600_NS6detail15normal_iteratorINS9_10device_ptrIsEEEEPS5_jNS1_19radix_merge_compareILb0ELb1EsNS0_19identity_decomposerEEEEE10hipError_tT0_T1_T2_jT3_P12ihipStream_tbPNSt15iterator_traitsISK_E10value_typeEPNSQ_ISL_E10value_typeEPSM_NS1_7vsmem_tEENKUlT_SK_SL_SM_E_clIPsSE_SF_SF_EESJ_SZ_SK_SL_SM_EUlSZ_E0_NS1_11comp_targetILNS1_3genE8ELNS1_11target_archE1030ELNS1_3gpuE2ELNS1_3repE0EEENS1_38merge_mergepath_config_static_selectorELNS0_4arch9wavefront6targetE1EEEvSL_, .Lfunc_end1890-_ZN7rocprim17ROCPRIM_400000_NS6detail17trampoline_kernelINS0_14default_configENS1_38merge_sort_block_merge_config_selectorIsNS0_10empty_typeEEEZZNS1_27merge_sort_block_merge_implIS3_N6thrust23THRUST_200600_302600_NS6detail15normal_iteratorINS9_10device_ptrIsEEEEPS5_jNS1_19radix_merge_compareILb0ELb1EsNS0_19identity_decomposerEEEEE10hipError_tT0_T1_T2_jT3_P12ihipStream_tbPNSt15iterator_traitsISK_E10value_typeEPNSQ_ISL_E10value_typeEPSM_NS1_7vsmem_tEENKUlT_SK_SL_SM_E_clIPsSE_SF_SF_EESJ_SZ_SK_SL_SM_EUlSZ_E0_NS1_11comp_targetILNS1_3genE8ELNS1_11target_archE1030ELNS1_3gpuE2ELNS1_3repE0EEENS1_38merge_mergepath_config_static_selectorELNS0_4arch9wavefront6targetE1EEEvSL_
                                        ; -- End function
	.section	.AMDGPU.csdata,"",@progbits
; Kernel info:
; codeLenInByte = 0
; NumSgprs: 4
; NumVgprs: 0
; NumAgprs: 0
; TotalNumVgprs: 0
; ScratchSize: 0
; MemoryBound: 0
; FloatMode: 240
; IeeeMode: 1
; LDSByteSize: 0 bytes/workgroup (compile time only)
; SGPRBlocks: 0
; VGPRBlocks: 0
; NumSGPRsForWavesPerEU: 4
; NumVGPRsForWavesPerEU: 1
; AccumOffset: 4
; Occupancy: 8
; WaveLimiterHint : 0
; COMPUTE_PGM_RSRC2:SCRATCH_EN: 0
; COMPUTE_PGM_RSRC2:USER_SGPR: 6
; COMPUTE_PGM_RSRC2:TRAP_HANDLER: 0
; COMPUTE_PGM_RSRC2:TGID_X_EN: 1
; COMPUTE_PGM_RSRC2:TGID_Y_EN: 0
; COMPUTE_PGM_RSRC2:TGID_Z_EN: 0
; COMPUTE_PGM_RSRC2:TIDIG_COMP_CNT: 0
; COMPUTE_PGM_RSRC3_GFX90A:ACCUM_OFFSET: 0
; COMPUTE_PGM_RSRC3_GFX90A:TG_SPLIT: 0
	.section	.text._ZN7rocprim17ROCPRIM_400000_NS6detail17trampoline_kernelINS0_14default_configENS1_38merge_sort_block_merge_config_selectorIsNS0_10empty_typeEEEZZNS1_27merge_sort_block_merge_implIS3_N6thrust23THRUST_200600_302600_NS6detail15normal_iteratorINS9_10device_ptrIsEEEEPS5_jNS1_19radix_merge_compareILb0ELb1EsNS0_19identity_decomposerEEEEE10hipError_tT0_T1_T2_jT3_P12ihipStream_tbPNSt15iterator_traitsISK_E10value_typeEPNSQ_ISL_E10value_typeEPSM_NS1_7vsmem_tEENKUlT_SK_SL_SM_E_clIPsSE_SF_SF_EESJ_SZ_SK_SL_SM_EUlSZ_E1_NS1_11comp_targetILNS1_3genE0ELNS1_11target_archE4294967295ELNS1_3gpuE0ELNS1_3repE0EEENS1_36merge_oddeven_config_static_selectorELNS0_4arch9wavefront6targetE1EEEvSL_,"axG",@progbits,_ZN7rocprim17ROCPRIM_400000_NS6detail17trampoline_kernelINS0_14default_configENS1_38merge_sort_block_merge_config_selectorIsNS0_10empty_typeEEEZZNS1_27merge_sort_block_merge_implIS3_N6thrust23THRUST_200600_302600_NS6detail15normal_iteratorINS9_10device_ptrIsEEEEPS5_jNS1_19radix_merge_compareILb0ELb1EsNS0_19identity_decomposerEEEEE10hipError_tT0_T1_T2_jT3_P12ihipStream_tbPNSt15iterator_traitsISK_E10value_typeEPNSQ_ISL_E10value_typeEPSM_NS1_7vsmem_tEENKUlT_SK_SL_SM_E_clIPsSE_SF_SF_EESJ_SZ_SK_SL_SM_EUlSZ_E1_NS1_11comp_targetILNS1_3genE0ELNS1_11target_archE4294967295ELNS1_3gpuE0ELNS1_3repE0EEENS1_36merge_oddeven_config_static_selectorELNS0_4arch9wavefront6targetE1EEEvSL_,comdat
	.protected	_ZN7rocprim17ROCPRIM_400000_NS6detail17trampoline_kernelINS0_14default_configENS1_38merge_sort_block_merge_config_selectorIsNS0_10empty_typeEEEZZNS1_27merge_sort_block_merge_implIS3_N6thrust23THRUST_200600_302600_NS6detail15normal_iteratorINS9_10device_ptrIsEEEEPS5_jNS1_19radix_merge_compareILb0ELb1EsNS0_19identity_decomposerEEEEE10hipError_tT0_T1_T2_jT3_P12ihipStream_tbPNSt15iterator_traitsISK_E10value_typeEPNSQ_ISL_E10value_typeEPSM_NS1_7vsmem_tEENKUlT_SK_SL_SM_E_clIPsSE_SF_SF_EESJ_SZ_SK_SL_SM_EUlSZ_E1_NS1_11comp_targetILNS1_3genE0ELNS1_11target_archE4294967295ELNS1_3gpuE0ELNS1_3repE0EEENS1_36merge_oddeven_config_static_selectorELNS0_4arch9wavefront6targetE1EEEvSL_ ; -- Begin function _ZN7rocprim17ROCPRIM_400000_NS6detail17trampoline_kernelINS0_14default_configENS1_38merge_sort_block_merge_config_selectorIsNS0_10empty_typeEEEZZNS1_27merge_sort_block_merge_implIS3_N6thrust23THRUST_200600_302600_NS6detail15normal_iteratorINS9_10device_ptrIsEEEEPS5_jNS1_19radix_merge_compareILb0ELb1EsNS0_19identity_decomposerEEEEE10hipError_tT0_T1_T2_jT3_P12ihipStream_tbPNSt15iterator_traitsISK_E10value_typeEPNSQ_ISL_E10value_typeEPSM_NS1_7vsmem_tEENKUlT_SK_SL_SM_E_clIPsSE_SF_SF_EESJ_SZ_SK_SL_SM_EUlSZ_E1_NS1_11comp_targetILNS1_3genE0ELNS1_11target_archE4294967295ELNS1_3gpuE0ELNS1_3repE0EEENS1_36merge_oddeven_config_static_selectorELNS0_4arch9wavefront6targetE1EEEvSL_
	.globl	_ZN7rocprim17ROCPRIM_400000_NS6detail17trampoline_kernelINS0_14default_configENS1_38merge_sort_block_merge_config_selectorIsNS0_10empty_typeEEEZZNS1_27merge_sort_block_merge_implIS3_N6thrust23THRUST_200600_302600_NS6detail15normal_iteratorINS9_10device_ptrIsEEEEPS5_jNS1_19radix_merge_compareILb0ELb1EsNS0_19identity_decomposerEEEEE10hipError_tT0_T1_T2_jT3_P12ihipStream_tbPNSt15iterator_traitsISK_E10value_typeEPNSQ_ISL_E10value_typeEPSM_NS1_7vsmem_tEENKUlT_SK_SL_SM_E_clIPsSE_SF_SF_EESJ_SZ_SK_SL_SM_EUlSZ_E1_NS1_11comp_targetILNS1_3genE0ELNS1_11target_archE4294967295ELNS1_3gpuE0ELNS1_3repE0EEENS1_36merge_oddeven_config_static_selectorELNS0_4arch9wavefront6targetE1EEEvSL_
	.p2align	8
	.type	_ZN7rocprim17ROCPRIM_400000_NS6detail17trampoline_kernelINS0_14default_configENS1_38merge_sort_block_merge_config_selectorIsNS0_10empty_typeEEEZZNS1_27merge_sort_block_merge_implIS3_N6thrust23THRUST_200600_302600_NS6detail15normal_iteratorINS9_10device_ptrIsEEEEPS5_jNS1_19radix_merge_compareILb0ELb1EsNS0_19identity_decomposerEEEEE10hipError_tT0_T1_T2_jT3_P12ihipStream_tbPNSt15iterator_traitsISK_E10value_typeEPNSQ_ISL_E10value_typeEPSM_NS1_7vsmem_tEENKUlT_SK_SL_SM_E_clIPsSE_SF_SF_EESJ_SZ_SK_SL_SM_EUlSZ_E1_NS1_11comp_targetILNS1_3genE0ELNS1_11target_archE4294967295ELNS1_3gpuE0ELNS1_3repE0EEENS1_36merge_oddeven_config_static_selectorELNS0_4arch9wavefront6targetE1EEEvSL_,@function
_ZN7rocprim17ROCPRIM_400000_NS6detail17trampoline_kernelINS0_14default_configENS1_38merge_sort_block_merge_config_selectorIsNS0_10empty_typeEEEZZNS1_27merge_sort_block_merge_implIS3_N6thrust23THRUST_200600_302600_NS6detail15normal_iteratorINS9_10device_ptrIsEEEEPS5_jNS1_19radix_merge_compareILb0ELb1EsNS0_19identity_decomposerEEEEE10hipError_tT0_T1_T2_jT3_P12ihipStream_tbPNSt15iterator_traitsISK_E10value_typeEPNSQ_ISL_E10value_typeEPSM_NS1_7vsmem_tEENKUlT_SK_SL_SM_E_clIPsSE_SF_SF_EESJ_SZ_SK_SL_SM_EUlSZ_E1_NS1_11comp_targetILNS1_3genE0ELNS1_11target_archE4294967295ELNS1_3gpuE0ELNS1_3repE0EEENS1_36merge_oddeven_config_static_selectorELNS0_4arch9wavefront6targetE1EEEvSL_: ; @_ZN7rocprim17ROCPRIM_400000_NS6detail17trampoline_kernelINS0_14default_configENS1_38merge_sort_block_merge_config_selectorIsNS0_10empty_typeEEEZZNS1_27merge_sort_block_merge_implIS3_N6thrust23THRUST_200600_302600_NS6detail15normal_iteratorINS9_10device_ptrIsEEEEPS5_jNS1_19radix_merge_compareILb0ELb1EsNS0_19identity_decomposerEEEEE10hipError_tT0_T1_T2_jT3_P12ihipStream_tbPNSt15iterator_traitsISK_E10value_typeEPNSQ_ISL_E10value_typeEPSM_NS1_7vsmem_tEENKUlT_SK_SL_SM_E_clIPsSE_SF_SF_EESJ_SZ_SK_SL_SM_EUlSZ_E1_NS1_11comp_targetILNS1_3genE0ELNS1_11target_archE4294967295ELNS1_3gpuE0ELNS1_3repE0EEENS1_36merge_oddeven_config_static_selectorELNS0_4arch9wavefront6targetE1EEEvSL_
; %bb.0:
	.section	.rodata,"a",@progbits
	.p2align	6, 0x0
	.amdhsa_kernel _ZN7rocprim17ROCPRIM_400000_NS6detail17trampoline_kernelINS0_14default_configENS1_38merge_sort_block_merge_config_selectorIsNS0_10empty_typeEEEZZNS1_27merge_sort_block_merge_implIS3_N6thrust23THRUST_200600_302600_NS6detail15normal_iteratorINS9_10device_ptrIsEEEEPS5_jNS1_19radix_merge_compareILb0ELb1EsNS0_19identity_decomposerEEEEE10hipError_tT0_T1_T2_jT3_P12ihipStream_tbPNSt15iterator_traitsISK_E10value_typeEPNSQ_ISL_E10value_typeEPSM_NS1_7vsmem_tEENKUlT_SK_SL_SM_E_clIPsSE_SF_SF_EESJ_SZ_SK_SL_SM_EUlSZ_E1_NS1_11comp_targetILNS1_3genE0ELNS1_11target_archE4294967295ELNS1_3gpuE0ELNS1_3repE0EEENS1_36merge_oddeven_config_static_selectorELNS0_4arch9wavefront6targetE1EEEvSL_
		.amdhsa_group_segment_fixed_size 0
		.amdhsa_private_segment_fixed_size 0
		.amdhsa_kernarg_size 48
		.amdhsa_user_sgpr_count 6
		.amdhsa_user_sgpr_private_segment_buffer 1
		.amdhsa_user_sgpr_dispatch_ptr 0
		.amdhsa_user_sgpr_queue_ptr 0
		.amdhsa_user_sgpr_kernarg_segment_ptr 1
		.amdhsa_user_sgpr_dispatch_id 0
		.amdhsa_user_sgpr_flat_scratch_init 0
		.amdhsa_user_sgpr_kernarg_preload_length 0
		.amdhsa_user_sgpr_kernarg_preload_offset 0
		.amdhsa_user_sgpr_private_segment_size 0
		.amdhsa_uses_dynamic_stack 0
		.amdhsa_system_sgpr_private_segment_wavefront_offset 0
		.amdhsa_system_sgpr_workgroup_id_x 1
		.amdhsa_system_sgpr_workgroup_id_y 0
		.amdhsa_system_sgpr_workgroup_id_z 0
		.amdhsa_system_sgpr_workgroup_info 0
		.amdhsa_system_vgpr_workitem_id 0
		.amdhsa_next_free_vgpr 1
		.amdhsa_next_free_sgpr 0
		.amdhsa_accum_offset 4
		.amdhsa_reserve_vcc 0
		.amdhsa_reserve_flat_scratch 0
		.amdhsa_float_round_mode_32 0
		.amdhsa_float_round_mode_16_64 0
		.amdhsa_float_denorm_mode_32 3
		.amdhsa_float_denorm_mode_16_64 3
		.amdhsa_dx10_clamp 1
		.amdhsa_ieee_mode 1
		.amdhsa_fp16_overflow 0
		.amdhsa_tg_split 0
		.amdhsa_exception_fp_ieee_invalid_op 0
		.amdhsa_exception_fp_denorm_src 0
		.amdhsa_exception_fp_ieee_div_zero 0
		.amdhsa_exception_fp_ieee_overflow 0
		.amdhsa_exception_fp_ieee_underflow 0
		.amdhsa_exception_fp_ieee_inexact 0
		.amdhsa_exception_int_div_zero 0
	.end_amdhsa_kernel
	.section	.text._ZN7rocprim17ROCPRIM_400000_NS6detail17trampoline_kernelINS0_14default_configENS1_38merge_sort_block_merge_config_selectorIsNS0_10empty_typeEEEZZNS1_27merge_sort_block_merge_implIS3_N6thrust23THRUST_200600_302600_NS6detail15normal_iteratorINS9_10device_ptrIsEEEEPS5_jNS1_19radix_merge_compareILb0ELb1EsNS0_19identity_decomposerEEEEE10hipError_tT0_T1_T2_jT3_P12ihipStream_tbPNSt15iterator_traitsISK_E10value_typeEPNSQ_ISL_E10value_typeEPSM_NS1_7vsmem_tEENKUlT_SK_SL_SM_E_clIPsSE_SF_SF_EESJ_SZ_SK_SL_SM_EUlSZ_E1_NS1_11comp_targetILNS1_3genE0ELNS1_11target_archE4294967295ELNS1_3gpuE0ELNS1_3repE0EEENS1_36merge_oddeven_config_static_selectorELNS0_4arch9wavefront6targetE1EEEvSL_,"axG",@progbits,_ZN7rocprim17ROCPRIM_400000_NS6detail17trampoline_kernelINS0_14default_configENS1_38merge_sort_block_merge_config_selectorIsNS0_10empty_typeEEEZZNS1_27merge_sort_block_merge_implIS3_N6thrust23THRUST_200600_302600_NS6detail15normal_iteratorINS9_10device_ptrIsEEEEPS5_jNS1_19radix_merge_compareILb0ELb1EsNS0_19identity_decomposerEEEEE10hipError_tT0_T1_T2_jT3_P12ihipStream_tbPNSt15iterator_traitsISK_E10value_typeEPNSQ_ISL_E10value_typeEPSM_NS1_7vsmem_tEENKUlT_SK_SL_SM_E_clIPsSE_SF_SF_EESJ_SZ_SK_SL_SM_EUlSZ_E1_NS1_11comp_targetILNS1_3genE0ELNS1_11target_archE4294967295ELNS1_3gpuE0ELNS1_3repE0EEENS1_36merge_oddeven_config_static_selectorELNS0_4arch9wavefront6targetE1EEEvSL_,comdat
.Lfunc_end1891:
	.size	_ZN7rocprim17ROCPRIM_400000_NS6detail17trampoline_kernelINS0_14default_configENS1_38merge_sort_block_merge_config_selectorIsNS0_10empty_typeEEEZZNS1_27merge_sort_block_merge_implIS3_N6thrust23THRUST_200600_302600_NS6detail15normal_iteratorINS9_10device_ptrIsEEEEPS5_jNS1_19radix_merge_compareILb0ELb1EsNS0_19identity_decomposerEEEEE10hipError_tT0_T1_T2_jT3_P12ihipStream_tbPNSt15iterator_traitsISK_E10value_typeEPNSQ_ISL_E10value_typeEPSM_NS1_7vsmem_tEENKUlT_SK_SL_SM_E_clIPsSE_SF_SF_EESJ_SZ_SK_SL_SM_EUlSZ_E1_NS1_11comp_targetILNS1_3genE0ELNS1_11target_archE4294967295ELNS1_3gpuE0ELNS1_3repE0EEENS1_36merge_oddeven_config_static_selectorELNS0_4arch9wavefront6targetE1EEEvSL_, .Lfunc_end1891-_ZN7rocprim17ROCPRIM_400000_NS6detail17trampoline_kernelINS0_14default_configENS1_38merge_sort_block_merge_config_selectorIsNS0_10empty_typeEEEZZNS1_27merge_sort_block_merge_implIS3_N6thrust23THRUST_200600_302600_NS6detail15normal_iteratorINS9_10device_ptrIsEEEEPS5_jNS1_19radix_merge_compareILb0ELb1EsNS0_19identity_decomposerEEEEE10hipError_tT0_T1_T2_jT3_P12ihipStream_tbPNSt15iterator_traitsISK_E10value_typeEPNSQ_ISL_E10value_typeEPSM_NS1_7vsmem_tEENKUlT_SK_SL_SM_E_clIPsSE_SF_SF_EESJ_SZ_SK_SL_SM_EUlSZ_E1_NS1_11comp_targetILNS1_3genE0ELNS1_11target_archE4294967295ELNS1_3gpuE0ELNS1_3repE0EEENS1_36merge_oddeven_config_static_selectorELNS0_4arch9wavefront6targetE1EEEvSL_
                                        ; -- End function
	.section	.AMDGPU.csdata,"",@progbits
; Kernel info:
; codeLenInByte = 0
; NumSgprs: 4
; NumVgprs: 0
; NumAgprs: 0
; TotalNumVgprs: 0
; ScratchSize: 0
; MemoryBound: 0
; FloatMode: 240
; IeeeMode: 1
; LDSByteSize: 0 bytes/workgroup (compile time only)
; SGPRBlocks: 0
; VGPRBlocks: 0
; NumSGPRsForWavesPerEU: 4
; NumVGPRsForWavesPerEU: 1
; AccumOffset: 4
; Occupancy: 8
; WaveLimiterHint : 0
; COMPUTE_PGM_RSRC2:SCRATCH_EN: 0
; COMPUTE_PGM_RSRC2:USER_SGPR: 6
; COMPUTE_PGM_RSRC2:TRAP_HANDLER: 0
; COMPUTE_PGM_RSRC2:TGID_X_EN: 1
; COMPUTE_PGM_RSRC2:TGID_Y_EN: 0
; COMPUTE_PGM_RSRC2:TGID_Z_EN: 0
; COMPUTE_PGM_RSRC2:TIDIG_COMP_CNT: 0
; COMPUTE_PGM_RSRC3_GFX90A:ACCUM_OFFSET: 0
; COMPUTE_PGM_RSRC3_GFX90A:TG_SPLIT: 0
	.section	.text._ZN7rocprim17ROCPRIM_400000_NS6detail17trampoline_kernelINS0_14default_configENS1_38merge_sort_block_merge_config_selectorIsNS0_10empty_typeEEEZZNS1_27merge_sort_block_merge_implIS3_N6thrust23THRUST_200600_302600_NS6detail15normal_iteratorINS9_10device_ptrIsEEEEPS5_jNS1_19radix_merge_compareILb0ELb1EsNS0_19identity_decomposerEEEEE10hipError_tT0_T1_T2_jT3_P12ihipStream_tbPNSt15iterator_traitsISK_E10value_typeEPNSQ_ISL_E10value_typeEPSM_NS1_7vsmem_tEENKUlT_SK_SL_SM_E_clIPsSE_SF_SF_EESJ_SZ_SK_SL_SM_EUlSZ_E1_NS1_11comp_targetILNS1_3genE10ELNS1_11target_archE1201ELNS1_3gpuE5ELNS1_3repE0EEENS1_36merge_oddeven_config_static_selectorELNS0_4arch9wavefront6targetE1EEEvSL_,"axG",@progbits,_ZN7rocprim17ROCPRIM_400000_NS6detail17trampoline_kernelINS0_14default_configENS1_38merge_sort_block_merge_config_selectorIsNS0_10empty_typeEEEZZNS1_27merge_sort_block_merge_implIS3_N6thrust23THRUST_200600_302600_NS6detail15normal_iteratorINS9_10device_ptrIsEEEEPS5_jNS1_19radix_merge_compareILb0ELb1EsNS0_19identity_decomposerEEEEE10hipError_tT0_T1_T2_jT3_P12ihipStream_tbPNSt15iterator_traitsISK_E10value_typeEPNSQ_ISL_E10value_typeEPSM_NS1_7vsmem_tEENKUlT_SK_SL_SM_E_clIPsSE_SF_SF_EESJ_SZ_SK_SL_SM_EUlSZ_E1_NS1_11comp_targetILNS1_3genE10ELNS1_11target_archE1201ELNS1_3gpuE5ELNS1_3repE0EEENS1_36merge_oddeven_config_static_selectorELNS0_4arch9wavefront6targetE1EEEvSL_,comdat
	.protected	_ZN7rocprim17ROCPRIM_400000_NS6detail17trampoline_kernelINS0_14default_configENS1_38merge_sort_block_merge_config_selectorIsNS0_10empty_typeEEEZZNS1_27merge_sort_block_merge_implIS3_N6thrust23THRUST_200600_302600_NS6detail15normal_iteratorINS9_10device_ptrIsEEEEPS5_jNS1_19radix_merge_compareILb0ELb1EsNS0_19identity_decomposerEEEEE10hipError_tT0_T1_T2_jT3_P12ihipStream_tbPNSt15iterator_traitsISK_E10value_typeEPNSQ_ISL_E10value_typeEPSM_NS1_7vsmem_tEENKUlT_SK_SL_SM_E_clIPsSE_SF_SF_EESJ_SZ_SK_SL_SM_EUlSZ_E1_NS1_11comp_targetILNS1_3genE10ELNS1_11target_archE1201ELNS1_3gpuE5ELNS1_3repE0EEENS1_36merge_oddeven_config_static_selectorELNS0_4arch9wavefront6targetE1EEEvSL_ ; -- Begin function _ZN7rocprim17ROCPRIM_400000_NS6detail17trampoline_kernelINS0_14default_configENS1_38merge_sort_block_merge_config_selectorIsNS0_10empty_typeEEEZZNS1_27merge_sort_block_merge_implIS3_N6thrust23THRUST_200600_302600_NS6detail15normal_iteratorINS9_10device_ptrIsEEEEPS5_jNS1_19radix_merge_compareILb0ELb1EsNS0_19identity_decomposerEEEEE10hipError_tT0_T1_T2_jT3_P12ihipStream_tbPNSt15iterator_traitsISK_E10value_typeEPNSQ_ISL_E10value_typeEPSM_NS1_7vsmem_tEENKUlT_SK_SL_SM_E_clIPsSE_SF_SF_EESJ_SZ_SK_SL_SM_EUlSZ_E1_NS1_11comp_targetILNS1_3genE10ELNS1_11target_archE1201ELNS1_3gpuE5ELNS1_3repE0EEENS1_36merge_oddeven_config_static_selectorELNS0_4arch9wavefront6targetE1EEEvSL_
	.globl	_ZN7rocprim17ROCPRIM_400000_NS6detail17trampoline_kernelINS0_14default_configENS1_38merge_sort_block_merge_config_selectorIsNS0_10empty_typeEEEZZNS1_27merge_sort_block_merge_implIS3_N6thrust23THRUST_200600_302600_NS6detail15normal_iteratorINS9_10device_ptrIsEEEEPS5_jNS1_19radix_merge_compareILb0ELb1EsNS0_19identity_decomposerEEEEE10hipError_tT0_T1_T2_jT3_P12ihipStream_tbPNSt15iterator_traitsISK_E10value_typeEPNSQ_ISL_E10value_typeEPSM_NS1_7vsmem_tEENKUlT_SK_SL_SM_E_clIPsSE_SF_SF_EESJ_SZ_SK_SL_SM_EUlSZ_E1_NS1_11comp_targetILNS1_3genE10ELNS1_11target_archE1201ELNS1_3gpuE5ELNS1_3repE0EEENS1_36merge_oddeven_config_static_selectorELNS0_4arch9wavefront6targetE1EEEvSL_
	.p2align	8
	.type	_ZN7rocprim17ROCPRIM_400000_NS6detail17trampoline_kernelINS0_14default_configENS1_38merge_sort_block_merge_config_selectorIsNS0_10empty_typeEEEZZNS1_27merge_sort_block_merge_implIS3_N6thrust23THRUST_200600_302600_NS6detail15normal_iteratorINS9_10device_ptrIsEEEEPS5_jNS1_19radix_merge_compareILb0ELb1EsNS0_19identity_decomposerEEEEE10hipError_tT0_T1_T2_jT3_P12ihipStream_tbPNSt15iterator_traitsISK_E10value_typeEPNSQ_ISL_E10value_typeEPSM_NS1_7vsmem_tEENKUlT_SK_SL_SM_E_clIPsSE_SF_SF_EESJ_SZ_SK_SL_SM_EUlSZ_E1_NS1_11comp_targetILNS1_3genE10ELNS1_11target_archE1201ELNS1_3gpuE5ELNS1_3repE0EEENS1_36merge_oddeven_config_static_selectorELNS0_4arch9wavefront6targetE1EEEvSL_,@function
_ZN7rocprim17ROCPRIM_400000_NS6detail17trampoline_kernelINS0_14default_configENS1_38merge_sort_block_merge_config_selectorIsNS0_10empty_typeEEEZZNS1_27merge_sort_block_merge_implIS3_N6thrust23THRUST_200600_302600_NS6detail15normal_iteratorINS9_10device_ptrIsEEEEPS5_jNS1_19radix_merge_compareILb0ELb1EsNS0_19identity_decomposerEEEEE10hipError_tT0_T1_T2_jT3_P12ihipStream_tbPNSt15iterator_traitsISK_E10value_typeEPNSQ_ISL_E10value_typeEPSM_NS1_7vsmem_tEENKUlT_SK_SL_SM_E_clIPsSE_SF_SF_EESJ_SZ_SK_SL_SM_EUlSZ_E1_NS1_11comp_targetILNS1_3genE10ELNS1_11target_archE1201ELNS1_3gpuE5ELNS1_3repE0EEENS1_36merge_oddeven_config_static_selectorELNS0_4arch9wavefront6targetE1EEEvSL_: ; @_ZN7rocprim17ROCPRIM_400000_NS6detail17trampoline_kernelINS0_14default_configENS1_38merge_sort_block_merge_config_selectorIsNS0_10empty_typeEEEZZNS1_27merge_sort_block_merge_implIS3_N6thrust23THRUST_200600_302600_NS6detail15normal_iteratorINS9_10device_ptrIsEEEEPS5_jNS1_19radix_merge_compareILb0ELb1EsNS0_19identity_decomposerEEEEE10hipError_tT0_T1_T2_jT3_P12ihipStream_tbPNSt15iterator_traitsISK_E10value_typeEPNSQ_ISL_E10value_typeEPSM_NS1_7vsmem_tEENKUlT_SK_SL_SM_E_clIPsSE_SF_SF_EESJ_SZ_SK_SL_SM_EUlSZ_E1_NS1_11comp_targetILNS1_3genE10ELNS1_11target_archE1201ELNS1_3gpuE5ELNS1_3repE0EEENS1_36merge_oddeven_config_static_selectorELNS0_4arch9wavefront6targetE1EEEvSL_
; %bb.0:
	.section	.rodata,"a",@progbits
	.p2align	6, 0x0
	.amdhsa_kernel _ZN7rocprim17ROCPRIM_400000_NS6detail17trampoline_kernelINS0_14default_configENS1_38merge_sort_block_merge_config_selectorIsNS0_10empty_typeEEEZZNS1_27merge_sort_block_merge_implIS3_N6thrust23THRUST_200600_302600_NS6detail15normal_iteratorINS9_10device_ptrIsEEEEPS5_jNS1_19radix_merge_compareILb0ELb1EsNS0_19identity_decomposerEEEEE10hipError_tT0_T1_T2_jT3_P12ihipStream_tbPNSt15iterator_traitsISK_E10value_typeEPNSQ_ISL_E10value_typeEPSM_NS1_7vsmem_tEENKUlT_SK_SL_SM_E_clIPsSE_SF_SF_EESJ_SZ_SK_SL_SM_EUlSZ_E1_NS1_11comp_targetILNS1_3genE10ELNS1_11target_archE1201ELNS1_3gpuE5ELNS1_3repE0EEENS1_36merge_oddeven_config_static_selectorELNS0_4arch9wavefront6targetE1EEEvSL_
		.amdhsa_group_segment_fixed_size 0
		.amdhsa_private_segment_fixed_size 0
		.amdhsa_kernarg_size 48
		.amdhsa_user_sgpr_count 6
		.amdhsa_user_sgpr_private_segment_buffer 1
		.amdhsa_user_sgpr_dispatch_ptr 0
		.amdhsa_user_sgpr_queue_ptr 0
		.amdhsa_user_sgpr_kernarg_segment_ptr 1
		.amdhsa_user_sgpr_dispatch_id 0
		.amdhsa_user_sgpr_flat_scratch_init 0
		.amdhsa_user_sgpr_kernarg_preload_length 0
		.amdhsa_user_sgpr_kernarg_preload_offset 0
		.amdhsa_user_sgpr_private_segment_size 0
		.amdhsa_uses_dynamic_stack 0
		.amdhsa_system_sgpr_private_segment_wavefront_offset 0
		.amdhsa_system_sgpr_workgroup_id_x 1
		.amdhsa_system_sgpr_workgroup_id_y 0
		.amdhsa_system_sgpr_workgroup_id_z 0
		.amdhsa_system_sgpr_workgroup_info 0
		.amdhsa_system_vgpr_workitem_id 0
		.amdhsa_next_free_vgpr 1
		.amdhsa_next_free_sgpr 0
		.amdhsa_accum_offset 4
		.amdhsa_reserve_vcc 0
		.amdhsa_reserve_flat_scratch 0
		.amdhsa_float_round_mode_32 0
		.amdhsa_float_round_mode_16_64 0
		.amdhsa_float_denorm_mode_32 3
		.amdhsa_float_denorm_mode_16_64 3
		.amdhsa_dx10_clamp 1
		.amdhsa_ieee_mode 1
		.amdhsa_fp16_overflow 0
		.amdhsa_tg_split 0
		.amdhsa_exception_fp_ieee_invalid_op 0
		.amdhsa_exception_fp_denorm_src 0
		.amdhsa_exception_fp_ieee_div_zero 0
		.amdhsa_exception_fp_ieee_overflow 0
		.amdhsa_exception_fp_ieee_underflow 0
		.amdhsa_exception_fp_ieee_inexact 0
		.amdhsa_exception_int_div_zero 0
	.end_amdhsa_kernel
	.section	.text._ZN7rocprim17ROCPRIM_400000_NS6detail17trampoline_kernelINS0_14default_configENS1_38merge_sort_block_merge_config_selectorIsNS0_10empty_typeEEEZZNS1_27merge_sort_block_merge_implIS3_N6thrust23THRUST_200600_302600_NS6detail15normal_iteratorINS9_10device_ptrIsEEEEPS5_jNS1_19radix_merge_compareILb0ELb1EsNS0_19identity_decomposerEEEEE10hipError_tT0_T1_T2_jT3_P12ihipStream_tbPNSt15iterator_traitsISK_E10value_typeEPNSQ_ISL_E10value_typeEPSM_NS1_7vsmem_tEENKUlT_SK_SL_SM_E_clIPsSE_SF_SF_EESJ_SZ_SK_SL_SM_EUlSZ_E1_NS1_11comp_targetILNS1_3genE10ELNS1_11target_archE1201ELNS1_3gpuE5ELNS1_3repE0EEENS1_36merge_oddeven_config_static_selectorELNS0_4arch9wavefront6targetE1EEEvSL_,"axG",@progbits,_ZN7rocprim17ROCPRIM_400000_NS6detail17trampoline_kernelINS0_14default_configENS1_38merge_sort_block_merge_config_selectorIsNS0_10empty_typeEEEZZNS1_27merge_sort_block_merge_implIS3_N6thrust23THRUST_200600_302600_NS6detail15normal_iteratorINS9_10device_ptrIsEEEEPS5_jNS1_19radix_merge_compareILb0ELb1EsNS0_19identity_decomposerEEEEE10hipError_tT0_T1_T2_jT3_P12ihipStream_tbPNSt15iterator_traitsISK_E10value_typeEPNSQ_ISL_E10value_typeEPSM_NS1_7vsmem_tEENKUlT_SK_SL_SM_E_clIPsSE_SF_SF_EESJ_SZ_SK_SL_SM_EUlSZ_E1_NS1_11comp_targetILNS1_3genE10ELNS1_11target_archE1201ELNS1_3gpuE5ELNS1_3repE0EEENS1_36merge_oddeven_config_static_selectorELNS0_4arch9wavefront6targetE1EEEvSL_,comdat
.Lfunc_end1892:
	.size	_ZN7rocprim17ROCPRIM_400000_NS6detail17trampoline_kernelINS0_14default_configENS1_38merge_sort_block_merge_config_selectorIsNS0_10empty_typeEEEZZNS1_27merge_sort_block_merge_implIS3_N6thrust23THRUST_200600_302600_NS6detail15normal_iteratorINS9_10device_ptrIsEEEEPS5_jNS1_19radix_merge_compareILb0ELb1EsNS0_19identity_decomposerEEEEE10hipError_tT0_T1_T2_jT3_P12ihipStream_tbPNSt15iterator_traitsISK_E10value_typeEPNSQ_ISL_E10value_typeEPSM_NS1_7vsmem_tEENKUlT_SK_SL_SM_E_clIPsSE_SF_SF_EESJ_SZ_SK_SL_SM_EUlSZ_E1_NS1_11comp_targetILNS1_3genE10ELNS1_11target_archE1201ELNS1_3gpuE5ELNS1_3repE0EEENS1_36merge_oddeven_config_static_selectorELNS0_4arch9wavefront6targetE1EEEvSL_, .Lfunc_end1892-_ZN7rocprim17ROCPRIM_400000_NS6detail17trampoline_kernelINS0_14default_configENS1_38merge_sort_block_merge_config_selectorIsNS0_10empty_typeEEEZZNS1_27merge_sort_block_merge_implIS3_N6thrust23THRUST_200600_302600_NS6detail15normal_iteratorINS9_10device_ptrIsEEEEPS5_jNS1_19radix_merge_compareILb0ELb1EsNS0_19identity_decomposerEEEEE10hipError_tT0_T1_T2_jT3_P12ihipStream_tbPNSt15iterator_traitsISK_E10value_typeEPNSQ_ISL_E10value_typeEPSM_NS1_7vsmem_tEENKUlT_SK_SL_SM_E_clIPsSE_SF_SF_EESJ_SZ_SK_SL_SM_EUlSZ_E1_NS1_11comp_targetILNS1_3genE10ELNS1_11target_archE1201ELNS1_3gpuE5ELNS1_3repE0EEENS1_36merge_oddeven_config_static_selectorELNS0_4arch9wavefront6targetE1EEEvSL_
                                        ; -- End function
	.section	.AMDGPU.csdata,"",@progbits
; Kernel info:
; codeLenInByte = 0
; NumSgprs: 4
; NumVgprs: 0
; NumAgprs: 0
; TotalNumVgprs: 0
; ScratchSize: 0
; MemoryBound: 0
; FloatMode: 240
; IeeeMode: 1
; LDSByteSize: 0 bytes/workgroup (compile time only)
; SGPRBlocks: 0
; VGPRBlocks: 0
; NumSGPRsForWavesPerEU: 4
; NumVGPRsForWavesPerEU: 1
; AccumOffset: 4
; Occupancy: 8
; WaveLimiterHint : 0
; COMPUTE_PGM_RSRC2:SCRATCH_EN: 0
; COMPUTE_PGM_RSRC2:USER_SGPR: 6
; COMPUTE_PGM_RSRC2:TRAP_HANDLER: 0
; COMPUTE_PGM_RSRC2:TGID_X_EN: 1
; COMPUTE_PGM_RSRC2:TGID_Y_EN: 0
; COMPUTE_PGM_RSRC2:TGID_Z_EN: 0
; COMPUTE_PGM_RSRC2:TIDIG_COMP_CNT: 0
; COMPUTE_PGM_RSRC3_GFX90A:ACCUM_OFFSET: 0
; COMPUTE_PGM_RSRC3_GFX90A:TG_SPLIT: 0
	.section	.text._ZN7rocprim17ROCPRIM_400000_NS6detail17trampoline_kernelINS0_14default_configENS1_38merge_sort_block_merge_config_selectorIsNS0_10empty_typeEEEZZNS1_27merge_sort_block_merge_implIS3_N6thrust23THRUST_200600_302600_NS6detail15normal_iteratorINS9_10device_ptrIsEEEEPS5_jNS1_19radix_merge_compareILb0ELb1EsNS0_19identity_decomposerEEEEE10hipError_tT0_T1_T2_jT3_P12ihipStream_tbPNSt15iterator_traitsISK_E10value_typeEPNSQ_ISL_E10value_typeEPSM_NS1_7vsmem_tEENKUlT_SK_SL_SM_E_clIPsSE_SF_SF_EESJ_SZ_SK_SL_SM_EUlSZ_E1_NS1_11comp_targetILNS1_3genE5ELNS1_11target_archE942ELNS1_3gpuE9ELNS1_3repE0EEENS1_36merge_oddeven_config_static_selectorELNS0_4arch9wavefront6targetE1EEEvSL_,"axG",@progbits,_ZN7rocprim17ROCPRIM_400000_NS6detail17trampoline_kernelINS0_14default_configENS1_38merge_sort_block_merge_config_selectorIsNS0_10empty_typeEEEZZNS1_27merge_sort_block_merge_implIS3_N6thrust23THRUST_200600_302600_NS6detail15normal_iteratorINS9_10device_ptrIsEEEEPS5_jNS1_19radix_merge_compareILb0ELb1EsNS0_19identity_decomposerEEEEE10hipError_tT0_T1_T2_jT3_P12ihipStream_tbPNSt15iterator_traitsISK_E10value_typeEPNSQ_ISL_E10value_typeEPSM_NS1_7vsmem_tEENKUlT_SK_SL_SM_E_clIPsSE_SF_SF_EESJ_SZ_SK_SL_SM_EUlSZ_E1_NS1_11comp_targetILNS1_3genE5ELNS1_11target_archE942ELNS1_3gpuE9ELNS1_3repE0EEENS1_36merge_oddeven_config_static_selectorELNS0_4arch9wavefront6targetE1EEEvSL_,comdat
	.protected	_ZN7rocprim17ROCPRIM_400000_NS6detail17trampoline_kernelINS0_14default_configENS1_38merge_sort_block_merge_config_selectorIsNS0_10empty_typeEEEZZNS1_27merge_sort_block_merge_implIS3_N6thrust23THRUST_200600_302600_NS6detail15normal_iteratorINS9_10device_ptrIsEEEEPS5_jNS1_19radix_merge_compareILb0ELb1EsNS0_19identity_decomposerEEEEE10hipError_tT0_T1_T2_jT3_P12ihipStream_tbPNSt15iterator_traitsISK_E10value_typeEPNSQ_ISL_E10value_typeEPSM_NS1_7vsmem_tEENKUlT_SK_SL_SM_E_clIPsSE_SF_SF_EESJ_SZ_SK_SL_SM_EUlSZ_E1_NS1_11comp_targetILNS1_3genE5ELNS1_11target_archE942ELNS1_3gpuE9ELNS1_3repE0EEENS1_36merge_oddeven_config_static_selectorELNS0_4arch9wavefront6targetE1EEEvSL_ ; -- Begin function _ZN7rocprim17ROCPRIM_400000_NS6detail17trampoline_kernelINS0_14default_configENS1_38merge_sort_block_merge_config_selectorIsNS0_10empty_typeEEEZZNS1_27merge_sort_block_merge_implIS3_N6thrust23THRUST_200600_302600_NS6detail15normal_iteratorINS9_10device_ptrIsEEEEPS5_jNS1_19radix_merge_compareILb0ELb1EsNS0_19identity_decomposerEEEEE10hipError_tT0_T1_T2_jT3_P12ihipStream_tbPNSt15iterator_traitsISK_E10value_typeEPNSQ_ISL_E10value_typeEPSM_NS1_7vsmem_tEENKUlT_SK_SL_SM_E_clIPsSE_SF_SF_EESJ_SZ_SK_SL_SM_EUlSZ_E1_NS1_11comp_targetILNS1_3genE5ELNS1_11target_archE942ELNS1_3gpuE9ELNS1_3repE0EEENS1_36merge_oddeven_config_static_selectorELNS0_4arch9wavefront6targetE1EEEvSL_
	.globl	_ZN7rocprim17ROCPRIM_400000_NS6detail17trampoline_kernelINS0_14default_configENS1_38merge_sort_block_merge_config_selectorIsNS0_10empty_typeEEEZZNS1_27merge_sort_block_merge_implIS3_N6thrust23THRUST_200600_302600_NS6detail15normal_iteratorINS9_10device_ptrIsEEEEPS5_jNS1_19radix_merge_compareILb0ELb1EsNS0_19identity_decomposerEEEEE10hipError_tT0_T1_T2_jT3_P12ihipStream_tbPNSt15iterator_traitsISK_E10value_typeEPNSQ_ISL_E10value_typeEPSM_NS1_7vsmem_tEENKUlT_SK_SL_SM_E_clIPsSE_SF_SF_EESJ_SZ_SK_SL_SM_EUlSZ_E1_NS1_11comp_targetILNS1_3genE5ELNS1_11target_archE942ELNS1_3gpuE9ELNS1_3repE0EEENS1_36merge_oddeven_config_static_selectorELNS0_4arch9wavefront6targetE1EEEvSL_
	.p2align	8
	.type	_ZN7rocprim17ROCPRIM_400000_NS6detail17trampoline_kernelINS0_14default_configENS1_38merge_sort_block_merge_config_selectorIsNS0_10empty_typeEEEZZNS1_27merge_sort_block_merge_implIS3_N6thrust23THRUST_200600_302600_NS6detail15normal_iteratorINS9_10device_ptrIsEEEEPS5_jNS1_19radix_merge_compareILb0ELb1EsNS0_19identity_decomposerEEEEE10hipError_tT0_T1_T2_jT3_P12ihipStream_tbPNSt15iterator_traitsISK_E10value_typeEPNSQ_ISL_E10value_typeEPSM_NS1_7vsmem_tEENKUlT_SK_SL_SM_E_clIPsSE_SF_SF_EESJ_SZ_SK_SL_SM_EUlSZ_E1_NS1_11comp_targetILNS1_3genE5ELNS1_11target_archE942ELNS1_3gpuE9ELNS1_3repE0EEENS1_36merge_oddeven_config_static_selectorELNS0_4arch9wavefront6targetE1EEEvSL_,@function
_ZN7rocprim17ROCPRIM_400000_NS6detail17trampoline_kernelINS0_14default_configENS1_38merge_sort_block_merge_config_selectorIsNS0_10empty_typeEEEZZNS1_27merge_sort_block_merge_implIS3_N6thrust23THRUST_200600_302600_NS6detail15normal_iteratorINS9_10device_ptrIsEEEEPS5_jNS1_19radix_merge_compareILb0ELb1EsNS0_19identity_decomposerEEEEE10hipError_tT0_T1_T2_jT3_P12ihipStream_tbPNSt15iterator_traitsISK_E10value_typeEPNSQ_ISL_E10value_typeEPSM_NS1_7vsmem_tEENKUlT_SK_SL_SM_E_clIPsSE_SF_SF_EESJ_SZ_SK_SL_SM_EUlSZ_E1_NS1_11comp_targetILNS1_3genE5ELNS1_11target_archE942ELNS1_3gpuE9ELNS1_3repE0EEENS1_36merge_oddeven_config_static_selectorELNS0_4arch9wavefront6targetE1EEEvSL_: ; @_ZN7rocprim17ROCPRIM_400000_NS6detail17trampoline_kernelINS0_14default_configENS1_38merge_sort_block_merge_config_selectorIsNS0_10empty_typeEEEZZNS1_27merge_sort_block_merge_implIS3_N6thrust23THRUST_200600_302600_NS6detail15normal_iteratorINS9_10device_ptrIsEEEEPS5_jNS1_19radix_merge_compareILb0ELb1EsNS0_19identity_decomposerEEEEE10hipError_tT0_T1_T2_jT3_P12ihipStream_tbPNSt15iterator_traitsISK_E10value_typeEPNSQ_ISL_E10value_typeEPSM_NS1_7vsmem_tEENKUlT_SK_SL_SM_E_clIPsSE_SF_SF_EESJ_SZ_SK_SL_SM_EUlSZ_E1_NS1_11comp_targetILNS1_3genE5ELNS1_11target_archE942ELNS1_3gpuE9ELNS1_3repE0EEENS1_36merge_oddeven_config_static_selectorELNS0_4arch9wavefront6targetE1EEEvSL_
; %bb.0:
	.section	.rodata,"a",@progbits
	.p2align	6, 0x0
	.amdhsa_kernel _ZN7rocprim17ROCPRIM_400000_NS6detail17trampoline_kernelINS0_14default_configENS1_38merge_sort_block_merge_config_selectorIsNS0_10empty_typeEEEZZNS1_27merge_sort_block_merge_implIS3_N6thrust23THRUST_200600_302600_NS6detail15normal_iteratorINS9_10device_ptrIsEEEEPS5_jNS1_19radix_merge_compareILb0ELb1EsNS0_19identity_decomposerEEEEE10hipError_tT0_T1_T2_jT3_P12ihipStream_tbPNSt15iterator_traitsISK_E10value_typeEPNSQ_ISL_E10value_typeEPSM_NS1_7vsmem_tEENKUlT_SK_SL_SM_E_clIPsSE_SF_SF_EESJ_SZ_SK_SL_SM_EUlSZ_E1_NS1_11comp_targetILNS1_3genE5ELNS1_11target_archE942ELNS1_3gpuE9ELNS1_3repE0EEENS1_36merge_oddeven_config_static_selectorELNS0_4arch9wavefront6targetE1EEEvSL_
		.amdhsa_group_segment_fixed_size 0
		.amdhsa_private_segment_fixed_size 0
		.amdhsa_kernarg_size 48
		.amdhsa_user_sgpr_count 6
		.amdhsa_user_sgpr_private_segment_buffer 1
		.amdhsa_user_sgpr_dispatch_ptr 0
		.amdhsa_user_sgpr_queue_ptr 0
		.amdhsa_user_sgpr_kernarg_segment_ptr 1
		.amdhsa_user_sgpr_dispatch_id 0
		.amdhsa_user_sgpr_flat_scratch_init 0
		.amdhsa_user_sgpr_kernarg_preload_length 0
		.amdhsa_user_sgpr_kernarg_preload_offset 0
		.amdhsa_user_sgpr_private_segment_size 0
		.amdhsa_uses_dynamic_stack 0
		.amdhsa_system_sgpr_private_segment_wavefront_offset 0
		.amdhsa_system_sgpr_workgroup_id_x 1
		.amdhsa_system_sgpr_workgroup_id_y 0
		.amdhsa_system_sgpr_workgroup_id_z 0
		.amdhsa_system_sgpr_workgroup_info 0
		.amdhsa_system_vgpr_workitem_id 0
		.amdhsa_next_free_vgpr 1
		.amdhsa_next_free_sgpr 0
		.amdhsa_accum_offset 4
		.amdhsa_reserve_vcc 0
		.amdhsa_reserve_flat_scratch 0
		.amdhsa_float_round_mode_32 0
		.amdhsa_float_round_mode_16_64 0
		.amdhsa_float_denorm_mode_32 3
		.amdhsa_float_denorm_mode_16_64 3
		.amdhsa_dx10_clamp 1
		.amdhsa_ieee_mode 1
		.amdhsa_fp16_overflow 0
		.amdhsa_tg_split 0
		.amdhsa_exception_fp_ieee_invalid_op 0
		.amdhsa_exception_fp_denorm_src 0
		.amdhsa_exception_fp_ieee_div_zero 0
		.amdhsa_exception_fp_ieee_overflow 0
		.amdhsa_exception_fp_ieee_underflow 0
		.amdhsa_exception_fp_ieee_inexact 0
		.amdhsa_exception_int_div_zero 0
	.end_amdhsa_kernel
	.section	.text._ZN7rocprim17ROCPRIM_400000_NS6detail17trampoline_kernelINS0_14default_configENS1_38merge_sort_block_merge_config_selectorIsNS0_10empty_typeEEEZZNS1_27merge_sort_block_merge_implIS3_N6thrust23THRUST_200600_302600_NS6detail15normal_iteratorINS9_10device_ptrIsEEEEPS5_jNS1_19radix_merge_compareILb0ELb1EsNS0_19identity_decomposerEEEEE10hipError_tT0_T1_T2_jT3_P12ihipStream_tbPNSt15iterator_traitsISK_E10value_typeEPNSQ_ISL_E10value_typeEPSM_NS1_7vsmem_tEENKUlT_SK_SL_SM_E_clIPsSE_SF_SF_EESJ_SZ_SK_SL_SM_EUlSZ_E1_NS1_11comp_targetILNS1_3genE5ELNS1_11target_archE942ELNS1_3gpuE9ELNS1_3repE0EEENS1_36merge_oddeven_config_static_selectorELNS0_4arch9wavefront6targetE1EEEvSL_,"axG",@progbits,_ZN7rocprim17ROCPRIM_400000_NS6detail17trampoline_kernelINS0_14default_configENS1_38merge_sort_block_merge_config_selectorIsNS0_10empty_typeEEEZZNS1_27merge_sort_block_merge_implIS3_N6thrust23THRUST_200600_302600_NS6detail15normal_iteratorINS9_10device_ptrIsEEEEPS5_jNS1_19radix_merge_compareILb0ELb1EsNS0_19identity_decomposerEEEEE10hipError_tT0_T1_T2_jT3_P12ihipStream_tbPNSt15iterator_traitsISK_E10value_typeEPNSQ_ISL_E10value_typeEPSM_NS1_7vsmem_tEENKUlT_SK_SL_SM_E_clIPsSE_SF_SF_EESJ_SZ_SK_SL_SM_EUlSZ_E1_NS1_11comp_targetILNS1_3genE5ELNS1_11target_archE942ELNS1_3gpuE9ELNS1_3repE0EEENS1_36merge_oddeven_config_static_selectorELNS0_4arch9wavefront6targetE1EEEvSL_,comdat
.Lfunc_end1893:
	.size	_ZN7rocprim17ROCPRIM_400000_NS6detail17trampoline_kernelINS0_14default_configENS1_38merge_sort_block_merge_config_selectorIsNS0_10empty_typeEEEZZNS1_27merge_sort_block_merge_implIS3_N6thrust23THRUST_200600_302600_NS6detail15normal_iteratorINS9_10device_ptrIsEEEEPS5_jNS1_19radix_merge_compareILb0ELb1EsNS0_19identity_decomposerEEEEE10hipError_tT0_T1_T2_jT3_P12ihipStream_tbPNSt15iterator_traitsISK_E10value_typeEPNSQ_ISL_E10value_typeEPSM_NS1_7vsmem_tEENKUlT_SK_SL_SM_E_clIPsSE_SF_SF_EESJ_SZ_SK_SL_SM_EUlSZ_E1_NS1_11comp_targetILNS1_3genE5ELNS1_11target_archE942ELNS1_3gpuE9ELNS1_3repE0EEENS1_36merge_oddeven_config_static_selectorELNS0_4arch9wavefront6targetE1EEEvSL_, .Lfunc_end1893-_ZN7rocprim17ROCPRIM_400000_NS6detail17trampoline_kernelINS0_14default_configENS1_38merge_sort_block_merge_config_selectorIsNS0_10empty_typeEEEZZNS1_27merge_sort_block_merge_implIS3_N6thrust23THRUST_200600_302600_NS6detail15normal_iteratorINS9_10device_ptrIsEEEEPS5_jNS1_19radix_merge_compareILb0ELb1EsNS0_19identity_decomposerEEEEE10hipError_tT0_T1_T2_jT3_P12ihipStream_tbPNSt15iterator_traitsISK_E10value_typeEPNSQ_ISL_E10value_typeEPSM_NS1_7vsmem_tEENKUlT_SK_SL_SM_E_clIPsSE_SF_SF_EESJ_SZ_SK_SL_SM_EUlSZ_E1_NS1_11comp_targetILNS1_3genE5ELNS1_11target_archE942ELNS1_3gpuE9ELNS1_3repE0EEENS1_36merge_oddeven_config_static_selectorELNS0_4arch9wavefront6targetE1EEEvSL_
                                        ; -- End function
	.section	.AMDGPU.csdata,"",@progbits
; Kernel info:
; codeLenInByte = 0
; NumSgprs: 4
; NumVgprs: 0
; NumAgprs: 0
; TotalNumVgprs: 0
; ScratchSize: 0
; MemoryBound: 0
; FloatMode: 240
; IeeeMode: 1
; LDSByteSize: 0 bytes/workgroup (compile time only)
; SGPRBlocks: 0
; VGPRBlocks: 0
; NumSGPRsForWavesPerEU: 4
; NumVGPRsForWavesPerEU: 1
; AccumOffset: 4
; Occupancy: 8
; WaveLimiterHint : 0
; COMPUTE_PGM_RSRC2:SCRATCH_EN: 0
; COMPUTE_PGM_RSRC2:USER_SGPR: 6
; COMPUTE_PGM_RSRC2:TRAP_HANDLER: 0
; COMPUTE_PGM_RSRC2:TGID_X_EN: 1
; COMPUTE_PGM_RSRC2:TGID_Y_EN: 0
; COMPUTE_PGM_RSRC2:TGID_Z_EN: 0
; COMPUTE_PGM_RSRC2:TIDIG_COMP_CNT: 0
; COMPUTE_PGM_RSRC3_GFX90A:ACCUM_OFFSET: 0
; COMPUTE_PGM_RSRC3_GFX90A:TG_SPLIT: 0
	.section	.text._ZN7rocprim17ROCPRIM_400000_NS6detail17trampoline_kernelINS0_14default_configENS1_38merge_sort_block_merge_config_selectorIsNS0_10empty_typeEEEZZNS1_27merge_sort_block_merge_implIS3_N6thrust23THRUST_200600_302600_NS6detail15normal_iteratorINS9_10device_ptrIsEEEEPS5_jNS1_19radix_merge_compareILb0ELb1EsNS0_19identity_decomposerEEEEE10hipError_tT0_T1_T2_jT3_P12ihipStream_tbPNSt15iterator_traitsISK_E10value_typeEPNSQ_ISL_E10value_typeEPSM_NS1_7vsmem_tEENKUlT_SK_SL_SM_E_clIPsSE_SF_SF_EESJ_SZ_SK_SL_SM_EUlSZ_E1_NS1_11comp_targetILNS1_3genE4ELNS1_11target_archE910ELNS1_3gpuE8ELNS1_3repE0EEENS1_36merge_oddeven_config_static_selectorELNS0_4arch9wavefront6targetE1EEEvSL_,"axG",@progbits,_ZN7rocprim17ROCPRIM_400000_NS6detail17trampoline_kernelINS0_14default_configENS1_38merge_sort_block_merge_config_selectorIsNS0_10empty_typeEEEZZNS1_27merge_sort_block_merge_implIS3_N6thrust23THRUST_200600_302600_NS6detail15normal_iteratorINS9_10device_ptrIsEEEEPS5_jNS1_19radix_merge_compareILb0ELb1EsNS0_19identity_decomposerEEEEE10hipError_tT0_T1_T2_jT3_P12ihipStream_tbPNSt15iterator_traitsISK_E10value_typeEPNSQ_ISL_E10value_typeEPSM_NS1_7vsmem_tEENKUlT_SK_SL_SM_E_clIPsSE_SF_SF_EESJ_SZ_SK_SL_SM_EUlSZ_E1_NS1_11comp_targetILNS1_3genE4ELNS1_11target_archE910ELNS1_3gpuE8ELNS1_3repE0EEENS1_36merge_oddeven_config_static_selectorELNS0_4arch9wavefront6targetE1EEEvSL_,comdat
	.protected	_ZN7rocprim17ROCPRIM_400000_NS6detail17trampoline_kernelINS0_14default_configENS1_38merge_sort_block_merge_config_selectorIsNS0_10empty_typeEEEZZNS1_27merge_sort_block_merge_implIS3_N6thrust23THRUST_200600_302600_NS6detail15normal_iteratorINS9_10device_ptrIsEEEEPS5_jNS1_19radix_merge_compareILb0ELb1EsNS0_19identity_decomposerEEEEE10hipError_tT0_T1_T2_jT3_P12ihipStream_tbPNSt15iterator_traitsISK_E10value_typeEPNSQ_ISL_E10value_typeEPSM_NS1_7vsmem_tEENKUlT_SK_SL_SM_E_clIPsSE_SF_SF_EESJ_SZ_SK_SL_SM_EUlSZ_E1_NS1_11comp_targetILNS1_3genE4ELNS1_11target_archE910ELNS1_3gpuE8ELNS1_3repE0EEENS1_36merge_oddeven_config_static_selectorELNS0_4arch9wavefront6targetE1EEEvSL_ ; -- Begin function _ZN7rocprim17ROCPRIM_400000_NS6detail17trampoline_kernelINS0_14default_configENS1_38merge_sort_block_merge_config_selectorIsNS0_10empty_typeEEEZZNS1_27merge_sort_block_merge_implIS3_N6thrust23THRUST_200600_302600_NS6detail15normal_iteratorINS9_10device_ptrIsEEEEPS5_jNS1_19radix_merge_compareILb0ELb1EsNS0_19identity_decomposerEEEEE10hipError_tT0_T1_T2_jT3_P12ihipStream_tbPNSt15iterator_traitsISK_E10value_typeEPNSQ_ISL_E10value_typeEPSM_NS1_7vsmem_tEENKUlT_SK_SL_SM_E_clIPsSE_SF_SF_EESJ_SZ_SK_SL_SM_EUlSZ_E1_NS1_11comp_targetILNS1_3genE4ELNS1_11target_archE910ELNS1_3gpuE8ELNS1_3repE0EEENS1_36merge_oddeven_config_static_selectorELNS0_4arch9wavefront6targetE1EEEvSL_
	.globl	_ZN7rocprim17ROCPRIM_400000_NS6detail17trampoline_kernelINS0_14default_configENS1_38merge_sort_block_merge_config_selectorIsNS0_10empty_typeEEEZZNS1_27merge_sort_block_merge_implIS3_N6thrust23THRUST_200600_302600_NS6detail15normal_iteratorINS9_10device_ptrIsEEEEPS5_jNS1_19radix_merge_compareILb0ELb1EsNS0_19identity_decomposerEEEEE10hipError_tT0_T1_T2_jT3_P12ihipStream_tbPNSt15iterator_traitsISK_E10value_typeEPNSQ_ISL_E10value_typeEPSM_NS1_7vsmem_tEENKUlT_SK_SL_SM_E_clIPsSE_SF_SF_EESJ_SZ_SK_SL_SM_EUlSZ_E1_NS1_11comp_targetILNS1_3genE4ELNS1_11target_archE910ELNS1_3gpuE8ELNS1_3repE0EEENS1_36merge_oddeven_config_static_selectorELNS0_4arch9wavefront6targetE1EEEvSL_
	.p2align	8
	.type	_ZN7rocprim17ROCPRIM_400000_NS6detail17trampoline_kernelINS0_14default_configENS1_38merge_sort_block_merge_config_selectorIsNS0_10empty_typeEEEZZNS1_27merge_sort_block_merge_implIS3_N6thrust23THRUST_200600_302600_NS6detail15normal_iteratorINS9_10device_ptrIsEEEEPS5_jNS1_19radix_merge_compareILb0ELb1EsNS0_19identity_decomposerEEEEE10hipError_tT0_T1_T2_jT3_P12ihipStream_tbPNSt15iterator_traitsISK_E10value_typeEPNSQ_ISL_E10value_typeEPSM_NS1_7vsmem_tEENKUlT_SK_SL_SM_E_clIPsSE_SF_SF_EESJ_SZ_SK_SL_SM_EUlSZ_E1_NS1_11comp_targetILNS1_3genE4ELNS1_11target_archE910ELNS1_3gpuE8ELNS1_3repE0EEENS1_36merge_oddeven_config_static_selectorELNS0_4arch9wavefront6targetE1EEEvSL_,@function
_ZN7rocprim17ROCPRIM_400000_NS6detail17trampoline_kernelINS0_14default_configENS1_38merge_sort_block_merge_config_selectorIsNS0_10empty_typeEEEZZNS1_27merge_sort_block_merge_implIS3_N6thrust23THRUST_200600_302600_NS6detail15normal_iteratorINS9_10device_ptrIsEEEEPS5_jNS1_19radix_merge_compareILb0ELb1EsNS0_19identity_decomposerEEEEE10hipError_tT0_T1_T2_jT3_P12ihipStream_tbPNSt15iterator_traitsISK_E10value_typeEPNSQ_ISL_E10value_typeEPSM_NS1_7vsmem_tEENKUlT_SK_SL_SM_E_clIPsSE_SF_SF_EESJ_SZ_SK_SL_SM_EUlSZ_E1_NS1_11comp_targetILNS1_3genE4ELNS1_11target_archE910ELNS1_3gpuE8ELNS1_3repE0EEENS1_36merge_oddeven_config_static_selectorELNS0_4arch9wavefront6targetE1EEEvSL_: ; @_ZN7rocprim17ROCPRIM_400000_NS6detail17trampoline_kernelINS0_14default_configENS1_38merge_sort_block_merge_config_selectorIsNS0_10empty_typeEEEZZNS1_27merge_sort_block_merge_implIS3_N6thrust23THRUST_200600_302600_NS6detail15normal_iteratorINS9_10device_ptrIsEEEEPS5_jNS1_19radix_merge_compareILb0ELb1EsNS0_19identity_decomposerEEEEE10hipError_tT0_T1_T2_jT3_P12ihipStream_tbPNSt15iterator_traitsISK_E10value_typeEPNSQ_ISL_E10value_typeEPSM_NS1_7vsmem_tEENKUlT_SK_SL_SM_E_clIPsSE_SF_SF_EESJ_SZ_SK_SL_SM_EUlSZ_E1_NS1_11comp_targetILNS1_3genE4ELNS1_11target_archE910ELNS1_3gpuE8ELNS1_3repE0EEENS1_36merge_oddeven_config_static_selectorELNS0_4arch9wavefront6targetE1EEEvSL_
; %bb.0:
	s_load_dword s18, s[4:5], 0x20
	s_waitcnt lgkmcnt(0)
	s_lshr_b32 s0, s18, 8
	s_cmp_lg_u32 s6, s0
	s_cselect_b64 s[14:15], -1, 0
	s_cmp_eq_u32 s6, s0
	s_cselect_b64 s[12:13], -1, 0
	s_lshl_b32 s16, s6, 8
	s_sub_i32 s0, s18, s16
	v_cmp_gt_u32_e64 s[2:3], s0, v0
	s_or_b64 s[0:1], s[14:15], s[2:3]
	s_and_saveexec_b64 s[8:9], s[0:1]
	s_cbranch_execz .LBB1894_20
; %bb.1:
	s_load_dwordx4 s[8:11], s[4:5], 0x0
	s_load_dword s19, s[4:5], 0x24
	s_mov_b32 s17, 0
	s_lshl_b64 s[0:1], s[16:17], 1
	v_lshlrev_b32_e32 v1, 1, v0
	s_waitcnt lgkmcnt(0)
	s_add_u32 s0, s8, s0
	s_addc_u32 s1, s9, s1
	global_load_ushort v2, v1, s[0:1]
	s_lshr_b32 s0, s19, 8
	s_sub_i32 s1, 0, s0
	s_and_b32 s1, s6, s1
	s_and_b32 s0, s1, s0
	s_lshl_b32 s20, s1, 8
	s_sub_i32 s17, 0, s19
	s_cmp_eq_u32 s0, 0
	s_cselect_b64 s[0:1], -1, 0
	s_and_b64 s[6:7], s[0:1], exec
	s_cselect_b32 s17, s19, s17
	s_add_i32 s17, s17, s20
	s_cmp_lt_u32 s17, s18
	v_add_u32_e32 v0, s16, v0
	s_cbranch_scc1 .LBB1894_3
; %bb.2:
	v_cmp_gt_u32_e32 vcc, s18, v0
	s_or_b64 s[6:7], vcc, s[14:15]
	s_and_b64 s[6:7], s[6:7], exec
	s_cbranch_execz .LBB1894_4
	s_branch .LBB1894_18
.LBB1894_3:
	s_mov_b64 s[6:7], 0
.LBB1894_4:
	s_load_dword s14, s[4:5], 0x28
	s_min_u32 s15, s17, s18
	s_add_i32 s4, s15, s19
	s_min_u32 s16, s4, s18
	s_min_u32 s4, s20, s15
	s_add_i32 s20, s20, s15
	v_subrev_u32_e32 v0, s20, v0
	v_add_u32_e32 v1, s4, v0
	s_and_b64 vcc, exec, s[12:13]
	s_cbranch_vccz .LBB1894_12
; %bb.5:
                                        ; implicit-def: $vgpr0
	s_and_saveexec_b64 s[4:5], s[2:3]
	s_cbranch_execz .LBB1894_11
; %bb.6:
	s_cmp_ge_u32 s17, s16
	v_mov_b32_e32 v0, s15
	s_cbranch_scc1 .LBB1894_10
; %bb.7:
	s_waitcnt vmcnt(0) lgkmcnt(0)
	v_and_b32_e32 v3, s14, v2
	s_mov_b64 s[2:3], 0
	v_mov_b32_e32 v4, s16
	v_mov_b32_e32 v0, s15
.LBB1894_8:                             ; =>This Inner Loop Header: Depth=1
	v_add_u32_e32 v5, v0, v4
	v_and_b32_e32 v6, -2, v5
	global_load_ushort v6, v6, s[8:9]
	v_lshrrev_b32_e32 v5, 1, v5
	v_add_u32_e32 v7, 1, v5
	s_waitcnt vmcnt(0)
	v_and_b32_e32 v6, s14, v6
	v_cmp_gt_i16_e32 vcc, v3, v6
	v_cndmask_b32_e64 v8, 0, 1, vcc
	v_cmp_le_i16_e32 vcc, v6, v3
	v_cndmask_b32_e64 v6, 0, 1, vcc
	v_cndmask_b32_e64 v6, v6, v8, s[0:1]
	v_and_b32_e32 v6, 1, v6
	v_cmp_eq_u32_e32 vcc, 1, v6
	v_cndmask_b32_e32 v4, v5, v4, vcc
	v_cndmask_b32_e32 v0, v0, v7, vcc
	v_cmp_ge_u32_e32 vcc, v0, v4
	s_or_b64 s[2:3], vcc, s[2:3]
	s_andn2_b64 exec, exec, s[2:3]
	s_cbranch_execnz .LBB1894_8
; %bb.9:
	s_or_b64 exec, exec, s[2:3]
.LBB1894_10:
	v_add_u32_e32 v0, v0, v1
	s_or_b64 s[6:7], s[6:7], exec
.LBB1894_11:
	s_or_b64 exec, exec, s[4:5]
	s_branch .LBB1894_18
.LBB1894_12:
                                        ; implicit-def: $vgpr0
	s_cbranch_execz .LBB1894_18
; %bb.13:
	s_cmp_ge_u32 s17, s16
	v_mov_b32_e32 v0, s15
	s_cbranch_scc1 .LBB1894_17
; %bb.14:
	s_waitcnt vmcnt(0) lgkmcnt(0)
	v_and_b32_e32 v3, s14, v2
	s_mov_b64 s[2:3], 0
	v_mov_b32_e32 v4, s16
	v_mov_b32_e32 v0, s15
.LBB1894_15:                            ; =>This Inner Loop Header: Depth=1
	v_add_u32_e32 v5, v0, v4
	v_and_b32_e32 v6, -2, v5
	global_load_ushort v6, v6, s[8:9]
	v_lshrrev_b32_e32 v5, 1, v5
	v_add_u32_e32 v7, 1, v5
	s_waitcnt vmcnt(0)
	v_and_b32_e32 v6, s14, v6
	v_cmp_gt_i16_e32 vcc, v3, v6
	v_cndmask_b32_e64 v8, 0, 1, vcc
	v_cmp_le_i16_e32 vcc, v6, v3
	v_cndmask_b32_e64 v6, 0, 1, vcc
	v_cndmask_b32_e64 v6, v6, v8, s[0:1]
	v_and_b32_e32 v6, 1, v6
	v_cmp_eq_u32_e32 vcc, 1, v6
	v_cndmask_b32_e32 v4, v5, v4, vcc
	v_cndmask_b32_e32 v0, v0, v7, vcc
	v_cmp_ge_u32_e32 vcc, v0, v4
	s_or_b64 s[2:3], vcc, s[2:3]
	s_andn2_b64 exec, exec, s[2:3]
	s_cbranch_execnz .LBB1894_15
; %bb.16:
	s_or_b64 exec, exec, s[2:3]
.LBB1894_17:
	v_add_u32_e32 v0, v0, v1
	s_mov_b64 s[6:7], -1
.LBB1894_18:
	s_and_b64 exec, exec, s[6:7]
	s_cbranch_execz .LBB1894_20
; %bb.19:
	v_mov_b32_e32 v1, 0
	v_lshlrev_b64 v[0:1], 1, v[0:1]
	v_mov_b32_e32 v3, s11
	v_add_co_u32_e32 v0, vcc, s10, v0
	v_addc_co_u32_e32 v1, vcc, v3, v1, vcc
	s_waitcnt vmcnt(0)
	global_store_short v[0:1], v2, off
.LBB1894_20:
	s_endpgm
	.section	.rodata,"a",@progbits
	.p2align	6, 0x0
	.amdhsa_kernel _ZN7rocprim17ROCPRIM_400000_NS6detail17trampoline_kernelINS0_14default_configENS1_38merge_sort_block_merge_config_selectorIsNS0_10empty_typeEEEZZNS1_27merge_sort_block_merge_implIS3_N6thrust23THRUST_200600_302600_NS6detail15normal_iteratorINS9_10device_ptrIsEEEEPS5_jNS1_19radix_merge_compareILb0ELb1EsNS0_19identity_decomposerEEEEE10hipError_tT0_T1_T2_jT3_P12ihipStream_tbPNSt15iterator_traitsISK_E10value_typeEPNSQ_ISL_E10value_typeEPSM_NS1_7vsmem_tEENKUlT_SK_SL_SM_E_clIPsSE_SF_SF_EESJ_SZ_SK_SL_SM_EUlSZ_E1_NS1_11comp_targetILNS1_3genE4ELNS1_11target_archE910ELNS1_3gpuE8ELNS1_3repE0EEENS1_36merge_oddeven_config_static_selectorELNS0_4arch9wavefront6targetE1EEEvSL_
		.amdhsa_group_segment_fixed_size 0
		.amdhsa_private_segment_fixed_size 0
		.amdhsa_kernarg_size 48
		.amdhsa_user_sgpr_count 6
		.amdhsa_user_sgpr_private_segment_buffer 1
		.amdhsa_user_sgpr_dispatch_ptr 0
		.amdhsa_user_sgpr_queue_ptr 0
		.amdhsa_user_sgpr_kernarg_segment_ptr 1
		.amdhsa_user_sgpr_dispatch_id 0
		.amdhsa_user_sgpr_flat_scratch_init 0
		.amdhsa_user_sgpr_kernarg_preload_length 0
		.amdhsa_user_sgpr_kernarg_preload_offset 0
		.amdhsa_user_sgpr_private_segment_size 0
		.amdhsa_uses_dynamic_stack 0
		.amdhsa_system_sgpr_private_segment_wavefront_offset 0
		.amdhsa_system_sgpr_workgroup_id_x 1
		.amdhsa_system_sgpr_workgroup_id_y 0
		.amdhsa_system_sgpr_workgroup_id_z 0
		.amdhsa_system_sgpr_workgroup_info 0
		.amdhsa_system_vgpr_workitem_id 0
		.amdhsa_next_free_vgpr 9
		.amdhsa_next_free_sgpr 21
		.amdhsa_accum_offset 12
		.amdhsa_reserve_vcc 1
		.amdhsa_reserve_flat_scratch 0
		.amdhsa_float_round_mode_32 0
		.amdhsa_float_round_mode_16_64 0
		.amdhsa_float_denorm_mode_32 3
		.amdhsa_float_denorm_mode_16_64 3
		.amdhsa_dx10_clamp 1
		.amdhsa_ieee_mode 1
		.amdhsa_fp16_overflow 0
		.amdhsa_tg_split 0
		.amdhsa_exception_fp_ieee_invalid_op 0
		.amdhsa_exception_fp_denorm_src 0
		.amdhsa_exception_fp_ieee_div_zero 0
		.amdhsa_exception_fp_ieee_overflow 0
		.amdhsa_exception_fp_ieee_underflow 0
		.amdhsa_exception_fp_ieee_inexact 0
		.amdhsa_exception_int_div_zero 0
	.end_amdhsa_kernel
	.section	.text._ZN7rocprim17ROCPRIM_400000_NS6detail17trampoline_kernelINS0_14default_configENS1_38merge_sort_block_merge_config_selectorIsNS0_10empty_typeEEEZZNS1_27merge_sort_block_merge_implIS3_N6thrust23THRUST_200600_302600_NS6detail15normal_iteratorINS9_10device_ptrIsEEEEPS5_jNS1_19radix_merge_compareILb0ELb1EsNS0_19identity_decomposerEEEEE10hipError_tT0_T1_T2_jT3_P12ihipStream_tbPNSt15iterator_traitsISK_E10value_typeEPNSQ_ISL_E10value_typeEPSM_NS1_7vsmem_tEENKUlT_SK_SL_SM_E_clIPsSE_SF_SF_EESJ_SZ_SK_SL_SM_EUlSZ_E1_NS1_11comp_targetILNS1_3genE4ELNS1_11target_archE910ELNS1_3gpuE8ELNS1_3repE0EEENS1_36merge_oddeven_config_static_selectorELNS0_4arch9wavefront6targetE1EEEvSL_,"axG",@progbits,_ZN7rocprim17ROCPRIM_400000_NS6detail17trampoline_kernelINS0_14default_configENS1_38merge_sort_block_merge_config_selectorIsNS0_10empty_typeEEEZZNS1_27merge_sort_block_merge_implIS3_N6thrust23THRUST_200600_302600_NS6detail15normal_iteratorINS9_10device_ptrIsEEEEPS5_jNS1_19radix_merge_compareILb0ELb1EsNS0_19identity_decomposerEEEEE10hipError_tT0_T1_T2_jT3_P12ihipStream_tbPNSt15iterator_traitsISK_E10value_typeEPNSQ_ISL_E10value_typeEPSM_NS1_7vsmem_tEENKUlT_SK_SL_SM_E_clIPsSE_SF_SF_EESJ_SZ_SK_SL_SM_EUlSZ_E1_NS1_11comp_targetILNS1_3genE4ELNS1_11target_archE910ELNS1_3gpuE8ELNS1_3repE0EEENS1_36merge_oddeven_config_static_selectorELNS0_4arch9wavefront6targetE1EEEvSL_,comdat
.Lfunc_end1894:
	.size	_ZN7rocprim17ROCPRIM_400000_NS6detail17trampoline_kernelINS0_14default_configENS1_38merge_sort_block_merge_config_selectorIsNS0_10empty_typeEEEZZNS1_27merge_sort_block_merge_implIS3_N6thrust23THRUST_200600_302600_NS6detail15normal_iteratorINS9_10device_ptrIsEEEEPS5_jNS1_19radix_merge_compareILb0ELb1EsNS0_19identity_decomposerEEEEE10hipError_tT0_T1_T2_jT3_P12ihipStream_tbPNSt15iterator_traitsISK_E10value_typeEPNSQ_ISL_E10value_typeEPSM_NS1_7vsmem_tEENKUlT_SK_SL_SM_E_clIPsSE_SF_SF_EESJ_SZ_SK_SL_SM_EUlSZ_E1_NS1_11comp_targetILNS1_3genE4ELNS1_11target_archE910ELNS1_3gpuE8ELNS1_3repE0EEENS1_36merge_oddeven_config_static_selectorELNS0_4arch9wavefront6targetE1EEEvSL_, .Lfunc_end1894-_ZN7rocprim17ROCPRIM_400000_NS6detail17trampoline_kernelINS0_14default_configENS1_38merge_sort_block_merge_config_selectorIsNS0_10empty_typeEEEZZNS1_27merge_sort_block_merge_implIS3_N6thrust23THRUST_200600_302600_NS6detail15normal_iteratorINS9_10device_ptrIsEEEEPS5_jNS1_19radix_merge_compareILb0ELb1EsNS0_19identity_decomposerEEEEE10hipError_tT0_T1_T2_jT3_P12ihipStream_tbPNSt15iterator_traitsISK_E10value_typeEPNSQ_ISL_E10value_typeEPSM_NS1_7vsmem_tEENKUlT_SK_SL_SM_E_clIPsSE_SF_SF_EESJ_SZ_SK_SL_SM_EUlSZ_E1_NS1_11comp_targetILNS1_3genE4ELNS1_11target_archE910ELNS1_3gpuE8ELNS1_3repE0EEENS1_36merge_oddeven_config_static_selectorELNS0_4arch9wavefront6targetE1EEEvSL_
                                        ; -- End function
	.section	.AMDGPU.csdata,"",@progbits
; Kernel info:
; codeLenInByte = 580
; NumSgprs: 25
; NumVgprs: 9
; NumAgprs: 0
; TotalNumVgprs: 9
; ScratchSize: 0
; MemoryBound: 0
; FloatMode: 240
; IeeeMode: 1
; LDSByteSize: 0 bytes/workgroup (compile time only)
; SGPRBlocks: 3
; VGPRBlocks: 1
; NumSGPRsForWavesPerEU: 25
; NumVGPRsForWavesPerEU: 9
; AccumOffset: 12
; Occupancy: 8
; WaveLimiterHint : 0
; COMPUTE_PGM_RSRC2:SCRATCH_EN: 0
; COMPUTE_PGM_RSRC2:USER_SGPR: 6
; COMPUTE_PGM_RSRC2:TRAP_HANDLER: 0
; COMPUTE_PGM_RSRC2:TGID_X_EN: 1
; COMPUTE_PGM_RSRC2:TGID_Y_EN: 0
; COMPUTE_PGM_RSRC2:TGID_Z_EN: 0
; COMPUTE_PGM_RSRC2:TIDIG_COMP_CNT: 0
; COMPUTE_PGM_RSRC3_GFX90A:ACCUM_OFFSET: 2
; COMPUTE_PGM_RSRC3_GFX90A:TG_SPLIT: 0
	.section	.text._ZN7rocprim17ROCPRIM_400000_NS6detail17trampoline_kernelINS0_14default_configENS1_38merge_sort_block_merge_config_selectorIsNS0_10empty_typeEEEZZNS1_27merge_sort_block_merge_implIS3_N6thrust23THRUST_200600_302600_NS6detail15normal_iteratorINS9_10device_ptrIsEEEEPS5_jNS1_19radix_merge_compareILb0ELb1EsNS0_19identity_decomposerEEEEE10hipError_tT0_T1_T2_jT3_P12ihipStream_tbPNSt15iterator_traitsISK_E10value_typeEPNSQ_ISL_E10value_typeEPSM_NS1_7vsmem_tEENKUlT_SK_SL_SM_E_clIPsSE_SF_SF_EESJ_SZ_SK_SL_SM_EUlSZ_E1_NS1_11comp_targetILNS1_3genE3ELNS1_11target_archE908ELNS1_3gpuE7ELNS1_3repE0EEENS1_36merge_oddeven_config_static_selectorELNS0_4arch9wavefront6targetE1EEEvSL_,"axG",@progbits,_ZN7rocprim17ROCPRIM_400000_NS6detail17trampoline_kernelINS0_14default_configENS1_38merge_sort_block_merge_config_selectorIsNS0_10empty_typeEEEZZNS1_27merge_sort_block_merge_implIS3_N6thrust23THRUST_200600_302600_NS6detail15normal_iteratorINS9_10device_ptrIsEEEEPS5_jNS1_19radix_merge_compareILb0ELb1EsNS0_19identity_decomposerEEEEE10hipError_tT0_T1_T2_jT3_P12ihipStream_tbPNSt15iterator_traitsISK_E10value_typeEPNSQ_ISL_E10value_typeEPSM_NS1_7vsmem_tEENKUlT_SK_SL_SM_E_clIPsSE_SF_SF_EESJ_SZ_SK_SL_SM_EUlSZ_E1_NS1_11comp_targetILNS1_3genE3ELNS1_11target_archE908ELNS1_3gpuE7ELNS1_3repE0EEENS1_36merge_oddeven_config_static_selectorELNS0_4arch9wavefront6targetE1EEEvSL_,comdat
	.protected	_ZN7rocprim17ROCPRIM_400000_NS6detail17trampoline_kernelINS0_14default_configENS1_38merge_sort_block_merge_config_selectorIsNS0_10empty_typeEEEZZNS1_27merge_sort_block_merge_implIS3_N6thrust23THRUST_200600_302600_NS6detail15normal_iteratorINS9_10device_ptrIsEEEEPS5_jNS1_19radix_merge_compareILb0ELb1EsNS0_19identity_decomposerEEEEE10hipError_tT0_T1_T2_jT3_P12ihipStream_tbPNSt15iterator_traitsISK_E10value_typeEPNSQ_ISL_E10value_typeEPSM_NS1_7vsmem_tEENKUlT_SK_SL_SM_E_clIPsSE_SF_SF_EESJ_SZ_SK_SL_SM_EUlSZ_E1_NS1_11comp_targetILNS1_3genE3ELNS1_11target_archE908ELNS1_3gpuE7ELNS1_3repE0EEENS1_36merge_oddeven_config_static_selectorELNS0_4arch9wavefront6targetE1EEEvSL_ ; -- Begin function _ZN7rocprim17ROCPRIM_400000_NS6detail17trampoline_kernelINS0_14default_configENS1_38merge_sort_block_merge_config_selectorIsNS0_10empty_typeEEEZZNS1_27merge_sort_block_merge_implIS3_N6thrust23THRUST_200600_302600_NS6detail15normal_iteratorINS9_10device_ptrIsEEEEPS5_jNS1_19radix_merge_compareILb0ELb1EsNS0_19identity_decomposerEEEEE10hipError_tT0_T1_T2_jT3_P12ihipStream_tbPNSt15iterator_traitsISK_E10value_typeEPNSQ_ISL_E10value_typeEPSM_NS1_7vsmem_tEENKUlT_SK_SL_SM_E_clIPsSE_SF_SF_EESJ_SZ_SK_SL_SM_EUlSZ_E1_NS1_11comp_targetILNS1_3genE3ELNS1_11target_archE908ELNS1_3gpuE7ELNS1_3repE0EEENS1_36merge_oddeven_config_static_selectorELNS0_4arch9wavefront6targetE1EEEvSL_
	.globl	_ZN7rocprim17ROCPRIM_400000_NS6detail17trampoline_kernelINS0_14default_configENS1_38merge_sort_block_merge_config_selectorIsNS0_10empty_typeEEEZZNS1_27merge_sort_block_merge_implIS3_N6thrust23THRUST_200600_302600_NS6detail15normal_iteratorINS9_10device_ptrIsEEEEPS5_jNS1_19radix_merge_compareILb0ELb1EsNS0_19identity_decomposerEEEEE10hipError_tT0_T1_T2_jT3_P12ihipStream_tbPNSt15iterator_traitsISK_E10value_typeEPNSQ_ISL_E10value_typeEPSM_NS1_7vsmem_tEENKUlT_SK_SL_SM_E_clIPsSE_SF_SF_EESJ_SZ_SK_SL_SM_EUlSZ_E1_NS1_11comp_targetILNS1_3genE3ELNS1_11target_archE908ELNS1_3gpuE7ELNS1_3repE0EEENS1_36merge_oddeven_config_static_selectorELNS0_4arch9wavefront6targetE1EEEvSL_
	.p2align	8
	.type	_ZN7rocprim17ROCPRIM_400000_NS6detail17trampoline_kernelINS0_14default_configENS1_38merge_sort_block_merge_config_selectorIsNS0_10empty_typeEEEZZNS1_27merge_sort_block_merge_implIS3_N6thrust23THRUST_200600_302600_NS6detail15normal_iteratorINS9_10device_ptrIsEEEEPS5_jNS1_19radix_merge_compareILb0ELb1EsNS0_19identity_decomposerEEEEE10hipError_tT0_T1_T2_jT3_P12ihipStream_tbPNSt15iterator_traitsISK_E10value_typeEPNSQ_ISL_E10value_typeEPSM_NS1_7vsmem_tEENKUlT_SK_SL_SM_E_clIPsSE_SF_SF_EESJ_SZ_SK_SL_SM_EUlSZ_E1_NS1_11comp_targetILNS1_3genE3ELNS1_11target_archE908ELNS1_3gpuE7ELNS1_3repE0EEENS1_36merge_oddeven_config_static_selectorELNS0_4arch9wavefront6targetE1EEEvSL_,@function
_ZN7rocprim17ROCPRIM_400000_NS6detail17trampoline_kernelINS0_14default_configENS1_38merge_sort_block_merge_config_selectorIsNS0_10empty_typeEEEZZNS1_27merge_sort_block_merge_implIS3_N6thrust23THRUST_200600_302600_NS6detail15normal_iteratorINS9_10device_ptrIsEEEEPS5_jNS1_19radix_merge_compareILb0ELb1EsNS0_19identity_decomposerEEEEE10hipError_tT0_T1_T2_jT3_P12ihipStream_tbPNSt15iterator_traitsISK_E10value_typeEPNSQ_ISL_E10value_typeEPSM_NS1_7vsmem_tEENKUlT_SK_SL_SM_E_clIPsSE_SF_SF_EESJ_SZ_SK_SL_SM_EUlSZ_E1_NS1_11comp_targetILNS1_3genE3ELNS1_11target_archE908ELNS1_3gpuE7ELNS1_3repE0EEENS1_36merge_oddeven_config_static_selectorELNS0_4arch9wavefront6targetE1EEEvSL_: ; @_ZN7rocprim17ROCPRIM_400000_NS6detail17trampoline_kernelINS0_14default_configENS1_38merge_sort_block_merge_config_selectorIsNS0_10empty_typeEEEZZNS1_27merge_sort_block_merge_implIS3_N6thrust23THRUST_200600_302600_NS6detail15normal_iteratorINS9_10device_ptrIsEEEEPS5_jNS1_19radix_merge_compareILb0ELb1EsNS0_19identity_decomposerEEEEE10hipError_tT0_T1_T2_jT3_P12ihipStream_tbPNSt15iterator_traitsISK_E10value_typeEPNSQ_ISL_E10value_typeEPSM_NS1_7vsmem_tEENKUlT_SK_SL_SM_E_clIPsSE_SF_SF_EESJ_SZ_SK_SL_SM_EUlSZ_E1_NS1_11comp_targetILNS1_3genE3ELNS1_11target_archE908ELNS1_3gpuE7ELNS1_3repE0EEENS1_36merge_oddeven_config_static_selectorELNS0_4arch9wavefront6targetE1EEEvSL_
; %bb.0:
	.section	.rodata,"a",@progbits
	.p2align	6, 0x0
	.amdhsa_kernel _ZN7rocprim17ROCPRIM_400000_NS6detail17trampoline_kernelINS0_14default_configENS1_38merge_sort_block_merge_config_selectorIsNS0_10empty_typeEEEZZNS1_27merge_sort_block_merge_implIS3_N6thrust23THRUST_200600_302600_NS6detail15normal_iteratorINS9_10device_ptrIsEEEEPS5_jNS1_19radix_merge_compareILb0ELb1EsNS0_19identity_decomposerEEEEE10hipError_tT0_T1_T2_jT3_P12ihipStream_tbPNSt15iterator_traitsISK_E10value_typeEPNSQ_ISL_E10value_typeEPSM_NS1_7vsmem_tEENKUlT_SK_SL_SM_E_clIPsSE_SF_SF_EESJ_SZ_SK_SL_SM_EUlSZ_E1_NS1_11comp_targetILNS1_3genE3ELNS1_11target_archE908ELNS1_3gpuE7ELNS1_3repE0EEENS1_36merge_oddeven_config_static_selectorELNS0_4arch9wavefront6targetE1EEEvSL_
		.amdhsa_group_segment_fixed_size 0
		.amdhsa_private_segment_fixed_size 0
		.amdhsa_kernarg_size 48
		.amdhsa_user_sgpr_count 6
		.amdhsa_user_sgpr_private_segment_buffer 1
		.amdhsa_user_sgpr_dispatch_ptr 0
		.amdhsa_user_sgpr_queue_ptr 0
		.amdhsa_user_sgpr_kernarg_segment_ptr 1
		.amdhsa_user_sgpr_dispatch_id 0
		.amdhsa_user_sgpr_flat_scratch_init 0
		.amdhsa_user_sgpr_kernarg_preload_length 0
		.amdhsa_user_sgpr_kernarg_preload_offset 0
		.amdhsa_user_sgpr_private_segment_size 0
		.amdhsa_uses_dynamic_stack 0
		.amdhsa_system_sgpr_private_segment_wavefront_offset 0
		.amdhsa_system_sgpr_workgroup_id_x 1
		.amdhsa_system_sgpr_workgroup_id_y 0
		.amdhsa_system_sgpr_workgroup_id_z 0
		.amdhsa_system_sgpr_workgroup_info 0
		.amdhsa_system_vgpr_workitem_id 0
		.amdhsa_next_free_vgpr 1
		.amdhsa_next_free_sgpr 0
		.amdhsa_accum_offset 4
		.amdhsa_reserve_vcc 0
		.amdhsa_reserve_flat_scratch 0
		.amdhsa_float_round_mode_32 0
		.amdhsa_float_round_mode_16_64 0
		.amdhsa_float_denorm_mode_32 3
		.amdhsa_float_denorm_mode_16_64 3
		.amdhsa_dx10_clamp 1
		.amdhsa_ieee_mode 1
		.amdhsa_fp16_overflow 0
		.amdhsa_tg_split 0
		.amdhsa_exception_fp_ieee_invalid_op 0
		.amdhsa_exception_fp_denorm_src 0
		.amdhsa_exception_fp_ieee_div_zero 0
		.amdhsa_exception_fp_ieee_overflow 0
		.amdhsa_exception_fp_ieee_underflow 0
		.amdhsa_exception_fp_ieee_inexact 0
		.amdhsa_exception_int_div_zero 0
	.end_amdhsa_kernel
	.section	.text._ZN7rocprim17ROCPRIM_400000_NS6detail17trampoline_kernelINS0_14default_configENS1_38merge_sort_block_merge_config_selectorIsNS0_10empty_typeEEEZZNS1_27merge_sort_block_merge_implIS3_N6thrust23THRUST_200600_302600_NS6detail15normal_iteratorINS9_10device_ptrIsEEEEPS5_jNS1_19radix_merge_compareILb0ELb1EsNS0_19identity_decomposerEEEEE10hipError_tT0_T1_T2_jT3_P12ihipStream_tbPNSt15iterator_traitsISK_E10value_typeEPNSQ_ISL_E10value_typeEPSM_NS1_7vsmem_tEENKUlT_SK_SL_SM_E_clIPsSE_SF_SF_EESJ_SZ_SK_SL_SM_EUlSZ_E1_NS1_11comp_targetILNS1_3genE3ELNS1_11target_archE908ELNS1_3gpuE7ELNS1_3repE0EEENS1_36merge_oddeven_config_static_selectorELNS0_4arch9wavefront6targetE1EEEvSL_,"axG",@progbits,_ZN7rocprim17ROCPRIM_400000_NS6detail17trampoline_kernelINS0_14default_configENS1_38merge_sort_block_merge_config_selectorIsNS0_10empty_typeEEEZZNS1_27merge_sort_block_merge_implIS3_N6thrust23THRUST_200600_302600_NS6detail15normal_iteratorINS9_10device_ptrIsEEEEPS5_jNS1_19radix_merge_compareILb0ELb1EsNS0_19identity_decomposerEEEEE10hipError_tT0_T1_T2_jT3_P12ihipStream_tbPNSt15iterator_traitsISK_E10value_typeEPNSQ_ISL_E10value_typeEPSM_NS1_7vsmem_tEENKUlT_SK_SL_SM_E_clIPsSE_SF_SF_EESJ_SZ_SK_SL_SM_EUlSZ_E1_NS1_11comp_targetILNS1_3genE3ELNS1_11target_archE908ELNS1_3gpuE7ELNS1_3repE0EEENS1_36merge_oddeven_config_static_selectorELNS0_4arch9wavefront6targetE1EEEvSL_,comdat
.Lfunc_end1895:
	.size	_ZN7rocprim17ROCPRIM_400000_NS6detail17trampoline_kernelINS0_14default_configENS1_38merge_sort_block_merge_config_selectorIsNS0_10empty_typeEEEZZNS1_27merge_sort_block_merge_implIS3_N6thrust23THRUST_200600_302600_NS6detail15normal_iteratorINS9_10device_ptrIsEEEEPS5_jNS1_19radix_merge_compareILb0ELb1EsNS0_19identity_decomposerEEEEE10hipError_tT0_T1_T2_jT3_P12ihipStream_tbPNSt15iterator_traitsISK_E10value_typeEPNSQ_ISL_E10value_typeEPSM_NS1_7vsmem_tEENKUlT_SK_SL_SM_E_clIPsSE_SF_SF_EESJ_SZ_SK_SL_SM_EUlSZ_E1_NS1_11comp_targetILNS1_3genE3ELNS1_11target_archE908ELNS1_3gpuE7ELNS1_3repE0EEENS1_36merge_oddeven_config_static_selectorELNS0_4arch9wavefront6targetE1EEEvSL_, .Lfunc_end1895-_ZN7rocprim17ROCPRIM_400000_NS6detail17trampoline_kernelINS0_14default_configENS1_38merge_sort_block_merge_config_selectorIsNS0_10empty_typeEEEZZNS1_27merge_sort_block_merge_implIS3_N6thrust23THRUST_200600_302600_NS6detail15normal_iteratorINS9_10device_ptrIsEEEEPS5_jNS1_19radix_merge_compareILb0ELb1EsNS0_19identity_decomposerEEEEE10hipError_tT0_T1_T2_jT3_P12ihipStream_tbPNSt15iterator_traitsISK_E10value_typeEPNSQ_ISL_E10value_typeEPSM_NS1_7vsmem_tEENKUlT_SK_SL_SM_E_clIPsSE_SF_SF_EESJ_SZ_SK_SL_SM_EUlSZ_E1_NS1_11comp_targetILNS1_3genE3ELNS1_11target_archE908ELNS1_3gpuE7ELNS1_3repE0EEENS1_36merge_oddeven_config_static_selectorELNS0_4arch9wavefront6targetE1EEEvSL_
                                        ; -- End function
	.section	.AMDGPU.csdata,"",@progbits
; Kernel info:
; codeLenInByte = 0
; NumSgprs: 4
; NumVgprs: 0
; NumAgprs: 0
; TotalNumVgprs: 0
; ScratchSize: 0
; MemoryBound: 0
; FloatMode: 240
; IeeeMode: 1
; LDSByteSize: 0 bytes/workgroup (compile time only)
; SGPRBlocks: 0
; VGPRBlocks: 0
; NumSGPRsForWavesPerEU: 4
; NumVGPRsForWavesPerEU: 1
; AccumOffset: 4
; Occupancy: 8
; WaveLimiterHint : 0
; COMPUTE_PGM_RSRC2:SCRATCH_EN: 0
; COMPUTE_PGM_RSRC2:USER_SGPR: 6
; COMPUTE_PGM_RSRC2:TRAP_HANDLER: 0
; COMPUTE_PGM_RSRC2:TGID_X_EN: 1
; COMPUTE_PGM_RSRC2:TGID_Y_EN: 0
; COMPUTE_PGM_RSRC2:TGID_Z_EN: 0
; COMPUTE_PGM_RSRC2:TIDIG_COMP_CNT: 0
; COMPUTE_PGM_RSRC3_GFX90A:ACCUM_OFFSET: 0
; COMPUTE_PGM_RSRC3_GFX90A:TG_SPLIT: 0
	.section	.text._ZN7rocprim17ROCPRIM_400000_NS6detail17trampoline_kernelINS0_14default_configENS1_38merge_sort_block_merge_config_selectorIsNS0_10empty_typeEEEZZNS1_27merge_sort_block_merge_implIS3_N6thrust23THRUST_200600_302600_NS6detail15normal_iteratorINS9_10device_ptrIsEEEEPS5_jNS1_19radix_merge_compareILb0ELb1EsNS0_19identity_decomposerEEEEE10hipError_tT0_T1_T2_jT3_P12ihipStream_tbPNSt15iterator_traitsISK_E10value_typeEPNSQ_ISL_E10value_typeEPSM_NS1_7vsmem_tEENKUlT_SK_SL_SM_E_clIPsSE_SF_SF_EESJ_SZ_SK_SL_SM_EUlSZ_E1_NS1_11comp_targetILNS1_3genE2ELNS1_11target_archE906ELNS1_3gpuE6ELNS1_3repE0EEENS1_36merge_oddeven_config_static_selectorELNS0_4arch9wavefront6targetE1EEEvSL_,"axG",@progbits,_ZN7rocprim17ROCPRIM_400000_NS6detail17trampoline_kernelINS0_14default_configENS1_38merge_sort_block_merge_config_selectorIsNS0_10empty_typeEEEZZNS1_27merge_sort_block_merge_implIS3_N6thrust23THRUST_200600_302600_NS6detail15normal_iteratorINS9_10device_ptrIsEEEEPS5_jNS1_19radix_merge_compareILb0ELb1EsNS0_19identity_decomposerEEEEE10hipError_tT0_T1_T2_jT3_P12ihipStream_tbPNSt15iterator_traitsISK_E10value_typeEPNSQ_ISL_E10value_typeEPSM_NS1_7vsmem_tEENKUlT_SK_SL_SM_E_clIPsSE_SF_SF_EESJ_SZ_SK_SL_SM_EUlSZ_E1_NS1_11comp_targetILNS1_3genE2ELNS1_11target_archE906ELNS1_3gpuE6ELNS1_3repE0EEENS1_36merge_oddeven_config_static_selectorELNS0_4arch9wavefront6targetE1EEEvSL_,comdat
	.protected	_ZN7rocprim17ROCPRIM_400000_NS6detail17trampoline_kernelINS0_14default_configENS1_38merge_sort_block_merge_config_selectorIsNS0_10empty_typeEEEZZNS1_27merge_sort_block_merge_implIS3_N6thrust23THRUST_200600_302600_NS6detail15normal_iteratorINS9_10device_ptrIsEEEEPS5_jNS1_19radix_merge_compareILb0ELb1EsNS0_19identity_decomposerEEEEE10hipError_tT0_T1_T2_jT3_P12ihipStream_tbPNSt15iterator_traitsISK_E10value_typeEPNSQ_ISL_E10value_typeEPSM_NS1_7vsmem_tEENKUlT_SK_SL_SM_E_clIPsSE_SF_SF_EESJ_SZ_SK_SL_SM_EUlSZ_E1_NS1_11comp_targetILNS1_3genE2ELNS1_11target_archE906ELNS1_3gpuE6ELNS1_3repE0EEENS1_36merge_oddeven_config_static_selectorELNS0_4arch9wavefront6targetE1EEEvSL_ ; -- Begin function _ZN7rocprim17ROCPRIM_400000_NS6detail17trampoline_kernelINS0_14default_configENS1_38merge_sort_block_merge_config_selectorIsNS0_10empty_typeEEEZZNS1_27merge_sort_block_merge_implIS3_N6thrust23THRUST_200600_302600_NS6detail15normal_iteratorINS9_10device_ptrIsEEEEPS5_jNS1_19radix_merge_compareILb0ELb1EsNS0_19identity_decomposerEEEEE10hipError_tT0_T1_T2_jT3_P12ihipStream_tbPNSt15iterator_traitsISK_E10value_typeEPNSQ_ISL_E10value_typeEPSM_NS1_7vsmem_tEENKUlT_SK_SL_SM_E_clIPsSE_SF_SF_EESJ_SZ_SK_SL_SM_EUlSZ_E1_NS1_11comp_targetILNS1_3genE2ELNS1_11target_archE906ELNS1_3gpuE6ELNS1_3repE0EEENS1_36merge_oddeven_config_static_selectorELNS0_4arch9wavefront6targetE1EEEvSL_
	.globl	_ZN7rocprim17ROCPRIM_400000_NS6detail17trampoline_kernelINS0_14default_configENS1_38merge_sort_block_merge_config_selectorIsNS0_10empty_typeEEEZZNS1_27merge_sort_block_merge_implIS3_N6thrust23THRUST_200600_302600_NS6detail15normal_iteratorINS9_10device_ptrIsEEEEPS5_jNS1_19radix_merge_compareILb0ELb1EsNS0_19identity_decomposerEEEEE10hipError_tT0_T1_T2_jT3_P12ihipStream_tbPNSt15iterator_traitsISK_E10value_typeEPNSQ_ISL_E10value_typeEPSM_NS1_7vsmem_tEENKUlT_SK_SL_SM_E_clIPsSE_SF_SF_EESJ_SZ_SK_SL_SM_EUlSZ_E1_NS1_11comp_targetILNS1_3genE2ELNS1_11target_archE906ELNS1_3gpuE6ELNS1_3repE0EEENS1_36merge_oddeven_config_static_selectorELNS0_4arch9wavefront6targetE1EEEvSL_
	.p2align	8
	.type	_ZN7rocprim17ROCPRIM_400000_NS6detail17trampoline_kernelINS0_14default_configENS1_38merge_sort_block_merge_config_selectorIsNS0_10empty_typeEEEZZNS1_27merge_sort_block_merge_implIS3_N6thrust23THRUST_200600_302600_NS6detail15normal_iteratorINS9_10device_ptrIsEEEEPS5_jNS1_19radix_merge_compareILb0ELb1EsNS0_19identity_decomposerEEEEE10hipError_tT0_T1_T2_jT3_P12ihipStream_tbPNSt15iterator_traitsISK_E10value_typeEPNSQ_ISL_E10value_typeEPSM_NS1_7vsmem_tEENKUlT_SK_SL_SM_E_clIPsSE_SF_SF_EESJ_SZ_SK_SL_SM_EUlSZ_E1_NS1_11comp_targetILNS1_3genE2ELNS1_11target_archE906ELNS1_3gpuE6ELNS1_3repE0EEENS1_36merge_oddeven_config_static_selectorELNS0_4arch9wavefront6targetE1EEEvSL_,@function
_ZN7rocprim17ROCPRIM_400000_NS6detail17trampoline_kernelINS0_14default_configENS1_38merge_sort_block_merge_config_selectorIsNS0_10empty_typeEEEZZNS1_27merge_sort_block_merge_implIS3_N6thrust23THRUST_200600_302600_NS6detail15normal_iteratorINS9_10device_ptrIsEEEEPS5_jNS1_19radix_merge_compareILb0ELb1EsNS0_19identity_decomposerEEEEE10hipError_tT0_T1_T2_jT3_P12ihipStream_tbPNSt15iterator_traitsISK_E10value_typeEPNSQ_ISL_E10value_typeEPSM_NS1_7vsmem_tEENKUlT_SK_SL_SM_E_clIPsSE_SF_SF_EESJ_SZ_SK_SL_SM_EUlSZ_E1_NS1_11comp_targetILNS1_3genE2ELNS1_11target_archE906ELNS1_3gpuE6ELNS1_3repE0EEENS1_36merge_oddeven_config_static_selectorELNS0_4arch9wavefront6targetE1EEEvSL_: ; @_ZN7rocprim17ROCPRIM_400000_NS6detail17trampoline_kernelINS0_14default_configENS1_38merge_sort_block_merge_config_selectorIsNS0_10empty_typeEEEZZNS1_27merge_sort_block_merge_implIS3_N6thrust23THRUST_200600_302600_NS6detail15normal_iteratorINS9_10device_ptrIsEEEEPS5_jNS1_19radix_merge_compareILb0ELb1EsNS0_19identity_decomposerEEEEE10hipError_tT0_T1_T2_jT3_P12ihipStream_tbPNSt15iterator_traitsISK_E10value_typeEPNSQ_ISL_E10value_typeEPSM_NS1_7vsmem_tEENKUlT_SK_SL_SM_E_clIPsSE_SF_SF_EESJ_SZ_SK_SL_SM_EUlSZ_E1_NS1_11comp_targetILNS1_3genE2ELNS1_11target_archE906ELNS1_3gpuE6ELNS1_3repE0EEENS1_36merge_oddeven_config_static_selectorELNS0_4arch9wavefront6targetE1EEEvSL_
; %bb.0:
	.section	.rodata,"a",@progbits
	.p2align	6, 0x0
	.amdhsa_kernel _ZN7rocprim17ROCPRIM_400000_NS6detail17trampoline_kernelINS0_14default_configENS1_38merge_sort_block_merge_config_selectorIsNS0_10empty_typeEEEZZNS1_27merge_sort_block_merge_implIS3_N6thrust23THRUST_200600_302600_NS6detail15normal_iteratorINS9_10device_ptrIsEEEEPS5_jNS1_19radix_merge_compareILb0ELb1EsNS0_19identity_decomposerEEEEE10hipError_tT0_T1_T2_jT3_P12ihipStream_tbPNSt15iterator_traitsISK_E10value_typeEPNSQ_ISL_E10value_typeEPSM_NS1_7vsmem_tEENKUlT_SK_SL_SM_E_clIPsSE_SF_SF_EESJ_SZ_SK_SL_SM_EUlSZ_E1_NS1_11comp_targetILNS1_3genE2ELNS1_11target_archE906ELNS1_3gpuE6ELNS1_3repE0EEENS1_36merge_oddeven_config_static_selectorELNS0_4arch9wavefront6targetE1EEEvSL_
		.amdhsa_group_segment_fixed_size 0
		.amdhsa_private_segment_fixed_size 0
		.amdhsa_kernarg_size 48
		.amdhsa_user_sgpr_count 6
		.amdhsa_user_sgpr_private_segment_buffer 1
		.amdhsa_user_sgpr_dispatch_ptr 0
		.amdhsa_user_sgpr_queue_ptr 0
		.amdhsa_user_sgpr_kernarg_segment_ptr 1
		.amdhsa_user_sgpr_dispatch_id 0
		.amdhsa_user_sgpr_flat_scratch_init 0
		.amdhsa_user_sgpr_kernarg_preload_length 0
		.amdhsa_user_sgpr_kernarg_preload_offset 0
		.amdhsa_user_sgpr_private_segment_size 0
		.amdhsa_uses_dynamic_stack 0
		.amdhsa_system_sgpr_private_segment_wavefront_offset 0
		.amdhsa_system_sgpr_workgroup_id_x 1
		.amdhsa_system_sgpr_workgroup_id_y 0
		.amdhsa_system_sgpr_workgroup_id_z 0
		.amdhsa_system_sgpr_workgroup_info 0
		.amdhsa_system_vgpr_workitem_id 0
		.amdhsa_next_free_vgpr 1
		.amdhsa_next_free_sgpr 0
		.amdhsa_accum_offset 4
		.amdhsa_reserve_vcc 0
		.amdhsa_reserve_flat_scratch 0
		.amdhsa_float_round_mode_32 0
		.amdhsa_float_round_mode_16_64 0
		.amdhsa_float_denorm_mode_32 3
		.amdhsa_float_denorm_mode_16_64 3
		.amdhsa_dx10_clamp 1
		.amdhsa_ieee_mode 1
		.amdhsa_fp16_overflow 0
		.amdhsa_tg_split 0
		.amdhsa_exception_fp_ieee_invalid_op 0
		.amdhsa_exception_fp_denorm_src 0
		.amdhsa_exception_fp_ieee_div_zero 0
		.amdhsa_exception_fp_ieee_overflow 0
		.amdhsa_exception_fp_ieee_underflow 0
		.amdhsa_exception_fp_ieee_inexact 0
		.amdhsa_exception_int_div_zero 0
	.end_amdhsa_kernel
	.section	.text._ZN7rocprim17ROCPRIM_400000_NS6detail17trampoline_kernelINS0_14default_configENS1_38merge_sort_block_merge_config_selectorIsNS0_10empty_typeEEEZZNS1_27merge_sort_block_merge_implIS3_N6thrust23THRUST_200600_302600_NS6detail15normal_iteratorINS9_10device_ptrIsEEEEPS5_jNS1_19radix_merge_compareILb0ELb1EsNS0_19identity_decomposerEEEEE10hipError_tT0_T1_T2_jT3_P12ihipStream_tbPNSt15iterator_traitsISK_E10value_typeEPNSQ_ISL_E10value_typeEPSM_NS1_7vsmem_tEENKUlT_SK_SL_SM_E_clIPsSE_SF_SF_EESJ_SZ_SK_SL_SM_EUlSZ_E1_NS1_11comp_targetILNS1_3genE2ELNS1_11target_archE906ELNS1_3gpuE6ELNS1_3repE0EEENS1_36merge_oddeven_config_static_selectorELNS0_4arch9wavefront6targetE1EEEvSL_,"axG",@progbits,_ZN7rocprim17ROCPRIM_400000_NS6detail17trampoline_kernelINS0_14default_configENS1_38merge_sort_block_merge_config_selectorIsNS0_10empty_typeEEEZZNS1_27merge_sort_block_merge_implIS3_N6thrust23THRUST_200600_302600_NS6detail15normal_iteratorINS9_10device_ptrIsEEEEPS5_jNS1_19radix_merge_compareILb0ELb1EsNS0_19identity_decomposerEEEEE10hipError_tT0_T1_T2_jT3_P12ihipStream_tbPNSt15iterator_traitsISK_E10value_typeEPNSQ_ISL_E10value_typeEPSM_NS1_7vsmem_tEENKUlT_SK_SL_SM_E_clIPsSE_SF_SF_EESJ_SZ_SK_SL_SM_EUlSZ_E1_NS1_11comp_targetILNS1_3genE2ELNS1_11target_archE906ELNS1_3gpuE6ELNS1_3repE0EEENS1_36merge_oddeven_config_static_selectorELNS0_4arch9wavefront6targetE1EEEvSL_,comdat
.Lfunc_end1896:
	.size	_ZN7rocprim17ROCPRIM_400000_NS6detail17trampoline_kernelINS0_14default_configENS1_38merge_sort_block_merge_config_selectorIsNS0_10empty_typeEEEZZNS1_27merge_sort_block_merge_implIS3_N6thrust23THRUST_200600_302600_NS6detail15normal_iteratorINS9_10device_ptrIsEEEEPS5_jNS1_19radix_merge_compareILb0ELb1EsNS0_19identity_decomposerEEEEE10hipError_tT0_T1_T2_jT3_P12ihipStream_tbPNSt15iterator_traitsISK_E10value_typeEPNSQ_ISL_E10value_typeEPSM_NS1_7vsmem_tEENKUlT_SK_SL_SM_E_clIPsSE_SF_SF_EESJ_SZ_SK_SL_SM_EUlSZ_E1_NS1_11comp_targetILNS1_3genE2ELNS1_11target_archE906ELNS1_3gpuE6ELNS1_3repE0EEENS1_36merge_oddeven_config_static_selectorELNS0_4arch9wavefront6targetE1EEEvSL_, .Lfunc_end1896-_ZN7rocprim17ROCPRIM_400000_NS6detail17trampoline_kernelINS0_14default_configENS1_38merge_sort_block_merge_config_selectorIsNS0_10empty_typeEEEZZNS1_27merge_sort_block_merge_implIS3_N6thrust23THRUST_200600_302600_NS6detail15normal_iteratorINS9_10device_ptrIsEEEEPS5_jNS1_19radix_merge_compareILb0ELb1EsNS0_19identity_decomposerEEEEE10hipError_tT0_T1_T2_jT3_P12ihipStream_tbPNSt15iterator_traitsISK_E10value_typeEPNSQ_ISL_E10value_typeEPSM_NS1_7vsmem_tEENKUlT_SK_SL_SM_E_clIPsSE_SF_SF_EESJ_SZ_SK_SL_SM_EUlSZ_E1_NS1_11comp_targetILNS1_3genE2ELNS1_11target_archE906ELNS1_3gpuE6ELNS1_3repE0EEENS1_36merge_oddeven_config_static_selectorELNS0_4arch9wavefront6targetE1EEEvSL_
                                        ; -- End function
	.section	.AMDGPU.csdata,"",@progbits
; Kernel info:
; codeLenInByte = 0
; NumSgprs: 4
; NumVgprs: 0
; NumAgprs: 0
; TotalNumVgprs: 0
; ScratchSize: 0
; MemoryBound: 0
; FloatMode: 240
; IeeeMode: 1
; LDSByteSize: 0 bytes/workgroup (compile time only)
; SGPRBlocks: 0
; VGPRBlocks: 0
; NumSGPRsForWavesPerEU: 4
; NumVGPRsForWavesPerEU: 1
; AccumOffset: 4
; Occupancy: 8
; WaveLimiterHint : 0
; COMPUTE_PGM_RSRC2:SCRATCH_EN: 0
; COMPUTE_PGM_RSRC2:USER_SGPR: 6
; COMPUTE_PGM_RSRC2:TRAP_HANDLER: 0
; COMPUTE_PGM_RSRC2:TGID_X_EN: 1
; COMPUTE_PGM_RSRC2:TGID_Y_EN: 0
; COMPUTE_PGM_RSRC2:TGID_Z_EN: 0
; COMPUTE_PGM_RSRC2:TIDIG_COMP_CNT: 0
; COMPUTE_PGM_RSRC3_GFX90A:ACCUM_OFFSET: 0
; COMPUTE_PGM_RSRC3_GFX90A:TG_SPLIT: 0
	.section	.text._ZN7rocprim17ROCPRIM_400000_NS6detail17trampoline_kernelINS0_14default_configENS1_38merge_sort_block_merge_config_selectorIsNS0_10empty_typeEEEZZNS1_27merge_sort_block_merge_implIS3_N6thrust23THRUST_200600_302600_NS6detail15normal_iteratorINS9_10device_ptrIsEEEEPS5_jNS1_19radix_merge_compareILb0ELb1EsNS0_19identity_decomposerEEEEE10hipError_tT0_T1_T2_jT3_P12ihipStream_tbPNSt15iterator_traitsISK_E10value_typeEPNSQ_ISL_E10value_typeEPSM_NS1_7vsmem_tEENKUlT_SK_SL_SM_E_clIPsSE_SF_SF_EESJ_SZ_SK_SL_SM_EUlSZ_E1_NS1_11comp_targetILNS1_3genE9ELNS1_11target_archE1100ELNS1_3gpuE3ELNS1_3repE0EEENS1_36merge_oddeven_config_static_selectorELNS0_4arch9wavefront6targetE1EEEvSL_,"axG",@progbits,_ZN7rocprim17ROCPRIM_400000_NS6detail17trampoline_kernelINS0_14default_configENS1_38merge_sort_block_merge_config_selectorIsNS0_10empty_typeEEEZZNS1_27merge_sort_block_merge_implIS3_N6thrust23THRUST_200600_302600_NS6detail15normal_iteratorINS9_10device_ptrIsEEEEPS5_jNS1_19radix_merge_compareILb0ELb1EsNS0_19identity_decomposerEEEEE10hipError_tT0_T1_T2_jT3_P12ihipStream_tbPNSt15iterator_traitsISK_E10value_typeEPNSQ_ISL_E10value_typeEPSM_NS1_7vsmem_tEENKUlT_SK_SL_SM_E_clIPsSE_SF_SF_EESJ_SZ_SK_SL_SM_EUlSZ_E1_NS1_11comp_targetILNS1_3genE9ELNS1_11target_archE1100ELNS1_3gpuE3ELNS1_3repE0EEENS1_36merge_oddeven_config_static_selectorELNS0_4arch9wavefront6targetE1EEEvSL_,comdat
	.protected	_ZN7rocprim17ROCPRIM_400000_NS6detail17trampoline_kernelINS0_14default_configENS1_38merge_sort_block_merge_config_selectorIsNS0_10empty_typeEEEZZNS1_27merge_sort_block_merge_implIS3_N6thrust23THRUST_200600_302600_NS6detail15normal_iteratorINS9_10device_ptrIsEEEEPS5_jNS1_19radix_merge_compareILb0ELb1EsNS0_19identity_decomposerEEEEE10hipError_tT0_T1_T2_jT3_P12ihipStream_tbPNSt15iterator_traitsISK_E10value_typeEPNSQ_ISL_E10value_typeEPSM_NS1_7vsmem_tEENKUlT_SK_SL_SM_E_clIPsSE_SF_SF_EESJ_SZ_SK_SL_SM_EUlSZ_E1_NS1_11comp_targetILNS1_3genE9ELNS1_11target_archE1100ELNS1_3gpuE3ELNS1_3repE0EEENS1_36merge_oddeven_config_static_selectorELNS0_4arch9wavefront6targetE1EEEvSL_ ; -- Begin function _ZN7rocprim17ROCPRIM_400000_NS6detail17trampoline_kernelINS0_14default_configENS1_38merge_sort_block_merge_config_selectorIsNS0_10empty_typeEEEZZNS1_27merge_sort_block_merge_implIS3_N6thrust23THRUST_200600_302600_NS6detail15normal_iteratorINS9_10device_ptrIsEEEEPS5_jNS1_19radix_merge_compareILb0ELb1EsNS0_19identity_decomposerEEEEE10hipError_tT0_T1_T2_jT3_P12ihipStream_tbPNSt15iterator_traitsISK_E10value_typeEPNSQ_ISL_E10value_typeEPSM_NS1_7vsmem_tEENKUlT_SK_SL_SM_E_clIPsSE_SF_SF_EESJ_SZ_SK_SL_SM_EUlSZ_E1_NS1_11comp_targetILNS1_3genE9ELNS1_11target_archE1100ELNS1_3gpuE3ELNS1_3repE0EEENS1_36merge_oddeven_config_static_selectorELNS0_4arch9wavefront6targetE1EEEvSL_
	.globl	_ZN7rocprim17ROCPRIM_400000_NS6detail17trampoline_kernelINS0_14default_configENS1_38merge_sort_block_merge_config_selectorIsNS0_10empty_typeEEEZZNS1_27merge_sort_block_merge_implIS3_N6thrust23THRUST_200600_302600_NS6detail15normal_iteratorINS9_10device_ptrIsEEEEPS5_jNS1_19radix_merge_compareILb0ELb1EsNS0_19identity_decomposerEEEEE10hipError_tT0_T1_T2_jT3_P12ihipStream_tbPNSt15iterator_traitsISK_E10value_typeEPNSQ_ISL_E10value_typeEPSM_NS1_7vsmem_tEENKUlT_SK_SL_SM_E_clIPsSE_SF_SF_EESJ_SZ_SK_SL_SM_EUlSZ_E1_NS1_11comp_targetILNS1_3genE9ELNS1_11target_archE1100ELNS1_3gpuE3ELNS1_3repE0EEENS1_36merge_oddeven_config_static_selectorELNS0_4arch9wavefront6targetE1EEEvSL_
	.p2align	8
	.type	_ZN7rocprim17ROCPRIM_400000_NS6detail17trampoline_kernelINS0_14default_configENS1_38merge_sort_block_merge_config_selectorIsNS0_10empty_typeEEEZZNS1_27merge_sort_block_merge_implIS3_N6thrust23THRUST_200600_302600_NS6detail15normal_iteratorINS9_10device_ptrIsEEEEPS5_jNS1_19radix_merge_compareILb0ELb1EsNS0_19identity_decomposerEEEEE10hipError_tT0_T1_T2_jT3_P12ihipStream_tbPNSt15iterator_traitsISK_E10value_typeEPNSQ_ISL_E10value_typeEPSM_NS1_7vsmem_tEENKUlT_SK_SL_SM_E_clIPsSE_SF_SF_EESJ_SZ_SK_SL_SM_EUlSZ_E1_NS1_11comp_targetILNS1_3genE9ELNS1_11target_archE1100ELNS1_3gpuE3ELNS1_3repE0EEENS1_36merge_oddeven_config_static_selectorELNS0_4arch9wavefront6targetE1EEEvSL_,@function
_ZN7rocprim17ROCPRIM_400000_NS6detail17trampoline_kernelINS0_14default_configENS1_38merge_sort_block_merge_config_selectorIsNS0_10empty_typeEEEZZNS1_27merge_sort_block_merge_implIS3_N6thrust23THRUST_200600_302600_NS6detail15normal_iteratorINS9_10device_ptrIsEEEEPS5_jNS1_19radix_merge_compareILb0ELb1EsNS0_19identity_decomposerEEEEE10hipError_tT0_T1_T2_jT3_P12ihipStream_tbPNSt15iterator_traitsISK_E10value_typeEPNSQ_ISL_E10value_typeEPSM_NS1_7vsmem_tEENKUlT_SK_SL_SM_E_clIPsSE_SF_SF_EESJ_SZ_SK_SL_SM_EUlSZ_E1_NS1_11comp_targetILNS1_3genE9ELNS1_11target_archE1100ELNS1_3gpuE3ELNS1_3repE0EEENS1_36merge_oddeven_config_static_selectorELNS0_4arch9wavefront6targetE1EEEvSL_: ; @_ZN7rocprim17ROCPRIM_400000_NS6detail17trampoline_kernelINS0_14default_configENS1_38merge_sort_block_merge_config_selectorIsNS0_10empty_typeEEEZZNS1_27merge_sort_block_merge_implIS3_N6thrust23THRUST_200600_302600_NS6detail15normal_iteratorINS9_10device_ptrIsEEEEPS5_jNS1_19radix_merge_compareILb0ELb1EsNS0_19identity_decomposerEEEEE10hipError_tT0_T1_T2_jT3_P12ihipStream_tbPNSt15iterator_traitsISK_E10value_typeEPNSQ_ISL_E10value_typeEPSM_NS1_7vsmem_tEENKUlT_SK_SL_SM_E_clIPsSE_SF_SF_EESJ_SZ_SK_SL_SM_EUlSZ_E1_NS1_11comp_targetILNS1_3genE9ELNS1_11target_archE1100ELNS1_3gpuE3ELNS1_3repE0EEENS1_36merge_oddeven_config_static_selectorELNS0_4arch9wavefront6targetE1EEEvSL_
; %bb.0:
	.section	.rodata,"a",@progbits
	.p2align	6, 0x0
	.amdhsa_kernel _ZN7rocprim17ROCPRIM_400000_NS6detail17trampoline_kernelINS0_14default_configENS1_38merge_sort_block_merge_config_selectorIsNS0_10empty_typeEEEZZNS1_27merge_sort_block_merge_implIS3_N6thrust23THRUST_200600_302600_NS6detail15normal_iteratorINS9_10device_ptrIsEEEEPS5_jNS1_19radix_merge_compareILb0ELb1EsNS0_19identity_decomposerEEEEE10hipError_tT0_T1_T2_jT3_P12ihipStream_tbPNSt15iterator_traitsISK_E10value_typeEPNSQ_ISL_E10value_typeEPSM_NS1_7vsmem_tEENKUlT_SK_SL_SM_E_clIPsSE_SF_SF_EESJ_SZ_SK_SL_SM_EUlSZ_E1_NS1_11comp_targetILNS1_3genE9ELNS1_11target_archE1100ELNS1_3gpuE3ELNS1_3repE0EEENS1_36merge_oddeven_config_static_selectorELNS0_4arch9wavefront6targetE1EEEvSL_
		.amdhsa_group_segment_fixed_size 0
		.amdhsa_private_segment_fixed_size 0
		.amdhsa_kernarg_size 48
		.amdhsa_user_sgpr_count 6
		.amdhsa_user_sgpr_private_segment_buffer 1
		.amdhsa_user_sgpr_dispatch_ptr 0
		.amdhsa_user_sgpr_queue_ptr 0
		.amdhsa_user_sgpr_kernarg_segment_ptr 1
		.amdhsa_user_sgpr_dispatch_id 0
		.amdhsa_user_sgpr_flat_scratch_init 0
		.amdhsa_user_sgpr_kernarg_preload_length 0
		.amdhsa_user_sgpr_kernarg_preload_offset 0
		.amdhsa_user_sgpr_private_segment_size 0
		.amdhsa_uses_dynamic_stack 0
		.amdhsa_system_sgpr_private_segment_wavefront_offset 0
		.amdhsa_system_sgpr_workgroup_id_x 1
		.amdhsa_system_sgpr_workgroup_id_y 0
		.amdhsa_system_sgpr_workgroup_id_z 0
		.amdhsa_system_sgpr_workgroup_info 0
		.amdhsa_system_vgpr_workitem_id 0
		.amdhsa_next_free_vgpr 1
		.amdhsa_next_free_sgpr 0
		.amdhsa_accum_offset 4
		.amdhsa_reserve_vcc 0
		.amdhsa_reserve_flat_scratch 0
		.amdhsa_float_round_mode_32 0
		.amdhsa_float_round_mode_16_64 0
		.amdhsa_float_denorm_mode_32 3
		.amdhsa_float_denorm_mode_16_64 3
		.amdhsa_dx10_clamp 1
		.amdhsa_ieee_mode 1
		.amdhsa_fp16_overflow 0
		.amdhsa_tg_split 0
		.amdhsa_exception_fp_ieee_invalid_op 0
		.amdhsa_exception_fp_denorm_src 0
		.amdhsa_exception_fp_ieee_div_zero 0
		.amdhsa_exception_fp_ieee_overflow 0
		.amdhsa_exception_fp_ieee_underflow 0
		.amdhsa_exception_fp_ieee_inexact 0
		.amdhsa_exception_int_div_zero 0
	.end_amdhsa_kernel
	.section	.text._ZN7rocprim17ROCPRIM_400000_NS6detail17trampoline_kernelINS0_14default_configENS1_38merge_sort_block_merge_config_selectorIsNS0_10empty_typeEEEZZNS1_27merge_sort_block_merge_implIS3_N6thrust23THRUST_200600_302600_NS6detail15normal_iteratorINS9_10device_ptrIsEEEEPS5_jNS1_19radix_merge_compareILb0ELb1EsNS0_19identity_decomposerEEEEE10hipError_tT0_T1_T2_jT3_P12ihipStream_tbPNSt15iterator_traitsISK_E10value_typeEPNSQ_ISL_E10value_typeEPSM_NS1_7vsmem_tEENKUlT_SK_SL_SM_E_clIPsSE_SF_SF_EESJ_SZ_SK_SL_SM_EUlSZ_E1_NS1_11comp_targetILNS1_3genE9ELNS1_11target_archE1100ELNS1_3gpuE3ELNS1_3repE0EEENS1_36merge_oddeven_config_static_selectorELNS0_4arch9wavefront6targetE1EEEvSL_,"axG",@progbits,_ZN7rocprim17ROCPRIM_400000_NS6detail17trampoline_kernelINS0_14default_configENS1_38merge_sort_block_merge_config_selectorIsNS0_10empty_typeEEEZZNS1_27merge_sort_block_merge_implIS3_N6thrust23THRUST_200600_302600_NS6detail15normal_iteratorINS9_10device_ptrIsEEEEPS5_jNS1_19radix_merge_compareILb0ELb1EsNS0_19identity_decomposerEEEEE10hipError_tT0_T1_T2_jT3_P12ihipStream_tbPNSt15iterator_traitsISK_E10value_typeEPNSQ_ISL_E10value_typeEPSM_NS1_7vsmem_tEENKUlT_SK_SL_SM_E_clIPsSE_SF_SF_EESJ_SZ_SK_SL_SM_EUlSZ_E1_NS1_11comp_targetILNS1_3genE9ELNS1_11target_archE1100ELNS1_3gpuE3ELNS1_3repE0EEENS1_36merge_oddeven_config_static_selectorELNS0_4arch9wavefront6targetE1EEEvSL_,comdat
.Lfunc_end1897:
	.size	_ZN7rocprim17ROCPRIM_400000_NS6detail17trampoline_kernelINS0_14default_configENS1_38merge_sort_block_merge_config_selectorIsNS0_10empty_typeEEEZZNS1_27merge_sort_block_merge_implIS3_N6thrust23THRUST_200600_302600_NS6detail15normal_iteratorINS9_10device_ptrIsEEEEPS5_jNS1_19radix_merge_compareILb0ELb1EsNS0_19identity_decomposerEEEEE10hipError_tT0_T1_T2_jT3_P12ihipStream_tbPNSt15iterator_traitsISK_E10value_typeEPNSQ_ISL_E10value_typeEPSM_NS1_7vsmem_tEENKUlT_SK_SL_SM_E_clIPsSE_SF_SF_EESJ_SZ_SK_SL_SM_EUlSZ_E1_NS1_11comp_targetILNS1_3genE9ELNS1_11target_archE1100ELNS1_3gpuE3ELNS1_3repE0EEENS1_36merge_oddeven_config_static_selectorELNS0_4arch9wavefront6targetE1EEEvSL_, .Lfunc_end1897-_ZN7rocprim17ROCPRIM_400000_NS6detail17trampoline_kernelINS0_14default_configENS1_38merge_sort_block_merge_config_selectorIsNS0_10empty_typeEEEZZNS1_27merge_sort_block_merge_implIS3_N6thrust23THRUST_200600_302600_NS6detail15normal_iteratorINS9_10device_ptrIsEEEEPS5_jNS1_19radix_merge_compareILb0ELb1EsNS0_19identity_decomposerEEEEE10hipError_tT0_T1_T2_jT3_P12ihipStream_tbPNSt15iterator_traitsISK_E10value_typeEPNSQ_ISL_E10value_typeEPSM_NS1_7vsmem_tEENKUlT_SK_SL_SM_E_clIPsSE_SF_SF_EESJ_SZ_SK_SL_SM_EUlSZ_E1_NS1_11comp_targetILNS1_3genE9ELNS1_11target_archE1100ELNS1_3gpuE3ELNS1_3repE0EEENS1_36merge_oddeven_config_static_selectorELNS0_4arch9wavefront6targetE1EEEvSL_
                                        ; -- End function
	.section	.AMDGPU.csdata,"",@progbits
; Kernel info:
; codeLenInByte = 0
; NumSgprs: 4
; NumVgprs: 0
; NumAgprs: 0
; TotalNumVgprs: 0
; ScratchSize: 0
; MemoryBound: 0
; FloatMode: 240
; IeeeMode: 1
; LDSByteSize: 0 bytes/workgroup (compile time only)
; SGPRBlocks: 0
; VGPRBlocks: 0
; NumSGPRsForWavesPerEU: 4
; NumVGPRsForWavesPerEU: 1
; AccumOffset: 4
; Occupancy: 8
; WaveLimiterHint : 0
; COMPUTE_PGM_RSRC2:SCRATCH_EN: 0
; COMPUTE_PGM_RSRC2:USER_SGPR: 6
; COMPUTE_PGM_RSRC2:TRAP_HANDLER: 0
; COMPUTE_PGM_RSRC2:TGID_X_EN: 1
; COMPUTE_PGM_RSRC2:TGID_Y_EN: 0
; COMPUTE_PGM_RSRC2:TGID_Z_EN: 0
; COMPUTE_PGM_RSRC2:TIDIG_COMP_CNT: 0
; COMPUTE_PGM_RSRC3_GFX90A:ACCUM_OFFSET: 0
; COMPUTE_PGM_RSRC3_GFX90A:TG_SPLIT: 0
	.section	.text._ZN7rocprim17ROCPRIM_400000_NS6detail17trampoline_kernelINS0_14default_configENS1_38merge_sort_block_merge_config_selectorIsNS0_10empty_typeEEEZZNS1_27merge_sort_block_merge_implIS3_N6thrust23THRUST_200600_302600_NS6detail15normal_iteratorINS9_10device_ptrIsEEEEPS5_jNS1_19radix_merge_compareILb0ELb1EsNS0_19identity_decomposerEEEEE10hipError_tT0_T1_T2_jT3_P12ihipStream_tbPNSt15iterator_traitsISK_E10value_typeEPNSQ_ISL_E10value_typeEPSM_NS1_7vsmem_tEENKUlT_SK_SL_SM_E_clIPsSE_SF_SF_EESJ_SZ_SK_SL_SM_EUlSZ_E1_NS1_11comp_targetILNS1_3genE8ELNS1_11target_archE1030ELNS1_3gpuE2ELNS1_3repE0EEENS1_36merge_oddeven_config_static_selectorELNS0_4arch9wavefront6targetE1EEEvSL_,"axG",@progbits,_ZN7rocprim17ROCPRIM_400000_NS6detail17trampoline_kernelINS0_14default_configENS1_38merge_sort_block_merge_config_selectorIsNS0_10empty_typeEEEZZNS1_27merge_sort_block_merge_implIS3_N6thrust23THRUST_200600_302600_NS6detail15normal_iteratorINS9_10device_ptrIsEEEEPS5_jNS1_19radix_merge_compareILb0ELb1EsNS0_19identity_decomposerEEEEE10hipError_tT0_T1_T2_jT3_P12ihipStream_tbPNSt15iterator_traitsISK_E10value_typeEPNSQ_ISL_E10value_typeEPSM_NS1_7vsmem_tEENKUlT_SK_SL_SM_E_clIPsSE_SF_SF_EESJ_SZ_SK_SL_SM_EUlSZ_E1_NS1_11comp_targetILNS1_3genE8ELNS1_11target_archE1030ELNS1_3gpuE2ELNS1_3repE0EEENS1_36merge_oddeven_config_static_selectorELNS0_4arch9wavefront6targetE1EEEvSL_,comdat
	.protected	_ZN7rocprim17ROCPRIM_400000_NS6detail17trampoline_kernelINS0_14default_configENS1_38merge_sort_block_merge_config_selectorIsNS0_10empty_typeEEEZZNS1_27merge_sort_block_merge_implIS3_N6thrust23THRUST_200600_302600_NS6detail15normal_iteratorINS9_10device_ptrIsEEEEPS5_jNS1_19radix_merge_compareILb0ELb1EsNS0_19identity_decomposerEEEEE10hipError_tT0_T1_T2_jT3_P12ihipStream_tbPNSt15iterator_traitsISK_E10value_typeEPNSQ_ISL_E10value_typeEPSM_NS1_7vsmem_tEENKUlT_SK_SL_SM_E_clIPsSE_SF_SF_EESJ_SZ_SK_SL_SM_EUlSZ_E1_NS1_11comp_targetILNS1_3genE8ELNS1_11target_archE1030ELNS1_3gpuE2ELNS1_3repE0EEENS1_36merge_oddeven_config_static_selectorELNS0_4arch9wavefront6targetE1EEEvSL_ ; -- Begin function _ZN7rocprim17ROCPRIM_400000_NS6detail17trampoline_kernelINS0_14default_configENS1_38merge_sort_block_merge_config_selectorIsNS0_10empty_typeEEEZZNS1_27merge_sort_block_merge_implIS3_N6thrust23THRUST_200600_302600_NS6detail15normal_iteratorINS9_10device_ptrIsEEEEPS5_jNS1_19radix_merge_compareILb0ELb1EsNS0_19identity_decomposerEEEEE10hipError_tT0_T1_T2_jT3_P12ihipStream_tbPNSt15iterator_traitsISK_E10value_typeEPNSQ_ISL_E10value_typeEPSM_NS1_7vsmem_tEENKUlT_SK_SL_SM_E_clIPsSE_SF_SF_EESJ_SZ_SK_SL_SM_EUlSZ_E1_NS1_11comp_targetILNS1_3genE8ELNS1_11target_archE1030ELNS1_3gpuE2ELNS1_3repE0EEENS1_36merge_oddeven_config_static_selectorELNS0_4arch9wavefront6targetE1EEEvSL_
	.globl	_ZN7rocprim17ROCPRIM_400000_NS6detail17trampoline_kernelINS0_14default_configENS1_38merge_sort_block_merge_config_selectorIsNS0_10empty_typeEEEZZNS1_27merge_sort_block_merge_implIS3_N6thrust23THRUST_200600_302600_NS6detail15normal_iteratorINS9_10device_ptrIsEEEEPS5_jNS1_19radix_merge_compareILb0ELb1EsNS0_19identity_decomposerEEEEE10hipError_tT0_T1_T2_jT3_P12ihipStream_tbPNSt15iterator_traitsISK_E10value_typeEPNSQ_ISL_E10value_typeEPSM_NS1_7vsmem_tEENKUlT_SK_SL_SM_E_clIPsSE_SF_SF_EESJ_SZ_SK_SL_SM_EUlSZ_E1_NS1_11comp_targetILNS1_3genE8ELNS1_11target_archE1030ELNS1_3gpuE2ELNS1_3repE0EEENS1_36merge_oddeven_config_static_selectorELNS0_4arch9wavefront6targetE1EEEvSL_
	.p2align	8
	.type	_ZN7rocprim17ROCPRIM_400000_NS6detail17trampoline_kernelINS0_14default_configENS1_38merge_sort_block_merge_config_selectorIsNS0_10empty_typeEEEZZNS1_27merge_sort_block_merge_implIS3_N6thrust23THRUST_200600_302600_NS6detail15normal_iteratorINS9_10device_ptrIsEEEEPS5_jNS1_19radix_merge_compareILb0ELb1EsNS0_19identity_decomposerEEEEE10hipError_tT0_T1_T2_jT3_P12ihipStream_tbPNSt15iterator_traitsISK_E10value_typeEPNSQ_ISL_E10value_typeEPSM_NS1_7vsmem_tEENKUlT_SK_SL_SM_E_clIPsSE_SF_SF_EESJ_SZ_SK_SL_SM_EUlSZ_E1_NS1_11comp_targetILNS1_3genE8ELNS1_11target_archE1030ELNS1_3gpuE2ELNS1_3repE0EEENS1_36merge_oddeven_config_static_selectorELNS0_4arch9wavefront6targetE1EEEvSL_,@function
_ZN7rocprim17ROCPRIM_400000_NS6detail17trampoline_kernelINS0_14default_configENS1_38merge_sort_block_merge_config_selectorIsNS0_10empty_typeEEEZZNS1_27merge_sort_block_merge_implIS3_N6thrust23THRUST_200600_302600_NS6detail15normal_iteratorINS9_10device_ptrIsEEEEPS5_jNS1_19radix_merge_compareILb0ELb1EsNS0_19identity_decomposerEEEEE10hipError_tT0_T1_T2_jT3_P12ihipStream_tbPNSt15iterator_traitsISK_E10value_typeEPNSQ_ISL_E10value_typeEPSM_NS1_7vsmem_tEENKUlT_SK_SL_SM_E_clIPsSE_SF_SF_EESJ_SZ_SK_SL_SM_EUlSZ_E1_NS1_11comp_targetILNS1_3genE8ELNS1_11target_archE1030ELNS1_3gpuE2ELNS1_3repE0EEENS1_36merge_oddeven_config_static_selectorELNS0_4arch9wavefront6targetE1EEEvSL_: ; @_ZN7rocprim17ROCPRIM_400000_NS6detail17trampoline_kernelINS0_14default_configENS1_38merge_sort_block_merge_config_selectorIsNS0_10empty_typeEEEZZNS1_27merge_sort_block_merge_implIS3_N6thrust23THRUST_200600_302600_NS6detail15normal_iteratorINS9_10device_ptrIsEEEEPS5_jNS1_19radix_merge_compareILb0ELb1EsNS0_19identity_decomposerEEEEE10hipError_tT0_T1_T2_jT3_P12ihipStream_tbPNSt15iterator_traitsISK_E10value_typeEPNSQ_ISL_E10value_typeEPSM_NS1_7vsmem_tEENKUlT_SK_SL_SM_E_clIPsSE_SF_SF_EESJ_SZ_SK_SL_SM_EUlSZ_E1_NS1_11comp_targetILNS1_3genE8ELNS1_11target_archE1030ELNS1_3gpuE2ELNS1_3repE0EEENS1_36merge_oddeven_config_static_selectorELNS0_4arch9wavefront6targetE1EEEvSL_
; %bb.0:
	.section	.rodata,"a",@progbits
	.p2align	6, 0x0
	.amdhsa_kernel _ZN7rocprim17ROCPRIM_400000_NS6detail17trampoline_kernelINS0_14default_configENS1_38merge_sort_block_merge_config_selectorIsNS0_10empty_typeEEEZZNS1_27merge_sort_block_merge_implIS3_N6thrust23THRUST_200600_302600_NS6detail15normal_iteratorINS9_10device_ptrIsEEEEPS5_jNS1_19radix_merge_compareILb0ELb1EsNS0_19identity_decomposerEEEEE10hipError_tT0_T1_T2_jT3_P12ihipStream_tbPNSt15iterator_traitsISK_E10value_typeEPNSQ_ISL_E10value_typeEPSM_NS1_7vsmem_tEENKUlT_SK_SL_SM_E_clIPsSE_SF_SF_EESJ_SZ_SK_SL_SM_EUlSZ_E1_NS1_11comp_targetILNS1_3genE8ELNS1_11target_archE1030ELNS1_3gpuE2ELNS1_3repE0EEENS1_36merge_oddeven_config_static_selectorELNS0_4arch9wavefront6targetE1EEEvSL_
		.amdhsa_group_segment_fixed_size 0
		.amdhsa_private_segment_fixed_size 0
		.amdhsa_kernarg_size 48
		.amdhsa_user_sgpr_count 6
		.amdhsa_user_sgpr_private_segment_buffer 1
		.amdhsa_user_sgpr_dispatch_ptr 0
		.amdhsa_user_sgpr_queue_ptr 0
		.amdhsa_user_sgpr_kernarg_segment_ptr 1
		.amdhsa_user_sgpr_dispatch_id 0
		.amdhsa_user_sgpr_flat_scratch_init 0
		.amdhsa_user_sgpr_kernarg_preload_length 0
		.amdhsa_user_sgpr_kernarg_preload_offset 0
		.amdhsa_user_sgpr_private_segment_size 0
		.amdhsa_uses_dynamic_stack 0
		.amdhsa_system_sgpr_private_segment_wavefront_offset 0
		.amdhsa_system_sgpr_workgroup_id_x 1
		.amdhsa_system_sgpr_workgroup_id_y 0
		.amdhsa_system_sgpr_workgroup_id_z 0
		.amdhsa_system_sgpr_workgroup_info 0
		.amdhsa_system_vgpr_workitem_id 0
		.amdhsa_next_free_vgpr 1
		.amdhsa_next_free_sgpr 0
		.amdhsa_accum_offset 4
		.amdhsa_reserve_vcc 0
		.amdhsa_reserve_flat_scratch 0
		.amdhsa_float_round_mode_32 0
		.amdhsa_float_round_mode_16_64 0
		.amdhsa_float_denorm_mode_32 3
		.amdhsa_float_denorm_mode_16_64 3
		.amdhsa_dx10_clamp 1
		.amdhsa_ieee_mode 1
		.amdhsa_fp16_overflow 0
		.amdhsa_tg_split 0
		.amdhsa_exception_fp_ieee_invalid_op 0
		.amdhsa_exception_fp_denorm_src 0
		.amdhsa_exception_fp_ieee_div_zero 0
		.amdhsa_exception_fp_ieee_overflow 0
		.amdhsa_exception_fp_ieee_underflow 0
		.amdhsa_exception_fp_ieee_inexact 0
		.amdhsa_exception_int_div_zero 0
	.end_amdhsa_kernel
	.section	.text._ZN7rocprim17ROCPRIM_400000_NS6detail17trampoline_kernelINS0_14default_configENS1_38merge_sort_block_merge_config_selectorIsNS0_10empty_typeEEEZZNS1_27merge_sort_block_merge_implIS3_N6thrust23THRUST_200600_302600_NS6detail15normal_iteratorINS9_10device_ptrIsEEEEPS5_jNS1_19radix_merge_compareILb0ELb1EsNS0_19identity_decomposerEEEEE10hipError_tT0_T1_T2_jT3_P12ihipStream_tbPNSt15iterator_traitsISK_E10value_typeEPNSQ_ISL_E10value_typeEPSM_NS1_7vsmem_tEENKUlT_SK_SL_SM_E_clIPsSE_SF_SF_EESJ_SZ_SK_SL_SM_EUlSZ_E1_NS1_11comp_targetILNS1_3genE8ELNS1_11target_archE1030ELNS1_3gpuE2ELNS1_3repE0EEENS1_36merge_oddeven_config_static_selectorELNS0_4arch9wavefront6targetE1EEEvSL_,"axG",@progbits,_ZN7rocprim17ROCPRIM_400000_NS6detail17trampoline_kernelINS0_14default_configENS1_38merge_sort_block_merge_config_selectorIsNS0_10empty_typeEEEZZNS1_27merge_sort_block_merge_implIS3_N6thrust23THRUST_200600_302600_NS6detail15normal_iteratorINS9_10device_ptrIsEEEEPS5_jNS1_19radix_merge_compareILb0ELb1EsNS0_19identity_decomposerEEEEE10hipError_tT0_T1_T2_jT3_P12ihipStream_tbPNSt15iterator_traitsISK_E10value_typeEPNSQ_ISL_E10value_typeEPSM_NS1_7vsmem_tEENKUlT_SK_SL_SM_E_clIPsSE_SF_SF_EESJ_SZ_SK_SL_SM_EUlSZ_E1_NS1_11comp_targetILNS1_3genE8ELNS1_11target_archE1030ELNS1_3gpuE2ELNS1_3repE0EEENS1_36merge_oddeven_config_static_selectorELNS0_4arch9wavefront6targetE1EEEvSL_,comdat
.Lfunc_end1898:
	.size	_ZN7rocprim17ROCPRIM_400000_NS6detail17trampoline_kernelINS0_14default_configENS1_38merge_sort_block_merge_config_selectorIsNS0_10empty_typeEEEZZNS1_27merge_sort_block_merge_implIS3_N6thrust23THRUST_200600_302600_NS6detail15normal_iteratorINS9_10device_ptrIsEEEEPS5_jNS1_19radix_merge_compareILb0ELb1EsNS0_19identity_decomposerEEEEE10hipError_tT0_T1_T2_jT3_P12ihipStream_tbPNSt15iterator_traitsISK_E10value_typeEPNSQ_ISL_E10value_typeEPSM_NS1_7vsmem_tEENKUlT_SK_SL_SM_E_clIPsSE_SF_SF_EESJ_SZ_SK_SL_SM_EUlSZ_E1_NS1_11comp_targetILNS1_3genE8ELNS1_11target_archE1030ELNS1_3gpuE2ELNS1_3repE0EEENS1_36merge_oddeven_config_static_selectorELNS0_4arch9wavefront6targetE1EEEvSL_, .Lfunc_end1898-_ZN7rocprim17ROCPRIM_400000_NS6detail17trampoline_kernelINS0_14default_configENS1_38merge_sort_block_merge_config_selectorIsNS0_10empty_typeEEEZZNS1_27merge_sort_block_merge_implIS3_N6thrust23THRUST_200600_302600_NS6detail15normal_iteratorINS9_10device_ptrIsEEEEPS5_jNS1_19radix_merge_compareILb0ELb1EsNS0_19identity_decomposerEEEEE10hipError_tT0_T1_T2_jT3_P12ihipStream_tbPNSt15iterator_traitsISK_E10value_typeEPNSQ_ISL_E10value_typeEPSM_NS1_7vsmem_tEENKUlT_SK_SL_SM_E_clIPsSE_SF_SF_EESJ_SZ_SK_SL_SM_EUlSZ_E1_NS1_11comp_targetILNS1_3genE8ELNS1_11target_archE1030ELNS1_3gpuE2ELNS1_3repE0EEENS1_36merge_oddeven_config_static_selectorELNS0_4arch9wavefront6targetE1EEEvSL_
                                        ; -- End function
	.section	.AMDGPU.csdata,"",@progbits
; Kernel info:
; codeLenInByte = 0
; NumSgprs: 4
; NumVgprs: 0
; NumAgprs: 0
; TotalNumVgprs: 0
; ScratchSize: 0
; MemoryBound: 0
; FloatMode: 240
; IeeeMode: 1
; LDSByteSize: 0 bytes/workgroup (compile time only)
; SGPRBlocks: 0
; VGPRBlocks: 0
; NumSGPRsForWavesPerEU: 4
; NumVGPRsForWavesPerEU: 1
; AccumOffset: 4
; Occupancy: 8
; WaveLimiterHint : 0
; COMPUTE_PGM_RSRC2:SCRATCH_EN: 0
; COMPUTE_PGM_RSRC2:USER_SGPR: 6
; COMPUTE_PGM_RSRC2:TRAP_HANDLER: 0
; COMPUTE_PGM_RSRC2:TGID_X_EN: 1
; COMPUTE_PGM_RSRC2:TGID_Y_EN: 0
; COMPUTE_PGM_RSRC2:TGID_Z_EN: 0
; COMPUTE_PGM_RSRC2:TIDIG_COMP_CNT: 0
; COMPUTE_PGM_RSRC3_GFX90A:ACCUM_OFFSET: 0
; COMPUTE_PGM_RSRC3_GFX90A:TG_SPLIT: 0
	.section	.text._ZN7rocprim17ROCPRIM_400000_NS6detail17trampoline_kernelINS0_14default_configENS1_38merge_sort_block_merge_config_selectorIsNS0_10empty_typeEEEZZNS1_27merge_sort_block_merge_implIS3_N6thrust23THRUST_200600_302600_NS6detail15normal_iteratorINS9_10device_ptrIsEEEEPS5_jNS1_19radix_merge_compareILb0ELb1EsNS0_19identity_decomposerEEEEE10hipError_tT0_T1_T2_jT3_P12ihipStream_tbPNSt15iterator_traitsISK_E10value_typeEPNSQ_ISL_E10value_typeEPSM_NS1_7vsmem_tEENKUlT_SK_SL_SM_E_clISE_PsSF_SF_EESJ_SZ_SK_SL_SM_EUlSZ_E_NS1_11comp_targetILNS1_3genE0ELNS1_11target_archE4294967295ELNS1_3gpuE0ELNS1_3repE0EEENS1_48merge_mergepath_partition_config_static_selectorELNS0_4arch9wavefront6targetE1EEEvSL_,"axG",@progbits,_ZN7rocprim17ROCPRIM_400000_NS6detail17trampoline_kernelINS0_14default_configENS1_38merge_sort_block_merge_config_selectorIsNS0_10empty_typeEEEZZNS1_27merge_sort_block_merge_implIS3_N6thrust23THRUST_200600_302600_NS6detail15normal_iteratorINS9_10device_ptrIsEEEEPS5_jNS1_19radix_merge_compareILb0ELb1EsNS0_19identity_decomposerEEEEE10hipError_tT0_T1_T2_jT3_P12ihipStream_tbPNSt15iterator_traitsISK_E10value_typeEPNSQ_ISL_E10value_typeEPSM_NS1_7vsmem_tEENKUlT_SK_SL_SM_E_clISE_PsSF_SF_EESJ_SZ_SK_SL_SM_EUlSZ_E_NS1_11comp_targetILNS1_3genE0ELNS1_11target_archE4294967295ELNS1_3gpuE0ELNS1_3repE0EEENS1_48merge_mergepath_partition_config_static_selectorELNS0_4arch9wavefront6targetE1EEEvSL_,comdat
	.protected	_ZN7rocprim17ROCPRIM_400000_NS6detail17trampoline_kernelINS0_14default_configENS1_38merge_sort_block_merge_config_selectorIsNS0_10empty_typeEEEZZNS1_27merge_sort_block_merge_implIS3_N6thrust23THRUST_200600_302600_NS6detail15normal_iteratorINS9_10device_ptrIsEEEEPS5_jNS1_19radix_merge_compareILb0ELb1EsNS0_19identity_decomposerEEEEE10hipError_tT0_T1_T2_jT3_P12ihipStream_tbPNSt15iterator_traitsISK_E10value_typeEPNSQ_ISL_E10value_typeEPSM_NS1_7vsmem_tEENKUlT_SK_SL_SM_E_clISE_PsSF_SF_EESJ_SZ_SK_SL_SM_EUlSZ_E_NS1_11comp_targetILNS1_3genE0ELNS1_11target_archE4294967295ELNS1_3gpuE0ELNS1_3repE0EEENS1_48merge_mergepath_partition_config_static_selectorELNS0_4arch9wavefront6targetE1EEEvSL_ ; -- Begin function _ZN7rocprim17ROCPRIM_400000_NS6detail17trampoline_kernelINS0_14default_configENS1_38merge_sort_block_merge_config_selectorIsNS0_10empty_typeEEEZZNS1_27merge_sort_block_merge_implIS3_N6thrust23THRUST_200600_302600_NS6detail15normal_iteratorINS9_10device_ptrIsEEEEPS5_jNS1_19radix_merge_compareILb0ELb1EsNS0_19identity_decomposerEEEEE10hipError_tT0_T1_T2_jT3_P12ihipStream_tbPNSt15iterator_traitsISK_E10value_typeEPNSQ_ISL_E10value_typeEPSM_NS1_7vsmem_tEENKUlT_SK_SL_SM_E_clISE_PsSF_SF_EESJ_SZ_SK_SL_SM_EUlSZ_E_NS1_11comp_targetILNS1_3genE0ELNS1_11target_archE4294967295ELNS1_3gpuE0ELNS1_3repE0EEENS1_48merge_mergepath_partition_config_static_selectorELNS0_4arch9wavefront6targetE1EEEvSL_
	.globl	_ZN7rocprim17ROCPRIM_400000_NS6detail17trampoline_kernelINS0_14default_configENS1_38merge_sort_block_merge_config_selectorIsNS0_10empty_typeEEEZZNS1_27merge_sort_block_merge_implIS3_N6thrust23THRUST_200600_302600_NS6detail15normal_iteratorINS9_10device_ptrIsEEEEPS5_jNS1_19radix_merge_compareILb0ELb1EsNS0_19identity_decomposerEEEEE10hipError_tT0_T1_T2_jT3_P12ihipStream_tbPNSt15iterator_traitsISK_E10value_typeEPNSQ_ISL_E10value_typeEPSM_NS1_7vsmem_tEENKUlT_SK_SL_SM_E_clISE_PsSF_SF_EESJ_SZ_SK_SL_SM_EUlSZ_E_NS1_11comp_targetILNS1_3genE0ELNS1_11target_archE4294967295ELNS1_3gpuE0ELNS1_3repE0EEENS1_48merge_mergepath_partition_config_static_selectorELNS0_4arch9wavefront6targetE1EEEvSL_
	.p2align	8
	.type	_ZN7rocprim17ROCPRIM_400000_NS6detail17trampoline_kernelINS0_14default_configENS1_38merge_sort_block_merge_config_selectorIsNS0_10empty_typeEEEZZNS1_27merge_sort_block_merge_implIS3_N6thrust23THRUST_200600_302600_NS6detail15normal_iteratorINS9_10device_ptrIsEEEEPS5_jNS1_19radix_merge_compareILb0ELb1EsNS0_19identity_decomposerEEEEE10hipError_tT0_T1_T2_jT3_P12ihipStream_tbPNSt15iterator_traitsISK_E10value_typeEPNSQ_ISL_E10value_typeEPSM_NS1_7vsmem_tEENKUlT_SK_SL_SM_E_clISE_PsSF_SF_EESJ_SZ_SK_SL_SM_EUlSZ_E_NS1_11comp_targetILNS1_3genE0ELNS1_11target_archE4294967295ELNS1_3gpuE0ELNS1_3repE0EEENS1_48merge_mergepath_partition_config_static_selectorELNS0_4arch9wavefront6targetE1EEEvSL_,@function
_ZN7rocprim17ROCPRIM_400000_NS6detail17trampoline_kernelINS0_14default_configENS1_38merge_sort_block_merge_config_selectorIsNS0_10empty_typeEEEZZNS1_27merge_sort_block_merge_implIS3_N6thrust23THRUST_200600_302600_NS6detail15normal_iteratorINS9_10device_ptrIsEEEEPS5_jNS1_19radix_merge_compareILb0ELb1EsNS0_19identity_decomposerEEEEE10hipError_tT0_T1_T2_jT3_P12ihipStream_tbPNSt15iterator_traitsISK_E10value_typeEPNSQ_ISL_E10value_typeEPSM_NS1_7vsmem_tEENKUlT_SK_SL_SM_E_clISE_PsSF_SF_EESJ_SZ_SK_SL_SM_EUlSZ_E_NS1_11comp_targetILNS1_3genE0ELNS1_11target_archE4294967295ELNS1_3gpuE0ELNS1_3repE0EEENS1_48merge_mergepath_partition_config_static_selectorELNS0_4arch9wavefront6targetE1EEEvSL_: ; @_ZN7rocprim17ROCPRIM_400000_NS6detail17trampoline_kernelINS0_14default_configENS1_38merge_sort_block_merge_config_selectorIsNS0_10empty_typeEEEZZNS1_27merge_sort_block_merge_implIS3_N6thrust23THRUST_200600_302600_NS6detail15normal_iteratorINS9_10device_ptrIsEEEEPS5_jNS1_19radix_merge_compareILb0ELb1EsNS0_19identity_decomposerEEEEE10hipError_tT0_T1_T2_jT3_P12ihipStream_tbPNSt15iterator_traitsISK_E10value_typeEPNSQ_ISL_E10value_typeEPSM_NS1_7vsmem_tEENKUlT_SK_SL_SM_E_clISE_PsSF_SF_EESJ_SZ_SK_SL_SM_EUlSZ_E_NS1_11comp_targetILNS1_3genE0ELNS1_11target_archE4294967295ELNS1_3gpuE0ELNS1_3repE0EEENS1_48merge_mergepath_partition_config_static_selectorELNS0_4arch9wavefront6targetE1EEEvSL_
; %bb.0:
	.section	.rodata,"a",@progbits
	.p2align	6, 0x0
	.amdhsa_kernel _ZN7rocprim17ROCPRIM_400000_NS6detail17trampoline_kernelINS0_14default_configENS1_38merge_sort_block_merge_config_selectorIsNS0_10empty_typeEEEZZNS1_27merge_sort_block_merge_implIS3_N6thrust23THRUST_200600_302600_NS6detail15normal_iteratorINS9_10device_ptrIsEEEEPS5_jNS1_19radix_merge_compareILb0ELb1EsNS0_19identity_decomposerEEEEE10hipError_tT0_T1_T2_jT3_P12ihipStream_tbPNSt15iterator_traitsISK_E10value_typeEPNSQ_ISL_E10value_typeEPSM_NS1_7vsmem_tEENKUlT_SK_SL_SM_E_clISE_PsSF_SF_EESJ_SZ_SK_SL_SM_EUlSZ_E_NS1_11comp_targetILNS1_3genE0ELNS1_11target_archE4294967295ELNS1_3gpuE0ELNS1_3repE0EEENS1_48merge_mergepath_partition_config_static_selectorELNS0_4arch9wavefront6targetE1EEEvSL_
		.amdhsa_group_segment_fixed_size 0
		.amdhsa_private_segment_fixed_size 0
		.amdhsa_kernarg_size 40
		.amdhsa_user_sgpr_count 6
		.amdhsa_user_sgpr_private_segment_buffer 1
		.amdhsa_user_sgpr_dispatch_ptr 0
		.amdhsa_user_sgpr_queue_ptr 0
		.amdhsa_user_sgpr_kernarg_segment_ptr 1
		.amdhsa_user_sgpr_dispatch_id 0
		.amdhsa_user_sgpr_flat_scratch_init 0
		.amdhsa_user_sgpr_kernarg_preload_length 0
		.amdhsa_user_sgpr_kernarg_preload_offset 0
		.amdhsa_user_sgpr_private_segment_size 0
		.amdhsa_uses_dynamic_stack 0
		.amdhsa_system_sgpr_private_segment_wavefront_offset 0
		.amdhsa_system_sgpr_workgroup_id_x 1
		.amdhsa_system_sgpr_workgroup_id_y 0
		.amdhsa_system_sgpr_workgroup_id_z 0
		.amdhsa_system_sgpr_workgroup_info 0
		.amdhsa_system_vgpr_workitem_id 0
		.amdhsa_next_free_vgpr 1
		.amdhsa_next_free_sgpr 0
		.amdhsa_accum_offset 4
		.amdhsa_reserve_vcc 0
		.amdhsa_reserve_flat_scratch 0
		.amdhsa_float_round_mode_32 0
		.amdhsa_float_round_mode_16_64 0
		.amdhsa_float_denorm_mode_32 3
		.amdhsa_float_denorm_mode_16_64 3
		.amdhsa_dx10_clamp 1
		.amdhsa_ieee_mode 1
		.amdhsa_fp16_overflow 0
		.amdhsa_tg_split 0
		.amdhsa_exception_fp_ieee_invalid_op 0
		.amdhsa_exception_fp_denorm_src 0
		.amdhsa_exception_fp_ieee_div_zero 0
		.amdhsa_exception_fp_ieee_overflow 0
		.amdhsa_exception_fp_ieee_underflow 0
		.amdhsa_exception_fp_ieee_inexact 0
		.amdhsa_exception_int_div_zero 0
	.end_amdhsa_kernel
	.section	.text._ZN7rocprim17ROCPRIM_400000_NS6detail17trampoline_kernelINS0_14default_configENS1_38merge_sort_block_merge_config_selectorIsNS0_10empty_typeEEEZZNS1_27merge_sort_block_merge_implIS3_N6thrust23THRUST_200600_302600_NS6detail15normal_iteratorINS9_10device_ptrIsEEEEPS5_jNS1_19radix_merge_compareILb0ELb1EsNS0_19identity_decomposerEEEEE10hipError_tT0_T1_T2_jT3_P12ihipStream_tbPNSt15iterator_traitsISK_E10value_typeEPNSQ_ISL_E10value_typeEPSM_NS1_7vsmem_tEENKUlT_SK_SL_SM_E_clISE_PsSF_SF_EESJ_SZ_SK_SL_SM_EUlSZ_E_NS1_11comp_targetILNS1_3genE0ELNS1_11target_archE4294967295ELNS1_3gpuE0ELNS1_3repE0EEENS1_48merge_mergepath_partition_config_static_selectorELNS0_4arch9wavefront6targetE1EEEvSL_,"axG",@progbits,_ZN7rocprim17ROCPRIM_400000_NS6detail17trampoline_kernelINS0_14default_configENS1_38merge_sort_block_merge_config_selectorIsNS0_10empty_typeEEEZZNS1_27merge_sort_block_merge_implIS3_N6thrust23THRUST_200600_302600_NS6detail15normal_iteratorINS9_10device_ptrIsEEEEPS5_jNS1_19radix_merge_compareILb0ELb1EsNS0_19identity_decomposerEEEEE10hipError_tT0_T1_T2_jT3_P12ihipStream_tbPNSt15iterator_traitsISK_E10value_typeEPNSQ_ISL_E10value_typeEPSM_NS1_7vsmem_tEENKUlT_SK_SL_SM_E_clISE_PsSF_SF_EESJ_SZ_SK_SL_SM_EUlSZ_E_NS1_11comp_targetILNS1_3genE0ELNS1_11target_archE4294967295ELNS1_3gpuE0ELNS1_3repE0EEENS1_48merge_mergepath_partition_config_static_selectorELNS0_4arch9wavefront6targetE1EEEvSL_,comdat
.Lfunc_end1899:
	.size	_ZN7rocprim17ROCPRIM_400000_NS6detail17trampoline_kernelINS0_14default_configENS1_38merge_sort_block_merge_config_selectorIsNS0_10empty_typeEEEZZNS1_27merge_sort_block_merge_implIS3_N6thrust23THRUST_200600_302600_NS6detail15normal_iteratorINS9_10device_ptrIsEEEEPS5_jNS1_19radix_merge_compareILb0ELb1EsNS0_19identity_decomposerEEEEE10hipError_tT0_T1_T2_jT3_P12ihipStream_tbPNSt15iterator_traitsISK_E10value_typeEPNSQ_ISL_E10value_typeEPSM_NS1_7vsmem_tEENKUlT_SK_SL_SM_E_clISE_PsSF_SF_EESJ_SZ_SK_SL_SM_EUlSZ_E_NS1_11comp_targetILNS1_3genE0ELNS1_11target_archE4294967295ELNS1_3gpuE0ELNS1_3repE0EEENS1_48merge_mergepath_partition_config_static_selectorELNS0_4arch9wavefront6targetE1EEEvSL_, .Lfunc_end1899-_ZN7rocprim17ROCPRIM_400000_NS6detail17trampoline_kernelINS0_14default_configENS1_38merge_sort_block_merge_config_selectorIsNS0_10empty_typeEEEZZNS1_27merge_sort_block_merge_implIS3_N6thrust23THRUST_200600_302600_NS6detail15normal_iteratorINS9_10device_ptrIsEEEEPS5_jNS1_19radix_merge_compareILb0ELb1EsNS0_19identity_decomposerEEEEE10hipError_tT0_T1_T2_jT3_P12ihipStream_tbPNSt15iterator_traitsISK_E10value_typeEPNSQ_ISL_E10value_typeEPSM_NS1_7vsmem_tEENKUlT_SK_SL_SM_E_clISE_PsSF_SF_EESJ_SZ_SK_SL_SM_EUlSZ_E_NS1_11comp_targetILNS1_3genE0ELNS1_11target_archE4294967295ELNS1_3gpuE0ELNS1_3repE0EEENS1_48merge_mergepath_partition_config_static_selectorELNS0_4arch9wavefront6targetE1EEEvSL_
                                        ; -- End function
	.section	.AMDGPU.csdata,"",@progbits
; Kernel info:
; codeLenInByte = 0
; NumSgprs: 4
; NumVgprs: 0
; NumAgprs: 0
; TotalNumVgprs: 0
; ScratchSize: 0
; MemoryBound: 0
; FloatMode: 240
; IeeeMode: 1
; LDSByteSize: 0 bytes/workgroup (compile time only)
; SGPRBlocks: 0
; VGPRBlocks: 0
; NumSGPRsForWavesPerEU: 4
; NumVGPRsForWavesPerEU: 1
; AccumOffset: 4
; Occupancy: 8
; WaveLimiterHint : 0
; COMPUTE_PGM_RSRC2:SCRATCH_EN: 0
; COMPUTE_PGM_RSRC2:USER_SGPR: 6
; COMPUTE_PGM_RSRC2:TRAP_HANDLER: 0
; COMPUTE_PGM_RSRC2:TGID_X_EN: 1
; COMPUTE_PGM_RSRC2:TGID_Y_EN: 0
; COMPUTE_PGM_RSRC2:TGID_Z_EN: 0
; COMPUTE_PGM_RSRC2:TIDIG_COMP_CNT: 0
; COMPUTE_PGM_RSRC3_GFX90A:ACCUM_OFFSET: 0
; COMPUTE_PGM_RSRC3_GFX90A:TG_SPLIT: 0
	.section	.text._ZN7rocprim17ROCPRIM_400000_NS6detail17trampoline_kernelINS0_14default_configENS1_38merge_sort_block_merge_config_selectorIsNS0_10empty_typeEEEZZNS1_27merge_sort_block_merge_implIS3_N6thrust23THRUST_200600_302600_NS6detail15normal_iteratorINS9_10device_ptrIsEEEEPS5_jNS1_19radix_merge_compareILb0ELb1EsNS0_19identity_decomposerEEEEE10hipError_tT0_T1_T2_jT3_P12ihipStream_tbPNSt15iterator_traitsISK_E10value_typeEPNSQ_ISL_E10value_typeEPSM_NS1_7vsmem_tEENKUlT_SK_SL_SM_E_clISE_PsSF_SF_EESJ_SZ_SK_SL_SM_EUlSZ_E_NS1_11comp_targetILNS1_3genE10ELNS1_11target_archE1201ELNS1_3gpuE5ELNS1_3repE0EEENS1_48merge_mergepath_partition_config_static_selectorELNS0_4arch9wavefront6targetE1EEEvSL_,"axG",@progbits,_ZN7rocprim17ROCPRIM_400000_NS6detail17trampoline_kernelINS0_14default_configENS1_38merge_sort_block_merge_config_selectorIsNS0_10empty_typeEEEZZNS1_27merge_sort_block_merge_implIS3_N6thrust23THRUST_200600_302600_NS6detail15normal_iteratorINS9_10device_ptrIsEEEEPS5_jNS1_19radix_merge_compareILb0ELb1EsNS0_19identity_decomposerEEEEE10hipError_tT0_T1_T2_jT3_P12ihipStream_tbPNSt15iterator_traitsISK_E10value_typeEPNSQ_ISL_E10value_typeEPSM_NS1_7vsmem_tEENKUlT_SK_SL_SM_E_clISE_PsSF_SF_EESJ_SZ_SK_SL_SM_EUlSZ_E_NS1_11comp_targetILNS1_3genE10ELNS1_11target_archE1201ELNS1_3gpuE5ELNS1_3repE0EEENS1_48merge_mergepath_partition_config_static_selectorELNS0_4arch9wavefront6targetE1EEEvSL_,comdat
	.protected	_ZN7rocprim17ROCPRIM_400000_NS6detail17trampoline_kernelINS0_14default_configENS1_38merge_sort_block_merge_config_selectorIsNS0_10empty_typeEEEZZNS1_27merge_sort_block_merge_implIS3_N6thrust23THRUST_200600_302600_NS6detail15normal_iteratorINS9_10device_ptrIsEEEEPS5_jNS1_19radix_merge_compareILb0ELb1EsNS0_19identity_decomposerEEEEE10hipError_tT0_T1_T2_jT3_P12ihipStream_tbPNSt15iterator_traitsISK_E10value_typeEPNSQ_ISL_E10value_typeEPSM_NS1_7vsmem_tEENKUlT_SK_SL_SM_E_clISE_PsSF_SF_EESJ_SZ_SK_SL_SM_EUlSZ_E_NS1_11comp_targetILNS1_3genE10ELNS1_11target_archE1201ELNS1_3gpuE5ELNS1_3repE0EEENS1_48merge_mergepath_partition_config_static_selectorELNS0_4arch9wavefront6targetE1EEEvSL_ ; -- Begin function _ZN7rocprim17ROCPRIM_400000_NS6detail17trampoline_kernelINS0_14default_configENS1_38merge_sort_block_merge_config_selectorIsNS0_10empty_typeEEEZZNS1_27merge_sort_block_merge_implIS3_N6thrust23THRUST_200600_302600_NS6detail15normal_iteratorINS9_10device_ptrIsEEEEPS5_jNS1_19radix_merge_compareILb0ELb1EsNS0_19identity_decomposerEEEEE10hipError_tT0_T1_T2_jT3_P12ihipStream_tbPNSt15iterator_traitsISK_E10value_typeEPNSQ_ISL_E10value_typeEPSM_NS1_7vsmem_tEENKUlT_SK_SL_SM_E_clISE_PsSF_SF_EESJ_SZ_SK_SL_SM_EUlSZ_E_NS1_11comp_targetILNS1_3genE10ELNS1_11target_archE1201ELNS1_3gpuE5ELNS1_3repE0EEENS1_48merge_mergepath_partition_config_static_selectorELNS0_4arch9wavefront6targetE1EEEvSL_
	.globl	_ZN7rocprim17ROCPRIM_400000_NS6detail17trampoline_kernelINS0_14default_configENS1_38merge_sort_block_merge_config_selectorIsNS0_10empty_typeEEEZZNS1_27merge_sort_block_merge_implIS3_N6thrust23THRUST_200600_302600_NS6detail15normal_iteratorINS9_10device_ptrIsEEEEPS5_jNS1_19radix_merge_compareILb0ELb1EsNS0_19identity_decomposerEEEEE10hipError_tT0_T1_T2_jT3_P12ihipStream_tbPNSt15iterator_traitsISK_E10value_typeEPNSQ_ISL_E10value_typeEPSM_NS1_7vsmem_tEENKUlT_SK_SL_SM_E_clISE_PsSF_SF_EESJ_SZ_SK_SL_SM_EUlSZ_E_NS1_11comp_targetILNS1_3genE10ELNS1_11target_archE1201ELNS1_3gpuE5ELNS1_3repE0EEENS1_48merge_mergepath_partition_config_static_selectorELNS0_4arch9wavefront6targetE1EEEvSL_
	.p2align	8
	.type	_ZN7rocprim17ROCPRIM_400000_NS6detail17trampoline_kernelINS0_14default_configENS1_38merge_sort_block_merge_config_selectorIsNS0_10empty_typeEEEZZNS1_27merge_sort_block_merge_implIS3_N6thrust23THRUST_200600_302600_NS6detail15normal_iteratorINS9_10device_ptrIsEEEEPS5_jNS1_19radix_merge_compareILb0ELb1EsNS0_19identity_decomposerEEEEE10hipError_tT0_T1_T2_jT3_P12ihipStream_tbPNSt15iterator_traitsISK_E10value_typeEPNSQ_ISL_E10value_typeEPSM_NS1_7vsmem_tEENKUlT_SK_SL_SM_E_clISE_PsSF_SF_EESJ_SZ_SK_SL_SM_EUlSZ_E_NS1_11comp_targetILNS1_3genE10ELNS1_11target_archE1201ELNS1_3gpuE5ELNS1_3repE0EEENS1_48merge_mergepath_partition_config_static_selectorELNS0_4arch9wavefront6targetE1EEEvSL_,@function
_ZN7rocprim17ROCPRIM_400000_NS6detail17trampoline_kernelINS0_14default_configENS1_38merge_sort_block_merge_config_selectorIsNS0_10empty_typeEEEZZNS1_27merge_sort_block_merge_implIS3_N6thrust23THRUST_200600_302600_NS6detail15normal_iteratorINS9_10device_ptrIsEEEEPS5_jNS1_19radix_merge_compareILb0ELb1EsNS0_19identity_decomposerEEEEE10hipError_tT0_T1_T2_jT3_P12ihipStream_tbPNSt15iterator_traitsISK_E10value_typeEPNSQ_ISL_E10value_typeEPSM_NS1_7vsmem_tEENKUlT_SK_SL_SM_E_clISE_PsSF_SF_EESJ_SZ_SK_SL_SM_EUlSZ_E_NS1_11comp_targetILNS1_3genE10ELNS1_11target_archE1201ELNS1_3gpuE5ELNS1_3repE0EEENS1_48merge_mergepath_partition_config_static_selectorELNS0_4arch9wavefront6targetE1EEEvSL_: ; @_ZN7rocprim17ROCPRIM_400000_NS6detail17trampoline_kernelINS0_14default_configENS1_38merge_sort_block_merge_config_selectorIsNS0_10empty_typeEEEZZNS1_27merge_sort_block_merge_implIS3_N6thrust23THRUST_200600_302600_NS6detail15normal_iteratorINS9_10device_ptrIsEEEEPS5_jNS1_19radix_merge_compareILb0ELb1EsNS0_19identity_decomposerEEEEE10hipError_tT0_T1_T2_jT3_P12ihipStream_tbPNSt15iterator_traitsISK_E10value_typeEPNSQ_ISL_E10value_typeEPSM_NS1_7vsmem_tEENKUlT_SK_SL_SM_E_clISE_PsSF_SF_EESJ_SZ_SK_SL_SM_EUlSZ_E_NS1_11comp_targetILNS1_3genE10ELNS1_11target_archE1201ELNS1_3gpuE5ELNS1_3repE0EEENS1_48merge_mergepath_partition_config_static_selectorELNS0_4arch9wavefront6targetE1EEEvSL_
; %bb.0:
	.section	.rodata,"a",@progbits
	.p2align	6, 0x0
	.amdhsa_kernel _ZN7rocprim17ROCPRIM_400000_NS6detail17trampoline_kernelINS0_14default_configENS1_38merge_sort_block_merge_config_selectorIsNS0_10empty_typeEEEZZNS1_27merge_sort_block_merge_implIS3_N6thrust23THRUST_200600_302600_NS6detail15normal_iteratorINS9_10device_ptrIsEEEEPS5_jNS1_19radix_merge_compareILb0ELb1EsNS0_19identity_decomposerEEEEE10hipError_tT0_T1_T2_jT3_P12ihipStream_tbPNSt15iterator_traitsISK_E10value_typeEPNSQ_ISL_E10value_typeEPSM_NS1_7vsmem_tEENKUlT_SK_SL_SM_E_clISE_PsSF_SF_EESJ_SZ_SK_SL_SM_EUlSZ_E_NS1_11comp_targetILNS1_3genE10ELNS1_11target_archE1201ELNS1_3gpuE5ELNS1_3repE0EEENS1_48merge_mergepath_partition_config_static_selectorELNS0_4arch9wavefront6targetE1EEEvSL_
		.amdhsa_group_segment_fixed_size 0
		.amdhsa_private_segment_fixed_size 0
		.amdhsa_kernarg_size 40
		.amdhsa_user_sgpr_count 6
		.amdhsa_user_sgpr_private_segment_buffer 1
		.amdhsa_user_sgpr_dispatch_ptr 0
		.amdhsa_user_sgpr_queue_ptr 0
		.amdhsa_user_sgpr_kernarg_segment_ptr 1
		.amdhsa_user_sgpr_dispatch_id 0
		.amdhsa_user_sgpr_flat_scratch_init 0
		.amdhsa_user_sgpr_kernarg_preload_length 0
		.amdhsa_user_sgpr_kernarg_preload_offset 0
		.amdhsa_user_sgpr_private_segment_size 0
		.amdhsa_uses_dynamic_stack 0
		.amdhsa_system_sgpr_private_segment_wavefront_offset 0
		.amdhsa_system_sgpr_workgroup_id_x 1
		.amdhsa_system_sgpr_workgroup_id_y 0
		.amdhsa_system_sgpr_workgroup_id_z 0
		.amdhsa_system_sgpr_workgroup_info 0
		.amdhsa_system_vgpr_workitem_id 0
		.amdhsa_next_free_vgpr 1
		.amdhsa_next_free_sgpr 0
		.amdhsa_accum_offset 4
		.amdhsa_reserve_vcc 0
		.amdhsa_reserve_flat_scratch 0
		.amdhsa_float_round_mode_32 0
		.amdhsa_float_round_mode_16_64 0
		.amdhsa_float_denorm_mode_32 3
		.amdhsa_float_denorm_mode_16_64 3
		.amdhsa_dx10_clamp 1
		.amdhsa_ieee_mode 1
		.amdhsa_fp16_overflow 0
		.amdhsa_tg_split 0
		.amdhsa_exception_fp_ieee_invalid_op 0
		.amdhsa_exception_fp_denorm_src 0
		.amdhsa_exception_fp_ieee_div_zero 0
		.amdhsa_exception_fp_ieee_overflow 0
		.amdhsa_exception_fp_ieee_underflow 0
		.amdhsa_exception_fp_ieee_inexact 0
		.amdhsa_exception_int_div_zero 0
	.end_amdhsa_kernel
	.section	.text._ZN7rocprim17ROCPRIM_400000_NS6detail17trampoline_kernelINS0_14default_configENS1_38merge_sort_block_merge_config_selectorIsNS0_10empty_typeEEEZZNS1_27merge_sort_block_merge_implIS3_N6thrust23THRUST_200600_302600_NS6detail15normal_iteratorINS9_10device_ptrIsEEEEPS5_jNS1_19radix_merge_compareILb0ELb1EsNS0_19identity_decomposerEEEEE10hipError_tT0_T1_T2_jT3_P12ihipStream_tbPNSt15iterator_traitsISK_E10value_typeEPNSQ_ISL_E10value_typeEPSM_NS1_7vsmem_tEENKUlT_SK_SL_SM_E_clISE_PsSF_SF_EESJ_SZ_SK_SL_SM_EUlSZ_E_NS1_11comp_targetILNS1_3genE10ELNS1_11target_archE1201ELNS1_3gpuE5ELNS1_3repE0EEENS1_48merge_mergepath_partition_config_static_selectorELNS0_4arch9wavefront6targetE1EEEvSL_,"axG",@progbits,_ZN7rocprim17ROCPRIM_400000_NS6detail17trampoline_kernelINS0_14default_configENS1_38merge_sort_block_merge_config_selectorIsNS0_10empty_typeEEEZZNS1_27merge_sort_block_merge_implIS3_N6thrust23THRUST_200600_302600_NS6detail15normal_iteratorINS9_10device_ptrIsEEEEPS5_jNS1_19radix_merge_compareILb0ELb1EsNS0_19identity_decomposerEEEEE10hipError_tT0_T1_T2_jT3_P12ihipStream_tbPNSt15iterator_traitsISK_E10value_typeEPNSQ_ISL_E10value_typeEPSM_NS1_7vsmem_tEENKUlT_SK_SL_SM_E_clISE_PsSF_SF_EESJ_SZ_SK_SL_SM_EUlSZ_E_NS1_11comp_targetILNS1_3genE10ELNS1_11target_archE1201ELNS1_3gpuE5ELNS1_3repE0EEENS1_48merge_mergepath_partition_config_static_selectorELNS0_4arch9wavefront6targetE1EEEvSL_,comdat
.Lfunc_end1900:
	.size	_ZN7rocprim17ROCPRIM_400000_NS6detail17trampoline_kernelINS0_14default_configENS1_38merge_sort_block_merge_config_selectorIsNS0_10empty_typeEEEZZNS1_27merge_sort_block_merge_implIS3_N6thrust23THRUST_200600_302600_NS6detail15normal_iteratorINS9_10device_ptrIsEEEEPS5_jNS1_19radix_merge_compareILb0ELb1EsNS0_19identity_decomposerEEEEE10hipError_tT0_T1_T2_jT3_P12ihipStream_tbPNSt15iterator_traitsISK_E10value_typeEPNSQ_ISL_E10value_typeEPSM_NS1_7vsmem_tEENKUlT_SK_SL_SM_E_clISE_PsSF_SF_EESJ_SZ_SK_SL_SM_EUlSZ_E_NS1_11comp_targetILNS1_3genE10ELNS1_11target_archE1201ELNS1_3gpuE5ELNS1_3repE0EEENS1_48merge_mergepath_partition_config_static_selectorELNS0_4arch9wavefront6targetE1EEEvSL_, .Lfunc_end1900-_ZN7rocprim17ROCPRIM_400000_NS6detail17trampoline_kernelINS0_14default_configENS1_38merge_sort_block_merge_config_selectorIsNS0_10empty_typeEEEZZNS1_27merge_sort_block_merge_implIS3_N6thrust23THRUST_200600_302600_NS6detail15normal_iteratorINS9_10device_ptrIsEEEEPS5_jNS1_19radix_merge_compareILb0ELb1EsNS0_19identity_decomposerEEEEE10hipError_tT0_T1_T2_jT3_P12ihipStream_tbPNSt15iterator_traitsISK_E10value_typeEPNSQ_ISL_E10value_typeEPSM_NS1_7vsmem_tEENKUlT_SK_SL_SM_E_clISE_PsSF_SF_EESJ_SZ_SK_SL_SM_EUlSZ_E_NS1_11comp_targetILNS1_3genE10ELNS1_11target_archE1201ELNS1_3gpuE5ELNS1_3repE0EEENS1_48merge_mergepath_partition_config_static_selectorELNS0_4arch9wavefront6targetE1EEEvSL_
                                        ; -- End function
	.section	.AMDGPU.csdata,"",@progbits
; Kernel info:
; codeLenInByte = 0
; NumSgprs: 4
; NumVgprs: 0
; NumAgprs: 0
; TotalNumVgprs: 0
; ScratchSize: 0
; MemoryBound: 0
; FloatMode: 240
; IeeeMode: 1
; LDSByteSize: 0 bytes/workgroup (compile time only)
; SGPRBlocks: 0
; VGPRBlocks: 0
; NumSGPRsForWavesPerEU: 4
; NumVGPRsForWavesPerEU: 1
; AccumOffset: 4
; Occupancy: 8
; WaveLimiterHint : 0
; COMPUTE_PGM_RSRC2:SCRATCH_EN: 0
; COMPUTE_PGM_RSRC2:USER_SGPR: 6
; COMPUTE_PGM_RSRC2:TRAP_HANDLER: 0
; COMPUTE_PGM_RSRC2:TGID_X_EN: 1
; COMPUTE_PGM_RSRC2:TGID_Y_EN: 0
; COMPUTE_PGM_RSRC2:TGID_Z_EN: 0
; COMPUTE_PGM_RSRC2:TIDIG_COMP_CNT: 0
; COMPUTE_PGM_RSRC3_GFX90A:ACCUM_OFFSET: 0
; COMPUTE_PGM_RSRC3_GFX90A:TG_SPLIT: 0
	.section	.text._ZN7rocprim17ROCPRIM_400000_NS6detail17trampoline_kernelINS0_14default_configENS1_38merge_sort_block_merge_config_selectorIsNS0_10empty_typeEEEZZNS1_27merge_sort_block_merge_implIS3_N6thrust23THRUST_200600_302600_NS6detail15normal_iteratorINS9_10device_ptrIsEEEEPS5_jNS1_19radix_merge_compareILb0ELb1EsNS0_19identity_decomposerEEEEE10hipError_tT0_T1_T2_jT3_P12ihipStream_tbPNSt15iterator_traitsISK_E10value_typeEPNSQ_ISL_E10value_typeEPSM_NS1_7vsmem_tEENKUlT_SK_SL_SM_E_clISE_PsSF_SF_EESJ_SZ_SK_SL_SM_EUlSZ_E_NS1_11comp_targetILNS1_3genE5ELNS1_11target_archE942ELNS1_3gpuE9ELNS1_3repE0EEENS1_48merge_mergepath_partition_config_static_selectorELNS0_4arch9wavefront6targetE1EEEvSL_,"axG",@progbits,_ZN7rocprim17ROCPRIM_400000_NS6detail17trampoline_kernelINS0_14default_configENS1_38merge_sort_block_merge_config_selectorIsNS0_10empty_typeEEEZZNS1_27merge_sort_block_merge_implIS3_N6thrust23THRUST_200600_302600_NS6detail15normal_iteratorINS9_10device_ptrIsEEEEPS5_jNS1_19radix_merge_compareILb0ELb1EsNS0_19identity_decomposerEEEEE10hipError_tT0_T1_T2_jT3_P12ihipStream_tbPNSt15iterator_traitsISK_E10value_typeEPNSQ_ISL_E10value_typeEPSM_NS1_7vsmem_tEENKUlT_SK_SL_SM_E_clISE_PsSF_SF_EESJ_SZ_SK_SL_SM_EUlSZ_E_NS1_11comp_targetILNS1_3genE5ELNS1_11target_archE942ELNS1_3gpuE9ELNS1_3repE0EEENS1_48merge_mergepath_partition_config_static_selectorELNS0_4arch9wavefront6targetE1EEEvSL_,comdat
	.protected	_ZN7rocprim17ROCPRIM_400000_NS6detail17trampoline_kernelINS0_14default_configENS1_38merge_sort_block_merge_config_selectorIsNS0_10empty_typeEEEZZNS1_27merge_sort_block_merge_implIS3_N6thrust23THRUST_200600_302600_NS6detail15normal_iteratorINS9_10device_ptrIsEEEEPS5_jNS1_19radix_merge_compareILb0ELb1EsNS0_19identity_decomposerEEEEE10hipError_tT0_T1_T2_jT3_P12ihipStream_tbPNSt15iterator_traitsISK_E10value_typeEPNSQ_ISL_E10value_typeEPSM_NS1_7vsmem_tEENKUlT_SK_SL_SM_E_clISE_PsSF_SF_EESJ_SZ_SK_SL_SM_EUlSZ_E_NS1_11comp_targetILNS1_3genE5ELNS1_11target_archE942ELNS1_3gpuE9ELNS1_3repE0EEENS1_48merge_mergepath_partition_config_static_selectorELNS0_4arch9wavefront6targetE1EEEvSL_ ; -- Begin function _ZN7rocprim17ROCPRIM_400000_NS6detail17trampoline_kernelINS0_14default_configENS1_38merge_sort_block_merge_config_selectorIsNS0_10empty_typeEEEZZNS1_27merge_sort_block_merge_implIS3_N6thrust23THRUST_200600_302600_NS6detail15normal_iteratorINS9_10device_ptrIsEEEEPS5_jNS1_19radix_merge_compareILb0ELb1EsNS0_19identity_decomposerEEEEE10hipError_tT0_T1_T2_jT3_P12ihipStream_tbPNSt15iterator_traitsISK_E10value_typeEPNSQ_ISL_E10value_typeEPSM_NS1_7vsmem_tEENKUlT_SK_SL_SM_E_clISE_PsSF_SF_EESJ_SZ_SK_SL_SM_EUlSZ_E_NS1_11comp_targetILNS1_3genE5ELNS1_11target_archE942ELNS1_3gpuE9ELNS1_3repE0EEENS1_48merge_mergepath_partition_config_static_selectorELNS0_4arch9wavefront6targetE1EEEvSL_
	.globl	_ZN7rocprim17ROCPRIM_400000_NS6detail17trampoline_kernelINS0_14default_configENS1_38merge_sort_block_merge_config_selectorIsNS0_10empty_typeEEEZZNS1_27merge_sort_block_merge_implIS3_N6thrust23THRUST_200600_302600_NS6detail15normal_iteratorINS9_10device_ptrIsEEEEPS5_jNS1_19radix_merge_compareILb0ELb1EsNS0_19identity_decomposerEEEEE10hipError_tT0_T1_T2_jT3_P12ihipStream_tbPNSt15iterator_traitsISK_E10value_typeEPNSQ_ISL_E10value_typeEPSM_NS1_7vsmem_tEENKUlT_SK_SL_SM_E_clISE_PsSF_SF_EESJ_SZ_SK_SL_SM_EUlSZ_E_NS1_11comp_targetILNS1_3genE5ELNS1_11target_archE942ELNS1_3gpuE9ELNS1_3repE0EEENS1_48merge_mergepath_partition_config_static_selectorELNS0_4arch9wavefront6targetE1EEEvSL_
	.p2align	8
	.type	_ZN7rocprim17ROCPRIM_400000_NS6detail17trampoline_kernelINS0_14default_configENS1_38merge_sort_block_merge_config_selectorIsNS0_10empty_typeEEEZZNS1_27merge_sort_block_merge_implIS3_N6thrust23THRUST_200600_302600_NS6detail15normal_iteratorINS9_10device_ptrIsEEEEPS5_jNS1_19radix_merge_compareILb0ELb1EsNS0_19identity_decomposerEEEEE10hipError_tT0_T1_T2_jT3_P12ihipStream_tbPNSt15iterator_traitsISK_E10value_typeEPNSQ_ISL_E10value_typeEPSM_NS1_7vsmem_tEENKUlT_SK_SL_SM_E_clISE_PsSF_SF_EESJ_SZ_SK_SL_SM_EUlSZ_E_NS1_11comp_targetILNS1_3genE5ELNS1_11target_archE942ELNS1_3gpuE9ELNS1_3repE0EEENS1_48merge_mergepath_partition_config_static_selectorELNS0_4arch9wavefront6targetE1EEEvSL_,@function
_ZN7rocprim17ROCPRIM_400000_NS6detail17trampoline_kernelINS0_14default_configENS1_38merge_sort_block_merge_config_selectorIsNS0_10empty_typeEEEZZNS1_27merge_sort_block_merge_implIS3_N6thrust23THRUST_200600_302600_NS6detail15normal_iteratorINS9_10device_ptrIsEEEEPS5_jNS1_19radix_merge_compareILb0ELb1EsNS0_19identity_decomposerEEEEE10hipError_tT0_T1_T2_jT3_P12ihipStream_tbPNSt15iterator_traitsISK_E10value_typeEPNSQ_ISL_E10value_typeEPSM_NS1_7vsmem_tEENKUlT_SK_SL_SM_E_clISE_PsSF_SF_EESJ_SZ_SK_SL_SM_EUlSZ_E_NS1_11comp_targetILNS1_3genE5ELNS1_11target_archE942ELNS1_3gpuE9ELNS1_3repE0EEENS1_48merge_mergepath_partition_config_static_selectorELNS0_4arch9wavefront6targetE1EEEvSL_: ; @_ZN7rocprim17ROCPRIM_400000_NS6detail17trampoline_kernelINS0_14default_configENS1_38merge_sort_block_merge_config_selectorIsNS0_10empty_typeEEEZZNS1_27merge_sort_block_merge_implIS3_N6thrust23THRUST_200600_302600_NS6detail15normal_iteratorINS9_10device_ptrIsEEEEPS5_jNS1_19radix_merge_compareILb0ELb1EsNS0_19identity_decomposerEEEEE10hipError_tT0_T1_T2_jT3_P12ihipStream_tbPNSt15iterator_traitsISK_E10value_typeEPNSQ_ISL_E10value_typeEPSM_NS1_7vsmem_tEENKUlT_SK_SL_SM_E_clISE_PsSF_SF_EESJ_SZ_SK_SL_SM_EUlSZ_E_NS1_11comp_targetILNS1_3genE5ELNS1_11target_archE942ELNS1_3gpuE9ELNS1_3repE0EEENS1_48merge_mergepath_partition_config_static_selectorELNS0_4arch9wavefront6targetE1EEEvSL_
; %bb.0:
	.section	.rodata,"a",@progbits
	.p2align	6, 0x0
	.amdhsa_kernel _ZN7rocprim17ROCPRIM_400000_NS6detail17trampoline_kernelINS0_14default_configENS1_38merge_sort_block_merge_config_selectorIsNS0_10empty_typeEEEZZNS1_27merge_sort_block_merge_implIS3_N6thrust23THRUST_200600_302600_NS6detail15normal_iteratorINS9_10device_ptrIsEEEEPS5_jNS1_19radix_merge_compareILb0ELb1EsNS0_19identity_decomposerEEEEE10hipError_tT0_T1_T2_jT3_P12ihipStream_tbPNSt15iterator_traitsISK_E10value_typeEPNSQ_ISL_E10value_typeEPSM_NS1_7vsmem_tEENKUlT_SK_SL_SM_E_clISE_PsSF_SF_EESJ_SZ_SK_SL_SM_EUlSZ_E_NS1_11comp_targetILNS1_3genE5ELNS1_11target_archE942ELNS1_3gpuE9ELNS1_3repE0EEENS1_48merge_mergepath_partition_config_static_selectorELNS0_4arch9wavefront6targetE1EEEvSL_
		.amdhsa_group_segment_fixed_size 0
		.amdhsa_private_segment_fixed_size 0
		.amdhsa_kernarg_size 40
		.amdhsa_user_sgpr_count 6
		.amdhsa_user_sgpr_private_segment_buffer 1
		.amdhsa_user_sgpr_dispatch_ptr 0
		.amdhsa_user_sgpr_queue_ptr 0
		.amdhsa_user_sgpr_kernarg_segment_ptr 1
		.amdhsa_user_sgpr_dispatch_id 0
		.amdhsa_user_sgpr_flat_scratch_init 0
		.amdhsa_user_sgpr_kernarg_preload_length 0
		.amdhsa_user_sgpr_kernarg_preload_offset 0
		.amdhsa_user_sgpr_private_segment_size 0
		.amdhsa_uses_dynamic_stack 0
		.amdhsa_system_sgpr_private_segment_wavefront_offset 0
		.amdhsa_system_sgpr_workgroup_id_x 1
		.amdhsa_system_sgpr_workgroup_id_y 0
		.amdhsa_system_sgpr_workgroup_id_z 0
		.amdhsa_system_sgpr_workgroup_info 0
		.amdhsa_system_vgpr_workitem_id 0
		.amdhsa_next_free_vgpr 1
		.amdhsa_next_free_sgpr 0
		.amdhsa_accum_offset 4
		.amdhsa_reserve_vcc 0
		.amdhsa_reserve_flat_scratch 0
		.amdhsa_float_round_mode_32 0
		.amdhsa_float_round_mode_16_64 0
		.amdhsa_float_denorm_mode_32 3
		.amdhsa_float_denorm_mode_16_64 3
		.amdhsa_dx10_clamp 1
		.amdhsa_ieee_mode 1
		.amdhsa_fp16_overflow 0
		.amdhsa_tg_split 0
		.amdhsa_exception_fp_ieee_invalid_op 0
		.amdhsa_exception_fp_denorm_src 0
		.amdhsa_exception_fp_ieee_div_zero 0
		.amdhsa_exception_fp_ieee_overflow 0
		.amdhsa_exception_fp_ieee_underflow 0
		.amdhsa_exception_fp_ieee_inexact 0
		.amdhsa_exception_int_div_zero 0
	.end_amdhsa_kernel
	.section	.text._ZN7rocprim17ROCPRIM_400000_NS6detail17trampoline_kernelINS0_14default_configENS1_38merge_sort_block_merge_config_selectorIsNS0_10empty_typeEEEZZNS1_27merge_sort_block_merge_implIS3_N6thrust23THRUST_200600_302600_NS6detail15normal_iteratorINS9_10device_ptrIsEEEEPS5_jNS1_19radix_merge_compareILb0ELb1EsNS0_19identity_decomposerEEEEE10hipError_tT0_T1_T2_jT3_P12ihipStream_tbPNSt15iterator_traitsISK_E10value_typeEPNSQ_ISL_E10value_typeEPSM_NS1_7vsmem_tEENKUlT_SK_SL_SM_E_clISE_PsSF_SF_EESJ_SZ_SK_SL_SM_EUlSZ_E_NS1_11comp_targetILNS1_3genE5ELNS1_11target_archE942ELNS1_3gpuE9ELNS1_3repE0EEENS1_48merge_mergepath_partition_config_static_selectorELNS0_4arch9wavefront6targetE1EEEvSL_,"axG",@progbits,_ZN7rocprim17ROCPRIM_400000_NS6detail17trampoline_kernelINS0_14default_configENS1_38merge_sort_block_merge_config_selectorIsNS0_10empty_typeEEEZZNS1_27merge_sort_block_merge_implIS3_N6thrust23THRUST_200600_302600_NS6detail15normal_iteratorINS9_10device_ptrIsEEEEPS5_jNS1_19radix_merge_compareILb0ELb1EsNS0_19identity_decomposerEEEEE10hipError_tT0_T1_T2_jT3_P12ihipStream_tbPNSt15iterator_traitsISK_E10value_typeEPNSQ_ISL_E10value_typeEPSM_NS1_7vsmem_tEENKUlT_SK_SL_SM_E_clISE_PsSF_SF_EESJ_SZ_SK_SL_SM_EUlSZ_E_NS1_11comp_targetILNS1_3genE5ELNS1_11target_archE942ELNS1_3gpuE9ELNS1_3repE0EEENS1_48merge_mergepath_partition_config_static_selectorELNS0_4arch9wavefront6targetE1EEEvSL_,comdat
.Lfunc_end1901:
	.size	_ZN7rocprim17ROCPRIM_400000_NS6detail17trampoline_kernelINS0_14default_configENS1_38merge_sort_block_merge_config_selectorIsNS0_10empty_typeEEEZZNS1_27merge_sort_block_merge_implIS3_N6thrust23THRUST_200600_302600_NS6detail15normal_iteratorINS9_10device_ptrIsEEEEPS5_jNS1_19radix_merge_compareILb0ELb1EsNS0_19identity_decomposerEEEEE10hipError_tT0_T1_T2_jT3_P12ihipStream_tbPNSt15iterator_traitsISK_E10value_typeEPNSQ_ISL_E10value_typeEPSM_NS1_7vsmem_tEENKUlT_SK_SL_SM_E_clISE_PsSF_SF_EESJ_SZ_SK_SL_SM_EUlSZ_E_NS1_11comp_targetILNS1_3genE5ELNS1_11target_archE942ELNS1_3gpuE9ELNS1_3repE0EEENS1_48merge_mergepath_partition_config_static_selectorELNS0_4arch9wavefront6targetE1EEEvSL_, .Lfunc_end1901-_ZN7rocprim17ROCPRIM_400000_NS6detail17trampoline_kernelINS0_14default_configENS1_38merge_sort_block_merge_config_selectorIsNS0_10empty_typeEEEZZNS1_27merge_sort_block_merge_implIS3_N6thrust23THRUST_200600_302600_NS6detail15normal_iteratorINS9_10device_ptrIsEEEEPS5_jNS1_19radix_merge_compareILb0ELb1EsNS0_19identity_decomposerEEEEE10hipError_tT0_T1_T2_jT3_P12ihipStream_tbPNSt15iterator_traitsISK_E10value_typeEPNSQ_ISL_E10value_typeEPSM_NS1_7vsmem_tEENKUlT_SK_SL_SM_E_clISE_PsSF_SF_EESJ_SZ_SK_SL_SM_EUlSZ_E_NS1_11comp_targetILNS1_3genE5ELNS1_11target_archE942ELNS1_3gpuE9ELNS1_3repE0EEENS1_48merge_mergepath_partition_config_static_selectorELNS0_4arch9wavefront6targetE1EEEvSL_
                                        ; -- End function
	.section	.AMDGPU.csdata,"",@progbits
; Kernel info:
; codeLenInByte = 0
; NumSgprs: 4
; NumVgprs: 0
; NumAgprs: 0
; TotalNumVgprs: 0
; ScratchSize: 0
; MemoryBound: 0
; FloatMode: 240
; IeeeMode: 1
; LDSByteSize: 0 bytes/workgroup (compile time only)
; SGPRBlocks: 0
; VGPRBlocks: 0
; NumSGPRsForWavesPerEU: 4
; NumVGPRsForWavesPerEU: 1
; AccumOffset: 4
; Occupancy: 8
; WaveLimiterHint : 0
; COMPUTE_PGM_RSRC2:SCRATCH_EN: 0
; COMPUTE_PGM_RSRC2:USER_SGPR: 6
; COMPUTE_PGM_RSRC2:TRAP_HANDLER: 0
; COMPUTE_PGM_RSRC2:TGID_X_EN: 1
; COMPUTE_PGM_RSRC2:TGID_Y_EN: 0
; COMPUTE_PGM_RSRC2:TGID_Z_EN: 0
; COMPUTE_PGM_RSRC2:TIDIG_COMP_CNT: 0
; COMPUTE_PGM_RSRC3_GFX90A:ACCUM_OFFSET: 0
; COMPUTE_PGM_RSRC3_GFX90A:TG_SPLIT: 0
	.section	.text._ZN7rocprim17ROCPRIM_400000_NS6detail17trampoline_kernelINS0_14default_configENS1_38merge_sort_block_merge_config_selectorIsNS0_10empty_typeEEEZZNS1_27merge_sort_block_merge_implIS3_N6thrust23THRUST_200600_302600_NS6detail15normal_iteratorINS9_10device_ptrIsEEEEPS5_jNS1_19radix_merge_compareILb0ELb1EsNS0_19identity_decomposerEEEEE10hipError_tT0_T1_T2_jT3_P12ihipStream_tbPNSt15iterator_traitsISK_E10value_typeEPNSQ_ISL_E10value_typeEPSM_NS1_7vsmem_tEENKUlT_SK_SL_SM_E_clISE_PsSF_SF_EESJ_SZ_SK_SL_SM_EUlSZ_E_NS1_11comp_targetILNS1_3genE4ELNS1_11target_archE910ELNS1_3gpuE8ELNS1_3repE0EEENS1_48merge_mergepath_partition_config_static_selectorELNS0_4arch9wavefront6targetE1EEEvSL_,"axG",@progbits,_ZN7rocprim17ROCPRIM_400000_NS6detail17trampoline_kernelINS0_14default_configENS1_38merge_sort_block_merge_config_selectorIsNS0_10empty_typeEEEZZNS1_27merge_sort_block_merge_implIS3_N6thrust23THRUST_200600_302600_NS6detail15normal_iteratorINS9_10device_ptrIsEEEEPS5_jNS1_19radix_merge_compareILb0ELb1EsNS0_19identity_decomposerEEEEE10hipError_tT0_T1_T2_jT3_P12ihipStream_tbPNSt15iterator_traitsISK_E10value_typeEPNSQ_ISL_E10value_typeEPSM_NS1_7vsmem_tEENKUlT_SK_SL_SM_E_clISE_PsSF_SF_EESJ_SZ_SK_SL_SM_EUlSZ_E_NS1_11comp_targetILNS1_3genE4ELNS1_11target_archE910ELNS1_3gpuE8ELNS1_3repE0EEENS1_48merge_mergepath_partition_config_static_selectorELNS0_4arch9wavefront6targetE1EEEvSL_,comdat
	.protected	_ZN7rocprim17ROCPRIM_400000_NS6detail17trampoline_kernelINS0_14default_configENS1_38merge_sort_block_merge_config_selectorIsNS0_10empty_typeEEEZZNS1_27merge_sort_block_merge_implIS3_N6thrust23THRUST_200600_302600_NS6detail15normal_iteratorINS9_10device_ptrIsEEEEPS5_jNS1_19radix_merge_compareILb0ELb1EsNS0_19identity_decomposerEEEEE10hipError_tT0_T1_T2_jT3_P12ihipStream_tbPNSt15iterator_traitsISK_E10value_typeEPNSQ_ISL_E10value_typeEPSM_NS1_7vsmem_tEENKUlT_SK_SL_SM_E_clISE_PsSF_SF_EESJ_SZ_SK_SL_SM_EUlSZ_E_NS1_11comp_targetILNS1_3genE4ELNS1_11target_archE910ELNS1_3gpuE8ELNS1_3repE0EEENS1_48merge_mergepath_partition_config_static_selectorELNS0_4arch9wavefront6targetE1EEEvSL_ ; -- Begin function _ZN7rocprim17ROCPRIM_400000_NS6detail17trampoline_kernelINS0_14default_configENS1_38merge_sort_block_merge_config_selectorIsNS0_10empty_typeEEEZZNS1_27merge_sort_block_merge_implIS3_N6thrust23THRUST_200600_302600_NS6detail15normal_iteratorINS9_10device_ptrIsEEEEPS5_jNS1_19radix_merge_compareILb0ELb1EsNS0_19identity_decomposerEEEEE10hipError_tT0_T1_T2_jT3_P12ihipStream_tbPNSt15iterator_traitsISK_E10value_typeEPNSQ_ISL_E10value_typeEPSM_NS1_7vsmem_tEENKUlT_SK_SL_SM_E_clISE_PsSF_SF_EESJ_SZ_SK_SL_SM_EUlSZ_E_NS1_11comp_targetILNS1_3genE4ELNS1_11target_archE910ELNS1_3gpuE8ELNS1_3repE0EEENS1_48merge_mergepath_partition_config_static_selectorELNS0_4arch9wavefront6targetE1EEEvSL_
	.globl	_ZN7rocprim17ROCPRIM_400000_NS6detail17trampoline_kernelINS0_14default_configENS1_38merge_sort_block_merge_config_selectorIsNS0_10empty_typeEEEZZNS1_27merge_sort_block_merge_implIS3_N6thrust23THRUST_200600_302600_NS6detail15normal_iteratorINS9_10device_ptrIsEEEEPS5_jNS1_19radix_merge_compareILb0ELb1EsNS0_19identity_decomposerEEEEE10hipError_tT0_T1_T2_jT3_P12ihipStream_tbPNSt15iterator_traitsISK_E10value_typeEPNSQ_ISL_E10value_typeEPSM_NS1_7vsmem_tEENKUlT_SK_SL_SM_E_clISE_PsSF_SF_EESJ_SZ_SK_SL_SM_EUlSZ_E_NS1_11comp_targetILNS1_3genE4ELNS1_11target_archE910ELNS1_3gpuE8ELNS1_3repE0EEENS1_48merge_mergepath_partition_config_static_selectorELNS0_4arch9wavefront6targetE1EEEvSL_
	.p2align	8
	.type	_ZN7rocprim17ROCPRIM_400000_NS6detail17trampoline_kernelINS0_14default_configENS1_38merge_sort_block_merge_config_selectorIsNS0_10empty_typeEEEZZNS1_27merge_sort_block_merge_implIS3_N6thrust23THRUST_200600_302600_NS6detail15normal_iteratorINS9_10device_ptrIsEEEEPS5_jNS1_19radix_merge_compareILb0ELb1EsNS0_19identity_decomposerEEEEE10hipError_tT0_T1_T2_jT3_P12ihipStream_tbPNSt15iterator_traitsISK_E10value_typeEPNSQ_ISL_E10value_typeEPSM_NS1_7vsmem_tEENKUlT_SK_SL_SM_E_clISE_PsSF_SF_EESJ_SZ_SK_SL_SM_EUlSZ_E_NS1_11comp_targetILNS1_3genE4ELNS1_11target_archE910ELNS1_3gpuE8ELNS1_3repE0EEENS1_48merge_mergepath_partition_config_static_selectorELNS0_4arch9wavefront6targetE1EEEvSL_,@function
_ZN7rocprim17ROCPRIM_400000_NS6detail17trampoline_kernelINS0_14default_configENS1_38merge_sort_block_merge_config_selectorIsNS0_10empty_typeEEEZZNS1_27merge_sort_block_merge_implIS3_N6thrust23THRUST_200600_302600_NS6detail15normal_iteratorINS9_10device_ptrIsEEEEPS5_jNS1_19radix_merge_compareILb0ELb1EsNS0_19identity_decomposerEEEEE10hipError_tT0_T1_T2_jT3_P12ihipStream_tbPNSt15iterator_traitsISK_E10value_typeEPNSQ_ISL_E10value_typeEPSM_NS1_7vsmem_tEENKUlT_SK_SL_SM_E_clISE_PsSF_SF_EESJ_SZ_SK_SL_SM_EUlSZ_E_NS1_11comp_targetILNS1_3genE4ELNS1_11target_archE910ELNS1_3gpuE8ELNS1_3repE0EEENS1_48merge_mergepath_partition_config_static_selectorELNS0_4arch9wavefront6targetE1EEEvSL_: ; @_ZN7rocprim17ROCPRIM_400000_NS6detail17trampoline_kernelINS0_14default_configENS1_38merge_sort_block_merge_config_selectorIsNS0_10empty_typeEEEZZNS1_27merge_sort_block_merge_implIS3_N6thrust23THRUST_200600_302600_NS6detail15normal_iteratorINS9_10device_ptrIsEEEEPS5_jNS1_19radix_merge_compareILb0ELb1EsNS0_19identity_decomposerEEEEE10hipError_tT0_T1_T2_jT3_P12ihipStream_tbPNSt15iterator_traitsISK_E10value_typeEPNSQ_ISL_E10value_typeEPSM_NS1_7vsmem_tEENKUlT_SK_SL_SM_E_clISE_PsSF_SF_EESJ_SZ_SK_SL_SM_EUlSZ_E_NS1_11comp_targetILNS1_3genE4ELNS1_11target_archE910ELNS1_3gpuE8ELNS1_3repE0EEENS1_48merge_mergepath_partition_config_static_selectorELNS0_4arch9wavefront6targetE1EEEvSL_
; %bb.0:
	s_load_dword s0, s[4:5], 0x0
	v_lshl_or_b32 v0, s6, 7, v0
	s_waitcnt lgkmcnt(0)
	v_cmp_gt_u32_e32 vcc, s0, v0
	s_and_saveexec_b64 s[0:1], vcc
	s_cbranch_execz .LBB1902_6
; %bb.1:
	s_load_dwordx2 s[2:3], s[4:5], 0x4
	s_load_dwordx2 s[0:1], s[4:5], 0x20
	s_waitcnt lgkmcnt(0)
	s_lshr_b32 s6, s2, 9
	s_and_b32 s6, s6, 0x7ffffe
	s_add_i32 s7, s6, -1
	s_sub_i32 s6, 0, s6
	v_and_b32_e32 v1, s6, v0
	v_lshlrev_b32_e32 v1, 10, v1
	v_min_u32_e32 v2, s3, v1
	v_add_u32_e32 v1, s2, v1
	v_min_u32_e32 v4, s3, v1
	v_add_u32_e32 v1, s2, v4
	v_and_b32_e32 v3, s7, v0
	v_min_u32_e32 v1, s3, v1
	v_sub_u32_e32 v5, v1, v2
	v_lshlrev_b32_e32 v3, 10, v3
	v_min_u32_e32 v6, v5, v3
	v_sub_u32_e32 v3, v4, v2
	v_sub_u32_e32 v1, v1, v4
	v_sub_u32_e64 v1, v6, v1 clamp
	v_min_u32_e32 v7, v6, v3
	v_cmp_lt_u32_e32 vcc, v1, v7
	s_and_saveexec_b64 s[2:3], vcc
	s_cbranch_execz .LBB1902_5
; %bb.2:
	s_load_dwordx2 s[8:9], s[4:5], 0x10
	s_load_dword s6, s[4:5], 0x18
	v_mov_b32_e32 v5, 0
	v_mov_b32_e32 v3, v5
	v_lshlrev_b64 v[8:9], 1, v[2:3]
	s_waitcnt lgkmcnt(0)
	v_mov_b32_e32 v12, s9
	v_add_co_u32_e32 v3, vcc, s8, v8
	v_addc_co_u32_e32 v8, vcc, v12, v9, vcc
	v_lshlrev_b64 v[10:11], 1, v[4:5]
	v_add_co_u32_e32 v9, vcc, s8, v10
	v_addc_co_u32_e32 v10, vcc, v12, v11, vcc
	s_mov_b64 s[4:5], 0
.LBB1902_3:                             ; =>This Inner Loop Header: Depth=1
	v_add_u32_e32 v4, v7, v1
	v_and_b32_e32 v12, -2, v4
	v_lshrrev_b32_e32 v11, 1, v4
	v_add_co_u32_e32 v12, vcc, v3, v12
	v_xad_u32 v4, v11, -1, v6
	v_addc_co_u32_e32 v13, vcc, 0, v8, vcc
	flat_load_ushort v14, v[12:13]
	v_lshlrev_b64 v[12:13], 1, v[4:5]
	v_add_co_u32_e32 v12, vcc, v9, v12
	v_addc_co_u32_e32 v13, vcc, v10, v13, vcc
	flat_load_ushort v4, v[12:13]
	v_add_u32_e32 v12, 1, v11
	s_waitcnt vmcnt(0) lgkmcnt(0)
	v_and_b32_e32 v13, s6, v14
	v_and_b32_e32 v4, s6, v4
	v_cmp_gt_i16_e32 vcc, v13, v4
	v_cndmask_b32_e32 v7, v7, v11, vcc
	v_cndmask_b32_e32 v1, v12, v1, vcc
	v_cmp_ge_u32_e32 vcc, v1, v7
	s_or_b64 s[4:5], vcc, s[4:5]
	s_andn2_b64 exec, exec, s[4:5]
	s_cbranch_execnz .LBB1902_3
; %bb.4:
	s_or_b64 exec, exec, s[4:5]
.LBB1902_5:
	s_or_b64 exec, exec, s[2:3]
	v_add_u32_e32 v2, v1, v2
	v_mov_b32_e32 v1, 0
	v_lshlrev_b64 v[0:1], 2, v[0:1]
	v_mov_b32_e32 v3, s1
	v_add_co_u32_e32 v0, vcc, s0, v0
	v_addc_co_u32_e32 v1, vcc, v3, v1, vcc
	global_store_dword v[0:1], v2, off
.LBB1902_6:
	s_endpgm
	.section	.rodata,"a",@progbits
	.p2align	6, 0x0
	.amdhsa_kernel _ZN7rocprim17ROCPRIM_400000_NS6detail17trampoline_kernelINS0_14default_configENS1_38merge_sort_block_merge_config_selectorIsNS0_10empty_typeEEEZZNS1_27merge_sort_block_merge_implIS3_N6thrust23THRUST_200600_302600_NS6detail15normal_iteratorINS9_10device_ptrIsEEEEPS5_jNS1_19radix_merge_compareILb0ELb1EsNS0_19identity_decomposerEEEEE10hipError_tT0_T1_T2_jT3_P12ihipStream_tbPNSt15iterator_traitsISK_E10value_typeEPNSQ_ISL_E10value_typeEPSM_NS1_7vsmem_tEENKUlT_SK_SL_SM_E_clISE_PsSF_SF_EESJ_SZ_SK_SL_SM_EUlSZ_E_NS1_11comp_targetILNS1_3genE4ELNS1_11target_archE910ELNS1_3gpuE8ELNS1_3repE0EEENS1_48merge_mergepath_partition_config_static_selectorELNS0_4arch9wavefront6targetE1EEEvSL_
		.amdhsa_group_segment_fixed_size 0
		.amdhsa_private_segment_fixed_size 0
		.amdhsa_kernarg_size 40
		.amdhsa_user_sgpr_count 6
		.amdhsa_user_sgpr_private_segment_buffer 1
		.amdhsa_user_sgpr_dispatch_ptr 0
		.amdhsa_user_sgpr_queue_ptr 0
		.amdhsa_user_sgpr_kernarg_segment_ptr 1
		.amdhsa_user_sgpr_dispatch_id 0
		.amdhsa_user_sgpr_flat_scratch_init 0
		.amdhsa_user_sgpr_kernarg_preload_length 0
		.amdhsa_user_sgpr_kernarg_preload_offset 0
		.amdhsa_user_sgpr_private_segment_size 0
		.amdhsa_uses_dynamic_stack 0
		.amdhsa_system_sgpr_private_segment_wavefront_offset 0
		.amdhsa_system_sgpr_workgroup_id_x 1
		.amdhsa_system_sgpr_workgroup_id_y 0
		.amdhsa_system_sgpr_workgroup_id_z 0
		.amdhsa_system_sgpr_workgroup_info 0
		.amdhsa_system_vgpr_workitem_id 0
		.amdhsa_next_free_vgpr 15
		.amdhsa_next_free_sgpr 10
		.amdhsa_accum_offset 16
		.amdhsa_reserve_vcc 1
		.amdhsa_reserve_flat_scratch 0
		.amdhsa_float_round_mode_32 0
		.amdhsa_float_round_mode_16_64 0
		.amdhsa_float_denorm_mode_32 3
		.amdhsa_float_denorm_mode_16_64 3
		.amdhsa_dx10_clamp 1
		.amdhsa_ieee_mode 1
		.amdhsa_fp16_overflow 0
		.amdhsa_tg_split 0
		.amdhsa_exception_fp_ieee_invalid_op 0
		.amdhsa_exception_fp_denorm_src 0
		.amdhsa_exception_fp_ieee_div_zero 0
		.amdhsa_exception_fp_ieee_overflow 0
		.amdhsa_exception_fp_ieee_underflow 0
		.amdhsa_exception_fp_ieee_inexact 0
		.amdhsa_exception_int_div_zero 0
	.end_amdhsa_kernel
	.section	.text._ZN7rocprim17ROCPRIM_400000_NS6detail17trampoline_kernelINS0_14default_configENS1_38merge_sort_block_merge_config_selectorIsNS0_10empty_typeEEEZZNS1_27merge_sort_block_merge_implIS3_N6thrust23THRUST_200600_302600_NS6detail15normal_iteratorINS9_10device_ptrIsEEEEPS5_jNS1_19radix_merge_compareILb0ELb1EsNS0_19identity_decomposerEEEEE10hipError_tT0_T1_T2_jT3_P12ihipStream_tbPNSt15iterator_traitsISK_E10value_typeEPNSQ_ISL_E10value_typeEPSM_NS1_7vsmem_tEENKUlT_SK_SL_SM_E_clISE_PsSF_SF_EESJ_SZ_SK_SL_SM_EUlSZ_E_NS1_11comp_targetILNS1_3genE4ELNS1_11target_archE910ELNS1_3gpuE8ELNS1_3repE0EEENS1_48merge_mergepath_partition_config_static_selectorELNS0_4arch9wavefront6targetE1EEEvSL_,"axG",@progbits,_ZN7rocprim17ROCPRIM_400000_NS6detail17trampoline_kernelINS0_14default_configENS1_38merge_sort_block_merge_config_selectorIsNS0_10empty_typeEEEZZNS1_27merge_sort_block_merge_implIS3_N6thrust23THRUST_200600_302600_NS6detail15normal_iteratorINS9_10device_ptrIsEEEEPS5_jNS1_19radix_merge_compareILb0ELb1EsNS0_19identity_decomposerEEEEE10hipError_tT0_T1_T2_jT3_P12ihipStream_tbPNSt15iterator_traitsISK_E10value_typeEPNSQ_ISL_E10value_typeEPSM_NS1_7vsmem_tEENKUlT_SK_SL_SM_E_clISE_PsSF_SF_EESJ_SZ_SK_SL_SM_EUlSZ_E_NS1_11comp_targetILNS1_3genE4ELNS1_11target_archE910ELNS1_3gpuE8ELNS1_3repE0EEENS1_48merge_mergepath_partition_config_static_selectorELNS0_4arch9wavefront6targetE1EEEvSL_,comdat
.Lfunc_end1902:
	.size	_ZN7rocprim17ROCPRIM_400000_NS6detail17trampoline_kernelINS0_14default_configENS1_38merge_sort_block_merge_config_selectorIsNS0_10empty_typeEEEZZNS1_27merge_sort_block_merge_implIS3_N6thrust23THRUST_200600_302600_NS6detail15normal_iteratorINS9_10device_ptrIsEEEEPS5_jNS1_19radix_merge_compareILb0ELb1EsNS0_19identity_decomposerEEEEE10hipError_tT0_T1_T2_jT3_P12ihipStream_tbPNSt15iterator_traitsISK_E10value_typeEPNSQ_ISL_E10value_typeEPSM_NS1_7vsmem_tEENKUlT_SK_SL_SM_E_clISE_PsSF_SF_EESJ_SZ_SK_SL_SM_EUlSZ_E_NS1_11comp_targetILNS1_3genE4ELNS1_11target_archE910ELNS1_3gpuE8ELNS1_3repE0EEENS1_48merge_mergepath_partition_config_static_selectorELNS0_4arch9wavefront6targetE1EEEvSL_, .Lfunc_end1902-_ZN7rocprim17ROCPRIM_400000_NS6detail17trampoline_kernelINS0_14default_configENS1_38merge_sort_block_merge_config_selectorIsNS0_10empty_typeEEEZZNS1_27merge_sort_block_merge_implIS3_N6thrust23THRUST_200600_302600_NS6detail15normal_iteratorINS9_10device_ptrIsEEEEPS5_jNS1_19radix_merge_compareILb0ELb1EsNS0_19identity_decomposerEEEEE10hipError_tT0_T1_T2_jT3_P12ihipStream_tbPNSt15iterator_traitsISK_E10value_typeEPNSQ_ISL_E10value_typeEPSM_NS1_7vsmem_tEENKUlT_SK_SL_SM_E_clISE_PsSF_SF_EESJ_SZ_SK_SL_SM_EUlSZ_E_NS1_11comp_targetILNS1_3genE4ELNS1_11target_archE910ELNS1_3gpuE8ELNS1_3repE0EEENS1_48merge_mergepath_partition_config_static_selectorELNS0_4arch9wavefront6targetE1EEEvSL_
                                        ; -- End function
	.section	.AMDGPU.csdata,"",@progbits
; Kernel info:
; codeLenInByte = 368
; NumSgprs: 14
; NumVgprs: 15
; NumAgprs: 0
; TotalNumVgprs: 15
; ScratchSize: 0
; MemoryBound: 0
; FloatMode: 240
; IeeeMode: 1
; LDSByteSize: 0 bytes/workgroup (compile time only)
; SGPRBlocks: 1
; VGPRBlocks: 1
; NumSGPRsForWavesPerEU: 14
; NumVGPRsForWavesPerEU: 15
; AccumOffset: 16
; Occupancy: 8
; WaveLimiterHint : 0
; COMPUTE_PGM_RSRC2:SCRATCH_EN: 0
; COMPUTE_PGM_RSRC2:USER_SGPR: 6
; COMPUTE_PGM_RSRC2:TRAP_HANDLER: 0
; COMPUTE_PGM_RSRC2:TGID_X_EN: 1
; COMPUTE_PGM_RSRC2:TGID_Y_EN: 0
; COMPUTE_PGM_RSRC2:TGID_Z_EN: 0
; COMPUTE_PGM_RSRC2:TIDIG_COMP_CNT: 0
; COMPUTE_PGM_RSRC3_GFX90A:ACCUM_OFFSET: 3
; COMPUTE_PGM_RSRC3_GFX90A:TG_SPLIT: 0
	.section	.text._ZN7rocprim17ROCPRIM_400000_NS6detail17trampoline_kernelINS0_14default_configENS1_38merge_sort_block_merge_config_selectorIsNS0_10empty_typeEEEZZNS1_27merge_sort_block_merge_implIS3_N6thrust23THRUST_200600_302600_NS6detail15normal_iteratorINS9_10device_ptrIsEEEEPS5_jNS1_19radix_merge_compareILb0ELb1EsNS0_19identity_decomposerEEEEE10hipError_tT0_T1_T2_jT3_P12ihipStream_tbPNSt15iterator_traitsISK_E10value_typeEPNSQ_ISL_E10value_typeEPSM_NS1_7vsmem_tEENKUlT_SK_SL_SM_E_clISE_PsSF_SF_EESJ_SZ_SK_SL_SM_EUlSZ_E_NS1_11comp_targetILNS1_3genE3ELNS1_11target_archE908ELNS1_3gpuE7ELNS1_3repE0EEENS1_48merge_mergepath_partition_config_static_selectorELNS0_4arch9wavefront6targetE1EEEvSL_,"axG",@progbits,_ZN7rocprim17ROCPRIM_400000_NS6detail17trampoline_kernelINS0_14default_configENS1_38merge_sort_block_merge_config_selectorIsNS0_10empty_typeEEEZZNS1_27merge_sort_block_merge_implIS3_N6thrust23THRUST_200600_302600_NS6detail15normal_iteratorINS9_10device_ptrIsEEEEPS5_jNS1_19radix_merge_compareILb0ELb1EsNS0_19identity_decomposerEEEEE10hipError_tT0_T1_T2_jT3_P12ihipStream_tbPNSt15iterator_traitsISK_E10value_typeEPNSQ_ISL_E10value_typeEPSM_NS1_7vsmem_tEENKUlT_SK_SL_SM_E_clISE_PsSF_SF_EESJ_SZ_SK_SL_SM_EUlSZ_E_NS1_11comp_targetILNS1_3genE3ELNS1_11target_archE908ELNS1_3gpuE7ELNS1_3repE0EEENS1_48merge_mergepath_partition_config_static_selectorELNS0_4arch9wavefront6targetE1EEEvSL_,comdat
	.protected	_ZN7rocprim17ROCPRIM_400000_NS6detail17trampoline_kernelINS0_14default_configENS1_38merge_sort_block_merge_config_selectorIsNS0_10empty_typeEEEZZNS1_27merge_sort_block_merge_implIS3_N6thrust23THRUST_200600_302600_NS6detail15normal_iteratorINS9_10device_ptrIsEEEEPS5_jNS1_19radix_merge_compareILb0ELb1EsNS0_19identity_decomposerEEEEE10hipError_tT0_T1_T2_jT3_P12ihipStream_tbPNSt15iterator_traitsISK_E10value_typeEPNSQ_ISL_E10value_typeEPSM_NS1_7vsmem_tEENKUlT_SK_SL_SM_E_clISE_PsSF_SF_EESJ_SZ_SK_SL_SM_EUlSZ_E_NS1_11comp_targetILNS1_3genE3ELNS1_11target_archE908ELNS1_3gpuE7ELNS1_3repE0EEENS1_48merge_mergepath_partition_config_static_selectorELNS0_4arch9wavefront6targetE1EEEvSL_ ; -- Begin function _ZN7rocprim17ROCPRIM_400000_NS6detail17trampoline_kernelINS0_14default_configENS1_38merge_sort_block_merge_config_selectorIsNS0_10empty_typeEEEZZNS1_27merge_sort_block_merge_implIS3_N6thrust23THRUST_200600_302600_NS6detail15normal_iteratorINS9_10device_ptrIsEEEEPS5_jNS1_19radix_merge_compareILb0ELb1EsNS0_19identity_decomposerEEEEE10hipError_tT0_T1_T2_jT3_P12ihipStream_tbPNSt15iterator_traitsISK_E10value_typeEPNSQ_ISL_E10value_typeEPSM_NS1_7vsmem_tEENKUlT_SK_SL_SM_E_clISE_PsSF_SF_EESJ_SZ_SK_SL_SM_EUlSZ_E_NS1_11comp_targetILNS1_3genE3ELNS1_11target_archE908ELNS1_3gpuE7ELNS1_3repE0EEENS1_48merge_mergepath_partition_config_static_selectorELNS0_4arch9wavefront6targetE1EEEvSL_
	.globl	_ZN7rocprim17ROCPRIM_400000_NS6detail17trampoline_kernelINS0_14default_configENS1_38merge_sort_block_merge_config_selectorIsNS0_10empty_typeEEEZZNS1_27merge_sort_block_merge_implIS3_N6thrust23THRUST_200600_302600_NS6detail15normal_iteratorINS9_10device_ptrIsEEEEPS5_jNS1_19radix_merge_compareILb0ELb1EsNS0_19identity_decomposerEEEEE10hipError_tT0_T1_T2_jT3_P12ihipStream_tbPNSt15iterator_traitsISK_E10value_typeEPNSQ_ISL_E10value_typeEPSM_NS1_7vsmem_tEENKUlT_SK_SL_SM_E_clISE_PsSF_SF_EESJ_SZ_SK_SL_SM_EUlSZ_E_NS1_11comp_targetILNS1_3genE3ELNS1_11target_archE908ELNS1_3gpuE7ELNS1_3repE0EEENS1_48merge_mergepath_partition_config_static_selectorELNS0_4arch9wavefront6targetE1EEEvSL_
	.p2align	8
	.type	_ZN7rocprim17ROCPRIM_400000_NS6detail17trampoline_kernelINS0_14default_configENS1_38merge_sort_block_merge_config_selectorIsNS0_10empty_typeEEEZZNS1_27merge_sort_block_merge_implIS3_N6thrust23THRUST_200600_302600_NS6detail15normal_iteratorINS9_10device_ptrIsEEEEPS5_jNS1_19radix_merge_compareILb0ELb1EsNS0_19identity_decomposerEEEEE10hipError_tT0_T1_T2_jT3_P12ihipStream_tbPNSt15iterator_traitsISK_E10value_typeEPNSQ_ISL_E10value_typeEPSM_NS1_7vsmem_tEENKUlT_SK_SL_SM_E_clISE_PsSF_SF_EESJ_SZ_SK_SL_SM_EUlSZ_E_NS1_11comp_targetILNS1_3genE3ELNS1_11target_archE908ELNS1_3gpuE7ELNS1_3repE0EEENS1_48merge_mergepath_partition_config_static_selectorELNS0_4arch9wavefront6targetE1EEEvSL_,@function
_ZN7rocprim17ROCPRIM_400000_NS6detail17trampoline_kernelINS0_14default_configENS1_38merge_sort_block_merge_config_selectorIsNS0_10empty_typeEEEZZNS1_27merge_sort_block_merge_implIS3_N6thrust23THRUST_200600_302600_NS6detail15normal_iteratorINS9_10device_ptrIsEEEEPS5_jNS1_19radix_merge_compareILb0ELb1EsNS0_19identity_decomposerEEEEE10hipError_tT0_T1_T2_jT3_P12ihipStream_tbPNSt15iterator_traitsISK_E10value_typeEPNSQ_ISL_E10value_typeEPSM_NS1_7vsmem_tEENKUlT_SK_SL_SM_E_clISE_PsSF_SF_EESJ_SZ_SK_SL_SM_EUlSZ_E_NS1_11comp_targetILNS1_3genE3ELNS1_11target_archE908ELNS1_3gpuE7ELNS1_3repE0EEENS1_48merge_mergepath_partition_config_static_selectorELNS0_4arch9wavefront6targetE1EEEvSL_: ; @_ZN7rocprim17ROCPRIM_400000_NS6detail17trampoline_kernelINS0_14default_configENS1_38merge_sort_block_merge_config_selectorIsNS0_10empty_typeEEEZZNS1_27merge_sort_block_merge_implIS3_N6thrust23THRUST_200600_302600_NS6detail15normal_iteratorINS9_10device_ptrIsEEEEPS5_jNS1_19radix_merge_compareILb0ELb1EsNS0_19identity_decomposerEEEEE10hipError_tT0_T1_T2_jT3_P12ihipStream_tbPNSt15iterator_traitsISK_E10value_typeEPNSQ_ISL_E10value_typeEPSM_NS1_7vsmem_tEENKUlT_SK_SL_SM_E_clISE_PsSF_SF_EESJ_SZ_SK_SL_SM_EUlSZ_E_NS1_11comp_targetILNS1_3genE3ELNS1_11target_archE908ELNS1_3gpuE7ELNS1_3repE0EEENS1_48merge_mergepath_partition_config_static_selectorELNS0_4arch9wavefront6targetE1EEEvSL_
; %bb.0:
	.section	.rodata,"a",@progbits
	.p2align	6, 0x0
	.amdhsa_kernel _ZN7rocprim17ROCPRIM_400000_NS6detail17trampoline_kernelINS0_14default_configENS1_38merge_sort_block_merge_config_selectorIsNS0_10empty_typeEEEZZNS1_27merge_sort_block_merge_implIS3_N6thrust23THRUST_200600_302600_NS6detail15normal_iteratorINS9_10device_ptrIsEEEEPS5_jNS1_19radix_merge_compareILb0ELb1EsNS0_19identity_decomposerEEEEE10hipError_tT0_T1_T2_jT3_P12ihipStream_tbPNSt15iterator_traitsISK_E10value_typeEPNSQ_ISL_E10value_typeEPSM_NS1_7vsmem_tEENKUlT_SK_SL_SM_E_clISE_PsSF_SF_EESJ_SZ_SK_SL_SM_EUlSZ_E_NS1_11comp_targetILNS1_3genE3ELNS1_11target_archE908ELNS1_3gpuE7ELNS1_3repE0EEENS1_48merge_mergepath_partition_config_static_selectorELNS0_4arch9wavefront6targetE1EEEvSL_
		.amdhsa_group_segment_fixed_size 0
		.amdhsa_private_segment_fixed_size 0
		.amdhsa_kernarg_size 40
		.amdhsa_user_sgpr_count 6
		.amdhsa_user_sgpr_private_segment_buffer 1
		.amdhsa_user_sgpr_dispatch_ptr 0
		.amdhsa_user_sgpr_queue_ptr 0
		.amdhsa_user_sgpr_kernarg_segment_ptr 1
		.amdhsa_user_sgpr_dispatch_id 0
		.amdhsa_user_sgpr_flat_scratch_init 0
		.amdhsa_user_sgpr_kernarg_preload_length 0
		.amdhsa_user_sgpr_kernarg_preload_offset 0
		.amdhsa_user_sgpr_private_segment_size 0
		.amdhsa_uses_dynamic_stack 0
		.amdhsa_system_sgpr_private_segment_wavefront_offset 0
		.amdhsa_system_sgpr_workgroup_id_x 1
		.amdhsa_system_sgpr_workgroup_id_y 0
		.amdhsa_system_sgpr_workgroup_id_z 0
		.amdhsa_system_sgpr_workgroup_info 0
		.amdhsa_system_vgpr_workitem_id 0
		.amdhsa_next_free_vgpr 1
		.amdhsa_next_free_sgpr 0
		.amdhsa_accum_offset 4
		.amdhsa_reserve_vcc 0
		.amdhsa_reserve_flat_scratch 0
		.amdhsa_float_round_mode_32 0
		.amdhsa_float_round_mode_16_64 0
		.amdhsa_float_denorm_mode_32 3
		.amdhsa_float_denorm_mode_16_64 3
		.amdhsa_dx10_clamp 1
		.amdhsa_ieee_mode 1
		.amdhsa_fp16_overflow 0
		.amdhsa_tg_split 0
		.amdhsa_exception_fp_ieee_invalid_op 0
		.amdhsa_exception_fp_denorm_src 0
		.amdhsa_exception_fp_ieee_div_zero 0
		.amdhsa_exception_fp_ieee_overflow 0
		.amdhsa_exception_fp_ieee_underflow 0
		.amdhsa_exception_fp_ieee_inexact 0
		.amdhsa_exception_int_div_zero 0
	.end_amdhsa_kernel
	.section	.text._ZN7rocprim17ROCPRIM_400000_NS6detail17trampoline_kernelINS0_14default_configENS1_38merge_sort_block_merge_config_selectorIsNS0_10empty_typeEEEZZNS1_27merge_sort_block_merge_implIS3_N6thrust23THRUST_200600_302600_NS6detail15normal_iteratorINS9_10device_ptrIsEEEEPS5_jNS1_19radix_merge_compareILb0ELb1EsNS0_19identity_decomposerEEEEE10hipError_tT0_T1_T2_jT3_P12ihipStream_tbPNSt15iterator_traitsISK_E10value_typeEPNSQ_ISL_E10value_typeEPSM_NS1_7vsmem_tEENKUlT_SK_SL_SM_E_clISE_PsSF_SF_EESJ_SZ_SK_SL_SM_EUlSZ_E_NS1_11comp_targetILNS1_3genE3ELNS1_11target_archE908ELNS1_3gpuE7ELNS1_3repE0EEENS1_48merge_mergepath_partition_config_static_selectorELNS0_4arch9wavefront6targetE1EEEvSL_,"axG",@progbits,_ZN7rocprim17ROCPRIM_400000_NS6detail17trampoline_kernelINS0_14default_configENS1_38merge_sort_block_merge_config_selectorIsNS0_10empty_typeEEEZZNS1_27merge_sort_block_merge_implIS3_N6thrust23THRUST_200600_302600_NS6detail15normal_iteratorINS9_10device_ptrIsEEEEPS5_jNS1_19radix_merge_compareILb0ELb1EsNS0_19identity_decomposerEEEEE10hipError_tT0_T1_T2_jT3_P12ihipStream_tbPNSt15iterator_traitsISK_E10value_typeEPNSQ_ISL_E10value_typeEPSM_NS1_7vsmem_tEENKUlT_SK_SL_SM_E_clISE_PsSF_SF_EESJ_SZ_SK_SL_SM_EUlSZ_E_NS1_11comp_targetILNS1_3genE3ELNS1_11target_archE908ELNS1_3gpuE7ELNS1_3repE0EEENS1_48merge_mergepath_partition_config_static_selectorELNS0_4arch9wavefront6targetE1EEEvSL_,comdat
.Lfunc_end1903:
	.size	_ZN7rocprim17ROCPRIM_400000_NS6detail17trampoline_kernelINS0_14default_configENS1_38merge_sort_block_merge_config_selectorIsNS0_10empty_typeEEEZZNS1_27merge_sort_block_merge_implIS3_N6thrust23THRUST_200600_302600_NS6detail15normal_iteratorINS9_10device_ptrIsEEEEPS5_jNS1_19radix_merge_compareILb0ELb1EsNS0_19identity_decomposerEEEEE10hipError_tT0_T1_T2_jT3_P12ihipStream_tbPNSt15iterator_traitsISK_E10value_typeEPNSQ_ISL_E10value_typeEPSM_NS1_7vsmem_tEENKUlT_SK_SL_SM_E_clISE_PsSF_SF_EESJ_SZ_SK_SL_SM_EUlSZ_E_NS1_11comp_targetILNS1_3genE3ELNS1_11target_archE908ELNS1_3gpuE7ELNS1_3repE0EEENS1_48merge_mergepath_partition_config_static_selectorELNS0_4arch9wavefront6targetE1EEEvSL_, .Lfunc_end1903-_ZN7rocprim17ROCPRIM_400000_NS6detail17trampoline_kernelINS0_14default_configENS1_38merge_sort_block_merge_config_selectorIsNS0_10empty_typeEEEZZNS1_27merge_sort_block_merge_implIS3_N6thrust23THRUST_200600_302600_NS6detail15normal_iteratorINS9_10device_ptrIsEEEEPS5_jNS1_19radix_merge_compareILb0ELb1EsNS0_19identity_decomposerEEEEE10hipError_tT0_T1_T2_jT3_P12ihipStream_tbPNSt15iterator_traitsISK_E10value_typeEPNSQ_ISL_E10value_typeEPSM_NS1_7vsmem_tEENKUlT_SK_SL_SM_E_clISE_PsSF_SF_EESJ_SZ_SK_SL_SM_EUlSZ_E_NS1_11comp_targetILNS1_3genE3ELNS1_11target_archE908ELNS1_3gpuE7ELNS1_3repE0EEENS1_48merge_mergepath_partition_config_static_selectorELNS0_4arch9wavefront6targetE1EEEvSL_
                                        ; -- End function
	.section	.AMDGPU.csdata,"",@progbits
; Kernel info:
; codeLenInByte = 0
; NumSgprs: 4
; NumVgprs: 0
; NumAgprs: 0
; TotalNumVgprs: 0
; ScratchSize: 0
; MemoryBound: 0
; FloatMode: 240
; IeeeMode: 1
; LDSByteSize: 0 bytes/workgroup (compile time only)
; SGPRBlocks: 0
; VGPRBlocks: 0
; NumSGPRsForWavesPerEU: 4
; NumVGPRsForWavesPerEU: 1
; AccumOffset: 4
; Occupancy: 8
; WaveLimiterHint : 0
; COMPUTE_PGM_RSRC2:SCRATCH_EN: 0
; COMPUTE_PGM_RSRC2:USER_SGPR: 6
; COMPUTE_PGM_RSRC2:TRAP_HANDLER: 0
; COMPUTE_PGM_RSRC2:TGID_X_EN: 1
; COMPUTE_PGM_RSRC2:TGID_Y_EN: 0
; COMPUTE_PGM_RSRC2:TGID_Z_EN: 0
; COMPUTE_PGM_RSRC2:TIDIG_COMP_CNT: 0
; COMPUTE_PGM_RSRC3_GFX90A:ACCUM_OFFSET: 0
; COMPUTE_PGM_RSRC3_GFX90A:TG_SPLIT: 0
	.section	.text._ZN7rocprim17ROCPRIM_400000_NS6detail17trampoline_kernelINS0_14default_configENS1_38merge_sort_block_merge_config_selectorIsNS0_10empty_typeEEEZZNS1_27merge_sort_block_merge_implIS3_N6thrust23THRUST_200600_302600_NS6detail15normal_iteratorINS9_10device_ptrIsEEEEPS5_jNS1_19radix_merge_compareILb0ELb1EsNS0_19identity_decomposerEEEEE10hipError_tT0_T1_T2_jT3_P12ihipStream_tbPNSt15iterator_traitsISK_E10value_typeEPNSQ_ISL_E10value_typeEPSM_NS1_7vsmem_tEENKUlT_SK_SL_SM_E_clISE_PsSF_SF_EESJ_SZ_SK_SL_SM_EUlSZ_E_NS1_11comp_targetILNS1_3genE2ELNS1_11target_archE906ELNS1_3gpuE6ELNS1_3repE0EEENS1_48merge_mergepath_partition_config_static_selectorELNS0_4arch9wavefront6targetE1EEEvSL_,"axG",@progbits,_ZN7rocprim17ROCPRIM_400000_NS6detail17trampoline_kernelINS0_14default_configENS1_38merge_sort_block_merge_config_selectorIsNS0_10empty_typeEEEZZNS1_27merge_sort_block_merge_implIS3_N6thrust23THRUST_200600_302600_NS6detail15normal_iteratorINS9_10device_ptrIsEEEEPS5_jNS1_19radix_merge_compareILb0ELb1EsNS0_19identity_decomposerEEEEE10hipError_tT0_T1_T2_jT3_P12ihipStream_tbPNSt15iterator_traitsISK_E10value_typeEPNSQ_ISL_E10value_typeEPSM_NS1_7vsmem_tEENKUlT_SK_SL_SM_E_clISE_PsSF_SF_EESJ_SZ_SK_SL_SM_EUlSZ_E_NS1_11comp_targetILNS1_3genE2ELNS1_11target_archE906ELNS1_3gpuE6ELNS1_3repE0EEENS1_48merge_mergepath_partition_config_static_selectorELNS0_4arch9wavefront6targetE1EEEvSL_,comdat
	.protected	_ZN7rocprim17ROCPRIM_400000_NS6detail17trampoline_kernelINS0_14default_configENS1_38merge_sort_block_merge_config_selectorIsNS0_10empty_typeEEEZZNS1_27merge_sort_block_merge_implIS3_N6thrust23THRUST_200600_302600_NS6detail15normal_iteratorINS9_10device_ptrIsEEEEPS5_jNS1_19radix_merge_compareILb0ELb1EsNS0_19identity_decomposerEEEEE10hipError_tT0_T1_T2_jT3_P12ihipStream_tbPNSt15iterator_traitsISK_E10value_typeEPNSQ_ISL_E10value_typeEPSM_NS1_7vsmem_tEENKUlT_SK_SL_SM_E_clISE_PsSF_SF_EESJ_SZ_SK_SL_SM_EUlSZ_E_NS1_11comp_targetILNS1_3genE2ELNS1_11target_archE906ELNS1_3gpuE6ELNS1_3repE0EEENS1_48merge_mergepath_partition_config_static_selectorELNS0_4arch9wavefront6targetE1EEEvSL_ ; -- Begin function _ZN7rocprim17ROCPRIM_400000_NS6detail17trampoline_kernelINS0_14default_configENS1_38merge_sort_block_merge_config_selectorIsNS0_10empty_typeEEEZZNS1_27merge_sort_block_merge_implIS3_N6thrust23THRUST_200600_302600_NS6detail15normal_iteratorINS9_10device_ptrIsEEEEPS5_jNS1_19radix_merge_compareILb0ELb1EsNS0_19identity_decomposerEEEEE10hipError_tT0_T1_T2_jT3_P12ihipStream_tbPNSt15iterator_traitsISK_E10value_typeEPNSQ_ISL_E10value_typeEPSM_NS1_7vsmem_tEENKUlT_SK_SL_SM_E_clISE_PsSF_SF_EESJ_SZ_SK_SL_SM_EUlSZ_E_NS1_11comp_targetILNS1_3genE2ELNS1_11target_archE906ELNS1_3gpuE6ELNS1_3repE0EEENS1_48merge_mergepath_partition_config_static_selectorELNS0_4arch9wavefront6targetE1EEEvSL_
	.globl	_ZN7rocprim17ROCPRIM_400000_NS6detail17trampoline_kernelINS0_14default_configENS1_38merge_sort_block_merge_config_selectorIsNS0_10empty_typeEEEZZNS1_27merge_sort_block_merge_implIS3_N6thrust23THRUST_200600_302600_NS6detail15normal_iteratorINS9_10device_ptrIsEEEEPS5_jNS1_19radix_merge_compareILb0ELb1EsNS0_19identity_decomposerEEEEE10hipError_tT0_T1_T2_jT3_P12ihipStream_tbPNSt15iterator_traitsISK_E10value_typeEPNSQ_ISL_E10value_typeEPSM_NS1_7vsmem_tEENKUlT_SK_SL_SM_E_clISE_PsSF_SF_EESJ_SZ_SK_SL_SM_EUlSZ_E_NS1_11comp_targetILNS1_3genE2ELNS1_11target_archE906ELNS1_3gpuE6ELNS1_3repE0EEENS1_48merge_mergepath_partition_config_static_selectorELNS0_4arch9wavefront6targetE1EEEvSL_
	.p2align	8
	.type	_ZN7rocprim17ROCPRIM_400000_NS6detail17trampoline_kernelINS0_14default_configENS1_38merge_sort_block_merge_config_selectorIsNS0_10empty_typeEEEZZNS1_27merge_sort_block_merge_implIS3_N6thrust23THRUST_200600_302600_NS6detail15normal_iteratorINS9_10device_ptrIsEEEEPS5_jNS1_19radix_merge_compareILb0ELb1EsNS0_19identity_decomposerEEEEE10hipError_tT0_T1_T2_jT3_P12ihipStream_tbPNSt15iterator_traitsISK_E10value_typeEPNSQ_ISL_E10value_typeEPSM_NS1_7vsmem_tEENKUlT_SK_SL_SM_E_clISE_PsSF_SF_EESJ_SZ_SK_SL_SM_EUlSZ_E_NS1_11comp_targetILNS1_3genE2ELNS1_11target_archE906ELNS1_3gpuE6ELNS1_3repE0EEENS1_48merge_mergepath_partition_config_static_selectorELNS0_4arch9wavefront6targetE1EEEvSL_,@function
_ZN7rocprim17ROCPRIM_400000_NS6detail17trampoline_kernelINS0_14default_configENS1_38merge_sort_block_merge_config_selectorIsNS0_10empty_typeEEEZZNS1_27merge_sort_block_merge_implIS3_N6thrust23THRUST_200600_302600_NS6detail15normal_iteratorINS9_10device_ptrIsEEEEPS5_jNS1_19radix_merge_compareILb0ELb1EsNS0_19identity_decomposerEEEEE10hipError_tT0_T1_T2_jT3_P12ihipStream_tbPNSt15iterator_traitsISK_E10value_typeEPNSQ_ISL_E10value_typeEPSM_NS1_7vsmem_tEENKUlT_SK_SL_SM_E_clISE_PsSF_SF_EESJ_SZ_SK_SL_SM_EUlSZ_E_NS1_11comp_targetILNS1_3genE2ELNS1_11target_archE906ELNS1_3gpuE6ELNS1_3repE0EEENS1_48merge_mergepath_partition_config_static_selectorELNS0_4arch9wavefront6targetE1EEEvSL_: ; @_ZN7rocprim17ROCPRIM_400000_NS6detail17trampoline_kernelINS0_14default_configENS1_38merge_sort_block_merge_config_selectorIsNS0_10empty_typeEEEZZNS1_27merge_sort_block_merge_implIS3_N6thrust23THRUST_200600_302600_NS6detail15normal_iteratorINS9_10device_ptrIsEEEEPS5_jNS1_19radix_merge_compareILb0ELb1EsNS0_19identity_decomposerEEEEE10hipError_tT0_T1_T2_jT3_P12ihipStream_tbPNSt15iterator_traitsISK_E10value_typeEPNSQ_ISL_E10value_typeEPSM_NS1_7vsmem_tEENKUlT_SK_SL_SM_E_clISE_PsSF_SF_EESJ_SZ_SK_SL_SM_EUlSZ_E_NS1_11comp_targetILNS1_3genE2ELNS1_11target_archE906ELNS1_3gpuE6ELNS1_3repE0EEENS1_48merge_mergepath_partition_config_static_selectorELNS0_4arch9wavefront6targetE1EEEvSL_
; %bb.0:
	.section	.rodata,"a",@progbits
	.p2align	6, 0x0
	.amdhsa_kernel _ZN7rocprim17ROCPRIM_400000_NS6detail17trampoline_kernelINS0_14default_configENS1_38merge_sort_block_merge_config_selectorIsNS0_10empty_typeEEEZZNS1_27merge_sort_block_merge_implIS3_N6thrust23THRUST_200600_302600_NS6detail15normal_iteratorINS9_10device_ptrIsEEEEPS5_jNS1_19radix_merge_compareILb0ELb1EsNS0_19identity_decomposerEEEEE10hipError_tT0_T1_T2_jT3_P12ihipStream_tbPNSt15iterator_traitsISK_E10value_typeEPNSQ_ISL_E10value_typeEPSM_NS1_7vsmem_tEENKUlT_SK_SL_SM_E_clISE_PsSF_SF_EESJ_SZ_SK_SL_SM_EUlSZ_E_NS1_11comp_targetILNS1_3genE2ELNS1_11target_archE906ELNS1_3gpuE6ELNS1_3repE0EEENS1_48merge_mergepath_partition_config_static_selectorELNS0_4arch9wavefront6targetE1EEEvSL_
		.amdhsa_group_segment_fixed_size 0
		.amdhsa_private_segment_fixed_size 0
		.amdhsa_kernarg_size 40
		.amdhsa_user_sgpr_count 6
		.amdhsa_user_sgpr_private_segment_buffer 1
		.amdhsa_user_sgpr_dispatch_ptr 0
		.amdhsa_user_sgpr_queue_ptr 0
		.amdhsa_user_sgpr_kernarg_segment_ptr 1
		.amdhsa_user_sgpr_dispatch_id 0
		.amdhsa_user_sgpr_flat_scratch_init 0
		.amdhsa_user_sgpr_kernarg_preload_length 0
		.amdhsa_user_sgpr_kernarg_preload_offset 0
		.amdhsa_user_sgpr_private_segment_size 0
		.amdhsa_uses_dynamic_stack 0
		.amdhsa_system_sgpr_private_segment_wavefront_offset 0
		.amdhsa_system_sgpr_workgroup_id_x 1
		.amdhsa_system_sgpr_workgroup_id_y 0
		.amdhsa_system_sgpr_workgroup_id_z 0
		.amdhsa_system_sgpr_workgroup_info 0
		.amdhsa_system_vgpr_workitem_id 0
		.amdhsa_next_free_vgpr 1
		.amdhsa_next_free_sgpr 0
		.amdhsa_accum_offset 4
		.amdhsa_reserve_vcc 0
		.amdhsa_reserve_flat_scratch 0
		.amdhsa_float_round_mode_32 0
		.amdhsa_float_round_mode_16_64 0
		.amdhsa_float_denorm_mode_32 3
		.amdhsa_float_denorm_mode_16_64 3
		.amdhsa_dx10_clamp 1
		.amdhsa_ieee_mode 1
		.amdhsa_fp16_overflow 0
		.amdhsa_tg_split 0
		.amdhsa_exception_fp_ieee_invalid_op 0
		.amdhsa_exception_fp_denorm_src 0
		.amdhsa_exception_fp_ieee_div_zero 0
		.amdhsa_exception_fp_ieee_overflow 0
		.amdhsa_exception_fp_ieee_underflow 0
		.amdhsa_exception_fp_ieee_inexact 0
		.amdhsa_exception_int_div_zero 0
	.end_amdhsa_kernel
	.section	.text._ZN7rocprim17ROCPRIM_400000_NS6detail17trampoline_kernelINS0_14default_configENS1_38merge_sort_block_merge_config_selectorIsNS0_10empty_typeEEEZZNS1_27merge_sort_block_merge_implIS3_N6thrust23THRUST_200600_302600_NS6detail15normal_iteratorINS9_10device_ptrIsEEEEPS5_jNS1_19radix_merge_compareILb0ELb1EsNS0_19identity_decomposerEEEEE10hipError_tT0_T1_T2_jT3_P12ihipStream_tbPNSt15iterator_traitsISK_E10value_typeEPNSQ_ISL_E10value_typeEPSM_NS1_7vsmem_tEENKUlT_SK_SL_SM_E_clISE_PsSF_SF_EESJ_SZ_SK_SL_SM_EUlSZ_E_NS1_11comp_targetILNS1_3genE2ELNS1_11target_archE906ELNS1_3gpuE6ELNS1_3repE0EEENS1_48merge_mergepath_partition_config_static_selectorELNS0_4arch9wavefront6targetE1EEEvSL_,"axG",@progbits,_ZN7rocprim17ROCPRIM_400000_NS6detail17trampoline_kernelINS0_14default_configENS1_38merge_sort_block_merge_config_selectorIsNS0_10empty_typeEEEZZNS1_27merge_sort_block_merge_implIS3_N6thrust23THRUST_200600_302600_NS6detail15normal_iteratorINS9_10device_ptrIsEEEEPS5_jNS1_19radix_merge_compareILb0ELb1EsNS0_19identity_decomposerEEEEE10hipError_tT0_T1_T2_jT3_P12ihipStream_tbPNSt15iterator_traitsISK_E10value_typeEPNSQ_ISL_E10value_typeEPSM_NS1_7vsmem_tEENKUlT_SK_SL_SM_E_clISE_PsSF_SF_EESJ_SZ_SK_SL_SM_EUlSZ_E_NS1_11comp_targetILNS1_3genE2ELNS1_11target_archE906ELNS1_3gpuE6ELNS1_3repE0EEENS1_48merge_mergepath_partition_config_static_selectorELNS0_4arch9wavefront6targetE1EEEvSL_,comdat
.Lfunc_end1904:
	.size	_ZN7rocprim17ROCPRIM_400000_NS6detail17trampoline_kernelINS0_14default_configENS1_38merge_sort_block_merge_config_selectorIsNS0_10empty_typeEEEZZNS1_27merge_sort_block_merge_implIS3_N6thrust23THRUST_200600_302600_NS6detail15normal_iteratorINS9_10device_ptrIsEEEEPS5_jNS1_19radix_merge_compareILb0ELb1EsNS0_19identity_decomposerEEEEE10hipError_tT0_T1_T2_jT3_P12ihipStream_tbPNSt15iterator_traitsISK_E10value_typeEPNSQ_ISL_E10value_typeEPSM_NS1_7vsmem_tEENKUlT_SK_SL_SM_E_clISE_PsSF_SF_EESJ_SZ_SK_SL_SM_EUlSZ_E_NS1_11comp_targetILNS1_3genE2ELNS1_11target_archE906ELNS1_3gpuE6ELNS1_3repE0EEENS1_48merge_mergepath_partition_config_static_selectorELNS0_4arch9wavefront6targetE1EEEvSL_, .Lfunc_end1904-_ZN7rocprim17ROCPRIM_400000_NS6detail17trampoline_kernelINS0_14default_configENS1_38merge_sort_block_merge_config_selectorIsNS0_10empty_typeEEEZZNS1_27merge_sort_block_merge_implIS3_N6thrust23THRUST_200600_302600_NS6detail15normal_iteratorINS9_10device_ptrIsEEEEPS5_jNS1_19radix_merge_compareILb0ELb1EsNS0_19identity_decomposerEEEEE10hipError_tT0_T1_T2_jT3_P12ihipStream_tbPNSt15iterator_traitsISK_E10value_typeEPNSQ_ISL_E10value_typeEPSM_NS1_7vsmem_tEENKUlT_SK_SL_SM_E_clISE_PsSF_SF_EESJ_SZ_SK_SL_SM_EUlSZ_E_NS1_11comp_targetILNS1_3genE2ELNS1_11target_archE906ELNS1_3gpuE6ELNS1_3repE0EEENS1_48merge_mergepath_partition_config_static_selectorELNS0_4arch9wavefront6targetE1EEEvSL_
                                        ; -- End function
	.section	.AMDGPU.csdata,"",@progbits
; Kernel info:
; codeLenInByte = 0
; NumSgprs: 4
; NumVgprs: 0
; NumAgprs: 0
; TotalNumVgprs: 0
; ScratchSize: 0
; MemoryBound: 0
; FloatMode: 240
; IeeeMode: 1
; LDSByteSize: 0 bytes/workgroup (compile time only)
; SGPRBlocks: 0
; VGPRBlocks: 0
; NumSGPRsForWavesPerEU: 4
; NumVGPRsForWavesPerEU: 1
; AccumOffset: 4
; Occupancy: 8
; WaveLimiterHint : 0
; COMPUTE_PGM_RSRC2:SCRATCH_EN: 0
; COMPUTE_PGM_RSRC2:USER_SGPR: 6
; COMPUTE_PGM_RSRC2:TRAP_HANDLER: 0
; COMPUTE_PGM_RSRC2:TGID_X_EN: 1
; COMPUTE_PGM_RSRC2:TGID_Y_EN: 0
; COMPUTE_PGM_RSRC2:TGID_Z_EN: 0
; COMPUTE_PGM_RSRC2:TIDIG_COMP_CNT: 0
; COMPUTE_PGM_RSRC3_GFX90A:ACCUM_OFFSET: 0
; COMPUTE_PGM_RSRC3_GFX90A:TG_SPLIT: 0
	.section	.text._ZN7rocprim17ROCPRIM_400000_NS6detail17trampoline_kernelINS0_14default_configENS1_38merge_sort_block_merge_config_selectorIsNS0_10empty_typeEEEZZNS1_27merge_sort_block_merge_implIS3_N6thrust23THRUST_200600_302600_NS6detail15normal_iteratorINS9_10device_ptrIsEEEEPS5_jNS1_19radix_merge_compareILb0ELb1EsNS0_19identity_decomposerEEEEE10hipError_tT0_T1_T2_jT3_P12ihipStream_tbPNSt15iterator_traitsISK_E10value_typeEPNSQ_ISL_E10value_typeEPSM_NS1_7vsmem_tEENKUlT_SK_SL_SM_E_clISE_PsSF_SF_EESJ_SZ_SK_SL_SM_EUlSZ_E_NS1_11comp_targetILNS1_3genE9ELNS1_11target_archE1100ELNS1_3gpuE3ELNS1_3repE0EEENS1_48merge_mergepath_partition_config_static_selectorELNS0_4arch9wavefront6targetE1EEEvSL_,"axG",@progbits,_ZN7rocprim17ROCPRIM_400000_NS6detail17trampoline_kernelINS0_14default_configENS1_38merge_sort_block_merge_config_selectorIsNS0_10empty_typeEEEZZNS1_27merge_sort_block_merge_implIS3_N6thrust23THRUST_200600_302600_NS6detail15normal_iteratorINS9_10device_ptrIsEEEEPS5_jNS1_19radix_merge_compareILb0ELb1EsNS0_19identity_decomposerEEEEE10hipError_tT0_T1_T2_jT3_P12ihipStream_tbPNSt15iterator_traitsISK_E10value_typeEPNSQ_ISL_E10value_typeEPSM_NS1_7vsmem_tEENKUlT_SK_SL_SM_E_clISE_PsSF_SF_EESJ_SZ_SK_SL_SM_EUlSZ_E_NS1_11comp_targetILNS1_3genE9ELNS1_11target_archE1100ELNS1_3gpuE3ELNS1_3repE0EEENS1_48merge_mergepath_partition_config_static_selectorELNS0_4arch9wavefront6targetE1EEEvSL_,comdat
	.protected	_ZN7rocprim17ROCPRIM_400000_NS6detail17trampoline_kernelINS0_14default_configENS1_38merge_sort_block_merge_config_selectorIsNS0_10empty_typeEEEZZNS1_27merge_sort_block_merge_implIS3_N6thrust23THRUST_200600_302600_NS6detail15normal_iteratorINS9_10device_ptrIsEEEEPS5_jNS1_19radix_merge_compareILb0ELb1EsNS0_19identity_decomposerEEEEE10hipError_tT0_T1_T2_jT3_P12ihipStream_tbPNSt15iterator_traitsISK_E10value_typeEPNSQ_ISL_E10value_typeEPSM_NS1_7vsmem_tEENKUlT_SK_SL_SM_E_clISE_PsSF_SF_EESJ_SZ_SK_SL_SM_EUlSZ_E_NS1_11comp_targetILNS1_3genE9ELNS1_11target_archE1100ELNS1_3gpuE3ELNS1_3repE0EEENS1_48merge_mergepath_partition_config_static_selectorELNS0_4arch9wavefront6targetE1EEEvSL_ ; -- Begin function _ZN7rocprim17ROCPRIM_400000_NS6detail17trampoline_kernelINS0_14default_configENS1_38merge_sort_block_merge_config_selectorIsNS0_10empty_typeEEEZZNS1_27merge_sort_block_merge_implIS3_N6thrust23THRUST_200600_302600_NS6detail15normal_iteratorINS9_10device_ptrIsEEEEPS5_jNS1_19radix_merge_compareILb0ELb1EsNS0_19identity_decomposerEEEEE10hipError_tT0_T1_T2_jT3_P12ihipStream_tbPNSt15iterator_traitsISK_E10value_typeEPNSQ_ISL_E10value_typeEPSM_NS1_7vsmem_tEENKUlT_SK_SL_SM_E_clISE_PsSF_SF_EESJ_SZ_SK_SL_SM_EUlSZ_E_NS1_11comp_targetILNS1_3genE9ELNS1_11target_archE1100ELNS1_3gpuE3ELNS1_3repE0EEENS1_48merge_mergepath_partition_config_static_selectorELNS0_4arch9wavefront6targetE1EEEvSL_
	.globl	_ZN7rocprim17ROCPRIM_400000_NS6detail17trampoline_kernelINS0_14default_configENS1_38merge_sort_block_merge_config_selectorIsNS0_10empty_typeEEEZZNS1_27merge_sort_block_merge_implIS3_N6thrust23THRUST_200600_302600_NS6detail15normal_iteratorINS9_10device_ptrIsEEEEPS5_jNS1_19radix_merge_compareILb0ELb1EsNS0_19identity_decomposerEEEEE10hipError_tT0_T1_T2_jT3_P12ihipStream_tbPNSt15iterator_traitsISK_E10value_typeEPNSQ_ISL_E10value_typeEPSM_NS1_7vsmem_tEENKUlT_SK_SL_SM_E_clISE_PsSF_SF_EESJ_SZ_SK_SL_SM_EUlSZ_E_NS1_11comp_targetILNS1_3genE9ELNS1_11target_archE1100ELNS1_3gpuE3ELNS1_3repE0EEENS1_48merge_mergepath_partition_config_static_selectorELNS0_4arch9wavefront6targetE1EEEvSL_
	.p2align	8
	.type	_ZN7rocprim17ROCPRIM_400000_NS6detail17trampoline_kernelINS0_14default_configENS1_38merge_sort_block_merge_config_selectorIsNS0_10empty_typeEEEZZNS1_27merge_sort_block_merge_implIS3_N6thrust23THRUST_200600_302600_NS6detail15normal_iteratorINS9_10device_ptrIsEEEEPS5_jNS1_19radix_merge_compareILb0ELb1EsNS0_19identity_decomposerEEEEE10hipError_tT0_T1_T2_jT3_P12ihipStream_tbPNSt15iterator_traitsISK_E10value_typeEPNSQ_ISL_E10value_typeEPSM_NS1_7vsmem_tEENKUlT_SK_SL_SM_E_clISE_PsSF_SF_EESJ_SZ_SK_SL_SM_EUlSZ_E_NS1_11comp_targetILNS1_3genE9ELNS1_11target_archE1100ELNS1_3gpuE3ELNS1_3repE0EEENS1_48merge_mergepath_partition_config_static_selectorELNS0_4arch9wavefront6targetE1EEEvSL_,@function
_ZN7rocprim17ROCPRIM_400000_NS6detail17trampoline_kernelINS0_14default_configENS1_38merge_sort_block_merge_config_selectorIsNS0_10empty_typeEEEZZNS1_27merge_sort_block_merge_implIS3_N6thrust23THRUST_200600_302600_NS6detail15normal_iteratorINS9_10device_ptrIsEEEEPS5_jNS1_19radix_merge_compareILb0ELb1EsNS0_19identity_decomposerEEEEE10hipError_tT0_T1_T2_jT3_P12ihipStream_tbPNSt15iterator_traitsISK_E10value_typeEPNSQ_ISL_E10value_typeEPSM_NS1_7vsmem_tEENKUlT_SK_SL_SM_E_clISE_PsSF_SF_EESJ_SZ_SK_SL_SM_EUlSZ_E_NS1_11comp_targetILNS1_3genE9ELNS1_11target_archE1100ELNS1_3gpuE3ELNS1_3repE0EEENS1_48merge_mergepath_partition_config_static_selectorELNS0_4arch9wavefront6targetE1EEEvSL_: ; @_ZN7rocprim17ROCPRIM_400000_NS6detail17trampoline_kernelINS0_14default_configENS1_38merge_sort_block_merge_config_selectorIsNS0_10empty_typeEEEZZNS1_27merge_sort_block_merge_implIS3_N6thrust23THRUST_200600_302600_NS6detail15normal_iteratorINS9_10device_ptrIsEEEEPS5_jNS1_19radix_merge_compareILb0ELb1EsNS0_19identity_decomposerEEEEE10hipError_tT0_T1_T2_jT3_P12ihipStream_tbPNSt15iterator_traitsISK_E10value_typeEPNSQ_ISL_E10value_typeEPSM_NS1_7vsmem_tEENKUlT_SK_SL_SM_E_clISE_PsSF_SF_EESJ_SZ_SK_SL_SM_EUlSZ_E_NS1_11comp_targetILNS1_3genE9ELNS1_11target_archE1100ELNS1_3gpuE3ELNS1_3repE0EEENS1_48merge_mergepath_partition_config_static_selectorELNS0_4arch9wavefront6targetE1EEEvSL_
; %bb.0:
	.section	.rodata,"a",@progbits
	.p2align	6, 0x0
	.amdhsa_kernel _ZN7rocprim17ROCPRIM_400000_NS6detail17trampoline_kernelINS0_14default_configENS1_38merge_sort_block_merge_config_selectorIsNS0_10empty_typeEEEZZNS1_27merge_sort_block_merge_implIS3_N6thrust23THRUST_200600_302600_NS6detail15normal_iteratorINS9_10device_ptrIsEEEEPS5_jNS1_19radix_merge_compareILb0ELb1EsNS0_19identity_decomposerEEEEE10hipError_tT0_T1_T2_jT3_P12ihipStream_tbPNSt15iterator_traitsISK_E10value_typeEPNSQ_ISL_E10value_typeEPSM_NS1_7vsmem_tEENKUlT_SK_SL_SM_E_clISE_PsSF_SF_EESJ_SZ_SK_SL_SM_EUlSZ_E_NS1_11comp_targetILNS1_3genE9ELNS1_11target_archE1100ELNS1_3gpuE3ELNS1_3repE0EEENS1_48merge_mergepath_partition_config_static_selectorELNS0_4arch9wavefront6targetE1EEEvSL_
		.amdhsa_group_segment_fixed_size 0
		.amdhsa_private_segment_fixed_size 0
		.amdhsa_kernarg_size 40
		.amdhsa_user_sgpr_count 6
		.amdhsa_user_sgpr_private_segment_buffer 1
		.amdhsa_user_sgpr_dispatch_ptr 0
		.amdhsa_user_sgpr_queue_ptr 0
		.amdhsa_user_sgpr_kernarg_segment_ptr 1
		.amdhsa_user_sgpr_dispatch_id 0
		.amdhsa_user_sgpr_flat_scratch_init 0
		.amdhsa_user_sgpr_kernarg_preload_length 0
		.amdhsa_user_sgpr_kernarg_preload_offset 0
		.amdhsa_user_sgpr_private_segment_size 0
		.amdhsa_uses_dynamic_stack 0
		.amdhsa_system_sgpr_private_segment_wavefront_offset 0
		.amdhsa_system_sgpr_workgroup_id_x 1
		.amdhsa_system_sgpr_workgroup_id_y 0
		.amdhsa_system_sgpr_workgroup_id_z 0
		.amdhsa_system_sgpr_workgroup_info 0
		.amdhsa_system_vgpr_workitem_id 0
		.amdhsa_next_free_vgpr 1
		.amdhsa_next_free_sgpr 0
		.amdhsa_accum_offset 4
		.amdhsa_reserve_vcc 0
		.amdhsa_reserve_flat_scratch 0
		.amdhsa_float_round_mode_32 0
		.amdhsa_float_round_mode_16_64 0
		.amdhsa_float_denorm_mode_32 3
		.amdhsa_float_denorm_mode_16_64 3
		.amdhsa_dx10_clamp 1
		.amdhsa_ieee_mode 1
		.amdhsa_fp16_overflow 0
		.amdhsa_tg_split 0
		.amdhsa_exception_fp_ieee_invalid_op 0
		.amdhsa_exception_fp_denorm_src 0
		.amdhsa_exception_fp_ieee_div_zero 0
		.amdhsa_exception_fp_ieee_overflow 0
		.amdhsa_exception_fp_ieee_underflow 0
		.amdhsa_exception_fp_ieee_inexact 0
		.amdhsa_exception_int_div_zero 0
	.end_amdhsa_kernel
	.section	.text._ZN7rocprim17ROCPRIM_400000_NS6detail17trampoline_kernelINS0_14default_configENS1_38merge_sort_block_merge_config_selectorIsNS0_10empty_typeEEEZZNS1_27merge_sort_block_merge_implIS3_N6thrust23THRUST_200600_302600_NS6detail15normal_iteratorINS9_10device_ptrIsEEEEPS5_jNS1_19radix_merge_compareILb0ELb1EsNS0_19identity_decomposerEEEEE10hipError_tT0_T1_T2_jT3_P12ihipStream_tbPNSt15iterator_traitsISK_E10value_typeEPNSQ_ISL_E10value_typeEPSM_NS1_7vsmem_tEENKUlT_SK_SL_SM_E_clISE_PsSF_SF_EESJ_SZ_SK_SL_SM_EUlSZ_E_NS1_11comp_targetILNS1_3genE9ELNS1_11target_archE1100ELNS1_3gpuE3ELNS1_3repE0EEENS1_48merge_mergepath_partition_config_static_selectorELNS0_4arch9wavefront6targetE1EEEvSL_,"axG",@progbits,_ZN7rocprim17ROCPRIM_400000_NS6detail17trampoline_kernelINS0_14default_configENS1_38merge_sort_block_merge_config_selectorIsNS0_10empty_typeEEEZZNS1_27merge_sort_block_merge_implIS3_N6thrust23THRUST_200600_302600_NS6detail15normal_iteratorINS9_10device_ptrIsEEEEPS5_jNS1_19radix_merge_compareILb0ELb1EsNS0_19identity_decomposerEEEEE10hipError_tT0_T1_T2_jT3_P12ihipStream_tbPNSt15iterator_traitsISK_E10value_typeEPNSQ_ISL_E10value_typeEPSM_NS1_7vsmem_tEENKUlT_SK_SL_SM_E_clISE_PsSF_SF_EESJ_SZ_SK_SL_SM_EUlSZ_E_NS1_11comp_targetILNS1_3genE9ELNS1_11target_archE1100ELNS1_3gpuE3ELNS1_3repE0EEENS1_48merge_mergepath_partition_config_static_selectorELNS0_4arch9wavefront6targetE1EEEvSL_,comdat
.Lfunc_end1905:
	.size	_ZN7rocprim17ROCPRIM_400000_NS6detail17trampoline_kernelINS0_14default_configENS1_38merge_sort_block_merge_config_selectorIsNS0_10empty_typeEEEZZNS1_27merge_sort_block_merge_implIS3_N6thrust23THRUST_200600_302600_NS6detail15normal_iteratorINS9_10device_ptrIsEEEEPS5_jNS1_19radix_merge_compareILb0ELb1EsNS0_19identity_decomposerEEEEE10hipError_tT0_T1_T2_jT3_P12ihipStream_tbPNSt15iterator_traitsISK_E10value_typeEPNSQ_ISL_E10value_typeEPSM_NS1_7vsmem_tEENKUlT_SK_SL_SM_E_clISE_PsSF_SF_EESJ_SZ_SK_SL_SM_EUlSZ_E_NS1_11comp_targetILNS1_3genE9ELNS1_11target_archE1100ELNS1_3gpuE3ELNS1_3repE0EEENS1_48merge_mergepath_partition_config_static_selectorELNS0_4arch9wavefront6targetE1EEEvSL_, .Lfunc_end1905-_ZN7rocprim17ROCPRIM_400000_NS6detail17trampoline_kernelINS0_14default_configENS1_38merge_sort_block_merge_config_selectorIsNS0_10empty_typeEEEZZNS1_27merge_sort_block_merge_implIS3_N6thrust23THRUST_200600_302600_NS6detail15normal_iteratorINS9_10device_ptrIsEEEEPS5_jNS1_19radix_merge_compareILb0ELb1EsNS0_19identity_decomposerEEEEE10hipError_tT0_T1_T2_jT3_P12ihipStream_tbPNSt15iterator_traitsISK_E10value_typeEPNSQ_ISL_E10value_typeEPSM_NS1_7vsmem_tEENKUlT_SK_SL_SM_E_clISE_PsSF_SF_EESJ_SZ_SK_SL_SM_EUlSZ_E_NS1_11comp_targetILNS1_3genE9ELNS1_11target_archE1100ELNS1_3gpuE3ELNS1_3repE0EEENS1_48merge_mergepath_partition_config_static_selectorELNS0_4arch9wavefront6targetE1EEEvSL_
                                        ; -- End function
	.section	.AMDGPU.csdata,"",@progbits
; Kernel info:
; codeLenInByte = 0
; NumSgprs: 4
; NumVgprs: 0
; NumAgprs: 0
; TotalNumVgprs: 0
; ScratchSize: 0
; MemoryBound: 0
; FloatMode: 240
; IeeeMode: 1
; LDSByteSize: 0 bytes/workgroup (compile time only)
; SGPRBlocks: 0
; VGPRBlocks: 0
; NumSGPRsForWavesPerEU: 4
; NumVGPRsForWavesPerEU: 1
; AccumOffset: 4
; Occupancy: 8
; WaveLimiterHint : 0
; COMPUTE_PGM_RSRC2:SCRATCH_EN: 0
; COMPUTE_PGM_RSRC2:USER_SGPR: 6
; COMPUTE_PGM_RSRC2:TRAP_HANDLER: 0
; COMPUTE_PGM_RSRC2:TGID_X_EN: 1
; COMPUTE_PGM_RSRC2:TGID_Y_EN: 0
; COMPUTE_PGM_RSRC2:TGID_Z_EN: 0
; COMPUTE_PGM_RSRC2:TIDIG_COMP_CNT: 0
; COMPUTE_PGM_RSRC3_GFX90A:ACCUM_OFFSET: 0
; COMPUTE_PGM_RSRC3_GFX90A:TG_SPLIT: 0
	.section	.text._ZN7rocprim17ROCPRIM_400000_NS6detail17trampoline_kernelINS0_14default_configENS1_38merge_sort_block_merge_config_selectorIsNS0_10empty_typeEEEZZNS1_27merge_sort_block_merge_implIS3_N6thrust23THRUST_200600_302600_NS6detail15normal_iteratorINS9_10device_ptrIsEEEEPS5_jNS1_19radix_merge_compareILb0ELb1EsNS0_19identity_decomposerEEEEE10hipError_tT0_T1_T2_jT3_P12ihipStream_tbPNSt15iterator_traitsISK_E10value_typeEPNSQ_ISL_E10value_typeEPSM_NS1_7vsmem_tEENKUlT_SK_SL_SM_E_clISE_PsSF_SF_EESJ_SZ_SK_SL_SM_EUlSZ_E_NS1_11comp_targetILNS1_3genE8ELNS1_11target_archE1030ELNS1_3gpuE2ELNS1_3repE0EEENS1_48merge_mergepath_partition_config_static_selectorELNS0_4arch9wavefront6targetE1EEEvSL_,"axG",@progbits,_ZN7rocprim17ROCPRIM_400000_NS6detail17trampoline_kernelINS0_14default_configENS1_38merge_sort_block_merge_config_selectorIsNS0_10empty_typeEEEZZNS1_27merge_sort_block_merge_implIS3_N6thrust23THRUST_200600_302600_NS6detail15normal_iteratorINS9_10device_ptrIsEEEEPS5_jNS1_19radix_merge_compareILb0ELb1EsNS0_19identity_decomposerEEEEE10hipError_tT0_T1_T2_jT3_P12ihipStream_tbPNSt15iterator_traitsISK_E10value_typeEPNSQ_ISL_E10value_typeEPSM_NS1_7vsmem_tEENKUlT_SK_SL_SM_E_clISE_PsSF_SF_EESJ_SZ_SK_SL_SM_EUlSZ_E_NS1_11comp_targetILNS1_3genE8ELNS1_11target_archE1030ELNS1_3gpuE2ELNS1_3repE0EEENS1_48merge_mergepath_partition_config_static_selectorELNS0_4arch9wavefront6targetE1EEEvSL_,comdat
	.protected	_ZN7rocprim17ROCPRIM_400000_NS6detail17trampoline_kernelINS0_14default_configENS1_38merge_sort_block_merge_config_selectorIsNS0_10empty_typeEEEZZNS1_27merge_sort_block_merge_implIS3_N6thrust23THRUST_200600_302600_NS6detail15normal_iteratorINS9_10device_ptrIsEEEEPS5_jNS1_19radix_merge_compareILb0ELb1EsNS0_19identity_decomposerEEEEE10hipError_tT0_T1_T2_jT3_P12ihipStream_tbPNSt15iterator_traitsISK_E10value_typeEPNSQ_ISL_E10value_typeEPSM_NS1_7vsmem_tEENKUlT_SK_SL_SM_E_clISE_PsSF_SF_EESJ_SZ_SK_SL_SM_EUlSZ_E_NS1_11comp_targetILNS1_3genE8ELNS1_11target_archE1030ELNS1_3gpuE2ELNS1_3repE0EEENS1_48merge_mergepath_partition_config_static_selectorELNS0_4arch9wavefront6targetE1EEEvSL_ ; -- Begin function _ZN7rocprim17ROCPRIM_400000_NS6detail17trampoline_kernelINS0_14default_configENS1_38merge_sort_block_merge_config_selectorIsNS0_10empty_typeEEEZZNS1_27merge_sort_block_merge_implIS3_N6thrust23THRUST_200600_302600_NS6detail15normal_iteratorINS9_10device_ptrIsEEEEPS5_jNS1_19radix_merge_compareILb0ELb1EsNS0_19identity_decomposerEEEEE10hipError_tT0_T1_T2_jT3_P12ihipStream_tbPNSt15iterator_traitsISK_E10value_typeEPNSQ_ISL_E10value_typeEPSM_NS1_7vsmem_tEENKUlT_SK_SL_SM_E_clISE_PsSF_SF_EESJ_SZ_SK_SL_SM_EUlSZ_E_NS1_11comp_targetILNS1_3genE8ELNS1_11target_archE1030ELNS1_3gpuE2ELNS1_3repE0EEENS1_48merge_mergepath_partition_config_static_selectorELNS0_4arch9wavefront6targetE1EEEvSL_
	.globl	_ZN7rocprim17ROCPRIM_400000_NS6detail17trampoline_kernelINS0_14default_configENS1_38merge_sort_block_merge_config_selectorIsNS0_10empty_typeEEEZZNS1_27merge_sort_block_merge_implIS3_N6thrust23THRUST_200600_302600_NS6detail15normal_iteratorINS9_10device_ptrIsEEEEPS5_jNS1_19radix_merge_compareILb0ELb1EsNS0_19identity_decomposerEEEEE10hipError_tT0_T1_T2_jT3_P12ihipStream_tbPNSt15iterator_traitsISK_E10value_typeEPNSQ_ISL_E10value_typeEPSM_NS1_7vsmem_tEENKUlT_SK_SL_SM_E_clISE_PsSF_SF_EESJ_SZ_SK_SL_SM_EUlSZ_E_NS1_11comp_targetILNS1_3genE8ELNS1_11target_archE1030ELNS1_3gpuE2ELNS1_3repE0EEENS1_48merge_mergepath_partition_config_static_selectorELNS0_4arch9wavefront6targetE1EEEvSL_
	.p2align	8
	.type	_ZN7rocprim17ROCPRIM_400000_NS6detail17trampoline_kernelINS0_14default_configENS1_38merge_sort_block_merge_config_selectorIsNS0_10empty_typeEEEZZNS1_27merge_sort_block_merge_implIS3_N6thrust23THRUST_200600_302600_NS6detail15normal_iteratorINS9_10device_ptrIsEEEEPS5_jNS1_19radix_merge_compareILb0ELb1EsNS0_19identity_decomposerEEEEE10hipError_tT0_T1_T2_jT3_P12ihipStream_tbPNSt15iterator_traitsISK_E10value_typeEPNSQ_ISL_E10value_typeEPSM_NS1_7vsmem_tEENKUlT_SK_SL_SM_E_clISE_PsSF_SF_EESJ_SZ_SK_SL_SM_EUlSZ_E_NS1_11comp_targetILNS1_3genE8ELNS1_11target_archE1030ELNS1_3gpuE2ELNS1_3repE0EEENS1_48merge_mergepath_partition_config_static_selectorELNS0_4arch9wavefront6targetE1EEEvSL_,@function
_ZN7rocprim17ROCPRIM_400000_NS6detail17trampoline_kernelINS0_14default_configENS1_38merge_sort_block_merge_config_selectorIsNS0_10empty_typeEEEZZNS1_27merge_sort_block_merge_implIS3_N6thrust23THRUST_200600_302600_NS6detail15normal_iteratorINS9_10device_ptrIsEEEEPS5_jNS1_19radix_merge_compareILb0ELb1EsNS0_19identity_decomposerEEEEE10hipError_tT0_T1_T2_jT3_P12ihipStream_tbPNSt15iterator_traitsISK_E10value_typeEPNSQ_ISL_E10value_typeEPSM_NS1_7vsmem_tEENKUlT_SK_SL_SM_E_clISE_PsSF_SF_EESJ_SZ_SK_SL_SM_EUlSZ_E_NS1_11comp_targetILNS1_3genE8ELNS1_11target_archE1030ELNS1_3gpuE2ELNS1_3repE0EEENS1_48merge_mergepath_partition_config_static_selectorELNS0_4arch9wavefront6targetE1EEEvSL_: ; @_ZN7rocprim17ROCPRIM_400000_NS6detail17trampoline_kernelINS0_14default_configENS1_38merge_sort_block_merge_config_selectorIsNS0_10empty_typeEEEZZNS1_27merge_sort_block_merge_implIS3_N6thrust23THRUST_200600_302600_NS6detail15normal_iteratorINS9_10device_ptrIsEEEEPS5_jNS1_19radix_merge_compareILb0ELb1EsNS0_19identity_decomposerEEEEE10hipError_tT0_T1_T2_jT3_P12ihipStream_tbPNSt15iterator_traitsISK_E10value_typeEPNSQ_ISL_E10value_typeEPSM_NS1_7vsmem_tEENKUlT_SK_SL_SM_E_clISE_PsSF_SF_EESJ_SZ_SK_SL_SM_EUlSZ_E_NS1_11comp_targetILNS1_3genE8ELNS1_11target_archE1030ELNS1_3gpuE2ELNS1_3repE0EEENS1_48merge_mergepath_partition_config_static_selectorELNS0_4arch9wavefront6targetE1EEEvSL_
; %bb.0:
	.section	.rodata,"a",@progbits
	.p2align	6, 0x0
	.amdhsa_kernel _ZN7rocprim17ROCPRIM_400000_NS6detail17trampoline_kernelINS0_14default_configENS1_38merge_sort_block_merge_config_selectorIsNS0_10empty_typeEEEZZNS1_27merge_sort_block_merge_implIS3_N6thrust23THRUST_200600_302600_NS6detail15normal_iteratorINS9_10device_ptrIsEEEEPS5_jNS1_19radix_merge_compareILb0ELb1EsNS0_19identity_decomposerEEEEE10hipError_tT0_T1_T2_jT3_P12ihipStream_tbPNSt15iterator_traitsISK_E10value_typeEPNSQ_ISL_E10value_typeEPSM_NS1_7vsmem_tEENKUlT_SK_SL_SM_E_clISE_PsSF_SF_EESJ_SZ_SK_SL_SM_EUlSZ_E_NS1_11comp_targetILNS1_3genE8ELNS1_11target_archE1030ELNS1_3gpuE2ELNS1_3repE0EEENS1_48merge_mergepath_partition_config_static_selectorELNS0_4arch9wavefront6targetE1EEEvSL_
		.amdhsa_group_segment_fixed_size 0
		.amdhsa_private_segment_fixed_size 0
		.amdhsa_kernarg_size 40
		.amdhsa_user_sgpr_count 6
		.amdhsa_user_sgpr_private_segment_buffer 1
		.amdhsa_user_sgpr_dispatch_ptr 0
		.amdhsa_user_sgpr_queue_ptr 0
		.amdhsa_user_sgpr_kernarg_segment_ptr 1
		.amdhsa_user_sgpr_dispatch_id 0
		.amdhsa_user_sgpr_flat_scratch_init 0
		.amdhsa_user_sgpr_kernarg_preload_length 0
		.amdhsa_user_sgpr_kernarg_preload_offset 0
		.amdhsa_user_sgpr_private_segment_size 0
		.amdhsa_uses_dynamic_stack 0
		.amdhsa_system_sgpr_private_segment_wavefront_offset 0
		.amdhsa_system_sgpr_workgroup_id_x 1
		.amdhsa_system_sgpr_workgroup_id_y 0
		.amdhsa_system_sgpr_workgroup_id_z 0
		.amdhsa_system_sgpr_workgroup_info 0
		.amdhsa_system_vgpr_workitem_id 0
		.amdhsa_next_free_vgpr 1
		.amdhsa_next_free_sgpr 0
		.amdhsa_accum_offset 4
		.amdhsa_reserve_vcc 0
		.amdhsa_reserve_flat_scratch 0
		.amdhsa_float_round_mode_32 0
		.amdhsa_float_round_mode_16_64 0
		.amdhsa_float_denorm_mode_32 3
		.amdhsa_float_denorm_mode_16_64 3
		.amdhsa_dx10_clamp 1
		.amdhsa_ieee_mode 1
		.amdhsa_fp16_overflow 0
		.amdhsa_tg_split 0
		.amdhsa_exception_fp_ieee_invalid_op 0
		.amdhsa_exception_fp_denorm_src 0
		.amdhsa_exception_fp_ieee_div_zero 0
		.amdhsa_exception_fp_ieee_overflow 0
		.amdhsa_exception_fp_ieee_underflow 0
		.amdhsa_exception_fp_ieee_inexact 0
		.amdhsa_exception_int_div_zero 0
	.end_amdhsa_kernel
	.section	.text._ZN7rocprim17ROCPRIM_400000_NS6detail17trampoline_kernelINS0_14default_configENS1_38merge_sort_block_merge_config_selectorIsNS0_10empty_typeEEEZZNS1_27merge_sort_block_merge_implIS3_N6thrust23THRUST_200600_302600_NS6detail15normal_iteratorINS9_10device_ptrIsEEEEPS5_jNS1_19radix_merge_compareILb0ELb1EsNS0_19identity_decomposerEEEEE10hipError_tT0_T1_T2_jT3_P12ihipStream_tbPNSt15iterator_traitsISK_E10value_typeEPNSQ_ISL_E10value_typeEPSM_NS1_7vsmem_tEENKUlT_SK_SL_SM_E_clISE_PsSF_SF_EESJ_SZ_SK_SL_SM_EUlSZ_E_NS1_11comp_targetILNS1_3genE8ELNS1_11target_archE1030ELNS1_3gpuE2ELNS1_3repE0EEENS1_48merge_mergepath_partition_config_static_selectorELNS0_4arch9wavefront6targetE1EEEvSL_,"axG",@progbits,_ZN7rocprim17ROCPRIM_400000_NS6detail17trampoline_kernelINS0_14default_configENS1_38merge_sort_block_merge_config_selectorIsNS0_10empty_typeEEEZZNS1_27merge_sort_block_merge_implIS3_N6thrust23THRUST_200600_302600_NS6detail15normal_iteratorINS9_10device_ptrIsEEEEPS5_jNS1_19radix_merge_compareILb0ELb1EsNS0_19identity_decomposerEEEEE10hipError_tT0_T1_T2_jT3_P12ihipStream_tbPNSt15iterator_traitsISK_E10value_typeEPNSQ_ISL_E10value_typeEPSM_NS1_7vsmem_tEENKUlT_SK_SL_SM_E_clISE_PsSF_SF_EESJ_SZ_SK_SL_SM_EUlSZ_E_NS1_11comp_targetILNS1_3genE8ELNS1_11target_archE1030ELNS1_3gpuE2ELNS1_3repE0EEENS1_48merge_mergepath_partition_config_static_selectorELNS0_4arch9wavefront6targetE1EEEvSL_,comdat
.Lfunc_end1906:
	.size	_ZN7rocprim17ROCPRIM_400000_NS6detail17trampoline_kernelINS0_14default_configENS1_38merge_sort_block_merge_config_selectorIsNS0_10empty_typeEEEZZNS1_27merge_sort_block_merge_implIS3_N6thrust23THRUST_200600_302600_NS6detail15normal_iteratorINS9_10device_ptrIsEEEEPS5_jNS1_19radix_merge_compareILb0ELb1EsNS0_19identity_decomposerEEEEE10hipError_tT0_T1_T2_jT3_P12ihipStream_tbPNSt15iterator_traitsISK_E10value_typeEPNSQ_ISL_E10value_typeEPSM_NS1_7vsmem_tEENKUlT_SK_SL_SM_E_clISE_PsSF_SF_EESJ_SZ_SK_SL_SM_EUlSZ_E_NS1_11comp_targetILNS1_3genE8ELNS1_11target_archE1030ELNS1_3gpuE2ELNS1_3repE0EEENS1_48merge_mergepath_partition_config_static_selectorELNS0_4arch9wavefront6targetE1EEEvSL_, .Lfunc_end1906-_ZN7rocprim17ROCPRIM_400000_NS6detail17trampoline_kernelINS0_14default_configENS1_38merge_sort_block_merge_config_selectorIsNS0_10empty_typeEEEZZNS1_27merge_sort_block_merge_implIS3_N6thrust23THRUST_200600_302600_NS6detail15normal_iteratorINS9_10device_ptrIsEEEEPS5_jNS1_19radix_merge_compareILb0ELb1EsNS0_19identity_decomposerEEEEE10hipError_tT0_T1_T2_jT3_P12ihipStream_tbPNSt15iterator_traitsISK_E10value_typeEPNSQ_ISL_E10value_typeEPSM_NS1_7vsmem_tEENKUlT_SK_SL_SM_E_clISE_PsSF_SF_EESJ_SZ_SK_SL_SM_EUlSZ_E_NS1_11comp_targetILNS1_3genE8ELNS1_11target_archE1030ELNS1_3gpuE2ELNS1_3repE0EEENS1_48merge_mergepath_partition_config_static_selectorELNS0_4arch9wavefront6targetE1EEEvSL_
                                        ; -- End function
	.section	.AMDGPU.csdata,"",@progbits
; Kernel info:
; codeLenInByte = 0
; NumSgprs: 4
; NumVgprs: 0
; NumAgprs: 0
; TotalNumVgprs: 0
; ScratchSize: 0
; MemoryBound: 0
; FloatMode: 240
; IeeeMode: 1
; LDSByteSize: 0 bytes/workgroup (compile time only)
; SGPRBlocks: 0
; VGPRBlocks: 0
; NumSGPRsForWavesPerEU: 4
; NumVGPRsForWavesPerEU: 1
; AccumOffset: 4
; Occupancy: 8
; WaveLimiterHint : 0
; COMPUTE_PGM_RSRC2:SCRATCH_EN: 0
; COMPUTE_PGM_RSRC2:USER_SGPR: 6
; COMPUTE_PGM_RSRC2:TRAP_HANDLER: 0
; COMPUTE_PGM_RSRC2:TGID_X_EN: 1
; COMPUTE_PGM_RSRC2:TGID_Y_EN: 0
; COMPUTE_PGM_RSRC2:TGID_Z_EN: 0
; COMPUTE_PGM_RSRC2:TIDIG_COMP_CNT: 0
; COMPUTE_PGM_RSRC3_GFX90A:ACCUM_OFFSET: 0
; COMPUTE_PGM_RSRC3_GFX90A:TG_SPLIT: 0
	.section	.text._ZN7rocprim17ROCPRIM_400000_NS6detail17trampoline_kernelINS0_14default_configENS1_38merge_sort_block_merge_config_selectorIsNS0_10empty_typeEEEZZNS1_27merge_sort_block_merge_implIS3_N6thrust23THRUST_200600_302600_NS6detail15normal_iteratorINS9_10device_ptrIsEEEEPS5_jNS1_19radix_merge_compareILb0ELb1EsNS0_19identity_decomposerEEEEE10hipError_tT0_T1_T2_jT3_P12ihipStream_tbPNSt15iterator_traitsISK_E10value_typeEPNSQ_ISL_E10value_typeEPSM_NS1_7vsmem_tEENKUlT_SK_SL_SM_E_clISE_PsSF_SF_EESJ_SZ_SK_SL_SM_EUlSZ_E0_NS1_11comp_targetILNS1_3genE0ELNS1_11target_archE4294967295ELNS1_3gpuE0ELNS1_3repE0EEENS1_38merge_mergepath_config_static_selectorELNS0_4arch9wavefront6targetE1EEEvSL_,"axG",@progbits,_ZN7rocprim17ROCPRIM_400000_NS6detail17trampoline_kernelINS0_14default_configENS1_38merge_sort_block_merge_config_selectorIsNS0_10empty_typeEEEZZNS1_27merge_sort_block_merge_implIS3_N6thrust23THRUST_200600_302600_NS6detail15normal_iteratorINS9_10device_ptrIsEEEEPS5_jNS1_19radix_merge_compareILb0ELb1EsNS0_19identity_decomposerEEEEE10hipError_tT0_T1_T2_jT3_P12ihipStream_tbPNSt15iterator_traitsISK_E10value_typeEPNSQ_ISL_E10value_typeEPSM_NS1_7vsmem_tEENKUlT_SK_SL_SM_E_clISE_PsSF_SF_EESJ_SZ_SK_SL_SM_EUlSZ_E0_NS1_11comp_targetILNS1_3genE0ELNS1_11target_archE4294967295ELNS1_3gpuE0ELNS1_3repE0EEENS1_38merge_mergepath_config_static_selectorELNS0_4arch9wavefront6targetE1EEEvSL_,comdat
	.protected	_ZN7rocprim17ROCPRIM_400000_NS6detail17trampoline_kernelINS0_14default_configENS1_38merge_sort_block_merge_config_selectorIsNS0_10empty_typeEEEZZNS1_27merge_sort_block_merge_implIS3_N6thrust23THRUST_200600_302600_NS6detail15normal_iteratorINS9_10device_ptrIsEEEEPS5_jNS1_19radix_merge_compareILb0ELb1EsNS0_19identity_decomposerEEEEE10hipError_tT0_T1_T2_jT3_P12ihipStream_tbPNSt15iterator_traitsISK_E10value_typeEPNSQ_ISL_E10value_typeEPSM_NS1_7vsmem_tEENKUlT_SK_SL_SM_E_clISE_PsSF_SF_EESJ_SZ_SK_SL_SM_EUlSZ_E0_NS1_11comp_targetILNS1_3genE0ELNS1_11target_archE4294967295ELNS1_3gpuE0ELNS1_3repE0EEENS1_38merge_mergepath_config_static_selectorELNS0_4arch9wavefront6targetE1EEEvSL_ ; -- Begin function _ZN7rocprim17ROCPRIM_400000_NS6detail17trampoline_kernelINS0_14default_configENS1_38merge_sort_block_merge_config_selectorIsNS0_10empty_typeEEEZZNS1_27merge_sort_block_merge_implIS3_N6thrust23THRUST_200600_302600_NS6detail15normal_iteratorINS9_10device_ptrIsEEEEPS5_jNS1_19radix_merge_compareILb0ELb1EsNS0_19identity_decomposerEEEEE10hipError_tT0_T1_T2_jT3_P12ihipStream_tbPNSt15iterator_traitsISK_E10value_typeEPNSQ_ISL_E10value_typeEPSM_NS1_7vsmem_tEENKUlT_SK_SL_SM_E_clISE_PsSF_SF_EESJ_SZ_SK_SL_SM_EUlSZ_E0_NS1_11comp_targetILNS1_3genE0ELNS1_11target_archE4294967295ELNS1_3gpuE0ELNS1_3repE0EEENS1_38merge_mergepath_config_static_selectorELNS0_4arch9wavefront6targetE1EEEvSL_
	.globl	_ZN7rocprim17ROCPRIM_400000_NS6detail17trampoline_kernelINS0_14default_configENS1_38merge_sort_block_merge_config_selectorIsNS0_10empty_typeEEEZZNS1_27merge_sort_block_merge_implIS3_N6thrust23THRUST_200600_302600_NS6detail15normal_iteratorINS9_10device_ptrIsEEEEPS5_jNS1_19radix_merge_compareILb0ELb1EsNS0_19identity_decomposerEEEEE10hipError_tT0_T1_T2_jT3_P12ihipStream_tbPNSt15iterator_traitsISK_E10value_typeEPNSQ_ISL_E10value_typeEPSM_NS1_7vsmem_tEENKUlT_SK_SL_SM_E_clISE_PsSF_SF_EESJ_SZ_SK_SL_SM_EUlSZ_E0_NS1_11comp_targetILNS1_3genE0ELNS1_11target_archE4294967295ELNS1_3gpuE0ELNS1_3repE0EEENS1_38merge_mergepath_config_static_selectorELNS0_4arch9wavefront6targetE1EEEvSL_
	.p2align	8
	.type	_ZN7rocprim17ROCPRIM_400000_NS6detail17trampoline_kernelINS0_14default_configENS1_38merge_sort_block_merge_config_selectorIsNS0_10empty_typeEEEZZNS1_27merge_sort_block_merge_implIS3_N6thrust23THRUST_200600_302600_NS6detail15normal_iteratorINS9_10device_ptrIsEEEEPS5_jNS1_19radix_merge_compareILb0ELb1EsNS0_19identity_decomposerEEEEE10hipError_tT0_T1_T2_jT3_P12ihipStream_tbPNSt15iterator_traitsISK_E10value_typeEPNSQ_ISL_E10value_typeEPSM_NS1_7vsmem_tEENKUlT_SK_SL_SM_E_clISE_PsSF_SF_EESJ_SZ_SK_SL_SM_EUlSZ_E0_NS1_11comp_targetILNS1_3genE0ELNS1_11target_archE4294967295ELNS1_3gpuE0ELNS1_3repE0EEENS1_38merge_mergepath_config_static_selectorELNS0_4arch9wavefront6targetE1EEEvSL_,@function
_ZN7rocprim17ROCPRIM_400000_NS6detail17trampoline_kernelINS0_14default_configENS1_38merge_sort_block_merge_config_selectorIsNS0_10empty_typeEEEZZNS1_27merge_sort_block_merge_implIS3_N6thrust23THRUST_200600_302600_NS6detail15normal_iteratorINS9_10device_ptrIsEEEEPS5_jNS1_19radix_merge_compareILb0ELb1EsNS0_19identity_decomposerEEEEE10hipError_tT0_T1_T2_jT3_P12ihipStream_tbPNSt15iterator_traitsISK_E10value_typeEPNSQ_ISL_E10value_typeEPSM_NS1_7vsmem_tEENKUlT_SK_SL_SM_E_clISE_PsSF_SF_EESJ_SZ_SK_SL_SM_EUlSZ_E0_NS1_11comp_targetILNS1_3genE0ELNS1_11target_archE4294967295ELNS1_3gpuE0ELNS1_3repE0EEENS1_38merge_mergepath_config_static_selectorELNS0_4arch9wavefront6targetE1EEEvSL_: ; @_ZN7rocprim17ROCPRIM_400000_NS6detail17trampoline_kernelINS0_14default_configENS1_38merge_sort_block_merge_config_selectorIsNS0_10empty_typeEEEZZNS1_27merge_sort_block_merge_implIS3_N6thrust23THRUST_200600_302600_NS6detail15normal_iteratorINS9_10device_ptrIsEEEEPS5_jNS1_19radix_merge_compareILb0ELb1EsNS0_19identity_decomposerEEEEE10hipError_tT0_T1_T2_jT3_P12ihipStream_tbPNSt15iterator_traitsISK_E10value_typeEPNSQ_ISL_E10value_typeEPSM_NS1_7vsmem_tEENKUlT_SK_SL_SM_E_clISE_PsSF_SF_EESJ_SZ_SK_SL_SM_EUlSZ_E0_NS1_11comp_targetILNS1_3genE0ELNS1_11target_archE4294967295ELNS1_3gpuE0ELNS1_3repE0EEENS1_38merge_mergepath_config_static_selectorELNS0_4arch9wavefront6targetE1EEEvSL_
; %bb.0:
	.section	.rodata,"a",@progbits
	.p2align	6, 0x0
	.amdhsa_kernel _ZN7rocprim17ROCPRIM_400000_NS6detail17trampoline_kernelINS0_14default_configENS1_38merge_sort_block_merge_config_selectorIsNS0_10empty_typeEEEZZNS1_27merge_sort_block_merge_implIS3_N6thrust23THRUST_200600_302600_NS6detail15normal_iteratorINS9_10device_ptrIsEEEEPS5_jNS1_19radix_merge_compareILb0ELb1EsNS0_19identity_decomposerEEEEE10hipError_tT0_T1_T2_jT3_P12ihipStream_tbPNSt15iterator_traitsISK_E10value_typeEPNSQ_ISL_E10value_typeEPSM_NS1_7vsmem_tEENKUlT_SK_SL_SM_E_clISE_PsSF_SF_EESJ_SZ_SK_SL_SM_EUlSZ_E0_NS1_11comp_targetILNS1_3genE0ELNS1_11target_archE4294967295ELNS1_3gpuE0ELNS1_3repE0EEENS1_38merge_mergepath_config_static_selectorELNS0_4arch9wavefront6targetE1EEEvSL_
		.amdhsa_group_segment_fixed_size 0
		.amdhsa_private_segment_fixed_size 0
		.amdhsa_kernarg_size 64
		.amdhsa_user_sgpr_count 6
		.amdhsa_user_sgpr_private_segment_buffer 1
		.amdhsa_user_sgpr_dispatch_ptr 0
		.amdhsa_user_sgpr_queue_ptr 0
		.amdhsa_user_sgpr_kernarg_segment_ptr 1
		.amdhsa_user_sgpr_dispatch_id 0
		.amdhsa_user_sgpr_flat_scratch_init 0
		.amdhsa_user_sgpr_kernarg_preload_length 0
		.amdhsa_user_sgpr_kernarg_preload_offset 0
		.amdhsa_user_sgpr_private_segment_size 0
		.amdhsa_uses_dynamic_stack 0
		.amdhsa_system_sgpr_private_segment_wavefront_offset 0
		.amdhsa_system_sgpr_workgroup_id_x 1
		.amdhsa_system_sgpr_workgroup_id_y 0
		.amdhsa_system_sgpr_workgroup_id_z 0
		.amdhsa_system_sgpr_workgroup_info 0
		.amdhsa_system_vgpr_workitem_id 0
		.amdhsa_next_free_vgpr 1
		.amdhsa_next_free_sgpr 0
		.amdhsa_accum_offset 4
		.amdhsa_reserve_vcc 0
		.amdhsa_reserve_flat_scratch 0
		.amdhsa_float_round_mode_32 0
		.amdhsa_float_round_mode_16_64 0
		.amdhsa_float_denorm_mode_32 3
		.amdhsa_float_denorm_mode_16_64 3
		.amdhsa_dx10_clamp 1
		.amdhsa_ieee_mode 1
		.amdhsa_fp16_overflow 0
		.amdhsa_tg_split 0
		.amdhsa_exception_fp_ieee_invalid_op 0
		.amdhsa_exception_fp_denorm_src 0
		.amdhsa_exception_fp_ieee_div_zero 0
		.amdhsa_exception_fp_ieee_overflow 0
		.amdhsa_exception_fp_ieee_underflow 0
		.amdhsa_exception_fp_ieee_inexact 0
		.amdhsa_exception_int_div_zero 0
	.end_amdhsa_kernel
	.section	.text._ZN7rocprim17ROCPRIM_400000_NS6detail17trampoline_kernelINS0_14default_configENS1_38merge_sort_block_merge_config_selectorIsNS0_10empty_typeEEEZZNS1_27merge_sort_block_merge_implIS3_N6thrust23THRUST_200600_302600_NS6detail15normal_iteratorINS9_10device_ptrIsEEEEPS5_jNS1_19radix_merge_compareILb0ELb1EsNS0_19identity_decomposerEEEEE10hipError_tT0_T1_T2_jT3_P12ihipStream_tbPNSt15iterator_traitsISK_E10value_typeEPNSQ_ISL_E10value_typeEPSM_NS1_7vsmem_tEENKUlT_SK_SL_SM_E_clISE_PsSF_SF_EESJ_SZ_SK_SL_SM_EUlSZ_E0_NS1_11comp_targetILNS1_3genE0ELNS1_11target_archE4294967295ELNS1_3gpuE0ELNS1_3repE0EEENS1_38merge_mergepath_config_static_selectorELNS0_4arch9wavefront6targetE1EEEvSL_,"axG",@progbits,_ZN7rocprim17ROCPRIM_400000_NS6detail17trampoline_kernelINS0_14default_configENS1_38merge_sort_block_merge_config_selectorIsNS0_10empty_typeEEEZZNS1_27merge_sort_block_merge_implIS3_N6thrust23THRUST_200600_302600_NS6detail15normal_iteratorINS9_10device_ptrIsEEEEPS5_jNS1_19radix_merge_compareILb0ELb1EsNS0_19identity_decomposerEEEEE10hipError_tT0_T1_T2_jT3_P12ihipStream_tbPNSt15iterator_traitsISK_E10value_typeEPNSQ_ISL_E10value_typeEPSM_NS1_7vsmem_tEENKUlT_SK_SL_SM_E_clISE_PsSF_SF_EESJ_SZ_SK_SL_SM_EUlSZ_E0_NS1_11comp_targetILNS1_3genE0ELNS1_11target_archE4294967295ELNS1_3gpuE0ELNS1_3repE0EEENS1_38merge_mergepath_config_static_selectorELNS0_4arch9wavefront6targetE1EEEvSL_,comdat
.Lfunc_end1907:
	.size	_ZN7rocprim17ROCPRIM_400000_NS6detail17trampoline_kernelINS0_14default_configENS1_38merge_sort_block_merge_config_selectorIsNS0_10empty_typeEEEZZNS1_27merge_sort_block_merge_implIS3_N6thrust23THRUST_200600_302600_NS6detail15normal_iteratorINS9_10device_ptrIsEEEEPS5_jNS1_19radix_merge_compareILb0ELb1EsNS0_19identity_decomposerEEEEE10hipError_tT0_T1_T2_jT3_P12ihipStream_tbPNSt15iterator_traitsISK_E10value_typeEPNSQ_ISL_E10value_typeEPSM_NS1_7vsmem_tEENKUlT_SK_SL_SM_E_clISE_PsSF_SF_EESJ_SZ_SK_SL_SM_EUlSZ_E0_NS1_11comp_targetILNS1_3genE0ELNS1_11target_archE4294967295ELNS1_3gpuE0ELNS1_3repE0EEENS1_38merge_mergepath_config_static_selectorELNS0_4arch9wavefront6targetE1EEEvSL_, .Lfunc_end1907-_ZN7rocprim17ROCPRIM_400000_NS6detail17trampoline_kernelINS0_14default_configENS1_38merge_sort_block_merge_config_selectorIsNS0_10empty_typeEEEZZNS1_27merge_sort_block_merge_implIS3_N6thrust23THRUST_200600_302600_NS6detail15normal_iteratorINS9_10device_ptrIsEEEEPS5_jNS1_19radix_merge_compareILb0ELb1EsNS0_19identity_decomposerEEEEE10hipError_tT0_T1_T2_jT3_P12ihipStream_tbPNSt15iterator_traitsISK_E10value_typeEPNSQ_ISL_E10value_typeEPSM_NS1_7vsmem_tEENKUlT_SK_SL_SM_E_clISE_PsSF_SF_EESJ_SZ_SK_SL_SM_EUlSZ_E0_NS1_11comp_targetILNS1_3genE0ELNS1_11target_archE4294967295ELNS1_3gpuE0ELNS1_3repE0EEENS1_38merge_mergepath_config_static_selectorELNS0_4arch9wavefront6targetE1EEEvSL_
                                        ; -- End function
	.section	.AMDGPU.csdata,"",@progbits
; Kernel info:
; codeLenInByte = 0
; NumSgprs: 4
; NumVgprs: 0
; NumAgprs: 0
; TotalNumVgprs: 0
; ScratchSize: 0
; MemoryBound: 0
; FloatMode: 240
; IeeeMode: 1
; LDSByteSize: 0 bytes/workgroup (compile time only)
; SGPRBlocks: 0
; VGPRBlocks: 0
; NumSGPRsForWavesPerEU: 4
; NumVGPRsForWavesPerEU: 1
; AccumOffset: 4
; Occupancy: 8
; WaveLimiterHint : 0
; COMPUTE_PGM_RSRC2:SCRATCH_EN: 0
; COMPUTE_PGM_RSRC2:USER_SGPR: 6
; COMPUTE_PGM_RSRC2:TRAP_HANDLER: 0
; COMPUTE_PGM_RSRC2:TGID_X_EN: 1
; COMPUTE_PGM_RSRC2:TGID_Y_EN: 0
; COMPUTE_PGM_RSRC2:TGID_Z_EN: 0
; COMPUTE_PGM_RSRC2:TIDIG_COMP_CNT: 0
; COMPUTE_PGM_RSRC3_GFX90A:ACCUM_OFFSET: 0
; COMPUTE_PGM_RSRC3_GFX90A:TG_SPLIT: 0
	.section	.text._ZN7rocprim17ROCPRIM_400000_NS6detail17trampoline_kernelINS0_14default_configENS1_38merge_sort_block_merge_config_selectorIsNS0_10empty_typeEEEZZNS1_27merge_sort_block_merge_implIS3_N6thrust23THRUST_200600_302600_NS6detail15normal_iteratorINS9_10device_ptrIsEEEEPS5_jNS1_19radix_merge_compareILb0ELb1EsNS0_19identity_decomposerEEEEE10hipError_tT0_T1_T2_jT3_P12ihipStream_tbPNSt15iterator_traitsISK_E10value_typeEPNSQ_ISL_E10value_typeEPSM_NS1_7vsmem_tEENKUlT_SK_SL_SM_E_clISE_PsSF_SF_EESJ_SZ_SK_SL_SM_EUlSZ_E0_NS1_11comp_targetILNS1_3genE10ELNS1_11target_archE1201ELNS1_3gpuE5ELNS1_3repE0EEENS1_38merge_mergepath_config_static_selectorELNS0_4arch9wavefront6targetE1EEEvSL_,"axG",@progbits,_ZN7rocprim17ROCPRIM_400000_NS6detail17trampoline_kernelINS0_14default_configENS1_38merge_sort_block_merge_config_selectorIsNS0_10empty_typeEEEZZNS1_27merge_sort_block_merge_implIS3_N6thrust23THRUST_200600_302600_NS6detail15normal_iteratorINS9_10device_ptrIsEEEEPS5_jNS1_19radix_merge_compareILb0ELb1EsNS0_19identity_decomposerEEEEE10hipError_tT0_T1_T2_jT3_P12ihipStream_tbPNSt15iterator_traitsISK_E10value_typeEPNSQ_ISL_E10value_typeEPSM_NS1_7vsmem_tEENKUlT_SK_SL_SM_E_clISE_PsSF_SF_EESJ_SZ_SK_SL_SM_EUlSZ_E0_NS1_11comp_targetILNS1_3genE10ELNS1_11target_archE1201ELNS1_3gpuE5ELNS1_3repE0EEENS1_38merge_mergepath_config_static_selectorELNS0_4arch9wavefront6targetE1EEEvSL_,comdat
	.protected	_ZN7rocprim17ROCPRIM_400000_NS6detail17trampoline_kernelINS0_14default_configENS1_38merge_sort_block_merge_config_selectorIsNS0_10empty_typeEEEZZNS1_27merge_sort_block_merge_implIS3_N6thrust23THRUST_200600_302600_NS6detail15normal_iteratorINS9_10device_ptrIsEEEEPS5_jNS1_19radix_merge_compareILb0ELb1EsNS0_19identity_decomposerEEEEE10hipError_tT0_T1_T2_jT3_P12ihipStream_tbPNSt15iterator_traitsISK_E10value_typeEPNSQ_ISL_E10value_typeEPSM_NS1_7vsmem_tEENKUlT_SK_SL_SM_E_clISE_PsSF_SF_EESJ_SZ_SK_SL_SM_EUlSZ_E0_NS1_11comp_targetILNS1_3genE10ELNS1_11target_archE1201ELNS1_3gpuE5ELNS1_3repE0EEENS1_38merge_mergepath_config_static_selectorELNS0_4arch9wavefront6targetE1EEEvSL_ ; -- Begin function _ZN7rocprim17ROCPRIM_400000_NS6detail17trampoline_kernelINS0_14default_configENS1_38merge_sort_block_merge_config_selectorIsNS0_10empty_typeEEEZZNS1_27merge_sort_block_merge_implIS3_N6thrust23THRUST_200600_302600_NS6detail15normal_iteratorINS9_10device_ptrIsEEEEPS5_jNS1_19radix_merge_compareILb0ELb1EsNS0_19identity_decomposerEEEEE10hipError_tT0_T1_T2_jT3_P12ihipStream_tbPNSt15iterator_traitsISK_E10value_typeEPNSQ_ISL_E10value_typeEPSM_NS1_7vsmem_tEENKUlT_SK_SL_SM_E_clISE_PsSF_SF_EESJ_SZ_SK_SL_SM_EUlSZ_E0_NS1_11comp_targetILNS1_3genE10ELNS1_11target_archE1201ELNS1_3gpuE5ELNS1_3repE0EEENS1_38merge_mergepath_config_static_selectorELNS0_4arch9wavefront6targetE1EEEvSL_
	.globl	_ZN7rocprim17ROCPRIM_400000_NS6detail17trampoline_kernelINS0_14default_configENS1_38merge_sort_block_merge_config_selectorIsNS0_10empty_typeEEEZZNS1_27merge_sort_block_merge_implIS3_N6thrust23THRUST_200600_302600_NS6detail15normal_iteratorINS9_10device_ptrIsEEEEPS5_jNS1_19radix_merge_compareILb0ELb1EsNS0_19identity_decomposerEEEEE10hipError_tT0_T1_T2_jT3_P12ihipStream_tbPNSt15iterator_traitsISK_E10value_typeEPNSQ_ISL_E10value_typeEPSM_NS1_7vsmem_tEENKUlT_SK_SL_SM_E_clISE_PsSF_SF_EESJ_SZ_SK_SL_SM_EUlSZ_E0_NS1_11comp_targetILNS1_3genE10ELNS1_11target_archE1201ELNS1_3gpuE5ELNS1_3repE0EEENS1_38merge_mergepath_config_static_selectorELNS0_4arch9wavefront6targetE1EEEvSL_
	.p2align	8
	.type	_ZN7rocprim17ROCPRIM_400000_NS6detail17trampoline_kernelINS0_14default_configENS1_38merge_sort_block_merge_config_selectorIsNS0_10empty_typeEEEZZNS1_27merge_sort_block_merge_implIS3_N6thrust23THRUST_200600_302600_NS6detail15normal_iteratorINS9_10device_ptrIsEEEEPS5_jNS1_19radix_merge_compareILb0ELb1EsNS0_19identity_decomposerEEEEE10hipError_tT0_T1_T2_jT3_P12ihipStream_tbPNSt15iterator_traitsISK_E10value_typeEPNSQ_ISL_E10value_typeEPSM_NS1_7vsmem_tEENKUlT_SK_SL_SM_E_clISE_PsSF_SF_EESJ_SZ_SK_SL_SM_EUlSZ_E0_NS1_11comp_targetILNS1_3genE10ELNS1_11target_archE1201ELNS1_3gpuE5ELNS1_3repE0EEENS1_38merge_mergepath_config_static_selectorELNS0_4arch9wavefront6targetE1EEEvSL_,@function
_ZN7rocprim17ROCPRIM_400000_NS6detail17trampoline_kernelINS0_14default_configENS1_38merge_sort_block_merge_config_selectorIsNS0_10empty_typeEEEZZNS1_27merge_sort_block_merge_implIS3_N6thrust23THRUST_200600_302600_NS6detail15normal_iteratorINS9_10device_ptrIsEEEEPS5_jNS1_19radix_merge_compareILb0ELb1EsNS0_19identity_decomposerEEEEE10hipError_tT0_T1_T2_jT3_P12ihipStream_tbPNSt15iterator_traitsISK_E10value_typeEPNSQ_ISL_E10value_typeEPSM_NS1_7vsmem_tEENKUlT_SK_SL_SM_E_clISE_PsSF_SF_EESJ_SZ_SK_SL_SM_EUlSZ_E0_NS1_11comp_targetILNS1_3genE10ELNS1_11target_archE1201ELNS1_3gpuE5ELNS1_3repE0EEENS1_38merge_mergepath_config_static_selectorELNS0_4arch9wavefront6targetE1EEEvSL_: ; @_ZN7rocprim17ROCPRIM_400000_NS6detail17trampoline_kernelINS0_14default_configENS1_38merge_sort_block_merge_config_selectorIsNS0_10empty_typeEEEZZNS1_27merge_sort_block_merge_implIS3_N6thrust23THRUST_200600_302600_NS6detail15normal_iteratorINS9_10device_ptrIsEEEEPS5_jNS1_19radix_merge_compareILb0ELb1EsNS0_19identity_decomposerEEEEE10hipError_tT0_T1_T2_jT3_P12ihipStream_tbPNSt15iterator_traitsISK_E10value_typeEPNSQ_ISL_E10value_typeEPSM_NS1_7vsmem_tEENKUlT_SK_SL_SM_E_clISE_PsSF_SF_EESJ_SZ_SK_SL_SM_EUlSZ_E0_NS1_11comp_targetILNS1_3genE10ELNS1_11target_archE1201ELNS1_3gpuE5ELNS1_3repE0EEENS1_38merge_mergepath_config_static_selectorELNS0_4arch9wavefront6targetE1EEEvSL_
; %bb.0:
	.section	.rodata,"a",@progbits
	.p2align	6, 0x0
	.amdhsa_kernel _ZN7rocprim17ROCPRIM_400000_NS6detail17trampoline_kernelINS0_14default_configENS1_38merge_sort_block_merge_config_selectorIsNS0_10empty_typeEEEZZNS1_27merge_sort_block_merge_implIS3_N6thrust23THRUST_200600_302600_NS6detail15normal_iteratorINS9_10device_ptrIsEEEEPS5_jNS1_19radix_merge_compareILb0ELb1EsNS0_19identity_decomposerEEEEE10hipError_tT0_T1_T2_jT3_P12ihipStream_tbPNSt15iterator_traitsISK_E10value_typeEPNSQ_ISL_E10value_typeEPSM_NS1_7vsmem_tEENKUlT_SK_SL_SM_E_clISE_PsSF_SF_EESJ_SZ_SK_SL_SM_EUlSZ_E0_NS1_11comp_targetILNS1_3genE10ELNS1_11target_archE1201ELNS1_3gpuE5ELNS1_3repE0EEENS1_38merge_mergepath_config_static_selectorELNS0_4arch9wavefront6targetE1EEEvSL_
		.amdhsa_group_segment_fixed_size 0
		.amdhsa_private_segment_fixed_size 0
		.amdhsa_kernarg_size 64
		.amdhsa_user_sgpr_count 6
		.amdhsa_user_sgpr_private_segment_buffer 1
		.amdhsa_user_sgpr_dispatch_ptr 0
		.amdhsa_user_sgpr_queue_ptr 0
		.amdhsa_user_sgpr_kernarg_segment_ptr 1
		.amdhsa_user_sgpr_dispatch_id 0
		.amdhsa_user_sgpr_flat_scratch_init 0
		.amdhsa_user_sgpr_kernarg_preload_length 0
		.amdhsa_user_sgpr_kernarg_preload_offset 0
		.amdhsa_user_sgpr_private_segment_size 0
		.amdhsa_uses_dynamic_stack 0
		.amdhsa_system_sgpr_private_segment_wavefront_offset 0
		.amdhsa_system_sgpr_workgroup_id_x 1
		.amdhsa_system_sgpr_workgroup_id_y 0
		.amdhsa_system_sgpr_workgroup_id_z 0
		.amdhsa_system_sgpr_workgroup_info 0
		.amdhsa_system_vgpr_workitem_id 0
		.amdhsa_next_free_vgpr 1
		.amdhsa_next_free_sgpr 0
		.amdhsa_accum_offset 4
		.amdhsa_reserve_vcc 0
		.amdhsa_reserve_flat_scratch 0
		.amdhsa_float_round_mode_32 0
		.amdhsa_float_round_mode_16_64 0
		.amdhsa_float_denorm_mode_32 3
		.amdhsa_float_denorm_mode_16_64 3
		.amdhsa_dx10_clamp 1
		.amdhsa_ieee_mode 1
		.amdhsa_fp16_overflow 0
		.amdhsa_tg_split 0
		.amdhsa_exception_fp_ieee_invalid_op 0
		.amdhsa_exception_fp_denorm_src 0
		.amdhsa_exception_fp_ieee_div_zero 0
		.amdhsa_exception_fp_ieee_overflow 0
		.amdhsa_exception_fp_ieee_underflow 0
		.amdhsa_exception_fp_ieee_inexact 0
		.amdhsa_exception_int_div_zero 0
	.end_amdhsa_kernel
	.section	.text._ZN7rocprim17ROCPRIM_400000_NS6detail17trampoline_kernelINS0_14default_configENS1_38merge_sort_block_merge_config_selectorIsNS0_10empty_typeEEEZZNS1_27merge_sort_block_merge_implIS3_N6thrust23THRUST_200600_302600_NS6detail15normal_iteratorINS9_10device_ptrIsEEEEPS5_jNS1_19radix_merge_compareILb0ELb1EsNS0_19identity_decomposerEEEEE10hipError_tT0_T1_T2_jT3_P12ihipStream_tbPNSt15iterator_traitsISK_E10value_typeEPNSQ_ISL_E10value_typeEPSM_NS1_7vsmem_tEENKUlT_SK_SL_SM_E_clISE_PsSF_SF_EESJ_SZ_SK_SL_SM_EUlSZ_E0_NS1_11comp_targetILNS1_3genE10ELNS1_11target_archE1201ELNS1_3gpuE5ELNS1_3repE0EEENS1_38merge_mergepath_config_static_selectorELNS0_4arch9wavefront6targetE1EEEvSL_,"axG",@progbits,_ZN7rocprim17ROCPRIM_400000_NS6detail17trampoline_kernelINS0_14default_configENS1_38merge_sort_block_merge_config_selectorIsNS0_10empty_typeEEEZZNS1_27merge_sort_block_merge_implIS3_N6thrust23THRUST_200600_302600_NS6detail15normal_iteratorINS9_10device_ptrIsEEEEPS5_jNS1_19radix_merge_compareILb0ELb1EsNS0_19identity_decomposerEEEEE10hipError_tT0_T1_T2_jT3_P12ihipStream_tbPNSt15iterator_traitsISK_E10value_typeEPNSQ_ISL_E10value_typeEPSM_NS1_7vsmem_tEENKUlT_SK_SL_SM_E_clISE_PsSF_SF_EESJ_SZ_SK_SL_SM_EUlSZ_E0_NS1_11comp_targetILNS1_3genE10ELNS1_11target_archE1201ELNS1_3gpuE5ELNS1_3repE0EEENS1_38merge_mergepath_config_static_selectorELNS0_4arch9wavefront6targetE1EEEvSL_,comdat
.Lfunc_end1908:
	.size	_ZN7rocprim17ROCPRIM_400000_NS6detail17trampoline_kernelINS0_14default_configENS1_38merge_sort_block_merge_config_selectorIsNS0_10empty_typeEEEZZNS1_27merge_sort_block_merge_implIS3_N6thrust23THRUST_200600_302600_NS6detail15normal_iteratorINS9_10device_ptrIsEEEEPS5_jNS1_19radix_merge_compareILb0ELb1EsNS0_19identity_decomposerEEEEE10hipError_tT0_T1_T2_jT3_P12ihipStream_tbPNSt15iterator_traitsISK_E10value_typeEPNSQ_ISL_E10value_typeEPSM_NS1_7vsmem_tEENKUlT_SK_SL_SM_E_clISE_PsSF_SF_EESJ_SZ_SK_SL_SM_EUlSZ_E0_NS1_11comp_targetILNS1_3genE10ELNS1_11target_archE1201ELNS1_3gpuE5ELNS1_3repE0EEENS1_38merge_mergepath_config_static_selectorELNS0_4arch9wavefront6targetE1EEEvSL_, .Lfunc_end1908-_ZN7rocprim17ROCPRIM_400000_NS6detail17trampoline_kernelINS0_14default_configENS1_38merge_sort_block_merge_config_selectorIsNS0_10empty_typeEEEZZNS1_27merge_sort_block_merge_implIS3_N6thrust23THRUST_200600_302600_NS6detail15normal_iteratorINS9_10device_ptrIsEEEEPS5_jNS1_19radix_merge_compareILb0ELb1EsNS0_19identity_decomposerEEEEE10hipError_tT0_T1_T2_jT3_P12ihipStream_tbPNSt15iterator_traitsISK_E10value_typeEPNSQ_ISL_E10value_typeEPSM_NS1_7vsmem_tEENKUlT_SK_SL_SM_E_clISE_PsSF_SF_EESJ_SZ_SK_SL_SM_EUlSZ_E0_NS1_11comp_targetILNS1_3genE10ELNS1_11target_archE1201ELNS1_3gpuE5ELNS1_3repE0EEENS1_38merge_mergepath_config_static_selectorELNS0_4arch9wavefront6targetE1EEEvSL_
                                        ; -- End function
	.section	.AMDGPU.csdata,"",@progbits
; Kernel info:
; codeLenInByte = 0
; NumSgprs: 4
; NumVgprs: 0
; NumAgprs: 0
; TotalNumVgprs: 0
; ScratchSize: 0
; MemoryBound: 0
; FloatMode: 240
; IeeeMode: 1
; LDSByteSize: 0 bytes/workgroup (compile time only)
; SGPRBlocks: 0
; VGPRBlocks: 0
; NumSGPRsForWavesPerEU: 4
; NumVGPRsForWavesPerEU: 1
; AccumOffset: 4
; Occupancy: 8
; WaveLimiterHint : 0
; COMPUTE_PGM_RSRC2:SCRATCH_EN: 0
; COMPUTE_PGM_RSRC2:USER_SGPR: 6
; COMPUTE_PGM_RSRC2:TRAP_HANDLER: 0
; COMPUTE_PGM_RSRC2:TGID_X_EN: 1
; COMPUTE_PGM_RSRC2:TGID_Y_EN: 0
; COMPUTE_PGM_RSRC2:TGID_Z_EN: 0
; COMPUTE_PGM_RSRC2:TIDIG_COMP_CNT: 0
; COMPUTE_PGM_RSRC3_GFX90A:ACCUM_OFFSET: 0
; COMPUTE_PGM_RSRC3_GFX90A:TG_SPLIT: 0
	.section	.text._ZN7rocprim17ROCPRIM_400000_NS6detail17trampoline_kernelINS0_14default_configENS1_38merge_sort_block_merge_config_selectorIsNS0_10empty_typeEEEZZNS1_27merge_sort_block_merge_implIS3_N6thrust23THRUST_200600_302600_NS6detail15normal_iteratorINS9_10device_ptrIsEEEEPS5_jNS1_19radix_merge_compareILb0ELb1EsNS0_19identity_decomposerEEEEE10hipError_tT0_T1_T2_jT3_P12ihipStream_tbPNSt15iterator_traitsISK_E10value_typeEPNSQ_ISL_E10value_typeEPSM_NS1_7vsmem_tEENKUlT_SK_SL_SM_E_clISE_PsSF_SF_EESJ_SZ_SK_SL_SM_EUlSZ_E0_NS1_11comp_targetILNS1_3genE5ELNS1_11target_archE942ELNS1_3gpuE9ELNS1_3repE0EEENS1_38merge_mergepath_config_static_selectorELNS0_4arch9wavefront6targetE1EEEvSL_,"axG",@progbits,_ZN7rocprim17ROCPRIM_400000_NS6detail17trampoline_kernelINS0_14default_configENS1_38merge_sort_block_merge_config_selectorIsNS0_10empty_typeEEEZZNS1_27merge_sort_block_merge_implIS3_N6thrust23THRUST_200600_302600_NS6detail15normal_iteratorINS9_10device_ptrIsEEEEPS5_jNS1_19radix_merge_compareILb0ELb1EsNS0_19identity_decomposerEEEEE10hipError_tT0_T1_T2_jT3_P12ihipStream_tbPNSt15iterator_traitsISK_E10value_typeEPNSQ_ISL_E10value_typeEPSM_NS1_7vsmem_tEENKUlT_SK_SL_SM_E_clISE_PsSF_SF_EESJ_SZ_SK_SL_SM_EUlSZ_E0_NS1_11comp_targetILNS1_3genE5ELNS1_11target_archE942ELNS1_3gpuE9ELNS1_3repE0EEENS1_38merge_mergepath_config_static_selectorELNS0_4arch9wavefront6targetE1EEEvSL_,comdat
	.protected	_ZN7rocprim17ROCPRIM_400000_NS6detail17trampoline_kernelINS0_14default_configENS1_38merge_sort_block_merge_config_selectorIsNS0_10empty_typeEEEZZNS1_27merge_sort_block_merge_implIS3_N6thrust23THRUST_200600_302600_NS6detail15normal_iteratorINS9_10device_ptrIsEEEEPS5_jNS1_19radix_merge_compareILb0ELb1EsNS0_19identity_decomposerEEEEE10hipError_tT0_T1_T2_jT3_P12ihipStream_tbPNSt15iterator_traitsISK_E10value_typeEPNSQ_ISL_E10value_typeEPSM_NS1_7vsmem_tEENKUlT_SK_SL_SM_E_clISE_PsSF_SF_EESJ_SZ_SK_SL_SM_EUlSZ_E0_NS1_11comp_targetILNS1_3genE5ELNS1_11target_archE942ELNS1_3gpuE9ELNS1_3repE0EEENS1_38merge_mergepath_config_static_selectorELNS0_4arch9wavefront6targetE1EEEvSL_ ; -- Begin function _ZN7rocprim17ROCPRIM_400000_NS6detail17trampoline_kernelINS0_14default_configENS1_38merge_sort_block_merge_config_selectorIsNS0_10empty_typeEEEZZNS1_27merge_sort_block_merge_implIS3_N6thrust23THRUST_200600_302600_NS6detail15normal_iteratorINS9_10device_ptrIsEEEEPS5_jNS1_19radix_merge_compareILb0ELb1EsNS0_19identity_decomposerEEEEE10hipError_tT0_T1_T2_jT3_P12ihipStream_tbPNSt15iterator_traitsISK_E10value_typeEPNSQ_ISL_E10value_typeEPSM_NS1_7vsmem_tEENKUlT_SK_SL_SM_E_clISE_PsSF_SF_EESJ_SZ_SK_SL_SM_EUlSZ_E0_NS1_11comp_targetILNS1_3genE5ELNS1_11target_archE942ELNS1_3gpuE9ELNS1_3repE0EEENS1_38merge_mergepath_config_static_selectorELNS0_4arch9wavefront6targetE1EEEvSL_
	.globl	_ZN7rocprim17ROCPRIM_400000_NS6detail17trampoline_kernelINS0_14default_configENS1_38merge_sort_block_merge_config_selectorIsNS0_10empty_typeEEEZZNS1_27merge_sort_block_merge_implIS3_N6thrust23THRUST_200600_302600_NS6detail15normal_iteratorINS9_10device_ptrIsEEEEPS5_jNS1_19radix_merge_compareILb0ELb1EsNS0_19identity_decomposerEEEEE10hipError_tT0_T1_T2_jT3_P12ihipStream_tbPNSt15iterator_traitsISK_E10value_typeEPNSQ_ISL_E10value_typeEPSM_NS1_7vsmem_tEENKUlT_SK_SL_SM_E_clISE_PsSF_SF_EESJ_SZ_SK_SL_SM_EUlSZ_E0_NS1_11comp_targetILNS1_3genE5ELNS1_11target_archE942ELNS1_3gpuE9ELNS1_3repE0EEENS1_38merge_mergepath_config_static_selectorELNS0_4arch9wavefront6targetE1EEEvSL_
	.p2align	8
	.type	_ZN7rocprim17ROCPRIM_400000_NS6detail17trampoline_kernelINS0_14default_configENS1_38merge_sort_block_merge_config_selectorIsNS0_10empty_typeEEEZZNS1_27merge_sort_block_merge_implIS3_N6thrust23THRUST_200600_302600_NS6detail15normal_iteratorINS9_10device_ptrIsEEEEPS5_jNS1_19radix_merge_compareILb0ELb1EsNS0_19identity_decomposerEEEEE10hipError_tT0_T1_T2_jT3_P12ihipStream_tbPNSt15iterator_traitsISK_E10value_typeEPNSQ_ISL_E10value_typeEPSM_NS1_7vsmem_tEENKUlT_SK_SL_SM_E_clISE_PsSF_SF_EESJ_SZ_SK_SL_SM_EUlSZ_E0_NS1_11comp_targetILNS1_3genE5ELNS1_11target_archE942ELNS1_3gpuE9ELNS1_3repE0EEENS1_38merge_mergepath_config_static_selectorELNS0_4arch9wavefront6targetE1EEEvSL_,@function
_ZN7rocprim17ROCPRIM_400000_NS6detail17trampoline_kernelINS0_14default_configENS1_38merge_sort_block_merge_config_selectorIsNS0_10empty_typeEEEZZNS1_27merge_sort_block_merge_implIS3_N6thrust23THRUST_200600_302600_NS6detail15normal_iteratorINS9_10device_ptrIsEEEEPS5_jNS1_19radix_merge_compareILb0ELb1EsNS0_19identity_decomposerEEEEE10hipError_tT0_T1_T2_jT3_P12ihipStream_tbPNSt15iterator_traitsISK_E10value_typeEPNSQ_ISL_E10value_typeEPSM_NS1_7vsmem_tEENKUlT_SK_SL_SM_E_clISE_PsSF_SF_EESJ_SZ_SK_SL_SM_EUlSZ_E0_NS1_11comp_targetILNS1_3genE5ELNS1_11target_archE942ELNS1_3gpuE9ELNS1_3repE0EEENS1_38merge_mergepath_config_static_selectorELNS0_4arch9wavefront6targetE1EEEvSL_: ; @_ZN7rocprim17ROCPRIM_400000_NS6detail17trampoline_kernelINS0_14default_configENS1_38merge_sort_block_merge_config_selectorIsNS0_10empty_typeEEEZZNS1_27merge_sort_block_merge_implIS3_N6thrust23THRUST_200600_302600_NS6detail15normal_iteratorINS9_10device_ptrIsEEEEPS5_jNS1_19radix_merge_compareILb0ELb1EsNS0_19identity_decomposerEEEEE10hipError_tT0_T1_T2_jT3_P12ihipStream_tbPNSt15iterator_traitsISK_E10value_typeEPNSQ_ISL_E10value_typeEPSM_NS1_7vsmem_tEENKUlT_SK_SL_SM_E_clISE_PsSF_SF_EESJ_SZ_SK_SL_SM_EUlSZ_E0_NS1_11comp_targetILNS1_3genE5ELNS1_11target_archE942ELNS1_3gpuE9ELNS1_3repE0EEENS1_38merge_mergepath_config_static_selectorELNS0_4arch9wavefront6targetE1EEEvSL_
; %bb.0:
	.section	.rodata,"a",@progbits
	.p2align	6, 0x0
	.amdhsa_kernel _ZN7rocprim17ROCPRIM_400000_NS6detail17trampoline_kernelINS0_14default_configENS1_38merge_sort_block_merge_config_selectorIsNS0_10empty_typeEEEZZNS1_27merge_sort_block_merge_implIS3_N6thrust23THRUST_200600_302600_NS6detail15normal_iteratorINS9_10device_ptrIsEEEEPS5_jNS1_19radix_merge_compareILb0ELb1EsNS0_19identity_decomposerEEEEE10hipError_tT0_T1_T2_jT3_P12ihipStream_tbPNSt15iterator_traitsISK_E10value_typeEPNSQ_ISL_E10value_typeEPSM_NS1_7vsmem_tEENKUlT_SK_SL_SM_E_clISE_PsSF_SF_EESJ_SZ_SK_SL_SM_EUlSZ_E0_NS1_11comp_targetILNS1_3genE5ELNS1_11target_archE942ELNS1_3gpuE9ELNS1_3repE0EEENS1_38merge_mergepath_config_static_selectorELNS0_4arch9wavefront6targetE1EEEvSL_
		.amdhsa_group_segment_fixed_size 0
		.amdhsa_private_segment_fixed_size 0
		.amdhsa_kernarg_size 64
		.amdhsa_user_sgpr_count 6
		.amdhsa_user_sgpr_private_segment_buffer 1
		.amdhsa_user_sgpr_dispatch_ptr 0
		.amdhsa_user_sgpr_queue_ptr 0
		.amdhsa_user_sgpr_kernarg_segment_ptr 1
		.amdhsa_user_sgpr_dispatch_id 0
		.amdhsa_user_sgpr_flat_scratch_init 0
		.amdhsa_user_sgpr_kernarg_preload_length 0
		.amdhsa_user_sgpr_kernarg_preload_offset 0
		.amdhsa_user_sgpr_private_segment_size 0
		.amdhsa_uses_dynamic_stack 0
		.amdhsa_system_sgpr_private_segment_wavefront_offset 0
		.amdhsa_system_sgpr_workgroup_id_x 1
		.amdhsa_system_sgpr_workgroup_id_y 0
		.amdhsa_system_sgpr_workgroup_id_z 0
		.amdhsa_system_sgpr_workgroup_info 0
		.amdhsa_system_vgpr_workitem_id 0
		.amdhsa_next_free_vgpr 1
		.amdhsa_next_free_sgpr 0
		.amdhsa_accum_offset 4
		.amdhsa_reserve_vcc 0
		.amdhsa_reserve_flat_scratch 0
		.amdhsa_float_round_mode_32 0
		.amdhsa_float_round_mode_16_64 0
		.amdhsa_float_denorm_mode_32 3
		.amdhsa_float_denorm_mode_16_64 3
		.amdhsa_dx10_clamp 1
		.amdhsa_ieee_mode 1
		.amdhsa_fp16_overflow 0
		.amdhsa_tg_split 0
		.amdhsa_exception_fp_ieee_invalid_op 0
		.amdhsa_exception_fp_denorm_src 0
		.amdhsa_exception_fp_ieee_div_zero 0
		.amdhsa_exception_fp_ieee_overflow 0
		.amdhsa_exception_fp_ieee_underflow 0
		.amdhsa_exception_fp_ieee_inexact 0
		.amdhsa_exception_int_div_zero 0
	.end_amdhsa_kernel
	.section	.text._ZN7rocprim17ROCPRIM_400000_NS6detail17trampoline_kernelINS0_14default_configENS1_38merge_sort_block_merge_config_selectorIsNS0_10empty_typeEEEZZNS1_27merge_sort_block_merge_implIS3_N6thrust23THRUST_200600_302600_NS6detail15normal_iteratorINS9_10device_ptrIsEEEEPS5_jNS1_19radix_merge_compareILb0ELb1EsNS0_19identity_decomposerEEEEE10hipError_tT0_T1_T2_jT3_P12ihipStream_tbPNSt15iterator_traitsISK_E10value_typeEPNSQ_ISL_E10value_typeEPSM_NS1_7vsmem_tEENKUlT_SK_SL_SM_E_clISE_PsSF_SF_EESJ_SZ_SK_SL_SM_EUlSZ_E0_NS1_11comp_targetILNS1_3genE5ELNS1_11target_archE942ELNS1_3gpuE9ELNS1_3repE0EEENS1_38merge_mergepath_config_static_selectorELNS0_4arch9wavefront6targetE1EEEvSL_,"axG",@progbits,_ZN7rocprim17ROCPRIM_400000_NS6detail17trampoline_kernelINS0_14default_configENS1_38merge_sort_block_merge_config_selectorIsNS0_10empty_typeEEEZZNS1_27merge_sort_block_merge_implIS3_N6thrust23THRUST_200600_302600_NS6detail15normal_iteratorINS9_10device_ptrIsEEEEPS5_jNS1_19radix_merge_compareILb0ELb1EsNS0_19identity_decomposerEEEEE10hipError_tT0_T1_T2_jT3_P12ihipStream_tbPNSt15iterator_traitsISK_E10value_typeEPNSQ_ISL_E10value_typeEPSM_NS1_7vsmem_tEENKUlT_SK_SL_SM_E_clISE_PsSF_SF_EESJ_SZ_SK_SL_SM_EUlSZ_E0_NS1_11comp_targetILNS1_3genE5ELNS1_11target_archE942ELNS1_3gpuE9ELNS1_3repE0EEENS1_38merge_mergepath_config_static_selectorELNS0_4arch9wavefront6targetE1EEEvSL_,comdat
.Lfunc_end1909:
	.size	_ZN7rocprim17ROCPRIM_400000_NS6detail17trampoline_kernelINS0_14default_configENS1_38merge_sort_block_merge_config_selectorIsNS0_10empty_typeEEEZZNS1_27merge_sort_block_merge_implIS3_N6thrust23THRUST_200600_302600_NS6detail15normal_iteratorINS9_10device_ptrIsEEEEPS5_jNS1_19radix_merge_compareILb0ELb1EsNS0_19identity_decomposerEEEEE10hipError_tT0_T1_T2_jT3_P12ihipStream_tbPNSt15iterator_traitsISK_E10value_typeEPNSQ_ISL_E10value_typeEPSM_NS1_7vsmem_tEENKUlT_SK_SL_SM_E_clISE_PsSF_SF_EESJ_SZ_SK_SL_SM_EUlSZ_E0_NS1_11comp_targetILNS1_3genE5ELNS1_11target_archE942ELNS1_3gpuE9ELNS1_3repE0EEENS1_38merge_mergepath_config_static_selectorELNS0_4arch9wavefront6targetE1EEEvSL_, .Lfunc_end1909-_ZN7rocprim17ROCPRIM_400000_NS6detail17trampoline_kernelINS0_14default_configENS1_38merge_sort_block_merge_config_selectorIsNS0_10empty_typeEEEZZNS1_27merge_sort_block_merge_implIS3_N6thrust23THRUST_200600_302600_NS6detail15normal_iteratorINS9_10device_ptrIsEEEEPS5_jNS1_19radix_merge_compareILb0ELb1EsNS0_19identity_decomposerEEEEE10hipError_tT0_T1_T2_jT3_P12ihipStream_tbPNSt15iterator_traitsISK_E10value_typeEPNSQ_ISL_E10value_typeEPSM_NS1_7vsmem_tEENKUlT_SK_SL_SM_E_clISE_PsSF_SF_EESJ_SZ_SK_SL_SM_EUlSZ_E0_NS1_11comp_targetILNS1_3genE5ELNS1_11target_archE942ELNS1_3gpuE9ELNS1_3repE0EEENS1_38merge_mergepath_config_static_selectorELNS0_4arch9wavefront6targetE1EEEvSL_
                                        ; -- End function
	.section	.AMDGPU.csdata,"",@progbits
; Kernel info:
; codeLenInByte = 0
; NumSgprs: 4
; NumVgprs: 0
; NumAgprs: 0
; TotalNumVgprs: 0
; ScratchSize: 0
; MemoryBound: 0
; FloatMode: 240
; IeeeMode: 1
; LDSByteSize: 0 bytes/workgroup (compile time only)
; SGPRBlocks: 0
; VGPRBlocks: 0
; NumSGPRsForWavesPerEU: 4
; NumVGPRsForWavesPerEU: 1
; AccumOffset: 4
; Occupancy: 8
; WaveLimiterHint : 0
; COMPUTE_PGM_RSRC2:SCRATCH_EN: 0
; COMPUTE_PGM_RSRC2:USER_SGPR: 6
; COMPUTE_PGM_RSRC2:TRAP_HANDLER: 0
; COMPUTE_PGM_RSRC2:TGID_X_EN: 1
; COMPUTE_PGM_RSRC2:TGID_Y_EN: 0
; COMPUTE_PGM_RSRC2:TGID_Z_EN: 0
; COMPUTE_PGM_RSRC2:TIDIG_COMP_CNT: 0
; COMPUTE_PGM_RSRC3_GFX90A:ACCUM_OFFSET: 0
; COMPUTE_PGM_RSRC3_GFX90A:TG_SPLIT: 0
	.section	.text._ZN7rocprim17ROCPRIM_400000_NS6detail17trampoline_kernelINS0_14default_configENS1_38merge_sort_block_merge_config_selectorIsNS0_10empty_typeEEEZZNS1_27merge_sort_block_merge_implIS3_N6thrust23THRUST_200600_302600_NS6detail15normal_iteratorINS9_10device_ptrIsEEEEPS5_jNS1_19radix_merge_compareILb0ELb1EsNS0_19identity_decomposerEEEEE10hipError_tT0_T1_T2_jT3_P12ihipStream_tbPNSt15iterator_traitsISK_E10value_typeEPNSQ_ISL_E10value_typeEPSM_NS1_7vsmem_tEENKUlT_SK_SL_SM_E_clISE_PsSF_SF_EESJ_SZ_SK_SL_SM_EUlSZ_E0_NS1_11comp_targetILNS1_3genE4ELNS1_11target_archE910ELNS1_3gpuE8ELNS1_3repE0EEENS1_38merge_mergepath_config_static_selectorELNS0_4arch9wavefront6targetE1EEEvSL_,"axG",@progbits,_ZN7rocprim17ROCPRIM_400000_NS6detail17trampoline_kernelINS0_14default_configENS1_38merge_sort_block_merge_config_selectorIsNS0_10empty_typeEEEZZNS1_27merge_sort_block_merge_implIS3_N6thrust23THRUST_200600_302600_NS6detail15normal_iteratorINS9_10device_ptrIsEEEEPS5_jNS1_19radix_merge_compareILb0ELb1EsNS0_19identity_decomposerEEEEE10hipError_tT0_T1_T2_jT3_P12ihipStream_tbPNSt15iterator_traitsISK_E10value_typeEPNSQ_ISL_E10value_typeEPSM_NS1_7vsmem_tEENKUlT_SK_SL_SM_E_clISE_PsSF_SF_EESJ_SZ_SK_SL_SM_EUlSZ_E0_NS1_11comp_targetILNS1_3genE4ELNS1_11target_archE910ELNS1_3gpuE8ELNS1_3repE0EEENS1_38merge_mergepath_config_static_selectorELNS0_4arch9wavefront6targetE1EEEvSL_,comdat
	.protected	_ZN7rocprim17ROCPRIM_400000_NS6detail17trampoline_kernelINS0_14default_configENS1_38merge_sort_block_merge_config_selectorIsNS0_10empty_typeEEEZZNS1_27merge_sort_block_merge_implIS3_N6thrust23THRUST_200600_302600_NS6detail15normal_iteratorINS9_10device_ptrIsEEEEPS5_jNS1_19radix_merge_compareILb0ELb1EsNS0_19identity_decomposerEEEEE10hipError_tT0_T1_T2_jT3_P12ihipStream_tbPNSt15iterator_traitsISK_E10value_typeEPNSQ_ISL_E10value_typeEPSM_NS1_7vsmem_tEENKUlT_SK_SL_SM_E_clISE_PsSF_SF_EESJ_SZ_SK_SL_SM_EUlSZ_E0_NS1_11comp_targetILNS1_3genE4ELNS1_11target_archE910ELNS1_3gpuE8ELNS1_3repE0EEENS1_38merge_mergepath_config_static_selectorELNS0_4arch9wavefront6targetE1EEEvSL_ ; -- Begin function _ZN7rocprim17ROCPRIM_400000_NS6detail17trampoline_kernelINS0_14default_configENS1_38merge_sort_block_merge_config_selectorIsNS0_10empty_typeEEEZZNS1_27merge_sort_block_merge_implIS3_N6thrust23THRUST_200600_302600_NS6detail15normal_iteratorINS9_10device_ptrIsEEEEPS5_jNS1_19radix_merge_compareILb0ELb1EsNS0_19identity_decomposerEEEEE10hipError_tT0_T1_T2_jT3_P12ihipStream_tbPNSt15iterator_traitsISK_E10value_typeEPNSQ_ISL_E10value_typeEPSM_NS1_7vsmem_tEENKUlT_SK_SL_SM_E_clISE_PsSF_SF_EESJ_SZ_SK_SL_SM_EUlSZ_E0_NS1_11comp_targetILNS1_3genE4ELNS1_11target_archE910ELNS1_3gpuE8ELNS1_3repE0EEENS1_38merge_mergepath_config_static_selectorELNS0_4arch9wavefront6targetE1EEEvSL_
	.globl	_ZN7rocprim17ROCPRIM_400000_NS6detail17trampoline_kernelINS0_14default_configENS1_38merge_sort_block_merge_config_selectorIsNS0_10empty_typeEEEZZNS1_27merge_sort_block_merge_implIS3_N6thrust23THRUST_200600_302600_NS6detail15normal_iteratorINS9_10device_ptrIsEEEEPS5_jNS1_19radix_merge_compareILb0ELb1EsNS0_19identity_decomposerEEEEE10hipError_tT0_T1_T2_jT3_P12ihipStream_tbPNSt15iterator_traitsISK_E10value_typeEPNSQ_ISL_E10value_typeEPSM_NS1_7vsmem_tEENKUlT_SK_SL_SM_E_clISE_PsSF_SF_EESJ_SZ_SK_SL_SM_EUlSZ_E0_NS1_11comp_targetILNS1_3genE4ELNS1_11target_archE910ELNS1_3gpuE8ELNS1_3repE0EEENS1_38merge_mergepath_config_static_selectorELNS0_4arch9wavefront6targetE1EEEvSL_
	.p2align	8
	.type	_ZN7rocprim17ROCPRIM_400000_NS6detail17trampoline_kernelINS0_14default_configENS1_38merge_sort_block_merge_config_selectorIsNS0_10empty_typeEEEZZNS1_27merge_sort_block_merge_implIS3_N6thrust23THRUST_200600_302600_NS6detail15normal_iteratorINS9_10device_ptrIsEEEEPS5_jNS1_19radix_merge_compareILb0ELb1EsNS0_19identity_decomposerEEEEE10hipError_tT0_T1_T2_jT3_P12ihipStream_tbPNSt15iterator_traitsISK_E10value_typeEPNSQ_ISL_E10value_typeEPSM_NS1_7vsmem_tEENKUlT_SK_SL_SM_E_clISE_PsSF_SF_EESJ_SZ_SK_SL_SM_EUlSZ_E0_NS1_11comp_targetILNS1_3genE4ELNS1_11target_archE910ELNS1_3gpuE8ELNS1_3repE0EEENS1_38merge_mergepath_config_static_selectorELNS0_4arch9wavefront6targetE1EEEvSL_,@function
_ZN7rocprim17ROCPRIM_400000_NS6detail17trampoline_kernelINS0_14default_configENS1_38merge_sort_block_merge_config_selectorIsNS0_10empty_typeEEEZZNS1_27merge_sort_block_merge_implIS3_N6thrust23THRUST_200600_302600_NS6detail15normal_iteratorINS9_10device_ptrIsEEEEPS5_jNS1_19radix_merge_compareILb0ELb1EsNS0_19identity_decomposerEEEEE10hipError_tT0_T1_T2_jT3_P12ihipStream_tbPNSt15iterator_traitsISK_E10value_typeEPNSQ_ISL_E10value_typeEPSM_NS1_7vsmem_tEENKUlT_SK_SL_SM_E_clISE_PsSF_SF_EESJ_SZ_SK_SL_SM_EUlSZ_E0_NS1_11comp_targetILNS1_3genE4ELNS1_11target_archE910ELNS1_3gpuE8ELNS1_3repE0EEENS1_38merge_mergepath_config_static_selectorELNS0_4arch9wavefront6targetE1EEEvSL_: ; @_ZN7rocprim17ROCPRIM_400000_NS6detail17trampoline_kernelINS0_14default_configENS1_38merge_sort_block_merge_config_selectorIsNS0_10empty_typeEEEZZNS1_27merge_sort_block_merge_implIS3_N6thrust23THRUST_200600_302600_NS6detail15normal_iteratorINS9_10device_ptrIsEEEEPS5_jNS1_19radix_merge_compareILb0ELb1EsNS0_19identity_decomposerEEEEE10hipError_tT0_T1_T2_jT3_P12ihipStream_tbPNSt15iterator_traitsISK_E10value_typeEPNSQ_ISL_E10value_typeEPSM_NS1_7vsmem_tEENKUlT_SK_SL_SM_E_clISE_PsSF_SF_EESJ_SZ_SK_SL_SM_EUlSZ_E0_NS1_11comp_targetILNS1_3genE4ELNS1_11target_archE910ELNS1_3gpuE8ELNS1_3repE0EEENS1_38merge_mergepath_config_static_selectorELNS0_4arch9wavefront6targetE1EEEvSL_
; %bb.0:
	s_load_dwordx2 s[10:11], s[4:5], 0x40
	s_load_dword s3, s[4:5], 0x30
	s_add_u32 s0, s4, 64
	s_addc_u32 s1, s5, 0
	s_waitcnt lgkmcnt(0)
	s_mul_i32 s2, s11, s8
	s_add_i32 s2, s2, s7
	s_mul_i32 s2, s2, s10
	s_add_i32 s2, s2, s6
	s_cmp_ge_u32 s2, s3
	s_cbranch_scc1 .LBB1910_43
; %bb.1:
	s_load_dwordx2 s[14:15], s[4:5], 0x28
	s_load_dwordx2 s[8:9], s[4:5], 0x38
	;; [unrolled: 1-line block ×3, first 2 shown]
	s_mov_b32 s3, 0
	v_mov_b32_e32 v3, 0
	s_waitcnt lgkmcnt(0)
	s_lshr_b32 s22, s14, 10
	s_cmp_lg_u32 s2, s22
	s_cselect_b64 s[18:19], -1, 0
	s_lshl_b64 s[16:17], s[2:3], 2
	s_add_u32 s8, s8, s16
	s_addc_u32 s9, s9, s17
	s_lshr_b32 s7, s15, 9
	s_and_b32 s7, s7, 0x7ffffe
	s_load_dwordx2 s[8:9], s[8:9], 0x0
	s_sub_i32 s7, 0, s7
	s_and_b32 s11, s2, s7
	s_lshl_b32 s17, s11, 10
	s_lshl_b32 s16, s2, 10
	;; [unrolled: 1-line block ×3, first 2 shown]
	s_sub_i32 s20, s16, s17
	s_add_i32 s11, s11, s15
	s_add_i32 s21, s11, s20
	s_waitcnt lgkmcnt(0)
	s_sub_i32 s20, s21, s8
	s_sub_i32 s21, s21, s9
	;; [unrolled: 1-line block ×3, first 2 shown]
	s_min_u32 s20, s14, s20
	s_addk_i32 s21, 0x400
	s_or_b32 s7, s2, s7
	s_min_u32 s17, s14, s11
	s_add_i32 s11, s11, s15
	s_cmp_eq_u32 s7, -1
	s_cselect_b32 s7, s11, s21
	s_cselect_b32 s9, s17, s9
	s_min_u32 s7, s7, s14
	s_sub_i32 s15, s9, s8
	s_mov_b32 s9, s3
	s_sub_i32 s7, s7, s20
	s_lshl_b64 s[8:9], s[8:9], 1
	s_add_u32 s8, s12, s8
	s_mov_b32 s21, s3
	s_addc_u32 s9, s13, s9
	s_lshl_b64 s[20:21], s[20:21], 1
	s_add_u32 s11, s12, s20
	s_addc_u32 s12, s13, s21
	s_cmp_lt_u32 s6, s10
	s_cselect_b32 s3, 12, 18
	global_load_dword v1, v3, s[0:1] offset:14
	s_add_u32 s0, s0, s3
	s_addc_u32 s1, s1, 0
	global_load_ushort v2, v3, s[0:1]
	s_cmp_eq_u32 s2, s22
	s_waitcnt vmcnt(1)
	v_lshrrev_b32_e32 v4, 16, v1
	v_and_b32_e32 v1, 0xffff, v1
	v_mul_lo_u32 v1, v1, v4
	s_waitcnt vmcnt(0)
	v_mul_lo_u32 v11, v1, v2
	v_add_u32_e32 v8, v11, v0
	v_lshlrev_b32_e32 v1, 1, v0
	v_add_u32_e32 v6, v8, v11
	s_cbranch_scc1 .LBB1910_3
; %bb.2:
	v_subrev_u32_e32 v2, s15, v0
	v_lshlrev_b64 v[4:5], 1, v[2:3]
	v_mov_b32_e32 v2, s12
	v_add_co_u32_e32 v4, vcc, s11, v4
	v_addc_co_u32_e32 v2, vcc, v2, v5, vcc
	v_mov_b32_e32 v5, s9
	v_add_co_u32_e32 v7, vcc, s8, v1
	v_addc_co_u32_e32 v5, vcc, 0, v5, vcc
	v_cmp_gt_u32_e32 vcc, s15, v0
	v_cndmask_b32_e32 v5, v2, v5, vcc
	v_cndmask_b32_e32 v4, v4, v7, vcc
	v_subrev_u32_e32 v2, s15, v8
	global_load_ushort v10, v[4:5], off
	v_lshlrev_b64 v[4:5], 1, v[2:3]
	v_mov_b32_e32 v2, s12
	v_add_co_u32_e32 v7, vcc, s11, v4
	v_mov_b32_e32 v9, v3
	v_addc_co_u32_e32 v2, vcc, v2, v5, vcc
	v_lshlrev_b64 v[4:5], 1, v[8:9]
	v_mov_b32_e32 v9, s9
	v_add_co_u32_e32 v4, vcc, s8, v4
	v_addc_co_u32_e32 v5, vcc, v9, v5, vcc
	v_cmp_gt_u32_e32 vcc, s15, v8
	v_cndmask_b32_e32 v5, v2, v5, vcc
	v_cndmask_b32_e32 v4, v7, v4, vcc
	v_subrev_u32_e32 v2, s15, v6
	global_load_ushort v9, v[4:5], off
	v_lshlrev_b64 v[4:5], 1, v[2:3]
	v_mov_b32_e32 v2, s12
	v_add_co_u32_e32 v12, vcc, s11, v4
	v_mov_b32_e32 v7, v3
	v_addc_co_u32_e32 v2, vcc, v2, v5, vcc
	v_lshlrev_b64 v[4:5], 1, v[6:7]
	v_mov_b32_e32 v7, s9
	v_add_co_u32_e32 v4, vcc, s8, v4
	v_addc_co_u32_e32 v5, vcc, v7, v5, vcc
	v_cmp_gt_u32_e32 vcc, s15, v6
	v_cndmask_b32_e32 v5, v2, v5, vcc
	v_cndmask_b32_e32 v4, v12, v4, vcc
	global_load_ushort v7, v[4:5], off
	v_add_u32_e32 v4, v6, v11
	v_subrev_u32_e32 v2, s15, v4
	v_lshlrev_b64 v[12:13], 1, v[2:3]
	v_mov_b32_e32 v2, s12
	v_add_co_u32_e32 v14, vcc, s11, v12
	v_mov_b32_e32 v5, v3
	v_addc_co_u32_e32 v2, vcc, v2, v13, vcc
	v_lshlrev_b64 v[12:13], 1, v[4:5]
	v_mov_b32_e32 v5, s9
	v_add_co_u32_e32 v12, vcc, s8, v12
	v_addc_co_u32_e32 v5, vcc, v5, v13, vcc
	v_cmp_gt_u32_e32 vcc, s15, v4
	v_add_u32_e32 v4, v4, v11
	v_cndmask_b32_e32 v13, v2, v5, vcc
	v_cndmask_b32_e32 v12, v14, v12, vcc
	v_subrev_u32_e32 v2, s15, v4
	global_load_ushort v14, v[12:13], off
	v_lshlrev_b64 v[12:13], 1, v[2:3]
	v_mov_b32_e32 v2, s12
	v_add_co_u32_e32 v15, vcc, s11, v12
	v_mov_b32_e32 v5, v3
	v_addc_co_u32_e32 v2, vcc, v2, v13, vcc
	v_lshlrev_b64 v[12:13], 1, v[4:5]
	v_mov_b32_e32 v5, s9
	v_add_co_u32_e32 v12, vcc, s8, v12
	v_addc_co_u32_e32 v5, vcc, v5, v13, vcc
	v_cmp_gt_u32_e32 vcc, s15, v4
	v_add_u32_e32 v4, v4, v11
	v_cndmask_b32_e32 v13, v2, v5, vcc
	v_cndmask_b32_e32 v12, v15, v12, vcc
	v_subrev_u32_e32 v2, s15, v4
	global_load_ushort v15, v[12:13], off
	v_lshlrev_b64 v[12:13], 1, v[2:3]
	v_mov_b32_e32 v2, s12
	v_add_co_u32_e32 v16, vcc, s11, v12
	v_mov_b32_e32 v5, v3
	v_addc_co_u32_e32 v2, vcc, v2, v13, vcc
	v_lshlrev_b64 v[12:13], 1, v[4:5]
	v_mov_b32_e32 v5, s9
	v_add_co_u32_e32 v12, vcc, s8, v12
	v_addc_co_u32_e32 v5, vcc, v5, v13, vcc
	v_cmp_gt_u32_e32 vcc, s15, v4
	v_cndmask_b32_e32 v13, v2, v5, vcc
	v_cndmask_b32_e32 v12, v16, v12, vcc
	global_load_ushort v16, v[12:13], off
	v_add_u32_e32 v12, v4, v11
	v_subrev_u32_e32 v2, s15, v12
	v_lshlrev_b64 v[4:5], 1, v[2:3]
	v_mov_b32_e32 v2, s12
	v_add_co_u32_e32 v4, vcc, s11, v4
	v_mov_b32_e32 v13, v3
	v_addc_co_u32_e32 v5, vcc, v2, v5, vcc
	v_lshlrev_b64 v[2:3], 1, v[12:13]
	v_mov_b32_e32 v13, s9
	v_add_co_u32_e32 v2, vcc, s8, v2
	v_addc_co_u32_e32 v3, vcc, v13, v3, vcc
	v_cmp_gt_u32_e32 vcc, s15, v12
	v_cndmask_b32_e32 v3, v5, v3, vcc
	v_cndmask_b32_e32 v2, v4, v2, vcc
	global_load_ushort v5, v[2:3], off
	s_mov_b32 s0, 0x5040100
	s_waitcnt vmcnt(5)
	v_perm_b32 v2, v9, v10, s0
	v_add_u32_e32 v10, v12, v11
	s_add_i32 s6, s7, s15
	s_waitcnt vmcnt(3)
	v_perm_b32 v3, v14, v7, s0
	s_waitcnt vmcnt(1)
	v_perm_b32 v4, v16, v15, s0
	s_mov_b64 s[0:1], -1
	s_cbranch_execz .LBB1910_4
	s_branch .LBB1910_17
.LBB1910_3:
	s_mov_b64 s[0:1], 0
                                        ; implicit-def: $vgpr10
                                        ; implicit-def: $vgpr2_vgpr3_vgpr4_vgpr5
                                        ; implicit-def: $sgpr6
.LBB1910_4:
	s_add_i32 s6, s7, s15
	v_cmp_gt_u32_e32 vcc, s6, v0
                                        ; implicit-def: $vgpr2_vgpr3_vgpr4_vgpr5
	s_and_saveexec_b64 s[0:1], vcc
	s_cbranch_execnz .LBB1910_44
; %bb.5:
	s_or_b64 exec, exec, s[0:1]
	v_cmp_gt_u32_e32 vcc, s6, v8
	s_and_saveexec_b64 s[2:3], vcc
	s_cbranch_execnz .LBB1910_45
.LBB1910_6:
	s_or_b64 exec, exec, s[2:3]
	v_cmp_gt_u32_e32 vcc, s6, v6
	s_and_saveexec_b64 s[0:1], vcc
	s_cbranch_execz .LBB1910_8
.LBB1910_7:
	v_mov_b32_e32 v7, 0
	v_lshlrev_b64 v[8:9], 1, v[6:7]
	v_mov_b32_e32 v10, s9
	v_add_co_u32_e32 v12, vcc, s8, v8
	v_addc_co_u32_e32 v10, vcc, v10, v9, vcc
	v_subrev_u32_e32 v8, s15, v6
	v_mov_b32_e32 v9, v7
	v_lshlrev_b64 v[8:9], 1, v[8:9]
	v_mov_b32_e32 v7, s12
	v_add_co_u32_e32 v8, vcc, s11, v8
	v_addc_co_u32_e32 v7, vcc, v7, v9, vcc
	v_cmp_gt_u32_e32 vcc, s15, v6
	v_cndmask_b32_e32 v9, v7, v10, vcc
	v_cndmask_b32_e32 v8, v8, v12, vcc
	global_load_ushort v7, v[8:9], off
	s_mov_b32 s2, 0xffff
	s_waitcnt vmcnt(0)
	v_bfi_b32 v3, s2, v7, v3
.LBB1910_8:
	s_or_b64 exec, exec, s[0:1]
	v_add_u32_e32 v6, v6, v11
	v_cmp_gt_u32_e32 vcc, s6, v6
	s_and_saveexec_b64 s[0:1], vcc
	s_cbranch_execz .LBB1910_10
; %bb.9:
	v_mov_b32_e32 v7, 0
	v_lshlrev_b64 v[8:9], 1, v[6:7]
	v_mov_b32_e32 v10, s9
	v_add_co_u32_e32 v12, vcc, s8, v8
	v_addc_co_u32_e32 v10, vcc, v10, v9, vcc
	v_subrev_u32_e32 v8, s15, v6
	v_mov_b32_e32 v9, v7
	v_lshlrev_b64 v[8:9], 1, v[8:9]
	v_mov_b32_e32 v7, s12
	v_add_co_u32_e32 v8, vcc, s11, v8
	v_addc_co_u32_e32 v7, vcc, v7, v9, vcc
	v_cmp_gt_u32_e32 vcc, s15, v6
	v_cndmask_b32_e32 v9, v7, v10, vcc
	v_cndmask_b32_e32 v8, v8, v12, vcc
	global_load_ushort v7, v[8:9], off
	s_mov_b32 s2, 0x5040100
	s_waitcnt vmcnt(0)
	v_perm_b32 v3, v7, v3, s2
.LBB1910_10:
	s_or_b64 exec, exec, s[0:1]
	v_add_u32_e32 v6, v6, v11
	v_cmp_gt_u32_e32 vcc, s6, v6
	s_and_saveexec_b64 s[0:1], vcc
	s_cbranch_execz .LBB1910_12
; %bb.11:
	v_mov_b32_e32 v7, 0
	v_lshlrev_b64 v[8:9], 1, v[6:7]
	v_mov_b32_e32 v10, s9
	v_add_co_u32_e32 v12, vcc, s8, v8
	v_addc_co_u32_e32 v10, vcc, v10, v9, vcc
	v_subrev_u32_e32 v8, s15, v6
	v_mov_b32_e32 v9, v7
	v_lshlrev_b64 v[8:9], 1, v[8:9]
	v_mov_b32_e32 v7, s12
	v_add_co_u32_e32 v8, vcc, s11, v8
	v_addc_co_u32_e32 v7, vcc, v7, v9, vcc
	v_cmp_gt_u32_e32 vcc, s15, v6
	v_cndmask_b32_e32 v9, v7, v10, vcc
	v_cndmask_b32_e32 v8, v8, v12, vcc
	global_load_ushort v7, v[8:9], off
	s_mov_b32 s2, 0xffff
	s_waitcnt vmcnt(0)
	v_bfi_b32 v4, s2, v7, v4
.LBB1910_12:
	s_or_b64 exec, exec, s[0:1]
	v_add_u32_e32 v6, v6, v11
	v_cmp_gt_u32_e32 vcc, s6, v6
	s_and_saveexec_b64 s[0:1], vcc
	s_cbranch_execz .LBB1910_14
; %bb.13:
	v_mov_b32_e32 v7, 0
	v_lshlrev_b64 v[8:9], 1, v[6:7]
	v_mov_b32_e32 v10, s9
	v_add_co_u32_e32 v12, vcc, s8, v8
	v_addc_co_u32_e32 v10, vcc, v10, v9, vcc
	v_subrev_u32_e32 v8, s15, v6
	v_mov_b32_e32 v9, v7
	v_lshlrev_b64 v[8:9], 1, v[8:9]
	v_mov_b32_e32 v7, s12
	v_add_co_u32_e32 v8, vcc, s11, v8
	v_addc_co_u32_e32 v7, vcc, v7, v9, vcc
	v_cmp_gt_u32_e32 vcc, s15, v6
	v_cndmask_b32_e32 v9, v7, v10, vcc
	v_cndmask_b32_e32 v8, v8, v12, vcc
	global_load_ushort v7, v[8:9], off
	s_mov_b32 s2, 0x5040100
	s_waitcnt vmcnt(0)
	v_perm_b32 v4, v7, v4, s2
.LBB1910_14:
	s_or_b64 exec, exec, s[0:1]
	v_add_u32_e32 v6, v6, v11
	v_cmp_gt_u32_e32 vcc, s6, v6
	s_and_saveexec_b64 s[0:1], vcc
	s_cbranch_execz .LBB1910_16
; %bb.15:
	v_mov_b32_e32 v7, 0
	v_lshlrev_b64 v[8:9], 1, v[6:7]
	v_mov_b32_e32 v10, s9
	v_add_co_u32_e32 v12, vcc, s8, v8
	v_addc_co_u32_e32 v10, vcc, v10, v9, vcc
	v_subrev_u32_e32 v8, s15, v6
	v_mov_b32_e32 v9, v7
	v_lshlrev_b64 v[8:9], 1, v[8:9]
	v_mov_b32_e32 v7, s12
	v_add_co_u32_e32 v8, vcc, s11, v8
	v_addc_co_u32_e32 v7, vcc, v7, v9, vcc
	v_cmp_gt_u32_e32 vcc, s15, v6
	v_cndmask_b32_e32 v9, v7, v10, vcc
	v_cndmask_b32_e32 v8, v8, v12, vcc
	global_load_ushort v7, v[8:9], off
	s_mov_b32 s2, 0xffff
	s_waitcnt vmcnt(0)
	v_bfi_b32 v5, s2, v7, v5
.LBB1910_16:
	s_or_b64 exec, exec, s[0:1]
	v_add_u32_e32 v10, v6, v11
	v_cmp_gt_u32_e64 s[0:1], s6, v10
.LBB1910_17:
	v_mov_b32_e32 v7, s6
	s_and_saveexec_b64 s[2:3], s[0:1]
	s_cbranch_execz .LBB1910_19
; %bb.18:
	v_subrev_u32_e32 v6, s15, v10
	v_mov_b32_e32 v7, 0
	v_lshlrev_b64 v[8:9], 1, v[6:7]
	v_mov_b32_e32 v6, s12
	v_add_co_u32_e32 v8, vcc, s11, v8
	v_mov_b32_e32 v11, v7
	v_addc_co_u32_e32 v9, vcc, v6, v9, vcc
	v_lshlrev_b64 v[6:7], 1, v[10:11]
	v_mov_b32_e32 v11, s9
	v_add_co_u32_e32 v6, vcc, s8, v6
	v_addc_co_u32_e32 v7, vcc, v11, v7, vcc
	v_cmp_gt_u32_e32 vcc, s15, v10
	v_cndmask_b32_e32 v7, v9, v7, vcc
	v_cndmask_b32_e32 v6, v8, v6, vcc
	global_load_ushort v6, v[6:7], off
	s_mov_b32 s0, 0x5040100
	v_mov_b32_e32 v7, s6
	s_waitcnt vmcnt(0)
	v_perm_b32 v5, v6, v5, s0
.LBB1910_19:
	s_or_b64 exec, exec, s[2:3]
	s_load_dwordx2 s[20:21], s[4:5], 0x10
	s_load_dword s17, s[4:5], 0x34
	v_lshlrev_b32_e32 v6, 3, v0
	v_min_u32_e32 v13, v7, v6
	v_sub_u32_e64 v11, v13, s7 clamp
	v_min_u32_e32 v14, s15, v13
	s_waitcnt vmcnt(0)
	v_lshrrev_b32_e32 v8, 16, v2
	v_lshrrev_b32_e32 v9, 16, v3
	;; [unrolled: 1-line block ×4, first 2 shown]
	v_cmp_lt_u32_e32 vcc, v11, v14
	ds_write_b16 v1, v2
	ds_write_b16 v1, v8 offset:256
	ds_write_b16 v1, v3 offset:512
	;; [unrolled: 1-line block ×7, first 2 shown]
	s_waitcnt lgkmcnt(0)
	s_barrier
	s_and_saveexec_b64 s[0:1], vcc
	s_cbranch_execz .LBB1910_23
; %bb.20:
	v_lshlrev_b32_e32 v15, 1, v13
	v_lshl_add_u32 v15, s15, 1, v15
	s_mov_b64 s[2:3], 0
.LBB1910_21:                            ; =>This Inner Loop Header: Depth=1
	v_add_u32_e32 v16, v14, v11
	v_lshrrev_b32_e32 v17, 1, v16
	v_not_b32_e32 v18, v17
	v_and_b32_e32 v16, -2, v16
	v_lshl_add_u32 v18, v18, 1, v15
	ds_read_u16 v16, v16
	ds_read_u16 v18, v18
	v_add_u32_e32 v19, 1, v17
	s_waitcnt lgkmcnt(1)
	v_and_b32_e32 v16, s17, v16
	s_waitcnt lgkmcnt(0)
	v_and_b32_e32 v18, s17, v18
	v_cmp_gt_i16_e32 vcc, v16, v18
	v_cndmask_b32_e32 v14, v14, v17, vcc
	v_cndmask_b32_e32 v11, v19, v11, vcc
	v_cmp_ge_u32_e32 vcc, v11, v14
	s_or_b64 s[2:3], vcc, s[2:3]
	s_andn2_b64 exec, exec, s[2:3]
	s_cbranch_execnz .LBB1910_21
; %bb.22:
	s_or_b64 exec, exec, s[2:3]
.LBB1910_23:
	s_or_b64 exec, exec, s[0:1]
	v_sub_u32_e32 v13, v13, v11
	v_add_u32_e32 v13, s15, v13
	v_cmp_ge_u32_e32 vcc, s15, v11
	v_cmp_le_u32_e64 s[0:1], v13, v7
	s_or_b64 s[0:1], vcc, s[0:1]
	s_and_saveexec_b64 s[22:23], s[0:1]
	s_cbranch_execz .LBB1910_29
; %bb.24:
	v_cmp_gt_u32_e32 vcc, s15, v11
                                        ; implicit-def: $vgpr2
	s_and_saveexec_b64 s[0:1], vcc
	s_cbranch_execz .LBB1910_26
; %bb.25:
	v_lshlrev_b32_e32 v2, 1, v11
	ds_read_u16 v2, v2
.LBB1910_26:
	s_or_b64 exec, exec, s[0:1]
	v_cmp_ge_u32_e64 s[0:1], v13, v7
	v_cmp_lt_u32_e64 s[2:3], v13, v7
                                        ; implicit-def: $vgpr3
	s_and_saveexec_b64 s[4:5], s[2:3]
	s_cbranch_execz .LBB1910_28
; %bb.27:
	v_lshlrev_b32_e32 v3, 1, v13
	ds_read_u16 v3, v3
.LBB1910_28:
	s_or_b64 exec, exec, s[4:5]
	s_waitcnt lgkmcnt(0)
	v_and_b32_e32 v4, s17, v3
	v_and_b32_e32 v5, s17, v2
	v_cmp_le_i16_e64 s[2:3], v5, v4
	s_and_b64 s[2:3], vcc, s[2:3]
	s_or_b64 vcc, s[0:1], s[2:3]
	v_mov_b32_e32 v5, s15
	v_cndmask_b32_e32 v4, v13, v11, vcc
	v_cndmask_b32_e32 v8, v7, v5, vcc
	v_add_u32_e32 v4, 1, v4
	v_add_u32_e32 v8, -1, v8
	v_min_u32_e32 v8, v4, v8
	v_lshlrev_b32_e32 v8, 1, v8
	ds_read_u16 v8, v8
	v_cndmask_b32_e32 v10, v4, v13, vcc
	v_cndmask_b32_e32 v4, v11, v4, vcc
	v_cmp_gt_u32_e64 s[2:3], s15, v4
	v_cmp_ge_u32_e64 s[0:1], v10, v7
	s_waitcnt lgkmcnt(0)
	v_cndmask_b32_e32 v9, v8, v3, vcc
	v_cndmask_b32_e32 v8, v2, v8, vcc
	v_and_b32_e32 v11, s17, v9
	v_and_b32_e32 v12, s17, v8
	v_cmp_le_i16_e64 s[4:5], v12, v11
	s_and_b64 s[2:3], s[2:3], s[4:5]
	s_or_b64 s[0:1], s[0:1], s[2:3]
	v_cndmask_b32_e64 v11, v10, v4, s[0:1]
	v_cndmask_b32_e64 v12, v7, v5, s[0:1]
	v_add_u32_e32 v11, 1, v11
	v_add_u32_e32 v12, -1, v12
	v_min_u32_e32 v12, v11, v12
	v_lshlrev_b32_e32 v12, 1, v12
	ds_read_u16 v12, v12
	v_cndmask_b32_e64 v10, v11, v10, s[0:1]
	v_cndmask_b32_e64 v4, v4, v11, s[0:1]
	v_cmp_gt_u32_e64 s[4:5], s15, v4
	v_cmp_ge_u32_e64 s[2:3], v10, v7
	s_waitcnt lgkmcnt(0)
	v_cndmask_b32_e64 v13, v12, v9, s[0:1]
	v_cndmask_b32_e64 v12, v8, v12, s[0:1]
	v_and_b32_e32 v11, s17, v13
	v_and_b32_e32 v14, s17, v12
	v_cmp_le_i16_e64 s[6:7], v14, v11
	s_and_b64 s[4:5], s[4:5], s[6:7]
	s_or_b64 s[2:3], s[2:3], s[4:5]
	v_cndmask_b32_e64 v11, v10, v4, s[2:3]
	v_cndmask_b32_e64 v14, v7, v5, s[2:3]
	v_add_u32_e32 v11, 1, v11
	v_add_u32_e32 v14, -1, v14
	v_min_u32_e32 v14, v11, v14
	v_lshlrev_b32_e32 v14, 1, v14
	ds_read_u16 v14, v14
	v_cndmask_b32_e64 v10, v11, v10, s[2:3]
	v_cndmask_b32_e64 v4, v4, v11, s[2:3]
	v_cmp_gt_u32_e64 s[6:7], s15, v4
	v_cmp_ge_u32_e64 s[4:5], v10, v7
	s_waitcnt lgkmcnt(0)
	v_cndmask_b32_e64 v15, v14, v13, s[2:3]
	v_cndmask_b32_e64 v14, v12, v14, s[2:3]
	v_and_b32_e32 v11, s17, v15
	v_and_b32_e32 v16, s17, v14
	v_cmp_le_i16_e64 s[8:9], v16, v11
	s_and_b64 s[6:7], s[6:7], s[8:9]
	s_or_b64 s[4:5], s[4:5], s[6:7]
	v_cndmask_b32_e64 v11, v10, v4, s[4:5]
	v_cndmask_b32_e64 v16, v7, v5, s[4:5]
	v_add_u32_e32 v11, 1, v11
	v_add_u32_e32 v16, -1, v16
	v_min_u32_e32 v16, v11, v16
	v_lshlrev_b32_e32 v16, 1, v16
	ds_read_u16 v16, v16
	v_cndmask_b32_e64 v10, v11, v10, s[4:5]
	v_cndmask_b32_e64 v4, v4, v11, s[4:5]
	v_cmp_gt_u32_e64 s[8:9], s15, v4
	v_cmp_ge_u32_e64 s[6:7], v10, v7
	s_waitcnt lgkmcnt(0)
	v_cndmask_b32_e64 v17, v16, v15, s[4:5]
	v_cndmask_b32_e64 v16, v14, v16, s[4:5]
	v_and_b32_e32 v11, s17, v17
	v_and_b32_e32 v18, s17, v16
	v_cmp_le_i16_e64 s[10:11], v18, v11
	s_and_b64 s[8:9], s[8:9], s[10:11]
	s_or_b64 s[6:7], s[6:7], s[8:9]
	v_cndmask_b32_e64 v11, v10, v4, s[6:7]
	v_cndmask_b32_e64 v18, v7, v5, s[6:7]
	v_add_u32_e32 v11, 1, v11
	v_add_u32_e32 v18, -1, v18
	v_min_u32_e32 v18, v11, v18
	v_lshlrev_b32_e32 v18, 1, v18
	ds_read_u16 v18, v18
	v_cndmask_b32_e64 v10, v11, v10, s[6:7]
	v_cndmask_b32_e64 v4, v4, v11, s[6:7]
	v_cmp_gt_u32_e64 s[10:11], s15, v4
	v_cmp_ge_u32_e64 s[8:9], v10, v7
	s_waitcnt lgkmcnt(0)
	v_cndmask_b32_e64 v19, v18, v17, s[6:7]
	v_cndmask_b32_e64 v18, v16, v18, s[6:7]
	v_and_b32_e32 v11, s17, v19
	v_and_b32_e32 v20, s17, v18
	v_cmp_le_i16_e64 s[12:13], v20, v11
	s_and_b64 s[10:11], s[10:11], s[12:13]
	s_or_b64 s[8:9], s[8:9], s[10:11]
	v_cndmask_b32_e64 v11, v10, v4, s[8:9]
	v_cndmask_b32_e64 v20, v7, v5, s[8:9]
	v_add_u32_e32 v11, 1, v11
	v_add_u32_e32 v20, -1, v20
	v_min_u32_e32 v20, v11, v20
	v_lshlrev_b32_e32 v20, 1, v20
	ds_read_u16 v20, v20
	v_cndmask_b32_e32 v2, v3, v2, vcc
	v_cndmask_b32_e64 v3, v13, v12, s[2:3]
	v_cndmask_b32_e64 v8, v9, v8, s[0:1]
	s_waitcnt lgkmcnt(0)
	v_cndmask_b32_e64 v12, v20, v19, s[8:9]
	v_cndmask_b32_e64 v13, v18, v20, s[8:9]
	;; [unrolled: 1-line block ×4, first 2 shown]
	v_and_b32_e32 v4, s17, v12
	v_and_b32_e32 v9, s17, v13
	v_cmp_gt_u32_e64 s[0:1], s15, v11
	v_cmp_le_i16_e64 s[2:3], v9, v4
	v_cmp_ge_u32_e32 vcc, v20, v7
	s_and_b64 s[0:1], s[0:1], s[2:3]
	s_or_b64 vcc, vcc, s[0:1]
	v_cndmask_b32_e32 v4, v20, v11, vcc
	v_cndmask_b32_e32 v5, v7, v5, vcc
	v_add_u32_e32 v21, 1, v4
	v_add_u32_e32 v4, -1, v5
	v_min_u32_e32 v4, v21, v4
	v_lshlrev_b32_e32 v4, 1, v4
	ds_read_u16 v22, v4
	v_cndmask_b32_e64 v9, v15, v14, s[4:5]
	v_cndmask_b32_e32 v5, v12, v13, vcc
	v_cndmask_b32_e32 v14, v21, v20, vcc
	;; [unrolled: 1-line block ×3, first 2 shown]
	s_waitcnt lgkmcnt(0)
	v_cndmask_b32_e32 v12, v22, v12, vcc
	v_cndmask_b32_e32 v13, v13, v22, vcc
	v_cmp_ge_u32_e32 vcc, v14, v7
	v_cmp_gt_u32_e64 s[0:1], s15, v11
	v_and_b32_e32 v7, s17, v12
	v_and_b32_e32 v11, s17, v13
	v_cmp_le_i16_e64 s[2:3], v11, v7
	s_and_b64 s[0:1], s[0:1], s[2:3]
	s_or_b64 vcc, vcc, s[0:1]
	v_cndmask_b32_e64 v4, v17, v16, s[6:7]
	v_cndmask_b32_e64 v10, v19, v18, s[8:9]
	v_cndmask_b32_e32 v12, v12, v13, vcc
.LBB1910_29:
	s_or_b64 exec, exec, s[22:23]
	v_lshrrev_b32_e32 v7, 2, v0
	v_and_b32_e32 v7, 30, v7
	s_mov_b32 s2, 0x5040100
	v_add_lshl_u32 v6, v7, v6, 1
	v_perm_b32 v3, v9, v3, s2
	v_perm_b32 v2, v8, v2, s2
	s_barrier
	s_barrier
	ds_write2_b32 v6, v2, v3 offset1:1
	v_perm_b32 v2, v12, v5, s2
	v_perm_b32 v3, v10, v4, s2
	ds_write2_b32 v6, v3, v2 offset0:2 offset1:3
	v_lshrrev_b32_e32 v2, 4, v0
	v_and_b32_e32 v2, 4, v2
	v_or_b32_e32 v10, 0x80, v0
	v_add_u32_e32 v11, v1, v2
	v_lshrrev_b32_e32 v2, 4, v10
	v_and_b32_e32 v2, 12, v2
	v_or_b32_e32 v9, 0x100, v0
	v_add_u32_e32 v12, v1, v2
	;; [unrolled: 4-line block ×5, first 2 shown]
	v_lshrrev_b32_e32 v2, 4, v6
	v_and_b32_e32 v2, 44, v2
	v_or_b32_e32 v5, 0x300, v0
	s_mov_b32 s17, 0
	v_add_u32_e32 v16, v1, v2
	v_lshrrev_b32_e32 v2, 4, v5
	s_lshl_b64 s[0:1], s[16:17], 1
	v_and_b32_e32 v2, 52, v2
	v_or_b32_e32 v4, 0x380, v0
	s_add_u32 s0, s20, s0
	v_add_u32_e32 v17, v1, v2
	v_lshrrev_b32_e32 v2, 4, v4
	s_addc_u32 s1, s21, s1
	v_and_b32_e32 v2, 60, v2
	v_add_u32_e32 v18, v1, v2
	v_mov_b32_e32 v3, s1
	v_add_co_u32_e32 v2, vcc, s0, v1
	v_addc_co_u32_e32 v3, vcc, 0, v3, vcc
	s_and_b64 vcc, exec, s[18:19]
	s_waitcnt lgkmcnt(0)
	s_cbranch_vccz .LBB1910_31
; %bb.30:
	s_barrier
	ds_read_u16 v19, v11
	ds_read_u16 v20, v12 offset:256
	ds_read_u16 v21, v13 offset:512
	;; [unrolled: 1-line block ×7, first 2 shown]
	s_waitcnt lgkmcnt(7)
	global_store_short v[2:3], v19, off
	s_waitcnt lgkmcnt(6)
	global_store_short v[2:3], v20, off offset:256
	s_waitcnt lgkmcnt(5)
	global_store_short v[2:3], v21, off offset:512
	;; [unrolled: 2-line block ×6, first 2 shown]
	s_mov_b64 s[0:1], -1
	s_cbranch_execz .LBB1910_32
	s_branch .LBB1910_41
.LBB1910_31:
	s_mov_b64 s[0:1], 0
                                        ; implicit-def: $vgpr1
.LBB1910_32:
	s_barrier
	s_waitcnt lgkmcnt(0)
	ds_read_u16 v21, v12 offset:256
	ds_read_u16 v20, v13 offset:512
	;; [unrolled: 1-line block ×7, first 2 shown]
	s_sub_i32 s2, s14, s16
	v_cmp_gt_u32_e32 vcc, s2, v0
	s_and_saveexec_b64 s[0:1], vcc
	s_cbranch_execnz .LBB1910_46
; %bb.33:
	s_or_b64 exec, exec, s[0:1]
	v_cmp_gt_u32_e32 vcc, s2, v10
	s_and_saveexec_b64 s[0:1], vcc
	s_cbranch_execnz .LBB1910_47
.LBB1910_34:
	s_or_b64 exec, exec, s[0:1]
	v_cmp_gt_u32_e32 vcc, s2, v9
	s_and_saveexec_b64 s[0:1], vcc
	s_cbranch_execnz .LBB1910_48
.LBB1910_35:
	s_or_b64 exec, exec, s[0:1]
	v_cmp_gt_u32_e32 vcc, s2, v8
	s_and_saveexec_b64 s[0:1], vcc
	s_cbranch_execnz .LBB1910_49
.LBB1910_36:
	s_or_b64 exec, exec, s[0:1]
	v_cmp_gt_u32_e32 vcc, s2, v7
	s_and_saveexec_b64 s[0:1], vcc
	s_cbranch_execnz .LBB1910_50
.LBB1910_37:
	s_or_b64 exec, exec, s[0:1]
	v_cmp_gt_u32_e32 vcc, s2, v6
	s_and_saveexec_b64 s[0:1], vcc
	s_cbranch_execnz .LBB1910_51
.LBB1910_38:
	s_or_b64 exec, exec, s[0:1]
	v_cmp_gt_u32_e32 vcc, s2, v5
	s_and_saveexec_b64 s[0:1], vcc
	s_cbranch_execz .LBB1910_40
.LBB1910_39:
	s_waitcnt lgkmcnt(1)
	global_store_short v[2:3], v12, off offset:1536
.LBB1910_40:
	s_or_b64 exec, exec, s[0:1]
	v_cmp_gt_u32_e64 s[0:1], s2, v4
.LBB1910_41:
	s_and_saveexec_b64 s[2:3], s[0:1]
	s_cbranch_execz .LBB1910_43
; %bb.42:
	s_waitcnt lgkmcnt(0)
	global_store_short v[2:3], v1, off offset:1792
.LBB1910_43:
	s_endpgm
.LBB1910_44:
	v_mov_b32_e32 v2, s9
	v_add_co_u32_e32 v4, vcc, s8, v1
	v_mov_b32_e32 v3, 0
	s_waitcnt vmcnt(0)
	v_addc_co_u32_e32 v5, vcc, 0, v2, vcc
	v_subrev_u32_e32 v2, s15, v0
	v_lshlrev_b64 v[2:3], 1, v[2:3]
	v_mov_b32_e32 v7, s12
	v_add_co_u32_e32 v2, vcc, s11, v2
	v_addc_co_u32_e32 v3, vcc, v7, v3, vcc
	v_cmp_gt_u32_e32 vcc, s15, v0
	v_cndmask_b32_e32 v3, v3, v5, vcc
	v_cndmask_b32_e32 v2, v2, v4, vcc
	global_load_ushort v2, v[2:3], off
	s_or_b64 exec, exec, s[0:1]
	v_cmp_gt_u32_e32 vcc, s6, v8
	s_and_saveexec_b64 s[2:3], vcc
	s_cbranch_execz .LBB1910_6
.LBB1910_45:
	v_mov_b32_e32 v9, 0
	v_lshlrev_b64 v[12:13], 1, v[8:9]
	v_mov_b32_e32 v7, s9
	v_add_co_u32_e32 v10, vcc, s8, v12
	v_addc_co_u32_e32 v7, vcc, v7, v13, vcc
	v_cmp_gt_u32_e32 vcc, s15, v8
	v_subrev_u32_e32 v8, s15, v8
	v_lshlrev_b64 v[8:9], 1, v[8:9]
	v_mov_b32_e32 v12, s12
	v_add_co_u32_e64 v8, s[0:1], s11, v8
	v_addc_co_u32_e64 v9, s[0:1], v12, v9, s[0:1]
	v_cndmask_b32_e32 v9, v9, v7, vcc
	v_cndmask_b32_e32 v8, v8, v10, vcc
	global_load_ushort v7, v[8:9], off
	s_mov_b32 s0, 0x5040100
	s_waitcnt vmcnt(0)
	v_perm_b32 v2, v7, v2, s0
	s_or_b64 exec, exec, s[2:3]
	v_cmp_gt_u32_e32 vcc, s6, v6
	s_and_saveexec_b64 s[0:1], vcc
	s_cbranch_execnz .LBB1910_7
	s_branch .LBB1910_8
.LBB1910_46:
	ds_read_u16 v0, v11
	s_waitcnt lgkmcnt(0)
	global_store_short v[2:3], v0, off
	s_or_b64 exec, exec, s[0:1]
	v_cmp_gt_u32_e32 vcc, s2, v10
	s_and_saveexec_b64 s[0:1], vcc
	s_cbranch_execz .LBB1910_34
.LBB1910_47:
	s_waitcnt lgkmcnt(6)
	global_store_short v[2:3], v21, off offset:256
	s_or_b64 exec, exec, s[0:1]
	v_cmp_gt_u32_e32 vcc, s2, v9
	s_and_saveexec_b64 s[0:1], vcc
	s_cbranch_execz .LBB1910_35
.LBB1910_48:
	s_waitcnt lgkmcnt(5)
	global_store_short v[2:3], v20, off offset:512
	s_or_b64 exec, exec, s[0:1]
	v_cmp_gt_u32_e32 vcc, s2, v8
	s_and_saveexec_b64 s[0:1], vcc
	s_cbranch_execz .LBB1910_36
.LBB1910_49:
	s_waitcnt lgkmcnt(4)
	global_store_short v[2:3], v19, off offset:768
	s_or_b64 exec, exec, s[0:1]
	v_cmp_gt_u32_e32 vcc, s2, v7
	s_and_saveexec_b64 s[0:1], vcc
	s_cbranch_execz .LBB1910_37
.LBB1910_50:
	s_waitcnt lgkmcnt(3)
	global_store_short v[2:3], v14, off offset:1024
	s_or_b64 exec, exec, s[0:1]
	v_cmp_gt_u32_e32 vcc, s2, v6
	s_and_saveexec_b64 s[0:1], vcc
	s_cbranch_execz .LBB1910_38
.LBB1910_51:
	s_waitcnt lgkmcnt(2)
	global_store_short v[2:3], v13, off offset:1280
	s_or_b64 exec, exec, s[0:1]
	v_cmp_gt_u32_e32 vcc, s2, v5
	s_and_saveexec_b64 s[0:1], vcc
	s_cbranch_execnz .LBB1910_39
	s_branch .LBB1910_40
	.section	.rodata,"a",@progbits
	.p2align	6, 0x0
	.amdhsa_kernel _ZN7rocprim17ROCPRIM_400000_NS6detail17trampoline_kernelINS0_14default_configENS1_38merge_sort_block_merge_config_selectorIsNS0_10empty_typeEEEZZNS1_27merge_sort_block_merge_implIS3_N6thrust23THRUST_200600_302600_NS6detail15normal_iteratorINS9_10device_ptrIsEEEEPS5_jNS1_19radix_merge_compareILb0ELb1EsNS0_19identity_decomposerEEEEE10hipError_tT0_T1_T2_jT3_P12ihipStream_tbPNSt15iterator_traitsISK_E10value_typeEPNSQ_ISL_E10value_typeEPSM_NS1_7vsmem_tEENKUlT_SK_SL_SM_E_clISE_PsSF_SF_EESJ_SZ_SK_SL_SM_EUlSZ_E0_NS1_11comp_targetILNS1_3genE4ELNS1_11target_archE910ELNS1_3gpuE8ELNS1_3repE0EEENS1_38merge_mergepath_config_static_selectorELNS0_4arch9wavefront6targetE1EEEvSL_
		.amdhsa_group_segment_fixed_size 2112
		.amdhsa_private_segment_fixed_size 0
		.amdhsa_kernarg_size 320
		.amdhsa_user_sgpr_count 6
		.amdhsa_user_sgpr_private_segment_buffer 1
		.amdhsa_user_sgpr_dispatch_ptr 0
		.amdhsa_user_sgpr_queue_ptr 0
		.amdhsa_user_sgpr_kernarg_segment_ptr 1
		.amdhsa_user_sgpr_dispatch_id 0
		.amdhsa_user_sgpr_flat_scratch_init 0
		.amdhsa_user_sgpr_kernarg_preload_length 0
		.amdhsa_user_sgpr_kernarg_preload_offset 0
		.amdhsa_user_sgpr_private_segment_size 0
		.amdhsa_uses_dynamic_stack 0
		.amdhsa_system_sgpr_private_segment_wavefront_offset 0
		.amdhsa_system_sgpr_workgroup_id_x 1
		.amdhsa_system_sgpr_workgroup_id_y 1
		.amdhsa_system_sgpr_workgroup_id_z 1
		.amdhsa_system_sgpr_workgroup_info 0
		.amdhsa_system_vgpr_workitem_id 0
		.amdhsa_next_free_vgpr 26
		.amdhsa_next_free_sgpr 24
		.amdhsa_accum_offset 28
		.amdhsa_reserve_vcc 1
		.amdhsa_reserve_flat_scratch 0
		.amdhsa_float_round_mode_32 0
		.amdhsa_float_round_mode_16_64 0
		.amdhsa_float_denorm_mode_32 3
		.amdhsa_float_denorm_mode_16_64 3
		.amdhsa_dx10_clamp 1
		.amdhsa_ieee_mode 1
		.amdhsa_fp16_overflow 0
		.amdhsa_tg_split 0
		.amdhsa_exception_fp_ieee_invalid_op 0
		.amdhsa_exception_fp_denorm_src 0
		.amdhsa_exception_fp_ieee_div_zero 0
		.amdhsa_exception_fp_ieee_overflow 0
		.amdhsa_exception_fp_ieee_underflow 0
		.amdhsa_exception_fp_ieee_inexact 0
		.amdhsa_exception_int_div_zero 0
	.end_amdhsa_kernel
	.section	.text._ZN7rocprim17ROCPRIM_400000_NS6detail17trampoline_kernelINS0_14default_configENS1_38merge_sort_block_merge_config_selectorIsNS0_10empty_typeEEEZZNS1_27merge_sort_block_merge_implIS3_N6thrust23THRUST_200600_302600_NS6detail15normal_iteratorINS9_10device_ptrIsEEEEPS5_jNS1_19radix_merge_compareILb0ELb1EsNS0_19identity_decomposerEEEEE10hipError_tT0_T1_T2_jT3_P12ihipStream_tbPNSt15iterator_traitsISK_E10value_typeEPNSQ_ISL_E10value_typeEPSM_NS1_7vsmem_tEENKUlT_SK_SL_SM_E_clISE_PsSF_SF_EESJ_SZ_SK_SL_SM_EUlSZ_E0_NS1_11comp_targetILNS1_3genE4ELNS1_11target_archE910ELNS1_3gpuE8ELNS1_3repE0EEENS1_38merge_mergepath_config_static_selectorELNS0_4arch9wavefront6targetE1EEEvSL_,"axG",@progbits,_ZN7rocprim17ROCPRIM_400000_NS6detail17trampoline_kernelINS0_14default_configENS1_38merge_sort_block_merge_config_selectorIsNS0_10empty_typeEEEZZNS1_27merge_sort_block_merge_implIS3_N6thrust23THRUST_200600_302600_NS6detail15normal_iteratorINS9_10device_ptrIsEEEEPS5_jNS1_19radix_merge_compareILb0ELb1EsNS0_19identity_decomposerEEEEE10hipError_tT0_T1_T2_jT3_P12ihipStream_tbPNSt15iterator_traitsISK_E10value_typeEPNSQ_ISL_E10value_typeEPSM_NS1_7vsmem_tEENKUlT_SK_SL_SM_E_clISE_PsSF_SF_EESJ_SZ_SK_SL_SM_EUlSZ_E0_NS1_11comp_targetILNS1_3genE4ELNS1_11target_archE910ELNS1_3gpuE8ELNS1_3repE0EEENS1_38merge_mergepath_config_static_selectorELNS0_4arch9wavefront6targetE1EEEvSL_,comdat
.Lfunc_end1910:
	.size	_ZN7rocprim17ROCPRIM_400000_NS6detail17trampoline_kernelINS0_14default_configENS1_38merge_sort_block_merge_config_selectorIsNS0_10empty_typeEEEZZNS1_27merge_sort_block_merge_implIS3_N6thrust23THRUST_200600_302600_NS6detail15normal_iteratorINS9_10device_ptrIsEEEEPS5_jNS1_19radix_merge_compareILb0ELb1EsNS0_19identity_decomposerEEEEE10hipError_tT0_T1_T2_jT3_P12ihipStream_tbPNSt15iterator_traitsISK_E10value_typeEPNSQ_ISL_E10value_typeEPSM_NS1_7vsmem_tEENKUlT_SK_SL_SM_E_clISE_PsSF_SF_EESJ_SZ_SK_SL_SM_EUlSZ_E0_NS1_11comp_targetILNS1_3genE4ELNS1_11target_archE910ELNS1_3gpuE8ELNS1_3repE0EEENS1_38merge_mergepath_config_static_selectorELNS0_4arch9wavefront6targetE1EEEvSL_, .Lfunc_end1910-_ZN7rocprim17ROCPRIM_400000_NS6detail17trampoline_kernelINS0_14default_configENS1_38merge_sort_block_merge_config_selectorIsNS0_10empty_typeEEEZZNS1_27merge_sort_block_merge_implIS3_N6thrust23THRUST_200600_302600_NS6detail15normal_iteratorINS9_10device_ptrIsEEEEPS5_jNS1_19radix_merge_compareILb0ELb1EsNS0_19identity_decomposerEEEEE10hipError_tT0_T1_T2_jT3_P12ihipStream_tbPNSt15iterator_traitsISK_E10value_typeEPNSQ_ISL_E10value_typeEPSM_NS1_7vsmem_tEENKUlT_SK_SL_SM_E_clISE_PsSF_SF_EESJ_SZ_SK_SL_SM_EUlSZ_E0_NS1_11comp_targetILNS1_3genE4ELNS1_11target_archE910ELNS1_3gpuE8ELNS1_3repE0EEENS1_38merge_mergepath_config_static_selectorELNS0_4arch9wavefront6targetE1EEEvSL_
                                        ; -- End function
	.section	.AMDGPU.csdata,"",@progbits
; Kernel info:
; codeLenInByte = 3844
; NumSgprs: 28
; NumVgprs: 26
; NumAgprs: 0
; TotalNumVgprs: 26
; ScratchSize: 0
; MemoryBound: 0
; FloatMode: 240
; IeeeMode: 1
; LDSByteSize: 2112 bytes/workgroup (compile time only)
; SGPRBlocks: 3
; VGPRBlocks: 3
; NumSGPRsForWavesPerEU: 28
; NumVGPRsForWavesPerEU: 26
; AccumOffset: 28
; Occupancy: 8
; WaveLimiterHint : 1
; COMPUTE_PGM_RSRC2:SCRATCH_EN: 0
; COMPUTE_PGM_RSRC2:USER_SGPR: 6
; COMPUTE_PGM_RSRC2:TRAP_HANDLER: 0
; COMPUTE_PGM_RSRC2:TGID_X_EN: 1
; COMPUTE_PGM_RSRC2:TGID_Y_EN: 1
; COMPUTE_PGM_RSRC2:TGID_Z_EN: 1
; COMPUTE_PGM_RSRC2:TIDIG_COMP_CNT: 0
; COMPUTE_PGM_RSRC3_GFX90A:ACCUM_OFFSET: 6
; COMPUTE_PGM_RSRC3_GFX90A:TG_SPLIT: 0
	.section	.text._ZN7rocprim17ROCPRIM_400000_NS6detail17trampoline_kernelINS0_14default_configENS1_38merge_sort_block_merge_config_selectorIsNS0_10empty_typeEEEZZNS1_27merge_sort_block_merge_implIS3_N6thrust23THRUST_200600_302600_NS6detail15normal_iteratorINS9_10device_ptrIsEEEEPS5_jNS1_19radix_merge_compareILb0ELb1EsNS0_19identity_decomposerEEEEE10hipError_tT0_T1_T2_jT3_P12ihipStream_tbPNSt15iterator_traitsISK_E10value_typeEPNSQ_ISL_E10value_typeEPSM_NS1_7vsmem_tEENKUlT_SK_SL_SM_E_clISE_PsSF_SF_EESJ_SZ_SK_SL_SM_EUlSZ_E0_NS1_11comp_targetILNS1_3genE3ELNS1_11target_archE908ELNS1_3gpuE7ELNS1_3repE0EEENS1_38merge_mergepath_config_static_selectorELNS0_4arch9wavefront6targetE1EEEvSL_,"axG",@progbits,_ZN7rocprim17ROCPRIM_400000_NS6detail17trampoline_kernelINS0_14default_configENS1_38merge_sort_block_merge_config_selectorIsNS0_10empty_typeEEEZZNS1_27merge_sort_block_merge_implIS3_N6thrust23THRUST_200600_302600_NS6detail15normal_iteratorINS9_10device_ptrIsEEEEPS5_jNS1_19radix_merge_compareILb0ELb1EsNS0_19identity_decomposerEEEEE10hipError_tT0_T1_T2_jT3_P12ihipStream_tbPNSt15iterator_traitsISK_E10value_typeEPNSQ_ISL_E10value_typeEPSM_NS1_7vsmem_tEENKUlT_SK_SL_SM_E_clISE_PsSF_SF_EESJ_SZ_SK_SL_SM_EUlSZ_E0_NS1_11comp_targetILNS1_3genE3ELNS1_11target_archE908ELNS1_3gpuE7ELNS1_3repE0EEENS1_38merge_mergepath_config_static_selectorELNS0_4arch9wavefront6targetE1EEEvSL_,comdat
	.protected	_ZN7rocprim17ROCPRIM_400000_NS6detail17trampoline_kernelINS0_14default_configENS1_38merge_sort_block_merge_config_selectorIsNS0_10empty_typeEEEZZNS1_27merge_sort_block_merge_implIS3_N6thrust23THRUST_200600_302600_NS6detail15normal_iteratorINS9_10device_ptrIsEEEEPS5_jNS1_19radix_merge_compareILb0ELb1EsNS0_19identity_decomposerEEEEE10hipError_tT0_T1_T2_jT3_P12ihipStream_tbPNSt15iterator_traitsISK_E10value_typeEPNSQ_ISL_E10value_typeEPSM_NS1_7vsmem_tEENKUlT_SK_SL_SM_E_clISE_PsSF_SF_EESJ_SZ_SK_SL_SM_EUlSZ_E0_NS1_11comp_targetILNS1_3genE3ELNS1_11target_archE908ELNS1_3gpuE7ELNS1_3repE0EEENS1_38merge_mergepath_config_static_selectorELNS0_4arch9wavefront6targetE1EEEvSL_ ; -- Begin function _ZN7rocprim17ROCPRIM_400000_NS6detail17trampoline_kernelINS0_14default_configENS1_38merge_sort_block_merge_config_selectorIsNS0_10empty_typeEEEZZNS1_27merge_sort_block_merge_implIS3_N6thrust23THRUST_200600_302600_NS6detail15normal_iteratorINS9_10device_ptrIsEEEEPS5_jNS1_19radix_merge_compareILb0ELb1EsNS0_19identity_decomposerEEEEE10hipError_tT0_T1_T2_jT3_P12ihipStream_tbPNSt15iterator_traitsISK_E10value_typeEPNSQ_ISL_E10value_typeEPSM_NS1_7vsmem_tEENKUlT_SK_SL_SM_E_clISE_PsSF_SF_EESJ_SZ_SK_SL_SM_EUlSZ_E0_NS1_11comp_targetILNS1_3genE3ELNS1_11target_archE908ELNS1_3gpuE7ELNS1_3repE0EEENS1_38merge_mergepath_config_static_selectorELNS0_4arch9wavefront6targetE1EEEvSL_
	.globl	_ZN7rocprim17ROCPRIM_400000_NS6detail17trampoline_kernelINS0_14default_configENS1_38merge_sort_block_merge_config_selectorIsNS0_10empty_typeEEEZZNS1_27merge_sort_block_merge_implIS3_N6thrust23THRUST_200600_302600_NS6detail15normal_iteratorINS9_10device_ptrIsEEEEPS5_jNS1_19radix_merge_compareILb0ELb1EsNS0_19identity_decomposerEEEEE10hipError_tT0_T1_T2_jT3_P12ihipStream_tbPNSt15iterator_traitsISK_E10value_typeEPNSQ_ISL_E10value_typeEPSM_NS1_7vsmem_tEENKUlT_SK_SL_SM_E_clISE_PsSF_SF_EESJ_SZ_SK_SL_SM_EUlSZ_E0_NS1_11comp_targetILNS1_3genE3ELNS1_11target_archE908ELNS1_3gpuE7ELNS1_3repE0EEENS1_38merge_mergepath_config_static_selectorELNS0_4arch9wavefront6targetE1EEEvSL_
	.p2align	8
	.type	_ZN7rocprim17ROCPRIM_400000_NS6detail17trampoline_kernelINS0_14default_configENS1_38merge_sort_block_merge_config_selectorIsNS0_10empty_typeEEEZZNS1_27merge_sort_block_merge_implIS3_N6thrust23THRUST_200600_302600_NS6detail15normal_iteratorINS9_10device_ptrIsEEEEPS5_jNS1_19radix_merge_compareILb0ELb1EsNS0_19identity_decomposerEEEEE10hipError_tT0_T1_T2_jT3_P12ihipStream_tbPNSt15iterator_traitsISK_E10value_typeEPNSQ_ISL_E10value_typeEPSM_NS1_7vsmem_tEENKUlT_SK_SL_SM_E_clISE_PsSF_SF_EESJ_SZ_SK_SL_SM_EUlSZ_E0_NS1_11comp_targetILNS1_3genE3ELNS1_11target_archE908ELNS1_3gpuE7ELNS1_3repE0EEENS1_38merge_mergepath_config_static_selectorELNS0_4arch9wavefront6targetE1EEEvSL_,@function
_ZN7rocprim17ROCPRIM_400000_NS6detail17trampoline_kernelINS0_14default_configENS1_38merge_sort_block_merge_config_selectorIsNS0_10empty_typeEEEZZNS1_27merge_sort_block_merge_implIS3_N6thrust23THRUST_200600_302600_NS6detail15normal_iteratorINS9_10device_ptrIsEEEEPS5_jNS1_19radix_merge_compareILb0ELb1EsNS0_19identity_decomposerEEEEE10hipError_tT0_T1_T2_jT3_P12ihipStream_tbPNSt15iterator_traitsISK_E10value_typeEPNSQ_ISL_E10value_typeEPSM_NS1_7vsmem_tEENKUlT_SK_SL_SM_E_clISE_PsSF_SF_EESJ_SZ_SK_SL_SM_EUlSZ_E0_NS1_11comp_targetILNS1_3genE3ELNS1_11target_archE908ELNS1_3gpuE7ELNS1_3repE0EEENS1_38merge_mergepath_config_static_selectorELNS0_4arch9wavefront6targetE1EEEvSL_: ; @_ZN7rocprim17ROCPRIM_400000_NS6detail17trampoline_kernelINS0_14default_configENS1_38merge_sort_block_merge_config_selectorIsNS0_10empty_typeEEEZZNS1_27merge_sort_block_merge_implIS3_N6thrust23THRUST_200600_302600_NS6detail15normal_iteratorINS9_10device_ptrIsEEEEPS5_jNS1_19radix_merge_compareILb0ELb1EsNS0_19identity_decomposerEEEEE10hipError_tT0_T1_T2_jT3_P12ihipStream_tbPNSt15iterator_traitsISK_E10value_typeEPNSQ_ISL_E10value_typeEPSM_NS1_7vsmem_tEENKUlT_SK_SL_SM_E_clISE_PsSF_SF_EESJ_SZ_SK_SL_SM_EUlSZ_E0_NS1_11comp_targetILNS1_3genE3ELNS1_11target_archE908ELNS1_3gpuE7ELNS1_3repE0EEENS1_38merge_mergepath_config_static_selectorELNS0_4arch9wavefront6targetE1EEEvSL_
; %bb.0:
	.section	.rodata,"a",@progbits
	.p2align	6, 0x0
	.amdhsa_kernel _ZN7rocprim17ROCPRIM_400000_NS6detail17trampoline_kernelINS0_14default_configENS1_38merge_sort_block_merge_config_selectorIsNS0_10empty_typeEEEZZNS1_27merge_sort_block_merge_implIS3_N6thrust23THRUST_200600_302600_NS6detail15normal_iteratorINS9_10device_ptrIsEEEEPS5_jNS1_19radix_merge_compareILb0ELb1EsNS0_19identity_decomposerEEEEE10hipError_tT0_T1_T2_jT3_P12ihipStream_tbPNSt15iterator_traitsISK_E10value_typeEPNSQ_ISL_E10value_typeEPSM_NS1_7vsmem_tEENKUlT_SK_SL_SM_E_clISE_PsSF_SF_EESJ_SZ_SK_SL_SM_EUlSZ_E0_NS1_11comp_targetILNS1_3genE3ELNS1_11target_archE908ELNS1_3gpuE7ELNS1_3repE0EEENS1_38merge_mergepath_config_static_selectorELNS0_4arch9wavefront6targetE1EEEvSL_
		.amdhsa_group_segment_fixed_size 0
		.amdhsa_private_segment_fixed_size 0
		.amdhsa_kernarg_size 64
		.amdhsa_user_sgpr_count 6
		.amdhsa_user_sgpr_private_segment_buffer 1
		.amdhsa_user_sgpr_dispatch_ptr 0
		.amdhsa_user_sgpr_queue_ptr 0
		.amdhsa_user_sgpr_kernarg_segment_ptr 1
		.amdhsa_user_sgpr_dispatch_id 0
		.amdhsa_user_sgpr_flat_scratch_init 0
		.amdhsa_user_sgpr_kernarg_preload_length 0
		.amdhsa_user_sgpr_kernarg_preload_offset 0
		.amdhsa_user_sgpr_private_segment_size 0
		.amdhsa_uses_dynamic_stack 0
		.amdhsa_system_sgpr_private_segment_wavefront_offset 0
		.amdhsa_system_sgpr_workgroup_id_x 1
		.amdhsa_system_sgpr_workgroup_id_y 0
		.amdhsa_system_sgpr_workgroup_id_z 0
		.amdhsa_system_sgpr_workgroup_info 0
		.amdhsa_system_vgpr_workitem_id 0
		.amdhsa_next_free_vgpr 1
		.amdhsa_next_free_sgpr 0
		.amdhsa_accum_offset 4
		.amdhsa_reserve_vcc 0
		.amdhsa_reserve_flat_scratch 0
		.amdhsa_float_round_mode_32 0
		.amdhsa_float_round_mode_16_64 0
		.amdhsa_float_denorm_mode_32 3
		.amdhsa_float_denorm_mode_16_64 3
		.amdhsa_dx10_clamp 1
		.amdhsa_ieee_mode 1
		.amdhsa_fp16_overflow 0
		.amdhsa_tg_split 0
		.amdhsa_exception_fp_ieee_invalid_op 0
		.amdhsa_exception_fp_denorm_src 0
		.amdhsa_exception_fp_ieee_div_zero 0
		.amdhsa_exception_fp_ieee_overflow 0
		.amdhsa_exception_fp_ieee_underflow 0
		.amdhsa_exception_fp_ieee_inexact 0
		.amdhsa_exception_int_div_zero 0
	.end_amdhsa_kernel
	.section	.text._ZN7rocprim17ROCPRIM_400000_NS6detail17trampoline_kernelINS0_14default_configENS1_38merge_sort_block_merge_config_selectorIsNS0_10empty_typeEEEZZNS1_27merge_sort_block_merge_implIS3_N6thrust23THRUST_200600_302600_NS6detail15normal_iteratorINS9_10device_ptrIsEEEEPS5_jNS1_19radix_merge_compareILb0ELb1EsNS0_19identity_decomposerEEEEE10hipError_tT0_T1_T2_jT3_P12ihipStream_tbPNSt15iterator_traitsISK_E10value_typeEPNSQ_ISL_E10value_typeEPSM_NS1_7vsmem_tEENKUlT_SK_SL_SM_E_clISE_PsSF_SF_EESJ_SZ_SK_SL_SM_EUlSZ_E0_NS1_11comp_targetILNS1_3genE3ELNS1_11target_archE908ELNS1_3gpuE7ELNS1_3repE0EEENS1_38merge_mergepath_config_static_selectorELNS0_4arch9wavefront6targetE1EEEvSL_,"axG",@progbits,_ZN7rocprim17ROCPRIM_400000_NS6detail17trampoline_kernelINS0_14default_configENS1_38merge_sort_block_merge_config_selectorIsNS0_10empty_typeEEEZZNS1_27merge_sort_block_merge_implIS3_N6thrust23THRUST_200600_302600_NS6detail15normal_iteratorINS9_10device_ptrIsEEEEPS5_jNS1_19radix_merge_compareILb0ELb1EsNS0_19identity_decomposerEEEEE10hipError_tT0_T1_T2_jT3_P12ihipStream_tbPNSt15iterator_traitsISK_E10value_typeEPNSQ_ISL_E10value_typeEPSM_NS1_7vsmem_tEENKUlT_SK_SL_SM_E_clISE_PsSF_SF_EESJ_SZ_SK_SL_SM_EUlSZ_E0_NS1_11comp_targetILNS1_3genE3ELNS1_11target_archE908ELNS1_3gpuE7ELNS1_3repE0EEENS1_38merge_mergepath_config_static_selectorELNS0_4arch9wavefront6targetE1EEEvSL_,comdat
.Lfunc_end1911:
	.size	_ZN7rocprim17ROCPRIM_400000_NS6detail17trampoline_kernelINS0_14default_configENS1_38merge_sort_block_merge_config_selectorIsNS0_10empty_typeEEEZZNS1_27merge_sort_block_merge_implIS3_N6thrust23THRUST_200600_302600_NS6detail15normal_iteratorINS9_10device_ptrIsEEEEPS5_jNS1_19radix_merge_compareILb0ELb1EsNS0_19identity_decomposerEEEEE10hipError_tT0_T1_T2_jT3_P12ihipStream_tbPNSt15iterator_traitsISK_E10value_typeEPNSQ_ISL_E10value_typeEPSM_NS1_7vsmem_tEENKUlT_SK_SL_SM_E_clISE_PsSF_SF_EESJ_SZ_SK_SL_SM_EUlSZ_E0_NS1_11comp_targetILNS1_3genE3ELNS1_11target_archE908ELNS1_3gpuE7ELNS1_3repE0EEENS1_38merge_mergepath_config_static_selectorELNS0_4arch9wavefront6targetE1EEEvSL_, .Lfunc_end1911-_ZN7rocprim17ROCPRIM_400000_NS6detail17trampoline_kernelINS0_14default_configENS1_38merge_sort_block_merge_config_selectorIsNS0_10empty_typeEEEZZNS1_27merge_sort_block_merge_implIS3_N6thrust23THRUST_200600_302600_NS6detail15normal_iteratorINS9_10device_ptrIsEEEEPS5_jNS1_19radix_merge_compareILb0ELb1EsNS0_19identity_decomposerEEEEE10hipError_tT0_T1_T2_jT3_P12ihipStream_tbPNSt15iterator_traitsISK_E10value_typeEPNSQ_ISL_E10value_typeEPSM_NS1_7vsmem_tEENKUlT_SK_SL_SM_E_clISE_PsSF_SF_EESJ_SZ_SK_SL_SM_EUlSZ_E0_NS1_11comp_targetILNS1_3genE3ELNS1_11target_archE908ELNS1_3gpuE7ELNS1_3repE0EEENS1_38merge_mergepath_config_static_selectorELNS0_4arch9wavefront6targetE1EEEvSL_
                                        ; -- End function
	.section	.AMDGPU.csdata,"",@progbits
; Kernel info:
; codeLenInByte = 0
; NumSgprs: 4
; NumVgprs: 0
; NumAgprs: 0
; TotalNumVgprs: 0
; ScratchSize: 0
; MemoryBound: 0
; FloatMode: 240
; IeeeMode: 1
; LDSByteSize: 0 bytes/workgroup (compile time only)
; SGPRBlocks: 0
; VGPRBlocks: 0
; NumSGPRsForWavesPerEU: 4
; NumVGPRsForWavesPerEU: 1
; AccumOffset: 4
; Occupancy: 8
; WaveLimiterHint : 0
; COMPUTE_PGM_RSRC2:SCRATCH_EN: 0
; COMPUTE_PGM_RSRC2:USER_SGPR: 6
; COMPUTE_PGM_RSRC2:TRAP_HANDLER: 0
; COMPUTE_PGM_RSRC2:TGID_X_EN: 1
; COMPUTE_PGM_RSRC2:TGID_Y_EN: 0
; COMPUTE_PGM_RSRC2:TGID_Z_EN: 0
; COMPUTE_PGM_RSRC2:TIDIG_COMP_CNT: 0
; COMPUTE_PGM_RSRC3_GFX90A:ACCUM_OFFSET: 0
; COMPUTE_PGM_RSRC3_GFX90A:TG_SPLIT: 0
	.section	.text._ZN7rocprim17ROCPRIM_400000_NS6detail17trampoline_kernelINS0_14default_configENS1_38merge_sort_block_merge_config_selectorIsNS0_10empty_typeEEEZZNS1_27merge_sort_block_merge_implIS3_N6thrust23THRUST_200600_302600_NS6detail15normal_iteratorINS9_10device_ptrIsEEEEPS5_jNS1_19radix_merge_compareILb0ELb1EsNS0_19identity_decomposerEEEEE10hipError_tT0_T1_T2_jT3_P12ihipStream_tbPNSt15iterator_traitsISK_E10value_typeEPNSQ_ISL_E10value_typeEPSM_NS1_7vsmem_tEENKUlT_SK_SL_SM_E_clISE_PsSF_SF_EESJ_SZ_SK_SL_SM_EUlSZ_E0_NS1_11comp_targetILNS1_3genE2ELNS1_11target_archE906ELNS1_3gpuE6ELNS1_3repE0EEENS1_38merge_mergepath_config_static_selectorELNS0_4arch9wavefront6targetE1EEEvSL_,"axG",@progbits,_ZN7rocprim17ROCPRIM_400000_NS6detail17trampoline_kernelINS0_14default_configENS1_38merge_sort_block_merge_config_selectorIsNS0_10empty_typeEEEZZNS1_27merge_sort_block_merge_implIS3_N6thrust23THRUST_200600_302600_NS6detail15normal_iteratorINS9_10device_ptrIsEEEEPS5_jNS1_19radix_merge_compareILb0ELb1EsNS0_19identity_decomposerEEEEE10hipError_tT0_T1_T2_jT3_P12ihipStream_tbPNSt15iterator_traitsISK_E10value_typeEPNSQ_ISL_E10value_typeEPSM_NS1_7vsmem_tEENKUlT_SK_SL_SM_E_clISE_PsSF_SF_EESJ_SZ_SK_SL_SM_EUlSZ_E0_NS1_11comp_targetILNS1_3genE2ELNS1_11target_archE906ELNS1_3gpuE6ELNS1_3repE0EEENS1_38merge_mergepath_config_static_selectorELNS0_4arch9wavefront6targetE1EEEvSL_,comdat
	.protected	_ZN7rocprim17ROCPRIM_400000_NS6detail17trampoline_kernelINS0_14default_configENS1_38merge_sort_block_merge_config_selectorIsNS0_10empty_typeEEEZZNS1_27merge_sort_block_merge_implIS3_N6thrust23THRUST_200600_302600_NS6detail15normal_iteratorINS9_10device_ptrIsEEEEPS5_jNS1_19radix_merge_compareILb0ELb1EsNS0_19identity_decomposerEEEEE10hipError_tT0_T1_T2_jT3_P12ihipStream_tbPNSt15iterator_traitsISK_E10value_typeEPNSQ_ISL_E10value_typeEPSM_NS1_7vsmem_tEENKUlT_SK_SL_SM_E_clISE_PsSF_SF_EESJ_SZ_SK_SL_SM_EUlSZ_E0_NS1_11comp_targetILNS1_3genE2ELNS1_11target_archE906ELNS1_3gpuE6ELNS1_3repE0EEENS1_38merge_mergepath_config_static_selectorELNS0_4arch9wavefront6targetE1EEEvSL_ ; -- Begin function _ZN7rocprim17ROCPRIM_400000_NS6detail17trampoline_kernelINS0_14default_configENS1_38merge_sort_block_merge_config_selectorIsNS0_10empty_typeEEEZZNS1_27merge_sort_block_merge_implIS3_N6thrust23THRUST_200600_302600_NS6detail15normal_iteratorINS9_10device_ptrIsEEEEPS5_jNS1_19radix_merge_compareILb0ELb1EsNS0_19identity_decomposerEEEEE10hipError_tT0_T1_T2_jT3_P12ihipStream_tbPNSt15iterator_traitsISK_E10value_typeEPNSQ_ISL_E10value_typeEPSM_NS1_7vsmem_tEENKUlT_SK_SL_SM_E_clISE_PsSF_SF_EESJ_SZ_SK_SL_SM_EUlSZ_E0_NS1_11comp_targetILNS1_3genE2ELNS1_11target_archE906ELNS1_3gpuE6ELNS1_3repE0EEENS1_38merge_mergepath_config_static_selectorELNS0_4arch9wavefront6targetE1EEEvSL_
	.globl	_ZN7rocprim17ROCPRIM_400000_NS6detail17trampoline_kernelINS0_14default_configENS1_38merge_sort_block_merge_config_selectorIsNS0_10empty_typeEEEZZNS1_27merge_sort_block_merge_implIS3_N6thrust23THRUST_200600_302600_NS6detail15normal_iteratorINS9_10device_ptrIsEEEEPS5_jNS1_19radix_merge_compareILb0ELb1EsNS0_19identity_decomposerEEEEE10hipError_tT0_T1_T2_jT3_P12ihipStream_tbPNSt15iterator_traitsISK_E10value_typeEPNSQ_ISL_E10value_typeEPSM_NS1_7vsmem_tEENKUlT_SK_SL_SM_E_clISE_PsSF_SF_EESJ_SZ_SK_SL_SM_EUlSZ_E0_NS1_11comp_targetILNS1_3genE2ELNS1_11target_archE906ELNS1_3gpuE6ELNS1_3repE0EEENS1_38merge_mergepath_config_static_selectorELNS0_4arch9wavefront6targetE1EEEvSL_
	.p2align	8
	.type	_ZN7rocprim17ROCPRIM_400000_NS6detail17trampoline_kernelINS0_14default_configENS1_38merge_sort_block_merge_config_selectorIsNS0_10empty_typeEEEZZNS1_27merge_sort_block_merge_implIS3_N6thrust23THRUST_200600_302600_NS6detail15normal_iteratorINS9_10device_ptrIsEEEEPS5_jNS1_19radix_merge_compareILb0ELb1EsNS0_19identity_decomposerEEEEE10hipError_tT0_T1_T2_jT3_P12ihipStream_tbPNSt15iterator_traitsISK_E10value_typeEPNSQ_ISL_E10value_typeEPSM_NS1_7vsmem_tEENKUlT_SK_SL_SM_E_clISE_PsSF_SF_EESJ_SZ_SK_SL_SM_EUlSZ_E0_NS1_11comp_targetILNS1_3genE2ELNS1_11target_archE906ELNS1_3gpuE6ELNS1_3repE0EEENS1_38merge_mergepath_config_static_selectorELNS0_4arch9wavefront6targetE1EEEvSL_,@function
_ZN7rocprim17ROCPRIM_400000_NS6detail17trampoline_kernelINS0_14default_configENS1_38merge_sort_block_merge_config_selectorIsNS0_10empty_typeEEEZZNS1_27merge_sort_block_merge_implIS3_N6thrust23THRUST_200600_302600_NS6detail15normal_iteratorINS9_10device_ptrIsEEEEPS5_jNS1_19radix_merge_compareILb0ELb1EsNS0_19identity_decomposerEEEEE10hipError_tT0_T1_T2_jT3_P12ihipStream_tbPNSt15iterator_traitsISK_E10value_typeEPNSQ_ISL_E10value_typeEPSM_NS1_7vsmem_tEENKUlT_SK_SL_SM_E_clISE_PsSF_SF_EESJ_SZ_SK_SL_SM_EUlSZ_E0_NS1_11comp_targetILNS1_3genE2ELNS1_11target_archE906ELNS1_3gpuE6ELNS1_3repE0EEENS1_38merge_mergepath_config_static_selectorELNS0_4arch9wavefront6targetE1EEEvSL_: ; @_ZN7rocprim17ROCPRIM_400000_NS6detail17trampoline_kernelINS0_14default_configENS1_38merge_sort_block_merge_config_selectorIsNS0_10empty_typeEEEZZNS1_27merge_sort_block_merge_implIS3_N6thrust23THRUST_200600_302600_NS6detail15normal_iteratorINS9_10device_ptrIsEEEEPS5_jNS1_19radix_merge_compareILb0ELb1EsNS0_19identity_decomposerEEEEE10hipError_tT0_T1_T2_jT3_P12ihipStream_tbPNSt15iterator_traitsISK_E10value_typeEPNSQ_ISL_E10value_typeEPSM_NS1_7vsmem_tEENKUlT_SK_SL_SM_E_clISE_PsSF_SF_EESJ_SZ_SK_SL_SM_EUlSZ_E0_NS1_11comp_targetILNS1_3genE2ELNS1_11target_archE906ELNS1_3gpuE6ELNS1_3repE0EEENS1_38merge_mergepath_config_static_selectorELNS0_4arch9wavefront6targetE1EEEvSL_
; %bb.0:
	.section	.rodata,"a",@progbits
	.p2align	6, 0x0
	.amdhsa_kernel _ZN7rocprim17ROCPRIM_400000_NS6detail17trampoline_kernelINS0_14default_configENS1_38merge_sort_block_merge_config_selectorIsNS0_10empty_typeEEEZZNS1_27merge_sort_block_merge_implIS3_N6thrust23THRUST_200600_302600_NS6detail15normal_iteratorINS9_10device_ptrIsEEEEPS5_jNS1_19radix_merge_compareILb0ELb1EsNS0_19identity_decomposerEEEEE10hipError_tT0_T1_T2_jT3_P12ihipStream_tbPNSt15iterator_traitsISK_E10value_typeEPNSQ_ISL_E10value_typeEPSM_NS1_7vsmem_tEENKUlT_SK_SL_SM_E_clISE_PsSF_SF_EESJ_SZ_SK_SL_SM_EUlSZ_E0_NS1_11comp_targetILNS1_3genE2ELNS1_11target_archE906ELNS1_3gpuE6ELNS1_3repE0EEENS1_38merge_mergepath_config_static_selectorELNS0_4arch9wavefront6targetE1EEEvSL_
		.amdhsa_group_segment_fixed_size 0
		.amdhsa_private_segment_fixed_size 0
		.amdhsa_kernarg_size 64
		.amdhsa_user_sgpr_count 6
		.amdhsa_user_sgpr_private_segment_buffer 1
		.amdhsa_user_sgpr_dispatch_ptr 0
		.amdhsa_user_sgpr_queue_ptr 0
		.amdhsa_user_sgpr_kernarg_segment_ptr 1
		.amdhsa_user_sgpr_dispatch_id 0
		.amdhsa_user_sgpr_flat_scratch_init 0
		.amdhsa_user_sgpr_kernarg_preload_length 0
		.amdhsa_user_sgpr_kernarg_preload_offset 0
		.amdhsa_user_sgpr_private_segment_size 0
		.amdhsa_uses_dynamic_stack 0
		.amdhsa_system_sgpr_private_segment_wavefront_offset 0
		.amdhsa_system_sgpr_workgroup_id_x 1
		.amdhsa_system_sgpr_workgroup_id_y 0
		.amdhsa_system_sgpr_workgroup_id_z 0
		.amdhsa_system_sgpr_workgroup_info 0
		.amdhsa_system_vgpr_workitem_id 0
		.amdhsa_next_free_vgpr 1
		.amdhsa_next_free_sgpr 0
		.amdhsa_accum_offset 4
		.amdhsa_reserve_vcc 0
		.amdhsa_reserve_flat_scratch 0
		.amdhsa_float_round_mode_32 0
		.amdhsa_float_round_mode_16_64 0
		.amdhsa_float_denorm_mode_32 3
		.amdhsa_float_denorm_mode_16_64 3
		.amdhsa_dx10_clamp 1
		.amdhsa_ieee_mode 1
		.amdhsa_fp16_overflow 0
		.amdhsa_tg_split 0
		.amdhsa_exception_fp_ieee_invalid_op 0
		.amdhsa_exception_fp_denorm_src 0
		.amdhsa_exception_fp_ieee_div_zero 0
		.amdhsa_exception_fp_ieee_overflow 0
		.amdhsa_exception_fp_ieee_underflow 0
		.amdhsa_exception_fp_ieee_inexact 0
		.amdhsa_exception_int_div_zero 0
	.end_amdhsa_kernel
	.section	.text._ZN7rocprim17ROCPRIM_400000_NS6detail17trampoline_kernelINS0_14default_configENS1_38merge_sort_block_merge_config_selectorIsNS0_10empty_typeEEEZZNS1_27merge_sort_block_merge_implIS3_N6thrust23THRUST_200600_302600_NS6detail15normal_iteratorINS9_10device_ptrIsEEEEPS5_jNS1_19radix_merge_compareILb0ELb1EsNS0_19identity_decomposerEEEEE10hipError_tT0_T1_T2_jT3_P12ihipStream_tbPNSt15iterator_traitsISK_E10value_typeEPNSQ_ISL_E10value_typeEPSM_NS1_7vsmem_tEENKUlT_SK_SL_SM_E_clISE_PsSF_SF_EESJ_SZ_SK_SL_SM_EUlSZ_E0_NS1_11comp_targetILNS1_3genE2ELNS1_11target_archE906ELNS1_3gpuE6ELNS1_3repE0EEENS1_38merge_mergepath_config_static_selectorELNS0_4arch9wavefront6targetE1EEEvSL_,"axG",@progbits,_ZN7rocprim17ROCPRIM_400000_NS6detail17trampoline_kernelINS0_14default_configENS1_38merge_sort_block_merge_config_selectorIsNS0_10empty_typeEEEZZNS1_27merge_sort_block_merge_implIS3_N6thrust23THRUST_200600_302600_NS6detail15normal_iteratorINS9_10device_ptrIsEEEEPS5_jNS1_19radix_merge_compareILb0ELb1EsNS0_19identity_decomposerEEEEE10hipError_tT0_T1_T2_jT3_P12ihipStream_tbPNSt15iterator_traitsISK_E10value_typeEPNSQ_ISL_E10value_typeEPSM_NS1_7vsmem_tEENKUlT_SK_SL_SM_E_clISE_PsSF_SF_EESJ_SZ_SK_SL_SM_EUlSZ_E0_NS1_11comp_targetILNS1_3genE2ELNS1_11target_archE906ELNS1_3gpuE6ELNS1_3repE0EEENS1_38merge_mergepath_config_static_selectorELNS0_4arch9wavefront6targetE1EEEvSL_,comdat
.Lfunc_end1912:
	.size	_ZN7rocprim17ROCPRIM_400000_NS6detail17trampoline_kernelINS0_14default_configENS1_38merge_sort_block_merge_config_selectorIsNS0_10empty_typeEEEZZNS1_27merge_sort_block_merge_implIS3_N6thrust23THRUST_200600_302600_NS6detail15normal_iteratorINS9_10device_ptrIsEEEEPS5_jNS1_19radix_merge_compareILb0ELb1EsNS0_19identity_decomposerEEEEE10hipError_tT0_T1_T2_jT3_P12ihipStream_tbPNSt15iterator_traitsISK_E10value_typeEPNSQ_ISL_E10value_typeEPSM_NS1_7vsmem_tEENKUlT_SK_SL_SM_E_clISE_PsSF_SF_EESJ_SZ_SK_SL_SM_EUlSZ_E0_NS1_11comp_targetILNS1_3genE2ELNS1_11target_archE906ELNS1_3gpuE6ELNS1_3repE0EEENS1_38merge_mergepath_config_static_selectorELNS0_4arch9wavefront6targetE1EEEvSL_, .Lfunc_end1912-_ZN7rocprim17ROCPRIM_400000_NS6detail17trampoline_kernelINS0_14default_configENS1_38merge_sort_block_merge_config_selectorIsNS0_10empty_typeEEEZZNS1_27merge_sort_block_merge_implIS3_N6thrust23THRUST_200600_302600_NS6detail15normal_iteratorINS9_10device_ptrIsEEEEPS5_jNS1_19radix_merge_compareILb0ELb1EsNS0_19identity_decomposerEEEEE10hipError_tT0_T1_T2_jT3_P12ihipStream_tbPNSt15iterator_traitsISK_E10value_typeEPNSQ_ISL_E10value_typeEPSM_NS1_7vsmem_tEENKUlT_SK_SL_SM_E_clISE_PsSF_SF_EESJ_SZ_SK_SL_SM_EUlSZ_E0_NS1_11comp_targetILNS1_3genE2ELNS1_11target_archE906ELNS1_3gpuE6ELNS1_3repE0EEENS1_38merge_mergepath_config_static_selectorELNS0_4arch9wavefront6targetE1EEEvSL_
                                        ; -- End function
	.section	.AMDGPU.csdata,"",@progbits
; Kernel info:
; codeLenInByte = 0
; NumSgprs: 4
; NumVgprs: 0
; NumAgprs: 0
; TotalNumVgprs: 0
; ScratchSize: 0
; MemoryBound: 0
; FloatMode: 240
; IeeeMode: 1
; LDSByteSize: 0 bytes/workgroup (compile time only)
; SGPRBlocks: 0
; VGPRBlocks: 0
; NumSGPRsForWavesPerEU: 4
; NumVGPRsForWavesPerEU: 1
; AccumOffset: 4
; Occupancy: 8
; WaveLimiterHint : 0
; COMPUTE_PGM_RSRC2:SCRATCH_EN: 0
; COMPUTE_PGM_RSRC2:USER_SGPR: 6
; COMPUTE_PGM_RSRC2:TRAP_HANDLER: 0
; COMPUTE_PGM_RSRC2:TGID_X_EN: 1
; COMPUTE_PGM_RSRC2:TGID_Y_EN: 0
; COMPUTE_PGM_RSRC2:TGID_Z_EN: 0
; COMPUTE_PGM_RSRC2:TIDIG_COMP_CNT: 0
; COMPUTE_PGM_RSRC3_GFX90A:ACCUM_OFFSET: 0
; COMPUTE_PGM_RSRC3_GFX90A:TG_SPLIT: 0
	.section	.text._ZN7rocprim17ROCPRIM_400000_NS6detail17trampoline_kernelINS0_14default_configENS1_38merge_sort_block_merge_config_selectorIsNS0_10empty_typeEEEZZNS1_27merge_sort_block_merge_implIS3_N6thrust23THRUST_200600_302600_NS6detail15normal_iteratorINS9_10device_ptrIsEEEEPS5_jNS1_19radix_merge_compareILb0ELb1EsNS0_19identity_decomposerEEEEE10hipError_tT0_T1_T2_jT3_P12ihipStream_tbPNSt15iterator_traitsISK_E10value_typeEPNSQ_ISL_E10value_typeEPSM_NS1_7vsmem_tEENKUlT_SK_SL_SM_E_clISE_PsSF_SF_EESJ_SZ_SK_SL_SM_EUlSZ_E0_NS1_11comp_targetILNS1_3genE9ELNS1_11target_archE1100ELNS1_3gpuE3ELNS1_3repE0EEENS1_38merge_mergepath_config_static_selectorELNS0_4arch9wavefront6targetE1EEEvSL_,"axG",@progbits,_ZN7rocprim17ROCPRIM_400000_NS6detail17trampoline_kernelINS0_14default_configENS1_38merge_sort_block_merge_config_selectorIsNS0_10empty_typeEEEZZNS1_27merge_sort_block_merge_implIS3_N6thrust23THRUST_200600_302600_NS6detail15normal_iteratorINS9_10device_ptrIsEEEEPS5_jNS1_19radix_merge_compareILb0ELb1EsNS0_19identity_decomposerEEEEE10hipError_tT0_T1_T2_jT3_P12ihipStream_tbPNSt15iterator_traitsISK_E10value_typeEPNSQ_ISL_E10value_typeEPSM_NS1_7vsmem_tEENKUlT_SK_SL_SM_E_clISE_PsSF_SF_EESJ_SZ_SK_SL_SM_EUlSZ_E0_NS1_11comp_targetILNS1_3genE9ELNS1_11target_archE1100ELNS1_3gpuE3ELNS1_3repE0EEENS1_38merge_mergepath_config_static_selectorELNS0_4arch9wavefront6targetE1EEEvSL_,comdat
	.protected	_ZN7rocprim17ROCPRIM_400000_NS6detail17trampoline_kernelINS0_14default_configENS1_38merge_sort_block_merge_config_selectorIsNS0_10empty_typeEEEZZNS1_27merge_sort_block_merge_implIS3_N6thrust23THRUST_200600_302600_NS6detail15normal_iteratorINS9_10device_ptrIsEEEEPS5_jNS1_19radix_merge_compareILb0ELb1EsNS0_19identity_decomposerEEEEE10hipError_tT0_T1_T2_jT3_P12ihipStream_tbPNSt15iterator_traitsISK_E10value_typeEPNSQ_ISL_E10value_typeEPSM_NS1_7vsmem_tEENKUlT_SK_SL_SM_E_clISE_PsSF_SF_EESJ_SZ_SK_SL_SM_EUlSZ_E0_NS1_11comp_targetILNS1_3genE9ELNS1_11target_archE1100ELNS1_3gpuE3ELNS1_3repE0EEENS1_38merge_mergepath_config_static_selectorELNS0_4arch9wavefront6targetE1EEEvSL_ ; -- Begin function _ZN7rocprim17ROCPRIM_400000_NS6detail17trampoline_kernelINS0_14default_configENS1_38merge_sort_block_merge_config_selectorIsNS0_10empty_typeEEEZZNS1_27merge_sort_block_merge_implIS3_N6thrust23THRUST_200600_302600_NS6detail15normal_iteratorINS9_10device_ptrIsEEEEPS5_jNS1_19radix_merge_compareILb0ELb1EsNS0_19identity_decomposerEEEEE10hipError_tT0_T1_T2_jT3_P12ihipStream_tbPNSt15iterator_traitsISK_E10value_typeEPNSQ_ISL_E10value_typeEPSM_NS1_7vsmem_tEENKUlT_SK_SL_SM_E_clISE_PsSF_SF_EESJ_SZ_SK_SL_SM_EUlSZ_E0_NS1_11comp_targetILNS1_3genE9ELNS1_11target_archE1100ELNS1_3gpuE3ELNS1_3repE0EEENS1_38merge_mergepath_config_static_selectorELNS0_4arch9wavefront6targetE1EEEvSL_
	.globl	_ZN7rocprim17ROCPRIM_400000_NS6detail17trampoline_kernelINS0_14default_configENS1_38merge_sort_block_merge_config_selectorIsNS0_10empty_typeEEEZZNS1_27merge_sort_block_merge_implIS3_N6thrust23THRUST_200600_302600_NS6detail15normal_iteratorINS9_10device_ptrIsEEEEPS5_jNS1_19radix_merge_compareILb0ELb1EsNS0_19identity_decomposerEEEEE10hipError_tT0_T1_T2_jT3_P12ihipStream_tbPNSt15iterator_traitsISK_E10value_typeEPNSQ_ISL_E10value_typeEPSM_NS1_7vsmem_tEENKUlT_SK_SL_SM_E_clISE_PsSF_SF_EESJ_SZ_SK_SL_SM_EUlSZ_E0_NS1_11comp_targetILNS1_3genE9ELNS1_11target_archE1100ELNS1_3gpuE3ELNS1_3repE0EEENS1_38merge_mergepath_config_static_selectorELNS0_4arch9wavefront6targetE1EEEvSL_
	.p2align	8
	.type	_ZN7rocprim17ROCPRIM_400000_NS6detail17trampoline_kernelINS0_14default_configENS1_38merge_sort_block_merge_config_selectorIsNS0_10empty_typeEEEZZNS1_27merge_sort_block_merge_implIS3_N6thrust23THRUST_200600_302600_NS6detail15normal_iteratorINS9_10device_ptrIsEEEEPS5_jNS1_19radix_merge_compareILb0ELb1EsNS0_19identity_decomposerEEEEE10hipError_tT0_T1_T2_jT3_P12ihipStream_tbPNSt15iterator_traitsISK_E10value_typeEPNSQ_ISL_E10value_typeEPSM_NS1_7vsmem_tEENKUlT_SK_SL_SM_E_clISE_PsSF_SF_EESJ_SZ_SK_SL_SM_EUlSZ_E0_NS1_11comp_targetILNS1_3genE9ELNS1_11target_archE1100ELNS1_3gpuE3ELNS1_3repE0EEENS1_38merge_mergepath_config_static_selectorELNS0_4arch9wavefront6targetE1EEEvSL_,@function
_ZN7rocprim17ROCPRIM_400000_NS6detail17trampoline_kernelINS0_14default_configENS1_38merge_sort_block_merge_config_selectorIsNS0_10empty_typeEEEZZNS1_27merge_sort_block_merge_implIS3_N6thrust23THRUST_200600_302600_NS6detail15normal_iteratorINS9_10device_ptrIsEEEEPS5_jNS1_19radix_merge_compareILb0ELb1EsNS0_19identity_decomposerEEEEE10hipError_tT0_T1_T2_jT3_P12ihipStream_tbPNSt15iterator_traitsISK_E10value_typeEPNSQ_ISL_E10value_typeEPSM_NS1_7vsmem_tEENKUlT_SK_SL_SM_E_clISE_PsSF_SF_EESJ_SZ_SK_SL_SM_EUlSZ_E0_NS1_11comp_targetILNS1_3genE9ELNS1_11target_archE1100ELNS1_3gpuE3ELNS1_3repE0EEENS1_38merge_mergepath_config_static_selectorELNS0_4arch9wavefront6targetE1EEEvSL_: ; @_ZN7rocprim17ROCPRIM_400000_NS6detail17trampoline_kernelINS0_14default_configENS1_38merge_sort_block_merge_config_selectorIsNS0_10empty_typeEEEZZNS1_27merge_sort_block_merge_implIS3_N6thrust23THRUST_200600_302600_NS6detail15normal_iteratorINS9_10device_ptrIsEEEEPS5_jNS1_19radix_merge_compareILb0ELb1EsNS0_19identity_decomposerEEEEE10hipError_tT0_T1_T2_jT3_P12ihipStream_tbPNSt15iterator_traitsISK_E10value_typeEPNSQ_ISL_E10value_typeEPSM_NS1_7vsmem_tEENKUlT_SK_SL_SM_E_clISE_PsSF_SF_EESJ_SZ_SK_SL_SM_EUlSZ_E0_NS1_11comp_targetILNS1_3genE9ELNS1_11target_archE1100ELNS1_3gpuE3ELNS1_3repE0EEENS1_38merge_mergepath_config_static_selectorELNS0_4arch9wavefront6targetE1EEEvSL_
; %bb.0:
	.section	.rodata,"a",@progbits
	.p2align	6, 0x0
	.amdhsa_kernel _ZN7rocprim17ROCPRIM_400000_NS6detail17trampoline_kernelINS0_14default_configENS1_38merge_sort_block_merge_config_selectorIsNS0_10empty_typeEEEZZNS1_27merge_sort_block_merge_implIS3_N6thrust23THRUST_200600_302600_NS6detail15normal_iteratorINS9_10device_ptrIsEEEEPS5_jNS1_19radix_merge_compareILb0ELb1EsNS0_19identity_decomposerEEEEE10hipError_tT0_T1_T2_jT3_P12ihipStream_tbPNSt15iterator_traitsISK_E10value_typeEPNSQ_ISL_E10value_typeEPSM_NS1_7vsmem_tEENKUlT_SK_SL_SM_E_clISE_PsSF_SF_EESJ_SZ_SK_SL_SM_EUlSZ_E0_NS1_11comp_targetILNS1_3genE9ELNS1_11target_archE1100ELNS1_3gpuE3ELNS1_3repE0EEENS1_38merge_mergepath_config_static_selectorELNS0_4arch9wavefront6targetE1EEEvSL_
		.amdhsa_group_segment_fixed_size 0
		.amdhsa_private_segment_fixed_size 0
		.amdhsa_kernarg_size 64
		.amdhsa_user_sgpr_count 6
		.amdhsa_user_sgpr_private_segment_buffer 1
		.amdhsa_user_sgpr_dispatch_ptr 0
		.amdhsa_user_sgpr_queue_ptr 0
		.amdhsa_user_sgpr_kernarg_segment_ptr 1
		.amdhsa_user_sgpr_dispatch_id 0
		.amdhsa_user_sgpr_flat_scratch_init 0
		.amdhsa_user_sgpr_kernarg_preload_length 0
		.amdhsa_user_sgpr_kernarg_preload_offset 0
		.amdhsa_user_sgpr_private_segment_size 0
		.amdhsa_uses_dynamic_stack 0
		.amdhsa_system_sgpr_private_segment_wavefront_offset 0
		.amdhsa_system_sgpr_workgroup_id_x 1
		.amdhsa_system_sgpr_workgroup_id_y 0
		.amdhsa_system_sgpr_workgroup_id_z 0
		.amdhsa_system_sgpr_workgroup_info 0
		.amdhsa_system_vgpr_workitem_id 0
		.amdhsa_next_free_vgpr 1
		.amdhsa_next_free_sgpr 0
		.amdhsa_accum_offset 4
		.amdhsa_reserve_vcc 0
		.amdhsa_reserve_flat_scratch 0
		.amdhsa_float_round_mode_32 0
		.amdhsa_float_round_mode_16_64 0
		.amdhsa_float_denorm_mode_32 3
		.amdhsa_float_denorm_mode_16_64 3
		.amdhsa_dx10_clamp 1
		.amdhsa_ieee_mode 1
		.amdhsa_fp16_overflow 0
		.amdhsa_tg_split 0
		.amdhsa_exception_fp_ieee_invalid_op 0
		.amdhsa_exception_fp_denorm_src 0
		.amdhsa_exception_fp_ieee_div_zero 0
		.amdhsa_exception_fp_ieee_overflow 0
		.amdhsa_exception_fp_ieee_underflow 0
		.amdhsa_exception_fp_ieee_inexact 0
		.amdhsa_exception_int_div_zero 0
	.end_amdhsa_kernel
	.section	.text._ZN7rocprim17ROCPRIM_400000_NS6detail17trampoline_kernelINS0_14default_configENS1_38merge_sort_block_merge_config_selectorIsNS0_10empty_typeEEEZZNS1_27merge_sort_block_merge_implIS3_N6thrust23THRUST_200600_302600_NS6detail15normal_iteratorINS9_10device_ptrIsEEEEPS5_jNS1_19radix_merge_compareILb0ELb1EsNS0_19identity_decomposerEEEEE10hipError_tT0_T1_T2_jT3_P12ihipStream_tbPNSt15iterator_traitsISK_E10value_typeEPNSQ_ISL_E10value_typeEPSM_NS1_7vsmem_tEENKUlT_SK_SL_SM_E_clISE_PsSF_SF_EESJ_SZ_SK_SL_SM_EUlSZ_E0_NS1_11comp_targetILNS1_3genE9ELNS1_11target_archE1100ELNS1_3gpuE3ELNS1_3repE0EEENS1_38merge_mergepath_config_static_selectorELNS0_4arch9wavefront6targetE1EEEvSL_,"axG",@progbits,_ZN7rocprim17ROCPRIM_400000_NS6detail17trampoline_kernelINS0_14default_configENS1_38merge_sort_block_merge_config_selectorIsNS0_10empty_typeEEEZZNS1_27merge_sort_block_merge_implIS3_N6thrust23THRUST_200600_302600_NS6detail15normal_iteratorINS9_10device_ptrIsEEEEPS5_jNS1_19radix_merge_compareILb0ELb1EsNS0_19identity_decomposerEEEEE10hipError_tT0_T1_T2_jT3_P12ihipStream_tbPNSt15iterator_traitsISK_E10value_typeEPNSQ_ISL_E10value_typeEPSM_NS1_7vsmem_tEENKUlT_SK_SL_SM_E_clISE_PsSF_SF_EESJ_SZ_SK_SL_SM_EUlSZ_E0_NS1_11comp_targetILNS1_3genE9ELNS1_11target_archE1100ELNS1_3gpuE3ELNS1_3repE0EEENS1_38merge_mergepath_config_static_selectorELNS0_4arch9wavefront6targetE1EEEvSL_,comdat
.Lfunc_end1913:
	.size	_ZN7rocprim17ROCPRIM_400000_NS6detail17trampoline_kernelINS0_14default_configENS1_38merge_sort_block_merge_config_selectorIsNS0_10empty_typeEEEZZNS1_27merge_sort_block_merge_implIS3_N6thrust23THRUST_200600_302600_NS6detail15normal_iteratorINS9_10device_ptrIsEEEEPS5_jNS1_19radix_merge_compareILb0ELb1EsNS0_19identity_decomposerEEEEE10hipError_tT0_T1_T2_jT3_P12ihipStream_tbPNSt15iterator_traitsISK_E10value_typeEPNSQ_ISL_E10value_typeEPSM_NS1_7vsmem_tEENKUlT_SK_SL_SM_E_clISE_PsSF_SF_EESJ_SZ_SK_SL_SM_EUlSZ_E0_NS1_11comp_targetILNS1_3genE9ELNS1_11target_archE1100ELNS1_3gpuE3ELNS1_3repE0EEENS1_38merge_mergepath_config_static_selectorELNS0_4arch9wavefront6targetE1EEEvSL_, .Lfunc_end1913-_ZN7rocprim17ROCPRIM_400000_NS6detail17trampoline_kernelINS0_14default_configENS1_38merge_sort_block_merge_config_selectorIsNS0_10empty_typeEEEZZNS1_27merge_sort_block_merge_implIS3_N6thrust23THRUST_200600_302600_NS6detail15normal_iteratorINS9_10device_ptrIsEEEEPS5_jNS1_19radix_merge_compareILb0ELb1EsNS0_19identity_decomposerEEEEE10hipError_tT0_T1_T2_jT3_P12ihipStream_tbPNSt15iterator_traitsISK_E10value_typeEPNSQ_ISL_E10value_typeEPSM_NS1_7vsmem_tEENKUlT_SK_SL_SM_E_clISE_PsSF_SF_EESJ_SZ_SK_SL_SM_EUlSZ_E0_NS1_11comp_targetILNS1_3genE9ELNS1_11target_archE1100ELNS1_3gpuE3ELNS1_3repE0EEENS1_38merge_mergepath_config_static_selectorELNS0_4arch9wavefront6targetE1EEEvSL_
                                        ; -- End function
	.section	.AMDGPU.csdata,"",@progbits
; Kernel info:
; codeLenInByte = 0
; NumSgprs: 4
; NumVgprs: 0
; NumAgprs: 0
; TotalNumVgprs: 0
; ScratchSize: 0
; MemoryBound: 0
; FloatMode: 240
; IeeeMode: 1
; LDSByteSize: 0 bytes/workgroup (compile time only)
; SGPRBlocks: 0
; VGPRBlocks: 0
; NumSGPRsForWavesPerEU: 4
; NumVGPRsForWavesPerEU: 1
; AccumOffset: 4
; Occupancy: 8
; WaveLimiterHint : 0
; COMPUTE_PGM_RSRC2:SCRATCH_EN: 0
; COMPUTE_PGM_RSRC2:USER_SGPR: 6
; COMPUTE_PGM_RSRC2:TRAP_HANDLER: 0
; COMPUTE_PGM_RSRC2:TGID_X_EN: 1
; COMPUTE_PGM_RSRC2:TGID_Y_EN: 0
; COMPUTE_PGM_RSRC2:TGID_Z_EN: 0
; COMPUTE_PGM_RSRC2:TIDIG_COMP_CNT: 0
; COMPUTE_PGM_RSRC3_GFX90A:ACCUM_OFFSET: 0
; COMPUTE_PGM_RSRC3_GFX90A:TG_SPLIT: 0
	.section	.text._ZN7rocprim17ROCPRIM_400000_NS6detail17trampoline_kernelINS0_14default_configENS1_38merge_sort_block_merge_config_selectorIsNS0_10empty_typeEEEZZNS1_27merge_sort_block_merge_implIS3_N6thrust23THRUST_200600_302600_NS6detail15normal_iteratorINS9_10device_ptrIsEEEEPS5_jNS1_19radix_merge_compareILb0ELb1EsNS0_19identity_decomposerEEEEE10hipError_tT0_T1_T2_jT3_P12ihipStream_tbPNSt15iterator_traitsISK_E10value_typeEPNSQ_ISL_E10value_typeEPSM_NS1_7vsmem_tEENKUlT_SK_SL_SM_E_clISE_PsSF_SF_EESJ_SZ_SK_SL_SM_EUlSZ_E0_NS1_11comp_targetILNS1_3genE8ELNS1_11target_archE1030ELNS1_3gpuE2ELNS1_3repE0EEENS1_38merge_mergepath_config_static_selectorELNS0_4arch9wavefront6targetE1EEEvSL_,"axG",@progbits,_ZN7rocprim17ROCPRIM_400000_NS6detail17trampoline_kernelINS0_14default_configENS1_38merge_sort_block_merge_config_selectorIsNS0_10empty_typeEEEZZNS1_27merge_sort_block_merge_implIS3_N6thrust23THRUST_200600_302600_NS6detail15normal_iteratorINS9_10device_ptrIsEEEEPS5_jNS1_19radix_merge_compareILb0ELb1EsNS0_19identity_decomposerEEEEE10hipError_tT0_T1_T2_jT3_P12ihipStream_tbPNSt15iterator_traitsISK_E10value_typeEPNSQ_ISL_E10value_typeEPSM_NS1_7vsmem_tEENKUlT_SK_SL_SM_E_clISE_PsSF_SF_EESJ_SZ_SK_SL_SM_EUlSZ_E0_NS1_11comp_targetILNS1_3genE8ELNS1_11target_archE1030ELNS1_3gpuE2ELNS1_3repE0EEENS1_38merge_mergepath_config_static_selectorELNS0_4arch9wavefront6targetE1EEEvSL_,comdat
	.protected	_ZN7rocprim17ROCPRIM_400000_NS6detail17trampoline_kernelINS0_14default_configENS1_38merge_sort_block_merge_config_selectorIsNS0_10empty_typeEEEZZNS1_27merge_sort_block_merge_implIS3_N6thrust23THRUST_200600_302600_NS6detail15normal_iteratorINS9_10device_ptrIsEEEEPS5_jNS1_19radix_merge_compareILb0ELb1EsNS0_19identity_decomposerEEEEE10hipError_tT0_T1_T2_jT3_P12ihipStream_tbPNSt15iterator_traitsISK_E10value_typeEPNSQ_ISL_E10value_typeEPSM_NS1_7vsmem_tEENKUlT_SK_SL_SM_E_clISE_PsSF_SF_EESJ_SZ_SK_SL_SM_EUlSZ_E0_NS1_11comp_targetILNS1_3genE8ELNS1_11target_archE1030ELNS1_3gpuE2ELNS1_3repE0EEENS1_38merge_mergepath_config_static_selectorELNS0_4arch9wavefront6targetE1EEEvSL_ ; -- Begin function _ZN7rocprim17ROCPRIM_400000_NS6detail17trampoline_kernelINS0_14default_configENS1_38merge_sort_block_merge_config_selectorIsNS0_10empty_typeEEEZZNS1_27merge_sort_block_merge_implIS3_N6thrust23THRUST_200600_302600_NS6detail15normal_iteratorINS9_10device_ptrIsEEEEPS5_jNS1_19radix_merge_compareILb0ELb1EsNS0_19identity_decomposerEEEEE10hipError_tT0_T1_T2_jT3_P12ihipStream_tbPNSt15iterator_traitsISK_E10value_typeEPNSQ_ISL_E10value_typeEPSM_NS1_7vsmem_tEENKUlT_SK_SL_SM_E_clISE_PsSF_SF_EESJ_SZ_SK_SL_SM_EUlSZ_E0_NS1_11comp_targetILNS1_3genE8ELNS1_11target_archE1030ELNS1_3gpuE2ELNS1_3repE0EEENS1_38merge_mergepath_config_static_selectorELNS0_4arch9wavefront6targetE1EEEvSL_
	.globl	_ZN7rocprim17ROCPRIM_400000_NS6detail17trampoline_kernelINS0_14default_configENS1_38merge_sort_block_merge_config_selectorIsNS0_10empty_typeEEEZZNS1_27merge_sort_block_merge_implIS3_N6thrust23THRUST_200600_302600_NS6detail15normal_iteratorINS9_10device_ptrIsEEEEPS5_jNS1_19radix_merge_compareILb0ELb1EsNS0_19identity_decomposerEEEEE10hipError_tT0_T1_T2_jT3_P12ihipStream_tbPNSt15iterator_traitsISK_E10value_typeEPNSQ_ISL_E10value_typeEPSM_NS1_7vsmem_tEENKUlT_SK_SL_SM_E_clISE_PsSF_SF_EESJ_SZ_SK_SL_SM_EUlSZ_E0_NS1_11comp_targetILNS1_3genE8ELNS1_11target_archE1030ELNS1_3gpuE2ELNS1_3repE0EEENS1_38merge_mergepath_config_static_selectorELNS0_4arch9wavefront6targetE1EEEvSL_
	.p2align	8
	.type	_ZN7rocprim17ROCPRIM_400000_NS6detail17trampoline_kernelINS0_14default_configENS1_38merge_sort_block_merge_config_selectorIsNS0_10empty_typeEEEZZNS1_27merge_sort_block_merge_implIS3_N6thrust23THRUST_200600_302600_NS6detail15normal_iteratorINS9_10device_ptrIsEEEEPS5_jNS1_19radix_merge_compareILb0ELb1EsNS0_19identity_decomposerEEEEE10hipError_tT0_T1_T2_jT3_P12ihipStream_tbPNSt15iterator_traitsISK_E10value_typeEPNSQ_ISL_E10value_typeEPSM_NS1_7vsmem_tEENKUlT_SK_SL_SM_E_clISE_PsSF_SF_EESJ_SZ_SK_SL_SM_EUlSZ_E0_NS1_11comp_targetILNS1_3genE8ELNS1_11target_archE1030ELNS1_3gpuE2ELNS1_3repE0EEENS1_38merge_mergepath_config_static_selectorELNS0_4arch9wavefront6targetE1EEEvSL_,@function
_ZN7rocprim17ROCPRIM_400000_NS6detail17trampoline_kernelINS0_14default_configENS1_38merge_sort_block_merge_config_selectorIsNS0_10empty_typeEEEZZNS1_27merge_sort_block_merge_implIS3_N6thrust23THRUST_200600_302600_NS6detail15normal_iteratorINS9_10device_ptrIsEEEEPS5_jNS1_19radix_merge_compareILb0ELb1EsNS0_19identity_decomposerEEEEE10hipError_tT0_T1_T2_jT3_P12ihipStream_tbPNSt15iterator_traitsISK_E10value_typeEPNSQ_ISL_E10value_typeEPSM_NS1_7vsmem_tEENKUlT_SK_SL_SM_E_clISE_PsSF_SF_EESJ_SZ_SK_SL_SM_EUlSZ_E0_NS1_11comp_targetILNS1_3genE8ELNS1_11target_archE1030ELNS1_3gpuE2ELNS1_3repE0EEENS1_38merge_mergepath_config_static_selectorELNS0_4arch9wavefront6targetE1EEEvSL_: ; @_ZN7rocprim17ROCPRIM_400000_NS6detail17trampoline_kernelINS0_14default_configENS1_38merge_sort_block_merge_config_selectorIsNS0_10empty_typeEEEZZNS1_27merge_sort_block_merge_implIS3_N6thrust23THRUST_200600_302600_NS6detail15normal_iteratorINS9_10device_ptrIsEEEEPS5_jNS1_19radix_merge_compareILb0ELb1EsNS0_19identity_decomposerEEEEE10hipError_tT0_T1_T2_jT3_P12ihipStream_tbPNSt15iterator_traitsISK_E10value_typeEPNSQ_ISL_E10value_typeEPSM_NS1_7vsmem_tEENKUlT_SK_SL_SM_E_clISE_PsSF_SF_EESJ_SZ_SK_SL_SM_EUlSZ_E0_NS1_11comp_targetILNS1_3genE8ELNS1_11target_archE1030ELNS1_3gpuE2ELNS1_3repE0EEENS1_38merge_mergepath_config_static_selectorELNS0_4arch9wavefront6targetE1EEEvSL_
; %bb.0:
	.section	.rodata,"a",@progbits
	.p2align	6, 0x0
	.amdhsa_kernel _ZN7rocprim17ROCPRIM_400000_NS6detail17trampoline_kernelINS0_14default_configENS1_38merge_sort_block_merge_config_selectorIsNS0_10empty_typeEEEZZNS1_27merge_sort_block_merge_implIS3_N6thrust23THRUST_200600_302600_NS6detail15normal_iteratorINS9_10device_ptrIsEEEEPS5_jNS1_19radix_merge_compareILb0ELb1EsNS0_19identity_decomposerEEEEE10hipError_tT0_T1_T2_jT3_P12ihipStream_tbPNSt15iterator_traitsISK_E10value_typeEPNSQ_ISL_E10value_typeEPSM_NS1_7vsmem_tEENKUlT_SK_SL_SM_E_clISE_PsSF_SF_EESJ_SZ_SK_SL_SM_EUlSZ_E0_NS1_11comp_targetILNS1_3genE8ELNS1_11target_archE1030ELNS1_3gpuE2ELNS1_3repE0EEENS1_38merge_mergepath_config_static_selectorELNS0_4arch9wavefront6targetE1EEEvSL_
		.amdhsa_group_segment_fixed_size 0
		.amdhsa_private_segment_fixed_size 0
		.amdhsa_kernarg_size 64
		.amdhsa_user_sgpr_count 6
		.amdhsa_user_sgpr_private_segment_buffer 1
		.amdhsa_user_sgpr_dispatch_ptr 0
		.amdhsa_user_sgpr_queue_ptr 0
		.amdhsa_user_sgpr_kernarg_segment_ptr 1
		.amdhsa_user_sgpr_dispatch_id 0
		.amdhsa_user_sgpr_flat_scratch_init 0
		.amdhsa_user_sgpr_kernarg_preload_length 0
		.amdhsa_user_sgpr_kernarg_preload_offset 0
		.amdhsa_user_sgpr_private_segment_size 0
		.amdhsa_uses_dynamic_stack 0
		.amdhsa_system_sgpr_private_segment_wavefront_offset 0
		.amdhsa_system_sgpr_workgroup_id_x 1
		.amdhsa_system_sgpr_workgroup_id_y 0
		.amdhsa_system_sgpr_workgroup_id_z 0
		.amdhsa_system_sgpr_workgroup_info 0
		.amdhsa_system_vgpr_workitem_id 0
		.amdhsa_next_free_vgpr 1
		.amdhsa_next_free_sgpr 0
		.amdhsa_accum_offset 4
		.amdhsa_reserve_vcc 0
		.amdhsa_reserve_flat_scratch 0
		.amdhsa_float_round_mode_32 0
		.amdhsa_float_round_mode_16_64 0
		.amdhsa_float_denorm_mode_32 3
		.amdhsa_float_denorm_mode_16_64 3
		.amdhsa_dx10_clamp 1
		.amdhsa_ieee_mode 1
		.amdhsa_fp16_overflow 0
		.amdhsa_tg_split 0
		.amdhsa_exception_fp_ieee_invalid_op 0
		.amdhsa_exception_fp_denorm_src 0
		.amdhsa_exception_fp_ieee_div_zero 0
		.amdhsa_exception_fp_ieee_overflow 0
		.amdhsa_exception_fp_ieee_underflow 0
		.amdhsa_exception_fp_ieee_inexact 0
		.amdhsa_exception_int_div_zero 0
	.end_amdhsa_kernel
	.section	.text._ZN7rocprim17ROCPRIM_400000_NS6detail17trampoline_kernelINS0_14default_configENS1_38merge_sort_block_merge_config_selectorIsNS0_10empty_typeEEEZZNS1_27merge_sort_block_merge_implIS3_N6thrust23THRUST_200600_302600_NS6detail15normal_iteratorINS9_10device_ptrIsEEEEPS5_jNS1_19radix_merge_compareILb0ELb1EsNS0_19identity_decomposerEEEEE10hipError_tT0_T1_T2_jT3_P12ihipStream_tbPNSt15iterator_traitsISK_E10value_typeEPNSQ_ISL_E10value_typeEPSM_NS1_7vsmem_tEENKUlT_SK_SL_SM_E_clISE_PsSF_SF_EESJ_SZ_SK_SL_SM_EUlSZ_E0_NS1_11comp_targetILNS1_3genE8ELNS1_11target_archE1030ELNS1_3gpuE2ELNS1_3repE0EEENS1_38merge_mergepath_config_static_selectorELNS0_4arch9wavefront6targetE1EEEvSL_,"axG",@progbits,_ZN7rocprim17ROCPRIM_400000_NS6detail17trampoline_kernelINS0_14default_configENS1_38merge_sort_block_merge_config_selectorIsNS0_10empty_typeEEEZZNS1_27merge_sort_block_merge_implIS3_N6thrust23THRUST_200600_302600_NS6detail15normal_iteratorINS9_10device_ptrIsEEEEPS5_jNS1_19radix_merge_compareILb0ELb1EsNS0_19identity_decomposerEEEEE10hipError_tT0_T1_T2_jT3_P12ihipStream_tbPNSt15iterator_traitsISK_E10value_typeEPNSQ_ISL_E10value_typeEPSM_NS1_7vsmem_tEENKUlT_SK_SL_SM_E_clISE_PsSF_SF_EESJ_SZ_SK_SL_SM_EUlSZ_E0_NS1_11comp_targetILNS1_3genE8ELNS1_11target_archE1030ELNS1_3gpuE2ELNS1_3repE0EEENS1_38merge_mergepath_config_static_selectorELNS0_4arch9wavefront6targetE1EEEvSL_,comdat
.Lfunc_end1914:
	.size	_ZN7rocprim17ROCPRIM_400000_NS6detail17trampoline_kernelINS0_14default_configENS1_38merge_sort_block_merge_config_selectorIsNS0_10empty_typeEEEZZNS1_27merge_sort_block_merge_implIS3_N6thrust23THRUST_200600_302600_NS6detail15normal_iteratorINS9_10device_ptrIsEEEEPS5_jNS1_19radix_merge_compareILb0ELb1EsNS0_19identity_decomposerEEEEE10hipError_tT0_T1_T2_jT3_P12ihipStream_tbPNSt15iterator_traitsISK_E10value_typeEPNSQ_ISL_E10value_typeEPSM_NS1_7vsmem_tEENKUlT_SK_SL_SM_E_clISE_PsSF_SF_EESJ_SZ_SK_SL_SM_EUlSZ_E0_NS1_11comp_targetILNS1_3genE8ELNS1_11target_archE1030ELNS1_3gpuE2ELNS1_3repE0EEENS1_38merge_mergepath_config_static_selectorELNS0_4arch9wavefront6targetE1EEEvSL_, .Lfunc_end1914-_ZN7rocprim17ROCPRIM_400000_NS6detail17trampoline_kernelINS0_14default_configENS1_38merge_sort_block_merge_config_selectorIsNS0_10empty_typeEEEZZNS1_27merge_sort_block_merge_implIS3_N6thrust23THRUST_200600_302600_NS6detail15normal_iteratorINS9_10device_ptrIsEEEEPS5_jNS1_19radix_merge_compareILb0ELb1EsNS0_19identity_decomposerEEEEE10hipError_tT0_T1_T2_jT3_P12ihipStream_tbPNSt15iterator_traitsISK_E10value_typeEPNSQ_ISL_E10value_typeEPSM_NS1_7vsmem_tEENKUlT_SK_SL_SM_E_clISE_PsSF_SF_EESJ_SZ_SK_SL_SM_EUlSZ_E0_NS1_11comp_targetILNS1_3genE8ELNS1_11target_archE1030ELNS1_3gpuE2ELNS1_3repE0EEENS1_38merge_mergepath_config_static_selectorELNS0_4arch9wavefront6targetE1EEEvSL_
                                        ; -- End function
	.section	.AMDGPU.csdata,"",@progbits
; Kernel info:
; codeLenInByte = 0
; NumSgprs: 4
; NumVgprs: 0
; NumAgprs: 0
; TotalNumVgprs: 0
; ScratchSize: 0
; MemoryBound: 0
; FloatMode: 240
; IeeeMode: 1
; LDSByteSize: 0 bytes/workgroup (compile time only)
; SGPRBlocks: 0
; VGPRBlocks: 0
; NumSGPRsForWavesPerEU: 4
; NumVGPRsForWavesPerEU: 1
; AccumOffset: 4
; Occupancy: 8
; WaveLimiterHint : 0
; COMPUTE_PGM_RSRC2:SCRATCH_EN: 0
; COMPUTE_PGM_RSRC2:USER_SGPR: 6
; COMPUTE_PGM_RSRC2:TRAP_HANDLER: 0
; COMPUTE_PGM_RSRC2:TGID_X_EN: 1
; COMPUTE_PGM_RSRC2:TGID_Y_EN: 0
; COMPUTE_PGM_RSRC2:TGID_Z_EN: 0
; COMPUTE_PGM_RSRC2:TIDIG_COMP_CNT: 0
; COMPUTE_PGM_RSRC3_GFX90A:ACCUM_OFFSET: 0
; COMPUTE_PGM_RSRC3_GFX90A:TG_SPLIT: 0
	.section	.text._ZN7rocprim17ROCPRIM_400000_NS6detail17trampoline_kernelINS0_14default_configENS1_38merge_sort_block_merge_config_selectorIsNS0_10empty_typeEEEZZNS1_27merge_sort_block_merge_implIS3_N6thrust23THRUST_200600_302600_NS6detail15normal_iteratorINS9_10device_ptrIsEEEEPS5_jNS1_19radix_merge_compareILb0ELb1EsNS0_19identity_decomposerEEEEE10hipError_tT0_T1_T2_jT3_P12ihipStream_tbPNSt15iterator_traitsISK_E10value_typeEPNSQ_ISL_E10value_typeEPSM_NS1_7vsmem_tEENKUlT_SK_SL_SM_E_clISE_PsSF_SF_EESJ_SZ_SK_SL_SM_EUlSZ_E1_NS1_11comp_targetILNS1_3genE0ELNS1_11target_archE4294967295ELNS1_3gpuE0ELNS1_3repE0EEENS1_36merge_oddeven_config_static_selectorELNS0_4arch9wavefront6targetE1EEEvSL_,"axG",@progbits,_ZN7rocprim17ROCPRIM_400000_NS6detail17trampoline_kernelINS0_14default_configENS1_38merge_sort_block_merge_config_selectorIsNS0_10empty_typeEEEZZNS1_27merge_sort_block_merge_implIS3_N6thrust23THRUST_200600_302600_NS6detail15normal_iteratorINS9_10device_ptrIsEEEEPS5_jNS1_19radix_merge_compareILb0ELb1EsNS0_19identity_decomposerEEEEE10hipError_tT0_T1_T2_jT3_P12ihipStream_tbPNSt15iterator_traitsISK_E10value_typeEPNSQ_ISL_E10value_typeEPSM_NS1_7vsmem_tEENKUlT_SK_SL_SM_E_clISE_PsSF_SF_EESJ_SZ_SK_SL_SM_EUlSZ_E1_NS1_11comp_targetILNS1_3genE0ELNS1_11target_archE4294967295ELNS1_3gpuE0ELNS1_3repE0EEENS1_36merge_oddeven_config_static_selectorELNS0_4arch9wavefront6targetE1EEEvSL_,comdat
	.protected	_ZN7rocprim17ROCPRIM_400000_NS6detail17trampoline_kernelINS0_14default_configENS1_38merge_sort_block_merge_config_selectorIsNS0_10empty_typeEEEZZNS1_27merge_sort_block_merge_implIS3_N6thrust23THRUST_200600_302600_NS6detail15normal_iteratorINS9_10device_ptrIsEEEEPS5_jNS1_19radix_merge_compareILb0ELb1EsNS0_19identity_decomposerEEEEE10hipError_tT0_T1_T2_jT3_P12ihipStream_tbPNSt15iterator_traitsISK_E10value_typeEPNSQ_ISL_E10value_typeEPSM_NS1_7vsmem_tEENKUlT_SK_SL_SM_E_clISE_PsSF_SF_EESJ_SZ_SK_SL_SM_EUlSZ_E1_NS1_11comp_targetILNS1_3genE0ELNS1_11target_archE4294967295ELNS1_3gpuE0ELNS1_3repE0EEENS1_36merge_oddeven_config_static_selectorELNS0_4arch9wavefront6targetE1EEEvSL_ ; -- Begin function _ZN7rocprim17ROCPRIM_400000_NS6detail17trampoline_kernelINS0_14default_configENS1_38merge_sort_block_merge_config_selectorIsNS0_10empty_typeEEEZZNS1_27merge_sort_block_merge_implIS3_N6thrust23THRUST_200600_302600_NS6detail15normal_iteratorINS9_10device_ptrIsEEEEPS5_jNS1_19radix_merge_compareILb0ELb1EsNS0_19identity_decomposerEEEEE10hipError_tT0_T1_T2_jT3_P12ihipStream_tbPNSt15iterator_traitsISK_E10value_typeEPNSQ_ISL_E10value_typeEPSM_NS1_7vsmem_tEENKUlT_SK_SL_SM_E_clISE_PsSF_SF_EESJ_SZ_SK_SL_SM_EUlSZ_E1_NS1_11comp_targetILNS1_3genE0ELNS1_11target_archE4294967295ELNS1_3gpuE0ELNS1_3repE0EEENS1_36merge_oddeven_config_static_selectorELNS0_4arch9wavefront6targetE1EEEvSL_
	.globl	_ZN7rocprim17ROCPRIM_400000_NS6detail17trampoline_kernelINS0_14default_configENS1_38merge_sort_block_merge_config_selectorIsNS0_10empty_typeEEEZZNS1_27merge_sort_block_merge_implIS3_N6thrust23THRUST_200600_302600_NS6detail15normal_iteratorINS9_10device_ptrIsEEEEPS5_jNS1_19radix_merge_compareILb0ELb1EsNS0_19identity_decomposerEEEEE10hipError_tT0_T1_T2_jT3_P12ihipStream_tbPNSt15iterator_traitsISK_E10value_typeEPNSQ_ISL_E10value_typeEPSM_NS1_7vsmem_tEENKUlT_SK_SL_SM_E_clISE_PsSF_SF_EESJ_SZ_SK_SL_SM_EUlSZ_E1_NS1_11comp_targetILNS1_3genE0ELNS1_11target_archE4294967295ELNS1_3gpuE0ELNS1_3repE0EEENS1_36merge_oddeven_config_static_selectorELNS0_4arch9wavefront6targetE1EEEvSL_
	.p2align	8
	.type	_ZN7rocprim17ROCPRIM_400000_NS6detail17trampoline_kernelINS0_14default_configENS1_38merge_sort_block_merge_config_selectorIsNS0_10empty_typeEEEZZNS1_27merge_sort_block_merge_implIS3_N6thrust23THRUST_200600_302600_NS6detail15normal_iteratorINS9_10device_ptrIsEEEEPS5_jNS1_19radix_merge_compareILb0ELb1EsNS0_19identity_decomposerEEEEE10hipError_tT0_T1_T2_jT3_P12ihipStream_tbPNSt15iterator_traitsISK_E10value_typeEPNSQ_ISL_E10value_typeEPSM_NS1_7vsmem_tEENKUlT_SK_SL_SM_E_clISE_PsSF_SF_EESJ_SZ_SK_SL_SM_EUlSZ_E1_NS1_11comp_targetILNS1_3genE0ELNS1_11target_archE4294967295ELNS1_3gpuE0ELNS1_3repE0EEENS1_36merge_oddeven_config_static_selectorELNS0_4arch9wavefront6targetE1EEEvSL_,@function
_ZN7rocprim17ROCPRIM_400000_NS6detail17trampoline_kernelINS0_14default_configENS1_38merge_sort_block_merge_config_selectorIsNS0_10empty_typeEEEZZNS1_27merge_sort_block_merge_implIS3_N6thrust23THRUST_200600_302600_NS6detail15normal_iteratorINS9_10device_ptrIsEEEEPS5_jNS1_19radix_merge_compareILb0ELb1EsNS0_19identity_decomposerEEEEE10hipError_tT0_T1_T2_jT3_P12ihipStream_tbPNSt15iterator_traitsISK_E10value_typeEPNSQ_ISL_E10value_typeEPSM_NS1_7vsmem_tEENKUlT_SK_SL_SM_E_clISE_PsSF_SF_EESJ_SZ_SK_SL_SM_EUlSZ_E1_NS1_11comp_targetILNS1_3genE0ELNS1_11target_archE4294967295ELNS1_3gpuE0ELNS1_3repE0EEENS1_36merge_oddeven_config_static_selectorELNS0_4arch9wavefront6targetE1EEEvSL_: ; @_ZN7rocprim17ROCPRIM_400000_NS6detail17trampoline_kernelINS0_14default_configENS1_38merge_sort_block_merge_config_selectorIsNS0_10empty_typeEEEZZNS1_27merge_sort_block_merge_implIS3_N6thrust23THRUST_200600_302600_NS6detail15normal_iteratorINS9_10device_ptrIsEEEEPS5_jNS1_19radix_merge_compareILb0ELb1EsNS0_19identity_decomposerEEEEE10hipError_tT0_T1_T2_jT3_P12ihipStream_tbPNSt15iterator_traitsISK_E10value_typeEPNSQ_ISL_E10value_typeEPSM_NS1_7vsmem_tEENKUlT_SK_SL_SM_E_clISE_PsSF_SF_EESJ_SZ_SK_SL_SM_EUlSZ_E1_NS1_11comp_targetILNS1_3genE0ELNS1_11target_archE4294967295ELNS1_3gpuE0ELNS1_3repE0EEENS1_36merge_oddeven_config_static_selectorELNS0_4arch9wavefront6targetE1EEEvSL_
; %bb.0:
	.section	.rodata,"a",@progbits
	.p2align	6, 0x0
	.amdhsa_kernel _ZN7rocprim17ROCPRIM_400000_NS6detail17trampoline_kernelINS0_14default_configENS1_38merge_sort_block_merge_config_selectorIsNS0_10empty_typeEEEZZNS1_27merge_sort_block_merge_implIS3_N6thrust23THRUST_200600_302600_NS6detail15normal_iteratorINS9_10device_ptrIsEEEEPS5_jNS1_19radix_merge_compareILb0ELb1EsNS0_19identity_decomposerEEEEE10hipError_tT0_T1_T2_jT3_P12ihipStream_tbPNSt15iterator_traitsISK_E10value_typeEPNSQ_ISL_E10value_typeEPSM_NS1_7vsmem_tEENKUlT_SK_SL_SM_E_clISE_PsSF_SF_EESJ_SZ_SK_SL_SM_EUlSZ_E1_NS1_11comp_targetILNS1_3genE0ELNS1_11target_archE4294967295ELNS1_3gpuE0ELNS1_3repE0EEENS1_36merge_oddeven_config_static_selectorELNS0_4arch9wavefront6targetE1EEEvSL_
		.amdhsa_group_segment_fixed_size 0
		.amdhsa_private_segment_fixed_size 0
		.amdhsa_kernarg_size 48
		.amdhsa_user_sgpr_count 6
		.amdhsa_user_sgpr_private_segment_buffer 1
		.amdhsa_user_sgpr_dispatch_ptr 0
		.amdhsa_user_sgpr_queue_ptr 0
		.amdhsa_user_sgpr_kernarg_segment_ptr 1
		.amdhsa_user_sgpr_dispatch_id 0
		.amdhsa_user_sgpr_flat_scratch_init 0
		.amdhsa_user_sgpr_kernarg_preload_length 0
		.amdhsa_user_sgpr_kernarg_preload_offset 0
		.amdhsa_user_sgpr_private_segment_size 0
		.amdhsa_uses_dynamic_stack 0
		.amdhsa_system_sgpr_private_segment_wavefront_offset 0
		.amdhsa_system_sgpr_workgroup_id_x 1
		.amdhsa_system_sgpr_workgroup_id_y 0
		.amdhsa_system_sgpr_workgroup_id_z 0
		.amdhsa_system_sgpr_workgroup_info 0
		.amdhsa_system_vgpr_workitem_id 0
		.amdhsa_next_free_vgpr 1
		.amdhsa_next_free_sgpr 0
		.amdhsa_accum_offset 4
		.amdhsa_reserve_vcc 0
		.amdhsa_reserve_flat_scratch 0
		.amdhsa_float_round_mode_32 0
		.amdhsa_float_round_mode_16_64 0
		.amdhsa_float_denorm_mode_32 3
		.amdhsa_float_denorm_mode_16_64 3
		.amdhsa_dx10_clamp 1
		.amdhsa_ieee_mode 1
		.amdhsa_fp16_overflow 0
		.amdhsa_tg_split 0
		.amdhsa_exception_fp_ieee_invalid_op 0
		.amdhsa_exception_fp_denorm_src 0
		.amdhsa_exception_fp_ieee_div_zero 0
		.amdhsa_exception_fp_ieee_overflow 0
		.amdhsa_exception_fp_ieee_underflow 0
		.amdhsa_exception_fp_ieee_inexact 0
		.amdhsa_exception_int_div_zero 0
	.end_amdhsa_kernel
	.section	.text._ZN7rocprim17ROCPRIM_400000_NS6detail17trampoline_kernelINS0_14default_configENS1_38merge_sort_block_merge_config_selectorIsNS0_10empty_typeEEEZZNS1_27merge_sort_block_merge_implIS3_N6thrust23THRUST_200600_302600_NS6detail15normal_iteratorINS9_10device_ptrIsEEEEPS5_jNS1_19radix_merge_compareILb0ELb1EsNS0_19identity_decomposerEEEEE10hipError_tT0_T1_T2_jT3_P12ihipStream_tbPNSt15iterator_traitsISK_E10value_typeEPNSQ_ISL_E10value_typeEPSM_NS1_7vsmem_tEENKUlT_SK_SL_SM_E_clISE_PsSF_SF_EESJ_SZ_SK_SL_SM_EUlSZ_E1_NS1_11comp_targetILNS1_3genE0ELNS1_11target_archE4294967295ELNS1_3gpuE0ELNS1_3repE0EEENS1_36merge_oddeven_config_static_selectorELNS0_4arch9wavefront6targetE1EEEvSL_,"axG",@progbits,_ZN7rocprim17ROCPRIM_400000_NS6detail17trampoline_kernelINS0_14default_configENS1_38merge_sort_block_merge_config_selectorIsNS0_10empty_typeEEEZZNS1_27merge_sort_block_merge_implIS3_N6thrust23THRUST_200600_302600_NS6detail15normal_iteratorINS9_10device_ptrIsEEEEPS5_jNS1_19radix_merge_compareILb0ELb1EsNS0_19identity_decomposerEEEEE10hipError_tT0_T1_T2_jT3_P12ihipStream_tbPNSt15iterator_traitsISK_E10value_typeEPNSQ_ISL_E10value_typeEPSM_NS1_7vsmem_tEENKUlT_SK_SL_SM_E_clISE_PsSF_SF_EESJ_SZ_SK_SL_SM_EUlSZ_E1_NS1_11comp_targetILNS1_3genE0ELNS1_11target_archE4294967295ELNS1_3gpuE0ELNS1_3repE0EEENS1_36merge_oddeven_config_static_selectorELNS0_4arch9wavefront6targetE1EEEvSL_,comdat
.Lfunc_end1915:
	.size	_ZN7rocprim17ROCPRIM_400000_NS6detail17trampoline_kernelINS0_14default_configENS1_38merge_sort_block_merge_config_selectorIsNS0_10empty_typeEEEZZNS1_27merge_sort_block_merge_implIS3_N6thrust23THRUST_200600_302600_NS6detail15normal_iteratorINS9_10device_ptrIsEEEEPS5_jNS1_19radix_merge_compareILb0ELb1EsNS0_19identity_decomposerEEEEE10hipError_tT0_T1_T2_jT3_P12ihipStream_tbPNSt15iterator_traitsISK_E10value_typeEPNSQ_ISL_E10value_typeEPSM_NS1_7vsmem_tEENKUlT_SK_SL_SM_E_clISE_PsSF_SF_EESJ_SZ_SK_SL_SM_EUlSZ_E1_NS1_11comp_targetILNS1_3genE0ELNS1_11target_archE4294967295ELNS1_3gpuE0ELNS1_3repE0EEENS1_36merge_oddeven_config_static_selectorELNS0_4arch9wavefront6targetE1EEEvSL_, .Lfunc_end1915-_ZN7rocprim17ROCPRIM_400000_NS6detail17trampoline_kernelINS0_14default_configENS1_38merge_sort_block_merge_config_selectorIsNS0_10empty_typeEEEZZNS1_27merge_sort_block_merge_implIS3_N6thrust23THRUST_200600_302600_NS6detail15normal_iteratorINS9_10device_ptrIsEEEEPS5_jNS1_19radix_merge_compareILb0ELb1EsNS0_19identity_decomposerEEEEE10hipError_tT0_T1_T2_jT3_P12ihipStream_tbPNSt15iterator_traitsISK_E10value_typeEPNSQ_ISL_E10value_typeEPSM_NS1_7vsmem_tEENKUlT_SK_SL_SM_E_clISE_PsSF_SF_EESJ_SZ_SK_SL_SM_EUlSZ_E1_NS1_11comp_targetILNS1_3genE0ELNS1_11target_archE4294967295ELNS1_3gpuE0ELNS1_3repE0EEENS1_36merge_oddeven_config_static_selectorELNS0_4arch9wavefront6targetE1EEEvSL_
                                        ; -- End function
	.section	.AMDGPU.csdata,"",@progbits
; Kernel info:
; codeLenInByte = 0
; NumSgprs: 4
; NumVgprs: 0
; NumAgprs: 0
; TotalNumVgprs: 0
; ScratchSize: 0
; MemoryBound: 0
; FloatMode: 240
; IeeeMode: 1
; LDSByteSize: 0 bytes/workgroup (compile time only)
; SGPRBlocks: 0
; VGPRBlocks: 0
; NumSGPRsForWavesPerEU: 4
; NumVGPRsForWavesPerEU: 1
; AccumOffset: 4
; Occupancy: 8
; WaveLimiterHint : 0
; COMPUTE_PGM_RSRC2:SCRATCH_EN: 0
; COMPUTE_PGM_RSRC2:USER_SGPR: 6
; COMPUTE_PGM_RSRC2:TRAP_HANDLER: 0
; COMPUTE_PGM_RSRC2:TGID_X_EN: 1
; COMPUTE_PGM_RSRC2:TGID_Y_EN: 0
; COMPUTE_PGM_RSRC2:TGID_Z_EN: 0
; COMPUTE_PGM_RSRC2:TIDIG_COMP_CNT: 0
; COMPUTE_PGM_RSRC3_GFX90A:ACCUM_OFFSET: 0
; COMPUTE_PGM_RSRC3_GFX90A:TG_SPLIT: 0
	.section	.text._ZN7rocprim17ROCPRIM_400000_NS6detail17trampoline_kernelINS0_14default_configENS1_38merge_sort_block_merge_config_selectorIsNS0_10empty_typeEEEZZNS1_27merge_sort_block_merge_implIS3_N6thrust23THRUST_200600_302600_NS6detail15normal_iteratorINS9_10device_ptrIsEEEEPS5_jNS1_19radix_merge_compareILb0ELb1EsNS0_19identity_decomposerEEEEE10hipError_tT0_T1_T2_jT3_P12ihipStream_tbPNSt15iterator_traitsISK_E10value_typeEPNSQ_ISL_E10value_typeEPSM_NS1_7vsmem_tEENKUlT_SK_SL_SM_E_clISE_PsSF_SF_EESJ_SZ_SK_SL_SM_EUlSZ_E1_NS1_11comp_targetILNS1_3genE10ELNS1_11target_archE1201ELNS1_3gpuE5ELNS1_3repE0EEENS1_36merge_oddeven_config_static_selectorELNS0_4arch9wavefront6targetE1EEEvSL_,"axG",@progbits,_ZN7rocprim17ROCPRIM_400000_NS6detail17trampoline_kernelINS0_14default_configENS1_38merge_sort_block_merge_config_selectorIsNS0_10empty_typeEEEZZNS1_27merge_sort_block_merge_implIS3_N6thrust23THRUST_200600_302600_NS6detail15normal_iteratorINS9_10device_ptrIsEEEEPS5_jNS1_19radix_merge_compareILb0ELb1EsNS0_19identity_decomposerEEEEE10hipError_tT0_T1_T2_jT3_P12ihipStream_tbPNSt15iterator_traitsISK_E10value_typeEPNSQ_ISL_E10value_typeEPSM_NS1_7vsmem_tEENKUlT_SK_SL_SM_E_clISE_PsSF_SF_EESJ_SZ_SK_SL_SM_EUlSZ_E1_NS1_11comp_targetILNS1_3genE10ELNS1_11target_archE1201ELNS1_3gpuE5ELNS1_3repE0EEENS1_36merge_oddeven_config_static_selectorELNS0_4arch9wavefront6targetE1EEEvSL_,comdat
	.protected	_ZN7rocprim17ROCPRIM_400000_NS6detail17trampoline_kernelINS0_14default_configENS1_38merge_sort_block_merge_config_selectorIsNS0_10empty_typeEEEZZNS1_27merge_sort_block_merge_implIS3_N6thrust23THRUST_200600_302600_NS6detail15normal_iteratorINS9_10device_ptrIsEEEEPS5_jNS1_19radix_merge_compareILb0ELb1EsNS0_19identity_decomposerEEEEE10hipError_tT0_T1_T2_jT3_P12ihipStream_tbPNSt15iterator_traitsISK_E10value_typeEPNSQ_ISL_E10value_typeEPSM_NS1_7vsmem_tEENKUlT_SK_SL_SM_E_clISE_PsSF_SF_EESJ_SZ_SK_SL_SM_EUlSZ_E1_NS1_11comp_targetILNS1_3genE10ELNS1_11target_archE1201ELNS1_3gpuE5ELNS1_3repE0EEENS1_36merge_oddeven_config_static_selectorELNS0_4arch9wavefront6targetE1EEEvSL_ ; -- Begin function _ZN7rocprim17ROCPRIM_400000_NS6detail17trampoline_kernelINS0_14default_configENS1_38merge_sort_block_merge_config_selectorIsNS0_10empty_typeEEEZZNS1_27merge_sort_block_merge_implIS3_N6thrust23THRUST_200600_302600_NS6detail15normal_iteratorINS9_10device_ptrIsEEEEPS5_jNS1_19radix_merge_compareILb0ELb1EsNS0_19identity_decomposerEEEEE10hipError_tT0_T1_T2_jT3_P12ihipStream_tbPNSt15iterator_traitsISK_E10value_typeEPNSQ_ISL_E10value_typeEPSM_NS1_7vsmem_tEENKUlT_SK_SL_SM_E_clISE_PsSF_SF_EESJ_SZ_SK_SL_SM_EUlSZ_E1_NS1_11comp_targetILNS1_3genE10ELNS1_11target_archE1201ELNS1_3gpuE5ELNS1_3repE0EEENS1_36merge_oddeven_config_static_selectorELNS0_4arch9wavefront6targetE1EEEvSL_
	.globl	_ZN7rocprim17ROCPRIM_400000_NS6detail17trampoline_kernelINS0_14default_configENS1_38merge_sort_block_merge_config_selectorIsNS0_10empty_typeEEEZZNS1_27merge_sort_block_merge_implIS3_N6thrust23THRUST_200600_302600_NS6detail15normal_iteratorINS9_10device_ptrIsEEEEPS5_jNS1_19radix_merge_compareILb0ELb1EsNS0_19identity_decomposerEEEEE10hipError_tT0_T1_T2_jT3_P12ihipStream_tbPNSt15iterator_traitsISK_E10value_typeEPNSQ_ISL_E10value_typeEPSM_NS1_7vsmem_tEENKUlT_SK_SL_SM_E_clISE_PsSF_SF_EESJ_SZ_SK_SL_SM_EUlSZ_E1_NS1_11comp_targetILNS1_3genE10ELNS1_11target_archE1201ELNS1_3gpuE5ELNS1_3repE0EEENS1_36merge_oddeven_config_static_selectorELNS0_4arch9wavefront6targetE1EEEvSL_
	.p2align	8
	.type	_ZN7rocprim17ROCPRIM_400000_NS6detail17trampoline_kernelINS0_14default_configENS1_38merge_sort_block_merge_config_selectorIsNS0_10empty_typeEEEZZNS1_27merge_sort_block_merge_implIS3_N6thrust23THRUST_200600_302600_NS6detail15normal_iteratorINS9_10device_ptrIsEEEEPS5_jNS1_19radix_merge_compareILb0ELb1EsNS0_19identity_decomposerEEEEE10hipError_tT0_T1_T2_jT3_P12ihipStream_tbPNSt15iterator_traitsISK_E10value_typeEPNSQ_ISL_E10value_typeEPSM_NS1_7vsmem_tEENKUlT_SK_SL_SM_E_clISE_PsSF_SF_EESJ_SZ_SK_SL_SM_EUlSZ_E1_NS1_11comp_targetILNS1_3genE10ELNS1_11target_archE1201ELNS1_3gpuE5ELNS1_3repE0EEENS1_36merge_oddeven_config_static_selectorELNS0_4arch9wavefront6targetE1EEEvSL_,@function
_ZN7rocprim17ROCPRIM_400000_NS6detail17trampoline_kernelINS0_14default_configENS1_38merge_sort_block_merge_config_selectorIsNS0_10empty_typeEEEZZNS1_27merge_sort_block_merge_implIS3_N6thrust23THRUST_200600_302600_NS6detail15normal_iteratorINS9_10device_ptrIsEEEEPS5_jNS1_19radix_merge_compareILb0ELb1EsNS0_19identity_decomposerEEEEE10hipError_tT0_T1_T2_jT3_P12ihipStream_tbPNSt15iterator_traitsISK_E10value_typeEPNSQ_ISL_E10value_typeEPSM_NS1_7vsmem_tEENKUlT_SK_SL_SM_E_clISE_PsSF_SF_EESJ_SZ_SK_SL_SM_EUlSZ_E1_NS1_11comp_targetILNS1_3genE10ELNS1_11target_archE1201ELNS1_3gpuE5ELNS1_3repE0EEENS1_36merge_oddeven_config_static_selectorELNS0_4arch9wavefront6targetE1EEEvSL_: ; @_ZN7rocprim17ROCPRIM_400000_NS6detail17trampoline_kernelINS0_14default_configENS1_38merge_sort_block_merge_config_selectorIsNS0_10empty_typeEEEZZNS1_27merge_sort_block_merge_implIS3_N6thrust23THRUST_200600_302600_NS6detail15normal_iteratorINS9_10device_ptrIsEEEEPS5_jNS1_19radix_merge_compareILb0ELb1EsNS0_19identity_decomposerEEEEE10hipError_tT0_T1_T2_jT3_P12ihipStream_tbPNSt15iterator_traitsISK_E10value_typeEPNSQ_ISL_E10value_typeEPSM_NS1_7vsmem_tEENKUlT_SK_SL_SM_E_clISE_PsSF_SF_EESJ_SZ_SK_SL_SM_EUlSZ_E1_NS1_11comp_targetILNS1_3genE10ELNS1_11target_archE1201ELNS1_3gpuE5ELNS1_3repE0EEENS1_36merge_oddeven_config_static_selectorELNS0_4arch9wavefront6targetE1EEEvSL_
; %bb.0:
	.section	.rodata,"a",@progbits
	.p2align	6, 0x0
	.amdhsa_kernel _ZN7rocprim17ROCPRIM_400000_NS6detail17trampoline_kernelINS0_14default_configENS1_38merge_sort_block_merge_config_selectorIsNS0_10empty_typeEEEZZNS1_27merge_sort_block_merge_implIS3_N6thrust23THRUST_200600_302600_NS6detail15normal_iteratorINS9_10device_ptrIsEEEEPS5_jNS1_19radix_merge_compareILb0ELb1EsNS0_19identity_decomposerEEEEE10hipError_tT0_T1_T2_jT3_P12ihipStream_tbPNSt15iterator_traitsISK_E10value_typeEPNSQ_ISL_E10value_typeEPSM_NS1_7vsmem_tEENKUlT_SK_SL_SM_E_clISE_PsSF_SF_EESJ_SZ_SK_SL_SM_EUlSZ_E1_NS1_11comp_targetILNS1_3genE10ELNS1_11target_archE1201ELNS1_3gpuE5ELNS1_3repE0EEENS1_36merge_oddeven_config_static_selectorELNS0_4arch9wavefront6targetE1EEEvSL_
		.amdhsa_group_segment_fixed_size 0
		.amdhsa_private_segment_fixed_size 0
		.amdhsa_kernarg_size 48
		.amdhsa_user_sgpr_count 6
		.amdhsa_user_sgpr_private_segment_buffer 1
		.amdhsa_user_sgpr_dispatch_ptr 0
		.amdhsa_user_sgpr_queue_ptr 0
		.amdhsa_user_sgpr_kernarg_segment_ptr 1
		.amdhsa_user_sgpr_dispatch_id 0
		.amdhsa_user_sgpr_flat_scratch_init 0
		.amdhsa_user_sgpr_kernarg_preload_length 0
		.amdhsa_user_sgpr_kernarg_preload_offset 0
		.amdhsa_user_sgpr_private_segment_size 0
		.amdhsa_uses_dynamic_stack 0
		.amdhsa_system_sgpr_private_segment_wavefront_offset 0
		.amdhsa_system_sgpr_workgroup_id_x 1
		.amdhsa_system_sgpr_workgroup_id_y 0
		.amdhsa_system_sgpr_workgroup_id_z 0
		.amdhsa_system_sgpr_workgroup_info 0
		.amdhsa_system_vgpr_workitem_id 0
		.amdhsa_next_free_vgpr 1
		.amdhsa_next_free_sgpr 0
		.amdhsa_accum_offset 4
		.amdhsa_reserve_vcc 0
		.amdhsa_reserve_flat_scratch 0
		.amdhsa_float_round_mode_32 0
		.amdhsa_float_round_mode_16_64 0
		.amdhsa_float_denorm_mode_32 3
		.amdhsa_float_denorm_mode_16_64 3
		.amdhsa_dx10_clamp 1
		.amdhsa_ieee_mode 1
		.amdhsa_fp16_overflow 0
		.amdhsa_tg_split 0
		.amdhsa_exception_fp_ieee_invalid_op 0
		.amdhsa_exception_fp_denorm_src 0
		.amdhsa_exception_fp_ieee_div_zero 0
		.amdhsa_exception_fp_ieee_overflow 0
		.amdhsa_exception_fp_ieee_underflow 0
		.amdhsa_exception_fp_ieee_inexact 0
		.amdhsa_exception_int_div_zero 0
	.end_amdhsa_kernel
	.section	.text._ZN7rocprim17ROCPRIM_400000_NS6detail17trampoline_kernelINS0_14default_configENS1_38merge_sort_block_merge_config_selectorIsNS0_10empty_typeEEEZZNS1_27merge_sort_block_merge_implIS3_N6thrust23THRUST_200600_302600_NS6detail15normal_iteratorINS9_10device_ptrIsEEEEPS5_jNS1_19radix_merge_compareILb0ELb1EsNS0_19identity_decomposerEEEEE10hipError_tT0_T1_T2_jT3_P12ihipStream_tbPNSt15iterator_traitsISK_E10value_typeEPNSQ_ISL_E10value_typeEPSM_NS1_7vsmem_tEENKUlT_SK_SL_SM_E_clISE_PsSF_SF_EESJ_SZ_SK_SL_SM_EUlSZ_E1_NS1_11comp_targetILNS1_3genE10ELNS1_11target_archE1201ELNS1_3gpuE5ELNS1_3repE0EEENS1_36merge_oddeven_config_static_selectorELNS0_4arch9wavefront6targetE1EEEvSL_,"axG",@progbits,_ZN7rocprim17ROCPRIM_400000_NS6detail17trampoline_kernelINS0_14default_configENS1_38merge_sort_block_merge_config_selectorIsNS0_10empty_typeEEEZZNS1_27merge_sort_block_merge_implIS3_N6thrust23THRUST_200600_302600_NS6detail15normal_iteratorINS9_10device_ptrIsEEEEPS5_jNS1_19radix_merge_compareILb0ELb1EsNS0_19identity_decomposerEEEEE10hipError_tT0_T1_T2_jT3_P12ihipStream_tbPNSt15iterator_traitsISK_E10value_typeEPNSQ_ISL_E10value_typeEPSM_NS1_7vsmem_tEENKUlT_SK_SL_SM_E_clISE_PsSF_SF_EESJ_SZ_SK_SL_SM_EUlSZ_E1_NS1_11comp_targetILNS1_3genE10ELNS1_11target_archE1201ELNS1_3gpuE5ELNS1_3repE0EEENS1_36merge_oddeven_config_static_selectorELNS0_4arch9wavefront6targetE1EEEvSL_,comdat
.Lfunc_end1916:
	.size	_ZN7rocprim17ROCPRIM_400000_NS6detail17trampoline_kernelINS0_14default_configENS1_38merge_sort_block_merge_config_selectorIsNS0_10empty_typeEEEZZNS1_27merge_sort_block_merge_implIS3_N6thrust23THRUST_200600_302600_NS6detail15normal_iteratorINS9_10device_ptrIsEEEEPS5_jNS1_19radix_merge_compareILb0ELb1EsNS0_19identity_decomposerEEEEE10hipError_tT0_T1_T2_jT3_P12ihipStream_tbPNSt15iterator_traitsISK_E10value_typeEPNSQ_ISL_E10value_typeEPSM_NS1_7vsmem_tEENKUlT_SK_SL_SM_E_clISE_PsSF_SF_EESJ_SZ_SK_SL_SM_EUlSZ_E1_NS1_11comp_targetILNS1_3genE10ELNS1_11target_archE1201ELNS1_3gpuE5ELNS1_3repE0EEENS1_36merge_oddeven_config_static_selectorELNS0_4arch9wavefront6targetE1EEEvSL_, .Lfunc_end1916-_ZN7rocprim17ROCPRIM_400000_NS6detail17trampoline_kernelINS0_14default_configENS1_38merge_sort_block_merge_config_selectorIsNS0_10empty_typeEEEZZNS1_27merge_sort_block_merge_implIS3_N6thrust23THRUST_200600_302600_NS6detail15normal_iteratorINS9_10device_ptrIsEEEEPS5_jNS1_19radix_merge_compareILb0ELb1EsNS0_19identity_decomposerEEEEE10hipError_tT0_T1_T2_jT3_P12ihipStream_tbPNSt15iterator_traitsISK_E10value_typeEPNSQ_ISL_E10value_typeEPSM_NS1_7vsmem_tEENKUlT_SK_SL_SM_E_clISE_PsSF_SF_EESJ_SZ_SK_SL_SM_EUlSZ_E1_NS1_11comp_targetILNS1_3genE10ELNS1_11target_archE1201ELNS1_3gpuE5ELNS1_3repE0EEENS1_36merge_oddeven_config_static_selectorELNS0_4arch9wavefront6targetE1EEEvSL_
                                        ; -- End function
	.section	.AMDGPU.csdata,"",@progbits
; Kernel info:
; codeLenInByte = 0
; NumSgprs: 4
; NumVgprs: 0
; NumAgprs: 0
; TotalNumVgprs: 0
; ScratchSize: 0
; MemoryBound: 0
; FloatMode: 240
; IeeeMode: 1
; LDSByteSize: 0 bytes/workgroup (compile time only)
; SGPRBlocks: 0
; VGPRBlocks: 0
; NumSGPRsForWavesPerEU: 4
; NumVGPRsForWavesPerEU: 1
; AccumOffset: 4
; Occupancy: 8
; WaveLimiterHint : 0
; COMPUTE_PGM_RSRC2:SCRATCH_EN: 0
; COMPUTE_PGM_RSRC2:USER_SGPR: 6
; COMPUTE_PGM_RSRC2:TRAP_HANDLER: 0
; COMPUTE_PGM_RSRC2:TGID_X_EN: 1
; COMPUTE_PGM_RSRC2:TGID_Y_EN: 0
; COMPUTE_PGM_RSRC2:TGID_Z_EN: 0
; COMPUTE_PGM_RSRC2:TIDIG_COMP_CNT: 0
; COMPUTE_PGM_RSRC3_GFX90A:ACCUM_OFFSET: 0
; COMPUTE_PGM_RSRC3_GFX90A:TG_SPLIT: 0
	.section	.text._ZN7rocprim17ROCPRIM_400000_NS6detail17trampoline_kernelINS0_14default_configENS1_38merge_sort_block_merge_config_selectorIsNS0_10empty_typeEEEZZNS1_27merge_sort_block_merge_implIS3_N6thrust23THRUST_200600_302600_NS6detail15normal_iteratorINS9_10device_ptrIsEEEEPS5_jNS1_19radix_merge_compareILb0ELb1EsNS0_19identity_decomposerEEEEE10hipError_tT0_T1_T2_jT3_P12ihipStream_tbPNSt15iterator_traitsISK_E10value_typeEPNSQ_ISL_E10value_typeEPSM_NS1_7vsmem_tEENKUlT_SK_SL_SM_E_clISE_PsSF_SF_EESJ_SZ_SK_SL_SM_EUlSZ_E1_NS1_11comp_targetILNS1_3genE5ELNS1_11target_archE942ELNS1_3gpuE9ELNS1_3repE0EEENS1_36merge_oddeven_config_static_selectorELNS0_4arch9wavefront6targetE1EEEvSL_,"axG",@progbits,_ZN7rocprim17ROCPRIM_400000_NS6detail17trampoline_kernelINS0_14default_configENS1_38merge_sort_block_merge_config_selectorIsNS0_10empty_typeEEEZZNS1_27merge_sort_block_merge_implIS3_N6thrust23THRUST_200600_302600_NS6detail15normal_iteratorINS9_10device_ptrIsEEEEPS5_jNS1_19radix_merge_compareILb0ELb1EsNS0_19identity_decomposerEEEEE10hipError_tT0_T1_T2_jT3_P12ihipStream_tbPNSt15iterator_traitsISK_E10value_typeEPNSQ_ISL_E10value_typeEPSM_NS1_7vsmem_tEENKUlT_SK_SL_SM_E_clISE_PsSF_SF_EESJ_SZ_SK_SL_SM_EUlSZ_E1_NS1_11comp_targetILNS1_3genE5ELNS1_11target_archE942ELNS1_3gpuE9ELNS1_3repE0EEENS1_36merge_oddeven_config_static_selectorELNS0_4arch9wavefront6targetE1EEEvSL_,comdat
	.protected	_ZN7rocprim17ROCPRIM_400000_NS6detail17trampoline_kernelINS0_14default_configENS1_38merge_sort_block_merge_config_selectorIsNS0_10empty_typeEEEZZNS1_27merge_sort_block_merge_implIS3_N6thrust23THRUST_200600_302600_NS6detail15normal_iteratorINS9_10device_ptrIsEEEEPS5_jNS1_19radix_merge_compareILb0ELb1EsNS0_19identity_decomposerEEEEE10hipError_tT0_T1_T2_jT3_P12ihipStream_tbPNSt15iterator_traitsISK_E10value_typeEPNSQ_ISL_E10value_typeEPSM_NS1_7vsmem_tEENKUlT_SK_SL_SM_E_clISE_PsSF_SF_EESJ_SZ_SK_SL_SM_EUlSZ_E1_NS1_11comp_targetILNS1_3genE5ELNS1_11target_archE942ELNS1_3gpuE9ELNS1_3repE0EEENS1_36merge_oddeven_config_static_selectorELNS0_4arch9wavefront6targetE1EEEvSL_ ; -- Begin function _ZN7rocprim17ROCPRIM_400000_NS6detail17trampoline_kernelINS0_14default_configENS1_38merge_sort_block_merge_config_selectorIsNS0_10empty_typeEEEZZNS1_27merge_sort_block_merge_implIS3_N6thrust23THRUST_200600_302600_NS6detail15normal_iteratorINS9_10device_ptrIsEEEEPS5_jNS1_19radix_merge_compareILb0ELb1EsNS0_19identity_decomposerEEEEE10hipError_tT0_T1_T2_jT3_P12ihipStream_tbPNSt15iterator_traitsISK_E10value_typeEPNSQ_ISL_E10value_typeEPSM_NS1_7vsmem_tEENKUlT_SK_SL_SM_E_clISE_PsSF_SF_EESJ_SZ_SK_SL_SM_EUlSZ_E1_NS1_11comp_targetILNS1_3genE5ELNS1_11target_archE942ELNS1_3gpuE9ELNS1_3repE0EEENS1_36merge_oddeven_config_static_selectorELNS0_4arch9wavefront6targetE1EEEvSL_
	.globl	_ZN7rocprim17ROCPRIM_400000_NS6detail17trampoline_kernelINS0_14default_configENS1_38merge_sort_block_merge_config_selectorIsNS0_10empty_typeEEEZZNS1_27merge_sort_block_merge_implIS3_N6thrust23THRUST_200600_302600_NS6detail15normal_iteratorINS9_10device_ptrIsEEEEPS5_jNS1_19radix_merge_compareILb0ELb1EsNS0_19identity_decomposerEEEEE10hipError_tT0_T1_T2_jT3_P12ihipStream_tbPNSt15iterator_traitsISK_E10value_typeEPNSQ_ISL_E10value_typeEPSM_NS1_7vsmem_tEENKUlT_SK_SL_SM_E_clISE_PsSF_SF_EESJ_SZ_SK_SL_SM_EUlSZ_E1_NS1_11comp_targetILNS1_3genE5ELNS1_11target_archE942ELNS1_3gpuE9ELNS1_3repE0EEENS1_36merge_oddeven_config_static_selectorELNS0_4arch9wavefront6targetE1EEEvSL_
	.p2align	8
	.type	_ZN7rocprim17ROCPRIM_400000_NS6detail17trampoline_kernelINS0_14default_configENS1_38merge_sort_block_merge_config_selectorIsNS0_10empty_typeEEEZZNS1_27merge_sort_block_merge_implIS3_N6thrust23THRUST_200600_302600_NS6detail15normal_iteratorINS9_10device_ptrIsEEEEPS5_jNS1_19radix_merge_compareILb0ELb1EsNS0_19identity_decomposerEEEEE10hipError_tT0_T1_T2_jT3_P12ihipStream_tbPNSt15iterator_traitsISK_E10value_typeEPNSQ_ISL_E10value_typeEPSM_NS1_7vsmem_tEENKUlT_SK_SL_SM_E_clISE_PsSF_SF_EESJ_SZ_SK_SL_SM_EUlSZ_E1_NS1_11comp_targetILNS1_3genE5ELNS1_11target_archE942ELNS1_3gpuE9ELNS1_3repE0EEENS1_36merge_oddeven_config_static_selectorELNS0_4arch9wavefront6targetE1EEEvSL_,@function
_ZN7rocprim17ROCPRIM_400000_NS6detail17trampoline_kernelINS0_14default_configENS1_38merge_sort_block_merge_config_selectorIsNS0_10empty_typeEEEZZNS1_27merge_sort_block_merge_implIS3_N6thrust23THRUST_200600_302600_NS6detail15normal_iteratorINS9_10device_ptrIsEEEEPS5_jNS1_19radix_merge_compareILb0ELb1EsNS0_19identity_decomposerEEEEE10hipError_tT0_T1_T2_jT3_P12ihipStream_tbPNSt15iterator_traitsISK_E10value_typeEPNSQ_ISL_E10value_typeEPSM_NS1_7vsmem_tEENKUlT_SK_SL_SM_E_clISE_PsSF_SF_EESJ_SZ_SK_SL_SM_EUlSZ_E1_NS1_11comp_targetILNS1_3genE5ELNS1_11target_archE942ELNS1_3gpuE9ELNS1_3repE0EEENS1_36merge_oddeven_config_static_selectorELNS0_4arch9wavefront6targetE1EEEvSL_: ; @_ZN7rocprim17ROCPRIM_400000_NS6detail17trampoline_kernelINS0_14default_configENS1_38merge_sort_block_merge_config_selectorIsNS0_10empty_typeEEEZZNS1_27merge_sort_block_merge_implIS3_N6thrust23THRUST_200600_302600_NS6detail15normal_iteratorINS9_10device_ptrIsEEEEPS5_jNS1_19radix_merge_compareILb0ELb1EsNS0_19identity_decomposerEEEEE10hipError_tT0_T1_T2_jT3_P12ihipStream_tbPNSt15iterator_traitsISK_E10value_typeEPNSQ_ISL_E10value_typeEPSM_NS1_7vsmem_tEENKUlT_SK_SL_SM_E_clISE_PsSF_SF_EESJ_SZ_SK_SL_SM_EUlSZ_E1_NS1_11comp_targetILNS1_3genE5ELNS1_11target_archE942ELNS1_3gpuE9ELNS1_3repE0EEENS1_36merge_oddeven_config_static_selectorELNS0_4arch9wavefront6targetE1EEEvSL_
; %bb.0:
	.section	.rodata,"a",@progbits
	.p2align	6, 0x0
	.amdhsa_kernel _ZN7rocprim17ROCPRIM_400000_NS6detail17trampoline_kernelINS0_14default_configENS1_38merge_sort_block_merge_config_selectorIsNS0_10empty_typeEEEZZNS1_27merge_sort_block_merge_implIS3_N6thrust23THRUST_200600_302600_NS6detail15normal_iteratorINS9_10device_ptrIsEEEEPS5_jNS1_19radix_merge_compareILb0ELb1EsNS0_19identity_decomposerEEEEE10hipError_tT0_T1_T2_jT3_P12ihipStream_tbPNSt15iterator_traitsISK_E10value_typeEPNSQ_ISL_E10value_typeEPSM_NS1_7vsmem_tEENKUlT_SK_SL_SM_E_clISE_PsSF_SF_EESJ_SZ_SK_SL_SM_EUlSZ_E1_NS1_11comp_targetILNS1_3genE5ELNS1_11target_archE942ELNS1_3gpuE9ELNS1_3repE0EEENS1_36merge_oddeven_config_static_selectorELNS0_4arch9wavefront6targetE1EEEvSL_
		.amdhsa_group_segment_fixed_size 0
		.amdhsa_private_segment_fixed_size 0
		.amdhsa_kernarg_size 48
		.amdhsa_user_sgpr_count 6
		.amdhsa_user_sgpr_private_segment_buffer 1
		.amdhsa_user_sgpr_dispatch_ptr 0
		.amdhsa_user_sgpr_queue_ptr 0
		.amdhsa_user_sgpr_kernarg_segment_ptr 1
		.amdhsa_user_sgpr_dispatch_id 0
		.amdhsa_user_sgpr_flat_scratch_init 0
		.amdhsa_user_sgpr_kernarg_preload_length 0
		.amdhsa_user_sgpr_kernarg_preload_offset 0
		.amdhsa_user_sgpr_private_segment_size 0
		.amdhsa_uses_dynamic_stack 0
		.amdhsa_system_sgpr_private_segment_wavefront_offset 0
		.amdhsa_system_sgpr_workgroup_id_x 1
		.amdhsa_system_sgpr_workgroup_id_y 0
		.amdhsa_system_sgpr_workgroup_id_z 0
		.amdhsa_system_sgpr_workgroup_info 0
		.amdhsa_system_vgpr_workitem_id 0
		.amdhsa_next_free_vgpr 1
		.amdhsa_next_free_sgpr 0
		.amdhsa_accum_offset 4
		.amdhsa_reserve_vcc 0
		.amdhsa_reserve_flat_scratch 0
		.amdhsa_float_round_mode_32 0
		.amdhsa_float_round_mode_16_64 0
		.amdhsa_float_denorm_mode_32 3
		.amdhsa_float_denorm_mode_16_64 3
		.amdhsa_dx10_clamp 1
		.amdhsa_ieee_mode 1
		.amdhsa_fp16_overflow 0
		.amdhsa_tg_split 0
		.amdhsa_exception_fp_ieee_invalid_op 0
		.amdhsa_exception_fp_denorm_src 0
		.amdhsa_exception_fp_ieee_div_zero 0
		.amdhsa_exception_fp_ieee_overflow 0
		.amdhsa_exception_fp_ieee_underflow 0
		.amdhsa_exception_fp_ieee_inexact 0
		.amdhsa_exception_int_div_zero 0
	.end_amdhsa_kernel
	.section	.text._ZN7rocprim17ROCPRIM_400000_NS6detail17trampoline_kernelINS0_14default_configENS1_38merge_sort_block_merge_config_selectorIsNS0_10empty_typeEEEZZNS1_27merge_sort_block_merge_implIS3_N6thrust23THRUST_200600_302600_NS6detail15normal_iteratorINS9_10device_ptrIsEEEEPS5_jNS1_19radix_merge_compareILb0ELb1EsNS0_19identity_decomposerEEEEE10hipError_tT0_T1_T2_jT3_P12ihipStream_tbPNSt15iterator_traitsISK_E10value_typeEPNSQ_ISL_E10value_typeEPSM_NS1_7vsmem_tEENKUlT_SK_SL_SM_E_clISE_PsSF_SF_EESJ_SZ_SK_SL_SM_EUlSZ_E1_NS1_11comp_targetILNS1_3genE5ELNS1_11target_archE942ELNS1_3gpuE9ELNS1_3repE0EEENS1_36merge_oddeven_config_static_selectorELNS0_4arch9wavefront6targetE1EEEvSL_,"axG",@progbits,_ZN7rocprim17ROCPRIM_400000_NS6detail17trampoline_kernelINS0_14default_configENS1_38merge_sort_block_merge_config_selectorIsNS0_10empty_typeEEEZZNS1_27merge_sort_block_merge_implIS3_N6thrust23THRUST_200600_302600_NS6detail15normal_iteratorINS9_10device_ptrIsEEEEPS5_jNS1_19radix_merge_compareILb0ELb1EsNS0_19identity_decomposerEEEEE10hipError_tT0_T1_T2_jT3_P12ihipStream_tbPNSt15iterator_traitsISK_E10value_typeEPNSQ_ISL_E10value_typeEPSM_NS1_7vsmem_tEENKUlT_SK_SL_SM_E_clISE_PsSF_SF_EESJ_SZ_SK_SL_SM_EUlSZ_E1_NS1_11comp_targetILNS1_3genE5ELNS1_11target_archE942ELNS1_3gpuE9ELNS1_3repE0EEENS1_36merge_oddeven_config_static_selectorELNS0_4arch9wavefront6targetE1EEEvSL_,comdat
.Lfunc_end1917:
	.size	_ZN7rocprim17ROCPRIM_400000_NS6detail17trampoline_kernelINS0_14default_configENS1_38merge_sort_block_merge_config_selectorIsNS0_10empty_typeEEEZZNS1_27merge_sort_block_merge_implIS3_N6thrust23THRUST_200600_302600_NS6detail15normal_iteratorINS9_10device_ptrIsEEEEPS5_jNS1_19radix_merge_compareILb0ELb1EsNS0_19identity_decomposerEEEEE10hipError_tT0_T1_T2_jT3_P12ihipStream_tbPNSt15iterator_traitsISK_E10value_typeEPNSQ_ISL_E10value_typeEPSM_NS1_7vsmem_tEENKUlT_SK_SL_SM_E_clISE_PsSF_SF_EESJ_SZ_SK_SL_SM_EUlSZ_E1_NS1_11comp_targetILNS1_3genE5ELNS1_11target_archE942ELNS1_3gpuE9ELNS1_3repE0EEENS1_36merge_oddeven_config_static_selectorELNS0_4arch9wavefront6targetE1EEEvSL_, .Lfunc_end1917-_ZN7rocprim17ROCPRIM_400000_NS6detail17trampoline_kernelINS0_14default_configENS1_38merge_sort_block_merge_config_selectorIsNS0_10empty_typeEEEZZNS1_27merge_sort_block_merge_implIS3_N6thrust23THRUST_200600_302600_NS6detail15normal_iteratorINS9_10device_ptrIsEEEEPS5_jNS1_19radix_merge_compareILb0ELb1EsNS0_19identity_decomposerEEEEE10hipError_tT0_T1_T2_jT3_P12ihipStream_tbPNSt15iterator_traitsISK_E10value_typeEPNSQ_ISL_E10value_typeEPSM_NS1_7vsmem_tEENKUlT_SK_SL_SM_E_clISE_PsSF_SF_EESJ_SZ_SK_SL_SM_EUlSZ_E1_NS1_11comp_targetILNS1_3genE5ELNS1_11target_archE942ELNS1_3gpuE9ELNS1_3repE0EEENS1_36merge_oddeven_config_static_selectorELNS0_4arch9wavefront6targetE1EEEvSL_
                                        ; -- End function
	.section	.AMDGPU.csdata,"",@progbits
; Kernel info:
; codeLenInByte = 0
; NumSgprs: 4
; NumVgprs: 0
; NumAgprs: 0
; TotalNumVgprs: 0
; ScratchSize: 0
; MemoryBound: 0
; FloatMode: 240
; IeeeMode: 1
; LDSByteSize: 0 bytes/workgroup (compile time only)
; SGPRBlocks: 0
; VGPRBlocks: 0
; NumSGPRsForWavesPerEU: 4
; NumVGPRsForWavesPerEU: 1
; AccumOffset: 4
; Occupancy: 8
; WaveLimiterHint : 0
; COMPUTE_PGM_RSRC2:SCRATCH_EN: 0
; COMPUTE_PGM_RSRC2:USER_SGPR: 6
; COMPUTE_PGM_RSRC2:TRAP_HANDLER: 0
; COMPUTE_PGM_RSRC2:TGID_X_EN: 1
; COMPUTE_PGM_RSRC2:TGID_Y_EN: 0
; COMPUTE_PGM_RSRC2:TGID_Z_EN: 0
; COMPUTE_PGM_RSRC2:TIDIG_COMP_CNT: 0
; COMPUTE_PGM_RSRC3_GFX90A:ACCUM_OFFSET: 0
; COMPUTE_PGM_RSRC3_GFX90A:TG_SPLIT: 0
	.section	.text._ZN7rocprim17ROCPRIM_400000_NS6detail17trampoline_kernelINS0_14default_configENS1_38merge_sort_block_merge_config_selectorIsNS0_10empty_typeEEEZZNS1_27merge_sort_block_merge_implIS3_N6thrust23THRUST_200600_302600_NS6detail15normal_iteratorINS9_10device_ptrIsEEEEPS5_jNS1_19radix_merge_compareILb0ELb1EsNS0_19identity_decomposerEEEEE10hipError_tT0_T1_T2_jT3_P12ihipStream_tbPNSt15iterator_traitsISK_E10value_typeEPNSQ_ISL_E10value_typeEPSM_NS1_7vsmem_tEENKUlT_SK_SL_SM_E_clISE_PsSF_SF_EESJ_SZ_SK_SL_SM_EUlSZ_E1_NS1_11comp_targetILNS1_3genE4ELNS1_11target_archE910ELNS1_3gpuE8ELNS1_3repE0EEENS1_36merge_oddeven_config_static_selectorELNS0_4arch9wavefront6targetE1EEEvSL_,"axG",@progbits,_ZN7rocprim17ROCPRIM_400000_NS6detail17trampoline_kernelINS0_14default_configENS1_38merge_sort_block_merge_config_selectorIsNS0_10empty_typeEEEZZNS1_27merge_sort_block_merge_implIS3_N6thrust23THRUST_200600_302600_NS6detail15normal_iteratorINS9_10device_ptrIsEEEEPS5_jNS1_19radix_merge_compareILb0ELb1EsNS0_19identity_decomposerEEEEE10hipError_tT0_T1_T2_jT3_P12ihipStream_tbPNSt15iterator_traitsISK_E10value_typeEPNSQ_ISL_E10value_typeEPSM_NS1_7vsmem_tEENKUlT_SK_SL_SM_E_clISE_PsSF_SF_EESJ_SZ_SK_SL_SM_EUlSZ_E1_NS1_11comp_targetILNS1_3genE4ELNS1_11target_archE910ELNS1_3gpuE8ELNS1_3repE0EEENS1_36merge_oddeven_config_static_selectorELNS0_4arch9wavefront6targetE1EEEvSL_,comdat
	.protected	_ZN7rocprim17ROCPRIM_400000_NS6detail17trampoline_kernelINS0_14default_configENS1_38merge_sort_block_merge_config_selectorIsNS0_10empty_typeEEEZZNS1_27merge_sort_block_merge_implIS3_N6thrust23THRUST_200600_302600_NS6detail15normal_iteratorINS9_10device_ptrIsEEEEPS5_jNS1_19radix_merge_compareILb0ELb1EsNS0_19identity_decomposerEEEEE10hipError_tT0_T1_T2_jT3_P12ihipStream_tbPNSt15iterator_traitsISK_E10value_typeEPNSQ_ISL_E10value_typeEPSM_NS1_7vsmem_tEENKUlT_SK_SL_SM_E_clISE_PsSF_SF_EESJ_SZ_SK_SL_SM_EUlSZ_E1_NS1_11comp_targetILNS1_3genE4ELNS1_11target_archE910ELNS1_3gpuE8ELNS1_3repE0EEENS1_36merge_oddeven_config_static_selectorELNS0_4arch9wavefront6targetE1EEEvSL_ ; -- Begin function _ZN7rocprim17ROCPRIM_400000_NS6detail17trampoline_kernelINS0_14default_configENS1_38merge_sort_block_merge_config_selectorIsNS0_10empty_typeEEEZZNS1_27merge_sort_block_merge_implIS3_N6thrust23THRUST_200600_302600_NS6detail15normal_iteratorINS9_10device_ptrIsEEEEPS5_jNS1_19radix_merge_compareILb0ELb1EsNS0_19identity_decomposerEEEEE10hipError_tT0_T1_T2_jT3_P12ihipStream_tbPNSt15iterator_traitsISK_E10value_typeEPNSQ_ISL_E10value_typeEPSM_NS1_7vsmem_tEENKUlT_SK_SL_SM_E_clISE_PsSF_SF_EESJ_SZ_SK_SL_SM_EUlSZ_E1_NS1_11comp_targetILNS1_3genE4ELNS1_11target_archE910ELNS1_3gpuE8ELNS1_3repE0EEENS1_36merge_oddeven_config_static_selectorELNS0_4arch9wavefront6targetE1EEEvSL_
	.globl	_ZN7rocprim17ROCPRIM_400000_NS6detail17trampoline_kernelINS0_14default_configENS1_38merge_sort_block_merge_config_selectorIsNS0_10empty_typeEEEZZNS1_27merge_sort_block_merge_implIS3_N6thrust23THRUST_200600_302600_NS6detail15normal_iteratorINS9_10device_ptrIsEEEEPS5_jNS1_19radix_merge_compareILb0ELb1EsNS0_19identity_decomposerEEEEE10hipError_tT0_T1_T2_jT3_P12ihipStream_tbPNSt15iterator_traitsISK_E10value_typeEPNSQ_ISL_E10value_typeEPSM_NS1_7vsmem_tEENKUlT_SK_SL_SM_E_clISE_PsSF_SF_EESJ_SZ_SK_SL_SM_EUlSZ_E1_NS1_11comp_targetILNS1_3genE4ELNS1_11target_archE910ELNS1_3gpuE8ELNS1_3repE0EEENS1_36merge_oddeven_config_static_selectorELNS0_4arch9wavefront6targetE1EEEvSL_
	.p2align	8
	.type	_ZN7rocprim17ROCPRIM_400000_NS6detail17trampoline_kernelINS0_14default_configENS1_38merge_sort_block_merge_config_selectorIsNS0_10empty_typeEEEZZNS1_27merge_sort_block_merge_implIS3_N6thrust23THRUST_200600_302600_NS6detail15normal_iteratorINS9_10device_ptrIsEEEEPS5_jNS1_19radix_merge_compareILb0ELb1EsNS0_19identity_decomposerEEEEE10hipError_tT0_T1_T2_jT3_P12ihipStream_tbPNSt15iterator_traitsISK_E10value_typeEPNSQ_ISL_E10value_typeEPSM_NS1_7vsmem_tEENKUlT_SK_SL_SM_E_clISE_PsSF_SF_EESJ_SZ_SK_SL_SM_EUlSZ_E1_NS1_11comp_targetILNS1_3genE4ELNS1_11target_archE910ELNS1_3gpuE8ELNS1_3repE0EEENS1_36merge_oddeven_config_static_selectorELNS0_4arch9wavefront6targetE1EEEvSL_,@function
_ZN7rocprim17ROCPRIM_400000_NS6detail17trampoline_kernelINS0_14default_configENS1_38merge_sort_block_merge_config_selectorIsNS0_10empty_typeEEEZZNS1_27merge_sort_block_merge_implIS3_N6thrust23THRUST_200600_302600_NS6detail15normal_iteratorINS9_10device_ptrIsEEEEPS5_jNS1_19radix_merge_compareILb0ELb1EsNS0_19identity_decomposerEEEEE10hipError_tT0_T1_T2_jT3_P12ihipStream_tbPNSt15iterator_traitsISK_E10value_typeEPNSQ_ISL_E10value_typeEPSM_NS1_7vsmem_tEENKUlT_SK_SL_SM_E_clISE_PsSF_SF_EESJ_SZ_SK_SL_SM_EUlSZ_E1_NS1_11comp_targetILNS1_3genE4ELNS1_11target_archE910ELNS1_3gpuE8ELNS1_3repE0EEENS1_36merge_oddeven_config_static_selectorELNS0_4arch9wavefront6targetE1EEEvSL_: ; @_ZN7rocprim17ROCPRIM_400000_NS6detail17trampoline_kernelINS0_14default_configENS1_38merge_sort_block_merge_config_selectorIsNS0_10empty_typeEEEZZNS1_27merge_sort_block_merge_implIS3_N6thrust23THRUST_200600_302600_NS6detail15normal_iteratorINS9_10device_ptrIsEEEEPS5_jNS1_19radix_merge_compareILb0ELb1EsNS0_19identity_decomposerEEEEE10hipError_tT0_T1_T2_jT3_P12ihipStream_tbPNSt15iterator_traitsISK_E10value_typeEPNSQ_ISL_E10value_typeEPSM_NS1_7vsmem_tEENKUlT_SK_SL_SM_E_clISE_PsSF_SF_EESJ_SZ_SK_SL_SM_EUlSZ_E1_NS1_11comp_targetILNS1_3genE4ELNS1_11target_archE910ELNS1_3gpuE8ELNS1_3repE0EEENS1_36merge_oddeven_config_static_selectorELNS0_4arch9wavefront6targetE1EEEvSL_
; %bb.0:
	s_load_dword s18, s[4:5], 0x20
	s_waitcnt lgkmcnt(0)
	s_lshr_b32 s0, s18, 8
	s_cmp_lg_u32 s6, s0
	s_cselect_b64 s[14:15], -1, 0
	s_cmp_eq_u32 s6, s0
	s_cselect_b64 s[12:13], -1, 0
	s_lshl_b32 s16, s6, 8
	s_sub_i32 s0, s18, s16
	v_cmp_gt_u32_e64 s[2:3], s0, v0
	s_or_b64 s[0:1], s[14:15], s[2:3]
	s_and_saveexec_b64 s[8:9], s[0:1]
	s_cbranch_execz .LBB1918_20
; %bb.1:
	s_load_dwordx4 s[8:11], s[4:5], 0x0
	s_load_dword s19, s[4:5], 0x24
	s_mov_b32 s17, 0
	s_lshl_b64 s[0:1], s[16:17], 1
	v_lshlrev_b32_e32 v1, 1, v0
	s_waitcnt lgkmcnt(0)
	s_add_u32 s0, s8, s0
	s_addc_u32 s1, s9, s1
	global_load_ushort v2, v1, s[0:1]
	s_lshr_b32 s0, s19, 8
	s_sub_i32 s1, 0, s0
	s_and_b32 s1, s6, s1
	s_and_b32 s0, s1, s0
	s_lshl_b32 s20, s1, 8
	s_sub_i32 s17, 0, s19
	s_cmp_eq_u32 s0, 0
	s_cselect_b64 s[0:1], -1, 0
	s_and_b64 s[6:7], s[0:1], exec
	s_cselect_b32 s17, s19, s17
	s_add_i32 s17, s17, s20
	s_cmp_lt_u32 s17, s18
	v_add_u32_e32 v0, s16, v0
	s_cbranch_scc1 .LBB1918_3
; %bb.2:
	v_cmp_gt_u32_e32 vcc, s18, v0
	s_or_b64 s[6:7], vcc, s[14:15]
	s_and_b64 s[6:7], s[6:7], exec
	s_cbranch_execz .LBB1918_4
	s_branch .LBB1918_18
.LBB1918_3:
	s_mov_b64 s[6:7], 0
.LBB1918_4:
	s_load_dword s14, s[4:5], 0x28
	s_min_u32 s15, s17, s18
	s_add_i32 s4, s15, s19
	s_min_u32 s16, s4, s18
	s_min_u32 s4, s20, s15
	s_add_i32 s20, s20, s15
	v_subrev_u32_e32 v0, s20, v0
	v_add_u32_e32 v1, s4, v0
	s_and_b64 vcc, exec, s[12:13]
	s_cbranch_vccz .LBB1918_12
; %bb.5:
                                        ; implicit-def: $vgpr0
	s_and_saveexec_b64 s[4:5], s[2:3]
	s_cbranch_execz .LBB1918_11
; %bb.6:
	s_cmp_ge_u32 s17, s16
	v_mov_b32_e32 v0, s15
	s_cbranch_scc1 .LBB1918_10
; %bb.7:
	s_waitcnt vmcnt(0) lgkmcnt(0)
	v_and_b32_e32 v3, s14, v2
	s_mov_b64 s[2:3], 0
	v_mov_b32_e32 v4, s16
	v_mov_b32_e32 v0, s15
.LBB1918_8:                             ; =>This Inner Loop Header: Depth=1
	v_add_u32_e32 v5, v0, v4
	v_and_b32_e32 v6, -2, v5
	global_load_ushort v6, v6, s[8:9]
	v_lshrrev_b32_e32 v5, 1, v5
	v_add_u32_e32 v7, 1, v5
	s_waitcnt vmcnt(0)
	v_and_b32_e32 v6, s14, v6
	v_cmp_gt_i16_e32 vcc, v3, v6
	v_cndmask_b32_e64 v8, 0, 1, vcc
	v_cmp_le_i16_e32 vcc, v6, v3
	v_cndmask_b32_e64 v6, 0, 1, vcc
	v_cndmask_b32_e64 v6, v6, v8, s[0:1]
	v_and_b32_e32 v6, 1, v6
	v_cmp_eq_u32_e32 vcc, 1, v6
	v_cndmask_b32_e32 v4, v5, v4, vcc
	v_cndmask_b32_e32 v0, v0, v7, vcc
	v_cmp_ge_u32_e32 vcc, v0, v4
	s_or_b64 s[2:3], vcc, s[2:3]
	s_andn2_b64 exec, exec, s[2:3]
	s_cbranch_execnz .LBB1918_8
; %bb.9:
	s_or_b64 exec, exec, s[2:3]
.LBB1918_10:
	v_add_u32_e32 v0, v0, v1
	s_or_b64 s[6:7], s[6:7], exec
.LBB1918_11:
	s_or_b64 exec, exec, s[4:5]
	s_branch .LBB1918_18
.LBB1918_12:
                                        ; implicit-def: $vgpr0
	s_cbranch_execz .LBB1918_18
; %bb.13:
	s_cmp_ge_u32 s17, s16
	v_mov_b32_e32 v0, s15
	s_cbranch_scc1 .LBB1918_17
; %bb.14:
	s_waitcnt vmcnt(0) lgkmcnt(0)
	v_and_b32_e32 v3, s14, v2
	s_mov_b64 s[2:3], 0
	v_mov_b32_e32 v4, s16
	v_mov_b32_e32 v0, s15
.LBB1918_15:                            ; =>This Inner Loop Header: Depth=1
	v_add_u32_e32 v5, v0, v4
	v_and_b32_e32 v6, -2, v5
	global_load_ushort v6, v6, s[8:9]
	v_lshrrev_b32_e32 v5, 1, v5
	v_add_u32_e32 v7, 1, v5
	s_waitcnt vmcnt(0)
	v_and_b32_e32 v6, s14, v6
	v_cmp_gt_i16_e32 vcc, v3, v6
	v_cndmask_b32_e64 v8, 0, 1, vcc
	v_cmp_le_i16_e32 vcc, v6, v3
	v_cndmask_b32_e64 v6, 0, 1, vcc
	v_cndmask_b32_e64 v6, v6, v8, s[0:1]
	v_and_b32_e32 v6, 1, v6
	v_cmp_eq_u32_e32 vcc, 1, v6
	v_cndmask_b32_e32 v4, v5, v4, vcc
	v_cndmask_b32_e32 v0, v0, v7, vcc
	v_cmp_ge_u32_e32 vcc, v0, v4
	s_or_b64 s[2:3], vcc, s[2:3]
	s_andn2_b64 exec, exec, s[2:3]
	s_cbranch_execnz .LBB1918_15
; %bb.16:
	s_or_b64 exec, exec, s[2:3]
.LBB1918_17:
	v_add_u32_e32 v0, v0, v1
	s_mov_b64 s[6:7], -1
.LBB1918_18:
	s_and_b64 exec, exec, s[6:7]
	s_cbranch_execz .LBB1918_20
; %bb.19:
	v_mov_b32_e32 v1, 0
	v_lshlrev_b64 v[0:1], 1, v[0:1]
	v_mov_b32_e32 v3, s11
	v_add_co_u32_e32 v0, vcc, s10, v0
	v_addc_co_u32_e32 v1, vcc, v3, v1, vcc
	s_waitcnt vmcnt(0)
	global_store_short v[0:1], v2, off
.LBB1918_20:
	s_endpgm
	.section	.rodata,"a",@progbits
	.p2align	6, 0x0
	.amdhsa_kernel _ZN7rocprim17ROCPRIM_400000_NS6detail17trampoline_kernelINS0_14default_configENS1_38merge_sort_block_merge_config_selectorIsNS0_10empty_typeEEEZZNS1_27merge_sort_block_merge_implIS3_N6thrust23THRUST_200600_302600_NS6detail15normal_iteratorINS9_10device_ptrIsEEEEPS5_jNS1_19radix_merge_compareILb0ELb1EsNS0_19identity_decomposerEEEEE10hipError_tT0_T1_T2_jT3_P12ihipStream_tbPNSt15iterator_traitsISK_E10value_typeEPNSQ_ISL_E10value_typeEPSM_NS1_7vsmem_tEENKUlT_SK_SL_SM_E_clISE_PsSF_SF_EESJ_SZ_SK_SL_SM_EUlSZ_E1_NS1_11comp_targetILNS1_3genE4ELNS1_11target_archE910ELNS1_3gpuE8ELNS1_3repE0EEENS1_36merge_oddeven_config_static_selectorELNS0_4arch9wavefront6targetE1EEEvSL_
		.amdhsa_group_segment_fixed_size 0
		.amdhsa_private_segment_fixed_size 0
		.amdhsa_kernarg_size 48
		.amdhsa_user_sgpr_count 6
		.amdhsa_user_sgpr_private_segment_buffer 1
		.amdhsa_user_sgpr_dispatch_ptr 0
		.amdhsa_user_sgpr_queue_ptr 0
		.amdhsa_user_sgpr_kernarg_segment_ptr 1
		.amdhsa_user_sgpr_dispatch_id 0
		.amdhsa_user_sgpr_flat_scratch_init 0
		.amdhsa_user_sgpr_kernarg_preload_length 0
		.amdhsa_user_sgpr_kernarg_preload_offset 0
		.amdhsa_user_sgpr_private_segment_size 0
		.amdhsa_uses_dynamic_stack 0
		.amdhsa_system_sgpr_private_segment_wavefront_offset 0
		.amdhsa_system_sgpr_workgroup_id_x 1
		.amdhsa_system_sgpr_workgroup_id_y 0
		.amdhsa_system_sgpr_workgroup_id_z 0
		.amdhsa_system_sgpr_workgroup_info 0
		.amdhsa_system_vgpr_workitem_id 0
		.amdhsa_next_free_vgpr 9
		.amdhsa_next_free_sgpr 21
		.amdhsa_accum_offset 12
		.amdhsa_reserve_vcc 1
		.amdhsa_reserve_flat_scratch 0
		.amdhsa_float_round_mode_32 0
		.amdhsa_float_round_mode_16_64 0
		.amdhsa_float_denorm_mode_32 3
		.amdhsa_float_denorm_mode_16_64 3
		.amdhsa_dx10_clamp 1
		.amdhsa_ieee_mode 1
		.amdhsa_fp16_overflow 0
		.amdhsa_tg_split 0
		.amdhsa_exception_fp_ieee_invalid_op 0
		.amdhsa_exception_fp_denorm_src 0
		.amdhsa_exception_fp_ieee_div_zero 0
		.amdhsa_exception_fp_ieee_overflow 0
		.amdhsa_exception_fp_ieee_underflow 0
		.amdhsa_exception_fp_ieee_inexact 0
		.amdhsa_exception_int_div_zero 0
	.end_amdhsa_kernel
	.section	.text._ZN7rocprim17ROCPRIM_400000_NS6detail17trampoline_kernelINS0_14default_configENS1_38merge_sort_block_merge_config_selectorIsNS0_10empty_typeEEEZZNS1_27merge_sort_block_merge_implIS3_N6thrust23THRUST_200600_302600_NS6detail15normal_iteratorINS9_10device_ptrIsEEEEPS5_jNS1_19radix_merge_compareILb0ELb1EsNS0_19identity_decomposerEEEEE10hipError_tT0_T1_T2_jT3_P12ihipStream_tbPNSt15iterator_traitsISK_E10value_typeEPNSQ_ISL_E10value_typeEPSM_NS1_7vsmem_tEENKUlT_SK_SL_SM_E_clISE_PsSF_SF_EESJ_SZ_SK_SL_SM_EUlSZ_E1_NS1_11comp_targetILNS1_3genE4ELNS1_11target_archE910ELNS1_3gpuE8ELNS1_3repE0EEENS1_36merge_oddeven_config_static_selectorELNS0_4arch9wavefront6targetE1EEEvSL_,"axG",@progbits,_ZN7rocprim17ROCPRIM_400000_NS6detail17trampoline_kernelINS0_14default_configENS1_38merge_sort_block_merge_config_selectorIsNS0_10empty_typeEEEZZNS1_27merge_sort_block_merge_implIS3_N6thrust23THRUST_200600_302600_NS6detail15normal_iteratorINS9_10device_ptrIsEEEEPS5_jNS1_19radix_merge_compareILb0ELb1EsNS0_19identity_decomposerEEEEE10hipError_tT0_T1_T2_jT3_P12ihipStream_tbPNSt15iterator_traitsISK_E10value_typeEPNSQ_ISL_E10value_typeEPSM_NS1_7vsmem_tEENKUlT_SK_SL_SM_E_clISE_PsSF_SF_EESJ_SZ_SK_SL_SM_EUlSZ_E1_NS1_11comp_targetILNS1_3genE4ELNS1_11target_archE910ELNS1_3gpuE8ELNS1_3repE0EEENS1_36merge_oddeven_config_static_selectorELNS0_4arch9wavefront6targetE1EEEvSL_,comdat
.Lfunc_end1918:
	.size	_ZN7rocprim17ROCPRIM_400000_NS6detail17trampoline_kernelINS0_14default_configENS1_38merge_sort_block_merge_config_selectorIsNS0_10empty_typeEEEZZNS1_27merge_sort_block_merge_implIS3_N6thrust23THRUST_200600_302600_NS6detail15normal_iteratorINS9_10device_ptrIsEEEEPS5_jNS1_19radix_merge_compareILb0ELb1EsNS0_19identity_decomposerEEEEE10hipError_tT0_T1_T2_jT3_P12ihipStream_tbPNSt15iterator_traitsISK_E10value_typeEPNSQ_ISL_E10value_typeEPSM_NS1_7vsmem_tEENKUlT_SK_SL_SM_E_clISE_PsSF_SF_EESJ_SZ_SK_SL_SM_EUlSZ_E1_NS1_11comp_targetILNS1_3genE4ELNS1_11target_archE910ELNS1_3gpuE8ELNS1_3repE0EEENS1_36merge_oddeven_config_static_selectorELNS0_4arch9wavefront6targetE1EEEvSL_, .Lfunc_end1918-_ZN7rocprim17ROCPRIM_400000_NS6detail17trampoline_kernelINS0_14default_configENS1_38merge_sort_block_merge_config_selectorIsNS0_10empty_typeEEEZZNS1_27merge_sort_block_merge_implIS3_N6thrust23THRUST_200600_302600_NS6detail15normal_iteratorINS9_10device_ptrIsEEEEPS5_jNS1_19radix_merge_compareILb0ELb1EsNS0_19identity_decomposerEEEEE10hipError_tT0_T1_T2_jT3_P12ihipStream_tbPNSt15iterator_traitsISK_E10value_typeEPNSQ_ISL_E10value_typeEPSM_NS1_7vsmem_tEENKUlT_SK_SL_SM_E_clISE_PsSF_SF_EESJ_SZ_SK_SL_SM_EUlSZ_E1_NS1_11comp_targetILNS1_3genE4ELNS1_11target_archE910ELNS1_3gpuE8ELNS1_3repE0EEENS1_36merge_oddeven_config_static_selectorELNS0_4arch9wavefront6targetE1EEEvSL_
                                        ; -- End function
	.section	.AMDGPU.csdata,"",@progbits
; Kernel info:
; codeLenInByte = 580
; NumSgprs: 25
; NumVgprs: 9
; NumAgprs: 0
; TotalNumVgprs: 9
; ScratchSize: 0
; MemoryBound: 0
; FloatMode: 240
; IeeeMode: 1
; LDSByteSize: 0 bytes/workgroup (compile time only)
; SGPRBlocks: 3
; VGPRBlocks: 1
; NumSGPRsForWavesPerEU: 25
; NumVGPRsForWavesPerEU: 9
; AccumOffset: 12
; Occupancy: 8
; WaveLimiterHint : 0
; COMPUTE_PGM_RSRC2:SCRATCH_EN: 0
; COMPUTE_PGM_RSRC2:USER_SGPR: 6
; COMPUTE_PGM_RSRC2:TRAP_HANDLER: 0
; COMPUTE_PGM_RSRC2:TGID_X_EN: 1
; COMPUTE_PGM_RSRC2:TGID_Y_EN: 0
; COMPUTE_PGM_RSRC2:TGID_Z_EN: 0
; COMPUTE_PGM_RSRC2:TIDIG_COMP_CNT: 0
; COMPUTE_PGM_RSRC3_GFX90A:ACCUM_OFFSET: 2
; COMPUTE_PGM_RSRC3_GFX90A:TG_SPLIT: 0
	.section	.text._ZN7rocprim17ROCPRIM_400000_NS6detail17trampoline_kernelINS0_14default_configENS1_38merge_sort_block_merge_config_selectorIsNS0_10empty_typeEEEZZNS1_27merge_sort_block_merge_implIS3_N6thrust23THRUST_200600_302600_NS6detail15normal_iteratorINS9_10device_ptrIsEEEEPS5_jNS1_19radix_merge_compareILb0ELb1EsNS0_19identity_decomposerEEEEE10hipError_tT0_T1_T2_jT3_P12ihipStream_tbPNSt15iterator_traitsISK_E10value_typeEPNSQ_ISL_E10value_typeEPSM_NS1_7vsmem_tEENKUlT_SK_SL_SM_E_clISE_PsSF_SF_EESJ_SZ_SK_SL_SM_EUlSZ_E1_NS1_11comp_targetILNS1_3genE3ELNS1_11target_archE908ELNS1_3gpuE7ELNS1_3repE0EEENS1_36merge_oddeven_config_static_selectorELNS0_4arch9wavefront6targetE1EEEvSL_,"axG",@progbits,_ZN7rocprim17ROCPRIM_400000_NS6detail17trampoline_kernelINS0_14default_configENS1_38merge_sort_block_merge_config_selectorIsNS0_10empty_typeEEEZZNS1_27merge_sort_block_merge_implIS3_N6thrust23THRUST_200600_302600_NS6detail15normal_iteratorINS9_10device_ptrIsEEEEPS5_jNS1_19radix_merge_compareILb0ELb1EsNS0_19identity_decomposerEEEEE10hipError_tT0_T1_T2_jT3_P12ihipStream_tbPNSt15iterator_traitsISK_E10value_typeEPNSQ_ISL_E10value_typeEPSM_NS1_7vsmem_tEENKUlT_SK_SL_SM_E_clISE_PsSF_SF_EESJ_SZ_SK_SL_SM_EUlSZ_E1_NS1_11comp_targetILNS1_3genE3ELNS1_11target_archE908ELNS1_3gpuE7ELNS1_3repE0EEENS1_36merge_oddeven_config_static_selectorELNS0_4arch9wavefront6targetE1EEEvSL_,comdat
	.protected	_ZN7rocprim17ROCPRIM_400000_NS6detail17trampoline_kernelINS0_14default_configENS1_38merge_sort_block_merge_config_selectorIsNS0_10empty_typeEEEZZNS1_27merge_sort_block_merge_implIS3_N6thrust23THRUST_200600_302600_NS6detail15normal_iteratorINS9_10device_ptrIsEEEEPS5_jNS1_19radix_merge_compareILb0ELb1EsNS0_19identity_decomposerEEEEE10hipError_tT0_T1_T2_jT3_P12ihipStream_tbPNSt15iterator_traitsISK_E10value_typeEPNSQ_ISL_E10value_typeEPSM_NS1_7vsmem_tEENKUlT_SK_SL_SM_E_clISE_PsSF_SF_EESJ_SZ_SK_SL_SM_EUlSZ_E1_NS1_11comp_targetILNS1_3genE3ELNS1_11target_archE908ELNS1_3gpuE7ELNS1_3repE0EEENS1_36merge_oddeven_config_static_selectorELNS0_4arch9wavefront6targetE1EEEvSL_ ; -- Begin function _ZN7rocprim17ROCPRIM_400000_NS6detail17trampoline_kernelINS0_14default_configENS1_38merge_sort_block_merge_config_selectorIsNS0_10empty_typeEEEZZNS1_27merge_sort_block_merge_implIS3_N6thrust23THRUST_200600_302600_NS6detail15normal_iteratorINS9_10device_ptrIsEEEEPS5_jNS1_19radix_merge_compareILb0ELb1EsNS0_19identity_decomposerEEEEE10hipError_tT0_T1_T2_jT3_P12ihipStream_tbPNSt15iterator_traitsISK_E10value_typeEPNSQ_ISL_E10value_typeEPSM_NS1_7vsmem_tEENKUlT_SK_SL_SM_E_clISE_PsSF_SF_EESJ_SZ_SK_SL_SM_EUlSZ_E1_NS1_11comp_targetILNS1_3genE3ELNS1_11target_archE908ELNS1_3gpuE7ELNS1_3repE0EEENS1_36merge_oddeven_config_static_selectorELNS0_4arch9wavefront6targetE1EEEvSL_
	.globl	_ZN7rocprim17ROCPRIM_400000_NS6detail17trampoline_kernelINS0_14default_configENS1_38merge_sort_block_merge_config_selectorIsNS0_10empty_typeEEEZZNS1_27merge_sort_block_merge_implIS3_N6thrust23THRUST_200600_302600_NS6detail15normal_iteratorINS9_10device_ptrIsEEEEPS5_jNS1_19radix_merge_compareILb0ELb1EsNS0_19identity_decomposerEEEEE10hipError_tT0_T1_T2_jT3_P12ihipStream_tbPNSt15iterator_traitsISK_E10value_typeEPNSQ_ISL_E10value_typeEPSM_NS1_7vsmem_tEENKUlT_SK_SL_SM_E_clISE_PsSF_SF_EESJ_SZ_SK_SL_SM_EUlSZ_E1_NS1_11comp_targetILNS1_3genE3ELNS1_11target_archE908ELNS1_3gpuE7ELNS1_3repE0EEENS1_36merge_oddeven_config_static_selectorELNS0_4arch9wavefront6targetE1EEEvSL_
	.p2align	8
	.type	_ZN7rocprim17ROCPRIM_400000_NS6detail17trampoline_kernelINS0_14default_configENS1_38merge_sort_block_merge_config_selectorIsNS0_10empty_typeEEEZZNS1_27merge_sort_block_merge_implIS3_N6thrust23THRUST_200600_302600_NS6detail15normal_iteratorINS9_10device_ptrIsEEEEPS5_jNS1_19radix_merge_compareILb0ELb1EsNS0_19identity_decomposerEEEEE10hipError_tT0_T1_T2_jT3_P12ihipStream_tbPNSt15iterator_traitsISK_E10value_typeEPNSQ_ISL_E10value_typeEPSM_NS1_7vsmem_tEENKUlT_SK_SL_SM_E_clISE_PsSF_SF_EESJ_SZ_SK_SL_SM_EUlSZ_E1_NS1_11comp_targetILNS1_3genE3ELNS1_11target_archE908ELNS1_3gpuE7ELNS1_3repE0EEENS1_36merge_oddeven_config_static_selectorELNS0_4arch9wavefront6targetE1EEEvSL_,@function
_ZN7rocprim17ROCPRIM_400000_NS6detail17trampoline_kernelINS0_14default_configENS1_38merge_sort_block_merge_config_selectorIsNS0_10empty_typeEEEZZNS1_27merge_sort_block_merge_implIS3_N6thrust23THRUST_200600_302600_NS6detail15normal_iteratorINS9_10device_ptrIsEEEEPS5_jNS1_19radix_merge_compareILb0ELb1EsNS0_19identity_decomposerEEEEE10hipError_tT0_T1_T2_jT3_P12ihipStream_tbPNSt15iterator_traitsISK_E10value_typeEPNSQ_ISL_E10value_typeEPSM_NS1_7vsmem_tEENKUlT_SK_SL_SM_E_clISE_PsSF_SF_EESJ_SZ_SK_SL_SM_EUlSZ_E1_NS1_11comp_targetILNS1_3genE3ELNS1_11target_archE908ELNS1_3gpuE7ELNS1_3repE0EEENS1_36merge_oddeven_config_static_selectorELNS0_4arch9wavefront6targetE1EEEvSL_: ; @_ZN7rocprim17ROCPRIM_400000_NS6detail17trampoline_kernelINS0_14default_configENS1_38merge_sort_block_merge_config_selectorIsNS0_10empty_typeEEEZZNS1_27merge_sort_block_merge_implIS3_N6thrust23THRUST_200600_302600_NS6detail15normal_iteratorINS9_10device_ptrIsEEEEPS5_jNS1_19radix_merge_compareILb0ELb1EsNS0_19identity_decomposerEEEEE10hipError_tT0_T1_T2_jT3_P12ihipStream_tbPNSt15iterator_traitsISK_E10value_typeEPNSQ_ISL_E10value_typeEPSM_NS1_7vsmem_tEENKUlT_SK_SL_SM_E_clISE_PsSF_SF_EESJ_SZ_SK_SL_SM_EUlSZ_E1_NS1_11comp_targetILNS1_3genE3ELNS1_11target_archE908ELNS1_3gpuE7ELNS1_3repE0EEENS1_36merge_oddeven_config_static_selectorELNS0_4arch9wavefront6targetE1EEEvSL_
; %bb.0:
	.section	.rodata,"a",@progbits
	.p2align	6, 0x0
	.amdhsa_kernel _ZN7rocprim17ROCPRIM_400000_NS6detail17trampoline_kernelINS0_14default_configENS1_38merge_sort_block_merge_config_selectorIsNS0_10empty_typeEEEZZNS1_27merge_sort_block_merge_implIS3_N6thrust23THRUST_200600_302600_NS6detail15normal_iteratorINS9_10device_ptrIsEEEEPS5_jNS1_19radix_merge_compareILb0ELb1EsNS0_19identity_decomposerEEEEE10hipError_tT0_T1_T2_jT3_P12ihipStream_tbPNSt15iterator_traitsISK_E10value_typeEPNSQ_ISL_E10value_typeEPSM_NS1_7vsmem_tEENKUlT_SK_SL_SM_E_clISE_PsSF_SF_EESJ_SZ_SK_SL_SM_EUlSZ_E1_NS1_11comp_targetILNS1_3genE3ELNS1_11target_archE908ELNS1_3gpuE7ELNS1_3repE0EEENS1_36merge_oddeven_config_static_selectorELNS0_4arch9wavefront6targetE1EEEvSL_
		.amdhsa_group_segment_fixed_size 0
		.amdhsa_private_segment_fixed_size 0
		.amdhsa_kernarg_size 48
		.amdhsa_user_sgpr_count 6
		.amdhsa_user_sgpr_private_segment_buffer 1
		.amdhsa_user_sgpr_dispatch_ptr 0
		.amdhsa_user_sgpr_queue_ptr 0
		.amdhsa_user_sgpr_kernarg_segment_ptr 1
		.amdhsa_user_sgpr_dispatch_id 0
		.amdhsa_user_sgpr_flat_scratch_init 0
		.amdhsa_user_sgpr_kernarg_preload_length 0
		.amdhsa_user_sgpr_kernarg_preload_offset 0
		.amdhsa_user_sgpr_private_segment_size 0
		.amdhsa_uses_dynamic_stack 0
		.amdhsa_system_sgpr_private_segment_wavefront_offset 0
		.amdhsa_system_sgpr_workgroup_id_x 1
		.amdhsa_system_sgpr_workgroup_id_y 0
		.amdhsa_system_sgpr_workgroup_id_z 0
		.amdhsa_system_sgpr_workgroup_info 0
		.amdhsa_system_vgpr_workitem_id 0
		.amdhsa_next_free_vgpr 1
		.amdhsa_next_free_sgpr 0
		.amdhsa_accum_offset 4
		.amdhsa_reserve_vcc 0
		.amdhsa_reserve_flat_scratch 0
		.amdhsa_float_round_mode_32 0
		.amdhsa_float_round_mode_16_64 0
		.amdhsa_float_denorm_mode_32 3
		.amdhsa_float_denorm_mode_16_64 3
		.amdhsa_dx10_clamp 1
		.amdhsa_ieee_mode 1
		.amdhsa_fp16_overflow 0
		.amdhsa_tg_split 0
		.amdhsa_exception_fp_ieee_invalid_op 0
		.amdhsa_exception_fp_denorm_src 0
		.amdhsa_exception_fp_ieee_div_zero 0
		.amdhsa_exception_fp_ieee_overflow 0
		.amdhsa_exception_fp_ieee_underflow 0
		.amdhsa_exception_fp_ieee_inexact 0
		.amdhsa_exception_int_div_zero 0
	.end_amdhsa_kernel
	.section	.text._ZN7rocprim17ROCPRIM_400000_NS6detail17trampoline_kernelINS0_14default_configENS1_38merge_sort_block_merge_config_selectorIsNS0_10empty_typeEEEZZNS1_27merge_sort_block_merge_implIS3_N6thrust23THRUST_200600_302600_NS6detail15normal_iteratorINS9_10device_ptrIsEEEEPS5_jNS1_19radix_merge_compareILb0ELb1EsNS0_19identity_decomposerEEEEE10hipError_tT0_T1_T2_jT3_P12ihipStream_tbPNSt15iterator_traitsISK_E10value_typeEPNSQ_ISL_E10value_typeEPSM_NS1_7vsmem_tEENKUlT_SK_SL_SM_E_clISE_PsSF_SF_EESJ_SZ_SK_SL_SM_EUlSZ_E1_NS1_11comp_targetILNS1_3genE3ELNS1_11target_archE908ELNS1_3gpuE7ELNS1_3repE0EEENS1_36merge_oddeven_config_static_selectorELNS0_4arch9wavefront6targetE1EEEvSL_,"axG",@progbits,_ZN7rocprim17ROCPRIM_400000_NS6detail17trampoline_kernelINS0_14default_configENS1_38merge_sort_block_merge_config_selectorIsNS0_10empty_typeEEEZZNS1_27merge_sort_block_merge_implIS3_N6thrust23THRUST_200600_302600_NS6detail15normal_iteratorINS9_10device_ptrIsEEEEPS5_jNS1_19radix_merge_compareILb0ELb1EsNS0_19identity_decomposerEEEEE10hipError_tT0_T1_T2_jT3_P12ihipStream_tbPNSt15iterator_traitsISK_E10value_typeEPNSQ_ISL_E10value_typeEPSM_NS1_7vsmem_tEENKUlT_SK_SL_SM_E_clISE_PsSF_SF_EESJ_SZ_SK_SL_SM_EUlSZ_E1_NS1_11comp_targetILNS1_3genE3ELNS1_11target_archE908ELNS1_3gpuE7ELNS1_3repE0EEENS1_36merge_oddeven_config_static_selectorELNS0_4arch9wavefront6targetE1EEEvSL_,comdat
.Lfunc_end1919:
	.size	_ZN7rocprim17ROCPRIM_400000_NS6detail17trampoline_kernelINS0_14default_configENS1_38merge_sort_block_merge_config_selectorIsNS0_10empty_typeEEEZZNS1_27merge_sort_block_merge_implIS3_N6thrust23THRUST_200600_302600_NS6detail15normal_iteratorINS9_10device_ptrIsEEEEPS5_jNS1_19radix_merge_compareILb0ELb1EsNS0_19identity_decomposerEEEEE10hipError_tT0_T1_T2_jT3_P12ihipStream_tbPNSt15iterator_traitsISK_E10value_typeEPNSQ_ISL_E10value_typeEPSM_NS1_7vsmem_tEENKUlT_SK_SL_SM_E_clISE_PsSF_SF_EESJ_SZ_SK_SL_SM_EUlSZ_E1_NS1_11comp_targetILNS1_3genE3ELNS1_11target_archE908ELNS1_3gpuE7ELNS1_3repE0EEENS1_36merge_oddeven_config_static_selectorELNS0_4arch9wavefront6targetE1EEEvSL_, .Lfunc_end1919-_ZN7rocprim17ROCPRIM_400000_NS6detail17trampoline_kernelINS0_14default_configENS1_38merge_sort_block_merge_config_selectorIsNS0_10empty_typeEEEZZNS1_27merge_sort_block_merge_implIS3_N6thrust23THRUST_200600_302600_NS6detail15normal_iteratorINS9_10device_ptrIsEEEEPS5_jNS1_19radix_merge_compareILb0ELb1EsNS0_19identity_decomposerEEEEE10hipError_tT0_T1_T2_jT3_P12ihipStream_tbPNSt15iterator_traitsISK_E10value_typeEPNSQ_ISL_E10value_typeEPSM_NS1_7vsmem_tEENKUlT_SK_SL_SM_E_clISE_PsSF_SF_EESJ_SZ_SK_SL_SM_EUlSZ_E1_NS1_11comp_targetILNS1_3genE3ELNS1_11target_archE908ELNS1_3gpuE7ELNS1_3repE0EEENS1_36merge_oddeven_config_static_selectorELNS0_4arch9wavefront6targetE1EEEvSL_
                                        ; -- End function
	.section	.AMDGPU.csdata,"",@progbits
; Kernel info:
; codeLenInByte = 0
; NumSgprs: 4
; NumVgprs: 0
; NumAgprs: 0
; TotalNumVgprs: 0
; ScratchSize: 0
; MemoryBound: 0
; FloatMode: 240
; IeeeMode: 1
; LDSByteSize: 0 bytes/workgroup (compile time only)
; SGPRBlocks: 0
; VGPRBlocks: 0
; NumSGPRsForWavesPerEU: 4
; NumVGPRsForWavesPerEU: 1
; AccumOffset: 4
; Occupancy: 8
; WaveLimiterHint : 0
; COMPUTE_PGM_RSRC2:SCRATCH_EN: 0
; COMPUTE_PGM_RSRC2:USER_SGPR: 6
; COMPUTE_PGM_RSRC2:TRAP_HANDLER: 0
; COMPUTE_PGM_RSRC2:TGID_X_EN: 1
; COMPUTE_PGM_RSRC2:TGID_Y_EN: 0
; COMPUTE_PGM_RSRC2:TGID_Z_EN: 0
; COMPUTE_PGM_RSRC2:TIDIG_COMP_CNT: 0
; COMPUTE_PGM_RSRC3_GFX90A:ACCUM_OFFSET: 0
; COMPUTE_PGM_RSRC3_GFX90A:TG_SPLIT: 0
	.section	.text._ZN7rocprim17ROCPRIM_400000_NS6detail17trampoline_kernelINS0_14default_configENS1_38merge_sort_block_merge_config_selectorIsNS0_10empty_typeEEEZZNS1_27merge_sort_block_merge_implIS3_N6thrust23THRUST_200600_302600_NS6detail15normal_iteratorINS9_10device_ptrIsEEEEPS5_jNS1_19radix_merge_compareILb0ELb1EsNS0_19identity_decomposerEEEEE10hipError_tT0_T1_T2_jT3_P12ihipStream_tbPNSt15iterator_traitsISK_E10value_typeEPNSQ_ISL_E10value_typeEPSM_NS1_7vsmem_tEENKUlT_SK_SL_SM_E_clISE_PsSF_SF_EESJ_SZ_SK_SL_SM_EUlSZ_E1_NS1_11comp_targetILNS1_3genE2ELNS1_11target_archE906ELNS1_3gpuE6ELNS1_3repE0EEENS1_36merge_oddeven_config_static_selectorELNS0_4arch9wavefront6targetE1EEEvSL_,"axG",@progbits,_ZN7rocprim17ROCPRIM_400000_NS6detail17trampoline_kernelINS0_14default_configENS1_38merge_sort_block_merge_config_selectorIsNS0_10empty_typeEEEZZNS1_27merge_sort_block_merge_implIS3_N6thrust23THRUST_200600_302600_NS6detail15normal_iteratorINS9_10device_ptrIsEEEEPS5_jNS1_19radix_merge_compareILb0ELb1EsNS0_19identity_decomposerEEEEE10hipError_tT0_T1_T2_jT3_P12ihipStream_tbPNSt15iterator_traitsISK_E10value_typeEPNSQ_ISL_E10value_typeEPSM_NS1_7vsmem_tEENKUlT_SK_SL_SM_E_clISE_PsSF_SF_EESJ_SZ_SK_SL_SM_EUlSZ_E1_NS1_11comp_targetILNS1_3genE2ELNS1_11target_archE906ELNS1_3gpuE6ELNS1_3repE0EEENS1_36merge_oddeven_config_static_selectorELNS0_4arch9wavefront6targetE1EEEvSL_,comdat
	.protected	_ZN7rocprim17ROCPRIM_400000_NS6detail17trampoline_kernelINS0_14default_configENS1_38merge_sort_block_merge_config_selectorIsNS0_10empty_typeEEEZZNS1_27merge_sort_block_merge_implIS3_N6thrust23THRUST_200600_302600_NS6detail15normal_iteratorINS9_10device_ptrIsEEEEPS5_jNS1_19radix_merge_compareILb0ELb1EsNS0_19identity_decomposerEEEEE10hipError_tT0_T1_T2_jT3_P12ihipStream_tbPNSt15iterator_traitsISK_E10value_typeEPNSQ_ISL_E10value_typeEPSM_NS1_7vsmem_tEENKUlT_SK_SL_SM_E_clISE_PsSF_SF_EESJ_SZ_SK_SL_SM_EUlSZ_E1_NS1_11comp_targetILNS1_3genE2ELNS1_11target_archE906ELNS1_3gpuE6ELNS1_3repE0EEENS1_36merge_oddeven_config_static_selectorELNS0_4arch9wavefront6targetE1EEEvSL_ ; -- Begin function _ZN7rocprim17ROCPRIM_400000_NS6detail17trampoline_kernelINS0_14default_configENS1_38merge_sort_block_merge_config_selectorIsNS0_10empty_typeEEEZZNS1_27merge_sort_block_merge_implIS3_N6thrust23THRUST_200600_302600_NS6detail15normal_iteratorINS9_10device_ptrIsEEEEPS5_jNS1_19radix_merge_compareILb0ELb1EsNS0_19identity_decomposerEEEEE10hipError_tT0_T1_T2_jT3_P12ihipStream_tbPNSt15iterator_traitsISK_E10value_typeEPNSQ_ISL_E10value_typeEPSM_NS1_7vsmem_tEENKUlT_SK_SL_SM_E_clISE_PsSF_SF_EESJ_SZ_SK_SL_SM_EUlSZ_E1_NS1_11comp_targetILNS1_3genE2ELNS1_11target_archE906ELNS1_3gpuE6ELNS1_3repE0EEENS1_36merge_oddeven_config_static_selectorELNS0_4arch9wavefront6targetE1EEEvSL_
	.globl	_ZN7rocprim17ROCPRIM_400000_NS6detail17trampoline_kernelINS0_14default_configENS1_38merge_sort_block_merge_config_selectorIsNS0_10empty_typeEEEZZNS1_27merge_sort_block_merge_implIS3_N6thrust23THRUST_200600_302600_NS6detail15normal_iteratorINS9_10device_ptrIsEEEEPS5_jNS1_19radix_merge_compareILb0ELb1EsNS0_19identity_decomposerEEEEE10hipError_tT0_T1_T2_jT3_P12ihipStream_tbPNSt15iterator_traitsISK_E10value_typeEPNSQ_ISL_E10value_typeEPSM_NS1_7vsmem_tEENKUlT_SK_SL_SM_E_clISE_PsSF_SF_EESJ_SZ_SK_SL_SM_EUlSZ_E1_NS1_11comp_targetILNS1_3genE2ELNS1_11target_archE906ELNS1_3gpuE6ELNS1_3repE0EEENS1_36merge_oddeven_config_static_selectorELNS0_4arch9wavefront6targetE1EEEvSL_
	.p2align	8
	.type	_ZN7rocprim17ROCPRIM_400000_NS6detail17trampoline_kernelINS0_14default_configENS1_38merge_sort_block_merge_config_selectorIsNS0_10empty_typeEEEZZNS1_27merge_sort_block_merge_implIS3_N6thrust23THRUST_200600_302600_NS6detail15normal_iteratorINS9_10device_ptrIsEEEEPS5_jNS1_19radix_merge_compareILb0ELb1EsNS0_19identity_decomposerEEEEE10hipError_tT0_T1_T2_jT3_P12ihipStream_tbPNSt15iterator_traitsISK_E10value_typeEPNSQ_ISL_E10value_typeEPSM_NS1_7vsmem_tEENKUlT_SK_SL_SM_E_clISE_PsSF_SF_EESJ_SZ_SK_SL_SM_EUlSZ_E1_NS1_11comp_targetILNS1_3genE2ELNS1_11target_archE906ELNS1_3gpuE6ELNS1_3repE0EEENS1_36merge_oddeven_config_static_selectorELNS0_4arch9wavefront6targetE1EEEvSL_,@function
_ZN7rocprim17ROCPRIM_400000_NS6detail17trampoline_kernelINS0_14default_configENS1_38merge_sort_block_merge_config_selectorIsNS0_10empty_typeEEEZZNS1_27merge_sort_block_merge_implIS3_N6thrust23THRUST_200600_302600_NS6detail15normal_iteratorINS9_10device_ptrIsEEEEPS5_jNS1_19radix_merge_compareILb0ELb1EsNS0_19identity_decomposerEEEEE10hipError_tT0_T1_T2_jT3_P12ihipStream_tbPNSt15iterator_traitsISK_E10value_typeEPNSQ_ISL_E10value_typeEPSM_NS1_7vsmem_tEENKUlT_SK_SL_SM_E_clISE_PsSF_SF_EESJ_SZ_SK_SL_SM_EUlSZ_E1_NS1_11comp_targetILNS1_3genE2ELNS1_11target_archE906ELNS1_3gpuE6ELNS1_3repE0EEENS1_36merge_oddeven_config_static_selectorELNS0_4arch9wavefront6targetE1EEEvSL_: ; @_ZN7rocprim17ROCPRIM_400000_NS6detail17trampoline_kernelINS0_14default_configENS1_38merge_sort_block_merge_config_selectorIsNS0_10empty_typeEEEZZNS1_27merge_sort_block_merge_implIS3_N6thrust23THRUST_200600_302600_NS6detail15normal_iteratorINS9_10device_ptrIsEEEEPS5_jNS1_19radix_merge_compareILb0ELb1EsNS0_19identity_decomposerEEEEE10hipError_tT0_T1_T2_jT3_P12ihipStream_tbPNSt15iterator_traitsISK_E10value_typeEPNSQ_ISL_E10value_typeEPSM_NS1_7vsmem_tEENKUlT_SK_SL_SM_E_clISE_PsSF_SF_EESJ_SZ_SK_SL_SM_EUlSZ_E1_NS1_11comp_targetILNS1_3genE2ELNS1_11target_archE906ELNS1_3gpuE6ELNS1_3repE0EEENS1_36merge_oddeven_config_static_selectorELNS0_4arch9wavefront6targetE1EEEvSL_
; %bb.0:
	.section	.rodata,"a",@progbits
	.p2align	6, 0x0
	.amdhsa_kernel _ZN7rocprim17ROCPRIM_400000_NS6detail17trampoline_kernelINS0_14default_configENS1_38merge_sort_block_merge_config_selectorIsNS0_10empty_typeEEEZZNS1_27merge_sort_block_merge_implIS3_N6thrust23THRUST_200600_302600_NS6detail15normal_iteratorINS9_10device_ptrIsEEEEPS5_jNS1_19radix_merge_compareILb0ELb1EsNS0_19identity_decomposerEEEEE10hipError_tT0_T1_T2_jT3_P12ihipStream_tbPNSt15iterator_traitsISK_E10value_typeEPNSQ_ISL_E10value_typeEPSM_NS1_7vsmem_tEENKUlT_SK_SL_SM_E_clISE_PsSF_SF_EESJ_SZ_SK_SL_SM_EUlSZ_E1_NS1_11comp_targetILNS1_3genE2ELNS1_11target_archE906ELNS1_3gpuE6ELNS1_3repE0EEENS1_36merge_oddeven_config_static_selectorELNS0_4arch9wavefront6targetE1EEEvSL_
		.amdhsa_group_segment_fixed_size 0
		.amdhsa_private_segment_fixed_size 0
		.amdhsa_kernarg_size 48
		.amdhsa_user_sgpr_count 6
		.amdhsa_user_sgpr_private_segment_buffer 1
		.amdhsa_user_sgpr_dispatch_ptr 0
		.amdhsa_user_sgpr_queue_ptr 0
		.amdhsa_user_sgpr_kernarg_segment_ptr 1
		.amdhsa_user_sgpr_dispatch_id 0
		.amdhsa_user_sgpr_flat_scratch_init 0
		.amdhsa_user_sgpr_kernarg_preload_length 0
		.amdhsa_user_sgpr_kernarg_preload_offset 0
		.amdhsa_user_sgpr_private_segment_size 0
		.amdhsa_uses_dynamic_stack 0
		.amdhsa_system_sgpr_private_segment_wavefront_offset 0
		.amdhsa_system_sgpr_workgroup_id_x 1
		.amdhsa_system_sgpr_workgroup_id_y 0
		.amdhsa_system_sgpr_workgroup_id_z 0
		.amdhsa_system_sgpr_workgroup_info 0
		.amdhsa_system_vgpr_workitem_id 0
		.amdhsa_next_free_vgpr 1
		.amdhsa_next_free_sgpr 0
		.amdhsa_accum_offset 4
		.amdhsa_reserve_vcc 0
		.amdhsa_reserve_flat_scratch 0
		.amdhsa_float_round_mode_32 0
		.amdhsa_float_round_mode_16_64 0
		.amdhsa_float_denorm_mode_32 3
		.amdhsa_float_denorm_mode_16_64 3
		.amdhsa_dx10_clamp 1
		.amdhsa_ieee_mode 1
		.amdhsa_fp16_overflow 0
		.amdhsa_tg_split 0
		.amdhsa_exception_fp_ieee_invalid_op 0
		.amdhsa_exception_fp_denorm_src 0
		.amdhsa_exception_fp_ieee_div_zero 0
		.amdhsa_exception_fp_ieee_overflow 0
		.amdhsa_exception_fp_ieee_underflow 0
		.amdhsa_exception_fp_ieee_inexact 0
		.amdhsa_exception_int_div_zero 0
	.end_amdhsa_kernel
	.section	.text._ZN7rocprim17ROCPRIM_400000_NS6detail17trampoline_kernelINS0_14default_configENS1_38merge_sort_block_merge_config_selectorIsNS0_10empty_typeEEEZZNS1_27merge_sort_block_merge_implIS3_N6thrust23THRUST_200600_302600_NS6detail15normal_iteratorINS9_10device_ptrIsEEEEPS5_jNS1_19radix_merge_compareILb0ELb1EsNS0_19identity_decomposerEEEEE10hipError_tT0_T1_T2_jT3_P12ihipStream_tbPNSt15iterator_traitsISK_E10value_typeEPNSQ_ISL_E10value_typeEPSM_NS1_7vsmem_tEENKUlT_SK_SL_SM_E_clISE_PsSF_SF_EESJ_SZ_SK_SL_SM_EUlSZ_E1_NS1_11comp_targetILNS1_3genE2ELNS1_11target_archE906ELNS1_3gpuE6ELNS1_3repE0EEENS1_36merge_oddeven_config_static_selectorELNS0_4arch9wavefront6targetE1EEEvSL_,"axG",@progbits,_ZN7rocprim17ROCPRIM_400000_NS6detail17trampoline_kernelINS0_14default_configENS1_38merge_sort_block_merge_config_selectorIsNS0_10empty_typeEEEZZNS1_27merge_sort_block_merge_implIS3_N6thrust23THRUST_200600_302600_NS6detail15normal_iteratorINS9_10device_ptrIsEEEEPS5_jNS1_19radix_merge_compareILb0ELb1EsNS0_19identity_decomposerEEEEE10hipError_tT0_T1_T2_jT3_P12ihipStream_tbPNSt15iterator_traitsISK_E10value_typeEPNSQ_ISL_E10value_typeEPSM_NS1_7vsmem_tEENKUlT_SK_SL_SM_E_clISE_PsSF_SF_EESJ_SZ_SK_SL_SM_EUlSZ_E1_NS1_11comp_targetILNS1_3genE2ELNS1_11target_archE906ELNS1_3gpuE6ELNS1_3repE0EEENS1_36merge_oddeven_config_static_selectorELNS0_4arch9wavefront6targetE1EEEvSL_,comdat
.Lfunc_end1920:
	.size	_ZN7rocprim17ROCPRIM_400000_NS6detail17trampoline_kernelINS0_14default_configENS1_38merge_sort_block_merge_config_selectorIsNS0_10empty_typeEEEZZNS1_27merge_sort_block_merge_implIS3_N6thrust23THRUST_200600_302600_NS6detail15normal_iteratorINS9_10device_ptrIsEEEEPS5_jNS1_19radix_merge_compareILb0ELb1EsNS0_19identity_decomposerEEEEE10hipError_tT0_T1_T2_jT3_P12ihipStream_tbPNSt15iterator_traitsISK_E10value_typeEPNSQ_ISL_E10value_typeEPSM_NS1_7vsmem_tEENKUlT_SK_SL_SM_E_clISE_PsSF_SF_EESJ_SZ_SK_SL_SM_EUlSZ_E1_NS1_11comp_targetILNS1_3genE2ELNS1_11target_archE906ELNS1_3gpuE6ELNS1_3repE0EEENS1_36merge_oddeven_config_static_selectorELNS0_4arch9wavefront6targetE1EEEvSL_, .Lfunc_end1920-_ZN7rocprim17ROCPRIM_400000_NS6detail17trampoline_kernelINS0_14default_configENS1_38merge_sort_block_merge_config_selectorIsNS0_10empty_typeEEEZZNS1_27merge_sort_block_merge_implIS3_N6thrust23THRUST_200600_302600_NS6detail15normal_iteratorINS9_10device_ptrIsEEEEPS5_jNS1_19radix_merge_compareILb0ELb1EsNS0_19identity_decomposerEEEEE10hipError_tT0_T1_T2_jT3_P12ihipStream_tbPNSt15iterator_traitsISK_E10value_typeEPNSQ_ISL_E10value_typeEPSM_NS1_7vsmem_tEENKUlT_SK_SL_SM_E_clISE_PsSF_SF_EESJ_SZ_SK_SL_SM_EUlSZ_E1_NS1_11comp_targetILNS1_3genE2ELNS1_11target_archE906ELNS1_3gpuE6ELNS1_3repE0EEENS1_36merge_oddeven_config_static_selectorELNS0_4arch9wavefront6targetE1EEEvSL_
                                        ; -- End function
	.section	.AMDGPU.csdata,"",@progbits
; Kernel info:
; codeLenInByte = 0
; NumSgprs: 4
; NumVgprs: 0
; NumAgprs: 0
; TotalNumVgprs: 0
; ScratchSize: 0
; MemoryBound: 0
; FloatMode: 240
; IeeeMode: 1
; LDSByteSize: 0 bytes/workgroup (compile time only)
; SGPRBlocks: 0
; VGPRBlocks: 0
; NumSGPRsForWavesPerEU: 4
; NumVGPRsForWavesPerEU: 1
; AccumOffset: 4
; Occupancy: 8
; WaveLimiterHint : 0
; COMPUTE_PGM_RSRC2:SCRATCH_EN: 0
; COMPUTE_PGM_RSRC2:USER_SGPR: 6
; COMPUTE_PGM_RSRC2:TRAP_HANDLER: 0
; COMPUTE_PGM_RSRC2:TGID_X_EN: 1
; COMPUTE_PGM_RSRC2:TGID_Y_EN: 0
; COMPUTE_PGM_RSRC2:TGID_Z_EN: 0
; COMPUTE_PGM_RSRC2:TIDIG_COMP_CNT: 0
; COMPUTE_PGM_RSRC3_GFX90A:ACCUM_OFFSET: 0
; COMPUTE_PGM_RSRC3_GFX90A:TG_SPLIT: 0
	.section	.text._ZN7rocprim17ROCPRIM_400000_NS6detail17trampoline_kernelINS0_14default_configENS1_38merge_sort_block_merge_config_selectorIsNS0_10empty_typeEEEZZNS1_27merge_sort_block_merge_implIS3_N6thrust23THRUST_200600_302600_NS6detail15normal_iteratorINS9_10device_ptrIsEEEEPS5_jNS1_19radix_merge_compareILb0ELb1EsNS0_19identity_decomposerEEEEE10hipError_tT0_T1_T2_jT3_P12ihipStream_tbPNSt15iterator_traitsISK_E10value_typeEPNSQ_ISL_E10value_typeEPSM_NS1_7vsmem_tEENKUlT_SK_SL_SM_E_clISE_PsSF_SF_EESJ_SZ_SK_SL_SM_EUlSZ_E1_NS1_11comp_targetILNS1_3genE9ELNS1_11target_archE1100ELNS1_3gpuE3ELNS1_3repE0EEENS1_36merge_oddeven_config_static_selectorELNS0_4arch9wavefront6targetE1EEEvSL_,"axG",@progbits,_ZN7rocprim17ROCPRIM_400000_NS6detail17trampoline_kernelINS0_14default_configENS1_38merge_sort_block_merge_config_selectorIsNS0_10empty_typeEEEZZNS1_27merge_sort_block_merge_implIS3_N6thrust23THRUST_200600_302600_NS6detail15normal_iteratorINS9_10device_ptrIsEEEEPS5_jNS1_19radix_merge_compareILb0ELb1EsNS0_19identity_decomposerEEEEE10hipError_tT0_T1_T2_jT3_P12ihipStream_tbPNSt15iterator_traitsISK_E10value_typeEPNSQ_ISL_E10value_typeEPSM_NS1_7vsmem_tEENKUlT_SK_SL_SM_E_clISE_PsSF_SF_EESJ_SZ_SK_SL_SM_EUlSZ_E1_NS1_11comp_targetILNS1_3genE9ELNS1_11target_archE1100ELNS1_3gpuE3ELNS1_3repE0EEENS1_36merge_oddeven_config_static_selectorELNS0_4arch9wavefront6targetE1EEEvSL_,comdat
	.protected	_ZN7rocprim17ROCPRIM_400000_NS6detail17trampoline_kernelINS0_14default_configENS1_38merge_sort_block_merge_config_selectorIsNS0_10empty_typeEEEZZNS1_27merge_sort_block_merge_implIS3_N6thrust23THRUST_200600_302600_NS6detail15normal_iteratorINS9_10device_ptrIsEEEEPS5_jNS1_19radix_merge_compareILb0ELb1EsNS0_19identity_decomposerEEEEE10hipError_tT0_T1_T2_jT3_P12ihipStream_tbPNSt15iterator_traitsISK_E10value_typeEPNSQ_ISL_E10value_typeEPSM_NS1_7vsmem_tEENKUlT_SK_SL_SM_E_clISE_PsSF_SF_EESJ_SZ_SK_SL_SM_EUlSZ_E1_NS1_11comp_targetILNS1_3genE9ELNS1_11target_archE1100ELNS1_3gpuE3ELNS1_3repE0EEENS1_36merge_oddeven_config_static_selectorELNS0_4arch9wavefront6targetE1EEEvSL_ ; -- Begin function _ZN7rocprim17ROCPRIM_400000_NS6detail17trampoline_kernelINS0_14default_configENS1_38merge_sort_block_merge_config_selectorIsNS0_10empty_typeEEEZZNS1_27merge_sort_block_merge_implIS3_N6thrust23THRUST_200600_302600_NS6detail15normal_iteratorINS9_10device_ptrIsEEEEPS5_jNS1_19radix_merge_compareILb0ELb1EsNS0_19identity_decomposerEEEEE10hipError_tT0_T1_T2_jT3_P12ihipStream_tbPNSt15iterator_traitsISK_E10value_typeEPNSQ_ISL_E10value_typeEPSM_NS1_7vsmem_tEENKUlT_SK_SL_SM_E_clISE_PsSF_SF_EESJ_SZ_SK_SL_SM_EUlSZ_E1_NS1_11comp_targetILNS1_3genE9ELNS1_11target_archE1100ELNS1_3gpuE3ELNS1_3repE0EEENS1_36merge_oddeven_config_static_selectorELNS0_4arch9wavefront6targetE1EEEvSL_
	.globl	_ZN7rocprim17ROCPRIM_400000_NS6detail17trampoline_kernelINS0_14default_configENS1_38merge_sort_block_merge_config_selectorIsNS0_10empty_typeEEEZZNS1_27merge_sort_block_merge_implIS3_N6thrust23THRUST_200600_302600_NS6detail15normal_iteratorINS9_10device_ptrIsEEEEPS5_jNS1_19radix_merge_compareILb0ELb1EsNS0_19identity_decomposerEEEEE10hipError_tT0_T1_T2_jT3_P12ihipStream_tbPNSt15iterator_traitsISK_E10value_typeEPNSQ_ISL_E10value_typeEPSM_NS1_7vsmem_tEENKUlT_SK_SL_SM_E_clISE_PsSF_SF_EESJ_SZ_SK_SL_SM_EUlSZ_E1_NS1_11comp_targetILNS1_3genE9ELNS1_11target_archE1100ELNS1_3gpuE3ELNS1_3repE0EEENS1_36merge_oddeven_config_static_selectorELNS0_4arch9wavefront6targetE1EEEvSL_
	.p2align	8
	.type	_ZN7rocprim17ROCPRIM_400000_NS6detail17trampoline_kernelINS0_14default_configENS1_38merge_sort_block_merge_config_selectorIsNS0_10empty_typeEEEZZNS1_27merge_sort_block_merge_implIS3_N6thrust23THRUST_200600_302600_NS6detail15normal_iteratorINS9_10device_ptrIsEEEEPS5_jNS1_19radix_merge_compareILb0ELb1EsNS0_19identity_decomposerEEEEE10hipError_tT0_T1_T2_jT3_P12ihipStream_tbPNSt15iterator_traitsISK_E10value_typeEPNSQ_ISL_E10value_typeEPSM_NS1_7vsmem_tEENKUlT_SK_SL_SM_E_clISE_PsSF_SF_EESJ_SZ_SK_SL_SM_EUlSZ_E1_NS1_11comp_targetILNS1_3genE9ELNS1_11target_archE1100ELNS1_3gpuE3ELNS1_3repE0EEENS1_36merge_oddeven_config_static_selectorELNS0_4arch9wavefront6targetE1EEEvSL_,@function
_ZN7rocprim17ROCPRIM_400000_NS6detail17trampoline_kernelINS0_14default_configENS1_38merge_sort_block_merge_config_selectorIsNS0_10empty_typeEEEZZNS1_27merge_sort_block_merge_implIS3_N6thrust23THRUST_200600_302600_NS6detail15normal_iteratorINS9_10device_ptrIsEEEEPS5_jNS1_19radix_merge_compareILb0ELb1EsNS0_19identity_decomposerEEEEE10hipError_tT0_T1_T2_jT3_P12ihipStream_tbPNSt15iterator_traitsISK_E10value_typeEPNSQ_ISL_E10value_typeEPSM_NS1_7vsmem_tEENKUlT_SK_SL_SM_E_clISE_PsSF_SF_EESJ_SZ_SK_SL_SM_EUlSZ_E1_NS1_11comp_targetILNS1_3genE9ELNS1_11target_archE1100ELNS1_3gpuE3ELNS1_3repE0EEENS1_36merge_oddeven_config_static_selectorELNS0_4arch9wavefront6targetE1EEEvSL_: ; @_ZN7rocprim17ROCPRIM_400000_NS6detail17trampoline_kernelINS0_14default_configENS1_38merge_sort_block_merge_config_selectorIsNS0_10empty_typeEEEZZNS1_27merge_sort_block_merge_implIS3_N6thrust23THRUST_200600_302600_NS6detail15normal_iteratorINS9_10device_ptrIsEEEEPS5_jNS1_19radix_merge_compareILb0ELb1EsNS0_19identity_decomposerEEEEE10hipError_tT0_T1_T2_jT3_P12ihipStream_tbPNSt15iterator_traitsISK_E10value_typeEPNSQ_ISL_E10value_typeEPSM_NS1_7vsmem_tEENKUlT_SK_SL_SM_E_clISE_PsSF_SF_EESJ_SZ_SK_SL_SM_EUlSZ_E1_NS1_11comp_targetILNS1_3genE9ELNS1_11target_archE1100ELNS1_3gpuE3ELNS1_3repE0EEENS1_36merge_oddeven_config_static_selectorELNS0_4arch9wavefront6targetE1EEEvSL_
; %bb.0:
	.section	.rodata,"a",@progbits
	.p2align	6, 0x0
	.amdhsa_kernel _ZN7rocprim17ROCPRIM_400000_NS6detail17trampoline_kernelINS0_14default_configENS1_38merge_sort_block_merge_config_selectorIsNS0_10empty_typeEEEZZNS1_27merge_sort_block_merge_implIS3_N6thrust23THRUST_200600_302600_NS6detail15normal_iteratorINS9_10device_ptrIsEEEEPS5_jNS1_19radix_merge_compareILb0ELb1EsNS0_19identity_decomposerEEEEE10hipError_tT0_T1_T2_jT3_P12ihipStream_tbPNSt15iterator_traitsISK_E10value_typeEPNSQ_ISL_E10value_typeEPSM_NS1_7vsmem_tEENKUlT_SK_SL_SM_E_clISE_PsSF_SF_EESJ_SZ_SK_SL_SM_EUlSZ_E1_NS1_11comp_targetILNS1_3genE9ELNS1_11target_archE1100ELNS1_3gpuE3ELNS1_3repE0EEENS1_36merge_oddeven_config_static_selectorELNS0_4arch9wavefront6targetE1EEEvSL_
		.amdhsa_group_segment_fixed_size 0
		.amdhsa_private_segment_fixed_size 0
		.amdhsa_kernarg_size 48
		.amdhsa_user_sgpr_count 6
		.amdhsa_user_sgpr_private_segment_buffer 1
		.amdhsa_user_sgpr_dispatch_ptr 0
		.amdhsa_user_sgpr_queue_ptr 0
		.amdhsa_user_sgpr_kernarg_segment_ptr 1
		.amdhsa_user_sgpr_dispatch_id 0
		.amdhsa_user_sgpr_flat_scratch_init 0
		.amdhsa_user_sgpr_kernarg_preload_length 0
		.amdhsa_user_sgpr_kernarg_preload_offset 0
		.amdhsa_user_sgpr_private_segment_size 0
		.amdhsa_uses_dynamic_stack 0
		.amdhsa_system_sgpr_private_segment_wavefront_offset 0
		.amdhsa_system_sgpr_workgroup_id_x 1
		.amdhsa_system_sgpr_workgroup_id_y 0
		.amdhsa_system_sgpr_workgroup_id_z 0
		.amdhsa_system_sgpr_workgroup_info 0
		.amdhsa_system_vgpr_workitem_id 0
		.amdhsa_next_free_vgpr 1
		.amdhsa_next_free_sgpr 0
		.amdhsa_accum_offset 4
		.amdhsa_reserve_vcc 0
		.amdhsa_reserve_flat_scratch 0
		.amdhsa_float_round_mode_32 0
		.amdhsa_float_round_mode_16_64 0
		.amdhsa_float_denorm_mode_32 3
		.amdhsa_float_denorm_mode_16_64 3
		.amdhsa_dx10_clamp 1
		.amdhsa_ieee_mode 1
		.amdhsa_fp16_overflow 0
		.amdhsa_tg_split 0
		.amdhsa_exception_fp_ieee_invalid_op 0
		.amdhsa_exception_fp_denorm_src 0
		.amdhsa_exception_fp_ieee_div_zero 0
		.amdhsa_exception_fp_ieee_overflow 0
		.amdhsa_exception_fp_ieee_underflow 0
		.amdhsa_exception_fp_ieee_inexact 0
		.amdhsa_exception_int_div_zero 0
	.end_amdhsa_kernel
	.section	.text._ZN7rocprim17ROCPRIM_400000_NS6detail17trampoline_kernelINS0_14default_configENS1_38merge_sort_block_merge_config_selectorIsNS0_10empty_typeEEEZZNS1_27merge_sort_block_merge_implIS3_N6thrust23THRUST_200600_302600_NS6detail15normal_iteratorINS9_10device_ptrIsEEEEPS5_jNS1_19radix_merge_compareILb0ELb1EsNS0_19identity_decomposerEEEEE10hipError_tT0_T1_T2_jT3_P12ihipStream_tbPNSt15iterator_traitsISK_E10value_typeEPNSQ_ISL_E10value_typeEPSM_NS1_7vsmem_tEENKUlT_SK_SL_SM_E_clISE_PsSF_SF_EESJ_SZ_SK_SL_SM_EUlSZ_E1_NS1_11comp_targetILNS1_3genE9ELNS1_11target_archE1100ELNS1_3gpuE3ELNS1_3repE0EEENS1_36merge_oddeven_config_static_selectorELNS0_4arch9wavefront6targetE1EEEvSL_,"axG",@progbits,_ZN7rocprim17ROCPRIM_400000_NS6detail17trampoline_kernelINS0_14default_configENS1_38merge_sort_block_merge_config_selectorIsNS0_10empty_typeEEEZZNS1_27merge_sort_block_merge_implIS3_N6thrust23THRUST_200600_302600_NS6detail15normal_iteratorINS9_10device_ptrIsEEEEPS5_jNS1_19radix_merge_compareILb0ELb1EsNS0_19identity_decomposerEEEEE10hipError_tT0_T1_T2_jT3_P12ihipStream_tbPNSt15iterator_traitsISK_E10value_typeEPNSQ_ISL_E10value_typeEPSM_NS1_7vsmem_tEENKUlT_SK_SL_SM_E_clISE_PsSF_SF_EESJ_SZ_SK_SL_SM_EUlSZ_E1_NS1_11comp_targetILNS1_3genE9ELNS1_11target_archE1100ELNS1_3gpuE3ELNS1_3repE0EEENS1_36merge_oddeven_config_static_selectorELNS0_4arch9wavefront6targetE1EEEvSL_,comdat
.Lfunc_end1921:
	.size	_ZN7rocprim17ROCPRIM_400000_NS6detail17trampoline_kernelINS0_14default_configENS1_38merge_sort_block_merge_config_selectorIsNS0_10empty_typeEEEZZNS1_27merge_sort_block_merge_implIS3_N6thrust23THRUST_200600_302600_NS6detail15normal_iteratorINS9_10device_ptrIsEEEEPS5_jNS1_19radix_merge_compareILb0ELb1EsNS0_19identity_decomposerEEEEE10hipError_tT0_T1_T2_jT3_P12ihipStream_tbPNSt15iterator_traitsISK_E10value_typeEPNSQ_ISL_E10value_typeEPSM_NS1_7vsmem_tEENKUlT_SK_SL_SM_E_clISE_PsSF_SF_EESJ_SZ_SK_SL_SM_EUlSZ_E1_NS1_11comp_targetILNS1_3genE9ELNS1_11target_archE1100ELNS1_3gpuE3ELNS1_3repE0EEENS1_36merge_oddeven_config_static_selectorELNS0_4arch9wavefront6targetE1EEEvSL_, .Lfunc_end1921-_ZN7rocprim17ROCPRIM_400000_NS6detail17trampoline_kernelINS0_14default_configENS1_38merge_sort_block_merge_config_selectorIsNS0_10empty_typeEEEZZNS1_27merge_sort_block_merge_implIS3_N6thrust23THRUST_200600_302600_NS6detail15normal_iteratorINS9_10device_ptrIsEEEEPS5_jNS1_19radix_merge_compareILb0ELb1EsNS0_19identity_decomposerEEEEE10hipError_tT0_T1_T2_jT3_P12ihipStream_tbPNSt15iterator_traitsISK_E10value_typeEPNSQ_ISL_E10value_typeEPSM_NS1_7vsmem_tEENKUlT_SK_SL_SM_E_clISE_PsSF_SF_EESJ_SZ_SK_SL_SM_EUlSZ_E1_NS1_11comp_targetILNS1_3genE9ELNS1_11target_archE1100ELNS1_3gpuE3ELNS1_3repE0EEENS1_36merge_oddeven_config_static_selectorELNS0_4arch9wavefront6targetE1EEEvSL_
                                        ; -- End function
	.section	.AMDGPU.csdata,"",@progbits
; Kernel info:
; codeLenInByte = 0
; NumSgprs: 4
; NumVgprs: 0
; NumAgprs: 0
; TotalNumVgprs: 0
; ScratchSize: 0
; MemoryBound: 0
; FloatMode: 240
; IeeeMode: 1
; LDSByteSize: 0 bytes/workgroup (compile time only)
; SGPRBlocks: 0
; VGPRBlocks: 0
; NumSGPRsForWavesPerEU: 4
; NumVGPRsForWavesPerEU: 1
; AccumOffset: 4
; Occupancy: 8
; WaveLimiterHint : 0
; COMPUTE_PGM_RSRC2:SCRATCH_EN: 0
; COMPUTE_PGM_RSRC2:USER_SGPR: 6
; COMPUTE_PGM_RSRC2:TRAP_HANDLER: 0
; COMPUTE_PGM_RSRC2:TGID_X_EN: 1
; COMPUTE_PGM_RSRC2:TGID_Y_EN: 0
; COMPUTE_PGM_RSRC2:TGID_Z_EN: 0
; COMPUTE_PGM_RSRC2:TIDIG_COMP_CNT: 0
; COMPUTE_PGM_RSRC3_GFX90A:ACCUM_OFFSET: 0
; COMPUTE_PGM_RSRC3_GFX90A:TG_SPLIT: 0
	.section	.text._ZN7rocprim17ROCPRIM_400000_NS6detail17trampoline_kernelINS0_14default_configENS1_38merge_sort_block_merge_config_selectorIsNS0_10empty_typeEEEZZNS1_27merge_sort_block_merge_implIS3_N6thrust23THRUST_200600_302600_NS6detail15normal_iteratorINS9_10device_ptrIsEEEEPS5_jNS1_19radix_merge_compareILb0ELb1EsNS0_19identity_decomposerEEEEE10hipError_tT0_T1_T2_jT3_P12ihipStream_tbPNSt15iterator_traitsISK_E10value_typeEPNSQ_ISL_E10value_typeEPSM_NS1_7vsmem_tEENKUlT_SK_SL_SM_E_clISE_PsSF_SF_EESJ_SZ_SK_SL_SM_EUlSZ_E1_NS1_11comp_targetILNS1_3genE8ELNS1_11target_archE1030ELNS1_3gpuE2ELNS1_3repE0EEENS1_36merge_oddeven_config_static_selectorELNS0_4arch9wavefront6targetE1EEEvSL_,"axG",@progbits,_ZN7rocprim17ROCPRIM_400000_NS6detail17trampoline_kernelINS0_14default_configENS1_38merge_sort_block_merge_config_selectorIsNS0_10empty_typeEEEZZNS1_27merge_sort_block_merge_implIS3_N6thrust23THRUST_200600_302600_NS6detail15normal_iteratorINS9_10device_ptrIsEEEEPS5_jNS1_19radix_merge_compareILb0ELb1EsNS0_19identity_decomposerEEEEE10hipError_tT0_T1_T2_jT3_P12ihipStream_tbPNSt15iterator_traitsISK_E10value_typeEPNSQ_ISL_E10value_typeEPSM_NS1_7vsmem_tEENKUlT_SK_SL_SM_E_clISE_PsSF_SF_EESJ_SZ_SK_SL_SM_EUlSZ_E1_NS1_11comp_targetILNS1_3genE8ELNS1_11target_archE1030ELNS1_3gpuE2ELNS1_3repE0EEENS1_36merge_oddeven_config_static_selectorELNS0_4arch9wavefront6targetE1EEEvSL_,comdat
	.protected	_ZN7rocprim17ROCPRIM_400000_NS6detail17trampoline_kernelINS0_14default_configENS1_38merge_sort_block_merge_config_selectorIsNS0_10empty_typeEEEZZNS1_27merge_sort_block_merge_implIS3_N6thrust23THRUST_200600_302600_NS6detail15normal_iteratorINS9_10device_ptrIsEEEEPS5_jNS1_19radix_merge_compareILb0ELb1EsNS0_19identity_decomposerEEEEE10hipError_tT0_T1_T2_jT3_P12ihipStream_tbPNSt15iterator_traitsISK_E10value_typeEPNSQ_ISL_E10value_typeEPSM_NS1_7vsmem_tEENKUlT_SK_SL_SM_E_clISE_PsSF_SF_EESJ_SZ_SK_SL_SM_EUlSZ_E1_NS1_11comp_targetILNS1_3genE8ELNS1_11target_archE1030ELNS1_3gpuE2ELNS1_3repE0EEENS1_36merge_oddeven_config_static_selectorELNS0_4arch9wavefront6targetE1EEEvSL_ ; -- Begin function _ZN7rocprim17ROCPRIM_400000_NS6detail17trampoline_kernelINS0_14default_configENS1_38merge_sort_block_merge_config_selectorIsNS0_10empty_typeEEEZZNS1_27merge_sort_block_merge_implIS3_N6thrust23THRUST_200600_302600_NS6detail15normal_iteratorINS9_10device_ptrIsEEEEPS5_jNS1_19radix_merge_compareILb0ELb1EsNS0_19identity_decomposerEEEEE10hipError_tT0_T1_T2_jT3_P12ihipStream_tbPNSt15iterator_traitsISK_E10value_typeEPNSQ_ISL_E10value_typeEPSM_NS1_7vsmem_tEENKUlT_SK_SL_SM_E_clISE_PsSF_SF_EESJ_SZ_SK_SL_SM_EUlSZ_E1_NS1_11comp_targetILNS1_3genE8ELNS1_11target_archE1030ELNS1_3gpuE2ELNS1_3repE0EEENS1_36merge_oddeven_config_static_selectorELNS0_4arch9wavefront6targetE1EEEvSL_
	.globl	_ZN7rocprim17ROCPRIM_400000_NS6detail17trampoline_kernelINS0_14default_configENS1_38merge_sort_block_merge_config_selectorIsNS0_10empty_typeEEEZZNS1_27merge_sort_block_merge_implIS3_N6thrust23THRUST_200600_302600_NS6detail15normal_iteratorINS9_10device_ptrIsEEEEPS5_jNS1_19radix_merge_compareILb0ELb1EsNS0_19identity_decomposerEEEEE10hipError_tT0_T1_T2_jT3_P12ihipStream_tbPNSt15iterator_traitsISK_E10value_typeEPNSQ_ISL_E10value_typeEPSM_NS1_7vsmem_tEENKUlT_SK_SL_SM_E_clISE_PsSF_SF_EESJ_SZ_SK_SL_SM_EUlSZ_E1_NS1_11comp_targetILNS1_3genE8ELNS1_11target_archE1030ELNS1_3gpuE2ELNS1_3repE0EEENS1_36merge_oddeven_config_static_selectorELNS0_4arch9wavefront6targetE1EEEvSL_
	.p2align	8
	.type	_ZN7rocprim17ROCPRIM_400000_NS6detail17trampoline_kernelINS0_14default_configENS1_38merge_sort_block_merge_config_selectorIsNS0_10empty_typeEEEZZNS1_27merge_sort_block_merge_implIS3_N6thrust23THRUST_200600_302600_NS6detail15normal_iteratorINS9_10device_ptrIsEEEEPS5_jNS1_19radix_merge_compareILb0ELb1EsNS0_19identity_decomposerEEEEE10hipError_tT0_T1_T2_jT3_P12ihipStream_tbPNSt15iterator_traitsISK_E10value_typeEPNSQ_ISL_E10value_typeEPSM_NS1_7vsmem_tEENKUlT_SK_SL_SM_E_clISE_PsSF_SF_EESJ_SZ_SK_SL_SM_EUlSZ_E1_NS1_11comp_targetILNS1_3genE8ELNS1_11target_archE1030ELNS1_3gpuE2ELNS1_3repE0EEENS1_36merge_oddeven_config_static_selectorELNS0_4arch9wavefront6targetE1EEEvSL_,@function
_ZN7rocprim17ROCPRIM_400000_NS6detail17trampoline_kernelINS0_14default_configENS1_38merge_sort_block_merge_config_selectorIsNS0_10empty_typeEEEZZNS1_27merge_sort_block_merge_implIS3_N6thrust23THRUST_200600_302600_NS6detail15normal_iteratorINS9_10device_ptrIsEEEEPS5_jNS1_19radix_merge_compareILb0ELb1EsNS0_19identity_decomposerEEEEE10hipError_tT0_T1_T2_jT3_P12ihipStream_tbPNSt15iterator_traitsISK_E10value_typeEPNSQ_ISL_E10value_typeEPSM_NS1_7vsmem_tEENKUlT_SK_SL_SM_E_clISE_PsSF_SF_EESJ_SZ_SK_SL_SM_EUlSZ_E1_NS1_11comp_targetILNS1_3genE8ELNS1_11target_archE1030ELNS1_3gpuE2ELNS1_3repE0EEENS1_36merge_oddeven_config_static_selectorELNS0_4arch9wavefront6targetE1EEEvSL_: ; @_ZN7rocprim17ROCPRIM_400000_NS6detail17trampoline_kernelINS0_14default_configENS1_38merge_sort_block_merge_config_selectorIsNS0_10empty_typeEEEZZNS1_27merge_sort_block_merge_implIS3_N6thrust23THRUST_200600_302600_NS6detail15normal_iteratorINS9_10device_ptrIsEEEEPS5_jNS1_19radix_merge_compareILb0ELb1EsNS0_19identity_decomposerEEEEE10hipError_tT0_T1_T2_jT3_P12ihipStream_tbPNSt15iterator_traitsISK_E10value_typeEPNSQ_ISL_E10value_typeEPSM_NS1_7vsmem_tEENKUlT_SK_SL_SM_E_clISE_PsSF_SF_EESJ_SZ_SK_SL_SM_EUlSZ_E1_NS1_11comp_targetILNS1_3genE8ELNS1_11target_archE1030ELNS1_3gpuE2ELNS1_3repE0EEENS1_36merge_oddeven_config_static_selectorELNS0_4arch9wavefront6targetE1EEEvSL_
; %bb.0:
	.section	.rodata,"a",@progbits
	.p2align	6, 0x0
	.amdhsa_kernel _ZN7rocprim17ROCPRIM_400000_NS6detail17trampoline_kernelINS0_14default_configENS1_38merge_sort_block_merge_config_selectorIsNS0_10empty_typeEEEZZNS1_27merge_sort_block_merge_implIS3_N6thrust23THRUST_200600_302600_NS6detail15normal_iteratorINS9_10device_ptrIsEEEEPS5_jNS1_19radix_merge_compareILb0ELb1EsNS0_19identity_decomposerEEEEE10hipError_tT0_T1_T2_jT3_P12ihipStream_tbPNSt15iterator_traitsISK_E10value_typeEPNSQ_ISL_E10value_typeEPSM_NS1_7vsmem_tEENKUlT_SK_SL_SM_E_clISE_PsSF_SF_EESJ_SZ_SK_SL_SM_EUlSZ_E1_NS1_11comp_targetILNS1_3genE8ELNS1_11target_archE1030ELNS1_3gpuE2ELNS1_3repE0EEENS1_36merge_oddeven_config_static_selectorELNS0_4arch9wavefront6targetE1EEEvSL_
		.amdhsa_group_segment_fixed_size 0
		.amdhsa_private_segment_fixed_size 0
		.amdhsa_kernarg_size 48
		.amdhsa_user_sgpr_count 6
		.amdhsa_user_sgpr_private_segment_buffer 1
		.amdhsa_user_sgpr_dispatch_ptr 0
		.amdhsa_user_sgpr_queue_ptr 0
		.amdhsa_user_sgpr_kernarg_segment_ptr 1
		.amdhsa_user_sgpr_dispatch_id 0
		.amdhsa_user_sgpr_flat_scratch_init 0
		.amdhsa_user_sgpr_kernarg_preload_length 0
		.amdhsa_user_sgpr_kernarg_preload_offset 0
		.amdhsa_user_sgpr_private_segment_size 0
		.amdhsa_uses_dynamic_stack 0
		.amdhsa_system_sgpr_private_segment_wavefront_offset 0
		.amdhsa_system_sgpr_workgroup_id_x 1
		.amdhsa_system_sgpr_workgroup_id_y 0
		.amdhsa_system_sgpr_workgroup_id_z 0
		.amdhsa_system_sgpr_workgroup_info 0
		.amdhsa_system_vgpr_workitem_id 0
		.amdhsa_next_free_vgpr 1
		.amdhsa_next_free_sgpr 0
		.amdhsa_accum_offset 4
		.amdhsa_reserve_vcc 0
		.amdhsa_reserve_flat_scratch 0
		.amdhsa_float_round_mode_32 0
		.amdhsa_float_round_mode_16_64 0
		.amdhsa_float_denorm_mode_32 3
		.amdhsa_float_denorm_mode_16_64 3
		.amdhsa_dx10_clamp 1
		.amdhsa_ieee_mode 1
		.amdhsa_fp16_overflow 0
		.amdhsa_tg_split 0
		.amdhsa_exception_fp_ieee_invalid_op 0
		.amdhsa_exception_fp_denorm_src 0
		.amdhsa_exception_fp_ieee_div_zero 0
		.amdhsa_exception_fp_ieee_overflow 0
		.amdhsa_exception_fp_ieee_underflow 0
		.amdhsa_exception_fp_ieee_inexact 0
		.amdhsa_exception_int_div_zero 0
	.end_amdhsa_kernel
	.section	.text._ZN7rocprim17ROCPRIM_400000_NS6detail17trampoline_kernelINS0_14default_configENS1_38merge_sort_block_merge_config_selectorIsNS0_10empty_typeEEEZZNS1_27merge_sort_block_merge_implIS3_N6thrust23THRUST_200600_302600_NS6detail15normal_iteratorINS9_10device_ptrIsEEEEPS5_jNS1_19radix_merge_compareILb0ELb1EsNS0_19identity_decomposerEEEEE10hipError_tT0_T1_T2_jT3_P12ihipStream_tbPNSt15iterator_traitsISK_E10value_typeEPNSQ_ISL_E10value_typeEPSM_NS1_7vsmem_tEENKUlT_SK_SL_SM_E_clISE_PsSF_SF_EESJ_SZ_SK_SL_SM_EUlSZ_E1_NS1_11comp_targetILNS1_3genE8ELNS1_11target_archE1030ELNS1_3gpuE2ELNS1_3repE0EEENS1_36merge_oddeven_config_static_selectorELNS0_4arch9wavefront6targetE1EEEvSL_,"axG",@progbits,_ZN7rocprim17ROCPRIM_400000_NS6detail17trampoline_kernelINS0_14default_configENS1_38merge_sort_block_merge_config_selectorIsNS0_10empty_typeEEEZZNS1_27merge_sort_block_merge_implIS3_N6thrust23THRUST_200600_302600_NS6detail15normal_iteratorINS9_10device_ptrIsEEEEPS5_jNS1_19radix_merge_compareILb0ELb1EsNS0_19identity_decomposerEEEEE10hipError_tT0_T1_T2_jT3_P12ihipStream_tbPNSt15iterator_traitsISK_E10value_typeEPNSQ_ISL_E10value_typeEPSM_NS1_7vsmem_tEENKUlT_SK_SL_SM_E_clISE_PsSF_SF_EESJ_SZ_SK_SL_SM_EUlSZ_E1_NS1_11comp_targetILNS1_3genE8ELNS1_11target_archE1030ELNS1_3gpuE2ELNS1_3repE0EEENS1_36merge_oddeven_config_static_selectorELNS0_4arch9wavefront6targetE1EEEvSL_,comdat
.Lfunc_end1922:
	.size	_ZN7rocprim17ROCPRIM_400000_NS6detail17trampoline_kernelINS0_14default_configENS1_38merge_sort_block_merge_config_selectorIsNS0_10empty_typeEEEZZNS1_27merge_sort_block_merge_implIS3_N6thrust23THRUST_200600_302600_NS6detail15normal_iteratorINS9_10device_ptrIsEEEEPS5_jNS1_19radix_merge_compareILb0ELb1EsNS0_19identity_decomposerEEEEE10hipError_tT0_T1_T2_jT3_P12ihipStream_tbPNSt15iterator_traitsISK_E10value_typeEPNSQ_ISL_E10value_typeEPSM_NS1_7vsmem_tEENKUlT_SK_SL_SM_E_clISE_PsSF_SF_EESJ_SZ_SK_SL_SM_EUlSZ_E1_NS1_11comp_targetILNS1_3genE8ELNS1_11target_archE1030ELNS1_3gpuE2ELNS1_3repE0EEENS1_36merge_oddeven_config_static_selectorELNS0_4arch9wavefront6targetE1EEEvSL_, .Lfunc_end1922-_ZN7rocprim17ROCPRIM_400000_NS6detail17trampoline_kernelINS0_14default_configENS1_38merge_sort_block_merge_config_selectorIsNS0_10empty_typeEEEZZNS1_27merge_sort_block_merge_implIS3_N6thrust23THRUST_200600_302600_NS6detail15normal_iteratorINS9_10device_ptrIsEEEEPS5_jNS1_19radix_merge_compareILb0ELb1EsNS0_19identity_decomposerEEEEE10hipError_tT0_T1_T2_jT3_P12ihipStream_tbPNSt15iterator_traitsISK_E10value_typeEPNSQ_ISL_E10value_typeEPSM_NS1_7vsmem_tEENKUlT_SK_SL_SM_E_clISE_PsSF_SF_EESJ_SZ_SK_SL_SM_EUlSZ_E1_NS1_11comp_targetILNS1_3genE8ELNS1_11target_archE1030ELNS1_3gpuE2ELNS1_3repE0EEENS1_36merge_oddeven_config_static_selectorELNS0_4arch9wavefront6targetE1EEEvSL_
                                        ; -- End function
	.section	.AMDGPU.csdata,"",@progbits
; Kernel info:
; codeLenInByte = 0
; NumSgprs: 4
; NumVgprs: 0
; NumAgprs: 0
; TotalNumVgprs: 0
; ScratchSize: 0
; MemoryBound: 0
; FloatMode: 240
; IeeeMode: 1
; LDSByteSize: 0 bytes/workgroup (compile time only)
; SGPRBlocks: 0
; VGPRBlocks: 0
; NumSGPRsForWavesPerEU: 4
; NumVGPRsForWavesPerEU: 1
; AccumOffset: 4
; Occupancy: 8
; WaveLimiterHint : 0
; COMPUTE_PGM_RSRC2:SCRATCH_EN: 0
; COMPUTE_PGM_RSRC2:USER_SGPR: 6
; COMPUTE_PGM_RSRC2:TRAP_HANDLER: 0
; COMPUTE_PGM_RSRC2:TGID_X_EN: 1
; COMPUTE_PGM_RSRC2:TGID_Y_EN: 0
; COMPUTE_PGM_RSRC2:TGID_Z_EN: 0
; COMPUTE_PGM_RSRC2:TIDIG_COMP_CNT: 0
; COMPUTE_PGM_RSRC3_GFX90A:ACCUM_OFFSET: 0
; COMPUTE_PGM_RSRC3_GFX90A:TG_SPLIT: 0
	.section	.text._ZN7rocprim17ROCPRIM_400000_NS6detail17trampoline_kernelINS0_14default_configENS1_35radix_sort_onesweep_config_selectorIsNS0_10empty_typeEEEZNS1_34radix_sort_onesweep_global_offsetsIS3_Lb0EN6thrust23THRUST_200600_302600_NS6detail15normal_iteratorINS9_10device_ptrIsEEEEPS5_jNS0_19identity_decomposerEEE10hipError_tT1_T2_PT3_SK_jT4_jjP12ihipStream_tbEUlT_E_NS1_11comp_targetILNS1_3genE0ELNS1_11target_archE4294967295ELNS1_3gpuE0ELNS1_3repE0EEENS1_52radix_sort_onesweep_histogram_config_static_selectorELNS0_4arch9wavefront6targetE1EEEvSI_,"axG",@progbits,_ZN7rocprim17ROCPRIM_400000_NS6detail17trampoline_kernelINS0_14default_configENS1_35radix_sort_onesweep_config_selectorIsNS0_10empty_typeEEEZNS1_34radix_sort_onesweep_global_offsetsIS3_Lb0EN6thrust23THRUST_200600_302600_NS6detail15normal_iteratorINS9_10device_ptrIsEEEEPS5_jNS0_19identity_decomposerEEE10hipError_tT1_T2_PT3_SK_jT4_jjP12ihipStream_tbEUlT_E_NS1_11comp_targetILNS1_3genE0ELNS1_11target_archE4294967295ELNS1_3gpuE0ELNS1_3repE0EEENS1_52radix_sort_onesweep_histogram_config_static_selectorELNS0_4arch9wavefront6targetE1EEEvSI_,comdat
	.protected	_ZN7rocprim17ROCPRIM_400000_NS6detail17trampoline_kernelINS0_14default_configENS1_35radix_sort_onesweep_config_selectorIsNS0_10empty_typeEEEZNS1_34radix_sort_onesweep_global_offsetsIS3_Lb0EN6thrust23THRUST_200600_302600_NS6detail15normal_iteratorINS9_10device_ptrIsEEEEPS5_jNS0_19identity_decomposerEEE10hipError_tT1_T2_PT3_SK_jT4_jjP12ihipStream_tbEUlT_E_NS1_11comp_targetILNS1_3genE0ELNS1_11target_archE4294967295ELNS1_3gpuE0ELNS1_3repE0EEENS1_52radix_sort_onesweep_histogram_config_static_selectorELNS0_4arch9wavefront6targetE1EEEvSI_ ; -- Begin function _ZN7rocprim17ROCPRIM_400000_NS6detail17trampoline_kernelINS0_14default_configENS1_35radix_sort_onesweep_config_selectorIsNS0_10empty_typeEEEZNS1_34radix_sort_onesweep_global_offsetsIS3_Lb0EN6thrust23THRUST_200600_302600_NS6detail15normal_iteratorINS9_10device_ptrIsEEEEPS5_jNS0_19identity_decomposerEEE10hipError_tT1_T2_PT3_SK_jT4_jjP12ihipStream_tbEUlT_E_NS1_11comp_targetILNS1_3genE0ELNS1_11target_archE4294967295ELNS1_3gpuE0ELNS1_3repE0EEENS1_52radix_sort_onesweep_histogram_config_static_selectorELNS0_4arch9wavefront6targetE1EEEvSI_
	.globl	_ZN7rocprim17ROCPRIM_400000_NS6detail17trampoline_kernelINS0_14default_configENS1_35radix_sort_onesweep_config_selectorIsNS0_10empty_typeEEEZNS1_34radix_sort_onesweep_global_offsetsIS3_Lb0EN6thrust23THRUST_200600_302600_NS6detail15normal_iteratorINS9_10device_ptrIsEEEEPS5_jNS0_19identity_decomposerEEE10hipError_tT1_T2_PT3_SK_jT4_jjP12ihipStream_tbEUlT_E_NS1_11comp_targetILNS1_3genE0ELNS1_11target_archE4294967295ELNS1_3gpuE0ELNS1_3repE0EEENS1_52radix_sort_onesweep_histogram_config_static_selectorELNS0_4arch9wavefront6targetE1EEEvSI_
	.p2align	8
	.type	_ZN7rocprim17ROCPRIM_400000_NS6detail17trampoline_kernelINS0_14default_configENS1_35radix_sort_onesweep_config_selectorIsNS0_10empty_typeEEEZNS1_34radix_sort_onesweep_global_offsetsIS3_Lb0EN6thrust23THRUST_200600_302600_NS6detail15normal_iteratorINS9_10device_ptrIsEEEEPS5_jNS0_19identity_decomposerEEE10hipError_tT1_T2_PT3_SK_jT4_jjP12ihipStream_tbEUlT_E_NS1_11comp_targetILNS1_3genE0ELNS1_11target_archE4294967295ELNS1_3gpuE0ELNS1_3repE0EEENS1_52radix_sort_onesweep_histogram_config_static_selectorELNS0_4arch9wavefront6targetE1EEEvSI_,@function
_ZN7rocprim17ROCPRIM_400000_NS6detail17trampoline_kernelINS0_14default_configENS1_35radix_sort_onesweep_config_selectorIsNS0_10empty_typeEEEZNS1_34radix_sort_onesweep_global_offsetsIS3_Lb0EN6thrust23THRUST_200600_302600_NS6detail15normal_iteratorINS9_10device_ptrIsEEEEPS5_jNS0_19identity_decomposerEEE10hipError_tT1_T2_PT3_SK_jT4_jjP12ihipStream_tbEUlT_E_NS1_11comp_targetILNS1_3genE0ELNS1_11target_archE4294967295ELNS1_3gpuE0ELNS1_3repE0EEENS1_52radix_sort_onesweep_histogram_config_static_selectorELNS0_4arch9wavefront6targetE1EEEvSI_: ; @_ZN7rocprim17ROCPRIM_400000_NS6detail17trampoline_kernelINS0_14default_configENS1_35radix_sort_onesweep_config_selectorIsNS0_10empty_typeEEEZNS1_34radix_sort_onesweep_global_offsetsIS3_Lb0EN6thrust23THRUST_200600_302600_NS6detail15normal_iteratorINS9_10device_ptrIsEEEEPS5_jNS0_19identity_decomposerEEE10hipError_tT1_T2_PT3_SK_jT4_jjP12ihipStream_tbEUlT_E_NS1_11comp_targetILNS1_3genE0ELNS1_11target_archE4294967295ELNS1_3gpuE0ELNS1_3repE0EEENS1_52radix_sort_onesweep_histogram_config_static_selectorELNS0_4arch9wavefront6targetE1EEEvSI_
; %bb.0:
	.section	.rodata,"a",@progbits
	.p2align	6, 0x0
	.amdhsa_kernel _ZN7rocprim17ROCPRIM_400000_NS6detail17trampoline_kernelINS0_14default_configENS1_35radix_sort_onesweep_config_selectorIsNS0_10empty_typeEEEZNS1_34radix_sort_onesweep_global_offsetsIS3_Lb0EN6thrust23THRUST_200600_302600_NS6detail15normal_iteratorINS9_10device_ptrIsEEEEPS5_jNS0_19identity_decomposerEEE10hipError_tT1_T2_PT3_SK_jT4_jjP12ihipStream_tbEUlT_E_NS1_11comp_targetILNS1_3genE0ELNS1_11target_archE4294967295ELNS1_3gpuE0ELNS1_3repE0EEENS1_52radix_sort_onesweep_histogram_config_static_selectorELNS0_4arch9wavefront6targetE1EEEvSI_
		.amdhsa_group_segment_fixed_size 0
		.amdhsa_private_segment_fixed_size 0
		.amdhsa_kernarg_size 40
		.amdhsa_user_sgpr_count 6
		.amdhsa_user_sgpr_private_segment_buffer 1
		.amdhsa_user_sgpr_dispatch_ptr 0
		.amdhsa_user_sgpr_queue_ptr 0
		.amdhsa_user_sgpr_kernarg_segment_ptr 1
		.amdhsa_user_sgpr_dispatch_id 0
		.amdhsa_user_sgpr_flat_scratch_init 0
		.amdhsa_user_sgpr_kernarg_preload_length 0
		.amdhsa_user_sgpr_kernarg_preload_offset 0
		.amdhsa_user_sgpr_private_segment_size 0
		.amdhsa_uses_dynamic_stack 0
		.amdhsa_system_sgpr_private_segment_wavefront_offset 0
		.amdhsa_system_sgpr_workgroup_id_x 1
		.amdhsa_system_sgpr_workgroup_id_y 0
		.amdhsa_system_sgpr_workgroup_id_z 0
		.amdhsa_system_sgpr_workgroup_info 0
		.amdhsa_system_vgpr_workitem_id 0
		.amdhsa_next_free_vgpr 1
		.amdhsa_next_free_sgpr 0
		.amdhsa_accum_offset 4
		.amdhsa_reserve_vcc 0
		.amdhsa_reserve_flat_scratch 0
		.amdhsa_float_round_mode_32 0
		.amdhsa_float_round_mode_16_64 0
		.amdhsa_float_denorm_mode_32 3
		.amdhsa_float_denorm_mode_16_64 3
		.amdhsa_dx10_clamp 1
		.amdhsa_ieee_mode 1
		.amdhsa_fp16_overflow 0
		.amdhsa_tg_split 0
		.amdhsa_exception_fp_ieee_invalid_op 0
		.amdhsa_exception_fp_denorm_src 0
		.amdhsa_exception_fp_ieee_div_zero 0
		.amdhsa_exception_fp_ieee_overflow 0
		.amdhsa_exception_fp_ieee_underflow 0
		.amdhsa_exception_fp_ieee_inexact 0
		.amdhsa_exception_int_div_zero 0
	.end_amdhsa_kernel
	.section	.text._ZN7rocprim17ROCPRIM_400000_NS6detail17trampoline_kernelINS0_14default_configENS1_35radix_sort_onesweep_config_selectorIsNS0_10empty_typeEEEZNS1_34radix_sort_onesweep_global_offsetsIS3_Lb0EN6thrust23THRUST_200600_302600_NS6detail15normal_iteratorINS9_10device_ptrIsEEEEPS5_jNS0_19identity_decomposerEEE10hipError_tT1_T2_PT3_SK_jT4_jjP12ihipStream_tbEUlT_E_NS1_11comp_targetILNS1_3genE0ELNS1_11target_archE4294967295ELNS1_3gpuE0ELNS1_3repE0EEENS1_52radix_sort_onesweep_histogram_config_static_selectorELNS0_4arch9wavefront6targetE1EEEvSI_,"axG",@progbits,_ZN7rocprim17ROCPRIM_400000_NS6detail17trampoline_kernelINS0_14default_configENS1_35radix_sort_onesweep_config_selectorIsNS0_10empty_typeEEEZNS1_34radix_sort_onesweep_global_offsetsIS3_Lb0EN6thrust23THRUST_200600_302600_NS6detail15normal_iteratorINS9_10device_ptrIsEEEEPS5_jNS0_19identity_decomposerEEE10hipError_tT1_T2_PT3_SK_jT4_jjP12ihipStream_tbEUlT_E_NS1_11comp_targetILNS1_3genE0ELNS1_11target_archE4294967295ELNS1_3gpuE0ELNS1_3repE0EEENS1_52radix_sort_onesweep_histogram_config_static_selectorELNS0_4arch9wavefront6targetE1EEEvSI_,comdat
.Lfunc_end1923:
	.size	_ZN7rocprim17ROCPRIM_400000_NS6detail17trampoline_kernelINS0_14default_configENS1_35radix_sort_onesweep_config_selectorIsNS0_10empty_typeEEEZNS1_34radix_sort_onesweep_global_offsetsIS3_Lb0EN6thrust23THRUST_200600_302600_NS6detail15normal_iteratorINS9_10device_ptrIsEEEEPS5_jNS0_19identity_decomposerEEE10hipError_tT1_T2_PT3_SK_jT4_jjP12ihipStream_tbEUlT_E_NS1_11comp_targetILNS1_3genE0ELNS1_11target_archE4294967295ELNS1_3gpuE0ELNS1_3repE0EEENS1_52radix_sort_onesweep_histogram_config_static_selectorELNS0_4arch9wavefront6targetE1EEEvSI_, .Lfunc_end1923-_ZN7rocprim17ROCPRIM_400000_NS6detail17trampoline_kernelINS0_14default_configENS1_35radix_sort_onesweep_config_selectorIsNS0_10empty_typeEEEZNS1_34radix_sort_onesweep_global_offsetsIS3_Lb0EN6thrust23THRUST_200600_302600_NS6detail15normal_iteratorINS9_10device_ptrIsEEEEPS5_jNS0_19identity_decomposerEEE10hipError_tT1_T2_PT3_SK_jT4_jjP12ihipStream_tbEUlT_E_NS1_11comp_targetILNS1_3genE0ELNS1_11target_archE4294967295ELNS1_3gpuE0ELNS1_3repE0EEENS1_52radix_sort_onesweep_histogram_config_static_selectorELNS0_4arch9wavefront6targetE1EEEvSI_
                                        ; -- End function
	.section	.AMDGPU.csdata,"",@progbits
; Kernel info:
; codeLenInByte = 0
; NumSgprs: 4
; NumVgprs: 0
; NumAgprs: 0
; TotalNumVgprs: 0
; ScratchSize: 0
; MemoryBound: 0
; FloatMode: 240
; IeeeMode: 1
; LDSByteSize: 0 bytes/workgroup (compile time only)
; SGPRBlocks: 0
; VGPRBlocks: 0
; NumSGPRsForWavesPerEU: 4
; NumVGPRsForWavesPerEU: 1
; AccumOffset: 4
; Occupancy: 8
; WaveLimiterHint : 0
; COMPUTE_PGM_RSRC2:SCRATCH_EN: 0
; COMPUTE_PGM_RSRC2:USER_SGPR: 6
; COMPUTE_PGM_RSRC2:TRAP_HANDLER: 0
; COMPUTE_PGM_RSRC2:TGID_X_EN: 1
; COMPUTE_PGM_RSRC2:TGID_Y_EN: 0
; COMPUTE_PGM_RSRC2:TGID_Z_EN: 0
; COMPUTE_PGM_RSRC2:TIDIG_COMP_CNT: 0
; COMPUTE_PGM_RSRC3_GFX90A:ACCUM_OFFSET: 0
; COMPUTE_PGM_RSRC3_GFX90A:TG_SPLIT: 0
	.section	.text._ZN7rocprim17ROCPRIM_400000_NS6detail17trampoline_kernelINS0_14default_configENS1_35radix_sort_onesweep_config_selectorIsNS0_10empty_typeEEEZNS1_34radix_sort_onesweep_global_offsetsIS3_Lb0EN6thrust23THRUST_200600_302600_NS6detail15normal_iteratorINS9_10device_ptrIsEEEEPS5_jNS0_19identity_decomposerEEE10hipError_tT1_T2_PT3_SK_jT4_jjP12ihipStream_tbEUlT_E_NS1_11comp_targetILNS1_3genE6ELNS1_11target_archE950ELNS1_3gpuE13ELNS1_3repE0EEENS1_52radix_sort_onesweep_histogram_config_static_selectorELNS0_4arch9wavefront6targetE1EEEvSI_,"axG",@progbits,_ZN7rocprim17ROCPRIM_400000_NS6detail17trampoline_kernelINS0_14default_configENS1_35radix_sort_onesweep_config_selectorIsNS0_10empty_typeEEEZNS1_34radix_sort_onesweep_global_offsetsIS3_Lb0EN6thrust23THRUST_200600_302600_NS6detail15normal_iteratorINS9_10device_ptrIsEEEEPS5_jNS0_19identity_decomposerEEE10hipError_tT1_T2_PT3_SK_jT4_jjP12ihipStream_tbEUlT_E_NS1_11comp_targetILNS1_3genE6ELNS1_11target_archE950ELNS1_3gpuE13ELNS1_3repE0EEENS1_52radix_sort_onesweep_histogram_config_static_selectorELNS0_4arch9wavefront6targetE1EEEvSI_,comdat
	.protected	_ZN7rocprim17ROCPRIM_400000_NS6detail17trampoline_kernelINS0_14default_configENS1_35radix_sort_onesweep_config_selectorIsNS0_10empty_typeEEEZNS1_34radix_sort_onesweep_global_offsetsIS3_Lb0EN6thrust23THRUST_200600_302600_NS6detail15normal_iteratorINS9_10device_ptrIsEEEEPS5_jNS0_19identity_decomposerEEE10hipError_tT1_T2_PT3_SK_jT4_jjP12ihipStream_tbEUlT_E_NS1_11comp_targetILNS1_3genE6ELNS1_11target_archE950ELNS1_3gpuE13ELNS1_3repE0EEENS1_52radix_sort_onesweep_histogram_config_static_selectorELNS0_4arch9wavefront6targetE1EEEvSI_ ; -- Begin function _ZN7rocprim17ROCPRIM_400000_NS6detail17trampoline_kernelINS0_14default_configENS1_35radix_sort_onesweep_config_selectorIsNS0_10empty_typeEEEZNS1_34radix_sort_onesweep_global_offsetsIS3_Lb0EN6thrust23THRUST_200600_302600_NS6detail15normal_iteratorINS9_10device_ptrIsEEEEPS5_jNS0_19identity_decomposerEEE10hipError_tT1_T2_PT3_SK_jT4_jjP12ihipStream_tbEUlT_E_NS1_11comp_targetILNS1_3genE6ELNS1_11target_archE950ELNS1_3gpuE13ELNS1_3repE0EEENS1_52radix_sort_onesweep_histogram_config_static_selectorELNS0_4arch9wavefront6targetE1EEEvSI_
	.globl	_ZN7rocprim17ROCPRIM_400000_NS6detail17trampoline_kernelINS0_14default_configENS1_35radix_sort_onesweep_config_selectorIsNS0_10empty_typeEEEZNS1_34radix_sort_onesweep_global_offsetsIS3_Lb0EN6thrust23THRUST_200600_302600_NS6detail15normal_iteratorINS9_10device_ptrIsEEEEPS5_jNS0_19identity_decomposerEEE10hipError_tT1_T2_PT3_SK_jT4_jjP12ihipStream_tbEUlT_E_NS1_11comp_targetILNS1_3genE6ELNS1_11target_archE950ELNS1_3gpuE13ELNS1_3repE0EEENS1_52radix_sort_onesweep_histogram_config_static_selectorELNS0_4arch9wavefront6targetE1EEEvSI_
	.p2align	8
	.type	_ZN7rocprim17ROCPRIM_400000_NS6detail17trampoline_kernelINS0_14default_configENS1_35radix_sort_onesweep_config_selectorIsNS0_10empty_typeEEEZNS1_34radix_sort_onesweep_global_offsetsIS3_Lb0EN6thrust23THRUST_200600_302600_NS6detail15normal_iteratorINS9_10device_ptrIsEEEEPS5_jNS0_19identity_decomposerEEE10hipError_tT1_T2_PT3_SK_jT4_jjP12ihipStream_tbEUlT_E_NS1_11comp_targetILNS1_3genE6ELNS1_11target_archE950ELNS1_3gpuE13ELNS1_3repE0EEENS1_52radix_sort_onesweep_histogram_config_static_selectorELNS0_4arch9wavefront6targetE1EEEvSI_,@function
_ZN7rocprim17ROCPRIM_400000_NS6detail17trampoline_kernelINS0_14default_configENS1_35radix_sort_onesweep_config_selectorIsNS0_10empty_typeEEEZNS1_34radix_sort_onesweep_global_offsetsIS3_Lb0EN6thrust23THRUST_200600_302600_NS6detail15normal_iteratorINS9_10device_ptrIsEEEEPS5_jNS0_19identity_decomposerEEE10hipError_tT1_T2_PT3_SK_jT4_jjP12ihipStream_tbEUlT_E_NS1_11comp_targetILNS1_3genE6ELNS1_11target_archE950ELNS1_3gpuE13ELNS1_3repE0EEENS1_52radix_sort_onesweep_histogram_config_static_selectorELNS0_4arch9wavefront6targetE1EEEvSI_: ; @_ZN7rocprim17ROCPRIM_400000_NS6detail17trampoline_kernelINS0_14default_configENS1_35radix_sort_onesweep_config_selectorIsNS0_10empty_typeEEEZNS1_34radix_sort_onesweep_global_offsetsIS3_Lb0EN6thrust23THRUST_200600_302600_NS6detail15normal_iteratorINS9_10device_ptrIsEEEEPS5_jNS0_19identity_decomposerEEE10hipError_tT1_T2_PT3_SK_jT4_jjP12ihipStream_tbEUlT_E_NS1_11comp_targetILNS1_3genE6ELNS1_11target_archE950ELNS1_3gpuE13ELNS1_3repE0EEENS1_52radix_sort_onesweep_histogram_config_static_selectorELNS0_4arch9wavefront6targetE1EEEvSI_
; %bb.0:
	.section	.rodata,"a",@progbits
	.p2align	6, 0x0
	.amdhsa_kernel _ZN7rocprim17ROCPRIM_400000_NS6detail17trampoline_kernelINS0_14default_configENS1_35radix_sort_onesweep_config_selectorIsNS0_10empty_typeEEEZNS1_34radix_sort_onesweep_global_offsetsIS3_Lb0EN6thrust23THRUST_200600_302600_NS6detail15normal_iteratorINS9_10device_ptrIsEEEEPS5_jNS0_19identity_decomposerEEE10hipError_tT1_T2_PT3_SK_jT4_jjP12ihipStream_tbEUlT_E_NS1_11comp_targetILNS1_3genE6ELNS1_11target_archE950ELNS1_3gpuE13ELNS1_3repE0EEENS1_52radix_sort_onesweep_histogram_config_static_selectorELNS0_4arch9wavefront6targetE1EEEvSI_
		.amdhsa_group_segment_fixed_size 0
		.amdhsa_private_segment_fixed_size 0
		.amdhsa_kernarg_size 40
		.amdhsa_user_sgpr_count 6
		.amdhsa_user_sgpr_private_segment_buffer 1
		.amdhsa_user_sgpr_dispatch_ptr 0
		.amdhsa_user_sgpr_queue_ptr 0
		.amdhsa_user_sgpr_kernarg_segment_ptr 1
		.amdhsa_user_sgpr_dispatch_id 0
		.amdhsa_user_sgpr_flat_scratch_init 0
		.amdhsa_user_sgpr_kernarg_preload_length 0
		.amdhsa_user_sgpr_kernarg_preload_offset 0
		.amdhsa_user_sgpr_private_segment_size 0
		.amdhsa_uses_dynamic_stack 0
		.amdhsa_system_sgpr_private_segment_wavefront_offset 0
		.amdhsa_system_sgpr_workgroup_id_x 1
		.amdhsa_system_sgpr_workgroup_id_y 0
		.amdhsa_system_sgpr_workgroup_id_z 0
		.amdhsa_system_sgpr_workgroup_info 0
		.amdhsa_system_vgpr_workitem_id 0
		.amdhsa_next_free_vgpr 1
		.amdhsa_next_free_sgpr 0
		.amdhsa_accum_offset 4
		.amdhsa_reserve_vcc 0
		.amdhsa_reserve_flat_scratch 0
		.amdhsa_float_round_mode_32 0
		.amdhsa_float_round_mode_16_64 0
		.amdhsa_float_denorm_mode_32 3
		.amdhsa_float_denorm_mode_16_64 3
		.amdhsa_dx10_clamp 1
		.amdhsa_ieee_mode 1
		.amdhsa_fp16_overflow 0
		.amdhsa_tg_split 0
		.amdhsa_exception_fp_ieee_invalid_op 0
		.amdhsa_exception_fp_denorm_src 0
		.amdhsa_exception_fp_ieee_div_zero 0
		.amdhsa_exception_fp_ieee_overflow 0
		.amdhsa_exception_fp_ieee_underflow 0
		.amdhsa_exception_fp_ieee_inexact 0
		.amdhsa_exception_int_div_zero 0
	.end_amdhsa_kernel
	.section	.text._ZN7rocprim17ROCPRIM_400000_NS6detail17trampoline_kernelINS0_14default_configENS1_35radix_sort_onesweep_config_selectorIsNS0_10empty_typeEEEZNS1_34radix_sort_onesweep_global_offsetsIS3_Lb0EN6thrust23THRUST_200600_302600_NS6detail15normal_iteratorINS9_10device_ptrIsEEEEPS5_jNS0_19identity_decomposerEEE10hipError_tT1_T2_PT3_SK_jT4_jjP12ihipStream_tbEUlT_E_NS1_11comp_targetILNS1_3genE6ELNS1_11target_archE950ELNS1_3gpuE13ELNS1_3repE0EEENS1_52radix_sort_onesweep_histogram_config_static_selectorELNS0_4arch9wavefront6targetE1EEEvSI_,"axG",@progbits,_ZN7rocprim17ROCPRIM_400000_NS6detail17trampoline_kernelINS0_14default_configENS1_35radix_sort_onesweep_config_selectorIsNS0_10empty_typeEEEZNS1_34radix_sort_onesweep_global_offsetsIS3_Lb0EN6thrust23THRUST_200600_302600_NS6detail15normal_iteratorINS9_10device_ptrIsEEEEPS5_jNS0_19identity_decomposerEEE10hipError_tT1_T2_PT3_SK_jT4_jjP12ihipStream_tbEUlT_E_NS1_11comp_targetILNS1_3genE6ELNS1_11target_archE950ELNS1_3gpuE13ELNS1_3repE0EEENS1_52radix_sort_onesweep_histogram_config_static_selectorELNS0_4arch9wavefront6targetE1EEEvSI_,comdat
.Lfunc_end1924:
	.size	_ZN7rocprim17ROCPRIM_400000_NS6detail17trampoline_kernelINS0_14default_configENS1_35radix_sort_onesweep_config_selectorIsNS0_10empty_typeEEEZNS1_34radix_sort_onesweep_global_offsetsIS3_Lb0EN6thrust23THRUST_200600_302600_NS6detail15normal_iteratorINS9_10device_ptrIsEEEEPS5_jNS0_19identity_decomposerEEE10hipError_tT1_T2_PT3_SK_jT4_jjP12ihipStream_tbEUlT_E_NS1_11comp_targetILNS1_3genE6ELNS1_11target_archE950ELNS1_3gpuE13ELNS1_3repE0EEENS1_52radix_sort_onesweep_histogram_config_static_selectorELNS0_4arch9wavefront6targetE1EEEvSI_, .Lfunc_end1924-_ZN7rocprim17ROCPRIM_400000_NS6detail17trampoline_kernelINS0_14default_configENS1_35radix_sort_onesweep_config_selectorIsNS0_10empty_typeEEEZNS1_34radix_sort_onesweep_global_offsetsIS3_Lb0EN6thrust23THRUST_200600_302600_NS6detail15normal_iteratorINS9_10device_ptrIsEEEEPS5_jNS0_19identity_decomposerEEE10hipError_tT1_T2_PT3_SK_jT4_jjP12ihipStream_tbEUlT_E_NS1_11comp_targetILNS1_3genE6ELNS1_11target_archE950ELNS1_3gpuE13ELNS1_3repE0EEENS1_52radix_sort_onesweep_histogram_config_static_selectorELNS0_4arch9wavefront6targetE1EEEvSI_
                                        ; -- End function
	.section	.AMDGPU.csdata,"",@progbits
; Kernel info:
; codeLenInByte = 0
; NumSgprs: 4
; NumVgprs: 0
; NumAgprs: 0
; TotalNumVgprs: 0
; ScratchSize: 0
; MemoryBound: 0
; FloatMode: 240
; IeeeMode: 1
; LDSByteSize: 0 bytes/workgroup (compile time only)
; SGPRBlocks: 0
; VGPRBlocks: 0
; NumSGPRsForWavesPerEU: 4
; NumVGPRsForWavesPerEU: 1
; AccumOffset: 4
; Occupancy: 8
; WaveLimiterHint : 0
; COMPUTE_PGM_RSRC2:SCRATCH_EN: 0
; COMPUTE_PGM_RSRC2:USER_SGPR: 6
; COMPUTE_PGM_RSRC2:TRAP_HANDLER: 0
; COMPUTE_PGM_RSRC2:TGID_X_EN: 1
; COMPUTE_PGM_RSRC2:TGID_Y_EN: 0
; COMPUTE_PGM_RSRC2:TGID_Z_EN: 0
; COMPUTE_PGM_RSRC2:TIDIG_COMP_CNT: 0
; COMPUTE_PGM_RSRC3_GFX90A:ACCUM_OFFSET: 0
; COMPUTE_PGM_RSRC3_GFX90A:TG_SPLIT: 0
	.section	.text._ZN7rocprim17ROCPRIM_400000_NS6detail17trampoline_kernelINS0_14default_configENS1_35radix_sort_onesweep_config_selectorIsNS0_10empty_typeEEEZNS1_34radix_sort_onesweep_global_offsetsIS3_Lb0EN6thrust23THRUST_200600_302600_NS6detail15normal_iteratorINS9_10device_ptrIsEEEEPS5_jNS0_19identity_decomposerEEE10hipError_tT1_T2_PT3_SK_jT4_jjP12ihipStream_tbEUlT_E_NS1_11comp_targetILNS1_3genE5ELNS1_11target_archE942ELNS1_3gpuE9ELNS1_3repE0EEENS1_52radix_sort_onesweep_histogram_config_static_selectorELNS0_4arch9wavefront6targetE1EEEvSI_,"axG",@progbits,_ZN7rocprim17ROCPRIM_400000_NS6detail17trampoline_kernelINS0_14default_configENS1_35radix_sort_onesweep_config_selectorIsNS0_10empty_typeEEEZNS1_34radix_sort_onesweep_global_offsetsIS3_Lb0EN6thrust23THRUST_200600_302600_NS6detail15normal_iteratorINS9_10device_ptrIsEEEEPS5_jNS0_19identity_decomposerEEE10hipError_tT1_T2_PT3_SK_jT4_jjP12ihipStream_tbEUlT_E_NS1_11comp_targetILNS1_3genE5ELNS1_11target_archE942ELNS1_3gpuE9ELNS1_3repE0EEENS1_52radix_sort_onesweep_histogram_config_static_selectorELNS0_4arch9wavefront6targetE1EEEvSI_,comdat
	.protected	_ZN7rocprim17ROCPRIM_400000_NS6detail17trampoline_kernelINS0_14default_configENS1_35radix_sort_onesweep_config_selectorIsNS0_10empty_typeEEEZNS1_34radix_sort_onesweep_global_offsetsIS3_Lb0EN6thrust23THRUST_200600_302600_NS6detail15normal_iteratorINS9_10device_ptrIsEEEEPS5_jNS0_19identity_decomposerEEE10hipError_tT1_T2_PT3_SK_jT4_jjP12ihipStream_tbEUlT_E_NS1_11comp_targetILNS1_3genE5ELNS1_11target_archE942ELNS1_3gpuE9ELNS1_3repE0EEENS1_52radix_sort_onesweep_histogram_config_static_selectorELNS0_4arch9wavefront6targetE1EEEvSI_ ; -- Begin function _ZN7rocprim17ROCPRIM_400000_NS6detail17trampoline_kernelINS0_14default_configENS1_35radix_sort_onesweep_config_selectorIsNS0_10empty_typeEEEZNS1_34radix_sort_onesweep_global_offsetsIS3_Lb0EN6thrust23THRUST_200600_302600_NS6detail15normal_iteratorINS9_10device_ptrIsEEEEPS5_jNS0_19identity_decomposerEEE10hipError_tT1_T2_PT3_SK_jT4_jjP12ihipStream_tbEUlT_E_NS1_11comp_targetILNS1_3genE5ELNS1_11target_archE942ELNS1_3gpuE9ELNS1_3repE0EEENS1_52radix_sort_onesweep_histogram_config_static_selectorELNS0_4arch9wavefront6targetE1EEEvSI_
	.globl	_ZN7rocprim17ROCPRIM_400000_NS6detail17trampoline_kernelINS0_14default_configENS1_35radix_sort_onesweep_config_selectorIsNS0_10empty_typeEEEZNS1_34radix_sort_onesweep_global_offsetsIS3_Lb0EN6thrust23THRUST_200600_302600_NS6detail15normal_iteratorINS9_10device_ptrIsEEEEPS5_jNS0_19identity_decomposerEEE10hipError_tT1_T2_PT3_SK_jT4_jjP12ihipStream_tbEUlT_E_NS1_11comp_targetILNS1_3genE5ELNS1_11target_archE942ELNS1_3gpuE9ELNS1_3repE0EEENS1_52radix_sort_onesweep_histogram_config_static_selectorELNS0_4arch9wavefront6targetE1EEEvSI_
	.p2align	8
	.type	_ZN7rocprim17ROCPRIM_400000_NS6detail17trampoline_kernelINS0_14default_configENS1_35radix_sort_onesweep_config_selectorIsNS0_10empty_typeEEEZNS1_34radix_sort_onesweep_global_offsetsIS3_Lb0EN6thrust23THRUST_200600_302600_NS6detail15normal_iteratorINS9_10device_ptrIsEEEEPS5_jNS0_19identity_decomposerEEE10hipError_tT1_T2_PT3_SK_jT4_jjP12ihipStream_tbEUlT_E_NS1_11comp_targetILNS1_3genE5ELNS1_11target_archE942ELNS1_3gpuE9ELNS1_3repE0EEENS1_52radix_sort_onesweep_histogram_config_static_selectorELNS0_4arch9wavefront6targetE1EEEvSI_,@function
_ZN7rocprim17ROCPRIM_400000_NS6detail17trampoline_kernelINS0_14default_configENS1_35radix_sort_onesweep_config_selectorIsNS0_10empty_typeEEEZNS1_34radix_sort_onesweep_global_offsetsIS3_Lb0EN6thrust23THRUST_200600_302600_NS6detail15normal_iteratorINS9_10device_ptrIsEEEEPS5_jNS0_19identity_decomposerEEE10hipError_tT1_T2_PT3_SK_jT4_jjP12ihipStream_tbEUlT_E_NS1_11comp_targetILNS1_3genE5ELNS1_11target_archE942ELNS1_3gpuE9ELNS1_3repE0EEENS1_52radix_sort_onesweep_histogram_config_static_selectorELNS0_4arch9wavefront6targetE1EEEvSI_: ; @_ZN7rocprim17ROCPRIM_400000_NS6detail17trampoline_kernelINS0_14default_configENS1_35radix_sort_onesweep_config_selectorIsNS0_10empty_typeEEEZNS1_34radix_sort_onesweep_global_offsetsIS3_Lb0EN6thrust23THRUST_200600_302600_NS6detail15normal_iteratorINS9_10device_ptrIsEEEEPS5_jNS0_19identity_decomposerEEE10hipError_tT1_T2_PT3_SK_jT4_jjP12ihipStream_tbEUlT_E_NS1_11comp_targetILNS1_3genE5ELNS1_11target_archE942ELNS1_3gpuE9ELNS1_3repE0EEENS1_52radix_sort_onesweep_histogram_config_static_selectorELNS0_4arch9wavefront6targetE1EEEvSI_
; %bb.0:
	.section	.rodata,"a",@progbits
	.p2align	6, 0x0
	.amdhsa_kernel _ZN7rocprim17ROCPRIM_400000_NS6detail17trampoline_kernelINS0_14default_configENS1_35radix_sort_onesweep_config_selectorIsNS0_10empty_typeEEEZNS1_34radix_sort_onesweep_global_offsetsIS3_Lb0EN6thrust23THRUST_200600_302600_NS6detail15normal_iteratorINS9_10device_ptrIsEEEEPS5_jNS0_19identity_decomposerEEE10hipError_tT1_T2_PT3_SK_jT4_jjP12ihipStream_tbEUlT_E_NS1_11comp_targetILNS1_3genE5ELNS1_11target_archE942ELNS1_3gpuE9ELNS1_3repE0EEENS1_52radix_sort_onesweep_histogram_config_static_selectorELNS0_4arch9wavefront6targetE1EEEvSI_
		.amdhsa_group_segment_fixed_size 0
		.amdhsa_private_segment_fixed_size 0
		.amdhsa_kernarg_size 40
		.amdhsa_user_sgpr_count 6
		.amdhsa_user_sgpr_private_segment_buffer 1
		.amdhsa_user_sgpr_dispatch_ptr 0
		.amdhsa_user_sgpr_queue_ptr 0
		.amdhsa_user_sgpr_kernarg_segment_ptr 1
		.amdhsa_user_sgpr_dispatch_id 0
		.amdhsa_user_sgpr_flat_scratch_init 0
		.amdhsa_user_sgpr_kernarg_preload_length 0
		.amdhsa_user_sgpr_kernarg_preload_offset 0
		.amdhsa_user_sgpr_private_segment_size 0
		.amdhsa_uses_dynamic_stack 0
		.amdhsa_system_sgpr_private_segment_wavefront_offset 0
		.amdhsa_system_sgpr_workgroup_id_x 1
		.amdhsa_system_sgpr_workgroup_id_y 0
		.amdhsa_system_sgpr_workgroup_id_z 0
		.amdhsa_system_sgpr_workgroup_info 0
		.amdhsa_system_vgpr_workitem_id 0
		.amdhsa_next_free_vgpr 1
		.amdhsa_next_free_sgpr 0
		.amdhsa_accum_offset 4
		.amdhsa_reserve_vcc 0
		.amdhsa_reserve_flat_scratch 0
		.amdhsa_float_round_mode_32 0
		.amdhsa_float_round_mode_16_64 0
		.amdhsa_float_denorm_mode_32 3
		.amdhsa_float_denorm_mode_16_64 3
		.amdhsa_dx10_clamp 1
		.amdhsa_ieee_mode 1
		.amdhsa_fp16_overflow 0
		.amdhsa_tg_split 0
		.amdhsa_exception_fp_ieee_invalid_op 0
		.amdhsa_exception_fp_denorm_src 0
		.amdhsa_exception_fp_ieee_div_zero 0
		.amdhsa_exception_fp_ieee_overflow 0
		.amdhsa_exception_fp_ieee_underflow 0
		.amdhsa_exception_fp_ieee_inexact 0
		.amdhsa_exception_int_div_zero 0
	.end_amdhsa_kernel
	.section	.text._ZN7rocprim17ROCPRIM_400000_NS6detail17trampoline_kernelINS0_14default_configENS1_35radix_sort_onesweep_config_selectorIsNS0_10empty_typeEEEZNS1_34radix_sort_onesweep_global_offsetsIS3_Lb0EN6thrust23THRUST_200600_302600_NS6detail15normal_iteratorINS9_10device_ptrIsEEEEPS5_jNS0_19identity_decomposerEEE10hipError_tT1_T2_PT3_SK_jT4_jjP12ihipStream_tbEUlT_E_NS1_11comp_targetILNS1_3genE5ELNS1_11target_archE942ELNS1_3gpuE9ELNS1_3repE0EEENS1_52radix_sort_onesweep_histogram_config_static_selectorELNS0_4arch9wavefront6targetE1EEEvSI_,"axG",@progbits,_ZN7rocprim17ROCPRIM_400000_NS6detail17trampoline_kernelINS0_14default_configENS1_35radix_sort_onesweep_config_selectorIsNS0_10empty_typeEEEZNS1_34radix_sort_onesweep_global_offsetsIS3_Lb0EN6thrust23THRUST_200600_302600_NS6detail15normal_iteratorINS9_10device_ptrIsEEEEPS5_jNS0_19identity_decomposerEEE10hipError_tT1_T2_PT3_SK_jT4_jjP12ihipStream_tbEUlT_E_NS1_11comp_targetILNS1_3genE5ELNS1_11target_archE942ELNS1_3gpuE9ELNS1_3repE0EEENS1_52radix_sort_onesweep_histogram_config_static_selectorELNS0_4arch9wavefront6targetE1EEEvSI_,comdat
.Lfunc_end1925:
	.size	_ZN7rocprim17ROCPRIM_400000_NS6detail17trampoline_kernelINS0_14default_configENS1_35radix_sort_onesweep_config_selectorIsNS0_10empty_typeEEEZNS1_34radix_sort_onesweep_global_offsetsIS3_Lb0EN6thrust23THRUST_200600_302600_NS6detail15normal_iteratorINS9_10device_ptrIsEEEEPS5_jNS0_19identity_decomposerEEE10hipError_tT1_T2_PT3_SK_jT4_jjP12ihipStream_tbEUlT_E_NS1_11comp_targetILNS1_3genE5ELNS1_11target_archE942ELNS1_3gpuE9ELNS1_3repE0EEENS1_52radix_sort_onesweep_histogram_config_static_selectorELNS0_4arch9wavefront6targetE1EEEvSI_, .Lfunc_end1925-_ZN7rocprim17ROCPRIM_400000_NS6detail17trampoline_kernelINS0_14default_configENS1_35radix_sort_onesweep_config_selectorIsNS0_10empty_typeEEEZNS1_34radix_sort_onesweep_global_offsetsIS3_Lb0EN6thrust23THRUST_200600_302600_NS6detail15normal_iteratorINS9_10device_ptrIsEEEEPS5_jNS0_19identity_decomposerEEE10hipError_tT1_T2_PT3_SK_jT4_jjP12ihipStream_tbEUlT_E_NS1_11comp_targetILNS1_3genE5ELNS1_11target_archE942ELNS1_3gpuE9ELNS1_3repE0EEENS1_52radix_sort_onesweep_histogram_config_static_selectorELNS0_4arch9wavefront6targetE1EEEvSI_
                                        ; -- End function
	.section	.AMDGPU.csdata,"",@progbits
; Kernel info:
; codeLenInByte = 0
; NumSgprs: 4
; NumVgprs: 0
; NumAgprs: 0
; TotalNumVgprs: 0
; ScratchSize: 0
; MemoryBound: 0
; FloatMode: 240
; IeeeMode: 1
; LDSByteSize: 0 bytes/workgroup (compile time only)
; SGPRBlocks: 0
; VGPRBlocks: 0
; NumSGPRsForWavesPerEU: 4
; NumVGPRsForWavesPerEU: 1
; AccumOffset: 4
; Occupancy: 8
; WaveLimiterHint : 0
; COMPUTE_PGM_RSRC2:SCRATCH_EN: 0
; COMPUTE_PGM_RSRC2:USER_SGPR: 6
; COMPUTE_PGM_RSRC2:TRAP_HANDLER: 0
; COMPUTE_PGM_RSRC2:TGID_X_EN: 1
; COMPUTE_PGM_RSRC2:TGID_Y_EN: 0
; COMPUTE_PGM_RSRC2:TGID_Z_EN: 0
; COMPUTE_PGM_RSRC2:TIDIG_COMP_CNT: 0
; COMPUTE_PGM_RSRC3_GFX90A:ACCUM_OFFSET: 0
; COMPUTE_PGM_RSRC3_GFX90A:TG_SPLIT: 0
	.section	.text._ZN7rocprim17ROCPRIM_400000_NS6detail17trampoline_kernelINS0_14default_configENS1_35radix_sort_onesweep_config_selectorIsNS0_10empty_typeEEEZNS1_34radix_sort_onesweep_global_offsetsIS3_Lb0EN6thrust23THRUST_200600_302600_NS6detail15normal_iteratorINS9_10device_ptrIsEEEEPS5_jNS0_19identity_decomposerEEE10hipError_tT1_T2_PT3_SK_jT4_jjP12ihipStream_tbEUlT_E_NS1_11comp_targetILNS1_3genE2ELNS1_11target_archE906ELNS1_3gpuE6ELNS1_3repE0EEENS1_52radix_sort_onesweep_histogram_config_static_selectorELNS0_4arch9wavefront6targetE1EEEvSI_,"axG",@progbits,_ZN7rocprim17ROCPRIM_400000_NS6detail17trampoline_kernelINS0_14default_configENS1_35radix_sort_onesweep_config_selectorIsNS0_10empty_typeEEEZNS1_34radix_sort_onesweep_global_offsetsIS3_Lb0EN6thrust23THRUST_200600_302600_NS6detail15normal_iteratorINS9_10device_ptrIsEEEEPS5_jNS0_19identity_decomposerEEE10hipError_tT1_T2_PT3_SK_jT4_jjP12ihipStream_tbEUlT_E_NS1_11comp_targetILNS1_3genE2ELNS1_11target_archE906ELNS1_3gpuE6ELNS1_3repE0EEENS1_52radix_sort_onesweep_histogram_config_static_selectorELNS0_4arch9wavefront6targetE1EEEvSI_,comdat
	.protected	_ZN7rocprim17ROCPRIM_400000_NS6detail17trampoline_kernelINS0_14default_configENS1_35radix_sort_onesweep_config_selectorIsNS0_10empty_typeEEEZNS1_34radix_sort_onesweep_global_offsetsIS3_Lb0EN6thrust23THRUST_200600_302600_NS6detail15normal_iteratorINS9_10device_ptrIsEEEEPS5_jNS0_19identity_decomposerEEE10hipError_tT1_T2_PT3_SK_jT4_jjP12ihipStream_tbEUlT_E_NS1_11comp_targetILNS1_3genE2ELNS1_11target_archE906ELNS1_3gpuE6ELNS1_3repE0EEENS1_52radix_sort_onesweep_histogram_config_static_selectorELNS0_4arch9wavefront6targetE1EEEvSI_ ; -- Begin function _ZN7rocprim17ROCPRIM_400000_NS6detail17trampoline_kernelINS0_14default_configENS1_35radix_sort_onesweep_config_selectorIsNS0_10empty_typeEEEZNS1_34radix_sort_onesweep_global_offsetsIS3_Lb0EN6thrust23THRUST_200600_302600_NS6detail15normal_iteratorINS9_10device_ptrIsEEEEPS5_jNS0_19identity_decomposerEEE10hipError_tT1_T2_PT3_SK_jT4_jjP12ihipStream_tbEUlT_E_NS1_11comp_targetILNS1_3genE2ELNS1_11target_archE906ELNS1_3gpuE6ELNS1_3repE0EEENS1_52radix_sort_onesweep_histogram_config_static_selectorELNS0_4arch9wavefront6targetE1EEEvSI_
	.globl	_ZN7rocprim17ROCPRIM_400000_NS6detail17trampoline_kernelINS0_14default_configENS1_35radix_sort_onesweep_config_selectorIsNS0_10empty_typeEEEZNS1_34radix_sort_onesweep_global_offsetsIS3_Lb0EN6thrust23THRUST_200600_302600_NS6detail15normal_iteratorINS9_10device_ptrIsEEEEPS5_jNS0_19identity_decomposerEEE10hipError_tT1_T2_PT3_SK_jT4_jjP12ihipStream_tbEUlT_E_NS1_11comp_targetILNS1_3genE2ELNS1_11target_archE906ELNS1_3gpuE6ELNS1_3repE0EEENS1_52radix_sort_onesweep_histogram_config_static_selectorELNS0_4arch9wavefront6targetE1EEEvSI_
	.p2align	8
	.type	_ZN7rocprim17ROCPRIM_400000_NS6detail17trampoline_kernelINS0_14default_configENS1_35radix_sort_onesweep_config_selectorIsNS0_10empty_typeEEEZNS1_34radix_sort_onesweep_global_offsetsIS3_Lb0EN6thrust23THRUST_200600_302600_NS6detail15normal_iteratorINS9_10device_ptrIsEEEEPS5_jNS0_19identity_decomposerEEE10hipError_tT1_T2_PT3_SK_jT4_jjP12ihipStream_tbEUlT_E_NS1_11comp_targetILNS1_3genE2ELNS1_11target_archE906ELNS1_3gpuE6ELNS1_3repE0EEENS1_52radix_sort_onesweep_histogram_config_static_selectorELNS0_4arch9wavefront6targetE1EEEvSI_,@function
_ZN7rocprim17ROCPRIM_400000_NS6detail17trampoline_kernelINS0_14default_configENS1_35radix_sort_onesweep_config_selectorIsNS0_10empty_typeEEEZNS1_34radix_sort_onesweep_global_offsetsIS3_Lb0EN6thrust23THRUST_200600_302600_NS6detail15normal_iteratorINS9_10device_ptrIsEEEEPS5_jNS0_19identity_decomposerEEE10hipError_tT1_T2_PT3_SK_jT4_jjP12ihipStream_tbEUlT_E_NS1_11comp_targetILNS1_3genE2ELNS1_11target_archE906ELNS1_3gpuE6ELNS1_3repE0EEENS1_52radix_sort_onesweep_histogram_config_static_selectorELNS0_4arch9wavefront6targetE1EEEvSI_: ; @_ZN7rocprim17ROCPRIM_400000_NS6detail17trampoline_kernelINS0_14default_configENS1_35radix_sort_onesweep_config_selectorIsNS0_10empty_typeEEEZNS1_34radix_sort_onesweep_global_offsetsIS3_Lb0EN6thrust23THRUST_200600_302600_NS6detail15normal_iteratorINS9_10device_ptrIsEEEEPS5_jNS0_19identity_decomposerEEE10hipError_tT1_T2_PT3_SK_jT4_jjP12ihipStream_tbEUlT_E_NS1_11comp_targetILNS1_3genE2ELNS1_11target_archE906ELNS1_3gpuE6ELNS1_3repE0EEENS1_52radix_sort_onesweep_histogram_config_static_selectorELNS0_4arch9wavefront6targetE1EEEvSI_
; %bb.0:
	.section	.rodata,"a",@progbits
	.p2align	6, 0x0
	.amdhsa_kernel _ZN7rocprim17ROCPRIM_400000_NS6detail17trampoline_kernelINS0_14default_configENS1_35radix_sort_onesweep_config_selectorIsNS0_10empty_typeEEEZNS1_34radix_sort_onesweep_global_offsetsIS3_Lb0EN6thrust23THRUST_200600_302600_NS6detail15normal_iteratorINS9_10device_ptrIsEEEEPS5_jNS0_19identity_decomposerEEE10hipError_tT1_T2_PT3_SK_jT4_jjP12ihipStream_tbEUlT_E_NS1_11comp_targetILNS1_3genE2ELNS1_11target_archE906ELNS1_3gpuE6ELNS1_3repE0EEENS1_52radix_sort_onesweep_histogram_config_static_selectorELNS0_4arch9wavefront6targetE1EEEvSI_
		.amdhsa_group_segment_fixed_size 0
		.amdhsa_private_segment_fixed_size 0
		.amdhsa_kernarg_size 40
		.amdhsa_user_sgpr_count 6
		.amdhsa_user_sgpr_private_segment_buffer 1
		.amdhsa_user_sgpr_dispatch_ptr 0
		.amdhsa_user_sgpr_queue_ptr 0
		.amdhsa_user_sgpr_kernarg_segment_ptr 1
		.amdhsa_user_sgpr_dispatch_id 0
		.amdhsa_user_sgpr_flat_scratch_init 0
		.amdhsa_user_sgpr_kernarg_preload_length 0
		.amdhsa_user_sgpr_kernarg_preload_offset 0
		.amdhsa_user_sgpr_private_segment_size 0
		.amdhsa_uses_dynamic_stack 0
		.amdhsa_system_sgpr_private_segment_wavefront_offset 0
		.amdhsa_system_sgpr_workgroup_id_x 1
		.amdhsa_system_sgpr_workgroup_id_y 0
		.amdhsa_system_sgpr_workgroup_id_z 0
		.amdhsa_system_sgpr_workgroup_info 0
		.amdhsa_system_vgpr_workitem_id 0
		.amdhsa_next_free_vgpr 1
		.amdhsa_next_free_sgpr 0
		.amdhsa_accum_offset 4
		.amdhsa_reserve_vcc 0
		.amdhsa_reserve_flat_scratch 0
		.amdhsa_float_round_mode_32 0
		.amdhsa_float_round_mode_16_64 0
		.amdhsa_float_denorm_mode_32 3
		.amdhsa_float_denorm_mode_16_64 3
		.amdhsa_dx10_clamp 1
		.amdhsa_ieee_mode 1
		.amdhsa_fp16_overflow 0
		.amdhsa_tg_split 0
		.amdhsa_exception_fp_ieee_invalid_op 0
		.amdhsa_exception_fp_denorm_src 0
		.amdhsa_exception_fp_ieee_div_zero 0
		.amdhsa_exception_fp_ieee_overflow 0
		.amdhsa_exception_fp_ieee_underflow 0
		.amdhsa_exception_fp_ieee_inexact 0
		.amdhsa_exception_int_div_zero 0
	.end_amdhsa_kernel
	.section	.text._ZN7rocprim17ROCPRIM_400000_NS6detail17trampoline_kernelINS0_14default_configENS1_35radix_sort_onesweep_config_selectorIsNS0_10empty_typeEEEZNS1_34radix_sort_onesweep_global_offsetsIS3_Lb0EN6thrust23THRUST_200600_302600_NS6detail15normal_iteratorINS9_10device_ptrIsEEEEPS5_jNS0_19identity_decomposerEEE10hipError_tT1_T2_PT3_SK_jT4_jjP12ihipStream_tbEUlT_E_NS1_11comp_targetILNS1_3genE2ELNS1_11target_archE906ELNS1_3gpuE6ELNS1_3repE0EEENS1_52radix_sort_onesweep_histogram_config_static_selectorELNS0_4arch9wavefront6targetE1EEEvSI_,"axG",@progbits,_ZN7rocprim17ROCPRIM_400000_NS6detail17trampoline_kernelINS0_14default_configENS1_35radix_sort_onesweep_config_selectorIsNS0_10empty_typeEEEZNS1_34radix_sort_onesweep_global_offsetsIS3_Lb0EN6thrust23THRUST_200600_302600_NS6detail15normal_iteratorINS9_10device_ptrIsEEEEPS5_jNS0_19identity_decomposerEEE10hipError_tT1_T2_PT3_SK_jT4_jjP12ihipStream_tbEUlT_E_NS1_11comp_targetILNS1_3genE2ELNS1_11target_archE906ELNS1_3gpuE6ELNS1_3repE0EEENS1_52radix_sort_onesweep_histogram_config_static_selectorELNS0_4arch9wavefront6targetE1EEEvSI_,comdat
.Lfunc_end1926:
	.size	_ZN7rocprim17ROCPRIM_400000_NS6detail17trampoline_kernelINS0_14default_configENS1_35radix_sort_onesweep_config_selectorIsNS0_10empty_typeEEEZNS1_34radix_sort_onesweep_global_offsetsIS3_Lb0EN6thrust23THRUST_200600_302600_NS6detail15normal_iteratorINS9_10device_ptrIsEEEEPS5_jNS0_19identity_decomposerEEE10hipError_tT1_T2_PT3_SK_jT4_jjP12ihipStream_tbEUlT_E_NS1_11comp_targetILNS1_3genE2ELNS1_11target_archE906ELNS1_3gpuE6ELNS1_3repE0EEENS1_52radix_sort_onesweep_histogram_config_static_selectorELNS0_4arch9wavefront6targetE1EEEvSI_, .Lfunc_end1926-_ZN7rocprim17ROCPRIM_400000_NS6detail17trampoline_kernelINS0_14default_configENS1_35radix_sort_onesweep_config_selectorIsNS0_10empty_typeEEEZNS1_34radix_sort_onesweep_global_offsetsIS3_Lb0EN6thrust23THRUST_200600_302600_NS6detail15normal_iteratorINS9_10device_ptrIsEEEEPS5_jNS0_19identity_decomposerEEE10hipError_tT1_T2_PT3_SK_jT4_jjP12ihipStream_tbEUlT_E_NS1_11comp_targetILNS1_3genE2ELNS1_11target_archE906ELNS1_3gpuE6ELNS1_3repE0EEENS1_52radix_sort_onesweep_histogram_config_static_selectorELNS0_4arch9wavefront6targetE1EEEvSI_
                                        ; -- End function
	.section	.AMDGPU.csdata,"",@progbits
; Kernel info:
; codeLenInByte = 0
; NumSgprs: 4
; NumVgprs: 0
; NumAgprs: 0
; TotalNumVgprs: 0
; ScratchSize: 0
; MemoryBound: 0
; FloatMode: 240
; IeeeMode: 1
; LDSByteSize: 0 bytes/workgroup (compile time only)
; SGPRBlocks: 0
; VGPRBlocks: 0
; NumSGPRsForWavesPerEU: 4
; NumVGPRsForWavesPerEU: 1
; AccumOffset: 4
; Occupancy: 8
; WaveLimiterHint : 0
; COMPUTE_PGM_RSRC2:SCRATCH_EN: 0
; COMPUTE_PGM_RSRC2:USER_SGPR: 6
; COMPUTE_PGM_RSRC2:TRAP_HANDLER: 0
; COMPUTE_PGM_RSRC2:TGID_X_EN: 1
; COMPUTE_PGM_RSRC2:TGID_Y_EN: 0
; COMPUTE_PGM_RSRC2:TGID_Z_EN: 0
; COMPUTE_PGM_RSRC2:TIDIG_COMP_CNT: 0
; COMPUTE_PGM_RSRC3_GFX90A:ACCUM_OFFSET: 0
; COMPUTE_PGM_RSRC3_GFX90A:TG_SPLIT: 0
	.section	.text._ZN7rocprim17ROCPRIM_400000_NS6detail17trampoline_kernelINS0_14default_configENS1_35radix_sort_onesweep_config_selectorIsNS0_10empty_typeEEEZNS1_34radix_sort_onesweep_global_offsetsIS3_Lb0EN6thrust23THRUST_200600_302600_NS6detail15normal_iteratorINS9_10device_ptrIsEEEEPS5_jNS0_19identity_decomposerEEE10hipError_tT1_T2_PT3_SK_jT4_jjP12ihipStream_tbEUlT_E_NS1_11comp_targetILNS1_3genE4ELNS1_11target_archE910ELNS1_3gpuE8ELNS1_3repE0EEENS1_52radix_sort_onesweep_histogram_config_static_selectorELNS0_4arch9wavefront6targetE1EEEvSI_,"axG",@progbits,_ZN7rocprim17ROCPRIM_400000_NS6detail17trampoline_kernelINS0_14default_configENS1_35radix_sort_onesweep_config_selectorIsNS0_10empty_typeEEEZNS1_34radix_sort_onesweep_global_offsetsIS3_Lb0EN6thrust23THRUST_200600_302600_NS6detail15normal_iteratorINS9_10device_ptrIsEEEEPS5_jNS0_19identity_decomposerEEE10hipError_tT1_T2_PT3_SK_jT4_jjP12ihipStream_tbEUlT_E_NS1_11comp_targetILNS1_3genE4ELNS1_11target_archE910ELNS1_3gpuE8ELNS1_3repE0EEENS1_52radix_sort_onesweep_histogram_config_static_selectorELNS0_4arch9wavefront6targetE1EEEvSI_,comdat
	.protected	_ZN7rocprim17ROCPRIM_400000_NS6detail17trampoline_kernelINS0_14default_configENS1_35radix_sort_onesweep_config_selectorIsNS0_10empty_typeEEEZNS1_34radix_sort_onesweep_global_offsetsIS3_Lb0EN6thrust23THRUST_200600_302600_NS6detail15normal_iteratorINS9_10device_ptrIsEEEEPS5_jNS0_19identity_decomposerEEE10hipError_tT1_T2_PT3_SK_jT4_jjP12ihipStream_tbEUlT_E_NS1_11comp_targetILNS1_3genE4ELNS1_11target_archE910ELNS1_3gpuE8ELNS1_3repE0EEENS1_52radix_sort_onesweep_histogram_config_static_selectorELNS0_4arch9wavefront6targetE1EEEvSI_ ; -- Begin function _ZN7rocprim17ROCPRIM_400000_NS6detail17trampoline_kernelINS0_14default_configENS1_35radix_sort_onesweep_config_selectorIsNS0_10empty_typeEEEZNS1_34radix_sort_onesweep_global_offsetsIS3_Lb0EN6thrust23THRUST_200600_302600_NS6detail15normal_iteratorINS9_10device_ptrIsEEEEPS5_jNS0_19identity_decomposerEEE10hipError_tT1_T2_PT3_SK_jT4_jjP12ihipStream_tbEUlT_E_NS1_11comp_targetILNS1_3genE4ELNS1_11target_archE910ELNS1_3gpuE8ELNS1_3repE0EEENS1_52radix_sort_onesweep_histogram_config_static_selectorELNS0_4arch9wavefront6targetE1EEEvSI_
	.globl	_ZN7rocprim17ROCPRIM_400000_NS6detail17trampoline_kernelINS0_14default_configENS1_35radix_sort_onesweep_config_selectorIsNS0_10empty_typeEEEZNS1_34radix_sort_onesweep_global_offsetsIS3_Lb0EN6thrust23THRUST_200600_302600_NS6detail15normal_iteratorINS9_10device_ptrIsEEEEPS5_jNS0_19identity_decomposerEEE10hipError_tT1_T2_PT3_SK_jT4_jjP12ihipStream_tbEUlT_E_NS1_11comp_targetILNS1_3genE4ELNS1_11target_archE910ELNS1_3gpuE8ELNS1_3repE0EEENS1_52radix_sort_onesweep_histogram_config_static_selectorELNS0_4arch9wavefront6targetE1EEEvSI_
	.p2align	8
	.type	_ZN7rocprim17ROCPRIM_400000_NS6detail17trampoline_kernelINS0_14default_configENS1_35radix_sort_onesweep_config_selectorIsNS0_10empty_typeEEEZNS1_34radix_sort_onesweep_global_offsetsIS3_Lb0EN6thrust23THRUST_200600_302600_NS6detail15normal_iteratorINS9_10device_ptrIsEEEEPS5_jNS0_19identity_decomposerEEE10hipError_tT1_T2_PT3_SK_jT4_jjP12ihipStream_tbEUlT_E_NS1_11comp_targetILNS1_3genE4ELNS1_11target_archE910ELNS1_3gpuE8ELNS1_3repE0EEENS1_52radix_sort_onesweep_histogram_config_static_selectorELNS0_4arch9wavefront6targetE1EEEvSI_,@function
_ZN7rocprim17ROCPRIM_400000_NS6detail17trampoline_kernelINS0_14default_configENS1_35radix_sort_onesweep_config_selectorIsNS0_10empty_typeEEEZNS1_34radix_sort_onesweep_global_offsetsIS3_Lb0EN6thrust23THRUST_200600_302600_NS6detail15normal_iteratorINS9_10device_ptrIsEEEEPS5_jNS0_19identity_decomposerEEE10hipError_tT1_T2_PT3_SK_jT4_jjP12ihipStream_tbEUlT_E_NS1_11comp_targetILNS1_3genE4ELNS1_11target_archE910ELNS1_3gpuE8ELNS1_3repE0EEENS1_52radix_sort_onesweep_histogram_config_static_selectorELNS0_4arch9wavefront6targetE1EEEvSI_: ; @_ZN7rocprim17ROCPRIM_400000_NS6detail17trampoline_kernelINS0_14default_configENS1_35radix_sort_onesweep_config_selectorIsNS0_10empty_typeEEEZNS1_34radix_sort_onesweep_global_offsetsIS3_Lb0EN6thrust23THRUST_200600_302600_NS6detail15normal_iteratorINS9_10device_ptrIsEEEEPS5_jNS0_19identity_decomposerEEE10hipError_tT1_T2_PT3_SK_jT4_jjP12ihipStream_tbEUlT_E_NS1_11comp_targetILNS1_3genE4ELNS1_11target_archE910ELNS1_3gpuE8ELNS1_3repE0EEENS1_52radix_sort_onesweep_histogram_config_static_selectorELNS0_4arch9wavefront6targetE1EEEvSI_
; %bb.0:
	s_load_dword s7, s[4:5], 0x14
	s_load_dwordx4 s[8:11], s[4:5], 0x0
	s_load_dwordx2 s[2:3], s[4:5], 0x1c
	s_mul_i32 s12, s6, 0x3000
	s_mov_b64 s[0:1], -1
	s_waitcnt lgkmcnt(0)
	s_cmp_ge_u32 s6, s7
	s_cbranch_scc0 .LBB1927_115
; %bb.1:
	s_load_dword s4, s[4:5], 0x10
	s_mulk_i32 s7, 0xd000
	s_mov_b32 s13, 0
	s_lshl_b64 s[0:1], s[12:13], 1
                                        ; implicit-def: $vgpr2_vgpr3_vgpr4_vgpr5_vgpr6_vgpr7_vgpr8_vgpr9
	s_waitcnt lgkmcnt(0)
	s_add_i32 s13, s4, s7
	s_add_u32 s0, s8, s0
	s_addc_u32 s1, s9, s1
	v_cmp_gt_u32_e32 vcc, s13, v0
	s_and_saveexec_b64 s[4:5], vcc
	s_cbranch_execz .LBB1927_3
; %bb.2:
	v_lshlrev_b32_e32 v1, 1, v0
	global_load_ushort v2, v1, s[0:1]
.LBB1927_3:
	s_or_b64 exec, exec, s[4:5]
	v_or_b32_e32 v18, 0x400, v0
	v_cmp_gt_u32_e32 vcc, s13, v18
	s_and_saveexec_b64 s[4:5], vcc
	s_cbranch_execz .LBB1927_5
; %bb.4:
	v_lshlrev_b32_e32 v1, 1, v0
	global_load_ushort v1, v1, s[0:1] offset:2048
	s_mov_b32 s6, 0x5040100
	s_waitcnt vmcnt(0)
	v_perm_b32 v2, v1, v2, s6
.LBB1927_5:
	s_or_b64 exec, exec, s[4:5]
	v_or_b32_e32 v17, 0x800, v0
	v_cmp_gt_u32_e32 vcc, s13, v17
	s_and_saveexec_b64 s[4:5], vcc
	s_cbranch_execz .LBB1927_7
; %bb.6:
	v_lshlrev_b32_e32 v1, 1, v17
	global_load_ushort v1, v1, s[0:1]
	s_mov_b32 s6, 0xffff
	s_waitcnt vmcnt(0)
	v_bfi_b32 v3, s6, v1, v3
.LBB1927_7:
	s_or_b64 exec, exec, s[4:5]
	v_or_b32_e32 v16, 0xc00, v0
	v_cmp_gt_u32_e32 vcc, s13, v16
	s_and_saveexec_b64 s[4:5], vcc
	s_cbranch_execz .LBB1927_9
; %bb.8:
	v_lshlrev_b32_e32 v1, 1, v16
	global_load_ushort v1, v1, s[0:1]
	s_mov_b32 s6, 0x5040100
	s_waitcnt vmcnt(0)
	v_perm_b32 v3, v1, v3, s6
.LBB1927_9:
	s_or_b64 exec, exec, s[4:5]
	v_or_b32_e32 v15, 0x1000, v0
	v_cmp_gt_u32_e32 vcc, s13, v15
	s_and_saveexec_b64 s[4:5], vcc
	s_cbranch_execz .LBB1927_11
; %bb.10:
	v_lshlrev_b32_e32 v1, 1, v15
	global_load_ushort v1, v1, s[0:1]
	s_mov_b32 s6, 0xffff
	s_waitcnt vmcnt(0)
	v_bfi_b32 v4, s6, v1, v4
.LBB1927_11:
	s_or_b64 exec, exec, s[4:5]
	v_or_b32_e32 v14, 0x1400, v0
	v_cmp_gt_u32_e32 vcc, s13, v14
	s_and_saveexec_b64 s[4:5], vcc
	s_cbranch_execz .LBB1927_13
; %bb.12:
	v_lshlrev_b32_e32 v1, 1, v14
	global_load_ushort v1, v1, s[0:1]
	s_mov_b32 s6, 0x5040100
	s_waitcnt vmcnt(0)
	v_perm_b32 v4, v1, v4, s6
.LBB1927_13:
	s_or_b64 exec, exec, s[4:5]
	v_or_b32_e32 v13, 0x1800, v0
	v_cmp_gt_u32_e32 vcc, s13, v13
	s_and_saveexec_b64 s[4:5], vcc
	s_cbranch_execz .LBB1927_15
; %bb.14:
	v_lshlrev_b32_e32 v1, 1, v13
	global_load_ushort v1, v1, s[0:1]
	s_mov_b32 s6, 0xffff
	s_waitcnt vmcnt(0)
	v_bfi_b32 v5, s6, v1, v5
.LBB1927_15:
	s_or_b64 exec, exec, s[4:5]
	v_or_b32_e32 v12, 0x1c00, v0
	v_cmp_gt_u32_e32 vcc, s13, v12
	s_and_saveexec_b64 s[4:5], vcc
	s_cbranch_execz .LBB1927_17
; %bb.16:
	v_lshlrev_b32_e32 v1, 1, v12
	global_load_ushort v1, v1, s[0:1]
	s_mov_b32 s6, 0x5040100
	s_waitcnt vmcnt(0)
	v_perm_b32 v5, v1, v5, s6
.LBB1927_17:
	s_or_b64 exec, exec, s[4:5]
	v_or_b32_e32 v11, 0x2000, v0
	v_cmp_gt_u32_e32 vcc, s13, v11
	s_and_saveexec_b64 s[4:5], vcc
	s_cbranch_execz .LBB1927_19
; %bb.18:
	v_lshlrev_b32_e32 v1, 1, v11
	global_load_ushort v1, v1, s[0:1]
	s_mov_b32 s6, 0xffff
	s_waitcnt vmcnt(0)
	v_bfi_b32 v6, s6, v1, v6
.LBB1927_19:
	s_or_b64 exec, exec, s[4:5]
	v_or_b32_e32 v10, 0x2400, v0
	v_cmp_gt_u32_e32 vcc, s13, v10
	s_and_saveexec_b64 s[4:5], vcc
	s_cbranch_execz .LBB1927_21
; %bb.20:
	v_lshlrev_b32_e32 v1, 1, v10
	global_load_ushort v1, v1, s[0:1]
	s_mov_b32 s6, 0x5040100
	s_waitcnt vmcnt(0)
	v_perm_b32 v6, v1, v6, s6
.LBB1927_21:
	s_or_b64 exec, exec, s[4:5]
	v_or_b32_e32 v9, 0x2800, v0
	v_cmp_gt_u32_e32 vcc, s13, v9
	s_and_saveexec_b64 s[4:5], vcc
	s_cbranch_execz .LBB1927_23
; %bb.22:
	v_lshlrev_b32_e32 v1, 1, v9
	global_load_ushort v1, v1, s[0:1]
	s_mov_b32 s6, 0xffff
	s_waitcnt vmcnt(0)
	v_bfi_b32 v7, s6, v1, v7
.LBB1927_23:
	s_or_b64 exec, exec, s[4:5]
	v_or_b32_e32 v8, 0x2c00, v0
	v_cmp_gt_u32_e32 vcc, s13, v8
	s_and_saveexec_b64 s[4:5], vcc
	s_cbranch_execz .LBB1927_25
; %bb.24:
	v_lshlrev_b32_e32 v1, 1, v8
	global_load_ushort v1, v1, s[0:1]
	s_mov_b32 s0, 0x5040100
	s_waitcnt vmcnt(0)
	v_perm_b32 v7, v1, v7, s0
.LBB1927_25:
	s_or_b64 exec, exec, s[4:5]
	s_cmp_le_u32 s3, s2
	s_cselect_b64 s[4:5], -1, 0
	v_cmp_le_u32_e32 vcc, s13, v0
	s_and_b64 s[0:1], s[4:5], exec
	v_lshlrev_b32_e32 v19, 2, v0
	v_mov_b32_e32 v20, 0
	s_cselect_b32 s16, 8, 10
	s_or_b64 s[0:1], s[4:5], vcc
	v_and_b32_e32 v1, 3, v0
	ds_write2st64_b32 v19, v20, v20 offset1:16
	s_waitcnt vmcnt(0)
	v_xor_b32_e32 v19, 0xffff8000, v2
	s_xor_b64 s[6:7], s[0:1], -1
	v_mov_b32_e32 v20, s16
	s_waitcnt lgkmcnt(0)
	s_barrier
	s_and_saveexec_b64 s[0:1], s[6:7]
	s_cbranch_execz .LBB1927_27
; %bb.26:
	s_sub_i32 s6, s3, s2
	s_min_u32 s6, s6, 8
	v_lshrrev_b32_sdwa v20, s2, v19 dst_sel:DWORD dst_unused:UNUSED_PAD src0_sel:DWORD src1_sel:WORD_0
	v_bfe_u32 v20, v20, 0, s6
	v_lshlrev_b32_e32 v21, 2, v1
	v_lshl_or_b32 v20, v20, 4, v21
	v_mov_b32_e32 v21, 1
	ds_add_u32 v20, v21
	v_mov_b32_e32 v20, 0
.LBB1927_27:
	s_or_b64 exec, exec, s[0:1]
	v_cmp_gt_i32_e64 s[0:1], 10, v20
	s_mov_b64 s[6:7], -1
	s_and_saveexec_b64 s[14:15], s[0:1]
; %bb.28:
	v_cmp_eq_u32_e64 s[0:1], 0, v20
	s_orn2_b64 s[6:7], s[0:1], exec
; %bb.29:
	s_or_b64 exec, exec, s[14:15]
	s_and_saveexec_b64 s[0:1], s[6:7]
	s_cbranch_execz .LBB1927_32
; %bb.30:
	s_add_i32 s6, s2, 8
	s_cmp_gt_u32 s3, s6
	s_cselect_b64 s[14:15], -1, 0
	s_xor_b64 s[18:19], vcc, -1
	s_and_b64 s[14:15], s[14:15], s[18:19]
	s_and_b64 exec, exec, s[14:15]
	s_cbranch_execz .LBB1927_32
; %bb.31:
	s_sub_i32 s7, s3, s6
	s_min_u32 s7, s7, 8
	v_lshrrev_b32_sdwa v19, s6, v19 dst_sel:DWORD dst_unused:UNUSED_PAD src0_sel:DWORD src1_sel:WORD_0
	v_bfe_u32 v19, v19, 0, s7
	v_lshlrev_b32_e32 v20, 2, v1
	v_lshl_or_b32 v19, v19, 4, v20
	v_mov_b32_e32 v20, 1
	ds_add_u32 v19, v20 offset:4096
.LBB1927_32:
	s_or_b64 exec, exec, s[0:1]
	s_movk_i32 s0, 0x8000
	v_cmp_le_u32_e32 vcc, s13, v18
	v_xor_b32_sdwa v2, v2, s0 dst_sel:DWORD dst_unused:UNUSED_PAD src0_sel:WORD_1 src1_sel:DWORD
	s_or_b64 s[0:1], s[4:5], vcc
	s_xor_b64 s[6:7], s[0:1], -1
	v_mov_b32_e32 v18, s16
	s_and_saveexec_b64 s[0:1], s[6:7]
	s_cbranch_execz .LBB1927_34
; %bb.33:
	s_sub_i32 s6, s3, s2
	s_min_u32 s6, s6, 8
	v_lshrrev_b32_sdwa v18, s2, v2 dst_sel:DWORD dst_unused:UNUSED_PAD src0_sel:DWORD src1_sel:WORD_0
	v_bfe_u32 v18, v18, 0, s6
	v_lshlrev_b32_e32 v19, 2, v1
	v_lshl_or_b32 v18, v18, 4, v19
	v_mov_b32_e32 v19, 1
	ds_add_u32 v18, v19
	v_mov_b32_e32 v18, 0
.LBB1927_34:
	s_or_b64 exec, exec, s[0:1]
	v_cmp_gt_i32_e64 s[0:1], 10, v18
	s_mov_b64 s[6:7], -1
	s_and_saveexec_b64 s[14:15], s[0:1]
; %bb.35:
	v_cmp_eq_u32_e64 s[0:1], 0, v18
	s_orn2_b64 s[6:7], s[0:1], exec
; %bb.36:
	s_or_b64 exec, exec, s[14:15]
	s_and_saveexec_b64 s[0:1], s[6:7]
	s_cbranch_execz .LBB1927_39
; %bb.37:
	s_add_i32 s6, s2, 8
	s_cmp_gt_u32 s3, s6
	s_cselect_b64 s[14:15], -1, 0
	s_xor_b64 s[18:19], vcc, -1
	s_and_b64 s[14:15], s[14:15], s[18:19]
	s_and_b64 exec, exec, s[14:15]
	s_cbranch_execz .LBB1927_39
; %bb.38:
	s_sub_i32 s7, s3, s6
	s_min_u32 s7, s7, 8
	v_lshrrev_b32_sdwa v2, s6, v2 dst_sel:DWORD dst_unused:UNUSED_PAD src0_sel:DWORD src1_sel:WORD_0
	v_bfe_u32 v2, v2, 0, s7
	v_lshlrev_b32_e32 v18, 2, v1
	v_lshl_or_b32 v2, v2, 4, v18
	v_mov_b32_e32 v18, 1
	ds_add_u32 v2, v18 offset:4096
.LBB1927_39:
	s_or_b64 exec, exec, s[0:1]
	v_cmp_le_u32_e32 vcc, s13, v17
	s_or_b64 s[0:1], s[4:5], vcc
	v_xor_b32_e32 v2, 0xffff8000, v3
	s_xor_b64 s[6:7], s[0:1], -1
	v_mov_b32_e32 v17, s16
	s_and_saveexec_b64 s[0:1], s[6:7]
	s_cbranch_execz .LBB1927_41
; %bb.40:
	s_sub_i32 s6, s3, s2
	s_min_u32 s6, s6, 8
	v_lshrrev_b32_sdwa v17, s2, v2 dst_sel:DWORD dst_unused:UNUSED_PAD src0_sel:DWORD src1_sel:WORD_0
	v_bfe_u32 v17, v17, 0, s6
	v_lshlrev_b32_e32 v18, 2, v1
	v_lshl_or_b32 v17, v17, 4, v18
	v_mov_b32_e32 v18, 1
	ds_add_u32 v17, v18
	v_mov_b32_e32 v17, 0
.LBB1927_41:
	s_or_b64 exec, exec, s[0:1]
	v_cmp_gt_i32_e64 s[0:1], 10, v17
	s_mov_b64 s[6:7], -1
	s_and_saveexec_b64 s[14:15], s[0:1]
; %bb.42:
	v_cmp_eq_u32_e64 s[0:1], 0, v17
	s_orn2_b64 s[6:7], s[0:1], exec
; %bb.43:
	s_or_b64 exec, exec, s[14:15]
	s_and_saveexec_b64 s[0:1], s[6:7]
	s_cbranch_execz .LBB1927_46
; %bb.44:
	s_add_i32 s6, s2, 8
	s_cmp_gt_u32 s3, s6
	s_cselect_b64 s[14:15], -1, 0
	s_xor_b64 s[18:19], vcc, -1
	s_and_b64 s[14:15], s[14:15], s[18:19]
	s_and_b64 exec, exec, s[14:15]
	s_cbranch_execz .LBB1927_46
; %bb.45:
	s_sub_i32 s7, s3, s6
	s_min_u32 s7, s7, 8
	v_lshrrev_b32_sdwa v2, s6, v2 dst_sel:DWORD dst_unused:UNUSED_PAD src0_sel:DWORD src1_sel:WORD_0
	v_bfe_u32 v2, v2, 0, s7
	v_lshlrev_b32_e32 v17, 2, v1
	v_lshl_or_b32 v2, v2, 4, v17
	v_mov_b32_e32 v17, 1
	ds_add_u32 v2, v17 offset:4096
.LBB1927_46:
	s_or_b64 exec, exec, s[0:1]
	s_movk_i32 s0, 0x8000
	v_cmp_le_u32_e32 vcc, s13, v16
	v_xor_b32_sdwa v2, v3, s0 dst_sel:DWORD dst_unused:UNUSED_PAD src0_sel:WORD_1 src1_sel:DWORD
	s_or_b64 s[0:1], s[4:5], vcc
	s_xor_b64 s[6:7], s[0:1], -1
	v_mov_b32_e32 v3, s16
	s_and_saveexec_b64 s[0:1], s[6:7]
	s_cbranch_execz .LBB1927_48
; %bb.47:
	s_sub_i32 s6, s3, s2
	s_min_u32 s6, s6, 8
	v_lshrrev_b32_sdwa v3, s2, v2 dst_sel:DWORD dst_unused:UNUSED_PAD src0_sel:DWORD src1_sel:WORD_0
	v_bfe_u32 v3, v3, 0, s6
	v_lshlrev_b32_e32 v16, 2, v1
	v_lshl_or_b32 v3, v3, 4, v16
	v_mov_b32_e32 v16, 1
	ds_add_u32 v3, v16
	v_mov_b32_e32 v3, 0
.LBB1927_48:
	s_or_b64 exec, exec, s[0:1]
	v_cmp_gt_i32_e64 s[0:1], 10, v3
	s_mov_b64 s[6:7], -1
	s_and_saveexec_b64 s[14:15], s[0:1]
; %bb.49:
	v_cmp_eq_u32_e64 s[0:1], 0, v3
	s_orn2_b64 s[6:7], s[0:1], exec
; %bb.50:
	s_or_b64 exec, exec, s[14:15]
	s_and_saveexec_b64 s[0:1], s[6:7]
	s_cbranch_execz .LBB1927_53
; %bb.51:
	s_add_i32 s6, s2, 8
	s_cmp_gt_u32 s3, s6
	s_cselect_b64 s[14:15], -1, 0
	s_xor_b64 s[18:19], vcc, -1
	s_and_b64 s[14:15], s[14:15], s[18:19]
	s_and_b64 exec, exec, s[14:15]
	s_cbranch_execz .LBB1927_53
; %bb.52:
	s_sub_i32 s7, s3, s6
	s_min_u32 s7, s7, 8
	v_lshrrev_b32_sdwa v2, s6, v2 dst_sel:DWORD dst_unused:UNUSED_PAD src0_sel:DWORD src1_sel:WORD_0
	v_bfe_u32 v2, v2, 0, s7
	v_lshlrev_b32_e32 v3, 2, v1
	v_lshl_or_b32 v2, v2, 4, v3
	v_mov_b32_e32 v3, 1
	ds_add_u32 v2, v3 offset:4096
.LBB1927_53:
	s_or_b64 exec, exec, s[0:1]
	v_cmp_le_u32_e32 vcc, s13, v15
	s_or_b64 s[0:1], s[4:5], vcc
	v_xor_b32_e32 v2, 0xffff8000, v4
	s_xor_b64 s[6:7], s[0:1], -1
	v_mov_b32_e32 v3, s16
	s_and_saveexec_b64 s[0:1], s[6:7]
	s_cbranch_execz .LBB1927_55
; %bb.54:
	s_sub_i32 s6, s3, s2
	s_min_u32 s6, s6, 8
	v_lshrrev_b32_sdwa v3, s2, v2 dst_sel:DWORD dst_unused:UNUSED_PAD src0_sel:DWORD src1_sel:WORD_0
	v_bfe_u32 v3, v3, 0, s6
	v_lshlrev_b32_e32 v15, 2, v1
	v_lshl_or_b32 v3, v3, 4, v15
	v_mov_b32_e32 v15, 1
	ds_add_u32 v3, v15
	v_mov_b32_e32 v3, 0
.LBB1927_55:
	s_or_b64 exec, exec, s[0:1]
	v_cmp_gt_i32_e64 s[0:1], 10, v3
	s_mov_b64 s[6:7], -1
	s_and_saveexec_b64 s[14:15], s[0:1]
; %bb.56:
	v_cmp_eq_u32_e64 s[0:1], 0, v3
	s_orn2_b64 s[6:7], s[0:1], exec
; %bb.57:
	s_or_b64 exec, exec, s[14:15]
	s_and_saveexec_b64 s[0:1], s[6:7]
	s_cbranch_execz .LBB1927_60
; %bb.58:
	s_add_i32 s6, s2, 8
	s_cmp_gt_u32 s3, s6
	s_cselect_b64 s[14:15], -1, 0
	s_xor_b64 s[18:19], vcc, -1
	s_and_b64 s[14:15], s[14:15], s[18:19]
	s_and_b64 exec, exec, s[14:15]
	s_cbranch_execz .LBB1927_60
; %bb.59:
	s_sub_i32 s7, s3, s6
	s_min_u32 s7, s7, 8
	v_lshrrev_b32_sdwa v2, s6, v2 dst_sel:DWORD dst_unused:UNUSED_PAD src0_sel:DWORD src1_sel:WORD_0
	v_bfe_u32 v2, v2, 0, s7
	v_lshlrev_b32_e32 v3, 2, v1
	v_lshl_or_b32 v2, v2, 4, v3
	v_mov_b32_e32 v3, 1
	ds_add_u32 v2, v3 offset:4096
.LBB1927_60:
	s_or_b64 exec, exec, s[0:1]
	s_movk_i32 s0, 0x8000
	v_cmp_le_u32_e32 vcc, s13, v14
	v_xor_b32_sdwa v2, v4, s0 dst_sel:DWORD dst_unused:UNUSED_PAD src0_sel:WORD_1 src1_sel:DWORD
	s_or_b64 s[0:1], s[4:5], vcc
	s_xor_b64 s[6:7], s[0:1], -1
	v_mov_b32_e32 v3, s16
	s_and_saveexec_b64 s[0:1], s[6:7]
	s_cbranch_execz .LBB1927_62
; %bb.61:
	s_sub_i32 s6, s3, s2
	s_min_u32 s6, s6, 8
	v_lshrrev_b32_sdwa v3, s2, v2 dst_sel:DWORD dst_unused:UNUSED_PAD src0_sel:DWORD src1_sel:WORD_0
	v_bfe_u32 v3, v3, 0, s6
	v_lshlrev_b32_e32 v4, 2, v1
	v_lshl_or_b32 v3, v3, 4, v4
	v_mov_b32_e32 v4, 1
	ds_add_u32 v3, v4
	v_mov_b32_e32 v3, 0
.LBB1927_62:
	s_or_b64 exec, exec, s[0:1]
	v_cmp_gt_i32_e64 s[0:1], 10, v3
	s_mov_b64 s[6:7], -1
	s_and_saveexec_b64 s[14:15], s[0:1]
; %bb.63:
	v_cmp_eq_u32_e64 s[0:1], 0, v3
	s_orn2_b64 s[6:7], s[0:1], exec
; %bb.64:
	s_or_b64 exec, exec, s[14:15]
	s_and_saveexec_b64 s[0:1], s[6:7]
	s_cbranch_execz .LBB1927_67
; %bb.65:
	s_add_i32 s6, s2, 8
	s_cmp_gt_u32 s3, s6
	s_cselect_b64 s[14:15], -1, 0
	s_xor_b64 s[18:19], vcc, -1
	s_and_b64 s[14:15], s[14:15], s[18:19]
	s_and_b64 exec, exec, s[14:15]
	s_cbranch_execz .LBB1927_67
; %bb.66:
	s_sub_i32 s7, s3, s6
	s_min_u32 s7, s7, 8
	v_lshrrev_b32_sdwa v2, s6, v2 dst_sel:DWORD dst_unused:UNUSED_PAD src0_sel:DWORD src1_sel:WORD_0
	v_bfe_u32 v2, v2, 0, s7
	v_lshlrev_b32_e32 v3, 2, v1
	v_lshl_or_b32 v2, v2, 4, v3
	v_mov_b32_e32 v3, 1
	ds_add_u32 v2, v3 offset:4096
.LBB1927_67:
	s_or_b64 exec, exec, s[0:1]
	v_cmp_le_u32_e32 vcc, s13, v13
	s_or_b64 s[0:1], s[4:5], vcc
	v_xor_b32_e32 v2, 0xffff8000, v5
	s_xor_b64 s[6:7], s[0:1], -1
	v_mov_b32_e32 v3, s16
	s_and_saveexec_b64 s[0:1], s[6:7]
	s_cbranch_execz .LBB1927_69
; %bb.68:
	s_sub_i32 s6, s3, s2
	s_min_u32 s6, s6, 8
	v_lshrrev_b32_sdwa v3, s2, v2 dst_sel:DWORD dst_unused:UNUSED_PAD src0_sel:DWORD src1_sel:WORD_0
	v_bfe_u32 v3, v3, 0, s6
	v_lshlrev_b32_e32 v4, 2, v1
	v_lshl_or_b32 v3, v3, 4, v4
	v_mov_b32_e32 v4, 1
	ds_add_u32 v3, v4
	v_mov_b32_e32 v3, 0
.LBB1927_69:
	s_or_b64 exec, exec, s[0:1]
	v_cmp_gt_i32_e64 s[0:1], 10, v3
	s_mov_b64 s[6:7], -1
	s_and_saveexec_b64 s[14:15], s[0:1]
; %bb.70:
	v_cmp_eq_u32_e64 s[0:1], 0, v3
	s_orn2_b64 s[6:7], s[0:1], exec
; %bb.71:
	s_or_b64 exec, exec, s[14:15]
	s_and_saveexec_b64 s[0:1], s[6:7]
	s_cbranch_execz .LBB1927_74
; %bb.72:
	s_add_i32 s6, s2, 8
	s_cmp_gt_u32 s3, s6
	s_cselect_b64 s[14:15], -1, 0
	s_xor_b64 s[18:19], vcc, -1
	s_and_b64 s[14:15], s[14:15], s[18:19]
	s_and_b64 exec, exec, s[14:15]
	s_cbranch_execz .LBB1927_74
; %bb.73:
	s_sub_i32 s7, s3, s6
	s_min_u32 s7, s7, 8
	v_lshrrev_b32_sdwa v2, s6, v2 dst_sel:DWORD dst_unused:UNUSED_PAD src0_sel:DWORD src1_sel:WORD_0
	v_bfe_u32 v2, v2, 0, s7
	v_lshlrev_b32_e32 v3, 2, v1
	v_lshl_or_b32 v2, v2, 4, v3
	v_mov_b32_e32 v3, 1
	ds_add_u32 v2, v3 offset:4096
.LBB1927_74:
	s_or_b64 exec, exec, s[0:1]
	s_movk_i32 s0, 0x8000
	v_cmp_le_u32_e32 vcc, s13, v12
	v_xor_b32_sdwa v2, v5, s0 dst_sel:DWORD dst_unused:UNUSED_PAD src0_sel:WORD_1 src1_sel:DWORD
	s_or_b64 s[0:1], s[4:5], vcc
	s_xor_b64 s[6:7], s[0:1], -1
	v_mov_b32_e32 v3, s16
	s_and_saveexec_b64 s[0:1], s[6:7]
	s_cbranch_execz .LBB1927_76
; %bb.75:
	s_sub_i32 s6, s3, s2
	s_min_u32 s6, s6, 8
	v_lshrrev_b32_sdwa v3, s2, v2 dst_sel:DWORD dst_unused:UNUSED_PAD src0_sel:DWORD src1_sel:WORD_0
	v_bfe_u32 v3, v3, 0, s6
	v_lshlrev_b32_e32 v4, 2, v1
	v_lshl_or_b32 v3, v3, 4, v4
	v_mov_b32_e32 v4, 1
	ds_add_u32 v3, v4
	v_mov_b32_e32 v3, 0
.LBB1927_76:
	s_or_b64 exec, exec, s[0:1]
	v_cmp_gt_i32_e64 s[0:1], 10, v3
	s_mov_b64 s[6:7], -1
	s_and_saveexec_b64 s[14:15], s[0:1]
; %bb.77:
	v_cmp_eq_u32_e64 s[0:1], 0, v3
	s_orn2_b64 s[6:7], s[0:1], exec
; %bb.78:
	s_or_b64 exec, exec, s[14:15]
	s_and_saveexec_b64 s[0:1], s[6:7]
	s_cbranch_execz .LBB1927_81
; %bb.79:
	s_add_i32 s6, s2, 8
	s_cmp_gt_u32 s3, s6
	s_cselect_b64 s[14:15], -1, 0
	s_xor_b64 s[18:19], vcc, -1
	s_and_b64 s[14:15], s[14:15], s[18:19]
	s_and_b64 exec, exec, s[14:15]
	s_cbranch_execz .LBB1927_81
; %bb.80:
	s_sub_i32 s7, s3, s6
	s_min_u32 s7, s7, 8
	v_lshrrev_b32_sdwa v2, s6, v2 dst_sel:DWORD dst_unused:UNUSED_PAD src0_sel:DWORD src1_sel:WORD_0
	v_bfe_u32 v2, v2, 0, s7
	v_lshlrev_b32_e32 v3, 2, v1
	v_lshl_or_b32 v2, v2, 4, v3
	v_mov_b32_e32 v3, 1
	ds_add_u32 v2, v3 offset:4096
.LBB1927_81:
	s_or_b64 exec, exec, s[0:1]
	v_cmp_le_u32_e32 vcc, s13, v11
	s_or_b64 s[0:1], s[4:5], vcc
	v_xor_b32_e32 v2, 0xffff8000, v6
	s_xor_b64 s[6:7], s[0:1], -1
	v_mov_b32_e32 v3, s16
	s_and_saveexec_b64 s[0:1], s[6:7]
	s_cbranch_execz .LBB1927_83
; %bb.82:
	s_sub_i32 s6, s3, s2
	s_min_u32 s6, s6, 8
	v_lshrrev_b32_sdwa v3, s2, v2 dst_sel:DWORD dst_unused:UNUSED_PAD src0_sel:DWORD src1_sel:WORD_0
	v_bfe_u32 v3, v3, 0, s6
	v_lshlrev_b32_e32 v4, 2, v1
	v_lshl_or_b32 v3, v3, 4, v4
	v_mov_b32_e32 v4, 1
	ds_add_u32 v3, v4
	v_mov_b32_e32 v3, 0
.LBB1927_83:
	s_or_b64 exec, exec, s[0:1]
	v_cmp_gt_i32_e64 s[0:1], 10, v3
	s_mov_b64 s[6:7], -1
	s_and_saveexec_b64 s[14:15], s[0:1]
; %bb.84:
	v_cmp_eq_u32_e64 s[0:1], 0, v3
	s_orn2_b64 s[6:7], s[0:1], exec
; %bb.85:
	s_or_b64 exec, exec, s[14:15]
	s_and_saveexec_b64 s[0:1], s[6:7]
	s_cbranch_execz .LBB1927_88
; %bb.86:
	s_add_i32 s6, s2, 8
	s_cmp_gt_u32 s3, s6
	s_cselect_b64 s[14:15], -1, 0
	s_xor_b64 s[18:19], vcc, -1
	s_and_b64 s[14:15], s[14:15], s[18:19]
	s_and_b64 exec, exec, s[14:15]
	s_cbranch_execz .LBB1927_88
; %bb.87:
	s_sub_i32 s7, s3, s6
	s_min_u32 s7, s7, 8
	v_lshrrev_b32_sdwa v2, s6, v2 dst_sel:DWORD dst_unused:UNUSED_PAD src0_sel:DWORD src1_sel:WORD_0
	v_bfe_u32 v2, v2, 0, s7
	v_lshlrev_b32_e32 v3, 2, v1
	v_lshl_or_b32 v2, v2, 4, v3
	v_mov_b32_e32 v3, 1
	ds_add_u32 v2, v3 offset:4096
.LBB1927_88:
	s_or_b64 exec, exec, s[0:1]
	s_movk_i32 s0, 0x8000
	v_cmp_le_u32_e32 vcc, s13, v10
	v_xor_b32_sdwa v2, v6, s0 dst_sel:DWORD dst_unused:UNUSED_PAD src0_sel:WORD_1 src1_sel:DWORD
	s_or_b64 s[0:1], s[4:5], vcc
	s_xor_b64 s[6:7], s[0:1], -1
	v_mov_b32_e32 v3, s16
	s_and_saveexec_b64 s[0:1], s[6:7]
	s_cbranch_execz .LBB1927_90
; %bb.89:
	s_sub_i32 s6, s3, s2
	s_min_u32 s6, s6, 8
	v_lshrrev_b32_sdwa v3, s2, v2 dst_sel:DWORD dst_unused:UNUSED_PAD src0_sel:DWORD src1_sel:WORD_0
	v_bfe_u32 v3, v3, 0, s6
	v_lshlrev_b32_e32 v4, 2, v1
	v_lshl_or_b32 v3, v3, 4, v4
	v_mov_b32_e32 v4, 1
	ds_add_u32 v3, v4
	v_mov_b32_e32 v3, 0
.LBB1927_90:
	s_or_b64 exec, exec, s[0:1]
	v_cmp_gt_i32_e64 s[0:1], 10, v3
	s_mov_b64 s[6:7], -1
	s_and_saveexec_b64 s[14:15], s[0:1]
; %bb.91:
	v_cmp_eq_u32_e64 s[0:1], 0, v3
	s_orn2_b64 s[6:7], s[0:1], exec
; %bb.92:
	s_or_b64 exec, exec, s[14:15]
	s_and_saveexec_b64 s[0:1], s[6:7]
	s_cbranch_execz .LBB1927_95
; %bb.93:
	s_add_i32 s6, s2, 8
	s_cmp_gt_u32 s3, s6
	s_cselect_b64 s[14:15], -1, 0
	s_xor_b64 s[18:19], vcc, -1
	s_and_b64 s[14:15], s[14:15], s[18:19]
	s_and_b64 exec, exec, s[14:15]
	s_cbranch_execz .LBB1927_95
; %bb.94:
	s_sub_i32 s7, s3, s6
	s_min_u32 s7, s7, 8
	v_lshrrev_b32_sdwa v2, s6, v2 dst_sel:DWORD dst_unused:UNUSED_PAD src0_sel:DWORD src1_sel:WORD_0
	v_bfe_u32 v2, v2, 0, s7
	v_lshlrev_b32_e32 v3, 2, v1
	v_lshl_or_b32 v2, v2, 4, v3
	v_mov_b32_e32 v3, 1
	ds_add_u32 v2, v3 offset:4096
.LBB1927_95:
	s_or_b64 exec, exec, s[0:1]
	v_cmp_le_u32_e32 vcc, s13, v9
	s_or_b64 s[0:1], s[4:5], vcc
	v_xor_b32_e32 v2, 0xffff8000, v7
	s_xor_b64 s[6:7], s[0:1], -1
	v_mov_b32_e32 v3, s16
	s_and_saveexec_b64 s[0:1], s[6:7]
	s_cbranch_execz .LBB1927_97
; %bb.96:
	s_sub_i32 s6, s3, s2
	s_min_u32 s6, s6, 8
	v_lshrrev_b32_sdwa v3, s2, v2 dst_sel:DWORD dst_unused:UNUSED_PAD src0_sel:DWORD src1_sel:WORD_0
	v_bfe_u32 v3, v3, 0, s6
	v_lshlrev_b32_e32 v4, 2, v1
	v_lshl_or_b32 v3, v3, 4, v4
	v_mov_b32_e32 v4, 1
	ds_add_u32 v3, v4
	v_mov_b32_e32 v3, 0
.LBB1927_97:
	s_or_b64 exec, exec, s[0:1]
	v_cmp_gt_i32_e64 s[0:1], 10, v3
	s_mov_b64 s[6:7], -1
	s_and_saveexec_b64 s[14:15], s[0:1]
; %bb.98:
	v_cmp_eq_u32_e64 s[0:1], 0, v3
	s_orn2_b64 s[6:7], s[0:1], exec
; %bb.99:
	s_or_b64 exec, exec, s[14:15]
	s_and_saveexec_b64 s[0:1], s[6:7]
	s_cbranch_execz .LBB1927_102
; %bb.100:
	s_add_i32 s6, s2, 8
	s_cmp_gt_u32 s3, s6
	s_cselect_b64 s[14:15], -1, 0
	s_xor_b64 s[18:19], vcc, -1
	s_and_b64 s[14:15], s[14:15], s[18:19]
	s_and_b64 exec, exec, s[14:15]
	s_cbranch_execz .LBB1927_102
; %bb.101:
	s_sub_i32 s7, s3, s6
	s_min_u32 s7, s7, 8
	v_lshrrev_b32_sdwa v2, s6, v2 dst_sel:DWORD dst_unused:UNUSED_PAD src0_sel:DWORD src1_sel:WORD_0
	v_bfe_u32 v2, v2, 0, s7
	v_lshlrev_b32_e32 v3, 2, v1
	v_lshl_or_b32 v2, v2, 4, v3
	v_mov_b32_e32 v3, 1
	ds_add_u32 v2, v3 offset:4096
.LBB1927_102:
	s_or_b64 exec, exec, s[0:1]
	s_movk_i32 s0, 0x8000
	v_cmp_le_u32_e32 vcc, s13, v8
	v_xor_b32_sdwa v2, v7, s0 dst_sel:DWORD dst_unused:UNUSED_PAD src0_sel:WORD_1 src1_sel:DWORD
	s_or_b64 s[0:1], s[4:5], vcc
	s_xor_b64 s[4:5], s[0:1], -1
	v_mov_b32_e32 v3, s16
	s_and_saveexec_b64 s[0:1], s[4:5]
	s_cbranch_execz .LBB1927_104
; %bb.103:
	s_sub_i32 s4, s3, s2
	s_min_u32 s4, s4, 8
	v_lshrrev_b32_sdwa v3, s2, v2 dst_sel:DWORD dst_unused:UNUSED_PAD src0_sel:DWORD src1_sel:WORD_0
	v_bfe_u32 v3, v3, 0, s4
	v_lshlrev_b32_e32 v4, 2, v1
	v_lshl_or_b32 v3, v3, 4, v4
	v_mov_b32_e32 v4, 1
	ds_add_u32 v3, v4
	v_mov_b32_e32 v3, 0
.LBB1927_104:
	s_or_b64 exec, exec, s[0:1]
	v_cmp_gt_i32_e64 s[0:1], 10, v3
	s_mov_b64 s[4:5], -1
	s_and_saveexec_b64 s[6:7], s[0:1]
; %bb.105:
	v_cmp_eq_u32_e64 s[0:1], 0, v3
	s_orn2_b64 s[4:5], s[0:1], exec
; %bb.106:
	s_or_b64 exec, exec, s[6:7]
	s_and_saveexec_b64 s[0:1], s[4:5]
	s_cbranch_execz .LBB1927_109
; %bb.107:
	s_add_i32 s4, s2, 8
	s_cmp_gt_u32 s3, s4
	s_cselect_b64 s[6:7], -1, 0
	s_xor_b64 s[14:15], vcc, -1
	s_and_b64 s[6:7], s[6:7], s[14:15]
	s_and_b64 exec, exec, s[6:7]
	s_cbranch_execz .LBB1927_109
; %bb.108:
	s_sub_i32 s5, s3, s4
	s_min_u32 s5, s5, 8
	v_lshrrev_b32_sdwa v2, s4, v2 dst_sel:DWORD dst_unused:UNUSED_PAD src0_sel:DWORD src1_sel:WORD_0
	v_bfe_u32 v2, v2, 0, s5
	v_lshlrev_b32_e32 v1, 2, v1
	v_lshl_or_b32 v1, v2, 4, v1
	v_mov_b32_e32 v2, 1
	ds_add_u32 v1, v2 offset:4096
.LBB1927_109:
	s_or_b64 exec, exec, s[0:1]
	s_cmp_gt_u32 s3, s2
	s_waitcnt lgkmcnt(0)
	s_barrier
	s_cbranch_scc0 .LBB1927_114
; %bb.110:
	s_movk_i32 s0, 0x100
	v_cmp_gt_u32_e32 vcc, s0, v0
	v_lshlrev_b32_e32 v1, 4, v0
	v_mov_b32_e32 v3, 0
	v_mov_b32_e32 v2, v0
	s_mov_b32 s6, s2
	s_branch .LBB1927_112
.LBB1927_111:                           ;   in Loop: Header=BB1927_112 Depth=1
	s_or_b64 exec, exec, s[4:5]
	s_add_i32 s6, s6, 8
	v_add_u32_e32 v2, 0x100, v2
	s_cmp_lt_u32 s6, s3
	v_add_u32_e32 v1, 0x1000, v1
	s_cbranch_scc0 .LBB1927_114
.LBB1927_112:                           ; =>This Inner Loop Header: Depth=1
	s_and_saveexec_b64 s[4:5], vcc
	s_cbranch_execz .LBB1927_111
; %bb.113:                              ;   in Loop: Header=BB1927_112 Depth=1
	ds_read2_b32 v[4:5], v1 offset1:1
	ds_read2_b32 v[6:7], v1 offset0:2 offset1:3
	v_lshlrev_b64 v[8:9], 2, v[2:3]
	v_mov_b32_e32 v10, s11
	s_waitcnt lgkmcnt(1)
	v_add_u32_e32 v4, v5, v4
	s_waitcnt lgkmcnt(0)
	v_add3_u32 v6, v4, v6, v7
	v_add_co_u32_e64 v4, s[0:1], s10, v8
	v_addc_co_u32_e64 v5, s[0:1], v10, v9, s[0:1]
	global_atomic_add v[4:5], v6, off
	s_branch .LBB1927_111
.LBB1927_114:
	s_mov_b64 s[0:1], 0
.LBB1927_115:
	s_and_b64 vcc, exec, s[0:1]
	s_cbranch_vccz .LBB1927_162
; %bb.116:
	s_cmp_eq_u32 s2, 0
	s_cselect_b64 s[0:1], -1, 0
	s_cmp_eq_u32 s3, 16
	s_mov_b32 s13, 0
	s_cselect_b64 s[4:5], -1, 0
	s_and_b64 s[4:5], s[0:1], s[4:5]
	s_lshl_b64 s[0:1], s[12:13], 1
	s_add_u32 s0, s8, s0
	s_addc_u32 s1, s9, s1
	v_lshlrev_b32_e32 v1, 1, v0
	v_mov_b32_e32 v2, s1
	v_add_co_u32_e32 v10, vcc, s0, v1
	v_addc_co_u32_e32 v11, vcc, 0, v2, vcc
	s_movk_i32 s6, 0x1000
	v_add_co_u32_e32 v2, vcc, s6, v10
	v_addc_co_u32_e32 v3, vcc, 0, v11, vcc
	s_movk_i32 s6, 0x2000
	;; [unrolled: 3-line block ×4, first 2 shown]
	v_add_co_u32_e32 v8, vcc, s6, v10
	global_load_ushort v12, v[4:5], off offset:-4096
	global_load_ushort v17, v[4:5], off
	v_addc_co_u32_e32 v9, vcc, 0, v11, vcc
	global_load_ushort v13, v1, s[0:1]
	global_load_ushort v14, v1, s[0:1] offset:2048
	global_load_ushort v18, v[2:3], off offset:2048
	global_load_ushort v19, v[6:7], off offset:2048
	;; [unrolled: 1-line block ×3, first 2 shown]
	global_load_ushort v21, v[8:9], off offset:-4096
	global_load_ushort v22, v[8:9], off
	global_load_ushort v23, v[8:9], off offset:2048
	s_movk_i32 s0, 0x5000
	v_add_co_u32_e32 v2, vcc, s0, v10
	v_addc_co_u32_e32 v3, vcc, 0, v11, vcc
	global_load_ushort v5, v[2:3], off
	global_load_ushort v24, v[2:3], off offset:2048
	v_mov_b32_e32 v2, 0
	v_lshlrev_b32_e32 v1, 2, v0
	ds_write2st64_b32 v1, v2, v2 offset1:16
	v_and_b32_e32 v4, 3, v0
	s_mov_b64 s[0:1], -1
	s_and_b64 vcc, exec, s[4:5]
	s_waitcnt vmcnt(9) lgkmcnt(0)
	v_xor_b32_e32 v2, 0xffff8000, v13
	s_waitcnt vmcnt(8)
	v_xor_b32_e32 v15, 0xffff8000, v14
	v_and_b32_e32 v16, 0xffff, v2
	v_xor_b32_e32 v14, 0xffff8000, v12
	s_waitcnt vmcnt(7)
	v_xor_b32_e32 v13, 0xffff8000, v18
	v_xor_b32_e32 v12, 0xffff8000, v17
	s_waitcnt vmcnt(5)
	v_xor_b32_e32 v11, 0xffff8000, v20
	s_waitcnt vmcnt(4)
	v_xor_b32_e32 v10, 0xffff8000, v21
	v_xor_b32_e32 v9, 0xffff8000, v19
	s_waitcnt vmcnt(3)
	v_xor_b32_e32 v8, 0xffff8000, v22
	s_waitcnt vmcnt(2)
	;; [unrolled: 2-line block ×4, first 2 shown]
	v_xor_b32_e32 v5, 0xffff8000, v24
	s_cbranch_vccnz .LBB1927_159
; %bb.117:
	s_cmp_gt_u32 s3, s2
	s_cselect_b64 s[4:5], -1, 0
	s_and_b64 vcc, exec, s[4:5]
	v_lshlrev_b32_e32 v2, 2, v4
	s_barrier
	s_cbranch_vccz .LBB1927_120
; %bb.118:
	s_sub_i32 s0, s3, s2
	s_min_u32 s0, s0, 8
	v_lshrrev_b32_e32 v3, s2, v16
	v_bfe_u32 v3, v3, 0, s0
	v_lshl_or_b32 v17, v3, 4, v2
	v_mov_b32_e32 v3, 1
	ds_add_u32 v17, v3
	s_add_i32 s0, s2, 8
	s_cmp_le_u32 s3, s0
	s_cbranch_scc1 .LBB1927_120
; %bb.119:
	s_sub_i32 s1, s3, s0
	s_min_u32 s1, s1, 8
	v_lshrrev_b32_e32 v17, s0, v16
	v_bfe_u32 v17, v17, 0, s1
	v_lshl_or_b32 v17, v17, 4, v2
	ds_add_u32 v17, v3 offset:4096
.LBB1927_120:
	v_cndmask_b32_e64 v3, 0, 1, s[4:5]
	v_cmp_ne_u32_e64 s[0:1], 1, v3
	s_andn2_b64 vcc, exec, s[4:5]
	s_cbranch_vccnz .LBB1927_123
; %bb.121:
	s_sub_i32 s6, s3, s2
	s_min_u32 s6, s6, 8
	v_lshrrev_b32_sdwa v3, s2, v15 dst_sel:DWORD dst_unused:UNUSED_PAD src0_sel:DWORD src1_sel:WORD_0
	v_bfe_u32 v3, v3, 0, s6
	v_lshl_or_b32 v17, v3, 4, v2
	v_mov_b32_e32 v3, 1
	ds_add_u32 v17, v3
	s_add_i32 s6, s2, 8
	s_cmp_le_u32 s3, s6
	s_cbranch_scc1 .LBB1927_123
; %bb.122:
	s_sub_i32 s7, s3, s6
	s_min_u32 s7, s7, 8
	v_lshrrev_b32_sdwa v17, s6, v15 dst_sel:DWORD dst_unused:UNUSED_PAD src0_sel:DWORD src1_sel:WORD_0
	v_bfe_u32 v17, v17, 0, s7
	v_lshl_or_b32 v17, v17, 4, v2
	ds_add_u32 v17, v3 offset:4096
.LBB1927_123:
	s_and_b64 vcc, exec, s[0:1]
	s_cbranch_vccnz .LBB1927_126
; %bb.124:
	s_sub_i32 s6, s3, s2
	s_min_u32 s6, s6, 8
	v_lshrrev_b32_sdwa v3, s2, v14 dst_sel:DWORD dst_unused:UNUSED_PAD src0_sel:DWORD src1_sel:WORD_0
	v_bfe_u32 v3, v3, 0, s6
	v_lshl_or_b32 v17, v3, 4, v2
	v_mov_b32_e32 v3, 1
	ds_add_u32 v17, v3
	s_add_i32 s6, s2, 8
	s_cmp_le_u32 s3, s6
	s_cbranch_scc1 .LBB1927_126
; %bb.125:
	s_sub_i32 s7, s3, s6
	s_min_u32 s7, s7, 8
	v_lshrrev_b32_sdwa v17, s6, v14 dst_sel:DWORD dst_unused:UNUSED_PAD src0_sel:DWORD src1_sel:WORD_0
	v_bfe_u32 v17, v17, 0, s7
	v_lshl_or_b32 v17, v17, 4, v2
	ds_add_u32 v17, v3 offset:4096
.LBB1927_126:
	s_and_b64 vcc, exec, s[0:1]
	;; [unrolled: 21-line block ×11, first 2 shown]
	s_waitcnt lgkmcnt(0)
	s_barrier
	s_cbranch_vccz .LBB1927_158
; %bb.154:
	s_movk_i32 s0, 0x100
	v_cmp_gt_u32_e32 vcc, s0, v0
	v_lshlrev_b32_e32 v17, 4, v0
	v_mov_b32_e32 v3, 0
	v_mov_b32_e32 v2, v0
	s_branch .LBB1927_156
.LBB1927_155:                           ;   in Loop: Header=BB1927_156 Depth=1
	s_or_b64 exec, exec, s[4:5]
	s_add_i32 s2, s2, 8
	v_add_u32_e32 v2, 0x100, v2
	s_cmp_ge_u32 s2, s3
	v_add_u32_e32 v17, 0x1000, v17
	s_cbranch_scc1 .LBB1927_158
.LBB1927_156:                           ; =>This Inner Loop Header: Depth=1
	s_and_saveexec_b64 s[4:5], vcc
	s_cbranch_execz .LBB1927_155
; %bb.157:                              ;   in Loop: Header=BB1927_156 Depth=1
	ds_read2_b32 v[18:19], v17 offset1:1
	ds_read2_b32 v[20:21], v17 offset0:2 offset1:3
	v_lshlrev_b64 v[22:23], 2, v[2:3]
	v_mov_b32_e32 v24, s11
	s_waitcnt lgkmcnt(1)
	v_add_u32_e32 v18, v19, v18
	s_waitcnt lgkmcnt(0)
	v_add3_u32 v20, v18, v20, v21
	v_add_co_u32_e64 v18, s[0:1], s10, v22
	v_addc_co_u32_e64 v19, s[0:1], v24, v23, s[0:1]
	global_atomic_add v[18:19], v20, off
	s_branch .LBB1927_155
.LBB1927_158:
	s_mov_b64 s[0:1], 0
.LBB1927_159:
	s_and_b64 vcc, exec, s[0:1]
	s_cbranch_vccz .LBB1927_162
; %bb.160:
	v_lshlrev_b32_e32 v2, 2, v16
	s_movk_i32 s0, 0x3fc
	v_and_or_b32 v2, v2, s0, v4
	v_lshlrev_b32_e32 v2, 2, v2
	v_mov_b32_e32 v3, 1
	s_barrier
	ds_add_u32 v2, v3
	v_bfe_u32 v2, v16, 8, 8
	v_lshl_or_b32 v2, v2, 2, v4
	v_lshlrev_b32_e32 v2, 2, v2
	ds_add_u32 v2, v3 offset:4096
	v_and_b32_e32 v2, 0xffff, v15
	v_lshlrev_b32_e32 v15, 2, v2
	v_and_or_b32 v15, v15, s0, v4
	v_bfe_u32 v2, v2, 8, 8
	v_lshlrev_b32_e32 v15, 2, v15
	v_lshl_or_b32 v2, v2, 2, v4
	ds_add_u32 v15, v3
	v_lshlrev_b32_e32 v2, 2, v2
	ds_add_u32 v2, v3 offset:4096
	v_and_b32_e32 v2, 0xffff, v14
	v_lshlrev_b32_e32 v14, 2, v2
	v_and_or_b32 v14, v14, s0, v4
	v_bfe_u32 v2, v2, 8, 8
	v_lshlrev_b32_e32 v14, 2, v14
	v_lshl_or_b32 v2, v2, 2, v4
	ds_add_u32 v14, v3
	;; [unrolled: 9-line block ×11, first 2 shown]
	v_lshlrev_b32_e32 v2, 2, v2
	ds_add_u32 v2, v3 offset:4096
	s_movk_i32 s0, 0x100
	v_cmp_gt_u32_e32 vcc, s0, v0
	s_waitcnt lgkmcnt(0)
	s_barrier
	s_and_saveexec_b64 s[0:1], vcc
	s_cbranch_execz .LBB1927_162
; %bb.161:
	v_lshlrev_b32_e32 v0, 4, v0
	ds_read2_b32 v[2:3], v0 offset1:1
	ds_read2_b32 v[4:5], v0 offset0:2 offset1:3
	v_add_u32_e32 v6, 0x1000, v0
	v_add_u32_e32 v0, 0x1008, v0
	s_waitcnt lgkmcnt(1)
	v_add_u32_e32 v2, v3, v2
	s_waitcnt lgkmcnt(0)
	v_add3_u32 v2, v2, v4, v5
	global_atomic_add v1, v2, s[10:11]
	ds_read2_b32 v[2:3], v6 offset1:1
	ds_read2_b32 v[4:5], v0 offset1:1
	s_waitcnt lgkmcnt(1)
	v_add_u32_e32 v0, v3, v2
	s_waitcnt lgkmcnt(0)
	v_add3_u32 v0, v0, v4, v5
	global_atomic_add v1, v0, s[10:11] offset:1024
.LBB1927_162:
	s_endpgm
	.section	.rodata,"a",@progbits
	.p2align	6, 0x0
	.amdhsa_kernel _ZN7rocprim17ROCPRIM_400000_NS6detail17trampoline_kernelINS0_14default_configENS1_35radix_sort_onesweep_config_selectorIsNS0_10empty_typeEEEZNS1_34radix_sort_onesweep_global_offsetsIS3_Lb0EN6thrust23THRUST_200600_302600_NS6detail15normal_iteratorINS9_10device_ptrIsEEEEPS5_jNS0_19identity_decomposerEEE10hipError_tT1_T2_PT3_SK_jT4_jjP12ihipStream_tbEUlT_E_NS1_11comp_targetILNS1_3genE4ELNS1_11target_archE910ELNS1_3gpuE8ELNS1_3repE0EEENS1_52radix_sort_onesweep_histogram_config_static_selectorELNS0_4arch9wavefront6targetE1EEEvSI_
		.amdhsa_group_segment_fixed_size 8192
		.amdhsa_private_segment_fixed_size 0
		.amdhsa_kernarg_size 40
		.amdhsa_user_sgpr_count 6
		.amdhsa_user_sgpr_private_segment_buffer 1
		.amdhsa_user_sgpr_dispatch_ptr 0
		.amdhsa_user_sgpr_queue_ptr 0
		.amdhsa_user_sgpr_kernarg_segment_ptr 1
		.amdhsa_user_sgpr_dispatch_id 0
		.amdhsa_user_sgpr_flat_scratch_init 0
		.amdhsa_user_sgpr_kernarg_preload_length 0
		.amdhsa_user_sgpr_kernarg_preload_offset 0
		.amdhsa_user_sgpr_private_segment_size 0
		.amdhsa_uses_dynamic_stack 0
		.amdhsa_system_sgpr_private_segment_wavefront_offset 0
		.amdhsa_system_sgpr_workgroup_id_x 1
		.amdhsa_system_sgpr_workgroup_id_y 0
		.amdhsa_system_sgpr_workgroup_id_z 0
		.amdhsa_system_sgpr_workgroup_info 0
		.amdhsa_system_vgpr_workitem_id 0
		.amdhsa_next_free_vgpr 25
		.amdhsa_next_free_sgpr 20
		.amdhsa_accum_offset 28
		.amdhsa_reserve_vcc 1
		.amdhsa_reserve_flat_scratch 0
		.amdhsa_float_round_mode_32 0
		.amdhsa_float_round_mode_16_64 0
		.amdhsa_float_denorm_mode_32 3
		.amdhsa_float_denorm_mode_16_64 3
		.amdhsa_dx10_clamp 1
		.amdhsa_ieee_mode 1
		.amdhsa_fp16_overflow 0
		.amdhsa_tg_split 0
		.amdhsa_exception_fp_ieee_invalid_op 0
		.amdhsa_exception_fp_denorm_src 0
		.amdhsa_exception_fp_ieee_div_zero 0
		.amdhsa_exception_fp_ieee_overflow 0
		.amdhsa_exception_fp_ieee_underflow 0
		.amdhsa_exception_fp_ieee_inexact 0
		.amdhsa_exception_int_div_zero 0
	.end_amdhsa_kernel
	.section	.text._ZN7rocprim17ROCPRIM_400000_NS6detail17trampoline_kernelINS0_14default_configENS1_35radix_sort_onesweep_config_selectorIsNS0_10empty_typeEEEZNS1_34radix_sort_onesweep_global_offsetsIS3_Lb0EN6thrust23THRUST_200600_302600_NS6detail15normal_iteratorINS9_10device_ptrIsEEEEPS5_jNS0_19identity_decomposerEEE10hipError_tT1_T2_PT3_SK_jT4_jjP12ihipStream_tbEUlT_E_NS1_11comp_targetILNS1_3genE4ELNS1_11target_archE910ELNS1_3gpuE8ELNS1_3repE0EEENS1_52radix_sort_onesweep_histogram_config_static_selectorELNS0_4arch9wavefront6targetE1EEEvSI_,"axG",@progbits,_ZN7rocprim17ROCPRIM_400000_NS6detail17trampoline_kernelINS0_14default_configENS1_35radix_sort_onesweep_config_selectorIsNS0_10empty_typeEEEZNS1_34radix_sort_onesweep_global_offsetsIS3_Lb0EN6thrust23THRUST_200600_302600_NS6detail15normal_iteratorINS9_10device_ptrIsEEEEPS5_jNS0_19identity_decomposerEEE10hipError_tT1_T2_PT3_SK_jT4_jjP12ihipStream_tbEUlT_E_NS1_11comp_targetILNS1_3genE4ELNS1_11target_archE910ELNS1_3gpuE8ELNS1_3repE0EEENS1_52radix_sort_onesweep_histogram_config_static_selectorELNS0_4arch9wavefront6targetE1EEEvSI_,comdat
.Lfunc_end1927:
	.size	_ZN7rocprim17ROCPRIM_400000_NS6detail17trampoline_kernelINS0_14default_configENS1_35radix_sort_onesweep_config_selectorIsNS0_10empty_typeEEEZNS1_34radix_sort_onesweep_global_offsetsIS3_Lb0EN6thrust23THRUST_200600_302600_NS6detail15normal_iteratorINS9_10device_ptrIsEEEEPS5_jNS0_19identity_decomposerEEE10hipError_tT1_T2_PT3_SK_jT4_jjP12ihipStream_tbEUlT_E_NS1_11comp_targetILNS1_3genE4ELNS1_11target_archE910ELNS1_3gpuE8ELNS1_3repE0EEENS1_52radix_sort_onesweep_histogram_config_static_selectorELNS0_4arch9wavefront6targetE1EEEvSI_, .Lfunc_end1927-_ZN7rocprim17ROCPRIM_400000_NS6detail17trampoline_kernelINS0_14default_configENS1_35radix_sort_onesweep_config_selectorIsNS0_10empty_typeEEEZNS1_34radix_sort_onesweep_global_offsetsIS3_Lb0EN6thrust23THRUST_200600_302600_NS6detail15normal_iteratorINS9_10device_ptrIsEEEEPS5_jNS0_19identity_decomposerEEE10hipError_tT1_T2_PT3_SK_jT4_jjP12ihipStream_tbEUlT_E_NS1_11comp_targetILNS1_3genE4ELNS1_11target_archE910ELNS1_3gpuE8ELNS1_3repE0EEENS1_52radix_sort_onesweep_histogram_config_static_selectorELNS0_4arch9wavefront6targetE1EEEvSI_
                                        ; -- End function
	.section	.AMDGPU.csdata,"",@progbits
; Kernel info:
; codeLenInByte = 6148
; NumSgprs: 24
; NumVgprs: 25
; NumAgprs: 0
; TotalNumVgprs: 25
; ScratchSize: 0
; MemoryBound: 0
; FloatMode: 240
; IeeeMode: 1
; LDSByteSize: 8192 bytes/workgroup (compile time only)
; SGPRBlocks: 2
; VGPRBlocks: 3
; NumSGPRsForWavesPerEU: 24
; NumVGPRsForWavesPerEU: 25
; AccumOffset: 28
; Occupancy: 8
; WaveLimiterHint : 1
; COMPUTE_PGM_RSRC2:SCRATCH_EN: 0
; COMPUTE_PGM_RSRC2:USER_SGPR: 6
; COMPUTE_PGM_RSRC2:TRAP_HANDLER: 0
; COMPUTE_PGM_RSRC2:TGID_X_EN: 1
; COMPUTE_PGM_RSRC2:TGID_Y_EN: 0
; COMPUTE_PGM_RSRC2:TGID_Z_EN: 0
; COMPUTE_PGM_RSRC2:TIDIG_COMP_CNT: 0
; COMPUTE_PGM_RSRC3_GFX90A:ACCUM_OFFSET: 6
; COMPUTE_PGM_RSRC3_GFX90A:TG_SPLIT: 0
	.section	.text._ZN7rocprim17ROCPRIM_400000_NS6detail17trampoline_kernelINS0_14default_configENS1_35radix_sort_onesweep_config_selectorIsNS0_10empty_typeEEEZNS1_34radix_sort_onesweep_global_offsetsIS3_Lb0EN6thrust23THRUST_200600_302600_NS6detail15normal_iteratorINS9_10device_ptrIsEEEEPS5_jNS0_19identity_decomposerEEE10hipError_tT1_T2_PT3_SK_jT4_jjP12ihipStream_tbEUlT_E_NS1_11comp_targetILNS1_3genE3ELNS1_11target_archE908ELNS1_3gpuE7ELNS1_3repE0EEENS1_52radix_sort_onesweep_histogram_config_static_selectorELNS0_4arch9wavefront6targetE1EEEvSI_,"axG",@progbits,_ZN7rocprim17ROCPRIM_400000_NS6detail17trampoline_kernelINS0_14default_configENS1_35radix_sort_onesweep_config_selectorIsNS0_10empty_typeEEEZNS1_34radix_sort_onesweep_global_offsetsIS3_Lb0EN6thrust23THRUST_200600_302600_NS6detail15normal_iteratorINS9_10device_ptrIsEEEEPS5_jNS0_19identity_decomposerEEE10hipError_tT1_T2_PT3_SK_jT4_jjP12ihipStream_tbEUlT_E_NS1_11comp_targetILNS1_3genE3ELNS1_11target_archE908ELNS1_3gpuE7ELNS1_3repE0EEENS1_52radix_sort_onesweep_histogram_config_static_selectorELNS0_4arch9wavefront6targetE1EEEvSI_,comdat
	.protected	_ZN7rocprim17ROCPRIM_400000_NS6detail17trampoline_kernelINS0_14default_configENS1_35radix_sort_onesweep_config_selectorIsNS0_10empty_typeEEEZNS1_34radix_sort_onesweep_global_offsetsIS3_Lb0EN6thrust23THRUST_200600_302600_NS6detail15normal_iteratorINS9_10device_ptrIsEEEEPS5_jNS0_19identity_decomposerEEE10hipError_tT1_T2_PT3_SK_jT4_jjP12ihipStream_tbEUlT_E_NS1_11comp_targetILNS1_3genE3ELNS1_11target_archE908ELNS1_3gpuE7ELNS1_3repE0EEENS1_52radix_sort_onesweep_histogram_config_static_selectorELNS0_4arch9wavefront6targetE1EEEvSI_ ; -- Begin function _ZN7rocprim17ROCPRIM_400000_NS6detail17trampoline_kernelINS0_14default_configENS1_35radix_sort_onesweep_config_selectorIsNS0_10empty_typeEEEZNS1_34radix_sort_onesweep_global_offsetsIS3_Lb0EN6thrust23THRUST_200600_302600_NS6detail15normal_iteratorINS9_10device_ptrIsEEEEPS5_jNS0_19identity_decomposerEEE10hipError_tT1_T2_PT3_SK_jT4_jjP12ihipStream_tbEUlT_E_NS1_11comp_targetILNS1_3genE3ELNS1_11target_archE908ELNS1_3gpuE7ELNS1_3repE0EEENS1_52radix_sort_onesweep_histogram_config_static_selectorELNS0_4arch9wavefront6targetE1EEEvSI_
	.globl	_ZN7rocprim17ROCPRIM_400000_NS6detail17trampoline_kernelINS0_14default_configENS1_35radix_sort_onesweep_config_selectorIsNS0_10empty_typeEEEZNS1_34radix_sort_onesweep_global_offsetsIS3_Lb0EN6thrust23THRUST_200600_302600_NS6detail15normal_iteratorINS9_10device_ptrIsEEEEPS5_jNS0_19identity_decomposerEEE10hipError_tT1_T2_PT3_SK_jT4_jjP12ihipStream_tbEUlT_E_NS1_11comp_targetILNS1_3genE3ELNS1_11target_archE908ELNS1_3gpuE7ELNS1_3repE0EEENS1_52radix_sort_onesweep_histogram_config_static_selectorELNS0_4arch9wavefront6targetE1EEEvSI_
	.p2align	8
	.type	_ZN7rocprim17ROCPRIM_400000_NS6detail17trampoline_kernelINS0_14default_configENS1_35radix_sort_onesweep_config_selectorIsNS0_10empty_typeEEEZNS1_34radix_sort_onesweep_global_offsetsIS3_Lb0EN6thrust23THRUST_200600_302600_NS6detail15normal_iteratorINS9_10device_ptrIsEEEEPS5_jNS0_19identity_decomposerEEE10hipError_tT1_T2_PT3_SK_jT4_jjP12ihipStream_tbEUlT_E_NS1_11comp_targetILNS1_3genE3ELNS1_11target_archE908ELNS1_3gpuE7ELNS1_3repE0EEENS1_52radix_sort_onesweep_histogram_config_static_selectorELNS0_4arch9wavefront6targetE1EEEvSI_,@function
_ZN7rocprim17ROCPRIM_400000_NS6detail17trampoline_kernelINS0_14default_configENS1_35radix_sort_onesweep_config_selectorIsNS0_10empty_typeEEEZNS1_34radix_sort_onesweep_global_offsetsIS3_Lb0EN6thrust23THRUST_200600_302600_NS6detail15normal_iteratorINS9_10device_ptrIsEEEEPS5_jNS0_19identity_decomposerEEE10hipError_tT1_T2_PT3_SK_jT4_jjP12ihipStream_tbEUlT_E_NS1_11comp_targetILNS1_3genE3ELNS1_11target_archE908ELNS1_3gpuE7ELNS1_3repE0EEENS1_52radix_sort_onesweep_histogram_config_static_selectorELNS0_4arch9wavefront6targetE1EEEvSI_: ; @_ZN7rocprim17ROCPRIM_400000_NS6detail17trampoline_kernelINS0_14default_configENS1_35radix_sort_onesweep_config_selectorIsNS0_10empty_typeEEEZNS1_34radix_sort_onesweep_global_offsetsIS3_Lb0EN6thrust23THRUST_200600_302600_NS6detail15normal_iteratorINS9_10device_ptrIsEEEEPS5_jNS0_19identity_decomposerEEE10hipError_tT1_T2_PT3_SK_jT4_jjP12ihipStream_tbEUlT_E_NS1_11comp_targetILNS1_3genE3ELNS1_11target_archE908ELNS1_3gpuE7ELNS1_3repE0EEENS1_52radix_sort_onesweep_histogram_config_static_selectorELNS0_4arch9wavefront6targetE1EEEvSI_
; %bb.0:
	.section	.rodata,"a",@progbits
	.p2align	6, 0x0
	.amdhsa_kernel _ZN7rocprim17ROCPRIM_400000_NS6detail17trampoline_kernelINS0_14default_configENS1_35radix_sort_onesweep_config_selectorIsNS0_10empty_typeEEEZNS1_34radix_sort_onesweep_global_offsetsIS3_Lb0EN6thrust23THRUST_200600_302600_NS6detail15normal_iteratorINS9_10device_ptrIsEEEEPS5_jNS0_19identity_decomposerEEE10hipError_tT1_T2_PT3_SK_jT4_jjP12ihipStream_tbEUlT_E_NS1_11comp_targetILNS1_3genE3ELNS1_11target_archE908ELNS1_3gpuE7ELNS1_3repE0EEENS1_52radix_sort_onesweep_histogram_config_static_selectorELNS0_4arch9wavefront6targetE1EEEvSI_
		.amdhsa_group_segment_fixed_size 0
		.amdhsa_private_segment_fixed_size 0
		.amdhsa_kernarg_size 40
		.amdhsa_user_sgpr_count 6
		.amdhsa_user_sgpr_private_segment_buffer 1
		.amdhsa_user_sgpr_dispatch_ptr 0
		.amdhsa_user_sgpr_queue_ptr 0
		.amdhsa_user_sgpr_kernarg_segment_ptr 1
		.amdhsa_user_sgpr_dispatch_id 0
		.amdhsa_user_sgpr_flat_scratch_init 0
		.amdhsa_user_sgpr_kernarg_preload_length 0
		.amdhsa_user_sgpr_kernarg_preload_offset 0
		.amdhsa_user_sgpr_private_segment_size 0
		.amdhsa_uses_dynamic_stack 0
		.amdhsa_system_sgpr_private_segment_wavefront_offset 0
		.amdhsa_system_sgpr_workgroup_id_x 1
		.amdhsa_system_sgpr_workgroup_id_y 0
		.amdhsa_system_sgpr_workgroup_id_z 0
		.amdhsa_system_sgpr_workgroup_info 0
		.amdhsa_system_vgpr_workitem_id 0
		.amdhsa_next_free_vgpr 1
		.amdhsa_next_free_sgpr 0
		.amdhsa_accum_offset 4
		.amdhsa_reserve_vcc 0
		.amdhsa_reserve_flat_scratch 0
		.amdhsa_float_round_mode_32 0
		.amdhsa_float_round_mode_16_64 0
		.amdhsa_float_denorm_mode_32 3
		.amdhsa_float_denorm_mode_16_64 3
		.amdhsa_dx10_clamp 1
		.amdhsa_ieee_mode 1
		.amdhsa_fp16_overflow 0
		.amdhsa_tg_split 0
		.amdhsa_exception_fp_ieee_invalid_op 0
		.amdhsa_exception_fp_denorm_src 0
		.amdhsa_exception_fp_ieee_div_zero 0
		.amdhsa_exception_fp_ieee_overflow 0
		.amdhsa_exception_fp_ieee_underflow 0
		.amdhsa_exception_fp_ieee_inexact 0
		.amdhsa_exception_int_div_zero 0
	.end_amdhsa_kernel
	.section	.text._ZN7rocprim17ROCPRIM_400000_NS6detail17trampoline_kernelINS0_14default_configENS1_35radix_sort_onesweep_config_selectorIsNS0_10empty_typeEEEZNS1_34radix_sort_onesweep_global_offsetsIS3_Lb0EN6thrust23THRUST_200600_302600_NS6detail15normal_iteratorINS9_10device_ptrIsEEEEPS5_jNS0_19identity_decomposerEEE10hipError_tT1_T2_PT3_SK_jT4_jjP12ihipStream_tbEUlT_E_NS1_11comp_targetILNS1_3genE3ELNS1_11target_archE908ELNS1_3gpuE7ELNS1_3repE0EEENS1_52radix_sort_onesweep_histogram_config_static_selectorELNS0_4arch9wavefront6targetE1EEEvSI_,"axG",@progbits,_ZN7rocprim17ROCPRIM_400000_NS6detail17trampoline_kernelINS0_14default_configENS1_35radix_sort_onesweep_config_selectorIsNS0_10empty_typeEEEZNS1_34radix_sort_onesweep_global_offsetsIS3_Lb0EN6thrust23THRUST_200600_302600_NS6detail15normal_iteratorINS9_10device_ptrIsEEEEPS5_jNS0_19identity_decomposerEEE10hipError_tT1_T2_PT3_SK_jT4_jjP12ihipStream_tbEUlT_E_NS1_11comp_targetILNS1_3genE3ELNS1_11target_archE908ELNS1_3gpuE7ELNS1_3repE0EEENS1_52radix_sort_onesweep_histogram_config_static_selectorELNS0_4arch9wavefront6targetE1EEEvSI_,comdat
.Lfunc_end1928:
	.size	_ZN7rocprim17ROCPRIM_400000_NS6detail17trampoline_kernelINS0_14default_configENS1_35radix_sort_onesweep_config_selectorIsNS0_10empty_typeEEEZNS1_34radix_sort_onesweep_global_offsetsIS3_Lb0EN6thrust23THRUST_200600_302600_NS6detail15normal_iteratorINS9_10device_ptrIsEEEEPS5_jNS0_19identity_decomposerEEE10hipError_tT1_T2_PT3_SK_jT4_jjP12ihipStream_tbEUlT_E_NS1_11comp_targetILNS1_3genE3ELNS1_11target_archE908ELNS1_3gpuE7ELNS1_3repE0EEENS1_52radix_sort_onesweep_histogram_config_static_selectorELNS0_4arch9wavefront6targetE1EEEvSI_, .Lfunc_end1928-_ZN7rocprim17ROCPRIM_400000_NS6detail17trampoline_kernelINS0_14default_configENS1_35radix_sort_onesweep_config_selectorIsNS0_10empty_typeEEEZNS1_34radix_sort_onesweep_global_offsetsIS3_Lb0EN6thrust23THRUST_200600_302600_NS6detail15normal_iteratorINS9_10device_ptrIsEEEEPS5_jNS0_19identity_decomposerEEE10hipError_tT1_T2_PT3_SK_jT4_jjP12ihipStream_tbEUlT_E_NS1_11comp_targetILNS1_3genE3ELNS1_11target_archE908ELNS1_3gpuE7ELNS1_3repE0EEENS1_52radix_sort_onesweep_histogram_config_static_selectorELNS0_4arch9wavefront6targetE1EEEvSI_
                                        ; -- End function
	.section	.AMDGPU.csdata,"",@progbits
; Kernel info:
; codeLenInByte = 0
; NumSgprs: 4
; NumVgprs: 0
; NumAgprs: 0
; TotalNumVgprs: 0
; ScratchSize: 0
; MemoryBound: 0
; FloatMode: 240
; IeeeMode: 1
; LDSByteSize: 0 bytes/workgroup (compile time only)
; SGPRBlocks: 0
; VGPRBlocks: 0
; NumSGPRsForWavesPerEU: 4
; NumVGPRsForWavesPerEU: 1
; AccumOffset: 4
; Occupancy: 8
; WaveLimiterHint : 0
; COMPUTE_PGM_RSRC2:SCRATCH_EN: 0
; COMPUTE_PGM_RSRC2:USER_SGPR: 6
; COMPUTE_PGM_RSRC2:TRAP_HANDLER: 0
; COMPUTE_PGM_RSRC2:TGID_X_EN: 1
; COMPUTE_PGM_RSRC2:TGID_Y_EN: 0
; COMPUTE_PGM_RSRC2:TGID_Z_EN: 0
; COMPUTE_PGM_RSRC2:TIDIG_COMP_CNT: 0
; COMPUTE_PGM_RSRC3_GFX90A:ACCUM_OFFSET: 0
; COMPUTE_PGM_RSRC3_GFX90A:TG_SPLIT: 0
	.section	.text._ZN7rocprim17ROCPRIM_400000_NS6detail17trampoline_kernelINS0_14default_configENS1_35radix_sort_onesweep_config_selectorIsNS0_10empty_typeEEEZNS1_34radix_sort_onesweep_global_offsetsIS3_Lb0EN6thrust23THRUST_200600_302600_NS6detail15normal_iteratorINS9_10device_ptrIsEEEEPS5_jNS0_19identity_decomposerEEE10hipError_tT1_T2_PT3_SK_jT4_jjP12ihipStream_tbEUlT_E_NS1_11comp_targetILNS1_3genE10ELNS1_11target_archE1201ELNS1_3gpuE5ELNS1_3repE0EEENS1_52radix_sort_onesweep_histogram_config_static_selectorELNS0_4arch9wavefront6targetE1EEEvSI_,"axG",@progbits,_ZN7rocprim17ROCPRIM_400000_NS6detail17trampoline_kernelINS0_14default_configENS1_35radix_sort_onesweep_config_selectorIsNS0_10empty_typeEEEZNS1_34radix_sort_onesweep_global_offsetsIS3_Lb0EN6thrust23THRUST_200600_302600_NS6detail15normal_iteratorINS9_10device_ptrIsEEEEPS5_jNS0_19identity_decomposerEEE10hipError_tT1_T2_PT3_SK_jT4_jjP12ihipStream_tbEUlT_E_NS1_11comp_targetILNS1_3genE10ELNS1_11target_archE1201ELNS1_3gpuE5ELNS1_3repE0EEENS1_52radix_sort_onesweep_histogram_config_static_selectorELNS0_4arch9wavefront6targetE1EEEvSI_,comdat
	.protected	_ZN7rocprim17ROCPRIM_400000_NS6detail17trampoline_kernelINS0_14default_configENS1_35radix_sort_onesweep_config_selectorIsNS0_10empty_typeEEEZNS1_34radix_sort_onesweep_global_offsetsIS3_Lb0EN6thrust23THRUST_200600_302600_NS6detail15normal_iteratorINS9_10device_ptrIsEEEEPS5_jNS0_19identity_decomposerEEE10hipError_tT1_T2_PT3_SK_jT4_jjP12ihipStream_tbEUlT_E_NS1_11comp_targetILNS1_3genE10ELNS1_11target_archE1201ELNS1_3gpuE5ELNS1_3repE0EEENS1_52radix_sort_onesweep_histogram_config_static_selectorELNS0_4arch9wavefront6targetE1EEEvSI_ ; -- Begin function _ZN7rocprim17ROCPRIM_400000_NS6detail17trampoline_kernelINS0_14default_configENS1_35radix_sort_onesweep_config_selectorIsNS0_10empty_typeEEEZNS1_34radix_sort_onesweep_global_offsetsIS3_Lb0EN6thrust23THRUST_200600_302600_NS6detail15normal_iteratorINS9_10device_ptrIsEEEEPS5_jNS0_19identity_decomposerEEE10hipError_tT1_T2_PT3_SK_jT4_jjP12ihipStream_tbEUlT_E_NS1_11comp_targetILNS1_3genE10ELNS1_11target_archE1201ELNS1_3gpuE5ELNS1_3repE0EEENS1_52radix_sort_onesweep_histogram_config_static_selectorELNS0_4arch9wavefront6targetE1EEEvSI_
	.globl	_ZN7rocprim17ROCPRIM_400000_NS6detail17trampoline_kernelINS0_14default_configENS1_35radix_sort_onesweep_config_selectorIsNS0_10empty_typeEEEZNS1_34radix_sort_onesweep_global_offsetsIS3_Lb0EN6thrust23THRUST_200600_302600_NS6detail15normal_iteratorINS9_10device_ptrIsEEEEPS5_jNS0_19identity_decomposerEEE10hipError_tT1_T2_PT3_SK_jT4_jjP12ihipStream_tbEUlT_E_NS1_11comp_targetILNS1_3genE10ELNS1_11target_archE1201ELNS1_3gpuE5ELNS1_3repE0EEENS1_52radix_sort_onesweep_histogram_config_static_selectorELNS0_4arch9wavefront6targetE1EEEvSI_
	.p2align	8
	.type	_ZN7rocprim17ROCPRIM_400000_NS6detail17trampoline_kernelINS0_14default_configENS1_35radix_sort_onesweep_config_selectorIsNS0_10empty_typeEEEZNS1_34radix_sort_onesweep_global_offsetsIS3_Lb0EN6thrust23THRUST_200600_302600_NS6detail15normal_iteratorINS9_10device_ptrIsEEEEPS5_jNS0_19identity_decomposerEEE10hipError_tT1_T2_PT3_SK_jT4_jjP12ihipStream_tbEUlT_E_NS1_11comp_targetILNS1_3genE10ELNS1_11target_archE1201ELNS1_3gpuE5ELNS1_3repE0EEENS1_52radix_sort_onesweep_histogram_config_static_selectorELNS0_4arch9wavefront6targetE1EEEvSI_,@function
_ZN7rocprim17ROCPRIM_400000_NS6detail17trampoline_kernelINS0_14default_configENS1_35radix_sort_onesweep_config_selectorIsNS0_10empty_typeEEEZNS1_34radix_sort_onesweep_global_offsetsIS3_Lb0EN6thrust23THRUST_200600_302600_NS6detail15normal_iteratorINS9_10device_ptrIsEEEEPS5_jNS0_19identity_decomposerEEE10hipError_tT1_T2_PT3_SK_jT4_jjP12ihipStream_tbEUlT_E_NS1_11comp_targetILNS1_3genE10ELNS1_11target_archE1201ELNS1_3gpuE5ELNS1_3repE0EEENS1_52radix_sort_onesweep_histogram_config_static_selectorELNS0_4arch9wavefront6targetE1EEEvSI_: ; @_ZN7rocprim17ROCPRIM_400000_NS6detail17trampoline_kernelINS0_14default_configENS1_35radix_sort_onesweep_config_selectorIsNS0_10empty_typeEEEZNS1_34radix_sort_onesweep_global_offsetsIS3_Lb0EN6thrust23THRUST_200600_302600_NS6detail15normal_iteratorINS9_10device_ptrIsEEEEPS5_jNS0_19identity_decomposerEEE10hipError_tT1_T2_PT3_SK_jT4_jjP12ihipStream_tbEUlT_E_NS1_11comp_targetILNS1_3genE10ELNS1_11target_archE1201ELNS1_3gpuE5ELNS1_3repE0EEENS1_52radix_sort_onesweep_histogram_config_static_selectorELNS0_4arch9wavefront6targetE1EEEvSI_
; %bb.0:
	.section	.rodata,"a",@progbits
	.p2align	6, 0x0
	.amdhsa_kernel _ZN7rocprim17ROCPRIM_400000_NS6detail17trampoline_kernelINS0_14default_configENS1_35radix_sort_onesweep_config_selectorIsNS0_10empty_typeEEEZNS1_34radix_sort_onesweep_global_offsetsIS3_Lb0EN6thrust23THRUST_200600_302600_NS6detail15normal_iteratorINS9_10device_ptrIsEEEEPS5_jNS0_19identity_decomposerEEE10hipError_tT1_T2_PT3_SK_jT4_jjP12ihipStream_tbEUlT_E_NS1_11comp_targetILNS1_3genE10ELNS1_11target_archE1201ELNS1_3gpuE5ELNS1_3repE0EEENS1_52radix_sort_onesweep_histogram_config_static_selectorELNS0_4arch9wavefront6targetE1EEEvSI_
		.amdhsa_group_segment_fixed_size 0
		.amdhsa_private_segment_fixed_size 0
		.amdhsa_kernarg_size 40
		.amdhsa_user_sgpr_count 6
		.amdhsa_user_sgpr_private_segment_buffer 1
		.amdhsa_user_sgpr_dispatch_ptr 0
		.amdhsa_user_sgpr_queue_ptr 0
		.amdhsa_user_sgpr_kernarg_segment_ptr 1
		.amdhsa_user_sgpr_dispatch_id 0
		.amdhsa_user_sgpr_flat_scratch_init 0
		.amdhsa_user_sgpr_kernarg_preload_length 0
		.amdhsa_user_sgpr_kernarg_preload_offset 0
		.amdhsa_user_sgpr_private_segment_size 0
		.amdhsa_uses_dynamic_stack 0
		.amdhsa_system_sgpr_private_segment_wavefront_offset 0
		.amdhsa_system_sgpr_workgroup_id_x 1
		.amdhsa_system_sgpr_workgroup_id_y 0
		.amdhsa_system_sgpr_workgroup_id_z 0
		.amdhsa_system_sgpr_workgroup_info 0
		.amdhsa_system_vgpr_workitem_id 0
		.amdhsa_next_free_vgpr 1
		.amdhsa_next_free_sgpr 0
		.amdhsa_accum_offset 4
		.amdhsa_reserve_vcc 0
		.amdhsa_reserve_flat_scratch 0
		.amdhsa_float_round_mode_32 0
		.amdhsa_float_round_mode_16_64 0
		.amdhsa_float_denorm_mode_32 3
		.amdhsa_float_denorm_mode_16_64 3
		.amdhsa_dx10_clamp 1
		.amdhsa_ieee_mode 1
		.amdhsa_fp16_overflow 0
		.amdhsa_tg_split 0
		.amdhsa_exception_fp_ieee_invalid_op 0
		.amdhsa_exception_fp_denorm_src 0
		.amdhsa_exception_fp_ieee_div_zero 0
		.amdhsa_exception_fp_ieee_overflow 0
		.amdhsa_exception_fp_ieee_underflow 0
		.amdhsa_exception_fp_ieee_inexact 0
		.amdhsa_exception_int_div_zero 0
	.end_amdhsa_kernel
	.section	.text._ZN7rocprim17ROCPRIM_400000_NS6detail17trampoline_kernelINS0_14default_configENS1_35radix_sort_onesweep_config_selectorIsNS0_10empty_typeEEEZNS1_34radix_sort_onesweep_global_offsetsIS3_Lb0EN6thrust23THRUST_200600_302600_NS6detail15normal_iteratorINS9_10device_ptrIsEEEEPS5_jNS0_19identity_decomposerEEE10hipError_tT1_T2_PT3_SK_jT4_jjP12ihipStream_tbEUlT_E_NS1_11comp_targetILNS1_3genE10ELNS1_11target_archE1201ELNS1_3gpuE5ELNS1_3repE0EEENS1_52radix_sort_onesweep_histogram_config_static_selectorELNS0_4arch9wavefront6targetE1EEEvSI_,"axG",@progbits,_ZN7rocprim17ROCPRIM_400000_NS6detail17trampoline_kernelINS0_14default_configENS1_35radix_sort_onesweep_config_selectorIsNS0_10empty_typeEEEZNS1_34radix_sort_onesweep_global_offsetsIS3_Lb0EN6thrust23THRUST_200600_302600_NS6detail15normal_iteratorINS9_10device_ptrIsEEEEPS5_jNS0_19identity_decomposerEEE10hipError_tT1_T2_PT3_SK_jT4_jjP12ihipStream_tbEUlT_E_NS1_11comp_targetILNS1_3genE10ELNS1_11target_archE1201ELNS1_3gpuE5ELNS1_3repE0EEENS1_52radix_sort_onesweep_histogram_config_static_selectorELNS0_4arch9wavefront6targetE1EEEvSI_,comdat
.Lfunc_end1929:
	.size	_ZN7rocprim17ROCPRIM_400000_NS6detail17trampoline_kernelINS0_14default_configENS1_35radix_sort_onesweep_config_selectorIsNS0_10empty_typeEEEZNS1_34radix_sort_onesweep_global_offsetsIS3_Lb0EN6thrust23THRUST_200600_302600_NS6detail15normal_iteratorINS9_10device_ptrIsEEEEPS5_jNS0_19identity_decomposerEEE10hipError_tT1_T2_PT3_SK_jT4_jjP12ihipStream_tbEUlT_E_NS1_11comp_targetILNS1_3genE10ELNS1_11target_archE1201ELNS1_3gpuE5ELNS1_3repE0EEENS1_52radix_sort_onesweep_histogram_config_static_selectorELNS0_4arch9wavefront6targetE1EEEvSI_, .Lfunc_end1929-_ZN7rocprim17ROCPRIM_400000_NS6detail17trampoline_kernelINS0_14default_configENS1_35radix_sort_onesweep_config_selectorIsNS0_10empty_typeEEEZNS1_34radix_sort_onesweep_global_offsetsIS3_Lb0EN6thrust23THRUST_200600_302600_NS6detail15normal_iteratorINS9_10device_ptrIsEEEEPS5_jNS0_19identity_decomposerEEE10hipError_tT1_T2_PT3_SK_jT4_jjP12ihipStream_tbEUlT_E_NS1_11comp_targetILNS1_3genE10ELNS1_11target_archE1201ELNS1_3gpuE5ELNS1_3repE0EEENS1_52radix_sort_onesweep_histogram_config_static_selectorELNS0_4arch9wavefront6targetE1EEEvSI_
                                        ; -- End function
	.section	.AMDGPU.csdata,"",@progbits
; Kernel info:
; codeLenInByte = 0
; NumSgprs: 4
; NumVgprs: 0
; NumAgprs: 0
; TotalNumVgprs: 0
; ScratchSize: 0
; MemoryBound: 0
; FloatMode: 240
; IeeeMode: 1
; LDSByteSize: 0 bytes/workgroup (compile time only)
; SGPRBlocks: 0
; VGPRBlocks: 0
; NumSGPRsForWavesPerEU: 4
; NumVGPRsForWavesPerEU: 1
; AccumOffset: 4
; Occupancy: 8
; WaveLimiterHint : 0
; COMPUTE_PGM_RSRC2:SCRATCH_EN: 0
; COMPUTE_PGM_RSRC2:USER_SGPR: 6
; COMPUTE_PGM_RSRC2:TRAP_HANDLER: 0
; COMPUTE_PGM_RSRC2:TGID_X_EN: 1
; COMPUTE_PGM_RSRC2:TGID_Y_EN: 0
; COMPUTE_PGM_RSRC2:TGID_Z_EN: 0
; COMPUTE_PGM_RSRC2:TIDIG_COMP_CNT: 0
; COMPUTE_PGM_RSRC3_GFX90A:ACCUM_OFFSET: 0
; COMPUTE_PGM_RSRC3_GFX90A:TG_SPLIT: 0
	.section	.text._ZN7rocprim17ROCPRIM_400000_NS6detail17trampoline_kernelINS0_14default_configENS1_35radix_sort_onesweep_config_selectorIsNS0_10empty_typeEEEZNS1_34radix_sort_onesweep_global_offsetsIS3_Lb0EN6thrust23THRUST_200600_302600_NS6detail15normal_iteratorINS9_10device_ptrIsEEEEPS5_jNS0_19identity_decomposerEEE10hipError_tT1_T2_PT3_SK_jT4_jjP12ihipStream_tbEUlT_E_NS1_11comp_targetILNS1_3genE9ELNS1_11target_archE1100ELNS1_3gpuE3ELNS1_3repE0EEENS1_52radix_sort_onesweep_histogram_config_static_selectorELNS0_4arch9wavefront6targetE1EEEvSI_,"axG",@progbits,_ZN7rocprim17ROCPRIM_400000_NS6detail17trampoline_kernelINS0_14default_configENS1_35radix_sort_onesweep_config_selectorIsNS0_10empty_typeEEEZNS1_34radix_sort_onesweep_global_offsetsIS3_Lb0EN6thrust23THRUST_200600_302600_NS6detail15normal_iteratorINS9_10device_ptrIsEEEEPS5_jNS0_19identity_decomposerEEE10hipError_tT1_T2_PT3_SK_jT4_jjP12ihipStream_tbEUlT_E_NS1_11comp_targetILNS1_3genE9ELNS1_11target_archE1100ELNS1_3gpuE3ELNS1_3repE0EEENS1_52radix_sort_onesweep_histogram_config_static_selectorELNS0_4arch9wavefront6targetE1EEEvSI_,comdat
	.protected	_ZN7rocprim17ROCPRIM_400000_NS6detail17trampoline_kernelINS0_14default_configENS1_35radix_sort_onesweep_config_selectorIsNS0_10empty_typeEEEZNS1_34radix_sort_onesweep_global_offsetsIS3_Lb0EN6thrust23THRUST_200600_302600_NS6detail15normal_iteratorINS9_10device_ptrIsEEEEPS5_jNS0_19identity_decomposerEEE10hipError_tT1_T2_PT3_SK_jT4_jjP12ihipStream_tbEUlT_E_NS1_11comp_targetILNS1_3genE9ELNS1_11target_archE1100ELNS1_3gpuE3ELNS1_3repE0EEENS1_52radix_sort_onesweep_histogram_config_static_selectorELNS0_4arch9wavefront6targetE1EEEvSI_ ; -- Begin function _ZN7rocprim17ROCPRIM_400000_NS6detail17trampoline_kernelINS0_14default_configENS1_35radix_sort_onesweep_config_selectorIsNS0_10empty_typeEEEZNS1_34radix_sort_onesweep_global_offsetsIS3_Lb0EN6thrust23THRUST_200600_302600_NS6detail15normal_iteratorINS9_10device_ptrIsEEEEPS5_jNS0_19identity_decomposerEEE10hipError_tT1_T2_PT3_SK_jT4_jjP12ihipStream_tbEUlT_E_NS1_11comp_targetILNS1_3genE9ELNS1_11target_archE1100ELNS1_3gpuE3ELNS1_3repE0EEENS1_52radix_sort_onesweep_histogram_config_static_selectorELNS0_4arch9wavefront6targetE1EEEvSI_
	.globl	_ZN7rocprim17ROCPRIM_400000_NS6detail17trampoline_kernelINS0_14default_configENS1_35radix_sort_onesweep_config_selectorIsNS0_10empty_typeEEEZNS1_34radix_sort_onesweep_global_offsetsIS3_Lb0EN6thrust23THRUST_200600_302600_NS6detail15normal_iteratorINS9_10device_ptrIsEEEEPS5_jNS0_19identity_decomposerEEE10hipError_tT1_T2_PT3_SK_jT4_jjP12ihipStream_tbEUlT_E_NS1_11comp_targetILNS1_3genE9ELNS1_11target_archE1100ELNS1_3gpuE3ELNS1_3repE0EEENS1_52radix_sort_onesweep_histogram_config_static_selectorELNS0_4arch9wavefront6targetE1EEEvSI_
	.p2align	8
	.type	_ZN7rocprim17ROCPRIM_400000_NS6detail17trampoline_kernelINS0_14default_configENS1_35radix_sort_onesweep_config_selectorIsNS0_10empty_typeEEEZNS1_34radix_sort_onesweep_global_offsetsIS3_Lb0EN6thrust23THRUST_200600_302600_NS6detail15normal_iteratorINS9_10device_ptrIsEEEEPS5_jNS0_19identity_decomposerEEE10hipError_tT1_T2_PT3_SK_jT4_jjP12ihipStream_tbEUlT_E_NS1_11comp_targetILNS1_3genE9ELNS1_11target_archE1100ELNS1_3gpuE3ELNS1_3repE0EEENS1_52radix_sort_onesweep_histogram_config_static_selectorELNS0_4arch9wavefront6targetE1EEEvSI_,@function
_ZN7rocprim17ROCPRIM_400000_NS6detail17trampoline_kernelINS0_14default_configENS1_35radix_sort_onesweep_config_selectorIsNS0_10empty_typeEEEZNS1_34radix_sort_onesweep_global_offsetsIS3_Lb0EN6thrust23THRUST_200600_302600_NS6detail15normal_iteratorINS9_10device_ptrIsEEEEPS5_jNS0_19identity_decomposerEEE10hipError_tT1_T2_PT3_SK_jT4_jjP12ihipStream_tbEUlT_E_NS1_11comp_targetILNS1_3genE9ELNS1_11target_archE1100ELNS1_3gpuE3ELNS1_3repE0EEENS1_52radix_sort_onesweep_histogram_config_static_selectorELNS0_4arch9wavefront6targetE1EEEvSI_: ; @_ZN7rocprim17ROCPRIM_400000_NS6detail17trampoline_kernelINS0_14default_configENS1_35radix_sort_onesweep_config_selectorIsNS0_10empty_typeEEEZNS1_34radix_sort_onesweep_global_offsetsIS3_Lb0EN6thrust23THRUST_200600_302600_NS6detail15normal_iteratorINS9_10device_ptrIsEEEEPS5_jNS0_19identity_decomposerEEE10hipError_tT1_T2_PT3_SK_jT4_jjP12ihipStream_tbEUlT_E_NS1_11comp_targetILNS1_3genE9ELNS1_11target_archE1100ELNS1_3gpuE3ELNS1_3repE0EEENS1_52radix_sort_onesweep_histogram_config_static_selectorELNS0_4arch9wavefront6targetE1EEEvSI_
; %bb.0:
	.section	.rodata,"a",@progbits
	.p2align	6, 0x0
	.amdhsa_kernel _ZN7rocprim17ROCPRIM_400000_NS6detail17trampoline_kernelINS0_14default_configENS1_35radix_sort_onesweep_config_selectorIsNS0_10empty_typeEEEZNS1_34radix_sort_onesweep_global_offsetsIS3_Lb0EN6thrust23THRUST_200600_302600_NS6detail15normal_iteratorINS9_10device_ptrIsEEEEPS5_jNS0_19identity_decomposerEEE10hipError_tT1_T2_PT3_SK_jT4_jjP12ihipStream_tbEUlT_E_NS1_11comp_targetILNS1_3genE9ELNS1_11target_archE1100ELNS1_3gpuE3ELNS1_3repE0EEENS1_52radix_sort_onesweep_histogram_config_static_selectorELNS0_4arch9wavefront6targetE1EEEvSI_
		.amdhsa_group_segment_fixed_size 0
		.amdhsa_private_segment_fixed_size 0
		.amdhsa_kernarg_size 40
		.amdhsa_user_sgpr_count 6
		.amdhsa_user_sgpr_private_segment_buffer 1
		.amdhsa_user_sgpr_dispatch_ptr 0
		.amdhsa_user_sgpr_queue_ptr 0
		.amdhsa_user_sgpr_kernarg_segment_ptr 1
		.amdhsa_user_sgpr_dispatch_id 0
		.amdhsa_user_sgpr_flat_scratch_init 0
		.amdhsa_user_sgpr_kernarg_preload_length 0
		.amdhsa_user_sgpr_kernarg_preload_offset 0
		.amdhsa_user_sgpr_private_segment_size 0
		.amdhsa_uses_dynamic_stack 0
		.amdhsa_system_sgpr_private_segment_wavefront_offset 0
		.amdhsa_system_sgpr_workgroup_id_x 1
		.amdhsa_system_sgpr_workgroup_id_y 0
		.amdhsa_system_sgpr_workgroup_id_z 0
		.amdhsa_system_sgpr_workgroup_info 0
		.amdhsa_system_vgpr_workitem_id 0
		.amdhsa_next_free_vgpr 1
		.amdhsa_next_free_sgpr 0
		.amdhsa_accum_offset 4
		.amdhsa_reserve_vcc 0
		.amdhsa_reserve_flat_scratch 0
		.amdhsa_float_round_mode_32 0
		.amdhsa_float_round_mode_16_64 0
		.amdhsa_float_denorm_mode_32 3
		.amdhsa_float_denorm_mode_16_64 3
		.amdhsa_dx10_clamp 1
		.amdhsa_ieee_mode 1
		.amdhsa_fp16_overflow 0
		.amdhsa_tg_split 0
		.amdhsa_exception_fp_ieee_invalid_op 0
		.amdhsa_exception_fp_denorm_src 0
		.amdhsa_exception_fp_ieee_div_zero 0
		.amdhsa_exception_fp_ieee_overflow 0
		.amdhsa_exception_fp_ieee_underflow 0
		.amdhsa_exception_fp_ieee_inexact 0
		.amdhsa_exception_int_div_zero 0
	.end_amdhsa_kernel
	.section	.text._ZN7rocprim17ROCPRIM_400000_NS6detail17trampoline_kernelINS0_14default_configENS1_35radix_sort_onesweep_config_selectorIsNS0_10empty_typeEEEZNS1_34radix_sort_onesweep_global_offsetsIS3_Lb0EN6thrust23THRUST_200600_302600_NS6detail15normal_iteratorINS9_10device_ptrIsEEEEPS5_jNS0_19identity_decomposerEEE10hipError_tT1_T2_PT3_SK_jT4_jjP12ihipStream_tbEUlT_E_NS1_11comp_targetILNS1_3genE9ELNS1_11target_archE1100ELNS1_3gpuE3ELNS1_3repE0EEENS1_52radix_sort_onesweep_histogram_config_static_selectorELNS0_4arch9wavefront6targetE1EEEvSI_,"axG",@progbits,_ZN7rocprim17ROCPRIM_400000_NS6detail17trampoline_kernelINS0_14default_configENS1_35radix_sort_onesweep_config_selectorIsNS0_10empty_typeEEEZNS1_34radix_sort_onesweep_global_offsetsIS3_Lb0EN6thrust23THRUST_200600_302600_NS6detail15normal_iteratorINS9_10device_ptrIsEEEEPS5_jNS0_19identity_decomposerEEE10hipError_tT1_T2_PT3_SK_jT4_jjP12ihipStream_tbEUlT_E_NS1_11comp_targetILNS1_3genE9ELNS1_11target_archE1100ELNS1_3gpuE3ELNS1_3repE0EEENS1_52radix_sort_onesweep_histogram_config_static_selectorELNS0_4arch9wavefront6targetE1EEEvSI_,comdat
.Lfunc_end1930:
	.size	_ZN7rocprim17ROCPRIM_400000_NS6detail17trampoline_kernelINS0_14default_configENS1_35radix_sort_onesweep_config_selectorIsNS0_10empty_typeEEEZNS1_34radix_sort_onesweep_global_offsetsIS3_Lb0EN6thrust23THRUST_200600_302600_NS6detail15normal_iteratorINS9_10device_ptrIsEEEEPS5_jNS0_19identity_decomposerEEE10hipError_tT1_T2_PT3_SK_jT4_jjP12ihipStream_tbEUlT_E_NS1_11comp_targetILNS1_3genE9ELNS1_11target_archE1100ELNS1_3gpuE3ELNS1_3repE0EEENS1_52radix_sort_onesweep_histogram_config_static_selectorELNS0_4arch9wavefront6targetE1EEEvSI_, .Lfunc_end1930-_ZN7rocprim17ROCPRIM_400000_NS6detail17trampoline_kernelINS0_14default_configENS1_35radix_sort_onesweep_config_selectorIsNS0_10empty_typeEEEZNS1_34radix_sort_onesweep_global_offsetsIS3_Lb0EN6thrust23THRUST_200600_302600_NS6detail15normal_iteratorINS9_10device_ptrIsEEEEPS5_jNS0_19identity_decomposerEEE10hipError_tT1_T2_PT3_SK_jT4_jjP12ihipStream_tbEUlT_E_NS1_11comp_targetILNS1_3genE9ELNS1_11target_archE1100ELNS1_3gpuE3ELNS1_3repE0EEENS1_52radix_sort_onesweep_histogram_config_static_selectorELNS0_4arch9wavefront6targetE1EEEvSI_
                                        ; -- End function
	.section	.AMDGPU.csdata,"",@progbits
; Kernel info:
; codeLenInByte = 0
; NumSgprs: 4
; NumVgprs: 0
; NumAgprs: 0
; TotalNumVgprs: 0
; ScratchSize: 0
; MemoryBound: 0
; FloatMode: 240
; IeeeMode: 1
; LDSByteSize: 0 bytes/workgroup (compile time only)
; SGPRBlocks: 0
; VGPRBlocks: 0
; NumSGPRsForWavesPerEU: 4
; NumVGPRsForWavesPerEU: 1
; AccumOffset: 4
; Occupancy: 8
; WaveLimiterHint : 0
; COMPUTE_PGM_RSRC2:SCRATCH_EN: 0
; COMPUTE_PGM_RSRC2:USER_SGPR: 6
; COMPUTE_PGM_RSRC2:TRAP_HANDLER: 0
; COMPUTE_PGM_RSRC2:TGID_X_EN: 1
; COMPUTE_PGM_RSRC2:TGID_Y_EN: 0
; COMPUTE_PGM_RSRC2:TGID_Z_EN: 0
; COMPUTE_PGM_RSRC2:TIDIG_COMP_CNT: 0
; COMPUTE_PGM_RSRC3_GFX90A:ACCUM_OFFSET: 0
; COMPUTE_PGM_RSRC3_GFX90A:TG_SPLIT: 0
	.section	.text._ZN7rocprim17ROCPRIM_400000_NS6detail17trampoline_kernelINS0_14default_configENS1_35radix_sort_onesweep_config_selectorIsNS0_10empty_typeEEEZNS1_34radix_sort_onesweep_global_offsetsIS3_Lb0EN6thrust23THRUST_200600_302600_NS6detail15normal_iteratorINS9_10device_ptrIsEEEEPS5_jNS0_19identity_decomposerEEE10hipError_tT1_T2_PT3_SK_jT4_jjP12ihipStream_tbEUlT_E_NS1_11comp_targetILNS1_3genE8ELNS1_11target_archE1030ELNS1_3gpuE2ELNS1_3repE0EEENS1_52radix_sort_onesweep_histogram_config_static_selectorELNS0_4arch9wavefront6targetE1EEEvSI_,"axG",@progbits,_ZN7rocprim17ROCPRIM_400000_NS6detail17trampoline_kernelINS0_14default_configENS1_35radix_sort_onesweep_config_selectorIsNS0_10empty_typeEEEZNS1_34radix_sort_onesweep_global_offsetsIS3_Lb0EN6thrust23THRUST_200600_302600_NS6detail15normal_iteratorINS9_10device_ptrIsEEEEPS5_jNS0_19identity_decomposerEEE10hipError_tT1_T2_PT3_SK_jT4_jjP12ihipStream_tbEUlT_E_NS1_11comp_targetILNS1_3genE8ELNS1_11target_archE1030ELNS1_3gpuE2ELNS1_3repE0EEENS1_52radix_sort_onesweep_histogram_config_static_selectorELNS0_4arch9wavefront6targetE1EEEvSI_,comdat
	.protected	_ZN7rocprim17ROCPRIM_400000_NS6detail17trampoline_kernelINS0_14default_configENS1_35radix_sort_onesweep_config_selectorIsNS0_10empty_typeEEEZNS1_34radix_sort_onesweep_global_offsetsIS3_Lb0EN6thrust23THRUST_200600_302600_NS6detail15normal_iteratorINS9_10device_ptrIsEEEEPS5_jNS0_19identity_decomposerEEE10hipError_tT1_T2_PT3_SK_jT4_jjP12ihipStream_tbEUlT_E_NS1_11comp_targetILNS1_3genE8ELNS1_11target_archE1030ELNS1_3gpuE2ELNS1_3repE0EEENS1_52radix_sort_onesweep_histogram_config_static_selectorELNS0_4arch9wavefront6targetE1EEEvSI_ ; -- Begin function _ZN7rocprim17ROCPRIM_400000_NS6detail17trampoline_kernelINS0_14default_configENS1_35radix_sort_onesweep_config_selectorIsNS0_10empty_typeEEEZNS1_34radix_sort_onesweep_global_offsetsIS3_Lb0EN6thrust23THRUST_200600_302600_NS6detail15normal_iteratorINS9_10device_ptrIsEEEEPS5_jNS0_19identity_decomposerEEE10hipError_tT1_T2_PT3_SK_jT4_jjP12ihipStream_tbEUlT_E_NS1_11comp_targetILNS1_3genE8ELNS1_11target_archE1030ELNS1_3gpuE2ELNS1_3repE0EEENS1_52radix_sort_onesweep_histogram_config_static_selectorELNS0_4arch9wavefront6targetE1EEEvSI_
	.globl	_ZN7rocprim17ROCPRIM_400000_NS6detail17trampoline_kernelINS0_14default_configENS1_35radix_sort_onesweep_config_selectorIsNS0_10empty_typeEEEZNS1_34radix_sort_onesweep_global_offsetsIS3_Lb0EN6thrust23THRUST_200600_302600_NS6detail15normal_iteratorINS9_10device_ptrIsEEEEPS5_jNS0_19identity_decomposerEEE10hipError_tT1_T2_PT3_SK_jT4_jjP12ihipStream_tbEUlT_E_NS1_11comp_targetILNS1_3genE8ELNS1_11target_archE1030ELNS1_3gpuE2ELNS1_3repE0EEENS1_52radix_sort_onesweep_histogram_config_static_selectorELNS0_4arch9wavefront6targetE1EEEvSI_
	.p2align	8
	.type	_ZN7rocprim17ROCPRIM_400000_NS6detail17trampoline_kernelINS0_14default_configENS1_35radix_sort_onesweep_config_selectorIsNS0_10empty_typeEEEZNS1_34radix_sort_onesweep_global_offsetsIS3_Lb0EN6thrust23THRUST_200600_302600_NS6detail15normal_iteratorINS9_10device_ptrIsEEEEPS5_jNS0_19identity_decomposerEEE10hipError_tT1_T2_PT3_SK_jT4_jjP12ihipStream_tbEUlT_E_NS1_11comp_targetILNS1_3genE8ELNS1_11target_archE1030ELNS1_3gpuE2ELNS1_3repE0EEENS1_52radix_sort_onesweep_histogram_config_static_selectorELNS0_4arch9wavefront6targetE1EEEvSI_,@function
_ZN7rocprim17ROCPRIM_400000_NS6detail17trampoline_kernelINS0_14default_configENS1_35radix_sort_onesweep_config_selectorIsNS0_10empty_typeEEEZNS1_34radix_sort_onesweep_global_offsetsIS3_Lb0EN6thrust23THRUST_200600_302600_NS6detail15normal_iteratorINS9_10device_ptrIsEEEEPS5_jNS0_19identity_decomposerEEE10hipError_tT1_T2_PT3_SK_jT4_jjP12ihipStream_tbEUlT_E_NS1_11comp_targetILNS1_3genE8ELNS1_11target_archE1030ELNS1_3gpuE2ELNS1_3repE0EEENS1_52radix_sort_onesweep_histogram_config_static_selectorELNS0_4arch9wavefront6targetE1EEEvSI_: ; @_ZN7rocprim17ROCPRIM_400000_NS6detail17trampoline_kernelINS0_14default_configENS1_35radix_sort_onesweep_config_selectorIsNS0_10empty_typeEEEZNS1_34radix_sort_onesweep_global_offsetsIS3_Lb0EN6thrust23THRUST_200600_302600_NS6detail15normal_iteratorINS9_10device_ptrIsEEEEPS5_jNS0_19identity_decomposerEEE10hipError_tT1_T2_PT3_SK_jT4_jjP12ihipStream_tbEUlT_E_NS1_11comp_targetILNS1_3genE8ELNS1_11target_archE1030ELNS1_3gpuE2ELNS1_3repE0EEENS1_52radix_sort_onesweep_histogram_config_static_selectorELNS0_4arch9wavefront6targetE1EEEvSI_
; %bb.0:
	.section	.rodata,"a",@progbits
	.p2align	6, 0x0
	.amdhsa_kernel _ZN7rocprim17ROCPRIM_400000_NS6detail17trampoline_kernelINS0_14default_configENS1_35radix_sort_onesweep_config_selectorIsNS0_10empty_typeEEEZNS1_34radix_sort_onesweep_global_offsetsIS3_Lb0EN6thrust23THRUST_200600_302600_NS6detail15normal_iteratorINS9_10device_ptrIsEEEEPS5_jNS0_19identity_decomposerEEE10hipError_tT1_T2_PT3_SK_jT4_jjP12ihipStream_tbEUlT_E_NS1_11comp_targetILNS1_3genE8ELNS1_11target_archE1030ELNS1_3gpuE2ELNS1_3repE0EEENS1_52radix_sort_onesweep_histogram_config_static_selectorELNS0_4arch9wavefront6targetE1EEEvSI_
		.amdhsa_group_segment_fixed_size 0
		.amdhsa_private_segment_fixed_size 0
		.amdhsa_kernarg_size 40
		.amdhsa_user_sgpr_count 6
		.amdhsa_user_sgpr_private_segment_buffer 1
		.amdhsa_user_sgpr_dispatch_ptr 0
		.amdhsa_user_sgpr_queue_ptr 0
		.amdhsa_user_sgpr_kernarg_segment_ptr 1
		.amdhsa_user_sgpr_dispatch_id 0
		.amdhsa_user_sgpr_flat_scratch_init 0
		.amdhsa_user_sgpr_kernarg_preload_length 0
		.amdhsa_user_sgpr_kernarg_preload_offset 0
		.amdhsa_user_sgpr_private_segment_size 0
		.amdhsa_uses_dynamic_stack 0
		.amdhsa_system_sgpr_private_segment_wavefront_offset 0
		.amdhsa_system_sgpr_workgroup_id_x 1
		.amdhsa_system_sgpr_workgroup_id_y 0
		.amdhsa_system_sgpr_workgroup_id_z 0
		.amdhsa_system_sgpr_workgroup_info 0
		.amdhsa_system_vgpr_workitem_id 0
		.amdhsa_next_free_vgpr 1
		.amdhsa_next_free_sgpr 0
		.amdhsa_accum_offset 4
		.amdhsa_reserve_vcc 0
		.amdhsa_reserve_flat_scratch 0
		.amdhsa_float_round_mode_32 0
		.amdhsa_float_round_mode_16_64 0
		.amdhsa_float_denorm_mode_32 3
		.amdhsa_float_denorm_mode_16_64 3
		.amdhsa_dx10_clamp 1
		.amdhsa_ieee_mode 1
		.amdhsa_fp16_overflow 0
		.amdhsa_tg_split 0
		.amdhsa_exception_fp_ieee_invalid_op 0
		.amdhsa_exception_fp_denorm_src 0
		.amdhsa_exception_fp_ieee_div_zero 0
		.amdhsa_exception_fp_ieee_overflow 0
		.amdhsa_exception_fp_ieee_underflow 0
		.amdhsa_exception_fp_ieee_inexact 0
		.amdhsa_exception_int_div_zero 0
	.end_amdhsa_kernel
	.section	.text._ZN7rocprim17ROCPRIM_400000_NS6detail17trampoline_kernelINS0_14default_configENS1_35radix_sort_onesweep_config_selectorIsNS0_10empty_typeEEEZNS1_34radix_sort_onesweep_global_offsetsIS3_Lb0EN6thrust23THRUST_200600_302600_NS6detail15normal_iteratorINS9_10device_ptrIsEEEEPS5_jNS0_19identity_decomposerEEE10hipError_tT1_T2_PT3_SK_jT4_jjP12ihipStream_tbEUlT_E_NS1_11comp_targetILNS1_3genE8ELNS1_11target_archE1030ELNS1_3gpuE2ELNS1_3repE0EEENS1_52radix_sort_onesweep_histogram_config_static_selectorELNS0_4arch9wavefront6targetE1EEEvSI_,"axG",@progbits,_ZN7rocprim17ROCPRIM_400000_NS6detail17trampoline_kernelINS0_14default_configENS1_35radix_sort_onesweep_config_selectorIsNS0_10empty_typeEEEZNS1_34radix_sort_onesweep_global_offsetsIS3_Lb0EN6thrust23THRUST_200600_302600_NS6detail15normal_iteratorINS9_10device_ptrIsEEEEPS5_jNS0_19identity_decomposerEEE10hipError_tT1_T2_PT3_SK_jT4_jjP12ihipStream_tbEUlT_E_NS1_11comp_targetILNS1_3genE8ELNS1_11target_archE1030ELNS1_3gpuE2ELNS1_3repE0EEENS1_52radix_sort_onesweep_histogram_config_static_selectorELNS0_4arch9wavefront6targetE1EEEvSI_,comdat
.Lfunc_end1931:
	.size	_ZN7rocprim17ROCPRIM_400000_NS6detail17trampoline_kernelINS0_14default_configENS1_35radix_sort_onesweep_config_selectorIsNS0_10empty_typeEEEZNS1_34radix_sort_onesweep_global_offsetsIS3_Lb0EN6thrust23THRUST_200600_302600_NS6detail15normal_iteratorINS9_10device_ptrIsEEEEPS5_jNS0_19identity_decomposerEEE10hipError_tT1_T2_PT3_SK_jT4_jjP12ihipStream_tbEUlT_E_NS1_11comp_targetILNS1_3genE8ELNS1_11target_archE1030ELNS1_3gpuE2ELNS1_3repE0EEENS1_52radix_sort_onesweep_histogram_config_static_selectorELNS0_4arch9wavefront6targetE1EEEvSI_, .Lfunc_end1931-_ZN7rocprim17ROCPRIM_400000_NS6detail17trampoline_kernelINS0_14default_configENS1_35radix_sort_onesweep_config_selectorIsNS0_10empty_typeEEEZNS1_34radix_sort_onesweep_global_offsetsIS3_Lb0EN6thrust23THRUST_200600_302600_NS6detail15normal_iteratorINS9_10device_ptrIsEEEEPS5_jNS0_19identity_decomposerEEE10hipError_tT1_T2_PT3_SK_jT4_jjP12ihipStream_tbEUlT_E_NS1_11comp_targetILNS1_3genE8ELNS1_11target_archE1030ELNS1_3gpuE2ELNS1_3repE0EEENS1_52radix_sort_onesweep_histogram_config_static_selectorELNS0_4arch9wavefront6targetE1EEEvSI_
                                        ; -- End function
	.section	.AMDGPU.csdata,"",@progbits
; Kernel info:
; codeLenInByte = 0
; NumSgprs: 4
; NumVgprs: 0
; NumAgprs: 0
; TotalNumVgprs: 0
; ScratchSize: 0
; MemoryBound: 0
; FloatMode: 240
; IeeeMode: 1
; LDSByteSize: 0 bytes/workgroup (compile time only)
; SGPRBlocks: 0
; VGPRBlocks: 0
; NumSGPRsForWavesPerEU: 4
; NumVGPRsForWavesPerEU: 1
; AccumOffset: 4
; Occupancy: 8
; WaveLimiterHint : 0
; COMPUTE_PGM_RSRC2:SCRATCH_EN: 0
; COMPUTE_PGM_RSRC2:USER_SGPR: 6
; COMPUTE_PGM_RSRC2:TRAP_HANDLER: 0
; COMPUTE_PGM_RSRC2:TGID_X_EN: 1
; COMPUTE_PGM_RSRC2:TGID_Y_EN: 0
; COMPUTE_PGM_RSRC2:TGID_Z_EN: 0
; COMPUTE_PGM_RSRC2:TIDIG_COMP_CNT: 0
; COMPUTE_PGM_RSRC3_GFX90A:ACCUM_OFFSET: 0
; COMPUTE_PGM_RSRC3_GFX90A:TG_SPLIT: 0
	.section	.text._ZN7rocprim17ROCPRIM_400000_NS6detail17trampoline_kernelINS0_14default_configENS1_35radix_sort_onesweep_config_selectorIsNS0_10empty_typeEEEZNS1_34radix_sort_onesweep_global_offsetsIS3_Lb0EN6thrust23THRUST_200600_302600_NS6detail15normal_iteratorINS9_10device_ptrIsEEEEPS5_jNS0_19identity_decomposerEEE10hipError_tT1_T2_PT3_SK_jT4_jjP12ihipStream_tbEUlT_E0_NS1_11comp_targetILNS1_3genE0ELNS1_11target_archE4294967295ELNS1_3gpuE0ELNS1_3repE0EEENS1_52radix_sort_onesweep_histogram_config_static_selectorELNS0_4arch9wavefront6targetE1EEEvSI_,"axG",@progbits,_ZN7rocprim17ROCPRIM_400000_NS6detail17trampoline_kernelINS0_14default_configENS1_35radix_sort_onesweep_config_selectorIsNS0_10empty_typeEEEZNS1_34radix_sort_onesweep_global_offsetsIS3_Lb0EN6thrust23THRUST_200600_302600_NS6detail15normal_iteratorINS9_10device_ptrIsEEEEPS5_jNS0_19identity_decomposerEEE10hipError_tT1_T2_PT3_SK_jT4_jjP12ihipStream_tbEUlT_E0_NS1_11comp_targetILNS1_3genE0ELNS1_11target_archE4294967295ELNS1_3gpuE0ELNS1_3repE0EEENS1_52radix_sort_onesweep_histogram_config_static_selectorELNS0_4arch9wavefront6targetE1EEEvSI_,comdat
	.protected	_ZN7rocprim17ROCPRIM_400000_NS6detail17trampoline_kernelINS0_14default_configENS1_35radix_sort_onesweep_config_selectorIsNS0_10empty_typeEEEZNS1_34radix_sort_onesweep_global_offsetsIS3_Lb0EN6thrust23THRUST_200600_302600_NS6detail15normal_iteratorINS9_10device_ptrIsEEEEPS5_jNS0_19identity_decomposerEEE10hipError_tT1_T2_PT3_SK_jT4_jjP12ihipStream_tbEUlT_E0_NS1_11comp_targetILNS1_3genE0ELNS1_11target_archE4294967295ELNS1_3gpuE0ELNS1_3repE0EEENS1_52radix_sort_onesweep_histogram_config_static_selectorELNS0_4arch9wavefront6targetE1EEEvSI_ ; -- Begin function _ZN7rocprim17ROCPRIM_400000_NS6detail17trampoline_kernelINS0_14default_configENS1_35radix_sort_onesweep_config_selectorIsNS0_10empty_typeEEEZNS1_34radix_sort_onesweep_global_offsetsIS3_Lb0EN6thrust23THRUST_200600_302600_NS6detail15normal_iteratorINS9_10device_ptrIsEEEEPS5_jNS0_19identity_decomposerEEE10hipError_tT1_T2_PT3_SK_jT4_jjP12ihipStream_tbEUlT_E0_NS1_11comp_targetILNS1_3genE0ELNS1_11target_archE4294967295ELNS1_3gpuE0ELNS1_3repE0EEENS1_52radix_sort_onesweep_histogram_config_static_selectorELNS0_4arch9wavefront6targetE1EEEvSI_
	.globl	_ZN7rocprim17ROCPRIM_400000_NS6detail17trampoline_kernelINS0_14default_configENS1_35radix_sort_onesweep_config_selectorIsNS0_10empty_typeEEEZNS1_34radix_sort_onesweep_global_offsetsIS3_Lb0EN6thrust23THRUST_200600_302600_NS6detail15normal_iteratorINS9_10device_ptrIsEEEEPS5_jNS0_19identity_decomposerEEE10hipError_tT1_T2_PT3_SK_jT4_jjP12ihipStream_tbEUlT_E0_NS1_11comp_targetILNS1_3genE0ELNS1_11target_archE4294967295ELNS1_3gpuE0ELNS1_3repE0EEENS1_52radix_sort_onesweep_histogram_config_static_selectorELNS0_4arch9wavefront6targetE1EEEvSI_
	.p2align	8
	.type	_ZN7rocprim17ROCPRIM_400000_NS6detail17trampoline_kernelINS0_14default_configENS1_35radix_sort_onesweep_config_selectorIsNS0_10empty_typeEEEZNS1_34radix_sort_onesweep_global_offsetsIS3_Lb0EN6thrust23THRUST_200600_302600_NS6detail15normal_iteratorINS9_10device_ptrIsEEEEPS5_jNS0_19identity_decomposerEEE10hipError_tT1_T2_PT3_SK_jT4_jjP12ihipStream_tbEUlT_E0_NS1_11comp_targetILNS1_3genE0ELNS1_11target_archE4294967295ELNS1_3gpuE0ELNS1_3repE0EEENS1_52radix_sort_onesweep_histogram_config_static_selectorELNS0_4arch9wavefront6targetE1EEEvSI_,@function
_ZN7rocprim17ROCPRIM_400000_NS6detail17trampoline_kernelINS0_14default_configENS1_35radix_sort_onesweep_config_selectorIsNS0_10empty_typeEEEZNS1_34radix_sort_onesweep_global_offsetsIS3_Lb0EN6thrust23THRUST_200600_302600_NS6detail15normal_iteratorINS9_10device_ptrIsEEEEPS5_jNS0_19identity_decomposerEEE10hipError_tT1_T2_PT3_SK_jT4_jjP12ihipStream_tbEUlT_E0_NS1_11comp_targetILNS1_3genE0ELNS1_11target_archE4294967295ELNS1_3gpuE0ELNS1_3repE0EEENS1_52radix_sort_onesweep_histogram_config_static_selectorELNS0_4arch9wavefront6targetE1EEEvSI_: ; @_ZN7rocprim17ROCPRIM_400000_NS6detail17trampoline_kernelINS0_14default_configENS1_35radix_sort_onesweep_config_selectorIsNS0_10empty_typeEEEZNS1_34radix_sort_onesweep_global_offsetsIS3_Lb0EN6thrust23THRUST_200600_302600_NS6detail15normal_iteratorINS9_10device_ptrIsEEEEPS5_jNS0_19identity_decomposerEEE10hipError_tT1_T2_PT3_SK_jT4_jjP12ihipStream_tbEUlT_E0_NS1_11comp_targetILNS1_3genE0ELNS1_11target_archE4294967295ELNS1_3gpuE0ELNS1_3repE0EEENS1_52radix_sort_onesweep_histogram_config_static_selectorELNS0_4arch9wavefront6targetE1EEEvSI_
; %bb.0:
	.section	.rodata,"a",@progbits
	.p2align	6, 0x0
	.amdhsa_kernel _ZN7rocprim17ROCPRIM_400000_NS6detail17trampoline_kernelINS0_14default_configENS1_35radix_sort_onesweep_config_selectorIsNS0_10empty_typeEEEZNS1_34radix_sort_onesweep_global_offsetsIS3_Lb0EN6thrust23THRUST_200600_302600_NS6detail15normal_iteratorINS9_10device_ptrIsEEEEPS5_jNS0_19identity_decomposerEEE10hipError_tT1_T2_PT3_SK_jT4_jjP12ihipStream_tbEUlT_E0_NS1_11comp_targetILNS1_3genE0ELNS1_11target_archE4294967295ELNS1_3gpuE0ELNS1_3repE0EEENS1_52radix_sort_onesweep_histogram_config_static_selectorELNS0_4arch9wavefront6targetE1EEEvSI_
		.amdhsa_group_segment_fixed_size 0
		.amdhsa_private_segment_fixed_size 0
		.amdhsa_kernarg_size 8
		.amdhsa_user_sgpr_count 6
		.amdhsa_user_sgpr_private_segment_buffer 1
		.amdhsa_user_sgpr_dispatch_ptr 0
		.amdhsa_user_sgpr_queue_ptr 0
		.amdhsa_user_sgpr_kernarg_segment_ptr 1
		.amdhsa_user_sgpr_dispatch_id 0
		.amdhsa_user_sgpr_flat_scratch_init 0
		.amdhsa_user_sgpr_kernarg_preload_length 0
		.amdhsa_user_sgpr_kernarg_preload_offset 0
		.amdhsa_user_sgpr_private_segment_size 0
		.amdhsa_uses_dynamic_stack 0
		.amdhsa_system_sgpr_private_segment_wavefront_offset 0
		.amdhsa_system_sgpr_workgroup_id_x 1
		.amdhsa_system_sgpr_workgroup_id_y 0
		.amdhsa_system_sgpr_workgroup_id_z 0
		.amdhsa_system_sgpr_workgroup_info 0
		.amdhsa_system_vgpr_workitem_id 0
		.amdhsa_next_free_vgpr 1
		.amdhsa_next_free_sgpr 0
		.amdhsa_accum_offset 4
		.amdhsa_reserve_vcc 0
		.amdhsa_reserve_flat_scratch 0
		.amdhsa_float_round_mode_32 0
		.amdhsa_float_round_mode_16_64 0
		.amdhsa_float_denorm_mode_32 3
		.amdhsa_float_denorm_mode_16_64 3
		.amdhsa_dx10_clamp 1
		.amdhsa_ieee_mode 1
		.amdhsa_fp16_overflow 0
		.amdhsa_tg_split 0
		.amdhsa_exception_fp_ieee_invalid_op 0
		.amdhsa_exception_fp_denorm_src 0
		.amdhsa_exception_fp_ieee_div_zero 0
		.amdhsa_exception_fp_ieee_overflow 0
		.amdhsa_exception_fp_ieee_underflow 0
		.amdhsa_exception_fp_ieee_inexact 0
		.amdhsa_exception_int_div_zero 0
	.end_amdhsa_kernel
	.section	.text._ZN7rocprim17ROCPRIM_400000_NS6detail17trampoline_kernelINS0_14default_configENS1_35radix_sort_onesweep_config_selectorIsNS0_10empty_typeEEEZNS1_34radix_sort_onesweep_global_offsetsIS3_Lb0EN6thrust23THRUST_200600_302600_NS6detail15normal_iteratorINS9_10device_ptrIsEEEEPS5_jNS0_19identity_decomposerEEE10hipError_tT1_T2_PT3_SK_jT4_jjP12ihipStream_tbEUlT_E0_NS1_11comp_targetILNS1_3genE0ELNS1_11target_archE4294967295ELNS1_3gpuE0ELNS1_3repE0EEENS1_52radix_sort_onesweep_histogram_config_static_selectorELNS0_4arch9wavefront6targetE1EEEvSI_,"axG",@progbits,_ZN7rocprim17ROCPRIM_400000_NS6detail17trampoline_kernelINS0_14default_configENS1_35radix_sort_onesweep_config_selectorIsNS0_10empty_typeEEEZNS1_34radix_sort_onesweep_global_offsetsIS3_Lb0EN6thrust23THRUST_200600_302600_NS6detail15normal_iteratorINS9_10device_ptrIsEEEEPS5_jNS0_19identity_decomposerEEE10hipError_tT1_T2_PT3_SK_jT4_jjP12ihipStream_tbEUlT_E0_NS1_11comp_targetILNS1_3genE0ELNS1_11target_archE4294967295ELNS1_3gpuE0ELNS1_3repE0EEENS1_52radix_sort_onesweep_histogram_config_static_selectorELNS0_4arch9wavefront6targetE1EEEvSI_,comdat
.Lfunc_end1932:
	.size	_ZN7rocprim17ROCPRIM_400000_NS6detail17trampoline_kernelINS0_14default_configENS1_35radix_sort_onesweep_config_selectorIsNS0_10empty_typeEEEZNS1_34radix_sort_onesweep_global_offsetsIS3_Lb0EN6thrust23THRUST_200600_302600_NS6detail15normal_iteratorINS9_10device_ptrIsEEEEPS5_jNS0_19identity_decomposerEEE10hipError_tT1_T2_PT3_SK_jT4_jjP12ihipStream_tbEUlT_E0_NS1_11comp_targetILNS1_3genE0ELNS1_11target_archE4294967295ELNS1_3gpuE0ELNS1_3repE0EEENS1_52radix_sort_onesweep_histogram_config_static_selectorELNS0_4arch9wavefront6targetE1EEEvSI_, .Lfunc_end1932-_ZN7rocprim17ROCPRIM_400000_NS6detail17trampoline_kernelINS0_14default_configENS1_35radix_sort_onesweep_config_selectorIsNS0_10empty_typeEEEZNS1_34radix_sort_onesweep_global_offsetsIS3_Lb0EN6thrust23THRUST_200600_302600_NS6detail15normal_iteratorINS9_10device_ptrIsEEEEPS5_jNS0_19identity_decomposerEEE10hipError_tT1_T2_PT3_SK_jT4_jjP12ihipStream_tbEUlT_E0_NS1_11comp_targetILNS1_3genE0ELNS1_11target_archE4294967295ELNS1_3gpuE0ELNS1_3repE0EEENS1_52radix_sort_onesweep_histogram_config_static_selectorELNS0_4arch9wavefront6targetE1EEEvSI_
                                        ; -- End function
	.section	.AMDGPU.csdata,"",@progbits
; Kernel info:
; codeLenInByte = 0
; NumSgprs: 4
; NumVgprs: 0
; NumAgprs: 0
; TotalNumVgprs: 0
; ScratchSize: 0
; MemoryBound: 0
; FloatMode: 240
; IeeeMode: 1
; LDSByteSize: 0 bytes/workgroup (compile time only)
; SGPRBlocks: 0
; VGPRBlocks: 0
; NumSGPRsForWavesPerEU: 4
; NumVGPRsForWavesPerEU: 1
; AccumOffset: 4
; Occupancy: 8
; WaveLimiterHint : 0
; COMPUTE_PGM_RSRC2:SCRATCH_EN: 0
; COMPUTE_PGM_RSRC2:USER_SGPR: 6
; COMPUTE_PGM_RSRC2:TRAP_HANDLER: 0
; COMPUTE_PGM_RSRC2:TGID_X_EN: 1
; COMPUTE_PGM_RSRC2:TGID_Y_EN: 0
; COMPUTE_PGM_RSRC2:TGID_Z_EN: 0
; COMPUTE_PGM_RSRC2:TIDIG_COMP_CNT: 0
; COMPUTE_PGM_RSRC3_GFX90A:ACCUM_OFFSET: 0
; COMPUTE_PGM_RSRC3_GFX90A:TG_SPLIT: 0
	.section	.text._ZN7rocprim17ROCPRIM_400000_NS6detail17trampoline_kernelINS0_14default_configENS1_35radix_sort_onesweep_config_selectorIsNS0_10empty_typeEEEZNS1_34radix_sort_onesweep_global_offsetsIS3_Lb0EN6thrust23THRUST_200600_302600_NS6detail15normal_iteratorINS9_10device_ptrIsEEEEPS5_jNS0_19identity_decomposerEEE10hipError_tT1_T2_PT3_SK_jT4_jjP12ihipStream_tbEUlT_E0_NS1_11comp_targetILNS1_3genE6ELNS1_11target_archE950ELNS1_3gpuE13ELNS1_3repE0EEENS1_52radix_sort_onesweep_histogram_config_static_selectorELNS0_4arch9wavefront6targetE1EEEvSI_,"axG",@progbits,_ZN7rocprim17ROCPRIM_400000_NS6detail17trampoline_kernelINS0_14default_configENS1_35radix_sort_onesweep_config_selectorIsNS0_10empty_typeEEEZNS1_34radix_sort_onesweep_global_offsetsIS3_Lb0EN6thrust23THRUST_200600_302600_NS6detail15normal_iteratorINS9_10device_ptrIsEEEEPS5_jNS0_19identity_decomposerEEE10hipError_tT1_T2_PT3_SK_jT4_jjP12ihipStream_tbEUlT_E0_NS1_11comp_targetILNS1_3genE6ELNS1_11target_archE950ELNS1_3gpuE13ELNS1_3repE0EEENS1_52radix_sort_onesweep_histogram_config_static_selectorELNS0_4arch9wavefront6targetE1EEEvSI_,comdat
	.protected	_ZN7rocprim17ROCPRIM_400000_NS6detail17trampoline_kernelINS0_14default_configENS1_35radix_sort_onesweep_config_selectorIsNS0_10empty_typeEEEZNS1_34radix_sort_onesweep_global_offsetsIS3_Lb0EN6thrust23THRUST_200600_302600_NS6detail15normal_iteratorINS9_10device_ptrIsEEEEPS5_jNS0_19identity_decomposerEEE10hipError_tT1_T2_PT3_SK_jT4_jjP12ihipStream_tbEUlT_E0_NS1_11comp_targetILNS1_3genE6ELNS1_11target_archE950ELNS1_3gpuE13ELNS1_3repE0EEENS1_52radix_sort_onesweep_histogram_config_static_selectorELNS0_4arch9wavefront6targetE1EEEvSI_ ; -- Begin function _ZN7rocprim17ROCPRIM_400000_NS6detail17trampoline_kernelINS0_14default_configENS1_35radix_sort_onesweep_config_selectorIsNS0_10empty_typeEEEZNS1_34radix_sort_onesweep_global_offsetsIS3_Lb0EN6thrust23THRUST_200600_302600_NS6detail15normal_iteratorINS9_10device_ptrIsEEEEPS5_jNS0_19identity_decomposerEEE10hipError_tT1_T2_PT3_SK_jT4_jjP12ihipStream_tbEUlT_E0_NS1_11comp_targetILNS1_3genE6ELNS1_11target_archE950ELNS1_3gpuE13ELNS1_3repE0EEENS1_52radix_sort_onesweep_histogram_config_static_selectorELNS0_4arch9wavefront6targetE1EEEvSI_
	.globl	_ZN7rocprim17ROCPRIM_400000_NS6detail17trampoline_kernelINS0_14default_configENS1_35radix_sort_onesweep_config_selectorIsNS0_10empty_typeEEEZNS1_34radix_sort_onesweep_global_offsetsIS3_Lb0EN6thrust23THRUST_200600_302600_NS6detail15normal_iteratorINS9_10device_ptrIsEEEEPS5_jNS0_19identity_decomposerEEE10hipError_tT1_T2_PT3_SK_jT4_jjP12ihipStream_tbEUlT_E0_NS1_11comp_targetILNS1_3genE6ELNS1_11target_archE950ELNS1_3gpuE13ELNS1_3repE0EEENS1_52radix_sort_onesweep_histogram_config_static_selectorELNS0_4arch9wavefront6targetE1EEEvSI_
	.p2align	8
	.type	_ZN7rocprim17ROCPRIM_400000_NS6detail17trampoline_kernelINS0_14default_configENS1_35radix_sort_onesweep_config_selectorIsNS0_10empty_typeEEEZNS1_34radix_sort_onesweep_global_offsetsIS3_Lb0EN6thrust23THRUST_200600_302600_NS6detail15normal_iteratorINS9_10device_ptrIsEEEEPS5_jNS0_19identity_decomposerEEE10hipError_tT1_T2_PT3_SK_jT4_jjP12ihipStream_tbEUlT_E0_NS1_11comp_targetILNS1_3genE6ELNS1_11target_archE950ELNS1_3gpuE13ELNS1_3repE0EEENS1_52radix_sort_onesweep_histogram_config_static_selectorELNS0_4arch9wavefront6targetE1EEEvSI_,@function
_ZN7rocprim17ROCPRIM_400000_NS6detail17trampoline_kernelINS0_14default_configENS1_35radix_sort_onesweep_config_selectorIsNS0_10empty_typeEEEZNS1_34radix_sort_onesweep_global_offsetsIS3_Lb0EN6thrust23THRUST_200600_302600_NS6detail15normal_iteratorINS9_10device_ptrIsEEEEPS5_jNS0_19identity_decomposerEEE10hipError_tT1_T2_PT3_SK_jT4_jjP12ihipStream_tbEUlT_E0_NS1_11comp_targetILNS1_3genE6ELNS1_11target_archE950ELNS1_3gpuE13ELNS1_3repE0EEENS1_52radix_sort_onesweep_histogram_config_static_selectorELNS0_4arch9wavefront6targetE1EEEvSI_: ; @_ZN7rocprim17ROCPRIM_400000_NS6detail17trampoline_kernelINS0_14default_configENS1_35radix_sort_onesweep_config_selectorIsNS0_10empty_typeEEEZNS1_34radix_sort_onesweep_global_offsetsIS3_Lb0EN6thrust23THRUST_200600_302600_NS6detail15normal_iteratorINS9_10device_ptrIsEEEEPS5_jNS0_19identity_decomposerEEE10hipError_tT1_T2_PT3_SK_jT4_jjP12ihipStream_tbEUlT_E0_NS1_11comp_targetILNS1_3genE6ELNS1_11target_archE950ELNS1_3gpuE13ELNS1_3repE0EEENS1_52radix_sort_onesweep_histogram_config_static_selectorELNS0_4arch9wavefront6targetE1EEEvSI_
; %bb.0:
	.section	.rodata,"a",@progbits
	.p2align	6, 0x0
	.amdhsa_kernel _ZN7rocprim17ROCPRIM_400000_NS6detail17trampoline_kernelINS0_14default_configENS1_35radix_sort_onesweep_config_selectorIsNS0_10empty_typeEEEZNS1_34radix_sort_onesweep_global_offsetsIS3_Lb0EN6thrust23THRUST_200600_302600_NS6detail15normal_iteratorINS9_10device_ptrIsEEEEPS5_jNS0_19identity_decomposerEEE10hipError_tT1_T2_PT3_SK_jT4_jjP12ihipStream_tbEUlT_E0_NS1_11comp_targetILNS1_3genE6ELNS1_11target_archE950ELNS1_3gpuE13ELNS1_3repE0EEENS1_52radix_sort_onesweep_histogram_config_static_selectorELNS0_4arch9wavefront6targetE1EEEvSI_
		.amdhsa_group_segment_fixed_size 0
		.amdhsa_private_segment_fixed_size 0
		.amdhsa_kernarg_size 8
		.amdhsa_user_sgpr_count 6
		.amdhsa_user_sgpr_private_segment_buffer 1
		.amdhsa_user_sgpr_dispatch_ptr 0
		.amdhsa_user_sgpr_queue_ptr 0
		.amdhsa_user_sgpr_kernarg_segment_ptr 1
		.amdhsa_user_sgpr_dispatch_id 0
		.amdhsa_user_sgpr_flat_scratch_init 0
		.amdhsa_user_sgpr_kernarg_preload_length 0
		.amdhsa_user_sgpr_kernarg_preload_offset 0
		.amdhsa_user_sgpr_private_segment_size 0
		.amdhsa_uses_dynamic_stack 0
		.amdhsa_system_sgpr_private_segment_wavefront_offset 0
		.amdhsa_system_sgpr_workgroup_id_x 1
		.amdhsa_system_sgpr_workgroup_id_y 0
		.amdhsa_system_sgpr_workgroup_id_z 0
		.amdhsa_system_sgpr_workgroup_info 0
		.amdhsa_system_vgpr_workitem_id 0
		.amdhsa_next_free_vgpr 1
		.amdhsa_next_free_sgpr 0
		.amdhsa_accum_offset 4
		.amdhsa_reserve_vcc 0
		.amdhsa_reserve_flat_scratch 0
		.amdhsa_float_round_mode_32 0
		.amdhsa_float_round_mode_16_64 0
		.amdhsa_float_denorm_mode_32 3
		.amdhsa_float_denorm_mode_16_64 3
		.amdhsa_dx10_clamp 1
		.amdhsa_ieee_mode 1
		.amdhsa_fp16_overflow 0
		.amdhsa_tg_split 0
		.amdhsa_exception_fp_ieee_invalid_op 0
		.amdhsa_exception_fp_denorm_src 0
		.amdhsa_exception_fp_ieee_div_zero 0
		.amdhsa_exception_fp_ieee_overflow 0
		.amdhsa_exception_fp_ieee_underflow 0
		.amdhsa_exception_fp_ieee_inexact 0
		.amdhsa_exception_int_div_zero 0
	.end_amdhsa_kernel
	.section	.text._ZN7rocprim17ROCPRIM_400000_NS6detail17trampoline_kernelINS0_14default_configENS1_35radix_sort_onesweep_config_selectorIsNS0_10empty_typeEEEZNS1_34radix_sort_onesweep_global_offsetsIS3_Lb0EN6thrust23THRUST_200600_302600_NS6detail15normal_iteratorINS9_10device_ptrIsEEEEPS5_jNS0_19identity_decomposerEEE10hipError_tT1_T2_PT3_SK_jT4_jjP12ihipStream_tbEUlT_E0_NS1_11comp_targetILNS1_3genE6ELNS1_11target_archE950ELNS1_3gpuE13ELNS1_3repE0EEENS1_52radix_sort_onesweep_histogram_config_static_selectorELNS0_4arch9wavefront6targetE1EEEvSI_,"axG",@progbits,_ZN7rocprim17ROCPRIM_400000_NS6detail17trampoline_kernelINS0_14default_configENS1_35radix_sort_onesweep_config_selectorIsNS0_10empty_typeEEEZNS1_34radix_sort_onesweep_global_offsetsIS3_Lb0EN6thrust23THRUST_200600_302600_NS6detail15normal_iteratorINS9_10device_ptrIsEEEEPS5_jNS0_19identity_decomposerEEE10hipError_tT1_T2_PT3_SK_jT4_jjP12ihipStream_tbEUlT_E0_NS1_11comp_targetILNS1_3genE6ELNS1_11target_archE950ELNS1_3gpuE13ELNS1_3repE0EEENS1_52radix_sort_onesweep_histogram_config_static_selectorELNS0_4arch9wavefront6targetE1EEEvSI_,comdat
.Lfunc_end1933:
	.size	_ZN7rocprim17ROCPRIM_400000_NS6detail17trampoline_kernelINS0_14default_configENS1_35radix_sort_onesweep_config_selectorIsNS0_10empty_typeEEEZNS1_34radix_sort_onesweep_global_offsetsIS3_Lb0EN6thrust23THRUST_200600_302600_NS6detail15normal_iteratorINS9_10device_ptrIsEEEEPS5_jNS0_19identity_decomposerEEE10hipError_tT1_T2_PT3_SK_jT4_jjP12ihipStream_tbEUlT_E0_NS1_11comp_targetILNS1_3genE6ELNS1_11target_archE950ELNS1_3gpuE13ELNS1_3repE0EEENS1_52radix_sort_onesweep_histogram_config_static_selectorELNS0_4arch9wavefront6targetE1EEEvSI_, .Lfunc_end1933-_ZN7rocprim17ROCPRIM_400000_NS6detail17trampoline_kernelINS0_14default_configENS1_35radix_sort_onesweep_config_selectorIsNS0_10empty_typeEEEZNS1_34radix_sort_onesweep_global_offsetsIS3_Lb0EN6thrust23THRUST_200600_302600_NS6detail15normal_iteratorINS9_10device_ptrIsEEEEPS5_jNS0_19identity_decomposerEEE10hipError_tT1_T2_PT3_SK_jT4_jjP12ihipStream_tbEUlT_E0_NS1_11comp_targetILNS1_3genE6ELNS1_11target_archE950ELNS1_3gpuE13ELNS1_3repE0EEENS1_52radix_sort_onesweep_histogram_config_static_selectorELNS0_4arch9wavefront6targetE1EEEvSI_
                                        ; -- End function
	.section	.AMDGPU.csdata,"",@progbits
; Kernel info:
; codeLenInByte = 0
; NumSgprs: 4
; NumVgprs: 0
; NumAgprs: 0
; TotalNumVgprs: 0
; ScratchSize: 0
; MemoryBound: 0
; FloatMode: 240
; IeeeMode: 1
; LDSByteSize: 0 bytes/workgroup (compile time only)
; SGPRBlocks: 0
; VGPRBlocks: 0
; NumSGPRsForWavesPerEU: 4
; NumVGPRsForWavesPerEU: 1
; AccumOffset: 4
; Occupancy: 8
; WaveLimiterHint : 0
; COMPUTE_PGM_RSRC2:SCRATCH_EN: 0
; COMPUTE_PGM_RSRC2:USER_SGPR: 6
; COMPUTE_PGM_RSRC2:TRAP_HANDLER: 0
; COMPUTE_PGM_RSRC2:TGID_X_EN: 1
; COMPUTE_PGM_RSRC2:TGID_Y_EN: 0
; COMPUTE_PGM_RSRC2:TGID_Z_EN: 0
; COMPUTE_PGM_RSRC2:TIDIG_COMP_CNT: 0
; COMPUTE_PGM_RSRC3_GFX90A:ACCUM_OFFSET: 0
; COMPUTE_PGM_RSRC3_GFX90A:TG_SPLIT: 0
	.section	.text._ZN7rocprim17ROCPRIM_400000_NS6detail17trampoline_kernelINS0_14default_configENS1_35radix_sort_onesweep_config_selectorIsNS0_10empty_typeEEEZNS1_34radix_sort_onesweep_global_offsetsIS3_Lb0EN6thrust23THRUST_200600_302600_NS6detail15normal_iteratorINS9_10device_ptrIsEEEEPS5_jNS0_19identity_decomposerEEE10hipError_tT1_T2_PT3_SK_jT4_jjP12ihipStream_tbEUlT_E0_NS1_11comp_targetILNS1_3genE5ELNS1_11target_archE942ELNS1_3gpuE9ELNS1_3repE0EEENS1_52radix_sort_onesweep_histogram_config_static_selectorELNS0_4arch9wavefront6targetE1EEEvSI_,"axG",@progbits,_ZN7rocprim17ROCPRIM_400000_NS6detail17trampoline_kernelINS0_14default_configENS1_35radix_sort_onesweep_config_selectorIsNS0_10empty_typeEEEZNS1_34radix_sort_onesweep_global_offsetsIS3_Lb0EN6thrust23THRUST_200600_302600_NS6detail15normal_iteratorINS9_10device_ptrIsEEEEPS5_jNS0_19identity_decomposerEEE10hipError_tT1_T2_PT3_SK_jT4_jjP12ihipStream_tbEUlT_E0_NS1_11comp_targetILNS1_3genE5ELNS1_11target_archE942ELNS1_3gpuE9ELNS1_3repE0EEENS1_52radix_sort_onesweep_histogram_config_static_selectorELNS0_4arch9wavefront6targetE1EEEvSI_,comdat
	.protected	_ZN7rocprim17ROCPRIM_400000_NS6detail17trampoline_kernelINS0_14default_configENS1_35radix_sort_onesweep_config_selectorIsNS0_10empty_typeEEEZNS1_34radix_sort_onesweep_global_offsetsIS3_Lb0EN6thrust23THRUST_200600_302600_NS6detail15normal_iteratorINS9_10device_ptrIsEEEEPS5_jNS0_19identity_decomposerEEE10hipError_tT1_T2_PT3_SK_jT4_jjP12ihipStream_tbEUlT_E0_NS1_11comp_targetILNS1_3genE5ELNS1_11target_archE942ELNS1_3gpuE9ELNS1_3repE0EEENS1_52radix_sort_onesweep_histogram_config_static_selectorELNS0_4arch9wavefront6targetE1EEEvSI_ ; -- Begin function _ZN7rocprim17ROCPRIM_400000_NS6detail17trampoline_kernelINS0_14default_configENS1_35radix_sort_onesweep_config_selectorIsNS0_10empty_typeEEEZNS1_34radix_sort_onesweep_global_offsetsIS3_Lb0EN6thrust23THRUST_200600_302600_NS6detail15normal_iteratorINS9_10device_ptrIsEEEEPS5_jNS0_19identity_decomposerEEE10hipError_tT1_T2_PT3_SK_jT4_jjP12ihipStream_tbEUlT_E0_NS1_11comp_targetILNS1_3genE5ELNS1_11target_archE942ELNS1_3gpuE9ELNS1_3repE0EEENS1_52radix_sort_onesweep_histogram_config_static_selectorELNS0_4arch9wavefront6targetE1EEEvSI_
	.globl	_ZN7rocprim17ROCPRIM_400000_NS6detail17trampoline_kernelINS0_14default_configENS1_35radix_sort_onesweep_config_selectorIsNS0_10empty_typeEEEZNS1_34radix_sort_onesweep_global_offsetsIS3_Lb0EN6thrust23THRUST_200600_302600_NS6detail15normal_iteratorINS9_10device_ptrIsEEEEPS5_jNS0_19identity_decomposerEEE10hipError_tT1_T2_PT3_SK_jT4_jjP12ihipStream_tbEUlT_E0_NS1_11comp_targetILNS1_3genE5ELNS1_11target_archE942ELNS1_3gpuE9ELNS1_3repE0EEENS1_52radix_sort_onesweep_histogram_config_static_selectorELNS0_4arch9wavefront6targetE1EEEvSI_
	.p2align	8
	.type	_ZN7rocprim17ROCPRIM_400000_NS6detail17trampoline_kernelINS0_14default_configENS1_35radix_sort_onesweep_config_selectorIsNS0_10empty_typeEEEZNS1_34radix_sort_onesweep_global_offsetsIS3_Lb0EN6thrust23THRUST_200600_302600_NS6detail15normal_iteratorINS9_10device_ptrIsEEEEPS5_jNS0_19identity_decomposerEEE10hipError_tT1_T2_PT3_SK_jT4_jjP12ihipStream_tbEUlT_E0_NS1_11comp_targetILNS1_3genE5ELNS1_11target_archE942ELNS1_3gpuE9ELNS1_3repE0EEENS1_52radix_sort_onesweep_histogram_config_static_selectorELNS0_4arch9wavefront6targetE1EEEvSI_,@function
_ZN7rocprim17ROCPRIM_400000_NS6detail17trampoline_kernelINS0_14default_configENS1_35radix_sort_onesweep_config_selectorIsNS0_10empty_typeEEEZNS1_34radix_sort_onesweep_global_offsetsIS3_Lb0EN6thrust23THRUST_200600_302600_NS6detail15normal_iteratorINS9_10device_ptrIsEEEEPS5_jNS0_19identity_decomposerEEE10hipError_tT1_T2_PT3_SK_jT4_jjP12ihipStream_tbEUlT_E0_NS1_11comp_targetILNS1_3genE5ELNS1_11target_archE942ELNS1_3gpuE9ELNS1_3repE0EEENS1_52radix_sort_onesweep_histogram_config_static_selectorELNS0_4arch9wavefront6targetE1EEEvSI_: ; @_ZN7rocprim17ROCPRIM_400000_NS6detail17trampoline_kernelINS0_14default_configENS1_35radix_sort_onesweep_config_selectorIsNS0_10empty_typeEEEZNS1_34radix_sort_onesweep_global_offsetsIS3_Lb0EN6thrust23THRUST_200600_302600_NS6detail15normal_iteratorINS9_10device_ptrIsEEEEPS5_jNS0_19identity_decomposerEEE10hipError_tT1_T2_PT3_SK_jT4_jjP12ihipStream_tbEUlT_E0_NS1_11comp_targetILNS1_3genE5ELNS1_11target_archE942ELNS1_3gpuE9ELNS1_3repE0EEENS1_52radix_sort_onesweep_histogram_config_static_selectorELNS0_4arch9wavefront6targetE1EEEvSI_
; %bb.0:
	.section	.rodata,"a",@progbits
	.p2align	6, 0x0
	.amdhsa_kernel _ZN7rocprim17ROCPRIM_400000_NS6detail17trampoline_kernelINS0_14default_configENS1_35radix_sort_onesweep_config_selectorIsNS0_10empty_typeEEEZNS1_34radix_sort_onesweep_global_offsetsIS3_Lb0EN6thrust23THRUST_200600_302600_NS6detail15normal_iteratorINS9_10device_ptrIsEEEEPS5_jNS0_19identity_decomposerEEE10hipError_tT1_T2_PT3_SK_jT4_jjP12ihipStream_tbEUlT_E0_NS1_11comp_targetILNS1_3genE5ELNS1_11target_archE942ELNS1_3gpuE9ELNS1_3repE0EEENS1_52radix_sort_onesweep_histogram_config_static_selectorELNS0_4arch9wavefront6targetE1EEEvSI_
		.amdhsa_group_segment_fixed_size 0
		.amdhsa_private_segment_fixed_size 0
		.amdhsa_kernarg_size 8
		.amdhsa_user_sgpr_count 6
		.amdhsa_user_sgpr_private_segment_buffer 1
		.amdhsa_user_sgpr_dispatch_ptr 0
		.amdhsa_user_sgpr_queue_ptr 0
		.amdhsa_user_sgpr_kernarg_segment_ptr 1
		.amdhsa_user_sgpr_dispatch_id 0
		.amdhsa_user_sgpr_flat_scratch_init 0
		.amdhsa_user_sgpr_kernarg_preload_length 0
		.amdhsa_user_sgpr_kernarg_preload_offset 0
		.amdhsa_user_sgpr_private_segment_size 0
		.amdhsa_uses_dynamic_stack 0
		.amdhsa_system_sgpr_private_segment_wavefront_offset 0
		.amdhsa_system_sgpr_workgroup_id_x 1
		.amdhsa_system_sgpr_workgroup_id_y 0
		.amdhsa_system_sgpr_workgroup_id_z 0
		.amdhsa_system_sgpr_workgroup_info 0
		.amdhsa_system_vgpr_workitem_id 0
		.amdhsa_next_free_vgpr 1
		.amdhsa_next_free_sgpr 0
		.amdhsa_accum_offset 4
		.amdhsa_reserve_vcc 0
		.amdhsa_reserve_flat_scratch 0
		.amdhsa_float_round_mode_32 0
		.amdhsa_float_round_mode_16_64 0
		.amdhsa_float_denorm_mode_32 3
		.amdhsa_float_denorm_mode_16_64 3
		.amdhsa_dx10_clamp 1
		.amdhsa_ieee_mode 1
		.amdhsa_fp16_overflow 0
		.amdhsa_tg_split 0
		.amdhsa_exception_fp_ieee_invalid_op 0
		.amdhsa_exception_fp_denorm_src 0
		.amdhsa_exception_fp_ieee_div_zero 0
		.amdhsa_exception_fp_ieee_overflow 0
		.amdhsa_exception_fp_ieee_underflow 0
		.amdhsa_exception_fp_ieee_inexact 0
		.amdhsa_exception_int_div_zero 0
	.end_amdhsa_kernel
	.section	.text._ZN7rocprim17ROCPRIM_400000_NS6detail17trampoline_kernelINS0_14default_configENS1_35radix_sort_onesweep_config_selectorIsNS0_10empty_typeEEEZNS1_34radix_sort_onesweep_global_offsetsIS3_Lb0EN6thrust23THRUST_200600_302600_NS6detail15normal_iteratorINS9_10device_ptrIsEEEEPS5_jNS0_19identity_decomposerEEE10hipError_tT1_T2_PT3_SK_jT4_jjP12ihipStream_tbEUlT_E0_NS1_11comp_targetILNS1_3genE5ELNS1_11target_archE942ELNS1_3gpuE9ELNS1_3repE0EEENS1_52radix_sort_onesweep_histogram_config_static_selectorELNS0_4arch9wavefront6targetE1EEEvSI_,"axG",@progbits,_ZN7rocprim17ROCPRIM_400000_NS6detail17trampoline_kernelINS0_14default_configENS1_35radix_sort_onesweep_config_selectorIsNS0_10empty_typeEEEZNS1_34radix_sort_onesweep_global_offsetsIS3_Lb0EN6thrust23THRUST_200600_302600_NS6detail15normal_iteratorINS9_10device_ptrIsEEEEPS5_jNS0_19identity_decomposerEEE10hipError_tT1_T2_PT3_SK_jT4_jjP12ihipStream_tbEUlT_E0_NS1_11comp_targetILNS1_3genE5ELNS1_11target_archE942ELNS1_3gpuE9ELNS1_3repE0EEENS1_52radix_sort_onesweep_histogram_config_static_selectorELNS0_4arch9wavefront6targetE1EEEvSI_,comdat
.Lfunc_end1934:
	.size	_ZN7rocprim17ROCPRIM_400000_NS6detail17trampoline_kernelINS0_14default_configENS1_35radix_sort_onesweep_config_selectorIsNS0_10empty_typeEEEZNS1_34radix_sort_onesweep_global_offsetsIS3_Lb0EN6thrust23THRUST_200600_302600_NS6detail15normal_iteratorINS9_10device_ptrIsEEEEPS5_jNS0_19identity_decomposerEEE10hipError_tT1_T2_PT3_SK_jT4_jjP12ihipStream_tbEUlT_E0_NS1_11comp_targetILNS1_3genE5ELNS1_11target_archE942ELNS1_3gpuE9ELNS1_3repE0EEENS1_52radix_sort_onesweep_histogram_config_static_selectorELNS0_4arch9wavefront6targetE1EEEvSI_, .Lfunc_end1934-_ZN7rocprim17ROCPRIM_400000_NS6detail17trampoline_kernelINS0_14default_configENS1_35radix_sort_onesweep_config_selectorIsNS0_10empty_typeEEEZNS1_34radix_sort_onesweep_global_offsetsIS3_Lb0EN6thrust23THRUST_200600_302600_NS6detail15normal_iteratorINS9_10device_ptrIsEEEEPS5_jNS0_19identity_decomposerEEE10hipError_tT1_T2_PT3_SK_jT4_jjP12ihipStream_tbEUlT_E0_NS1_11comp_targetILNS1_3genE5ELNS1_11target_archE942ELNS1_3gpuE9ELNS1_3repE0EEENS1_52radix_sort_onesweep_histogram_config_static_selectorELNS0_4arch9wavefront6targetE1EEEvSI_
                                        ; -- End function
	.section	.AMDGPU.csdata,"",@progbits
; Kernel info:
; codeLenInByte = 0
; NumSgprs: 4
; NumVgprs: 0
; NumAgprs: 0
; TotalNumVgprs: 0
; ScratchSize: 0
; MemoryBound: 0
; FloatMode: 240
; IeeeMode: 1
; LDSByteSize: 0 bytes/workgroup (compile time only)
; SGPRBlocks: 0
; VGPRBlocks: 0
; NumSGPRsForWavesPerEU: 4
; NumVGPRsForWavesPerEU: 1
; AccumOffset: 4
; Occupancy: 8
; WaveLimiterHint : 0
; COMPUTE_PGM_RSRC2:SCRATCH_EN: 0
; COMPUTE_PGM_RSRC2:USER_SGPR: 6
; COMPUTE_PGM_RSRC2:TRAP_HANDLER: 0
; COMPUTE_PGM_RSRC2:TGID_X_EN: 1
; COMPUTE_PGM_RSRC2:TGID_Y_EN: 0
; COMPUTE_PGM_RSRC2:TGID_Z_EN: 0
; COMPUTE_PGM_RSRC2:TIDIG_COMP_CNT: 0
; COMPUTE_PGM_RSRC3_GFX90A:ACCUM_OFFSET: 0
; COMPUTE_PGM_RSRC3_GFX90A:TG_SPLIT: 0
	.section	.text._ZN7rocprim17ROCPRIM_400000_NS6detail17trampoline_kernelINS0_14default_configENS1_35radix_sort_onesweep_config_selectorIsNS0_10empty_typeEEEZNS1_34radix_sort_onesweep_global_offsetsIS3_Lb0EN6thrust23THRUST_200600_302600_NS6detail15normal_iteratorINS9_10device_ptrIsEEEEPS5_jNS0_19identity_decomposerEEE10hipError_tT1_T2_PT3_SK_jT4_jjP12ihipStream_tbEUlT_E0_NS1_11comp_targetILNS1_3genE2ELNS1_11target_archE906ELNS1_3gpuE6ELNS1_3repE0EEENS1_52radix_sort_onesweep_histogram_config_static_selectorELNS0_4arch9wavefront6targetE1EEEvSI_,"axG",@progbits,_ZN7rocprim17ROCPRIM_400000_NS6detail17trampoline_kernelINS0_14default_configENS1_35radix_sort_onesweep_config_selectorIsNS0_10empty_typeEEEZNS1_34radix_sort_onesweep_global_offsetsIS3_Lb0EN6thrust23THRUST_200600_302600_NS6detail15normal_iteratorINS9_10device_ptrIsEEEEPS5_jNS0_19identity_decomposerEEE10hipError_tT1_T2_PT3_SK_jT4_jjP12ihipStream_tbEUlT_E0_NS1_11comp_targetILNS1_3genE2ELNS1_11target_archE906ELNS1_3gpuE6ELNS1_3repE0EEENS1_52radix_sort_onesweep_histogram_config_static_selectorELNS0_4arch9wavefront6targetE1EEEvSI_,comdat
	.protected	_ZN7rocprim17ROCPRIM_400000_NS6detail17trampoline_kernelINS0_14default_configENS1_35radix_sort_onesweep_config_selectorIsNS0_10empty_typeEEEZNS1_34radix_sort_onesweep_global_offsetsIS3_Lb0EN6thrust23THRUST_200600_302600_NS6detail15normal_iteratorINS9_10device_ptrIsEEEEPS5_jNS0_19identity_decomposerEEE10hipError_tT1_T2_PT3_SK_jT4_jjP12ihipStream_tbEUlT_E0_NS1_11comp_targetILNS1_3genE2ELNS1_11target_archE906ELNS1_3gpuE6ELNS1_3repE0EEENS1_52radix_sort_onesweep_histogram_config_static_selectorELNS0_4arch9wavefront6targetE1EEEvSI_ ; -- Begin function _ZN7rocprim17ROCPRIM_400000_NS6detail17trampoline_kernelINS0_14default_configENS1_35radix_sort_onesweep_config_selectorIsNS0_10empty_typeEEEZNS1_34radix_sort_onesweep_global_offsetsIS3_Lb0EN6thrust23THRUST_200600_302600_NS6detail15normal_iteratorINS9_10device_ptrIsEEEEPS5_jNS0_19identity_decomposerEEE10hipError_tT1_T2_PT3_SK_jT4_jjP12ihipStream_tbEUlT_E0_NS1_11comp_targetILNS1_3genE2ELNS1_11target_archE906ELNS1_3gpuE6ELNS1_3repE0EEENS1_52radix_sort_onesweep_histogram_config_static_selectorELNS0_4arch9wavefront6targetE1EEEvSI_
	.globl	_ZN7rocprim17ROCPRIM_400000_NS6detail17trampoline_kernelINS0_14default_configENS1_35radix_sort_onesweep_config_selectorIsNS0_10empty_typeEEEZNS1_34radix_sort_onesweep_global_offsetsIS3_Lb0EN6thrust23THRUST_200600_302600_NS6detail15normal_iteratorINS9_10device_ptrIsEEEEPS5_jNS0_19identity_decomposerEEE10hipError_tT1_T2_PT3_SK_jT4_jjP12ihipStream_tbEUlT_E0_NS1_11comp_targetILNS1_3genE2ELNS1_11target_archE906ELNS1_3gpuE6ELNS1_3repE0EEENS1_52radix_sort_onesweep_histogram_config_static_selectorELNS0_4arch9wavefront6targetE1EEEvSI_
	.p2align	8
	.type	_ZN7rocprim17ROCPRIM_400000_NS6detail17trampoline_kernelINS0_14default_configENS1_35radix_sort_onesweep_config_selectorIsNS0_10empty_typeEEEZNS1_34radix_sort_onesweep_global_offsetsIS3_Lb0EN6thrust23THRUST_200600_302600_NS6detail15normal_iteratorINS9_10device_ptrIsEEEEPS5_jNS0_19identity_decomposerEEE10hipError_tT1_T2_PT3_SK_jT4_jjP12ihipStream_tbEUlT_E0_NS1_11comp_targetILNS1_3genE2ELNS1_11target_archE906ELNS1_3gpuE6ELNS1_3repE0EEENS1_52radix_sort_onesweep_histogram_config_static_selectorELNS0_4arch9wavefront6targetE1EEEvSI_,@function
_ZN7rocprim17ROCPRIM_400000_NS6detail17trampoline_kernelINS0_14default_configENS1_35radix_sort_onesweep_config_selectorIsNS0_10empty_typeEEEZNS1_34radix_sort_onesweep_global_offsetsIS3_Lb0EN6thrust23THRUST_200600_302600_NS6detail15normal_iteratorINS9_10device_ptrIsEEEEPS5_jNS0_19identity_decomposerEEE10hipError_tT1_T2_PT3_SK_jT4_jjP12ihipStream_tbEUlT_E0_NS1_11comp_targetILNS1_3genE2ELNS1_11target_archE906ELNS1_3gpuE6ELNS1_3repE0EEENS1_52radix_sort_onesweep_histogram_config_static_selectorELNS0_4arch9wavefront6targetE1EEEvSI_: ; @_ZN7rocprim17ROCPRIM_400000_NS6detail17trampoline_kernelINS0_14default_configENS1_35radix_sort_onesweep_config_selectorIsNS0_10empty_typeEEEZNS1_34radix_sort_onesweep_global_offsetsIS3_Lb0EN6thrust23THRUST_200600_302600_NS6detail15normal_iteratorINS9_10device_ptrIsEEEEPS5_jNS0_19identity_decomposerEEE10hipError_tT1_T2_PT3_SK_jT4_jjP12ihipStream_tbEUlT_E0_NS1_11comp_targetILNS1_3genE2ELNS1_11target_archE906ELNS1_3gpuE6ELNS1_3repE0EEENS1_52radix_sort_onesweep_histogram_config_static_selectorELNS0_4arch9wavefront6targetE1EEEvSI_
; %bb.0:
	.section	.rodata,"a",@progbits
	.p2align	6, 0x0
	.amdhsa_kernel _ZN7rocprim17ROCPRIM_400000_NS6detail17trampoline_kernelINS0_14default_configENS1_35radix_sort_onesweep_config_selectorIsNS0_10empty_typeEEEZNS1_34radix_sort_onesweep_global_offsetsIS3_Lb0EN6thrust23THRUST_200600_302600_NS6detail15normal_iteratorINS9_10device_ptrIsEEEEPS5_jNS0_19identity_decomposerEEE10hipError_tT1_T2_PT3_SK_jT4_jjP12ihipStream_tbEUlT_E0_NS1_11comp_targetILNS1_3genE2ELNS1_11target_archE906ELNS1_3gpuE6ELNS1_3repE0EEENS1_52radix_sort_onesweep_histogram_config_static_selectorELNS0_4arch9wavefront6targetE1EEEvSI_
		.amdhsa_group_segment_fixed_size 0
		.amdhsa_private_segment_fixed_size 0
		.amdhsa_kernarg_size 8
		.amdhsa_user_sgpr_count 6
		.amdhsa_user_sgpr_private_segment_buffer 1
		.amdhsa_user_sgpr_dispatch_ptr 0
		.amdhsa_user_sgpr_queue_ptr 0
		.amdhsa_user_sgpr_kernarg_segment_ptr 1
		.amdhsa_user_sgpr_dispatch_id 0
		.amdhsa_user_sgpr_flat_scratch_init 0
		.amdhsa_user_sgpr_kernarg_preload_length 0
		.amdhsa_user_sgpr_kernarg_preload_offset 0
		.amdhsa_user_sgpr_private_segment_size 0
		.amdhsa_uses_dynamic_stack 0
		.amdhsa_system_sgpr_private_segment_wavefront_offset 0
		.amdhsa_system_sgpr_workgroup_id_x 1
		.amdhsa_system_sgpr_workgroup_id_y 0
		.amdhsa_system_sgpr_workgroup_id_z 0
		.amdhsa_system_sgpr_workgroup_info 0
		.amdhsa_system_vgpr_workitem_id 0
		.amdhsa_next_free_vgpr 1
		.amdhsa_next_free_sgpr 0
		.amdhsa_accum_offset 4
		.amdhsa_reserve_vcc 0
		.amdhsa_reserve_flat_scratch 0
		.amdhsa_float_round_mode_32 0
		.amdhsa_float_round_mode_16_64 0
		.amdhsa_float_denorm_mode_32 3
		.amdhsa_float_denorm_mode_16_64 3
		.amdhsa_dx10_clamp 1
		.amdhsa_ieee_mode 1
		.amdhsa_fp16_overflow 0
		.amdhsa_tg_split 0
		.amdhsa_exception_fp_ieee_invalid_op 0
		.amdhsa_exception_fp_denorm_src 0
		.amdhsa_exception_fp_ieee_div_zero 0
		.amdhsa_exception_fp_ieee_overflow 0
		.amdhsa_exception_fp_ieee_underflow 0
		.amdhsa_exception_fp_ieee_inexact 0
		.amdhsa_exception_int_div_zero 0
	.end_amdhsa_kernel
	.section	.text._ZN7rocprim17ROCPRIM_400000_NS6detail17trampoline_kernelINS0_14default_configENS1_35radix_sort_onesweep_config_selectorIsNS0_10empty_typeEEEZNS1_34radix_sort_onesweep_global_offsetsIS3_Lb0EN6thrust23THRUST_200600_302600_NS6detail15normal_iteratorINS9_10device_ptrIsEEEEPS5_jNS0_19identity_decomposerEEE10hipError_tT1_T2_PT3_SK_jT4_jjP12ihipStream_tbEUlT_E0_NS1_11comp_targetILNS1_3genE2ELNS1_11target_archE906ELNS1_3gpuE6ELNS1_3repE0EEENS1_52radix_sort_onesweep_histogram_config_static_selectorELNS0_4arch9wavefront6targetE1EEEvSI_,"axG",@progbits,_ZN7rocprim17ROCPRIM_400000_NS6detail17trampoline_kernelINS0_14default_configENS1_35radix_sort_onesweep_config_selectorIsNS0_10empty_typeEEEZNS1_34radix_sort_onesweep_global_offsetsIS3_Lb0EN6thrust23THRUST_200600_302600_NS6detail15normal_iteratorINS9_10device_ptrIsEEEEPS5_jNS0_19identity_decomposerEEE10hipError_tT1_T2_PT3_SK_jT4_jjP12ihipStream_tbEUlT_E0_NS1_11comp_targetILNS1_3genE2ELNS1_11target_archE906ELNS1_3gpuE6ELNS1_3repE0EEENS1_52radix_sort_onesweep_histogram_config_static_selectorELNS0_4arch9wavefront6targetE1EEEvSI_,comdat
.Lfunc_end1935:
	.size	_ZN7rocprim17ROCPRIM_400000_NS6detail17trampoline_kernelINS0_14default_configENS1_35radix_sort_onesweep_config_selectorIsNS0_10empty_typeEEEZNS1_34radix_sort_onesweep_global_offsetsIS3_Lb0EN6thrust23THRUST_200600_302600_NS6detail15normal_iteratorINS9_10device_ptrIsEEEEPS5_jNS0_19identity_decomposerEEE10hipError_tT1_T2_PT3_SK_jT4_jjP12ihipStream_tbEUlT_E0_NS1_11comp_targetILNS1_3genE2ELNS1_11target_archE906ELNS1_3gpuE6ELNS1_3repE0EEENS1_52radix_sort_onesweep_histogram_config_static_selectorELNS0_4arch9wavefront6targetE1EEEvSI_, .Lfunc_end1935-_ZN7rocprim17ROCPRIM_400000_NS6detail17trampoline_kernelINS0_14default_configENS1_35radix_sort_onesweep_config_selectorIsNS0_10empty_typeEEEZNS1_34radix_sort_onesweep_global_offsetsIS3_Lb0EN6thrust23THRUST_200600_302600_NS6detail15normal_iteratorINS9_10device_ptrIsEEEEPS5_jNS0_19identity_decomposerEEE10hipError_tT1_T2_PT3_SK_jT4_jjP12ihipStream_tbEUlT_E0_NS1_11comp_targetILNS1_3genE2ELNS1_11target_archE906ELNS1_3gpuE6ELNS1_3repE0EEENS1_52radix_sort_onesweep_histogram_config_static_selectorELNS0_4arch9wavefront6targetE1EEEvSI_
                                        ; -- End function
	.section	.AMDGPU.csdata,"",@progbits
; Kernel info:
; codeLenInByte = 0
; NumSgprs: 4
; NumVgprs: 0
; NumAgprs: 0
; TotalNumVgprs: 0
; ScratchSize: 0
; MemoryBound: 0
; FloatMode: 240
; IeeeMode: 1
; LDSByteSize: 0 bytes/workgroup (compile time only)
; SGPRBlocks: 0
; VGPRBlocks: 0
; NumSGPRsForWavesPerEU: 4
; NumVGPRsForWavesPerEU: 1
; AccumOffset: 4
; Occupancy: 8
; WaveLimiterHint : 0
; COMPUTE_PGM_RSRC2:SCRATCH_EN: 0
; COMPUTE_PGM_RSRC2:USER_SGPR: 6
; COMPUTE_PGM_RSRC2:TRAP_HANDLER: 0
; COMPUTE_PGM_RSRC2:TGID_X_EN: 1
; COMPUTE_PGM_RSRC2:TGID_Y_EN: 0
; COMPUTE_PGM_RSRC2:TGID_Z_EN: 0
; COMPUTE_PGM_RSRC2:TIDIG_COMP_CNT: 0
; COMPUTE_PGM_RSRC3_GFX90A:ACCUM_OFFSET: 0
; COMPUTE_PGM_RSRC3_GFX90A:TG_SPLIT: 0
	.section	.text._ZN7rocprim17ROCPRIM_400000_NS6detail17trampoline_kernelINS0_14default_configENS1_35radix_sort_onesweep_config_selectorIsNS0_10empty_typeEEEZNS1_34radix_sort_onesweep_global_offsetsIS3_Lb0EN6thrust23THRUST_200600_302600_NS6detail15normal_iteratorINS9_10device_ptrIsEEEEPS5_jNS0_19identity_decomposerEEE10hipError_tT1_T2_PT3_SK_jT4_jjP12ihipStream_tbEUlT_E0_NS1_11comp_targetILNS1_3genE4ELNS1_11target_archE910ELNS1_3gpuE8ELNS1_3repE0EEENS1_52radix_sort_onesweep_histogram_config_static_selectorELNS0_4arch9wavefront6targetE1EEEvSI_,"axG",@progbits,_ZN7rocprim17ROCPRIM_400000_NS6detail17trampoline_kernelINS0_14default_configENS1_35radix_sort_onesweep_config_selectorIsNS0_10empty_typeEEEZNS1_34radix_sort_onesweep_global_offsetsIS3_Lb0EN6thrust23THRUST_200600_302600_NS6detail15normal_iteratorINS9_10device_ptrIsEEEEPS5_jNS0_19identity_decomposerEEE10hipError_tT1_T2_PT3_SK_jT4_jjP12ihipStream_tbEUlT_E0_NS1_11comp_targetILNS1_3genE4ELNS1_11target_archE910ELNS1_3gpuE8ELNS1_3repE0EEENS1_52radix_sort_onesweep_histogram_config_static_selectorELNS0_4arch9wavefront6targetE1EEEvSI_,comdat
	.protected	_ZN7rocprim17ROCPRIM_400000_NS6detail17trampoline_kernelINS0_14default_configENS1_35radix_sort_onesweep_config_selectorIsNS0_10empty_typeEEEZNS1_34radix_sort_onesweep_global_offsetsIS3_Lb0EN6thrust23THRUST_200600_302600_NS6detail15normal_iteratorINS9_10device_ptrIsEEEEPS5_jNS0_19identity_decomposerEEE10hipError_tT1_T2_PT3_SK_jT4_jjP12ihipStream_tbEUlT_E0_NS1_11comp_targetILNS1_3genE4ELNS1_11target_archE910ELNS1_3gpuE8ELNS1_3repE0EEENS1_52radix_sort_onesweep_histogram_config_static_selectorELNS0_4arch9wavefront6targetE1EEEvSI_ ; -- Begin function _ZN7rocprim17ROCPRIM_400000_NS6detail17trampoline_kernelINS0_14default_configENS1_35radix_sort_onesweep_config_selectorIsNS0_10empty_typeEEEZNS1_34radix_sort_onesweep_global_offsetsIS3_Lb0EN6thrust23THRUST_200600_302600_NS6detail15normal_iteratorINS9_10device_ptrIsEEEEPS5_jNS0_19identity_decomposerEEE10hipError_tT1_T2_PT3_SK_jT4_jjP12ihipStream_tbEUlT_E0_NS1_11comp_targetILNS1_3genE4ELNS1_11target_archE910ELNS1_3gpuE8ELNS1_3repE0EEENS1_52radix_sort_onesweep_histogram_config_static_selectorELNS0_4arch9wavefront6targetE1EEEvSI_
	.globl	_ZN7rocprim17ROCPRIM_400000_NS6detail17trampoline_kernelINS0_14default_configENS1_35radix_sort_onesweep_config_selectorIsNS0_10empty_typeEEEZNS1_34radix_sort_onesweep_global_offsetsIS3_Lb0EN6thrust23THRUST_200600_302600_NS6detail15normal_iteratorINS9_10device_ptrIsEEEEPS5_jNS0_19identity_decomposerEEE10hipError_tT1_T2_PT3_SK_jT4_jjP12ihipStream_tbEUlT_E0_NS1_11comp_targetILNS1_3genE4ELNS1_11target_archE910ELNS1_3gpuE8ELNS1_3repE0EEENS1_52radix_sort_onesweep_histogram_config_static_selectorELNS0_4arch9wavefront6targetE1EEEvSI_
	.p2align	8
	.type	_ZN7rocprim17ROCPRIM_400000_NS6detail17trampoline_kernelINS0_14default_configENS1_35radix_sort_onesweep_config_selectorIsNS0_10empty_typeEEEZNS1_34radix_sort_onesweep_global_offsetsIS3_Lb0EN6thrust23THRUST_200600_302600_NS6detail15normal_iteratorINS9_10device_ptrIsEEEEPS5_jNS0_19identity_decomposerEEE10hipError_tT1_T2_PT3_SK_jT4_jjP12ihipStream_tbEUlT_E0_NS1_11comp_targetILNS1_3genE4ELNS1_11target_archE910ELNS1_3gpuE8ELNS1_3repE0EEENS1_52radix_sort_onesweep_histogram_config_static_selectorELNS0_4arch9wavefront6targetE1EEEvSI_,@function
_ZN7rocprim17ROCPRIM_400000_NS6detail17trampoline_kernelINS0_14default_configENS1_35radix_sort_onesweep_config_selectorIsNS0_10empty_typeEEEZNS1_34radix_sort_onesweep_global_offsetsIS3_Lb0EN6thrust23THRUST_200600_302600_NS6detail15normal_iteratorINS9_10device_ptrIsEEEEPS5_jNS0_19identity_decomposerEEE10hipError_tT1_T2_PT3_SK_jT4_jjP12ihipStream_tbEUlT_E0_NS1_11comp_targetILNS1_3genE4ELNS1_11target_archE910ELNS1_3gpuE8ELNS1_3repE0EEENS1_52radix_sort_onesweep_histogram_config_static_selectorELNS0_4arch9wavefront6targetE1EEEvSI_: ; @_ZN7rocprim17ROCPRIM_400000_NS6detail17trampoline_kernelINS0_14default_configENS1_35radix_sort_onesweep_config_selectorIsNS0_10empty_typeEEEZNS1_34radix_sort_onesweep_global_offsetsIS3_Lb0EN6thrust23THRUST_200600_302600_NS6detail15normal_iteratorINS9_10device_ptrIsEEEEPS5_jNS0_19identity_decomposerEEE10hipError_tT1_T2_PT3_SK_jT4_jjP12ihipStream_tbEUlT_E0_NS1_11comp_targetILNS1_3genE4ELNS1_11target_archE910ELNS1_3gpuE8ELNS1_3repE0EEENS1_52radix_sort_onesweep_histogram_config_static_selectorELNS0_4arch9wavefront6targetE1EEEvSI_
; %bb.0:
	s_load_dwordx2 s[0:1], s[4:5], 0x0
	s_lshl_b32 s2, s6, 8
	s_mov_b32 s3, 0
	s_lshl_b64 s[2:3], s[2:3], 2
	v_lshlrev_b32_e32 v1, 2, v0
	s_waitcnt lgkmcnt(0)
	s_add_u32 s10, s0, s2
	s_movk_i32 s0, 0x100
	s_addc_u32 s11, s1, s3
	v_cmp_gt_u32_e32 vcc, s0, v0
                                        ; implicit-def: $vgpr3
	s_and_saveexec_b64 s[0:1], vcc
	s_cbranch_execz .LBB1936_2
; %bb.1:
	global_load_dword v3, v1, s[10:11]
.LBB1936_2:
	s_or_b64 exec, exec, s[0:1]
	v_mbcnt_lo_u32_b32 v2, -1, 0
	v_mbcnt_hi_u32_b32 v2, -1, v2
	v_and_b32_e32 v4, 15, v2
	s_waitcnt vmcnt(0)
	v_mov_b32_dpp v5, v3 row_shr:1 row_mask:0xf bank_mask:0xf
	v_cmp_eq_u32_e64 s[0:1], 0, v4
	v_cndmask_b32_e64 v5, v5, 0, s[0:1]
	v_add_u32_e32 v3, v5, v3
	v_cmp_lt_u32_e64 s[2:3], 1, v4
	v_cmp_lt_u32_e64 s[4:5], 3, v4
	v_mov_b32_dpp v5, v3 row_shr:2 row_mask:0xf bank_mask:0xf
	v_cndmask_b32_e64 v5, 0, v5, s[2:3]
	v_add_u32_e32 v3, v3, v5
	v_cmp_lt_u32_e64 s[6:7], 7, v4
	v_cmp_lt_u32_e64 s[8:9], 31, v2
	v_mov_b32_dpp v5, v3 row_shr:4 row_mask:0xf bank_mask:0xf
	v_cndmask_b32_e64 v5, 0, v5, s[4:5]
	v_add_u32_e32 v3, v3, v5
	s_nop 1
	v_mov_b32_dpp v5, v3 row_shr:8 row_mask:0xf bank_mask:0xf
	v_cndmask_b32_e64 v4, 0, v5, s[6:7]
	v_add_u32_e32 v3, v3, v4
	v_bfe_i32 v5, v2, 4, 1
	s_nop 0
	v_mov_b32_dpp v4, v3 row_bcast:15 row_mask:0xf bank_mask:0xf
	v_and_b32_e32 v4, v5, v4
	v_add_u32_e32 v3, v3, v4
	v_and_b32_e32 v5, 63, v0
	s_nop 0
	v_mov_b32_dpp v4, v3 row_bcast:31 row_mask:0xf bank_mask:0xf
	v_cndmask_b32_e64 v4, 0, v4, s[8:9]
	v_add_u32_e32 v3, v3, v4
	v_lshrrev_b32_e32 v4, 6, v0
	v_cmp_eq_u32_e64 s[8:9], 63, v5
	s_and_saveexec_b64 s[12:13], s[8:9]
	s_cbranch_execz .LBB1936_4
; %bb.3:
	v_lshlrev_b32_e32 v5, 2, v4
	ds_write_b32 v5, v3
.LBB1936_4:
	s_or_b64 exec, exec, s[12:13]
	v_cmp_gt_u32_e64 s[8:9], 16, v0
	s_waitcnt lgkmcnt(0)
	s_barrier
	s_and_saveexec_b64 s[12:13], s[8:9]
	s_cbranch_execz .LBB1936_6
; %bb.5:
	ds_read_b32 v5, v1
	s_waitcnt lgkmcnt(0)
	s_nop 0
	v_mov_b32_dpp v6, v5 row_shr:1 row_mask:0xf bank_mask:0xf
	v_cndmask_b32_e64 v6, v6, 0, s[0:1]
	v_add_u32_e32 v5, v6, v5
	s_nop 1
	v_mov_b32_dpp v6, v5 row_shr:2 row_mask:0xf bank_mask:0xf
	v_cndmask_b32_e64 v6, 0, v6, s[2:3]
	v_add_u32_e32 v5, v5, v6
	;; [unrolled: 4-line block ×4, first 2 shown]
	ds_write_b32 v1, v5
.LBB1936_6:
	s_or_b64 exec, exec, s[12:13]
	v_cmp_lt_u32_e64 s[0:1], 63, v0
	v_mov_b32_e32 v0, 0
	s_waitcnt lgkmcnt(0)
	s_barrier
	s_and_saveexec_b64 s[2:3], s[0:1]
	s_cbranch_execz .LBB1936_8
; %bb.7:
	v_lshl_add_u32 v0, v4, 2, -4
	ds_read_b32 v0, v0
.LBB1936_8:
	s_or_b64 exec, exec, s[2:3]
	v_add_u32_e32 v4, -1, v2
	v_and_b32_e32 v5, 64, v2
	v_cmp_lt_i32_e64 s[0:1], v4, v5
	v_cndmask_b32_e64 v4, v4, v2, s[0:1]
	s_waitcnt lgkmcnt(0)
	v_add_u32_e32 v3, v0, v3
	v_lshlrev_b32_e32 v4, 2, v4
	ds_bpermute_b32 v3, v4, v3
	s_and_saveexec_b64 s[0:1], vcc
	s_cbranch_execz .LBB1936_10
; %bb.9:
	v_cmp_eq_u32_e32 vcc, 0, v2
	s_waitcnt lgkmcnt(0)
	v_cndmask_b32_e32 v0, v3, v0, vcc
	global_store_dword v1, v0, s[10:11]
.LBB1936_10:
	s_endpgm
	.section	.rodata,"a",@progbits
	.p2align	6, 0x0
	.amdhsa_kernel _ZN7rocprim17ROCPRIM_400000_NS6detail17trampoline_kernelINS0_14default_configENS1_35radix_sort_onesweep_config_selectorIsNS0_10empty_typeEEEZNS1_34radix_sort_onesweep_global_offsetsIS3_Lb0EN6thrust23THRUST_200600_302600_NS6detail15normal_iteratorINS9_10device_ptrIsEEEEPS5_jNS0_19identity_decomposerEEE10hipError_tT1_T2_PT3_SK_jT4_jjP12ihipStream_tbEUlT_E0_NS1_11comp_targetILNS1_3genE4ELNS1_11target_archE910ELNS1_3gpuE8ELNS1_3repE0EEENS1_52radix_sort_onesweep_histogram_config_static_selectorELNS0_4arch9wavefront6targetE1EEEvSI_
		.amdhsa_group_segment_fixed_size 64
		.amdhsa_private_segment_fixed_size 0
		.amdhsa_kernarg_size 8
		.amdhsa_user_sgpr_count 6
		.amdhsa_user_sgpr_private_segment_buffer 1
		.amdhsa_user_sgpr_dispatch_ptr 0
		.amdhsa_user_sgpr_queue_ptr 0
		.amdhsa_user_sgpr_kernarg_segment_ptr 1
		.amdhsa_user_sgpr_dispatch_id 0
		.amdhsa_user_sgpr_flat_scratch_init 0
		.amdhsa_user_sgpr_kernarg_preload_length 0
		.amdhsa_user_sgpr_kernarg_preload_offset 0
		.amdhsa_user_sgpr_private_segment_size 0
		.amdhsa_uses_dynamic_stack 0
		.amdhsa_system_sgpr_private_segment_wavefront_offset 0
		.amdhsa_system_sgpr_workgroup_id_x 1
		.amdhsa_system_sgpr_workgroup_id_y 0
		.amdhsa_system_sgpr_workgroup_id_z 0
		.amdhsa_system_sgpr_workgroup_info 0
		.amdhsa_system_vgpr_workitem_id 0
		.amdhsa_next_free_vgpr 7
		.amdhsa_next_free_sgpr 14
		.amdhsa_accum_offset 8
		.amdhsa_reserve_vcc 1
		.amdhsa_reserve_flat_scratch 0
		.amdhsa_float_round_mode_32 0
		.amdhsa_float_round_mode_16_64 0
		.amdhsa_float_denorm_mode_32 3
		.amdhsa_float_denorm_mode_16_64 3
		.amdhsa_dx10_clamp 1
		.amdhsa_ieee_mode 1
		.amdhsa_fp16_overflow 0
		.amdhsa_tg_split 0
		.amdhsa_exception_fp_ieee_invalid_op 0
		.amdhsa_exception_fp_denorm_src 0
		.amdhsa_exception_fp_ieee_div_zero 0
		.amdhsa_exception_fp_ieee_overflow 0
		.amdhsa_exception_fp_ieee_underflow 0
		.amdhsa_exception_fp_ieee_inexact 0
		.amdhsa_exception_int_div_zero 0
	.end_amdhsa_kernel
	.section	.text._ZN7rocprim17ROCPRIM_400000_NS6detail17trampoline_kernelINS0_14default_configENS1_35radix_sort_onesweep_config_selectorIsNS0_10empty_typeEEEZNS1_34radix_sort_onesweep_global_offsetsIS3_Lb0EN6thrust23THRUST_200600_302600_NS6detail15normal_iteratorINS9_10device_ptrIsEEEEPS5_jNS0_19identity_decomposerEEE10hipError_tT1_T2_PT3_SK_jT4_jjP12ihipStream_tbEUlT_E0_NS1_11comp_targetILNS1_3genE4ELNS1_11target_archE910ELNS1_3gpuE8ELNS1_3repE0EEENS1_52radix_sort_onesweep_histogram_config_static_selectorELNS0_4arch9wavefront6targetE1EEEvSI_,"axG",@progbits,_ZN7rocprim17ROCPRIM_400000_NS6detail17trampoline_kernelINS0_14default_configENS1_35radix_sort_onesweep_config_selectorIsNS0_10empty_typeEEEZNS1_34radix_sort_onesweep_global_offsetsIS3_Lb0EN6thrust23THRUST_200600_302600_NS6detail15normal_iteratorINS9_10device_ptrIsEEEEPS5_jNS0_19identity_decomposerEEE10hipError_tT1_T2_PT3_SK_jT4_jjP12ihipStream_tbEUlT_E0_NS1_11comp_targetILNS1_3genE4ELNS1_11target_archE910ELNS1_3gpuE8ELNS1_3repE0EEENS1_52radix_sort_onesweep_histogram_config_static_selectorELNS0_4arch9wavefront6targetE1EEEvSI_,comdat
.Lfunc_end1936:
	.size	_ZN7rocprim17ROCPRIM_400000_NS6detail17trampoline_kernelINS0_14default_configENS1_35radix_sort_onesweep_config_selectorIsNS0_10empty_typeEEEZNS1_34radix_sort_onesweep_global_offsetsIS3_Lb0EN6thrust23THRUST_200600_302600_NS6detail15normal_iteratorINS9_10device_ptrIsEEEEPS5_jNS0_19identity_decomposerEEE10hipError_tT1_T2_PT3_SK_jT4_jjP12ihipStream_tbEUlT_E0_NS1_11comp_targetILNS1_3genE4ELNS1_11target_archE910ELNS1_3gpuE8ELNS1_3repE0EEENS1_52radix_sort_onesweep_histogram_config_static_selectorELNS0_4arch9wavefront6targetE1EEEvSI_, .Lfunc_end1936-_ZN7rocprim17ROCPRIM_400000_NS6detail17trampoline_kernelINS0_14default_configENS1_35radix_sort_onesweep_config_selectorIsNS0_10empty_typeEEEZNS1_34radix_sort_onesweep_global_offsetsIS3_Lb0EN6thrust23THRUST_200600_302600_NS6detail15normal_iteratorINS9_10device_ptrIsEEEEPS5_jNS0_19identity_decomposerEEE10hipError_tT1_T2_PT3_SK_jT4_jjP12ihipStream_tbEUlT_E0_NS1_11comp_targetILNS1_3genE4ELNS1_11target_archE910ELNS1_3gpuE8ELNS1_3repE0EEENS1_52radix_sort_onesweep_histogram_config_static_selectorELNS0_4arch9wavefront6targetE1EEEvSI_
                                        ; -- End function
	.section	.AMDGPU.csdata,"",@progbits
; Kernel info:
; codeLenInByte = 572
; NumSgprs: 18
; NumVgprs: 7
; NumAgprs: 0
; TotalNumVgprs: 7
; ScratchSize: 0
; MemoryBound: 0
; FloatMode: 240
; IeeeMode: 1
; LDSByteSize: 64 bytes/workgroup (compile time only)
; SGPRBlocks: 2
; VGPRBlocks: 0
; NumSGPRsForWavesPerEU: 18
; NumVGPRsForWavesPerEU: 7
; AccumOffset: 8
; Occupancy: 8
; WaveLimiterHint : 0
; COMPUTE_PGM_RSRC2:SCRATCH_EN: 0
; COMPUTE_PGM_RSRC2:USER_SGPR: 6
; COMPUTE_PGM_RSRC2:TRAP_HANDLER: 0
; COMPUTE_PGM_RSRC2:TGID_X_EN: 1
; COMPUTE_PGM_RSRC2:TGID_Y_EN: 0
; COMPUTE_PGM_RSRC2:TGID_Z_EN: 0
; COMPUTE_PGM_RSRC2:TIDIG_COMP_CNT: 0
; COMPUTE_PGM_RSRC3_GFX90A:ACCUM_OFFSET: 1
; COMPUTE_PGM_RSRC3_GFX90A:TG_SPLIT: 0
	.section	.text._ZN7rocprim17ROCPRIM_400000_NS6detail17trampoline_kernelINS0_14default_configENS1_35radix_sort_onesweep_config_selectorIsNS0_10empty_typeEEEZNS1_34radix_sort_onesweep_global_offsetsIS3_Lb0EN6thrust23THRUST_200600_302600_NS6detail15normal_iteratorINS9_10device_ptrIsEEEEPS5_jNS0_19identity_decomposerEEE10hipError_tT1_T2_PT3_SK_jT4_jjP12ihipStream_tbEUlT_E0_NS1_11comp_targetILNS1_3genE3ELNS1_11target_archE908ELNS1_3gpuE7ELNS1_3repE0EEENS1_52radix_sort_onesweep_histogram_config_static_selectorELNS0_4arch9wavefront6targetE1EEEvSI_,"axG",@progbits,_ZN7rocprim17ROCPRIM_400000_NS6detail17trampoline_kernelINS0_14default_configENS1_35radix_sort_onesweep_config_selectorIsNS0_10empty_typeEEEZNS1_34radix_sort_onesweep_global_offsetsIS3_Lb0EN6thrust23THRUST_200600_302600_NS6detail15normal_iteratorINS9_10device_ptrIsEEEEPS5_jNS0_19identity_decomposerEEE10hipError_tT1_T2_PT3_SK_jT4_jjP12ihipStream_tbEUlT_E0_NS1_11comp_targetILNS1_3genE3ELNS1_11target_archE908ELNS1_3gpuE7ELNS1_3repE0EEENS1_52radix_sort_onesweep_histogram_config_static_selectorELNS0_4arch9wavefront6targetE1EEEvSI_,comdat
	.protected	_ZN7rocprim17ROCPRIM_400000_NS6detail17trampoline_kernelINS0_14default_configENS1_35radix_sort_onesweep_config_selectorIsNS0_10empty_typeEEEZNS1_34radix_sort_onesweep_global_offsetsIS3_Lb0EN6thrust23THRUST_200600_302600_NS6detail15normal_iteratorINS9_10device_ptrIsEEEEPS5_jNS0_19identity_decomposerEEE10hipError_tT1_T2_PT3_SK_jT4_jjP12ihipStream_tbEUlT_E0_NS1_11comp_targetILNS1_3genE3ELNS1_11target_archE908ELNS1_3gpuE7ELNS1_3repE0EEENS1_52radix_sort_onesweep_histogram_config_static_selectorELNS0_4arch9wavefront6targetE1EEEvSI_ ; -- Begin function _ZN7rocprim17ROCPRIM_400000_NS6detail17trampoline_kernelINS0_14default_configENS1_35radix_sort_onesweep_config_selectorIsNS0_10empty_typeEEEZNS1_34radix_sort_onesweep_global_offsetsIS3_Lb0EN6thrust23THRUST_200600_302600_NS6detail15normal_iteratorINS9_10device_ptrIsEEEEPS5_jNS0_19identity_decomposerEEE10hipError_tT1_T2_PT3_SK_jT4_jjP12ihipStream_tbEUlT_E0_NS1_11comp_targetILNS1_3genE3ELNS1_11target_archE908ELNS1_3gpuE7ELNS1_3repE0EEENS1_52radix_sort_onesweep_histogram_config_static_selectorELNS0_4arch9wavefront6targetE1EEEvSI_
	.globl	_ZN7rocprim17ROCPRIM_400000_NS6detail17trampoline_kernelINS0_14default_configENS1_35radix_sort_onesweep_config_selectorIsNS0_10empty_typeEEEZNS1_34radix_sort_onesweep_global_offsetsIS3_Lb0EN6thrust23THRUST_200600_302600_NS6detail15normal_iteratorINS9_10device_ptrIsEEEEPS5_jNS0_19identity_decomposerEEE10hipError_tT1_T2_PT3_SK_jT4_jjP12ihipStream_tbEUlT_E0_NS1_11comp_targetILNS1_3genE3ELNS1_11target_archE908ELNS1_3gpuE7ELNS1_3repE0EEENS1_52radix_sort_onesweep_histogram_config_static_selectorELNS0_4arch9wavefront6targetE1EEEvSI_
	.p2align	8
	.type	_ZN7rocprim17ROCPRIM_400000_NS6detail17trampoline_kernelINS0_14default_configENS1_35radix_sort_onesweep_config_selectorIsNS0_10empty_typeEEEZNS1_34radix_sort_onesweep_global_offsetsIS3_Lb0EN6thrust23THRUST_200600_302600_NS6detail15normal_iteratorINS9_10device_ptrIsEEEEPS5_jNS0_19identity_decomposerEEE10hipError_tT1_T2_PT3_SK_jT4_jjP12ihipStream_tbEUlT_E0_NS1_11comp_targetILNS1_3genE3ELNS1_11target_archE908ELNS1_3gpuE7ELNS1_3repE0EEENS1_52radix_sort_onesweep_histogram_config_static_selectorELNS0_4arch9wavefront6targetE1EEEvSI_,@function
_ZN7rocprim17ROCPRIM_400000_NS6detail17trampoline_kernelINS0_14default_configENS1_35radix_sort_onesweep_config_selectorIsNS0_10empty_typeEEEZNS1_34radix_sort_onesweep_global_offsetsIS3_Lb0EN6thrust23THRUST_200600_302600_NS6detail15normal_iteratorINS9_10device_ptrIsEEEEPS5_jNS0_19identity_decomposerEEE10hipError_tT1_T2_PT3_SK_jT4_jjP12ihipStream_tbEUlT_E0_NS1_11comp_targetILNS1_3genE3ELNS1_11target_archE908ELNS1_3gpuE7ELNS1_3repE0EEENS1_52radix_sort_onesweep_histogram_config_static_selectorELNS0_4arch9wavefront6targetE1EEEvSI_: ; @_ZN7rocprim17ROCPRIM_400000_NS6detail17trampoline_kernelINS0_14default_configENS1_35radix_sort_onesweep_config_selectorIsNS0_10empty_typeEEEZNS1_34radix_sort_onesweep_global_offsetsIS3_Lb0EN6thrust23THRUST_200600_302600_NS6detail15normal_iteratorINS9_10device_ptrIsEEEEPS5_jNS0_19identity_decomposerEEE10hipError_tT1_T2_PT3_SK_jT4_jjP12ihipStream_tbEUlT_E0_NS1_11comp_targetILNS1_3genE3ELNS1_11target_archE908ELNS1_3gpuE7ELNS1_3repE0EEENS1_52radix_sort_onesweep_histogram_config_static_selectorELNS0_4arch9wavefront6targetE1EEEvSI_
; %bb.0:
	.section	.rodata,"a",@progbits
	.p2align	6, 0x0
	.amdhsa_kernel _ZN7rocprim17ROCPRIM_400000_NS6detail17trampoline_kernelINS0_14default_configENS1_35radix_sort_onesweep_config_selectorIsNS0_10empty_typeEEEZNS1_34radix_sort_onesweep_global_offsetsIS3_Lb0EN6thrust23THRUST_200600_302600_NS6detail15normal_iteratorINS9_10device_ptrIsEEEEPS5_jNS0_19identity_decomposerEEE10hipError_tT1_T2_PT3_SK_jT4_jjP12ihipStream_tbEUlT_E0_NS1_11comp_targetILNS1_3genE3ELNS1_11target_archE908ELNS1_3gpuE7ELNS1_3repE0EEENS1_52radix_sort_onesweep_histogram_config_static_selectorELNS0_4arch9wavefront6targetE1EEEvSI_
		.amdhsa_group_segment_fixed_size 0
		.amdhsa_private_segment_fixed_size 0
		.amdhsa_kernarg_size 8
		.amdhsa_user_sgpr_count 6
		.amdhsa_user_sgpr_private_segment_buffer 1
		.amdhsa_user_sgpr_dispatch_ptr 0
		.amdhsa_user_sgpr_queue_ptr 0
		.amdhsa_user_sgpr_kernarg_segment_ptr 1
		.amdhsa_user_sgpr_dispatch_id 0
		.amdhsa_user_sgpr_flat_scratch_init 0
		.amdhsa_user_sgpr_kernarg_preload_length 0
		.amdhsa_user_sgpr_kernarg_preload_offset 0
		.amdhsa_user_sgpr_private_segment_size 0
		.amdhsa_uses_dynamic_stack 0
		.amdhsa_system_sgpr_private_segment_wavefront_offset 0
		.amdhsa_system_sgpr_workgroup_id_x 1
		.amdhsa_system_sgpr_workgroup_id_y 0
		.amdhsa_system_sgpr_workgroup_id_z 0
		.amdhsa_system_sgpr_workgroup_info 0
		.amdhsa_system_vgpr_workitem_id 0
		.amdhsa_next_free_vgpr 1
		.amdhsa_next_free_sgpr 0
		.amdhsa_accum_offset 4
		.amdhsa_reserve_vcc 0
		.amdhsa_reserve_flat_scratch 0
		.amdhsa_float_round_mode_32 0
		.amdhsa_float_round_mode_16_64 0
		.amdhsa_float_denorm_mode_32 3
		.amdhsa_float_denorm_mode_16_64 3
		.amdhsa_dx10_clamp 1
		.amdhsa_ieee_mode 1
		.amdhsa_fp16_overflow 0
		.amdhsa_tg_split 0
		.amdhsa_exception_fp_ieee_invalid_op 0
		.amdhsa_exception_fp_denorm_src 0
		.amdhsa_exception_fp_ieee_div_zero 0
		.amdhsa_exception_fp_ieee_overflow 0
		.amdhsa_exception_fp_ieee_underflow 0
		.amdhsa_exception_fp_ieee_inexact 0
		.amdhsa_exception_int_div_zero 0
	.end_amdhsa_kernel
	.section	.text._ZN7rocprim17ROCPRIM_400000_NS6detail17trampoline_kernelINS0_14default_configENS1_35radix_sort_onesweep_config_selectorIsNS0_10empty_typeEEEZNS1_34radix_sort_onesweep_global_offsetsIS3_Lb0EN6thrust23THRUST_200600_302600_NS6detail15normal_iteratorINS9_10device_ptrIsEEEEPS5_jNS0_19identity_decomposerEEE10hipError_tT1_T2_PT3_SK_jT4_jjP12ihipStream_tbEUlT_E0_NS1_11comp_targetILNS1_3genE3ELNS1_11target_archE908ELNS1_3gpuE7ELNS1_3repE0EEENS1_52radix_sort_onesweep_histogram_config_static_selectorELNS0_4arch9wavefront6targetE1EEEvSI_,"axG",@progbits,_ZN7rocprim17ROCPRIM_400000_NS6detail17trampoline_kernelINS0_14default_configENS1_35radix_sort_onesweep_config_selectorIsNS0_10empty_typeEEEZNS1_34radix_sort_onesweep_global_offsetsIS3_Lb0EN6thrust23THRUST_200600_302600_NS6detail15normal_iteratorINS9_10device_ptrIsEEEEPS5_jNS0_19identity_decomposerEEE10hipError_tT1_T2_PT3_SK_jT4_jjP12ihipStream_tbEUlT_E0_NS1_11comp_targetILNS1_3genE3ELNS1_11target_archE908ELNS1_3gpuE7ELNS1_3repE0EEENS1_52radix_sort_onesweep_histogram_config_static_selectorELNS0_4arch9wavefront6targetE1EEEvSI_,comdat
.Lfunc_end1937:
	.size	_ZN7rocprim17ROCPRIM_400000_NS6detail17trampoline_kernelINS0_14default_configENS1_35radix_sort_onesweep_config_selectorIsNS0_10empty_typeEEEZNS1_34radix_sort_onesweep_global_offsetsIS3_Lb0EN6thrust23THRUST_200600_302600_NS6detail15normal_iteratorINS9_10device_ptrIsEEEEPS5_jNS0_19identity_decomposerEEE10hipError_tT1_T2_PT3_SK_jT4_jjP12ihipStream_tbEUlT_E0_NS1_11comp_targetILNS1_3genE3ELNS1_11target_archE908ELNS1_3gpuE7ELNS1_3repE0EEENS1_52radix_sort_onesweep_histogram_config_static_selectorELNS0_4arch9wavefront6targetE1EEEvSI_, .Lfunc_end1937-_ZN7rocprim17ROCPRIM_400000_NS6detail17trampoline_kernelINS0_14default_configENS1_35radix_sort_onesweep_config_selectorIsNS0_10empty_typeEEEZNS1_34radix_sort_onesweep_global_offsetsIS3_Lb0EN6thrust23THRUST_200600_302600_NS6detail15normal_iteratorINS9_10device_ptrIsEEEEPS5_jNS0_19identity_decomposerEEE10hipError_tT1_T2_PT3_SK_jT4_jjP12ihipStream_tbEUlT_E0_NS1_11comp_targetILNS1_3genE3ELNS1_11target_archE908ELNS1_3gpuE7ELNS1_3repE0EEENS1_52radix_sort_onesweep_histogram_config_static_selectorELNS0_4arch9wavefront6targetE1EEEvSI_
                                        ; -- End function
	.section	.AMDGPU.csdata,"",@progbits
; Kernel info:
; codeLenInByte = 0
; NumSgprs: 4
; NumVgprs: 0
; NumAgprs: 0
; TotalNumVgprs: 0
; ScratchSize: 0
; MemoryBound: 0
; FloatMode: 240
; IeeeMode: 1
; LDSByteSize: 0 bytes/workgroup (compile time only)
; SGPRBlocks: 0
; VGPRBlocks: 0
; NumSGPRsForWavesPerEU: 4
; NumVGPRsForWavesPerEU: 1
; AccumOffset: 4
; Occupancy: 8
; WaveLimiterHint : 0
; COMPUTE_PGM_RSRC2:SCRATCH_EN: 0
; COMPUTE_PGM_RSRC2:USER_SGPR: 6
; COMPUTE_PGM_RSRC2:TRAP_HANDLER: 0
; COMPUTE_PGM_RSRC2:TGID_X_EN: 1
; COMPUTE_PGM_RSRC2:TGID_Y_EN: 0
; COMPUTE_PGM_RSRC2:TGID_Z_EN: 0
; COMPUTE_PGM_RSRC2:TIDIG_COMP_CNT: 0
; COMPUTE_PGM_RSRC3_GFX90A:ACCUM_OFFSET: 0
; COMPUTE_PGM_RSRC3_GFX90A:TG_SPLIT: 0
	.section	.text._ZN7rocprim17ROCPRIM_400000_NS6detail17trampoline_kernelINS0_14default_configENS1_35radix_sort_onesweep_config_selectorIsNS0_10empty_typeEEEZNS1_34radix_sort_onesweep_global_offsetsIS3_Lb0EN6thrust23THRUST_200600_302600_NS6detail15normal_iteratorINS9_10device_ptrIsEEEEPS5_jNS0_19identity_decomposerEEE10hipError_tT1_T2_PT3_SK_jT4_jjP12ihipStream_tbEUlT_E0_NS1_11comp_targetILNS1_3genE10ELNS1_11target_archE1201ELNS1_3gpuE5ELNS1_3repE0EEENS1_52radix_sort_onesweep_histogram_config_static_selectorELNS0_4arch9wavefront6targetE1EEEvSI_,"axG",@progbits,_ZN7rocprim17ROCPRIM_400000_NS6detail17trampoline_kernelINS0_14default_configENS1_35radix_sort_onesweep_config_selectorIsNS0_10empty_typeEEEZNS1_34radix_sort_onesweep_global_offsetsIS3_Lb0EN6thrust23THRUST_200600_302600_NS6detail15normal_iteratorINS9_10device_ptrIsEEEEPS5_jNS0_19identity_decomposerEEE10hipError_tT1_T2_PT3_SK_jT4_jjP12ihipStream_tbEUlT_E0_NS1_11comp_targetILNS1_3genE10ELNS1_11target_archE1201ELNS1_3gpuE5ELNS1_3repE0EEENS1_52radix_sort_onesweep_histogram_config_static_selectorELNS0_4arch9wavefront6targetE1EEEvSI_,comdat
	.protected	_ZN7rocprim17ROCPRIM_400000_NS6detail17trampoline_kernelINS0_14default_configENS1_35radix_sort_onesweep_config_selectorIsNS0_10empty_typeEEEZNS1_34radix_sort_onesweep_global_offsetsIS3_Lb0EN6thrust23THRUST_200600_302600_NS6detail15normal_iteratorINS9_10device_ptrIsEEEEPS5_jNS0_19identity_decomposerEEE10hipError_tT1_T2_PT3_SK_jT4_jjP12ihipStream_tbEUlT_E0_NS1_11comp_targetILNS1_3genE10ELNS1_11target_archE1201ELNS1_3gpuE5ELNS1_3repE0EEENS1_52radix_sort_onesweep_histogram_config_static_selectorELNS0_4arch9wavefront6targetE1EEEvSI_ ; -- Begin function _ZN7rocprim17ROCPRIM_400000_NS6detail17trampoline_kernelINS0_14default_configENS1_35radix_sort_onesweep_config_selectorIsNS0_10empty_typeEEEZNS1_34radix_sort_onesweep_global_offsetsIS3_Lb0EN6thrust23THRUST_200600_302600_NS6detail15normal_iteratorINS9_10device_ptrIsEEEEPS5_jNS0_19identity_decomposerEEE10hipError_tT1_T2_PT3_SK_jT4_jjP12ihipStream_tbEUlT_E0_NS1_11comp_targetILNS1_3genE10ELNS1_11target_archE1201ELNS1_3gpuE5ELNS1_3repE0EEENS1_52radix_sort_onesweep_histogram_config_static_selectorELNS0_4arch9wavefront6targetE1EEEvSI_
	.globl	_ZN7rocprim17ROCPRIM_400000_NS6detail17trampoline_kernelINS0_14default_configENS1_35radix_sort_onesweep_config_selectorIsNS0_10empty_typeEEEZNS1_34radix_sort_onesweep_global_offsetsIS3_Lb0EN6thrust23THRUST_200600_302600_NS6detail15normal_iteratorINS9_10device_ptrIsEEEEPS5_jNS0_19identity_decomposerEEE10hipError_tT1_T2_PT3_SK_jT4_jjP12ihipStream_tbEUlT_E0_NS1_11comp_targetILNS1_3genE10ELNS1_11target_archE1201ELNS1_3gpuE5ELNS1_3repE0EEENS1_52radix_sort_onesweep_histogram_config_static_selectorELNS0_4arch9wavefront6targetE1EEEvSI_
	.p2align	8
	.type	_ZN7rocprim17ROCPRIM_400000_NS6detail17trampoline_kernelINS0_14default_configENS1_35radix_sort_onesweep_config_selectorIsNS0_10empty_typeEEEZNS1_34radix_sort_onesweep_global_offsetsIS3_Lb0EN6thrust23THRUST_200600_302600_NS6detail15normal_iteratorINS9_10device_ptrIsEEEEPS5_jNS0_19identity_decomposerEEE10hipError_tT1_T2_PT3_SK_jT4_jjP12ihipStream_tbEUlT_E0_NS1_11comp_targetILNS1_3genE10ELNS1_11target_archE1201ELNS1_3gpuE5ELNS1_3repE0EEENS1_52radix_sort_onesweep_histogram_config_static_selectorELNS0_4arch9wavefront6targetE1EEEvSI_,@function
_ZN7rocprim17ROCPRIM_400000_NS6detail17trampoline_kernelINS0_14default_configENS1_35radix_sort_onesweep_config_selectorIsNS0_10empty_typeEEEZNS1_34radix_sort_onesweep_global_offsetsIS3_Lb0EN6thrust23THRUST_200600_302600_NS6detail15normal_iteratorINS9_10device_ptrIsEEEEPS5_jNS0_19identity_decomposerEEE10hipError_tT1_T2_PT3_SK_jT4_jjP12ihipStream_tbEUlT_E0_NS1_11comp_targetILNS1_3genE10ELNS1_11target_archE1201ELNS1_3gpuE5ELNS1_3repE0EEENS1_52radix_sort_onesweep_histogram_config_static_selectorELNS0_4arch9wavefront6targetE1EEEvSI_: ; @_ZN7rocprim17ROCPRIM_400000_NS6detail17trampoline_kernelINS0_14default_configENS1_35radix_sort_onesweep_config_selectorIsNS0_10empty_typeEEEZNS1_34radix_sort_onesweep_global_offsetsIS3_Lb0EN6thrust23THRUST_200600_302600_NS6detail15normal_iteratorINS9_10device_ptrIsEEEEPS5_jNS0_19identity_decomposerEEE10hipError_tT1_T2_PT3_SK_jT4_jjP12ihipStream_tbEUlT_E0_NS1_11comp_targetILNS1_3genE10ELNS1_11target_archE1201ELNS1_3gpuE5ELNS1_3repE0EEENS1_52radix_sort_onesweep_histogram_config_static_selectorELNS0_4arch9wavefront6targetE1EEEvSI_
; %bb.0:
	.section	.rodata,"a",@progbits
	.p2align	6, 0x0
	.amdhsa_kernel _ZN7rocprim17ROCPRIM_400000_NS6detail17trampoline_kernelINS0_14default_configENS1_35radix_sort_onesweep_config_selectorIsNS0_10empty_typeEEEZNS1_34radix_sort_onesweep_global_offsetsIS3_Lb0EN6thrust23THRUST_200600_302600_NS6detail15normal_iteratorINS9_10device_ptrIsEEEEPS5_jNS0_19identity_decomposerEEE10hipError_tT1_T2_PT3_SK_jT4_jjP12ihipStream_tbEUlT_E0_NS1_11comp_targetILNS1_3genE10ELNS1_11target_archE1201ELNS1_3gpuE5ELNS1_3repE0EEENS1_52radix_sort_onesweep_histogram_config_static_selectorELNS0_4arch9wavefront6targetE1EEEvSI_
		.amdhsa_group_segment_fixed_size 0
		.amdhsa_private_segment_fixed_size 0
		.amdhsa_kernarg_size 8
		.amdhsa_user_sgpr_count 6
		.amdhsa_user_sgpr_private_segment_buffer 1
		.amdhsa_user_sgpr_dispatch_ptr 0
		.amdhsa_user_sgpr_queue_ptr 0
		.amdhsa_user_sgpr_kernarg_segment_ptr 1
		.amdhsa_user_sgpr_dispatch_id 0
		.amdhsa_user_sgpr_flat_scratch_init 0
		.amdhsa_user_sgpr_kernarg_preload_length 0
		.amdhsa_user_sgpr_kernarg_preload_offset 0
		.amdhsa_user_sgpr_private_segment_size 0
		.amdhsa_uses_dynamic_stack 0
		.amdhsa_system_sgpr_private_segment_wavefront_offset 0
		.amdhsa_system_sgpr_workgroup_id_x 1
		.amdhsa_system_sgpr_workgroup_id_y 0
		.amdhsa_system_sgpr_workgroup_id_z 0
		.amdhsa_system_sgpr_workgroup_info 0
		.amdhsa_system_vgpr_workitem_id 0
		.amdhsa_next_free_vgpr 1
		.amdhsa_next_free_sgpr 0
		.amdhsa_accum_offset 4
		.amdhsa_reserve_vcc 0
		.amdhsa_reserve_flat_scratch 0
		.amdhsa_float_round_mode_32 0
		.amdhsa_float_round_mode_16_64 0
		.amdhsa_float_denorm_mode_32 3
		.amdhsa_float_denorm_mode_16_64 3
		.amdhsa_dx10_clamp 1
		.amdhsa_ieee_mode 1
		.amdhsa_fp16_overflow 0
		.amdhsa_tg_split 0
		.amdhsa_exception_fp_ieee_invalid_op 0
		.amdhsa_exception_fp_denorm_src 0
		.amdhsa_exception_fp_ieee_div_zero 0
		.amdhsa_exception_fp_ieee_overflow 0
		.amdhsa_exception_fp_ieee_underflow 0
		.amdhsa_exception_fp_ieee_inexact 0
		.amdhsa_exception_int_div_zero 0
	.end_amdhsa_kernel
	.section	.text._ZN7rocprim17ROCPRIM_400000_NS6detail17trampoline_kernelINS0_14default_configENS1_35radix_sort_onesweep_config_selectorIsNS0_10empty_typeEEEZNS1_34radix_sort_onesweep_global_offsetsIS3_Lb0EN6thrust23THRUST_200600_302600_NS6detail15normal_iteratorINS9_10device_ptrIsEEEEPS5_jNS0_19identity_decomposerEEE10hipError_tT1_T2_PT3_SK_jT4_jjP12ihipStream_tbEUlT_E0_NS1_11comp_targetILNS1_3genE10ELNS1_11target_archE1201ELNS1_3gpuE5ELNS1_3repE0EEENS1_52radix_sort_onesweep_histogram_config_static_selectorELNS0_4arch9wavefront6targetE1EEEvSI_,"axG",@progbits,_ZN7rocprim17ROCPRIM_400000_NS6detail17trampoline_kernelINS0_14default_configENS1_35radix_sort_onesweep_config_selectorIsNS0_10empty_typeEEEZNS1_34radix_sort_onesweep_global_offsetsIS3_Lb0EN6thrust23THRUST_200600_302600_NS6detail15normal_iteratorINS9_10device_ptrIsEEEEPS5_jNS0_19identity_decomposerEEE10hipError_tT1_T2_PT3_SK_jT4_jjP12ihipStream_tbEUlT_E0_NS1_11comp_targetILNS1_3genE10ELNS1_11target_archE1201ELNS1_3gpuE5ELNS1_3repE0EEENS1_52radix_sort_onesweep_histogram_config_static_selectorELNS0_4arch9wavefront6targetE1EEEvSI_,comdat
.Lfunc_end1938:
	.size	_ZN7rocprim17ROCPRIM_400000_NS6detail17trampoline_kernelINS0_14default_configENS1_35radix_sort_onesweep_config_selectorIsNS0_10empty_typeEEEZNS1_34radix_sort_onesweep_global_offsetsIS3_Lb0EN6thrust23THRUST_200600_302600_NS6detail15normal_iteratorINS9_10device_ptrIsEEEEPS5_jNS0_19identity_decomposerEEE10hipError_tT1_T2_PT3_SK_jT4_jjP12ihipStream_tbEUlT_E0_NS1_11comp_targetILNS1_3genE10ELNS1_11target_archE1201ELNS1_3gpuE5ELNS1_3repE0EEENS1_52radix_sort_onesweep_histogram_config_static_selectorELNS0_4arch9wavefront6targetE1EEEvSI_, .Lfunc_end1938-_ZN7rocprim17ROCPRIM_400000_NS6detail17trampoline_kernelINS0_14default_configENS1_35radix_sort_onesweep_config_selectorIsNS0_10empty_typeEEEZNS1_34radix_sort_onesweep_global_offsetsIS3_Lb0EN6thrust23THRUST_200600_302600_NS6detail15normal_iteratorINS9_10device_ptrIsEEEEPS5_jNS0_19identity_decomposerEEE10hipError_tT1_T2_PT3_SK_jT4_jjP12ihipStream_tbEUlT_E0_NS1_11comp_targetILNS1_3genE10ELNS1_11target_archE1201ELNS1_3gpuE5ELNS1_3repE0EEENS1_52radix_sort_onesweep_histogram_config_static_selectorELNS0_4arch9wavefront6targetE1EEEvSI_
                                        ; -- End function
	.section	.AMDGPU.csdata,"",@progbits
; Kernel info:
; codeLenInByte = 0
; NumSgprs: 4
; NumVgprs: 0
; NumAgprs: 0
; TotalNumVgprs: 0
; ScratchSize: 0
; MemoryBound: 0
; FloatMode: 240
; IeeeMode: 1
; LDSByteSize: 0 bytes/workgroup (compile time only)
; SGPRBlocks: 0
; VGPRBlocks: 0
; NumSGPRsForWavesPerEU: 4
; NumVGPRsForWavesPerEU: 1
; AccumOffset: 4
; Occupancy: 8
; WaveLimiterHint : 0
; COMPUTE_PGM_RSRC2:SCRATCH_EN: 0
; COMPUTE_PGM_RSRC2:USER_SGPR: 6
; COMPUTE_PGM_RSRC2:TRAP_HANDLER: 0
; COMPUTE_PGM_RSRC2:TGID_X_EN: 1
; COMPUTE_PGM_RSRC2:TGID_Y_EN: 0
; COMPUTE_PGM_RSRC2:TGID_Z_EN: 0
; COMPUTE_PGM_RSRC2:TIDIG_COMP_CNT: 0
; COMPUTE_PGM_RSRC3_GFX90A:ACCUM_OFFSET: 0
; COMPUTE_PGM_RSRC3_GFX90A:TG_SPLIT: 0
	.section	.text._ZN7rocprim17ROCPRIM_400000_NS6detail17trampoline_kernelINS0_14default_configENS1_35radix_sort_onesweep_config_selectorIsNS0_10empty_typeEEEZNS1_34radix_sort_onesweep_global_offsetsIS3_Lb0EN6thrust23THRUST_200600_302600_NS6detail15normal_iteratorINS9_10device_ptrIsEEEEPS5_jNS0_19identity_decomposerEEE10hipError_tT1_T2_PT3_SK_jT4_jjP12ihipStream_tbEUlT_E0_NS1_11comp_targetILNS1_3genE9ELNS1_11target_archE1100ELNS1_3gpuE3ELNS1_3repE0EEENS1_52radix_sort_onesweep_histogram_config_static_selectorELNS0_4arch9wavefront6targetE1EEEvSI_,"axG",@progbits,_ZN7rocprim17ROCPRIM_400000_NS6detail17trampoline_kernelINS0_14default_configENS1_35radix_sort_onesweep_config_selectorIsNS0_10empty_typeEEEZNS1_34radix_sort_onesweep_global_offsetsIS3_Lb0EN6thrust23THRUST_200600_302600_NS6detail15normal_iteratorINS9_10device_ptrIsEEEEPS5_jNS0_19identity_decomposerEEE10hipError_tT1_T2_PT3_SK_jT4_jjP12ihipStream_tbEUlT_E0_NS1_11comp_targetILNS1_3genE9ELNS1_11target_archE1100ELNS1_3gpuE3ELNS1_3repE0EEENS1_52radix_sort_onesweep_histogram_config_static_selectorELNS0_4arch9wavefront6targetE1EEEvSI_,comdat
	.protected	_ZN7rocprim17ROCPRIM_400000_NS6detail17trampoline_kernelINS0_14default_configENS1_35radix_sort_onesweep_config_selectorIsNS0_10empty_typeEEEZNS1_34radix_sort_onesweep_global_offsetsIS3_Lb0EN6thrust23THRUST_200600_302600_NS6detail15normal_iteratorINS9_10device_ptrIsEEEEPS5_jNS0_19identity_decomposerEEE10hipError_tT1_T2_PT3_SK_jT4_jjP12ihipStream_tbEUlT_E0_NS1_11comp_targetILNS1_3genE9ELNS1_11target_archE1100ELNS1_3gpuE3ELNS1_3repE0EEENS1_52radix_sort_onesweep_histogram_config_static_selectorELNS0_4arch9wavefront6targetE1EEEvSI_ ; -- Begin function _ZN7rocprim17ROCPRIM_400000_NS6detail17trampoline_kernelINS0_14default_configENS1_35radix_sort_onesweep_config_selectorIsNS0_10empty_typeEEEZNS1_34radix_sort_onesweep_global_offsetsIS3_Lb0EN6thrust23THRUST_200600_302600_NS6detail15normal_iteratorINS9_10device_ptrIsEEEEPS5_jNS0_19identity_decomposerEEE10hipError_tT1_T2_PT3_SK_jT4_jjP12ihipStream_tbEUlT_E0_NS1_11comp_targetILNS1_3genE9ELNS1_11target_archE1100ELNS1_3gpuE3ELNS1_3repE0EEENS1_52radix_sort_onesweep_histogram_config_static_selectorELNS0_4arch9wavefront6targetE1EEEvSI_
	.globl	_ZN7rocprim17ROCPRIM_400000_NS6detail17trampoline_kernelINS0_14default_configENS1_35radix_sort_onesweep_config_selectorIsNS0_10empty_typeEEEZNS1_34radix_sort_onesweep_global_offsetsIS3_Lb0EN6thrust23THRUST_200600_302600_NS6detail15normal_iteratorINS9_10device_ptrIsEEEEPS5_jNS0_19identity_decomposerEEE10hipError_tT1_T2_PT3_SK_jT4_jjP12ihipStream_tbEUlT_E0_NS1_11comp_targetILNS1_3genE9ELNS1_11target_archE1100ELNS1_3gpuE3ELNS1_3repE0EEENS1_52radix_sort_onesweep_histogram_config_static_selectorELNS0_4arch9wavefront6targetE1EEEvSI_
	.p2align	8
	.type	_ZN7rocprim17ROCPRIM_400000_NS6detail17trampoline_kernelINS0_14default_configENS1_35radix_sort_onesweep_config_selectorIsNS0_10empty_typeEEEZNS1_34radix_sort_onesweep_global_offsetsIS3_Lb0EN6thrust23THRUST_200600_302600_NS6detail15normal_iteratorINS9_10device_ptrIsEEEEPS5_jNS0_19identity_decomposerEEE10hipError_tT1_T2_PT3_SK_jT4_jjP12ihipStream_tbEUlT_E0_NS1_11comp_targetILNS1_3genE9ELNS1_11target_archE1100ELNS1_3gpuE3ELNS1_3repE0EEENS1_52radix_sort_onesweep_histogram_config_static_selectorELNS0_4arch9wavefront6targetE1EEEvSI_,@function
_ZN7rocprim17ROCPRIM_400000_NS6detail17trampoline_kernelINS0_14default_configENS1_35radix_sort_onesweep_config_selectorIsNS0_10empty_typeEEEZNS1_34radix_sort_onesweep_global_offsetsIS3_Lb0EN6thrust23THRUST_200600_302600_NS6detail15normal_iteratorINS9_10device_ptrIsEEEEPS5_jNS0_19identity_decomposerEEE10hipError_tT1_T2_PT3_SK_jT4_jjP12ihipStream_tbEUlT_E0_NS1_11comp_targetILNS1_3genE9ELNS1_11target_archE1100ELNS1_3gpuE3ELNS1_3repE0EEENS1_52radix_sort_onesweep_histogram_config_static_selectorELNS0_4arch9wavefront6targetE1EEEvSI_: ; @_ZN7rocprim17ROCPRIM_400000_NS6detail17trampoline_kernelINS0_14default_configENS1_35radix_sort_onesweep_config_selectorIsNS0_10empty_typeEEEZNS1_34radix_sort_onesweep_global_offsetsIS3_Lb0EN6thrust23THRUST_200600_302600_NS6detail15normal_iteratorINS9_10device_ptrIsEEEEPS5_jNS0_19identity_decomposerEEE10hipError_tT1_T2_PT3_SK_jT4_jjP12ihipStream_tbEUlT_E0_NS1_11comp_targetILNS1_3genE9ELNS1_11target_archE1100ELNS1_3gpuE3ELNS1_3repE0EEENS1_52radix_sort_onesweep_histogram_config_static_selectorELNS0_4arch9wavefront6targetE1EEEvSI_
; %bb.0:
	.section	.rodata,"a",@progbits
	.p2align	6, 0x0
	.amdhsa_kernel _ZN7rocprim17ROCPRIM_400000_NS6detail17trampoline_kernelINS0_14default_configENS1_35radix_sort_onesweep_config_selectorIsNS0_10empty_typeEEEZNS1_34radix_sort_onesweep_global_offsetsIS3_Lb0EN6thrust23THRUST_200600_302600_NS6detail15normal_iteratorINS9_10device_ptrIsEEEEPS5_jNS0_19identity_decomposerEEE10hipError_tT1_T2_PT3_SK_jT4_jjP12ihipStream_tbEUlT_E0_NS1_11comp_targetILNS1_3genE9ELNS1_11target_archE1100ELNS1_3gpuE3ELNS1_3repE0EEENS1_52radix_sort_onesweep_histogram_config_static_selectorELNS0_4arch9wavefront6targetE1EEEvSI_
		.amdhsa_group_segment_fixed_size 0
		.amdhsa_private_segment_fixed_size 0
		.amdhsa_kernarg_size 8
		.amdhsa_user_sgpr_count 6
		.amdhsa_user_sgpr_private_segment_buffer 1
		.amdhsa_user_sgpr_dispatch_ptr 0
		.amdhsa_user_sgpr_queue_ptr 0
		.amdhsa_user_sgpr_kernarg_segment_ptr 1
		.amdhsa_user_sgpr_dispatch_id 0
		.amdhsa_user_sgpr_flat_scratch_init 0
		.amdhsa_user_sgpr_kernarg_preload_length 0
		.amdhsa_user_sgpr_kernarg_preload_offset 0
		.amdhsa_user_sgpr_private_segment_size 0
		.amdhsa_uses_dynamic_stack 0
		.amdhsa_system_sgpr_private_segment_wavefront_offset 0
		.amdhsa_system_sgpr_workgroup_id_x 1
		.amdhsa_system_sgpr_workgroup_id_y 0
		.amdhsa_system_sgpr_workgroup_id_z 0
		.amdhsa_system_sgpr_workgroup_info 0
		.amdhsa_system_vgpr_workitem_id 0
		.amdhsa_next_free_vgpr 1
		.amdhsa_next_free_sgpr 0
		.amdhsa_accum_offset 4
		.amdhsa_reserve_vcc 0
		.amdhsa_reserve_flat_scratch 0
		.amdhsa_float_round_mode_32 0
		.amdhsa_float_round_mode_16_64 0
		.amdhsa_float_denorm_mode_32 3
		.amdhsa_float_denorm_mode_16_64 3
		.amdhsa_dx10_clamp 1
		.amdhsa_ieee_mode 1
		.amdhsa_fp16_overflow 0
		.amdhsa_tg_split 0
		.amdhsa_exception_fp_ieee_invalid_op 0
		.amdhsa_exception_fp_denorm_src 0
		.amdhsa_exception_fp_ieee_div_zero 0
		.amdhsa_exception_fp_ieee_overflow 0
		.amdhsa_exception_fp_ieee_underflow 0
		.amdhsa_exception_fp_ieee_inexact 0
		.amdhsa_exception_int_div_zero 0
	.end_amdhsa_kernel
	.section	.text._ZN7rocprim17ROCPRIM_400000_NS6detail17trampoline_kernelINS0_14default_configENS1_35radix_sort_onesweep_config_selectorIsNS0_10empty_typeEEEZNS1_34radix_sort_onesweep_global_offsetsIS3_Lb0EN6thrust23THRUST_200600_302600_NS6detail15normal_iteratorINS9_10device_ptrIsEEEEPS5_jNS0_19identity_decomposerEEE10hipError_tT1_T2_PT3_SK_jT4_jjP12ihipStream_tbEUlT_E0_NS1_11comp_targetILNS1_3genE9ELNS1_11target_archE1100ELNS1_3gpuE3ELNS1_3repE0EEENS1_52radix_sort_onesweep_histogram_config_static_selectorELNS0_4arch9wavefront6targetE1EEEvSI_,"axG",@progbits,_ZN7rocprim17ROCPRIM_400000_NS6detail17trampoline_kernelINS0_14default_configENS1_35radix_sort_onesweep_config_selectorIsNS0_10empty_typeEEEZNS1_34radix_sort_onesweep_global_offsetsIS3_Lb0EN6thrust23THRUST_200600_302600_NS6detail15normal_iteratorINS9_10device_ptrIsEEEEPS5_jNS0_19identity_decomposerEEE10hipError_tT1_T2_PT3_SK_jT4_jjP12ihipStream_tbEUlT_E0_NS1_11comp_targetILNS1_3genE9ELNS1_11target_archE1100ELNS1_3gpuE3ELNS1_3repE0EEENS1_52radix_sort_onesweep_histogram_config_static_selectorELNS0_4arch9wavefront6targetE1EEEvSI_,comdat
.Lfunc_end1939:
	.size	_ZN7rocprim17ROCPRIM_400000_NS6detail17trampoline_kernelINS0_14default_configENS1_35radix_sort_onesweep_config_selectorIsNS0_10empty_typeEEEZNS1_34radix_sort_onesweep_global_offsetsIS3_Lb0EN6thrust23THRUST_200600_302600_NS6detail15normal_iteratorINS9_10device_ptrIsEEEEPS5_jNS0_19identity_decomposerEEE10hipError_tT1_T2_PT3_SK_jT4_jjP12ihipStream_tbEUlT_E0_NS1_11comp_targetILNS1_3genE9ELNS1_11target_archE1100ELNS1_3gpuE3ELNS1_3repE0EEENS1_52radix_sort_onesweep_histogram_config_static_selectorELNS0_4arch9wavefront6targetE1EEEvSI_, .Lfunc_end1939-_ZN7rocprim17ROCPRIM_400000_NS6detail17trampoline_kernelINS0_14default_configENS1_35radix_sort_onesweep_config_selectorIsNS0_10empty_typeEEEZNS1_34radix_sort_onesweep_global_offsetsIS3_Lb0EN6thrust23THRUST_200600_302600_NS6detail15normal_iteratorINS9_10device_ptrIsEEEEPS5_jNS0_19identity_decomposerEEE10hipError_tT1_T2_PT3_SK_jT4_jjP12ihipStream_tbEUlT_E0_NS1_11comp_targetILNS1_3genE9ELNS1_11target_archE1100ELNS1_3gpuE3ELNS1_3repE0EEENS1_52radix_sort_onesweep_histogram_config_static_selectorELNS0_4arch9wavefront6targetE1EEEvSI_
                                        ; -- End function
	.section	.AMDGPU.csdata,"",@progbits
; Kernel info:
; codeLenInByte = 0
; NumSgprs: 4
; NumVgprs: 0
; NumAgprs: 0
; TotalNumVgprs: 0
; ScratchSize: 0
; MemoryBound: 0
; FloatMode: 240
; IeeeMode: 1
; LDSByteSize: 0 bytes/workgroup (compile time only)
; SGPRBlocks: 0
; VGPRBlocks: 0
; NumSGPRsForWavesPerEU: 4
; NumVGPRsForWavesPerEU: 1
; AccumOffset: 4
; Occupancy: 8
; WaveLimiterHint : 0
; COMPUTE_PGM_RSRC2:SCRATCH_EN: 0
; COMPUTE_PGM_RSRC2:USER_SGPR: 6
; COMPUTE_PGM_RSRC2:TRAP_HANDLER: 0
; COMPUTE_PGM_RSRC2:TGID_X_EN: 1
; COMPUTE_PGM_RSRC2:TGID_Y_EN: 0
; COMPUTE_PGM_RSRC2:TGID_Z_EN: 0
; COMPUTE_PGM_RSRC2:TIDIG_COMP_CNT: 0
; COMPUTE_PGM_RSRC3_GFX90A:ACCUM_OFFSET: 0
; COMPUTE_PGM_RSRC3_GFX90A:TG_SPLIT: 0
	.section	.text._ZN7rocprim17ROCPRIM_400000_NS6detail17trampoline_kernelINS0_14default_configENS1_35radix_sort_onesweep_config_selectorIsNS0_10empty_typeEEEZNS1_34radix_sort_onesweep_global_offsetsIS3_Lb0EN6thrust23THRUST_200600_302600_NS6detail15normal_iteratorINS9_10device_ptrIsEEEEPS5_jNS0_19identity_decomposerEEE10hipError_tT1_T2_PT3_SK_jT4_jjP12ihipStream_tbEUlT_E0_NS1_11comp_targetILNS1_3genE8ELNS1_11target_archE1030ELNS1_3gpuE2ELNS1_3repE0EEENS1_52radix_sort_onesweep_histogram_config_static_selectorELNS0_4arch9wavefront6targetE1EEEvSI_,"axG",@progbits,_ZN7rocprim17ROCPRIM_400000_NS6detail17trampoline_kernelINS0_14default_configENS1_35radix_sort_onesweep_config_selectorIsNS0_10empty_typeEEEZNS1_34radix_sort_onesweep_global_offsetsIS3_Lb0EN6thrust23THRUST_200600_302600_NS6detail15normal_iteratorINS9_10device_ptrIsEEEEPS5_jNS0_19identity_decomposerEEE10hipError_tT1_T2_PT3_SK_jT4_jjP12ihipStream_tbEUlT_E0_NS1_11comp_targetILNS1_3genE8ELNS1_11target_archE1030ELNS1_3gpuE2ELNS1_3repE0EEENS1_52radix_sort_onesweep_histogram_config_static_selectorELNS0_4arch9wavefront6targetE1EEEvSI_,comdat
	.protected	_ZN7rocprim17ROCPRIM_400000_NS6detail17trampoline_kernelINS0_14default_configENS1_35radix_sort_onesweep_config_selectorIsNS0_10empty_typeEEEZNS1_34radix_sort_onesweep_global_offsetsIS3_Lb0EN6thrust23THRUST_200600_302600_NS6detail15normal_iteratorINS9_10device_ptrIsEEEEPS5_jNS0_19identity_decomposerEEE10hipError_tT1_T2_PT3_SK_jT4_jjP12ihipStream_tbEUlT_E0_NS1_11comp_targetILNS1_3genE8ELNS1_11target_archE1030ELNS1_3gpuE2ELNS1_3repE0EEENS1_52radix_sort_onesweep_histogram_config_static_selectorELNS0_4arch9wavefront6targetE1EEEvSI_ ; -- Begin function _ZN7rocprim17ROCPRIM_400000_NS6detail17trampoline_kernelINS0_14default_configENS1_35radix_sort_onesweep_config_selectorIsNS0_10empty_typeEEEZNS1_34radix_sort_onesweep_global_offsetsIS3_Lb0EN6thrust23THRUST_200600_302600_NS6detail15normal_iteratorINS9_10device_ptrIsEEEEPS5_jNS0_19identity_decomposerEEE10hipError_tT1_T2_PT3_SK_jT4_jjP12ihipStream_tbEUlT_E0_NS1_11comp_targetILNS1_3genE8ELNS1_11target_archE1030ELNS1_3gpuE2ELNS1_3repE0EEENS1_52radix_sort_onesweep_histogram_config_static_selectorELNS0_4arch9wavefront6targetE1EEEvSI_
	.globl	_ZN7rocprim17ROCPRIM_400000_NS6detail17trampoline_kernelINS0_14default_configENS1_35radix_sort_onesweep_config_selectorIsNS0_10empty_typeEEEZNS1_34radix_sort_onesweep_global_offsetsIS3_Lb0EN6thrust23THRUST_200600_302600_NS6detail15normal_iteratorINS9_10device_ptrIsEEEEPS5_jNS0_19identity_decomposerEEE10hipError_tT1_T2_PT3_SK_jT4_jjP12ihipStream_tbEUlT_E0_NS1_11comp_targetILNS1_3genE8ELNS1_11target_archE1030ELNS1_3gpuE2ELNS1_3repE0EEENS1_52radix_sort_onesweep_histogram_config_static_selectorELNS0_4arch9wavefront6targetE1EEEvSI_
	.p2align	8
	.type	_ZN7rocprim17ROCPRIM_400000_NS6detail17trampoline_kernelINS0_14default_configENS1_35radix_sort_onesweep_config_selectorIsNS0_10empty_typeEEEZNS1_34radix_sort_onesweep_global_offsetsIS3_Lb0EN6thrust23THRUST_200600_302600_NS6detail15normal_iteratorINS9_10device_ptrIsEEEEPS5_jNS0_19identity_decomposerEEE10hipError_tT1_T2_PT3_SK_jT4_jjP12ihipStream_tbEUlT_E0_NS1_11comp_targetILNS1_3genE8ELNS1_11target_archE1030ELNS1_3gpuE2ELNS1_3repE0EEENS1_52radix_sort_onesweep_histogram_config_static_selectorELNS0_4arch9wavefront6targetE1EEEvSI_,@function
_ZN7rocprim17ROCPRIM_400000_NS6detail17trampoline_kernelINS0_14default_configENS1_35radix_sort_onesweep_config_selectorIsNS0_10empty_typeEEEZNS1_34radix_sort_onesweep_global_offsetsIS3_Lb0EN6thrust23THRUST_200600_302600_NS6detail15normal_iteratorINS9_10device_ptrIsEEEEPS5_jNS0_19identity_decomposerEEE10hipError_tT1_T2_PT3_SK_jT4_jjP12ihipStream_tbEUlT_E0_NS1_11comp_targetILNS1_3genE8ELNS1_11target_archE1030ELNS1_3gpuE2ELNS1_3repE0EEENS1_52radix_sort_onesweep_histogram_config_static_selectorELNS0_4arch9wavefront6targetE1EEEvSI_: ; @_ZN7rocprim17ROCPRIM_400000_NS6detail17trampoline_kernelINS0_14default_configENS1_35radix_sort_onesweep_config_selectorIsNS0_10empty_typeEEEZNS1_34radix_sort_onesweep_global_offsetsIS3_Lb0EN6thrust23THRUST_200600_302600_NS6detail15normal_iteratorINS9_10device_ptrIsEEEEPS5_jNS0_19identity_decomposerEEE10hipError_tT1_T2_PT3_SK_jT4_jjP12ihipStream_tbEUlT_E0_NS1_11comp_targetILNS1_3genE8ELNS1_11target_archE1030ELNS1_3gpuE2ELNS1_3repE0EEENS1_52radix_sort_onesweep_histogram_config_static_selectorELNS0_4arch9wavefront6targetE1EEEvSI_
; %bb.0:
	.section	.rodata,"a",@progbits
	.p2align	6, 0x0
	.amdhsa_kernel _ZN7rocprim17ROCPRIM_400000_NS6detail17trampoline_kernelINS0_14default_configENS1_35radix_sort_onesweep_config_selectorIsNS0_10empty_typeEEEZNS1_34radix_sort_onesweep_global_offsetsIS3_Lb0EN6thrust23THRUST_200600_302600_NS6detail15normal_iteratorINS9_10device_ptrIsEEEEPS5_jNS0_19identity_decomposerEEE10hipError_tT1_T2_PT3_SK_jT4_jjP12ihipStream_tbEUlT_E0_NS1_11comp_targetILNS1_3genE8ELNS1_11target_archE1030ELNS1_3gpuE2ELNS1_3repE0EEENS1_52radix_sort_onesweep_histogram_config_static_selectorELNS0_4arch9wavefront6targetE1EEEvSI_
		.amdhsa_group_segment_fixed_size 0
		.amdhsa_private_segment_fixed_size 0
		.amdhsa_kernarg_size 8
		.amdhsa_user_sgpr_count 6
		.amdhsa_user_sgpr_private_segment_buffer 1
		.amdhsa_user_sgpr_dispatch_ptr 0
		.amdhsa_user_sgpr_queue_ptr 0
		.amdhsa_user_sgpr_kernarg_segment_ptr 1
		.amdhsa_user_sgpr_dispatch_id 0
		.amdhsa_user_sgpr_flat_scratch_init 0
		.amdhsa_user_sgpr_kernarg_preload_length 0
		.amdhsa_user_sgpr_kernarg_preload_offset 0
		.amdhsa_user_sgpr_private_segment_size 0
		.amdhsa_uses_dynamic_stack 0
		.amdhsa_system_sgpr_private_segment_wavefront_offset 0
		.amdhsa_system_sgpr_workgroup_id_x 1
		.amdhsa_system_sgpr_workgroup_id_y 0
		.amdhsa_system_sgpr_workgroup_id_z 0
		.amdhsa_system_sgpr_workgroup_info 0
		.amdhsa_system_vgpr_workitem_id 0
		.amdhsa_next_free_vgpr 1
		.amdhsa_next_free_sgpr 0
		.amdhsa_accum_offset 4
		.amdhsa_reserve_vcc 0
		.amdhsa_reserve_flat_scratch 0
		.amdhsa_float_round_mode_32 0
		.amdhsa_float_round_mode_16_64 0
		.amdhsa_float_denorm_mode_32 3
		.amdhsa_float_denorm_mode_16_64 3
		.amdhsa_dx10_clamp 1
		.amdhsa_ieee_mode 1
		.amdhsa_fp16_overflow 0
		.amdhsa_tg_split 0
		.amdhsa_exception_fp_ieee_invalid_op 0
		.amdhsa_exception_fp_denorm_src 0
		.amdhsa_exception_fp_ieee_div_zero 0
		.amdhsa_exception_fp_ieee_overflow 0
		.amdhsa_exception_fp_ieee_underflow 0
		.amdhsa_exception_fp_ieee_inexact 0
		.amdhsa_exception_int_div_zero 0
	.end_amdhsa_kernel
	.section	.text._ZN7rocprim17ROCPRIM_400000_NS6detail17trampoline_kernelINS0_14default_configENS1_35radix_sort_onesweep_config_selectorIsNS0_10empty_typeEEEZNS1_34radix_sort_onesweep_global_offsetsIS3_Lb0EN6thrust23THRUST_200600_302600_NS6detail15normal_iteratorINS9_10device_ptrIsEEEEPS5_jNS0_19identity_decomposerEEE10hipError_tT1_T2_PT3_SK_jT4_jjP12ihipStream_tbEUlT_E0_NS1_11comp_targetILNS1_3genE8ELNS1_11target_archE1030ELNS1_3gpuE2ELNS1_3repE0EEENS1_52radix_sort_onesweep_histogram_config_static_selectorELNS0_4arch9wavefront6targetE1EEEvSI_,"axG",@progbits,_ZN7rocprim17ROCPRIM_400000_NS6detail17trampoline_kernelINS0_14default_configENS1_35radix_sort_onesweep_config_selectorIsNS0_10empty_typeEEEZNS1_34radix_sort_onesweep_global_offsetsIS3_Lb0EN6thrust23THRUST_200600_302600_NS6detail15normal_iteratorINS9_10device_ptrIsEEEEPS5_jNS0_19identity_decomposerEEE10hipError_tT1_T2_PT3_SK_jT4_jjP12ihipStream_tbEUlT_E0_NS1_11comp_targetILNS1_3genE8ELNS1_11target_archE1030ELNS1_3gpuE2ELNS1_3repE0EEENS1_52radix_sort_onesweep_histogram_config_static_selectorELNS0_4arch9wavefront6targetE1EEEvSI_,comdat
.Lfunc_end1940:
	.size	_ZN7rocprim17ROCPRIM_400000_NS6detail17trampoline_kernelINS0_14default_configENS1_35radix_sort_onesweep_config_selectorIsNS0_10empty_typeEEEZNS1_34radix_sort_onesweep_global_offsetsIS3_Lb0EN6thrust23THRUST_200600_302600_NS6detail15normal_iteratorINS9_10device_ptrIsEEEEPS5_jNS0_19identity_decomposerEEE10hipError_tT1_T2_PT3_SK_jT4_jjP12ihipStream_tbEUlT_E0_NS1_11comp_targetILNS1_3genE8ELNS1_11target_archE1030ELNS1_3gpuE2ELNS1_3repE0EEENS1_52radix_sort_onesweep_histogram_config_static_selectorELNS0_4arch9wavefront6targetE1EEEvSI_, .Lfunc_end1940-_ZN7rocprim17ROCPRIM_400000_NS6detail17trampoline_kernelINS0_14default_configENS1_35radix_sort_onesweep_config_selectorIsNS0_10empty_typeEEEZNS1_34radix_sort_onesweep_global_offsetsIS3_Lb0EN6thrust23THRUST_200600_302600_NS6detail15normal_iteratorINS9_10device_ptrIsEEEEPS5_jNS0_19identity_decomposerEEE10hipError_tT1_T2_PT3_SK_jT4_jjP12ihipStream_tbEUlT_E0_NS1_11comp_targetILNS1_3genE8ELNS1_11target_archE1030ELNS1_3gpuE2ELNS1_3repE0EEENS1_52radix_sort_onesweep_histogram_config_static_selectorELNS0_4arch9wavefront6targetE1EEEvSI_
                                        ; -- End function
	.section	.AMDGPU.csdata,"",@progbits
; Kernel info:
; codeLenInByte = 0
; NumSgprs: 4
; NumVgprs: 0
; NumAgprs: 0
; TotalNumVgprs: 0
; ScratchSize: 0
; MemoryBound: 0
; FloatMode: 240
; IeeeMode: 1
; LDSByteSize: 0 bytes/workgroup (compile time only)
; SGPRBlocks: 0
; VGPRBlocks: 0
; NumSGPRsForWavesPerEU: 4
; NumVGPRsForWavesPerEU: 1
; AccumOffset: 4
; Occupancy: 8
; WaveLimiterHint : 0
; COMPUTE_PGM_RSRC2:SCRATCH_EN: 0
; COMPUTE_PGM_RSRC2:USER_SGPR: 6
; COMPUTE_PGM_RSRC2:TRAP_HANDLER: 0
; COMPUTE_PGM_RSRC2:TGID_X_EN: 1
; COMPUTE_PGM_RSRC2:TGID_Y_EN: 0
; COMPUTE_PGM_RSRC2:TGID_Z_EN: 0
; COMPUTE_PGM_RSRC2:TIDIG_COMP_CNT: 0
; COMPUTE_PGM_RSRC3_GFX90A:ACCUM_OFFSET: 0
; COMPUTE_PGM_RSRC3_GFX90A:TG_SPLIT: 0
	.section	.text._ZN7rocprim17ROCPRIM_400000_NS6detail17trampoline_kernelINS0_14default_configENS1_25transform_config_selectorIsLb0EEEZNS1_14transform_implILb0ES3_S5_N6thrust23THRUST_200600_302600_NS6detail15normal_iteratorINS8_10device_ptrIsEEEEPsNS0_8identityIsEEEE10hipError_tT2_T3_mT4_P12ihipStream_tbEUlT_E_NS1_11comp_targetILNS1_3genE0ELNS1_11target_archE4294967295ELNS1_3gpuE0ELNS1_3repE0EEENS1_30default_config_static_selectorELNS0_4arch9wavefront6targetE1EEEvT1_,"axG",@progbits,_ZN7rocprim17ROCPRIM_400000_NS6detail17trampoline_kernelINS0_14default_configENS1_25transform_config_selectorIsLb0EEEZNS1_14transform_implILb0ES3_S5_N6thrust23THRUST_200600_302600_NS6detail15normal_iteratorINS8_10device_ptrIsEEEEPsNS0_8identityIsEEEE10hipError_tT2_T3_mT4_P12ihipStream_tbEUlT_E_NS1_11comp_targetILNS1_3genE0ELNS1_11target_archE4294967295ELNS1_3gpuE0ELNS1_3repE0EEENS1_30default_config_static_selectorELNS0_4arch9wavefront6targetE1EEEvT1_,comdat
	.protected	_ZN7rocprim17ROCPRIM_400000_NS6detail17trampoline_kernelINS0_14default_configENS1_25transform_config_selectorIsLb0EEEZNS1_14transform_implILb0ES3_S5_N6thrust23THRUST_200600_302600_NS6detail15normal_iteratorINS8_10device_ptrIsEEEEPsNS0_8identityIsEEEE10hipError_tT2_T3_mT4_P12ihipStream_tbEUlT_E_NS1_11comp_targetILNS1_3genE0ELNS1_11target_archE4294967295ELNS1_3gpuE0ELNS1_3repE0EEENS1_30default_config_static_selectorELNS0_4arch9wavefront6targetE1EEEvT1_ ; -- Begin function _ZN7rocprim17ROCPRIM_400000_NS6detail17trampoline_kernelINS0_14default_configENS1_25transform_config_selectorIsLb0EEEZNS1_14transform_implILb0ES3_S5_N6thrust23THRUST_200600_302600_NS6detail15normal_iteratorINS8_10device_ptrIsEEEEPsNS0_8identityIsEEEE10hipError_tT2_T3_mT4_P12ihipStream_tbEUlT_E_NS1_11comp_targetILNS1_3genE0ELNS1_11target_archE4294967295ELNS1_3gpuE0ELNS1_3repE0EEENS1_30default_config_static_selectorELNS0_4arch9wavefront6targetE1EEEvT1_
	.globl	_ZN7rocprim17ROCPRIM_400000_NS6detail17trampoline_kernelINS0_14default_configENS1_25transform_config_selectorIsLb0EEEZNS1_14transform_implILb0ES3_S5_N6thrust23THRUST_200600_302600_NS6detail15normal_iteratorINS8_10device_ptrIsEEEEPsNS0_8identityIsEEEE10hipError_tT2_T3_mT4_P12ihipStream_tbEUlT_E_NS1_11comp_targetILNS1_3genE0ELNS1_11target_archE4294967295ELNS1_3gpuE0ELNS1_3repE0EEENS1_30default_config_static_selectorELNS0_4arch9wavefront6targetE1EEEvT1_
	.p2align	8
	.type	_ZN7rocprim17ROCPRIM_400000_NS6detail17trampoline_kernelINS0_14default_configENS1_25transform_config_selectorIsLb0EEEZNS1_14transform_implILb0ES3_S5_N6thrust23THRUST_200600_302600_NS6detail15normal_iteratorINS8_10device_ptrIsEEEEPsNS0_8identityIsEEEE10hipError_tT2_T3_mT4_P12ihipStream_tbEUlT_E_NS1_11comp_targetILNS1_3genE0ELNS1_11target_archE4294967295ELNS1_3gpuE0ELNS1_3repE0EEENS1_30default_config_static_selectorELNS0_4arch9wavefront6targetE1EEEvT1_,@function
_ZN7rocprim17ROCPRIM_400000_NS6detail17trampoline_kernelINS0_14default_configENS1_25transform_config_selectorIsLb0EEEZNS1_14transform_implILb0ES3_S5_N6thrust23THRUST_200600_302600_NS6detail15normal_iteratorINS8_10device_ptrIsEEEEPsNS0_8identityIsEEEE10hipError_tT2_T3_mT4_P12ihipStream_tbEUlT_E_NS1_11comp_targetILNS1_3genE0ELNS1_11target_archE4294967295ELNS1_3gpuE0ELNS1_3repE0EEENS1_30default_config_static_selectorELNS0_4arch9wavefront6targetE1EEEvT1_: ; @_ZN7rocprim17ROCPRIM_400000_NS6detail17trampoline_kernelINS0_14default_configENS1_25transform_config_selectorIsLb0EEEZNS1_14transform_implILb0ES3_S5_N6thrust23THRUST_200600_302600_NS6detail15normal_iteratorINS8_10device_ptrIsEEEEPsNS0_8identityIsEEEE10hipError_tT2_T3_mT4_P12ihipStream_tbEUlT_E_NS1_11comp_targetILNS1_3genE0ELNS1_11target_archE4294967295ELNS1_3gpuE0ELNS1_3repE0EEENS1_30default_config_static_selectorELNS0_4arch9wavefront6targetE1EEEvT1_
; %bb.0:
	.section	.rodata,"a",@progbits
	.p2align	6, 0x0
	.amdhsa_kernel _ZN7rocprim17ROCPRIM_400000_NS6detail17trampoline_kernelINS0_14default_configENS1_25transform_config_selectorIsLb0EEEZNS1_14transform_implILb0ES3_S5_N6thrust23THRUST_200600_302600_NS6detail15normal_iteratorINS8_10device_ptrIsEEEEPsNS0_8identityIsEEEE10hipError_tT2_T3_mT4_P12ihipStream_tbEUlT_E_NS1_11comp_targetILNS1_3genE0ELNS1_11target_archE4294967295ELNS1_3gpuE0ELNS1_3repE0EEENS1_30default_config_static_selectorELNS0_4arch9wavefront6targetE1EEEvT1_
		.amdhsa_group_segment_fixed_size 0
		.amdhsa_private_segment_fixed_size 0
		.amdhsa_kernarg_size 40
		.amdhsa_user_sgpr_count 6
		.amdhsa_user_sgpr_private_segment_buffer 1
		.amdhsa_user_sgpr_dispatch_ptr 0
		.amdhsa_user_sgpr_queue_ptr 0
		.amdhsa_user_sgpr_kernarg_segment_ptr 1
		.amdhsa_user_sgpr_dispatch_id 0
		.amdhsa_user_sgpr_flat_scratch_init 0
		.amdhsa_user_sgpr_kernarg_preload_length 0
		.amdhsa_user_sgpr_kernarg_preload_offset 0
		.amdhsa_user_sgpr_private_segment_size 0
		.amdhsa_uses_dynamic_stack 0
		.amdhsa_system_sgpr_private_segment_wavefront_offset 0
		.amdhsa_system_sgpr_workgroup_id_x 1
		.amdhsa_system_sgpr_workgroup_id_y 0
		.amdhsa_system_sgpr_workgroup_id_z 0
		.amdhsa_system_sgpr_workgroup_info 0
		.amdhsa_system_vgpr_workitem_id 0
		.amdhsa_next_free_vgpr 1
		.amdhsa_next_free_sgpr 0
		.amdhsa_accum_offset 4
		.amdhsa_reserve_vcc 0
		.amdhsa_reserve_flat_scratch 0
		.amdhsa_float_round_mode_32 0
		.amdhsa_float_round_mode_16_64 0
		.amdhsa_float_denorm_mode_32 3
		.amdhsa_float_denorm_mode_16_64 3
		.amdhsa_dx10_clamp 1
		.amdhsa_ieee_mode 1
		.amdhsa_fp16_overflow 0
		.amdhsa_tg_split 0
		.amdhsa_exception_fp_ieee_invalid_op 0
		.amdhsa_exception_fp_denorm_src 0
		.amdhsa_exception_fp_ieee_div_zero 0
		.amdhsa_exception_fp_ieee_overflow 0
		.amdhsa_exception_fp_ieee_underflow 0
		.amdhsa_exception_fp_ieee_inexact 0
		.amdhsa_exception_int_div_zero 0
	.end_amdhsa_kernel
	.section	.text._ZN7rocprim17ROCPRIM_400000_NS6detail17trampoline_kernelINS0_14default_configENS1_25transform_config_selectorIsLb0EEEZNS1_14transform_implILb0ES3_S5_N6thrust23THRUST_200600_302600_NS6detail15normal_iteratorINS8_10device_ptrIsEEEEPsNS0_8identityIsEEEE10hipError_tT2_T3_mT4_P12ihipStream_tbEUlT_E_NS1_11comp_targetILNS1_3genE0ELNS1_11target_archE4294967295ELNS1_3gpuE0ELNS1_3repE0EEENS1_30default_config_static_selectorELNS0_4arch9wavefront6targetE1EEEvT1_,"axG",@progbits,_ZN7rocprim17ROCPRIM_400000_NS6detail17trampoline_kernelINS0_14default_configENS1_25transform_config_selectorIsLb0EEEZNS1_14transform_implILb0ES3_S5_N6thrust23THRUST_200600_302600_NS6detail15normal_iteratorINS8_10device_ptrIsEEEEPsNS0_8identityIsEEEE10hipError_tT2_T3_mT4_P12ihipStream_tbEUlT_E_NS1_11comp_targetILNS1_3genE0ELNS1_11target_archE4294967295ELNS1_3gpuE0ELNS1_3repE0EEENS1_30default_config_static_selectorELNS0_4arch9wavefront6targetE1EEEvT1_,comdat
.Lfunc_end1941:
	.size	_ZN7rocprim17ROCPRIM_400000_NS6detail17trampoline_kernelINS0_14default_configENS1_25transform_config_selectorIsLb0EEEZNS1_14transform_implILb0ES3_S5_N6thrust23THRUST_200600_302600_NS6detail15normal_iteratorINS8_10device_ptrIsEEEEPsNS0_8identityIsEEEE10hipError_tT2_T3_mT4_P12ihipStream_tbEUlT_E_NS1_11comp_targetILNS1_3genE0ELNS1_11target_archE4294967295ELNS1_3gpuE0ELNS1_3repE0EEENS1_30default_config_static_selectorELNS0_4arch9wavefront6targetE1EEEvT1_, .Lfunc_end1941-_ZN7rocprim17ROCPRIM_400000_NS6detail17trampoline_kernelINS0_14default_configENS1_25transform_config_selectorIsLb0EEEZNS1_14transform_implILb0ES3_S5_N6thrust23THRUST_200600_302600_NS6detail15normal_iteratorINS8_10device_ptrIsEEEEPsNS0_8identityIsEEEE10hipError_tT2_T3_mT4_P12ihipStream_tbEUlT_E_NS1_11comp_targetILNS1_3genE0ELNS1_11target_archE4294967295ELNS1_3gpuE0ELNS1_3repE0EEENS1_30default_config_static_selectorELNS0_4arch9wavefront6targetE1EEEvT1_
                                        ; -- End function
	.section	.AMDGPU.csdata,"",@progbits
; Kernel info:
; codeLenInByte = 0
; NumSgprs: 4
; NumVgprs: 0
; NumAgprs: 0
; TotalNumVgprs: 0
; ScratchSize: 0
; MemoryBound: 0
; FloatMode: 240
; IeeeMode: 1
; LDSByteSize: 0 bytes/workgroup (compile time only)
; SGPRBlocks: 0
; VGPRBlocks: 0
; NumSGPRsForWavesPerEU: 4
; NumVGPRsForWavesPerEU: 1
; AccumOffset: 4
; Occupancy: 8
; WaveLimiterHint : 0
; COMPUTE_PGM_RSRC2:SCRATCH_EN: 0
; COMPUTE_PGM_RSRC2:USER_SGPR: 6
; COMPUTE_PGM_RSRC2:TRAP_HANDLER: 0
; COMPUTE_PGM_RSRC2:TGID_X_EN: 1
; COMPUTE_PGM_RSRC2:TGID_Y_EN: 0
; COMPUTE_PGM_RSRC2:TGID_Z_EN: 0
; COMPUTE_PGM_RSRC2:TIDIG_COMP_CNT: 0
; COMPUTE_PGM_RSRC3_GFX90A:ACCUM_OFFSET: 0
; COMPUTE_PGM_RSRC3_GFX90A:TG_SPLIT: 0
	.section	.text._ZN7rocprim17ROCPRIM_400000_NS6detail17trampoline_kernelINS0_14default_configENS1_25transform_config_selectorIsLb0EEEZNS1_14transform_implILb0ES3_S5_N6thrust23THRUST_200600_302600_NS6detail15normal_iteratorINS8_10device_ptrIsEEEEPsNS0_8identityIsEEEE10hipError_tT2_T3_mT4_P12ihipStream_tbEUlT_E_NS1_11comp_targetILNS1_3genE5ELNS1_11target_archE942ELNS1_3gpuE9ELNS1_3repE0EEENS1_30default_config_static_selectorELNS0_4arch9wavefront6targetE1EEEvT1_,"axG",@progbits,_ZN7rocprim17ROCPRIM_400000_NS6detail17trampoline_kernelINS0_14default_configENS1_25transform_config_selectorIsLb0EEEZNS1_14transform_implILb0ES3_S5_N6thrust23THRUST_200600_302600_NS6detail15normal_iteratorINS8_10device_ptrIsEEEEPsNS0_8identityIsEEEE10hipError_tT2_T3_mT4_P12ihipStream_tbEUlT_E_NS1_11comp_targetILNS1_3genE5ELNS1_11target_archE942ELNS1_3gpuE9ELNS1_3repE0EEENS1_30default_config_static_selectorELNS0_4arch9wavefront6targetE1EEEvT1_,comdat
	.protected	_ZN7rocprim17ROCPRIM_400000_NS6detail17trampoline_kernelINS0_14default_configENS1_25transform_config_selectorIsLb0EEEZNS1_14transform_implILb0ES3_S5_N6thrust23THRUST_200600_302600_NS6detail15normal_iteratorINS8_10device_ptrIsEEEEPsNS0_8identityIsEEEE10hipError_tT2_T3_mT4_P12ihipStream_tbEUlT_E_NS1_11comp_targetILNS1_3genE5ELNS1_11target_archE942ELNS1_3gpuE9ELNS1_3repE0EEENS1_30default_config_static_selectorELNS0_4arch9wavefront6targetE1EEEvT1_ ; -- Begin function _ZN7rocprim17ROCPRIM_400000_NS6detail17trampoline_kernelINS0_14default_configENS1_25transform_config_selectorIsLb0EEEZNS1_14transform_implILb0ES3_S5_N6thrust23THRUST_200600_302600_NS6detail15normal_iteratorINS8_10device_ptrIsEEEEPsNS0_8identityIsEEEE10hipError_tT2_T3_mT4_P12ihipStream_tbEUlT_E_NS1_11comp_targetILNS1_3genE5ELNS1_11target_archE942ELNS1_3gpuE9ELNS1_3repE0EEENS1_30default_config_static_selectorELNS0_4arch9wavefront6targetE1EEEvT1_
	.globl	_ZN7rocprim17ROCPRIM_400000_NS6detail17trampoline_kernelINS0_14default_configENS1_25transform_config_selectorIsLb0EEEZNS1_14transform_implILb0ES3_S5_N6thrust23THRUST_200600_302600_NS6detail15normal_iteratorINS8_10device_ptrIsEEEEPsNS0_8identityIsEEEE10hipError_tT2_T3_mT4_P12ihipStream_tbEUlT_E_NS1_11comp_targetILNS1_3genE5ELNS1_11target_archE942ELNS1_3gpuE9ELNS1_3repE0EEENS1_30default_config_static_selectorELNS0_4arch9wavefront6targetE1EEEvT1_
	.p2align	8
	.type	_ZN7rocprim17ROCPRIM_400000_NS6detail17trampoline_kernelINS0_14default_configENS1_25transform_config_selectorIsLb0EEEZNS1_14transform_implILb0ES3_S5_N6thrust23THRUST_200600_302600_NS6detail15normal_iteratorINS8_10device_ptrIsEEEEPsNS0_8identityIsEEEE10hipError_tT2_T3_mT4_P12ihipStream_tbEUlT_E_NS1_11comp_targetILNS1_3genE5ELNS1_11target_archE942ELNS1_3gpuE9ELNS1_3repE0EEENS1_30default_config_static_selectorELNS0_4arch9wavefront6targetE1EEEvT1_,@function
_ZN7rocprim17ROCPRIM_400000_NS6detail17trampoline_kernelINS0_14default_configENS1_25transform_config_selectorIsLb0EEEZNS1_14transform_implILb0ES3_S5_N6thrust23THRUST_200600_302600_NS6detail15normal_iteratorINS8_10device_ptrIsEEEEPsNS0_8identityIsEEEE10hipError_tT2_T3_mT4_P12ihipStream_tbEUlT_E_NS1_11comp_targetILNS1_3genE5ELNS1_11target_archE942ELNS1_3gpuE9ELNS1_3repE0EEENS1_30default_config_static_selectorELNS0_4arch9wavefront6targetE1EEEvT1_: ; @_ZN7rocprim17ROCPRIM_400000_NS6detail17trampoline_kernelINS0_14default_configENS1_25transform_config_selectorIsLb0EEEZNS1_14transform_implILb0ES3_S5_N6thrust23THRUST_200600_302600_NS6detail15normal_iteratorINS8_10device_ptrIsEEEEPsNS0_8identityIsEEEE10hipError_tT2_T3_mT4_P12ihipStream_tbEUlT_E_NS1_11comp_targetILNS1_3genE5ELNS1_11target_archE942ELNS1_3gpuE9ELNS1_3repE0EEENS1_30default_config_static_selectorELNS0_4arch9wavefront6targetE1EEEvT1_
; %bb.0:
	.section	.rodata,"a",@progbits
	.p2align	6, 0x0
	.amdhsa_kernel _ZN7rocprim17ROCPRIM_400000_NS6detail17trampoline_kernelINS0_14default_configENS1_25transform_config_selectorIsLb0EEEZNS1_14transform_implILb0ES3_S5_N6thrust23THRUST_200600_302600_NS6detail15normal_iteratorINS8_10device_ptrIsEEEEPsNS0_8identityIsEEEE10hipError_tT2_T3_mT4_P12ihipStream_tbEUlT_E_NS1_11comp_targetILNS1_3genE5ELNS1_11target_archE942ELNS1_3gpuE9ELNS1_3repE0EEENS1_30default_config_static_selectorELNS0_4arch9wavefront6targetE1EEEvT1_
		.amdhsa_group_segment_fixed_size 0
		.amdhsa_private_segment_fixed_size 0
		.amdhsa_kernarg_size 40
		.amdhsa_user_sgpr_count 6
		.amdhsa_user_sgpr_private_segment_buffer 1
		.amdhsa_user_sgpr_dispatch_ptr 0
		.amdhsa_user_sgpr_queue_ptr 0
		.amdhsa_user_sgpr_kernarg_segment_ptr 1
		.amdhsa_user_sgpr_dispatch_id 0
		.amdhsa_user_sgpr_flat_scratch_init 0
		.amdhsa_user_sgpr_kernarg_preload_length 0
		.amdhsa_user_sgpr_kernarg_preload_offset 0
		.amdhsa_user_sgpr_private_segment_size 0
		.amdhsa_uses_dynamic_stack 0
		.amdhsa_system_sgpr_private_segment_wavefront_offset 0
		.amdhsa_system_sgpr_workgroup_id_x 1
		.amdhsa_system_sgpr_workgroup_id_y 0
		.amdhsa_system_sgpr_workgroup_id_z 0
		.amdhsa_system_sgpr_workgroup_info 0
		.amdhsa_system_vgpr_workitem_id 0
		.amdhsa_next_free_vgpr 1
		.amdhsa_next_free_sgpr 0
		.amdhsa_accum_offset 4
		.amdhsa_reserve_vcc 0
		.amdhsa_reserve_flat_scratch 0
		.amdhsa_float_round_mode_32 0
		.amdhsa_float_round_mode_16_64 0
		.amdhsa_float_denorm_mode_32 3
		.amdhsa_float_denorm_mode_16_64 3
		.amdhsa_dx10_clamp 1
		.amdhsa_ieee_mode 1
		.amdhsa_fp16_overflow 0
		.amdhsa_tg_split 0
		.amdhsa_exception_fp_ieee_invalid_op 0
		.amdhsa_exception_fp_denorm_src 0
		.amdhsa_exception_fp_ieee_div_zero 0
		.amdhsa_exception_fp_ieee_overflow 0
		.amdhsa_exception_fp_ieee_underflow 0
		.amdhsa_exception_fp_ieee_inexact 0
		.amdhsa_exception_int_div_zero 0
	.end_amdhsa_kernel
	.section	.text._ZN7rocprim17ROCPRIM_400000_NS6detail17trampoline_kernelINS0_14default_configENS1_25transform_config_selectorIsLb0EEEZNS1_14transform_implILb0ES3_S5_N6thrust23THRUST_200600_302600_NS6detail15normal_iteratorINS8_10device_ptrIsEEEEPsNS0_8identityIsEEEE10hipError_tT2_T3_mT4_P12ihipStream_tbEUlT_E_NS1_11comp_targetILNS1_3genE5ELNS1_11target_archE942ELNS1_3gpuE9ELNS1_3repE0EEENS1_30default_config_static_selectorELNS0_4arch9wavefront6targetE1EEEvT1_,"axG",@progbits,_ZN7rocprim17ROCPRIM_400000_NS6detail17trampoline_kernelINS0_14default_configENS1_25transform_config_selectorIsLb0EEEZNS1_14transform_implILb0ES3_S5_N6thrust23THRUST_200600_302600_NS6detail15normal_iteratorINS8_10device_ptrIsEEEEPsNS0_8identityIsEEEE10hipError_tT2_T3_mT4_P12ihipStream_tbEUlT_E_NS1_11comp_targetILNS1_3genE5ELNS1_11target_archE942ELNS1_3gpuE9ELNS1_3repE0EEENS1_30default_config_static_selectorELNS0_4arch9wavefront6targetE1EEEvT1_,comdat
.Lfunc_end1942:
	.size	_ZN7rocprim17ROCPRIM_400000_NS6detail17trampoline_kernelINS0_14default_configENS1_25transform_config_selectorIsLb0EEEZNS1_14transform_implILb0ES3_S5_N6thrust23THRUST_200600_302600_NS6detail15normal_iteratorINS8_10device_ptrIsEEEEPsNS0_8identityIsEEEE10hipError_tT2_T3_mT4_P12ihipStream_tbEUlT_E_NS1_11comp_targetILNS1_3genE5ELNS1_11target_archE942ELNS1_3gpuE9ELNS1_3repE0EEENS1_30default_config_static_selectorELNS0_4arch9wavefront6targetE1EEEvT1_, .Lfunc_end1942-_ZN7rocprim17ROCPRIM_400000_NS6detail17trampoline_kernelINS0_14default_configENS1_25transform_config_selectorIsLb0EEEZNS1_14transform_implILb0ES3_S5_N6thrust23THRUST_200600_302600_NS6detail15normal_iteratorINS8_10device_ptrIsEEEEPsNS0_8identityIsEEEE10hipError_tT2_T3_mT4_P12ihipStream_tbEUlT_E_NS1_11comp_targetILNS1_3genE5ELNS1_11target_archE942ELNS1_3gpuE9ELNS1_3repE0EEENS1_30default_config_static_selectorELNS0_4arch9wavefront6targetE1EEEvT1_
                                        ; -- End function
	.section	.AMDGPU.csdata,"",@progbits
; Kernel info:
; codeLenInByte = 0
; NumSgprs: 4
; NumVgprs: 0
; NumAgprs: 0
; TotalNumVgprs: 0
; ScratchSize: 0
; MemoryBound: 0
; FloatMode: 240
; IeeeMode: 1
; LDSByteSize: 0 bytes/workgroup (compile time only)
; SGPRBlocks: 0
; VGPRBlocks: 0
; NumSGPRsForWavesPerEU: 4
; NumVGPRsForWavesPerEU: 1
; AccumOffset: 4
; Occupancy: 8
; WaveLimiterHint : 0
; COMPUTE_PGM_RSRC2:SCRATCH_EN: 0
; COMPUTE_PGM_RSRC2:USER_SGPR: 6
; COMPUTE_PGM_RSRC2:TRAP_HANDLER: 0
; COMPUTE_PGM_RSRC2:TGID_X_EN: 1
; COMPUTE_PGM_RSRC2:TGID_Y_EN: 0
; COMPUTE_PGM_RSRC2:TGID_Z_EN: 0
; COMPUTE_PGM_RSRC2:TIDIG_COMP_CNT: 0
; COMPUTE_PGM_RSRC3_GFX90A:ACCUM_OFFSET: 0
; COMPUTE_PGM_RSRC3_GFX90A:TG_SPLIT: 0
	.section	.text._ZN7rocprim17ROCPRIM_400000_NS6detail17trampoline_kernelINS0_14default_configENS1_25transform_config_selectorIsLb0EEEZNS1_14transform_implILb0ES3_S5_N6thrust23THRUST_200600_302600_NS6detail15normal_iteratorINS8_10device_ptrIsEEEEPsNS0_8identityIsEEEE10hipError_tT2_T3_mT4_P12ihipStream_tbEUlT_E_NS1_11comp_targetILNS1_3genE4ELNS1_11target_archE910ELNS1_3gpuE8ELNS1_3repE0EEENS1_30default_config_static_selectorELNS0_4arch9wavefront6targetE1EEEvT1_,"axG",@progbits,_ZN7rocprim17ROCPRIM_400000_NS6detail17trampoline_kernelINS0_14default_configENS1_25transform_config_selectorIsLb0EEEZNS1_14transform_implILb0ES3_S5_N6thrust23THRUST_200600_302600_NS6detail15normal_iteratorINS8_10device_ptrIsEEEEPsNS0_8identityIsEEEE10hipError_tT2_T3_mT4_P12ihipStream_tbEUlT_E_NS1_11comp_targetILNS1_3genE4ELNS1_11target_archE910ELNS1_3gpuE8ELNS1_3repE0EEENS1_30default_config_static_selectorELNS0_4arch9wavefront6targetE1EEEvT1_,comdat
	.protected	_ZN7rocprim17ROCPRIM_400000_NS6detail17trampoline_kernelINS0_14default_configENS1_25transform_config_selectorIsLb0EEEZNS1_14transform_implILb0ES3_S5_N6thrust23THRUST_200600_302600_NS6detail15normal_iteratorINS8_10device_ptrIsEEEEPsNS0_8identityIsEEEE10hipError_tT2_T3_mT4_P12ihipStream_tbEUlT_E_NS1_11comp_targetILNS1_3genE4ELNS1_11target_archE910ELNS1_3gpuE8ELNS1_3repE0EEENS1_30default_config_static_selectorELNS0_4arch9wavefront6targetE1EEEvT1_ ; -- Begin function _ZN7rocprim17ROCPRIM_400000_NS6detail17trampoline_kernelINS0_14default_configENS1_25transform_config_selectorIsLb0EEEZNS1_14transform_implILb0ES3_S5_N6thrust23THRUST_200600_302600_NS6detail15normal_iteratorINS8_10device_ptrIsEEEEPsNS0_8identityIsEEEE10hipError_tT2_T3_mT4_P12ihipStream_tbEUlT_E_NS1_11comp_targetILNS1_3genE4ELNS1_11target_archE910ELNS1_3gpuE8ELNS1_3repE0EEENS1_30default_config_static_selectorELNS0_4arch9wavefront6targetE1EEEvT1_
	.globl	_ZN7rocprim17ROCPRIM_400000_NS6detail17trampoline_kernelINS0_14default_configENS1_25transform_config_selectorIsLb0EEEZNS1_14transform_implILb0ES3_S5_N6thrust23THRUST_200600_302600_NS6detail15normal_iteratorINS8_10device_ptrIsEEEEPsNS0_8identityIsEEEE10hipError_tT2_T3_mT4_P12ihipStream_tbEUlT_E_NS1_11comp_targetILNS1_3genE4ELNS1_11target_archE910ELNS1_3gpuE8ELNS1_3repE0EEENS1_30default_config_static_selectorELNS0_4arch9wavefront6targetE1EEEvT1_
	.p2align	8
	.type	_ZN7rocprim17ROCPRIM_400000_NS6detail17trampoline_kernelINS0_14default_configENS1_25transform_config_selectorIsLb0EEEZNS1_14transform_implILb0ES3_S5_N6thrust23THRUST_200600_302600_NS6detail15normal_iteratorINS8_10device_ptrIsEEEEPsNS0_8identityIsEEEE10hipError_tT2_T3_mT4_P12ihipStream_tbEUlT_E_NS1_11comp_targetILNS1_3genE4ELNS1_11target_archE910ELNS1_3gpuE8ELNS1_3repE0EEENS1_30default_config_static_selectorELNS0_4arch9wavefront6targetE1EEEvT1_,@function
_ZN7rocprim17ROCPRIM_400000_NS6detail17trampoline_kernelINS0_14default_configENS1_25transform_config_selectorIsLb0EEEZNS1_14transform_implILb0ES3_S5_N6thrust23THRUST_200600_302600_NS6detail15normal_iteratorINS8_10device_ptrIsEEEEPsNS0_8identityIsEEEE10hipError_tT2_T3_mT4_P12ihipStream_tbEUlT_E_NS1_11comp_targetILNS1_3genE4ELNS1_11target_archE910ELNS1_3gpuE8ELNS1_3repE0EEENS1_30default_config_static_selectorELNS0_4arch9wavefront6targetE1EEEvT1_: ; @_ZN7rocprim17ROCPRIM_400000_NS6detail17trampoline_kernelINS0_14default_configENS1_25transform_config_selectorIsLb0EEEZNS1_14transform_implILb0ES3_S5_N6thrust23THRUST_200600_302600_NS6detail15normal_iteratorINS8_10device_ptrIsEEEEPsNS0_8identityIsEEEE10hipError_tT2_T3_mT4_P12ihipStream_tbEUlT_E_NS1_11comp_targetILNS1_3genE4ELNS1_11target_archE910ELNS1_3gpuE8ELNS1_3repE0EEENS1_30default_config_static_selectorELNS0_4arch9wavefront6targetE1EEEvT1_
; %bb.0:
	s_load_dwordx8 s[8:15], s[4:5], 0x0
	s_load_dword s2, s[4:5], 0x28
	v_lshlrev_b32_e32 v8, 1, v0
	s_waitcnt lgkmcnt(0)
	s_lshl_b64 s[0:1], s[10:11], 1
	s_add_u32 s3, s8, s0
	s_addc_u32 s4, s9, s1
	s_add_u32 s22, s14, s0
	s_addc_u32 s23, s15, s1
	s_lshl_b32 s0, s6, 9
	s_mov_b32 s1, 0
	s_add_i32 s2, s2, -1
	s_lshl_b64 s[18:19], s[0:1], 1
	s_add_u32 s24, s3, s18
	s_addc_u32 s25, s4, s19
	s_cmp_lg_u32 s6, s2
	s_cbranch_scc0 .LBB1943_2
; %bb.1:
	v_mov_b32_e32 v1, s25
	v_add_co_u32_e32 v2, vcc, s24, v8
	v_addc_co_u32_e32 v3, vcc, 0, v1, vcc
	flat_load_ushort v4, v[2:3]
	flat_load_ushort v5, v[2:3] offset:128
	flat_load_ushort v9, v[2:3] offset:256
	;; [unrolled: 1-line block ×7, first 2 shown]
	s_add_u32 s4, s22, s18
	s_addc_u32 s5, s23, s19
	v_mov_b32_e32 v2, s5
	v_add_co_u32_e32 v6, vcc, s4, v8
	v_addc_co_u32_e32 v7, vcc, 0, v2, vcc
	s_mov_b64 s[16:17], -1
	s_waitcnt vmcnt(0) lgkmcnt(0)
	global_store_short v8, v4, s[4:5]
	global_store_short v8, v5, s[4:5] offset:128
	global_store_short v8, v9, s[4:5] offset:256
	;; [unrolled: 1-line block ×6, first 2 shown]
	s_cbranch_execz .LBB1943_3
	s_branch .LBB1943_34
.LBB1943_2:
	s_mov_b64 s[16:17], 0
                                        ; implicit-def: $vgpr1
                                        ; implicit-def: $vgpr6_vgpr7
.LBB1943_3:
	s_sub_i32 s20, s12, s0
	v_cmp_gt_u32_e32 vcc, s20, v0
                                        ; implicit-def: $vgpr2_vgpr3_vgpr4_vgpr5
	s_and_saveexec_b64 s[2:3], vcc
	s_cbranch_execz .LBB1943_5
; %bb.4:
	v_mov_b32_e32 v1, s25
	v_add_co_u32_e64 v2, s[0:1], s24, v8
	v_addc_co_u32_e64 v3, s[0:1], 0, v1, s[0:1]
	flat_load_ushort v2, v[2:3]
.LBB1943_5:
	s_or_b64 exec, exec, s[2:3]
	v_or_b32_e32 v1, 64, v0
	v_cmp_gt_u32_e64 s[0:1], s20, v1
	s_and_saveexec_b64 s[4:5], s[0:1]
	s_cbranch_execz .LBB1943_7
; %bb.6:
	v_mov_b32_e32 v1, s25
	v_add_co_u32_e64 v6, s[2:3], s24, v8
	v_addc_co_u32_e64 v7, s[2:3], 0, v1, s[2:3]
	flat_load_ushort v1, v[6:7] offset:128
	s_mov_b32 s2, 0x5040100
	s_waitcnt vmcnt(0) lgkmcnt(0)
	v_perm_b32 v2, v1, v2, s2
.LBB1943_7:
	s_or_b64 exec, exec, s[4:5]
	v_or_b32_e32 v1, 0x80, v0
	v_cmp_gt_u32_e64 s[2:3], s20, v1
	s_and_saveexec_b64 s[6:7], s[2:3]
	s_cbranch_execz .LBB1943_9
; %bb.8:
	v_mov_b32_e32 v1, s25
	v_add_co_u32_e64 v6, s[4:5], s24, v8
	v_addc_co_u32_e64 v7, s[4:5], 0, v1, s[4:5]
	flat_load_ushort v1, v[6:7] offset:256
	s_mov_b32 s4, 0xffff
	s_waitcnt vmcnt(0) lgkmcnt(0)
	v_bfi_b32 v3, s4, v1, v3
.LBB1943_9:
	s_or_b64 exec, exec, s[6:7]
	v_or_b32_e32 v1, 0xc0, v0
	v_cmp_gt_u32_e64 s[4:5], s20, v1
	s_and_saveexec_b64 s[8:9], s[4:5]
	s_cbranch_execz .LBB1943_11
; %bb.10:
	v_mov_b32_e32 v1, s25
	v_add_co_u32_e64 v6, s[6:7], s24, v8
	v_addc_co_u32_e64 v7, s[6:7], 0, v1, s[6:7]
	flat_load_ushort v1, v[6:7] offset:384
	s_mov_b32 s6, 0x5040100
	s_waitcnt vmcnt(0) lgkmcnt(0)
	v_perm_b32 v3, v1, v3, s6
.LBB1943_11:
	s_or_b64 exec, exec, s[8:9]
	v_or_b32_e32 v1, 0x100, v0
	v_cmp_gt_u32_e64 s[6:7], s20, v1
	s_and_saveexec_b64 s[10:11], s[6:7]
	s_cbranch_execz .LBB1943_13
; %bb.12:
	v_mov_b32_e32 v1, s25
	v_add_co_u32_e64 v6, s[8:9], s24, v8
	v_addc_co_u32_e64 v7, s[8:9], 0, v1, s[8:9]
	flat_load_ushort v1, v[6:7] offset:512
	s_mov_b32 s8, 0xffff
	s_waitcnt vmcnt(0) lgkmcnt(0)
	v_bfi_b32 v4, s8, v1, v4
.LBB1943_13:
	;; [unrolled: 28-line block ×3, first 2 shown]
	s_or_b64 exec, exec, s[14:15]
	v_or_b32_e32 v1, 0x1c0, v0
	v_cmp_gt_u32_e64 s[12:13], s20, v1
	v_cmp_le_u32_e64 s[14:15], s20, v1
	s_and_saveexec_b64 s[20:21], s[14:15]
	s_xor_b64 s[14:15], exec, s[20:21]
; %bb.18:
	v_mov_b32_e32 v1, 0
                                        ; implicit-def: $vgpr8
; %bb.19:
	s_andn2_saveexec_b64 s[20:21], s[14:15]
	s_cbranch_execz .LBB1943_21
; %bb.20:
	v_mov_b32_e32 v1, s25
	v_add_co_u32_e64 v6, s[14:15], s24, v8
	v_addc_co_u32_e64 v7, s[14:15], 0, v1, s[14:15]
	flat_load_ushort v6, v[6:7] offset:896
	s_mov_b32 s14, 0x5040100
	v_mov_b32_e32 v1, 0
	s_waitcnt vmcnt(0) lgkmcnt(0)
	v_perm_b32 v5, v6, v5, s14
.LBB1943_21:
	s_or_b64 exec, exec, s[20:21]
	s_add_u32 s14, s22, s18
	s_addc_u32 s15, s23, s19
	v_lshlrev_b64 v[0:1], 1, v[0:1]
	v_mov_b32_e32 v7, s15
	v_add_co_u32_e64 v6, s[14:15], s14, v0
	v_addc_co_u32_e64 v7, s[14:15], v7, v1, s[14:15]
	s_and_saveexec_b64 s[14:15], vcc
	s_cbranch_execnz .LBB1943_37
; %bb.22:
	s_or_b64 exec, exec, s[14:15]
	s_and_saveexec_b64 s[14:15], s[0:1]
	s_cbranch_execnz .LBB1943_38
.LBB1943_23:
	s_or_b64 exec, exec, s[14:15]
	s_mov_b32 s14, 0xffff
	s_and_saveexec_b64 s[0:1], s[2:3]
	s_cbranch_execz .LBB1943_25
.LBB1943_24:
	global_store_short v[6:7], v3, off offset:256
.LBB1943_25:
	s_or_b64 exec, exec, s[0:1]
	v_bfi_b32 v0, s14, v3, v3
	v_cndmask_b32_e64 v0, v0, v3, s[4:5]
	s_and_saveexec_b64 s[0:1], s[4:5]
	s_cbranch_execz .LBB1943_27
; %bb.26:
	global_store_short_d16_hi v[6:7], v0, off offset:384
.LBB1943_27:
	s_or_b64 exec, exec, s[0:1]
	s_mov_b32 s2, 0xffff
	v_cndmask_b32_e64 v0, v4, v4, s[6:7]
	s_and_saveexec_b64 s[0:1], s[6:7]
	s_cbranch_execz .LBB1943_29
; %bb.28:
	global_store_short v[6:7], v0, off offset:512
.LBB1943_29:
	s_or_b64 exec, exec, s[0:1]
	v_bfi_b32 v0, s2, v0, v4
	v_cndmask_b32_e64 v0, v0, v4, s[8:9]
	s_and_saveexec_b64 s[0:1], s[8:9]
	s_cbranch_execnz .LBB1943_39
; %bb.30:
	s_or_b64 exec, exec, s[0:1]
	s_and_saveexec_b64 s[0:1], s[10:11]
	s_cbranch_execnz .LBB1943_40
.LBB1943_31:
	s_or_b64 exec, exec, s[0:1]
                                        ; implicit-def: $vgpr1
	s_and_saveexec_b64 s[0:1], s[12:13]
.LBB1943_32:
	v_cndmask_b32_e64 v0, v5, v5, s[12:13]
	v_lshrrev_b32_e32 v1, 16, v0
	s_or_b64 s[16:17], s[16:17], exec
.LBB1943_33:
	s_or_b64 exec, exec, s[0:1]
.LBB1943_34:
	s_and_saveexec_b64 s[0:1], s[16:17]
	s_cbranch_execnz .LBB1943_36
; %bb.35:
	s_endpgm
.LBB1943_36:
	global_store_short v[6:7], v1, off offset:896
	s_endpgm
.LBB1943_37:
	s_waitcnt vmcnt(0) lgkmcnt(0)
	global_store_short v[6:7], v2, off
	s_or_b64 exec, exec, s[14:15]
	s_and_saveexec_b64 s[14:15], s[0:1]
	s_cbranch_execz .LBB1943_23
.LBB1943_38:
	s_waitcnt vmcnt(0) lgkmcnt(0)
	global_store_short_d16_hi v[6:7], v2, off offset:128
	s_or_b64 exec, exec, s[14:15]
	s_mov_b32 s14, 0xffff
	s_and_saveexec_b64 s[0:1], s[2:3]
	s_cbranch_execnz .LBB1943_24
	s_branch .LBB1943_25
.LBB1943_39:
	global_store_short_d16_hi v[6:7], v0, off offset:640
	s_or_b64 exec, exec, s[0:1]
	s_and_saveexec_b64 s[0:1], s[10:11]
	s_cbranch_execz .LBB1943_31
.LBB1943_40:
	v_cndmask_b32_e64 v0, v5, v5, s[10:11]
	global_store_short v[6:7], v0, off offset:768
	s_or_b64 exec, exec, s[0:1]
                                        ; implicit-def: $vgpr1
	s_and_saveexec_b64 s[0:1], s[12:13]
	s_cbranch_execnz .LBB1943_32
	s_branch .LBB1943_33
	.section	.rodata,"a",@progbits
	.p2align	6, 0x0
	.amdhsa_kernel _ZN7rocprim17ROCPRIM_400000_NS6detail17trampoline_kernelINS0_14default_configENS1_25transform_config_selectorIsLb0EEEZNS1_14transform_implILb0ES3_S5_N6thrust23THRUST_200600_302600_NS6detail15normal_iteratorINS8_10device_ptrIsEEEEPsNS0_8identityIsEEEE10hipError_tT2_T3_mT4_P12ihipStream_tbEUlT_E_NS1_11comp_targetILNS1_3genE4ELNS1_11target_archE910ELNS1_3gpuE8ELNS1_3repE0EEENS1_30default_config_static_selectorELNS0_4arch9wavefront6targetE1EEEvT1_
		.amdhsa_group_segment_fixed_size 0
		.amdhsa_private_segment_fixed_size 0
		.amdhsa_kernarg_size 296
		.amdhsa_user_sgpr_count 6
		.amdhsa_user_sgpr_private_segment_buffer 1
		.amdhsa_user_sgpr_dispatch_ptr 0
		.amdhsa_user_sgpr_queue_ptr 0
		.amdhsa_user_sgpr_kernarg_segment_ptr 1
		.amdhsa_user_sgpr_dispatch_id 0
		.amdhsa_user_sgpr_flat_scratch_init 0
		.amdhsa_user_sgpr_kernarg_preload_length 0
		.amdhsa_user_sgpr_kernarg_preload_offset 0
		.amdhsa_user_sgpr_private_segment_size 0
		.amdhsa_uses_dynamic_stack 0
		.amdhsa_system_sgpr_private_segment_wavefront_offset 0
		.amdhsa_system_sgpr_workgroup_id_x 1
		.amdhsa_system_sgpr_workgroup_id_y 0
		.amdhsa_system_sgpr_workgroup_id_z 0
		.amdhsa_system_sgpr_workgroup_info 0
		.amdhsa_system_vgpr_workitem_id 0
		.amdhsa_next_free_vgpr 14
		.amdhsa_next_free_sgpr 26
		.amdhsa_accum_offset 16
		.amdhsa_reserve_vcc 1
		.amdhsa_reserve_flat_scratch 0
		.amdhsa_float_round_mode_32 0
		.amdhsa_float_round_mode_16_64 0
		.amdhsa_float_denorm_mode_32 3
		.amdhsa_float_denorm_mode_16_64 3
		.amdhsa_dx10_clamp 1
		.amdhsa_ieee_mode 1
		.amdhsa_fp16_overflow 0
		.amdhsa_tg_split 0
		.amdhsa_exception_fp_ieee_invalid_op 0
		.amdhsa_exception_fp_denorm_src 0
		.amdhsa_exception_fp_ieee_div_zero 0
		.amdhsa_exception_fp_ieee_overflow 0
		.amdhsa_exception_fp_ieee_underflow 0
		.amdhsa_exception_fp_ieee_inexact 0
		.amdhsa_exception_int_div_zero 0
	.end_amdhsa_kernel
	.section	.text._ZN7rocprim17ROCPRIM_400000_NS6detail17trampoline_kernelINS0_14default_configENS1_25transform_config_selectorIsLb0EEEZNS1_14transform_implILb0ES3_S5_N6thrust23THRUST_200600_302600_NS6detail15normal_iteratorINS8_10device_ptrIsEEEEPsNS0_8identityIsEEEE10hipError_tT2_T3_mT4_P12ihipStream_tbEUlT_E_NS1_11comp_targetILNS1_3genE4ELNS1_11target_archE910ELNS1_3gpuE8ELNS1_3repE0EEENS1_30default_config_static_selectorELNS0_4arch9wavefront6targetE1EEEvT1_,"axG",@progbits,_ZN7rocprim17ROCPRIM_400000_NS6detail17trampoline_kernelINS0_14default_configENS1_25transform_config_selectorIsLb0EEEZNS1_14transform_implILb0ES3_S5_N6thrust23THRUST_200600_302600_NS6detail15normal_iteratorINS8_10device_ptrIsEEEEPsNS0_8identityIsEEEE10hipError_tT2_T3_mT4_P12ihipStream_tbEUlT_E_NS1_11comp_targetILNS1_3genE4ELNS1_11target_archE910ELNS1_3gpuE8ELNS1_3repE0EEENS1_30default_config_static_selectorELNS0_4arch9wavefront6targetE1EEEvT1_,comdat
.Lfunc_end1943:
	.size	_ZN7rocprim17ROCPRIM_400000_NS6detail17trampoline_kernelINS0_14default_configENS1_25transform_config_selectorIsLb0EEEZNS1_14transform_implILb0ES3_S5_N6thrust23THRUST_200600_302600_NS6detail15normal_iteratorINS8_10device_ptrIsEEEEPsNS0_8identityIsEEEE10hipError_tT2_T3_mT4_P12ihipStream_tbEUlT_E_NS1_11comp_targetILNS1_3genE4ELNS1_11target_archE910ELNS1_3gpuE8ELNS1_3repE0EEENS1_30default_config_static_selectorELNS0_4arch9wavefront6targetE1EEEvT1_, .Lfunc_end1943-_ZN7rocprim17ROCPRIM_400000_NS6detail17trampoline_kernelINS0_14default_configENS1_25transform_config_selectorIsLb0EEEZNS1_14transform_implILb0ES3_S5_N6thrust23THRUST_200600_302600_NS6detail15normal_iteratorINS8_10device_ptrIsEEEEPsNS0_8identityIsEEEE10hipError_tT2_T3_mT4_P12ihipStream_tbEUlT_E_NS1_11comp_targetILNS1_3genE4ELNS1_11target_archE910ELNS1_3gpuE8ELNS1_3repE0EEENS1_30default_config_static_selectorELNS0_4arch9wavefront6targetE1EEEvT1_
                                        ; -- End function
	.section	.AMDGPU.csdata,"",@progbits
; Kernel info:
; codeLenInByte = 1208
; NumSgprs: 30
; NumVgprs: 14
; NumAgprs: 0
; TotalNumVgprs: 14
; ScratchSize: 0
; MemoryBound: 0
; FloatMode: 240
; IeeeMode: 1
; LDSByteSize: 0 bytes/workgroup (compile time only)
; SGPRBlocks: 3
; VGPRBlocks: 1
; NumSGPRsForWavesPerEU: 30
; NumVGPRsForWavesPerEU: 14
; AccumOffset: 16
; Occupancy: 8
; WaveLimiterHint : 1
; COMPUTE_PGM_RSRC2:SCRATCH_EN: 0
; COMPUTE_PGM_RSRC2:USER_SGPR: 6
; COMPUTE_PGM_RSRC2:TRAP_HANDLER: 0
; COMPUTE_PGM_RSRC2:TGID_X_EN: 1
; COMPUTE_PGM_RSRC2:TGID_Y_EN: 0
; COMPUTE_PGM_RSRC2:TGID_Z_EN: 0
; COMPUTE_PGM_RSRC2:TIDIG_COMP_CNT: 0
; COMPUTE_PGM_RSRC3_GFX90A:ACCUM_OFFSET: 3
; COMPUTE_PGM_RSRC3_GFX90A:TG_SPLIT: 0
	.section	.text._ZN7rocprim17ROCPRIM_400000_NS6detail17trampoline_kernelINS0_14default_configENS1_25transform_config_selectorIsLb0EEEZNS1_14transform_implILb0ES3_S5_N6thrust23THRUST_200600_302600_NS6detail15normal_iteratorINS8_10device_ptrIsEEEEPsNS0_8identityIsEEEE10hipError_tT2_T3_mT4_P12ihipStream_tbEUlT_E_NS1_11comp_targetILNS1_3genE3ELNS1_11target_archE908ELNS1_3gpuE7ELNS1_3repE0EEENS1_30default_config_static_selectorELNS0_4arch9wavefront6targetE1EEEvT1_,"axG",@progbits,_ZN7rocprim17ROCPRIM_400000_NS6detail17trampoline_kernelINS0_14default_configENS1_25transform_config_selectorIsLb0EEEZNS1_14transform_implILb0ES3_S5_N6thrust23THRUST_200600_302600_NS6detail15normal_iteratorINS8_10device_ptrIsEEEEPsNS0_8identityIsEEEE10hipError_tT2_T3_mT4_P12ihipStream_tbEUlT_E_NS1_11comp_targetILNS1_3genE3ELNS1_11target_archE908ELNS1_3gpuE7ELNS1_3repE0EEENS1_30default_config_static_selectorELNS0_4arch9wavefront6targetE1EEEvT1_,comdat
	.protected	_ZN7rocprim17ROCPRIM_400000_NS6detail17trampoline_kernelINS0_14default_configENS1_25transform_config_selectorIsLb0EEEZNS1_14transform_implILb0ES3_S5_N6thrust23THRUST_200600_302600_NS6detail15normal_iteratorINS8_10device_ptrIsEEEEPsNS0_8identityIsEEEE10hipError_tT2_T3_mT4_P12ihipStream_tbEUlT_E_NS1_11comp_targetILNS1_3genE3ELNS1_11target_archE908ELNS1_3gpuE7ELNS1_3repE0EEENS1_30default_config_static_selectorELNS0_4arch9wavefront6targetE1EEEvT1_ ; -- Begin function _ZN7rocprim17ROCPRIM_400000_NS6detail17trampoline_kernelINS0_14default_configENS1_25transform_config_selectorIsLb0EEEZNS1_14transform_implILb0ES3_S5_N6thrust23THRUST_200600_302600_NS6detail15normal_iteratorINS8_10device_ptrIsEEEEPsNS0_8identityIsEEEE10hipError_tT2_T3_mT4_P12ihipStream_tbEUlT_E_NS1_11comp_targetILNS1_3genE3ELNS1_11target_archE908ELNS1_3gpuE7ELNS1_3repE0EEENS1_30default_config_static_selectorELNS0_4arch9wavefront6targetE1EEEvT1_
	.globl	_ZN7rocprim17ROCPRIM_400000_NS6detail17trampoline_kernelINS0_14default_configENS1_25transform_config_selectorIsLb0EEEZNS1_14transform_implILb0ES3_S5_N6thrust23THRUST_200600_302600_NS6detail15normal_iteratorINS8_10device_ptrIsEEEEPsNS0_8identityIsEEEE10hipError_tT2_T3_mT4_P12ihipStream_tbEUlT_E_NS1_11comp_targetILNS1_3genE3ELNS1_11target_archE908ELNS1_3gpuE7ELNS1_3repE0EEENS1_30default_config_static_selectorELNS0_4arch9wavefront6targetE1EEEvT1_
	.p2align	8
	.type	_ZN7rocprim17ROCPRIM_400000_NS6detail17trampoline_kernelINS0_14default_configENS1_25transform_config_selectorIsLb0EEEZNS1_14transform_implILb0ES3_S5_N6thrust23THRUST_200600_302600_NS6detail15normal_iteratorINS8_10device_ptrIsEEEEPsNS0_8identityIsEEEE10hipError_tT2_T3_mT4_P12ihipStream_tbEUlT_E_NS1_11comp_targetILNS1_3genE3ELNS1_11target_archE908ELNS1_3gpuE7ELNS1_3repE0EEENS1_30default_config_static_selectorELNS0_4arch9wavefront6targetE1EEEvT1_,@function
_ZN7rocprim17ROCPRIM_400000_NS6detail17trampoline_kernelINS0_14default_configENS1_25transform_config_selectorIsLb0EEEZNS1_14transform_implILb0ES3_S5_N6thrust23THRUST_200600_302600_NS6detail15normal_iteratorINS8_10device_ptrIsEEEEPsNS0_8identityIsEEEE10hipError_tT2_T3_mT4_P12ihipStream_tbEUlT_E_NS1_11comp_targetILNS1_3genE3ELNS1_11target_archE908ELNS1_3gpuE7ELNS1_3repE0EEENS1_30default_config_static_selectorELNS0_4arch9wavefront6targetE1EEEvT1_: ; @_ZN7rocprim17ROCPRIM_400000_NS6detail17trampoline_kernelINS0_14default_configENS1_25transform_config_selectorIsLb0EEEZNS1_14transform_implILb0ES3_S5_N6thrust23THRUST_200600_302600_NS6detail15normal_iteratorINS8_10device_ptrIsEEEEPsNS0_8identityIsEEEE10hipError_tT2_T3_mT4_P12ihipStream_tbEUlT_E_NS1_11comp_targetILNS1_3genE3ELNS1_11target_archE908ELNS1_3gpuE7ELNS1_3repE0EEENS1_30default_config_static_selectorELNS0_4arch9wavefront6targetE1EEEvT1_
; %bb.0:
	.section	.rodata,"a",@progbits
	.p2align	6, 0x0
	.amdhsa_kernel _ZN7rocprim17ROCPRIM_400000_NS6detail17trampoline_kernelINS0_14default_configENS1_25transform_config_selectorIsLb0EEEZNS1_14transform_implILb0ES3_S5_N6thrust23THRUST_200600_302600_NS6detail15normal_iteratorINS8_10device_ptrIsEEEEPsNS0_8identityIsEEEE10hipError_tT2_T3_mT4_P12ihipStream_tbEUlT_E_NS1_11comp_targetILNS1_3genE3ELNS1_11target_archE908ELNS1_3gpuE7ELNS1_3repE0EEENS1_30default_config_static_selectorELNS0_4arch9wavefront6targetE1EEEvT1_
		.amdhsa_group_segment_fixed_size 0
		.amdhsa_private_segment_fixed_size 0
		.amdhsa_kernarg_size 40
		.amdhsa_user_sgpr_count 6
		.amdhsa_user_sgpr_private_segment_buffer 1
		.amdhsa_user_sgpr_dispatch_ptr 0
		.amdhsa_user_sgpr_queue_ptr 0
		.amdhsa_user_sgpr_kernarg_segment_ptr 1
		.amdhsa_user_sgpr_dispatch_id 0
		.amdhsa_user_sgpr_flat_scratch_init 0
		.amdhsa_user_sgpr_kernarg_preload_length 0
		.amdhsa_user_sgpr_kernarg_preload_offset 0
		.amdhsa_user_sgpr_private_segment_size 0
		.amdhsa_uses_dynamic_stack 0
		.amdhsa_system_sgpr_private_segment_wavefront_offset 0
		.amdhsa_system_sgpr_workgroup_id_x 1
		.amdhsa_system_sgpr_workgroup_id_y 0
		.amdhsa_system_sgpr_workgroup_id_z 0
		.amdhsa_system_sgpr_workgroup_info 0
		.amdhsa_system_vgpr_workitem_id 0
		.amdhsa_next_free_vgpr 1
		.amdhsa_next_free_sgpr 0
		.amdhsa_accum_offset 4
		.amdhsa_reserve_vcc 0
		.amdhsa_reserve_flat_scratch 0
		.amdhsa_float_round_mode_32 0
		.amdhsa_float_round_mode_16_64 0
		.amdhsa_float_denorm_mode_32 3
		.amdhsa_float_denorm_mode_16_64 3
		.amdhsa_dx10_clamp 1
		.amdhsa_ieee_mode 1
		.amdhsa_fp16_overflow 0
		.amdhsa_tg_split 0
		.amdhsa_exception_fp_ieee_invalid_op 0
		.amdhsa_exception_fp_denorm_src 0
		.amdhsa_exception_fp_ieee_div_zero 0
		.amdhsa_exception_fp_ieee_overflow 0
		.amdhsa_exception_fp_ieee_underflow 0
		.amdhsa_exception_fp_ieee_inexact 0
		.amdhsa_exception_int_div_zero 0
	.end_amdhsa_kernel
	.section	.text._ZN7rocprim17ROCPRIM_400000_NS6detail17trampoline_kernelINS0_14default_configENS1_25transform_config_selectorIsLb0EEEZNS1_14transform_implILb0ES3_S5_N6thrust23THRUST_200600_302600_NS6detail15normal_iteratorINS8_10device_ptrIsEEEEPsNS0_8identityIsEEEE10hipError_tT2_T3_mT4_P12ihipStream_tbEUlT_E_NS1_11comp_targetILNS1_3genE3ELNS1_11target_archE908ELNS1_3gpuE7ELNS1_3repE0EEENS1_30default_config_static_selectorELNS0_4arch9wavefront6targetE1EEEvT1_,"axG",@progbits,_ZN7rocprim17ROCPRIM_400000_NS6detail17trampoline_kernelINS0_14default_configENS1_25transform_config_selectorIsLb0EEEZNS1_14transform_implILb0ES3_S5_N6thrust23THRUST_200600_302600_NS6detail15normal_iteratorINS8_10device_ptrIsEEEEPsNS0_8identityIsEEEE10hipError_tT2_T3_mT4_P12ihipStream_tbEUlT_E_NS1_11comp_targetILNS1_3genE3ELNS1_11target_archE908ELNS1_3gpuE7ELNS1_3repE0EEENS1_30default_config_static_selectorELNS0_4arch9wavefront6targetE1EEEvT1_,comdat
.Lfunc_end1944:
	.size	_ZN7rocprim17ROCPRIM_400000_NS6detail17trampoline_kernelINS0_14default_configENS1_25transform_config_selectorIsLb0EEEZNS1_14transform_implILb0ES3_S5_N6thrust23THRUST_200600_302600_NS6detail15normal_iteratorINS8_10device_ptrIsEEEEPsNS0_8identityIsEEEE10hipError_tT2_T3_mT4_P12ihipStream_tbEUlT_E_NS1_11comp_targetILNS1_3genE3ELNS1_11target_archE908ELNS1_3gpuE7ELNS1_3repE0EEENS1_30default_config_static_selectorELNS0_4arch9wavefront6targetE1EEEvT1_, .Lfunc_end1944-_ZN7rocprim17ROCPRIM_400000_NS6detail17trampoline_kernelINS0_14default_configENS1_25transform_config_selectorIsLb0EEEZNS1_14transform_implILb0ES3_S5_N6thrust23THRUST_200600_302600_NS6detail15normal_iteratorINS8_10device_ptrIsEEEEPsNS0_8identityIsEEEE10hipError_tT2_T3_mT4_P12ihipStream_tbEUlT_E_NS1_11comp_targetILNS1_3genE3ELNS1_11target_archE908ELNS1_3gpuE7ELNS1_3repE0EEENS1_30default_config_static_selectorELNS0_4arch9wavefront6targetE1EEEvT1_
                                        ; -- End function
	.section	.AMDGPU.csdata,"",@progbits
; Kernel info:
; codeLenInByte = 0
; NumSgprs: 4
; NumVgprs: 0
; NumAgprs: 0
; TotalNumVgprs: 0
; ScratchSize: 0
; MemoryBound: 0
; FloatMode: 240
; IeeeMode: 1
; LDSByteSize: 0 bytes/workgroup (compile time only)
; SGPRBlocks: 0
; VGPRBlocks: 0
; NumSGPRsForWavesPerEU: 4
; NumVGPRsForWavesPerEU: 1
; AccumOffset: 4
; Occupancy: 8
; WaveLimiterHint : 0
; COMPUTE_PGM_RSRC2:SCRATCH_EN: 0
; COMPUTE_PGM_RSRC2:USER_SGPR: 6
; COMPUTE_PGM_RSRC2:TRAP_HANDLER: 0
; COMPUTE_PGM_RSRC2:TGID_X_EN: 1
; COMPUTE_PGM_RSRC2:TGID_Y_EN: 0
; COMPUTE_PGM_RSRC2:TGID_Z_EN: 0
; COMPUTE_PGM_RSRC2:TIDIG_COMP_CNT: 0
; COMPUTE_PGM_RSRC3_GFX90A:ACCUM_OFFSET: 0
; COMPUTE_PGM_RSRC3_GFX90A:TG_SPLIT: 0
	.section	.text._ZN7rocprim17ROCPRIM_400000_NS6detail17trampoline_kernelINS0_14default_configENS1_25transform_config_selectorIsLb0EEEZNS1_14transform_implILb0ES3_S5_N6thrust23THRUST_200600_302600_NS6detail15normal_iteratorINS8_10device_ptrIsEEEEPsNS0_8identityIsEEEE10hipError_tT2_T3_mT4_P12ihipStream_tbEUlT_E_NS1_11comp_targetILNS1_3genE2ELNS1_11target_archE906ELNS1_3gpuE6ELNS1_3repE0EEENS1_30default_config_static_selectorELNS0_4arch9wavefront6targetE1EEEvT1_,"axG",@progbits,_ZN7rocprim17ROCPRIM_400000_NS6detail17trampoline_kernelINS0_14default_configENS1_25transform_config_selectorIsLb0EEEZNS1_14transform_implILb0ES3_S5_N6thrust23THRUST_200600_302600_NS6detail15normal_iteratorINS8_10device_ptrIsEEEEPsNS0_8identityIsEEEE10hipError_tT2_T3_mT4_P12ihipStream_tbEUlT_E_NS1_11comp_targetILNS1_3genE2ELNS1_11target_archE906ELNS1_3gpuE6ELNS1_3repE0EEENS1_30default_config_static_selectorELNS0_4arch9wavefront6targetE1EEEvT1_,comdat
	.protected	_ZN7rocprim17ROCPRIM_400000_NS6detail17trampoline_kernelINS0_14default_configENS1_25transform_config_selectorIsLb0EEEZNS1_14transform_implILb0ES3_S5_N6thrust23THRUST_200600_302600_NS6detail15normal_iteratorINS8_10device_ptrIsEEEEPsNS0_8identityIsEEEE10hipError_tT2_T3_mT4_P12ihipStream_tbEUlT_E_NS1_11comp_targetILNS1_3genE2ELNS1_11target_archE906ELNS1_3gpuE6ELNS1_3repE0EEENS1_30default_config_static_selectorELNS0_4arch9wavefront6targetE1EEEvT1_ ; -- Begin function _ZN7rocprim17ROCPRIM_400000_NS6detail17trampoline_kernelINS0_14default_configENS1_25transform_config_selectorIsLb0EEEZNS1_14transform_implILb0ES3_S5_N6thrust23THRUST_200600_302600_NS6detail15normal_iteratorINS8_10device_ptrIsEEEEPsNS0_8identityIsEEEE10hipError_tT2_T3_mT4_P12ihipStream_tbEUlT_E_NS1_11comp_targetILNS1_3genE2ELNS1_11target_archE906ELNS1_3gpuE6ELNS1_3repE0EEENS1_30default_config_static_selectorELNS0_4arch9wavefront6targetE1EEEvT1_
	.globl	_ZN7rocprim17ROCPRIM_400000_NS6detail17trampoline_kernelINS0_14default_configENS1_25transform_config_selectorIsLb0EEEZNS1_14transform_implILb0ES3_S5_N6thrust23THRUST_200600_302600_NS6detail15normal_iteratorINS8_10device_ptrIsEEEEPsNS0_8identityIsEEEE10hipError_tT2_T3_mT4_P12ihipStream_tbEUlT_E_NS1_11comp_targetILNS1_3genE2ELNS1_11target_archE906ELNS1_3gpuE6ELNS1_3repE0EEENS1_30default_config_static_selectorELNS0_4arch9wavefront6targetE1EEEvT1_
	.p2align	8
	.type	_ZN7rocprim17ROCPRIM_400000_NS6detail17trampoline_kernelINS0_14default_configENS1_25transform_config_selectorIsLb0EEEZNS1_14transform_implILb0ES3_S5_N6thrust23THRUST_200600_302600_NS6detail15normal_iteratorINS8_10device_ptrIsEEEEPsNS0_8identityIsEEEE10hipError_tT2_T3_mT4_P12ihipStream_tbEUlT_E_NS1_11comp_targetILNS1_3genE2ELNS1_11target_archE906ELNS1_3gpuE6ELNS1_3repE0EEENS1_30default_config_static_selectorELNS0_4arch9wavefront6targetE1EEEvT1_,@function
_ZN7rocprim17ROCPRIM_400000_NS6detail17trampoline_kernelINS0_14default_configENS1_25transform_config_selectorIsLb0EEEZNS1_14transform_implILb0ES3_S5_N6thrust23THRUST_200600_302600_NS6detail15normal_iteratorINS8_10device_ptrIsEEEEPsNS0_8identityIsEEEE10hipError_tT2_T3_mT4_P12ihipStream_tbEUlT_E_NS1_11comp_targetILNS1_3genE2ELNS1_11target_archE906ELNS1_3gpuE6ELNS1_3repE0EEENS1_30default_config_static_selectorELNS0_4arch9wavefront6targetE1EEEvT1_: ; @_ZN7rocprim17ROCPRIM_400000_NS6detail17trampoline_kernelINS0_14default_configENS1_25transform_config_selectorIsLb0EEEZNS1_14transform_implILb0ES3_S5_N6thrust23THRUST_200600_302600_NS6detail15normal_iteratorINS8_10device_ptrIsEEEEPsNS0_8identityIsEEEE10hipError_tT2_T3_mT4_P12ihipStream_tbEUlT_E_NS1_11comp_targetILNS1_3genE2ELNS1_11target_archE906ELNS1_3gpuE6ELNS1_3repE0EEENS1_30default_config_static_selectorELNS0_4arch9wavefront6targetE1EEEvT1_
; %bb.0:
	.section	.rodata,"a",@progbits
	.p2align	6, 0x0
	.amdhsa_kernel _ZN7rocprim17ROCPRIM_400000_NS6detail17trampoline_kernelINS0_14default_configENS1_25transform_config_selectorIsLb0EEEZNS1_14transform_implILb0ES3_S5_N6thrust23THRUST_200600_302600_NS6detail15normal_iteratorINS8_10device_ptrIsEEEEPsNS0_8identityIsEEEE10hipError_tT2_T3_mT4_P12ihipStream_tbEUlT_E_NS1_11comp_targetILNS1_3genE2ELNS1_11target_archE906ELNS1_3gpuE6ELNS1_3repE0EEENS1_30default_config_static_selectorELNS0_4arch9wavefront6targetE1EEEvT1_
		.amdhsa_group_segment_fixed_size 0
		.amdhsa_private_segment_fixed_size 0
		.amdhsa_kernarg_size 40
		.amdhsa_user_sgpr_count 6
		.amdhsa_user_sgpr_private_segment_buffer 1
		.amdhsa_user_sgpr_dispatch_ptr 0
		.amdhsa_user_sgpr_queue_ptr 0
		.amdhsa_user_sgpr_kernarg_segment_ptr 1
		.amdhsa_user_sgpr_dispatch_id 0
		.amdhsa_user_sgpr_flat_scratch_init 0
		.amdhsa_user_sgpr_kernarg_preload_length 0
		.amdhsa_user_sgpr_kernarg_preload_offset 0
		.amdhsa_user_sgpr_private_segment_size 0
		.amdhsa_uses_dynamic_stack 0
		.amdhsa_system_sgpr_private_segment_wavefront_offset 0
		.amdhsa_system_sgpr_workgroup_id_x 1
		.amdhsa_system_sgpr_workgroup_id_y 0
		.amdhsa_system_sgpr_workgroup_id_z 0
		.amdhsa_system_sgpr_workgroup_info 0
		.amdhsa_system_vgpr_workitem_id 0
		.amdhsa_next_free_vgpr 1
		.amdhsa_next_free_sgpr 0
		.amdhsa_accum_offset 4
		.amdhsa_reserve_vcc 0
		.amdhsa_reserve_flat_scratch 0
		.amdhsa_float_round_mode_32 0
		.amdhsa_float_round_mode_16_64 0
		.amdhsa_float_denorm_mode_32 3
		.amdhsa_float_denorm_mode_16_64 3
		.amdhsa_dx10_clamp 1
		.amdhsa_ieee_mode 1
		.amdhsa_fp16_overflow 0
		.amdhsa_tg_split 0
		.amdhsa_exception_fp_ieee_invalid_op 0
		.amdhsa_exception_fp_denorm_src 0
		.amdhsa_exception_fp_ieee_div_zero 0
		.amdhsa_exception_fp_ieee_overflow 0
		.amdhsa_exception_fp_ieee_underflow 0
		.amdhsa_exception_fp_ieee_inexact 0
		.amdhsa_exception_int_div_zero 0
	.end_amdhsa_kernel
	.section	.text._ZN7rocprim17ROCPRIM_400000_NS6detail17trampoline_kernelINS0_14default_configENS1_25transform_config_selectorIsLb0EEEZNS1_14transform_implILb0ES3_S5_N6thrust23THRUST_200600_302600_NS6detail15normal_iteratorINS8_10device_ptrIsEEEEPsNS0_8identityIsEEEE10hipError_tT2_T3_mT4_P12ihipStream_tbEUlT_E_NS1_11comp_targetILNS1_3genE2ELNS1_11target_archE906ELNS1_3gpuE6ELNS1_3repE0EEENS1_30default_config_static_selectorELNS0_4arch9wavefront6targetE1EEEvT1_,"axG",@progbits,_ZN7rocprim17ROCPRIM_400000_NS6detail17trampoline_kernelINS0_14default_configENS1_25transform_config_selectorIsLb0EEEZNS1_14transform_implILb0ES3_S5_N6thrust23THRUST_200600_302600_NS6detail15normal_iteratorINS8_10device_ptrIsEEEEPsNS0_8identityIsEEEE10hipError_tT2_T3_mT4_P12ihipStream_tbEUlT_E_NS1_11comp_targetILNS1_3genE2ELNS1_11target_archE906ELNS1_3gpuE6ELNS1_3repE0EEENS1_30default_config_static_selectorELNS0_4arch9wavefront6targetE1EEEvT1_,comdat
.Lfunc_end1945:
	.size	_ZN7rocprim17ROCPRIM_400000_NS6detail17trampoline_kernelINS0_14default_configENS1_25transform_config_selectorIsLb0EEEZNS1_14transform_implILb0ES3_S5_N6thrust23THRUST_200600_302600_NS6detail15normal_iteratorINS8_10device_ptrIsEEEEPsNS0_8identityIsEEEE10hipError_tT2_T3_mT4_P12ihipStream_tbEUlT_E_NS1_11comp_targetILNS1_3genE2ELNS1_11target_archE906ELNS1_3gpuE6ELNS1_3repE0EEENS1_30default_config_static_selectorELNS0_4arch9wavefront6targetE1EEEvT1_, .Lfunc_end1945-_ZN7rocprim17ROCPRIM_400000_NS6detail17trampoline_kernelINS0_14default_configENS1_25transform_config_selectorIsLb0EEEZNS1_14transform_implILb0ES3_S5_N6thrust23THRUST_200600_302600_NS6detail15normal_iteratorINS8_10device_ptrIsEEEEPsNS0_8identityIsEEEE10hipError_tT2_T3_mT4_P12ihipStream_tbEUlT_E_NS1_11comp_targetILNS1_3genE2ELNS1_11target_archE906ELNS1_3gpuE6ELNS1_3repE0EEENS1_30default_config_static_selectorELNS0_4arch9wavefront6targetE1EEEvT1_
                                        ; -- End function
	.section	.AMDGPU.csdata,"",@progbits
; Kernel info:
; codeLenInByte = 0
; NumSgprs: 4
; NumVgprs: 0
; NumAgprs: 0
; TotalNumVgprs: 0
; ScratchSize: 0
; MemoryBound: 0
; FloatMode: 240
; IeeeMode: 1
; LDSByteSize: 0 bytes/workgroup (compile time only)
; SGPRBlocks: 0
; VGPRBlocks: 0
; NumSGPRsForWavesPerEU: 4
; NumVGPRsForWavesPerEU: 1
; AccumOffset: 4
; Occupancy: 8
; WaveLimiterHint : 0
; COMPUTE_PGM_RSRC2:SCRATCH_EN: 0
; COMPUTE_PGM_RSRC2:USER_SGPR: 6
; COMPUTE_PGM_RSRC2:TRAP_HANDLER: 0
; COMPUTE_PGM_RSRC2:TGID_X_EN: 1
; COMPUTE_PGM_RSRC2:TGID_Y_EN: 0
; COMPUTE_PGM_RSRC2:TGID_Z_EN: 0
; COMPUTE_PGM_RSRC2:TIDIG_COMP_CNT: 0
; COMPUTE_PGM_RSRC3_GFX90A:ACCUM_OFFSET: 0
; COMPUTE_PGM_RSRC3_GFX90A:TG_SPLIT: 0
	.section	.text._ZN7rocprim17ROCPRIM_400000_NS6detail17trampoline_kernelINS0_14default_configENS1_25transform_config_selectorIsLb0EEEZNS1_14transform_implILb0ES3_S5_N6thrust23THRUST_200600_302600_NS6detail15normal_iteratorINS8_10device_ptrIsEEEEPsNS0_8identityIsEEEE10hipError_tT2_T3_mT4_P12ihipStream_tbEUlT_E_NS1_11comp_targetILNS1_3genE10ELNS1_11target_archE1201ELNS1_3gpuE5ELNS1_3repE0EEENS1_30default_config_static_selectorELNS0_4arch9wavefront6targetE1EEEvT1_,"axG",@progbits,_ZN7rocprim17ROCPRIM_400000_NS6detail17trampoline_kernelINS0_14default_configENS1_25transform_config_selectorIsLb0EEEZNS1_14transform_implILb0ES3_S5_N6thrust23THRUST_200600_302600_NS6detail15normal_iteratorINS8_10device_ptrIsEEEEPsNS0_8identityIsEEEE10hipError_tT2_T3_mT4_P12ihipStream_tbEUlT_E_NS1_11comp_targetILNS1_3genE10ELNS1_11target_archE1201ELNS1_3gpuE5ELNS1_3repE0EEENS1_30default_config_static_selectorELNS0_4arch9wavefront6targetE1EEEvT1_,comdat
	.protected	_ZN7rocprim17ROCPRIM_400000_NS6detail17trampoline_kernelINS0_14default_configENS1_25transform_config_selectorIsLb0EEEZNS1_14transform_implILb0ES3_S5_N6thrust23THRUST_200600_302600_NS6detail15normal_iteratorINS8_10device_ptrIsEEEEPsNS0_8identityIsEEEE10hipError_tT2_T3_mT4_P12ihipStream_tbEUlT_E_NS1_11comp_targetILNS1_3genE10ELNS1_11target_archE1201ELNS1_3gpuE5ELNS1_3repE0EEENS1_30default_config_static_selectorELNS0_4arch9wavefront6targetE1EEEvT1_ ; -- Begin function _ZN7rocprim17ROCPRIM_400000_NS6detail17trampoline_kernelINS0_14default_configENS1_25transform_config_selectorIsLb0EEEZNS1_14transform_implILb0ES3_S5_N6thrust23THRUST_200600_302600_NS6detail15normal_iteratorINS8_10device_ptrIsEEEEPsNS0_8identityIsEEEE10hipError_tT2_T3_mT4_P12ihipStream_tbEUlT_E_NS1_11comp_targetILNS1_3genE10ELNS1_11target_archE1201ELNS1_3gpuE5ELNS1_3repE0EEENS1_30default_config_static_selectorELNS0_4arch9wavefront6targetE1EEEvT1_
	.globl	_ZN7rocprim17ROCPRIM_400000_NS6detail17trampoline_kernelINS0_14default_configENS1_25transform_config_selectorIsLb0EEEZNS1_14transform_implILb0ES3_S5_N6thrust23THRUST_200600_302600_NS6detail15normal_iteratorINS8_10device_ptrIsEEEEPsNS0_8identityIsEEEE10hipError_tT2_T3_mT4_P12ihipStream_tbEUlT_E_NS1_11comp_targetILNS1_3genE10ELNS1_11target_archE1201ELNS1_3gpuE5ELNS1_3repE0EEENS1_30default_config_static_selectorELNS0_4arch9wavefront6targetE1EEEvT1_
	.p2align	8
	.type	_ZN7rocprim17ROCPRIM_400000_NS6detail17trampoline_kernelINS0_14default_configENS1_25transform_config_selectorIsLb0EEEZNS1_14transform_implILb0ES3_S5_N6thrust23THRUST_200600_302600_NS6detail15normal_iteratorINS8_10device_ptrIsEEEEPsNS0_8identityIsEEEE10hipError_tT2_T3_mT4_P12ihipStream_tbEUlT_E_NS1_11comp_targetILNS1_3genE10ELNS1_11target_archE1201ELNS1_3gpuE5ELNS1_3repE0EEENS1_30default_config_static_selectorELNS0_4arch9wavefront6targetE1EEEvT1_,@function
_ZN7rocprim17ROCPRIM_400000_NS6detail17trampoline_kernelINS0_14default_configENS1_25transform_config_selectorIsLb0EEEZNS1_14transform_implILb0ES3_S5_N6thrust23THRUST_200600_302600_NS6detail15normal_iteratorINS8_10device_ptrIsEEEEPsNS0_8identityIsEEEE10hipError_tT2_T3_mT4_P12ihipStream_tbEUlT_E_NS1_11comp_targetILNS1_3genE10ELNS1_11target_archE1201ELNS1_3gpuE5ELNS1_3repE0EEENS1_30default_config_static_selectorELNS0_4arch9wavefront6targetE1EEEvT1_: ; @_ZN7rocprim17ROCPRIM_400000_NS6detail17trampoline_kernelINS0_14default_configENS1_25transform_config_selectorIsLb0EEEZNS1_14transform_implILb0ES3_S5_N6thrust23THRUST_200600_302600_NS6detail15normal_iteratorINS8_10device_ptrIsEEEEPsNS0_8identityIsEEEE10hipError_tT2_T3_mT4_P12ihipStream_tbEUlT_E_NS1_11comp_targetILNS1_3genE10ELNS1_11target_archE1201ELNS1_3gpuE5ELNS1_3repE0EEENS1_30default_config_static_selectorELNS0_4arch9wavefront6targetE1EEEvT1_
; %bb.0:
	.section	.rodata,"a",@progbits
	.p2align	6, 0x0
	.amdhsa_kernel _ZN7rocprim17ROCPRIM_400000_NS6detail17trampoline_kernelINS0_14default_configENS1_25transform_config_selectorIsLb0EEEZNS1_14transform_implILb0ES3_S5_N6thrust23THRUST_200600_302600_NS6detail15normal_iteratorINS8_10device_ptrIsEEEEPsNS0_8identityIsEEEE10hipError_tT2_T3_mT4_P12ihipStream_tbEUlT_E_NS1_11comp_targetILNS1_3genE10ELNS1_11target_archE1201ELNS1_3gpuE5ELNS1_3repE0EEENS1_30default_config_static_selectorELNS0_4arch9wavefront6targetE1EEEvT1_
		.amdhsa_group_segment_fixed_size 0
		.amdhsa_private_segment_fixed_size 0
		.amdhsa_kernarg_size 40
		.amdhsa_user_sgpr_count 6
		.amdhsa_user_sgpr_private_segment_buffer 1
		.amdhsa_user_sgpr_dispatch_ptr 0
		.amdhsa_user_sgpr_queue_ptr 0
		.amdhsa_user_sgpr_kernarg_segment_ptr 1
		.amdhsa_user_sgpr_dispatch_id 0
		.amdhsa_user_sgpr_flat_scratch_init 0
		.amdhsa_user_sgpr_kernarg_preload_length 0
		.amdhsa_user_sgpr_kernarg_preload_offset 0
		.amdhsa_user_sgpr_private_segment_size 0
		.amdhsa_uses_dynamic_stack 0
		.amdhsa_system_sgpr_private_segment_wavefront_offset 0
		.amdhsa_system_sgpr_workgroup_id_x 1
		.amdhsa_system_sgpr_workgroup_id_y 0
		.amdhsa_system_sgpr_workgroup_id_z 0
		.amdhsa_system_sgpr_workgroup_info 0
		.amdhsa_system_vgpr_workitem_id 0
		.amdhsa_next_free_vgpr 1
		.amdhsa_next_free_sgpr 0
		.amdhsa_accum_offset 4
		.amdhsa_reserve_vcc 0
		.amdhsa_reserve_flat_scratch 0
		.amdhsa_float_round_mode_32 0
		.amdhsa_float_round_mode_16_64 0
		.amdhsa_float_denorm_mode_32 3
		.amdhsa_float_denorm_mode_16_64 3
		.amdhsa_dx10_clamp 1
		.amdhsa_ieee_mode 1
		.amdhsa_fp16_overflow 0
		.amdhsa_tg_split 0
		.amdhsa_exception_fp_ieee_invalid_op 0
		.amdhsa_exception_fp_denorm_src 0
		.amdhsa_exception_fp_ieee_div_zero 0
		.amdhsa_exception_fp_ieee_overflow 0
		.amdhsa_exception_fp_ieee_underflow 0
		.amdhsa_exception_fp_ieee_inexact 0
		.amdhsa_exception_int_div_zero 0
	.end_amdhsa_kernel
	.section	.text._ZN7rocprim17ROCPRIM_400000_NS6detail17trampoline_kernelINS0_14default_configENS1_25transform_config_selectorIsLb0EEEZNS1_14transform_implILb0ES3_S5_N6thrust23THRUST_200600_302600_NS6detail15normal_iteratorINS8_10device_ptrIsEEEEPsNS0_8identityIsEEEE10hipError_tT2_T3_mT4_P12ihipStream_tbEUlT_E_NS1_11comp_targetILNS1_3genE10ELNS1_11target_archE1201ELNS1_3gpuE5ELNS1_3repE0EEENS1_30default_config_static_selectorELNS0_4arch9wavefront6targetE1EEEvT1_,"axG",@progbits,_ZN7rocprim17ROCPRIM_400000_NS6detail17trampoline_kernelINS0_14default_configENS1_25transform_config_selectorIsLb0EEEZNS1_14transform_implILb0ES3_S5_N6thrust23THRUST_200600_302600_NS6detail15normal_iteratorINS8_10device_ptrIsEEEEPsNS0_8identityIsEEEE10hipError_tT2_T3_mT4_P12ihipStream_tbEUlT_E_NS1_11comp_targetILNS1_3genE10ELNS1_11target_archE1201ELNS1_3gpuE5ELNS1_3repE0EEENS1_30default_config_static_selectorELNS0_4arch9wavefront6targetE1EEEvT1_,comdat
.Lfunc_end1946:
	.size	_ZN7rocprim17ROCPRIM_400000_NS6detail17trampoline_kernelINS0_14default_configENS1_25transform_config_selectorIsLb0EEEZNS1_14transform_implILb0ES3_S5_N6thrust23THRUST_200600_302600_NS6detail15normal_iteratorINS8_10device_ptrIsEEEEPsNS0_8identityIsEEEE10hipError_tT2_T3_mT4_P12ihipStream_tbEUlT_E_NS1_11comp_targetILNS1_3genE10ELNS1_11target_archE1201ELNS1_3gpuE5ELNS1_3repE0EEENS1_30default_config_static_selectorELNS0_4arch9wavefront6targetE1EEEvT1_, .Lfunc_end1946-_ZN7rocprim17ROCPRIM_400000_NS6detail17trampoline_kernelINS0_14default_configENS1_25transform_config_selectorIsLb0EEEZNS1_14transform_implILb0ES3_S5_N6thrust23THRUST_200600_302600_NS6detail15normal_iteratorINS8_10device_ptrIsEEEEPsNS0_8identityIsEEEE10hipError_tT2_T3_mT4_P12ihipStream_tbEUlT_E_NS1_11comp_targetILNS1_3genE10ELNS1_11target_archE1201ELNS1_3gpuE5ELNS1_3repE0EEENS1_30default_config_static_selectorELNS0_4arch9wavefront6targetE1EEEvT1_
                                        ; -- End function
	.section	.AMDGPU.csdata,"",@progbits
; Kernel info:
; codeLenInByte = 0
; NumSgprs: 4
; NumVgprs: 0
; NumAgprs: 0
; TotalNumVgprs: 0
; ScratchSize: 0
; MemoryBound: 0
; FloatMode: 240
; IeeeMode: 1
; LDSByteSize: 0 bytes/workgroup (compile time only)
; SGPRBlocks: 0
; VGPRBlocks: 0
; NumSGPRsForWavesPerEU: 4
; NumVGPRsForWavesPerEU: 1
; AccumOffset: 4
; Occupancy: 8
; WaveLimiterHint : 0
; COMPUTE_PGM_RSRC2:SCRATCH_EN: 0
; COMPUTE_PGM_RSRC2:USER_SGPR: 6
; COMPUTE_PGM_RSRC2:TRAP_HANDLER: 0
; COMPUTE_PGM_RSRC2:TGID_X_EN: 1
; COMPUTE_PGM_RSRC2:TGID_Y_EN: 0
; COMPUTE_PGM_RSRC2:TGID_Z_EN: 0
; COMPUTE_PGM_RSRC2:TIDIG_COMP_CNT: 0
; COMPUTE_PGM_RSRC3_GFX90A:ACCUM_OFFSET: 0
; COMPUTE_PGM_RSRC3_GFX90A:TG_SPLIT: 0
	.section	.text._ZN7rocprim17ROCPRIM_400000_NS6detail17trampoline_kernelINS0_14default_configENS1_25transform_config_selectorIsLb0EEEZNS1_14transform_implILb0ES3_S5_N6thrust23THRUST_200600_302600_NS6detail15normal_iteratorINS8_10device_ptrIsEEEEPsNS0_8identityIsEEEE10hipError_tT2_T3_mT4_P12ihipStream_tbEUlT_E_NS1_11comp_targetILNS1_3genE10ELNS1_11target_archE1200ELNS1_3gpuE4ELNS1_3repE0EEENS1_30default_config_static_selectorELNS0_4arch9wavefront6targetE1EEEvT1_,"axG",@progbits,_ZN7rocprim17ROCPRIM_400000_NS6detail17trampoline_kernelINS0_14default_configENS1_25transform_config_selectorIsLb0EEEZNS1_14transform_implILb0ES3_S5_N6thrust23THRUST_200600_302600_NS6detail15normal_iteratorINS8_10device_ptrIsEEEEPsNS0_8identityIsEEEE10hipError_tT2_T3_mT4_P12ihipStream_tbEUlT_E_NS1_11comp_targetILNS1_3genE10ELNS1_11target_archE1200ELNS1_3gpuE4ELNS1_3repE0EEENS1_30default_config_static_selectorELNS0_4arch9wavefront6targetE1EEEvT1_,comdat
	.protected	_ZN7rocprim17ROCPRIM_400000_NS6detail17trampoline_kernelINS0_14default_configENS1_25transform_config_selectorIsLb0EEEZNS1_14transform_implILb0ES3_S5_N6thrust23THRUST_200600_302600_NS6detail15normal_iteratorINS8_10device_ptrIsEEEEPsNS0_8identityIsEEEE10hipError_tT2_T3_mT4_P12ihipStream_tbEUlT_E_NS1_11comp_targetILNS1_3genE10ELNS1_11target_archE1200ELNS1_3gpuE4ELNS1_3repE0EEENS1_30default_config_static_selectorELNS0_4arch9wavefront6targetE1EEEvT1_ ; -- Begin function _ZN7rocprim17ROCPRIM_400000_NS6detail17trampoline_kernelINS0_14default_configENS1_25transform_config_selectorIsLb0EEEZNS1_14transform_implILb0ES3_S5_N6thrust23THRUST_200600_302600_NS6detail15normal_iteratorINS8_10device_ptrIsEEEEPsNS0_8identityIsEEEE10hipError_tT2_T3_mT4_P12ihipStream_tbEUlT_E_NS1_11comp_targetILNS1_3genE10ELNS1_11target_archE1200ELNS1_3gpuE4ELNS1_3repE0EEENS1_30default_config_static_selectorELNS0_4arch9wavefront6targetE1EEEvT1_
	.globl	_ZN7rocprim17ROCPRIM_400000_NS6detail17trampoline_kernelINS0_14default_configENS1_25transform_config_selectorIsLb0EEEZNS1_14transform_implILb0ES3_S5_N6thrust23THRUST_200600_302600_NS6detail15normal_iteratorINS8_10device_ptrIsEEEEPsNS0_8identityIsEEEE10hipError_tT2_T3_mT4_P12ihipStream_tbEUlT_E_NS1_11comp_targetILNS1_3genE10ELNS1_11target_archE1200ELNS1_3gpuE4ELNS1_3repE0EEENS1_30default_config_static_selectorELNS0_4arch9wavefront6targetE1EEEvT1_
	.p2align	8
	.type	_ZN7rocprim17ROCPRIM_400000_NS6detail17trampoline_kernelINS0_14default_configENS1_25transform_config_selectorIsLb0EEEZNS1_14transform_implILb0ES3_S5_N6thrust23THRUST_200600_302600_NS6detail15normal_iteratorINS8_10device_ptrIsEEEEPsNS0_8identityIsEEEE10hipError_tT2_T3_mT4_P12ihipStream_tbEUlT_E_NS1_11comp_targetILNS1_3genE10ELNS1_11target_archE1200ELNS1_3gpuE4ELNS1_3repE0EEENS1_30default_config_static_selectorELNS0_4arch9wavefront6targetE1EEEvT1_,@function
_ZN7rocprim17ROCPRIM_400000_NS6detail17trampoline_kernelINS0_14default_configENS1_25transform_config_selectorIsLb0EEEZNS1_14transform_implILb0ES3_S5_N6thrust23THRUST_200600_302600_NS6detail15normal_iteratorINS8_10device_ptrIsEEEEPsNS0_8identityIsEEEE10hipError_tT2_T3_mT4_P12ihipStream_tbEUlT_E_NS1_11comp_targetILNS1_3genE10ELNS1_11target_archE1200ELNS1_3gpuE4ELNS1_3repE0EEENS1_30default_config_static_selectorELNS0_4arch9wavefront6targetE1EEEvT1_: ; @_ZN7rocprim17ROCPRIM_400000_NS6detail17trampoline_kernelINS0_14default_configENS1_25transform_config_selectorIsLb0EEEZNS1_14transform_implILb0ES3_S5_N6thrust23THRUST_200600_302600_NS6detail15normal_iteratorINS8_10device_ptrIsEEEEPsNS0_8identityIsEEEE10hipError_tT2_T3_mT4_P12ihipStream_tbEUlT_E_NS1_11comp_targetILNS1_3genE10ELNS1_11target_archE1200ELNS1_3gpuE4ELNS1_3repE0EEENS1_30default_config_static_selectorELNS0_4arch9wavefront6targetE1EEEvT1_
; %bb.0:
	.section	.rodata,"a",@progbits
	.p2align	6, 0x0
	.amdhsa_kernel _ZN7rocprim17ROCPRIM_400000_NS6detail17trampoline_kernelINS0_14default_configENS1_25transform_config_selectorIsLb0EEEZNS1_14transform_implILb0ES3_S5_N6thrust23THRUST_200600_302600_NS6detail15normal_iteratorINS8_10device_ptrIsEEEEPsNS0_8identityIsEEEE10hipError_tT2_T3_mT4_P12ihipStream_tbEUlT_E_NS1_11comp_targetILNS1_3genE10ELNS1_11target_archE1200ELNS1_3gpuE4ELNS1_3repE0EEENS1_30default_config_static_selectorELNS0_4arch9wavefront6targetE1EEEvT1_
		.amdhsa_group_segment_fixed_size 0
		.amdhsa_private_segment_fixed_size 0
		.amdhsa_kernarg_size 40
		.amdhsa_user_sgpr_count 6
		.amdhsa_user_sgpr_private_segment_buffer 1
		.amdhsa_user_sgpr_dispatch_ptr 0
		.amdhsa_user_sgpr_queue_ptr 0
		.amdhsa_user_sgpr_kernarg_segment_ptr 1
		.amdhsa_user_sgpr_dispatch_id 0
		.amdhsa_user_sgpr_flat_scratch_init 0
		.amdhsa_user_sgpr_kernarg_preload_length 0
		.amdhsa_user_sgpr_kernarg_preload_offset 0
		.amdhsa_user_sgpr_private_segment_size 0
		.amdhsa_uses_dynamic_stack 0
		.amdhsa_system_sgpr_private_segment_wavefront_offset 0
		.amdhsa_system_sgpr_workgroup_id_x 1
		.amdhsa_system_sgpr_workgroup_id_y 0
		.amdhsa_system_sgpr_workgroup_id_z 0
		.amdhsa_system_sgpr_workgroup_info 0
		.amdhsa_system_vgpr_workitem_id 0
		.amdhsa_next_free_vgpr 1
		.amdhsa_next_free_sgpr 0
		.amdhsa_accum_offset 4
		.amdhsa_reserve_vcc 0
		.amdhsa_reserve_flat_scratch 0
		.amdhsa_float_round_mode_32 0
		.amdhsa_float_round_mode_16_64 0
		.amdhsa_float_denorm_mode_32 3
		.amdhsa_float_denorm_mode_16_64 3
		.amdhsa_dx10_clamp 1
		.amdhsa_ieee_mode 1
		.amdhsa_fp16_overflow 0
		.amdhsa_tg_split 0
		.amdhsa_exception_fp_ieee_invalid_op 0
		.amdhsa_exception_fp_denorm_src 0
		.amdhsa_exception_fp_ieee_div_zero 0
		.amdhsa_exception_fp_ieee_overflow 0
		.amdhsa_exception_fp_ieee_underflow 0
		.amdhsa_exception_fp_ieee_inexact 0
		.amdhsa_exception_int_div_zero 0
	.end_amdhsa_kernel
	.section	.text._ZN7rocprim17ROCPRIM_400000_NS6detail17trampoline_kernelINS0_14default_configENS1_25transform_config_selectorIsLb0EEEZNS1_14transform_implILb0ES3_S5_N6thrust23THRUST_200600_302600_NS6detail15normal_iteratorINS8_10device_ptrIsEEEEPsNS0_8identityIsEEEE10hipError_tT2_T3_mT4_P12ihipStream_tbEUlT_E_NS1_11comp_targetILNS1_3genE10ELNS1_11target_archE1200ELNS1_3gpuE4ELNS1_3repE0EEENS1_30default_config_static_selectorELNS0_4arch9wavefront6targetE1EEEvT1_,"axG",@progbits,_ZN7rocprim17ROCPRIM_400000_NS6detail17trampoline_kernelINS0_14default_configENS1_25transform_config_selectorIsLb0EEEZNS1_14transform_implILb0ES3_S5_N6thrust23THRUST_200600_302600_NS6detail15normal_iteratorINS8_10device_ptrIsEEEEPsNS0_8identityIsEEEE10hipError_tT2_T3_mT4_P12ihipStream_tbEUlT_E_NS1_11comp_targetILNS1_3genE10ELNS1_11target_archE1200ELNS1_3gpuE4ELNS1_3repE0EEENS1_30default_config_static_selectorELNS0_4arch9wavefront6targetE1EEEvT1_,comdat
.Lfunc_end1947:
	.size	_ZN7rocprim17ROCPRIM_400000_NS6detail17trampoline_kernelINS0_14default_configENS1_25transform_config_selectorIsLb0EEEZNS1_14transform_implILb0ES3_S5_N6thrust23THRUST_200600_302600_NS6detail15normal_iteratorINS8_10device_ptrIsEEEEPsNS0_8identityIsEEEE10hipError_tT2_T3_mT4_P12ihipStream_tbEUlT_E_NS1_11comp_targetILNS1_3genE10ELNS1_11target_archE1200ELNS1_3gpuE4ELNS1_3repE0EEENS1_30default_config_static_selectorELNS0_4arch9wavefront6targetE1EEEvT1_, .Lfunc_end1947-_ZN7rocprim17ROCPRIM_400000_NS6detail17trampoline_kernelINS0_14default_configENS1_25transform_config_selectorIsLb0EEEZNS1_14transform_implILb0ES3_S5_N6thrust23THRUST_200600_302600_NS6detail15normal_iteratorINS8_10device_ptrIsEEEEPsNS0_8identityIsEEEE10hipError_tT2_T3_mT4_P12ihipStream_tbEUlT_E_NS1_11comp_targetILNS1_3genE10ELNS1_11target_archE1200ELNS1_3gpuE4ELNS1_3repE0EEENS1_30default_config_static_selectorELNS0_4arch9wavefront6targetE1EEEvT1_
                                        ; -- End function
	.section	.AMDGPU.csdata,"",@progbits
; Kernel info:
; codeLenInByte = 0
; NumSgprs: 4
; NumVgprs: 0
; NumAgprs: 0
; TotalNumVgprs: 0
; ScratchSize: 0
; MemoryBound: 0
; FloatMode: 240
; IeeeMode: 1
; LDSByteSize: 0 bytes/workgroup (compile time only)
; SGPRBlocks: 0
; VGPRBlocks: 0
; NumSGPRsForWavesPerEU: 4
; NumVGPRsForWavesPerEU: 1
; AccumOffset: 4
; Occupancy: 8
; WaveLimiterHint : 0
; COMPUTE_PGM_RSRC2:SCRATCH_EN: 0
; COMPUTE_PGM_RSRC2:USER_SGPR: 6
; COMPUTE_PGM_RSRC2:TRAP_HANDLER: 0
; COMPUTE_PGM_RSRC2:TGID_X_EN: 1
; COMPUTE_PGM_RSRC2:TGID_Y_EN: 0
; COMPUTE_PGM_RSRC2:TGID_Z_EN: 0
; COMPUTE_PGM_RSRC2:TIDIG_COMP_CNT: 0
; COMPUTE_PGM_RSRC3_GFX90A:ACCUM_OFFSET: 0
; COMPUTE_PGM_RSRC3_GFX90A:TG_SPLIT: 0
	.section	.text._ZN7rocprim17ROCPRIM_400000_NS6detail17trampoline_kernelINS0_14default_configENS1_25transform_config_selectorIsLb0EEEZNS1_14transform_implILb0ES3_S5_N6thrust23THRUST_200600_302600_NS6detail15normal_iteratorINS8_10device_ptrIsEEEEPsNS0_8identityIsEEEE10hipError_tT2_T3_mT4_P12ihipStream_tbEUlT_E_NS1_11comp_targetILNS1_3genE9ELNS1_11target_archE1100ELNS1_3gpuE3ELNS1_3repE0EEENS1_30default_config_static_selectorELNS0_4arch9wavefront6targetE1EEEvT1_,"axG",@progbits,_ZN7rocprim17ROCPRIM_400000_NS6detail17trampoline_kernelINS0_14default_configENS1_25transform_config_selectorIsLb0EEEZNS1_14transform_implILb0ES3_S5_N6thrust23THRUST_200600_302600_NS6detail15normal_iteratorINS8_10device_ptrIsEEEEPsNS0_8identityIsEEEE10hipError_tT2_T3_mT4_P12ihipStream_tbEUlT_E_NS1_11comp_targetILNS1_3genE9ELNS1_11target_archE1100ELNS1_3gpuE3ELNS1_3repE0EEENS1_30default_config_static_selectorELNS0_4arch9wavefront6targetE1EEEvT1_,comdat
	.protected	_ZN7rocprim17ROCPRIM_400000_NS6detail17trampoline_kernelINS0_14default_configENS1_25transform_config_selectorIsLb0EEEZNS1_14transform_implILb0ES3_S5_N6thrust23THRUST_200600_302600_NS6detail15normal_iteratorINS8_10device_ptrIsEEEEPsNS0_8identityIsEEEE10hipError_tT2_T3_mT4_P12ihipStream_tbEUlT_E_NS1_11comp_targetILNS1_3genE9ELNS1_11target_archE1100ELNS1_3gpuE3ELNS1_3repE0EEENS1_30default_config_static_selectorELNS0_4arch9wavefront6targetE1EEEvT1_ ; -- Begin function _ZN7rocprim17ROCPRIM_400000_NS6detail17trampoline_kernelINS0_14default_configENS1_25transform_config_selectorIsLb0EEEZNS1_14transform_implILb0ES3_S5_N6thrust23THRUST_200600_302600_NS6detail15normal_iteratorINS8_10device_ptrIsEEEEPsNS0_8identityIsEEEE10hipError_tT2_T3_mT4_P12ihipStream_tbEUlT_E_NS1_11comp_targetILNS1_3genE9ELNS1_11target_archE1100ELNS1_3gpuE3ELNS1_3repE0EEENS1_30default_config_static_selectorELNS0_4arch9wavefront6targetE1EEEvT1_
	.globl	_ZN7rocprim17ROCPRIM_400000_NS6detail17trampoline_kernelINS0_14default_configENS1_25transform_config_selectorIsLb0EEEZNS1_14transform_implILb0ES3_S5_N6thrust23THRUST_200600_302600_NS6detail15normal_iteratorINS8_10device_ptrIsEEEEPsNS0_8identityIsEEEE10hipError_tT2_T3_mT4_P12ihipStream_tbEUlT_E_NS1_11comp_targetILNS1_3genE9ELNS1_11target_archE1100ELNS1_3gpuE3ELNS1_3repE0EEENS1_30default_config_static_selectorELNS0_4arch9wavefront6targetE1EEEvT1_
	.p2align	8
	.type	_ZN7rocprim17ROCPRIM_400000_NS6detail17trampoline_kernelINS0_14default_configENS1_25transform_config_selectorIsLb0EEEZNS1_14transform_implILb0ES3_S5_N6thrust23THRUST_200600_302600_NS6detail15normal_iteratorINS8_10device_ptrIsEEEEPsNS0_8identityIsEEEE10hipError_tT2_T3_mT4_P12ihipStream_tbEUlT_E_NS1_11comp_targetILNS1_3genE9ELNS1_11target_archE1100ELNS1_3gpuE3ELNS1_3repE0EEENS1_30default_config_static_selectorELNS0_4arch9wavefront6targetE1EEEvT1_,@function
_ZN7rocprim17ROCPRIM_400000_NS6detail17trampoline_kernelINS0_14default_configENS1_25transform_config_selectorIsLb0EEEZNS1_14transform_implILb0ES3_S5_N6thrust23THRUST_200600_302600_NS6detail15normal_iteratorINS8_10device_ptrIsEEEEPsNS0_8identityIsEEEE10hipError_tT2_T3_mT4_P12ihipStream_tbEUlT_E_NS1_11comp_targetILNS1_3genE9ELNS1_11target_archE1100ELNS1_3gpuE3ELNS1_3repE0EEENS1_30default_config_static_selectorELNS0_4arch9wavefront6targetE1EEEvT1_: ; @_ZN7rocprim17ROCPRIM_400000_NS6detail17trampoline_kernelINS0_14default_configENS1_25transform_config_selectorIsLb0EEEZNS1_14transform_implILb0ES3_S5_N6thrust23THRUST_200600_302600_NS6detail15normal_iteratorINS8_10device_ptrIsEEEEPsNS0_8identityIsEEEE10hipError_tT2_T3_mT4_P12ihipStream_tbEUlT_E_NS1_11comp_targetILNS1_3genE9ELNS1_11target_archE1100ELNS1_3gpuE3ELNS1_3repE0EEENS1_30default_config_static_selectorELNS0_4arch9wavefront6targetE1EEEvT1_
; %bb.0:
	.section	.rodata,"a",@progbits
	.p2align	6, 0x0
	.amdhsa_kernel _ZN7rocprim17ROCPRIM_400000_NS6detail17trampoline_kernelINS0_14default_configENS1_25transform_config_selectorIsLb0EEEZNS1_14transform_implILb0ES3_S5_N6thrust23THRUST_200600_302600_NS6detail15normal_iteratorINS8_10device_ptrIsEEEEPsNS0_8identityIsEEEE10hipError_tT2_T3_mT4_P12ihipStream_tbEUlT_E_NS1_11comp_targetILNS1_3genE9ELNS1_11target_archE1100ELNS1_3gpuE3ELNS1_3repE0EEENS1_30default_config_static_selectorELNS0_4arch9wavefront6targetE1EEEvT1_
		.amdhsa_group_segment_fixed_size 0
		.amdhsa_private_segment_fixed_size 0
		.amdhsa_kernarg_size 40
		.amdhsa_user_sgpr_count 6
		.amdhsa_user_sgpr_private_segment_buffer 1
		.amdhsa_user_sgpr_dispatch_ptr 0
		.amdhsa_user_sgpr_queue_ptr 0
		.amdhsa_user_sgpr_kernarg_segment_ptr 1
		.amdhsa_user_sgpr_dispatch_id 0
		.amdhsa_user_sgpr_flat_scratch_init 0
		.amdhsa_user_sgpr_kernarg_preload_length 0
		.amdhsa_user_sgpr_kernarg_preload_offset 0
		.amdhsa_user_sgpr_private_segment_size 0
		.amdhsa_uses_dynamic_stack 0
		.amdhsa_system_sgpr_private_segment_wavefront_offset 0
		.amdhsa_system_sgpr_workgroup_id_x 1
		.amdhsa_system_sgpr_workgroup_id_y 0
		.amdhsa_system_sgpr_workgroup_id_z 0
		.amdhsa_system_sgpr_workgroup_info 0
		.amdhsa_system_vgpr_workitem_id 0
		.amdhsa_next_free_vgpr 1
		.amdhsa_next_free_sgpr 0
		.amdhsa_accum_offset 4
		.amdhsa_reserve_vcc 0
		.amdhsa_reserve_flat_scratch 0
		.amdhsa_float_round_mode_32 0
		.amdhsa_float_round_mode_16_64 0
		.amdhsa_float_denorm_mode_32 3
		.amdhsa_float_denorm_mode_16_64 3
		.amdhsa_dx10_clamp 1
		.amdhsa_ieee_mode 1
		.amdhsa_fp16_overflow 0
		.amdhsa_tg_split 0
		.amdhsa_exception_fp_ieee_invalid_op 0
		.amdhsa_exception_fp_denorm_src 0
		.amdhsa_exception_fp_ieee_div_zero 0
		.amdhsa_exception_fp_ieee_overflow 0
		.amdhsa_exception_fp_ieee_underflow 0
		.amdhsa_exception_fp_ieee_inexact 0
		.amdhsa_exception_int_div_zero 0
	.end_amdhsa_kernel
	.section	.text._ZN7rocprim17ROCPRIM_400000_NS6detail17trampoline_kernelINS0_14default_configENS1_25transform_config_selectorIsLb0EEEZNS1_14transform_implILb0ES3_S5_N6thrust23THRUST_200600_302600_NS6detail15normal_iteratorINS8_10device_ptrIsEEEEPsNS0_8identityIsEEEE10hipError_tT2_T3_mT4_P12ihipStream_tbEUlT_E_NS1_11comp_targetILNS1_3genE9ELNS1_11target_archE1100ELNS1_3gpuE3ELNS1_3repE0EEENS1_30default_config_static_selectorELNS0_4arch9wavefront6targetE1EEEvT1_,"axG",@progbits,_ZN7rocprim17ROCPRIM_400000_NS6detail17trampoline_kernelINS0_14default_configENS1_25transform_config_selectorIsLb0EEEZNS1_14transform_implILb0ES3_S5_N6thrust23THRUST_200600_302600_NS6detail15normal_iteratorINS8_10device_ptrIsEEEEPsNS0_8identityIsEEEE10hipError_tT2_T3_mT4_P12ihipStream_tbEUlT_E_NS1_11comp_targetILNS1_3genE9ELNS1_11target_archE1100ELNS1_3gpuE3ELNS1_3repE0EEENS1_30default_config_static_selectorELNS0_4arch9wavefront6targetE1EEEvT1_,comdat
.Lfunc_end1948:
	.size	_ZN7rocprim17ROCPRIM_400000_NS6detail17trampoline_kernelINS0_14default_configENS1_25transform_config_selectorIsLb0EEEZNS1_14transform_implILb0ES3_S5_N6thrust23THRUST_200600_302600_NS6detail15normal_iteratorINS8_10device_ptrIsEEEEPsNS0_8identityIsEEEE10hipError_tT2_T3_mT4_P12ihipStream_tbEUlT_E_NS1_11comp_targetILNS1_3genE9ELNS1_11target_archE1100ELNS1_3gpuE3ELNS1_3repE0EEENS1_30default_config_static_selectorELNS0_4arch9wavefront6targetE1EEEvT1_, .Lfunc_end1948-_ZN7rocprim17ROCPRIM_400000_NS6detail17trampoline_kernelINS0_14default_configENS1_25transform_config_selectorIsLb0EEEZNS1_14transform_implILb0ES3_S5_N6thrust23THRUST_200600_302600_NS6detail15normal_iteratorINS8_10device_ptrIsEEEEPsNS0_8identityIsEEEE10hipError_tT2_T3_mT4_P12ihipStream_tbEUlT_E_NS1_11comp_targetILNS1_3genE9ELNS1_11target_archE1100ELNS1_3gpuE3ELNS1_3repE0EEENS1_30default_config_static_selectorELNS0_4arch9wavefront6targetE1EEEvT1_
                                        ; -- End function
	.section	.AMDGPU.csdata,"",@progbits
; Kernel info:
; codeLenInByte = 0
; NumSgprs: 4
; NumVgprs: 0
; NumAgprs: 0
; TotalNumVgprs: 0
; ScratchSize: 0
; MemoryBound: 0
; FloatMode: 240
; IeeeMode: 1
; LDSByteSize: 0 bytes/workgroup (compile time only)
; SGPRBlocks: 0
; VGPRBlocks: 0
; NumSGPRsForWavesPerEU: 4
; NumVGPRsForWavesPerEU: 1
; AccumOffset: 4
; Occupancy: 8
; WaveLimiterHint : 0
; COMPUTE_PGM_RSRC2:SCRATCH_EN: 0
; COMPUTE_PGM_RSRC2:USER_SGPR: 6
; COMPUTE_PGM_RSRC2:TRAP_HANDLER: 0
; COMPUTE_PGM_RSRC2:TGID_X_EN: 1
; COMPUTE_PGM_RSRC2:TGID_Y_EN: 0
; COMPUTE_PGM_RSRC2:TGID_Z_EN: 0
; COMPUTE_PGM_RSRC2:TIDIG_COMP_CNT: 0
; COMPUTE_PGM_RSRC3_GFX90A:ACCUM_OFFSET: 0
; COMPUTE_PGM_RSRC3_GFX90A:TG_SPLIT: 0
	.section	.text._ZN7rocprim17ROCPRIM_400000_NS6detail17trampoline_kernelINS0_14default_configENS1_25transform_config_selectorIsLb0EEEZNS1_14transform_implILb0ES3_S5_N6thrust23THRUST_200600_302600_NS6detail15normal_iteratorINS8_10device_ptrIsEEEEPsNS0_8identityIsEEEE10hipError_tT2_T3_mT4_P12ihipStream_tbEUlT_E_NS1_11comp_targetILNS1_3genE8ELNS1_11target_archE1030ELNS1_3gpuE2ELNS1_3repE0EEENS1_30default_config_static_selectorELNS0_4arch9wavefront6targetE1EEEvT1_,"axG",@progbits,_ZN7rocprim17ROCPRIM_400000_NS6detail17trampoline_kernelINS0_14default_configENS1_25transform_config_selectorIsLb0EEEZNS1_14transform_implILb0ES3_S5_N6thrust23THRUST_200600_302600_NS6detail15normal_iteratorINS8_10device_ptrIsEEEEPsNS0_8identityIsEEEE10hipError_tT2_T3_mT4_P12ihipStream_tbEUlT_E_NS1_11comp_targetILNS1_3genE8ELNS1_11target_archE1030ELNS1_3gpuE2ELNS1_3repE0EEENS1_30default_config_static_selectorELNS0_4arch9wavefront6targetE1EEEvT1_,comdat
	.protected	_ZN7rocprim17ROCPRIM_400000_NS6detail17trampoline_kernelINS0_14default_configENS1_25transform_config_selectorIsLb0EEEZNS1_14transform_implILb0ES3_S5_N6thrust23THRUST_200600_302600_NS6detail15normal_iteratorINS8_10device_ptrIsEEEEPsNS0_8identityIsEEEE10hipError_tT2_T3_mT4_P12ihipStream_tbEUlT_E_NS1_11comp_targetILNS1_3genE8ELNS1_11target_archE1030ELNS1_3gpuE2ELNS1_3repE0EEENS1_30default_config_static_selectorELNS0_4arch9wavefront6targetE1EEEvT1_ ; -- Begin function _ZN7rocprim17ROCPRIM_400000_NS6detail17trampoline_kernelINS0_14default_configENS1_25transform_config_selectorIsLb0EEEZNS1_14transform_implILb0ES3_S5_N6thrust23THRUST_200600_302600_NS6detail15normal_iteratorINS8_10device_ptrIsEEEEPsNS0_8identityIsEEEE10hipError_tT2_T3_mT4_P12ihipStream_tbEUlT_E_NS1_11comp_targetILNS1_3genE8ELNS1_11target_archE1030ELNS1_3gpuE2ELNS1_3repE0EEENS1_30default_config_static_selectorELNS0_4arch9wavefront6targetE1EEEvT1_
	.globl	_ZN7rocprim17ROCPRIM_400000_NS6detail17trampoline_kernelINS0_14default_configENS1_25transform_config_selectorIsLb0EEEZNS1_14transform_implILb0ES3_S5_N6thrust23THRUST_200600_302600_NS6detail15normal_iteratorINS8_10device_ptrIsEEEEPsNS0_8identityIsEEEE10hipError_tT2_T3_mT4_P12ihipStream_tbEUlT_E_NS1_11comp_targetILNS1_3genE8ELNS1_11target_archE1030ELNS1_3gpuE2ELNS1_3repE0EEENS1_30default_config_static_selectorELNS0_4arch9wavefront6targetE1EEEvT1_
	.p2align	8
	.type	_ZN7rocprim17ROCPRIM_400000_NS6detail17trampoline_kernelINS0_14default_configENS1_25transform_config_selectorIsLb0EEEZNS1_14transform_implILb0ES3_S5_N6thrust23THRUST_200600_302600_NS6detail15normal_iteratorINS8_10device_ptrIsEEEEPsNS0_8identityIsEEEE10hipError_tT2_T3_mT4_P12ihipStream_tbEUlT_E_NS1_11comp_targetILNS1_3genE8ELNS1_11target_archE1030ELNS1_3gpuE2ELNS1_3repE0EEENS1_30default_config_static_selectorELNS0_4arch9wavefront6targetE1EEEvT1_,@function
_ZN7rocprim17ROCPRIM_400000_NS6detail17trampoline_kernelINS0_14default_configENS1_25transform_config_selectorIsLb0EEEZNS1_14transform_implILb0ES3_S5_N6thrust23THRUST_200600_302600_NS6detail15normal_iteratorINS8_10device_ptrIsEEEEPsNS0_8identityIsEEEE10hipError_tT2_T3_mT4_P12ihipStream_tbEUlT_E_NS1_11comp_targetILNS1_3genE8ELNS1_11target_archE1030ELNS1_3gpuE2ELNS1_3repE0EEENS1_30default_config_static_selectorELNS0_4arch9wavefront6targetE1EEEvT1_: ; @_ZN7rocprim17ROCPRIM_400000_NS6detail17trampoline_kernelINS0_14default_configENS1_25transform_config_selectorIsLb0EEEZNS1_14transform_implILb0ES3_S5_N6thrust23THRUST_200600_302600_NS6detail15normal_iteratorINS8_10device_ptrIsEEEEPsNS0_8identityIsEEEE10hipError_tT2_T3_mT4_P12ihipStream_tbEUlT_E_NS1_11comp_targetILNS1_3genE8ELNS1_11target_archE1030ELNS1_3gpuE2ELNS1_3repE0EEENS1_30default_config_static_selectorELNS0_4arch9wavefront6targetE1EEEvT1_
; %bb.0:
	.section	.rodata,"a",@progbits
	.p2align	6, 0x0
	.amdhsa_kernel _ZN7rocprim17ROCPRIM_400000_NS6detail17trampoline_kernelINS0_14default_configENS1_25transform_config_selectorIsLb0EEEZNS1_14transform_implILb0ES3_S5_N6thrust23THRUST_200600_302600_NS6detail15normal_iteratorINS8_10device_ptrIsEEEEPsNS0_8identityIsEEEE10hipError_tT2_T3_mT4_P12ihipStream_tbEUlT_E_NS1_11comp_targetILNS1_3genE8ELNS1_11target_archE1030ELNS1_3gpuE2ELNS1_3repE0EEENS1_30default_config_static_selectorELNS0_4arch9wavefront6targetE1EEEvT1_
		.amdhsa_group_segment_fixed_size 0
		.amdhsa_private_segment_fixed_size 0
		.amdhsa_kernarg_size 40
		.amdhsa_user_sgpr_count 6
		.amdhsa_user_sgpr_private_segment_buffer 1
		.amdhsa_user_sgpr_dispatch_ptr 0
		.amdhsa_user_sgpr_queue_ptr 0
		.amdhsa_user_sgpr_kernarg_segment_ptr 1
		.amdhsa_user_sgpr_dispatch_id 0
		.amdhsa_user_sgpr_flat_scratch_init 0
		.amdhsa_user_sgpr_kernarg_preload_length 0
		.amdhsa_user_sgpr_kernarg_preload_offset 0
		.amdhsa_user_sgpr_private_segment_size 0
		.amdhsa_uses_dynamic_stack 0
		.amdhsa_system_sgpr_private_segment_wavefront_offset 0
		.amdhsa_system_sgpr_workgroup_id_x 1
		.amdhsa_system_sgpr_workgroup_id_y 0
		.amdhsa_system_sgpr_workgroup_id_z 0
		.amdhsa_system_sgpr_workgroup_info 0
		.amdhsa_system_vgpr_workitem_id 0
		.amdhsa_next_free_vgpr 1
		.amdhsa_next_free_sgpr 0
		.amdhsa_accum_offset 4
		.amdhsa_reserve_vcc 0
		.amdhsa_reserve_flat_scratch 0
		.amdhsa_float_round_mode_32 0
		.amdhsa_float_round_mode_16_64 0
		.amdhsa_float_denorm_mode_32 3
		.amdhsa_float_denorm_mode_16_64 3
		.amdhsa_dx10_clamp 1
		.amdhsa_ieee_mode 1
		.amdhsa_fp16_overflow 0
		.amdhsa_tg_split 0
		.amdhsa_exception_fp_ieee_invalid_op 0
		.amdhsa_exception_fp_denorm_src 0
		.amdhsa_exception_fp_ieee_div_zero 0
		.amdhsa_exception_fp_ieee_overflow 0
		.amdhsa_exception_fp_ieee_underflow 0
		.amdhsa_exception_fp_ieee_inexact 0
		.amdhsa_exception_int_div_zero 0
	.end_amdhsa_kernel
	.section	.text._ZN7rocprim17ROCPRIM_400000_NS6detail17trampoline_kernelINS0_14default_configENS1_25transform_config_selectorIsLb0EEEZNS1_14transform_implILb0ES3_S5_N6thrust23THRUST_200600_302600_NS6detail15normal_iteratorINS8_10device_ptrIsEEEEPsNS0_8identityIsEEEE10hipError_tT2_T3_mT4_P12ihipStream_tbEUlT_E_NS1_11comp_targetILNS1_3genE8ELNS1_11target_archE1030ELNS1_3gpuE2ELNS1_3repE0EEENS1_30default_config_static_selectorELNS0_4arch9wavefront6targetE1EEEvT1_,"axG",@progbits,_ZN7rocprim17ROCPRIM_400000_NS6detail17trampoline_kernelINS0_14default_configENS1_25transform_config_selectorIsLb0EEEZNS1_14transform_implILb0ES3_S5_N6thrust23THRUST_200600_302600_NS6detail15normal_iteratorINS8_10device_ptrIsEEEEPsNS0_8identityIsEEEE10hipError_tT2_T3_mT4_P12ihipStream_tbEUlT_E_NS1_11comp_targetILNS1_3genE8ELNS1_11target_archE1030ELNS1_3gpuE2ELNS1_3repE0EEENS1_30default_config_static_selectorELNS0_4arch9wavefront6targetE1EEEvT1_,comdat
.Lfunc_end1949:
	.size	_ZN7rocprim17ROCPRIM_400000_NS6detail17trampoline_kernelINS0_14default_configENS1_25transform_config_selectorIsLb0EEEZNS1_14transform_implILb0ES3_S5_N6thrust23THRUST_200600_302600_NS6detail15normal_iteratorINS8_10device_ptrIsEEEEPsNS0_8identityIsEEEE10hipError_tT2_T3_mT4_P12ihipStream_tbEUlT_E_NS1_11comp_targetILNS1_3genE8ELNS1_11target_archE1030ELNS1_3gpuE2ELNS1_3repE0EEENS1_30default_config_static_selectorELNS0_4arch9wavefront6targetE1EEEvT1_, .Lfunc_end1949-_ZN7rocprim17ROCPRIM_400000_NS6detail17trampoline_kernelINS0_14default_configENS1_25transform_config_selectorIsLb0EEEZNS1_14transform_implILb0ES3_S5_N6thrust23THRUST_200600_302600_NS6detail15normal_iteratorINS8_10device_ptrIsEEEEPsNS0_8identityIsEEEE10hipError_tT2_T3_mT4_P12ihipStream_tbEUlT_E_NS1_11comp_targetILNS1_3genE8ELNS1_11target_archE1030ELNS1_3gpuE2ELNS1_3repE0EEENS1_30default_config_static_selectorELNS0_4arch9wavefront6targetE1EEEvT1_
                                        ; -- End function
	.section	.AMDGPU.csdata,"",@progbits
; Kernel info:
; codeLenInByte = 0
; NumSgprs: 4
; NumVgprs: 0
; NumAgprs: 0
; TotalNumVgprs: 0
; ScratchSize: 0
; MemoryBound: 0
; FloatMode: 240
; IeeeMode: 1
; LDSByteSize: 0 bytes/workgroup (compile time only)
; SGPRBlocks: 0
; VGPRBlocks: 0
; NumSGPRsForWavesPerEU: 4
; NumVGPRsForWavesPerEU: 1
; AccumOffset: 4
; Occupancy: 8
; WaveLimiterHint : 0
; COMPUTE_PGM_RSRC2:SCRATCH_EN: 0
; COMPUTE_PGM_RSRC2:USER_SGPR: 6
; COMPUTE_PGM_RSRC2:TRAP_HANDLER: 0
; COMPUTE_PGM_RSRC2:TGID_X_EN: 1
; COMPUTE_PGM_RSRC2:TGID_Y_EN: 0
; COMPUTE_PGM_RSRC2:TGID_Z_EN: 0
; COMPUTE_PGM_RSRC2:TIDIG_COMP_CNT: 0
; COMPUTE_PGM_RSRC3_GFX90A:ACCUM_OFFSET: 0
; COMPUTE_PGM_RSRC3_GFX90A:TG_SPLIT: 0
	.section	.text._ZN7rocprim17ROCPRIM_400000_NS6detail17trampoline_kernelINS0_14default_configENS1_35radix_sort_onesweep_config_selectorIsNS0_10empty_typeEEEZZNS1_29radix_sort_onesweep_iterationIS3_Lb0EN6thrust23THRUST_200600_302600_NS6detail15normal_iteratorINS9_10device_ptrIsEEEESE_PS5_SF_jNS0_19identity_decomposerENS1_16block_id_wrapperIjLb1EEEEE10hipError_tT1_PNSt15iterator_traitsISK_E10value_typeET2_T3_PNSL_ISQ_E10value_typeET4_T5_PSV_SW_PNS1_23onesweep_lookback_stateEbbT6_jjT7_P12ihipStream_tbENKUlT_T0_SK_SP_E_clISE_SE_SF_SF_EEDaS13_S14_SK_SP_EUlS13_E_NS1_11comp_targetILNS1_3genE0ELNS1_11target_archE4294967295ELNS1_3gpuE0ELNS1_3repE0EEENS1_47radix_sort_onesweep_sort_config_static_selectorELNS0_4arch9wavefront6targetE1EEEvSK_,"axG",@progbits,_ZN7rocprim17ROCPRIM_400000_NS6detail17trampoline_kernelINS0_14default_configENS1_35radix_sort_onesweep_config_selectorIsNS0_10empty_typeEEEZZNS1_29radix_sort_onesweep_iterationIS3_Lb0EN6thrust23THRUST_200600_302600_NS6detail15normal_iteratorINS9_10device_ptrIsEEEESE_PS5_SF_jNS0_19identity_decomposerENS1_16block_id_wrapperIjLb1EEEEE10hipError_tT1_PNSt15iterator_traitsISK_E10value_typeET2_T3_PNSL_ISQ_E10value_typeET4_T5_PSV_SW_PNS1_23onesweep_lookback_stateEbbT6_jjT7_P12ihipStream_tbENKUlT_T0_SK_SP_E_clISE_SE_SF_SF_EEDaS13_S14_SK_SP_EUlS13_E_NS1_11comp_targetILNS1_3genE0ELNS1_11target_archE4294967295ELNS1_3gpuE0ELNS1_3repE0EEENS1_47radix_sort_onesweep_sort_config_static_selectorELNS0_4arch9wavefront6targetE1EEEvSK_,comdat
	.protected	_ZN7rocprim17ROCPRIM_400000_NS6detail17trampoline_kernelINS0_14default_configENS1_35radix_sort_onesweep_config_selectorIsNS0_10empty_typeEEEZZNS1_29radix_sort_onesweep_iterationIS3_Lb0EN6thrust23THRUST_200600_302600_NS6detail15normal_iteratorINS9_10device_ptrIsEEEESE_PS5_SF_jNS0_19identity_decomposerENS1_16block_id_wrapperIjLb1EEEEE10hipError_tT1_PNSt15iterator_traitsISK_E10value_typeET2_T3_PNSL_ISQ_E10value_typeET4_T5_PSV_SW_PNS1_23onesweep_lookback_stateEbbT6_jjT7_P12ihipStream_tbENKUlT_T0_SK_SP_E_clISE_SE_SF_SF_EEDaS13_S14_SK_SP_EUlS13_E_NS1_11comp_targetILNS1_3genE0ELNS1_11target_archE4294967295ELNS1_3gpuE0ELNS1_3repE0EEENS1_47radix_sort_onesweep_sort_config_static_selectorELNS0_4arch9wavefront6targetE1EEEvSK_ ; -- Begin function _ZN7rocprim17ROCPRIM_400000_NS6detail17trampoline_kernelINS0_14default_configENS1_35radix_sort_onesweep_config_selectorIsNS0_10empty_typeEEEZZNS1_29radix_sort_onesweep_iterationIS3_Lb0EN6thrust23THRUST_200600_302600_NS6detail15normal_iteratorINS9_10device_ptrIsEEEESE_PS5_SF_jNS0_19identity_decomposerENS1_16block_id_wrapperIjLb1EEEEE10hipError_tT1_PNSt15iterator_traitsISK_E10value_typeET2_T3_PNSL_ISQ_E10value_typeET4_T5_PSV_SW_PNS1_23onesweep_lookback_stateEbbT6_jjT7_P12ihipStream_tbENKUlT_T0_SK_SP_E_clISE_SE_SF_SF_EEDaS13_S14_SK_SP_EUlS13_E_NS1_11comp_targetILNS1_3genE0ELNS1_11target_archE4294967295ELNS1_3gpuE0ELNS1_3repE0EEENS1_47radix_sort_onesweep_sort_config_static_selectorELNS0_4arch9wavefront6targetE1EEEvSK_
	.globl	_ZN7rocprim17ROCPRIM_400000_NS6detail17trampoline_kernelINS0_14default_configENS1_35radix_sort_onesweep_config_selectorIsNS0_10empty_typeEEEZZNS1_29radix_sort_onesweep_iterationIS3_Lb0EN6thrust23THRUST_200600_302600_NS6detail15normal_iteratorINS9_10device_ptrIsEEEESE_PS5_SF_jNS0_19identity_decomposerENS1_16block_id_wrapperIjLb1EEEEE10hipError_tT1_PNSt15iterator_traitsISK_E10value_typeET2_T3_PNSL_ISQ_E10value_typeET4_T5_PSV_SW_PNS1_23onesweep_lookback_stateEbbT6_jjT7_P12ihipStream_tbENKUlT_T0_SK_SP_E_clISE_SE_SF_SF_EEDaS13_S14_SK_SP_EUlS13_E_NS1_11comp_targetILNS1_3genE0ELNS1_11target_archE4294967295ELNS1_3gpuE0ELNS1_3repE0EEENS1_47radix_sort_onesweep_sort_config_static_selectorELNS0_4arch9wavefront6targetE1EEEvSK_
	.p2align	8
	.type	_ZN7rocprim17ROCPRIM_400000_NS6detail17trampoline_kernelINS0_14default_configENS1_35radix_sort_onesweep_config_selectorIsNS0_10empty_typeEEEZZNS1_29radix_sort_onesweep_iterationIS3_Lb0EN6thrust23THRUST_200600_302600_NS6detail15normal_iteratorINS9_10device_ptrIsEEEESE_PS5_SF_jNS0_19identity_decomposerENS1_16block_id_wrapperIjLb1EEEEE10hipError_tT1_PNSt15iterator_traitsISK_E10value_typeET2_T3_PNSL_ISQ_E10value_typeET4_T5_PSV_SW_PNS1_23onesweep_lookback_stateEbbT6_jjT7_P12ihipStream_tbENKUlT_T0_SK_SP_E_clISE_SE_SF_SF_EEDaS13_S14_SK_SP_EUlS13_E_NS1_11comp_targetILNS1_3genE0ELNS1_11target_archE4294967295ELNS1_3gpuE0ELNS1_3repE0EEENS1_47radix_sort_onesweep_sort_config_static_selectorELNS0_4arch9wavefront6targetE1EEEvSK_,@function
_ZN7rocprim17ROCPRIM_400000_NS6detail17trampoline_kernelINS0_14default_configENS1_35radix_sort_onesweep_config_selectorIsNS0_10empty_typeEEEZZNS1_29radix_sort_onesweep_iterationIS3_Lb0EN6thrust23THRUST_200600_302600_NS6detail15normal_iteratorINS9_10device_ptrIsEEEESE_PS5_SF_jNS0_19identity_decomposerENS1_16block_id_wrapperIjLb1EEEEE10hipError_tT1_PNSt15iterator_traitsISK_E10value_typeET2_T3_PNSL_ISQ_E10value_typeET4_T5_PSV_SW_PNS1_23onesweep_lookback_stateEbbT6_jjT7_P12ihipStream_tbENKUlT_T0_SK_SP_E_clISE_SE_SF_SF_EEDaS13_S14_SK_SP_EUlS13_E_NS1_11comp_targetILNS1_3genE0ELNS1_11target_archE4294967295ELNS1_3gpuE0ELNS1_3repE0EEENS1_47radix_sort_onesweep_sort_config_static_selectorELNS0_4arch9wavefront6targetE1EEEvSK_: ; @_ZN7rocprim17ROCPRIM_400000_NS6detail17trampoline_kernelINS0_14default_configENS1_35radix_sort_onesweep_config_selectorIsNS0_10empty_typeEEEZZNS1_29radix_sort_onesweep_iterationIS3_Lb0EN6thrust23THRUST_200600_302600_NS6detail15normal_iteratorINS9_10device_ptrIsEEEESE_PS5_SF_jNS0_19identity_decomposerENS1_16block_id_wrapperIjLb1EEEEE10hipError_tT1_PNSt15iterator_traitsISK_E10value_typeET2_T3_PNSL_ISQ_E10value_typeET4_T5_PSV_SW_PNS1_23onesweep_lookback_stateEbbT6_jjT7_P12ihipStream_tbENKUlT_T0_SK_SP_E_clISE_SE_SF_SF_EEDaS13_S14_SK_SP_EUlS13_E_NS1_11comp_targetILNS1_3genE0ELNS1_11target_archE4294967295ELNS1_3gpuE0ELNS1_3repE0EEENS1_47radix_sort_onesweep_sort_config_static_selectorELNS0_4arch9wavefront6targetE1EEEvSK_
; %bb.0:
	.section	.rodata,"a",@progbits
	.p2align	6, 0x0
	.amdhsa_kernel _ZN7rocprim17ROCPRIM_400000_NS6detail17trampoline_kernelINS0_14default_configENS1_35radix_sort_onesweep_config_selectorIsNS0_10empty_typeEEEZZNS1_29radix_sort_onesweep_iterationIS3_Lb0EN6thrust23THRUST_200600_302600_NS6detail15normal_iteratorINS9_10device_ptrIsEEEESE_PS5_SF_jNS0_19identity_decomposerENS1_16block_id_wrapperIjLb1EEEEE10hipError_tT1_PNSt15iterator_traitsISK_E10value_typeET2_T3_PNSL_ISQ_E10value_typeET4_T5_PSV_SW_PNS1_23onesweep_lookback_stateEbbT6_jjT7_P12ihipStream_tbENKUlT_T0_SK_SP_E_clISE_SE_SF_SF_EEDaS13_S14_SK_SP_EUlS13_E_NS1_11comp_targetILNS1_3genE0ELNS1_11target_archE4294967295ELNS1_3gpuE0ELNS1_3repE0EEENS1_47radix_sort_onesweep_sort_config_static_selectorELNS0_4arch9wavefront6targetE1EEEvSK_
		.amdhsa_group_segment_fixed_size 0
		.amdhsa_private_segment_fixed_size 0
		.amdhsa_kernarg_size 88
		.amdhsa_user_sgpr_count 6
		.amdhsa_user_sgpr_private_segment_buffer 1
		.amdhsa_user_sgpr_dispatch_ptr 0
		.amdhsa_user_sgpr_queue_ptr 0
		.amdhsa_user_sgpr_kernarg_segment_ptr 1
		.amdhsa_user_sgpr_dispatch_id 0
		.amdhsa_user_sgpr_flat_scratch_init 0
		.amdhsa_user_sgpr_kernarg_preload_length 0
		.amdhsa_user_sgpr_kernarg_preload_offset 0
		.amdhsa_user_sgpr_private_segment_size 0
		.amdhsa_uses_dynamic_stack 0
		.amdhsa_system_sgpr_private_segment_wavefront_offset 0
		.amdhsa_system_sgpr_workgroup_id_x 1
		.amdhsa_system_sgpr_workgroup_id_y 0
		.amdhsa_system_sgpr_workgroup_id_z 0
		.amdhsa_system_sgpr_workgroup_info 0
		.amdhsa_system_vgpr_workitem_id 0
		.amdhsa_next_free_vgpr 1
		.amdhsa_next_free_sgpr 0
		.amdhsa_accum_offset 4
		.amdhsa_reserve_vcc 0
		.amdhsa_reserve_flat_scratch 0
		.amdhsa_float_round_mode_32 0
		.amdhsa_float_round_mode_16_64 0
		.amdhsa_float_denorm_mode_32 3
		.amdhsa_float_denorm_mode_16_64 3
		.amdhsa_dx10_clamp 1
		.amdhsa_ieee_mode 1
		.amdhsa_fp16_overflow 0
		.amdhsa_tg_split 0
		.amdhsa_exception_fp_ieee_invalid_op 0
		.amdhsa_exception_fp_denorm_src 0
		.amdhsa_exception_fp_ieee_div_zero 0
		.amdhsa_exception_fp_ieee_overflow 0
		.amdhsa_exception_fp_ieee_underflow 0
		.amdhsa_exception_fp_ieee_inexact 0
		.amdhsa_exception_int_div_zero 0
	.end_amdhsa_kernel
	.section	.text._ZN7rocprim17ROCPRIM_400000_NS6detail17trampoline_kernelINS0_14default_configENS1_35radix_sort_onesweep_config_selectorIsNS0_10empty_typeEEEZZNS1_29radix_sort_onesweep_iterationIS3_Lb0EN6thrust23THRUST_200600_302600_NS6detail15normal_iteratorINS9_10device_ptrIsEEEESE_PS5_SF_jNS0_19identity_decomposerENS1_16block_id_wrapperIjLb1EEEEE10hipError_tT1_PNSt15iterator_traitsISK_E10value_typeET2_T3_PNSL_ISQ_E10value_typeET4_T5_PSV_SW_PNS1_23onesweep_lookback_stateEbbT6_jjT7_P12ihipStream_tbENKUlT_T0_SK_SP_E_clISE_SE_SF_SF_EEDaS13_S14_SK_SP_EUlS13_E_NS1_11comp_targetILNS1_3genE0ELNS1_11target_archE4294967295ELNS1_3gpuE0ELNS1_3repE0EEENS1_47radix_sort_onesweep_sort_config_static_selectorELNS0_4arch9wavefront6targetE1EEEvSK_,"axG",@progbits,_ZN7rocprim17ROCPRIM_400000_NS6detail17trampoline_kernelINS0_14default_configENS1_35radix_sort_onesweep_config_selectorIsNS0_10empty_typeEEEZZNS1_29radix_sort_onesweep_iterationIS3_Lb0EN6thrust23THRUST_200600_302600_NS6detail15normal_iteratorINS9_10device_ptrIsEEEESE_PS5_SF_jNS0_19identity_decomposerENS1_16block_id_wrapperIjLb1EEEEE10hipError_tT1_PNSt15iterator_traitsISK_E10value_typeET2_T3_PNSL_ISQ_E10value_typeET4_T5_PSV_SW_PNS1_23onesweep_lookback_stateEbbT6_jjT7_P12ihipStream_tbENKUlT_T0_SK_SP_E_clISE_SE_SF_SF_EEDaS13_S14_SK_SP_EUlS13_E_NS1_11comp_targetILNS1_3genE0ELNS1_11target_archE4294967295ELNS1_3gpuE0ELNS1_3repE0EEENS1_47radix_sort_onesweep_sort_config_static_selectorELNS0_4arch9wavefront6targetE1EEEvSK_,comdat
.Lfunc_end1950:
	.size	_ZN7rocprim17ROCPRIM_400000_NS6detail17trampoline_kernelINS0_14default_configENS1_35radix_sort_onesweep_config_selectorIsNS0_10empty_typeEEEZZNS1_29radix_sort_onesweep_iterationIS3_Lb0EN6thrust23THRUST_200600_302600_NS6detail15normal_iteratorINS9_10device_ptrIsEEEESE_PS5_SF_jNS0_19identity_decomposerENS1_16block_id_wrapperIjLb1EEEEE10hipError_tT1_PNSt15iterator_traitsISK_E10value_typeET2_T3_PNSL_ISQ_E10value_typeET4_T5_PSV_SW_PNS1_23onesweep_lookback_stateEbbT6_jjT7_P12ihipStream_tbENKUlT_T0_SK_SP_E_clISE_SE_SF_SF_EEDaS13_S14_SK_SP_EUlS13_E_NS1_11comp_targetILNS1_3genE0ELNS1_11target_archE4294967295ELNS1_3gpuE0ELNS1_3repE0EEENS1_47radix_sort_onesweep_sort_config_static_selectorELNS0_4arch9wavefront6targetE1EEEvSK_, .Lfunc_end1950-_ZN7rocprim17ROCPRIM_400000_NS6detail17trampoline_kernelINS0_14default_configENS1_35radix_sort_onesweep_config_selectorIsNS0_10empty_typeEEEZZNS1_29radix_sort_onesweep_iterationIS3_Lb0EN6thrust23THRUST_200600_302600_NS6detail15normal_iteratorINS9_10device_ptrIsEEEESE_PS5_SF_jNS0_19identity_decomposerENS1_16block_id_wrapperIjLb1EEEEE10hipError_tT1_PNSt15iterator_traitsISK_E10value_typeET2_T3_PNSL_ISQ_E10value_typeET4_T5_PSV_SW_PNS1_23onesweep_lookback_stateEbbT6_jjT7_P12ihipStream_tbENKUlT_T0_SK_SP_E_clISE_SE_SF_SF_EEDaS13_S14_SK_SP_EUlS13_E_NS1_11comp_targetILNS1_3genE0ELNS1_11target_archE4294967295ELNS1_3gpuE0ELNS1_3repE0EEENS1_47radix_sort_onesweep_sort_config_static_selectorELNS0_4arch9wavefront6targetE1EEEvSK_
                                        ; -- End function
	.section	.AMDGPU.csdata,"",@progbits
; Kernel info:
; codeLenInByte = 0
; NumSgprs: 4
; NumVgprs: 0
; NumAgprs: 0
; TotalNumVgprs: 0
; ScratchSize: 0
; MemoryBound: 0
; FloatMode: 240
; IeeeMode: 1
; LDSByteSize: 0 bytes/workgroup (compile time only)
; SGPRBlocks: 0
; VGPRBlocks: 0
; NumSGPRsForWavesPerEU: 4
; NumVGPRsForWavesPerEU: 1
; AccumOffset: 4
; Occupancy: 8
; WaveLimiterHint : 0
; COMPUTE_PGM_RSRC2:SCRATCH_EN: 0
; COMPUTE_PGM_RSRC2:USER_SGPR: 6
; COMPUTE_PGM_RSRC2:TRAP_HANDLER: 0
; COMPUTE_PGM_RSRC2:TGID_X_EN: 1
; COMPUTE_PGM_RSRC2:TGID_Y_EN: 0
; COMPUTE_PGM_RSRC2:TGID_Z_EN: 0
; COMPUTE_PGM_RSRC2:TIDIG_COMP_CNT: 0
; COMPUTE_PGM_RSRC3_GFX90A:ACCUM_OFFSET: 0
; COMPUTE_PGM_RSRC3_GFX90A:TG_SPLIT: 0
	.section	.text._ZN7rocprim17ROCPRIM_400000_NS6detail17trampoline_kernelINS0_14default_configENS1_35radix_sort_onesweep_config_selectorIsNS0_10empty_typeEEEZZNS1_29radix_sort_onesweep_iterationIS3_Lb0EN6thrust23THRUST_200600_302600_NS6detail15normal_iteratorINS9_10device_ptrIsEEEESE_PS5_SF_jNS0_19identity_decomposerENS1_16block_id_wrapperIjLb1EEEEE10hipError_tT1_PNSt15iterator_traitsISK_E10value_typeET2_T3_PNSL_ISQ_E10value_typeET4_T5_PSV_SW_PNS1_23onesweep_lookback_stateEbbT6_jjT7_P12ihipStream_tbENKUlT_T0_SK_SP_E_clISE_SE_SF_SF_EEDaS13_S14_SK_SP_EUlS13_E_NS1_11comp_targetILNS1_3genE6ELNS1_11target_archE950ELNS1_3gpuE13ELNS1_3repE0EEENS1_47radix_sort_onesweep_sort_config_static_selectorELNS0_4arch9wavefront6targetE1EEEvSK_,"axG",@progbits,_ZN7rocprim17ROCPRIM_400000_NS6detail17trampoline_kernelINS0_14default_configENS1_35radix_sort_onesweep_config_selectorIsNS0_10empty_typeEEEZZNS1_29radix_sort_onesweep_iterationIS3_Lb0EN6thrust23THRUST_200600_302600_NS6detail15normal_iteratorINS9_10device_ptrIsEEEESE_PS5_SF_jNS0_19identity_decomposerENS1_16block_id_wrapperIjLb1EEEEE10hipError_tT1_PNSt15iterator_traitsISK_E10value_typeET2_T3_PNSL_ISQ_E10value_typeET4_T5_PSV_SW_PNS1_23onesweep_lookback_stateEbbT6_jjT7_P12ihipStream_tbENKUlT_T0_SK_SP_E_clISE_SE_SF_SF_EEDaS13_S14_SK_SP_EUlS13_E_NS1_11comp_targetILNS1_3genE6ELNS1_11target_archE950ELNS1_3gpuE13ELNS1_3repE0EEENS1_47radix_sort_onesweep_sort_config_static_selectorELNS0_4arch9wavefront6targetE1EEEvSK_,comdat
	.protected	_ZN7rocprim17ROCPRIM_400000_NS6detail17trampoline_kernelINS0_14default_configENS1_35radix_sort_onesweep_config_selectorIsNS0_10empty_typeEEEZZNS1_29radix_sort_onesweep_iterationIS3_Lb0EN6thrust23THRUST_200600_302600_NS6detail15normal_iteratorINS9_10device_ptrIsEEEESE_PS5_SF_jNS0_19identity_decomposerENS1_16block_id_wrapperIjLb1EEEEE10hipError_tT1_PNSt15iterator_traitsISK_E10value_typeET2_T3_PNSL_ISQ_E10value_typeET4_T5_PSV_SW_PNS1_23onesweep_lookback_stateEbbT6_jjT7_P12ihipStream_tbENKUlT_T0_SK_SP_E_clISE_SE_SF_SF_EEDaS13_S14_SK_SP_EUlS13_E_NS1_11comp_targetILNS1_3genE6ELNS1_11target_archE950ELNS1_3gpuE13ELNS1_3repE0EEENS1_47radix_sort_onesweep_sort_config_static_selectorELNS0_4arch9wavefront6targetE1EEEvSK_ ; -- Begin function _ZN7rocprim17ROCPRIM_400000_NS6detail17trampoline_kernelINS0_14default_configENS1_35radix_sort_onesweep_config_selectorIsNS0_10empty_typeEEEZZNS1_29radix_sort_onesweep_iterationIS3_Lb0EN6thrust23THRUST_200600_302600_NS6detail15normal_iteratorINS9_10device_ptrIsEEEESE_PS5_SF_jNS0_19identity_decomposerENS1_16block_id_wrapperIjLb1EEEEE10hipError_tT1_PNSt15iterator_traitsISK_E10value_typeET2_T3_PNSL_ISQ_E10value_typeET4_T5_PSV_SW_PNS1_23onesweep_lookback_stateEbbT6_jjT7_P12ihipStream_tbENKUlT_T0_SK_SP_E_clISE_SE_SF_SF_EEDaS13_S14_SK_SP_EUlS13_E_NS1_11comp_targetILNS1_3genE6ELNS1_11target_archE950ELNS1_3gpuE13ELNS1_3repE0EEENS1_47radix_sort_onesweep_sort_config_static_selectorELNS0_4arch9wavefront6targetE1EEEvSK_
	.globl	_ZN7rocprim17ROCPRIM_400000_NS6detail17trampoline_kernelINS0_14default_configENS1_35radix_sort_onesweep_config_selectorIsNS0_10empty_typeEEEZZNS1_29radix_sort_onesweep_iterationIS3_Lb0EN6thrust23THRUST_200600_302600_NS6detail15normal_iteratorINS9_10device_ptrIsEEEESE_PS5_SF_jNS0_19identity_decomposerENS1_16block_id_wrapperIjLb1EEEEE10hipError_tT1_PNSt15iterator_traitsISK_E10value_typeET2_T3_PNSL_ISQ_E10value_typeET4_T5_PSV_SW_PNS1_23onesweep_lookback_stateEbbT6_jjT7_P12ihipStream_tbENKUlT_T0_SK_SP_E_clISE_SE_SF_SF_EEDaS13_S14_SK_SP_EUlS13_E_NS1_11comp_targetILNS1_3genE6ELNS1_11target_archE950ELNS1_3gpuE13ELNS1_3repE0EEENS1_47radix_sort_onesweep_sort_config_static_selectorELNS0_4arch9wavefront6targetE1EEEvSK_
	.p2align	8
	.type	_ZN7rocprim17ROCPRIM_400000_NS6detail17trampoline_kernelINS0_14default_configENS1_35radix_sort_onesweep_config_selectorIsNS0_10empty_typeEEEZZNS1_29radix_sort_onesweep_iterationIS3_Lb0EN6thrust23THRUST_200600_302600_NS6detail15normal_iteratorINS9_10device_ptrIsEEEESE_PS5_SF_jNS0_19identity_decomposerENS1_16block_id_wrapperIjLb1EEEEE10hipError_tT1_PNSt15iterator_traitsISK_E10value_typeET2_T3_PNSL_ISQ_E10value_typeET4_T5_PSV_SW_PNS1_23onesweep_lookback_stateEbbT6_jjT7_P12ihipStream_tbENKUlT_T0_SK_SP_E_clISE_SE_SF_SF_EEDaS13_S14_SK_SP_EUlS13_E_NS1_11comp_targetILNS1_3genE6ELNS1_11target_archE950ELNS1_3gpuE13ELNS1_3repE0EEENS1_47radix_sort_onesweep_sort_config_static_selectorELNS0_4arch9wavefront6targetE1EEEvSK_,@function
_ZN7rocprim17ROCPRIM_400000_NS6detail17trampoline_kernelINS0_14default_configENS1_35radix_sort_onesweep_config_selectorIsNS0_10empty_typeEEEZZNS1_29radix_sort_onesweep_iterationIS3_Lb0EN6thrust23THRUST_200600_302600_NS6detail15normal_iteratorINS9_10device_ptrIsEEEESE_PS5_SF_jNS0_19identity_decomposerENS1_16block_id_wrapperIjLb1EEEEE10hipError_tT1_PNSt15iterator_traitsISK_E10value_typeET2_T3_PNSL_ISQ_E10value_typeET4_T5_PSV_SW_PNS1_23onesweep_lookback_stateEbbT6_jjT7_P12ihipStream_tbENKUlT_T0_SK_SP_E_clISE_SE_SF_SF_EEDaS13_S14_SK_SP_EUlS13_E_NS1_11comp_targetILNS1_3genE6ELNS1_11target_archE950ELNS1_3gpuE13ELNS1_3repE0EEENS1_47radix_sort_onesweep_sort_config_static_selectorELNS0_4arch9wavefront6targetE1EEEvSK_: ; @_ZN7rocprim17ROCPRIM_400000_NS6detail17trampoline_kernelINS0_14default_configENS1_35radix_sort_onesweep_config_selectorIsNS0_10empty_typeEEEZZNS1_29radix_sort_onesweep_iterationIS3_Lb0EN6thrust23THRUST_200600_302600_NS6detail15normal_iteratorINS9_10device_ptrIsEEEESE_PS5_SF_jNS0_19identity_decomposerENS1_16block_id_wrapperIjLb1EEEEE10hipError_tT1_PNSt15iterator_traitsISK_E10value_typeET2_T3_PNSL_ISQ_E10value_typeET4_T5_PSV_SW_PNS1_23onesweep_lookback_stateEbbT6_jjT7_P12ihipStream_tbENKUlT_T0_SK_SP_E_clISE_SE_SF_SF_EEDaS13_S14_SK_SP_EUlS13_E_NS1_11comp_targetILNS1_3genE6ELNS1_11target_archE950ELNS1_3gpuE13ELNS1_3repE0EEENS1_47radix_sort_onesweep_sort_config_static_selectorELNS0_4arch9wavefront6targetE1EEEvSK_
; %bb.0:
	.section	.rodata,"a",@progbits
	.p2align	6, 0x0
	.amdhsa_kernel _ZN7rocprim17ROCPRIM_400000_NS6detail17trampoline_kernelINS0_14default_configENS1_35radix_sort_onesweep_config_selectorIsNS0_10empty_typeEEEZZNS1_29radix_sort_onesweep_iterationIS3_Lb0EN6thrust23THRUST_200600_302600_NS6detail15normal_iteratorINS9_10device_ptrIsEEEESE_PS5_SF_jNS0_19identity_decomposerENS1_16block_id_wrapperIjLb1EEEEE10hipError_tT1_PNSt15iterator_traitsISK_E10value_typeET2_T3_PNSL_ISQ_E10value_typeET4_T5_PSV_SW_PNS1_23onesweep_lookback_stateEbbT6_jjT7_P12ihipStream_tbENKUlT_T0_SK_SP_E_clISE_SE_SF_SF_EEDaS13_S14_SK_SP_EUlS13_E_NS1_11comp_targetILNS1_3genE6ELNS1_11target_archE950ELNS1_3gpuE13ELNS1_3repE0EEENS1_47radix_sort_onesweep_sort_config_static_selectorELNS0_4arch9wavefront6targetE1EEEvSK_
		.amdhsa_group_segment_fixed_size 0
		.amdhsa_private_segment_fixed_size 0
		.amdhsa_kernarg_size 88
		.amdhsa_user_sgpr_count 6
		.amdhsa_user_sgpr_private_segment_buffer 1
		.amdhsa_user_sgpr_dispatch_ptr 0
		.amdhsa_user_sgpr_queue_ptr 0
		.amdhsa_user_sgpr_kernarg_segment_ptr 1
		.amdhsa_user_sgpr_dispatch_id 0
		.amdhsa_user_sgpr_flat_scratch_init 0
		.amdhsa_user_sgpr_kernarg_preload_length 0
		.amdhsa_user_sgpr_kernarg_preload_offset 0
		.amdhsa_user_sgpr_private_segment_size 0
		.amdhsa_uses_dynamic_stack 0
		.amdhsa_system_sgpr_private_segment_wavefront_offset 0
		.amdhsa_system_sgpr_workgroup_id_x 1
		.amdhsa_system_sgpr_workgroup_id_y 0
		.amdhsa_system_sgpr_workgroup_id_z 0
		.amdhsa_system_sgpr_workgroup_info 0
		.amdhsa_system_vgpr_workitem_id 0
		.amdhsa_next_free_vgpr 1
		.amdhsa_next_free_sgpr 0
		.amdhsa_accum_offset 4
		.amdhsa_reserve_vcc 0
		.amdhsa_reserve_flat_scratch 0
		.amdhsa_float_round_mode_32 0
		.amdhsa_float_round_mode_16_64 0
		.amdhsa_float_denorm_mode_32 3
		.amdhsa_float_denorm_mode_16_64 3
		.amdhsa_dx10_clamp 1
		.amdhsa_ieee_mode 1
		.amdhsa_fp16_overflow 0
		.amdhsa_tg_split 0
		.amdhsa_exception_fp_ieee_invalid_op 0
		.amdhsa_exception_fp_denorm_src 0
		.amdhsa_exception_fp_ieee_div_zero 0
		.amdhsa_exception_fp_ieee_overflow 0
		.amdhsa_exception_fp_ieee_underflow 0
		.amdhsa_exception_fp_ieee_inexact 0
		.amdhsa_exception_int_div_zero 0
	.end_amdhsa_kernel
	.section	.text._ZN7rocprim17ROCPRIM_400000_NS6detail17trampoline_kernelINS0_14default_configENS1_35radix_sort_onesweep_config_selectorIsNS0_10empty_typeEEEZZNS1_29radix_sort_onesweep_iterationIS3_Lb0EN6thrust23THRUST_200600_302600_NS6detail15normal_iteratorINS9_10device_ptrIsEEEESE_PS5_SF_jNS0_19identity_decomposerENS1_16block_id_wrapperIjLb1EEEEE10hipError_tT1_PNSt15iterator_traitsISK_E10value_typeET2_T3_PNSL_ISQ_E10value_typeET4_T5_PSV_SW_PNS1_23onesweep_lookback_stateEbbT6_jjT7_P12ihipStream_tbENKUlT_T0_SK_SP_E_clISE_SE_SF_SF_EEDaS13_S14_SK_SP_EUlS13_E_NS1_11comp_targetILNS1_3genE6ELNS1_11target_archE950ELNS1_3gpuE13ELNS1_3repE0EEENS1_47radix_sort_onesweep_sort_config_static_selectorELNS0_4arch9wavefront6targetE1EEEvSK_,"axG",@progbits,_ZN7rocprim17ROCPRIM_400000_NS6detail17trampoline_kernelINS0_14default_configENS1_35radix_sort_onesweep_config_selectorIsNS0_10empty_typeEEEZZNS1_29radix_sort_onesweep_iterationIS3_Lb0EN6thrust23THRUST_200600_302600_NS6detail15normal_iteratorINS9_10device_ptrIsEEEESE_PS5_SF_jNS0_19identity_decomposerENS1_16block_id_wrapperIjLb1EEEEE10hipError_tT1_PNSt15iterator_traitsISK_E10value_typeET2_T3_PNSL_ISQ_E10value_typeET4_T5_PSV_SW_PNS1_23onesweep_lookback_stateEbbT6_jjT7_P12ihipStream_tbENKUlT_T0_SK_SP_E_clISE_SE_SF_SF_EEDaS13_S14_SK_SP_EUlS13_E_NS1_11comp_targetILNS1_3genE6ELNS1_11target_archE950ELNS1_3gpuE13ELNS1_3repE0EEENS1_47radix_sort_onesweep_sort_config_static_selectorELNS0_4arch9wavefront6targetE1EEEvSK_,comdat
.Lfunc_end1951:
	.size	_ZN7rocprim17ROCPRIM_400000_NS6detail17trampoline_kernelINS0_14default_configENS1_35radix_sort_onesweep_config_selectorIsNS0_10empty_typeEEEZZNS1_29radix_sort_onesweep_iterationIS3_Lb0EN6thrust23THRUST_200600_302600_NS6detail15normal_iteratorINS9_10device_ptrIsEEEESE_PS5_SF_jNS0_19identity_decomposerENS1_16block_id_wrapperIjLb1EEEEE10hipError_tT1_PNSt15iterator_traitsISK_E10value_typeET2_T3_PNSL_ISQ_E10value_typeET4_T5_PSV_SW_PNS1_23onesweep_lookback_stateEbbT6_jjT7_P12ihipStream_tbENKUlT_T0_SK_SP_E_clISE_SE_SF_SF_EEDaS13_S14_SK_SP_EUlS13_E_NS1_11comp_targetILNS1_3genE6ELNS1_11target_archE950ELNS1_3gpuE13ELNS1_3repE0EEENS1_47radix_sort_onesweep_sort_config_static_selectorELNS0_4arch9wavefront6targetE1EEEvSK_, .Lfunc_end1951-_ZN7rocprim17ROCPRIM_400000_NS6detail17trampoline_kernelINS0_14default_configENS1_35radix_sort_onesweep_config_selectorIsNS0_10empty_typeEEEZZNS1_29radix_sort_onesweep_iterationIS3_Lb0EN6thrust23THRUST_200600_302600_NS6detail15normal_iteratorINS9_10device_ptrIsEEEESE_PS5_SF_jNS0_19identity_decomposerENS1_16block_id_wrapperIjLb1EEEEE10hipError_tT1_PNSt15iterator_traitsISK_E10value_typeET2_T3_PNSL_ISQ_E10value_typeET4_T5_PSV_SW_PNS1_23onesweep_lookback_stateEbbT6_jjT7_P12ihipStream_tbENKUlT_T0_SK_SP_E_clISE_SE_SF_SF_EEDaS13_S14_SK_SP_EUlS13_E_NS1_11comp_targetILNS1_3genE6ELNS1_11target_archE950ELNS1_3gpuE13ELNS1_3repE0EEENS1_47radix_sort_onesweep_sort_config_static_selectorELNS0_4arch9wavefront6targetE1EEEvSK_
                                        ; -- End function
	.section	.AMDGPU.csdata,"",@progbits
; Kernel info:
; codeLenInByte = 0
; NumSgprs: 4
; NumVgprs: 0
; NumAgprs: 0
; TotalNumVgprs: 0
; ScratchSize: 0
; MemoryBound: 0
; FloatMode: 240
; IeeeMode: 1
; LDSByteSize: 0 bytes/workgroup (compile time only)
; SGPRBlocks: 0
; VGPRBlocks: 0
; NumSGPRsForWavesPerEU: 4
; NumVGPRsForWavesPerEU: 1
; AccumOffset: 4
; Occupancy: 8
; WaveLimiterHint : 0
; COMPUTE_PGM_RSRC2:SCRATCH_EN: 0
; COMPUTE_PGM_RSRC2:USER_SGPR: 6
; COMPUTE_PGM_RSRC2:TRAP_HANDLER: 0
; COMPUTE_PGM_RSRC2:TGID_X_EN: 1
; COMPUTE_PGM_RSRC2:TGID_Y_EN: 0
; COMPUTE_PGM_RSRC2:TGID_Z_EN: 0
; COMPUTE_PGM_RSRC2:TIDIG_COMP_CNT: 0
; COMPUTE_PGM_RSRC3_GFX90A:ACCUM_OFFSET: 0
; COMPUTE_PGM_RSRC3_GFX90A:TG_SPLIT: 0
	.section	.text._ZN7rocprim17ROCPRIM_400000_NS6detail17trampoline_kernelINS0_14default_configENS1_35radix_sort_onesweep_config_selectorIsNS0_10empty_typeEEEZZNS1_29radix_sort_onesweep_iterationIS3_Lb0EN6thrust23THRUST_200600_302600_NS6detail15normal_iteratorINS9_10device_ptrIsEEEESE_PS5_SF_jNS0_19identity_decomposerENS1_16block_id_wrapperIjLb1EEEEE10hipError_tT1_PNSt15iterator_traitsISK_E10value_typeET2_T3_PNSL_ISQ_E10value_typeET4_T5_PSV_SW_PNS1_23onesweep_lookback_stateEbbT6_jjT7_P12ihipStream_tbENKUlT_T0_SK_SP_E_clISE_SE_SF_SF_EEDaS13_S14_SK_SP_EUlS13_E_NS1_11comp_targetILNS1_3genE5ELNS1_11target_archE942ELNS1_3gpuE9ELNS1_3repE0EEENS1_47radix_sort_onesweep_sort_config_static_selectorELNS0_4arch9wavefront6targetE1EEEvSK_,"axG",@progbits,_ZN7rocprim17ROCPRIM_400000_NS6detail17trampoline_kernelINS0_14default_configENS1_35radix_sort_onesweep_config_selectorIsNS0_10empty_typeEEEZZNS1_29radix_sort_onesweep_iterationIS3_Lb0EN6thrust23THRUST_200600_302600_NS6detail15normal_iteratorINS9_10device_ptrIsEEEESE_PS5_SF_jNS0_19identity_decomposerENS1_16block_id_wrapperIjLb1EEEEE10hipError_tT1_PNSt15iterator_traitsISK_E10value_typeET2_T3_PNSL_ISQ_E10value_typeET4_T5_PSV_SW_PNS1_23onesweep_lookback_stateEbbT6_jjT7_P12ihipStream_tbENKUlT_T0_SK_SP_E_clISE_SE_SF_SF_EEDaS13_S14_SK_SP_EUlS13_E_NS1_11comp_targetILNS1_3genE5ELNS1_11target_archE942ELNS1_3gpuE9ELNS1_3repE0EEENS1_47radix_sort_onesweep_sort_config_static_selectorELNS0_4arch9wavefront6targetE1EEEvSK_,comdat
	.protected	_ZN7rocprim17ROCPRIM_400000_NS6detail17trampoline_kernelINS0_14default_configENS1_35radix_sort_onesweep_config_selectorIsNS0_10empty_typeEEEZZNS1_29radix_sort_onesweep_iterationIS3_Lb0EN6thrust23THRUST_200600_302600_NS6detail15normal_iteratorINS9_10device_ptrIsEEEESE_PS5_SF_jNS0_19identity_decomposerENS1_16block_id_wrapperIjLb1EEEEE10hipError_tT1_PNSt15iterator_traitsISK_E10value_typeET2_T3_PNSL_ISQ_E10value_typeET4_T5_PSV_SW_PNS1_23onesweep_lookback_stateEbbT6_jjT7_P12ihipStream_tbENKUlT_T0_SK_SP_E_clISE_SE_SF_SF_EEDaS13_S14_SK_SP_EUlS13_E_NS1_11comp_targetILNS1_3genE5ELNS1_11target_archE942ELNS1_3gpuE9ELNS1_3repE0EEENS1_47radix_sort_onesweep_sort_config_static_selectorELNS0_4arch9wavefront6targetE1EEEvSK_ ; -- Begin function _ZN7rocprim17ROCPRIM_400000_NS6detail17trampoline_kernelINS0_14default_configENS1_35radix_sort_onesweep_config_selectorIsNS0_10empty_typeEEEZZNS1_29radix_sort_onesweep_iterationIS3_Lb0EN6thrust23THRUST_200600_302600_NS6detail15normal_iteratorINS9_10device_ptrIsEEEESE_PS5_SF_jNS0_19identity_decomposerENS1_16block_id_wrapperIjLb1EEEEE10hipError_tT1_PNSt15iterator_traitsISK_E10value_typeET2_T3_PNSL_ISQ_E10value_typeET4_T5_PSV_SW_PNS1_23onesweep_lookback_stateEbbT6_jjT7_P12ihipStream_tbENKUlT_T0_SK_SP_E_clISE_SE_SF_SF_EEDaS13_S14_SK_SP_EUlS13_E_NS1_11comp_targetILNS1_3genE5ELNS1_11target_archE942ELNS1_3gpuE9ELNS1_3repE0EEENS1_47radix_sort_onesweep_sort_config_static_selectorELNS0_4arch9wavefront6targetE1EEEvSK_
	.globl	_ZN7rocprim17ROCPRIM_400000_NS6detail17trampoline_kernelINS0_14default_configENS1_35radix_sort_onesweep_config_selectorIsNS0_10empty_typeEEEZZNS1_29radix_sort_onesweep_iterationIS3_Lb0EN6thrust23THRUST_200600_302600_NS6detail15normal_iteratorINS9_10device_ptrIsEEEESE_PS5_SF_jNS0_19identity_decomposerENS1_16block_id_wrapperIjLb1EEEEE10hipError_tT1_PNSt15iterator_traitsISK_E10value_typeET2_T3_PNSL_ISQ_E10value_typeET4_T5_PSV_SW_PNS1_23onesweep_lookback_stateEbbT6_jjT7_P12ihipStream_tbENKUlT_T0_SK_SP_E_clISE_SE_SF_SF_EEDaS13_S14_SK_SP_EUlS13_E_NS1_11comp_targetILNS1_3genE5ELNS1_11target_archE942ELNS1_3gpuE9ELNS1_3repE0EEENS1_47radix_sort_onesweep_sort_config_static_selectorELNS0_4arch9wavefront6targetE1EEEvSK_
	.p2align	8
	.type	_ZN7rocprim17ROCPRIM_400000_NS6detail17trampoline_kernelINS0_14default_configENS1_35radix_sort_onesweep_config_selectorIsNS0_10empty_typeEEEZZNS1_29radix_sort_onesweep_iterationIS3_Lb0EN6thrust23THRUST_200600_302600_NS6detail15normal_iteratorINS9_10device_ptrIsEEEESE_PS5_SF_jNS0_19identity_decomposerENS1_16block_id_wrapperIjLb1EEEEE10hipError_tT1_PNSt15iterator_traitsISK_E10value_typeET2_T3_PNSL_ISQ_E10value_typeET4_T5_PSV_SW_PNS1_23onesweep_lookback_stateEbbT6_jjT7_P12ihipStream_tbENKUlT_T0_SK_SP_E_clISE_SE_SF_SF_EEDaS13_S14_SK_SP_EUlS13_E_NS1_11comp_targetILNS1_3genE5ELNS1_11target_archE942ELNS1_3gpuE9ELNS1_3repE0EEENS1_47radix_sort_onesweep_sort_config_static_selectorELNS0_4arch9wavefront6targetE1EEEvSK_,@function
_ZN7rocprim17ROCPRIM_400000_NS6detail17trampoline_kernelINS0_14default_configENS1_35radix_sort_onesweep_config_selectorIsNS0_10empty_typeEEEZZNS1_29radix_sort_onesweep_iterationIS3_Lb0EN6thrust23THRUST_200600_302600_NS6detail15normal_iteratorINS9_10device_ptrIsEEEESE_PS5_SF_jNS0_19identity_decomposerENS1_16block_id_wrapperIjLb1EEEEE10hipError_tT1_PNSt15iterator_traitsISK_E10value_typeET2_T3_PNSL_ISQ_E10value_typeET4_T5_PSV_SW_PNS1_23onesweep_lookback_stateEbbT6_jjT7_P12ihipStream_tbENKUlT_T0_SK_SP_E_clISE_SE_SF_SF_EEDaS13_S14_SK_SP_EUlS13_E_NS1_11comp_targetILNS1_3genE5ELNS1_11target_archE942ELNS1_3gpuE9ELNS1_3repE0EEENS1_47radix_sort_onesweep_sort_config_static_selectorELNS0_4arch9wavefront6targetE1EEEvSK_: ; @_ZN7rocprim17ROCPRIM_400000_NS6detail17trampoline_kernelINS0_14default_configENS1_35radix_sort_onesweep_config_selectorIsNS0_10empty_typeEEEZZNS1_29radix_sort_onesweep_iterationIS3_Lb0EN6thrust23THRUST_200600_302600_NS6detail15normal_iteratorINS9_10device_ptrIsEEEESE_PS5_SF_jNS0_19identity_decomposerENS1_16block_id_wrapperIjLb1EEEEE10hipError_tT1_PNSt15iterator_traitsISK_E10value_typeET2_T3_PNSL_ISQ_E10value_typeET4_T5_PSV_SW_PNS1_23onesweep_lookback_stateEbbT6_jjT7_P12ihipStream_tbENKUlT_T0_SK_SP_E_clISE_SE_SF_SF_EEDaS13_S14_SK_SP_EUlS13_E_NS1_11comp_targetILNS1_3genE5ELNS1_11target_archE942ELNS1_3gpuE9ELNS1_3repE0EEENS1_47radix_sort_onesweep_sort_config_static_selectorELNS0_4arch9wavefront6targetE1EEEvSK_
; %bb.0:
	.section	.rodata,"a",@progbits
	.p2align	6, 0x0
	.amdhsa_kernel _ZN7rocprim17ROCPRIM_400000_NS6detail17trampoline_kernelINS0_14default_configENS1_35radix_sort_onesweep_config_selectorIsNS0_10empty_typeEEEZZNS1_29radix_sort_onesweep_iterationIS3_Lb0EN6thrust23THRUST_200600_302600_NS6detail15normal_iteratorINS9_10device_ptrIsEEEESE_PS5_SF_jNS0_19identity_decomposerENS1_16block_id_wrapperIjLb1EEEEE10hipError_tT1_PNSt15iterator_traitsISK_E10value_typeET2_T3_PNSL_ISQ_E10value_typeET4_T5_PSV_SW_PNS1_23onesweep_lookback_stateEbbT6_jjT7_P12ihipStream_tbENKUlT_T0_SK_SP_E_clISE_SE_SF_SF_EEDaS13_S14_SK_SP_EUlS13_E_NS1_11comp_targetILNS1_3genE5ELNS1_11target_archE942ELNS1_3gpuE9ELNS1_3repE0EEENS1_47radix_sort_onesweep_sort_config_static_selectorELNS0_4arch9wavefront6targetE1EEEvSK_
		.amdhsa_group_segment_fixed_size 0
		.amdhsa_private_segment_fixed_size 0
		.amdhsa_kernarg_size 88
		.amdhsa_user_sgpr_count 6
		.amdhsa_user_sgpr_private_segment_buffer 1
		.amdhsa_user_sgpr_dispatch_ptr 0
		.amdhsa_user_sgpr_queue_ptr 0
		.amdhsa_user_sgpr_kernarg_segment_ptr 1
		.amdhsa_user_sgpr_dispatch_id 0
		.amdhsa_user_sgpr_flat_scratch_init 0
		.amdhsa_user_sgpr_kernarg_preload_length 0
		.amdhsa_user_sgpr_kernarg_preload_offset 0
		.amdhsa_user_sgpr_private_segment_size 0
		.amdhsa_uses_dynamic_stack 0
		.amdhsa_system_sgpr_private_segment_wavefront_offset 0
		.amdhsa_system_sgpr_workgroup_id_x 1
		.amdhsa_system_sgpr_workgroup_id_y 0
		.amdhsa_system_sgpr_workgroup_id_z 0
		.amdhsa_system_sgpr_workgroup_info 0
		.amdhsa_system_vgpr_workitem_id 0
		.amdhsa_next_free_vgpr 1
		.amdhsa_next_free_sgpr 0
		.amdhsa_accum_offset 4
		.amdhsa_reserve_vcc 0
		.amdhsa_reserve_flat_scratch 0
		.amdhsa_float_round_mode_32 0
		.amdhsa_float_round_mode_16_64 0
		.amdhsa_float_denorm_mode_32 3
		.amdhsa_float_denorm_mode_16_64 3
		.amdhsa_dx10_clamp 1
		.amdhsa_ieee_mode 1
		.amdhsa_fp16_overflow 0
		.amdhsa_tg_split 0
		.amdhsa_exception_fp_ieee_invalid_op 0
		.amdhsa_exception_fp_denorm_src 0
		.amdhsa_exception_fp_ieee_div_zero 0
		.amdhsa_exception_fp_ieee_overflow 0
		.amdhsa_exception_fp_ieee_underflow 0
		.amdhsa_exception_fp_ieee_inexact 0
		.amdhsa_exception_int_div_zero 0
	.end_amdhsa_kernel
	.section	.text._ZN7rocprim17ROCPRIM_400000_NS6detail17trampoline_kernelINS0_14default_configENS1_35radix_sort_onesweep_config_selectorIsNS0_10empty_typeEEEZZNS1_29radix_sort_onesweep_iterationIS3_Lb0EN6thrust23THRUST_200600_302600_NS6detail15normal_iteratorINS9_10device_ptrIsEEEESE_PS5_SF_jNS0_19identity_decomposerENS1_16block_id_wrapperIjLb1EEEEE10hipError_tT1_PNSt15iterator_traitsISK_E10value_typeET2_T3_PNSL_ISQ_E10value_typeET4_T5_PSV_SW_PNS1_23onesweep_lookback_stateEbbT6_jjT7_P12ihipStream_tbENKUlT_T0_SK_SP_E_clISE_SE_SF_SF_EEDaS13_S14_SK_SP_EUlS13_E_NS1_11comp_targetILNS1_3genE5ELNS1_11target_archE942ELNS1_3gpuE9ELNS1_3repE0EEENS1_47radix_sort_onesweep_sort_config_static_selectorELNS0_4arch9wavefront6targetE1EEEvSK_,"axG",@progbits,_ZN7rocprim17ROCPRIM_400000_NS6detail17trampoline_kernelINS0_14default_configENS1_35radix_sort_onesweep_config_selectorIsNS0_10empty_typeEEEZZNS1_29radix_sort_onesweep_iterationIS3_Lb0EN6thrust23THRUST_200600_302600_NS6detail15normal_iteratorINS9_10device_ptrIsEEEESE_PS5_SF_jNS0_19identity_decomposerENS1_16block_id_wrapperIjLb1EEEEE10hipError_tT1_PNSt15iterator_traitsISK_E10value_typeET2_T3_PNSL_ISQ_E10value_typeET4_T5_PSV_SW_PNS1_23onesweep_lookback_stateEbbT6_jjT7_P12ihipStream_tbENKUlT_T0_SK_SP_E_clISE_SE_SF_SF_EEDaS13_S14_SK_SP_EUlS13_E_NS1_11comp_targetILNS1_3genE5ELNS1_11target_archE942ELNS1_3gpuE9ELNS1_3repE0EEENS1_47radix_sort_onesweep_sort_config_static_selectorELNS0_4arch9wavefront6targetE1EEEvSK_,comdat
.Lfunc_end1952:
	.size	_ZN7rocprim17ROCPRIM_400000_NS6detail17trampoline_kernelINS0_14default_configENS1_35radix_sort_onesweep_config_selectorIsNS0_10empty_typeEEEZZNS1_29radix_sort_onesweep_iterationIS3_Lb0EN6thrust23THRUST_200600_302600_NS6detail15normal_iteratorINS9_10device_ptrIsEEEESE_PS5_SF_jNS0_19identity_decomposerENS1_16block_id_wrapperIjLb1EEEEE10hipError_tT1_PNSt15iterator_traitsISK_E10value_typeET2_T3_PNSL_ISQ_E10value_typeET4_T5_PSV_SW_PNS1_23onesweep_lookback_stateEbbT6_jjT7_P12ihipStream_tbENKUlT_T0_SK_SP_E_clISE_SE_SF_SF_EEDaS13_S14_SK_SP_EUlS13_E_NS1_11comp_targetILNS1_3genE5ELNS1_11target_archE942ELNS1_3gpuE9ELNS1_3repE0EEENS1_47radix_sort_onesweep_sort_config_static_selectorELNS0_4arch9wavefront6targetE1EEEvSK_, .Lfunc_end1952-_ZN7rocprim17ROCPRIM_400000_NS6detail17trampoline_kernelINS0_14default_configENS1_35radix_sort_onesweep_config_selectorIsNS0_10empty_typeEEEZZNS1_29radix_sort_onesweep_iterationIS3_Lb0EN6thrust23THRUST_200600_302600_NS6detail15normal_iteratorINS9_10device_ptrIsEEEESE_PS5_SF_jNS0_19identity_decomposerENS1_16block_id_wrapperIjLb1EEEEE10hipError_tT1_PNSt15iterator_traitsISK_E10value_typeET2_T3_PNSL_ISQ_E10value_typeET4_T5_PSV_SW_PNS1_23onesweep_lookback_stateEbbT6_jjT7_P12ihipStream_tbENKUlT_T0_SK_SP_E_clISE_SE_SF_SF_EEDaS13_S14_SK_SP_EUlS13_E_NS1_11comp_targetILNS1_3genE5ELNS1_11target_archE942ELNS1_3gpuE9ELNS1_3repE0EEENS1_47radix_sort_onesweep_sort_config_static_selectorELNS0_4arch9wavefront6targetE1EEEvSK_
                                        ; -- End function
	.section	.AMDGPU.csdata,"",@progbits
; Kernel info:
; codeLenInByte = 0
; NumSgprs: 4
; NumVgprs: 0
; NumAgprs: 0
; TotalNumVgprs: 0
; ScratchSize: 0
; MemoryBound: 0
; FloatMode: 240
; IeeeMode: 1
; LDSByteSize: 0 bytes/workgroup (compile time only)
; SGPRBlocks: 0
; VGPRBlocks: 0
; NumSGPRsForWavesPerEU: 4
; NumVGPRsForWavesPerEU: 1
; AccumOffset: 4
; Occupancy: 8
; WaveLimiterHint : 0
; COMPUTE_PGM_RSRC2:SCRATCH_EN: 0
; COMPUTE_PGM_RSRC2:USER_SGPR: 6
; COMPUTE_PGM_RSRC2:TRAP_HANDLER: 0
; COMPUTE_PGM_RSRC2:TGID_X_EN: 1
; COMPUTE_PGM_RSRC2:TGID_Y_EN: 0
; COMPUTE_PGM_RSRC2:TGID_Z_EN: 0
; COMPUTE_PGM_RSRC2:TIDIG_COMP_CNT: 0
; COMPUTE_PGM_RSRC3_GFX90A:ACCUM_OFFSET: 0
; COMPUTE_PGM_RSRC3_GFX90A:TG_SPLIT: 0
	.section	.text._ZN7rocprim17ROCPRIM_400000_NS6detail17trampoline_kernelINS0_14default_configENS1_35radix_sort_onesweep_config_selectorIsNS0_10empty_typeEEEZZNS1_29radix_sort_onesweep_iterationIS3_Lb0EN6thrust23THRUST_200600_302600_NS6detail15normal_iteratorINS9_10device_ptrIsEEEESE_PS5_SF_jNS0_19identity_decomposerENS1_16block_id_wrapperIjLb1EEEEE10hipError_tT1_PNSt15iterator_traitsISK_E10value_typeET2_T3_PNSL_ISQ_E10value_typeET4_T5_PSV_SW_PNS1_23onesweep_lookback_stateEbbT6_jjT7_P12ihipStream_tbENKUlT_T0_SK_SP_E_clISE_SE_SF_SF_EEDaS13_S14_SK_SP_EUlS13_E_NS1_11comp_targetILNS1_3genE2ELNS1_11target_archE906ELNS1_3gpuE6ELNS1_3repE0EEENS1_47radix_sort_onesweep_sort_config_static_selectorELNS0_4arch9wavefront6targetE1EEEvSK_,"axG",@progbits,_ZN7rocprim17ROCPRIM_400000_NS6detail17trampoline_kernelINS0_14default_configENS1_35radix_sort_onesweep_config_selectorIsNS0_10empty_typeEEEZZNS1_29radix_sort_onesweep_iterationIS3_Lb0EN6thrust23THRUST_200600_302600_NS6detail15normal_iteratorINS9_10device_ptrIsEEEESE_PS5_SF_jNS0_19identity_decomposerENS1_16block_id_wrapperIjLb1EEEEE10hipError_tT1_PNSt15iterator_traitsISK_E10value_typeET2_T3_PNSL_ISQ_E10value_typeET4_T5_PSV_SW_PNS1_23onesweep_lookback_stateEbbT6_jjT7_P12ihipStream_tbENKUlT_T0_SK_SP_E_clISE_SE_SF_SF_EEDaS13_S14_SK_SP_EUlS13_E_NS1_11comp_targetILNS1_3genE2ELNS1_11target_archE906ELNS1_3gpuE6ELNS1_3repE0EEENS1_47radix_sort_onesweep_sort_config_static_selectorELNS0_4arch9wavefront6targetE1EEEvSK_,comdat
	.protected	_ZN7rocprim17ROCPRIM_400000_NS6detail17trampoline_kernelINS0_14default_configENS1_35radix_sort_onesweep_config_selectorIsNS0_10empty_typeEEEZZNS1_29radix_sort_onesweep_iterationIS3_Lb0EN6thrust23THRUST_200600_302600_NS6detail15normal_iteratorINS9_10device_ptrIsEEEESE_PS5_SF_jNS0_19identity_decomposerENS1_16block_id_wrapperIjLb1EEEEE10hipError_tT1_PNSt15iterator_traitsISK_E10value_typeET2_T3_PNSL_ISQ_E10value_typeET4_T5_PSV_SW_PNS1_23onesweep_lookback_stateEbbT6_jjT7_P12ihipStream_tbENKUlT_T0_SK_SP_E_clISE_SE_SF_SF_EEDaS13_S14_SK_SP_EUlS13_E_NS1_11comp_targetILNS1_3genE2ELNS1_11target_archE906ELNS1_3gpuE6ELNS1_3repE0EEENS1_47radix_sort_onesweep_sort_config_static_selectorELNS0_4arch9wavefront6targetE1EEEvSK_ ; -- Begin function _ZN7rocprim17ROCPRIM_400000_NS6detail17trampoline_kernelINS0_14default_configENS1_35radix_sort_onesweep_config_selectorIsNS0_10empty_typeEEEZZNS1_29radix_sort_onesweep_iterationIS3_Lb0EN6thrust23THRUST_200600_302600_NS6detail15normal_iteratorINS9_10device_ptrIsEEEESE_PS5_SF_jNS0_19identity_decomposerENS1_16block_id_wrapperIjLb1EEEEE10hipError_tT1_PNSt15iterator_traitsISK_E10value_typeET2_T3_PNSL_ISQ_E10value_typeET4_T5_PSV_SW_PNS1_23onesweep_lookback_stateEbbT6_jjT7_P12ihipStream_tbENKUlT_T0_SK_SP_E_clISE_SE_SF_SF_EEDaS13_S14_SK_SP_EUlS13_E_NS1_11comp_targetILNS1_3genE2ELNS1_11target_archE906ELNS1_3gpuE6ELNS1_3repE0EEENS1_47radix_sort_onesweep_sort_config_static_selectorELNS0_4arch9wavefront6targetE1EEEvSK_
	.globl	_ZN7rocprim17ROCPRIM_400000_NS6detail17trampoline_kernelINS0_14default_configENS1_35radix_sort_onesweep_config_selectorIsNS0_10empty_typeEEEZZNS1_29radix_sort_onesweep_iterationIS3_Lb0EN6thrust23THRUST_200600_302600_NS6detail15normal_iteratorINS9_10device_ptrIsEEEESE_PS5_SF_jNS0_19identity_decomposerENS1_16block_id_wrapperIjLb1EEEEE10hipError_tT1_PNSt15iterator_traitsISK_E10value_typeET2_T3_PNSL_ISQ_E10value_typeET4_T5_PSV_SW_PNS1_23onesweep_lookback_stateEbbT6_jjT7_P12ihipStream_tbENKUlT_T0_SK_SP_E_clISE_SE_SF_SF_EEDaS13_S14_SK_SP_EUlS13_E_NS1_11comp_targetILNS1_3genE2ELNS1_11target_archE906ELNS1_3gpuE6ELNS1_3repE0EEENS1_47radix_sort_onesweep_sort_config_static_selectorELNS0_4arch9wavefront6targetE1EEEvSK_
	.p2align	8
	.type	_ZN7rocprim17ROCPRIM_400000_NS6detail17trampoline_kernelINS0_14default_configENS1_35radix_sort_onesweep_config_selectorIsNS0_10empty_typeEEEZZNS1_29radix_sort_onesweep_iterationIS3_Lb0EN6thrust23THRUST_200600_302600_NS6detail15normal_iteratorINS9_10device_ptrIsEEEESE_PS5_SF_jNS0_19identity_decomposerENS1_16block_id_wrapperIjLb1EEEEE10hipError_tT1_PNSt15iterator_traitsISK_E10value_typeET2_T3_PNSL_ISQ_E10value_typeET4_T5_PSV_SW_PNS1_23onesweep_lookback_stateEbbT6_jjT7_P12ihipStream_tbENKUlT_T0_SK_SP_E_clISE_SE_SF_SF_EEDaS13_S14_SK_SP_EUlS13_E_NS1_11comp_targetILNS1_3genE2ELNS1_11target_archE906ELNS1_3gpuE6ELNS1_3repE0EEENS1_47radix_sort_onesweep_sort_config_static_selectorELNS0_4arch9wavefront6targetE1EEEvSK_,@function
_ZN7rocprim17ROCPRIM_400000_NS6detail17trampoline_kernelINS0_14default_configENS1_35radix_sort_onesweep_config_selectorIsNS0_10empty_typeEEEZZNS1_29radix_sort_onesweep_iterationIS3_Lb0EN6thrust23THRUST_200600_302600_NS6detail15normal_iteratorINS9_10device_ptrIsEEEESE_PS5_SF_jNS0_19identity_decomposerENS1_16block_id_wrapperIjLb1EEEEE10hipError_tT1_PNSt15iterator_traitsISK_E10value_typeET2_T3_PNSL_ISQ_E10value_typeET4_T5_PSV_SW_PNS1_23onesweep_lookback_stateEbbT6_jjT7_P12ihipStream_tbENKUlT_T0_SK_SP_E_clISE_SE_SF_SF_EEDaS13_S14_SK_SP_EUlS13_E_NS1_11comp_targetILNS1_3genE2ELNS1_11target_archE906ELNS1_3gpuE6ELNS1_3repE0EEENS1_47radix_sort_onesweep_sort_config_static_selectorELNS0_4arch9wavefront6targetE1EEEvSK_: ; @_ZN7rocprim17ROCPRIM_400000_NS6detail17trampoline_kernelINS0_14default_configENS1_35radix_sort_onesweep_config_selectorIsNS0_10empty_typeEEEZZNS1_29radix_sort_onesweep_iterationIS3_Lb0EN6thrust23THRUST_200600_302600_NS6detail15normal_iteratorINS9_10device_ptrIsEEEESE_PS5_SF_jNS0_19identity_decomposerENS1_16block_id_wrapperIjLb1EEEEE10hipError_tT1_PNSt15iterator_traitsISK_E10value_typeET2_T3_PNSL_ISQ_E10value_typeET4_T5_PSV_SW_PNS1_23onesweep_lookback_stateEbbT6_jjT7_P12ihipStream_tbENKUlT_T0_SK_SP_E_clISE_SE_SF_SF_EEDaS13_S14_SK_SP_EUlS13_E_NS1_11comp_targetILNS1_3genE2ELNS1_11target_archE906ELNS1_3gpuE6ELNS1_3repE0EEENS1_47radix_sort_onesweep_sort_config_static_selectorELNS0_4arch9wavefront6targetE1EEEvSK_
; %bb.0:
	.section	.rodata,"a",@progbits
	.p2align	6, 0x0
	.amdhsa_kernel _ZN7rocprim17ROCPRIM_400000_NS6detail17trampoline_kernelINS0_14default_configENS1_35radix_sort_onesweep_config_selectorIsNS0_10empty_typeEEEZZNS1_29radix_sort_onesweep_iterationIS3_Lb0EN6thrust23THRUST_200600_302600_NS6detail15normal_iteratorINS9_10device_ptrIsEEEESE_PS5_SF_jNS0_19identity_decomposerENS1_16block_id_wrapperIjLb1EEEEE10hipError_tT1_PNSt15iterator_traitsISK_E10value_typeET2_T3_PNSL_ISQ_E10value_typeET4_T5_PSV_SW_PNS1_23onesweep_lookback_stateEbbT6_jjT7_P12ihipStream_tbENKUlT_T0_SK_SP_E_clISE_SE_SF_SF_EEDaS13_S14_SK_SP_EUlS13_E_NS1_11comp_targetILNS1_3genE2ELNS1_11target_archE906ELNS1_3gpuE6ELNS1_3repE0EEENS1_47radix_sort_onesweep_sort_config_static_selectorELNS0_4arch9wavefront6targetE1EEEvSK_
		.amdhsa_group_segment_fixed_size 0
		.amdhsa_private_segment_fixed_size 0
		.amdhsa_kernarg_size 88
		.amdhsa_user_sgpr_count 6
		.amdhsa_user_sgpr_private_segment_buffer 1
		.amdhsa_user_sgpr_dispatch_ptr 0
		.amdhsa_user_sgpr_queue_ptr 0
		.amdhsa_user_sgpr_kernarg_segment_ptr 1
		.amdhsa_user_sgpr_dispatch_id 0
		.amdhsa_user_sgpr_flat_scratch_init 0
		.amdhsa_user_sgpr_kernarg_preload_length 0
		.amdhsa_user_sgpr_kernarg_preload_offset 0
		.amdhsa_user_sgpr_private_segment_size 0
		.amdhsa_uses_dynamic_stack 0
		.amdhsa_system_sgpr_private_segment_wavefront_offset 0
		.amdhsa_system_sgpr_workgroup_id_x 1
		.amdhsa_system_sgpr_workgroup_id_y 0
		.amdhsa_system_sgpr_workgroup_id_z 0
		.amdhsa_system_sgpr_workgroup_info 0
		.amdhsa_system_vgpr_workitem_id 0
		.amdhsa_next_free_vgpr 1
		.amdhsa_next_free_sgpr 0
		.amdhsa_accum_offset 4
		.amdhsa_reserve_vcc 0
		.amdhsa_reserve_flat_scratch 0
		.amdhsa_float_round_mode_32 0
		.amdhsa_float_round_mode_16_64 0
		.amdhsa_float_denorm_mode_32 3
		.amdhsa_float_denorm_mode_16_64 3
		.amdhsa_dx10_clamp 1
		.amdhsa_ieee_mode 1
		.amdhsa_fp16_overflow 0
		.amdhsa_tg_split 0
		.amdhsa_exception_fp_ieee_invalid_op 0
		.amdhsa_exception_fp_denorm_src 0
		.amdhsa_exception_fp_ieee_div_zero 0
		.amdhsa_exception_fp_ieee_overflow 0
		.amdhsa_exception_fp_ieee_underflow 0
		.amdhsa_exception_fp_ieee_inexact 0
		.amdhsa_exception_int_div_zero 0
	.end_amdhsa_kernel
	.section	.text._ZN7rocprim17ROCPRIM_400000_NS6detail17trampoline_kernelINS0_14default_configENS1_35radix_sort_onesweep_config_selectorIsNS0_10empty_typeEEEZZNS1_29radix_sort_onesweep_iterationIS3_Lb0EN6thrust23THRUST_200600_302600_NS6detail15normal_iteratorINS9_10device_ptrIsEEEESE_PS5_SF_jNS0_19identity_decomposerENS1_16block_id_wrapperIjLb1EEEEE10hipError_tT1_PNSt15iterator_traitsISK_E10value_typeET2_T3_PNSL_ISQ_E10value_typeET4_T5_PSV_SW_PNS1_23onesweep_lookback_stateEbbT6_jjT7_P12ihipStream_tbENKUlT_T0_SK_SP_E_clISE_SE_SF_SF_EEDaS13_S14_SK_SP_EUlS13_E_NS1_11comp_targetILNS1_3genE2ELNS1_11target_archE906ELNS1_3gpuE6ELNS1_3repE0EEENS1_47radix_sort_onesweep_sort_config_static_selectorELNS0_4arch9wavefront6targetE1EEEvSK_,"axG",@progbits,_ZN7rocprim17ROCPRIM_400000_NS6detail17trampoline_kernelINS0_14default_configENS1_35radix_sort_onesweep_config_selectorIsNS0_10empty_typeEEEZZNS1_29radix_sort_onesweep_iterationIS3_Lb0EN6thrust23THRUST_200600_302600_NS6detail15normal_iteratorINS9_10device_ptrIsEEEESE_PS5_SF_jNS0_19identity_decomposerENS1_16block_id_wrapperIjLb1EEEEE10hipError_tT1_PNSt15iterator_traitsISK_E10value_typeET2_T3_PNSL_ISQ_E10value_typeET4_T5_PSV_SW_PNS1_23onesweep_lookback_stateEbbT6_jjT7_P12ihipStream_tbENKUlT_T0_SK_SP_E_clISE_SE_SF_SF_EEDaS13_S14_SK_SP_EUlS13_E_NS1_11comp_targetILNS1_3genE2ELNS1_11target_archE906ELNS1_3gpuE6ELNS1_3repE0EEENS1_47radix_sort_onesweep_sort_config_static_selectorELNS0_4arch9wavefront6targetE1EEEvSK_,comdat
.Lfunc_end1953:
	.size	_ZN7rocprim17ROCPRIM_400000_NS6detail17trampoline_kernelINS0_14default_configENS1_35radix_sort_onesweep_config_selectorIsNS0_10empty_typeEEEZZNS1_29radix_sort_onesweep_iterationIS3_Lb0EN6thrust23THRUST_200600_302600_NS6detail15normal_iteratorINS9_10device_ptrIsEEEESE_PS5_SF_jNS0_19identity_decomposerENS1_16block_id_wrapperIjLb1EEEEE10hipError_tT1_PNSt15iterator_traitsISK_E10value_typeET2_T3_PNSL_ISQ_E10value_typeET4_T5_PSV_SW_PNS1_23onesweep_lookback_stateEbbT6_jjT7_P12ihipStream_tbENKUlT_T0_SK_SP_E_clISE_SE_SF_SF_EEDaS13_S14_SK_SP_EUlS13_E_NS1_11comp_targetILNS1_3genE2ELNS1_11target_archE906ELNS1_3gpuE6ELNS1_3repE0EEENS1_47radix_sort_onesweep_sort_config_static_selectorELNS0_4arch9wavefront6targetE1EEEvSK_, .Lfunc_end1953-_ZN7rocprim17ROCPRIM_400000_NS6detail17trampoline_kernelINS0_14default_configENS1_35radix_sort_onesweep_config_selectorIsNS0_10empty_typeEEEZZNS1_29radix_sort_onesweep_iterationIS3_Lb0EN6thrust23THRUST_200600_302600_NS6detail15normal_iteratorINS9_10device_ptrIsEEEESE_PS5_SF_jNS0_19identity_decomposerENS1_16block_id_wrapperIjLb1EEEEE10hipError_tT1_PNSt15iterator_traitsISK_E10value_typeET2_T3_PNSL_ISQ_E10value_typeET4_T5_PSV_SW_PNS1_23onesweep_lookback_stateEbbT6_jjT7_P12ihipStream_tbENKUlT_T0_SK_SP_E_clISE_SE_SF_SF_EEDaS13_S14_SK_SP_EUlS13_E_NS1_11comp_targetILNS1_3genE2ELNS1_11target_archE906ELNS1_3gpuE6ELNS1_3repE0EEENS1_47radix_sort_onesweep_sort_config_static_selectorELNS0_4arch9wavefront6targetE1EEEvSK_
                                        ; -- End function
	.section	.AMDGPU.csdata,"",@progbits
; Kernel info:
; codeLenInByte = 0
; NumSgprs: 4
; NumVgprs: 0
; NumAgprs: 0
; TotalNumVgprs: 0
; ScratchSize: 0
; MemoryBound: 0
; FloatMode: 240
; IeeeMode: 1
; LDSByteSize: 0 bytes/workgroup (compile time only)
; SGPRBlocks: 0
; VGPRBlocks: 0
; NumSGPRsForWavesPerEU: 4
; NumVGPRsForWavesPerEU: 1
; AccumOffset: 4
; Occupancy: 8
; WaveLimiterHint : 0
; COMPUTE_PGM_RSRC2:SCRATCH_EN: 0
; COMPUTE_PGM_RSRC2:USER_SGPR: 6
; COMPUTE_PGM_RSRC2:TRAP_HANDLER: 0
; COMPUTE_PGM_RSRC2:TGID_X_EN: 1
; COMPUTE_PGM_RSRC2:TGID_Y_EN: 0
; COMPUTE_PGM_RSRC2:TGID_Z_EN: 0
; COMPUTE_PGM_RSRC2:TIDIG_COMP_CNT: 0
; COMPUTE_PGM_RSRC3_GFX90A:ACCUM_OFFSET: 0
; COMPUTE_PGM_RSRC3_GFX90A:TG_SPLIT: 0
	.section	.text._ZN7rocprim17ROCPRIM_400000_NS6detail17trampoline_kernelINS0_14default_configENS1_35radix_sort_onesweep_config_selectorIsNS0_10empty_typeEEEZZNS1_29radix_sort_onesweep_iterationIS3_Lb0EN6thrust23THRUST_200600_302600_NS6detail15normal_iteratorINS9_10device_ptrIsEEEESE_PS5_SF_jNS0_19identity_decomposerENS1_16block_id_wrapperIjLb1EEEEE10hipError_tT1_PNSt15iterator_traitsISK_E10value_typeET2_T3_PNSL_ISQ_E10value_typeET4_T5_PSV_SW_PNS1_23onesweep_lookback_stateEbbT6_jjT7_P12ihipStream_tbENKUlT_T0_SK_SP_E_clISE_SE_SF_SF_EEDaS13_S14_SK_SP_EUlS13_E_NS1_11comp_targetILNS1_3genE4ELNS1_11target_archE910ELNS1_3gpuE8ELNS1_3repE0EEENS1_47radix_sort_onesweep_sort_config_static_selectorELNS0_4arch9wavefront6targetE1EEEvSK_,"axG",@progbits,_ZN7rocprim17ROCPRIM_400000_NS6detail17trampoline_kernelINS0_14default_configENS1_35radix_sort_onesweep_config_selectorIsNS0_10empty_typeEEEZZNS1_29radix_sort_onesweep_iterationIS3_Lb0EN6thrust23THRUST_200600_302600_NS6detail15normal_iteratorINS9_10device_ptrIsEEEESE_PS5_SF_jNS0_19identity_decomposerENS1_16block_id_wrapperIjLb1EEEEE10hipError_tT1_PNSt15iterator_traitsISK_E10value_typeET2_T3_PNSL_ISQ_E10value_typeET4_T5_PSV_SW_PNS1_23onesweep_lookback_stateEbbT6_jjT7_P12ihipStream_tbENKUlT_T0_SK_SP_E_clISE_SE_SF_SF_EEDaS13_S14_SK_SP_EUlS13_E_NS1_11comp_targetILNS1_3genE4ELNS1_11target_archE910ELNS1_3gpuE8ELNS1_3repE0EEENS1_47radix_sort_onesweep_sort_config_static_selectorELNS0_4arch9wavefront6targetE1EEEvSK_,comdat
	.protected	_ZN7rocprim17ROCPRIM_400000_NS6detail17trampoline_kernelINS0_14default_configENS1_35radix_sort_onesweep_config_selectorIsNS0_10empty_typeEEEZZNS1_29radix_sort_onesweep_iterationIS3_Lb0EN6thrust23THRUST_200600_302600_NS6detail15normal_iteratorINS9_10device_ptrIsEEEESE_PS5_SF_jNS0_19identity_decomposerENS1_16block_id_wrapperIjLb1EEEEE10hipError_tT1_PNSt15iterator_traitsISK_E10value_typeET2_T3_PNSL_ISQ_E10value_typeET4_T5_PSV_SW_PNS1_23onesweep_lookback_stateEbbT6_jjT7_P12ihipStream_tbENKUlT_T0_SK_SP_E_clISE_SE_SF_SF_EEDaS13_S14_SK_SP_EUlS13_E_NS1_11comp_targetILNS1_3genE4ELNS1_11target_archE910ELNS1_3gpuE8ELNS1_3repE0EEENS1_47radix_sort_onesweep_sort_config_static_selectorELNS0_4arch9wavefront6targetE1EEEvSK_ ; -- Begin function _ZN7rocprim17ROCPRIM_400000_NS6detail17trampoline_kernelINS0_14default_configENS1_35radix_sort_onesweep_config_selectorIsNS0_10empty_typeEEEZZNS1_29radix_sort_onesweep_iterationIS3_Lb0EN6thrust23THRUST_200600_302600_NS6detail15normal_iteratorINS9_10device_ptrIsEEEESE_PS5_SF_jNS0_19identity_decomposerENS1_16block_id_wrapperIjLb1EEEEE10hipError_tT1_PNSt15iterator_traitsISK_E10value_typeET2_T3_PNSL_ISQ_E10value_typeET4_T5_PSV_SW_PNS1_23onesweep_lookback_stateEbbT6_jjT7_P12ihipStream_tbENKUlT_T0_SK_SP_E_clISE_SE_SF_SF_EEDaS13_S14_SK_SP_EUlS13_E_NS1_11comp_targetILNS1_3genE4ELNS1_11target_archE910ELNS1_3gpuE8ELNS1_3repE0EEENS1_47radix_sort_onesweep_sort_config_static_selectorELNS0_4arch9wavefront6targetE1EEEvSK_
	.globl	_ZN7rocprim17ROCPRIM_400000_NS6detail17trampoline_kernelINS0_14default_configENS1_35radix_sort_onesweep_config_selectorIsNS0_10empty_typeEEEZZNS1_29radix_sort_onesweep_iterationIS3_Lb0EN6thrust23THRUST_200600_302600_NS6detail15normal_iteratorINS9_10device_ptrIsEEEESE_PS5_SF_jNS0_19identity_decomposerENS1_16block_id_wrapperIjLb1EEEEE10hipError_tT1_PNSt15iterator_traitsISK_E10value_typeET2_T3_PNSL_ISQ_E10value_typeET4_T5_PSV_SW_PNS1_23onesweep_lookback_stateEbbT6_jjT7_P12ihipStream_tbENKUlT_T0_SK_SP_E_clISE_SE_SF_SF_EEDaS13_S14_SK_SP_EUlS13_E_NS1_11comp_targetILNS1_3genE4ELNS1_11target_archE910ELNS1_3gpuE8ELNS1_3repE0EEENS1_47radix_sort_onesweep_sort_config_static_selectorELNS0_4arch9wavefront6targetE1EEEvSK_
	.p2align	8
	.type	_ZN7rocprim17ROCPRIM_400000_NS6detail17trampoline_kernelINS0_14default_configENS1_35radix_sort_onesweep_config_selectorIsNS0_10empty_typeEEEZZNS1_29radix_sort_onesweep_iterationIS3_Lb0EN6thrust23THRUST_200600_302600_NS6detail15normal_iteratorINS9_10device_ptrIsEEEESE_PS5_SF_jNS0_19identity_decomposerENS1_16block_id_wrapperIjLb1EEEEE10hipError_tT1_PNSt15iterator_traitsISK_E10value_typeET2_T3_PNSL_ISQ_E10value_typeET4_T5_PSV_SW_PNS1_23onesweep_lookback_stateEbbT6_jjT7_P12ihipStream_tbENKUlT_T0_SK_SP_E_clISE_SE_SF_SF_EEDaS13_S14_SK_SP_EUlS13_E_NS1_11comp_targetILNS1_3genE4ELNS1_11target_archE910ELNS1_3gpuE8ELNS1_3repE0EEENS1_47radix_sort_onesweep_sort_config_static_selectorELNS0_4arch9wavefront6targetE1EEEvSK_,@function
_ZN7rocprim17ROCPRIM_400000_NS6detail17trampoline_kernelINS0_14default_configENS1_35radix_sort_onesweep_config_selectorIsNS0_10empty_typeEEEZZNS1_29radix_sort_onesweep_iterationIS3_Lb0EN6thrust23THRUST_200600_302600_NS6detail15normal_iteratorINS9_10device_ptrIsEEEESE_PS5_SF_jNS0_19identity_decomposerENS1_16block_id_wrapperIjLb1EEEEE10hipError_tT1_PNSt15iterator_traitsISK_E10value_typeET2_T3_PNSL_ISQ_E10value_typeET4_T5_PSV_SW_PNS1_23onesweep_lookback_stateEbbT6_jjT7_P12ihipStream_tbENKUlT_T0_SK_SP_E_clISE_SE_SF_SF_EEDaS13_S14_SK_SP_EUlS13_E_NS1_11comp_targetILNS1_3genE4ELNS1_11target_archE910ELNS1_3gpuE8ELNS1_3repE0EEENS1_47radix_sort_onesweep_sort_config_static_selectorELNS0_4arch9wavefront6targetE1EEEvSK_: ; @_ZN7rocprim17ROCPRIM_400000_NS6detail17trampoline_kernelINS0_14default_configENS1_35radix_sort_onesweep_config_selectorIsNS0_10empty_typeEEEZZNS1_29radix_sort_onesweep_iterationIS3_Lb0EN6thrust23THRUST_200600_302600_NS6detail15normal_iteratorINS9_10device_ptrIsEEEESE_PS5_SF_jNS0_19identity_decomposerENS1_16block_id_wrapperIjLb1EEEEE10hipError_tT1_PNSt15iterator_traitsISK_E10value_typeET2_T3_PNSL_ISQ_E10value_typeET4_T5_PSV_SW_PNS1_23onesweep_lookback_stateEbbT6_jjT7_P12ihipStream_tbENKUlT_T0_SK_SP_E_clISE_SE_SF_SF_EEDaS13_S14_SK_SP_EUlS13_E_NS1_11comp_targetILNS1_3genE4ELNS1_11target_archE910ELNS1_3gpuE8ELNS1_3repE0EEENS1_47radix_sort_onesweep_sort_config_static_selectorELNS0_4arch9wavefront6targetE1EEEvSK_
; %bb.0:
	s_load_dwordx4 s[16:19], s[4:5], 0x28
	s_load_dwordx2 s[14:15], s[4:5], 0x38
	s_load_dwordx4 s[20:23], s[4:5], 0x44
	v_and_b32_e32 v10, 0x3ff, v0
	v_cmp_eq_u32_e64 s[0:1], 0, v10
	s_and_saveexec_b64 s[2:3], s[0:1]
	s_cbranch_execz .LBB1954_4
; %bb.1:
	s_mov_b64 s[10:11], exec
	v_mbcnt_lo_u32_b32 v1, s10, 0
	v_mbcnt_hi_u32_b32 v1, s11, v1
	v_cmp_eq_u32_e32 vcc, 0, v1
                                        ; implicit-def: $vgpr2
	s_and_saveexec_b64 s[8:9], vcc
	s_cbranch_execz .LBB1954_3
; %bb.2:
	s_load_dwordx2 s[12:13], s[4:5], 0x50
	s_bcnt1_i32_b64 s7, s[10:11]
	v_mov_b32_e32 v2, 0
	v_mov_b32_e32 v3, s7
	s_waitcnt lgkmcnt(0)
	global_atomic_add v2, v2, v3, s[12:13] glc
.LBB1954_3:
	s_or_b64 exec, exec, s[8:9]
	s_waitcnt vmcnt(0)
	v_readfirstlane_b32 s7, v2
	v_add_u32_e32 v1, s7, v1
	v_mov_b32_e32 v2, 0
	ds_write_b32 v2, v1 offset:25600
.LBB1954_4:
	s_or_b64 exec, exec, s[2:3]
	v_mov_b32_e32 v1, 0
	s_load_dwordx4 s[24:27], s[4:5], 0x0
	s_load_dword s2, s[4:5], 0x20
	s_waitcnt lgkmcnt(0)
	s_barrier
	ds_read_b32 v1, v1 offset:25600
	s_waitcnt lgkmcnt(0)
	s_barrier
	v_readfirstlane_b32 s30, v1
	v_cmp_le_u32_e32 vcc, s22, v1
	s_mul_i32 s28, s30, 0x3000
	v_mbcnt_lo_u32_b32 v1, -1, 0
	s_cbranch_vccz .LBB1954_100
; %bb.5:
	s_mul_i32 s7, s22, 0xffffd000
	s_mov_b32 s29, 0
	s_add_i32 s7, s7, s2
	s_lshl_b64 s[2:3], s[28:29], 1
	v_mbcnt_hi_u32_b32 v11, -1, v1
	s_add_u32 s2, s24, s2
	v_and_b32_e32 v2, 63, v11
	s_addc_u32 s3, s25, s3
	v_and_b32_e32 v3, 0x3c0, v10
	v_lshlrev_b32_e32 v4, 1, v2
	v_mul_u32_u24_e32 v3, 12, v3
	v_mov_b32_e32 v5, s3
	v_add_co_u32_e32 v4, vcc, s2, v4
	v_addc_co_u32_e32 v5, vcc, 0, v5, vcc
	v_lshlrev_b32_e32 v6, 1, v3
	s_mov_b32 s8, 0x7fff7fff
	v_add_co_u32_e32 v12, vcc, v4, v6
	s_mov_b32 s9, s8
	v_addc_co_u32_e32 v13, vcc, 0, v5, vcc
	v_or_b32_e32 v14, v2, v3
	s_mov_b32 s10, s8
	s_mov_b32 s11, s8
	;; [unrolled: 1-line block ×4, first 2 shown]
	v_pk_mov_b32 v[2:3], s[8:9], s[8:9] op_sel:[0,1]
	v_cmp_gt_u32_e32 vcc, s7, v14
	v_pk_mov_b32 v[4:5], s[10:11], s[10:11] op_sel:[0,1]
	v_pk_mov_b32 v[6:7], s[12:13], s[12:13] op_sel:[0,1]
	;; [unrolled: 1-line block ×3, first 2 shown]
	s_and_saveexec_b64 s[2:3], vcc
	s_cbranch_execz .LBB1954_7
; %bb.6:
	global_load_ushort v2, v[12:13], off
	s_movk_i32 s8, 0x7fff
	v_mov_b32_e32 v7, 0x5040100
	v_mov_b32_e32 v3, 0x7fff7fff
	v_mov_b32_e32 v4, v3
	v_mov_b32_e32 v5, v3
	v_mov_b32_e32 v6, v3
	s_waitcnt vmcnt(0)
	v_perm_b32 v2, s8, v2, v7
	v_mov_b32_e32 v7, v3
.LBB1954_7:
	s_or_b64 exec, exec, s[2:3]
	v_or_b32_e32 v8, 64, v14
	v_cmp_gt_u32_e32 vcc, s7, v8
	s_and_saveexec_b64 s[2:3], vcc
	s_cbranch_execz .LBB1954_9
; %bb.8:
	global_load_ushort v8, v[12:13], off offset:128
	s_mov_b32 s8, 0x5040100
	s_waitcnt vmcnt(0)
	v_perm_b32 v2, v8, v2, s8
.LBB1954_9:
	s_or_b64 exec, exec, s[2:3]
	v_or_b32_e32 v8, 0x80, v14
	v_cmp_gt_u32_e32 vcc, s7, v8
	s_and_saveexec_b64 s[2:3], vcc
	s_cbranch_execz .LBB1954_11
; %bb.10:
	global_load_ushort v8, v[12:13], off offset:256
	s_mov_b32 s8, 0xffff
	s_waitcnt vmcnt(0)
	v_bfi_b32 v3, s8, v8, v3
.LBB1954_11:
	s_or_b64 exec, exec, s[2:3]
	v_or_b32_e32 v8, 0xc0, v14
	v_cmp_gt_u32_e32 vcc, s7, v8
	s_and_saveexec_b64 s[2:3], vcc
	s_cbranch_execz .LBB1954_13
; %bb.12:
	global_load_ushort v8, v[12:13], off offset:384
	s_mov_b32 s8, 0x5040100
	s_waitcnt vmcnt(0)
	v_perm_b32 v3, v8, v3, s8
.LBB1954_13:
	s_or_b64 exec, exec, s[2:3]
	v_add_u32_e32 v8, 0x100, v14
	v_cmp_gt_u32_e32 vcc, s7, v8
	s_and_saveexec_b64 s[2:3], vcc
	s_cbranch_execz .LBB1954_15
; %bb.14:
	global_load_ushort v8, v[12:13], off offset:512
	s_mov_b32 s8, 0xffff
	s_waitcnt vmcnt(0)
	v_bfi_b32 v4, s8, v8, v4
.LBB1954_15:
	s_or_b64 exec, exec, s[2:3]
	v_add_u32_e32 v8, 0x140, v14
	v_cmp_gt_u32_e32 vcc, s7, v8
	s_and_saveexec_b64 s[2:3], vcc
	s_cbranch_execz .LBB1954_17
; %bb.16:
	global_load_ushort v8, v[12:13], off offset:640
	s_mov_b32 s8, 0x5040100
	s_waitcnt vmcnt(0)
	v_perm_b32 v4, v8, v4, s8
.LBB1954_17:
	s_or_b64 exec, exec, s[2:3]
	v_add_u32_e32 v8, 0x180, v14
	v_cmp_gt_u32_e32 vcc, s7, v8
	s_and_saveexec_b64 s[2:3], vcc
	s_cbranch_execz .LBB1954_19
; %bb.18:
	global_load_ushort v8, v[12:13], off offset:768
	s_mov_b32 s8, 0xffff
	s_waitcnt vmcnt(0)
	v_bfi_b32 v5, s8, v8, v5
.LBB1954_19:
	s_or_b64 exec, exec, s[2:3]
	v_add_u32_e32 v8, 0x1c0, v14
	;; [unrolled: 22-line block ×4, first 2 shown]
	v_cmp_gt_u32_e32 vcc, s7, v8
	s_and_saveexec_b64 s[2:3], vcc
	s_cbranch_execz .LBB1954_29
; %bb.28:
	global_load_ushort v8, v[12:13], off offset:1408
	s_mov_b32 s8, 0x5040100
	s_waitcnt vmcnt(0)
	v_perm_b32 v7, v8, v7, s8
.LBB1954_29:
	s_or_b64 exec, exec, s[2:3]
	s_load_dword s2, s[4:5], 0x64
	s_load_dword s29, s[4:5], 0x58
	s_add_u32 s3, s4, 0x58
	s_addc_u32 s8, s5, 0
	v_mov_b32_e32 v8, 0
	s_waitcnt lgkmcnt(0)
	s_lshr_b32 s9, s2, 16
	s_cmp_lt_u32 s6, s29
	s_cselect_b32 s2, 12, 18
	s_add_u32 s2, s3, s2
	s_addc_u32 s3, s8, 0
	global_load_ushort v12, v8, s[2:3]
	v_xor_b32_e32 v14, 0xffff8000, v2
	s_lshl_b32 s2, -1, s21
	v_lshrrev_b32_sdwa v16, s20, v14 dst_sel:DWORD dst_unused:UNUSED_PAD src0_sel:DWORD src1_sel:WORD_0
	s_not_b32 s31, s2
	v_and_b32_e32 v16, s31, v16
	v_and_b32_e32 v18, 1, v16
	v_bfe_u32 v9, v0, 10, 10
	v_bfe_u32 v13, v0, 20, 10
	v_add_co_u32_e32 v19, vcc, -1, v18
	v_mad_u32_u24 v13, v13, s9, v9
	v_lshlrev_b32_e32 v9, 30, v16
	v_addc_co_u32_e64 v20, s[2:3], 0, -1, vcc
	v_cmp_ne_u32_e32 vcc, 0, v18
	v_cmp_gt_i64_e64 s[2:3], 0, v[8:9]
	v_not_b32_e32 v18, v9
	v_lshlrev_b32_e32 v9, 29, v16
	v_xor_b32_e32 v20, vcc_hi, v20
	v_xor_b32_e32 v19, vcc_lo, v19
	v_ashrrev_i32_e32 v18, 31, v18
	v_cmp_gt_i64_e32 vcc, 0, v[8:9]
	v_not_b32_e32 v21, v9
	v_lshlrev_b32_e32 v9, 28, v16
	v_and_b32_e32 v20, exec_hi, v20
	v_and_b32_e32 v19, exec_lo, v19
	v_xor_b32_e32 v22, s3, v18
	v_xor_b32_e32 v18, s2, v18
	v_ashrrev_i32_e32 v21, 31, v21
	v_cmp_gt_i64_e64 s[2:3], 0, v[8:9]
	v_not_b32_e32 v23, v9
	v_lshlrev_b32_e32 v9, 27, v16
	v_and_b32_e32 v20, v20, v22
	v_and_b32_e32 v18, v19, v18
	v_xor_b32_e32 v19, vcc_hi, v21
	v_xor_b32_e32 v21, vcc_lo, v21
	v_ashrrev_i32_e32 v22, 31, v23
	v_cmp_gt_i64_e32 vcc, 0, v[8:9]
	v_not_b32_e32 v23, v9
	v_lshlrev_b32_e32 v9, 26, v16
	v_and_b32_e32 v19, v20, v19
	v_and_b32_e32 v18, v18, v21
	v_xor_b32_e32 v20, s3, v22
	v_xor_b32_e32 v21, s2, v22
	v_ashrrev_i32_e32 v22, 31, v23
	v_cmp_gt_i64_e64 s[2:3], 0, v[8:9]
	v_not_b32_e32 v23, v9
	v_lshlrev_b32_e32 v9, 25, v16
	v_and_b32_e32 v19, v19, v20
	v_and_b32_e32 v18, v18, v21
	v_xor_b32_e32 v20, vcc_hi, v22
	v_xor_b32_e32 v21, vcc_lo, v22
	v_ashrrev_i32_e32 v22, 31, v23
	v_cmp_gt_i64_e32 vcc, 0, v[8:9]
	v_not_b32_e32 v23, v9
	v_lshlrev_b32_e32 v9, 24, v16
	v_mul_u32_u24_e32 v17, 17, v16
	v_and_b32_e32 v16, v19, v20
	v_and_b32_e32 v18, v18, v21
	v_xor_b32_e32 v19, s3, v22
	v_xor_b32_e32 v20, s2, v22
	v_ashrrev_i32_e32 v21, 31, v23
	v_cmp_gt_i64_e64 s[2:3], 0, v[8:9]
	v_not_b32_e32 v9, v9
	v_and_b32_e32 v16, v16, v19
	v_and_b32_e32 v18, v18, v20
	v_xor_b32_e32 v19, vcc_hi, v21
	v_xor_b32_e32 v20, vcc_lo, v21
	v_ashrrev_i32_e32 v9, 31, v9
	v_and_b32_e32 v16, v16, v19
	v_and_b32_e32 v18, v18, v20
	v_mul_u32_u24_e32 v15, 5, v10
	s_movk_i32 s8, 0x8000
	v_lshlrev_b32_e32 v15, 2, v15
	ds_write2_b32 v15, v8, v8 offset0:16 offset1:17
	ds_write2_b32 v15, v8, v8 offset0:18 offset1:19
	ds_write_b32 v15, v8 offset:80
	s_waitcnt lgkmcnt(0)
	s_barrier
	s_waitcnt vmcnt(0)
	v_mad_u64_u32 v[12:13], s[10:11], v13, v12, v[10:11]
	v_lshrrev_b32_e32 v26, 6, v12
	v_xor_b32_e32 v12, s3, v9
	v_xor_b32_e32 v9, s2, v9
	v_and_b32_e32 v13, v16, v12
	v_and_b32_e32 v12, v18, v9
	v_mbcnt_lo_u32_b32 v9, v12, 0
	v_mbcnt_hi_u32_b32 v16, v13, v9
	v_cmp_eq_u32_e32 vcc, 0, v16
	v_cmp_ne_u64_e64 s[2:3], 0, v[12:13]
	v_add_lshl_u32 v19, v26, v17, 2
	s_and_b64 s[10:11], s[2:3], vcc
	; wave barrier
	s_and_saveexec_b64 s[2:3], s[10:11]
	s_cbranch_execz .LBB1954_31
; %bb.30:
	v_bcnt_u32_b32 v9, v12, 0
	v_bcnt_u32_b32 v9, v13, v9
	ds_write_b32 v19, v9 offset:64
.LBB1954_31:
	s_or_b64 exec, exec, s[2:3]
	v_xor_b32_sdwa v17, v2, s8 dst_sel:DWORD dst_unused:UNUSED_PAD src0_sel:WORD_1 src1_sel:DWORD
	v_lshrrev_b32_sdwa v2, s20, v17 dst_sel:DWORD dst_unused:UNUSED_PAD src0_sel:DWORD src1_sel:WORD_0
	v_and_b32_e32 v2, s31, v2
	v_mul_u32_u24_e32 v9, 17, v2
	v_add_lshl_u32 v20, v26, v9, 2
	v_and_b32_e32 v9, 1, v2
	v_add_co_u32_e32 v12, vcc, -1, v9
	v_addc_co_u32_e64 v13, s[2:3], 0, -1, vcc
	v_cmp_ne_u32_e32 vcc, 0, v9
	v_xor_b32_e32 v9, vcc_hi, v13
	v_and_b32_e32 v13, exec_hi, v9
	v_lshlrev_b32_e32 v9, 30, v2
	v_xor_b32_e32 v12, vcc_lo, v12
	v_cmp_gt_i64_e32 vcc, 0, v[8:9]
	v_not_b32_e32 v9, v9
	v_ashrrev_i32_e32 v9, 31, v9
	v_and_b32_e32 v12, exec_lo, v12
	v_xor_b32_e32 v21, vcc_hi, v9
	v_xor_b32_e32 v9, vcc_lo, v9
	v_and_b32_e32 v12, v12, v9
	v_lshlrev_b32_e32 v9, 29, v2
	v_cmp_gt_i64_e32 vcc, 0, v[8:9]
	v_not_b32_e32 v9, v9
	v_ashrrev_i32_e32 v9, 31, v9
	v_and_b32_e32 v13, v13, v21
	v_xor_b32_e32 v21, vcc_hi, v9
	v_xor_b32_e32 v9, vcc_lo, v9
	v_and_b32_e32 v12, v12, v9
	v_lshlrev_b32_e32 v9, 28, v2
	v_cmp_gt_i64_e32 vcc, 0, v[8:9]
	v_not_b32_e32 v9, v9
	v_ashrrev_i32_e32 v9, 31, v9
	v_and_b32_e32 v13, v13, v21
	;; [unrolled: 8-line block ×5, first 2 shown]
	v_xor_b32_e32 v21, vcc_hi, v9
	v_xor_b32_e32 v9, vcc_lo, v9
	v_and_b32_e32 v12, v12, v9
	v_lshlrev_b32_e32 v9, 24, v2
	v_not_b32_e32 v2, v9
	v_cmp_gt_i64_e32 vcc, 0, v[8:9]
	v_ashrrev_i32_e32 v2, 31, v2
	v_and_b32_e32 v13, v13, v21
	v_xor_b32_e32 v8, vcc_hi, v2
	v_xor_b32_e32 v2, vcc_lo, v2
	; wave barrier
	ds_read_b32 v18, v20 offset:64
	v_and_b32_e32 v9, v13, v8
	v_and_b32_e32 v8, v12, v2
	v_mbcnt_lo_u32_b32 v2, v8, 0
	v_mbcnt_hi_u32_b32 v21, v9, v2
	v_cmp_eq_u32_e32 vcc, 0, v21
	v_cmp_ne_u64_e64 s[2:3], 0, v[8:9]
	s_and_b64 s[8:9], s[2:3], vcc
	; wave barrier
	s_and_saveexec_b64 s[2:3], s[8:9]
	s_cbranch_execz .LBB1954_33
; %bb.32:
	v_bcnt_u32_b32 v2, v8, 0
	v_bcnt_u32_b32 v2, v9, v2
	s_waitcnt lgkmcnt(0)
	v_add_u32_e32 v2, v18, v2
	ds_write_b32 v20, v2 offset:64
.LBB1954_33:
	s_or_b64 exec, exec, s[2:3]
	v_xor_b32_e32 v22, 0xffff8000, v3
	v_lshrrev_b32_sdwa v2, s20, v22 dst_sel:DWORD dst_unused:UNUSED_PAD src0_sel:DWORD src1_sel:WORD_0
	v_and_b32_e32 v2, s31, v2
	v_and_b32_e32 v9, 1, v2
	v_add_co_u32_e32 v12, vcc, -1, v9
	v_addc_co_u32_e64 v13, s[2:3], 0, -1, vcc
	v_cmp_ne_u32_e32 vcc, 0, v9
	v_mul_u32_u24_e32 v8, 17, v2
	v_xor_b32_e32 v9, vcc_hi, v13
	v_add_lshl_u32 v24, v26, v8, 2
	v_mov_b32_e32 v8, 0
	v_and_b32_e32 v13, exec_hi, v9
	v_lshlrev_b32_e32 v9, 30, v2
	v_xor_b32_e32 v12, vcc_lo, v12
	v_cmp_gt_i64_e32 vcc, 0, v[8:9]
	v_not_b32_e32 v9, v9
	v_ashrrev_i32_e32 v9, 31, v9
	v_and_b32_e32 v12, exec_lo, v12
	v_xor_b32_e32 v25, vcc_hi, v9
	v_xor_b32_e32 v9, vcc_lo, v9
	v_and_b32_e32 v12, v12, v9
	v_lshlrev_b32_e32 v9, 29, v2
	v_cmp_gt_i64_e32 vcc, 0, v[8:9]
	v_not_b32_e32 v9, v9
	v_ashrrev_i32_e32 v9, 31, v9
	v_and_b32_e32 v13, v13, v25
	v_xor_b32_e32 v25, vcc_hi, v9
	v_xor_b32_e32 v9, vcc_lo, v9
	v_and_b32_e32 v12, v12, v9
	v_lshlrev_b32_e32 v9, 28, v2
	v_cmp_gt_i64_e32 vcc, 0, v[8:9]
	v_not_b32_e32 v9, v9
	v_ashrrev_i32_e32 v9, 31, v9
	v_and_b32_e32 v13, v13, v25
	;; [unrolled: 8-line block ×5, first 2 shown]
	v_xor_b32_e32 v25, vcc_hi, v9
	v_xor_b32_e32 v9, vcc_lo, v9
	v_and_b32_e32 v12, v12, v9
	v_lshlrev_b32_e32 v9, 24, v2
	v_not_b32_e32 v2, v9
	v_cmp_gt_i64_e32 vcc, 0, v[8:9]
	v_ashrrev_i32_e32 v2, 31, v2
	v_xor_b32_e32 v9, vcc_hi, v2
	v_xor_b32_e32 v2, vcc_lo, v2
	; wave barrier
	ds_read_b32 v23, v24 offset:64
	v_and_b32_e32 v13, v13, v25
	v_and_b32_e32 v12, v12, v2
	;; [unrolled: 1-line block ×3, first 2 shown]
	v_mbcnt_lo_u32_b32 v2, v12, 0
	v_mbcnt_hi_u32_b32 v25, v13, v2
	v_cmp_eq_u32_e32 vcc, 0, v25
	v_cmp_ne_u64_e64 s[2:3], 0, v[12:13]
	s_movk_i32 s8, 0x8000
	s_and_b64 s[10:11], s[2:3], vcc
	; wave barrier
	s_and_saveexec_b64 s[2:3], s[10:11]
	s_cbranch_execz .LBB1954_35
; %bb.34:
	v_bcnt_u32_b32 v2, v12, 0
	v_bcnt_u32_b32 v2, v13, v2
	s_waitcnt lgkmcnt(0)
	v_add_u32_e32 v2, v23, v2
	ds_write_b32 v24, v2 offset:64
.LBB1954_35:
	s_or_b64 exec, exec, s[2:3]
	v_xor_b32_sdwa v12, v3, s8 dst_sel:DWORD dst_unused:UNUSED_PAD src0_sel:WORD_1 src1_sel:DWORD
	v_lshrrev_b32_sdwa v2, s20, v12 dst_sel:DWORD dst_unused:UNUSED_PAD src0_sel:DWORD src1_sel:WORD_0
	v_and_b32_e32 v2, s31, v2
	v_mul_u32_u24_e32 v3, 17, v2
	v_add_lshl_u32 v27, v26, v3, 2
	v_and_b32_e32 v3, 1, v2
	v_add_co_u32_e32 v9, vcc, -1, v3
	v_addc_co_u32_e64 v28, s[2:3], 0, -1, vcc
	v_cmp_ne_u32_e32 vcc, 0, v3
	v_xor_b32_e32 v9, vcc_lo, v9
	v_xor_b32_e32 v3, vcc_hi, v28
	v_and_b32_e32 v28, exec_lo, v9
	v_lshlrev_b32_e32 v9, 30, v2
	v_cmp_gt_i64_e32 vcc, 0, v[8:9]
	v_not_b32_e32 v9, v9
	v_ashrrev_i32_e32 v9, 31, v9
	v_xor_b32_e32 v29, vcc_hi, v9
	v_xor_b32_e32 v9, vcc_lo, v9
	v_and_b32_e32 v28, v28, v9
	v_lshlrev_b32_e32 v9, 29, v2
	v_cmp_gt_i64_e32 vcc, 0, v[8:9]
	v_not_b32_e32 v9, v9
	v_and_b32_e32 v3, exec_hi, v3
	v_ashrrev_i32_e32 v9, 31, v9
	v_and_b32_e32 v3, v3, v29
	v_xor_b32_e32 v29, vcc_hi, v9
	v_xor_b32_e32 v9, vcc_lo, v9
	v_and_b32_e32 v28, v28, v9
	v_lshlrev_b32_e32 v9, 28, v2
	v_cmp_gt_i64_e32 vcc, 0, v[8:9]
	v_not_b32_e32 v9, v9
	v_ashrrev_i32_e32 v9, 31, v9
	v_and_b32_e32 v3, v3, v29
	v_xor_b32_e32 v29, vcc_hi, v9
	v_xor_b32_e32 v9, vcc_lo, v9
	v_and_b32_e32 v28, v28, v9
	v_lshlrev_b32_e32 v9, 27, v2
	v_cmp_gt_i64_e32 vcc, 0, v[8:9]
	v_not_b32_e32 v9, v9
	;; [unrolled: 8-line block ×4, first 2 shown]
	v_ashrrev_i32_e32 v9, 31, v9
	v_and_b32_e32 v3, v3, v29
	v_xor_b32_e32 v29, vcc_hi, v9
	v_xor_b32_e32 v9, vcc_lo, v9
	v_and_b32_e32 v28, v28, v9
	v_lshlrev_b32_e32 v9, 24, v2
	v_not_b32_e32 v2, v9
	v_cmp_gt_i64_e32 vcc, 0, v[8:9]
	v_ashrrev_i32_e32 v2, 31, v2
	v_xor_b32_e32 v8, vcc_hi, v2
	v_xor_b32_e32 v2, vcc_lo, v2
	; wave barrier
	ds_read_b32 v13, v27 offset:64
	v_and_b32_e32 v3, v3, v29
	v_and_b32_e32 v2, v28, v2
	v_and_b32_e32 v3, v3, v8
	v_mbcnt_lo_u32_b32 v8, v2, 0
	v_mbcnt_hi_u32_b32 v28, v3, v8
	v_cmp_eq_u32_e32 vcc, 0, v28
	v_cmp_ne_u64_e64 s[2:3], 0, v[2:3]
	s_and_b64 s[8:9], s[2:3], vcc
	; wave barrier
	s_and_saveexec_b64 s[2:3], s[8:9]
	s_cbranch_execz .LBB1954_37
; %bb.36:
	v_bcnt_u32_b32 v2, v2, 0
	v_bcnt_u32_b32 v2, v3, v2
	s_waitcnt lgkmcnt(0)
	v_add_u32_e32 v2, v13, v2
	ds_write_b32 v27, v2 offset:64
.LBB1954_37:
	s_or_b64 exec, exec, s[2:3]
	v_xor_b32_e32 v29, 0xffff8000, v4
	v_lshrrev_b32_sdwa v2, s20, v29 dst_sel:DWORD dst_unused:UNUSED_PAD src0_sel:DWORD src1_sel:WORD_0
	v_and_b32_e32 v8, s31, v2
	v_and_b32_e32 v3, 1, v8
	v_add_co_u32_e32 v9, vcc, -1, v3
	v_addc_co_u32_e64 v32, s[2:3], 0, -1, vcc
	v_cmp_ne_u32_e32 vcc, 0, v3
	v_mul_u32_u24_e32 v2, 17, v8
	v_xor_b32_e32 v3, vcc_hi, v32
	v_add_lshl_u32 v31, v26, v2, 2
	v_mov_b32_e32 v2, 0
	v_and_b32_e32 v32, exec_hi, v3
	v_lshlrev_b32_e32 v3, 30, v8
	v_xor_b32_e32 v9, vcc_lo, v9
	v_cmp_gt_i64_e32 vcc, 0, v[2:3]
	v_not_b32_e32 v3, v3
	v_ashrrev_i32_e32 v3, 31, v3
	v_and_b32_e32 v9, exec_lo, v9
	v_xor_b32_e32 v33, vcc_hi, v3
	v_xor_b32_e32 v3, vcc_lo, v3
	v_and_b32_e32 v9, v9, v3
	v_lshlrev_b32_e32 v3, 29, v8
	v_cmp_gt_i64_e32 vcc, 0, v[2:3]
	v_not_b32_e32 v3, v3
	v_ashrrev_i32_e32 v3, 31, v3
	v_and_b32_e32 v32, v32, v33
	v_xor_b32_e32 v33, vcc_hi, v3
	v_xor_b32_e32 v3, vcc_lo, v3
	v_and_b32_e32 v9, v9, v3
	v_lshlrev_b32_e32 v3, 28, v8
	v_cmp_gt_i64_e32 vcc, 0, v[2:3]
	v_not_b32_e32 v3, v3
	v_ashrrev_i32_e32 v3, 31, v3
	v_and_b32_e32 v32, v32, v33
	;; [unrolled: 8-line block ×5, first 2 shown]
	v_xor_b32_e32 v33, vcc_hi, v3
	v_xor_b32_e32 v3, vcc_lo, v3
	v_and_b32_e32 v32, v32, v33
	v_and_b32_e32 v33, v9, v3
	v_lshlrev_b32_e32 v3, 24, v8
	v_cmp_gt_i64_e32 vcc, 0, v[2:3]
	v_not_b32_e32 v3, v3
	v_ashrrev_i32_e32 v3, 31, v3
	v_xor_b32_e32 v8, vcc_hi, v3
	v_xor_b32_e32 v3, vcc_lo, v3
	; wave barrier
	ds_read_b32 v30, v31 offset:64
	v_and_b32_e32 v9, v32, v8
	v_and_b32_e32 v8, v33, v3
	v_mbcnt_lo_u32_b32 v3, v8, 0
	v_mbcnt_hi_u32_b32 v33, v9, v3
	v_cmp_eq_u32_e32 vcc, 0, v33
	v_cmp_ne_u64_e64 s[2:3], 0, v[8:9]
	s_movk_i32 s8, 0x8000
	s_and_b64 s[10:11], s[2:3], vcc
	; wave barrier
	s_and_saveexec_b64 s[2:3], s[10:11]
	s_cbranch_execz .LBB1954_39
; %bb.38:
	v_bcnt_u32_b32 v3, v8, 0
	v_bcnt_u32_b32 v3, v9, v3
	s_waitcnt lgkmcnt(0)
	v_add_u32_e32 v3, v30, v3
	ds_write_b32 v31, v3 offset:64
.LBB1954_39:
	s_or_b64 exec, exec, s[2:3]
	v_xor_b32_sdwa v32, v4, s8 dst_sel:DWORD dst_unused:UNUSED_PAD src0_sel:WORD_1 src1_sel:DWORD
	v_lshrrev_b32_sdwa v3, s20, v32 dst_sel:DWORD dst_unused:UNUSED_PAD src0_sel:DWORD src1_sel:WORD_0
	v_and_b32_e32 v4, s31, v3
	v_mul_u32_u24_e32 v3, 17, v4
	v_add_lshl_u32 v35, v26, v3, 2
	v_and_b32_e32 v3, 1, v4
	v_add_co_u32_e32 v8, vcc, -1, v3
	v_addc_co_u32_e64 v9, s[2:3], 0, -1, vcc
	v_cmp_ne_u32_e32 vcc, 0, v3
	v_xor_b32_e32 v3, vcc_hi, v9
	v_and_b32_e32 v9, exec_hi, v3
	v_lshlrev_b32_e32 v3, 30, v4
	v_xor_b32_e32 v8, vcc_lo, v8
	v_cmp_gt_i64_e32 vcc, 0, v[2:3]
	v_not_b32_e32 v3, v3
	v_ashrrev_i32_e32 v3, 31, v3
	v_and_b32_e32 v8, exec_lo, v8
	v_xor_b32_e32 v36, vcc_hi, v3
	v_xor_b32_e32 v3, vcc_lo, v3
	v_and_b32_e32 v8, v8, v3
	v_lshlrev_b32_e32 v3, 29, v4
	v_cmp_gt_i64_e32 vcc, 0, v[2:3]
	v_not_b32_e32 v3, v3
	v_ashrrev_i32_e32 v3, 31, v3
	v_and_b32_e32 v9, v9, v36
	v_xor_b32_e32 v36, vcc_hi, v3
	v_xor_b32_e32 v3, vcc_lo, v3
	v_and_b32_e32 v8, v8, v3
	v_lshlrev_b32_e32 v3, 28, v4
	v_cmp_gt_i64_e32 vcc, 0, v[2:3]
	v_not_b32_e32 v3, v3
	v_ashrrev_i32_e32 v3, 31, v3
	v_and_b32_e32 v9, v9, v36
	v_xor_b32_e32 v36, vcc_hi, v3
	v_xor_b32_e32 v3, vcc_lo, v3
	v_and_b32_e32 v8, v8, v3
	v_lshlrev_b32_e32 v3, 27, v4
	v_cmp_gt_i64_e32 vcc, 0, v[2:3]
	v_not_b32_e32 v3, v3
	v_ashrrev_i32_e32 v3, 31, v3
	v_and_b32_e32 v9, v9, v36
	v_xor_b32_e32 v36, vcc_hi, v3
	v_xor_b32_e32 v3, vcc_lo, v3
	v_and_b32_e32 v8, v8, v3
	v_lshlrev_b32_e32 v3, 26, v4
	v_cmp_gt_i64_e32 vcc, 0, v[2:3]
	v_not_b32_e32 v3, v3
	v_ashrrev_i32_e32 v3, 31, v3
	v_and_b32_e32 v9, v9, v36
	v_xor_b32_e32 v36, vcc_hi, v3
	v_xor_b32_e32 v3, vcc_lo, v3
	v_and_b32_e32 v8, v8, v3
	v_lshlrev_b32_e32 v3, 25, v4
	v_cmp_gt_i64_e32 vcc, 0, v[2:3]
	v_not_b32_e32 v3, v3
	v_ashrrev_i32_e32 v3, 31, v3
	v_and_b32_e32 v9, v9, v36
	v_xor_b32_e32 v36, vcc_hi, v3
	v_xor_b32_e32 v3, vcc_lo, v3
	v_and_b32_e32 v8, v8, v3
	v_lshlrev_b32_e32 v3, 24, v4
	v_cmp_gt_i64_e32 vcc, 0, v[2:3]
	v_not_b32_e32 v2, v3
	v_ashrrev_i32_e32 v2, 31, v2
	v_xor_b32_e32 v3, vcc_hi, v2
	v_xor_b32_e32 v2, vcc_lo, v2
	; wave barrier
	ds_read_b32 v34, v35 offset:64
	v_and_b32_e32 v9, v9, v36
	v_and_b32_e32 v2, v8, v2
	;; [unrolled: 1-line block ×3, first 2 shown]
	v_mbcnt_lo_u32_b32 v4, v2, 0
	v_mbcnt_hi_u32_b32 v37, v3, v4
	v_cmp_eq_u32_e32 vcc, 0, v37
	v_cmp_ne_u64_e64 s[2:3], 0, v[2:3]
	s_and_b64 s[8:9], s[2:3], vcc
	; wave barrier
	s_and_saveexec_b64 s[2:3], s[8:9]
	s_cbranch_execz .LBB1954_41
; %bb.40:
	v_bcnt_u32_b32 v2, v2, 0
	v_bcnt_u32_b32 v2, v3, v2
	s_waitcnt lgkmcnt(0)
	v_add_u32_e32 v2, v34, v2
	ds_write_b32 v35, v2 offset:64
.LBB1954_41:
	s_or_b64 exec, exec, s[2:3]
	v_xor_b32_e32 v36, 0xffff8000, v5
	v_lshrrev_b32_sdwa v2, s20, v36 dst_sel:DWORD dst_unused:UNUSED_PAD src0_sel:DWORD src1_sel:WORD_0
	v_and_b32_e32 v4, s31, v2
	v_and_b32_e32 v3, 1, v4
	v_add_co_u32_e32 v8, vcc, -1, v3
	v_addc_co_u32_e64 v9, s[2:3], 0, -1, vcc
	v_cmp_ne_u32_e32 vcc, 0, v3
	v_mul_u32_u24_e32 v2, 17, v4
	v_xor_b32_e32 v3, vcc_hi, v9
	v_add_lshl_u32 v39, v26, v2, 2
	v_mov_b32_e32 v2, 0
	v_and_b32_e32 v9, exec_hi, v3
	v_lshlrev_b32_e32 v3, 30, v4
	v_xor_b32_e32 v8, vcc_lo, v8
	v_cmp_gt_i64_e32 vcc, 0, v[2:3]
	v_not_b32_e32 v3, v3
	v_ashrrev_i32_e32 v3, 31, v3
	v_and_b32_e32 v8, exec_lo, v8
	v_xor_b32_e32 v40, vcc_hi, v3
	v_xor_b32_e32 v3, vcc_lo, v3
	v_and_b32_e32 v8, v8, v3
	v_lshlrev_b32_e32 v3, 29, v4
	v_cmp_gt_i64_e32 vcc, 0, v[2:3]
	v_not_b32_e32 v3, v3
	v_ashrrev_i32_e32 v3, 31, v3
	v_and_b32_e32 v9, v9, v40
	v_xor_b32_e32 v40, vcc_hi, v3
	v_xor_b32_e32 v3, vcc_lo, v3
	v_and_b32_e32 v8, v8, v3
	v_lshlrev_b32_e32 v3, 28, v4
	v_cmp_gt_i64_e32 vcc, 0, v[2:3]
	v_not_b32_e32 v3, v3
	v_ashrrev_i32_e32 v3, 31, v3
	v_and_b32_e32 v9, v9, v40
	;; [unrolled: 8-line block ×5, first 2 shown]
	v_xor_b32_e32 v40, vcc_hi, v3
	v_xor_b32_e32 v3, vcc_lo, v3
	v_and_b32_e32 v8, v8, v3
	v_lshlrev_b32_e32 v3, 24, v4
	v_cmp_gt_i64_e32 vcc, 0, v[2:3]
	v_not_b32_e32 v3, v3
	v_ashrrev_i32_e32 v3, 31, v3
	v_xor_b32_e32 v4, vcc_hi, v3
	v_xor_b32_e32 v3, vcc_lo, v3
	; wave barrier
	ds_read_b32 v38, v39 offset:64
	v_and_b32_e32 v9, v9, v40
	v_and_b32_e32 v8, v8, v3
	v_and_b32_e32 v9, v9, v4
	v_mbcnt_lo_u32_b32 v3, v8, 0
	v_mbcnt_hi_u32_b32 v40, v9, v3
	v_cmp_eq_u32_e32 vcc, 0, v40
	v_cmp_ne_u64_e64 s[2:3], 0, v[8:9]
	s_movk_i32 s8, 0x8000
	s_and_b64 s[10:11], s[2:3], vcc
	; wave barrier
	s_and_saveexec_b64 s[2:3], s[10:11]
	s_cbranch_execz .LBB1954_43
; %bb.42:
	v_bcnt_u32_b32 v3, v8, 0
	v_bcnt_u32_b32 v3, v9, v3
	s_waitcnt lgkmcnt(0)
	v_add_u32_e32 v3, v38, v3
	ds_write_b32 v39, v3 offset:64
.LBB1954_43:
	s_or_b64 exec, exec, s[2:3]
	v_xor_b32_sdwa v8, v5, s8 dst_sel:DWORD dst_unused:UNUSED_PAD src0_sel:WORD_1 src1_sel:DWORD
	v_lshrrev_b32_sdwa v3, s20, v8 dst_sel:DWORD dst_unused:UNUSED_PAD src0_sel:DWORD src1_sel:WORD_0
	v_and_b32_e32 v4, s31, v3
	v_mul_u32_u24_e32 v3, 17, v4
	v_add_lshl_u32 v41, v26, v3, 2
	v_and_b32_e32 v3, 1, v4
	v_add_co_u32_e32 v5, vcc, -1, v3
	v_addc_co_u32_e64 v42, s[2:3], 0, -1, vcc
	v_cmp_ne_u32_e32 vcc, 0, v3
	v_xor_b32_e32 v3, vcc_hi, v42
	v_and_b32_e32 v42, exec_hi, v3
	v_lshlrev_b32_e32 v3, 30, v4
	v_xor_b32_e32 v5, vcc_lo, v5
	v_cmp_gt_i64_e32 vcc, 0, v[2:3]
	v_not_b32_e32 v3, v3
	v_ashrrev_i32_e32 v3, 31, v3
	v_and_b32_e32 v5, exec_lo, v5
	v_xor_b32_e32 v43, vcc_hi, v3
	v_xor_b32_e32 v3, vcc_lo, v3
	v_and_b32_e32 v5, v5, v3
	v_lshlrev_b32_e32 v3, 29, v4
	v_cmp_gt_i64_e32 vcc, 0, v[2:3]
	v_not_b32_e32 v3, v3
	v_ashrrev_i32_e32 v3, 31, v3
	v_and_b32_e32 v42, v42, v43
	v_xor_b32_e32 v43, vcc_hi, v3
	v_xor_b32_e32 v3, vcc_lo, v3
	v_and_b32_e32 v5, v5, v3
	v_lshlrev_b32_e32 v3, 28, v4
	v_cmp_gt_i64_e32 vcc, 0, v[2:3]
	v_not_b32_e32 v3, v3
	v_ashrrev_i32_e32 v3, 31, v3
	v_and_b32_e32 v42, v42, v43
	;; [unrolled: 8-line block ×5, first 2 shown]
	v_xor_b32_e32 v43, vcc_hi, v3
	v_xor_b32_e32 v3, vcc_lo, v3
	v_and_b32_e32 v5, v5, v3
	v_lshlrev_b32_e32 v3, 24, v4
	v_cmp_gt_i64_e32 vcc, 0, v[2:3]
	v_not_b32_e32 v2, v3
	v_ashrrev_i32_e32 v2, 31, v2
	v_xor_b32_e32 v3, vcc_hi, v2
	v_xor_b32_e32 v2, vcc_lo, v2
	; wave barrier
	ds_read_b32 v9, v41 offset:64
	v_and_b32_e32 v42, v42, v43
	v_and_b32_e32 v2, v5, v2
	;; [unrolled: 1-line block ×3, first 2 shown]
	v_mbcnt_lo_u32_b32 v4, v2, 0
	v_mbcnt_hi_u32_b32 v43, v3, v4
	v_cmp_eq_u32_e32 vcc, 0, v43
	v_cmp_ne_u64_e64 s[2:3], 0, v[2:3]
	s_and_b64 s[8:9], s[2:3], vcc
	; wave barrier
	s_and_saveexec_b64 s[2:3], s[8:9]
	s_cbranch_execz .LBB1954_45
; %bb.44:
	v_bcnt_u32_b32 v2, v2, 0
	v_bcnt_u32_b32 v2, v3, v2
	s_waitcnt lgkmcnt(0)
	v_add_u32_e32 v2, v9, v2
	ds_write_b32 v41, v2 offset:64
.LBB1954_45:
	s_or_b64 exec, exec, s[2:3]
	v_xor_b32_e32 v42, 0xffff8000, v6
	v_lshrrev_b32_sdwa v2, s20, v42 dst_sel:DWORD dst_unused:UNUSED_PAD src0_sel:DWORD src1_sel:WORD_0
	v_and_b32_e32 v4, s31, v2
	v_and_b32_e32 v3, 1, v4
	v_add_co_u32_e32 v5, vcc, -1, v3
	v_addc_co_u32_e64 v46, s[2:3], 0, -1, vcc
	v_cmp_ne_u32_e32 vcc, 0, v3
	v_mul_u32_u24_e32 v2, 17, v4
	v_xor_b32_e32 v3, vcc_hi, v46
	v_add_lshl_u32 v45, v26, v2, 2
	v_mov_b32_e32 v2, 0
	v_and_b32_e32 v46, exec_hi, v3
	v_lshlrev_b32_e32 v3, 30, v4
	v_xor_b32_e32 v5, vcc_lo, v5
	v_cmp_gt_i64_e32 vcc, 0, v[2:3]
	v_not_b32_e32 v3, v3
	v_ashrrev_i32_e32 v3, 31, v3
	v_and_b32_e32 v5, exec_lo, v5
	v_xor_b32_e32 v47, vcc_hi, v3
	v_xor_b32_e32 v3, vcc_lo, v3
	v_and_b32_e32 v5, v5, v3
	v_lshlrev_b32_e32 v3, 29, v4
	v_cmp_gt_i64_e32 vcc, 0, v[2:3]
	v_not_b32_e32 v3, v3
	v_ashrrev_i32_e32 v3, 31, v3
	v_and_b32_e32 v46, v46, v47
	v_xor_b32_e32 v47, vcc_hi, v3
	v_xor_b32_e32 v3, vcc_lo, v3
	v_and_b32_e32 v5, v5, v3
	v_lshlrev_b32_e32 v3, 28, v4
	v_cmp_gt_i64_e32 vcc, 0, v[2:3]
	v_not_b32_e32 v3, v3
	v_ashrrev_i32_e32 v3, 31, v3
	v_and_b32_e32 v46, v46, v47
	;; [unrolled: 8-line block ×5, first 2 shown]
	v_xor_b32_e32 v47, vcc_hi, v3
	v_xor_b32_e32 v3, vcc_lo, v3
	v_and_b32_e32 v46, v46, v47
	v_and_b32_e32 v47, v5, v3
	v_lshlrev_b32_e32 v3, 24, v4
	v_cmp_gt_i64_e32 vcc, 0, v[2:3]
	v_not_b32_e32 v3, v3
	v_ashrrev_i32_e32 v3, 31, v3
	v_xor_b32_e32 v4, vcc_hi, v3
	v_xor_b32_e32 v3, vcc_lo, v3
	; wave barrier
	ds_read_b32 v44, v45 offset:64
	v_and_b32_e32 v5, v46, v4
	v_and_b32_e32 v4, v47, v3
	v_mbcnt_lo_u32_b32 v3, v4, 0
	v_mbcnt_hi_u32_b32 v46, v5, v3
	v_cmp_eq_u32_e32 vcc, 0, v46
	v_cmp_ne_u64_e64 s[2:3], 0, v[4:5]
	s_movk_i32 s8, 0x8000
	s_and_b64 s[10:11], s[2:3], vcc
	; wave barrier
	s_and_saveexec_b64 s[2:3], s[10:11]
	s_cbranch_execz .LBB1954_47
; %bb.46:
	v_bcnt_u32_b32 v3, v4, 0
	v_bcnt_u32_b32 v3, v5, v3
	s_waitcnt lgkmcnt(0)
	v_add_u32_e32 v3, v44, v3
	ds_write_b32 v45, v3 offset:64
.LBB1954_47:
	s_or_b64 exec, exec, s[2:3]
	v_xor_b32_sdwa v6, v6, s8 dst_sel:DWORD dst_unused:UNUSED_PAD src0_sel:WORD_1 src1_sel:DWORD
	v_lshrrev_b32_sdwa v3, s20, v6 dst_sel:DWORD dst_unused:UNUSED_PAD src0_sel:DWORD src1_sel:WORD_0
	v_and_b32_e32 v4, s31, v3
	v_mul_u32_u24_e32 v3, 17, v4
	v_add_lshl_u32 v48, v26, v3, 2
	v_and_b32_e32 v3, 1, v4
	v_add_co_u32_e32 v5, vcc, -1, v3
	v_addc_co_u32_e64 v49, s[2:3], 0, -1, vcc
	v_cmp_ne_u32_e32 vcc, 0, v3
	v_xor_b32_e32 v3, vcc_hi, v49
	v_and_b32_e32 v49, exec_hi, v3
	v_lshlrev_b32_e32 v3, 30, v4
	v_xor_b32_e32 v5, vcc_lo, v5
	v_cmp_gt_i64_e32 vcc, 0, v[2:3]
	v_not_b32_e32 v3, v3
	v_ashrrev_i32_e32 v3, 31, v3
	v_and_b32_e32 v5, exec_lo, v5
	v_xor_b32_e32 v50, vcc_hi, v3
	v_xor_b32_e32 v3, vcc_lo, v3
	v_and_b32_e32 v5, v5, v3
	v_lshlrev_b32_e32 v3, 29, v4
	v_cmp_gt_i64_e32 vcc, 0, v[2:3]
	v_not_b32_e32 v3, v3
	v_ashrrev_i32_e32 v3, 31, v3
	v_and_b32_e32 v49, v49, v50
	v_xor_b32_e32 v50, vcc_hi, v3
	v_xor_b32_e32 v3, vcc_lo, v3
	v_and_b32_e32 v5, v5, v3
	v_lshlrev_b32_e32 v3, 28, v4
	v_cmp_gt_i64_e32 vcc, 0, v[2:3]
	v_not_b32_e32 v3, v3
	v_ashrrev_i32_e32 v3, 31, v3
	v_and_b32_e32 v49, v49, v50
	;; [unrolled: 8-line block ×5, first 2 shown]
	v_xor_b32_e32 v50, vcc_hi, v3
	v_xor_b32_e32 v3, vcc_lo, v3
	v_and_b32_e32 v5, v5, v3
	v_lshlrev_b32_e32 v3, 24, v4
	v_cmp_gt_i64_e32 vcc, 0, v[2:3]
	v_not_b32_e32 v2, v3
	v_ashrrev_i32_e32 v2, 31, v2
	v_xor_b32_e32 v3, vcc_hi, v2
	v_xor_b32_e32 v2, vcc_lo, v2
	; wave barrier
	ds_read_b32 v47, v48 offset:64
	v_and_b32_e32 v49, v49, v50
	v_and_b32_e32 v2, v5, v2
	v_and_b32_e32 v3, v49, v3
	v_mbcnt_lo_u32_b32 v4, v2, 0
	v_mbcnt_hi_u32_b32 v50, v3, v4
	v_cmp_eq_u32_e32 vcc, 0, v50
	v_cmp_ne_u64_e64 s[2:3], 0, v[2:3]
	s_and_b64 s[8:9], s[2:3], vcc
	; wave barrier
	s_and_saveexec_b64 s[2:3], s[8:9]
	s_cbranch_execz .LBB1954_49
; %bb.48:
	v_bcnt_u32_b32 v2, v2, 0
	v_bcnt_u32_b32 v2, v3, v2
	s_waitcnt lgkmcnt(0)
	v_add_u32_e32 v2, v47, v2
	ds_write_b32 v48, v2 offset:64
.LBB1954_49:
	s_or_b64 exec, exec, s[2:3]
	v_xor_b32_e32 v49, 0xffff8000, v7
	v_lshrrev_b32_sdwa v2, s20, v49 dst_sel:DWORD dst_unused:UNUSED_PAD src0_sel:DWORD src1_sel:WORD_0
	v_and_b32_e32 v4, s31, v2
	v_and_b32_e32 v3, 1, v4
	v_add_co_u32_e32 v5, vcc, -1, v3
	v_addc_co_u32_e64 v53, s[2:3], 0, -1, vcc
	v_cmp_ne_u32_e32 vcc, 0, v3
	v_mul_u32_u24_e32 v2, 17, v4
	v_xor_b32_e32 v3, vcc_hi, v53
	v_add_lshl_u32 v52, v26, v2, 2
	v_mov_b32_e32 v2, 0
	v_and_b32_e32 v53, exec_hi, v3
	v_lshlrev_b32_e32 v3, 30, v4
	v_xor_b32_e32 v5, vcc_lo, v5
	v_cmp_gt_i64_e32 vcc, 0, v[2:3]
	v_not_b32_e32 v3, v3
	v_ashrrev_i32_e32 v3, 31, v3
	v_and_b32_e32 v5, exec_lo, v5
	v_xor_b32_e32 v54, vcc_hi, v3
	v_xor_b32_e32 v3, vcc_lo, v3
	v_and_b32_e32 v5, v5, v3
	v_lshlrev_b32_e32 v3, 29, v4
	v_cmp_gt_i64_e32 vcc, 0, v[2:3]
	v_not_b32_e32 v3, v3
	v_ashrrev_i32_e32 v3, 31, v3
	v_and_b32_e32 v53, v53, v54
	v_xor_b32_e32 v54, vcc_hi, v3
	v_xor_b32_e32 v3, vcc_lo, v3
	v_and_b32_e32 v5, v5, v3
	v_lshlrev_b32_e32 v3, 28, v4
	v_cmp_gt_i64_e32 vcc, 0, v[2:3]
	v_not_b32_e32 v3, v3
	v_ashrrev_i32_e32 v3, 31, v3
	v_and_b32_e32 v53, v53, v54
	;; [unrolled: 8-line block ×5, first 2 shown]
	v_xor_b32_e32 v54, vcc_hi, v3
	v_xor_b32_e32 v3, vcc_lo, v3
	v_and_b32_e32 v53, v53, v54
	v_and_b32_e32 v54, v5, v3
	v_lshlrev_b32_e32 v3, 24, v4
	v_cmp_gt_i64_e32 vcc, 0, v[2:3]
	v_not_b32_e32 v3, v3
	v_ashrrev_i32_e32 v3, 31, v3
	v_xor_b32_e32 v4, vcc_hi, v3
	v_xor_b32_e32 v3, vcc_lo, v3
	; wave barrier
	ds_read_b32 v51, v52 offset:64
	v_and_b32_e32 v5, v53, v4
	v_and_b32_e32 v4, v54, v3
	v_mbcnt_lo_u32_b32 v3, v4, 0
	v_mbcnt_hi_u32_b32 v53, v5, v3
	v_cmp_eq_u32_e32 vcc, 0, v53
	v_cmp_ne_u64_e64 s[2:3], 0, v[4:5]
	s_movk_i32 s8, 0x8000
	s_and_b64 s[10:11], s[2:3], vcc
	; wave barrier
	s_and_saveexec_b64 s[2:3], s[10:11]
	s_cbranch_execz .LBB1954_51
; %bb.50:
	v_bcnt_u32_b32 v3, v4, 0
	v_bcnt_u32_b32 v3, v5, v3
	s_waitcnt lgkmcnt(0)
	v_add_u32_e32 v3, v51, v3
	ds_write_b32 v52, v3 offset:64
.LBB1954_51:
	s_or_b64 exec, exec, s[2:3]
	v_xor_b32_sdwa v7, v7, s8 dst_sel:DWORD dst_unused:UNUSED_PAD src0_sel:WORD_1 src1_sel:DWORD
	v_lshrrev_b32_sdwa v3, s20, v7 dst_sel:DWORD dst_unused:UNUSED_PAD src0_sel:DWORD src1_sel:WORD_0
	v_and_b32_e32 v4, s31, v3
	v_mul_u32_u24_e32 v3, 17, v4
	v_add_lshl_u32 v54, v26, v3, 2
	v_and_b32_e32 v3, 1, v4
	v_add_co_u32_e32 v5, vcc, -1, v3
	v_addc_co_u32_e64 v56, s[2:3], 0, -1, vcc
	v_cmp_ne_u32_e32 vcc, 0, v3
	v_xor_b32_e32 v3, vcc_hi, v56
	v_and_b32_e32 v56, exec_hi, v3
	v_lshlrev_b32_e32 v3, 30, v4
	v_xor_b32_e32 v5, vcc_lo, v5
	v_cmp_gt_i64_e32 vcc, 0, v[2:3]
	v_not_b32_e32 v3, v3
	v_ashrrev_i32_e32 v3, 31, v3
	v_and_b32_e32 v5, exec_lo, v5
	v_xor_b32_e32 v57, vcc_hi, v3
	v_xor_b32_e32 v3, vcc_lo, v3
	v_and_b32_e32 v5, v5, v3
	v_lshlrev_b32_e32 v3, 29, v4
	v_cmp_gt_i64_e32 vcc, 0, v[2:3]
	v_not_b32_e32 v3, v3
	v_ashrrev_i32_e32 v3, 31, v3
	v_and_b32_e32 v56, v56, v57
	v_xor_b32_e32 v57, vcc_hi, v3
	v_xor_b32_e32 v3, vcc_lo, v3
	v_and_b32_e32 v5, v5, v3
	v_lshlrev_b32_e32 v3, 28, v4
	v_cmp_gt_i64_e32 vcc, 0, v[2:3]
	v_not_b32_e32 v3, v3
	v_ashrrev_i32_e32 v3, 31, v3
	v_and_b32_e32 v56, v56, v57
	;; [unrolled: 8-line block ×5, first 2 shown]
	v_xor_b32_e32 v57, vcc_hi, v3
	v_xor_b32_e32 v3, vcc_lo, v3
	v_and_b32_e32 v5, v5, v3
	v_lshlrev_b32_e32 v3, 24, v4
	v_cmp_gt_i64_e32 vcc, 0, v[2:3]
	v_not_b32_e32 v2, v3
	v_ashrrev_i32_e32 v2, 31, v2
	v_xor_b32_e32 v3, vcc_hi, v2
	v_xor_b32_e32 v2, vcc_lo, v2
	; wave barrier
	ds_read_b32 v26, v54 offset:64
	v_and_b32_e32 v56, v56, v57
	v_and_b32_e32 v2, v5, v2
	;; [unrolled: 1-line block ×3, first 2 shown]
	v_mbcnt_lo_u32_b32 v4, v2, 0
	v_mbcnt_hi_u32_b32 v56, v3, v4
	v_cmp_eq_u32_e32 vcc, 0, v56
	v_cmp_ne_u64_e64 s[2:3], 0, v[2:3]
	v_add_u32_e32 v55, 64, v15
	s_and_b64 s[8:9], s[2:3], vcc
	; wave barrier
	s_and_saveexec_b64 s[2:3], s[8:9]
	s_cbranch_execz .LBB1954_53
; %bb.52:
	v_bcnt_u32_b32 v2, v2, 0
	v_bcnt_u32_b32 v2, v3, v2
	s_waitcnt lgkmcnt(0)
	v_add_u32_e32 v2, v26, v2
	ds_write_b32 v54, v2 offset:64
.LBB1954_53:
	s_or_b64 exec, exec, s[2:3]
	; wave barrier
	s_waitcnt lgkmcnt(0)
	s_barrier
	ds_read2_b32 v[4:5], v15 offset0:16 offset1:17
	ds_read2_b32 v[2:3], v55 offset0:2 offset1:3
	ds_read_b32 v57, v55 offset:16
	v_cmp_lt_u32_e64 s[12:13], 31, v11
	s_waitcnt lgkmcnt(1)
	v_add3_u32 v58, v5, v4, v2
	s_waitcnt lgkmcnt(0)
	v_add3_u32 v57, v58, v3, v57
	v_and_b32_e32 v58, 15, v11
	v_cmp_eq_u32_e32 vcc, 0, v58
	v_mov_b32_dpp v59, v57 row_shr:1 row_mask:0xf bank_mask:0xf
	v_cndmask_b32_e64 v59, v59, 0, vcc
	v_add_u32_e32 v57, v59, v57
	v_cmp_lt_u32_e64 s[2:3], 1, v58
	v_cmp_lt_u32_e64 s[10:11], 3, v58
	v_mov_b32_dpp v59, v57 row_shr:2 row_mask:0xf bank_mask:0xf
	v_cndmask_b32_e64 v59, 0, v59, s[2:3]
	v_add_u32_e32 v57, v57, v59
	v_cmp_lt_u32_e64 s[8:9], 7, v58
	s_nop 0
	v_mov_b32_dpp v59, v57 row_shr:4 row_mask:0xf bank_mask:0xf
	v_cndmask_b32_e64 v59, 0, v59, s[10:11]
	v_add_u32_e32 v57, v57, v59
	s_nop 1
	v_mov_b32_dpp v59, v57 row_shr:8 row_mask:0xf bank_mask:0xf
	v_cndmask_b32_e64 v58, 0, v59, s[8:9]
	v_add_u32_e32 v57, v57, v58
	v_bfe_i32 v59, v11, 4, 1
	s_nop 0
	v_mov_b32_dpp v58, v57 row_bcast:15 row_mask:0xf bank_mask:0xf
	v_and_b32_e32 v58, v59, v58
	v_add_u32_e32 v57, v57, v58
	v_and_b32_e32 v59, 63, v10
	s_nop 0
	v_mov_b32_dpp v58, v57 row_bcast:31 row_mask:0xf bank_mask:0xf
	v_cndmask_b32_e64 v58, 0, v58, s[12:13]
	v_add_u32_e32 v57, v57, v58
	v_lshrrev_b32_e32 v58, 6, v10
	v_cmp_eq_u32_e64 s[12:13], 63, v59
	s_and_saveexec_b64 s[22:23], s[12:13]
	s_cbranch_execz .LBB1954_55
; %bb.54:
	v_lshlrev_b32_e32 v59, 2, v58
	ds_write_b32 v59, v57
.LBB1954_55:
	s_or_b64 exec, exec, s[22:23]
	v_cmp_gt_u32_e64 s[12:13], 16, v10
	s_waitcnt lgkmcnt(0)
	s_barrier
	s_and_saveexec_b64 s[22:23], s[12:13]
	s_cbranch_execz .LBB1954_57
; %bb.56:
	v_lshlrev_b32_e32 v59, 2, v10
	ds_read_b32 v60, v59
	s_waitcnt lgkmcnt(0)
	s_nop 0
	v_mov_b32_dpp v61, v60 row_shr:1 row_mask:0xf bank_mask:0xf
	v_cndmask_b32_e64 v61, v61, 0, vcc
	v_add_u32_e32 v60, v61, v60
	s_nop 1
	v_mov_b32_dpp v61, v60 row_shr:2 row_mask:0xf bank_mask:0xf
	v_cndmask_b32_e64 v61, 0, v61, s[2:3]
	v_add_u32_e32 v60, v60, v61
	s_nop 1
	v_mov_b32_dpp v61, v60 row_shr:4 row_mask:0xf bank_mask:0xf
	v_cndmask_b32_e64 v61, 0, v61, s[10:11]
	;; [unrolled: 4-line block ×3, first 2 shown]
	v_add_u32_e32 v60, v60, v61
	ds_write_b32 v59, v60
.LBB1954_57:
	s_or_b64 exec, exec, s[22:23]
	v_cmp_lt_u32_e32 vcc, 63, v10
	v_mov_b32_e32 v59, 0
	s_waitcnt lgkmcnt(0)
	s_barrier
	s_and_saveexec_b64 s[2:3], vcc
	s_cbranch_execz .LBB1954_59
; %bb.58:
	v_lshl_add_u32 v58, v58, 2, -4
	ds_read_b32 v59, v58
.LBB1954_59:
	s_or_b64 exec, exec, s[2:3]
	v_add_u32_e32 v58, -1, v11
	v_and_b32_e32 v60, 64, v11
	v_cmp_lt_i32_e32 vcc, v58, v60
	v_cndmask_b32_e32 v58, v58, v11, vcc
	s_waitcnt lgkmcnt(0)
	v_add_u32_e32 v57, v59, v57
	v_lshlrev_b32_e32 v58, 2, v58
	ds_bpermute_b32 v57, v58, v57
	v_cmp_eq_u32_e32 vcc, 0, v11
	s_movk_i32 s2, 0x100
	s_waitcnt lgkmcnt(0)
	v_cndmask_b32_e32 v11, v57, v59, vcc
	v_cndmask_b32_e64 v11, v11, 0, s[0:1]
	v_add_u32_e32 v4, v11, v4
	v_add_u32_e32 v5, v4, v5
	;; [unrolled: 1-line block ×4, first 2 shown]
	ds_write2_b32 v15, v11, v4 offset0:16 offset1:17
	ds_write2_b32 v55, v5, v2 offset0:2 offset1:3
	ds_write_b32 v55, v3 offset:16
	s_waitcnt lgkmcnt(0)
	s_barrier
	ds_read_b32 v59, v19 offset:64
	ds_read_b32 v58, v20 offset:64
	;; [unrolled: 1-line block ×12, first 2 shown]
	v_cmp_gt_u32_e32 vcc, s2, v10
                                        ; implicit-def: $vgpr11
                                        ; implicit-def: $vgpr15
	s_and_saveexec_b64 s[8:9], vcc
	s_cbranch_execz .LBB1954_63
; %bb.60:
	v_mul_u32_u24_e32 v11, 17, v10
	v_lshlrev_b32_e32 v31, 2, v11
	ds_read_b32 v11, v31 offset:64
	s_movk_i32 s2, 0xff
	v_cmp_ne_u32_e64 s[2:3], s2, v10
	v_mov_b32_e32 v15, 0x3000
	s_and_saveexec_b64 s[10:11], s[2:3]
	s_cbranch_execz .LBB1954_62
; %bb.61:
	ds_read_b32 v15, v31 offset:132
.LBB1954_62:
	s_or_b64 exec, exec, s[10:11]
	s_waitcnt lgkmcnt(0)
	v_sub_u32_e32 v15, v15, v11
.LBB1954_63:
	s_or_b64 exec, exec, s[8:9]
	v_add_u32_e32 v18, v21, v18
	s_waitcnt lgkmcnt(11)
	v_add_lshl_u32 v16, v59, v16, 1
	v_add_u32_e32 v13, v28, v13
	v_add_u32_e32 v23, v25, v23
	s_waitcnt lgkmcnt(0)
	s_barrier
	ds_write_b16 v16, v14 offset:1024
	v_add_lshl_u32 v14, v18, v58, 1
	v_add_u32_e32 v30, v33, v30
	ds_write_b16 v14, v17 offset:1024
	v_add_lshl_u32 v14, v23, v57, 1
	v_add_lshl_u32 v13, v13, v55, 1
	v_add_u32_e32 v34, v37, v34
	ds_write_b16 v14, v22 offset:1024
	ds_write_b16 v13, v12 offset:1024
	v_add_lshl_u32 v12, v30, v27, 1
	v_add_u32_e32 v26, v56, v26
	v_add_u32_e32 v31, v53, v51
	;; [unrolled: 1-line block ×6, first 2 shown]
	ds_write_b16 v12, v29 offset:1024
	v_add_lshl_u32 v12, v34, v24, 1
	ds_write_b16 v12, v32 offset:1024
	v_add_lshl_u32 v12, v38, v20, 1
	v_add_lshl_u32 v9, v9, v19, 1
	;; [unrolled: 1-line block ×6, first 2 shown]
	ds_write_b16 v12, v36 offset:1024
	ds_write_b16 v9, v8 offset:1024
	;; [unrolled: 1-line block ×6, first 2 shown]
	s_and_saveexec_b64 s[8:9], vcc
	s_cbranch_execz .LBB1954_73
; %bb.64:
	v_lshl_or_b32 v2, s30, 8, v10
	v_mov_b32_e32 v3, 0
	v_lshlrev_b64 v[4:5], 2, v[2:3]
	v_mov_b32_e32 v8, s15
	v_add_co_u32_e64 v4, s[2:3], s14, v4
	v_addc_co_u32_e64 v5, s[2:3], v8, v5, s[2:3]
	v_or_b32_e32 v2, 2.0, v15
	s_mov_b64 s[10:11], 0
	s_brev_b32 s33, 1
	s_mov_b32 s34, s30
	v_mov_b32_e32 v9, 0
	global_store_dword v[4:5], v2, off
                                        ; implicit-def: $sgpr2_sgpr3
	s_branch .LBB1954_66
.LBB1954_65:                            ;   in Loop: Header=BB1954_66 Depth=1
	s_or_b64 exec, exec, s[12:13]
	v_and_b32_e32 v6, 0x3fffffff, v12
	v_add_u32_e32 v9, v6, v9
	v_cmp_eq_u32_e64 s[2:3], s33, v2
	s_and_b64 s[12:13], exec, s[2:3]
	s_or_b64 s[10:11], s[12:13], s[10:11]
	s_andn2_b64 exec, exec, s[10:11]
	s_cbranch_execz .LBB1954_72
.LBB1954_66:                            ; =>This Loop Header: Depth=1
                                        ;     Child Loop BB1954_69 Depth 2
	s_or_b64 s[2:3], s[2:3], exec
	s_cmp_eq_u32 s34, 0
	s_cbranch_scc1 .LBB1954_71
; %bb.67:                               ;   in Loop: Header=BB1954_66 Depth=1
	s_add_i32 s34, s34, -1
	v_lshl_or_b32 v2, s34, 8, v10
	v_lshlrev_b64 v[6:7], 2, v[2:3]
	v_add_co_u32_e64 v6, s[2:3], s14, v6
	v_addc_co_u32_e64 v7, s[2:3], v8, v7, s[2:3]
	global_load_dword v12, v[6:7], off glc
	s_waitcnt vmcnt(0)
	v_and_b32_e32 v2, -2.0, v12
	v_cmp_eq_u32_e64 s[2:3], 0, v2
	s_and_saveexec_b64 s[12:13], s[2:3]
	s_cbranch_execz .LBB1954_65
; %bb.68:                               ;   in Loop: Header=BB1954_66 Depth=1
	s_mov_b64 s[22:23], 0
.LBB1954_69:                            ;   Parent Loop BB1954_66 Depth=1
                                        ; =>  This Inner Loop Header: Depth=2
	global_load_dword v12, v[6:7], off glc
	s_waitcnt vmcnt(0)
	v_and_b32_e32 v2, -2.0, v12
	v_cmp_ne_u32_e64 s[2:3], 0, v2
	s_or_b64 s[22:23], s[2:3], s[22:23]
	s_andn2_b64 exec, exec, s[22:23]
	s_cbranch_execnz .LBB1954_69
; %bb.70:                               ;   in Loop: Header=BB1954_66 Depth=1
	s_or_b64 exec, exec, s[22:23]
	s_branch .LBB1954_65
.LBB1954_71:                            ;   in Loop: Header=BB1954_66 Depth=1
                                        ; implicit-def: $sgpr34
	s_and_b64 s[12:13], exec, s[2:3]
	s_or_b64 s[10:11], s[12:13], s[10:11]
	s_andn2_b64 exec, exec, s[10:11]
	s_cbranch_execnz .LBB1954_66
.LBB1954_72:
	s_or_b64 exec, exec, s[10:11]
	v_add_u32_e32 v2, v9, v15
	v_or_b32_e32 v2, 0x80000000, v2
	global_store_dword v[4:5], v2, off
	v_lshlrev_b32_e32 v2, 2, v10
	global_load_dword v3, v2, s[16:17]
	v_sub_u32_e32 v4, v9, v11
	s_waitcnt vmcnt(0)
	v_add_u32_e32 v3, v4, v3
	ds_write_b32 v2, v3
.LBB1954_73:
	s_or_b64 exec, exec, s[8:9]
	v_cmp_gt_u32_e64 s[2:3], s7, v10
	s_waitcnt lgkmcnt(0)
	s_barrier
	s_and_saveexec_b64 s[8:9], s[2:3]
	s_cbranch_execz .LBB1954_75
; %bb.74:
	v_lshlrev_b32_e32 v2, 1, v10
	ds_read_u16 v2, v2 offset:1024
	v_mov_b32_e32 v5, s27
	s_waitcnt lgkmcnt(0)
	v_lshrrev_b32_sdwa v3, s20, v2 dst_sel:DWORD dst_unused:UNUSED_PAD src0_sel:DWORD src1_sel:WORD_0
	v_and_b32_e32 v3, s31, v3
	v_lshlrev_b32_e32 v3, 2, v3
	ds_read_b32 v4, v3
	v_mov_b32_e32 v3, 0
	v_xor_b32_e32 v6, 0xffff8000, v2
	s_waitcnt lgkmcnt(0)
	v_add_u32_e32 v2, v4, v10
	v_lshlrev_b64 v[2:3], 1, v[2:3]
	v_add_co_u32_e64 v2, s[2:3], s26, v2
	v_addc_co_u32_e64 v3, s[2:3], v5, v3, s[2:3]
	global_store_short v[2:3], v6, off
.LBB1954_75:
	s_or_b64 exec, exec, s[8:9]
	v_or_b32_e32 v2, 0x400, v10
	v_cmp_gt_u32_e64 s[2:3], s7, v2
	s_and_saveexec_b64 s[8:9], s[2:3]
	s_cbranch_execz .LBB1954_77
; %bb.76:
	v_lshlrev_b32_e32 v3, 1, v10
	ds_read_u16 v4, v3 offset:3072
	v_mov_b32_e32 v6, s27
	s_waitcnt lgkmcnt(0)
	v_lshrrev_b32_sdwa v3, s20, v4 dst_sel:DWORD dst_unused:UNUSED_PAD src0_sel:DWORD src1_sel:WORD_0
	v_and_b32_e32 v3, s31, v3
	v_lshlrev_b32_e32 v3, 2, v3
	ds_read_b32 v5, v3
	v_mov_b32_e32 v3, 0
	v_xor_b32_e32 v4, 0xffff8000, v4
	s_waitcnt lgkmcnt(0)
	v_add_u32_e32 v2, v5, v2
	v_lshlrev_b64 v[2:3], 1, v[2:3]
	v_add_co_u32_e64 v2, s[2:3], s26, v2
	v_addc_co_u32_e64 v3, s[2:3], v6, v3, s[2:3]
	global_store_short v[2:3], v4, off
.LBB1954_77:
	s_or_b64 exec, exec, s[8:9]
	v_or_b32_e32 v2, 0x800, v10
	v_cmp_gt_u32_e64 s[2:3], s7, v2
	;; [unrolled: 23-line block ×11, first 2 shown]
	s_and_saveexec_b64 s[8:9], s[2:3]
	s_cbranch_execz .LBB1954_97
; %bb.96:
	v_lshlrev_b32_e32 v3, 1, v10
	ds_read_u16 v4, v3 offset:23552
	v_mov_b32_e32 v6, s27
	s_waitcnt lgkmcnt(0)
	v_lshrrev_b32_sdwa v3, s20, v4 dst_sel:DWORD dst_unused:UNUSED_PAD src0_sel:DWORD src1_sel:WORD_0
	v_and_b32_e32 v3, s31, v3
	v_lshlrev_b32_e32 v3, 2, v3
	ds_read_b32 v5, v3
	v_mov_b32_e32 v3, 0
	v_xor_b32_e32 v4, 0xffff8000, v4
	s_waitcnt lgkmcnt(0)
	v_add_u32_e32 v2, v5, v2
	v_lshlrev_b64 v[2:3], 1, v[2:3]
	v_add_co_u32_e64 v2, s[2:3], s26, v2
	v_addc_co_u32_e64 v3, s[2:3], v6, v3, s[2:3]
	global_store_short v[2:3], v4, off
.LBB1954_97:
	s_or_b64 exec, exec, s[8:9]
	s_add_i32 s29, s29, -1
	s_cmp_eq_u32 s29, s30
	s_cselect_b64 s[2:3], -1, 0
	s_and_b64 s[8:9], vcc, s[2:3]
	s_mov_b64 s[2:3], 0
	s_mov_b64 s[10:11], 0
                                        ; implicit-def: $vgpr2
	s_and_saveexec_b64 s[12:13], s[8:9]
	s_xor_b64 s[8:9], exec, s[12:13]
; %bb.98:
	s_mov_b64 s[10:11], exec
	v_add_u32_e32 v2, v11, v15
	v_mov_b32_e32 v11, 0
; %bb.99:
	s_or_b64 exec, exec, s[8:9]
	s_and_b64 vcc, exec, s[2:3]
	s_cbranch_vccnz .LBB1954_101
	s_branch .LBB1954_150
.LBB1954_100:
	s_mov_b64 s[10:11], 0
                                        ; implicit-def: $vgpr2
	s_cbranch_execz .LBB1954_150
.LBB1954_101:
	s_mov_b32 s29, 0
	v_mbcnt_hi_u32_b32 v5, -1, v1
	s_lshl_b64 s[2:3], s[28:29], 1
	v_and_b32_e32 v1, 63, v5
	s_add_u32 s2, s24, s2
	v_lshlrev_b32_e32 v1, 1, v1
	v_add_co_u32_e32 v1, vcc, s2, v1
	s_load_dword s22, s[4:5], 0x58
	s_load_dword s2, s[4:5], 0x64
	s_addc_u32 s3, s25, s3
	v_and_b32_e32 v3, 0x3c0, v10
	v_mul_u32_u24_e32 v3, 12, v3
	v_mov_b32_e32 v4, s3
	v_addc_co_u32_e32 v4, vcc, 0, v4, vcc
	v_lshlrev_b32_e32 v3, 1, v3
	s_add_u32 s3, s4, 0x58
	v_add_co_u32_e32 v12, vcc, v1, v3
	s_addc_u32 s4, s5, 0
	s_waitcnt lgkmcnt(0)
	s_lshr_b32 s5, s2, 16
	v_addc_co_u32_e32 v13, vcc, 0, v4, vcc
	s_cmp_lt_u32 s6, s22
	global_load_ushort v1, v[12:13], off
	s_cselect_b32 s2, 12, 18
	s_add_u32 s2, s3, s2
	v_mov_b32_e32 v2, 0
	s_addc_u32 s3, s4, 0
	global_load_ushort v3, v2, s[2:3]
	v_mul_u32_u24_e32 v6, 5, v10
	v_lshlrev_b32_e32 v6, 2, v6
	ds_write2_b32 v6, v2, v2 offset0:16 offset1:17
	ds_write2_b32 v6, v2, v2 offset0:18 offset1:19
	ds_write_b32 v6, v2 offset:80
	global_load_ushort v9, v[12:13], off offset:128
	global_load_ushort v14, v[12:13], off offset:256
	;; [unrolled: 1-line block ×11, first 2 shown]
	v_bfe_u32 v4, v0, 10, 10
	v_bfe_u32 v0, v0, 20, 10
	v_mad_u32_u24 v0, v0, s5, v4
	s_lshl_b32 s2, -1, s21
	s_not_b32 s21, s2
	s_waitcnt lgkmcnt(0)
	s_barrier
	s_waitcnt lgkmcnt(0)
	; wave barrier
	s_waitcnt vmcnt(12)
	v_xor_b32_e32 v4, 0xffff8000, v1
	v_lshrrev_b32_sdwa v1, s20, v4 dst_sel:DWORD dst_unused:UNUSED_PAD src0_sel:DWORD src1_sel:WORD_0
	v_and_b32_e32 v8, s21, v1
	v_and_b32_e32 v7, 1, v8
	s_waitcnt vmcnt(11)
	v_mad_u64_u32 v[0:1], s[2:3], v0, v3, v[10:11]
	v_lshrrev_b32_e32 v17, 6, v0
	v_add_co_u32_e32 v0, vcc, -1, v7
	v_lshlrev_b32_e32 v3, 30, v8
	v_addc_co_u32_e64 v11, s[2:3], 0, -1, vcc
	v_mul_u32_u24_e32 v1, 17, v8
	v_cmp_ne_u32_e32 vcc, 0, v7
	v_cmp_gt_i64_e64 s[2:3], 0, v[2:3]
	v_not_b32_e32 v12, v3
	v_lshlrev_b32_e32 v3, 29, v8
	v_add_lshl_u32 v7, v17, v1, 2
	v_xor_b32_e32 v1, vcc_hi, v11
	v_xor_b32_e32 v0, vcc_lo, v0
	v_ashrrev_i32_e32 v11, 31, v12
	v_cmp_gt_i64_e32 vcc, 0, v[2:3]
	v_not_b32_e32 v12, v3
	v_lshlrev_b32_e32 v3, 28, v8
	v_and_b32_e32 v1, exec_hi, v1
	v_and_b32_e32 v0, exec_lo, v0
	v_xor_b32_e32 v13, s3, v11
	v_xor_b32_e32 v11, s2, v11
	v_ashrrev_i32_e32 v12, 31, v12
	v_cmp_gt_i64_e64 s[2:3], 0, v[2:3]
	v_not_b32_e32 v3, v3
	v_and_b32_e32 v1, v1, v13
	v_and_b32_e32 v0, v0, v11
	v_xor_b32_e32 v11, vcc_hi, v12
	v_xor_b32_e32 v12, vcc_lo, v12
	v_ashrrev_i32_e32 v3, 31, v3
	v_and_b32_e32 v1, v1, v11
	v_and_b32_e32 v0, v0, v12
	v_xor_b32_e32 v11, s3, v3
	v_xor_b32_e32 v3, s2, v3
	v_and_b32_e32 v0, v0, v3
	v_lshlrev_b32_e32 v3, 27, v8
	v_cmp_gt_i64_e32 vcc, 0, v[2:3]
	v_not_b32_e32 v3, v3
	v_ashrrev_i32_e32 v3, 31, v3
	v_and_b32_e32 v1, v1, v11
	v_xor_b32_e32 v11, vcc_hi, v3
	v_xor_b32_e32 v3, vcc_lo, v3
	v_and_b32_e32 v0, v0, v3
	v_lshlrev_b32_e32 v3, 26, v8
	v_cmp_gt_i64_e32 vcc, 0, v[2:3]
	v_not_b32_e32 v3, v3
	v_ashrrev_i32_e32 v3, 31, v3
	v_and_b32_e32 v1, v1, v11
	v_xor_b32_e32 v11, vcc_hi, v3
	v_xor_b32_e32 v3, vcc_lo, v3
	;; [unrolled: 8-line block ×3, first 2 shown]
	v_and_b32_e32 v0, v0, v3
	v_lshlrev_b32_e32 v3, 24, v8
	v_cmp_gt_i64_e32 vcc, 0, v[2:3]
	v_not_b32_e32 v3, v3
	v_ashrrev_i32_e32 v3, 31, v3
	v_xor_b32_e32 v8, vcc_hi, v3
	v_xor_b32_e32 v3, vcc_lo, v3
	v_and_b32_e32 v1, v1, v11
	v_and_b32_e32 v0, v0, v3
	;; [unrolled: 1-line block ×3, first 2 shown]
	v_mbcnt_lo_u32_b32 v3, v0, 0
	v_mbcnt_hi_u32_b32 v8, v1, v3
	v_cmp_eq_u32_e32 vcc, 0, v8
	v_cmp_ne_u64_e64 s[2:3], 0, v[0:1]
	s_and_b64 s[4:5], s[2:3], vcc
	s_and_saveexec_b64 s[2:3], s[4:5]
	s_cbranch_execz .LBB1954_103
; %bb.102:
	v_bcnt_u32_b32 v0, v0, 0
	v_bcnt_u32_b32 v0, v1, v0
	ds_write_b32 v7, v0 offset:64
.LBB1954_103:
	s_or_b64 exec, exec, s[2:3]
	s_waitcnt vmcnt(10)
	v_xor_b32_e32 v9, 0xffff8000, v9
	v_lshrrev_b32_sdwa v0, s20, v9 dst_sel:DWORD dst_unused:UNUSED_PAD src0_sel:DWORD src1_sel:WORD_0
	v_and_b32_e32 v0, s21, v0
	v_mul_u32_u24_e32 v1, 17, v0
	v_add_lshl_u32 v12, v17, v1, 2
	v_and_b32_e32 v1, 1, v0
	v_add_co_u32_e32 v3, vcc, -1, v1
	v_addc_co_u32_e64 v13, s[2:3], 0, -1, vcc
	v_cmp_ne_u32_e32 vcc, 0, v1
	v_xor_b32_e32 v3, vcc_lo, v3
	v_xor_b32_e32 v1, vcc_hi, v13
	v_and_b32_e32 v13, exec_lo, v3
	v_lshlrev_b32_e32 v3, 30, v0
	v_cmp_gt_i64_e32 vcc, 0, v[2:3]
	v_not_b32_e32 v3, v3
	v_ashrrev_i32_e32 v3, 31, v3
	v_xor_b32_e32 v15, vcc_hi, v3
	v_xor_b32_e32 v3, vcc_lo, v3
	v_and_b32_e32 v13, v13, v3
	v_lshlrev_b32_e32 v3, 29, v0
	v_cmp_gt_i64_e32 vcc, 0, v[2:3]
	v_not_b32_e32 v3, v3
	v_and_b32_e32 v1, exec_hi, v1
	v_ashrrev_i32_e32 v3, 31, v3
	v_and_b32_e32 v1, v1, v15
	v_xor_b32_e32 v15, vcc_hi, v3
	v_xor_b32_e32 v3, vcc_lo, v3
	v_and_b32_e32 v13, v13, v3
	v_lshlrev_b32_e32 v3, 28, v0
	v_cmp_gt_i64_e32 vcc, 0, v[2:3]
	v_not_b32_e32 v3, v3
	v_ashrrev_i32_e32 v3, 31, v3
	v_and_b32_e32 v1, v1, v15
	v_xor_b32_e32 v15, vcc_hi, v3
	v_xor_b32_e32 v3, vcc_lo, v3
	v_and_b32_e32 v13, v13, v3
	v_lshlrev_b32_e32 v3, 27, v0
	v_cmp_gt_i64_e32 vcc, 0, v[2:3]
	v_not_b32_e32 v3, v3
	;; [unrolled: 8-line block ×4, first 2 shown]
	v_ashrrev_i32_e32 v3, 31, v3
	v_and_b32_e32 v1, v1, v15
	v_xor_b32_e32 v15, vcc_hi, v3
	v_xor_b32_e32 v3, vcc_lo, v3
	v_and_b32_e32 v13, v13, v3
	v_lshlrev_b32_e32 v3, 24, v0
	v_not_b32_e32 v0, v3
	v_cmp_gt_i64_e32 vcc, 0, v[2:3]
	v_ashrrev_i32_e32 v0, 31, v0
	v_xor_b32_e32 v2, vcc_hi, v0
	v_xor_b32_e32 v0, vcc_lo, v0
	; wave barrier
	ds_read_b32 v11, v12 offset:64
	v_and_b32_e32 v1, v1, v15
	v_and_b32_e32 v0, v13, v0
	v_and_b32_e32 v1, v1, v2
	v_mbcnt_lo_u32_b32 v2, v0, 0
	v_mbcnt_hi_u32_b32 v13, v1, v2
	v_cmp_eq_u32_e32 vcc, 0, v13
	v_cmp_ne_u64_e64 s[2:3], 0, v[0:1]
	s_and_b64 s[4:5], s[2:3], vcc
	; wave barrier
	s_and_saveexec_b64 s[2:3], s[4:5]
	s_cbranch_execz .LBB1954_105
; %bb.104:
	v_bcnt_u32_b32 v0, v0, 0
	v_bcnt_u32_b32 v0, v1, v0
	s_waitcnt lgkmcnt(0)
	v_add_u32_e32 v0, v11, v0
	ds_write_b32 v12, v0 offset:64
.LBB1954_105:
	s_or_b64 exec, exec, s[2:3]
	s_waitcnt vmcnt(9)
	v_xor_b32_e32 v14, 0xffff8000, v14
	v_lshrrev_b32_sdwa v0, s20, v14 dst_sel:DWORD dst_unused:UNUSED_PAD src0_sel:DWORD src1_sel:WORD_0
	v_and_b32_e32 v2, s21, v0
	v_and_b32_e32 v1, 1, v2
	v_add_co_u32_e32 v3, vcc, -1, v1
	v_addc_co_u32_e64 v19, s[2:3], 0, -1, vcc
	v_cmp_ne_u32_e32 vcc, 0, v1
	v_mul_u32_u24_e32 v0, 17, v2
	v_xor_b32_e32 v1, vcc_hi, v19
	v_add_lshl_u32 v18, v17, v0, 2
	v_mov_b32_e32 v0, 0
	v_and_b32_e32 v19, exec_hi, v1
	v_lshlrev_b32_e32 v1, 30, v2
	v_xor_b32_e32 v3, vcc_lo, v3
	v_cmp_gt_i64_e32 vcc, 0, v[0:1]
	v_not_b32_e32 v1, v1
	v_ashrrev_i32_e32 v1, 31, v1
	v_and_b32_e32 v3, exec_lo, v3
	v_xor_b32_e32 v21, vcc_hi, v1
	v_xor_b32_e32 v1, vcc_lo, v1
	v_and_b32_e32 v3, v3, v1
	v_lshlrev_b32_e32 v1, 29, v2
	v_cmp_gt_i64_e32 vcc, 0, v[0:1]
	v_not_b32_e32 v1, v1
	v_ashrrev_i32_e32 v1, 31, v1
	v_and_b32_e32 v19, v19, v21
	v_xor_b32_e32 v21, vcc_hi, v1
	v_xor_b32_e32 v1, vcc_lo, v1
	v_and_b32_e32 v3, v3, v1
	v_lshlrev_b32_e32 v1, 28, v2
	v_cmp_gt_i64_e32 vcc, 0, v[0:1]
	v_not_b32_e32 v1, v1
	v_ashrrev_i32_e32 v1, 31, v1
	v_and_b32_e32 v19, v19, v21
	;; [unrolled: 8-line block ×5, first 2 shown]
	v_xor_b32_e32 v21, vcc_hi, v1
	v_xor_b32_e32 v1, vcc_lo, v1
	v_and_b32_e32 v19, v19, v21
	v_and_b32_e32 v21, v3, v1
	v_lshlrev_b32_e32 v1, 24, v2
	v_cmp_gt_i64_e32 vcc, 0, v[0:1]
	v_not_b32_e32 v1, v1
	v_ashrrev_i32_e32 v1, 31, v1
	v_xor_b32_e32 v2, vcc_hi, v1
	v_xor_b32_e32 v1, vcc_lo, v1
	; wave barrier
	ds_read_b32 v15, v18 offset:64
	v_and_b32_e32 v3, v19, v2
	v_and_b32_e32 v2, v21, v1
	v_mbcnt_lo_u32_b32 v1, v2, 0
	v_mbcnt_hi_u32_b32 v19, v3, v1
	v_cmp_eq_u32_e32 vcc, 0, v19
	v_cmp_ne_u64_e64 s[2:3], 0, v[2:3]
	s_and_b64 s[4:5], s[2:3], vcc
	; wave barrier
	s_and_saveexec_b64 s[2:3], s[4:5]
	s_cbranch_execz .LBB1954_107
; %bb.106:
	v_bcnt_u32_b32 v1, v2, 0
	v_bcnt_u32_b32 v1, v3, v1
	s_waitcnt lgkmcnt(0)
	v_add_u32_e32 v1, v15, v1
	ds_write_b32 v18, v1 offset:64
.LBB1954_107:
	s_or_b64 exec, exec, s[2:3]
	s_waitcnt vmcnt(8)
	v_xor_b32_e32 v20, 0xffff8000, v20
	v_lshrrev_b32_sdwa v1, s20, v20 dst_sel:DWORD dst_unused:UNUSED_PAD src0_sel:DWORD src1_sel:WORD_0
	v_and_b32_e32 v2, s21, v1
	v_mul_u32_u24_e32 v1, 17, v2
	v_add_lshl_u32 v23, v17, v1, 2
	v_and_b32_e32 v1, 1, v2
	v_add_co_u32_e32 v3, vcc, -1, v1
	v_addc_co_u32_e64 v24, s[2:3], 0, -1, vcc
	v_cmp_ne_u32_e32 vcc, 0, v1
	v_xor_b32_e32 v1, vcc_hi, v24
	v_and_b32_e32 v24, exec_hi, v1
	v_lshlrev_b32_e32 v1, 30, v2
	v_xor_b32_e32 v3, vcc_lo, v3
	v_cmp_gt_i64_e32 vcc, 0, v[0:1]
	v_not_b32_e32 v1, v1
	v_ashrrev_i32_e32 v1, 31, v1
	v_and_b32_e32 v3, exec_lo, v3
	v_xor_b32_e32 v26, vcc_hi, v1
	v_xor_b32_e32 v1, vcc_lo, v1
	v_and_b32_e32 v3, v3, v1
	v_lshlrev_b32_e32 v1, 29, v2
	v_cmp_gt_i64_e32 vcc, 0, v[0:1]
	v_not_b32_e32 v1, v1
	v_ashrrev_i32_e32 v1, 31, v1
	v_and_b32_e32 v24, v24, v26
	v_xor_b32_e32 v26, vcc_hi, v1
	v_xor_b32_e32 v1, vcc_lo, v1
	v_and_b32_e32 v3, v3, v1
	v_lshlrev_b32_e32 v1, 28, v2
	v_cmp_gt_i64_e32 vcc, 0, v[0:1]
	v_not_b32_e32 v1, v1
	v_ashrrev_i32_e32 v1, 31, v1
	v_and_b32_e32 v24, v24, v26
	;; [unrolled: 8-line block ×5, first 2 shown]
	v_xor_b32_e32 v26, vcc_hi, v1
	v_xor_b32_e32 v1, vcc_lo, v1
	v_and_b32_e32 v3, v3, v1
	v_lshlrev_b32_e32 v1, 24, v2
	v_cmp_gt_i64_e32 vcc, 0, v[0:1]
	v_not_b32_e32 v0, v1
	v_ashrrev_i32_e32 v0, 31, v0
	v_xor_b32_e32 v1, vcc_hi, v0
	v_xor_b32_e32 v0, vcc_lo, v0
	; wave barrier
	ds_read_b32 v21, v23 offset:64
	v_and_b32_e32 v24, v24, v26
	v_and_b32_e32 v0, v3, v0
	;; [unrolled: 1-line block ×3, first 2 shown]
	v_mbcnt_lo_u32_b32 v2, v0, 0
	v_mbcnt_hi_u32_b32 v24, v1, v2
	v_cmp_eq_u32_e32 vcc, 0, v24
	v_cmp_ne_u64_e64 s[2:3], 0, v[0:1]
	s_and_b64 s[4:5], s[2:3], vcc
	; wave barrier
	s_and_saveexec_b64 s[2:3], s[4:5]
	s_cbranch_execz .LBB1954_109
; %bb.108:
	v_bcnt_u32_b32 v0, v0, 0
	v_bcnt_u32_b32 v0, v1, v0
	s_waitcnt lgkmcnt(0)
	v_add_u32_e32 v0, v21, v0
	ds_write_b32 v23, v0 offset:64
.LBB1954_109:
	s_or_b64 exec, exec, s[2:3]
	s_waitcnt vmcnt(7)
	v_xor_b32_e32 v25, 0xffff8000, v25
	v_lshrrev_b32_sdwa v0, s20, v25 dst_sel:DWORD dst_unused:UNUSED_PAD src0_sel:DWORD src1_sel:WORD_0
	v_and_b32_e32 v2, s21, v0
	v_and_b32_e32 v1, 1, v2
	v_add_co_u32_e32 v3, vcc, -1, v1
	v_addc_co_u32_e64 v30, s[2:3], 0, -1, vcc
	v_cmp_ne_u32_e32 vcc, 0, v1
	v_mul_u32_u24_e32 v0, 17, v2
	v_xor_b32_e32 v1, vcc_hi, v30
	v_add_lshl_u32 v28, v17, v0, 2
	v_mov_b32_e32 v0, 0
	v_and_b32_e32 v30, exec_hi, v1
	v_lshlrev_b32_e32 v1, 30, v2
	v_xor_b32_e32 v3, vcc_lo, v3
	v_cmp_gt_i64_e32 vcc, 0, v[0:1]
	v_not_b32_e32 v1, v1
	v_ashrrev_i32_e32 v1, 31, v1
	v_and_b32_e32 v3, exec_lo, v3
	v_xor_b32_e32 v31, vcc_hi, v1
	v_xor_b32_e32 v1, vcc_lo, v1
	v_and_b32_e32 v3, v3, v1
	v_lshlrev_b32_e32 v1, 29, v2
	v_cmp_gt_i64_e32 vcc, 0, v[0:1]
	v_not_b32_e32 v1, v1
	v_ashrrev_i32_e32 v1, 31, v1
	v_and_b32_e32 v30, v30, v31
	v_xor_b32_e32 v31, vcc_hi, v1
	v_xor_b32_e32 v1, vcc_lo, v1
	v_and_b32_e32 v3, v3, v1
	v_lshlrev_b32_e32 v1, 28, v2
	v_cmp_gt_i64_e32 vcc, 0, v[0:1]
	v_not_b32_e32 v1, v1
	v_ashrrev_i32_e32 v1, 31, v1
	v_and_b32_e32 v30, v30, v31
	;; [unrolled: 8-line block ×5, first 2 shown]
	v_xor_b32_e32 v31, vcc_hi, v1
	v_xor_b32_e32 v1, vcc_lo, v1
	v_and_b32_e32 v30, v30, v31
	v_and_b32_e32 v31, v3, v1
	v_lshlrev_b32_e32 v1, 24, v2
	v_cmp_gt_i64_e32 vcc, 0, v[0:1]
	v_not_b32_e32 v1, v1
	v_ashrrev_i32_e32 v1, 31, v1
	v_xor_b32_e32 v2, vcc_hi, v1
	v_xor_b32_e32 v1, vcc_lo, v1
	; wave barrier
	ds_read_b32 v26, v28 offset:64
	v_and_b32_e32 v3, v30, v2
	v_and_b32_e32 v2, v31, v1
	v_mbcnt_lo_u32_b32 v1, v2, 0
	v_mbcnt_hi_u32_b32 v30, v3, v1
	v_cmp_eq_u32_e32 vcc, 0, v30
	v_cmp_ne_u64_e64 s[2:3], 0, v[2:3]
	s_and_b64 s[4:5], s[2:3], vcc
	; wave barrier
	s_and_saveexec_b64 s[2:3], s[4:5]
	s_cbranch_execz .LBB1954_111
; %bb.110:
	v_bcnt_u32_b32 v1, v2, 0
	v_bcnt_u32_b32 v1, v3, v1
	s_waitcnt lgkmcnt(0)
	v_add_u32_e32 v1, v26, v1
	ds_write_b32 v28, v1 offset:64
.LBB1954_111:
	s_or_b64 exec, exec, s[2:3]
	s_waitcnt vmcnt(6)
	v_xor_b32_e32 v29, 0xffff8000, v29
	v_lshrrev_b32_sdwa v1, s20, v29 dst_sel:DWORD dst_unused:UNUSED_PAD src0_sel:DWORD src1_sel:WORD_0
	v_and_b32_e32 v2, s21, v1
	v_mul_u32_u24_e32 v1, 17, v2
	v_add_lshl_u32 v33, v17, v1, 2
	v_and_b32_e32 v1, 1, v2
	v_add_co_u32_e32 v3, vcc, -1, v1
	v_addc_co_u32_e64 v35, s[2:3], 0, -1, vcc
	v_cmp_ne_u32_e32 vcc, 0, v1
	v_xor_b32_e32 v1, vcc_hi, v35
	v_and_b32_e32 v35, exec_hi, v1
	v_lshlrev_b32_e32 v1, 30, v2
	v_xor_b32_e32 v3, vcc_lo, v3
	v_cmp_gt_i64_e32 vcc, 0, v[0:1]
	v_not_b32_e32 v1, v1
	v_ashrrev_i32_e32 v1, 31, v1
	v_and_b32_e32 v3, exec_lo, v3
	v_xor_b32_e32 v36, vcc_hi, v1
	v_xor_b32_e32 v1, vcc_lo, v1
	v_and_b32_e32 v3, v3, v1
	v_lshlrev_b32_e32 v1, 29, v2
	v_cmp_gt_i64_e32 vcc, 0, v[0:1]
	v_not_b32_e32 v1, v1
	v_ashrrev_i32_e32 v1, 31, v1
	v_and_b32_e32 v35, v35, v36
	v_xor_b32_e32 v36, vcc_hi, v1
	v_xor_b32_e32 v1, vcc_lo, v1
	v_and_b32_e32 v3, v3, v1
	v_lshlrev_b32_e32 v1, 28, v2
	v_cmp_gt_i64_e32 vcc, 0, v[0:1]
	v_not_b32_e32 v1, v1
	v_ashrrev_i32_e32 v1, 31, v1
	v_and_b32_e32 v35, v35, v36
	;; [unrolled: 8-line block ×5, first 2 shown]
	v_xor_b32_e32 v36, vcc_hi, v1
	v_xor_b32_e32 v1, vcc_lo, v1
	v_and_b32_e32 v3, v3, v1
	v_lshlrev_b32_e32 v1, 24, v2
	v_cmp_gt_i64_e32 vcc, 0, v[0:1]
	v_not_b32_e32 v0, v1
	v_ashrrev_i32_e32 v0, 31, v0
	v_xor_b32_e32 v1, vcc_hi, v0
	v_xor_b32_e32 v0, vcc_lo, v0
	; wave barrier
	ds_read_b32 v31, v33 offset:64
	v_and_b32_e32 v35, v35, v36
	v_and_b32_e32 v0, v3, v0
	;; [unrolled: 1-line block ×3, first 2 shown]
	v_mbcnt_lo_u32_b32 v2, v0, 0
	v_mbcnt_hi_u32_b32 v35, v1, v2
	v_cmp_eq_u32_e32 vcc, 0, v35
	v_cmp_ne_u64_e64 s[2:3], 0, v[0:1]
	s_and_b64 s[4:5], s[2:3], vcc
	; wave barrier
	s_and_saveexec_b64 s[2:3], s[4:5]
	s_cbranch_execz .LBB1954_113
; %bb.112:
	v_bcnt_u32_b32 v0, v0, 0
	v_bcnt_u32_b32 v0, v1, v0
	s_waitcnt lgkmcnt(0)
	v_add_u32_e32 v0, v31, v0
	ds_write_b32 v33, v0 offset:64
.LBB1954_113:
	s_or_b64 exec, exec, s[2:3]
	s_waitcnt vmcnt(5)
	v_xor_b32_e32 v34, 0xffff8000, v34
	v_lshrrev_b32_sdwa v0, s20, v34 dst_sel:DWORD dst_unused:UNUSED_PAD src0_sel:DWORD src1_sel:WORD_0
	v_and_b32_e32 v2, s21, v0
	v_and_b32_e32 v1, 1, v2
	v_add_co_u32_e32 v3, vcc, -1, v1
	v_addc_co_u32_e64 v39, s[2:3], 0, -1, vcc
	v_cmp_ne_u32_e32 vcc, 0, v1
	v_mul_u32_u24_e32 v0, 17, v2
	v_xor_b32_e32 v1, vcc_hi, v39
	v_add_lshl_u32 v38, v17, v0, 2
	v_mov_b32_e32 v0, 0
	v_and_b32_e32 v39, exec_hi, v1
	v_lshlrev_b32_e32 v1, 30, v2
	v_xor_b32_e32 v3, vcc_lo, v3
	v_cmp_gt_i64_e32 vcc, 0, v[0:1]
	v_not_b32_e32 v1, v1
	v_ashrrev_i32_e32 v1, 31, v1
	v_and_b32_e32 v3, exec_lo, v3
	v_xor_b32_e32 v40, vcc_hi, v1
	v_xor_b32_e32 v1, vcc_lo, v1
	v_and_b32_e32 v3, v3, v1
	v_lshlrev_b32_e32 v1, 29, v2
	v_cmp_gt_i64_e32 vcc, 0, v[0:1]
	v_not_b32_e32 v1, v1
	v_ashrrev_i32_e32 v1, 31, v1
	v_and_b32_e32 v39, v39, v40
	v_xor_b32_e32 v40, vcc_hi, v1
	v_xor_b32_e32 v1, vcc_lo, v1
	v_and_b32_e32 v3, v3, v1
	v_lshlrev_b32_e32 v1, 28, v2
	v_cmp_gt_i64_e32 vcc, 0, v[0:1]
	v_not_b32_e32 v1, v1
	v_ashrrev_i32_e32 v1, 31, v1
	v_and_b32_e32 v39, v39, v40
	;; [unrolled: 8-line block ×5, first 2 shown]
	v_xor_b32_e32 v40, vcc_hi, v1
	v_xor_b32_e32 v1, vcc_lo, v1
	v_and_b32_e32 v39, v39, v40
	v_and_b32_e32 v40, v3, v1
	v_lshlrev_b32_e32 v1, 24, v2
	v_cmp_gt_i64_e32 vcc, 0, v[0:1]
	v_not_b32_e32 v1, v1
	v_ashrrev_i32_e32 v1, 31, v1
	v_xor_b32_e32 v2, vcc_hi, v1
	v_xor_b32_e32 v1, vcc_lo, v1
	; wave barrier
	ds_read_b32 v36, v38 offset:64
	v_and_b32_e32 v3, v39, v2
	v_and_b32_e32 v2, v40, v1
	v_mbcnt_lo_u32_b32 v1, v2, 0
	v_mbcnt_hi_u32_b32 v39, v3, v1
	v_cmp_eq_u32_e32 vcc, 0, v39
	v_cmp_ne_u64_e64 s[2:3], 0, v[2:3]
	s_and_b64 s[4:5], s[2:3], vcc
	; wave barrier
	s_and_saveexec_b64 s[2:3], s[4:5]
	s_cbranch_execz .LBB1954_115
; %bb.114:
	v_bcnt_u32_b32 v1, v2, 0
	v_bcnt_u32_b32 v1, v3, v1
	s_waitcnt lgkmcnt(0)
	v_add_u32_e32 v1, v36, v1
	ds_write_b32 v38, v1 offset:64
.LBB1954_115:
	s_or_b64 exec, exec, s[2:3]
	s_waitcnt vmcnt(4)
	v_xor_b32_e32 v37, 0xffff8000, v37
	v_lshrrev_b32_sdwa v1, s20, v37 dst_sel:DWORD dst_unused:UNUSED_PAD src0_sel:DWORD src1_sel:WORD_0
	v_and_b32_e32 v2, s21, v1
	v_mul_u32_u24_e32 v1, 17, v2
	v_add_lshl_u32 v41, v17, v1, 2
	v_and_b32_e32 v1, 1, v2
	v_add_co_u32_e32 v3, vcc, -1, v1
	v_addc_co_u32_e64 v42, s[2:3], 0, -1, vcc
	v_cmp_ne_u32_e32 vcc, 0, v1
	v_xor_b32_e32 v1, vcc_hi, v42
	v_and_b32_e32 v42, exec_hi, v1
	v_lshlrev_b32_e32 v1, 30, v2
	v_xor_b32_e32 v3, vcc_lo, v3
	v_cmp_gt_i64_e32 vcc, 0, v[0:1]
	v_not_b32_e32 v1, v1
	v_ashrrev_i32_e32 v1, 31, v1
	v_and_b32_e32 v3, exec_lo, v3
	v_xor_b32_e32 v43, vcc_hi, v1
	v_xor_b32_e32 v1, vcc_lo, v1
	v_and_b32_e32 v3, v3, v1
	v_lshlrev_b32_e32 v1, 29, v2
	v_cmp_gt_i64_e32 vcc, 0, v[0:1]
	v_not_b32_e32 v1, v1
	v_ashrrev_i32_e32 v1, 31, v1
	v_and_b32_e32 v42, v42, v43
	v_xor_b32_e32 v43, vcc_hi, v1
	v_xor_b32_e32 v1, vcc_lo, v1
	v_and_b32_e32 v3, v3, v1
	v_lshlrev_b32_e32 v1, 28, v2
	v_cmp_gt_i64_e32 vcc, 0, v[0:1]
	v_not_b32_e32 v1, v1
	v_ashrrev_i32_e32 v1, 31, v1
	v_and_b32_e32 v42, v42, v43
	;; [unrolled: 8-line block ×5, first 2 shown]
	v_xor_b32_e32 v43, vcc_hi, v1
	v_xor_b32_e32 v1, vcc_lo, v1
	v_and_b32_e32 v3, v3, v1
	v_lshlrev_b32_e32 v1, 24, v2
	v_cmp_gt_i64_e32 vcc, 0, v[0:1]
	v_not_b32_e32 v0, v1
	v_ashrrev_i32_e32 v0, 31, v0
	v_xor_b32_e32 v1, vcc_hi, v0
	v_xor_b32_e32 v0, vcc_lo, v0
	; wave barrier
	ds_read_b32 v40, v41 offset:64
	v_and_b32_e32 v42, v42, v43
	v_and_b32_e32 v0, v3, v0
	;; [unrolled: 1-line block ×3, first 2 shown]
	v_mbcnt_lo_u32_b32 v2, v0, 0
	v_mbcnt_hi_u32_b32 v42, v1, v2
	v_cmp_eq_u32_e32 vcc, 0, v42
	v_cmp_ne_u64_e64 s[2:3], 0, v[0:1]
	s_and_b64 s[4:5], s[2:3], vcc
	; wave barrier
	s_and_saveexec_b64 s[2:3], s[4:5]
	s_cbranch_execz .LBB1954_117
; %bb.116:
	v_bcnt_u32_b32 v0, v0, 0
	v_bcnt_u32_b32 v0, v1, v0
	s_waitcnt lgkmcnt(0)
	v_add_u32_e32 v0, v40, v0
	ds_write_b32 v41, v0 offset:64
.LBB1954_117:
	s_or_b64 exec, exec, s[2:3]
	s_waitcnt vmcnt(3)
	v_xor_b32_e32 v32, 0xffff8000, v32
	v_lshrrev_b32_sdwa v0, s20, v32 dst_sel:DWORD dst_unused:UNUSED_PAD src0_sel:DWORD src1_sel:WORD_0
	v_and_b32_e32 v2, s21, v0
	v_and_b32_e32 v1, 1, v2
	v_add_co_u32_e32 v3, vcc, -1, v1
	v_addc_co_u32_e64 v45, s[2:3], 0, -1, vcc
	v_cmp_ne_u32_e32 vcc, 0, v1
	v_mul_u32_u24_e32 v0, 17, v2
	v_xor_b32_e32 v1, vcc_hi, v45
	v_add_lshl_u32 v44, v17, v0, 2
	v_mov_b32_e32 v0, 0
	v_and_b32_e32 v45, exec_hi, v1
	v_lshlrev_b32_e32 v1, 30, v2
	v_xor_b32_e32 v3, vcc_lo, v3
	v_cmp_gt_i64_e32 vcc, 0, v[0:1]
	v_not_b32_e32 v1, v1
	v_ashrrev_i32_e32 v1, 31, v1
	v_and_b32_e32 v3, exec_lo, v3
	v_xor_b32_e32 v46, vcc_hi, v1
	v_xor_b32_e32 v1, vcc_lo, v1
	v_and_b32_e32 v3, v3, v1
	v_lshlrev_b32_e32 v1, 29, v2
	v_cmp_gt_i64_e32 vcc, 0, v[0:1]
	v_not_b32_e32 v1, v1
	v_ashrrev_i32_e32 v1, 31, v1
	v_and_b32_e32 v45, v45, v46
	v_xor_b32_e32 v46, vcc_hi, v1
	v_xor_b32_e32 v1, vcc_lo, v1
	v_and_b32_e32 v3, v3, v1
	v_lshlrev_b32_e32 v1, 28, v2
	v_cmp_gt_i64_e32 vcc, 0, v[0:1]
	v_not_b32_e32 v1, v1
	v_ashrrev_i32_e32 v1, 31, v1
	v_and_b32_e32 v45, v45, v46
	v_xor_b32_e32 v46, vcc_hi, v1
	v_xor_b32_e32 v1, vcc_lo, v1
	v_and_b32_e32 v3, v3, v1
	v_lshlrev_b32_e32 v1, 27, v2
	v_cmp_gt_i64_e32 vcc, 0, v[0:1]
	v_not_b32_e32 v1, v1
	v_ashrrev_i32_e32 v1, 31, v1
	v_and_b32_e32 v45, v45, v46
	v_xor_b32_e32 v46, vcc_hi, v1
	v_xor_b32_e32 v1, vcc_lo, v1
	v_and_b32_e32 v3, v3, v1
	v_lshlrev_b32_e32 v1, 26, v2
	v_cmp_gt_i64_e32 vcc, 0, v[0:1]
	v_not_b32_e32 v1, v1
	v_ashrrev_i32_e32 v1, 31, v1
	v_and_b32_e32 v45, v45, v46
	v_xor_b32_e32 v46, vcc_hi, v1
	v_xor_b32_e32 v1, vcc_lo, v1
	v_and_b32_e32 v3, v3, v1
	v_lshlrev_b32_e32 v1, 25, v2
	v_cmp_gt_i64_e32 vcc, 0, v[0:1]
	v_not_b32_e32 v1, v1
	v_ashrrev_i32_e32 v1, 31, v1
	v_and_b32_e32 v45, v45, v46
	v_xor_b32_e32 v46, vcc_hi, v1
	v_xor_b32_e32 v1, vcc_lo, v1
	v_and_b32_e32 v45, v45, v46
	v_and_b32_e32 v46, v3, v1
	v_lshlrev_b32_e32 v1, 24, v2
	v_cmp_gt_i64_e32 vcc, 0, v[0:1]
	v_not_b32_e32 v1, v1
	v_ashrrev_i32_e32 v1, 31, v1
	v_xor_b32_e32 v2, vcc_hi, v1
	v_xor_b32_e32 v1, vcc_lo, v1
	; wave barrier
	ds_read_b32 v43, v44 offset:64
	v_and_b32_e32 v3, v45, v2
	v_and_b32_e32 v2, v46, v1
	v_mbcnt_lo_u32_b32 v1, v2, 0
	v_mbcnt_hi_u32_b32 v45, v3, v1
	v_cmp_eq_u32_e32 vcc, 0, v45
	v_cmp_ne_u64_e64 s[2:3], 0, v[2:3]
	s_and_b64 s[4:5], s[2:3], vcc
	; wave barrier
	s_and_saveexec_b64 s[2:3], s[4:5]
	s_cbranch_execz .LBB1954_119
; %bb.118:
	v_bcnt_u32_b32 v1, v2, 0
	v_bcnt_u32_b32 v1, v3, v1
	s_waitcnt lgkmcnt(0)
	v_add_u32_e32 v1, v43, v1
	ds_write_b32 v44, v1 offset:64
.LBB1954_119:
	s_or_b64 exec, exec, s[2:3]
	s_waitcnt vmcnt(2)
	v_xor_b32_e32 v27, 0xffff8000, v27
	v_lshrrev_b32_sdwa v1, s20, v27 dst_sel:DWORD dst_unused:UNUSED_PAD src0_sel:DWORD src1_sel:WORD_0
	v_and_b32_e32 v2, s21, v1
	v_mul_u32_u24_e32 v1, 17, v2
	v_add_lshl_u32 v47, v17, v1, 2
	v_and_b32_e32 v1, 1, v2
	v_add_co_u32_e32 v3, vcc, -1, v1
	v_addc_co_u32_e64 v48, s[2:3], 0, -1, vcc
	v_cmp_ne_u32_e32 vcc, 0, v1
	v_xor_b32_e32 v1, vcc_hi, v48
	v_and_b32_e32 v48, exec_hi, v1
	v_lshlrev_b32_e32 v1, 30, v2
	v_xor_b32_e32 v3, vcc_lo, v3
	v_cmp_gt_i64_e32 vcc, 0, v[0:1]
	v_not_b32_e32 v1, v1
	v_ashrrev_i32_e32 v1, 31, v1
	v_and_b32_e32 v3, exec_lo, v3
	v_xor_b32_e32 v49, vcc_hi, v1
	v_xor_b32_e32 v1, vcc_lo, v1
	v_and_b32_e32 v3, v3, v1
	v_lshlrev_b32_e32 v1, 29, v2
	v_cmp_gt_i64_e32 vcc, 0, v[0:1]
	v_not_b32_e32 v1, v1
	v_ashrrev_i32_e32 v1, 31, v1
	v_and_b32_e32 v48, v48, v49
	v_xor_b32_e32 v49, vcc_hi, v1
	v_xor_b32_e32 v1, vcc_lo, v1
	v_and_b32_e32 v3, v3, v1
	v_lshlrev_b32_e32 v1, 28, v2
	v_cmp_gt_i64_e32 vcc, 0, v[0:1]
	v_not_b32_e32 v1, v1
	v_ashrrev_i32_e32 v1, 31, v1
	v_and_b32_e32 v48, v48, v49
	;; [unrolled: 8-line block ×5, first 2 shown]
	v_xor_b32_e32 v49, vcc_hi, v1
	v_xor_b32_e32 v1, vcc_lo, v1
	v_and_b32_e32 v3, v3, v1
	v_lshlrev_b32_e32 v1, 24, v2
	v_cmp_gt_i64_e32 vcc, 0, v[0:1]
	v_not_b32_e32 v0, v1
	v_ashrrev_i32_e32 v0, 31, v0
	v_xor_b32_e32 v1, vcc_hi, v0
	v_xor_b32_e32 v0, vcc_lo, v0
	; wave barrier
	ds_read_b32 v46, v47 offset:64
	v_and_b32_e32 v48, v48, v49
	v_and_b32_e32 v0, v3, v0
	;; [unrolled: 1-line block ×3, first 2 shown]
	v_mbcnt_lo_u32_b32 v2, v0, 0
	v_mbcnt_hi_u32_b32 v48, v1, v2
	v_cmp_eq_u32_e32 vcc, 0, v48
	v_cmp_ne_u64_e64 s[2:3], 0, v[0:1]
	s_and_b64 s[4:5], s[2:3], vcc
	; wave barrier
	s_and_saveexec_b64 s[2:3], s[4:5]
	s_cbranch_execz .LBB1954_121
; %bb.120:
	v_bcnt_u32_b32 v0, v0, 0
	v_bcnt_u32_b32 v0, v1, v0
	s_waitcnt lgkmcnt(0)
	v_add_u32_e32 v0, v46, v0
	ds_write_b32 v47, v0 offset:64
.LBB1954_121:
	s_or_b64 exec, exec, s[2:3]
	s_waitcnt vmcnt(1)
	v_xor_b32_e32 v22, 0xffff8000, v22
	v_lshrrev_b32_sdwa v0, s20, v22 dst_sel:DWORD dst_unused:UNUSED_PAD src0_sel:DWORD src1_sel:WORD_0
	v_and_b32_e32 v2, s21, v0
	v_and_b32_e32 v1, 1, v2
	v_add_co_u32_e32 v3, vcc, -1, v1
	v_addc_co_u32_e64 v51, s[2:3], 0, -1, vcc
	v_cmp_ne_u32_e32 vcc, 0, v1
	v_mul_u32_u24_e32 v0, 17, v2
	v_xor_b32_e32 v1, vcc_hi, v51
	v_add_lshl_u32 v50, v17, v0, 2
	v_mov_b32_e32 v0, 0
	v_and_b32_e32 v51, exec_hi, v1
	v_lshlrev_b32_e32 v1, 30, v2
	v_xor_b32_e32 v3, vcc_lo, v3
	v_cmp_gt_i64_e32 vcc, 0, v[0:1]
	v_not_b32_e32 v1, v1
	v_ashrrev_i32_e32 v1, 31, v1
	v_and_b32_e32 v3, exec_lo, v3
	v_xor_b32_e32 v52, vcc_hi, v1
	v_xor_b32_e32 v1, vcc_lo, v1
	v_and_b32_e32 v3, v3, v1
	v_lshlrev_b32_e32 v1, 29, v2
	v_cmp_gt_i64_e32 vcc, 0, v[0:1]
	v_not_b32_e32 v1, v1
	v_ashrrev_i32_e32 v1, 31, v1
	v_and_b32_e32 v51, v51, v52
	v_xor_b32_e32 v52, vcc_hi, v1
	v_xor_b32_e32 v1, vcc_lo, v1
	v_and_b32_e32 v3, v3, v1
	v_lshlrev_b32_e32 v1, 28, v2
	v_cmp_gt_i64_e32 vcc, 0, v[0:1]
	v_not_b32_e32 v1, v1
	v_ashrrev_i32_e32 v1, 31, v1
	v_and_b32_e32 v51, v51, v52
	;; [unrolled: 8-line block ×5, first 2 shown]
	v_xor_b32_e32 v52, vcc_hi, v1
	v_xor_b32_e32 v1, vcc_lo, v1
	v_and_b32_e32 v51, v51, v52
	v_and_b32_e32 v52, v3, v1
	v_lshlrev_b32_e32 v1, 24, v2
	v_cmp_gt_i64_e32 vcc, 0, v[0:1]
	v_not_b32_e32 v1, v1
	v_ashrrev_i32_e32 v1, 31, v1
	v_xor_b32_e32 v2, vcc_hi, v1
	v_xor_b32_e32 v1, vcc_lo, v1
	; wave barrier
	ds_read_b32 v49, v50 offset:64
	v_and_b32_e32 v3, v51, v2
	v_and_b32_e32 v2, v52, v1
	v_mbcnt_lo_u32_b32 v1, v2, 0
	v_mbcnt_hi_u32_b32 v51, v3, v1
	v_cmp_eq_u32_e32 vcc, 0, v51
	v_cmp_ne_u64_e64 s[2:3], 0, v[2:3]
	s_and_b64 s[4:5], s[2:3], vcc
	; wave barrier
	s_and_saveexec_b64 s[2:3], s[4:5]
	s_cbranch_execz .LBB1954_123
; %bb.122:
	v_bcnt_u32_b32 v1, v2, 0
	v_bcnt_u32_b32 v1, v3, v1
	s_waitcnt lgkmcnt(0)
	v_add_u32_e32 v1, v49, v1
	ds_write_b32 v50, v1 offset:64
.LBB1954_123:
	s_or_b64 exec, exec, s[2:3]
	s_waitcnt vmcnt(0)
	v_xor_b32_e32 v16, 0xffff8000, v16
	v_lshrrev_b32_sdwa v1, s20, v16 dst_sel:DWORD dst_unused:UNUSED_PAD src0_sel:DWORD src1_sel:WORD_0
	v_and_b32_e32 v2, s21, v1
	v_mul_u32_u24_e32 v1, 17, v2
	v_add_lshl_u32 v53, v17, v1, 2
	v_and_b32_e32 v1, 1, v2
	v_add_co_u32_e32 v3, vcc, -1, v1
	v_addc_co_u32_e64 v17, s[2:3], 0, -1, vcc
	v_cmp_ne_u32_e32 vcc, 0, v1
	v_xor_b32_e32 v1, vcc_hi, v17
	v_and_b32_e32 v17, exec_hi, v1
	v_lshlrev_b32_e32 v1, 30, v2
	v_xor_b32_e32 v3, vcc_lo, v3
	v_cmp_gt_i64_e32 vcc, 0, v[0:1]
	v_not_b32_e32 v1, v1
	v_ashrrev_i32_e32 v1, 31, v1
	v_and_b32_e32 v3, exec_lo, v3
	v_xor_b32_e32 v55, vcc_hi, v1
	v_xor_b32_e32 v1, vcc_lo, v1
	v_and_b32_e32 v3, v3, v1
	v_lshlrev_b32_e32 v1, 29, v2
	v_cmp_gt_i64_e32 vcc, 0, v[0:1]
	v_not_b32_e32 v1, v1
	v_ashrrev_i32_e32 v1, 31, v1
	v_and_b32_e32 v17, v17, v55
	v_xor_b32_e32 v55, vcc_hi, v1
	v_xor_b32_e32 v1, vcc_lo, v1
	v_and_b32_e32 v3, v3, v1
	v_lshlrev_b32_e32 v1, 28, v2
	v_cmp_gt_i64_e32 vcc, 0, v[0:1]
	v_not_b32_e32 v1, v1
	v_ashrrev_i32_e32 v1, 31, v1
	v_and_b32_e32 v17, v17, v55
	;; [unrolled: 8-line block ×5, first 2 shown]
	v_xor_b32_e32 v55, vcc_hi, v1
	v_xor_b32_e32 v1, vcc_lo, v1
	v_and_b32_e32 v3, v3, v1
	v_lshlrev_b32_e32 v1, 24, v2
	v_cmp_gt_i64_e32 vcc, 0, v[0:1]
	v_not_b32_e32 v0, v1
	v_ashrrev_i32_e32 v0, 31, v0
	v_xor_b32_e32 v1, vcc_hi, v0
	v_xor_b32_e32 v0, vcc_lo, v0
	; wave barrier
	ds_read_b32 v52, v53 offset:64
	v_and_b32_e32 v17, v17, v55
	v_and_b32_e32 v0, v3, v0
	;; [unrolled: 1-line block ×3, first 2 shown]
	v_mbcnt_lo_u32_b32 v2, v0, 0
	v_mbcnt_hi_u32_b32 v55, v1, v2
	v_cmp_eq_u32_e32 vcc, 0, v55
	v_cmp_ne_u64_e64 s[2:3], 0, v[0:1]
	v_add_u32_e32 v54, 64, v6
	s_and_b64 s[4:5], s[2:3], vcc
	; wave barrier
	s_and_saveexec_b64 s[2:3], s[4:5]
	s_cbranch_execz .LBB1954_125
; %bb.124:
	v_bcnt_u32_b32 v0, v0, 0
	v_bcnt_u32_b32 v0, v1, v0
	s_waitcnt lgkmcnt(0)
	v_add_u32_e32 v0, v52, v0
	ds_write_b32 v53, v0 offset:64
.LBB1954_125:
	s_or_b64 exec, exec, s[2:3]
	; wave barrier
	s_waitcnt lgkmcnt(0)
	s_barrier
	ds_read2_b32 v[2:3], v6 offset0:16 offset1:17
	ds_read2_b32 v[0:1], v54 offset0:2 offset1:3
	ds_read_b32 v17, v54 offset:16
	v_cmp_lt_u32_e64 s[8:9], 31, v5
	s_waitcnt lgkmcnt(1)
	v_add3_u32 v56, v3, v2, v0
	s_waitcnt lgkmcnt(0)
	v_add3_u32 v17, v56, v1, v17
	v_and_b32_e32 v56, 15, v5
	v_cmp_eq_u32_e32 vcc, 0, v56
	v_mov_b32_dpp v57, v17 row_shr:1 row_mask:0xf bank_mask:0xf
	v_cndmask_b32_e64 v57, v57, 0, vcc
	v_add_u32_e32 v17, v57, v17
	v_cmp_lt_u32_e64 s[2:3], 1, v56
	v_cmp_lt_u32_e64 s[4:5], 3, v56
	v_mov_b32_dpp v57, v17 row_shr:2 row_mask:0xf bank_mask:0xf
	v_cndmask_b32_e64 v57, 0, v57, s[2:3]
	v_add_u32_e32 v17, v17, v57
	v_cmp_lt_u32_e64 s[6:7], 7, v56
	s_nop 0
	v_mov_b32_dpp v57, v17 row_shr:4 row_mask:0xf bank_mask:0xf
	v_cndmask_b32_e64 v57, 0, v57, s[4:5]
	v_add_u32_e32 v17, v17, v57
	s_nop 1
	v_mov_b32_dpp v57, v17 row_shr:8 row_mask:0xf bank_mask:0xf
	v_cndmask_b32_e64 v56, 0, v57, s[6:7]
	v_add_u32_e32 v17, v17, v56
	v_bfe_i32 v57, v5, 4, 1
	s_nop 0
	v_mov_b32_dpp v56, v17 row_bcast:15 row_mask:0xf bank_mask:0xf
	v_and_b32_e32 v56, v57, v56
	v_add_u32_e32 v17, v17, v56
	v_lshrrev_b32_e32 v57, 6, v10
	s_nop 0
	v_mov_b32_dpp v56, v17 row_bcast:31 row_mask:0xf bank_mask:0xf
	v_cndmask_b32_e64 v56, 0, v56, s[8:9]
	v_add_u32_e32 v56, v17, v56
	v_and_b32_e32 v17, 63, v10
	v_cmp_eq_u32_e64 s[8:9], 63, v17
	s_and_saveexec_b64 s[12:13], s[8:9]
	s_cbranch_execz .LBB1954_127
; %bb.126:
	v_lshlrev_b32_e32 v17, 2, v57
	ds_write_b32 v17, v56
.LBB1954_127:
	s_or_b64 exec, exec, s[12:13]
	v_cmp_gt_u32_e64 s[8:9], 16, v10
	v_lshlrev_b32_e32 v17, 2, v10
	s_waitcnt lgkmcnt(0)
	s_barrier
	s_and_saveexec_b64 s[12:13], s[8:9]
	s_cbranch_execz .LBB1954_129
; %bb.128:
	ds_read_b32 v58, v17
	s_waitcnt lgkmcnt(0)
	s_nop 0
	v_mov_b32_dpp v59, v58 row_shr:1 row_mask:0xf bank_mask:0xf
	v_cndmask_b32_e64 v59, v59, 0, vcc
	v_add_u32_e32 v58, v59, v58
	s_nop 1
	v_mov_b32_dpp v59, v58 row_shr:2 row_mask:0xf bank_mask:0xf
	v_cndmask_b32_e64 v59, 0, v59, s[2:3]
	v_add_u32_e32 v58, v58, v59
	s_nop 1
	v_mov_b32_dpp v59, v58 row_shr:4 row_mask:0xf bank_mask:0xf
	v_cndmask_b32_e64 v59, 0, v59, s[4:5]
	;; [unrolled: 4-line block ×3, first 2 shown]
	v_add_u32_e32 v58, v58, v59
	ds_write_b32 v17, v58
.LBB1954_129:
	s_or_b64 exec, exec, s[12:13]
	v_cmp_lt_u32_e32 vcc, 63, v10
	v_mov_b32_e32 v58, 0
	s_waitcnt lgkmcnt(0)
	s_barrier
	s_and_saveexec_b64 s[2:3], vcc
	s_cbranch_execz .LBB1954_131
; %bb.130:
	v_lshl_add_u32 v57, v57, 2, -4
	ds_read_b32 v58, v57
.LBB1954_131:
	s_or_b64 exec, exec, s[2:3]
	v_add_u32_e32 v57, -1, v5
	v_and_b32_e32 v59, 64, v5
	v_cmp_lt_i32_e32 vcc, v57, v59
	v_cndmask_b32_e32 v57, v57, v5, vcc
	s_waitcnt lgkmcnt(0)
	v_add_u32_e32 v56, v58, v56
	v_lshlrev_b32_e32 v57, 2, v57
	ds_bpermute_b32 v56, v57, v56
	v_cmp_eq_u32_e32 vcc, 0, v5
	s_movk_i32 s2, 0xff
	s_movk_i32 s3, 0x100
	s_waitcnt lgkmcnt(0)
	v_cndmask_b32_e32 v5, v56, v58, vcc
	v_cndmask_b32_e64 v5, v5, 0, s[0:1]
	v_add_u32_e32 v2, v5, v2
	v_add_u32_e32 v3, v2, v3
	;; [unrolled: 1-line block ×4, first 2 shown]
	ds_write2_b32 v6, v5, v2 offset0:16 offset1:17
	ds_write2_b32 v54, v3, v0 offset0:2 offset1:3
	ds_write_b32 v54, v1 offset:16
	s_waitcnt lgkmcnt(0)
	s_barrier
	ds_read_b32 v58, v7 offset:64
	ds_read_b32 v57, v12 offset:64
	;; [unrolled: 1-line block ×12, first 2 shown]
	v_cmp_lt_u32_e64 s[0:1], s2, v10
	v_cmp_gt_u32_e32 vcc, s3, v10
                                        ; implicit-def: $vgpr6
                                        ; implicit-def: $vgpr7
	s_and_saveexec_b64 s[4:5], vcc
	s_cbranch_execz .LBB1954_135
; %bb.132:
	v_mul_u32_u24_e32 v6, 17, v10
	v_lshlrev_b32_e32 v28, 2, v6
	ds_read_b32 v6, v28 offset:64
	v_cmp_ne_u32_e64 s[2:3], s2, v10
	v_mov_b32_e32 v7, 0x3000
	s_and_saveexec_b64 s[6:7], s[2:3]
	s_cbranch_execz .LBB1954_134
; %bb.133:
	ds_read_b32 v7, v28 offset:132
.LBB1954_134:
	s_or_b64 exec, exec, s[6:7]
	s_waitcnt lgkmcnt(0)
	v_sub_u32_e32 v7, v7, v6
.LBB1954_135:
	s_or_b64 exec, exec, s[4:5]
	v_add_u32_e32 v11, v13, v11
	s_waitcnt lgkmcnt(11)
	v_add_lshl_u32 v8, v58, v8, 1
	v_add_u32_e32 v15, v19, v15
	s_waitcnt lgkmcnt(0)
	s_barrier
	ds_write_b16 v8, v4 offset:1024
	v_add_lshl_u32 v4, v11, v57, 1
	v_add_u32_e32 v21, v24, v21
	ds_write_b16 v4, v9 offset:1024
	v_add_lshl_u32 v4, v15, v56, 1
	v_add_u32_e32 v26, v30, v26
	;; [unrolled: 3-line block ×5, first 2 shown]
	v_add_u32_e32 v33, v51, v49
	v_add_u32_e32 v38, v48, v46
	;; [unrolled: 1-line block ×4, first 2 shown]
	ds_write_b16 v4, v29 offset:1024
	v_add_lshl_u32 v4, v36, v12, 1
	ds_write_b16 v4, v34 offset:1024
	v_add_lshl_u32 v4, v40, v5, 1
	v_add_lshl_u32 v3, v41, v3, 1
	;; [unrolled: 1-line block ×5, first 2 shown]
	ds_write_b16 v4, v37 offset:1024
	ds_write_b16 v3, v32 offset:1024
	;; [unrolled: 1-line block ×5, first 2 shown]
	s_and_saveexec_b64 s[2:3], s[0:1]
	s_xor_b64 s[0:1], exec, s[2:3]
; %bb.136:
	v_mov_b32_e32 v11, 0
                                        ; implicit-def: $vgpr17
; %bb.137:
	s_andn2_saveexec_b64 s[2:3], s[0:1]
	s_cbranch_execz .LBB1954_147
; %bb.138:
	v_lshl_or_b32 v0, s30, 8, v10
	v_mov_b32_e32 v1, 0
	v_lshlrev_b64 v[2:3], 2, v[0:1]
	v_mov_b32_e32 v8, s15
	v_add_co_u32_e64 v2, s[0:1], s14, v2
	v_addc_co_u32_e64 v3, s[0:1], v8, v3, s[0:1]
	v_or_b32_e32 v0, 2.0, v7
	s_mov_b64 s[4:5], 0
	s_brev_b32 s12, 1
	s_mov_b32 s13, s30
	v_mov_b32_e32 v9, 0
	global_store_dword v[2:3], v0, off
                                        ; implicit-def: $sgpr0_sgpr1
	s_branch .LBB1954_141
.LBB1954_139:                           ;   in Loop: Header=BB1954_141 Depth=1
	s_or_b64 exec, exec, s[8:9]
.LBB1954_140:                           ;   in Loop: Header=BB1954_141 Depth=1
	s_or_b64 exec, exec, s[6:7]
	v_and_b32_e32 v4, 0x3fffffff, v11
	v_add_u32_e32 v9, v4, v9
	v_cmp_eq_u32_e64 s[0:1], s12, v0
	s_and_b64 s[6:7], exec, s[0:1]
	s_or_b64 s[4:5], s[6:7], s[4:5]
	s_andn2_b64 exec, exec, s[4:5]
	s_cbranch_execz .LBB1954_146
.LBB1954_141:                           ; =>This Loop Header: Depth=1
                                        ;     Child Loop BB1954_144 Depth 2
	s_or_b64 s[0:1], s[0:1], exec
	s_cmp_eq_u32 s13, 0
	s_cbranch_scc1 .LBB1954_145
; %bb.142:                              ;   in Loop: Header=BB1954_141 Depth=1
	s_add_i32 s13, s13, -1
	v_lshl_or_b32 v0, s13, 8, v10
	v_lshlrev_b64 v[4:5], 2, v[0:1]
	v_add_co_u32_e64 v4, s[0:1], s14, v4
	v_addc_co_u32_e64 v5, s[0:1], v8, v5, s[0:1]
	global_load_dword v11, v[4:5], off glc
	s_waitcnt vmcnt(0)
	v_and_b32_e32 v0, -2.0, v11
	v_cmp_eq_u32_e64 s[0:1], 0, v0
	s_and_saveexec_b64 s[6:7], s[0:1]
	s_cbranch_execz .LBB1954_140
; %bb.143:                              ;   in Loop: Header=BB1954_141 Depth=1
	s_mov_b64 s[8:9], 0
.LBB1954_144:                           ;   Parent Loop BB1954_141 Depth=1
                                        ; =>  This Inner Loop Header: Depth=2
	global_load_dword v11, v[4:5], off glc
	s_waitcnt vmcnt(0)
	v_and_b32_e32 v0, -2.0, v11
	v_cmp_ne_u32_e64 s[0:1], 0, v0
	s_or_b64 s[8:9], s[0:1], s[8:9]
	s_andn2_b64 exec, exec, s[8:9]
	s_cbranch_execnz .LBB1954_144
	s_branch .LBB1954_139
.LBB1954_145:                           ;   in Loop: Header=BB1954_141 Depth=1
                                        ; implicit-def: $sgpr13
	s_and_b64 s[6:7], exec, s[0:1]
	s_or_b64 s[4:5], s[6:7], s[4:5]
	s_andn2_b64 exec, exec, s[4:5]
	s_cbranch_execnz .LBB1954_141
.LBB1954_146:
	s_or_b64 exec, exec, s[4:5]
	v_add_u32_e32 v0, v9, v7
	v_or_b32_e32 v0, 0x80000000, v0
	global_store_dword v[2:3], v0, off
	global_load_dword v0, v17, s[16:17]
	v_sub_u32_e32 v1, v9, v6
	v_mov_b32_e32 v11, 0
	s_waitcnt vmcnt(0)
	v_add_u32_e32 v0, v1, v0
	ds_write_b32 v17, v0
.LBB1954_147:
	s_or_b64 exec, exec, s[2:3]
	v_lshlrev_b32_e32 v0, 1, v10
	s_waitcnt lgkmcnt(0)
	s_barrier
	v_lshlrev_b32_e32 v1, 1, v10
	ds_read_u16 v0, v0 offset:1024
	ds_read_u16 v4, v1 offset:3072
	;; [unrolled: 1-line block ×7, first 2 shown]
	s_waitcnt lgkmcnt(6)
	v_lshrrev_b32_sdwa v2, s20, v0 dst_sel:DWORD dst_unused:UNUSED_PAD src0_sel:DWORD src1_sel:WORD_0
	v_and_b32_e32 v2, s21, v2
	s_waitcnt lgkmcnt(4)
	v_lshrrev_b32_sdwa v3, s20, v5 dst_sel:DWORD dst_unused:UNUSED_PAD src0_sel:DWORD src1_sel:WORD_0
	v_xor_b32_e32 v14, 0xffff8000, v0
	v_lshlrev_b32_e32 v0, 2, v2
	v_lshrrev_b32_sdwa v2, s20, v4 dst_sel:DWORD dst_unused:UNUSED_PAD src0_sel:DWORD src1_sel:WORD_0
	v_and_b32_e32 v3, s21, v3
	v_and_b32_e32 v2, s21, v2
	v_lshlrev_b32_e32 v3, 2, v3
	v_lshlrev_b32_e32 v2, 2, v2
	ds_read_b32 v15, v3
	ds_read_b32 v0, v0
	ds_read_u16 v16, v1 offset:5120
	ds_read_u16 v17, v1 offset:9216
	;; [unrolled: 1-line block ×4, first 2 shown]
	ds_read_b32 v20, v2
	ds_read_u16 v21, v1 offset:21504
	s_waitcnt lgkmcnt(6)
	v_add_u32_e32 v0, v0, v10
	v_mov_b32_e32 v1, 0
	v_lshlrev_b64 v[2:3], 1, v[0:1]
	v_mov_b32_e32 v0, s27
	v_add_co_u32_e64 v2, s[0:1], s26, v2
	v_addc_co_u32_e64 v3, s[0:1], v0, v3, s[0:1]
	s_movk_i32 s0, 0x400
	s_waitcnt lgkmcnt(1)
	v_add3_u32 v0, v20, v10, s0
	global_store_short v[2:3], v14, off
	v_lshlrev_b64 v[2:3], 1, v[0:1]
	v_mov_b32_e32 v0, s27
	v_add_co_u32_e64 v2, s[0:1], s26, v2
	v_xor_b32_e32 v4, 0xffff8000, v4
	v_addc_co_u32_e64 v3, s[0:1], v0, v3, s[0:1]
	global_store_short v[2:3], v4, off
	v_lshrrev_b32_sdwa v0, s20, v16 dst_sel:DWORD dst_unused:UNUSED_PAD src0_sel:DWORD src1_sel:WORD_0
	v_xor_b32_e32 v4, 0xffff8000, v16
	v_lshrrev_b32_sdwa v14, s20, v18 dst_sel:DWORD dst_unused:UNUSED_PAD src0_sel:DWORD src1_sel:WORD_0
	v_lshrrev_b32_sdwa v16, s20, v9 dst_sel:DWORD dst_unused:UNUSED_PAD src0_sel:DWORD src1_sel:WORD_0
	;; [unrolled: 1-line block ×4, first 2 shown]
	s_waitcnt lgkmcnt(0)
	v_lshrrev_b32_sdwa v23, s20, v21 dst_sel:DWORD dst_unused:UNUSED_PAD src0_sel:DWORD src1_sel:WORD_0
	v_and_b32_e32 v0, s21, v0
	v_lshrrev_b32_sdwa v2, s20, v17 dst_sel:DWORD dst_unused:UNUSED_PAD src0_sel:DWORD src1_sel:WORD_0
	v_lshrrev_b32_sdwa v3, s20, v8 dst_sel:DWORD dst_unused:UNUSED_PAD src0_sel:DWORD src1_sel:WORD_0
	v_and_b32_e32 v14, s21, v14
	v_and_b32_e32 v16, s21, v16
	;; [unrolled: 1-line block ×5, first 2 shown]
	v_lshlrev_b32_e32 v0, 2, v0
	v_and_b32_e32 v2, s21, v2
	v_and_b32_e32 v3, s21, v3
	v_lshlrev_b32_e32 v14, 2, v14
	v_lshlrev_b32_e32 v16, 2, v16
	;; [unrolled: 1-line block ×5, first 2 shown]
	s_movk_i32 s0, 0x800
	v_lshlrev_b32_e32 v2, 2, v2
	v_lshlrev_b32_e32 v3, 2, v3
	ds_read_b32 v0, v0
	ds_read_b32 v24, v2
	;; [unrolled: 1-line block ×8, first 2 shown]
	s_waitcnt lgkmcnt(7)
	v_add3_u32 v0, v0, v10, s0
	v_lshlrev_b64 v[2:3], 1, v[0:1]
	v_mov_b32_e32 v0, s27
	v_add_co_u32_e64 v2, s[0:1], s26, v2
	v_addc_co_u32_e64 v3, s[0:1], v0, v3, s[0:1]
	s_movk_i32 s0, 0xc00
	v_add3_u32 v0, v15, v10, s0
	global_store_short v[2:3], v4, off
	v_lshlrev_b64 v[2:3], 1, v[0:1]
	v_mov_b32_e32 v0, s27
	v_add_co_u32_e64 v2, s[0:1], s26, v2
	v_addc_co_u32_e64 v3, s[0:1], v0, v3, s[0:1]
	s_movk_i32 s0, 0x1000
	v_xor_b32_e32 v4, 0xffff8000, v5
	s_waitcnt lgkmcnt(6)
	v_add3_u32 v0, v24, v10, s0
	global_store_short v[2:3], v4, off
	v_lshlrev_b64 v[2:3], 1, v[0:1]
	v_mov_b32_e32 v0, s27
	v_add_co_u32_e64 v2, s[0:1], s26, v2
	v_addc_co_u32_e64 v3, s[0:1], v0, v3, s[0:1]
	s_movk_i32 s0, 0x1400
	v_xor_b32_e32 v4, 0xffff8000, v17
	s_waitcnt lgkmcnt(5)
	;; [unrolled: 9-line block ×6, first 2 shown]
	v_add3_u32 v0, v22, v10, s0
	global_store_short v[2:3], v4, off
	v_lshlrev_b64 v[2:3], 1, v[0:1]
	v_mov_b32_e32 v0, s27
	v_add_co_u32_e64 v2, s[0:1], s26, v2
	v_lshrrev_b32_sdwa v5, s20, v13 dst_sel:DWORD dst_unused:UNUSED_PAD src0_sel:DWORD src1_sel:WORD_0
	v_addc_co_u32_e64 v3, s[0:1], v0, v3, s[0:1]
	v_and_b32_e32 v5, s21, v5
	s_movk_i32 s0, 0x2800
	v_lshlrev_b32_e32 v5, 2, v5
	v_xor_b32_e32 v4, 0xffff8000, v12
	s_waitcnt lgkmcnt(0)
	v_add3_u32 v0, v23, v10, s0
	ds_read_b32 v5, v5
	global_store_short v[2:3], v4, off
	v_lshlrev_b64 v[2:3], 1, v[0:1]
	v_mov_b32_e32 v0, s27
	v_add_co_u32_e64 v2, s[0:1], s26, v2
	v_addc_co_u32_e64 v3, s[0:1], v0, v3, s[0:1]
	s_movk_i32 s0, 0x2c00
	s_waitcnt lgkmcnt(0)
	v_add3_u32 v0, v5, v10, s0
	v_xor_b32_e32 v4, 0xffff8000, v21
	v_lshlrev_b64 v[0:1], 1, v[0:1]
	global_store_short v[2:3], v4, off
	v_mov_b32_e32 v3, s27
	v_add_co_u32_e64 v0, s[0:1], s26, v0
	s_add_i32 s22, s22, -1
	v_addc_co_u32_e64 v1, s[0:1], v3, v1, s[0:1]
	s_cmp_eq_u32 s22, s30
	s_cselect_b64 s[0:1], -1, 0
	v_xor_b32_e32 v2, 0xffff8000, v13
	s_and_b64 s[2:3], vcc, s[0:1]
	global_store_short v[0:1], v2, off
                                        ; implicit-def: $vgpr2
	s_and_saveexec_b64 s[0:1], s[2:3]
; %bb.148:
	v_add_u32_e32 v2, v6, v7
	s_or_b64 s[10:11], s[10:11], exec
; %bb.149:
	s_or_b64 exec, exec, s[0:1]
.LBB1954_150:
	s_and_saveexec_b64 s[0:1], s[10:11]
	s_cbranch_execnz .LBB1954_152
; %bb.151:
	s_endpgm
.LBB1954_152:
	v_lshlrev_b32_e32 v3, 2, v10
	ds_read_b32 v3, v3
	v_lshlrev_b64 v[0:1], 2, v[10:11]
	v_mov_b32_e32 v4, s19
	v_add_co_u32_e32 v0, vcc, s18, v0
	v_addc_co_u32_e32 v1, vcc, v4, v1, vcc
	s_waitcnt lgkmcnt(0)
	v_add_u32_e32 v2, v3, v2
	global_store_dword v[0:1], v2, off
	s_endpgm
	.section	.rodata,"a",@progbits
	.p2align	6, 0x0
	.amdhsa_kernel _ZN7rocprim17ROCPRIM_400000_NS6detail17trampoline_kernelINS0_14default_configENS1_35radix_sort_onesweep_config_selectorIsNS0_10empty_typeEEEZZNS1_29radix_sort_onesweep_iterationIS3_Lb0EN6thrust23THRUST_200600_302600_NS6detail15normal_iteratorINS9_10device_ptrIsEEEESE_PS5_SF_jNS0_19identity_decomposerENS1_16block_id_wrapperIjLb1EEEEE10hipError_tT1_PNSt15iterator_traitsISK_E10value_typeET2_T3_PNSL_ISQ_E10value_typeET4_T5_PSV_SW_PNS1_23onesweep_lookback_stateEbbT6_jjT7_P12ihipStream_tbENKUlT_T0_SK_SP_E_clISE_SE_SF_SF_EEDaS13_S14_SK_SP_EUlS13_E_NS1_11comp_targetILNS1_3genE4ELNS1_11target_archE910ELNS1_3gpuE8ELNS1_3repE0EEENS1_47radix_sort_onesweep_sort_config_static_selectorELNS0_4arch9wavefront6targetE1EEEvSK_
		.amdhsa_group_segment_fixed_size 25608
		.amdhsa_private_segment_fixed_size 0
		.amdhsa_kernarg_size 344
		.amdhsa_user_sgpr_count 6
		.amdhsa_user_sgpr_private_segment_buffer 1
		.amdhsa_user_sgpr_dispatch_ptr 0
		.amdhsa_user_sgpr_queue_ptr 0
		.amdhsa_user_sgpr_kernarg_segment_ptr 1
		.amdhsa_user_sgpr_dispatch_id 0
		.amdhsa_user_sgpr_flat_scratch_init 0
		.amdhsa_user_sgpr_kernarg_preload_length 0
		.amdhsa_user_sgpr_kernarg_preload_offset 0
		.amdhsa_user_sgpr_private_segment_size 0
		.amdhsa_uses_dynamic_stack 0
		.amdhsa_system_sgpr_private_segment_wavefront_offset 0
		.amdhsa_system_sgpr_workgroup_id_x 1
		.amdhsa_system_sgpr_workgroup_id_y 0
		.amdhsa_system_sgpr_workgroup_id_z 0
		.amdhsa_system_sgpr_workgroup_info 0
		.amdhsa_system_vgpr_workitem_id 2
		.amdhsa_next_free_vgpr 62
		.amdhsa_next_free_sgpr 35
		.amdhsa_accum_offset 64
		.amdhsa_reserve_vcc 1
		.amdhsa_reserve_flat_scratch 0
		.amdhsa_float_round_mode_32 0
		.amdhsa_float_round_mode_16_64 0
		.amdhsa_float_denorm_mode_32 3
		.amdhsa_float_denorm_mode_16_64 3
		.amdhsa_dx10_clamp 1
		.amdhsa_ieee_mode 1
		.amdhsa_fp16_overflow 0
		.amdhsa_tg_split 0
		.amdhsa_exception_fp_ieee_invalid_op 0
		.amdhsa_exception_fp_denorm_src 0
		.amdhsa_exception_fp_ieee_div_zero 0
		.amdhsa_exception_fp_ieee_overflow 0
		.amdhsa_exception_fp_ieee_underflow 0
		.amdhsa_exception_fp_ieee_inexact 0
		.amdhsa_exception_int_div_zero 0
	.end_amdhsa_kernel
	.section	.text._ZN7rocprim17ROCPRIM_400000_NS6detail17trampoline_kernelINS0_14default_configENS1_35radix_sort_onesweep_config_selectorIsNS0_10empty_typeEEEZZNS1_29radix_sort_onesweep_iterationIS3_Lb0EN6thrust23THRUST_200600_302600_NS6detail15normal_iteratorINS9_10device_ptrIsEEEESE_PS5_SF_jNS0_19identity_decomposerENS1_16block_id_wrapperIjLb1EEEEE10hipError_tT1_PNSt15iterator_traitsISK_E10value_typeET2_T3_PNSL_ISQ_E10value_typeET4_T5_PSV_SW_PNS1_23onesweep_lookback_stateEbbT6_jjT7_P12ihipStream_tbENKUlT_T0_SK_SP_E_clISE_SE_SF_SF_EEDaS13_S14_SK_SP_EUlS13_E_NS1_11comp_targetILNS1_3genE4ELNS1_11target_archE910ELNS1_3gpuE8ELNS1_3repE0EEENS1_47radix_sort_onesweep_sort_config_static_selectorELNS0_4arch9wavefront6targetE1EEEvSK_,"axG",@progbits,_ZN7rocprim17ROCPRIM_400000_NS6detail17trampoline_kernelINS0_14default_configENS1_35radix_sort_onesweep_config_selectorIsNS0_10empty_typeEEEZZNS1_29radix_sort_onesweep_iterationIS3_Lb0EN6thrust23THRUST_200600_302600_NS6detail15normal_iteratorINS9_10device_ptrIsEEEESE_PS5_SF_jNS0_19identity_decomposerENS1_16block_id_wrapperIjLb1EEEEE10hipError_tT1_PNSt15iterator_traitsISK_E10value_typeET2_T3_PNSL_ISQ_E10value_typeET4_T5_PSV_SW_PNS1_23onesweep_lookback_stateEbbT6_jjT7_P12ihipStream_tbENKUlT_T0_SK_SP_E_clISE_SE_SF_SF_EEDaS13_S14_SK_SP_EUlS13_E_NS1_11comp_targetILNS1_3genE4ELNS1_11target_archE910ELNS1_3gpuE8ELNS1_3repE0EEENS1_47radix_sort_onesweep_sort_config_static_selectorELNS0_4arch9wavefront6targetE1EEEvSK_,comdat
.Lfunc_end1954:
	.size	_ZN7rocprim17ROCPRIM_400000_NS6detail17trampoline_kernelINS0_14default_configENS1_35radix_sort_onesweep_config_selectorIsNS0_10empty_typeEEEZZNS1_29radix_sort_onesweep_iterationIS3_Lb0EN6thrust23THRUST_200600_302600_NS6detail15normal_iteratorINS9_10device_ptrIsEEEESE_PS5_SF_jNS0_19identity_decomposerENS1_16block_id_wrapperIjLb1EEEEE10hipError_tT1_PNSt15iterator_traitsISK_E10value_typeET2_T3_PNSL_ISQ_E10value_typeET4_T5_PSV_SW_PNS1_23onesweep_lookback_stateEbbT6_jjT7_P12ihipStream_tbENKUlT_T0_SK_SP_E_clISE_SE_SF_SF_EEDaS13_S14_SK_SP_EUlS13_E_NS1_11comp_targetILNS1_3genE4ELNS1_11target_archE910ELNS1_3gpuE8ELNS1_3repE0EEENS1_47radix_sort_onesweep_sort_config_static_selectorELNS0_4arch9wavefront6targetE1EEEvSK_, .Lfunc_end1954-_ZN7rocprim17ROCPRIM_400000_NS6detail17trampoline_kernelINS0_14default_configENS1_35radix_sort_onesweep_config_selectorIsNS0_10empty_typeEEEZZNS1_29radix_sort_onesweep_iterationIS3_Lb0EN6thrust23THRUST_200600_302600_NS6detail15normal_iteratorINS9_10device_ptrIsEEEESE_PS5_SF_jNS0_19identity_decomposerENS1_16block_id_wrapperIjLb1EEEEE10hipError_tT1_PNSt15iterator_traitsISK_E10value_typeET2_T3_PNSL_ISQ_E10value_typeET4_T5_PSV_SW_PNS1_23onesweep_lookback_stateEbbT6_jjT7_P12ihipStream_tbENKUlT_T0_SK_SP_E_clISE_SE_SF_SF_EEDaS13_S14_SK_SP_EUlS13_E_NS1_11comp_targetILNS1_3genE4ELNS1_11target_archE910ELNS1_3gpuE8ELNS1_3repE0EEENS1_47radix_sort_onesweep_sort_config_static_selectorELNS0_4arch9wavefront6targetE1EEEvSK_
                                        ; -- End function
	.section	.AMDGPU.csdata,"",@progbits
; Kernel info:
; codeLenInByte = 16052
; NumSgprs: 39
; NumVgprs: 62
; NumAgprs: 0
; TotalNumVgprs: 62
; ScratchSize: 0
; MemoryBound: 0
; FloatMode: 240
; IeeeMode: 1
; LDSByteSize: 25608 bytes/workgroup (compile time only)
; SGPRBlocks: 4
; VGPRBlocks: 7
; NumSGPRsForWavesPerEU: 39
; NumVGPRsForWavesPerEU: 62
; AccumOffset: 64
; Occupancy: 8
; WaveLimiterHint : 1
; COMPUTE_PGM_RSRC2:SCRATCH_EN: 0
; COMPUTE_PGM_RSRC2:USER_SGPR: 6
; COMPUTE_PGM_RSRC2:TRAP_HANDLER: 0
; COMPUTE_PGM_RSRC2:TGID_X_EN: 1
; COMPUTE_PGM_RSRC2:TGID_Y_EN: 0
; COMPUTE_PGM_RSRC2:TGID_Z_EN: 0
; COMPUTE_PGM_RSRC2:TIDIG_COMP_CNT: 2
; COMPUTE_PGM_RSRC3_GFX90A:ACCUM_OFFSET: 15
; COMPUTE_PGM_RSRC3_GFX90A:TG_SPLIT: 0
	.section	.text._ZN7rocprim17ROCPRIM_400000_NS6detail17trampoline_kernelINS0_14default_configENS1_35radix_sort_onesweep_config_selectorIsNS0_10empty_typeEEEZZNS1_29radix_sort_onesweep_iterationIS3_Lb0EN6thrust23THRUST_200600_302600_NS6detail15normal_iteratorINS9_10device_ptrIsEEEESE_PS5_SF_jNS0_19identity_decomposerENS1_16block_id_wrapperIjLb1EEEEE10hipError_tT1_PNSt15iterator_traitsISK_E10value_typeET2_T3_PNSL_ISQ_E10value_typeET4_T5_PSV_SW_PNS1_23onesweep_lookback_stateEbbT6_jjT7_P12ihipStream_tbENKUlT_T0_SK_SP_E_clISE_SE_SF_SF_EEDaS13_S14_SK_SP_EUlS13_E_NS1_11comp_targetILNS1_3genE3ELNS1_11target_archE908ELNS1_3gpuE7ELNS1_3repE0EEENS1_47radix_sort_onesweep_sort_config_static_selectorELNS0_4arch9wavefront6targetE1EEEvSK_,"axG",@progbits,_ZN7rocprim17ROCPRIM_400000_NS6detail17trampoline_kernelINS0_14default_configENS1_35radix_sort_onesweep_config_selectorIsNS0_10empty_typeEEEZZNS1_29radix_sort_onesweep_iterationIS3_Lb0EN6thrust23THRUST_200600_302600_NS6detail15normal_iteratorINS9_10device_ptrIsEEEESE_PS5_SF_jNS0_19identity_decomposerENS1_16block_id_wrapperIjLb1EEEEE10hipError_tT1_PNSt15iterator_traitsISK_E10value_typeET2_T3_PNSL_ISQ_E10value_typeET4_T5_PSV_SW_PNS1_23onesweep_lookback_stateEbbT6_jjT7_P12ihipStream_tbENKUlT_T0_SK_SP_E_clISE_SE_SF_SF_EEDaS13_S14_SK_SP_EUlS13_E_NS1_11comp_targetILNS1_3genE3ELNS1_11target_archE908ELNS1_3gpuE7ELNS1_3repE0EEENS1_47radix_sort_onesweep_sort_config_static_selectorELNS0_4arch9wavefront6targetE1EEEvSK_,comdat
	.protected	_ZN7rocprim17ROCPRIM_400000_NS6detail17trampoline_kernelINS0_14default_configENS1_35radix_sort_onesweep_config_selectorIsNS0_10empty_typeEEEZZNS1_29radix_sort_onesweep_iterationIS3_Lb0EN6thrust23THRUST_200600_302600_NS6detail15normal_iteratorINS9_10device_ptrIsEEEESE_PS5_SF_jNS0_19identity_decomposerENS1_16block_id_wrapperIjLb1EEEEE10hipError_tT1_PNSt15iterator_traitsISK_E10value_typeET2_T3_PNSL_ISQ_E10value_typeET4_T5_PSV_SW_PNS1_23onesweep_lookback_stateEbbT6_jjT7_P12ihipStream_tbENKUlT_T0_SK_SP_E_clISE_SE_SF_SF_EEDaS13_S14_SK_SP_EUlS13_E_NS1_11comp_targetILNS1_3genE3ELNS1_11target_archE908ELNS1_3gpuE7ELNS1_3repE0EEENS1_47radix_sort_onesweep_sort_config_static_selectorELNS0_4arch9wavefront6targetE1EEEvSK_ ; -- Begin function _ZN7rocprim17ROCPRIM_400000_NS6detail17trampoline_kernelINS0_14default_configENS1_35radix_sort_onesweep_config_selectorIsNS0_10empty_typeEEEZZNS1_29radix_sort_onesweep_iterationIS3_Lb0EN6thrust23THRUST_200600_302600_NS6detail15normal_iteratorINS9_10device_ptrIsEEEESE_PS5_SF_jNS0_19identity_decomposerENS1_16block_id_wrapperIjLb1EEEEE10hipError_tT1_PNSt15iterator_traitsISK_E10value_typeET2_T3_PNSL_ISQ_E10value_typeET4_T5_PSV_SW_PNS1_23onesweep_lookback_stateEbbT6_jjT7_P12ihipStream_tbENKUlT_T0_SK_SP_E_clISE_SE_SF_SF_EEDaS13_S14_SK_SP_EUlS13_E_NS1_11comp_targetILNS1_3genE3ELNS1_11target_archE908ELNS1_3gpuE7ELNS1_3repE0EEENS1_47radix_sort_onesweep_sort_config_static_selectorELNS0_4arch9wavefront6targetE1EEEvSK_
	.globl	_ZN7rocprim17ROCPRIM_400000_NS6detail17trampoline_kernelINS0_14default_configENS1_35radix_sort_onesweep_config_selectorIsNS0_10empty_typeEEEZZNS1_29radix_sort_onesweep_iterationIS3_Lb0EN6thrust23THRUST_200600_302600_NS6detail15normal_iteratorINS9_10device_ptrIsEEEESE_PS5_SF_jNS0_19identity_decomposerENS1_16block_id_wrapperIjLb1EEEEE10hipError_tT1_PNSt15iterator_traitsISK_E10value_typeET2_T3_PNSL_ISQ_E10value_typeET4_T5_PSV_SW_PNS1_23onesweep_lookback_stateEbbT6_jjT7_P12ihipStream_tbENKUlT_T0_SK_SP_E_clISE_SE_SF_SF_EEDaS13_S14_SK_SP_EUlS13_E_NS1_11comp_targetILNS1_3genE3ELNS1_11target_archE908ELNS1_3gpuE7ELNS1_3repE0EEENS1_47radix_sort_onesweep_sort_config_static_selectorELNS0_4arch9wavefront6targetE1EEEvSK_
	.p2align	8
	.type	_ZN7rocprim17ROCPRIM_400000_NS6detail17trampoline_kernelINS0_14default_configENS1_35radix_sort_onesweep_config_selectorIsNS0_10empty_typeEEEZZNS1_29radix_sort_onesweep_iterationIS3_Lb0EN6thrust23THRUST_200600_302600_NS6detail15normal_iteratorINS9_10device_ptrIsEEEESE_PS5_SF_jNS0_19identity_decomposerENS1_16block_id_wrapperIjLb1EEEEE10hipError_tT1_PNSt15iterator_traitsISK_E10value_typeET2_T3_PNSL_ISQ_E10value_typeET4_T5_PSV_SW_PNS1_23onesweep_lookback_stateEbbT6_jjT7_P12ihipStream_tbENKUlT_T0_SK_SP_E_clISE_SE_SF_SF_EEDaS13_S14_SK_SP_EUlS13_E_NS1_11comp_targetILNS1_3genE3ELNS1_11target_archE908ELNS1_3gpuE7ELNS1_3repE0EEENS1_47radix_sort_onesweep_sort_config_static_selectorELNS0_4arch9wavefront6targetE1EEEvSK_,@function
_ZN7rocprim17ROCPRIM_400000_NS6detail17trampoline_kernelINS0_14default_configENS1_35radix_sort_onesweep_config_selectorIsNS0_10empty_typeEEEZZNS1_29radix_sort_onesweep_iterationIS3_Lb0EN6thrust23THRUST_200600_302600_NS6detail15normal_iteratorINS9_10device_ptrIsEEEESE_PS5_SF_jNS0_19identity_decomposerENS1_16block_id_wrapperIjLb1EEEEE10hipError_tT1_PNSt15iterator_traitsISK_E10value_typeET2_T3_PNSL_ISQ_E10value_typeET4_T5_PSV_SW_PNS1_23onesweep_lookback_stateEbbT6_jjT7_P12ihipStream_tbENKUlT_T0_SK_SP_E_clISE_SE_SF_SF_EEDaS13_S14_SK_SP_EUlS13_E_NS1_11comp_targetILNS1_3genE3ELNS1_11target_archE908ELNS1_3gpuE7ELNS1_3repE0EEENS1_47radix_sort_onesweep_sort_config_static_selectorELNS0_4arch9wavefront6targetE1EEEvSK_: ; @_ZN7rocprim17ROCPRIM_400000_NS6detail17trampoline_kernelINS0_14default_configENS1_35radix_sort_onesweep_config_selectorIsNS0_10empty_typeEEEZZNS1_29radix_sort_onesweep_iterationIS3_Lb0EN6thrust23THRUST_200600_302600_NS6detail15normal_iteratorINS9_10device_ptrIsEEEESE_PS5_SF_jNS0_19identity_decomposerENS1_16block_id_wrapperIjLb1EEEEE10hipError_tT1_PNSt15iterator_traitsISK_E10value_typeET2_T3_PNSL_ISQ_E10value_typeET4_T5_PSV_SW_PNS1_23onesweep_lookback_stateEbbT6_jjT7_P12ihipStream_tbENKUlT_T0_SK_SP_E_clISE_SE_SF_SF_EEDaS13_S14_SK_SP_EUlS13_E_NS1_11comp_targetILNS1_3genE3ELNS1_11target_archE908ELNS1_3gpuE7ELNS1_3repE0EEENS1_47radix_sort_onesweep_sort_config_static_selectorELNS0_4arch9wavefront6targetE1EEEvSK_
; %bb.0:
	.section	.rodata,"a",@progbits
	.p2align	6, 0x0
	.amdhsa_kernel _ZN7rocprim17ROCPRIM_400000_NS6detail17trampoline_kernelINS0_14default_configENS1_35radix_sort_onesweep_config_selectorIsNS0_10empty_typeEEEZZNS1_29radix_sort_onesweep_iterationIS3_Lb0EN6thrust23THRUST_200600_302600_NS6detail15normal_iteratorINS9_10device_ptrIsEEEESE_PS5_SF_jNS0_19identity_decomposerENS1_16block_id_wrapperIjLb1EEEEE10hipError_tT1_PNSt15iterator_traitsISK_E10value_typeET2_T3_PNSL_ISQ_E10value_typeET4_T5_PSV_SW_PNS1_23onesweep_lookback_stateEbbT6_jjT7_P12ihipStream_tbENKUlT_T0_SK_SP_E_clISE_SE_SF_SF_EEDaS13_S14_SK_SP_EUlS13_E_NS1_11comp_targetILNS1_3genE3ELNS1_11target_archE908ELNS1_3gpuE7ELNS1_3repE0EEENS1_47radix_sort_onesweep_sort_config_static_selectorELNS0_4arch9wavefront6targetE1EEEvSK_
		.amdhsa_group_segment_fixed_size 0
		.amdhsa_private_segment_fixed_size 0
		.amdhsa_kernarg_size 88
		.amdhsa_user_sgpr_count 6
		.amdhsa_user_sgpr_private_segment_buffer 1
		.amdhsa_user_sgpr_dispatch_ptr 0
		.amdhsa_user_sgpr_queue_ptr 0
		.amdhsa_user_sgpr_kernarg_segment_ptr 1
		.amdhsa_user_sgpr_dispatch_id 0
		.amdhsa_user_sgpr_flat_scratch_init 0
		.amdhsa_user_sgpr_kernarg_preload_length 0
		.amdhsa_user_sgpr_kernarg_preload_offset 0
		.amdhsa_user_sgpr_private_segment_size 0
		.amdhsa_uses_dynamic_stack 0
		.amdhsa_system_sgpr_private_segment_wavefront_offset 0
		.amdhsa_system_sgpr_workgroup_id_x 1
		.amdhsa_system_sgpr_workgroup_id_y 0
		.amdhsa_system_sgpr_workgroup_id_z 0
		.amdhsa_system_sgpr_workgroup_info 0
		.amdhsa_system_vgpr_workitem_id 0
		.amdhsa_next_free_vgpr 1
		.amdhsa_next_free_sgpr 0
		.amdhsa_accum_offset 4
		.amdhsa_reserve_vcc 0
		.amdhsa_reserve_flat_scratch 0
		.amdhsa_float_round_mode_32 0
		.amdhsa_float_round_mode_16_64 0
		.amdhsa_float_denorm_mode_32 3
		.amdhsa_float_denorm_mode_16_64 3
		.amdhsa_dx10_clamp 1
		.amdhsa_ieee_mode 1
		.amdhsa_fp16_overflow 0
		.amdhsa_tg_split 0
		.amdhsa_exception_fp_ieee_invalid_op 0
		.amdhsa_exception_fp_denorm_src 0
		.amdhsa_exception_fp_ieee_div_zero 0
		.amdhsa_exception_fp_ieee_overflow 0
		.amdhsa_exception_fp_ieee_underflow 0
		.amdhsa_exception_fp_ieee_inexact 0
		.amdhsa_exception_int_div_zero 0
	.end_amdhsa_kernel
	.section	.text._ZN7rocprim17ROCPRIM_400000_NS6detail17trampoline_kernelINS0_14default_configENS1_35radix_sort_onesweep_config_selectorIsNS0_10empty_typeEEEZZNS1_29radix_sort_onesweep_iterationIS3_Lb0EN6thrust23THRUST_200600_302600_NS6detail15normal_iteratorINS9_10device_ptrIsEEEESE_PS5_SF_jNS0_19identity_decomposerENS1_16block_id_wrapperIjLb1EEEEE10hipError_tT1_PNSt15iterator_traitsISK_E10value_typeET2_T3_PNSL_ISQ_E10value_typeET4_T5_PSV_SW_PNS1_23onesweep_lookback_stateEbbT6_jjT7_P12ihipStream_tbENKUlT_T0_SK_SP_E_clISE_SE_SF_SF_EEDaS13_S14_SK_SP_EUlS13_E_NS1_11comp_targetILNS1_3genE3ELNS1_11target_archE908ELNS1_3gpuE7ELNS1_3repE0EEENS1_47radix_sort_onesweep_sort_config_static_selectorELNS0_4arch9wavefront6targetE1EEEvSK_,"axG",@progbits,_ZN7rocprim17ROCPRIM_400000_NS6detail17trampoline_kernelINS0_14default_configENS1_35radix_sort_onesweep_config_selectorIsNS0_10empty_typeEEEZZNS1_29radix_sort_onesweep_iterationIS3_Lb0EN6thrust23THRUST_200600_302600_NS6detail15normal_iteratorINS9_10device_ptrIsEEEESE_PS5_SF_jNS0_19identity_decomposerENS1_16block_id_wrapperIjLb1EEEEE10hipError_tT1_PNSt15iterator_traitsISK_E10value_typeET2_T3_PNSL_ISQ_E10value_typeET4_T5_PSV_SW_PNS1_23onesweep_lookback_stateEbbT6_jjT7_P12ihipStream_tbENKUlT_T0_SK_SP_E_clISE_SE_SF_SF_EEDaS13_S14_SK_SP_EUlS13_E_NS1_11comp_targetILNS1_3genE3ELNS1_11target_archE908ELNS1_3gpuE7ELNS1_3repE0EEENS1_47radix_sort_onesweep_sort_config_static_selectorELNS0_4arch9wavefront6targetE1EEEvSK_,comdat
.Lfunc_end1955:
	.size	_ZN7rocprim17ROCPRIM_400000_NS6detail17trampoline_kernelINS0_14default_configENS1_35radix_sort_onesweep_config_selectorIsNS0_10empty_typeEEEZZNS1_29radix_sort_onesweep_iterationIS3_Lb0EN6thrust23THRUST_200600_302600_NS6detail15normal_iteratorINS9_10device_ptrIsEEEESE_PS5_SF_jNS0_19identity_decomposerENS1_16block_id_wrapperIjLb1EEEEE10hipError_tT1_PNSt15iterator_traitsISK_E10value_typeET2_T3_PNSL_ISQ_E10value_typeET4_T5_PSV_SW_PNS1_23onesweep_lookback_stateEbbT6_jjT7_P12ihipStream_tbENKUlT_T0_SK_SP_E_clISE_SE_SF_SF_EEDaS13_S14_SK_SP_EUlS13_E_NS1_11comp_targetILNS1_3genE3ELNS1_11target_archE908ELNS1_3gpuE7ELNS1_3repE0EEENS1_47radix_sort_onesweep_sort_config_static_selectorELNS0_4arch9wavefront6targetE1EEEvSK_, .Lfunc_end1955-_ZN7rocprim17ROCPRIM_400000_NS6detail17trampoline_kernelINS0_14default_configENS1_35radix_sort_onesweep_config_selectorIsNS0_10empty_typeEEEZZNS1_29radix_sort_onesweep_iterationIS3_Lb0EN6thrust23THRUST_200600_302600_NS6detail15normal_iteratorINS9_10device_ptrIsEEEESE_PS5_SF_jNS0_19identity_decomposerENS1_16block_id_wrapperIjLb1EEEEE10hipError_tT1_PNSt15iterator_traitsISK_E10value_typeET2_T3_PNSL_ISQ_E10value_typeET4_T5_PSV_SW_PNS1_23onesweep_lookback_stateEbbT6_jjT7_P12ihipStream_tbENKUlT_T0_SK_SP_E_clISE_SE_SF_SF_EEDaS13_S14_SK_SP_EUlS13_E_NS1_11comp_targetILNS1_3genE3ELNS1_11target_archE908ELNS1_3gpuE7ELNS1_3repE0EEENS1_47radix_sort_onesweep_sort_config_static_selectorELNS0_4arch9wavefront6targetE1EEEvSK_
                                        ; -- End function
	.section	.AMDGPU.csdata,"",@progbits
; Kernel info:
; codeLenInByte = 0
; NumSgprs: 4
; NumVgprs: 0
; NumAgprs: 0
; TotalNumVgprs: 0
; ScratchSize: 0
; MemoryBound: 0
; FloatMode: 240
; IeeeMode: 1
; LDSByteSize: 0 bytes/workgroup (compile time only)
; SGPRBlocks: 0
; VGPRBlocks: 0
; NumSGPRsForWavesPerEU: 4
; NumVGPRsForWavesPerEU: 1
; AccumOffset: 4
; Occupancy: 8
; WaveLimiterHint : 0
; COMPUTE_PGM_RSRC2:SCRATCH_EN: 0
; COMPUTE_PGM_RSRC2:USER_SGPR: 6
; COMPUTE_PGM_RSRC2:TRAP_HANDLER: 0
; COMPUTE_PGM_RSRC2:TGID_X_EN: 1
; COMPUTE_PGM_RSRC2:TGID_Y_EN: 0
; COMPUTE_PGM_RSRC2:TGID_Z_EN: 0
; COMPUTE_PGM_RSRC2:TIDIG_COMP_CNT: 0
; COMPUTE_PGM_RSRC3_GFX90A:ACCUM_OFFSET: 0
; COMPUTE_PGM_RSRC3_GFX90A:TG_SPLIT: 0
	.section	.text._ZN7rocprim17ROCPRIM_400000_NS6detail17trampoline_kernelINS0_14default_configENS1_35radix_sort_onesweep_config_selectorIsNS0_10empty_typeEEEZZNS1_29radix_sort_onesweep_iterationIS3_Lb0EN6thrust23THRUST_200600_302600_NS6detail15normal_iteratorINS9_10device_ptrIsEEEESE_PS5_SF_jNS0_19identity_decomposerENS1_16block_id_wrapperIjLb1EEEEE10hipError_tT1_PNSt15iterator_traitsISK_E10value_typeET2_T3_PNSL_ISQ_E10value_typeET4_T5_PSV_SW_PNS1_23onesweep_lookback_stateEbbT6_jjT7_P12ihipStream_tbENKUlT_T0_SK_SP_E_clISE_SE_SF_SF_EEDaS13_S14_SK_SP_EUlS13_E_NS1_11comp_targetILNS1_3genE10ELNS1_11target_archE1201ELNS1_3gpuE5ELNS1_3repE0EEENS1_47radix_sort_onesweep_sort_config_static_selectorELNS0_4arch9wavefront6targetE1EEEvSK_,"axG",@progbits,_ZN7rocprim17ROCPRIM_400000_NS6detail17trampoline_kernelINS0_14default_configENS1_35radix_sort_onesweep_config_selectorIsNS0_10empty_typeEEEZZNS1_29radix_sort_onesweep_iterationIS3_Lb0EN6thrust23THRUST_200600_302600_NS6detail15normal_iteratorINS9_10device_ptrIsEEEESE_PS5_SF_jNS0_19identity_decomposerENS1_16block_id_wrapperIjLb1EEEEE10hipError_tT1_PNSt15iterator_traitsISK_E10value_typeET2_T3_PNSL_ISQ_E10value_typeET4_T5_PSV_SW_PNS1_23onesweep_lookback_stateEbbT6_jjT7_P12ihipStream_tbENKUlT_T0_SK_SP_E_clISE_SE_SF_SF_EEDaS13_S14_SK_SP_EUlS13_E_NS1_11comp_targetILNS1_3genE10ELNS1_11target_archE1201ELNS1_3gpuE5ELNS1_3repE0EEENS1_47radix_sort_onesweep_sort_config_static_selectorELNS0_4arch9wavefront6targetE1EEEvSK_,comdat
	.protected	_ZN7rocprim17ROCPRIM_400000_NS6detail17trampoline_kernelINS0_14default_configENS1_35radix_sort_onesweep_config_selectorIsNS0_10empty_typeEEEZZNS1_29radix_sort_onesweep_iterationIS3_Lb0EN6thrust23THRUST_200600_302600_NS6detail15normal_iteratorINS9_10device_ptrIsEEEESE_PS5_SF_jNS0_19identity_decomposerENS1_16block_id_wrapperIjLb1EEEEE10hipError_tT1_PNSt15iterator_traitsISK_E10value_typeET2_T3_PNSL_ISQ_E10value_typeET4_T5_PSV_SW_PNS1_23onesweep_lookback_stateEbbT6_jjT7_P12ihipStream_tbENKUlT_T0_SK_SP_E_clISE_SE_SF_SF_EEDaS13_S14_SK_SP_EUlS13_E_NS1_11comp_targetILNS1_3genE10ELNS1_11target_archE1201ELNS1_3gpuE5ELNS1_3repE0EEENS1_47radix_sort_onesweep_sort_config_static_selectorELNS0_4arch9wavefront6targetE1EEEvSK_ ; -- Begin function _ZN7rocprim17ROCPRIM_400000_NS6detail17trampoline_kernelINS0_14default_configENS1_35radix_sort_onesweep_config_selectorIsNS0_10empty_typeEEEZZNS1_29radix_sort_onesweep_iterationIS3_Lb0EN6thrust23THRUST_200600_302600_NS6detail15normal_iteratorINS9_10device_ptrIsEEEESE_PS5_SF_jNS0_19identity_decomposerENS1_16block_id_wrapperIjLb1EEEEE10hipError_tT1_PNSt15iterator_traitsISK_E10value_typeET2_T3_PNSL_ISQ_E10value_typeET4_T5_PSV_SW_PNS1_23onesweep_lookback_stateEbbT6_jjT7_P12ihipStream_tbENKUlT_T0_SK_SP_E_clISE_SE_SF_SF_EEDaS13_S14_SK_SP_EUlS13_E_NS1_11comp_targetILNS1_3genE10ELNS1_11target_archE1201ELNS1_3gpuE5ELNS1_3repE0EEENS1_47radix_sort_onesweep_sort_config_static_selectorELNS0_4arch9wavefront6targetE1EEEvSK_
	.globl	_ZN7rocprim17ROCPRIM_400000_NS6detail17trampoline_kernelINS0_14default_configENS1_35radix_sort_onesweep_config_selectorIsNS0_10empty_typeEEEZZNS1_29radix_sort_onesweep_iterationIS3_Lb0EN6thrust23THRUST_200600_302600_NS6detail15normal_iteratorINS9_10device_ptrIsEEEESE_PS5_SF_jNS0_19identity_decomposerENS1_16block_id_wrapperIjLb1EEEEE10hipError_tT1_PNSt15iterator_traitsISK_E10value_typeET2_T3_PNSL_ISQ_E10value_typeET4_T5_PSV_SW_PNS1_23onesweep_lookback_stateEbbT6_jjT7_P12ihipStream_tbENKUlT_T0_SK_SP_E_clISE_SE_SF_SF_EEDaS13_S14_SK_SP_EUlS13_E_NS1_11comp_targetILNS1_3genE10ELNS1_11target_archE1201ELNS1_3gpuE5ELNS1_3repE0EEENS1_47radix_sort_onesweep_sort_config_static_selectorELNS0_4arch9wavefront6targetE1EEEvSK_
	.p2align	8
	.type	_ZN7rocprim17ROCPRIM_400000_NS6detail17trampoline_kernelINS0_14default_configENS1_35radix_sort_onesweep_config_selectorIsNS0_10empty_typeEEEZZNS1_29radix_sort_onesweep_iterationIS3_Lb0EN6thrust23THRUST_200600_302600_NS6detail15normal_iteratorINS9_10device_ptrIsEEEESE_PS5_SF_jNS0_19identity_decomposerENS1_16block_id_wrapperIjLb1EEEEE10hipError_tT1_PNSt15iterator_traitsISK_E10value_typeET2_T3_PNSL_ISQ_E10value_typeET4_T5_PSV_SW_PNS1_23onesweep_lookback_stateEbbT6_jjT7_P12ihipStream_tbENKUlT_T0_SK_SP_E_clISE_SE_SF_SF_EEDaS13_S14_SK_SP_EUlS13_E_NS1_11comp_targetILNS1_3genE10ELNS1_11target_archE1201ELNS1_3gpuE5ELNS1_3repE0EEENS1_47radix_sort_onesweep_sort_config_static_selectorELNS0_4arch9wavefront6targetE1EEEvSK_,@function
_ZN7rocprim17ROCPRIM_400000_NS6detail17trampoline_kernelINS0_14default_configENS1_35radix_sort_onesweep_config_selectorIsNS0_10empty_typeEEEZZNS1_29radix_sort_onesweep_iterationIS3_Lb0EN6thrust23THRUST_200600_302600_NS6detail15normal_iteratorINS9_10device_ptrIsEEEESE_PS5_SF_jNS0_19identity_decomposerENS1_16block_id_wrapperIjLb1EEEEE10hipError_tT1_PNSt15iterator_traitsISK_E10value_typeET2_T3_PNSL_ISQ_E10value_typeET4_T5_PSV_SW_PNS1_23onesweep_lookback_stateEbbT6_jjT7_P12ihipStream_tbENKUlT_T0_SK_SP_E_clISE_SE_SF_SF_EEDaS13_S14_SK_SP_EUlS13_E_NS1_11comp_targetILNS1_3genE10ELNS1_11target_archE1201ELNS1_3gpuE5ELNS1_3repE0EEENS1_47radix_sort_onesweep_sort_config_static_selectorELNS0_4arch9wavefront6targetE1EEEvSK_: ; @_ZN7rocprim17ROCPRIM_400000_NS6detail17trampoline_kernelINS0_14default_configENS1_35radix_sort_onesweep_config_selectorIsNS0_10empty_typeEEEZZNS1_29radix_sort_onesweep_iterationIS3_Lb0EN6thrust23THRUST_200600_302600_NS6detail15normal_iteratorINS9_10device_ptrIsEEEESE_PS5_SF_jNS0_19identity_decomposerENS1_16block_id_wrapperIjLb1EEEEE10hipError_tT1_PNSt15iterator_traitsISK_E10value_typeET2_T3_PNSL_ISQ_E10value_typeET4_T5_PSV_SW_PNS1_23onesweep_lookback_stateEbbT6_jjT7_P12ihipStream_tbENKUlT_T0_SK_SP_E_clISE_SE_SF_SF_EEDaS13_S14_SK_SP_EUlS13_E_NS1_11comp_targetILNS1_3genE10ELNS1_11target_archE1201ELNS1_3gpuE5ELNS1_3repE0EEENS1_47radix_sort_onesweep_sort_config_static_selectorELNS0_4arch9wavefront6targetE1EEEvSK_
; %bb.0:
	.section	.rodata,"a",@progbits
	.p2align	6, 0x0
	.amdhsa_kernel _ZN7rocprim17ROCPRIM_400000_NS6detail17trampoline_kernelINS0_14default_configENS1_35radix_sort_onesweep_config_selectorIsNS0_10empty_typeEEEZZNS1_29radix_sort_onesweep_iterationIS3_Lb0EN6thrust23THRUST_200600_302600_NS6detail15normal_iteratorINS9_10device_ptrIsEEEESE_PS5_SF_jNS0_19identity_decomposerENS1_16block_id_wrapperIjLb1EEEEE10hipError_tT1_PNSt15iterator_traitsISK_E10value_typeET2_T3_PNSL_ISQ_E10value_typeET4_T5_PSV_SW_PNS1_23onesweep_lookback_stateEbbT6_jjT7_P12ihipStream_tbENKUlT_T0_SK_SP_E_clISE_SE_SF_SF_EEDaS13_S14_SK_SP_EUlS13_E_NS1_11comp_targetILNS1_3genE10ELNS1_11target_archE1201ELNS1_3gpuE5ELNS1_3repE0EEENS1_47radix_sort_onesweep_sort_config_static_selectorELNS0_4arch9wavefront6targetE1EEEvSK_
		.amdhsa_group_segment_fixed_size 0
		.amdhsa_private_segment_fixed_size 0
		.amdhsa_kernarg_size 88
		.amdhsa_user_sgpr_count 6
		.amdhsa_user_sgpr_private_segment_buffer 1
		.amdhsa_user_sgpr_dispatch_ptr 0
		.amdhsa_user_sgpr_queue_ptr 0
		.amdhsa_user_sgpr_kernarg_segment_ptr 1
		.amdhsa_user_sgpr_dispatch_id 0
		.amdhsa_user_sgpr_flat_scratch_init 0
		.amdhsa_user_sgpr_kernarg_preload_length 0
		.amdhsa_user_sgpr_kernarg_preload_offset 0
		.amdhsa_user_sgpr_private_segment_size 0
		.amdhsa_uses_dynamic_stack 0
		.amdhsa_system_sgpr_private_segment_wavefront_offset 0
		.amdhsa_system_sgpr_workgroup_id_x 1
		.amdhsa_system_sgpr_workgroup_id_y 0
		.amdhsa_system_sgpr_workgroup_id_z 0
		.amdhsa_system_sgpr_workgroup_info 0
		.amdhsa_system_vgpr_workitem_id 0
		.amdhsa_next_free_vgpr 1
		.amdhsa_next_free_sgpr 0
		.amdhsa_accum_offset 4
		.amdhsa_reserve_vcc 0
		.amdhsa_reserve_flat_scratch 0
		.amdhsa_float_round_mode_32 0
		.amdhsa_float_round_mode_16_64 0
		.amdhsa_float_denorm_mode_32 3
		.amdhsa_float_denorm_mode_16_64 3
		.amdhsa_dx10_clamp 1
		.amdhsa_ieee_mode 1
		.amdhsa_fp16_overflow 0
		.amdhsa_tg_split 0
		.amdhsa_exception_fp_ieee_invalid_op 0
		.amdhsa_exception_fp_denorm_src 0
		.amdhsa_exception_fp_ieee_div_zero 0
		.amdhsa_exception_fp_ieee_overflow 0
		.amdhsa_exception_fp_ieee_underflow 0
		.amdhsa_exception_fp_ieee_inexact 0
		.amdhsa_exception_int_div_zero 0
	.end_amdhsa_kernel
	.section	.text._ZN7rocprim17ROCPRIM_400000_NS6detail17trampoline_kernelINS0_14default_configENS1_35radix_sort_onesweep_config_selectorIsNS0_10empty_typeEEEZZNS1_29radix_sort_onesweep_iterationIS3_Lb0EN6thrust23THRUST_200600_302600_NS6detail15normal_iteratorINS9_10device_ptrIsEEEESE_PS5_SF_jNS0_19identity_decomposerENS1_16block_id_wrapperIjLb1EEEEE10hipError_tT1_PNSt15iterator_traitsISK_E10value_typeET2_T3_PNSL_ISQ_E10value_typeET4_T5_PSV_SW_PNS1_23onesweep_lookback_stateEbbT6_jjT7_P12ihipStream_tbENKUlT_T0_SK_SP_E_clISE_SE_SF_SF_EEDaS13_S14_SK_SP_EUlS13_E_NS1_11comp_targetILNS1_3genE10ELNS1_11target_archE1201ELNS1_3gpuE5ELNS1_3repE0EEENS1_47radix_sort_onesweep_sort_config_static_selectorELNS0_4arch9wavefront6targetE1EEEvSK_,"axG",@progbits,_ZN7rocprim17ROCPRIM_400000_NS6detail17trampoline_kernelINS0_14default_configENS1_35radix_sort_onesweep_config_selectorIsNS0_10empty_typeEEEZZNS1_29radix_sort_onesweep_iterationIS3_Lb0EN6thrust23THRUST_200600_302600_NS6detail15normal_iteratorINS9_10device_ptrIsEEEESE_PS5_SF_jNS0_19identity_decomposerENS1_16block_id_wrapperIjLb1EEEEE10hipError_tT1_PNSt15iterator_traitsISK_E10value_typeET2_T3_PNSL_ISQ_E10value_typeET4_T5_PSV_SW_PNS1_23onesweep_lookback_stateEbbT6_jjT7_P12ihipStream_tbENKUlT_T0_SK_SP_E_clISE_SE_SF_SF_EEDaS13_S14_SK_SP_EUlS13_E_NS1_11comp_targetILNS1_3genE10ELNS1_11target_archE1201ELNS1_3gpuE5ELNS1_3repE0EEENS1_47radix_sort_onesweep_sort_config_static_selectorELNS0_4arch9wavefront6targetE1EEEvSK_,comdat
.Lfunc_end1956:
	.size	_ZN7rocprim17ROCPRIM_400000_NS6detail17trampoline_kernelINS0_14default_configENS1_35radix_sort_onesweep_config_selectorIsNS0_10empty_typeEEEZZNS1_29radix_sort_onesweep_iterationIS3_Lb0EN6thrust23THRUST_200600_302600_NS6detail15normal_iteratorINS9_10device_ptrIsEEEESE_PS5_SF_jNS0_19identity_decomposerENS1_16block_id_wrapperIjLb1EEEEE10hipError_tT1_PNSt15iterator_traitsISK_E10value_typeET2_T3_PNSL_ISQ_E10value_typeET4_T5_PSV_SW_PNS1_23onesweep_lookback_stateEbbT6_jjT7_P12ihipStream_tbENKUlT_T0_SK_SP_E_clISE_SE_SF_SF_EEDaS13_S14_SK_SP_EUlS13_E_NS1_11comp_targetILNS1_3genE10ELNS1_11target_archE1201ELNS1_3gpuE5ELNS1_3repE0EEENS1_47radix_sort_onesweep_sort_config_static_selectorELNS0_4arch9wavefront6targetE1EEEvSK_, .Lfunc_end1956-_ZN7rocprim17ROCPRIM_400000_NS6detail17trampoline_kernelINS0_14default_configENS1_35radix_sort_onesweep_config_selectorIsNS0_10empty_typeEEEZZNS1_29radix_sort_onesweep_iterationIS3_Lb0EN6thrust23THRUST_200600_302600_NS6detail15normal_iteratorINS9_10device_ptrIsEEEESE_PS5_SF_jNS0_19identity_decomposerENS1_16block_id_wrapperIjLb1EEEEE10hipError_tT1_PNSt15iterator_traitsISK_E10value_typeET2_T3_PNSL_ISQ_E10value_typeET4_T5_PSV_SW_PNS1_23onesweep_lookback_stateEbbT6_jjT7_P12ihipStream_tbENKUlT_T0_SK_SP_E_clISE_SE_SF_SF_EEDaS13_S14_SK_SP_EUlS13_E_NS1_11comp_targetILNS1_3genE10ELNS1_11target_archE1201ELNS1_3gpuE5ELNS1_3repE0EEENS1_47radix_sort_onesweep_sort_config_static_selectorELNS0_4arch9wavefront6targetE1EEEvSK_
                                        ; -- End function
	.section	.AMDGPU.csdata,"",@progbits
; Kernel info:
; codeLenInByte = 0
; NumSgprs: 4
; NumVgprs: 0
; NumAgprs: 0
; TotalNumVgprs: 0
; ScratchSize: 0
; MemoryBound: 0
; FloatMode: 240
; IeeeMode: 1
; LDSByteSize: 0 bytes/workgroup (compile time only)
; SGPRBlocks: 0
; VGPRBlocks: 0
; NumSGPRsForWavesPerEU: 4
; NumVGPRsForWavesPerEU: 1
; AccumOffset: 4
; Occupancy: 8
; WaveLimiterHint : 0
; COMPUTE_PGM_RSRC2:SCRATCH_EN: 0
; COMPUTE_PGM_RSRC2:USER_SGPR: 6
; COMPUTE_PGM_RSRC2:TRAP_HANDLER: 0
; COMPUTE_PGM_RSRC2:TGID_X_EN: 1
; COMPUTE_PGM_RSRC2:TGID_Y_EN: 0
; COMPUTE_PGM_RSRC2:TGID_Z_EN: 0
; COMPUTE_PGM_RSRC2:TIDIG_COMP_CNT: 0
; COMPUTE_PGM_RSRC3_GFX90A:ACCUM_OFFSET: 0
; COMPUTE_PGM_RSRC3_GFX90A:TG_SPLIT: 0
	.section	.text._ZN7rocprim17ROCPRIM_400000_NS6detail17trampoline_kernelINS0_14default_configENS1_35radix_sort_onesweep_config_selectorIsNS0_10empty_typeEEEZZNS1_29radix_sort_onesweep_iterationIS3_Lb0EN6thrust23THRUST_200600_302600_NS6detail15normal_iteratorINS9_10device_ptrIsEEEESE_PS5_SF_jNS0_19identity_decomposerENS1_16block_id_wrapperIjLb1EEEEE10hipError_tT1_PNSt15iterator_traitsISK_E10value_typeET2_T3_PNSL_ISQ_E10value_typeET4_T5_PSV_SW_PNS1_23onesweep_lookback_stateEbbT6_jjT7_P12ihipStream_tbENKUlT_T0_SK_SP_E_clISE_SE_SF_SF_EEDaS13_S14_SK_SP_EUlS13_E_NS1_11comp_targetILNS1_3genE9ELNS1_11target_archE1100ELNS1_3gpuE3ELNS1_3repE0EEENS1_47radix_sort_onesweep_sort_config_static_selectorELNS0_4arch9wavefront6targetE1EEEvSK_,"axG",@progbits,_ZN7rocprim17ROCPRIM_400000_NS6detail17trampoline_kernelINS0_14default_configENS1_35radix_sort_onesweep_config_selectorIsNS0_10empty_typeEEEZZNS1_29radix_sort_onesweep_iterationIS3_Lb0EN6thrust23THRUST_200600_302600_NS6detail15normal_iteratorINS9_10device_ptrIsEEEESE_PS5_SF_jNS0_19identity_decomposerENS1_16block_id_wrapperIjLb1EEEEE10hipError_tT1_PNSt15iterator_traitsISK_E10value_typeET2_T3_PNSL_ISQ_E10value_typeET4_T5_PSV_SW_PNS1_23onesweep_lookback_stateEbbT6_jjT7_P12ihipStream_tbENKUlT_T0_SK_SP_E_clISE_SE_SF_SF_EEDaS13_S14_SK_SP_EUlS13_E_NS1_11comp_targetILNS1_3genE9ELNS1_11target_archE1100ELNS1_3gpuE3ELNS1_3repE0EEENS1_47radix_sort_onesweep_sort_config_static_selectorELNS0_4arch9wavefront6targetE1EEEvSK_,comdat
	.protected	_ZN7rocprim17ROCPRIM_400000_NS6detail17trampoline_kernelINS0_14default_configENS1_35radix_sort_onesweep_config_selectorIsNS0_10empty_typeEEEZZNS1_29radix_sort_onesweep_iterationIS3_Lb0EN6thrust23THRUST_200600_302600_NS6detail15normal_iteratorINS9_10device_ptrIsEEEESE_PS5_SF_jNS0_19identity_decomposerENS1_16block_id_wrapperIjLb1EEEEE10hipError_tT1_PNSt15iterator_traitsISK_E10value_typeET2_T3_PNSL_ISQ_E10value_typeET4_T5_PSV_SW_PNS1_23onesweep_lookback_stateEbbT6_jjT7_P12ihipStream_tbENKUlT_T0_SK_SP_E_clISE_SE_SF_SF_EEDaS13_S14_SK_SP_EUlS13_E_NS1_11comp_targetILNS1_3genE9ELNS1_11target_archE1100ELNS1_3gpuE3ELNS1_3repE0EEENS1_47radix_sort_onesweep_sort_config_static_selectorELNS0_4arch9wavefront6targetE1EEEvSK_ ; -- Begin function _ZN7rocprim17ROCPRIM_400000_NS6detail17trampoline_kernelINS0_14default_configENS1_35radix_sort_onesweep_config_selectorIsNS0_10empty_typeEEEZZNS1_29radix_sort_onesweep_iterationIS3_Lb0EN6thrust23THRUST_200600_302600_NS6detail15normal_iteratorINS9_10device_ptrIsEEEESE_PS5_SF_jNS0_19identity_decomposerENS1_16block_id_wrapperIjLb1EEEEE10hipError_tT1_PNSt15iterator_traitsISK_E10value_typeET2_T3_PNSL_ISQ_E10value_typeET4_T5_PSV_SW_PNS1_23onesweep_lookback_stateEbbT6_jjT7_P12ihipStream_tbENKUlT_T0_SK_SP_E_clISE_SE_SF_SF_EEDaS13_S14_SK_SP_EUlS13_E_NS1_11comp_targetILNS1_3genE9ELNS1_11target_archE1100ELNS1_3gpuE3ELNS1_3repE0EEENS1_47radix_sort_onesweep_sort_config_static_selectorELNS0_4arch9wavefront6targetE1EEEvSK_
	.globl	_ZN7rocprim17ROCPRIM_400000_NS6detail17trampoline_kernelINS0_14default_configENS1_35radix_sort_onesweep_config_selectorIsNS0_10empty_typeEEEZZNS1_29radix_sort_onesweep_iterationIS3_Lb0EN6thrust23THRUST_200600_302600_NS6detail15normal_iteratorINS9_10device_ptrIsEEEESE_PS5_SF_jNS0_19identity_decomposerENS1_16block_id_wrapperIjLb1EEEEE10hipError_tT1_PNSt15iterator_traitsISK_E10value_typeET2_T3_PNSL_ISQ_E10value_typeET4_T5_PSV_SW_PNS1_23onesweep_lookback_stateEbbT6_jjT7_P12ihipStream_tbENKUlT_T0_SK_SP_E_clISE_SE_SF_SF_EEDaS13_S14_SK_SP_EUlS13_E_NS1_11comp_targetILNS1_3genE9ELNS1_11target_archE1100ELNS1_3gpuE3ELNS1_3repE0EEENS1_47radix_sort_onesweep_sort_config_static_selectorELNS0_4arch9wavefront6targetE1EEEvSK_
	.p2align	8
	.type	_ZN7rocprim17ROCPRIM_400000_NS6detail17trampoline_kernelINS0_14default_configENS1_35radix_sort_onesweep_config_selectorIsNS0_10empty_typeEEEZZNS1_29radix_sort_onesweep_iterationIS3_Lb0EN6thrust23THRUST_200600_302600_NS6detail15normal_iteratorINS9_10device_ptrIsEEEESE_PS5_SF_jNS0_19identity_decomposerENS1_16block_id_wrapperIjLb1EEEEE10hipError_tT1_PNSt15iterator_traitsISK_E10value_typeET2_T3_PNSL_ISQ_E10value_typeET4_T5_PSV_SW_PNS1_23onesweep_lookback_stateEbbT6_jjT7_P12ihipStream_tbENKUlT_T0_SK_SP_E_clISE_SE_SF_SF_EEDaS13_S14_SK_SP_EUlS13_E_NS1_11comp_targetILNS1_3genE9ELNS1_11target_archE1100ELNS1_3gpuE3ELNS1_3repE0EEENS1_47radix_sort_onesweep_sort_config_static_selectorELNS0_4arch9wavefront6targetE1EEEvSK_,@function
_ZN7rocprim17ROCPRIM_400000_NS6detail17trampoline_kernelINS0_14default_configENS1_35radix_sort_onesweep_config_selectorIsNS0_10empty_typeEEEZZNS1_29radix_sort_onesweep_iterationIS3_Lb0EN6thrust23THRUST_200600_302600_NS6detail15normal_iteratorINS9_10device_ptrIsEEEESE_PS5_SF_jNS0_19identity_decomposerENS1_16block_id_wrapperIjLb1EEEEE10hipError_tT1_PNSt15iterator_traitsISK_E10value_typeET2_T3_PNSL_ISQ_E10value_typeET4_T5_PSV_SW_PNS1_23onesweep_lookback_stateEbbT6_jjT7_P12ihipStream_tbENKUlT_T0_SK_SP_E_clISE_SE_SF_SF_EEDaS13_S14_SK_SP_EUlS13_E_NS1_11comp_targetILNS1_3genE9ELNS1_11target_archE1100ELNS1_3gpuE3ELNS1_3repE0EEENS1_47radix_sort_onesweep_sort_config_static_selectorELNS0_4arch9wavefront6targetE1EEEvSK_: ; @_ZN7rocprim17ROCPRIM_400000_NS6detail17trampoline_kernelINS0_14default_configENS1_35radix_sort_onesweep_config_selectorIsNS0_10empty_typeEEEZZNS1_29radix_sort_onesweep_iterationIS3_Lb0EN6thrust23THRUST_200600_302600_NS6detail15normal_iteratorINS9_10device_ptrIsEEEESE_PS5_SF_jNS0_19identity_decomposerENS1_16block_id_wrapperIjLb1EEEEE10hipError_tT1_PNSt15iterator_traitsISK_E10value_typeET2_T3_PNSL_ISQ_E10value_typeET4_T5_PSV_SW_PNS1_23onesweep_lookback_stateEbbT6_jjT7_P12ihipStream_tbENKUlT_T0_SK_SP_E_clISE_SE_SF_SF_EEDaS13_S14_SK_SP_EUlS13_E_NS1_11comp_targetILNS1_3genE9ELNS1_11target_archE1100ELNS1_3gpuE3ELNS1_3repE0EEENS1_47radix_sort_onesweep_sort_config_static_selectorELNS0_4arch9wavefront6targetE1EEEvSK_
; %bb.0:
	.section	.rodata,"a",@progbits
	.p2align	6, 0x0
	.amdhsa_kernel _ZN7rocprim17ROCPRIM_400000_NS6detail17trampoline_kernelINS0_14default_configENS1_35radix_sort_onesweep_config_selectorIsNS0_10empty_typeEEEZZNS1_29radix_sort_onesweep_iterationIS3_Lb0EN6thrust23THRUST_200600_302600_NS6detail15normal_iteratorINS9_10device_ptrIsEEEESE_PS5_SF_jNS0_19identity_decomposerENS1_16block_id_wrapperIjLb1EEEEE10hipError_tT1_PNSt15iterator_traitsISK_E10value_typeET2_T3_PNSL_ISQ_E10value_typeET4_T5_PSV_SW_PNS1_23onesweep_lookback_stateEbbT6_jjT7_P12ihipStream_tbENKUlT_T0_SK_SP_E_clISE_SE_SF_SF_EEDaS13_S14_SK_SP_EUlS13_E_NS1_11comp_targetILNS1_3genE9ELNS1_11target_archE1100ELNS1_3gpuE3ELNS1_3repE0EEENS1_47radix_sort_onesweep_sort_config_static_selectorELNS0_4arch9wavefront6targetE1EEEvSK_
		.amdhsa_group_segment_fixed_size 0
		.amdhsa_private_segment_fixed_size 0
		.amdhsa_kernarg_size 88
		.amdhsa_user_sgpr_count 6
		.amdhsa_user_sgpr_private_segment_buffer 1
		.amdhsa_user_sgpr_dispatch_ptr 0
		.amdhsa_user_sgpr_queue_ptr 0
		.amdhsa_user_sgpr_kernarg_segment_ptr 1
		.amdhsa_user_sgpr_dispatch_id 0
		.amdhsa_user_sgpr_flat_scratch_init 0
		.amdhsa_user_sgpr_kernarg_preload_length 0
		.amdhsa_user_sgpr_kernarg_preload_offset 0
		.amdhsa_user_sgpr_private_segment_size 0
		.amdhsa_uses_dynamic_stack 0
		.amdhsa_system_sgpr_private_segment_wavefront_offset 0
		.amdhsa_system_sgpr_workgroup_id_x 1
		.amdhsa_system_sgpr_workgroup_id_y 0
		.amdhsa_system_sgpr_workgroup_id_z 0
		.amdhsa_system_sgpr_workgroup_info 0
		.amdhsa_system_vgpr_workitem_id 0
		.amdhsa_next_free_vgpr 1
		.amdhsa_next_free_sgpr 0
		.amdhsa_accum_offset 4
		.amdhsa_reserve_vcc 0
		.amdhsa_reserve_flat_scratch 0
		.amdhsa_float_round_mode_32 0
		.amdhsa_float_round_mode_16_64 0
		.amdhsa_float_denorm_mode_32 3
		.amdhsa_float_denorm_mode_16_64 3
		.amdhsa_dx10_clamp 1
		.amdhsa_ieee_mode 1
		.amdhsa_fp16_overflow 0
		.amdhsa_tg_split 0
		.amdhsa_exception_fp_ieee_invalid_op 0
		.amdhsa_exception_fp_denorm_src 0
		.amdhsa_exception_fp_ieee_div_zero 0
		.amdhsa_exception_fp_ieee_overflow 0
		.amdhsa_exception_fp_ieee_underflow 0
		.amdhsa_exception_fp_ieee_inexact 0
		.amdhsa_exception_int_div_zero 0
	.end_amdhsa_kernel
	.section	.text._ZN7rocprim17ROCPRIM_400000_NS6detail17trampoline_kernelINS0_14default_configENS1_35radix_sort_onesweep_config_selectorIsNS0_10empty_typeEEEZZNS1_29radix_sort_onesweep_iterationIS3_Lb0EN6thrust23THRUST_200600_302600_NS6detail15normal_iteratorINS9_10device_ptrIsEEEESE_PS5_SF_jNS0_19identity_decomposerENS1_16block_id_wrapperIjLb1EEEEE10hipError_tT1_PNSt15iterator_traitsISK_E10value_typeET2_T3_PNSL_ISQ_E10value_typeET4_T5_PSV_SW_PNS1_23onesweep_lookback_stateEbbT6_jjT7_P12ihipStream_tbENKUlT_T0_SK_SP_E_clISE_SE_SF_SF_EEDaS13_S14_SK_SP_EUlS13_E_NS1_11comp_targetILNS1_3genE9ELNS1_11target_archE1100ELNS1_3gpuE3ELNS1_3repE0EEENS1_47radix_sort_onesweep_sort_config_static_selectorELNS0_4arch9wavefront6targetE1EEEvSK_,"axG",@progbits,_ZN7rocprim17ROCPRIM_400000_NS6detail17trampoline_kernelINS0_14default_configENS1_35radix_sort_onesweep_config_selectorIsNS0_10empty_typeEEEZZNS1_29radix_sort_onesweep_iterationIS3_Lb0EN6thrust23THRUST_200600_302600_NS6detail15normal_iteratorINS9_10device_ptrIsEEEESE_PS5_SF_jNS0_19identity_decomposerENS1_16block_id_wrapperIjLb1EEEEE10hipError_tT1_PNSt15iterator_traitsISK_E10value_typeET2_T3_PNSL_ISQ_E10value_typeET4_T5_PSV_SW_PNS1_23onesweep_lookback_stateEbbT6_jjT7_P12ihipStream_tbENKUlT_T0_SK_SP_E_clISE_SE_SF_SF_EEDaS13_S14_SK_SP_EUlS13_E_NS1_11comp_targetILNS1_3genE9ELNS1_11target_archE1100ELNS1_3gpuE3ELNS1_3repE0EEENS1_47radix_sort_onesweep_sort_config_static_selectorELNS0_4arch9wavefront6targetE1EEEvSK_,comdat
.Lfunc_end1957:
	.size	_ZN7rocprim17ROCPRIM_400000_NS6detail17trampoline_kernelINS0_14default_configENS1_35radix_sort_onesweep_config_selectorIsNS0_10empty_typeEEEZZNS1_29radix_sort_onesweep_iterationIS3_Lb0EN6thrust23THRUST_200600_302600_NS6detail15normal_iteratorINS9_10device_ptrIsEEEESE_PS5_SF_jNS0_19identity_decomposerENS1_16block_id_wrapperIjLb1EEEEE10hipError_tT1_PNSt15iterator_traitsISK_E10value_typeET2_T3_PNSL_ISQ_E10value_typeET4_T5_PSV_SW_PNS1_23onesweep_lookback_stateEbbT6_jjT7_P12ihipStream_tbENKUlT_T0_SK_SP_E_clISE_SE_SF_SF_EEDaS13_S14_SK_SP_EUlS13_E_NS1_11comp_targetILNS1_3genE9ELNS1_11target_archE1100ELNS1_3gpuE3ELNS1_3repE0EEENS1_47radix_sort_onesweep_sort_config_static_selectorELNS0_4arch9wavefront6targetE1EEEvSK_, .Lfunc_end1957-_ZN7rocprim17ROCPRIM_400000_NS6detail17trampoline_kernelINS0_14default_configENS1_35radix_sort_onesweep_config_selectorIsNS0_10empty_typeEEEZZNS1_29radix_sort_onesweep_iterationIS3_Lb0EN6thrust23THRUST_200600_302600_NS6detail15normal_iteratorINS9_10device_ptrIsEEEESE_PS5_SF_jNS0_19identity_decomposerENS1_16block_id_wrapperIjLb1EEEEE10hipError_tT1_PNSt15iterator_traitsISK_E10value_typeET2_T3_PNSL_ISQ_E10value_typeET4_T5_PSV_SW_PNS1_23onesweep_lookback_stateEbbT6_jjT7_P12ihipStream_tbENKUlT_T0_SK_SP_E_clISE_SE_SF_SF_EEDaS13_S14_SK_SP_EUlS13_E_NS1_11comp_targetILNS1_3genE9ELNS1_11target_archE1100ELNS1_3gpuE3ELNS1_3repE0EEENS1_47radix_sort_onesweep_sort_config_static_selectorELNS0_4arch9wavefront6targetE1EEEvSK_
                                        ; -- End function
	.section	.AMDGPU.csdata,"",@progbits
; Kernel info:
; codeLenInByte = 0
; NumSgprs: 4
; NumVgprs: 0
; NumAgprs: 0
; TotalNumVgprs: 0
; ScratchSize: 0
; MemoryBound: 0
; FloatMode: 240
; IeeeMode: 1
; LDSByteSize: 0 bytes/workgroup (compile time only)
; SGPRBlocks: 0
; VGPRBlocks: 0
; NumSGPRsForWavesPerEU: 4
; NumVGPRsForWavesPerEU: 1
; AccumOffset: 4
; Occupancy: 8
; WaveLimiterHint : 0
; COMPUTE_PGM_RSRC2:SCRATCH_EN: 0
; COMPUTE_PGM_RSRC2:USER_SGPR: 6
; COMPUTE_PGM_RSRC2:TRAP_HANDLER: 0
; COMPUTE_PGM_RSRC2:TGID_X_EN: 1
; COMPUTE_PGM_RSRC2:TGID_Y_EN: 0
; COMPUTE_PGM_RSRC2:TGID_Z_EN: 0
; COMPUTE_PGM_RSRC2:TIDIG_COMP_CNT: 0
; COMPUTE_PGM_RSRC3_GFX90A:ACCUM_OFFSET: 0
; COMPUTE_PGM_RSRC3_GFX90A:TG_SPLIT: 0
	.section	.text._ZN7rocprim17ROCPRIM_400000_NS6detail17trampoline_kernelINS0_14default_configENS1_35radix_sort_onesweep_config_selectorIsNS0_10empty_typeEEEZZNS1_29radix_sort_onesweep_iterationIS3_Lb0EN6thrust23THRUST_200600_302600_NS6detail15normal_iteratorINS9_10device_ptrIsEEEESE_PS5_SF_jNS0_19identity_decomposerENS1_16block_id_wrapperIjLb1EEEEE10hipError_tT1_PNSt15iterator_traitsISK_E10value_typeET2_T3_PNSL_ISQ_E10value_typeET4_T5_PSV_SW_PNS1_23onesweep_lookback_stateEbbT6_jjT7_P12ihipStream_tbENKUlT_T0_SK_SP_E_clISE_SE_SF_SF_EEDaS13_S14_SK_SP_EUlS13_E_NS1_11comp_targetILNS1_3genE8ELNS1_11target_archE1030ELNS1_3gpuE2ELNS1_3repE0EEENS1_47radix_sort_onesweep_sort_config_static_selectorELNS0_4arch9wavefront6targetE1EEEvSK_,"axG",@progbits,_ZN7rocprim17ROCPRIM_400000_NS6detail17trampoline_kernelINS0_14default_configENS1_35radix_sort_onesweep_config_selectorIsNS0_10empty_typeEEEZZNS1_29radix_sort_onesweep_iterationIS3_Lb0EN6thrust23THRUST_200600_302600_NS6detail15normal_iteratorINS9_10device_ptrIsEEEESE_PS5_SF_jNS0_19identity_decomposerENS1_16block_id_wrapperIjLb1EEEEE10hipError_tT1_PNSt15iterator_traitsISK_E10value_typeET2_T3_PNSL_ISQ_E10value_typeET4_T5_PSV_SW_PNS1_23onesweep_lookback_stateEbbT6_jjT7_P12ihipStream_tbENKUlT_T0_SK_SP_E_clISE_SE_SF_SF_EEDaS13_S14_SK_SP_EUlS13_E_NS1_11comp_targetILNS1_3genE8ELNS1_11target_archE1030ELNS1_3gpuE2ELNS1_3repE0EEENS1_47radix_sort_onesweep_sort_config_static_selectorELNS0_4arch9wavefront6targetE1EEEvSK_,comdat
	.protected	_ZN7rocprim17ROCPRIM_400000_NS6detail17trampoline_kernelINS0_14default_configENS1_35radix_sort_onesweep_config_selectorIsNS0_10empty_typeEEEZZNS1_29radix_sort_onesweep_iterationIS3_Lb0EN6thrust23THRUST_200600_302600_NS6detail15normal_iteratorINS9_10device_ptrIsEEEESE_PS5_SF_jNS0_19identity_decomposerENS1_16block_id_wrapperIjLb1EEEEE10hipError_tT1_PNSt15iterator_traitsISK_E10value_typeET2_T3_PNSL_ISQ_E10value_typeET4_T5_PSV_SW_PNS1_23onesweep_lookback_stateEbbT6_jjT7_P12ihipStream_tbENKUlT_T0_SK_SP_E_clISE_SE_SF_SF_EEDaS13_S14_SK_SP_EUlS13_E_NS1_11comp_targetILNS1_3genE8ELNS1_11target_archE1030ELNS1_3gpuE2ELNS1_3repE0EEENS1_47radix_sort_onesweep_sort_config_static_selectorELNS0_4arch9wavefront6targetE1EEEvSK_ ; -- Begin function _ZN7rocprim17ROCPRIM_400000_NS6detail17trampoline_kernelINS0_14default_configENS1_35radix_sort_onesweep_config_selectorIsNS0_10empty_typeEEEZZNS1_29radix_sort_onesweep_iterationIS3_Lb0EN6thrust23THRUST_200600_302600_NS6detail15normal_iteratorINS9_10device_ptrIsEEEESE_PS5_SF_jNS0_19identity_decomposerENS1_16block_id_wrapperIjLb1EEEEE10hipError_tT1_PNSt15iterator_traitsISK_E10value_typeET2_T3_PNSL_ISQ_E10value_typeET4_T5_PSV_SW_PNS1_23onesweep_lookback_stateEbbT6_jjT7_P12ihipStream_tbENKUlT_T0_SK_SP_E_clISE_SE_SF_SF_EEDaS13_S14_SK_SP_EUlS13_E_NS1_11comp_targetILNS1_3genE8ELNS1_11target_archE1030ELNS1_3gpuE2ELNS1_3repE0EEENS1_47radix_sort_onesweep_sort_config_static_selectorELNS0_4arch9wavefront6targetE1EEEvSK_
	.globl	_ZN7rocprim17ROCPRIM_400000_NS6detail17trampoline_kernelINS0_14default_configENS1_35radix_sort_onesweep_config_selectorIsNS0_10empty_typeEEEZZNS1_29radix_sort_onesweep_iterationIS3_Lb0EN6thrust23THRUST_200600_302600_NS6detail15normal_iteratorINS9_10device_ptrIsEEEESE_PS5_SF_jNS0_19identity_decomposerENS1_16block_id_wrapperIjLb1EEEEE10hipError_tT1_PNSt15iterator_traitsISK_E10value_typeET2_T3_PNSL_ISQ_E10value_typeET4_T5_PSV_SW_PNS1_23onesweep_lookback_stateEbbT6_jjT7_P12ihipStream_tbENKUlT_T0_SK_SP_E_clISE_SE_SF_SF_EEDaS13_S14_SK_SP_EUlS13_E_NS1_11comp_targetILNS1_3genE8ELNS1_11target_archE1030ELNS1_3gpuE2ELNS1_3repE0EEENS1_47radix_sort_onesweep_sort_config_static_selectorELNS0_4arch9wavefront6targetE1EEEvSK_
	.p2align	8
	.type	_ZN7rocprim17ROCPRIM_400000_NS6detail17trampoline_kernelINS0_14default_configENS1_35radix_sort_onesweep_config_selectorIsNS0_10empty_typeEEEZZNS1_29radix_sort_onesweep_iterationIS3_Lb0EN6thrust23THRUST_200600_302600_NS6detail15normal_iteratorINS9_10device_ptrIsEEEESE_PS5_SF_jNS0_19identity_decomposerENS1_16block_id_wrapperIjLb1EEEEE10hipError_tT1_PNSt15iterator_traitsISK_E10value_typeET2_T3_PNSL_ISQ_E10value_typeET4_T5_PSV_SW_PNS1_23onesweep_lookback_stateEbbT6_jjT7_P12ihipStream_tbENKUlT_T0_SK_SP_E_clISE_SE_SF_SF_EEDaS13_S14_SK_SP_EUlS13_E_NS1_11comp_targetILNS1_3genE8ELNS1_11target_archE1030ELNS1_3gpuE2ELNS1_3repE0EEENS1_47radix_sort_onesweep_sort_config_static_selectorELNS0_4arch9wavefront6targetE1EEEvSK_,@function
_ZN7rocprim17ROCPRIM_400000_NS6detail17trampoline_kernelINS0_14default_configENS1_35radix_sort_onesweep_config_selectorIsNS0_10empty_typeEEEZZNS1_29radix_sort_onesweep_iterationIS3_Lb0EN6thrust23THRUST_200600_302600_NS6detail15normal_iteratorINS9_10device_ptrIsEEEESE_PS5_SF_jNS0_19identity_decomposerENS1_16block_id_wrapperIjLb1EEEEE10hipError_tT1_PNSt15iterator_traitsISK_E10value_typeET2_T3_PNSL_ISQ_E10value_typeET4_T5_PSV_SW_PNS1_23onesweep_lookback_stateEbbT6_jjT7_P12ihipStream_tbENKUlT_T0_SK_SP_E_clISE_SE_SF_SF_EEDaS13_S14_SK_SP_EUlS13_E_NS1_11comp_targetILNS1_3genE8ELNS1_11target_archE1030ELNS1_3gpuE2ELNS1_3repE0EEENS1_47radix_sort_onesweep_sort_config_static_selectorELNS0_4arch9wavefront6targetE1EEEvSK_: ; @_ZN7rocprim17ROCPRIM_400000_NS6detail17trampoline_kernelINS0_14default_configENS1_35radix_sort_onesweep_config_selectorIsNS0_10empty_typeEEEZZNS1_29radix_sort_onesweep_iterationIS3_Lb0EN6thrust23THRUST_200600_302600_NS6detail15normal_iteratorINS9_10device_ptrIsEEEESE_PS5_SF_jNS0_19identity_decomposerENS1_16block_id_wrapperIjLb1EEEEE10hipError_tT1_PNSt15iterator_traitsISK_E10value_typeET2_T3_PNSL_ISQ_E10value_typeET4_T5_PSV_SW_PNS1_23onesweep_lookback_stateEbbT6_jjT7_P12ihipStream_tbENKUlT_T0_SK_SP_E_clISE_SE_SF_SF_EEDaS13_S14_SK_SP_EUlS13_E_NS1_11comp_targetILNS1_3genE8ELNS1_11target_archE1030ELNS1_3gpuE2ELNS1_3repE0EEENS1_47radix_sort_onesweep_sort_config_static_selectorELNS0_4arch9wavefront6targetE1EEEvSK_
; %bb.0:
	.section	.rodata,"a",@progbits
	.p2align	6, 0x0
	.amdhsa_kernel _ZN7rocprim17ROCPRIM_400000_NS6detail17trampoline_kernelINS0_14default_configENS1_35radix_sort_onesweep_config_selectorIsNS0_10empty_typeEEEZZNS1_29radix_sort_onesweep_iterationIS3_Lb0EN6thrust23THRUST_200600_302600_NS6detail15normal_iteratorINS9_10device_ptrIsEEEESE_PS5_SF_jNS0_19identity_decomposerENS1_16block_id_wrapperIjLb1EEEEE10hipError_tT1_PNSt15iterator_traitsISK_E10value_typeET2_T3_PNSL_ISQ_E10value_typeET4_T5_PSV_SW_PNS1_23onesweep_lookback_stateEbbT6_jjT7_P12ihipStream_tbENKUlT_T0_SK_SP_E_clISE_SE_SF_SF_EEDaS13_S14_SK_SP_EUlS13_E_NS1_11comp_targetILNS1_3genE8ELNS1_11target_archE1030ELNS1_3gpuE2ELNS1_3repE0EEENS1_47radix_sort_onesweep_sort_config_static_selectorELNS0_4arch9wavefront6targetE1EEEvSK_
		.amdhsa_group_segment_fixed_size 0
		.amdhsa_private_segment_fixed_size 0
		.amdhsa_kernarg_size 88
		.amdhsa_user_sgpr_count 6
		.amdhsa_user_sgpr_private_segment_buffer 1
		.amdhsa_user_sgpr_dispatch_ptr 0
		.amdhsa_user_sgpr_queue_ptr 0
		.amdhsa_user_sgpr_kernarg_segment_ptr 1
		.amdhsa_user_sgpr_dispatch_id 0
		.amdhsa_user_sgpr_flat_scratch_init 0
		.amdhsa_user_sgpr_kernarg_preload_length 0
		.amdhsa_user_sgpr_kernarg_preload_offset 0
		.amdhsa_user_sgpr_private_segment_size 0
		.amdhsa_uses_dynamic_stack 0
		.amdhsa_system_sgpr_private_segment_wavefront_offset 0
		.amdhsa_system_sgpr_workgroup_id_x 1
		.amdhsa_system_sgpr_workgroup_id_y 0
		.amdhsa_system_sgpr_workgroup_id_z 0
		.amdhsa_system_sgpr_workgroup_info 0
		.amdhsa_system_vgpr_workitem_id 0
		.amdhsa_next_free_vgpr 1
		.amdhsa_next_free_sgpr 0
		.amdhsa_accum_offset 4
		.amdhsa_reserve_vcc 0
		.amdhsa_reserve_flat_scratch 0
		.amdhsa_float_round_mode_32 0
		.amdhsa_float_round_mode_16_64 0
		.amdhsa_float_denorm_mode_32 3
		.amdhsa_float_denorm_mode_16_64 3
		.amdhsa_dx10_clamp 1
		.amdhsa_ieee_mode 1
		.amdhsa_fp16_overflow 0
		.amdhsa_tg_split 0
		.amdhsa_exception_fp_ieee_invalid_op 0
		.amdhsa_exception_fp_denorm_src 0
		.amdhsa_exception_fp_ieee_div_zero 0
		.amdhsa_exception_fp_ieee_overflow 0
		.amdhsa_exception_fp_ieee_underflow 0
		.amdhsa_exception_fp_ieee_inexact 0
		.amdhsa_exception_int_div_zero 0
	.end_amdhsa_kernel
	.section	.text._ZN7rocprim17ROCPRIM_400000_NS6detail17trampoline_kernelINS0_14default_configENS1_35radix_sort_onesweep_config_selectorIsNS0_10empty_typeEEEZZNS1_29radix_sort_onesweep_iterationIS3_Lb0EN6thrust23THRUST_200600_302600_NS6detail15normal_iteratorINS9_10device_ptrIsEEEESE_PS5_SF_jNS0_19identity_decomposerENS1_16block_id_wrapperIjLb1EEEEE10hipError_tT1_PNSt15iterator_traitsISK_E10value_typeET2_T3_PNSL_ISQ_E10value_typeET4_T5_PSV_SW_PNS1_23onesweep_lookback_stateEbbT6_jjT7_P12ihipStream_tbENKUlT_T0_SK_SP_E_clISE_SE_SF_SF_EEDaS13_S14_SK_SP_EUlS13_E_NS1_11comp_targetILNS1_3genE8ELNS1_11target_archE1030ELNS1_3gpuE2ELNS1_3repE0EEENS1_47radix_sort_onesweep_sort_config_static_selectorELNS0_4arch9wavefront6targetE1EEEvSK_,"axG",@progbits,_ZN7rocprim17ROCPRIM_400000_NS6detail17trampoline_kernelINS0_14default_configENS1_35radix_sort_onesweep_config_selectorIsNS0_10empty_typeEEEZZNS1_29radix_sort_onesweep_iterationIS3_Lb0EN6thrust23THRUST_200600_302600_NS6detail15normal_iteratorINS9_10device_ptrIsEEEESE_PS5_SF_jNS0_19identity_decomposerENS1_16block_id_wrapperIjLb1EEEEE10hipError_tT1_PNSt15iterator_traitsISK_E10value_typeET2_T3_PNSL_ISQ_E10value_typeET4_T5_PSV_SW_PNS1_23onesweep_lookback_stateEbbT6_jjT7_P12ihipStream_tbENKUlT_T0_SK_SP_E_clISE_SE_SF_SF_EEDaS13_S14_SK_SP_EUlS13_E_NS1_11comp_targetILNS1_3genE8ELNS1_11target_archE1030ELNS1_3gpuE2ELNS1_3repE0EEENS1_47radix_sort_onesweep_sort_config_static_selectorELNS0_4arch9wavefront6targetE1EEEvSK_,comdat
.Lfunc_end1958:
	.size	_ZN7rocprim17ROCPRIM_400000_NS6detail17trampoline_kernelINS0_14default_configENS1_35radix_sort_onesweep_config_selectorIsNS0_10empty_typeEEEZZNS1_29radix_sort_onesweep_iterationIS3_Lb0EN6thrust23THRUST_200600_302600_NS6detail15normal_iteratorINS9_10device_ptrIsEEEESE_PS5_SF_jNS0_19identity_decomposerENS1_16block_id_wrapperIjLb1EEEEE10hipError_tT1_PNSt15iterator_traitsISK_E10value_typeET2_T3_PNSL_ISQ_E10value_typeET4_T5_PSV_SW_PNS1_23onesweep_lookback_stateEbbT6_jjT7_P12ihipStream_tbENKUlT_T0_SK_SP_E_clISE_SE_SF_SF_EEDaS13_S14_SK_SP_EUlS13_E_NS1_11comp_targetILNS1_3genE8ELNS1_11target_archE1030ELNS1_3gpuE2ELNS1_3repE0EEENS1_47radix_sort_onesweep_sort_config_static_selectorELNS0_4arch9wavefront6targetE1EEEvSK_, .Lfunc_end1958-_ZN7rocprim17ROCPRIM_400000_NS6detail17trampoline_kernelINS0_14default_configENS1_35radix_sort_onesweep_config_selectorIsNS0_10empty_typeEEEZZNS1_29radix_sort_onesweep_iterationIS3_Lb0EN6thrust23THRUST_200600_302600_NS6detail15normal_iteratorINS9_10device_ptrIsEEEESE_PS5_SF_jNS0_19identity_decomposerENS1_16block_id_wrapperIjLb1EEEEE10hipError_tT1_PNSt15iterator_traitsISK_E10value_typeET2_T3_PNSL_ISQ_E10value_typeET4_T5_PSV_SW_PNS1_23onesweep_lookback_stateEbbT6_jjT7_P12ihipStream_tbENKUlT_T0_SK_SP_E_clISE_SE_SF_SF_EEDaS13_S14_SK_SP_EUlS13_E_NS1_11comp_targetILNS1_3genE8ELNS1_11target_archE1030ELNS1_3gpuE2ELNS1_3repE0EEENS1_47radix_sort_onesweep_sort_config_static_selectorELNS0_4arch9wavefront6targetE1EEEvSK_
                                        ; -- End function
	.section	.AMDGPU.csdata,"",@progbits
; Kernel info:
; codeLenInByte = 0
; NumSgprs: 4
; NumVgprs: 0
; NumAgprs: 0
; TotalNumVgprs: 0
; ScratchSize: 0
; MemoryBound: 0
; FloatMode: 240
; IeeeMode: 1
; LDSByteSize: 0 bytes/workgroup (compile time only)
; SGPRBlocks: 0
; VGPRBlocks: 0
; NumSGPRsForWavesPerEU: 4
; NumVGPRsForWavesPerEU: 1
; AccumOffset: 4
; Occupancy: 8
; WaveLimiterHint : 0
; COMPUTE_PGM_RSRC2:SCRATCH_EN: 0
; COMPUTE_PGM_RSRC2:USER_SGPR: 6
; COMPUTE_PGM_RSRC2:TRAP_HANDLER: 0
; COMPUTE_PGM_RSRC2:TGID_X_EN: 1
; COMPUTE_PGM_RSRC2:TGID_Y_EN: 0
; COMPUTE_PGM_RSRC2:TGID_Z_EN: 0
; COMPUTE_PGM_RSRC2:TIDIG_COMP_CNT: 0
; COMPUTE_PGM_RSRC3_GFX90A:ACCUM_OFFSET: 0
; COMPUTE_PGM_RSRC3_GFX90A:TG_SPLIT: 0
	.section	.text._ZN7rocprim17ROCPRIM_400000_NS6detail17trampoline_kernelINS0_14default_configENS1_35radix_sort_onesweep_config_selectorIsNS0_10empty_typeEEEZZNS1_29radix_sort_onesweep_iterationIS3_Lb0EN6thrust23THRUST_200600_302600_NS6detail15normal_iteratorINS9_10device_ptrIsEEEESE_PS5_SF_jNS0_19identity_decomposerENS1_16block_id_wrapperIjLb1EEEEE10hipError_tT1_PNSt15iterator_traitsISK_E10value_typeET2_T3_PNSL_ISQ_E10value_typeET4_T5_PSV_SW_PNS1_23onesweep_lookback_stateEbbT6_jjT7_P12ihipStream_tbENKUlT_T0_SK_SP_E_clISE_PsSF_SF_EEDaS13_S14_SK_SP_EUlS13_E_NS1_11comp_targetILNS1_3genE0ELNS1_11target_archE4294967295ELNS1_3gpuE0ELNS1_3repE0EEENS1_47radix_sort_onesweep_sort_config_static_selectorELNS0_4arch9wavefront6targetE1EEEvSK_,"axG",@progbits,_ZN7rocprim17ROCPRIM_400000_NS6detail17trampoline_kernelINS0_14default_configENS1_35radix_sort_onesweep_config_selectorIsNS0_10empty_typeEEEZZNS1_29radix_sort_onesweep_iterationIS3_Lb0EN6thrust23THRUST_200600_302600_NS6detail15normal_iteratorINS9_10device_ptrIsEEEESE_PS5_SF_jNS0_19identity_decomposerENS1_16block_id_wrapperIjLb1EEEEE10hipError_tT1_PNSt15iterator_traitsISK_E10value_typeET2_T3_PNSL_ISQ_E10value_typeET4_T5_PSV_SW_PNS1_23onesweep_lookback_stateEbbT6_jjT7_P12ihipStream_tbENKUlT_T0_SK_SP_E_clISE_PsSF_SF_EEDaS13_S14_SK_SP_EUlS13_E_NS1_11comp_targetILNS1_3genE0ELNS1_11target_archE4294967295ELNS1_3gpuE0ELNS1_3repE0EEENS1_47radix_sort_onesweep_sort_config_static_selectorELNS0_4arch9wavefront6targetE1EEEvSK_,comdat
	.protected	_ZN7rocprim17ROCPRIM_400000_NS6detail17trampoline_kernelINS0_14default_configENS1_35radix_sort_onesweep_config_selectorIsNS0_10empty_typeEEEZZNS1_29radix_sort_onesweep_iterationIS3_Lb0EN6thrust23THRUST_200600_302600_NS6detail15normal_iteratorINS9_10device_ptrIsEEEESE_PS5_SF_jNS0_19identity_decomposerENS1_16block_id_wrapperIjLb1EEEEE10hipError_tT1_PNSt15iterator_traitsISK_E10value_typeET2_T3_PNSL_ISQ_E10value_typeET4_T5_PSV_SW_PNS1_23onesweep_lookback_stateEbbT6_jjT7_P12ihipStream_tbENKUlT_T0_SK_SP_E_clISE_PsSF_SF_EEDaS13_S14_SK_SP_EUlS13_E_NS1_11comp_targetILNS1_3genE0ELNS1_11target_archE4294967295ELNS1_3gpuE0ELNS1_3repE0EEENS1_47radix_sort_onesweep_sort_config_static_selectorELNS0_4arch9wavefront6targetE1EEEvSK_ ; -- Begin function _ZN7rocprim17ROCPRIM_400000_NS6detail17trampoline_kernelINS0_14default_configENS1_35radix_sort_onesweep_config_selectorIsNS0_10empty_typeEEEZZNS1_29radix_sort_onesweep_iterationIS3_Lb0EN6thrust23THRUST_200600_302600_NS6detail15normal_iteratorINS9_10device_ptrIsEEEESE_PS5_SF_jNS0_19identity_decomposerENS1_16block_id_wrapperIjLb1EEEEE10hipError_tT1_PNSt15iterator_traitsISK_E10value_typeET2_T3_PNSL_ISQ_E10value_typeET4_T5_PSV_SW_PNS1_23onesweep_lookback_stateEbbT6_jjT7_P12ihipStream_tbENKUlT_T0_SK_SP_E_clISE_PsSF_SF_EEDaS13_S14_SK_SP_EUlS13_E_NS1_11comp_targetILNS1_3genE0ELNS1_11target_archE4294967295ELNS1_3gpuE0ELNS1_3repE0EEENS1_47radix_sort_onesweep_sort_config_static_selectorELNS0_4arch9wavefront6targetE1EEEvSK_
	.globl	_ZN7rocprim17ROCPRIM_400000_NS6detail17trampoline_kernelINS0_14default_configENS1_35radix_sort_onesweep_config_selectorIsNS0_10empty_typeEEEZZNS1_29radix_sort_onesweep_iterationIS3_Lb0EN6thrust23THRUST_200600_302600_NS6detail15normal_iteratorINS9_10device_ptrIsEEEESE_PS5_SF_jNS0_19identity_decomposerENS1_16block_id_wrapperIjLb1EEEEE10hipError_tT1_PNSt15iterator_traitsISK_E10value_typeET2_T3_PNSL_ISQ_E10value_typeET4_T5_PSV_SW_PNS1_23onesweep_lookback_stateEbbT6_jjT7_P12ihipStream_tbENKUlT_T0_SK_SP_E_clISE_PsSF_SF_EEDaS13_S14_SK_SP_EUlS13_E_NS1_11comp_targetILNS1_3genE0ELNS1_11target_archE4294967295ELNS1_3gpuE0ELNS1_3repE0EEENS1_47radix_sort_onesweep_sort_config_static_selectorELNS0_4arch9wavefront6targetE1EEEvSK_
	.p2align	8
	.type	_ZN7rocprim17ROCPRIM_400000_NS6detail17trampoline_kernelINS0_14default_configENS1_35radix_sort_onesweep_config_selectorIsNS0_10empty_typeEEEZZNS1_29radix_sort_onesweep_iterationIS3_Lb0EN6thrust23THRUST_200600_302600_NS6detail15normal_iteratorINS9_10device_ptrIsEEEESE_PS5_SF_jNS0_19identity_decomposerENS1_16block_id_wrapperIjLb1EEEEE10hipError_tT1_PNSt15iterator_traitsISK_E10value_typeET2_T3_PNSL_ISQ_E10value_typeET4_T5_PSV_SW_PNS1_23onesweep_lookback_stateEbbT6_jjT7_P12ihipStream_tbENKUlT_T0_SK_SP_E_clISE_PsSF_SF_EEDaS13_S14_SK_SP_EUlS13_E_NS1_11comp_targetILNS1_3genE0ELNS1_11target_archE4294967295ELNS1_3gpuE0ELNS1_3repE0EEENS1_47radix_sort_onesweep_sort_config_static_selectorELNS0_4arch9wavefront6targetE1EEEvSK_,@function
_ZN7rocprim17ROCPRIM_400000_NS6detail17trampoline_kernelINS0_14default_configENS1_35radix_sort_onesweep_config_selectorIsNS0_10empty_typeEEEZZNS1_29radix_sort_onesweep_iterationIS3_Lb0EN6thrust23THRUST_200600_302600_NS6detail15normal_iteratorINS9_10device_ptrIsEEEESE_PS5_SF_jNS0_19identity_decomposerENS1_16block_id_wrapperIjLb1EEEEE10hipError_tT1_PNSt15iterator_traitsISK_E10value_typeET2_T3_PNSL_ISQ_E10value_typeET4_T5_PSV_SW_PNS1_23onesweep_lookback_stateEbbT6_jjT7_P12ihipStream_tbENKUlT_T0_SK_SP_E_clISE_PsSF_SF_EEDaS13_S14_SK_SP_EUlS13_E_NS1_11comp_targetILNS1_3genE0ELNS1_11target_archE4294967295ELNS1_3gpuE0ELNS1_3repE0EEENS1_47radix_sort_onesweep_sort_config_static_selectorELNS0_4arch9wavefront6targetE1EEEvSK_: ; @_ZN7rocprim17ROCPRIM_400000_NS6detail17trampoline_kernelINS0_14default_configENS1_35radix_sort_onesweep_config_selectorIsNS0_10empty_typeEEEZZNS1_29radix_sort_onesweep_iterationIS3_Lb0EN6thrust23THRUST_200600_302600_NS6detail15normal_iteratorINS9_10device_ptrIsEEEESE_PS5_SF_jNS0_19identity_decomposerENS1_16block_id_wrapperIjLb1EEEEE10hipError_tT1_PNSt15iterator_traitsISK_E10value_typeET2_T3_PNSL_ISQ_E10value_typeET4_T5_PSV_SW_PNS1_23onesweep_lookback_stateEbbT6_jjT7_P12ihipStream_tbENKUlT_T0_SK_SP_E_clISE_PsSF_SF_EEDaS13_S14_SK_SP_EUlS13_E_NS1_11comp_targetILNS1_3genE0ELNS1_11target_archE4294967295ELNS1_3gpuE0ELNS1_3repE0EEENS1_47radix_sort_onesweep_sort_config_static_selectorELNS0_4arch9wavefront6targetE1EEEvSK_
; %bb.0:
	.section	.rodata,"a",@progbits
	.p2align	6, 0x0
	.amdhsa_kernel _ZN7rocprim17ROCPRIM_400000_NS6detail17trampoline_kernelINS0_14default_configENS1_35radix_sort_onesweep_config_selectorIsNS0_10empty_typeEEEZZNS1_29radix_sort_onesweep_iterationIS3_Lb0EN6thrust23THRUST_200600_302600_NS6detail15normal_iteratorINS9_10device_ptrIsEEEESE_PS5_SF_jNS0_19identity_decomposerENS1_16block_id_wrapperIjLb1EEEEE10hipError_tT1_PNSt15iterator_traitsISK_E10value_typeET2_T3_PNSL_ISQ_E10value_typeET4_T5_PSV_SW_PNS1_23onesweep_lookback_stateEbbT6_jjT7_P12ihipStream_tbENKUlT_T0_SK_SP_E_clISE_PsSF_SF_EEDaS13_S14_SK_SP_EUlS13_E_NS1_11comp_targetILNS1_3genE0ELNS1_11target_archE4294967295ELNS1_3gpuE0ELNS1_3repE0EEENS1_47radix_sort_onesweep_sort_config_static_selectorELNS0_4arch9wavefront6targetE1EEEvSK_
		.amdhsa_group_segment_fixed_size 0
		.amdhsa_private_segment_fixed_size 0
		.amdhsa_kernarg_size 88
		.amdhsa_user_sgpr_count 6
		.amdhsa_user_sgpr_private_segment_buffer 1
		.amdhsa_user_sgpr_dispatch_ptr 0
		.amdhsa_user_sgpr_queue_ptr 0
		.amdhsa_user_sgpr_kernarg_segment_ptr 1
		.amdhsa_user_sgpr_dispatch_id 0
		.amdhsa_user_sgpr_flat_scratch_init 0
		.amdhsa_user_sgpr_kernarg_preload_length 0
		.amdhsa_user_sgpr_kernarg_preload_offset 0
		.amdhsa_user_sgpr_private_segment_size 0
		.amdhsa_uses_dynamic_stack 0
		.amdhsa_system_sgpr_private_segment_wavefront_offset 0
		.amdhsa_system_sgpr_workgroup_id_x 1
		.amdhsa_system_sgpr_workgroup_id_y 0
		.amdhsa_system_sgpr_workgroup_id_z 0
		.amdhsa_system_sgpr_workgroup_info 0
		.amdhsa_system_vgpr_workitem_id 0
		.amdhsa_next_free_vgpr 1
		.amdhsa_next_free_sgpr 0
		.amdhsa_accum_offset 4
		.amdhsa_reserve_vcc 0
		.amdhsa_reserve_flat_scratch 0
		.amdhsa_float_round_mode_32 0
		.amdhsa_float_round_mode_16_64 0
		.amdhsa_float_denorm_mode_32 3
		.amdhsa_float_denorm_mode_16_64 3
		.amdhsa_dx10_clamp 1
		.amdhsa_ieee_mode 1
		.amdhsa_fp16_overflow 0
		.amdhsa_tg_split 0
		.amdhsa_exception_fp_ieee_invalid_op 0
		.amdhsa_exception_fp_denorm_src 0
		.amdhsa_exception_fp_ieee_div_zero 0
		.amdhsa_exception_fp_ieee_overflow 0
		.amdhsa_exception_fp_ieee_underflow 0
		.amdhsa_exception_fp_ieee_inexact 0
		.amdhsa_exception_int_div_zero 0
	.end_amdhsa_kernel
	.section	.text._ZN7rocprim17ROCPRIM_400000_NS6detail17trampoline_kernelINS0_14default_configENS1_35radix_sort_onesweep_config_selectorIsNS0_10empty_typeEEEZZNS1_29radix_sort_onesweep_iterationIS3_Lb0EN6thrust23THRUST_200600_302600_NS6detail15normal_iteratorINS9_10device_ptrIsEEEESE_PS5_SF_jNS0_19identity_decomposerENS1_16block_id_wrapperIjLb1EEEEE10hipError_tT1_PNSt15iterator_traitsISK_E10value_typeET2_T3_PNSL_ISQ_E10value_typeET4_T5_PSV_SW_PNS1_23onesweep_lookback_stateEbbT6_jjT7_P12ihipStream_tbENKUlT_T0_SK_SP_E_clISE_PsSF_SF_EEDaS13_S14_SK_SP_EUlS13_E_NS1_11comp_targetILNS1_3genE0ELNS1_11target_archE4294967295ELNS1_3gpuE0ELNS1_3repE0EEENS1_47radix_sort_onesweep_sort_config_static_selectorELNS0_4arch9wavefront6targetE1EEEvSK_,"axG",@progbits,_ZN7rocprim17ROCPRIM_400000_NS6detail17trampoline_kernelINS0_14default_configENS1_35radix_sort_onesweep_config_selectorIsNS0_10empty_typeEEEZZNS1_29radix_sort_onesweep_iterationIS3_Lb0EN6thrust23THRUST_200600_302600_NS6detail15normal_iteratorINS9_10device_ptrIsEEEESE_PS5_SF_jNS0_19identity_decomposerENS1_16block_id_wrapperIjLb1EEEEE10hipError_tT1_PNSt15iterator_traitsISK_E10value_typeET2_T3_PNSL_ISQ_E10value_typeET4_T5_PSV_SW_PNS1_23onesweep_lookback_stateEbbT6_jjT7_P12ihipStream_tbENKUlT_T0_SK_SP_E_clISE_PsSF_SF_EEDaS13_S14_SK_SP_EUlS13_E_NS1_11comp_targetILNS1_3genE0ELNS1_11target_archE4294967295ELNS1_3gpuE0ELNS1_3repE0EEENS1_47radix_sort_onesweep_sort_config_static_selectorELNS0_4arch9wavefront6targetE1EEEvSK_,comdat
.Lfunc_end1959:
	.size	_ZN7rocprim17ROCPRIM_400000_NS6detail17trampoline_kernelINS0_14default_configENS1_35radix_sort_onesweep_config_selectorIsNS0_10empty_typeEEEZZNS1_29radix_sort_onesweep_iterationIS3_Lb0EN6thrust23THRUST_200600_302600_NS6detail15normal_iteratorINS9_10device_ptrIsEEEESE_PS5_SF_jNS0_19identity_decomposerENS1_16block_id_wrapperIjLb1EEEEE10hipError_tT1_PNSt15iterator_traitsISK_E10value_typeET2_T3_PNSL_ISQ_E10value_typeET4_T5_PSV_SW_PNS1_23onesweep_lookback_stateEbbT6_jjT7_P12ihipStream_tbENKUlT_T0_SK_SP_E_clISE_PsSF_SF_EEDaS13_S14_SK_SP_EUlS13_E_NS1_11comp_targetILNS1_3genE0ELNS1_11target_archE4294967295ELNS1_3gpuE0ELNS1_3repE0EEENS1_47radix_sort_onesweep_sort_config_static_selectorELNS0_4arch9wavefront6targetE1EEEvSK_, .Lfunc_end1959-_ZN7rocprim17ROCPRIM_400000_NS6detail17trampoline_kernelINS0_14default_configENS1_35radix_sort_onesweep_config_selectorIsNS0_10empty_typeEEEZZNS1_29radix_sort_onesweep_iterationIS3_Lb0EN6thrust23THRUST_200600_302600_NS6detail15normal_iteratorINS9_10device_ptrIsEEEESE_PS5_SF_jNS0_19identity_decomposerENS1_16block_id_wrapperIjLb1EEEEE10hipError_tT1_PNSt15iterator_traitsISK_E10value_typeET2_T3_PNSL_ISQ_E10value_typeET4_T5_PSV_SW_PNS1_23onesweep_lookback_stateEbbT6_jjT7_P12ihipStream_tbENKUlT_T0_SK_SP_E_clISE_PsSF_SF_EEDaS13_S14_SK_SP_EUlS13_E_NS1_11comp_targetILNS1_3genE0ELNS1_11target_archE4294967295ELNS1_3gpuE0ELNS1_3repE0EEENS1_47radix_sort_onesweep_sort_config_static_selectorELNS0_4arch9wavefront6targetE1EEEvSK_
                                        ; -- End function
	.section	.AMDGPU.csdata,"",@progbits
; Kernel info:
; codeLenInByte = 0
; NumSgprs: 4
; NumVgprs: 0
; NumAgprs: 0
; TotalNumVgprs: 0
; ScratchSize: 0
; MemoryBound: 0
; FloatMode: 240
; IeeeMode: 1
; LDSByteSize: 0 bytes/workgroup (compile time only)
; SGPRBlocks: 0
; VGPRBlocks: 0
; NumSGPRsForWavesPerEU: 4
; NumVGPRsForWavesPerEU: 1
; AccumOffset: 4
; Occupancy: 8
; WaveLimiterHint : 0
; COMPUTE_PGM_RSRC2:SCRATCH_EN: 0
; COMPUTE_PGM_RSRC2:USER_SGPR: 6
; COMPUTE_PGM_RSRC2:TRAP_HANDLER: 0
; COMPUTE_PGM_RSRC2:TGID_X_EN: 1
; COMPUTE_PGM_RSRC2:TGID_Y_EN: 0
; COMPUTE_PGM_RSRC2:TGID_Z_EN: 0
; COMPUTE_PGM_RSRC2:TIDIG_COMP_CNT: 0
; COMPUTE_PGM_RSRC3_GFX90A:ACCUM_OFFSET: 0
; COMPUTE_PGM_RSRC3_GFX90A:TG_SPLIT: 0
	.section	.text._ZN7rocprim17ROCPRIM_400000_NS6detail17trampoline_kernelINS0_14default_configENS1_35radix_sort_onesweep_config_selectorIsNS0_10empty_typeEEEZZNS1_29radix_sort_onesweep_iterationIS3_Lb0EN6thrust23THRUST_200600_302600_NS6detail15normal_iteratorINS9_10device_ptrIsEEEESE_PS5_SF_jNS0_19identity_decomposerENS1_16block_id_wrapperIjLb1EEEEE10hipError_tT1_PNSt15iterator_traitsISK_E10value_typeET2_T3_PNSL_ISQ_E10value_typeET4_T5_PSV_SW_PNS1_23onesweep_lookback_stateEbbT6_jjT7_P12ihipStream_tbENKUlT_T0_SK_SP_E_clISE_PsSF_SF_EEDaS13_S14_SK_SP_EUlS13_E_NS1_11comp_targetILNS1_3genE6ELNS1_11target_archE950ELNS1_3gpuE13ELNS1_3repE0EEENS1_47radix_sort_onesweep_sort_config_static_selectorELNS0_4arch9wavefront6targetE1EEEvSK_,"axG",@progbits,_ZN7rocprim17ROCPRIM_400000_NS6detail17trampoline_kernelINS0_14default_configENS1_35radix_sort_onesweep_config_selectorIsNS0_10empty_typeEEEZZNS1_29radix_sort_onesweep_iterationIS3_Lb0EN6thrust23THRUST_200600_302600_NS6detail15normal_iteratorINS9_10device_ptrIsEEEESE_PS5_SF_jNS0_19identity_decomposerENS1_16block_id_wrapperIjLb1EEEEE10hipError_tT1_PNSt15iterator_traitsISK_E10value_typeET2_T3_PNSL_ISQ_E10value_typeET4_T5_PSV_SW_PNS1_23onesweep_lookback_stateEbbT6_jjT7_P12ihipStream_tbENKUlT_T0_SK_SP_E_clISE_PsSF_SF_EEDaS13_S14_SK_SP_EUlS13_E_NS1_11comp_targetILNS1_3genE6ELNS1_11target_archE950ELNS1_3gpuE13ELNS1_3repE0EEENS1_47radix_sort_onesweep_sort_config_static_selectorELNS0_4arch9wavefront6targetE1EEEvSK_,comdat
	.protected	_ZN7rocprim17ROCPRIM_400000_NS6detail17trampoline_kernelINS0_14default_configENS1_35radix_sort_onesweep_config_selectorIsNS0_10empty_typeEEEZZNS1_29radix_sort_onesweep_iterationIS3_Lb0EN6thrust23THRUST_200600_302600_NS6detail15normal_iteratorINS9_10device_ptrIsEEEESE_PS5_SF_jNS0_19identity_decomposerENS1_16block_id_wrapperIjLb1EEEEE10hipError_tT1_PNSt15iterator_traitsISK_E10value_typeET2_T3_PNSL_ISQ_E10value_typeET4_T5_PSV_SW_PNS1_23onesweep_lookback_stateEbbT6_jjT7_P12ihipStream_tbENKUlT_T0_SK_SP_E_clISE_PsSF_SF_EEDaS13_S14_SK_SP_EUlS13_E_NS1_11comp_targetILNS1_3genE6ELNS1_11target_archE950ELNS1_3gpuE13ELNS1_3repE0EEENS1_47radix_sort_onesweep_sort_config_static_selectorELNS0_4arch9wavefront6targetE1EEEvSK_ ; -- Begin function _ZN7rocprim17ROCPRIM_400000_NS6detail17trampoline_kernelINS0_14default_configENS1_35radix_sort_onesweep_config_selectorIsNS0_10empty_typeEEEZZNS1_29radix_sort_onesweep_iterationIS3_Lb0EN6thrust23THRUST_200600_302600_NS6detail15normal_iteratorINS9_10device_ptrIsEEEESE_PS5_SF_jNS0_19identity_decomposerENS1_16block_id_wrapperIjLb1EEEEE10hipError_tT1_PNSt15iterator_traitsISK_E10value_typeET2_T3_PNSL_ISQ_E10value_typeET4_T5_PSV_SW_PNS1_23onesweep_lookback_stateEbbT6_jjT7_P12ihipStream_tbENKUlT_T0_SK_SP_E_clISE_PsSF_SF_EEDaS13_S14_SK_SP_EUlS13_E_NS1_11comp_targetILNS1_3genE6ELNS1_11target_archE950ELNS1_3gpuE13ELNS1_3repE0EEENS1_47radix_sort_onesweep_sort_config_static_selectorELNS0_4arch9wavefront6targetE1EEEvSK_
	.globl	_ZN7rocprim17ROCPRIM_400000_NS6detail17trampoline_kernelINS0_14default_configENS1_35radix_sort_onesweep_config_selectorIsNS0_10empty_typeEEEZZNS1_29radix_sort_onesweep_iterationIS3_Lb0EN6thrust23THRUST_200600_302600_NS6detail15normal_iteratorINS9_10device_ptrIsEEEESE_PS5_SF_jNS0_19identity_decomposerENS1_16block_id_wrapperIjLb1EEEEE10hipError_tT1_PNSt15iterator_traitsISK_E10value_typeET2_T3_PNSL_ISQ_E10value_typeET4_T5_PSV_SW_PNS1_23onesweep_lookback_stateEbbT6_jjT7_P12ihipStream_tbENKUlT_T0_SK_SP_E_clISE_PsSF_SF_EEDaS13_S14_SK_SP_EUlS13_E_NS1_11comp_targetILNS1_3genE6ELNS1_11target_archE950ELNS1_3gpuE13ELNS1_3repE0EEENS1_47radix_sort_onesweep_sort_config_static_selectorELNS0_4arch9wavefront6targetE1EEEvSK_
	.p2align	8
	.type	_ZN7rocprim17ROCPRIM_400000_NS6detail17trampoline_kernelINS0_14default_configENS1_35radix_sort_onesweep_config_selectorIsNS0_10empty_typeEEEZZNS1_29radix_sort_onesweep_iterationIS3_Lb0EN6thrust23THRUST_200600_302600_NS6detail15normal_iteratorINS9_10device_ptrIsEEEESE_PS5_SF_jNS0_19identity_decomposerENS1_16block_id_wrapperIjLb1EEEEE10hipError_tT1_PNSt15iterator_traitsISK_E10value_typeET2_T3_PNSL_ISQ_E10value_typeET4_T5_PSV_SW_PNS1_23onesweep_lookback_stateEbbT6_jjT7_P12ihipStream_tbENKUlT_T0_SK_SP_E_clISE_PsSF_SF_EEDaS13_S14_SK_SP_EUlS13_E_NS1_11comp_targetILNS1_3genE6ELNS1_11target_archE950ELNS1_3gpuE13ELNS1_3repE0EEENS1_47radix_sort_onesweep_sort_config_static_selectorELNS0_4arch9wavefront6targetE1EEEvSK_,@function
_ZN7rocprim17ROCPRIM_400000_NS6detail17trampoline_kernelINS0_14default_configENS1_35radix_sort_onesweep_config_selectorIsNS0_10empty_typeEEEZZNS1_29radix_sort_onesweep_iterationIS3_Lb0EN6thrust23THRUST_200600_302600_NS6detail15normal_iteratorINS9_10device_ptrIsEEEESE_PS5_SF_jNS0_19identity_decomposerENS1_16block_id_wrapperIjLb1EEEEE10hipError_tT1_PNSt15iterator_traitsISK_E10value_typeET2_T3_PNSL_ISQ_E10value_typeET4_T5_PSV_SW_PNS1_23onesweep_lookback_stateEbbT6_jjT7_P12ihipStream_tbENKUlT_T0_SK_SP_E_clISE_PsSF_SF_EEDaS13_S14_SK_SP_EUlS13_E_NS1_11comp_targetILNS1_3genE6ELNS1_11target_archE950ELNS1_3gpuE13ELNS1_3repE0EEENS1_47radix_sort_onesweep_sort_config_static_selectorELNS0_4arch9wavefront6targetE1EEEvSK_: ; @_ZN7rocprim17ROCPRIM_400000_NS6detail17trampoline_kernelINS0_14default_configENS1_35radix_sort_onesweep_config_selectorIsNS0_10empty_typeEEEZZNS1_29radix_sort_onesweep_iterationIS3_Lb0EN6thrust23THRUST_200600_302600_NS6detail15normal_iteratorINS9_10device_ptrIsEEEESE_PS5_SF_jNS0_19identity_decomposerENS1_16block_id_wrapperIjLb1EEEEE10hipError_tT1_PNSt15iterator_traitsISK_E10value_typeET2_T3_PNSL_ISQ_E10value_typeET4_T5_PSV_SW_PNS1_23onesweep_lookback_stateEbbT6_jjT7_P12ihipStream_tbENKUlT_T0_SK_SP_E_clISE_PsSF_SF_EEDaS13_S14_SK_SP_EUlS13_E_NS1_11comp_targetILNS1_3genE6ELNS1_11target_archE950ELNS1_3gpuE13ELNS1_3repE0EEENS1_47radix_sort_onesweep_sort_config_static_selectorELNS0_4arch9wavefront6targetE1EEEvSK_
; %bb.0:
	.section	.rodata,"a",@progbits
	.p2align	6, 0x0
	.amdhsa_kernel _ZN7rocprim17ROCPRIM_400000_NS6detail17trampoline_kernelINS0_14default_configENS1_35radix_sort_onesweep_config_selectorIsNS0_10empty_typeEEEZZNS1_29radix_sort_onesweep_iterationIS3_Lb0EN6thrust23THRUST_200600_302600_NS6detail15normal_iteratorINS9_10device_ptrIsEEEESE_PS5_SF_jNS0_19identity_decomposerENS1_16block_id_wrapperIjLb1EEEEE10hipError_tT1_PNSt15iterator_traitsISK_E10value_typeET2_T3_PNSL_ISQ_E10value_typeET4_T5_PSV_SW_PNS1_23onesweep_lookback_stateEbbT6_jjT7_P12ihipStream_tbENKUlT_T0_SK_SP_E_clISE_PsSF_SF_EEDaS13_S14_SK_SP_EUlS13_E_NS1_11comp_targetILNS1_3genE6ELNS1_11target_archE950ELNS1_3gpuE13ELNS1_3repE0EEENS1_47radix_sort_onesweep_sort_config_static_selectorELNS0_4arch9wavefront6targetE1EEEvSK_
		.amdhsa_group_segment_fixed_size 0
		.amdhsa_private_segment_fixed_size 0
		.amdhsa_kernarg_size 88
		.amdhsa_user_sgpr_count 6
		.amdhsa_user_sgpr_private_segment_buffer 1
		.amdhsa_user_sgpr_dispatch_ptr 0
		.amdhsa_user_sgpr_queue_ptr 0
		.amdhsa_user_sgpr_kernarg_segment_ptr 1
		.amdhsa_user_sgpr_dispatch_id 0
		.amdhsa_user_sgpr_flat_scratch_init 0
		.amdhsa_user_sgpr_kernarg_preload_length 0
		.amdhsa_user_sgpr_kernarg_preload_offset 0
		.amdhsa_user_sgpr_private_segment_size 0
		.amdhsa_uses_dynamic_stack 0
		.amdhsa_system_sgpr_private_segment_wavefront_offset 0
		.amdhsa_system_sgpr_workgroup_id_x 1
		.amdhsa_system_sgpr_workgroup_id_y 0
		.amdhsa_system_sgpr_workgroup_id_z 0
		.amdhsa_system_sgpr_workgroup_info 0
		.amdhsa_system_vgpr_workitem_id 0
		.amdhsa_next_free_vgpr 1
		.amdhsa_next_free_sgpr 0
		.amdhsa_accum_offset 4
		.amdhsa_reserve_vcc 0
		.amdhsa_reserve_flat_scratch 0
		.amdhsa_float_round_mode_32 0
		.amdhsa_float_round_mode_16_64 0
		.amdhsa_float_denorm_mode_32 3
		.amdhsa_float_denorm_mode_16_64 3
		.amdhsa_dx10_clamp 1
		.amdhsa_ieee_mode 1
		.amdhsa_fp16_overflow 0
		.amdhsa_tg_split 0
		.amdhsa_exception_fp_ieee_invalid_op 0
		.amdhsa_exception_fp_denorm_src 0
		.amdhsa_exception_fp_ieee_div_zero 0
		.amdhsa_exception_fp_ieee_overflow 0
		.amdhsa_exception_fp_ieee_underflow 0
		.amdhsa_exception_fp_ieee_inexact 0
		.amdhsa_exception_int_div_zero 0
	.end_amdhsa_kernel
	.section	.text._ZN7rocprim17ROCPRIM_400000_NS6detail17trampoline_kernelINS0_14default_configENS1_35radix_sort_onesweep_config_selectorIsNS0_10empty_typeEEEZZNS1_29radix_sort_onesweep_iterationIS3_Lb0EN6thrust23THRUST_200600_302600_NS6detail15normal_iteratorINS9_10device_ptrIsEEEESE_PS5_SF_jNS0_19identity_decomposerENS1_16block_id_wrapperIjLb1EEEEE10hipError_tT1_PNSt15iterator_traitsISK_E10value_typeET2_T3_PNSL_ISQ_E10value_typeET4_T5_PSV_SW_PNS1_23onesweep_lookback_stateEbbT6_jjT7_P12ihipStream_tbENKUlT_T0_SK_SP_E_clISE_PsSF_SF_EEDaS13_S14_SK_SP_EUlS13_E_NS1_11comp_targetILNS1_3genE6ELNS1_11target_archE950ELNS1_3gpuE13ELNS1_3repE0EEENS1_47radix_sort_onesweep_sort_config_static_selectorELNS0_4arch9wavefront6targetE1EEEvSK_,"axG",@progbits,_ZN7rocprim17ROCPRIM_400000_NS6detail17trampoline_kernelINS0_14default_configENS1_35radix_sort_onesweep_config_selectorIsNS0_10empty_typeEEEZZNS1_29radix_sort_onesweep_iterationIS3_Lb0EN6thrust23THRUST_200600_302600_NS6detail15normal_iteratorINS9_10device_ptrIsEEEESE_PS5_SF_jNS0_19identity_decomposerENS1_16block_id_wrapperIjLb1EEEEE10hipError_tT1_PNSt15iterator_traitsISK_E10value_typeET2_T3_PNSL_ISQ_E10value_typeET4_T5_PSV_SW_PNS1_23onesweep_lookback_stateEbbT6_jjT7_P12ihipStream_tbENKUlT_T0_SK_SP_E_clISE_PsSF_SF_EEDaS13_S14_SK_SP_EUlS13_E_NS1_11comp_targetILNS1_3genE6ELNS1_11target_archE950ELNS1_3gpuE13ELNS1_3repE0EEENS1_47radix_sort_onesweep_sort_config_static_selectorELNS0_4arch9wavefront6targetE1EEEvSK_,comdat
.Lfunc_end1960:
	.size	_ZN7rocprim17ROCPRIM_400000_NS6detail17trampoline_kernelINS0_14default_configENS1_35radix_sort_onesweep_config_selectorIsNS0_10empty_typeEEEZZNS1_29radix_sort_onesweep_iterationIS3_Lb0EN6thrust23THRUST_200600_302600_NS6detail15normal_iteratorINS9_10device_ptrIsEEEESE_PS5_SF_jNS0_19identity_decomposerENS1_16block_id_wrapperIjLb1EEEEE10hipError_tT1_PNSt15iterator_traitsISK_E10value_typeET2_T3_PNSL_ISQ_E10value_typeET4_T5_PSV_SW_PNS1_23onesweep_lookback_stateEbbT6_jjT7_P12ihipStream_tbENKUlT_T0_SK_SP_E_clISE_PsSF_SF_EEDaS13_S14_SK_SP_EUlS13_E_NS1_11comp_targetILNS1_3genE6ELNS1_11target_archE950ELNS1_3gpuE13ELNS1_3repE0EEENS1_47radix_sort_onesweep_sort_config_static_selectorELNS0_4arch9wavefront6targetE1EEEvSK_, .Lfunc_end1960-_ZN7rocprim17ROCPRIM_400000_NS6detail17trampoline_kernelINS0_14default_configENS1_35radix_sort_onesweep_config_selectorIsNS0_10empty_typeEEEZZNS1_29radix_sort_onesweep_iterationIS3_Lb0EN6thrust23THRUST_200600_302600_NS6detail15normal_iteratorINS9_10device_ptrIsEEEESE_PS5_SF_jNS0_19identity_decomposerENS1_16block_id_wrapperIjLb1EEEEE10hipError_tT1_PNSt15iterator_traitsISK_E10value_typeET2_T3_PNSL_ISQ_E10value_typeET4_T5_PSV_SW_PNS1_23onesweep_lookback_stateEbbT6_jjT7_P12ihipStream_tbENKUlT_T0_SK_SP_E_clISE_PsSF_SF_EEDaS13_S14_SK_SP_EUlS13_E_NS1_11comp_targetILNS1_3genE6ELNS1_11target_archE950ELNS1_3gpuE13ELNS1_3repE0EEENS1_47radix_sort_onesweep_sort_config_static_selectorELNS0_4arch9wavefront6targetE1EEEvSK_
                                        ; -- End function
	.section	.AMDGPU.csdata,"",@progbits
; Kernel info:
; codeLenInByte = 0
; NumSgprs: 4
; NumVgprs: 0
; NumAgprs: 0
; TotalNumVgprs: 0
; ScratchSize: 0
; MemoryBound: 0
; FloatMode: 240
; IeeeMode: 1
; LDSByteSize: 0 bytes/workgroup (compile time only)
; SGPRBlocks: 0
; VGPRBlocks: 0
; NumSGPRsForWavesPerEU: 4
; NumVGPRsForWavesPerEU: 1
; AccumOffset: 4
; Occupancy: 8
; WaveLimiterHint : 0
; COMPUTE_PGM_RSRC2:SCRATCH_EN: 0
; COMPUTE_PGM_RSRC2:USER_SGPR: 6
; COMPUTE_PGM_RSRC2:TRAP_HANDLER: 0
; COMPUTE_PGM_RSRC2:TGID_X_EN: 1
; COMPUTE_PGM_RSRC2:TGID_Y_EN: 0
; COMPUTE_PGM_RSRC2:TGID_Z_EN: 0
; COMPUTE_PGM_RSRC2:TIDIG_COMP_CNT: 0
; COMPUTE_PGM_RSRC3_GFX90A:ACCUM_OFFSET: 0
; COMPUTE_PGM_RSRC3_GFX90A:TG_SPLIT: 0
	.section	.text._ZN7rocprim17ROCPRIM_400000_NS6detail17trampoline_kernelINS0_14default_configENS1_35radix_sort_onesweep_config_selectorIsNS0_10empty_typeEEEZZNS1_29radix_sort_onesweep_iterationIS3_Lb0EN6thrust23THRUST_200600_302600_NS6detail15normal_iteratorINS9_10device_ptrIsEEEESE_PS5_SF_jNS0_19identity_decomposerENS1_16block_id_wrapperIjLb1EEEEE10hipError_tT1_PNSt15iterator_traitsISK_E10value_typeET2_T3_PNSL_ISQ_E10value_typeET4_T5_PSV_SW_PNS1_23onesweep_lookback_stateEbbT6_jjT7_P12ihipStream_tbENKUlT_T0_SK_SP_E_clISE_PsSF_SF_EEDaS13_S14_SK_SP_EUlS13_E_NS1_11comp_targetILNS1_3genE5ELNS1_11target_archE942ELNS1_3gpuE9ELNS1_3repE0EEENS1_47radix_sort_onesweep_sort_config_static_selectorELNS0_4arch9wavefront6targetE1EEEvSK_,"axG",@progbits,_ZN7rocprim17ROCPRIM_400000_NS6detail17trampoline_kernelINS0_14default_configENS1_35radix_sort_onesweep_config_selectorIsNS0_10empty_typeEEEZZNS1_29radix_sort_onesweep_iterationIS3_Lb0EN6thrust23THRUST_200600_302600_NS6detail15normal_iteratorINS9_10device_ptrIsEEEESE_PS5_SF_jNS0_19identity_decomposerENS1_16block_id_wrapperIjLb1EEEEE10hipError_tT1_PNSt15iterator_traitsISK_E10value_typeET2_T3_PNSL_ISQ_E10value_typeET4_T5_PSV_SW_PNS1_23onesweep_lookback_stateEbbT6_jjT7_P12ihipStream_tbENKUlT_T0_SK_SP_E_clISE_PsSF_SF_EEDaS13_S14_SK_SP_EUlS13_E_NS1_11comp_targetILNS1_3genE5ELNS1_11target_archE942ELNS1_3gpuE9ELNS1_3repE0EEENS1_47radix_sort_onesweep_sort_config_static_selectorELNS0_4arch9wavefront6targetE1EEEvSK_,comdat
	.protected	_ZN7rocprim17ROCPRIM_400000_NS6detail17trampoline_kernelINS0_14default_configENS1_35radix_sort_onesweep_config_selectorIsNS0_10empty_typeEEEZZNS1_29radix_sort_onesweep_iterationIS3_Lb0EN6thrust23THRUST_200600_302600_NS6detail15normal_iteratorINS9_10device_ptrIsEEEESE_PS5_SF_jNS0_19identity_decomposerENS1_16block_id_wrapperIjLb1EEEEE10hipError_tT1_PNSt15iterator_traitsISK_E10value_typeET2_T3_PNSL_ISQ_E10value_typeET4_T5_PSV_SW_PNS1_23onesweep_lookback_stateEbbT6_jjT7_P12ihipStream_tbENKUlT_T0_SK_SP_E_clISE_PsSF_SF_EEDaS13_S14_SK_SP_EUlS13_E_NS1_11comp_targetILNS1_3genE5ELNS1_11target_archE942ELNS1_3gpuE9ELNS1_3repE0EEENS1_47radix_sort_onesweep_sort_config_static_selectorELNS0_4arch9wavefront6targetE1EEEvSK_ ; -- Begin function _ZN7rocprim17ROCPRIM_400000_NS6detail17trampoline_kernelINS0_14default_configENS1_35radix_sort_onesweep_config_selectorIsNS0_10empty_typeEEEZZNS1_29radix_sort_onesweep_iterationIS3_Lb0EN6thrust23THRUST_200600_302600_NS6detail15normal_iteratorINS9_10device_ptrIsEEEESE_PS5_SF_jNS0_19identity_decomposerENS1_16block_id_wrapperIjLb1EEEEE10hipError_tT1_PNSt15iterator_traitsISK_E10value_typeET2_T3_PNSL_ISQ_E10value_typeET4_T5_PSV_SW_PNS1_23onesweep_lookback_stateEbbT6_jjT7_P12ihipStream_tbENKUlT_T0_SK_SP_E_clISE_PsSF_SF_EEDaS13_S14_SK_SP_EUlS13_E_NS1_11comp_targetILNS1_3genE5ELNS1_11target_archE942ELNS1_3gpuE9ELNS1_3repE0EEENS1_47radix_sort_onesweep_sort_config_static_selectorELNS0_4arch9wavefront6targetE1EEEvSK_
	.globl	_ZN7rocprim17ROCPRIM_400000_NS6detail17trampoline_kernelINS0_14default_configENS1_35radix_sort_onesweep_config_selectorIsNS0_10empty_typeEEEZZNS1_29radix_sort_onesweep_iterationIS3_Lb0EN6thrust23THRUST_200600_302600_NS6detail15normal_iteratorINS9_10device_ptrIsEEEESE_PS5_SF_jNS0_19identity_decomposerENS1_16block_id_wrapperIjLb1EEEEE10hipError_tT1_PNSt15iterator_traitsISK_E10value_typeET2_T3_PNSL_ISQ_E10value_typeET4_T5_PSV_SW_PNS1_23onesweep_lookback_stateEbbT6_jjT7_P12ihipStream_tbENKUlT_T0_SK_SP_E_clISE_PsSF_SF_EEDaS13_S14_SK_SP_EUlS13_E_NS1_11comp_targetILNS1_3genE5ELNS1_11target_archE942ELNS1_3gpuE9ELNS1_3repE0EEENS1_47radix_sort_onesweep_sort_config_static_selectorELNS0_4arch9wavefront6targetE1EEEvSK_
	.p2align	8
	.type	_ZN7rocprim17ROCPRIM_400000_NS6detail17trampoline_kernelINS0_14default_configENS1_35radix_sort_onesweep_config_selectorIsNS0_10empty_typeEEEZZNS1_29radix_sort_onesweep_iterationIS3_Lb0EN6thrust23THRUST_200600_302600_NS6detail15normal_iteratorINS9_10device_ptrIsEEEESE_PS5_SF_jNS0_19identity_decomposerENS1_16block_id_wrapperIjLb1EEEEE10hipError_tT1_PNSt15iterator_traitsISK_E10value_typeET2_T3_PNSL_ISQ_E10value_typeET4_T5_PSV_SW_PNS1_23onesweep_lookback_stateEbbT6_jjT7_P12ihipStream_tbENKUlT_T0_SK_SP_E_clISE_PsSF_SF_EEDaS13_S14_SK_SP_EUlS13_E_NS1_11comp_targetILNS1_3genE5ELNS1_11target_archE942ELNS1_3gpuE9ELNS1_3repE0EEENS1_47radix_sort_onesweep_sort_config_static_selectorELNS0_4arch9wavefront6targetE1EEEvSK_,@function
_ZN7rocprim17ROCPRIM_400000_NS6detail17trampoline_kernelINS0_14default_configENS1_35radix_sort_onesweep_config_selectorIsNS0_10empty_typeEEEZZNS1_29radix_sort_onesweep_iterationIS3_Lb0EN6thrust23THRUST_200600_302600_NS6detail15normal_iteratorINS9_10device_ptrIsEEEESE_PS5_SF_jNS0_19identity_decomposerENS1_16block_id_wrapperIjLb1EEEEE10hipError_tT1_PNSt15iterator_traitsISK_E10value_typeET2_T3_PNSL_ISQ_E10value_typeET4_T5_PSV_SW_PNS1_23onesweep_lookback_stateEbbT6_jjT7_P12ihipStream_tbENKUlT_T0_SK_SP_E_clISE_PsSF_SF_EEDaS13_S14_SK_SP_EUlS13_E_NS1_11comp_targetILNS1_3genE5ELNS1_11target_archE942ELNS1_3gpuE9ELNS1_3repE0EEENS1_47radix_sort_onesweep_sort_config_static_selectorELNS0_4arch9wavefront6targetE1EEEvSK_: ; @_ZN7rocprim17ROCPRIM_400000_NS6detail17trampoline_kernelINS0_14default_configENS1_35radix_sort_onesweep_config_selectorIsNS0_10empty_typeEEEZZNS1_29radix_sort_onesweep_iterationIS3_Lb0EN6thrust23THRUST_200600_302600_NS6detail15normal_iteratorINS9_10device_ptrIsEEEESE_PS5_SF_jNS0_19identity_decomposerENS1_16block_id_wrapperIjLb1EEEEE10hipError_tT1_PNSt15iterator_traitsISK_E10value_typeET2_T3_PNSL_ISQ_E10value_typeET4_T5_PSV_SW_PNS1_23onesweep_lookback_stateEbbT6_jjT7_P12ihipStream_tbENKUlT_T0_SK_SP_E_clISE_PsSF_SF_EEDaS13_S14_SK_SP_EUlS13_E_NS1_11comp_targetILNS1_3genE5ELNS1_11target_archE942ELNS1_3gpuE9ELNS1_3repE0EEENS1_47radix_sort_onesweep_sort_config_static_selectorELNS0_4arch9wavefront6targetE1EEEvSK_
; %bb.0:
	.section	.rodata,"a",@progbits
	.p2align	6, 0x0
	.amdhsa_kernel _ZN7rocprim17ROCPRIM_400000_NS6detail17trampoline_kernelINS0_14default_configENS1_35radix_sort_onesweep_config_selectorIsNS0_10empty_typeEEEZZNS1_29radix_sort_onesweep_iterationIS3_Lb0EN6thrust23THRUST_200600_302600_NS6detail15normal_iteratorINS9_10device_ptrIsEEEESE_PS5_SF_jNS0_19identity_decomposerENS1_16block_id_wrapperIjLb1EEEEE10hipError_tT1_PNSt15iterator_traitsISK_E10value_typeET2_T3_PNSL_ISQ_E10value_typeET4_T5_PSV_SW_PNS1_23onesweep_lookback_stateEbbT6_jjT7_P12ihipStream_tbENKUlT_T0_SK_SP_E_clISE_PsSF_SF_EEDaS13_S14_SK_SP_EUlS13_E_NS1_11comp_targetILNS1_3genE5ELNS1_11target_archE942ELNS1_3gpuE9ELNS1_3repE0EEENS1_47radix_sort_onesweep_sort_config_static_selectorELNS0_4arch9wavefront6targetE1EEEvSK_
		.amdhsa_group_segment_fixed_size 0
		.amdhsa_private_segment_fixed_size 0
		.amdhsa_kernarg_size 88
		.amdhsa_user_sgpr_count 6
		.amdhsa_user_sgpr_private_segment_buffer 1
		.amdhsa_user_sgpr_dispatch_ptr 0
		.amdhsa_user_sgpr_queue_ptr 0
		.amdhsa_user_sgpr_kernarg_segment_ptr 1
		.amdhsa_user_sgpr_dispatch_id 0
		.amdhsa_user_sgpr_flat_scratch_init 0
		.amdhsa_user_sgpr_kernarg_preload_length 0
		.amdhsa_user_sgpr_kernarg_preload_offset 0
		.amdhsa_user_sgpr_private_segment_size 0
		.amdhsa_uses_dynamic_stack 0
		.amdhsa_system_sgpr_private_segment_wavefront_offset 0
		.amdhsa_system_sgpr_workgroup_id_x 1
		.amdhsa_system_sgpr_workgroup_id_y 0
		.amdhsa_system_sgpr_workgroup_id_z 0
		.amdhsa_system_sgpr_workgroup_info 0
		.amdhsa_system_vgpr_workitem_id 0
		.amdhsa_next_free_vgpr 1
		.amdhsa_next_free_sgpr 0
		.amdhsa_accum_offset 4
		.amdhsa_reserve_vcc 0
		.amdhsa_reserve_flat_scratch 0
		.amdhsa_float_round_mode_32 0
		.amdhsa_float_round_mode_16_64 0
		.amdhsa_float_denorm_mode_32 3
		.amdhsa_float_denorm_mode_16_64 3
		.amdhsa_dx10_clamp 1
		.amdhsa_ieee_mode 1
		.amdhsa_fp16_overflow 0
		.amdhsa_tg_split 0
		.amdhsa_exception_fp_ieee_invalid_op 0
		.amdhsa_exception_fp_denorm_src 0
		.amdhsa_exception_fp_ieee_div_zero 0
		.amdhsa_exception_fp_ieee_overflow 0
		.amdhsa_exception_fp_ieee_underflow 0
		.amdhsa_exception_fp_ieee_inexact 0
		.amdhsa_exception_int_div_zero 0
	.end_amdhsa_kernel
	.section	.text._ZN7rocprim17ROCPRIM_400000_NS6detail17trampoline_kernelINS0_14default_configENS1_35radix_sort_onesweep_config_selectorIsNS0_10empty_typeEEEZZNS1_29radix_sort_onesweep_iterationIS3_Lb0EN6thrust23THRUST_200600_302600_NS6detail15normal_iteratorINS9_10device_ptrIsEEEESE_PS5_SF_jNS0_19identity_decomposerENS1_16block_id_wrapperIjLb1EEEEE10hipError_tT1_PNSt15iterator_traitsISK_E10value_typeET2_T3_PNSL_ISQ_E10value_typeET4_T5_PSV_SW_PNS1_23onesweep_lookback_stateEbbT6_jjT7_P12ihipStream_tbENKUlT_T0_SK_SP_E_clISE_PsSF_SF_EEDaS13_S14_SK_SP_EUlS13_E_NS1_11comp_targetILNS1_3genE5ELNS1_11target_archE942ELNS1_3gpuE9ELNS1_3repE0EEENS1_47radix_sort_onesweep_sort_config_static_selectorELNS0_4arch9wavefront6targetE1EEEvSK_,"axG",@progbits,_ZN7rocprim17ROCPRIM_400000_NS6detail17trampoline_kernelINS0_14default_configENS1_35radix_sort_onesweep_config_selectorIsNS0_10empty_typeEEEZZNS1_29radix_sort_onesweep_iterationIS3_Lb0EN6thrust23THRUST_200600_302600_NS6detail15normal_iteratorINS9_10device_ptrIsEEEESE_PS5_SF_jNS0_19identity_decomposerENS1_16block_id_wrapperIjLb1EEEEE10hipError_tT1_PNSt15iterator_traitsISK_E10value_typeET2_T3_PNSL_ISQ_E10value_typeET4_T5_PSV_SW_PNS1_23onesweep_lookback_stateEbbT6_jjT7_P12ihipStream_tbENKUlT_T0_SK_SP_E_clISE_PsSF_SF_EEDaS13_S14_SK_SP_EUlS13_E_NS1_11comp_targetILNS1_3genE5ELNS1_11target_archE942ELNS1_3gpuE9ELNS1_3repE0EEENS1_47radix_sort_onesweep_sort_config_static_selectorELNS0_4arch9wavefront6targetE1EEEvSK_,comdat
.Lfunc_end1961:
	.size	_ZN7rocprim17ROCPRIM_400000_NS6detail17trampoline_kernelINS0_14default_configENS1_35radix_sort_onesweep_config_selectorIsNS0_10empty_typeEEEZZNS1_29radix_sort_onesweep_iterationIS3_Lb0EN6thrust23THRUST_200600_302600_NS6detail15normal_iteratorINS9_10device_ptrIsEEEESE_PS5_SF_jNS0_19identity_decomposerENS1_16block_id_wrapperIjLb1EEEEE10hipError_tT1_PNSt15iterator_traitsISK_E10value_typeET2_T3_PNSL_ISQ_E10value_typeET4_T5_PSV_SW_PNS1_23onesweep_lookback_stateEbbT6_jjT7_P12ihipStream_tbENKUlT_T0_SK_SP_E_clISE_PsSF_SF_EEDaS13_S14_SK_SP_EUlS13_E_NS1_11comp_targetILNS1_3genE5ELNS1_11target_archE942ELNS1_3gpuE9ELNS1_3repE0EEENS1_47radix_sort_onesweep_sort_config_static_selectorELNS0_4arch9wavefront6targetE1EEEvSK_, .Lfunc_end1961-_ZN7rocprim17ROCPRIM_400000_NS6detail17trampoline_kernelINS0_14default_configENS1_35radix_sort_onesweep_config_selectorIsNS0_10empty_typeEEEZZNS1_29radix_sort_onesweep_iterationIS3_Lb0EN6thrust23THRUST_200600_302600_NS6detail15normal_iteratorINS9_10device_ptrIsEEEESE_PS5_SF_jNS0_19identity_decomposerENS1_16block_id_wrapperIjLb1EEEEE10hipError_tT1_PNSt15iterator_traitsISK_E10value_typeET2_T3_PNSL_ISQ_E10value_typeET4_T5_PSV_SW_PNS1_23onesweep_lookback_stateEbbT6_jjT7_P12ihipStream_tbENKUlT_T0_SK_SP_E_clISE_PsSF_SF_EEDaS13_S14_SK_SP_EUlS13_E_NS1_11comp_targetILNS1_3genE5ELNS1_11target_archE942ELNS1_3gpuE9ELNS1_3repE0EEENS1_47radix_sort_onesweep_sort_config_static_selectorELNS0_4arch9wavefront6targetE1EEEvSK_
                                        ; -- End function
	.section	.AMDGPU.csdata,"",@progbits
; Kernel info:
; codeLenInByte = 0
; NumSgprs: 4
; NumVgprs: 0
; NumAgprs: 0
; TotalNumVgprs: 0
; ScratchSize: 0
; MemoryBound: 0
; FloatMode: 240
; IeeeMode: 1
; LDSByteSize: 0 bytes/workgroup (compile time only)
; SGPRBlocks: 0
; VGPRBlocks: 0
; NumSGPRsForWavesPerEU: 4
; NumVGPRsForWavesPerEU: 1
; AccumOffset: 4
; Occupancy: 8
; WaveLimiterHint : 0
; COMPUTE_PGM_RSRC2:SCRATCH_EN: 0
; COMPUTE_PGM_RSRC2:USER_SGPR: 6
; COMPUTE_PGM_RSRC2:TRAP_HANDLER: 0
; COMPUTE_PGM_RSRC2:TGID_X_EN: 1
; COMPUTE_PGM_RSRC2:TGID_Y_EN: 0
; COMPUTE_PGM_RSRC2:TGID_Z_EN: 0
; COMPUTE_PGM_RSRC2:TIDIG_COMP_CNT: 0
; COMPUTE_PGM_RSRC3_GFX90A:ACCUM_OFFSET: 0
; COMPUTE_PGM_RSRC3_GFX90A:TG_SPLIT: 0
	.section	.text._ZN7rocprim17ROCPRIM_400000_NS6detail17trampoline_kernelINS0_14default_configENS1_35radix_sort_onesweep_config_selectorIsNS0_10empty_typeEEEZZNS1_29radix_sort_onesweep_iterationIS3_Lb0EN6thrust23THRUST_200600_302600_NS6detail15normal_iteratorINS9_10device_ptrIsEEEESE_PS5_SF_jNS0_19identity_decomposerENS1_16block_id_wrapperIjLb1EEEEE10hipError_tT1_PNSt15iterator_traitsISK_E10value_typeET2_T3_PNSL_ISQ_E10value_typeET4_T5_PSV_SW_PNS1_23onesweep_lookback_stateEbbT6_jjT7_P12ihipStream_tbENKUlT_T0_SK_SP_E_clISE_PsSF_SF_EEDaS13_S14_SK_SP_EUlS13_E_NS1_11comp_targetILNS1_3genE2ELNS1_11target_archE906ELNS1_3gpuE6ELNS1_3repE0EEENS1_47radix_sort_onesweep_sort_config_static_selectorELNS0_4arch9wavefront6targetE1EEEvSK_,"axG",@progbits,_ZN7rocprim17ROCPRIM_400000_NS6detail17trampoline_kernelINS0_14default_configENS1_35radix_sort_onesweep_config_selectorIsNS0_10empty_typeEEEZZNS1_29radix_sort_onesweep_iterationIS3_Lb0EN6thrust23THRUST_200600_302600_NS6detail15normal_iteratorINS9_10device_ptrIsEEEESE_PS5_SF_jNS0_19identity_decomposerENS1_16block_id_wrapperIjLb1EEEEE10hipError_tT1_PNSt15iterator_traitsISK_E10value_typeET2_T3_PNSL_ISQ_E10value_typeET4_T5_PSV_SW_PNS1_23onesweep_lookback_stateEbbT6_jjT7_P12ihipStream_tbENKUlT_T0_SK_SP_E_clISE_PsSF_SF_EEDaS13_S14_SK_SP_EUlS13_E_NS1_11comp_targetILNS1_3genE2ELNS1_11target_archE906ELNS1_3gpuE6ELNS1_3repE0EEENS1_47radix_sort_onesweep_sort_config_static_selectorELNS0_4arch9wavefront6targetE1EEEvSK_,comdat
	.protected	_ZN7rocprim17ROCPRIM_400000_NS6detail17trampoline_kernelINS0_14default_configENS1_35radix_sort_onesweep_config_selectorIsNS0_10empty_typeEEEZZNS1_29radix_sort_onesweep_iterationIS3_Lb0EN6thrust23THRUST_200600_302600_NS6detail15normal_iteratorINS9_10device_ptrIsEEEESE_PS5_SF_jNS0_19identity_decomposerENS1_16block_id_wrapperIjLb1EEEEE10hipError_tT1_PNSt15iterator_traitsISK_E10value_typeET2_T3_PNSL_ISQ_E10value_typeET4_T5_PSV_SW_PNS1_23onesweep_lookback_stateEbbT6_jjT7_P12ihipStream_tbENKUlT_T0_SK_SP_E_clISE_PsSF_SF_EEDaS13_S14_SK_SP_EUlS13_E_NS1_11comp_targetILNS1_3genE2ELNS1_11target_archE906ELNS1_3gpuE6ELNS1_3repE0EEENS1_47radix_sort_onesweep_sort_config_static_selectorELNS0_4arch9wavefront6targetE1EEEvSK_ ; -- Begin function _ZN7rocprim17ROCPRIM_400000_NS6detail17trampoline_kernelINS0_14default_configENS1_35radix_sort_onesweep_config_selectorIsNS0_10empty_typeEEEZZNS1_29radix_sort_onesweep_iterationIS3_Lb0EN6thrust23THRUST_200600_302600_NS6detail15normal_iteratorINS9_10device_ptrIsEEEESE_PS5_SF_jNS0_19identity_decomposerENS1_16block_id_wrapperIjLb1EEEEE10hipError_tT1_PNSt15iterator_traitsISK_E10value_typeET2_T3_PNSL_ISQ_E10value_typeET4_T5_PSV_SW_PNS1_23onesweep_lookback_stateEbbT6_jjT7_P12ihipStream_tbENKUlT_T0_SK_SP_E_clISE_PsSF_SF_EEDaS13_S14_SK_SP_EUlS13_E_NS1_11comp_targetILNS1_3genE2ELNS1_11target_archE906ELNS1_3gpuE6ELNS1_3repE0EEENS1_47radix_sort_onesweep_sort_config_static_selectorELNS0_4arch9wavefront6targetE1EEEvSK_
	.globl	_ZN7rocprim17ROCPRIM_400000_NS6detail17trampoline_kernelINS0_14default_configENS1_35radix_sort_onesweep_config_selectorIsNS0_10empty_typeEEEZZNS1_29radix_sort_onesweep_iterationIS3_Lb0EN6thrust23THRUST_200600_302600_NS6detail15normal_iteratorINS9_10device_ptrIsEEEESE_PS5_SF_jNS0_19identity_decomposerENS1_16block_id_wrapperIjLb1EEEEE10hipError_tT1_PNSt15iterator_traitsISK_E10value_typeET2_T3_PNSL_ISQ_E10value_typeET4_T5_PSV_SW_PNS1_23onesweep_lookback_stateEbbT6_jjT7_P12ihipStream_tbENKUlT_T0_SK_SP_E_clISE_PsSF_SF_EEDaS13_S14_SK_SP_EUlS13_E_NS1_11comp_targetILNS1_3genE2ELNS1_11target_archE906ELNS1_3gpuE6ELNS1_3repE0EEENS1_47radix_sort_onesweep_sort_config_static_selectorELNS0_4arch9wavefront6targetE1EEEvSK_
	.p2align	8
	.type	_ZN7rocprim17ROCPRIM_400000_NS6detail17trampoline_kernelINS0_14default_configENS1_35radix_sort_onesweep_config_selectorIsNS0_10empty_typeEEEZZNS1_29radix_sort_onesweep_iterationIS3_Lb0EN6thrust23THRUST_200600_302600_NS6detail15normal_iteratorINS9_10device_ptrIsEEEESE_PS5_SF_jNS0_19identity_decomposerENS1_16block_id_wrapperIjLb1EEEEE10hipError_tT1_PNSt15iterator_traitsISK_E10value_typeET2_T3_PNSL_ISQ_E10value_typeET4_T5_PSV_SW_PNS1_23onesweep_lookback_stateEbbT6_jjT7_P12ihipStream_tbENKUlT_T0_SK_SP_E_clISE_PsSF_SF_EEDaS13_S14_SK_SP_EUlS13_E_NS1_11comp_targetILNS1_3genE2ELNS1_11target_archE906ELNS1_3gpuE6ELNS1_3repE0EEENS1_47radix_sort_onesweep_sort_config_static_selectorELNS0_4arch9wavefront6targetE1EEEvSK_,@function
_ZN7rocprim17ROCPRIM_400000_NS6detail17trampoline_kernelINS0_14default_configENS1_35radix_sort_onesweep_config_selectorIsNS0_10empty_typeEEEZZNS1_29radix_sort_onesweep_iterationIS3_Lb0EN6thrust23THRUST_200600_302600_NS6detail15normal_iteratorINS9_10device_ptrIsEEEESE_PS5_SF_jNS0_19identity_decomposerENS1_16block_id_wrapperIjLb1EEEEE10hipError_tT1_PNSt15iterator_traitsISK_E10value_typeET2_T3_PNSL_ISQ_E10value_typeET4_T5_PSV_SW_PNS1_23onesweep_lookback_stateEbbT6_jjT7_P12ihipStream_tbENKUlT_T0_SK_SP_E_clISE_PsSF_SF_EEDaS13_S14_SK_SP_EUlS13_E_NS1_11comp_targetILNS1_3genE2ELNS1_11target_archE906ELNS1_3gpuE6ELNS1_3repE0EEENS1_47radix_sort_onesweep_sort_config_static_selectorELNS0_4arch9wavefront6targetE1EEEvSK_: ; @_ZN7rocprim17ROCPRIM_400000_NS6detail17trampoline_kernelINS0_14default_configENS1_35radix_sort_onesweep_config_selectorIsNS0_10empty_typeEEEZZNS1_29radix_sort_onesweep_iterationIS3_Lb0EN6thrust23THRUST_200600_302600_NS6detail15normal_iteratorINS9_10device_ptrIsEEEESE_PS5_SF_jNS0_19identity_decomposerENS1_16block_id_wrapperIjLb1EEEEE10hipError_tT1_PNSt15iterator_traitsISK_E10value_typeET2_T3_PNSL_ISQ_E10value_typeET4_T5_PSV_SW_PNS1_23onesweep_lookback_stateEbbT6_jjT7_P12ihipStream_tbENKUlT_T0_SK_SP_E_clISE_PsSF_SF_EEDaS13_S14_SK_SP_EUlS13_E_NS1_11comp_targetILNS1_3genE2ELNS1_11target_archE906ELNS1_3gpuE6ELNS1_3repE0EEENS1_47radix_sort_onesweep_sort_config_static_selectorELNS0_4arch9wavefront6targetE1EEEvSK_
; %bb.0:
	.section	.rodata,"a",@progbits
	.p2align	6, 0x0
	.amdhsa_kernel _ZN7rocprim17ROCPRIM_400000_NS6detail17trampoline_kernelINS0_14default_configENS1_35radix_sort_onesweep_config_selectorIsNS0_10empty_typeEEEZZNS1_29radix_sort_onesweep_iterationIS3_Lb0EN6thrust23THRUST_200600_302600_NS6detail15normal_iteratorINS9_10device_ptrIsEEEESE_PS5_SF_jNS0_19identity_decomposerENS1_16block_id_wrapperIjLb1EEEEE10hipError_tT1_PNSt15iterator_traitsISK_E10value_typeET2_T3_PNSL_ISQ_E10value_typeET4_T5_PSV_SW_PNS1_23onesweep_lookback_stateEbbT6_jjT7_P12ihipStream_tbENKUlT_T0_SK_SP_E_clISE_PsSF_SF_EEDaS13_S14_SK_SP_EUlS13_E_NS1_11comp_targetILNS1_3genE2ELNS1_11target_archE906ELNS1_3gpuE6ELNS1_3repE0EEENS1_47radix_sort_onesweep_sort_config_static_selectorELNS0_4arch9wavefront6targetE1EEEvSK_
		.amdhsa_group_segment_fixed_size 0
		.amdhsa_private_segment_fixed_size 0
		.amdhsa_kernarg_size 88
		.amdhsa_user_sgpr_count 6
		.amdhsa_user_sgpr_private_segment_buffer 1
		.amdhsa_user_sgpr_dispatch_ptr 0
		.amdhsa_user_sgpr_queue_ptr 0
		.amdhsa_user_sgpr_kernarg_segment_ptr 1
		.amdhsa_user_sgpr_dispatch_id 0
		.amdhsa_user_sgpr_flat_scratch_init 0
		.amdhsa_user_sgpr_kernarg_preload_length 0
		.amdhsa_user_sgpr_kernarg_preload_offset 0
		.amdhsa_user_sgpr_private_segment_size 0
		.amdhsa_uses_dynamic_stack 0
		.amdhsa_system_sgpr_private_segment_wavefront_offset 0
		.amdhsa_system_sgpr_workgroup_id_x 1
		.amdhsa_system_sgpr_workgroup_id_y 0
		.amdhsa_system_sgpr_workgroup_id_z 0
		.amdhsa_system_sgpr_workgroup_info 0
		.amdhsa_system_vgpr_workitem_id 0
		.amdhsa_next_free_vgpr 1
		.amdhsa_next_free_sgpr 0
		.amdhsa_accum_offset 4
		.amdhsa_reserve_vcc 0
		.amdhsa_reserve_flat_scratch 0
		.amdhsa_float_round_mode_32 0
		.amdhsa_float_round_mode_16_64 0
		.amdhsa_float_denorm_mode_32 3
		.amdhsa_float_denorm_mode_16_64 3
		.amdhsa_dx10_clamp 1
		.amdhsa_ieee_mode 1
		.amdhsa_fp16_overflow 0
		.amdhsa_tg_split 0
		.amdhsa_exception_fp_ieee_invalid_op 0
		.amdhsa_exception_fp_denorm_src 0
		.amdhsa_exception_fp_ieee_div_zero 0
		.amdhsa_exception_fp_ieee_overflow 0
		.amdhsa_exception_fp_ieee_underflow 0
		.amdhsa_exception_fp_ieee_inexact 0
		.amdhsa_exception_int_div_zero 0
	.end_amdhsa_kernel
	.section	.text._ZN7rocprim17ROCPRIM_400000_NS6detail17trampoline_kernelINS0_14default_configENS1_35radix_sort_onesweep_config_selectorIsNS0_10empty_typeEEEZZNS1_29radix_sort_onesweep_iterationIS3_Lb0EN6thrust23THRUST_200600_302600_NS6detail15normal_iteratorINS9_10device_ptrIsEEEESE_PS5_SF_jNS0_19identity_decomposerENS1_16block_id_wrapperIjLb1EEEEE10hipError_tT1_PNSt15iterator_traitsISK_E10value_typeET2_T3_PNSL_ISQ_E10value_typeET4_T5_PSV_SW_PNS1_23onesweep_lookback_stateEbbT6_jjT7_P12ihipStream_tbENKUlT_T0_SK_SP_E_clISE_PsSF_SF_EEDaS13_S14_SK_SP_EUlS13_E_NS1_11comp_targetILNS1_3genE2ELNS1_11target_archE906ELNS1_3gpuE6ELNS1_3repE0EEENS1_47radix_sort_onesweep_sort_config_static_selectorELNS0_4arch9wavefront6targetE1EEEvSK_,"axG",@progbits,_ZN7rocprim17ROCPRIM_400000_NS6detail17trampoline_kernelINS0_14default_configENS1_35radix_sort_onesweep_config_selectorIsNS0_10empty_typeEEEZZNS1_29radix_sort_onesweep_iterationIS3_Lb0EN6thrust23THRUST_200600_302600_NS6detail15normal_iteratorINS9_10device_ptrIsEEEESE_PS5_SF_jNS0_19identity_decomposerENS1_16block_id_wrapperIjLb1EEEEE10hipError_tT1_PNSt15iterator_traitsISK_E10value_typeET2_T3_PNSL_ISQ_E10value_typeET4_T5_PSV_SW_PNS1_23onesweep_lookback_stateEbbT6_jjT7_P12ihipStream_tbENKUlT_T0_SK_SP_E_clISE_PsSF_SF_EEDaS13_S14_SK_SP_EUlS13_E_NS1_11comp_targetILNS1_3genE2ELNS1_11target_archE906ELNS1_3gpuE6ELNS1_3repE0EEENS1_47radix_sort_onesweep_sort_config_static_selectorELNS0_4arch9wavefront6targetE1EEEvSK_,comdat
.Lfunc_end1962:
	.size	_ZN7rocprim17ROCPRIM_400000_NS6detail17trampoline_kernelINS0_14default_configENS1_35radix_sort_onesweep_config_selectorIsNS0_10empty_typeEEEZZNS1_29radix_sort_onesweep_iterationIS3_Lb0EN6thrust23THRUST_200600_302600_NS6detail15normal_iteratorINS9_10device_ptrIsEEEESE_PS5_SF_jNS0_19identity_decomposerENS1_16block_id_wrapperIjLb1EEEEE10hipError_tT1_PNSt15iterator_traitsISK_E10value_typeET2_T3_PNSL_ISQ_E10value_typeET4_T5_PSV_SW_PNS1_23onesweep_lookback_stateEbbT6_jjT7_P12ihipStream_tbENKUlT_T0_SK_SP_E_clISE_PsSF_SF_EEDaS13_S14_SK_SP_EUlS13_E_NS1_11comp_targetILNS1_3genE2ELNS1_11target_archE906ELNS1_3gpuE6ELNS1_3repE0EEENS1_47radix_sort_onesweep_sort_config_static_selectorELNS0_4arch9wavefront6targetE1EEEvSK_, .Lfunc_end1962-_ZN7rocprim17ROCPRIM_400000_NS6detail17trampoline_kernelINS0_14default_configENS1_35radix_sort_onesweep_config_selectorIsNS0_10empty_typeEEEZZNS1_29radix_sort_onesweep_iterationIS3_Lb0EN6thrust23THRUST_200600_302600_NS6detail15normal_iteratorINS9_10device_ptrIsEEEESE_PS5_SF_jNS0_19identity_decomposerENS1_16block_id_wrapperIjLb1EEEEE10hipError_tT1_PNSt15iterator_traitsISK_E10value_typeET2_T3_PNSL_ISQ_E10value_typeET4_T5_PSV_SW_PNS1_23onesweep_lookback_stateEbbT6_jjT7_P12ihipStream_tbENKUlT_T0_SK_SP_E_clISE_PsSF_SF_EEDaS13_S14_SK_SP_EUlS13_E_NS1_11comp_targetILNS1_3genE2ELNS1_11target_archE906ELNS1_3gpuE6ELNS1_3repE0EEENS1_47radix_sort_onesweep_sort_config_static_selectorELNS0_4arch9wavefront6targetE1EEEvSK_
                                        ; -- End function
	.section	.AMDGPU.csdata,"",@progbits
; Kernel info:
; codeLenInByte = 0
; NumSgprs: 4
; NumVgprs: 0
; NumAgprs: 0
; TotalNumVgprs: 0
; ScratchSize: 0
; MemoryBound: 0
; FloatMode: 240
; IeeeMode: 1
; LDSByteSize: 0 bytes/workgroup (compile time only)
; SGPRBlocks: 0
; VGPRBlocks: 0
; NumSGPRsForWavesPerEU: 4
; NumVGPRsForWavesPerEU: 1
; AccumOffset: 4
; Occupancy: 8
; WaveLimiterHint : 0
; COMPUTE_PGM_RSRC2:SCRATCH_EN: 0
; COMPUTE_PGM_RSRC2:USER_SGPR: 6
; COMPUTE_PGM_RSRC2:TRAP_HANDLER: 0
; COMPUTE_PGM_RSRC2:TGID_X_EN: 1
; COMPUTE_PGM_RSRC2:TGID_Y_EN: 0
; COMPUTE_PGM_RSRC2:TGID_Z_EN: 0
; COMPUTE_PGM_RSRC2:TIDIG_COMP_CNT: 0
; COMPUTE_PGM_RSRC3_GFX90A:ACCUM_OFFSET: 0
; COMPUTE_PGM_RSRC3_GFX90A:TG_SPLIT: 0
	.section	.text._ZN7rocprim17ROCPRIM_400000_NS6detail17trampoline_kernelINS0_14default_configENS1_35radix_sort_onesweep_config_selectorIsNS0_10empty_typeEEEZZNS1_29radix_sort_onesweep_iterationIS3_Lb0EN6thrust23THRUST_200600_302600_NS6detail15normal_iteratorINS9_10device_ptrIsEEEESE_PS5_SF_jNS0_19identity_decomposerENS1_16block_id_wrapperIjLb1EEEEE10hipError_tT1_PNSt15iterator_traitsISK_E10value_typeET2_T3_PNSL_ISQ_E10value_typeET4_T5_PSV_SW_PNS1_23onesweep_lookback_stateEbbT6_jjT7_P12ihipStream_tbENKUlT_T0_SK_SP_E_clISE_PsSF_SF_EEDaS13_S14_SK_SP_EUlS13_E_NS1_11comp_targetILNS1_3genE4ELNS1_11target_archE910ELNS1_3gpuE8ELNS1_3repE0EEENS1_47radix_sort_onesweep_sort_config_static_selectorELNS0_4arch9wavefront6targetE1EEEvSK_,"axG",@progbits,_ZN7rocprim17ROCPRIM_400000_NS6detail17trampoline_kernelINS0_14default_configENS1_35radix_sort_onesweep_config_selectorIsNS0_10empty_typeEEEZZNS1_29radix_sort_onesweep_iterationIS3_Lb0EN6thrust23THRUST_200600_302600_NS6detail15normal_iteratorINS9_10device_ptrIsEEEESE_PS5_SF_jNS0_19identity_decomposerENS1_16block_id_wrapperIjLb1EEEEE10hipError_tT1_PNSt15iterator_traitsISK_E10value_typeET2_T3_PNSL_ISQ_E10value_typeET4_T5_PSV_SW_PNS1_23onesweep_lookback_stateEbbT6_jjT7_P12ihipStream_tbENKUlT_T0_SK_SP_E_clISE_PsSF_SF_EEDaS13_S14_SK_SP_EUlS13_E_NS1_11comp_targetILNS1_3genE4ELNS1_11target_archE910ELNS1_3gpuE8ELNS1_3repE0EEENS1_47radix_sort_onesweep_sort_config_static_selectorELNS0_4arch9wavefront6targetE1EEEvSK_,comdat
	.protected	_ZN7rocprim17ROCPRIM_400000_NS6detail17trampoline_kernelINS0_14default_configENS1_35radix_sort_onesweep_config_selectorIsNS0_10empty_typeEEEZZNS1_29radix_sort_onesweep_iterationIS3_Lb0EN6thrust23THRUST_200600_302600_NS6detail15normal_iteratorINS9_10device_ptrIsEEEESE_PS5_SF_jNS0_19identity_decomposerENS1_16block_id_wrapperIjLb1EEEEE10hipError_tT1_PNSt15iterator_traitsISK_E10value_typeET2_T3_PNSL_ISQ_E10value_typeET4_T5_PSV_SW_PNS1_23onesweep_lookback_stateEbbT6_jjT7_P12ihipStream_tbENKUlT_T0_SK_SP_E_clISE_PsSF_SF_EEDaS13_S14_SK_SP_EUlS13_E_NS1_11comp_targetILNS1_3genE4ELNS1_11target_archE910ELNS1_3gpuE8ELNS1_3repE0EEENS1_47radix_sort_onesweep_sort_config_static_selectorELNS0_4arch9wavefront6targetE1EEEvSK_ ; -- Begin function _ZN7rocprim17ROCPRIM_400000_NS6detail17trampoline_kernelINS0_14default_configENS1_35radix_sort_onesweep_config_selectorIsNS0_10empty_typeEEEZZNS1_29radix_sort_onesweep_iterationIS3_Lb0EN6thrust23THRUST_200600_302600_NS6detail15normal_iteratorINS9_10device_ptrIsEEEESE_PS5_SF_jNS0_19identity_decomposerENS1_16block_id_wrapperIjLb1EEEEE10hipError_tT1_PNSt15iterator_traitsISK_E10value_typeET2_T3_PNSL_ISQ_E10value_typeET4_T5_PSV_SW_PNS1_23onesweep_lookback_stateEbbT6_jjT7_P12ihipStream_tbENKUlT_T0_SK_SP_E_clISE_PsSF_SF_EEDaS13_S14_SK_SP_EUlS13_E_NS1_11comp_targetILNS1_3genE4ELNS1_11target_archE910ELNS1_3gpuE8ELNS1_3repE0EEENS1_47radix_sort_onesweep_sort_config_static_selectorELNS0_4arch9wavefront6targetE1EEEvSK_
	.globl	_ZN7rocprim17ROCPRIM_400000_NS6detail17trampoline_kernelINS0_14default_configENS1_35radix_sort_onesweep_config_selectorIsNS0_10empty_typeEEEZZNS1_29radix_sort_onesweep_iterationIS3_Lb0EN6thrust23THRUST_200600_302600_NS6detail15normal_iteratorINS9_10device_ptrIsEEEESE_PS5_SF_jNS0_19identity_decomposerENS1_16block_id_wrapperIjLb1EEEEE10hipError_tT1_PNSt15iterator_traitsISK_E10value_typeET2_T3_PNSL_ISQ_E10value_typeET4_T5_PSV_SW_PNS1_23onesweep_lookback_stateEbbT6_jjT7_P12ihipStream_tbENKUlT_T0_SK_SP_E_clISE_PsSF_SF_EEDaS13_S14_SK_SP_EUlS13_E_NS1_11comp_targetILNS1_3genE4ELNS1_11target_archE910ELNS1_3gpuE8ELNS1_3repE0EEENS1_47radix_sort_onesweep_sort_config_static_selectorELNS0_4arch9wavefront6targetE1EEEvSK_
	.p2align	8
	.type	_ZN7rocprim17ROCPRIM_400000_NS6detail17trampoline_kernelINS0_14default_configENS1_35radix_sort_onesweep_config_selectorIsNS0_10empty_typeEEEZZNS1_29radix_sort_onesweep_iterationIS3_Lb0EN6thrust23THRUST_200600_302600_NS6detail15normal_iteratorINS9_10device_ptrIsEEEESE_PS5_SF_jNS0_19identity_decomposerENS1_16block_id_wrapperIjLb1EEEEE10hipError_tT1_PNSt15iterator_traitsISK_E10value_typeET2_T3_PNSL_ISQ_E10value_typeET4_T5_PSV_SW_PNS1_23onesweep_lookback_stateEbbT6_jjT7_P12ihipStream_tbENKUlT_T0_SK_SP_E_clISE_PsSF_SF_EEDaS13_S14_SK_SP_EUlS13_E_NS1_11comp_targetILNS1_3genE4ELNS1_11target_archE910ELNS1_3gpuE8ELNS1_3repE0EEENS1_47radix_sort_onesweep_sort_config_static_selectorELNS0_4arch9wavefront6targetE1EEEvSK_,@function
_ZN7rocprim17ROCPRIM_400000_NS6detail17trampoline_kernelINS0_14default_configENS1_35radix_sort_onesweep_config_selectorIsNS0_10empty_typeEEEZZNS1_29radix_sort_onesweep_iterationIS3_Lb0EN6thrust23THRUST_200600_302600_NS6detail15normal_iteratorINS9_10device_ptrIsEEEESE_PS5_SF_jNS0_19identity_decomposerENS1_16block_id_wrapperIjLb1EEEEE10hipError_tT1_PNSt15iterator_traitsISK_E10value_typeET2_T3_PNSL_ISQ_E10value_typeET4_T5_PSV_SW_PNS1_23onesweep_lookback_stateEbbT6_jjT7_P12ihipStream_tbENKUlT_T0_SK_SP_E_clISE_PsSF_SF_EEDaS13_S14_SK_SP_EUlS13_E_NS1_11comp_targetILNS1_3genE4ELNS1_11target_archE910ELNS1_3gpuE8ELNS1_3repE0EEENS1_47radix_sort_onesweep_sort_config_static_selectorELNS0_4arch9wavefront6targetE1EEEvSK_: ; @_ZN7rocprim17ROCPRIM_400000_NS6detail17trampoline_kernelINS0_14default_configENS1_35radix_sort_onesweep_config_selectorIsNS0_10empty_typeEEEZZNS1_29radix_sort_onesweep_iterationIS3_Lb0EN6thrust23THRUST_200600_302600_NS6detail15normal_iteratorINS9_10device_ptrIsEEEESE_PS5_SF_jNS0_19identity_decomposerENS1_16block_id_wrapperIjLb1EEEEE10hipError_tT1_PNSt15iterator_traitsISK_E10value_typeET2_T3_PNSL_ISQ_E10value_typeET4_T5_PSV_SW_PNS1_23onesweep_lookback_stateEbbT6_jjT7_P12ihipStream_tbENKUlT_T0_SK_SP_E_clISE_PsSF_SF_EEDaS13_S14_SK_SP_EUlS13_E_NS1_11comp_targetILNS1_3genE4ELNS1_11target_archE910ELNS1_3gpuE8ELNS1_3repE0EEENS1_47radix_sort_onesweep_sort_config_static_selectorELNS0_4arch9wavefront6targetE1EEEvSK_
; %bb.0:
	s_load_dwordx4 s[16:19], s[4:5], 0x28
	s_load_dwordx2 s[14:15], s[4:5], 0x38
	s_load_dwordx4 s[20:23], s[4:5], 0x44
	v_and_b32_e32 v10, 0x3ff, v0
	v_cmp_eq_u32_e64 s[0:1], 0, v10
	s_and_saveexec_b64 s[2:3], s[0:1]
	s_cbranch_execz .LBB1963_4
; %bb.1:
	s_mov_b64 s[10:11], exec
	v_mbcnt_lo_u32_b32 v1, s10, 0
	v_mbcnt_hi_u32_b32 v1, s11, v1
	v_cmp_eq_u32_e32 vcc, 0, v1
                                        ; implicit-def: $vgpr2
	s_and_saveexec_b64 s[8:9], vcc
	s_cbranch_execz .LBB1963_3
; %bb.2:
	s_load_dwordx2 s[12:13], s[4:5], 0x50
	s_bcnt1_i32_b64 s7, s[10:11]
	v_mov_b32_e32 v2, 0
	v_mov_b32_e32 v3, s7
	s_waitcnt lgkmcnt(0)
	global_atomic_add v2, v2, v3, s[12:13] glc
.LBB1963_3:
	s_or_b64 exec, exec, s[8:9]
	s_waitcnt vmcnt(0)
	v_readfirstlane_b32 s7, v2
	v_add_u32_e32 v1, s7, v1
	v_mov_b32_e32 v2, 0
	ds_write_b32 v2, v1 offset:25600
.LBB1963_4:
	s_or_b64 exec, exec, s[2:3]
	v_mov_b32_e32 v1, 0
	s_load_dwordx4 s[24:27], s[4:5], 0x0
	s_load_dword s2, s[4:5], 0x20
	s_waitcnt lgkmcnt(0)
	s_barrier
	ds_read_b32 v1, v1 offset:25600
	s_waitcnt lgkmcnt(0)
	s_barrier
	v_readfirstlane_b32 s30, v1
	v_cmp_le_u32_e32 vcc, s22, v1
	s_mul_i32 s28, s30, 0x3000
	v_mbcnt_lo_u32_b32 v1, -1, 0
	s_cbranch_vccz .LBB1963_100
; %bb.5:
	s_mul_i32 s7, s22, 0xffffd000
	s_mov_b32 s29, 0
	s_add_i32 s7, s7, s2
	s_lshl_b64 s[2:3], s[28:29], 1
	v_mbcnt_hi_u32_b32 v11, -1, v1
	s_add_u32 s2, s24, s2
	v_and_b32_e32 v2, 63, v11
	s_addc_u32 s3, s25, s3
	v_and_b32_e32 v3, 0x3c0, v10
	v_lshlrev_b32_e32 v4, 1, v2
	v_mul_u32_u24_e32 v3, 12, v3
	v_mov_b32_e32 v5, s3
	v_add_co_u32_e32 v4, vcc, s2, v4
	v_addc_co_u32_e32 v5, vcc, 0, v5, vcc
	v_lshlrev_b32_e32 v6, 1, v3
	s_mov_b32 s8, 0x7fff7fff
	v_add_co_u32_e32 v12, vcc, v4, v6
	s_mov_b32 s9, s8
	v_addc_co_u32_e32 v13, vcc, 0, v5, vcc
	v_or_b32_e32 v14, v2, v3
	s_mov_b32 s10, s8
	s_mov_b32 s11, s8
	;; [unrolled: 1-line block ×4, first 2 shown]
	v_pk_mov_b32 v[2:3], s[8:9], s[8:9] op_sel:[0,1]
	v_cmp_gt_u32_e32 vcc, s7, v14
	v_pk_mov_b32 v[4:5], s[10:11], s[10:11] op_sel:[0,1]
	v_pk_mov_b32 v[6:7], s[12:13], s[12:13] op_sel:[0,1]
	;; [unrolled: 1-line block ×3, first 2 shown]
	s_and_saveexec_b64 s[2:3], vcc
	s_cbranch_execz .LBB1963_7
; %bb.6:
	global_load_ushort v2, v[12:13], off
	s_movk_i32 s8, 0x7fff
	v_mov_b32_e32 v7, 0x5040100
	v_mov_b32_e32 v3, 0x7fff7fff
	;; [unrolled: 1-line block ×5, first 2 shown]
	s_waitcnt vmcnt(0)
	v_perm_b32 v2, s8, v2, v7
	v_mov_b32_e32 v7, v3
.LBB1963_7:
	s_or_b64 exec, exec, s[2:3]
	v_or_b32_e32 v8, 64, v14
	v_cmp_gt_u32_e32 vcc, s7, v8
	s_and_saveexec_b64 s[2:3], vcc
	s_cbranch_execz .LBB1963_9
; %bb.8:
	global_load_ushort v8, v[12:13], off offset:128
	s_mov_b32 s8, 0x5040100
	s_waitcnt vmcnt(0)
	v_perm_b32 v2, v8, v2, s8
.LBB1963_9:
	s_or_b64 exec, exec, s[2:3]
	v_or_b32_e32 v8, 0x80, v14
	v_cmp_gt_u32_e32 vcc, s7, v8
	s_and_saveexec_b64 s[2:3], vcc
	s_cbranch_execz .LBB1963_11
; %bb.10:
	global_load_ushort v8, v[12:13], off offset:256
	s_mov_b32 s8, 0xffff
	s_waitcnt vmcnt(0)
	v_bfi_b32 v3, s8, v8, v3
.LBB1963_11:
	s_or_b64 exec, exec, s[2:3]
	v_or_b32_e32 v8, 0xc0, v14
	v_cmp_gt_u32_e32 vcc, s7, v8
	s_and_saveexec_b64 s[2:3], vcc
	s_cbranch_execz .LBB1963_13
; %bb.12:
	global_load_ushort v8, v[12:13], off offset:384
	s_mov_b32 s8, 0x5040100
	s_waitcnt vmcnt(0)
	v_perm_b32 v3, v8, v3, s8
.LBB1963_13:
	s_or_b64 exec, exec, s[2:3]
	v_add_u32_e32 v8, 0x100, v14
	v_cmp_gt_u32_e32 vcc, s7, v8
	s_and_saveexec_b64 s[2:3], vcc
	s_cbranch_execz .LBB1963_15
; %bb.14:
	global_load_ushort v8, v[12:13], off offset:512
	s_mov_b32 s8, 0xffff
	s_waitcnt vmcnt(0)
	v_bfi_b32 v4, s8, v8, v4
.LBB1963_15:
	s_or_b64 exec, exec, s[2:3]
	v_add_u32_e32 v8, 0x140, v14
	v_cmp_gt_u32_e32 vcc, s7, v8
	s_and_saveexec_b64 s[2:3], vcc
	s_cbranch_execz .LBB1963_17
; %bb.16:
	global_load_ushort v8, v[12:13], off offset:640
	s_mov_b32 s8, 0x5040100
	s_waitcnt vmcnt(0)
	v_perm_b32 v4, v8, v4, s8
.LBB1963_17:
	s_or_b64 exec, exec, s[2:3]
	v_add_u32_e32 v8, 0x180, v14
	v_cmp_gt_u32_e32 vcc, s7, v8
	s_and_saveexec_b64 s[2:3], vcc
	s_cbranch_execz .LBB1963_19
; %bb.18:
	global_load_ushort v8, v[12:13], off offset:768
	s_mov_b32 s8, 0xffff
	s_waitcnt vmcnt(0)
	v_bfi_b32 v5, s8, v8, v5
.LBB1963_19:
	s_or_b64 exec, exec, s[2:3]
	v_add_u32_e32 v8, 0x1c0, v14
	;; [unrolled: 22-line block ×4, first 2 shown]
	v_cmp_gt_u32_e32 vcc, s7, v8
	s_and_saveexec_b64 s[2:3], vcc
	s_cbranch_execz .LBB1963_29
; %bb.28:
	global_load_ushort v8, v[12:13], off offset:1408
	s_mov_b32 s8, 0x5040100
	s_waitcnt vmcnt(0)
	v_perm_b32 v7, v8, v7, s8
.LBB1963_29:
	s_or_b64 exec, exec, s[2:3]
	s_load_dword s2, s[4:5], 0x64
	s_load_dword s29, s[4:5], 0x58
	s_add_u32 s3, s4, 0x58
	s_addc_u32 s8, s5, 0
	v_mov_b32_e32 v8, 0
	s_waitcnt lgkmcnt(0)
	s_lshr_b32 s9, s2, 16
	s_cmp_lt_u32 s6, s29
	s_cselect_b32 s2, 12, 18
	s_add_u32 s2, s3, s2
	s_addc_u32 s3, s8, 0
	global_load_ushort v12, v8, s[2:3]
	v_xor_b32_e32 v14, 0xffff8000, v2
	s_lshl_b32 s2, -1, s21
	v_lshrrev_b32_sdwa v16, s20, v14 dst_sel:DWORD dst_unused:UNUSED_PAD src0_sel:DWORD src1_sel:WORD_0
	s_not_b32 s31, s2
	v_and_b32_e32 v16, s31, v16
	v_and_b32_e32 v18, 1, v16
	v_bfe_u32 v9, v0, 10, 10
	v_bfe_u32 v13, v0, 20, 10
	v_add_co_u32_e32 v19, vcc, -1, v18
	v_mad_u32_u24 v13, v13, s9, v9
	v_lshlrev_b32_e32 v9, 30, v16
	v_addc_co_u32_e64 v20, s[2:3], 0, -1, vcc
	v_cmp_ne_u32_e32 vcc, 0, v18
	v_cmp_gt_i64_e64 s[2:3], 0, v[8:9]
	v_not_b32_e32 v18, v9
	v_lshlrev_b32_e32 v9, 29, v16
	v_xor_b32_e32 v20, vcc_hi, v20
	v_xor_b32_e32 v19, vcc_lo, v19
	v_ashrrev_i32_e32 v18, 31, v18
	v_cmp_gt_i64_e32 vcc, 0, v[8:9]
	v_not_b32_e32 v21, v9
	v_lshlrev_b32_e32 v9, 28, v16
	v_and_b32_e32 v20, exec_hi, v20
	v_and_b32_e32 v19, exec_lo, v19
	v_xor_b32_e32 v22, s3, v18
	v_xor_b32_e32 v18, s2, v18
	v_ashrrev_i32_e32 v21, 31, v21
	v_cmp_gt_i64_e64 s[2:3], 0, v[8:9]
	v_not_b32_e32 v23, v9
	v_lshlrev_b32_e32 v9, 27, v16
	v_and_b32_e32 v20, v20, v22
	v_and_b32_e32 v18, v19, v18
	v_xor_b32_e32 v19, vcc_hi, v21
	v_xor_b32_e32 v21, vcc_lo, v21
	v_ashrrev_i32_e32 v22, 31, v23
	v_cmp_gt_i64_e32 vcc, 0, v[8:9]
	v_not_b32_e32 v23, v9
	v_lshlrev_b32_e32 v9, 26, v16
	v_and_b32_e32 v19, v20, v19
	v_and_b32_e32 v18, v18, v21
	v_xor_b32_e32 v20, s3, v22
	v_xor_b32_e32 v21, s2, v22
	v_ashrrev_i32_e32 v22, 31, v23
	v_cmp_gt_i64_e64 s[2:3], 0, v[8:9]
	v_not_b32_e32 v23, v9
	v_lshlrev_b32_e32 v9, 25, v16
	v_and_b32_e32 v19, v19, v20
	v_and_b32_e32 v18, v18, v21
	v_xor_b32_e32 v20, vcc_hi, v22
	v_xor_b32_e32 v21, vcc_lo, v22
	v_ashrrev_i32_e32 v22, 31, v23
	v_cmp_gt_i64_e32 vcc, 0, v[8:9]
	v_not_b32_e32 v23, v9
	v_lshlrev_b32_e32 v9, 24, v16
	v_mul_u32_u24_e32 v17, 17, v16
	v_and_b32_e32 v16, v19, v20
	v_and_b32_e32 v18, v18, v21
	v_xor_b32_e32 v19, s3, v22
	v_xor_b32_e32 v20, s2, v22
	v_ashrrev_i32_e32 v21, 31, v23
	v_cmp_gt_i64_e64 s[2:3], 0, v[8:9]
	v_not_b32_e32 v9, v9
	v_and_b32_e32 v16, v16, v19
	v_and_b32_e32 v18, v18, v20
	v_xor_b32_e32 v19, vcc_hi, v21
	v_xor_b32_e32 v20, vcc_lo, v21
	v_ashrrev_i32_e32 v9, 31, v9
	v_and_b32_e32 v16, v16, v19
	v_and_b32_e32 v18, v18, v20
	v_mul_u32_u24_e32 v15, 5, v10
	s_movk_i32 s8, 0x8000
	v_lshlrev_b32_e32 v15, 2, v15
	ds_write2_b32 v15, v8, v8 offset0:16 offset1:17
	ds_write2_b32 v15, v8, v8 offset0:18 offset1:19
	ds_write_b32 v15, v8 offset:80
	s_waitcnt lgkmcnt(0)
	s_barrier
	s_waitcnt vmcnt(0)
	v_mad_u64_u32 v[12:13], s[10:11], v13, v12, v[10:11]
	v_lshrrev_b32_e32 v26, 6, v12
	v_xor_b32_e32 v12, s3, v9
	v_xor_b32_e32 v9, s2, v9
	v_and_b32_e32 v13, v16, v12
	v_and_b32_e32 v12, v18, v9
	v_mbcnt_lo_u32_b32 v9, v12, 0
	v_mbcnt_hi_u32_b32 v16, v13, v9
	v_cmp_eq_u32_e32 vcc, 0, v16
	v_cmp_ne_u64_e64 s[2:3], 0, v[12:13]
	v_add_lshl_u32 v19, v26, v17, 2
	s_and_b64 s[10:11], s[2:3], vcc
	; wave barrier
	s_and_saveexec_b64 s[2:3], s[10:11]
	s_cbranch_execz .LBB1963_31
; %bb.30:
	v_bcnt_u32_b32 v9, v12, 0
	v_bcnt_u32_b32 v9, v13, v9
	ds_write_b32 v19, v9 offset:64
.LBB1963_31:
	s_or_b64 exec, exec, s[2:3]
	v_xor_b32_sdwa v17, v2, s8 dst_sel:DWORD dst_unused:UNUSED_PAD src0_sel:WORD_1 src1_sel:DWORD
	v_lshrrev_b32_sdwa v2, s20, v17 dst_sel:DWORD dst_unused:UNUSED_PAD src0_sel:DWORD src1_sel:WORD_0
	v_and_b32_e32 v2, s31, v2
	v_mul_u32_u24_e32 v9, 17, v2
	v_add_lshl_u32 v20, v26, v9, 2
	v_and_b32_e32 v9, 1, v2
	v_add_co_u32_e32 v12, vcc, -1, v9
	v_addc_co_u32_e64 v13, s[2:3], 0, -1, vcc
	v_cmp_ne_u32_e32 vcc, 0, v9
	v_xor_b32_e32 v9, vcc_hi, v13
	v_and_b32_e32 v13, exec_hi, v9
	v_lshlrev_b32_e32 v9, 30, v2
	v_xor_b32_e32 v12, vcc_lo, v12
	v_cmp_gt_i64_e32 vcc, 0, v[8:9]
	v_not_b32_e32 v9, v9
	v_ashrrev_i32_e32 v9, 31, v9
	v_and_b32_e32 v12, exec_lo, v12
	v_xor_b32_e32 v21, vcc_hi, v9
	v_xor_b32_e32 v9, vcc_lo, v9
	v_and_b32_e32 v12, v12, v9
	v_lshlrev_b32_e32 v9, 29, v2
	v_cmp_gt_i64_e32 vcc, 0, v[8:9]
	v_not_b32_e32 v9, v9
	v_ashrrev_i32_e32 v9, 31, v9
	v_and_b32_e32 v13, v13, v21
	v_xor_b32_e32 v21, vcc_hi, v9
	v_xor_b32_e32 v9, vcc_lo, v9
	v_and_b32_e32 v12, v12, v9
	v_lshlrev_b32_e32 v9, 28, v2
	v_cmp_gt_i64_e32 vcc, 0, v[8:9]
	v_not_b32_e32 v9, v9
	v_ashrrev_i32_e32 v9, 31, v9
	v_and_b32_e32 v13, v13, v21
	;; [unrolled: 8-line block ×5, first 2 shown]
	v_xor_b32_e32 v21, vcc_hi, v9
	v_xor_b32_e32 v9, vcc_lo, v9
	v_and_b32_e32 v12, v12, v9
	v_lshlrev_b32_e32 v9, 24, v2
	v_not_b32_e32 v2, v9
	v_cmp_gt_i64_e32 vcc, 0, v[8:9]
	v_ashrrev_i32_e32 v2, 31, v2
	v_and_b32_e32 v13, v13, v21
	v_xor_b32_e32 v8, vcc_hi, v2
	v_xor_b32_e32 v2, vcc_lo, v2
	; wave barrier
	ds_read_b32 v18, v20 offset:64
	v_and_b32_e32 v9, v13, v8
	v_and_b32_e32 v8, v12, v2
	v_mbcnt_lo_u32_b32 v2, v8, 0
	v_mbcnt_hi_u32_b32 v21, v9, v2
	v_cmp_eq_u32_e32 vcc, 0, v21
	v_cmp_ne_u64_e64 s[2:3], 0, v[8:9]
	s_and_b64 s[8:9], s[2:3], vcc
	; wave barrier
	s_and_saveexec_b64 s[2:3], s[8:9]
	s_cbranch_execz .LBB1963_33
; %bb.32:
	v_bcnt_u32_b32 v2, v8, 0
	v_bcnt_u32_b32 v2, v9, v2
	s_waitcnt lgkmcnt(0)
	v_add_u32_e32 v2, v18, v2
	ds_write_b32 v20, v2 offset:64
.LBB1963_33:
	s_or_b64 exec, exec, s[2:3]
	v_xor_b32_e32 v22, 0xffff8000, v3
	v_lshrrev_b32_sdwa v2, s20, v22 dst_sel:DWORD dst_unused:UNUSED_PAD src0_sel:DWORD src1_sel:WORD_0
	v_and_b32_e32 v2, s31, v2
	v_and_b32_e32 v9, 1, v2
	v_add_co_u32_e32 v12, vcc, -1, v9
	v_addc_co_u32_e64 v13, s[2:3], 0, -1, vcc
	v_cmp_ne_u32_e32 vcc, 0, v9
	v_mul_u32_u24_e32 v8, 17, v2
	v_xor_b32_e32 v9, vcc_hi, v13
	v_add_lshl_u32 v24, v26, v8, 2
	v_mov_b32_e32 v8, 0
	v_and_b32_e32 v13, exec_hi, v9
	v_lshlrev_b32_e32 v9, 30, v2
	v_xor_b32_e32 v12, vcc_lo, v12
	v_cmp_gt_i64_e32 vcc, 0, v[8:9]
	v_not_b32_e32 v9, v9
	v_ashrrev_i32_e32 v9, 31, v9
	v_and_b32_e32 v12, exec_lo, v12
	v_xor_b32_e32 v25, vcc_hi, v9
	v_xor_b32_e32 v9, vcc_lo, v9
	v_and_b32_e32 v12, v12, v9
	v_lshlrev_b32_e32 v9, 29, v2
	v_cmp_gt_i64_e32 vcc, 0, v[8:9]
	v_not_b32_e32 v9, v9
	v_ashrrev_i32_e32 v9, 31, v9
	v_and_b32_e32 v13, v13, v25
	v_xor_b32_e32 v25, vcc_hi, v9
	v_xor_b32_e32 v9, vcc_lo, v9
	v_and_b32_e32 v12, v12, v9
	v_lshlrev_b32_e32 v9, 28, v2
	v_cmp_gt_i64_e32 vcc, 0, v[8:9]
	v_not_b32_e32 v9, v9
	v_ashrrev_i32_e32 v9, 31, v9
	v_and_b32_e32 v13, v13, v25
	;; [unrolled: 8-line block ×5, first 2 shown]
	v_xor_b32_e32 v25, vcc_hi, v9
	v_xor_b32_e32 v9, vcc_lo, v9
	v_and_b32_e32 v12, v12, v9
	v_lshlrev_b32_e32 v9, 24, v2
	v_not_b32_e32 v2, v9
	v_cmp_gt_i64_e32 vcc, 0, v[8:9]
	v_ashrrev_i32_e32 v2, 31, v2
	v_xor_b32_e32 v9, vcc_hi, v2
	v_xor_b32_e32 v2, vcc_lo, v2
	; wave barrier
	ds_read_b32 v23, v24 offset:64
	v_and_b32_e32 v13, v13, v25
	v_and_b32_e32 v12, v12, v2
	;; [unrolled: 1-line block ×3, first 2 shown]
	v_mbcnt_lo_u32_b32 v2, v12, 0
	v_mbcnt_hi_u32_b32 v25, v13, v2
	v_cmp_eq_u32_e32 vcc, 0, v25
	v_cmp_ne_u64_e64 s[2:3], 0, v[12:13]
	s_movk_i32 s8, 0x8000
	s_and_b64 s[10:11], s[2:3], vcc
	; wave barrier
	s_and_saveexec_b64 s[2:3], s[10:11]
	s_cbranch_execz .LBB1963_35
; %bb.34:
	v_bcnt_u32_b32 v2, v12, 0
	v_bcnt_u32_b32 v2, v13, v2
	s_waitcnt lgkmcnt(0)
	v_add_u32_e32 v2, v23, v2
	ds_write_b32 v24, v2 offset:64
.LBB1963_35:
	s_or_b64 exec, exec, s[2:3]
	v_xor_b32_sdwa v12, v3, s8 dst_sel:DWORD dst_unused:UNUSED_PAD src0_sel:WORD_1 src1_sel:DWORD
	v_lshrrev_b32_sdwa v2, s20, v12 dst_sel:DWORD dst_unused:UNUSED_PAD src0_sel:DWORD src1_sel:WORD_0
	v_and_b32_e32 v2, s31, v2
	v_mul_u32_u24_e32 v3, 17, v2
	v_add_lshl_u32 v27, v26, v3, 2
	v_and_b32_e32 v3, 1, v2
	v_add_co_u32_e32 v9, vcc, -1, v3
	v_addc_co_u32_e64 v28, s[2:3], 0, -1, vcc
	v_cmp_ne_u32_e32 vcc, 0, v3
	v_xor_b32_e32 v9, vcc_lo, v9
	v_xor_b32_e32 v3, vcc_hi, v28
	v_and_b32_e32 v28, exec_lo, v9
	v_lshlrev_b32_e32 v9, 30, v2
	v_cmp_gt_i64_e32 vcc, 0, v[8:9]
	v_not_b32_e32 v9, v9
	v_ashrrev_i32_e32 v9, 31, v9
	v_xor_b32_e32 v29, vcc_hi, v9
	v_xor_b32_e32 v9, vcc_lo, v9
	v_and_b32_e32 v28, v28, v9
	v_lshlrev_b32_e32 v9, 29, v2
	v_cmp_gt_i64_e32 vcc, 0, v[8:9]
	v_not_b32_e32 v9, v9
	v_and_b32_e32 v3, exec_hi, v3
	v_ashrrev_i32_e32 v9, 31, v9
	v_and_b32_e32 v3, v3, v29
	v_xor_b32_e32 v29, vcc_hi, v9
	v_xor_b32_e32 v9, vcc_lo, v9
	v_and_b32_e32 v28, v28, v9
	v_lshlrev_b32_e32 v9, 28, v2
	v_cmp_gt_i64_e32 vcc, 0, v[8:9]
	v_not_b32_e32 v9, v9
	v_ashrrev_i32_e32 v9, 31, v9
	v_and_b32_e32 v3, v3, v29
	v_xor_b32_e32 v29, vcc_hi, v9
	v_xor_b32_e32 v9, vcc_lo, v9
	v_and_b32_e32 v28, v28, v9
	v_lshlrev_b32_e32 v9, 27, v2
	v_cmp_gt_i64_e32 vcc, 0, v[8:9]
	v_not_b32_e32 v9, v9
	;; [unrolled: 8-line block ×4, first 2 shown]
	v_ashrrev_i32_e32 v9, 31, v9
	v_and_b32_e32 v3, v3, v29
	v_xor_b32_e32 v29, vcc_hi, v9
	v_xor_b32_e32 v9, vcc_lo, v9
	v_and_b32_e32 v28, v28, v9
	v_lshlrev_b32_e32 v9, 24, v2
	v_not_b32_e32 v2, v9
	v_cmp_gt_i64_e32 vcc, 0, v[8:9]
	v_ashrrev_i32_e32 v2, 31, v2
	v_xor_b32_e32 v8, vcc_hi, v2
	v_xor_b32_e32 v2, vcc_lo, v2
	; wave barrier
	ds_read_b32 v13, v27 offset:64
	v_and_b32_e32 v3, v3, v29
	v_and_b32_e32 v2, v28, v2
	;; [unrolled: 1-line block ×3, first 2 shown]
	v_mbcnt_lo_u32_b32 v8, v2, 0
	v_mbcnt_hi_u32_b32 v28, v3, v8
	v_cmp_eq_u32_e32 vcc, 0, v28
	v_cmp_ne_u64_e64 s[2:3], 0, v[2:3]
	s_and_b64 s[8:9], s[2:3], vcc
	; wave barrier
	s_and_saveexec_b64 s[2:3], s[8:9]
	s_cbranch_execz .LBB1963_37
; %bb.36:
	v_bcnt_u32_b32 v2, v2, 0
	v_bcnt_u32_b32 v2, v3, v2
	s_waitcnt lgkmcnt(0)
	v_add_u32_e32 v2, v13, v2
	ds_write_b32 v27, v2 offset:64
.LBB1963_37:
	s_or_b64 exec, exec, s[2:3]
	v_xor_b32_e32 v29, 0xffff8000, v4
	v_lshrrev_b32_sdwa v2, s20, v29 dst_sel:DWORD dst_unused:UNUSED_PAD src0_sel:DWORD src1_sel:WORD_0
	v_and_b32_e32 v8, s31, v2
	v_and_b32_e32 v3, 1, v8
	v_add_co_u32_e32 v9, vcc, -1, v3
	v_addc_co_u32_e64 v32, s[2:3], 0, -1, vcc
	v_cmp_ne_u32_e32 vcc, 0, v3
	v_mul_u32_u24_e32 v2, 17, v8
	v_xor_b32_e32 v3, vcc_hi, v32
	v_add_lshl_u32 v31, v26, v2, 2
	v_mov_b32_e32 v2, 0
	v_and_b32_e32 v32, exec_hi, v3
	v_lshlrev_b32_e32 v3, 30, v8
	v_xor_b32_e32 v9, vcc_lo, v9
	v_cmp_gt_i64_e32 vcc, 0, v[2:3]
	v_not_b32_e32 v3, v3
	v_ashrrev_i32_e32 v3, 31, v3
	v_and_b32_e32 v9, exec_lo, v9
	v_xor_b32_e32 v33, vcc_hi, v3
	v_xor_b32_e32 v3, vcc_lo, v3
	v_and_b32_e32 v9, v9, v3
	v_lshlrev_b32_e32 v3, 29, v8
	v_cmp_gt_i64_e32 vcc, 0, v[2:3]
	v_not_b32_e32 v3, v3
	v_ashrrev_i32_e32 v3, 31, v3
	v_and_b32_e32 v32, v32, v33
	v_xor_b32_e32 v33, vcc_hi, v3
	v_xor_b32_e32 v3, vcc_lo, v3
	v_and_b32_e32 v9, v9, v3
	v_lshlrev_b32_e32 v3, 28, v8
	v_cmp_gt_i64_e32 vcc, 0, v[2:3]
	v_not_b32_e32 v3, v3
	v_ashrrev_i32_e32 v3, 31, v3
	v_and_b32_e32 v32, v32, v33
	;; [unrolled: 8-line block ×5, first 2 shown]
	v_xor_b32_e32 v33, vcc_hi, v3
	v_xor_b32_e32 v3, vcc_lo, v3
	v_and_b32_e32 v32, v32, v33
	v_and_b32_e32 v33, v9, v3
	v_lshlrev_b32_e32 v3, 24, v8
	v_cmp_gt_i64_e32 vcc, 0, v[2:3]
	v_not_b32_e32 v3, v3
	v_ashrrev_i32_e32 v3, 31, v3
	v_xor_b32_e32 v8, vcc_hi, v3
	v_xor_b32_e32 v3, vcc_lo, v3
	; wave barrier
	ds_read_b32 v30, v31 offset:64
	v_and_b32_e32 v9, v32, v8
	v_and_b32_e32 v8, v33, v3
	v_mbcnt_lo_u32_b32 v3, v8, 0
	v_mbcnt_hi_u32_b32 v33, v9, v3
	v_cmp_eq_u32_e32 vcc, 0, v33
	v_cmp_ne_u64_e64 s[2:3], 0, v[8:9]
	s_movk_i32 s8, 0x8000
	s_and_b64 s[10:11], s[2:3], vcc
	; wave barrier
	s_and_saveexec_b64 s[2:3], s[10:11]
	s_cbranch_execz .LBB1963_39
; %bb.38:
	v_bcnt_u32_b32 v3, v8, 0
	v_bcnt_u32_b32 v3, v9, v3
	s_waitcnt lgkmcnt(0)
	v_add_u32_e32 v3, v30, v3
	ds_write_b32 v31, v3 offset:64
.LBB1963_39:
	s_or_b64 exec, exec, s[2:3]
	v_xor_b32_sdwa v32, v4, s8 dst_sel:DWORD dst_unused:UNUSED_PAD src0_sel:WORD_1 src1_sel:DWORD
	v_lshrrev_b32_sdwa v3, s20, v32 dst_sel:DWORD dst_unused:UNUSED_PAD src0_sel:DWORD src1_sel:WORD_0
	v_and_b32_e32 v4, s31, v3
	v_mul_u32_u24_e32 v3, 17, v4
	v_add_lshl_u32 v35, v26, v3, 2
	v_and_b32_e32 v3, 1, v4
	v_add_co_u32_e32 v8, vcc, -1, v3
	v_addc_co_u32_e64 v9, s[2:3], 0, -1, vcc
	v_cmp_ne_u32_e32 vcc, 0, v3
	v_xor_b32_e32 v3, vcc_hi, v9
	v_and_b32_e32 v9, exec_hi, v3
	v_lshlrev_b32_e32 v3, 30, v4
	v_xor_b32_e32 v8, vcc_lo, v8
	v_cmp_gt_i64_e32 vcc, 0, v[2:3]
	v_not_b32_e32 v3, v3
	v_ashrrev_i32_e32 v3, 31, v3
	v_and_b32_e32 v8, exec_lo, v8
	v_xor_b32_e32 v36, vcc_hi, v3
	v_xor_b32_e32 v3, vcc_lo, v3
	v_and_b32_e32 v8, v8, v3
	v_lshlrev_b32_e32 v3, 29, v4
	v_cmp_gt_i64_e32 vcc, 0, v[2:3]
	v_not_b32_e32 v3, v3
	v_ashrrev_i32_e32 v3, 31, v3
	v_and_b32_e32 v9, v9, v36
	v_xor_b32_e32 v36, vcc_hi, v3
	v_xor_b32_e32 v3, vcc_lo, v3
	v_and_b32_e32 v8, v8, v3
	v_lshlrev_b32_e32 v3, 28, v4
	v_cmp_gt_i64_e32 vcc, 0, v[2:3]
	v_not_b32_e32 v3, v3
	v_ashrrev_i32_e32 v3, 31, v3
	v_and_b32_e32 v9, v9, v36
	;; [unrolled: 8-line block ×5, first 2 shown]
	v_xor_b32_e32 v36, vcc_hi, v3
	v_xor_b32_e32 v3, vcc_lo, v3
	v_and_b32_e32 v8, v8, v3
	v_lshlrev_b32_e32 v3, 24, v4
	v_cmp_gt_i64_e32 vcc, 0, v[2:3]
	v_not_b32_e32 v2, v3
	v_ashrrev_i32_e32 v2, 31, v2
	v_xor_b32_e32 v3, vcc_hi, v2
	v_xor_b32_e32 v2, vcc_lo, v2
	; wave barrier
	ds_read_b32 v34, v35 offset:64
	v_and_b32_e32 v9, v9, v36
	v_and_b32_e32 v2, v8, v2
	;; [unrolled: 1-line block ×3, first 2 shown]
	v_mbcnt_lo_u32_b32 v4, v2, 0
	v_mbcnt_hi_u32_b32 v37, v3, v4
	v_cmp_eq_u32_e32 vcc, 0, v37
	v_cmp_ne_u64_e64 s[2:3], 0, v[2:3]
	s_and_b64 s[8:9], s[2:3], vcc
	; wave barrier
	s_and_saveexec_b64 s[2:3], s[8:9]
	s_cbranch_execz .LBB1963_41
; %bb.40:
	v_bcnt_u32_b32 v2, v2, 0
	v_bcnt_u32_b32 v2, v3, v2
	s_waitcnt lgkmcnt(0)
	v_add_u32_e32 v2, v34, v2
	ds_write_b32 v35, v2 offset:64
.LBB1963_41:
	s_or_b64 exec, exec, s[2:3]
	v_xor_b32_e32 v36, 0xffff8000, v5
	v_lshrrev_b32_sdwa v2, s20, v36 dst_sel:DWORD dst_unused:UNUSED_PAD src0_sel:DWORD src1_sel:WORD_0
	v_and_b32_e32 v4, s31, v2
	v_and_b32_e32 v3, 1, v4
	v_add_co_u32_e32 v8, vcc, -1, v3
	v_addc_co_u32_e64 v9, s[2:3], 0, -1, vcc
	v_cmp_ne_u32_e32 vcc, 0, v3
	v_mul_u32_u24_e32 v2, 17, v4
	v_xor_b32_e32 v3, vcc_hi, v9
	v_add_lshl_u32 v39, v26, v2, 2
	v_mov_b32_e32 v2, 0
	v_and_b32_e32 v9, exec_hi, v3
	v_lshlrev_b32_e32 v3, 30, v4
	v_xor_b32_e32 v8, vcc_lo, v8
	v_cmp_gt_i64_e32 vcc, 0, v[2:3]
	v_not_b32_e32 v3, v3
	v_ashrrev_i32_e32 v3, 31, v3
	v_and_b32_e32 v8, exec_lo, v8
	v_xor_b32_e32 v40, vcc_hi, v3
	v_xor_b32_e32 v3, vcc_lo, v3
	v_and_b32_e32 v8, v8, v3
	v_lshlrev_b32_e32 v3, 29, v4
	v_cmp_gt_i64_e32 vcc, 0, v[2:3]
	v_not_b32_e32 v3, v3
	v_ashrrev_i32_e32 v3, 31, v3
	v_and_b32_e32 v9, v9, v40
	v_xor_b32_e32 v40, vcc_hi, v3
	v_xor_b32_e32 v3, vcc_lo, v3
	v_and_b32_e32 v8, v8, v3
	v_lshlrev_b32_e32 v3, 28, v4
	v_cmp_gt_i64_e32 vcc, 0, v[2:3]
	v_not_b32_e32 v3, v3
	v_ashrrev_i32_e32 v3, 31, v3
	v_and_b32_e32 v9, v9, v40
	v_xor_b32_e32 v40, vcc_hi, v3
	v_xor_b32_e32 v3, vcc_lo, v3
	v_and_b32_e32 v8, v8, v3
	v_lshlrev_b32_e32 v3, 27, v4
	v_cmp_gt_i64_e32 vcc, 0, v[2:3]
	v_not_b32_e32 v3, v3
	v_ashrrev_i32_e32 v3, 31, v3
	v_and_b32_e32 v9, v9, v40
	v_xor_b32_e32 v40, vcc_hi, v3
	v_xor_b32_e32 v3, vcc_lo, v3
	v_and_b32_e32 v8, v8, v3
	v_lshlrev_b32_e32 v3, 26, v4
	v_cmp_gt_i64_e32 vcc, 0, v[2:3]
	v_not_b32_e32 v3, v3
	v_ashrrev_i32_e32 v3, 31, v3
	v_and_b32_e32 v9, v9, v40
	v_xor_b32_e32 v40, vcc_hi, v3
	v_xor_b32_e32 v3, vcc_lo, v3
	v_and_b32_e32 v8, v8, v3
	v_lshlrev_b32_e32 v3, 25, v4
	v_cmp_gt_i64_e32 vcc, 0, v[2:3]
	v_not_b32_e32 v3, v3
	v_ashrrev_i32_e32 v3, 31, v3
	v_and_b32_e32 v9, v9, v40
	v_xor_b32_e32 v40, vcc_hi, v3
	v_xor_b32_e32 v3, vcc_lo, v3
	v_and_b32_e32 v8, v8, v3
	v_lshlrev_b32_e32 v3, 24, v4
	v_cmp_gt_i64_e32 vcc, 0, v[2:3]
	v_not_b32_e32 v3, v3
	v_ashrrev_i32_e32 v3, 31, v3
	v_xor_b32_e32 v4, vcc_hi, v3
	v_xor_b32_e32 v3, vcc_lo, v3
	; wave barrier
	ds_read_b32 v38, v39 offset:64
	v_and_b32_e32 v9, v9, v40
	v_and_b32_e32 v8, v8, v3
	;; [unrolled: 1-line block ×3, first 2 shown]
	v_mbcnt_lo_u32_b32 v3, v8, 0
	v_mbcnt_hi_u32_b32 v40, v9, v3
	v_cmp_eq_u32_e32 vcc, 0, v40
	v_cmp_ne_u64_e64 s[2:3], 0, v[8:9]
	s_movk_i32 s8, 0x8000
	s_and_b64 s[10:11], s[2:3], vcc
	; wave barrier
	s_and_saveexec_b64 s[2:3], s[10:11]
	s_cbranch_execz .LBB1963_43
; %bb.42:
	v_bcnt_u32_b32 v3, v8, 0
	v_bcnt_u32_b32 v3, v9, v3
	s_waitcnt lgkmcnt(0)
	v_add_u32_e32 v3, v38, v3
	ds_write_b32 v39, v3 offset:64
.LBB1963_43:
	s_or_b64 exec, exec, s[2:3]
	v_xor_b32_sdwa v8, v5, s8 dst_sel:DWORD dst_unused:UNUSED_PAD src0_sel:WORD_1 src1_sel:DWORD
	v_lshrrev_b32_sdwa v3, s20, v8 dst_sel:DWORD dst_unused:UNUSED_PAD src0_sel:DWORD src1_sel:WORD_0
	v_and_b32_e32 v4, s31, v3
	v_mul_u32_u24_e32 v3, 17, v4
	v_add_lshl_u32 v41, v26, v3, 2
	v_and_b32_e32 v3, 1, v4
	v_add_co_u32_e32 v5, vcc, -1, v3
	v_addc_co_u32_e64 v42, s[2:3], 0, -1, vcc
	v_cmp_ne_u32_e32 vcc, 0, v3
	v_xor_b32_e32 v3, vcc_hi, v42
	v_and_b32_e32 v42, exec_hi, v3
	v_lshlrev_b32_e32 v3, 30, v4
	v_xor_b32_e32 v5, vcc_lo, v5
	v_cmp_gt_i64_e32 vcc, 0, v[2:3]
	v_not_b32_e32 v3, v3
	v_ashrrev_i32_e32 v3, 31, v3
	v_and_b32_e32 v5, exec_lo, v5
	v_xor_b32_e32 v43, vcc_hi, v3
	v_xor_b32_e32 v3, vcc_lo, v3
	v_and_b32_e32 v5, v5, v3
	v_lshlrev_b32_e32 v3, 29, v4
	v_cmp_gt_i64_e32 vcc, 0, v[2:3]
	v_not_b32_e32 v3, v3
	v_ashrrev_i32_e32 v3, 31, v3
	v_and_b32_e32 v42, v42, v43
	v_xor_b32_e32 v43, vcc_hi, v3
	v_xor_b32_e32 v3, vcc_lo, v3
	v_and_b32_e32 v5, v5, v3
	v_lshlrev_b32_e32 v3, 28, v4
	v_cmp_gt_i64_e32 vcc, 0, v[2:3]
	v_not_b32_e32 v3, v3
	v_ashrrev_i32_e32 v3, 31, v3
	v_and_b32_e32 v42, v42, v43
	;; [unrolled: 8-line block ×5, first 2 shown]
	v_xor_b32_e32 v43, vcc_hi, v3
	v_xor_b32_e32 v3, vcc_lo, v3
	v_and_b32_e32 v5, v5, v3
	v_lshlrev_b32_e32 v3, 24, v4
	v_cmp_gt_i64_e32 vcc, 0, v[2:3]
	v_not_b32_e32 v2, v3
	v_ashrrev_i32_e32 v2, 31, v2
	v_xor_b32_e32 v3, vcc_hi, v2
	v_xor_b32_e32 v2, vcc_lo, v2
	; wave barrier
	ds_read_b32 v9, v41 offset:64
	v_and_b32_e32 v42, v42, v43
	v_and_b32_e32 v2, v5, v2
	;; [unrolled: 1-line block ×3, first 2 shown]
	v_mbcnt_lo_u32_b32 v4, v2, 0
	v_mbcnt_hi_u32_b32 v43, v3, v4
	v_cmp_eq_u32_e32 vcc, 0, v43
	v_cmp_ne_u64_e64 s[2:3], 0, v[2:3]
	s_and_b64 s[8:9], s[2:3], vcc
	; wave barrier
	s_and_saveexec_b64 s[2:3], s[8:9]
	s_cbranch_execz .LBB1963_45
; %bb.44:
	v_bcnt_u32_b32 v2, v2, 0
	v_bcnt_u32_b32 v2, v3, v2
	s_waitcnt lgkmcnt(0)
	v_add_u32_e32 v2, v9, v2
	ds_write_b32 v41, v2 offset:64
.LBB1963_45:
	s_or_b64 exec, exec, s[2:3]
	v_xor_b32_e32 v42, 0xffff8000, v6
	v_lshrrev_b32_sdwa v2, s20, v42 dst_sel:DWORD dst_unused:UNUSED_PAD src0_sel:DWORD src1_sel:WORD_0
	v_and_b32_e32 v4, s31, v2
	v_and_b32_e32 v3, 1, v4
	v_add_co_u32_e32 v5, vcc, -1, v3
	v_addc_co_u32_e64 v46, s[2:3], 0, -1, vcc
	v_cmp_ne_u32_e32 vcc, 0, v3
	v_mul_u32_u24_e32 v2, 17, v4
	v_xor_b32_e32 v3, vcc_hi, v46
	v_add_lshl_u32 v45, v26, v2, 2
	v_mov_b32_e32 v2, 0
	v_and_b32_e32 v46, exec_hi, v3
	v_lshlrev_b32_e32 v3, 30, v4
	v_xor_b32_e32 v5, vcc_lo, v5
	v_cmp_gt_i64_e32 vcc, 0, v[2:3]
	v_not_b32_e32 v3, v3
	v_ashrrev_i32_e32 v3, 31, v3
	v_and_b32_e32 v5, exec_lo, v5
	v_xor_b32_e32 v47, vcc_hi, v3
	v_xor_b32_e32 v3, vcc_lo, v3
	v_and_b32_e32 v5, v5, v3
	v_lshlrev_b32_e32 v3, 29, v4
	v_cmp_gt_i64_e32 vcc, 0, v[2:3]
	v_not_b32_e32 v3, v3
	v_ashrrev_i32_e32 v3, 31, v3
	v_and_b32_e32 v46, v46, v47
	v_xor_b32_e32 v47, vcc_hi, v3
	v_xor_b32_e32 v3, vcc_lo, v3
	v_and_b32_e32 v5, v5, v3
	v_lshlrev_b32_e32 v3, 28, v4
	v_cmp_gt_i64_e32 vcc, 0, v[2:3]
	v_not_b32_e32 v3, v3
	v_ashrrev_i32_e32 v3, 31, v3
	v_and_b32_e32 v46, v46, v47
	;; [unrolled: 8-line block ×5, first 2 shown]
	v_xor_b32_e32 v47, vcc_hi, v3
	v_xor_b32_e32 v3, vcc_lo, v3
	v_and_b32_e32 v46, v46, v47
	v_and_b32_e32 v47, v5, v3
	v_lshlrev_b32_e32 v3, 24, v4
	v_cmp_gt_i64_e32 vcc, 0, v[2:3]
	v_not_b32_e32 v3, v3
	v_ashrrev_i32_e32 v3, 31, v3
	v_xor_b32_e32 v4, vcc_hi, v3
	v_xor_b32_e32 v3, vcc_lo, v3
	; wave barrier
	ds_read_b32 v44, v45 offset:64
	v_and_b32_e32 v5, v46, v4
	v_and_b32_e32 v4, v47, v3
	v_mbcnt_lo_u32_b32 v3, v4, 0
	v_mbcnt_hi_u32_b32 v46, v5, v3
	v_cmp_eq_u32_e32 vcc, 0, v46
	v_cmp_ne_u64_e64 s[2:3], 0, v[4:5]
	s_movk_i32 s8, 0x8000
	s_and_b64 s[10:11], s[2:3], vcc
	; wave barrier
	s_and_saveexec_b64 s[2:3], s[10:11]
	s_cbranch_execz .LBB1963_47
; %bb.46:
	v_bcnt_u32_b32 v3, v4, 0
	v_bcnt_u32_b32 v3, v5, v3
	s_waitcnt lgkmcnt(0)
	v_add_u32_e32 v3, v44, v3
	ds_write_b32 v45, v3 offset:64
.LBB1963_47:
	s_or_b64 exec, exec, s[2:3]
	v_xor_b32_sdwa v6, v6, s8 dst_sel:DWORD dst_unused:UNUSED_PAD src0_sel:WORD_1 src1_sel:DWORD
	v_lshrrev_b32_sdwa v3, s20, v6 dst_sel:DWORD dst_unused:UNUSED_PAD src0_sel:DWORD src1_sel:WORD_0
	v_and_b32_e32 v4, s31, v3
	v_mul_u32_u24_e32 v3, 17, v4
	v_add_lshl_u32 v48, v26, v3, 2
	v_and_b32_e32 v3, 1, v4
	v_add_co_u32_e32 v5, vcc, -1, v3
	v_addc_co_u32_e64 v49, s[2:3], 0, -1, vcc
	v_cmp_ne_u32_e32 vcc, 0, v3
	v_xor_b32_e32 v3, vcc_hi, v49
	v_and_b32_e32 v49, exec_hi, v3
	v_lshlrev_b32_e32 v3, 30, v4
	v_xor_b32_e32 v5, vcc_lo, v5
	v_cmp_gt_i64_e32 vcc, 0, v[2:3]
	v_not_b32_e32 v3, v3
	v_ashrrev_i32_e32 v3, 31, v3
	v_and_b32_e32 v5, exec_lo, v5
	v_xor_b32_e32 v50, vcc_hi, v3
	v_xor_b32_e32 v3, vcc_lo, v3
	v_and_b32_e32 v5, v5, v3
	v_lshlrev_b32_e32 v3, 29, v4
	v_cmp_gt_i64_e32 vcc, 0, v[2:3]
	v_not_b32_e32 v3, v3
	v_ashrrev_i32_e32 v3, 31, v3
	v_and_b32_e32 v49, v49, v50
	v_xor_b32_e32 v50, vcc_hi, v3
	v_xor_b32_e32 v3, vcc_lo, v3
	v_and_b32_e32 v5, v5, v3
	v_lshlrev_b32_e32 v3, 28, v4
	v_cmp_gt_i64_e32 vcc, 0, v[2:3]
	v_not_b32_e32 v3, v3
	v_ashrrev_i32_e32 v3, 31, v3
	v_and_b32_e32 v49, v49, v50
	;; [unrolled: 8-line block ×5, first 2 shown]
	v_xor_b32_e32 v50, vcc_hi, v3
	v_xor_b32_e32 v3, vcc_lo, v3
	v_and_b32_e32 v5, v5, v3
	v_lshlrev_b32_e32 v3, 24, v4
	v_cmp_gt_i64_e32 vcc, 0, v[2:3]
	v_not_b32_e32 v2, v3
	v_ashrrev_i32_e32 v2, 31, v2
	v_xor_b32_e32 v3, vcc_hi, v2
	v_xor_b32_e32 v2, vcc_lo, v2
	; wave barrier
	ds_read_b32 v47, v48 offset:64
	v_and_b32_e32 v49, v49, v50
	v_and_b32_e32 v2, v5, v2
	;; [unrolled: 1-line block ×3, first 2 shown]
	v_mbcnt_lo_u32_b32 v4, v2, 0
	v_mbcnt_hi_u32_b32 v50, v3, v4
	v_cmp_eq_u32_e32 vcc, 0, v50
	v_cmp_ne_u64_e64 s[2:3], 0, v[2:3]
	s_and_b64 s[8:9], s[2:3], vcc
	; wave barrier
	s_and_saveexec_b64 s[2:3], s[8:9]
	s_cbranch_execz .LBB1963_49
; %bb.48:
	v_bcnt_u32_b32 v2, v2, 0
	v_bcnt_u32_b32 v2, v3, v2
	s_waitcnt lgkmcnt(0)
	v_add_u32_e32 v2, v47, v2
	ds_write_b32 v48, v2 offset:64
.LBB1963_49:
	s_or_b64 exec, exec, s[2:3]
	v_xor_b32_e32 v49, 0xffff8000, v7
	v_lshrrev_b32_sdwa v2, s20, v49 dst_sel:DWORD dst_unused:UNUSED_PAD src0_sel:DWORD src1_sel:WORD_0
	v_and_b32_e32 v4, s31, v2
	v_and_b32_e32 v3, 1, v4
	v_add_co_u32_e32 v5, vcc, -1, v3
	v_addc_co_u32_e64 v53, s[2:3], 0, -1, vcc
	v_cmp_ne_u32_e32 vcc, 0, v3
	v_mul_u32_u24_e32 v2, 17, v4
	v_xor_b32_e32 v3, vcc_hi, v53
	v_add_lshl_u32 v52, v26, v2, 2
	v_mov_b32_e32 v2, 0
	v_and_b32_e32 v53, exec_hi, v3
	v_lshlrev_b32_e32 v3, 30, v4
	v_xor_b32_e32 v5, vcc_lo, v5
	v_cmp_gt_i64_e32 vcc, 0, v[2:3]
	v_not_b32_e32 v3, v3
	v_ashrrev_i32_e32 v3, 31, v3
	v_and_b32_e32 v5, exec_lo, v5
	v_xor_b32_e32 v54, vcc_hi, v3
	v_xor_b32_e32 v3, vcc_lo, v3
	v_and_b32_e32 v5, v5, v3
	v_lshlrev_b32_e32 v3, 29, v4
	v_cmp_gt_i64_e32 vcc, 0, v[2:3]
	v_not_b32_e32 v3, v3
	v_ashrrev_i32_e32 v3, 31, v3
	v_and_b32_e32 v53, v53, v54
	v_xor_b32_e32 v54, vcc_hi, v3
	v_xor_b32_e32 v3, vcc_lo, v3
	v_and_b32_e32 v5, v5, v3
	v_lshlrev_b32_e32 v3, 28, v4
	v_cmp_gt_i64_e32 vcc, 0, v[2:3]
	v_not_b32_e32 v3, v3
	v_ashrrev_i32_e32 v3, 31, v3
	v_and_b32_e32 v53, v53, v54
	;; [unrolled: 8-line block ×5, first 2 shown]
	v_xor_b32_e32 v54, vcc_hi, v3
	v_xor_b32_e32 v3, vcc_lo, v3
	v_and_b32_e32 v53, v53, v54
	v_and_b32_e32 v54, v5, v3
	v_lshlrev_b32_e32 v3, 24, v4
	v_cmp_gt_i64_e32 vcc, 0, v[2:3]
	v_not_b32_e32 v3, v3
	v_ashrrev_i32_e32 v3, 31, v3
	v_xor_b32_e32 v4, vcc_hi, v3
	v_xor_b32_e32 v3, vcc_lo, v3
	; wave barrier
	ds_read_b32 v51, v52 offset:64
	v_and_b32_e32 v5, v53, v4
	v_and_b32_e32 v4, v54, v3
	v_mbcnt_lo_u32_b32 v3, v4, 0
	v_mbcnt_hi_u32_b32 v53, v5, v3
	v_cmp_eq_u32_e32 vcc, 0, v53
	v_cmp_ne_u64_e64 s[2:3], 0, v[4:5]
	s_movk_i32 s8, 0x8000
	s_and_b64 s[10:11], s[2:3], vcc
	; wave barrier
	s_and_saveexec_b64 s[2:3], s[10:11]
	s_cbranch_execz .LBB1963_51
; %bb.50:
	v_bcnt_u32_b32 v3, v4, 0
	v_bcnt_u32_b32 v3, v5, v3
	s_waitcnt lgkmcnt(0)
	v_add_u32_e32 v3, v51, v3
	ds_write_b32 v52, v3 offset:64
.LBB1963_51:
	s_or_b64 exec, exec, s[2:3]
	v_xor_b32_sdwa v7, v7, s8 dst_sel:DWORD dst_unused:UNUSED_PAD src0_sel:WORD_1 src1_sel:DWORD
	v_lshrrev_b32_sdwa v3, s20, v7 dst_sel:DWORD dst_unused:UNUSED_PAD src0_sel:DWORD src1_sel:WORD_0
	v_and_b32_e32 v4, s31, v3
	v_mul_u32_u24_e32 v3, 17, v4
	v_add_lshl_u32 v54, v26, v3, 2
	v_and_b32_e32 v3, 1, v4
	v_add_co_u32_e32 v5, vcc, -1, v3
	v_addc_co_u32_e64 v56, s[2:3], 0, -1, vcc
	v_cmp_ne_u32_e32 vcc, 0, v3
	v_xor_b32_e32 v3, vcc_hi, v56
	v_and_b32_e32 v56, exec_hi, v3
	v_lshlrev_b32_e32 v3, 30, v4
	v_xor_b32_e32 v5, vcc_lo, v5
	v_cmp_gt_i64_e32 vcc, 0, v[2:3]
	v_not_b32_e32 v3, v3
	v_ashrrev_i32_e32 v3, 31, v3
	v_and_b32_e32 v5, exec_lo, v5
	v_xor_b32_e32 v57, vcc_hi, v3
	v_xor_b32_e32 v3, vcc_lo, v3
	v_and_b32_e32 v5, v5, v3
	v_lshlrev_b32_e32 v3, 29, v4
	v_cmp_gt_i64_e32 vcc, 0, v[2:3]
	v_not_b32_e32 v3, v3
	v_ashrrev_i32_e32 v3, 31, v3
	v_and_b32_e32 v56, v56, v57
	v_xor_b32_e32 v57, vcc_hi, v3
	v_xor_b32_e32 v3, vcc_lo, v3
	v_and_b32_e32 v5, v5, v3
	v_lshlrev_b32_e32 v3, 28, v4
	v_cmp_gt_i64_e32 vcc, 0, v[2:3]
	v_not_b32_e32 v3, v3
	v_ashrrev_i32_e32 v3, 31, v3
	v_and_b32_e32 v56, v56, v57
	;; [unrolled: 8-line block ×5, first 2 shown]
	v_xor_b32_e32 v57, vcc_hi, v3
	v_xor_b32_e32 v3, vcc_lo, v3
	v_and_b32_e32 v5, v5, v3
	v_lshlrev_b32_e32 v3, 24, v4
	v_cmp_gt_i64_e32 vcc, 0, v[2:3]
	v_not_b32_e32 v2, v3
	v_ashrrev_i32_e32 v2, 31, v2
	v_xor_b32_e32 v3, vcc_hi, v2
	v_xor_b32_e32 v2, vcc_lo, v2
	; wave barrier
	ds_read_b32 v26, v54 offset:64
	v_and_b32_e32 v56, v56, v57
	v_and_b32_e32 v2, v5, v2
	v_and_b32_e32 v3, v56, v3
	v_mbcnt_lo_u32_b32 v4, v2, 0
	v_mbcnt_hi_u32_b32 v56, v3, v4
	v_cmp_eq_u32_e32 vcc, 0, v56
	v_cmp_ne_u64_e64 s[2:3], 0, v[2:3]
	v_add_u32_e32 v55, 64, v15
	s_and_b64 s[8:9], s[2:3], vcc
	; wave barrier
	s_and_saveexec_b64 s[2:3], s[8:9]
	s_cbranch_execz .LBB1963_53
; %bb.52:
	v_bcnt_u32_b32 v2, v2, 0
	v_bcnt_u32_b32 v2, v3, v2
	s_waitcnt lgkmcnt(0)
	v_add_u32_e32 v2, v26, v2
	ds_write_b32 v54, v2 offset:64
.LBB1963_53:
	s_or_b64 exec, exec, s[2:3]
	; wave barrier
	s_waitcnt lgkmcnt(0)
	s_barrier
	ds_read2_b32 v[4:5], v15 offset0:16 offset1:17
	ds_read2_b32 v[2:3], v55 offset0:2 offset1:3
	ds_read_b32 v57, v55 offset:16
	v_cmp_lt_u32_e64 s[12:13], 31, v11
	s_waitcnt lgkmcnt(1)
	v_add3_u32 v58, v5, v4, v2
	s_waitcnt lgkmcnt(0)
	v_add3_u32 v57, v58, v3, v57
	v_and_b32_e32 v58, 15, v11
	v_cmp_eq_u32_e32 vcc, 0, v58
	v_mov_b32_dpp v59, v57 row_shr:1 row_mask:0xf bank_mask:0xf
	v_cndmask_b32_e64 v59, v59, 0, vcc
	v_add_u32_e32 v57, v59, v57
	v_cmp_lt_u32_e64 s[2:3], 1, v58
	v_cmp_lt_u32_e64 s[10:11], 3, v58
	v_mov_b32_dpp v59, v57 row_shr:2 row_mask:0xf bank_mask:0xf
	v_cndmask_b32_e64 v59, 0, v59, s[2:3]
	v_add_u32_e32 v57, v57, v59
	v_cmp_lt_u32_e64 s[8:9], 7, v58
	s_nop 0
	v_mov_b32_dpp v59, v57 row_shr:4 row_mask:0xf bank_mask:0xf
	v_cndmask_b32_e64 v59, 0, v59, s[10:11]
	v_add_u32_e32 v57, v57, v59
	s_nop 1
	v_mov_b32_dpp v59, v57 row_shr:8 row_mask:0xf bank_mask:0xf
	v_cndmask_b32_e64 v58, 0, v59, s[8:9]
	v_add_u32_e32 v57, v57, v58
	v_bfe_i32 v59, v11, 4, 1
	s_nop 0
	v_mov_b32_dpp v58, v57 row_bcast:15 row_mask:0xf bank_mask:0xf
	v_and_b32_e32 v58, v59, v58
	v_add_u32_e32 v57, v57, v58
	v_and_b32_e32 v59, 63, v10
	s_nop 0
	v_mov_b32_dpp v58, v57 row_bcast:31 row_mask:0xf bank_mask:0xf
	v_cndmask_b32_e64 v58, 0, v58, s[12:13]
	v_add_u32_e32 v57, v57, v58
	v_lshrrev_b32_e32 v58, 6, v10
	v_cmp_eq_u32_e64 s[12:13], 63, v59
	s_and_saveexec_b64 s[22:23], s[12:13]
	s_cbranch_execz .LBB1963_55
; %bb.54:
	v_lshlrev_b32_e32 v59, 2, v58
	ds_write_b32 v59, v57
.LBB1963_55:
	s_or_b64 exec, exec, s[22:23]
	v_cmp_gt_u32_e64 s[12:13], 16, v10
	s_waitcnt lgkmcnt(0)
	s_barrier
	s_and_saveexec_b64 s[22:23], s[12:13]
	s_cbranch_execz .LBB1963_57
; %bb.56:
	v_lshlrev_b32_e32 v59, 2, v10
	ds_read_b32 v60, v59
	s_waitcnt lgkmcnt(0)
	s_nop 0
	v_mov_b32_dpp v61, v60 row_shr:1 row_mask:0xf bank_mask:0xf
	v_cndmask_b32_e64 v61, v61, 0, vcc
	v_add_u32_e32 v60, v61, v60
	s_nop 1
	v_mov_b32_dpp v61, v60 row_shr:2 row_mask:0xf bank_mask:0xf
	v_cndmask_b32_e64 v61, 0, v61, s[2:3]
	v_add_u32_e32 v60, v60, v61
	s_nop 1
	v_mov_b32_dpp v61, v60 row_shr:4 row_mask:0xf bank_mask:0xf
	v_cndmask_b32_e64 v61, 0, v61, s[10:11]
	;; [unrolled: 4-line block ×3, first 2 shown]
	v_add_u32_e32 v60, v60, v61
	ds_write_b32 v59, v60
.LBB1963_57:
	s_or_b64 exec, exec, s[22:23]
	v_cmp_lt_u32_e32 vcc, 63, v10
	v_mov_b32_e32 v59, 0
	s_waitcnt lgkmcnt(0)
	s_barrier
	s_and_saveexec_b64 s[2:3], vcc
	s_cbranch_execz .LBB1963_59
; %bb.58:
	v_lshl_add_u32 v58, v58, 2, -4
	ds_read_b32 v59, v58
.LBB1963_59:
	s_or_b64 exec, exec, s[2:3]
	v_add_u32_e32 v58, -1, v11
	v_and_b32_e32 v60, 64, v11
	v_cmp_lt_i32_e32 vcc, v58, v60
	v_cndmask_b32_e32 v58, v58, v11, vcc
	s_waitcnt lgkmcnt(0)
	v_add_u32_e32 v57, v59, v57
	v_lshlrev_b32_e32 v58, 2, v58
	ds_bpermute_b32 v57, v58, v57
	v_cmp_eq_u32_e32 vcc, 0, v11
	s_movk_i32 s2, 0x100
	s_waitcnt lgkmcnt(0)
	v_cndmask_b32_e32 v11, v57, v59, vcc
	v_cndmask_b32_e64 v11, v11, 0, s[0:1]
	v_add_u32_e32 v4, v11, v4
	v_add_u32_e32 v5, v4, v5
	;; [unrolled: 1-line block ×4, first 2 shown]
	ds_write2_b32 v15, v11, v4 offset0:16 offset1:17
	ds_write2_b32 v55, v5, v2 offset0:2 offset1:3
	ds_write_b32 v55, v3 offset:16
	s_waitcnt lgkmcnt(0)
	s_barrier
	ds_read_b32 v59, v19 offset:64
	ds_read_b32 v58, v20 offset:64
	;; [unrolled: 1-line block ×12, first 2 shown]
	v_cmp_gt_u32_e32 vcc, s2, v10
                                        ; implicit-def: $vgpr11
                                        ; implicit-def: $vgpr15
	s_and_saveexec_b64 s[8:9], vcc
	s_cbranch_execz .LBB1963_63
; %bb.60:
	v_mul_u32_u24_e32 v11, 17, v10
	v_lshlrev_b32_e32 v31, 2, v11
	ds_read_b32 v11, v31 offset:64
	s_movk_i32 s2, 0xff
	v_cmp_ne_u32_e64 s[2:3], s2, v10
	v_mov_b32_e32 v15, 0x3000
	s_and_saveexec_b64 s[10:11], s[2:3]
	s_cbranch_execz .LBB1963_62
; %bb.61:
	ds_read_b32 v15, v31 offset:132
.LBB1963_62:
	s_or_b64 exec, exec, s[10:11]
	s_waitcnt lgkmcnt(0)
	v_sub_u32_e32 v15, v15, v11
.LBB1963_63:
	s_or_b64 exec, exec, s[8:9]
	v_add_u32_e32 v18, v21, v18
	s_waitcnt lgkmcnt(11)
	v_add_lshl_u32 v16, v59, v16, 1
	v_add_u32_e32 v13, v28, v13
	v_add_u32_e32 v23, v25, v23
	s_waitcnt lgkmcnt(0)
	s_barrier
	ds_write_b16 v16, v14 offset:1024
	v_add_lshl_u32 v14, v18, v58, 1
	v_add_u32_e32 v30, v33, v30
	ds_write_b16 v14, v17 offset:1024
	v_add_lshl_u32 v14, v23, v57, 1
	v_add_lshl_u32 v13, v13, v55, 1
	v_add_u32_e32 v34, v37, v34
	ds_write_b16 v14, v22 offset:1024
	ds_write_b16 v13, v12 offset:1024
	v_add_lshl_u32 v12, v30, v27, 1
	v_add_u32_e32 v26, v56, v26
	v_add_u32_e32 v31, v53, v51
	;; [unrolled: 1-line block ×6, first 2 shown]
	ds_write_b16 v12, v29 offset:1024
	v_add_lshl_u32 v12, v34, v24, 1
	ds_write_b16 v12, v32 offset:1024
	v_add_lshl_u32 v12, v38, v20, 1
	v_add_lshl_u32 v9, v9, v19, 1
	;; [unrolled: 1-line block ×6, first 2 shown]
	ds_write_b16 v12, v36 offset:1024
	ds_write_b16 v9, v8 offset:1024
	;; [unrolled: 1-line block ×6, first 2 shown]
	s_and_saveexec_b64 s[8:9], vcc
	s_cbranch_execz .LBB1963_73
; %bb.64:
	v_lshl_or_b32 v2, s30, 8, v10
	v_mov_b32_e32 v3, 0
	v_lshlrev_b64 v[4:5], 2, v[2:3]
	v_mov_b32_e32 v8, s15
	v_add_co_u32_e64 v4, s[2:3], s14, v4
	v_addc_co_u32_e64 v5, s[2:3], v8, v5, s[2:3]
	v_or_b32_e32 v2, 2.0, v15
	s_mov_b64 s[10:11], 0
	s_brev_b32 s33, 1
	s_mov_b32 s34, s30
	v_mov_b32_e32 v9, 0
	global_store_dword v[4:5], v2, off
                                        ; implicit-def: $sgpr2_sgpr3
	s_branch .LBB1963_66
.LBB1963_65:                            ;   in Loop: Header=BB1963_66 Depth=1
	s_or_b64 exec, exec, s[12:13]
	v_and_b32_e32 v6, 0x3fffffff, v12
	v_add_u32_e32 v9, v6, v9
	v_cmp_eq_u32_e64 s[2:3], s33, v2
	s_and_b64 s[12:13], exec, s[2:3]
	s_or_b64 s[10:11], s[12:13], s[10:11]
	s_andn2_b64 exec, exec, s[10:11]
	s_cbranch_execz .LBB1963_72
.LBB1963_66:                            ; =>This Loop Header: Depth=1
                                        ;     Child Loop BB1963_69 Depth 2
	s_or_b64 s[2:3], s[2:3], exec
	s_cmp_eq_u32 s34, 0
	s_cbranch_scc1 .LBB1963_71
; %bb.67:                               ;   in Loop: Header=BB1963_66 Depth=1
	s_add_i32 s34, s34, -1
	v_lshl_or_b32 v2, s34, 8, v10
	v_lshlrev_b64 v[6:7], 2, v[2:3]
	v_add_co_u32_e64 v6, s[2:3], s14, v6
	v_addc_co_u32_e64 v7, s[2:3], v8, v7, s[2:3]
	global_load_dword v12, v[6:7], off glc
	s_waitcnt vmcnt(0)
	v_and_b32_e32 v2, -2.0, v12
	v_cmp_eq_u32_e64 s[2:3], 0, v2
	s_and_saveexec_b64 s[12:13], s[2:3]
	s_cbranch_execz .LBB1963_65
; %bb.68:                               ;   in Loop: Header=BB1963_66 Depth=1
	s_mov_b64 s[22:23], 0
.LBB1963_69:                            ;   Parent Loop BB1963_66 Depth=1
                                        ; =>  This Inner Loop Header: Depth=2
	global_load_dword v12, v[6:7], off glc
	s_waitcnt vmcnt(0)
	v_and_b32_e32 v2, -2.0, v12
	v_cmp_ne_u32_e64 s[2:3], 0, v2
	s_or_b64 s[22:23], s[2:3], s[22:23]
	s_andn2_b64 exec, exec, s[22:23]
	s_cbranch_execnz .LBB1963_69
; %bb.70:                               ;   in Loop: Header=BB1963_66 Depth=1
	s_or_b64 exec, exec, s[22:23]
	s_branch .LBB1963_65
.LBB1963_71:                            ;   in Loop: Header=BB1963_66 Depth=1
                                        ; implicit-def: $sgpr34
	s_and_b64 s[12:13], exec, s[2:3]
	s_or_b64 s[10:11], s[12:13], s[10:11]
	s_andn2_b64 exec, exec, s[10:11]
	s_cbranch_execnz .LBB1963_66
.LBB1963_72:
	s_or_b64 exec, exec, s[10:11]
	v_add_u32_e32 v2, v9, v15
	v_or_b32_e32 v2, 0x80000000, v2
	global_store_dword v[4:5], v2, off
	v_lshlrev_b32_e32 v2, 2, v10
	global_load_dword v3, v2, s[16:17]
	v_sub_u32_e32 v4, v9, v11
	s_waitcnt vmcnt(0)
	v_add_u32_e32 v3, v4, v3
	ds_write_b32 v2, v3
.LBB1963_73:
	s_or_b64 exec, exec, s[8:9]
	v_cmp_gt_u32_e64 s[2:3], s7, v10
	s_waitcnt lgkmcnt(0)
	s_barrier
	s_and_saveexec_b64 s[8:9], s[2:3]
	s_cbranch_execz .LBB1963_75
; %bb.74:
	v_lshlrev_b32_e32 v2, 1, v10
	ds_read_u16 v2, v2 offset:1024
	v_mov_b32_e32 v5, s27
	s_waitcnt lgkmcnt(0)
	v_lshrrev_b32_sdwa v3, s20, v2 dst_sel:DWORD dst_unused:UNUSED_PAD src0_sel:DWORD src1_sel:WORD_0
	v_and_b32_e32 v3, s31, v3
	v_lshlrev_b32_e32 v3, 2, v3
	ds_read_b32 v4, v3
	v_mov_b32_e32 v3, 0
	v_xor_b32_e32 v6, 0xffff8000, v2
	s_waitcnt lgkmcnt(0)
	v_add_u32_e32 v2, v4, v10
	v_lshlrev_b64 v[2:3], 1, v[2:3]
	v_add_co_u32_e64 v2, s[2:3], s26, v2
	v_addc_co_u32_e64 v3, s[2:3], v5, v3, s[2:3]
	global_store_short v[2:3], v6, off
.LBB1963_75:
	s_or_b64 exec, exec, s[8:9]
	v_or_b32_e32 v2, 0x400, v10
	v_cmp_gt_u32_e64 s[2:3], s7, v2
	s_and_saveexec_b64 s[8:9], s[2:3]
	s_cbranch_execz .LBB1963_77
; %bb.76:
	v_lshlrev_b32_e32 v3, 1, v10
	ds_read_u16 v4, v3 offset:3072
	v_mov_b32_e32 v6, s27
	s_waitcnt lgkmcnt(0)
	v_lshrrev_b32_sdwa v3, s20, v4 dst_sel:DWORD dst_unused:UNUSED_PAD src0_sel:DWORD src1_sel:WORD_0
	v_and_b32_e32 v3, s31, v3
	v_lshlrev_b32_e32 v3, 2, v3
	ds_read_b32 v5, v3
	v_mov_b32_e32 v3, 0
	v_xor_b32_e32 v4, 0xffff8000, v4
	s_waitcnt lgkmcnt(0)
	v_add_u32_e32 v2, v5, v2
	v_lshlrev_b64 v[2:3], 1, v[2:3]
	v_add_co_u32_e64 v2, s[2:3], s26, v2
	v_addc_co_u32_e64 v3, s[2:3], v6, v3, s[2:3]
	global_store_short v[2:3], v4, off
.LBB1963_77:
	s_or_b64 exec, exec, s[8:9]
	v_or_b32_e32 v2, 0x800, v10
	v_cmp_gt_u32_e64 s[2:3], s7, v2
	s_and_saveexec_b64 s[8:9], s[2:3]
	s_cbranch_execz .LBB1963_79
; %bb.78:
	v_lshlrev_b32_e32 v3, 1, v10
	ds_read_u16 v4, v3 offset:5120
	v_mov_b32_e32 v6, s27
	s_waitcnt lgkmcnt(0)
	v_lshrrev_b32_sdwa v3, s20, v4 dst_sel:DWORD dst_unused:UNUSED_PAD src0_sel:DWORD src1_sel:WORD_0
	v_and_b32_e32 v3, s31, v3
	v_lshlrev_b32_e32 v3, 2, v3
	ds_read_b32 v5, v3
	v_mov_b32_e32 v3, 0
	v_xor_b32_e32 v4, 0xffff8000, v4
	s_waitcnt lgkmcnt(0)
	v_add_u32_e32 v2, v5, v2
	v_lshlrev_b64 v[2:3], 1, v[2:3]
	v_add_co_u32_e64 v2, s[2:3], s26, v2
	v_addc_co_u32_e64 v3, s[2:3], v6, v3, s[2:3]
	global_store_short v[2:3], v4, off
.LBB1963_79:
	s_or_b64 exec, exec, s[8:9]
	v_or_b32_e32 v2, 0xc00, v10
	v_cmp_gt_u32_e64 s[2:3], s7, v2
	s_and_saveexec_b64 s[8:9], s[2:3]
	s_cbranch_execz .LBB1963_81
; %bb.80:
	v_lshlrev_b32_e32 v3, 1, v10
	ds_read_u16 v4, v3 offset:7168
	v_mov_b32_e32 v6, s27
	s_waitcnt lgkmcnt(0)
	v_lshrrev_b32_sdwa v3, s20, v4 dst_sel:DWORD dst_unused:UNUSED_PAD src0_sel:DWORD src1_sel:WORD_0
	v_and_b32_e32 v3, s31, v3
	v_lshlrev_b32_e32 v3, 2, v3
	ds_read_b32 v5, v3
	v_mov_b32_e32 v3, 0
	v_xor_b32_e32 v4, 0xffff8000, v4
	s_waitcnt lgkmcnt(0)
	v_add_u32_e32 v2, v5, v2
	v_lshlrev_b64 v[2:3], 1, v[2:3]
	v_add_co_u32_e64 v2, s[2:3], s26, v2
	v_addc_co_u32_e64 v3, s[2:3], v6, v3, s[2:3]
	global_store_short v[2:3], v4, off
.LBB1963_81:
	s_or_b64 exec, exec, s[8:9]
	v_or_b32_e32 v2, 0x1000, v10
	v_cmp_gt_u32_e64 s[2:3], s7, v2
	s_and_saveexec_b64 s[8:9], s[2:3]
	s_cbranch_execz .LBB1963_83
; %bb.82:
	v_lshlrev_b32_e32 v3, 1, v10
	ds_read_u16 v4, v3 offset:9216
	v_mov_b32_e32 v6, s27
	s_waitcnt lgkmcnt(0)
	v_lshrrev_b32_sdwa v3, s20, v4 dst_sel:DWORD dst_unused:UNUSED_PAD src0_sel:DWORD src1_sel:WORD_0
	v_and_b32_e32 v3, s31, v3
	v_lshlrev_b32_e32 v3, 2, v3
	ds_read_b32 v5, v3
	v_mov_b32_e32 v3, 0
	v_xor_b32_e32 v4, 0xffff8000, v4
	s_waitcnt lgkmcnt(0)
	v_add_u32_e32 v2, v5, v2
	v_lshlrev_b64 v[2:3], 1, v[2:3]
	v_add_co_u32_e64 v2, s[2:3], s26, v2
	v_addc_co_u32_e64 v3, s[2:3], v6, v3, s[2:3]
	global_store_short v[2:3], v4, off
.LBB1963_83:
	s_or_b64 exec, exec, s[8:9]
	v_or_b32_e32 v2, 0x1400, v10
	v_cmp_gt_u32_e64 s[2:3], s7, v2
	s_and_saveexec_b64 s[8:9], s[2:3]
	s_cbranch_execz .LBB1963_85
; %bb.84:
	v_lshlrev_b32_e32 v3, 1, v10
	ds_read_u16 v4, v3 offset:11264
	v_mov_b32_e32 v6, s27
	s_waitcnt lgkmcnt(0)
	v_lshrrev_b32_sdwa v3, s20, v4 dst_sel:DWORD dst_unused:UNUSED_PAD src0_sel:DWORD src1_sel:WORD_0
	v_and_b32_e32 v3, s31, v3
	v_lshlrev_b32_e32 v3, 2, v3
	ds_read_b32 v5, v3
	v_mov_b32_e32 v3, 0
	v_xor_b32_e32 v4, 0xffff8000, v4
	s_waitcnt lgkmcnt(0)
	v_add_u32_e32 v2, v5, v2
	v_lshlrev_b64 v[2:3], 1, v[2:3]
	v_add_co_u32_e64 v2, s[2:3], s26, v2
	v_addc_co_u32_e64 v3, s[2:3], v6, v3, s[2:3]
	global_store_short v[2:3], v4, off
.LBB1963_85:
	s_or_b64 exec, exec, s[8:9]
	v_or_b32_e32 v2, 0x1800, v10
	v_cmp_gt_u32_e64 s[2:3], s7, v2
	s_and_saveexec_b64 s[8:9], s[2:3]
	s_cbranch_execz .LBB1963_87
; %bb.86:
	v_lshlrev_b32_e32 v3, 1, v10
	ds_read_u16 v4, v3 offset:13312
	v_mov_b32_e32 v6, s27
	s_waitcnt lgkmcnt(0)
	v_lshrrev_b32_sdwa v3, s20, v4 dst_sel:DWORD dst_unused:UNUSED_PAD src0_sel:DWORD src1_sel:WORD_0
	v_and_b32_e32 v3, s31, v3
	v_lshlrev_b32_e32 v3, 2, v3
	ds_read_b32 v5, v3
	v_mov_b32_e32 v3, 0
	v_xor_b32_e32 v4, 0xffff8000, v4
	s_waitcnt lgkmcnt(0)
	v_add_u32_e32 v2, v5, v2
	v_lshlrev_b64 v[2:3], 1, v[2:3]
	v_add_co_u32_e64 v2, s[2:3], s26, v2
	v_addc_co_u32_e64 v3, s[2:3], v6, v3, s[2:3]
	global_store_short v[2:3], v4, off
.LBB1963_87:
	s_or_b64 exec, exec, s[8:9]
	v_or_b32_e32 v2, 0x1c00, v10
	v_cmp_gt_u32_e64 s[2:3], s7, v2
	s_and_saveexec_b64 s[8:9], s[2:3]
	s_cbranch_execz .LBB1963_89
; %bb.88:
	v_lshlrev_b32_e32 v3, 1, v10
	ds_read_u16 v4, v3 offset:15360
	v_mov_b32_e32 v6, s27
	s_waitcnt lgkmcnt(0)
	v_lshrrev_b32_sdwa v3, s20, v4 dst_sel:DWORD dst_unused:UNUSED_PAD src0_sel:DWORD src1_sel:WORD_0
	v_and_b32_e32 v3, s31, v3
	v_lshlrev_b32_e32 v3, 2, v3
	ds_read_b32 v5, v3
	v_mov_b32_e32 v3, 0
	v_xor_b32_e32 v4, 0xffff8000, v4
	s_waitcnt lgkmcnt(0)
	v_add_u32_e32 v2, v5, v2
	v_lshlrev_b64 v[2:3], 1, v[2:3]
	v_add_co_u32_e64 v2, s[2:3], s26, v2
	v_addc_co_u32_e64 v3, s[2:3], v6, v3, s[2:3]
	global_store_short v[2:3], v4, off
.LBB1963_89:
	s_or_b64 exec, exec, s[8:9]
	v_or_b32_e32 v2, 0x2000, v10
	v_cmp_gt_u32_e64 s[2:3], s7, v2
	s_and_saveexec_b64 s[8:9], s[2:3]
	s_cbranch_execz .LBB1963_91
; %bb.90:
	v_lshlrev_b32_e32 v3, 1, v10
	ds_read_u16 v4, v3 offset:17408
	v_mov_b32_e32 v6, s27
	s_waitcnt lgkmcnt(0)
	v_lshrrev_b32_sdwa v3, s20, v4 dst_sel:DWORD dst_unused:UNUSED_PAD src0_sel:DWORD src1_sel:WORD_0
	v_and_b32_e32 v3, s31, v3
	v_lshlrev_b32_e32 v3, 2, v3
	ds_read_b32 v5, v3
	v_mov_b32_e32 v3, 0
	v_xor_b32_e32 v4, 0xffff8000, v4
	s_waitcnt lgkmcnt(0)
	v_add_u32_e32 v2, v5, v2
	v_lshlrev_b64 v[2:3], 1, v[2:3]
	v_add_co_u32_e64 v2, s[2:3], s26, v2
	v_addc_co_u32_e64 v3, s[2:3], v6, v3, s[2:3]
	global_store_short v[2:3], v4, off
.LBB1963_91:
	s_or_b64 exec, exec, s[8:9]
	v_or_b32_e32 v2, 0x2400, v10
	v_cmp_gt_u32_e64 s[2:3], s7, v2
	s_and_saveexec_b64 s[8:9], s[2:3]
	s_cbranch_execz .LBB1963_93
; %bb.92:
	v_lshlrev_b32_e32 v3, 1, v10
	ds_read_u16 v4, v3 offset:19456
	v_mov_b32_e32 v6, s27
	s_waitcnt lgkmcnt(0)
	v_lshrrev_b32_sdwa v3, s20, v4 dst_sel:DWORD dst_unused:UNUSED_PAD src0_sel:DWORD src1_sel:WORD_0
	v_and_b32_e32 v3, s31, v3
	v_lshlrev_b32_e32 v3, 2, v3
	ds_read_b32 v5, v3
	v_mov_b32_e32 v3, 0
	v_xor_b32_e32 v4, 0xffff8000, v4
	s_waitcnt lgkmcnt(0)
	v_add_u32_e32 v2, v5, v2
	v_lshlrev_b64 v[2:3], 1, v[2:3]
	v_add_co_u32_e64 v2, s[2:3], s26, v2
	v_addc_co_u32_e64 v3, s[2:3], v6, v3, s[2:3]
	global_store_short v[2:3], v4, off
.LBB1963_93:
	s_or_b64 exec, exec, s[8:9]
	v_or_b32_e32 v2, 0x2800, v10
	v_cmp_gt_u32_e64 s[2:3], s7, v2
	s_and_saveexec_b64 s[8:9], s[2:3]
	s_cbranch_execz .LBB1963_95
; %bb.94:
	v_lshlrev_b32_e32 v3, 1, v10
	ds_read_u16 v4, v3 offset:21504
	v_mov_b32_e32 v6, s27
	s_waitcnt lgkmcnt(0)
	v_lshrrev_b32_sdwa v3, s20, v4 dst_sel:DWORD dst_unused:UNUSED_PAD src0_sel:DWORD src1_sel:WORD_0
	v_and_b32_e32 v3, s31, v3
	v_lshlrev_b32_e32 v3, 2, v3
	ds_read_b32 v5, v3
	v_mov_b32_e32 v3, 0
	v_xor_b32_e32 v4, 0xffff8000, v4
	s_waitcnt lgkmcnt(0)
	v_add_u32_e32 v2, v5, v2
	v_lshlrev_b64 v[2:3], 1, v[2:3]
	v_add_co_u32_e64 v2, s[2:3], s26, v2
	v_addc_co_u32_e64 v3, s[2:3], v6, v3, s[2:3]
	global_store_short v[2:3], v4, off
.LBB1963_95:
	s_or_b64 exec, exec, s[8:9]
	v_or_b32_e32 v2, 0x2c00, v10
	v_cmp_gt_u32_e64 s[2:3], s7, v2
	s_and_saveexec_b64 s[8:9], s[2:3]
	s_cbranch_execz .LBB1963_97
; %bb.96:
	v_lshlrev_b32_e32 v3, 1, v10
	ds_read_u16 v4, v3 offset:23552
	v_mov_b32_e32 v6, s27
	s_waitcnt lgkmcnt(0)
	v_lshrrev_b32_sdwa v3, s20, v4 dst_sel:DWORD dst_unused:UNUSED_PAD src0_sel:DWORD src1_sel:WORD_0
	v_and_b32_e32 v3, s31, v3
	v_lshlrev_b32_e32 v3, 2, v3
	ds_read_b32 v5, v3
	v_mov_b32_e32 v3, 0
	v_xor_b32_e32 v4, 0xffff8000, v4
	s_waitcnt lgkmcnt(0)
	v_add_u32_e32 v2, v5, v2
	v_lshlrev_b64 v[2:3], 1, v[2:3]
	v_add_co_u32_e64 v2, s[2:3], s26, v2
	v_addc_co_u32_e64 v3, s[2:3], v6, v3, s[2:3]
	global_store_short v[2:3], v4, off
.LBB1963_97:
	s_or_b64 exec, exec, s[8:9]
	s_add_i32 s29, s29, -1
	s_cmp_eq_u32 s29, s30
	s_cselect_b64 s[2:3], -1, 0
	s_and_b64 s[8:9], vcc, s[2:3]
	s_mov_b64 s[2:3], 0
	s_mov_b64 s[10:11], 0
                                        ; implicit-def: $vgpr2
	s_and_saveexec_b64 s[12:13], s[8:9]
	s_xor_b64 s[8:9], exec, s[12:13]
; %bb.98:
	s_mov_b64 s[10:11], exec
	v_add_u32_e32 v2, v11, v15
	v_mov_b32_e32 v11, 0
; %bb.99:
	s_or_b64 exec, exec, s[8:9]
	s_and_b64 vcc, exec, s[2:3]
	s_cbranch_vccnz .LBB1963_101
	s_branch .LBB1963_150
.LBB1963_100:
	s_mov_b64 s[10:11], 0
                                        ; implicit-def: $vgpr2
	s_cbranch_execz .LBB1963_150
.LBB1963_101:
	s_mov_b32 s29, 0
	v_mbcnt_hi_u32_b32 v5, -1, v1
	s_lshl_b64 s[2:3], s[28:29], 1
	v_and_b32_e32 v1, 63, v5
	s_add_u32 s2, s24, s2
	v_lshlrev_b32_e32 v1, 1, v1
	v_add_co_u32_e32 v1, vcc, s2, v1
	s_load_dword s22, s[4:5], 0x58
	s_load_dword s2, s[4:5], 0x64
	s_addc_u32 s3, s25, s3
	v_and_b32_e32 v3, 0x3c0, v10
	v_mul_u32_u24_e32 v3, 12, v3
	v_mov_b32_e32 v4, s3
	v_addc_co_u32_e32 v4, vcc, 0, v4, vcc
	v_lshlrev_b32_e32 v3, 1, v3
	s_add_u32 s3, s4, 0x58
	v_add_co_u32_e32 v12, vcc, v1, v3
	s_addc_u32 s4, s5, 0
	s_waitcnt lgkmcnt(0)
	s_lshr_b32 s5, s2, 16
	v_addc_co_u32_e32 v13, vcc, 0, v4, vcc
	s_cmp_lt_u32 s6, s22
	global_load_ushort v1, v[12:13], off
	s_cselect_b32 s2, 12, 18
	s_add_u32 s2, s3, s2
	v_mov_b32_e32 v2, 0
	s_addc_u32 s3, s4, 0
	global_load_ushort v3, v2, s[2:3]
	v_mul_u32_u24_e32 v6, 5, v10
	v_lshlrev_b32_e32 v6, 2, v6
	ds_write2_b32 v6, v2, v2 offset0:16 offset1:17
	ds_write2_b32 v6, v2, v2 offset0:18 offset1:19
	ds_write_b32 v6, v2 offset:80
	global_load_ushort v9, v[12:13], off offset:128
	global_load_ushort v14, v[12:13], off offset:256
	;; [unrolled: 1-line block ×11, first 2 shown]
	v_bfe_u32 v4, v0, 10, 10
	v_bfe_u32 v0, v0, 20, 10
	v_mad_u32_u24 v0, v0, s5, v4
	s_lshl_b32 s2, -1, s21
	s_not_b32 s21, s2
	s_waitcnt lgkmcnt(0)
	s_barrier
	s_waitcnt lgkmcnt(0)
	; wave barrier
	s_waitcnt vmcnt(12)
	v_xor_b32_e32 v4, 0xffff8000, v1
	v_lshrrev_b32_sdwa v1, s20, v4 dst_sel:DWORD dst_unused:UNUSED_PAD src0_sel:DWORD src1_sel:WORD_0
	v_and_b32_e32 v8, s21, v1
	v_and_b32_e32 v7, 1, v8
	s_waitcnt vmcnt(11)
	v_mad_u64_u32 v[0:1], s[2:3], v0, v3, v[10:11]
	v_lshrrev_b32_e32 v17, 6, v0
	v_add_co_u32_e32 v0, vcc, -1, v7
	v_lshlrev_b32_e32 v3, 30, v8
	v_addc_co_u32_e64 v11, s[2:3], 0, -1, vcc
	v_mul_u32_u24_e32 v1, 17, v8
	v_cmp_ne_u32_e32 vcc, 0, v7
	v_cmp_gt_i64_e64 s[2:3], 0, v[2:3]
	v_not_b32_e32 v12, v3
	v_lshlrev_b32_e32 v3, 29, v8
	v_add_lshl_u32 v7, v17, v1, 2
	v_xor_b32_e32 v1, vcc_hi, v11
	v_xor_b32_e32 v0, vcc_lo, v0
	v_ashrrev_i32_e32 v11, 31, v12
	v_cmp_gt_i64_e32 vcc, 0, v[2:3]
	v_not_b32_e32 v12, v3
	v_lshlrev_b32_e32 v3, 28, v8
	v_and_b32_e32 v1, exec_hi, v1
	v_and_b32_e32 v0, exec_lo, v0
	v_xor_b32_e32 v13, s3, v11
	v_xor_b32_e32 v11, s2, v11
	v_ashrrev_i32_e32 v12, 31, v12
	v_cmp_gt_i64_e64 s[2:3], 0, v[2:3]
	v_not_b32_e32 v3, v3
	v_and_b32_e32 v1, v1, v13
	v_and_b32_e32 v0, v0, v11
	v_xor_b32_e32 v11, vcc_hi, v12
	v_xor_b32_e32 v12, vcc_lo, v12
	v_ashrrev_i32_e32 v3, 31, v3
	v_and_b32_e32 v1, v1, v11
	v_and_b32_e32 v0, v0, v12
	v_xor_b32_e32 v11, s3, v3
	v_xor_b32_e32 v3, s2, v3
	v_and_b32_e32 v0, v0, v3
	v_lshlrev_b32_e32 v3, 27, v8
	v_cmp_gt_i64_e32 vcc, 0, v[2:3]
	v_not_b32_e32 v3, v3
	v_ashrrev_i32_e32 v3, 31, v3
	v_and_b32_e32 v1, v1, v11
	v_xor_b32_e32 v11, vcc_hi, v3
	v_xor_b32_e32 v3, vcc_lo, v3
	v_and_b32_e32 v0, v0, v3
	v_lshlrev_b32_e32 v3, 26, v8
	v_cmp_gt_i64_e32 vcc, 0, v[2:3]
	v_not_b32_e32 v3, v3
	v_ashrrev_i32_e32 v3, 31, v3
	v_and_b32_e32 v1, v1, v11
	v_xor_b32_e32 v11, vcc_hi, v3
	v_xor_b32_e32 v3, vcc_lo, v3
	v_and_b32_e32 v0, v0, v3
	v_lshlrev_b32_e32 v3, 25, v8
	v_cmp_gt_i64_e32 vcc, 0, v[2:3]
	v_not_b32_e32 v3, v3
	v_ashrrev_i32_e32 v3, 31, v3
	v_and_b32_e32 v1, v1, v11
	v_xor_b32_e32 v11, vcc_hi, v3
	v_xor_b32_e32 v3, vcc_lo, v3
	v_and_b32_e32 v0, v0, v3
	v_lshlrev_b32_e32 v3, 24, v8
	v_cmp_gt_i64_e32 vcc, 0, v[2:3]
	v_not_b32_e32 v3, v3
	v_ashrrev_i32_e32 v3, 31, v3
	v_xor_b32_e32 v8, vcc_hi, v3
	v_xor_b32_e32 v3, vcc_lo, v3
	v_and_b32_e32 v1, v1, v11
	v_and_b32_e32 v0, v0, v3
	;; [unrolled: 1-line block ×3, first 2 shown]
	v_mbcnt_lo_u32_b32 v3, v0, 0
	v_mbcnt_hi_u32_b32 v8, v1, v3
	v_cmp_eq_u32_e32 vcc, 0, v8
	v_cmp_ne_u64_e64 s[2:3], 0, v[0:1]
	s_and_b64 s[4:5], s[2:3], vcc
	s_and_saveexec_b64 s[2:3], s[4:5]
	s_cbranch_execz .LBB1963_103
; %bb.102:
	v_bcnt_u32_b32 v0, v0, 0
	v_bcnt_u32_b32 v0, v1, v0
	ds_write_b32 v7, v0 offset:64
.LBB1963_103:
	s_or_b64 exec, exec, s[2:3]
	s_waitcnt vmcnt(10)
	v_xor_b32_e32 v9, 0xffff8000, v9
	v_lshrrev_b32_sdwa v0, s20, v9 dst_sel:DWORD dst_unused:UNUSED_PAD src0_sel:DWORD src1_sel:WORD_0
	v_and_b32_e32 v0, s21, v0
	v_mul_u32_u24_e32 v1, 17, v0
	v_add_lshl_u32 v12, v17, v1, 2
	v_and_b32_e32 v1, 1, v0
	v_add_co_u32_e32 v3, vcc, -1, v1
	v_addc_co_u32_e64 v13, s[2:3], 0, -1, vcc
	v_cmp_ne_u32_e32 vcc, 0, v1
	v_xor_b32_e32 v3, vcc_lo, v3
	v_xor_b32_e32 v1, vcc_hi, v13
	v_and_b32_e32 v13, exec_lo, v3
	v_lshlrev_b32_e32 v3, 30, v0
	v_cmp_gt_i64_e32 vcc, 0, v[2:3]
	v_not_b32_e32 v3, v3
	v_ashrrev_i32_e32 v3, 31, v3
	v_xor_b32_e32 v15, vcc_hi, v3
	v_xor_b32_e32 v3, vcc_lo, v3
	v_and_b32_e32 v13, v13, v3
	v_lshlrev_b32_e32 v3, 29, v0
	v_cmp_gt_i64_e32 vcc, 0, v[2:3]
	v_not_b32_e32 v3, v3
	v_and_b32_e32 v1, exec_hi, v1
	v_ashrrev_i32_e32 v3, 31, v3
	v_and_b32_e32 v1, v1, v15
	v_xor_b32_e32 v15, vcc_hi, v3
	v_xor_b32_e32 v3, vcc_lo, v3
	v_and_b32_e32 v13, v13, v3
	v_lshlrev_b32_e32 v3, 28, v0
	v_cmp_gt_i64_e32 vcc, 0, v[2:3]
	v_not_b32_e32 v3, v3
	v_ashrrev_i32_e32 v3, 31, v3
	v_and_b32_e32 v1, v1, v15
	v_xor_b32_e32 v15, vcc_hi, v3
	v_xor_b32_e32 v3, vcc_lo, v3
	v_and_b32_e32 v13, v13, v3
	v_lshlrev_b32_e32 v3, 27, v0
	v_cmp_gt_i64_e32 vcc, 0, v[2:3]
	v_not_b32_e32 v3, v3
	;; [unrolled: 8-line block ×4, first 2 shown]
	v_ashrrev_i32_e32 v3, 31, v3
	v_and_b32_e32 v1, v1, v15
	v_xor_b32_e32 v15, vcc_hi, v3
	v_xor_b32_e32 v3, vcc_lo, v3
	v_and_b32_e32 v13, v13, v3
	v_lshlrev_b32_e32 v3, 24, v0
	v_not_b32_e32 v0, v3
	v_cmp_gt_i64_e32 vcc, 0, v[2:3]
	v_ashrrev_i32_e32 v0, 31, v0
	v_xor_b32_e32 v2, vcc_hi, v0
	v_xor_b32_e32 v0, vcc_lo, v0
	; wave barrier
	ds_read_b32 v11, v12 offset:64
	v_and_b32_e32 v1, v1, v15
	v_and_b32_e32 v0, v13, v0
	;; [unrolled: 1-line block ×3, first 2 shown]
	v_mbcnt_lo_u32_b32 v2, v0, 0
	v_mbcnt_hi_u32_b32 v13, v1, v2
	v_cmp_eq_u32_e32 vcc, 0, v13
	v_cmp_ne_u64_e64 s[2:3], 0, v[0:1]
	s_and_b64 s[4:5], s[2:3], vcc
	; wave barrier
	s_and_saveexec_b64 s[2:3], s[4:5]
	s_cbranch_execz .LBB1963_105
; %bb.104:
	v_bcnt_u32_b32 v0, v0, 0
	v_bcnt_u32_b32 v0, v1, v0
	s_waitcnt lgkmcnt(0)
	v_add_u32_e32 v0, v11, v0
	ds_write_b32 v12, v0 offset:64
.LBB1963_105:
	s_or_b64 exec, exec, s[2:3]
	s_waitcnt vmcnt(9)
	v_xor_b32_e32 v14, 0xffff8000, v14
	v_lshrrev_b32_sdwa v0, s20, v14 dst_sel:DWORD dst_unused:UNUSED_PAD src0_sel:DWORD src1_sel:WORD_0
	v_and_b32_e32 v2, s21, v0
	v_and_b32_e32 v1, 1, v2
	v_add_co_u32_e32 v3, vcc, -1, v1
	v_addc_co_u32_e64 v19, s[2:3], 0, -1, vcc
	v_cmp_ne_u32_e32 vcc, 0, v1
	v_mul_u32_u24_e32 v0, 17, v2
	v_xor_b32_e32 v1, vcc_hi, v19
	v_add_lshl_u32 v18, v17, v0, 2
	v_mov_b32_e32 v0, 0
	v_and_b32_e32 v19, exec_hi, v1
	v_lshlrev_b32_e32 v1, 30, v2
	v_xor_b32_e32 v3, vcc_lo, v3
	v_cmp_gt_i64_e32 vcc, 0, v[0:1]
	v_not_b32_e32 v1, v1
	v_ashrrev_i32_e32 v1, 31, v1
	v_and_b32_e32 v3, exec_lo, v3
	v_xor_b32_e32 v21, vcc_hi, v1
	v_xor_b32_e32 v1, vcc_lo, v1
	v_and_b32_e32 v3, v3, v1
	v_lshlrev_b32_e32 v1, 29, v2
	v_cmp_gt_i64_e32 vcc, 0, v[0:1]
	v_not_b32_e32 v1, v1
	v_ashrrev_i32_e32 v1, 31, v1
	v_and_b32_e32 v19, v19, v21
	v_xor_b32_e32 v21, vcc_hi, v1
	v_xor_b32_e32 v1, vcc_lo, v1
	v_and_b32_e32 v3, v3, v1
	v_lshlrev_b32_e32 v1, 28, v2
	v_cmp_gt_i64_e32 vcc, 0, v[0:1]
	v_not_b32_e32 v1, v1
	v_ashrrev_i32_e32 v1, 31, v1
	v_and_b32_e32 v19, v19, v21
	;; [unrolled: 8-line block ×5, first 2 shown]
	v_xor_b32_e32 v21, vcc_hi, v1
	v_xor_b32_e32 v1, vcc_lo, v1
	v_and_b32_e32 v19, v19, v21
	v_and_b32_e32 v21, v3, v1
	v_lshlrev_b32_e32 v1, 24, v2
	v_cmp_gt_i64_e32 vcc, 0, v[0:1]
	v_not_b32_e32 v1, v1
	v_ashrrev_i32_e32 v1, 31, v1
	v_xor_b32_e32 v2, vcc_hi, v1
	v_xor_b32_e32 v1, vcc_lo, v1
	; wave barrier
	ds_read_b32 v15, v18 offset:64
	v_and_b32_e32 v3, v19, v2
	v_and_b32_e32 v2, v21, v1
	v_mbcnt_lo_u32_b32 v1, v2, 0
	v_mbcnt_hi_u32_b32 v19, v3, v1
	v_cmp_eq_u32_e32 vcc, 0, v19
	v_cmp_ne_u64_e64 s[2:3], 0, v[2:3]
	s_and_b64 s[4:5], s[2:3], vcc
	; wave barrier
	s_and_saveexec_b64 s[2:3], s[4:5]
	s_cbranch_execz .LBB1963_107
; %bb.106:
	v_bcnt_u32_b32 v1, v2, 0
	v_bcnt_u32_b32 v1, v3, v1
	s_waitcnt lgkmcnt(0)
	v_add_u32_e32 v1, v15, v1
	ds_write_b32 v18, v1 offset:64
.LBB1963_107:
	s_or_b64 exec, exec, s[2:3]
	s_waitcnt vmcnt(8)
	v_xor_b32_e32 v20, 0xffff8000, v20
	v_lshrrev_b32_sdwa v1, s20, v20 dst_sel:DWORD dst_unused:UNUSED_PAD src0_sel:DWORD src1_sel:WORD_0
	v_and_b32_e32 v2, s21, v1
	v_mul_u32_u24_e32 v1, 17, v2
	v_add_lshl_u32 v23, v17, v1, 2
	v_and_b32_e32 v1, 1, v2
	v_add_co_u32_e32 v3, vcc, -1, v1
	v_addc_co_u32_e64 v24, s[2:3], 0, -1, vcc
	v_cmp_ne_u32_e32 vcc, 0, v1
	v_xor_b32_e32 v1, vcc_hi, v24
	v_and_b32_e32 v24, exec_hi, v1
	v_lshlrev_b32_e32 v1, 30, v2
	v_xor_b32_e32 v3, vcc_lo, v3
	v_cmp_gt_i64_e32 vcc, 0, v[0:1]
	v_not_b32_e32 v1, v1
	v_ashrrev_i32_e32 v1, 31, v1
	v_and_b32_e32 v3, exec_lo, v3
	v_xor_b32_e32 v26, vcc_hi, v1
	v_xor_b32_e32 v1, vcc_lo, v1
	v_and_b32_e32 v3, v3, v1
	v_lshlrev_b32_e32 v1, 29, v2
	v_cmp_gt_i64_e32 vcc, 0, v[0:1]
	v_not_b32_e32 v1, v1
	v_ashrrev_i32_e32 v1, 31, v1
	v_and_b32_e32 v24, v24, v26
	v_xor_b32_e32 v26, vcc_hi, v1
	v_xor_b32_e32 v1, vcc_lo, v1
	v_and_b32_e32 v3, v3, v1
	v_lshlrev_b32_e32 v1, 28, v2
	v_cmp_gt_i64_e32 vcc, 0, v[0:1]
	v_not_b32_e32 v1, v1
	v_ashrrev_i32_e32 v1, 31, v1
	v_and_b32_e32 v24, v24, v26
	;; [unrolled: 8-line block ×5, first 2 shown]
	v_xor_b32_e32 v26, vcc_hi, v1
	v_xor_b32_e32 v1, vcc_lo, v1
	v_and_b32_e32 v3, v3, v1
	v_lshlrev_b32_e32 v1, 24, v2
	v_cmp_gt_i64_e32 vcc, 0, v[0:1]
	v_not_b32_e32 v0, v1
	v_ashrrev_i32_e32 v0, 31, v0
	v_xor_b32_e32 v1, vcc_hi, v0
	v_xor_b32_e32 v0, vcc_lo, v0
	; wave barrier
	ds_read_b32 v21, v23 offset:64
	v_and_b32_e32 v24, v24, v26
	v_and_b32_e32 v0, v3, v0
	;; [unrolled: 1-line block ×3, first 2 shown]
	v_mbcnt_lo_u32_b32 v2, v0, 0
	v_mbcnt_hi_u32_b32 v24, v1, v2
	v_cmp_eq_u32_e32 vcc, 0, v24
	v_cmp_ne_u64_e64 s[2:3], 0, v[0:1]
	s_and_b64 s[4:5], s[2:3], vcc
	; wave barrier
	s_and_saveexec_b64 s[2:3], s[4:5]
	s_cbranch_execz .LBB1963_109
; %bb.108:
	v_bcnt_u32_b32 v0, v0, 0
	v_bcnt_u32_b32 v0, v1, v0
	s_waitcnt lgkmcnt(0)
	v_add_u32_e32 v0, v21, v0
	ds_write_b32 v23, v0 offset:64
.LBB1963_109:
	s_or_b64 exec, exec, s[2:3]
	s_waitcnt vmcnt(7)
	v_xor_b32_e32 v25, 0xffff8000, v25
	v_lshrrev_b32_sdwa v0, s20, v25 dst_sel:DWORD dst_unused:UNUSED_PAD src0_sel:DWORD src1_sel:WORD_0
	v_and_b32_e32 v2, s21, v0
	v_and_b32_e32 v1, 1, v2
	v_add_co_u32_e32 v3, vcc, -1, v1
	v_addc_co_u32_e64 v30, s[2:3], 0, -1, vcc
	v_cmp_ne_u32_e32 vcc, 0, v1
	v_mul_u32_u24_e32 v0, 17, v2
	v_xor_b32_e32 v1, vcc_hi, v30
	v_add_lshl_u32 v28, v17, v0, 2
	v_mov_b32_e32 v0, 0
	v_and_b32_e32 v30, exec_hi, v1
	v_lshlrev_b32_e32 v1, 30, v2
	v_xor_b32_e32 v3, vcc_lo, v3
	v_cmp_gt_i64_e32 vcc, 0, v[0:1]
	v_not_b32_e32 v1, v1
	v_ashrrev_i32_e32 v1, 31, v1
	v_and_b32_e32 v3, exec_lo, v3
	v_xor_b32_e32 v31, vcc_hi, v1
	v_xor_b32_e32 v1, vcc_lo, v1
	v_and_b32_e32 v3, v3, v1
	v_lshlrev_b32_e32 v1, 29, v2
	v_cmp_gt_i64_e32 vcc, 0, v[0:1]
	v_not_b32_e32 v1, v1
	v_ashrrev_i32_e32 v1, 31, v1
	v_and_b32_e32 v30, v30, v31
	v_xor_b32_e32 v31, vcc_hi, v1
	v_xor_b32_e32 v1, vcc_lo, v1
	v_and_b32_e32 v3, v3, v1
	v_lshlrev_b32_e32 v1, 28, v2
	v_cmp_gt_i64_e32 vcc, 0, v[0:1]
	v_not_b32_e32 v1, v1
	v_ashrrev_i32_e32 v1, 31, v1
	v_and_b32_e32 v30, v30, v31
	;; [unrolled: 8-line block ×5, first 2 shown]
	v_xor_b32_e32 v31, vcc_hi, v1
	v_xor_b32_e32 v1, vcc_lo, v1
	v_and_b32_e32 v30, v30, v31
	v_and_b32_e32 v31, v3, v1
	v_lshlrev_b32_e32 v1, 24, v2
	v_cmp_gt_i64_e32 vcc, 0, v[0:1]
	v_not_b32_e32 v1, v1
	v_ashrrev_i32_e32 v1, 31, v1
	v_xor_b32_e32 v2, vcc_hi, v1
	v_xor_b32_e32 v1, vcc_lo, v1
	; wave barrier
	ds_read_b32 v26, v28 offset:64
	v_and_b32_e32 v3, v30, v2
	v_and_b32_e32 v2, v31, v1
	v_mbcnt_lo_u32_b32 v1, v2, 0
	v_mbcnt_hi_u32_b32 v30, v3, v1
	v_cmp_eq_u32_e32 vcc, 0, v30
	v_cmp_ne_u64_e64 s[2:3], 0, v[2:3]
	s_and_b64 s[4:5], s[2:3], vcc
	; wave barrier
	s_and_saveexec_b64 s[2:3], s[4:5]
	s_cbranch_execz .LBB1963_111
; %bb.110:
	v_bcnt_u32_b32 v1, v2, 0
	v_bcnt_u32_b32 v1, v3, v1
	s_waitcnt lgkmcnt(0)
	v_add_u32_e32 v1, v26, v1
	ds_write_b32 v28, v1 offset:64
.LBB1963_111:
	s_or_b64 exec, exec, s[2:3]
	s_waitcnt vmcnt(6)
	v_xor_b32_e32 v29, 0xffff8000, v29
	v_lshrrev_b32_sdwa v1, s20, v29 dst_sel:DWORD dst_unused:UNUSED_PAD src0_sel:DWORD src1_sel:WORD_0
	v_and_b32_e32 v2, s21, v1
	v_mul_u32_u24_e32 v1, 17, v2
	v_add_lshl_u32 v33, v17, v1, 2
	v_and_b32_e32 v1, 1, v2
	v_add_co_u32_e32 v3, vcc, -1, v1
	v_addc_co_u32_e64 v35, s[2:3], 0, -1, vcc
	v_cmp_ne_u32_e32 vcc, 0, v1
	v_xor_b32_e32 v1, vcc_hi, v35
	v_and_b32_e32 v35, exec_hi, v1
	v_lshlrev_b32_e32 v1, 30, v2
	v_xor_b32_e32 v3, vcc_lo, v3
	v_cmp_gt_i64_e32 vcc, 0, v[0:1]
	v_not_b32_e32 v1, v1
	v_ashrrev_i32_e32 v1, 31, v1
	v_and_b32_e32 v3, exec_lo, v3
	v_xor_b32_e32 v36, vcc_hi, v1
	v_xor_b32_e32 v1, vcc_lo, v1
	v_and_b32_e32 v3, v3, v1
	v_lshlrev_b32_e32 v1, 29, v2
	v_cmp_gt_i64_e32 vcc, 0, v[0:1]
	v_not_b32_e32 v1, v1
	v_ashrrev_i32_e32 v1, 31, v1
	v_and_b32_e32 v35, v35, v36
	v_xor_b32_e32 v36, vcc_hi, v1
	v_xor_b32_e32 v1, vcc_lo, v1
	v_and_b32_e32 v3, v3, v1
	v_lshlrev_b32_e32 v1, 28, v2
	v_cmp_gt_i64_e32 vcc, 0, v[0:1]
	v_not_b32_e32 v1, v1
	v_ashrrev_i32_e32 v1, 31, v1
	v_and_b32_e32 v35, v35, v36
	;; [unrolled: 8-line block ×5, first 2 shown]
	v_xor_b32_e32 v36, vcc_hi, v1
	v_xor_b32_e32 v1, vcc_lo, v1
	v_and_b32_e32 v3, v3, v1
	v_lshlrev_b32_e32 v1, 24, v2
	v_cmp_gt_i64_e32 vcc, 0, v[0:1]
	v_not_b32_e32 v0, v1
	v_ashrrev_i32_e32 v0, 31, v0
	v_xor_b32_e32 v1, vcc_hi, v0
	v_xor_b32_e32 v0, vcc_lo, v0
	; wave barrier
	ds_read_b32 v31, v33 offset:64
	v_and_b32_e32 v35, v35, v36
	v_and_b32_e32 v0, v3, v0
	;; [unrolled: 1-line block ×3, first 2 shown]
	v_mbcnt_lo_u32_b32 v2, v0, 0
	v_mbcnt_hi_u32_b32 v35, v1, v2
	v_cmp_eq_u32_e32 vcc, 0, v35
	v_cmp_ne_u64_e64 s[2:3], 0, v[0:1]
	s_and_b64 s[4:5], s[2:3], vcc
	; wave barrier
	s_and_saveexec_b64 s[2:3], s[4:5]
	s_cbranch_execz .LBB1963_113
; %bb.112:
	v_bcnt_u32_b32 v0, v0, 0
	v_bcnt_u32_b32 v0, v1, v0
	s_waitcnt lgkmcnt(0)
	v_add_u32_e32 v0, v31, v0
	ds_write_b32 v33, v0 offset:64
.LBB1963_113:
	s_or_b64 exec, exec, s[2:3]
	s_waitcnt vmcnt(5)
	v_xor_b32_e32 v34, 0xffff8000, v34
	v_lshrrev_b32_sdwa v0, s20, v34 dst_sel:DWORD dst_unused:UNUSED_PAD src0_sel:DWORD src1_sel:WORD_0
	v_and_b32_e32 v2, s21, v0
	v_and_b32_e32 v1, 1, v2
	v_add_co_u32_e32 v3, vcc, -1, v1
	v_addc_co_u32_e64 v39, s[2:3], 0, -1, vcc
	v_cmp_ne_u32_e32 vcc, 0, v1
	v_mul_u32_u24_e32 v0, 17, v2
	v_xor_b32_e32 v1, vcc_hi, v39
	v_add_lshl_u32 v38, v17, v0, 2
	v_mov_b32_e32 v0, 0
	v_and_b32_e32 v39, exec_hi, v1
	v_lshlrev_b32_e32 v1, 30, v2
	v_xor_b32_e32 v3, vcc_lo, v3
	v_cmp_gt_i64_e32 vcc, 0, v[0:1]
	v_not_b32_e32 v1, v1
	v_ashrrev_i32_e32 v1, 31, v1
	v_and_b32_e32 v3, exec_lo, v3
	v_xor_b32_e32 v40, vcc_hi, v1
	v_xor_b32_e32 v1, vcc_lo, v1
	v_and_b32_e32 v3, v3, v1
	v_lshlrev_b32_e32 v1, 29, v2
	v_cmp_gt_i64_e32 vcc, 0, v[0:1]
	v_not_b32_e32 v1, v1
	v_ashrrev_i32_e32 v1, 31, v1
	v_and_b32_e32 v39, v39, v40
	v_xor_b32_e32 v40, vcc_hi, v1
	v_xor_b32_e32 v1, vcc_lo, v1
	v_and_b32_e32 v3, v3, v1
	v_lshlrev_b32_e32 v1, 28, v2
	v_cmp_gt_i64_e32 vcc, 0, v[0:1]
	v_not_b32_e32 v1, v1
	v_ashrrev_i32_e32 v1, 31, v1
	v_and_b32_e32 v39, v39, v40
	;; [unrolled: 8-line block ×5, first 2 shown]
	v_xor_b32_e32 v40, vcc_hi, v1
	v_xor_b32_e32 v1, vcc_lo, v1
	v_and_b32_e32 v39, v39, v40
	v_and_b32_e32 v40, v3, v1
	v_lshlrev_b32_e32 v1, 24, v2
	v_cmp_gt_i64_e32 vcc, 0, v[0:1]
	v_not_b32_e32 v1, v1
	v_ashrrev_i32_e32 v1, 31, v1
	v_xor_b32_e32 v2, vcc_hi, v1
	v_xor_b32_e32 v1, vcc_lo, v1
	; wave barrier
	ds_read_b32 v36, v38 offset:64
	v_and_b32_e32 v3, v39, v2
	v_and_b32_e32 v2, v40, v1
	v_mbcnt_lo_u32_b32 v1, v2, 0
	v_mbcnt_hi_u32_b32 v39, v3, v1
	v_cmp_eq_u32_e32 vcc, 0, v39
	v_cmp_ne_u64_e64 s[2:3], 0, v[2:3]
	s_and_b64 s[4:5], s[2:3], vcc
	; wave barrier
	s_and_saveexec_b64 s[2:3], s[4:5]
	s_cbranch_execz .LBB1963_115
; %bb.114:
	v_bcnt_u32_b32 v1, v2, 0
	v_bcnt_u32_b32 v1, v3, v1
	s_waitcnt lgkmcnt(0)
	v_add_u32_e32 v1, v36, v1
	ds_write_b32 v38, v1 offset:64
.LBB1963_115:
	s_or_b64 exec, exec, s[2:3]
	s_waitcnt vmcnt(4)
	v_xor_b32_e32 v37, 0xffff8000, v37
	v_lshrrev_b32_sdwa v1, s20, v37 dst_sel:DWORD dst_unused:UNUSED_PAD src0_sel:DWORD src1_sel:WORD_0
	v_and_b32_e32 v2, s21, v1
	v_mul_u32_u24_e32 v1, 17, v2
	v_add_lshl_u32 v41, v17, v1, 2
	v_and_b32_e32 v1, 1, v2
	v_add_co_u32_e32 v3, vcc, -1, v1
	v_addc_co_u32_e64 v42, s[2:3], 0, -1, vcc
	v_cmp_ne_u32_e32 vcc, 0, v1
	v_xor_b32_e32 v1, vcc_hi, v42
	v_and_b32_e32 v42, exec_hi, v1
	v_lshlrev_b32_e32 v1, 30, v2
	v_xor_b32_e32 v3, vcc_lo, v3
	v_cmp_gt_i64_e32 vcc, 0, v[0:1]
	v_not_b32_e32 v1, v1
	v_ashrrev_i32_e32 v1, 31, v1
	v_and_b32_e32 v3, exec_lo, v3
	v_xor_b32_e32 v43, vcc_hi, v1
	v_xor_b32_e32 v1, vcc_lo, v1
	v_and_b32_e32 v3, v3, v1
	v_lshlrev_b32_e32 v1, 29, v2
	v_cmp_gt_i64_e32 vcc, 0, v[0:1]
	v_not_b32_e32 v1, v1
	v_ashrrev_i32_e32 v1, 31, v1
	v_and_b32_e32 v42, v42, v43
	v_xor_b32_e32 v43, vcc_hi, v1
	v_xor_b32_e32 v1, vcc_lo, v1
	v_and_b32_e32 v3, v3, v1
	v_lshlrev_b32_e32 v1, 28, v2
	v_cmp_gt_i64_e32 vcc, 0, v[0:1]
	v_not_b32_e32 v1, v1
	v_ashrrev_i32_e32 v1, 31, v1
	v_and_b32_e32 v42, v42, v43
	;; [unrolled: 8-line block ×5, first 2 shown]
	v_xor_b32_e32 v43, vcc_hi, v1
	v_xor_b32_e32 v1, vcc_lo, v1
	v_and_b32_e32 v3, v3, v1
	v_lshlrev_b32_e32 v1, 24, v2
	v_cmp_gt_i64_e32 vcc, 0, v[0:1]
	v_not_b32_e32 v0, v1
	v_ashrrev_i32_e32 v0, 31, v0
	v_xor_b32_e32 v1, vcc_hi, v0
	v_xor_b32_e32 v0, vcc_lo, v0
	; wave barrier
	ds_read_b32 v40, v41 offset:64
	v_and_b32_e32 v42, v42, v43
	v_and_b32_e32 v0, v3, v0
	;; [unrolled: 1-line block ×3, first 2 shown]
	v_mbcnt_lo_u32_b32 v2, v0, 0
	v_mbcnt_hi_u32_b32 v42, v1, v2
	v_cmp_eq_u32_e32 vcc, 0, v42
	v_cmp_ne_u64_e64 s[2:3], 0, v[0:1]
	s_and_b64 s[4:5], s[2:3], vcc
	; wave barrier
	s_and_saveexec_b64 s[2:3], s[4:5]
	s_cbranch_execz .LBB1963_117
; %bb.116:
	v_bcnt_u32_b32 v0, v0, 0
	v_bcnt_u32_b32 v0, v1, v0
	s_waitcnt lgkmcnt(0)
	v_add_u32_e32 v0, v40, v0
	ds_write_b32 v41, v0 offset:64
.LBB1963_117:
	s_or_b64 exec, exec, s[2:3]
	s_waitcnt vmcnt(3)
	v_xor_b32_e32 v32, 0xffff8000, v32
	v_lshrrev_b32_sdwa v0, s20, v32 dst_sel:DWORD dst_unused:UNUSED_PAD src0_sel:DWORD src1_sel:WORD_0
	v_and_b32_e32 v2, s21, v0
	v_and_b32_e32 v1, 1, v2
	v_add_co_u32_e32 v3, vcc, -1, v1
	v_addc_co_u32_e64 v45, s[2:3], 0, -1, vcc
	v_cmp_ne_u32_e32 vcc, 0, v1
	v_mul_u32_u24_e32 v0, 17, v2
	v_xor_b32_e32 v1, vcc_hi, v45
	v_add_lshl_u32 v44, v17, v0, 2
	v_mov_b32_e32 v0, 0
	v_and_b32_e32 v45, exec_hi, v1
	v_lshlrev_b32_e32 v1, 30, v2
	v_xor_b32_e32 v3, vcc_lo, v3
	v_cmp_gt_i64_e32 vcc, 0, v[0:1]
	v_not_b32_e32 v1, v1
	v_ashrrev_i32_e32 v1, 31, v1
	v_and_b32_e32 v3, exec_lo, v3
	v_xor_b32_e32 v46, vcc_hi, v1
	v_xor_b32_e32 v1, vcc_lo, v1
	v_and_b32_e32 v3, v3, v1
	v_lshlrev_b32_e32 v1, 29, v2
	v_cmp_gt_i64_e32 vcc, 0, v[0:1]
	v_not_b32_e32 v1, v1
	v_ashrrev_i32_e32 v1, 31, v1
	v_and_b32_e32 v45, v45, v46
	v_xor_b32_e32 v46, vcc_hi, v1
	v_xor_b32_e32 v1, vcc_lo, v1
	v_and_b32_e32 v3, v3, v1
	v_lshlrev_b32_e32 v1, 28, v2
	v_cmp_gt_i64_e32 vcc, 0, v[0:1]
	v_not_b32_e32 v1, v1
	v_ashrrev_i32_e32 v1, 31, v1
	v_and_b32_e32 v45, v45, v46
	;; [unrolled: 8-line block ×5, first 2 shown]
	v_xor_b32_e32 v46, vcc_hi, v1
	v_xor_b32_e32 v1, vcc_lo, v1
	v_and_b32_e32 v45, v45, v46
	v_and_b32_e32 v46, v3, v1
	v_lshlrev_b32_e32 v1, 24, v2
	v_cmp_gt_i64_e32 vcc, 0, v[0:1]
	v_not_b32_e32 v1, v1
	v_ashrrev_i32_e32 v1, 31, v1
	v_xor_b32_e32 v2, vcc_hi, v1
	v_xor_b32_e32 v1, vcc_lo, v1
	; wave barrier
	ds_read_b32 v43, v44 offset:64
	v_and_b32_e32 v3, v45, v2
	v_and_b32_e32 v2, v46, v1
	v_mbcnt_lo_u32_b32 v1, v2, 0
	v_mbcnt_hi_u32_b32 v45, v3, v1
	v_cmp_eq_u32_e32 vcc, 0, v45
	v_cmp_ne_u64_e64 s[2:3], 0, v[2:3]
	s_and_b64 s[4:5], s[2:3], vcc
	; wave barrier
	s_and_saveexec_b64 s[2:3], s[4:5]
	s_cbranch_execz .LBB1963_119
; %bb.118:
	v_bcnt_u32_b32 v1, v2, 0
	v_bcnt_u32_b32 v1, v3, v1
	s_waitcnt lgkmcnt(0)
	v_add_u32_e32 v1, v43, v1
	ds_write_b32 v44, v1 offset:64
.LBB1963_119:
	s_or_b64 exec, exec, s[2:3]
	s_waitcnt vmcnt(2)
	v_xor_b32_e32 v27, 0xffff8000, v27
	v_lshrrev_b32_sdwa v1, s20, v27 dst_sel:DWORD dst_unused:UNUSED_PAD src0_sel:DWORD src1_sel:WORD_0
	v_and_b32_e32 v2, s21, v1
	v_mul_u32_u24_e32 v1, 17, v2
	v_add_lshl_u32 v47, v17, v1, 2
	v_and_b32_e32 v1, 1, v2
	v_add_co_u32_e32 v3, vcc, -1, v1
	v_addc_co_u32_e64 v48, s[2:3], 0, -1, vcc
	v_cmp_ne_u32_e32 vcc, 0, v1
	v_xor_b32_e32 v1, vcc_hi, v48
	v_and_b32_e32 v48, exec_hi, v1
	v_lshlrev_b32_e32 v1, 30, v2
	v_xor_b32_e32 v3, vcc_lo, v3
	v_cmp_gt_i64_e32 vcc, 0, v[0:1]
	v_not_b32_e32 v1, v1
	v_ashrrev_i32_e32 v1, 31, v1
	v_and_b32_e32 v3, exec_lo, v3
	v_xor_b32_e32 v49, vcc_hi, v1
	v_xor_b32_e32 v1, vcc_lo, v1
	v_and_b32_e32 v3, v3, v1
	v_lshlrev_b32_e32 v1, 29, v2
	v_cmp_gt_i64_e32 vcc, 0, v[0:1]
	v_not_b32_e32 v1, v1
	v_ashrrev_i32_e32 v1, 31, v1
	v_and_b32_e32 v48, v48, v49
	v_xor_b32_e32 v49, vcc_hi, v1
	v_xor_b32_e32 v1, vcc_lo, v1
	v_and_b32_e32 v3, v3, v1
	v_lshlrev_b32_e32 v1, 28, v2
	v_cmp_gt_i64_e32 vcc, 0, v[0:1]
	v_not_b32_e32 v1, v1
	v_ashrrev_i32_e32 v1, 31, v1
	v_and_b32_e32 v48, v48, v49
	;; [unrolled: 8-line block ×5, first 2 shown]
	v_xor_b32_e32 v49, vcc_hi, v1
	v_xor_b32_e32 v1, vcc_lo, v1
	v_and_b32_e32 v3, v3, v1
	v_lshlrev_b32_e32 v1, 24, v2
	v_cmp_gt_i64_e32 vcc, 0, v[0:1]
	v_not_b32_e32 v0, v1
	v_ashrrev_i32_e32 v0, 31, v0
	v_xor_b32_e32 v1, vcc_hi, v0
	v_xor_b32_e32 v0, vcc_lo, v0
	; wave barrier
	ds_read_b32 v46, v47 offset:64
	v_and_b32_e32 v48, v48, v49
	v_and_b32_e32 v0, v3, v0
	;; [unrolled: 1-line block ×3, first 2 shown]
	v_mbcnt_lo_u32_b32 v2, v0, 0
	v_mbcnt_hi_u32_b32 v48, v1, v2
	v_cmp_eq_u32_e32 vcc, 0, v48
	v_cmp_ne_u64_e64 s[2:3], 0, v[0:1]
	s_and_b64 s[4:5], s[2:3], vcc
	; wave barrier
	s_and_saveexec_b64 s[2:3], s[4:5]
	s_cbranch_execz .LBB1963_121
; %bb.120:
	v_bcnt_u32_b32 v0, v0, 0
	v_bcnt_u32_b32 v0, v1, v0
	s_waitcnt lgkmcnt(0)
	v_add_u32_e32 v0, v46, v0
	ds_write_b32 v47, v0 offset:64
.LBB1963_121:
	s_or_b64 exec, exec, s[2:3]
	s_waitcnt vmcnt(1)
	v_xor_b32_e32 v22, 0xffff8000, v22
	v_lshrrev_b32_sdwa v0, s20, v22 dst_sel:DWORD dst_unused:UNUSED_PAD src0_sel:DWORD src1_sel:WORD_0
	v_and_b32_e32 v2, s21, v0
	v_and_b32_e32 v1, 1, v2
	v_add_co_u32_e32 v3, vcc, -1, v1
	v_addc_co_u32_e64 v51, s[2:3], 0, -1, vcc
	v_cmp_ne_u32_e32 vcc, 0, v1
	v_mul_u32_u24_e32 v0, 17, v2
	v_xor_b32_e32 v1, vcc_hi, v51
	v_add_lshl_u32 v50, v17, v0, 2
	v_mov_b32_e32 v0, 0
	v_and_b32_e32 v51, exec_hi, v1
	v_lshlrev_b32_e32 v1, 30, v2
	v_xor_b32_e32 v3, vcc_lo, v3
	v_cmp_gt_i64_e32 vcc, 0, v[0:1]
	v_not_b32_e32 v1, v1
	v_ashrrev_i32_e32 v1, 31, v1
	v_and_b32_e32 v3, exec_lo, v3
	v_xor_b32_e32 v52, vcc_hi, v1
	v_xor_b32_e32 v1, vcc_lo, v1
	v_and_b32_e32 v3, v3, v1
	v_lshlrev_b32_e32 v1, 29, v2
	v_cmp_gt_i64_e32 vcc, 0, v[0:1]
	v_not_b32_e32 v1, v1
	v_ashrrev_i32_e32 v1, 31, v1
	v_and_b32_e32 v51, v51, v52
	v_xor_b32_e32 v52, vcc_hi, v1
	v_xor_b32_e32 v1, vcc_lo, v1
	v_and_b32_e32 v3, v3, v1
	v_lshlrev_b32_e32 v1, 28, v2
	v_cmp_gt_i64_e32 vcc, 0, v[0:1]
	v_not_b32_e32 v1, v1
	v_ashrrev_i32_e32 v1, 31, v1
	v_and_b32_e32 v51, v51, v52
	;; [unrolled: 8-line block ×5, first 2 shown]
	v_xor_b32_e32 v52, vcc_hi, v1
	v_xor_b32_e32 v1, vcc_lo, v1
	v_and_b32_e32 v51, v51, v52
	v_and_b32_e32 v52, v3, v1
	v_lshlrev_b32_e32 v1, 24, v2
	v_cmp_gt_i64_e32 vcc, 0, v[0:1]
	v_not_b32_e32 v1, v1
	v_ashrrev_i32_e32 v1, 31, v1
	v_xor_b32_e32 v2, vcc_hi, v1
	v_xor_b32_e32 v1, vcc_lo, v1
	; wave barrier
	ds_read_b32 v49, v50 offset:64
	v_and_b32_e32 v3, v51, v2
	v_and_b32_e32 v2, v52, v1
	v_mbcnt_lo_u32_b32 v1, v2, 0
	v_mbcnt_hi_u32_b32 v51, v3, v1
	v_cmp_eq_u32_e32 vcc, 0, v51
	v_cmp_ne_u64_e64 s[2:3], 0, v[2:3]
	s_and_b64 s[4:5], s[2:3], vcc
	; wave barrier
	s_and_saveexec_b64 s[2:3], s[4:5]
	s_cbranch_execz .LBB1963_123
; %bb.122:
	v_bcnt_u32_b32 v1, v2, 0
	v_bcnt_u32_b32 v1, v3, v1
	s_waitcnt lgkmcnt(0)
	v_add_u32_e32 v1, v49, v1
	ds_write_b32 v50, v1 offset:64
.LBB1963_123:
	s_or_b64 exec, exec, s[2:3]
	s_waitcnt vmcnt(0)
	v_xor_b32_e32 v16, 0xffff8000, v16
	v_lshrrev_b32_sdwa v1, s20, v16 dst_sel:DWORD dst_unused:UNUSED_PAD src0_sel:DWORD src1_sel:WORD_0
	v_and_b32_e32 v2, s21, v1
	v_mul_u32_u24_e32 v1, 17, v2
	v_add_lshl_u32 v53, v17, v1, 2
	v_and_b32_e32 v1, 1, v2
	v_add_co_u32_e32 v3, vcc, -1, v1
	v_addc_co_u32_e64 v17, s[2:3], 0, -1, vcc
	v_cmp_ne_u32_e32 vcc, 0, v1
	v_xor_b32_e32 v1, vcc_hi, v17
	v_and_b32_e32 v17, exec_hi, v1
	v_lshlrev_b32_e32 v1, 30, v2
	v_xor_b32_e32 v3, vcc_lo, v3
	v_cmp_gt_i64_e32 vcc, 0, v[0:1]
	v_not_b32_e32 v1, v1
	v_ashrrev_i32_e32 v1, 31, v1
	v_and_b32_e32 v3, exec_lo, v3
	v_xor_b32_e32 v55, vcc_hi, v1
	v_xor_b32_e32 v1, vcc_lo, v1
	v_and_b32_e32 v3, v3, v1
	v_lshlrev_b32_e32 v1, 29, v2
	v_cmp_gt_i64_e32 vcc, 0, v[0:1]
	v_not_b32_e32 v1, v1
	v_ashrrev_i32_e32 v1, 31, v1
	v_and_b32_e32 v17, v17, v55
	v_xor_b32_e32 v55, vcc_hi, v1
	v_xor_b32_e32 v1, vcc_lo, v1
	v_and_b32_e32 v3, v3, v1
	v_lshlrev_b32_e32 v1, 28, v2
	v_cmp_gt_i64_e32 vcc, 0, v[0:1]
	v_not_b32_e32 v1, v1
	v_ashrrev_i32_e32 v1, 31, v1
	v_and_b32_e32 v17, v17, v55
	v_xor_b32_e32 v55, vcc_hi, v1
	v_xor_b32_e32 v1, vcc_lo, v1
	v_and_b32_e32 v3, v3, v1
	v_lshlrev_b32_e32 v1, 27, v2
	v_cmp_gt_i64_e32 vcc, 0, v[0:1]
	v_not_b32_e32 v1, v1
	v_ashrrev_i32_e32 v1, 31, v1
	v_and_b32_e32 v17, v17, v55
	v_xor_b32_e32 v55, vcc_hi, v1
	v_xor_b32_e32 v1, vcc_lo, v1
	v_and_b32_e32 v3, v3, v1
	v_lshlrev_b32_e32 v1, 26, v2
	v_cmp_gt_i64_e32 vcc, 0, v[0:1]
	v_not_b32_e32 v1, v1
	v_ashrrev_i32_e32 v1, 31, v1
	v_and_b32_e32 v17, v17, v55
	v_xor_b32_e32 v55, vcc_hi, v1
	v_xor_b32_e32 v1, vcc_lo, v1
	v_and_b32_e32 v3, v3, v1
	v_lshlrev_b32_e32 v1, 25, v2
	v_cmp_gt_i64_e32 vcc, 0, v[0:1]
	v_not_b32_e32 v1, v1
	v_ashrrev_i32_e32 v1, 31, v1
	v_and_b32_e32 v17, v17, v55
	v_xor_b32_e32 v55, vcc_hi, v1
	v_xor_b32_e32 v1, vcc_lo, v1
	v_and_b32_e32 v3, v3, v1
	v_lshlrev_b32_e32 v1, 24, v2
	v_cmp_gt_i64_e32 vcc, 0, v[0:1]
	v_not_b32_e32 v0, v1
	v_ashrrev_i32_e32 v0, 31, v0
	v_xor_b32_e32 v1, vcc_hi, v0
	v_xor_b32_e32 v0, vcc_lo, v0
	; wave barrier
	ds_read_b32 v52, v53 offset:64
	v_and_b32_e32 v17, v17, v55
	v_and_b32_e32 v0, v3, v0
	;; [unrolled: 1-line block ×3, first 2 shown]
	v_mbcnt_lo_u32_b32 v2, v0, 0
	v_mbcnt_hi_u32_b32 v55, v1, v2
	v_cmp_eq_u32_e32 vcc, 0, v55
	v_cmp_ne_u64_e64 s[2:3], 0, v[0:1]
	v_add_u32_e32 v54, 64, v6
	s_and_b64 s[4:5], s[2:3], vcc
	; wave barrier
	s_and_saveexec_b64 s[2:3], s[4:5]
	s_cbranch_execz .LBB1963_125
; %bb.124:
	v_bcnt_u32_b32 v0, v0, 0
	v_bcnt_u32_b32 v0, v1, v0
	s_waitcnt lgkmcnt(0)
	v_add_u32_e32 v0, v52, v0
	ds_write_b32 v53, v0 offset:64
.LBB1963_125:
	s_or_b64 exec, exec, s[2:3]
	; wave barrier
	s_waitcnt lgkmcnt(0)
	s_barrier
	ds_read2_b32 v[2:3], v6 offset0:16 offset1:17
	ds_read2_b32 v[0:1], v54 offset0:2 offset1:3
	ds_read_b32 v17, v54 offset:16
	v_cmp_lt_u32_e64 s[8:9], 31, v5
	s_waitcnt lgkmcnt(1)
	v_add3_u32 v56, v3, v2, v0
	s_waitcnt lgkmcnt(0)
	v_add3_u32 v17, v56, v1, v17
	v_and_b32_e32 v56, 15, v5
	v_cmp_eq_u32_e32 vcc, 0, v56
	v_mov_b32_dpp v57, v17 row_shr:1 row_mask:0xf bank_mask:0xf
	v_cndmask_b32_e64 v57, v57, 0, vcc
	v_add_u32_e32 v17, v57, v17
	v_cmp_lt_u32_e64 s[2:3], 1, v56
	v_cmp_lt_u32_e64 s[4:5], 3, v56
	v_mov_b32_dpp v57, v17 row_shr:2 row_mask:0xf bank_mask:0xf
	v_cndmask_b32_e64 v57, 0, v57, s[2:3]
	v_add_u32_e32 v17, v17, v57
	v_cmp_lt_u32_e64 s[6:7], 7, v56
	s_nop 0
	v_mov_b32_dpp v57, v17 row_shr:4 row_mask:0xf bank_mask:0xf
	v_cndmask_b32_e64 v57, 0, v57, s[4:5]
	v_add_u32_e32 v17, v17, v57
	s_nop 1
	v_mov_b32_dpp v57, v17 row_shr:8 row_mask:0xf bank_mask:0xf
	v_cndmask_b32_e64 v56, 0, v57, s[6:7]
	v_add_u32_e32 v17, v17, v56
	v_bfe_i32 v57, v5, 4, 1
	s_nop 0
	v_mov_b32_dpp v56, v17 row_bcast:15 row_mask:0xf bank_mask:0xf
	v_and_b32_e32 v56, v57, v56
	v_add_u32_e32 v17, v17, v56
	v_lshrrev_b32_e32 v57, 6, v10
	s_nop 0
	v_mov_b32_dpp v56, v17 row_bcast:31 row_mask:0xf bank_mask:0xf
	v_cndmask_b32_e64 v56, 0, v56, s[8:9]
	v_add_u32_e32 v56, v17, v56
	v_and_b32_e32 v17, 63, v10
	v_cmp_eq_u32_e64 s[8:9], 63, v17
	s_and_saveexec_b64 s[12:13], s[8:9]
	s_cbranch_execz .LBB1963_127
; %bb.126:
	v_lshlrev_b32_e32 v17, 2, v57
	ds_write_b32 v17, v56
.LBB1963_127:
	s_or_b64 exec, exec, s[12:13]
	v_cmp_gt_u32_e64 s[8:9], 16, v10
	v_lshlrev_b32_e32 v17, 2, v10
	s_waitcnt lgkmcnt(0)
	s_barrier
	s_and_saveexec_b64 s[12:13], s[8:9]
	s_cbranch_execz .LBB1963_129
; %bb.128:
	ds_read_b32 v58, v17
	s_waitcnt lgkmcnt(0)
	s_nop 0
	v_mov_b32_dpp v59, v58 row_shr:1 row_mask:0xf bank_mask:0xf
	v_cndmask_b32_e64 v59, v59, 0, vcc
	v_add_u32_e32 v58, v59, v58
	s_nop 1
	v_mov_b32_dpp v59, v58 row_shr:2 row_mask:0xf bank_mask:0xf
	v_cndmask_b32_e64 v59, 0, v59, s[2:3]
	v_add_u32_e32 v58, v58, v59
	s_nop 1
	v_mov_b32_dpp v59, v58 row_shr:4 row_mask:0xf bank_mask:0xf
	v_cndmask_b32_e64 v59, 0, v59, s[4:5]
	;; [unrolled: 4-line block ×3, first 2 shown]
	v_add_u32_e32 v58, v58, v59
	ds_write_b32 v17, v58
.LBB1963_129:
	s_or_b64 exec, exec, s[12:13]
	v_cmp_lt_u32_e32 vcc, 63, v10
	v_mov_b32_e32 v58, 0
	s_waitcnt lgkmcnt(0)
	s_barrier
	s_and_saveexec_b64 s[2:3], vcc
	s_cbranch_execz .LBB1963_131
; %bb.130:
	v_lshl_add_u32 v57, v57, 2, -4
	ds_read_b32 v58, v57
.LBB1963_131:
	s_or_b64 exec, exec, s[2:3]
	v_add_u32_e32 v57, -1, v5
	v_and_b32_e32 v59, 64, v5
	v_cmp_lt_i32_e32 vcc, v57, v59
	v_cndmask_b32_e32 v57, v57, v5, vcc
	s_waitcnt lgkmcnt(0)
	v_add_u32_e32 v56, v58, v56
	v_lshlrev_b32_e32 v57, 2, v57
	ds_bpermute_b32 v56, v57, v56
	v_cmp_eq_u32_e32 vcc, 0, v5
	s_movk_i32 s2, 0xff
	s_movk_i32 s3, 0x100
	s_waitcnt lgkmcnt(0)
	v_cndmask_b32_e32 v5, v56, v58, vcc
	v_cndmask_b32_e64 v5, v5, 0, s[0:1]
	v_add_u32_e32 v2, v5, v2
	v_add_u32_e32 v3, v2, v3
	;; [unrolled: 1-line block ×4, first 2 shown]
	ds_write2_b32 v6, v5, v2 offset0:16 offset1:17
	ds_write2_b32 v54, v3, v0 offset0:2 offset1:3
	ds_write_b32 v54, v1 offset:16
	s_waitcnt lgkmcnt(0)
	s_barrier
	ds_read_b32 v58, v7 offset:64
	ds_read_b32 v57, v12 offset:64
	;; [unrolled: 1-line block ×12, first 2 shown]
	v_cmp_lt_u32_e64 s[0:1], s2, v10
	v_cmp_gt_u32_e32 vcc, s3, v10
                                        ; implicit-def: $vgpr6
                                        ; implicit-def: $vgpr7
	s_and_saveexec_b64 s[4:5], vcc
	s_cbranch_execz .LBB1963_135
; %bb.132:
	v_mul_u32_u24_e32 v6, 17, v10
	v_lshlrev_b32_e32 v28, 2, v6
	ds_read_b32 v6, v28 offset:64
	v_cmp_ne_u32_e64 s[2:3], s2, v10
	v_mov_b32_e32 v7, 0x3000
	s_and_saveexec_b64 s[6:7], s[2:3]
	s_cbranch_execz .LBB1963_134
; %bb.133:
	ds_read_b32 v7, v28 offset:132
.LBB1963_134:
	s_or_b64 exec, exec, s[6:7]
	s_waitcnt lgkmcnt(0)
	v_sub_u32_e32 v7, v7, v6
.LBB1963_135:
	s_or_b64 exec, exec, s[4:5]
	v_add_u32_e32 v11, v13, v11
	s_waitcnt lgkmcnt(11)
	v_add_lshl_u32 v8, v58, v8, 1
	v_add_u32_e32 v15, v19, v15
	s_waitcnt lgkmcnt(0)
	s_barrier
	ds_write_b16 v8, v4 offset:1024
	v_add_lshl_u32 v4, v11, v57, 1
	v_add_u32_e32 v21, v24, v21
	ds_write_b16 v4, v9 offset:1024
	v_add_lshl_u32 v4, v15, v56, 1
	v_add_u32_e32 v26, v30, v26
	;; [unrolled: 3-line block ×5, first 2 shown]
	v_add_u32_e32 v33, v51, v49
	v_add_u32_e32 v38, v48, v46
	;; [unrolled: 1-line block ×4, first 2 shown]
	ds_write_b16 v4, v29 offset:1024
	v_add_lshl_u32 v4, v36, v12, 1
	ds_write_b16 v4, v34 offset:1024
	v_add_lshl_u32 v4, v40, v5, 1
	v_add_lshl_u32 v3, v41, v3, 1
	;; [unrolled: 1-line block ×5, first 2 shown]
	ds_write_b16 v4, v37 offset:1024
	ds_write_b16 v3, v32 offset:1024
	;; [unrolled: 1-line block ×5, first 2 shown]
	s_and_saveexec_b64 s[2:3], s[0:1]
	s_xor_b64 s[0:1], exec, s[2:3]
; %bb.136:
	v_mov_b32_e32 v11, 0
                                        ; implicit-def: $vgpr17
; %bb.137:
	s_andn2_saveexec_b64 s[2:3], s[0:1]
	s_cbranch_execz .LBB1963_147
; %bb.138:
	v_lshl_or_b32 v0, s30, 8, v10
	v_mov_b32_e32 v1, 0
	v_lshlrev_b64 v[2:3], 2, v[0:1]
	v_mov_b32_e32 v8, s15
	v_add_co_u32_e64 v2, s[0:1], s14, v2
	v_addc_co_u32_e64 v3, s[0:1], v8, v3, s[0:1]
	v_or_b32_e32 v0, 2.0, v7
	s_mov_b64 s[4:5], 0
	s_brev_b32 s12, 1
	s_mov_b32 s13, s30
	v_mov_b32_e32 v9, 0
	global_store_dword v[2:3], v0, off
                                        ; implicit-def: $sgpr0_sgpr1
	s_branch .LBB1963_141
.LBB1963_139:                           ;   in Loop: Header=BB1963_141 Depth=1
	s_or_b64 exec, exec, s[8:9]
.LBB1963_140:                           ;   in Loop: Header=BB1963_141 Depth=1
	s_or_b64 exec, exec, s[6:7]
	v_and_b32_e32 v4, 0x3fffffff, v11
	v_add_u32_e32 v9, v4, v9
	v_cmp_eq_u32_e64 s[0:1], s12, v0
	s_and_b64 s[6:7], exec, s[0:1]
	s_or_b64 s[4:5], s[6:7], s[4:5]
	s_andn2_b64 exec, exec, s[4:5]
	s_cbranch_execz .LBB1963_146
.LBB1963_141:                           ; =>This Loop Header: Depth=1
                                        ;     Child Loop BB1963_144 Depth 2
	s_or_b64 s[0:1], s[0:1], exec
	s_cmp_eq_u32 s13, 0
	s_cbranch_scc1 .LBB1963_145
; %bb.142:                              ;   in Loop: Header=BB1963_141 Depth=1
	s_add_i32 s13, s13, -1
	v_lshl_or_b32 v0, s13, 8, v10
	v_lshlrev_b64 v[4:5], 2, v[0:1]
	v_add_co_u32_e64 v4, s[0:1], s14, v4
	v_addc_co_u32_e64 v5, s[0:1], v8, v5, s[0:1]
	global_load_dword v11, v[4:5], off glc
	s_waitcnt vmcnt(0)
	v_and_b32_e32 v0, -2.0, v11
	v_cmp_eq_u32_e64 s[0:1], 0, v0
	s_and_saveexec_b64 s[6:7], s[0:1]
	s_cbranch_execz .LBB1963_140
; %bb.143:                              ;   in Loop: Header=BB1963_141 Depth=1
	s_mov_b64 s[8:9], 0
.LBB1963_144:                           ;   Parent Loop BB1963_141 Depth=1
                                        ; =>  This Inner Loop Header: Depth=2
	global_load_dword v11, v[4:5], off glc
	s_waitcnt vmcnt(0)
	v_and_b32_e32 v0, -2.0, v11
	v_cmp_ne_u32_e64 s[0:1], 0, v0
	s_or_b64 s[8:9], s[0:1], s[8:9]
	s_andn2_b64 exec, exec, s[8:9]
	s_cbranch_execnz .LBB1963_144
	s_branch .LBB1963_139
.LBB1963_145:                           ;   in Loop: Header=BB1963_141 Depth=1
                                        ; implicit-def: $sgpr13
	s_and_b64 s[6:7], exec, s[0:1]
	s_or_b64 s[4:5], s[6:7], s[4:5]
	s_andn2_b64 exec, exec, s[4:5]
	s_cbranch_execnz .LBB1963_141
.LBB1963_146:
	s_or_b64 exec, exec, s[4:5]
	v_add_u32_e32 v0, v9, v7
	v_or_b32_e32 v0, 0x80000000, v0
	global_store_dword v[2:3], v0, off
	global_load_dword v0, v17, s[16:17]
	v_sub_u32_e32 v1, v9, v6
	v_mov_b32_e32 v11, 0
	s_waitcnt vmcnt(0)
	v_add_u32_e32 v0, v1, v0
	ds_write_b32 v17, v0
.LBB1963_147:
	s_or_b64 exec, exec, s[2:3]
	v_lshlrev_b32_e32 v0, 1, v10
	s_waitcnt lgkmcnt(0)
	s_barrier
	v_lshlrev_b32_e32 v1, 1, v10
	ds_read_u16 v0, v0 offset:1024
	ds_read_u16 v4, v1 offset:3072
	;; [unrolled: 1-line block ×7, first 2 shown]
	s_waitcnt lgkmcnt(6)
	v_lshrrev_b32_sdwa v2, s20, v0 dst_sel:DWORD dst_unused:UNUSED_PAD src0_sel:DWORD src1_sel:WORD_0
	v_and_b32_e32 v2, s21, v2
	s_waitcnt lgkmcnt(4)
	v_lshrrev_b32_sdwa v3, s20, v5 dst_sel:DWORD dst_unused:UNUSED_PAD src0_sel:DWORD src1_sel:WORD_0
	v_xor_b32_e32 v14, 0xffff8000, v0
	v_lshlrev_b32_e32 v0, 2, v2
	v_lshrrev_b32_sdwa v2, s20, v4 dst_sel:DWORD dst_unused:UNUSED_PAD src0_sel:DWORD src1_sel:WORD_0
	v_and_b32_e32 v3, s21, v3
	v_and_b32_e32 v2, s21, v2
	v_lshlrev_b32_e32 v3, 2, v3
	v_lshlrev_b32_e32 v2, 2, v2
	ds_read_b32 v15, v3
	ds_read_b32 v0, v0
	ds_read_u16 v16, v1 offset:5120
	ds_read_u16 v17, v1 offset:9216
	;; [unrolled: 1-line block ×4, first 2 shown]
	ds_read_b32 v20, v2
	ds_read_u16 v21, v1 offset:21504
	s_waitcnt lgkmcnt(6)
	v_add_u32_e32 v0, v0, v10
	v_mov_b32_e32 v1, 0
	v_lshlrev_b64 v[2:3], 1, v[0:1]
	v_mov_b32_e32 v0, s27
	v_add_co_u32_e64 v2, s[0:1], s26, v2
	v_addc_co_u32_e64 v3, s[0:1], v0, v3, s[0:1]
	s_movk_i32 s0, 0x400
	s_waitcnt lgkmcnt(1)
	v_add3_u32 v0, v20, v10, s0
	global_store_short v[2:3], v14, off
	v_lshlrev_b64 v[2:3], 1, v[0:1]
	v_mov_b32_e32 v0, s27
	v_add_co_u32_e64 v2, s[0:1], s26, v2
	v_xor_b32_e32 v4, 0xffff8000, v4
	v_addc_co_u32_e64 v3, s[0:1], v0, v3, s[0:1]
	global_store_short v[2:3], v4, off
	v_lshrrev_b32_sdwa v0, s20, v16 dst_sel:DWORD dst_unused:UNUSED_PAD src0_sel:DWORD src1_sel:WORD_0
	v_xor_b32_e32 v4, 0xffff8000, v16
	v_lshrrev_b32_sdwa v14, s20, v18 dst_sel:DWORD dst_unused:UNUSED_PAD src0_sel:DWORD src1_sel:WORD_0
	v_lshrrev_b32_sdwa v16, s20, v9 dst_sel:DWORD dst_unused:UNUSED_PAD src0_sel:DWORD src1_sel:WORD_0
	;; [unrolled: 1-line block ×4, first 2 shown]
	s_waitcnt lgkmcnt(0)
	v_lshrrev_b32_sdwa v23, s20, v21 dst_sel:DWORD dst_unused:UNUSED_PAD src0_sel:DWORD src1_sel:WORD_0
	v_and_b32_e32 v0, s21, v0
	v_lshrrev_b32_sdwa v2, s20, v17 dst_sel:DWORD dst_unused:UNUSED_PAD src0_sel:DWORD src1_sel:WORD_0
	v_lshrrev_b32_sdwa v3, s20, v8 dst_sel:DWORD dst_unused:UNUSED_PAD src0_sel:DWORD src1_sel:WORD_0
	v_and_b32_e32 v14, s21, v14
	v_and_b32_e32 v16, s21, v16
	;; [unrolled: 1-line block ×5, first 2 shown]
	v_lshlrev_b32_e32 v0, 2, v0
	v_and_b32_e32 v2, s21, v2
	v_and_b32_e32 v3, s21, v3
	v_lshlrev_b32_e32 v14, 2, v14
	v_lshlrev_b32_e32 v16, 2, v16
	;; [unrolled: 1-line block ×5, first 2 shown]
	s_movk_i32 s0, 0x800
	v_lshlrev_b32_e32 v2, 2, v2
	v_lshlrev_b32_e32 v3, 2, v3
	ds_read_b32 v0, v0
	ds_read_b32 v24, v2
	;; [unrolled: 1-line block ×8, first 2 shown]
	s_waitcnt lgkmcnt(7)
	v_add3_u32 v0, v0, v10, s0
	v_lshlrev_b64 v[2:3], 1, v[0:1]
	v_mov_b32_e32 v0, s27
	v_add_co_u32_e64 v2, s[0:1], s26, v2
	v_addc_co_u32_e64 v3, s[0:1], v0, v3, s[0:1]
	s_movk_i32 s0, 0xc00
	v_add3_u32 v0, v15, v10, s0
	global_store_short v[2:3], v4, off
	v_lshlrev_b64 v[2:3], 1, v[0:1]
	v_mov_b32_e32 v0, s27
	v_add_co_u32_e64 v2, s[0:1], s26, v2
	v_addc_co_u32_e64 v3, s[0:1], v0, v3, s[0:1]
	s_movk_i32 s0, 0x1000
	v_xor_b32_e32 v4, 0xffff8000, v5
	s_waitcnt lgkmcnt(6)
	v_add3_u32 v0, v24, v10, s0
	global_store_short v[2:3], v4, off
	v_lshlrev_b64 v[2:3], 1, v[0:1]
	v_mov_b32_e32 v0, s27
	v_add_co_u32_e64 v2, s[0:1], s26, v2
	v_addc_co_u32_e64 v3, s[0:1], v0, v3, s[0:1]
	s_movk_i32 s0, 0x1400
	v_xor_b32_e32 v4, 0xffff8000, v17
	s_waitcnt lgkmcnt(5)
	;; [unrolled: 9-line block ×6, first 2 shown]
	v_add3_u32 v0, v22, v10, s0
	global_store_short v[2:3], v4, off
	v_lshlrev_b64 v[2:3], 1, v[0:1]
	v_mov_b32_e32 v0, s27
	v_add_co_u32_e64 v2, s[0:1], s26, v2
	v_lshrrev_b32_sdwa v5, s20, v13 dst_sel:DWORD dst_unused:UNUSED_PAD src0_sel:DWORD src1_sel:WORD_0
	v_addc_co_u32_e64 v3, s[0:1], v0, v3, s[0:1]
	v_and_b32_e32 v5, s21, v5
	s_movk_i32 s0, 0x2800
	v_lshlrev_b32_e32 v5, 2, v5
	v_xor_b32_e32 v4, 0xffff8000, v12
	s_waitcnt lgkmcnt(0)
	v_add3_u32 v0, v23, v10, s0
	ds_read_b32 v5, v5
	global_store_short v[2:3], v4, off
	v_lshlrev_b64 v[2:3], 1, v[0:1]
	v_mov_b32_e32 v0, s27
	v_add_co_u32_e64 v2, s[0:1], s26, v2
	v_addc_co_u32_e64 v3, s[0:1], v0, v3, s[0:1]
	s_movk_i32 s0, 0x2c00
	s_waitcnt lgkmcnt(0)
	v_add3_u32 v0, v5, v10, s0
	v_xor_b32_e32 v4, 0xffff8000, v21
	v_lshlrev_b64 v[0:1], 1, v[0:1]
	global_store_short v[2:3], v4, off
	v_mov_b32_e32 v3, s27
	v_add_co_u32_e64 v0, s[0:1], s26, v0
	s_add_i32 s22, s22, -1
	v_addc_co_u32_e64 v1, s[0:1], v3, v1, s[0:1]
	s_cmp_eq_u32 s22, s30
	s_cselect_b64 s[0:1], -1, 0
	v_xor_b32_e32 v2, 0xffff8000, v13
	s_and_b64 s[2:3], vcc, s[0:1]
	global_store_short v[0:1], v2, off
                                        ; implicit-def: $vgpr2
	s_and_saveexec_b64 s[0:1], s[2:3]
; %bb.148:
	v_add_u32_e32 v2, v6, v7
	s_or_b64 s[10:11], s[10:11], exec
; %bb.149:
	s_or_b64 exec, exec, s[0:1]
.LBB1963_150:
	s_and_saveexec_b64 s[0:1], s[10:11]
	s_cbranch_execnz .LBB1963_152
; %bb.151:
	s_endpgm
.LBB1963_152:
	v_lshlrev_b32_e32 v3, 2, v10
	ds_read_b32 v3, v3
	v_lshlrev_b64 v[0:1], 2, v[10:11]
	v_mov_b32_e32 v4, s19
	v_add_co_u32_e32 v0, vcc, s18, v0
	v_addc_co_u32_e32 v1, vcc, v4, v1, vcc
	s_waitcnt lgkmcnt(0)
	v_add_u32_e32 v2, v3, v2
	global_store_dword v[0:1], v2, off
	s_endpgm
	.section	.rodata,"a",@progbits
	.p2align	6, 0x0
	.amdhsa_kernel _ZN7rocprim17ROCPRIM_400000_NS6detail17trampoline_kernelINS0_14default_configENS1_35radix_sort_onesweep_config_selectorIsNS0_10empty_typeEEEZZNS1_29radix_sort_onesweep_iterationIS3_Lb0EN6thrust23THRUST_200600_302600_NS6detail15normal_iteratorINS9_10device_ptrIsEEEESE_PS5_SF_jNS0_19identity_decomposerENS1_16block_id_wrapperIjLb1EEEEE10hipError_tT1_PNSt15iterator_traitsISK_E10value_typeET2_T3_PNSL_ISQ_E10value_typeET4_T5_PSV_SW_PNS1_23onesweep_lookback_stateEbbT6_jjT7_P12ihipStream_tbENKUlT_T0_SK_SP_E_clISE_PsSF_SF_EEDaS13_S14_SK_SP_EUlS13_E_NS1_11comp_targetILNS1_3genE4ELNS1_11target_archE910ELNS1_3gpuE8ELNS1_3repE0EEENS1_47radix_sort_onesweep_sort_config_static_selectorELNS0_4arch9wavefront6targetE1EEEvSK_
		.amdhsa_group_segment_fixed_size 25608
		.amdhsa_private_segment_fixed_size 0
		.amdhsa_kernarg_size 344
		.amdhsa_user_sgpr_count 6
		.amdhsa_user_sgpr_private_segment_buffer 1
		.amdhsa_user_sgpr_dispatch_ptr 0
		.amdhsa_user_sgpr_queue_ptr 0
		.amdhsa_user_sgpr_kernarg_segment_ptr 1
		.amdhsa_user_sgpr_dispatch_id 0
		.amdhsa_user_sgpr_flat_scratch_init 0
		.amdhsa_user_sgpr_kernarg_preload_length 0
		.amdhsa_user_sgpr_kernarg_preload_offset 0
		.amdhsa_user_sgpr_private_segment_size 0
		.amdhsa_uses_dynamic_stack 0
		.amdhsa_system_sgpr_private_segment_wavefront_offset 0
		.amdhsa_system_sgpr_workgroup_id_x 1
		.amdhsa_system_sgpr_workgroup_id_y 0
		.amdhsa_system_sgpr_workgroup_id_z 0
		.amdhsa_system_sgpr_workgroup_info 0
		.amdhsa_system_vgpr_workitem_id 2
		.amdhsa_next_free_vgpr 62
		.amdhsa_next_free_sgpr 35
		.amdhsa_accum_offset 64
		.amdhsa_reserve_vcc 1
		.amdhsa_reserve_flat_scratch 0
		.amdhsa_float_round_mode_32 0
		.amdhsa_float_round_mode_16_64 0
		.amdhsa_float_denorm_mode_32 3
		.amdhsa_float_denorm_mode_16_64 3
		.amdhsa_dx10_clamp 1
		.amdhsa_ieee_mode 1
		.amdhsa_fp16_overflow 0
		.amdhsa_tg_split 0
		.amdhsa_exception_fp_ieee_invalid_op 0
		.amdhsa_exception_fp_denorm_src 0
		.amdhsa_exception_fp_ieee_div_zero 0
		.amdhsa_exception_fp_ieee_overflow 0
		.amdhsa_exception_fp_ieee_underflow 0
		.amdhsa_exception_fp_ieee_inexact 0
		.amdhsa_exception_int_div_zero 0
	.end_amdhsa_kernel
	.section	.text._ZN7rocprim17ROCPRIM_400000_NS6detail17trampoline_kernelINS0_14default_configENS1_35radix_sort_onesweep_config_selectorIsNS0_10empty_typeEEEZZNS1_29radix_sort_onesweep_iterationIS3_Lb0EN6thrust23THRUST_200600_302600_NS6detail15normal_iteratorINS9_10device_ptrIsEEEESE_PS5_SF_jNS0_19identity_decomposerENS1_16block_id_wrapperIjLb1EEEEE10hipError_tT1_PNSt15iterator_traitsISK_E10value_typeET2_T3_PNSL_ISQ_E10value_typeET4_T5_PSV_SW_PNS1_23onesweep_lookback_stateEbbT6_jjT7_P12ihipStream_tbENKUlT_T0_SK_SP_E_clISE_PsSF_SF_EEDaS13_S14_SK_SP_EUlS13_E_NS1_11comp_targetILNS1_3genE4ELNS1_11target_archE910ELNS1_3gpuE8ELNS1_3repE0EEENS1_47radix_sort_onesweep_sort_config_static_selectorELNS0_4arch9wavefront6targetE1EEEvSK_,"axG",@progbits,_ZN7rocprim17ROCPRIM_400000_NS6detail17trampoline_kernelINS0_14default_configENS1_35radix_sort_onesweep_config_selectorIsNS0_10empty_typeEEEZZNS1_29radix_sort_onesweep_iterationIS3_Lb0EN6thrust23THRUST_200600_302600_NS6detail15normal_iteratorINS9_10device_ptrIsEEEESE_PS5_SF_jNS0_19identity_decomposerENS1_16block_id_wrapperIjLb1EEEEE10hipError_tT1_PNSt15iterator_traitsISK_E10value_typeET2_T3_PNSL_ISQ_E10value_typeET4_T5_PSV_SW_PNS1_23onesweep_lookback_stateEbbT6_jjT7_P12ihipStream_tbENKUlT_T0_SK_SP_E_clISE_PsSF_SF_EEDaS13_S14_SK_SP_EUlS13_E_NS1_11comp_targetILNS1_3genE4ELNS1_11target_archE910ELNS1_3gpuE8ELNS1_3repE0EEENS1_47radix_sort_onesweep_sort_config_static_selectorELNS0_4arch9wavefront6targetE1EEEvSK_,comdat
.Lfunc_end1963:
	.size	_ZN7rocprim17ROCPRIM_400000_NS6detail17trampoline_kernelINS0_14default_configENS1_35radix_sort_onesweep_config_selectorIsNS0_10empty_typeEEEZZNS1_29radix_sort_onesweep_iterationIS3_Lb0EN6thrust23THRUST_200600_302600_NS6detail15normal_iteratorINS9_10device_ptrIsEEEESE_PS5_SF_jNS0_19identity_decomposerENS1_16block_id_wrapperIjLb1EEEEE10hipError_tT1_PNSt15iterator_traitsISK_E10value_typeET2_T3_PNSL_ISQ_E10value_typeET4_T5_PSV_SW_PNS1_23onesweep_lookback_stateEbbT6_jjT7_P12ihipStream_tbENKUlT_T0_SK_SP_E_clISE_PsSF_SF_EEDaS13_S14_SK_SP_EUlS13_E_NS1_11comp_targetILNS1_3genE4ELNS1_11target_archE910ELNS1_3gpuE8ELNS1_3repE0EEENS1_47radix_sort_onesweep_sort_config_static_selectorELNS0_4arch9wavefront6targetE1EEEvSK_, .Lfunc_end1963-_ZN7rocprim17ROCPRIM_400000_NS6detail17trampoline_kernelINS0_14default_configENS1_35radix_sort_onesweep_config_selectorIsNS0_10empty_typeEEEZZNS1_29radix_sort_onesweep_iterationIS3_Lb0EN6thrust23THRUST_200600_302600_NS6detail15normal_iteratorINS9_10device_ptrIsEEEESE_PS5_SF_jNS0_19identity_decomposerENS1_16block_id_wrapperIjLb1EEEEE10hipError_tT1_PNSt15iterator_traitsISK_E10value_typeET2_T3_PNSL_ISQ_E10value_typeET4_T5_PSV_SW_PNS1_23onesweep_lookback_stateEbbT6_jjT7_P12ihipStream_tbENKUlT_T0_SK_SP_E_clISE_PsSF_SF_EEDaS13_S14_SK_SP_EUlS13_E_NS1_11comp_targetILNS1_3genE4ELNS1_11target_archE910ELNS1_3gpuE8ELNS1_3repE0EEENS1_47radix_sort_onesweep_sort_config_static_selectorELNS0_4arch9wavefront6targetE1EEEvSK_
                                        ; -- End function
	.section	.AMDGPU.csdata,"",@progbits
; Kernel info:
; codeLenInByte = 16052
; NumSgprs: 39
; NumVgprs: 62
; NumAgprs: 0
; TotalNumVgprs: 62
; ScratchSize: 0
; MemoryBound: 0
; FloatMode: 240
; IeeeMode: 1
; LDSByteSize: 25608 bytes/workgroup (compile time only)
; SGPRBlocks: 4
; VGPRBlocks: 7
; NumSGPRsForWavesPerEU: 39
; NumVGPRsForWavesPerEU: 62
; AccumOffset: 64
; Occupancy: 8
; WaveLimiterHint : 1
; COMPUTE_PGM_RSRC2:SCRATCH_EN: 0
; COMPUTE_PGM_RSRC2:USER_SGPR: 6
; COMPUTE_PGM_RSRC2:TRAP_HANDLER: 0
; COMPUTE_PGM_RSRC2:TGID_X_EN: 1
; COMPUTE_PGM_RSRC2:TGID_Y_EN: 0
; COMPUTE_PGM_RSRC2:TGID_Z_EN: 0
; COMPUTE_PGM_RSRC2:TIDIG_COMP_CNT: 2
; COMPUTE_PGM_RSRC3_GFX90A:ACCUM_OFFSET: 15
; COMPUTE_PGM_RSRC3_GFX90A:TG_SPLIT: 0
	.section	.text._ZN7rocprim17ROCPRIM_400000_NS6detail17trampoline_kernelINS0_14default_configENS1_35radix_sort_onesweep_config_selectorIsNS0_10empty_typeEEEZZNS1_29radix_sort_onesweep_iterationIS3_Lb0EN6thrust23THRUST_200600_302600_NS6detail15normal_iteratorINS9_10device_ptrIsEEEESE_PS5_SF_jNS0_19identity_decomposerENS1_16block_id_wrapperIjLb1EEEEE10hipError_tT1_PNSt15iterator_traitsISK_E10value_typeET2_T3_PNSL_ISQ_E10value_typeET4_T5_PSV_SW_PNS1_23onesweep_lookback_stateEbbT6_jjT7_P12ihipStream_tbENKUlT_T0_SK_SP_E_clISE_PsSF_SF_EEDaS13_S14_SK_SP_EUlS13_E_NS1_11comp_targetILNS1_3genE3ELNS1_11target_archE908ELNS1_3gpuE7ELNS1_3repE0EEENS1_47radix_sort_onesweep_sort_config_static_selectorELNS0_4arch9wavefront6targetE1EEEvSK_,"axG",@progbits,_ZN7rocprim17ROCPRIM_400000_NS6detail17trampoline_kernelINS0_14default_configENS1_35radix_sort_onesweep_config_selectorIsNS0_10empty_typeEEEZZNS1_29radix_sort_onesweep_iterationIS3_Lb0EN6thrust23THRUST_200600_302600_NS6detail15normal_iteratorINS9_10device_ptrIsEEEESE_PS5_SF_jNS0_19identity_decomposerENS1_16block_id_wrapperIjLb1EEEEE10hipError_tT1_PNSt15iterator_traitsISK_E10value_typeET2_T3_PNSL_ISQ_E10value_typeET4_T5_PSV_SW_PNS1_23onesweep_lookback_stateEbbT6_jjT7_P12ihipStream_tbENKUlT_T0_SK_SP_E_clISE_PsSF_SF_EEDaS13_S14_SK_SP_EUlS13_E_NS1_11comp_targetILNS1_3genE3ELNS1_11target_archE908ELNS1_3gpuE7ELNS1_3repE0EEENS1_47radix_sort_onesweep_sort_config_static_selectorELNS0_4arch9wavefront6targetE1EEEvSK_,comdat
	.protected	_ZN7rocprim17ROCPRIM_400000_NS6detail17trampoline_kernelINS0_14default_configENS1_35radix_sort_onesweep_config_selectorIsNS0_10empty_typeEEEZZNS1_29radix_sort_onesweep_iterationIS3_Lb0EN6thrust23THRUST_200600_302600_NS6detail15normal_iteratorINS9_10device_ptrIsEEEESE_PS5_SF_jNS0_19identity_decomposerENS1_16block_id_wrapperIjLb1EEEEE10hipError_tT1_PNSt15iterator_traitsISK_E10value_typeET2_T3_PNSL_ISQ_E10value_typeET4_T5_PSV_SW_PNS1_23onesweep_lookback_stateEbbT6_jjT7_P12ihipStream_tbENKUlT_T0_SK_SP_E_clISE_PsSF_SF_EEDaS13_S14_SK_SP_EUlS13_E_NS1_11comp_targetILNS1_3genE3ELNS1_11target_archE908ELNS1_3gpuE7ELNS1_3repE0EEENS1_47radix_sort_onesweep_sort_config_static_selectorELNS0_4arch9wavefront6targetE1EEEvSK_ ; -- Begin function _ZN7rocprim17ROCPRIM_400000_NS6detail17trampoline_kernelINS0_14default_configENS1_35radix_sort_onesweep_config_selectorIsNS0_10empty_typeEEEZZNS1_29radix_sort_onesweep_iterationIS3_Lb0EN6thrust23THRUST_200600_302600_NS6detail15normal_iteratorINS9_10device_ptrIsEEEESE_PS5_SF_jNS0_19identity_decomposerENS1_16block_id_wrapperIjLb1EEEEE10hipError_tT1_PNSt15iterator_traitsISK_E10value_typeET2_T3_PNSL_ISQ_E10value_typeET4_T5_PSV_SW_PNS1_23onesweep_lookback_stateEbbT6_jjT7_P12ihipStream_tbENKUlT_T0_SK_SP_E_clISE_PsSF_SF_EEDaS13_S14_SK_SP_EUlS13_E_NS1_11comp_targetILNS1_3genE3ELNS1_11target_archE908ELNS1_3gpuE7ELNS1_3repE0EEENS1_47radix_sort_onesweep_sort_config_static_selectorELNS0_4arch9wavefront6targetE1EEEvSK_
	.globl	_ZN7rocprim17ROCPRIM_400000_NS6detail17trampoline_kernelINS0_14default_configENS1_35radix_sort_onesweep_config_selectorIsNS0_10empty_typeEEEZZNS1_29radix_sort_onesweep_iterationIS3_Lb0EN6thrust23THRUST_200600_302600_NS6detail15normal_iteratorINS9_10device_ptrIsEEEESE_PS5_SF_jNS0_19identity_decomposerENS1_16block_id_wrapperIjLb1EEEEE10hipError_tT1_PNSt15iterator_traitsISK_E10value_typeET2_T3_PNSL_ISQ_E10value_typeET4_T5_PSV_SW_PNS1_23onesweep_lookback_stateEbbT6_jjT7_P12ihipStream_tbENKUlT_T0_SK_SP_E_clISE_PsSF_SF_EEDaS13_S14_SK_SP_EUlS13_E_NS1_11comp_targetILNS1_3genE3ELNS1_11target_archE908ELNS1_3gpuE7ELNS1_3repE0EEENS1_47radix_sort_onesweep_sort_config_static_selectorELNS0_4arch9wavefront6targetE1EEEvSK_
	.p2align	8
	.type	_ZN7rocprim17ROCPRIM_400000_NS6detail17trampoline_kernelINS0_14default_configENS1_35radix_sort_onesweep_config_selectorIsNS0_10empty_typeEEEZZNS1_29radix_sort_onesweep_iterationIS3_Lb0EN6thrust23THRUST_200600_302600_NS6detail15normal_iteratorINS9_10device_ptrIsEEEESE_PS5_SF_jNS0_19identity_decomposerENS1_16block_id_wrapperIjLb1EEEEE10hipError_tT1_PNSt15iterator_traitsISK_E10value_typeET2_T3_PNSL_ISQ_E10value_typeET4_T5_PSV_SW_PNS1_23onesweep_lookback_stateEbbT6_jjT7_P12ihipStream_tbENKUlT_T0_SK_SP_E_clISE_PsSF_SF_EEDaS13_S14_SK_SP_EUlS13_E_NS1_11comp_targetILNS1_3genE3ELNS1_11target_archE908ELNS1_3gpuE7ELNS1_3repE0EEENS1_47radix_sort_onesweep_sort_config_static_selectorELNS0_4arch9wavefront6targetE1EEEvSK_,@function
_ZN7rocprim17ROCPRIM_400000_NS6detail17trampoline_kernelINS0_14default_configENS1_35radix_sort_onesweep_config_selectorIsNS0_10empty_typeEEEZZNS1_29radix_sort_onesweep_iterationIS3_Lb0EN6thrust23THRUST_200600_302600_NS6detail15normal_iteratorINS9_10device_ptrIsEEEESE_PS5_SF_jNS0_19identity_decomposerENS1_16block_id_wrapperIjLb1EEEEE10hipError_tT1_PNSt15iterator_traitsISK_E10value_typeET2_T3_PNSL_ISQ_E10value_typeET4_T5_PSV_SW_PNS1_23onesweep_lookback_stateEbbT6_jjT7_P12ihipStream_tbENKUlT_T0_SK_SP_E_clISE_PsSF_SF_EEDaS13_S14_SK_SP_EUlS13_E_NS1_11comp_targetILNS1_3genE3ELNS1_11target_archE908ELNS1_3gpuE7ELNS1_3repE0EEENS1_47radix_sort_onesweep_sort_config_static_selectorELNS0_4arch9wavefront6targetE1EEEvSK_: ; @_ZN7rocprim17ROCPRIM_400000_NS6detail17trampoline_kernelINS0_14default_configENS1_35radix_sort_onesweep_config_selectorIsNS0_10empty_typeEEEZZNS1_29radix_sort_onesweep_iterationIS3_Lb0EN6thrust23THRUST_200600_302600_NS6detail15normal_iteratorINS9_10device_ptrIsEEEESE_PS5_SF_jNS0_19identity_decomposerENS1_16block_id_wrapperIjLb1EEEEE10hipError_tT1_PNSt15iterator_traitsISK_E10value_typeET2_T3_PNSL_ISQ_E10value_typeET4_T5_PSV_SW_PNS1_23onesweep_lookback_stateEbbT6_jjT7_P12ihipStream_tbENKUlT_T0_SK_SP_E_clISE_PsSF_SF_EEDaS13_S14_SK_SP_EUlS13_E_NS1_11comp_targetILNS1_3genE3ELNS1_11target_archE908ELNS1_3gpuE7ELNS1_3repE0EEENS1_47radix_sort_onesweep_sort_config_static_selectorELNS0_4arch9wavefront6targetE1EEEvSK_
; %bb.0:
	.section	.rodata,"a",@progbits
	.p2align	6, 0x0
	.amdhsa_kernel _ZN7rocprim17ROCPRIM_400000_NS6detail17trampoline_kernelINS0_14default_configENS1_35radix_sort_onesweep_config_selectorIsNS0_10empty_typeEEEZZNS1_29radix_sort_onesweep_iterationIS3_Lb0EN6thrust23THRUST_200600_302600_NS6detail15normal_iteratorINS9_10device_ptrIsEEEESE_PS5_SF_jNS0_19identity_decomposerENS1_16block_id_wrapperIjLb1EEEEE10hipError_tT1_PNSt15iterator_traitsISK_E10value_typeET2_T3_PNSL_ISQ_E10value_typeET4_T5_PSV_SW_PNS1_23onesweep_lookback_stateEbbT6_jjT7_P12ihipStream_tbENKUlT_T0_SK_SP_E_clISE_PsSF_SF_EEDaS13_S14_SK_SP_EUlS13_E_NS1_11comp_targetILNS1_3genE3ELNS1_11target_archE908ELNS1_3gpuE7ELNS1_3repE0EEENS1_47radix_sort_onesweep_sort_config_static_selectorELNS0_4arch9wavefront6targetE1EEEvSK_
		.amdhsa_group_segment_fixed_size 0
		.amdhsa_private_segment_fixed_size 0
		.amdhsa_kernarg_size 88
		.amdhsa_user_sgpr_count 6
		.amdhsa_user_sgpr_private_segment_buffer 1
		.amdhsa_user_sgpr_dispatch_ptr 0
		.amdhsa_user_sgpr_queue_ptr 0
		.amdhsa_user_sgpr_kernarg_segment_ptr 1
		.amdhsa_user_sgpr_dispatch_id 0
		.amdhsa_user_sgpr_flat_scratch_init 0
		.amdhsa_user_sgpr_kernarg_preload_length 0
		.amdhsa_user_sgpr_kernarg_preload_offset 0
		.amdhsa_user_sgpr_private_segment_size 0
		.amdhsa_uses_dynamic_stack 0
		.amdhsa_system_sgpr_private_segment_wavefront_offset 0
		.amdhsa_system_sgpr_workgroup_id_x 1
		.amdhsa_system_sgpr_workgroup_id_y 0
		.amdhsa_system_sgpr_workgroup_id_z 0
		.amdhsa_system_sgpr_workgroup_info 0
		.amdhsa_system_vgpr_workitem_id 0
		.amdhsa_next_free_vgpr 1
		.amdhsa_next_free_sgpr 0
		.amdhsa_accum_offset 4
		.amdhsa_reserve_vcc 0
		.amdhsa_reserve_flat_scratch 0
		.amdhsa_float_round_mode_32 0
		.amdhsa_float_round_mode_16_64 0
		.amdhsa_float_denorm_mode_32 3
		.amdhsa_float_denorm_mode_16_64 3
		.amdhsa_dx10_clamp 1
		.amdhsa_ieee_mode 1
		.amdhsa_fp16_overflow 0
		.amdhsa_tg_split 0
		.amdhsa_exception_fp_ieee_invalid_op 0
		.amdhsa_exception_fp_denorm_src 0
		.amdhsa_exception_fp_ieee_div_zero 0
		.amdhsa_exception_fp_ieee_overflow 0
		.amdhsa_exception_fp_ieee_underflow 0
		.amdhsa_exception_fp_ieee_inexact 0
		.amdhsa_exception_int_div_zero 0
	.end_amdhsa_kernel
	.section	.text._ZN7rocprim17ROCPRIM_400000_NS6detail17trampoline_kernelINS0_14default_configENS1_35radix_sort_onesweep_config_selectorIsNS0_10empty_typeEEEZZNS1_29radix_sort_onesweep_iterationIS3_Lb0EN6thrust23THRUST_200600_302600_NS6detail15normal_iteratorINS9_10device_ptrIsEEEESE_PS5_SF_jNS0_19identity_decomposerENS1_16block_id_wrapperIjLb1EEEEE10hipError_tT1_PNSt15iterator_traitsISK_E10value_typeET2_T3_PNSL_ISQ_E10value_typeET4_T5_PSV_SW_PNS1_23onesweep_lookback_stateEbbT6_jjT7_P12ihipStream_tbENKUlT_T0_SK_SP_E_clISE_PsSF_SF_EEDaS13_S14_SK_SP_EUlS13_E_NS1_11comp_targetILNS1_3genE3ELNS1_11target_archE908ELNS1_3gpuE7ELNS1_3repE0EEENS1_47radix_sort_onesweep_sort_config_static_selectorELNS0_4arch9wavefront6targetE1EEEvSK_,"axG",@progbits,_ZN7rocprim17ROCPRIM_400000_NS6detail17trampoline_kernelINS0_14default_configENS1_35radix_sort_onesweep_config_selectorIsNS0_10empty_typeEEEZZNS1_29radix_sort_onesweep_iterationIS3_Lb0EN6thrust23THRUST_200600_302600_NS6detail15normal_iteratorINS9_10device_ptrIsEEEESE_PS5_SF_jNS0_19identity_decomposerENS1_16block_id_wrapperIjLb1EEEEE10hipError_tT1_PNSt15iterator_traitsISK_E10value_typeET2_T3_PNSL_ISQ_E10value_typeET4_T5_PSV_SW_PNS1_23onesweep_lookback_stateEbbT6_jjT7_P12ihipStream_tbENKUlT_T0_SK_SP_E_clISE_PsSF_SF_EEDaS13_S14_SK_SP_EUlS13_E_NS1_11comp_targetILNS1_3genE3ELNS1_11target_archE908ELNS1_3gpuE7ELNS1_3repE0EEENS1_47radix_sort_onesweep_sort_config_static_selectorELNS0_4arch9wavefront6targetE1EEEvSK_,comdat
.Lfunc_end1964:
	.size	_ZN7rocprim17ROCPRIM_400000_NS6detail17trampoline_kernelINS0_14default_configENS1_35radix_sort_onesweep_config_selectorIsNS0_10empty_typeEEEZZNS1_29radix_sort_onesweep_iterationIS3_Lb0EN6thrust23THRUST_200600_302600_NS6detail15normal_iteratorINS9_10device_ptrIsEEEESE_PS5_SF_jNS0_19identity_decomposerENS1_16block_id_wrapperIjLb1EEEEE10hipError_tT1_PNSt15iterator_traitsISK_E10value_typeET2_T3_PNSL_ISQ_E10value_typeET4_T5_PSV_SW_PNS1_23onesweep_lookback_stateEbbT6_jjT7_P12ihipStream_tbENKUlT_T0_SK_SP_E_clISE_PsSF_SF_EEDaS13_S14_SK_SP_EUlS13_E_NS1_11comp_targetILNS1_3genE3ELNS1_11target_archE908ELNS1_3gpuE7ELNS1_3repE0EEENS1_47radix_sort_onesweep_sort_config_static_selectorELNS0_4arch9wavefront6targetE1EEEvSK_, .Lfunc_end1964-_ZN7rocprim17ROCPRIM_400000_NS6detail17trampoline_kernelINS0_14default_configENS1_35radix_sort_onesweep_config_selectorIsNS0_10empty_typeEEEZZNS1_29radix_sort_onesweep_iterationIS3_Lb0EN6thrust23THRUST_200600_302600_NS6detail15normal_iteratorINS9_10device_ptrIsEEEESE_PS5_SF_jNS0_19identity_decomposerENS1_16block_id_wrapperIjLb1EEEEE10hipError_tT1_PNSt15iterator_traitsISK_E10value_typeET2_T3_PNSL_ISQ_E10value_typeET4_T5_PSV_SW_PNS1_23onesweep_lookback_stateEbbT6_jjT7_P12ihipStream_tbENKUlT_T0_SK_SP_E_clISE_PsSF_SF_EEDaS13_S14_SK_SP_EUlS13_E_NS1_11comp_targetILNS1_3genE3ELNS1_11target_archE908ELNS1_3gpuE7ELNS1_3repE0EEENS1_47radix_sort_onesweep_sort_config_static_selectorELNS0_4arch9wavefront6targetE1EEEvSK_
                                        ; -- End function
	.section	.AMDGPU.csdata,"",@progbits
; Kernel info:
; codeLenInByte = 0
; NumSgprs: 4
; NumVgprs: 0
; NumAgprs: 0
; TotalNumVgprs: 0
; ScratchSize: 0
; MemoryBound: 0
; FloatMode: 240
; IeeeMode: 1
; LDSByteSize: 0 bytes/workgroup (compile time only)
; SGPRBlocks: 0
; VGPRBlocks: 0
; NumSGPRsForWavesPerEU: 4
; NumVGPRsForWavesPerEU: 1
; AccumOffset: 4
; Occupancy: 8
; WaveLimiterHint : 0
; COMPUTE_PGM_RSRC2:SCRATCH_EN: 0
; COMPUTE_PGM_RSRC2:USER_SGPR: 6
; COMPUTE_PGM_RSRC2:TRAP_HANDLER: 0
; COMPUTE_PGM_RSRC2:TGID_X_EN: 1
; COMPUTE_PGM_RSRC2:TGID_Y_EN: 0
; COMPUTE_PGM_RSRC2:TGID_Z_EN: 0
; COMPUTE_PGM_RSRC2:TIDIG_COMP_CNT: 0
; COMPUTE_PGM_RSRC3_GFX90A:ACCUM_OFFSET: 0
; COMPUTE_PGM_RSRC3_GFX90A:TG_SPLIT: 0
	.section	.text._ZN7rocprim17ROCPRIM_400000_NS6detail17trampoline_kernelINS0_14default_configENS1_35radix_sort_onesweep_config_selectorIsNS0_10empty_typeEEEZZNS1_29radix_sort_onesweep_iterationIS3_Lb0EN6thrust23THRUST_200600_302600_NS6detail15normal_iteratorINS9_10device_ptrIsEEEESE_PS5_SF_jNS0_19identity_decomposerENS1_16block_id_wrapperIjLb1EEEEE10hipError_tT1_PNSt15iterator_traitsISK_E10value_typeET2_T3_PNSL_ISQ_E10value_typeET4_T5_PSV_SW_PNS1_23onesweep_lookback_stateEbbT6_jjT7_P12ihipStream_tbENKUlT_T0_SK_SP_E_clISE_PsSF_SF_EEDaS13_S14_SK_SP_EUlS13_E_NS1_11comp_targetILNS1_3genE10ELNS1_11target_archE1201ELNS1_3gpuE5ELNS1_3repE0EEENS1_47radix_sort_onesweep_sort_config_static_selectorELNS0_4arch9wavefront6targetE1EEEvSK_,"axG",@progbits,_ZN7rocprim17ROCPRIM_400000_NS6detail17trampoline_kernelINS0_14default_configENS1_35radix_sort_onesweep_config_selectorIsNS0_10empty_typeEEEZZNS1_29radix_sort_onesweep_iterationIS3_Lb0EN6thrust23THRUST_200600_302600_NS6detail15normal_iteratorINS9_10device_ptrIsEEEESE_PS5_SF_jNS0_19identity_decomposerENS1_16block_id_wrapperIjLb1EEEEE10hipError_tT1_PNSt15iterator_traitsISK_E10value_typeET2_T3_PNSL_ISQ_E10value_typeET4_T5_PSV_SW_PNS1_23onesweep_lookback_stateEbbT6_jjT7_P12ihipStream_tbENKUlT_T0_SK_SP_E_clISE_PsSF_SF_EEDaS13_S14_SK_SP_EUlS13_E_NS1_11comp_targetILNS1_3genE10ELNS1_11target_archE1201ELNS1_3gpuE5ELNS1_3repE0EEENS1_47radix_sort_onesweep_sort_config_static_selectorELNS0_4arch9wavefront6targetE1EEEvSK_,comdat
	.protected	_ZN7rocprim17ROCPRIM_400000_NS6detail17trampoline_kernelINS0_14default_configENS1_35radix_sort_onesweep_config_selectorIsNS0_10empty_typeEEEZZNS1_29radix_sort_onesweep_iterationIS3_Lb0EN6thrust23THRUST_200600_302600_NS6detail15normal_iteratorINS9_10device_ptrIsEEEESE_PS5_SF_jNS0_19identity_decomposerENS1_16block_id_wrapperIjLb1EEEEE10hipError_tT1_PNSt15iterator_traitsISK_E10value_typeET2_T3_PNSL_ISQ_E10value_typeET4_T5_PSV_SW_PNS1_23onesweep_lookback_stateEbbT6_jjT7_P12ihipStream_tbENKUlT_T0_SK_SP_E_clISE_PsSF_SF_EEDaS13_S14_SK_SP_EUlS13_E_NS1_11comp_targetILNS1_3genE10ELNS1_11target_archE1201ELNS1_3gpuE5ELNS1_3repE0EEENS1_47radix_sort_onesweep_sort_config_static_selectorELNS0_4arch9wavefront6targetE1EEEvSK_ ; -- Begin function _ZN7rocprim17ROCPRIM_400000_NS6detail17trampoline_kernelINS0_14default_configENS1_35radix_sort_onesweep_config_selectorIsNS0_10empty_typeEEEZZNS1_29radix_sort_onesweep_iterationIS3_Lb0EN6thrust23THRUST_200600_302600_NS6detail15normal_iteratorINS9_10device_ptrIsEEEESE_PS5_SF_jNS0_19identity_decomposerENS1_16block_id_wrapperIjLb1EEEEE10hipError_tT1_PNSt15iterator_traitsISK_E10value_typeET2_T3_PNSL_ISQ_E10value_typeET4_T5_PSV_SW_PNS1_23onesweep_lookback_stateEbbT6_jjT7_P12ihipStream_tbENKUlT_T0_SK_SP_E_clISE_PsSF_SF_EEDaS13_S14_SK_SP_EUlS13_E_NS1_11comp_targetILNS1_3genE10ELNS1_11target_archE1201ELNS1_3gpuE5ELNS1_3repE0EEENS1_47radix_sort_onesweep_sort_config_static_selectorELNS0_4arch9wavefront6targetE1EEEvSK_
	.globl	_ZN7rocprim17ROCPRIM_400000_NS6detail17trampoline_kernelINS0_14default_configENS1_35radix_sort_onesweep_config_selectorIsNS0_10empty_typeEEEZZNS1_29radix_sort_onesweep_iterationIS3_Lb0EN6thrust23THRUST_200600_302600_NS6detail15normal_iteratorINS9_10device_ptrIsEEEESE_PS5_SF_jNS0_19identity_decomposerENS1_16block_id_wrapperIjLb1EEEEE10hipError_tT1_PNSt15iterator_traitsISK_E10value_typeET2_T3_PNSL_ISQ_E10value_typeET4_T5_PSV_SW_PNS1_23onesweep_lookback_stateEbbT6_jjT7_P12ihipStream_tbENKUlT_T0_SK_SP_E_clISE_PsSF_SF_EEDaS13_S14_SK_SP_EUlS13_E_NS1_11comp_targetILNS1_3genE10ELNS1_11target_archE1201ELNS1_3gpuE5ELNS1_3repE0EEENS1_47radix_sort_onesweep_sort_config_static_selectorELNS0_4arch9wavefront6targetE1EEEvSK_
	.p2align	8
	.type	_ZN7rocprim17ROCPRIM_400000_NS6detail17trampoline_kernelINS0_14default_configENS1_35radix_sort_onesweep_config_selectorIsNS0_10empty_typeEEEZZNS1_29radix_sort_onesweep_iterationIS3_Lb0EN6thrust23THRUST_200600_302600_NS6detail15normal_iteratorINS9_10device_ptrIsEEEESE_PS5_SF_jNS0_19identity_decomposerENS1_16block_id_wrapperIjLb1EEEEE10hipError_tT1_PNSt15iterator_traitsISK_E10value_typeET2_T3_PNSL_ISQ_E10value_typeET4_T5_PSV_SW_PNS1_23onesweep_lookback_stateEbbT6_jjT7_P12ihipStream_tbENKUlT_T0_SK_SP_E_clISE_PsSF_SF_EEDaS13_S14_SK_SP_EUlS13_E_NS1_11comp_targetILNS1_3genE10ELNS1_11target_archE1201ELNS1_3gpuE5ELNS1_3repE0EEENS1_47radix_sort_onesweep_sort_config_static_selectorELNS0_4arch9wavefront6targetE1EEEvSK_,@function
_ZN7rocprim17ROCPRIM_400000_NS6detail17trampoline_kernelINS0_14default_configENS1_35radix_sort_onesweep_config_selectorIsNS0_10empty_typeEEEZZNS1_29radix_sort_onesweep_iterationIS3_Lb0EN6thrust23THRUST_200600_302600_NS6detail15normal_iteratorINS9_10device_ptrIsEEEESE_PS5_SF_jNS0_19identity_decomposerENS1_16block_id_wrapperIjLb1EEEEE10hipError_tT1_PNSt15iterator_traitsISK_E10value_typeET2_T3_PNSL_ISQ_E10value_typeET4_T5_PSV_SW_PNS1_23onesweep_lookback_stateEbbT6_jjT7_P12ihipStream_tbENKUlT_T0_SK_SP_E_clISE_PsSF_SF_EEDaS13_S14_SK_SP_EUlS13_E_NS1_11comp_targetILNS1_3genE10ELNS1_11target_archE1201ELNS1_3gpuE5ELNS1_3repE0EEENS1_47radix_sort_onesweep_sort_config_static_selectorELNS0_4arch9wavefront6targetE1EEEvSK_: ; @_ZN7rocprim17ROCPRIM_400000_NS6detail17trampoline_kernelINS0_14default_configENS1_35radix_sort_onesweep_config_selectorIsNS0_10empty_typeEEEZZNS1_29radix_sort_onesweep_iterationIS3_Lb0EN6thrust23THRUST_200600_302600_NS6detail15normal_iteratorINS9_10device_ptrIsEEEESE_PS5_SF_jNS0_19identity_decomposerENS1_16block_id_wrapperIjLb1EEEEE10hipError_tT1_PNSt15iterator_traitsISK_E10value_typeET2_T3_PNSL_ISQ_E10value_typeET4_T5_PSV_SW_PNS1_23onesweep_lookback_stateEbbT6_jjT7_P12ihipStream_tbENKUlT_T0_SK_SP_E_clISE_PsSF_SF_EEDaS13_S14_SK_SP_EUlS13_E_NS1_11comp_targetILNS1_3genE10ELNS1_11target_archE1201ELNS1_3gpuE5ELNS1_3repE0EEENS1_47radix_sort_onesweep_sort_config_static_selectorELNS0_4arch9wavefront6targetE1EEEvSK_
; %bb.0:
	.section	.rodata,"a",@progbits
	.p2align	6, 0x0
	.amdhsa_kernel _ZN7rocprim17ROCPRIM_400000_NS6detail17trampoline_kernelINS0_14default_configENS1_35radix_sort_onesweep_config_selectorIsNS0_10empty_typeEEEZZNS1_29radix_sort_onesweep_iterationIS3_Lb0EN6thrust23THRUST_200600_302600_NS6detail15normal_iteratorINS9_10device_ptrIsEEEESE_PS5_SF_jNS0_19identity_decomposerENS1_16block_id_wrapperIjLb1EEEEE10hipError_tT1_PNSt15iterator_traitsISK_E10value_typeET2_T3_PNSL_ISQ_E10value_typeET4_T5_PSV_SW_PNS1_23onesweep_lookback_stateEbbT6_jjT7_P12ihipStream_tbENKUlT_T0_SK_SP_E_clISE_PsSF_SF_EEDaS13_S14_SK_SP_EUlS13_E_NS1_11comp_targetILNS1_3genE10ELNS1_11target_archE1201ELNS1_3gpuE5ELNS1_3repE0EEENS1_47radix_sort_onesweep_sort_config_static_selectorELNS0_4arch9wavefront6targetE1EEEvSK_
		.amdhsa_group_segment_fixed_size 0
		.amdhsa_private_segment_fixed_size 0
		.amdhsa_kernarg_size 88
		.amdhsa_user_sgpr_count 6
		.amdhsa_user_sgpr_private_segment_buffer 1
		.amdhsa_user_sgpr_dispatch_ptr 0
		.amdhsa_user_sgpr_queue_ptr 0
		.amdhsa_user_sgpr_kernarg_segment_ptr 1
		.amdhsa_user_sgpr_dispatch_id 0
		.amdhsa_user_sgpr_flat_scratch_init 0
		.amdhsa_user_sgpr_kernarg_preload_length 0
		.amdhsa_user_sgpr_kernarg_preload_offset 0
		.amdhsa_user_sgpr_private_segment_size 0
		.amdhsa_uses_dynamic_stack 0
		.amdhsa_system_sgpr_private_segment_wavefront_offset 0
		.amdhsa_system_sgpr_workgroup_id_x 1
		.amdhsa_system_sgpr_workgroup_id_y 0
		.amdhsa_system_sgpr_workgroup_id_z 0
		.amdhsa_system_sgpr_workgroup_info 0
		.amdhsa_system_vgpr_workitem_id 0
		.amdhsa_next_free_vgpr 1
		.amdhsa_next_free_sgpr 0
		.amdhsa_accum_offset 4
		.amdhsa_reserve_vcc 0
		.amdhsa_reserve_flat_scratch 0
		.amdhsa_float_round_mode_32 0
		.amdhsa_float_round_mode_16_64 0
		.amdhsa_float_denorm_mode_32 3
		.amdhsa_float_denorm_mode_16_64 3
		.amdhsa_dx10_clamp 1
		.amdhsa_ieee_mode 1
		.amdhsa_fp16_overflow 0
		.amdhsa_tg_split 0
		.amdhsa_exception_fp_ieee_invalid_op 0
		.amdhsa_exception_fp_denorm_src 0
		.amdhsa_exception_fp_ieee_div_zero 0
		.amdhsa_exception_fp_ieee_overflow 0
		.amdhsa_exception_fp_ieee_underflow 0
		.amdhsa_exception_fp_ieee_inexact 0
		.amdhsa_exception_int_div_zero 0
	.end_amdhsa_kernel
	.section	.text._ZN7rocprim17ROCPRIM_400000_NS6detail17trampoline_kernelINS0_14default_configENS1_35radix_sort_onesweep_config_selectorIsNS0_10empty_typeEEEZZNS1_29radix_sort_onesweep_iterationIS3_Lb0EN6thrust23THRUST_200600_302600_NS6detail15normal_iteratorINS9_10device_ptrIsEEEESE_PS5_SF_jNS0_19identity_decomposerENS1_16block_id_wrapperIjLb1EEEEE10hipError_tT1_PNSt15iterator_traitsISK_E10value_typeET2_T3_PNSL_ISQ_E10value_typeET4_T5_PSV_SW_PNS1_23onesweep_lookback_stateEbbT6_jjT7_P12ihipStream_tbENKUlT_T0_SK_SP_E_clISE_PsSF_SF_EEDaS13_S14_SK_SP_EUlS13_E_NS1_11comp_targetILNS1_3genE10ELNS1_11target_archE1201ELNS1_3gpuE5ELNS1_3repE0EEENS1_47radix_sort_onesweep_sort_config_static_selectorELNS0_4arch9wavefront6targetE1EEEvSK_,"axG",@progbits,_ZN7rocprim17ROCPRIM_400000_NS6detail17trampoline_kernelINS0_14default_configENS1_35radix_sort_onesweep_config_selectorIsNS0_10empty_typeEEEZZNS1_29radix_sort_onesweep_iterationIS3_Lb0EN6thrust23THRUST_200600_302600_NS6detail15normal_iteratorINS9_10device_ptrIsEEEESE_PS5_SF_jNS0_19identity_decomposerENS1_16block_id_wrapperIjLb1EEEEE10hipError_tT1_PNSt15iterator_traitsISK_E10value_typeET2_T3_PNSL_ISQ_E10value_typeET4_T5_PSV_SW_PNS1_23onesweep_lookback_stateEbbT6_jjT7_P12ihipStream_tbENKUlT_T0_SK_SP_E_clISE_PsSF_SF_EEDaS13_S14_SK_SP_EUlS13_E_NS1_11comp_targetILNS1_3genE10ELNS1_11target_archE1201ELNS1_3gpuE5ELNS1_3repE0EEENS1_47radix_sort_onesweep_sort_config_static_selectorELNS0_4arch9wavefront6targetE1EEEvSK_,comdat
.Lfunc_end1965:
	.size	_ZN7rocprim17ROCPRIM_400000_NS6detail17trampoline_kernelINS0_14default_configENS1_35radix_sort_onesweep_config_selectorIsNS0_10empty_typeEEEZZNS1_29radix_sort_onesweep_iterationIS3_Lb0EN6thrust23THRUST_200600_302600_NS6detail15normal_iteratorINS9_10device_ptrIsEEEESE_PS5_SF_jNS0_19identity_decomposerENS1_16block_id_wrapperIjLb1EEEEE10hipError_tT1_PNSt15iterator_traitsISK_E10value_typeET2_T3_PNSL_ISQ_E10value_typeET4_T5_PSV_SW_PNS1_23onesweep_lookback_stateEbbT6_jjT7_P12ihipStream_tbENKUlT_T0_SK_SP_E_clISE_PsSF_SF_EEDaS13_S14_SK_SP_EUlS13_E_NS1_11comp_targetILNS1_3genE10ELNS1_11target_archE1201ELNS1_3gpuE5ELNS1_3repE0EEENS1_47radix_sort_onesweep_sort_config_static_selectorELNS0_4arch9wavefront6targetE1EEEvSK_, .Lfunc_end1965-_ZN7rocprim17ROCPRIM_400000_NS6detail17trampoline_kernelINS0_14default_configENS1_35radix_sort_onesweep_config_selectorIsNS0_10empty_typeEEEZZNS1_29radix_sort_onesweep_iterationIS3_Lb0EN6thrust23THRUST_200600_302600_NS6detail15normal_iteratorINS9_10device_ptrIsEEEESE_PS5_SF_jNS0_19identity_decomposerENS1_16block_id_wrapperIjLb1EEEEE10hipError_tT1_PNSt15iterator_traitsISK_E10value_typeET2_T3_PNSL_ISQ_E10value_typeET4_T5_PSV_SW_PNS1_23onesweep_lookback_stateEbbT6_jjT7_P12ihipStream_tbENKUlT_T0_SK_SP_E_clISE_PsSF_SF_EEDaS13_S14_SK_SP_EUlS13_E_NS1_11comp_targetILNS1_3genE10ELNS1_11target_archE1201ELNS1_3gpuE5ELNS1_3repE0EEENS1_47radix_sort_onesweep_sort_config_static_selectorELNS0_4arch9wavefront6targetE1EEEvSK_
                                        ; -- End function
	.section	.AMDGPU.csdata,"",@progbits
; Kernel info:
; codeLenInByte = 0
; NumSgprs: 4
; NumVgprs: 0
; NumAgprs: 0
; TotalNumVgprs: 0
; ScratchSize: 0
; MemoryBound: 0
; FloatMode: 240
; IeeeMode: 1
; LDSByteSize: 0 bytes/workgroup (compile time only)
; SGPRBlocks: 0
; VGPRBlocks: 0
; NumSGPRsForWavesPerEU: 4
; NumVGPRsForWavesPerEU: 1
; AccumOffset: 4
; Occupancy: 8
; WaveLimiterHint : 0
; COMPUTE_PGM_RSRC2:SCRATCH_EN: 0
; COMPUTE_PGM_RSRC2:USER_SGPR: 6
; COMPUTE_PGM_RSRC2:TRAP_HANDLER: 0
; COMPUTE_PGM_RSRC2:TGID_X_EN: 1
; COMPUTE_PGM_RSRC2:TGID_Y_EN: 0
; COMPUTE_PGM_RSRC2:TGID_Z_EN: 0
; COMPUTE_PGM_RSRC2:TIDIG_COMP_CNT: 0
; COMPUTE_PGM_RSRC3_GFX90A:ACCUM_OFFSET: 0
; COMPUTE_PGM_RSRC3_GFX90A:TG_SPLIT: 0
	.section	.text._ZN7rocprim17ROCPRIM_400000_NS6detail17trampoline_kernelINS0_14default_configENS1_35radix_sort_onesweep_config_selectorIsNS0_10empty_typeEEEZZNS1_29radix_sort_onesweep_iterationIS3_Lb0EN6thrust23THRUST_200600_302600_NS6detail15normal_iteratorINS9_10device_ptrIsEEEESE_PS5_SF_jNS0_19identity_decomposerENS1_16block_id_wrapperIjLb1EEEEE10hipError_tT1_PNSt15iterator_traitsISK_E10value_typeET2_T3_PNSL_ISQ_E10value_typeET4_T5_PSV_SW_PNS1_23onesweep_lookback_stateEbbT6_jjT7_P12ihipStream_tbENKUlT_T0_SK_SP_E_clISE_PsSF_SF_EEDaS13_S14_SK_SP_EUlS13_E_NS1_11comp_targetILNS1_3genE9ELNS1_11target_archE1100ELNS1_3gpuE3ELNS1_3repE0EEENS1_47radix_sort_onesweep_sort_config_static_selectorELNS0_4arch9wavefront6targetE1EEEvSK_,"axG",@progbits,_ZN7rocprim17ROCPRIM_400000_NS6detail17trampoline_kernelINS0_14default_configENS1_35radix_sort_onesweep_config_selectorIsNS0_10empty_typeEEEZZNS1_29radix_sort_onesweep_iterationIS3_Lb0EN6thrust23THRUST_200600_302600_NS6detail15normal_iteratorINS9_10device_ptrIsEEEESE_PS5_SF_jNS0_19identity_decomposerENS1_16block_id_wrapperIjLb1EEEEE10hipError_tT1_PNSt15iterator_traitsISK_E10value_typeET2_T3_PNSL_ISQ_E10value_typeET4_T5_PSV_SW_PNS1_23onesweep_lookback_stateEbbT6_jjT7_P12ihipStream_tbENKUlT_T0_SK_SP_E_clISE_PsSF_SF_EEDaS13_S14_SK_SP_EUlS13_E_NS1_11comp_targetILNS1_3genE9ELNS1_11target_archE1100ELNS1_3gpuE3ELNS1_3repE0EEENS1_47radix_sort_onesweep_sort_config_static_selectorELNS0_4arch9wavefront6targetE1EEEvSK_,comdat
	.protected	_ZN7rocprim17ROCPRIM_400000_NS6detail17trampoline_kernelINS0_14default_configENS1_35radix_sort_onesweep_config_selectorIsNS0_10empty_typeEEEZZNS1_29radix_sort_onesweep_iterationIS3_Lb0EN6thrust23THRUST_200600_302600_NS6detail15normal_iteratorINS9_10device_ptrIsEEEESE_PS5_SF_jNS0_19identity_decomposerENS1_16block_id_wrapperIjLb1EEEEE10hipError_tT1_PNSt15iterator_traitsISK_E10value_typeET2_T3_PNSL_ISQ_E10value_typeET4_T5_PSV_SW_PNS1_23onesweep_lookback_stateEbbT6_jjT7_P12ihipStream_tbENKUlT_T0_SK_SP_E_clISE_PsSF_SF_EEDaS13_S14_SK_SP_EUlS13_E_NS1_11comp_targetILNS1_3genE9ELNS1_11target_archE1100ELNS1_3gpuE3ELNS1_3repE0EEENS1_47radix_sort_onesweep_sort_config_static_selectorELNS0_4arch9wavefront6targetE1EEEvSK_ ; -- Begin function _ZN7rocprim17ROCPRIM_400000_NS6detail17trampoline_kernelINS0_14default_configENS1_35radix_sort_onesweep_config_selectorIsNS0_10empty_typeEEEZZNS1_29radix_sort_onesweep_iterationIS3_Lb0EN6thrust23THRUST_200600_302600_NS6detail15normal_iteratorINS9_10device_ptrIsEEEESE_PS5_SF_jNS0_19identity_decomposerENS1_16block_id_wrapperIjLb1EEEEE10hipError_tT1_PNSt15iterator_traitsISK_E10value_typeET2_T3_PNSL_ISQ_E10value_typeET4_T5_PSV_SW_PNS1_23onesweep_lookback_stateEbbT6_jjT7_P12ihipStream_tbENKUlT_T0_SK_SP_E_clISE_PsSF_SF_EEDaS13_S14_SK_SP_EUlS13_E_NS1_11comp_targetILNS1_3genE9ELNS1_11target_archE1100ELNS1_3gpuE3ELNS1_3repE0EEENS1_47radix_sort_onesweep_sort_config_static_selectorELNS0_4arch9wavefront6targetE1EEEvSK_
	.globl	_ZN7rocprim17ROCPRIM_400000_NS6detail17trampoline_kernelINS0_14default_configENS1_35radix_sort_onesweep_config_selectorIsNS0_10empty_typeEEEZZNS1_29radix_sort_onesweep_iterationIS3_Lb0EN6thrust23THRUST_200600_302600_NS6detail15normal_iteratorINS9_10device_ptrIsEEEESE_PS5_SF_jNS0_19identity_decomposerENS1_16block_id_wrapperIjLb1EEEEE10hipError_tT1_PNSt15iterator_traitsISK_E10value_typeET2_T3_PNSL_ISQ_E10value_typeET4_T5_PSV_SW_PNS1_23onesweep_lookback_stateEbbT6_jjT7_P12ihipStream_tbENKUlT_T0_SK_SP_E_clISE_PsSF_SF_EEDaS13_S14_SK_SP_EUlS13_E_NS1_11comp_targetILNS1_3genE9ELNS1_11target_archE1100ELNS1_3gpuE3ELNS1_3repE0EEENS1_47radix_sort_onesweep_sort_config_static_selectorELNS0_4arch9wavefront6targetE1EEEvSK_
	.p2align	8
	.type	_ZN7rocprim17ROCPRIM_400000_NS6detail17trampoline_kernelINS0_14default_configENS1_35radix_sort_onesweep_config_selectorIsNS0_10empty_typeEEEZZNS1_29radix_sort_onesweep_iterationIS3_Lb0EN6thrust23THRUST_200600_302600_NS6detail15normal_iteratorINS9_10device_ptrIsEEEESE_PS5_SF_jNS0_19identity_decomposerENS1_16block_id_wrapperIjLb1EEEEE10hipError_tT1_PNSt15iterator_traitsISK_E10value_typeET2_T3_PNSL_ISQ_E10value_typeET4_T5_PSV_SW_PNS1_23onesweep_lookback_stateEbbT6_jjT7_P12ihipStream_tbENKUlT_T0_SK_SP_E_clISE_PsSF_SF_EEDaS13_S14_SK_SP_EUlS13_E_NS1_11comp_targetILNS1_3genE9ELNS1_11target_archE1100ELNS1_3gpuE3ELNS1_3repE0EEENS1_47radix_sort_onesweep_sort_config_static_selectorELNS0_4arch9wavefront6targetE1EEEvSK_,@function
_ZN7rocprim17ROCPRIM_400000_NS6detail17trampoline_kernelINS0_14default_configENS1_35radix_sort_onesweep_config_selectorIsNS0_10empty_typeEEEZZNS1_29radix_sort_onesweep_iterationIS3_Lb0EN6thrust23THRUST_200600_302600_NS6detail15normal_iteratorINS9_10device_ptrIsEEEESE_PS5_SF_jNS0_19identity_decomposerENS1_16block_id_wrapperIjLb1EEEEE10hipError_tT1_PNSt15iterator_traitsISK_E10value_typeET2_T3_PNSL_ISQ_E10value_typeET4_T5_PSV_SW_PNS1_23onesweep_lookback_stateEbbT6_jjT7_P12ihipStream_tbENKUlT_T0_SK_SP_E_clISE_PsSF_SF_EEDaS13_S14_SK_SP_EUlS13_E_NS1_11comp_targetILNS1_3genE9ELNS1_11target_archE1100ELNS1_3gpuE3ELNS1_3repE0EEENS1_47radix_sort_onesweep_sort_config_static_selectorELNS0_4arch9wavefront6targetE1EEEvSK_: ; @_ZN7rocprim17ROCPRIM_400000_NS6detail17trampoline_kernelINS0_14default_configENS1_35radix_sort_onesweep_config_selectorIsNS0_10empty_typeEEEZZNS1_29radix_sort_onesweep_iterationIS3_Lb0EN6thrust23THRUST_200600_302600_NS6detail15normal_iteratorINS9_10device_ptrIsEEEESE_PS5_SF_jNS0_19identity_decomposerENS1_16block_id_wrapperIjLb1EEEEE10hipError_tT1_PNSt15iterator_traitsISK_E10value_typeET2_T3_PNSL_ISQ_E10value_typeET4_T5_PSV_SW_PNS1_23onesweep_lookback_stateEbbT6_jjT7_P12ihipStream_tbENKUlT_T0_SK_SP_E_clISE_PsSF_SF_EEDaS13_S14_SK_SP_EUlS13_E_NS1_11comp_targetILNS1_3genE9ELNS1_11target_archE1100ELNS1_3gpuE3ELNS1_3repE0EEENS1_47radix_sort_onesweep_sort_config_static_selectorELNS0_4arch9wavefront6targetE1EEEvSK_
; %bb.0:
	.section	.rodata,"a",@progbits
	.p2align	6, 0x0
	.amdhsa_kernel _ZN7rocprim17ROCPRIM_400000_NS6detail17trampoline_kernelINS0_14default_configENS1_35radix_sort_onesweep_config_selectorIsNS0_10empty_typeEEEZZNS1_29radix_sort_onesweep_iterationIS3_Lb0EN6thrust23THRUST_200600_302600_NS6detail15normal_iteratorINS9_10device_ptrIsEEEESE_PS5_SF_jNS0_19identity_decomposerENS1_16block_id_wrapperIjLb1EEEEE10hipError_tT1_PNSt15iterator_traitsISK_E10value_typeET2_T3_PNSL_ISQ_E10value_typeET4_T5_PSV_SW_PNS1_23onesweep_lookback_stateEbbT6_jjT7_P12ihipStream_tbENKUlT_T0_SK_SP_E_clISE_PsSF_SF_EEDaS13_S14_SK_SP_EUlS13_E_NS1_11comp_targetILNS1_3genE9ELNS1_11target_archE1100ELNS1_3gpuE3ELNS1_3repE0EEENS1_47radix_sort_onesweep_sort_config_static_selectorELNS0_4arch9wavefront6targetE1EEEvSK_
		.amdhsa_group_segment_fixed_size 0
		.amdhsa_private_segment_fixed_size 0
		.amdhsa_kernarg_size 88
		.amdhsa_user_sgpr_count 6
		.amdhsa_user_sgpr_private_segment_buffer 1
		.amdhsa_user_sgpr_dispatch_ptr 0
		.amdhsa_user_sgpr_queue_ptr 0
		.amdhsa_user_sgpr_kernarg_segment_ptr 1
		.amdhsa_user_sgpr_dispatch_id 0
		.amdhsa_user_sgpr_flat_scratch_init 0
		.amdhsa_user_sgpr_kernarg_preload_length 0
		.amdhsa_user_sgpr_kernarg_preload_offset 0
		.amdhsa_user_sgpr_private_segment_size 0
		.amdhsa_uses_dynamic_stack 0
		.amdhsa_system_sgpr_private_segment_wavefront_offset 0
		.amdhsa_system_sgpr_workgroup_id_x 1
		.amdhsa_system_sgpr_workgroup_id_y 0
		.amdhsa_system_sgpr_workgroup_id_z 0
		.amdhsa_system_sgpr_workgroup_info 0
		.amdhsa_system_vgpr_workitem_id 0
		.amdhsa_next_free_vgpr 1
		.amdhsa_next_free_sgpr 0
		.amdhsa_accum_offset 4
		.amdhsa_reserve_vcc 0
		.amdhsa_reserve_flat_scratch 0
		.amdhsa_float_round_mode_32 0
		.amdhsa_float_round_mode_16_64 0
		.amdhsa_float_denorm_mode_32 3
		.amdhsa_float_denorm_mode_16_64 3
		.amdhsa_dx10_clamp 1
		.amdhsa_ieee_mode 1
		.amdhsa_fp16_overflow 0
		.amdhsa_tg_split 0
		.amdhsa_exception_fp_ieee_invalid_op 0
		.amdhsa_exception_fp_denorm_src 0
		.amdhsa_exception_fp_ieee_div_zero 0
		.amdhsa_exception_fp_ieee_overflow 0
		.amdhsa_exception_fp_ieee_underflow 0
		.amdhsa_exception_fp_ieee_inexact 0
		.amdhsa_exception_int_div_zero 0
	.end_amdhsa_kernel
	.section	.text._ZN7rocprim17ROCPRIM_400000_NS6detail17trampoline_kernelINS0_14default_configENS1_35radix_sort_onesweep_config_selectorIsNS0_10empty_typeEEEZZNS1_29radix_sort_onesweep_iterationIS3_Lb0EN6thrust23THRUST_200600_302600_NS6detail15normal_iteratorINS9_10device_ptrIsEEEESE_PS5_SF_jNS0_19identity_decomposerENS1_16block_id_wrapperIjLb1EEEEE10hipError_tT1_PNSt15iterator_traitsISK_E10value_typeET2_T3_PNSL_ISQ_E10value_typeET4_T5_PSV_SW_PNS1_23onesweep_lookback_stateEbbT6_jjT7_P12ihipStream_tbENKUlT_T0_SK_SP_E_clISE_PsSF_SF_EEDaS13_S14_SK_SP_EUlS13_E_NS1_11comp_targetILNS1_3genE9ELNS1_11target_archE1100ELNS1_3gpuE3ELNS1_3repE0EEENS1_47radix_sort_onesweep_sort_config_static_selectorELNS0_4arch9wavefront6targetE1EEEvSK_,"axG",@progbits,_ZN7rocprim17ROCPRIM_400000_NS6detail17trampoline_kernelINS0_14default_configENS1_35radix_sort_onesweep_config_selectorIsNS0_10empty_typeEEEZZNS1_29radix_sort_onesweep_iterationIS3_Lb0EN6thrust23THRUST_200600_302600_NS6detail15normal_iteratorINS9_10device_ptrIsEEEESE_PS5_SF_jNS0_19identity_decomposerENS1_16block_id_wrapperIjLb1EEEEE10hipError_tT1_PNSt15iterator_traitsISK_E10value_typeET2_T3_PNSL_ISQ_E10value_typeET4_T5_PSV_SW_PNS1_23onesweep_lookback_stateEbbT6_jjT7_P12ihipStream_tbENKUlT_T0_SK_SP_E_clISE_PsSF_SF_EEDaS13_S14_SK_SP_EUlS13_E_NS1_11comp_targetILNS1_3genE9ELNS1_11target_archE1100ELNS1_3gpuE3ELNS1_3repE0EEENS1_47radix_sort_onesweep_sort_config_static_selectorELNS0_4arch9wavefront6targetE1EEEvSK_,comdat
.Lfunc_end1966:
	.size	_ZN7rocprim17ROCPRIM_400000_NS6detail17trampoline_kernelINS0_14default_configENS1_35radix_sort_onesweep_config_selectorIsNS0_10empty_typeEEEZZNS1_29radix_sort_onesweep_iterationIS3_Lb0EN6thrust23THRUST_200600_302600_NS6detail15normal_iteratorINS9_10device_ptrIsEEEESE_PS5_SF_jNS0_19identity_decomposerENS1_16block_id_wrapperIjLb1EEEEE10hipError_tT1_PNSt15iterator_traitsISK_E10value_typeET2_T3_PNSL_ISQ_E10value_typeET4_T5_PSV_SW_PNS1_23onesweep_lookback_stateEbbT6_jjT7_P12ihipStream_tbENKUlT_T0_SK_SP_E_clISE_PsSF_SF_EEDaS13_S14_SK_SP_EUlS13_E_NS1_11comp_targetILNS1_3genE9ELNS1_11target_archE1100ELNS1_3gpuE3ELNS1_3repE0EEENS1_47radix_sort_onesweep_sort_config_static_selectorELNS0_4arch9wavefront6targetE1EEEvSK_, .Lfunc_end1966-_ZN7rocprim17ROCPRIM_400000_NS6detail17trampoline_kernelINS0_14default_configENS1_35radix_sort_onesweep_config_selectorIsNS0_10empty_typeEEEZZNS1_29radix_sort_onesweep_iterationIS3_Lb0EN6thrust23THRUST_200600_302600_NS6detail15normal_iteratorINS9_10device_ptrIsEEEESE_PS5_SF_jNS0_19identity_decomposerENS1_16block_id_wrapperIjLb1EEEEE10hipError_tT1_PNSt15iterator_traitsISK_E10value_typeET2_T3_PNSL_ISQ_E10value_typeET4_T5_PSV_SW_PNS1_23onesweep_lookback_stateEbbT6_jjT7_P12ihipStream_tbENKUlT_T0_SK_SP_E_clISE_PsSF_SF_EEDaS13_S14_SK_SP_EUlS13_E_NS1_11comp_targetILNS1_3genE9ELNS1_11target_archE1100ELNS1_3gpuE3ELNS1_3repE0EEENS1_47radix_sort_onesweep_sort_config_static_selectorELNS0_4arch9wavefront6targetE1EEEvSK_
                                        ; -- End function
	.section	.AMDGPU.csdata,"",@progbits
; Kernel info:
; codeLenInByte = 0
; NumSgprs: 4
; NumVgprs: 0
; NumAgprs: 0
; TotalNumVgprs: 0
; ScratchSize: 0
; MemoryBound: 0
; FloatMode: 240
; IeeeMode: 1
; LDSByteSize: 0 bytes/workgroup (compile time only)
; SGPRBlocks: 0
; VGPRBlocks: 0
; NumSGPRsForWavesPerEU: 4
; NumVGPRsForWavesPerEU: 1
; AccumOffset: 4
; Occupancy: 8
; WaveLimiterHint : 0
; COMPUTE_PGM_RSRC2:SCRATCH_EN: 0
; COMPUTE_PGM_RSRC2:USER_SGPR: 6
; COMPUTE_PGM_RSRC2:TRAP_HANDLER: 0
; COMPUTE_PGM_RSRC2:TGID_X_EN: 1
; COMPUTE_PGM_RSRC2:TGID_Y_EN: 0
; COMPUTE_PGM_RSRC2:TGID_Z_EN: 0
; COMPUTE_PGM_RSRC2:TIDIG_COMP_CNT: 0
; COMPUTE_PGM_RSRC3_GFX90A:ACCUM_OFFSET: 0
; COMPUTE_PGM_RSRC3_GFX90A:TG_SPLIT: 0
	.section	.text._ZN7rocprim17ROCPRIM_400000_NS6detail17trampoline_kernelINS0_14default_configENS1_35radix_sort_onesweep_config_selectorIsNS0_10empty_typeEEEZZNS1_29radix_sort_onesweep_iterationIS3_Lb0EN6thrust23THRUST_200600_302600_NS6detail15normal_iteratorINS9_10device_ptrIsEEEESE_PS5_SF_jNS0_19identity_decomposerENS1_16block_id_wrapperIjLb1EEEEE10hipError_tT1_PNSt15iterator_traitsISK_E10value_typeET2_T3_PNSL_ISQ_E10value_typeET4_T5_PSV_SW_PNS1_23onesweep_lookback_stateEbbT6_jjT7_P12ihipStream_tbENKUlT_T0_SK_SP_E_clISE_PsSF_SF_EEDaS13_S14_SK_SP_EUlS13_E_NS1_11comp_targetILNS1_3genE8ELNS1_11target_archE1030ELNS1_3gpuE2ELNS1_3repE0EEENS1_47radix_sort_onesweep_sort_config_static_selectorELNS0_4arch9wavefront6targetE1EEEvSK_,"axG",@progbits,_ZN7rocprim17ROCPRIM_400000_NS6detail17trampoline_kernelINS0_14default_configENS1_35radix_sort_onesweep_config_selectorIsNS0_10empty_typeEEEZZNS1_29radix_sort_onesweep_iterationIS3_Lb0EN6thrust23THRUST_200600_302600_NS6detail15normal_iteratorINS9_10device_ptrIsEEEESE_PS5_SF_jNS0_19identity_decomposerENS1_16block_id_wrapperIjLb1EEEEE10hipError_tT1_PNSt15iterator_traitsISK_E10value_typeET2_T3_PNSL_ISQ_E10value_typeET4_T5_PSV_SW_PNS1_23onesweep_lookback_stateEbbT6_jjT7_P12ihipStream_tbENKUlT_T0_SK_SP_E_clISE_PsSF_SF_EEDaS13_S14_SK_SP_EUlS13_E_NS1_11comp_targetILNS1_3genE8ELNS1_11target_archE1030ELNS1_3gpuE2ELNS1_3repE0EEENS1_47radix_sort_onesweep_sort_config_static_selectorELNS0_4arch9wavefront6targetE1EEEvSK_,comdat
	.protected	_ZN7rocprim17ROCPRIM_400000_NS6detail17trampoline_kernelINS0_14default_configENS1_35radix_sort_onesweep_config_selectorIsNS0_10empty_typeEEEZZNS1_29radix_sort_onesweep_iterationIS3_Lb0EN6thrust23THRUST_200600_302600_NS6detail15normal_iteratorINS9_10device_ptrIsEEEESE_PS5_SF_jNS0_19identity_decomposerENS1_16block_id_wrapperIjLb1EEEEE10hipError_tT1_PNSt15iterator_traitsISK_E10value_typeET2_T3_PNSL_ISQ_E10value_typeET4_T5_PSV_SW_PNS1_23onesweep_lookback_stateEbbT6_jjT7_P12ihipStream_tbENKUlT_T0_SK_SP_E_clISE_PsSF_SF_EEDaS13_S14_SK_SP_EUlS13_E_NS1_11comp_targetILNS1_3genE8ELNS1_11target_archE1030ELNS1_3gpuE2ELNS1_3repE0EEENS1_47radix_sort_onesweep_sort_config_static_selectorELNS0_4arch9wavefront6targetE1EEEvSK_ ; -- Begin function _ZN7rocprim17ROCPRIM_400000_NS6detail17trampoline_kernelINS0_14default_configENS1_35radix_sort_onesweep_config_selectorIsNS0_10empty_typeEEEZZNS1_29radix_sort_onesweep_iterationIS3_Lb0EN6thrust23THRUST_200600_302600_NS6detail15normal_iteratorINS9_10device_ptrIsEEEESE_PS5_SF_jNS0_19identity_decomposerENS1_16block_id_wrapperIjLb1EEEEE10hipError_tT1_PNSt15iterator_traitsISK_E10value_typeET2_T3_PNSL_ISQ_E10value_typeET4_T5_PSV_SW_PNS1_23onesweep_lookback_stateEbbT6_jjT7_P12ihipStream_tbENKUlT_T0_SK_SP_E_clISE_PsSF_SF_EEDaS13_S14_SK_SP_EUlS13_E_NS1_11comp_targetILNS1_3genE8ELNS1_11target_archE1030ELNS1_3gpuE2ELNS1_3repE0EEENS1_47radix_sort_onesweep_sort_config_static_selectorELNS0_4arch9wavefront6targetE1EEEvSK_
	.globl	_ZN7rocprim17ROCPRIM_400000_NS6detail17trampoline_kernelINS0_14default_configENS1_35radix_sort_onesweep_config_selectorIsNS0_10empty_typeEEEZZNS1_29radix_sort_onesweep_iterationIS3_Lb0EN6thrust23THRUST_200600_302600_NS6detail15normal_iteratorINS9_10device_ptrIsEEEESE_PS5_SF_jNS0_19identity_decomposerENS1_16block_id_wrapperIjLb1EEEEE10hipError_tT1_PNSt15iterator_traitsISK_E10value_typeET2_T3_PNSL_ISQ_E10value_typeET4_T5_PSV_SW_PNS1_23onesweep_lookback_stateEbbT6_jjT7_P12ihipStream_tbENKUlT_T0_SK_SP_E_clISE_PsSF_SF_EEDaS13_S14_SK_SP_EUlS13_E_NS1_11comp_targetILNS1_3genE8ELNS1_11target_archE1030ELNS1_3gpuE2ELNS1_3repE0EEENS1_47radix_sort_onesweep_sort_config_static_selectorELNS0_4arch9wavefront6targetE1EEEvSK_
	.p2align	8
	.type	_ZN7rocprim17ROCPRIM_400000_NS6detail17trampoline_kernelINS0_14default_configENS1_35radix_sort_onesweep_config_selectorIsNS0_10empty_typeEEEZZNS1_29radix_sort_onesweep_iterationIS3_Lb0EN6thrust23THRUST_200600_302600_NS6detail15normal_iteratorINS9_10device_ptrIsEEEESE_PS5_SF_jNS0_19identity_decomposerENS1_16block_id_wrapperIjLb1EEEEE10hipError_tT1_PNSt15iterator_traitsISK_E10value_typeET2_T3_PNSL_ISQ_E10value_typeET4_T5_PSV_SW_PNS1_23onesweep_lookback_stateEbbT6_jjT7_P12ihipStream_tbENKUlT_T0_SK_SP_E_clISE_PsSF_SF_EEDaS13_S14_SK_SP_EUlS13_E_NS1_11comp_targetILNS1_3genE8ELNS1_11target_archE1030ELNS1_3gpuE2ELNS1_3repE0EEENS1_47radix_sort_onesweep_sort_config_static_selectorELNS0_4arch9wavefront6targetE1EEEvSK_,@function
_ZN7rocprim17ROCPRIM_400000_NS6detail17trampoline_kernelINS0_14default_configENS1_35radix_sort_onesweep_config_selectorIsNS0_10empty_typeEEEZZNS1_29radix_sort_onesweep_iterationIS3_Lb0EN6thrust23THRUST_200600_302600_NS6detail15normal_iteratorINS9_10device_ptrIsEEEESE_PS5_SF_jNS0_19identity_decomposerENS1_16block_id_wrapperIjLb1EEEEE10hipError_tT1_PNSt15iterator_traitsISK_E10value_typeET2_T3_PNSL_ISQ_E10value_typeET4_T5_PSV_SW_PNS1_23onesweep_lookback_stateEbbT6_jjT7_P12ihipStream_tbENKUlT_T0_SK_SP_E_clISE_PsSF_SF_EEDaS13_S14_SK_SP_EUlS13_E_NS1_11comp_targetILNS1_3genE8ELNS1_11target_archE1030ELNS1_3gpuE2ELNS1_3repE0EEENS1_47radix_sort_onesweep_sort_config_static_selectorELNS0_4arch9wavefront6targetE1EEEvSK_: ; @_ZN7rocprim17ROCPRIM_400000_NS6detail17trampoline_kernelINS0_14default_configENS1_35radix_sort_onesweep_config_selectorIsNS0_10empty_typeEEEZZNS1_29radix_sort_onesweep_iterationIS3_Lb0EN6thrust23THRUST_200600_302600_NS6detail15normal_iteratorINS9_10device_ptrIsEEEESE_PS5_SF_jNS0_19identity_decomposerENS1_16block_id_wrapperIjLb1EEEEE10hipError_tT1_PNSt15iterator_traitsISK_E10value_typeET2_T3_PNSL_ISQ_E10value_typeET4_T5_PSV_SW_PNS1_23onesweep_lookback_stateEbbT6_jjT7_P12ihipStream_tbENKUlT_T0_SK_SP_E_clISE_PsSF_SF_EEDaS13_S14_SK_SP_EUlS13_E_NS1_11comp_targetILNS1_3genE8ELNS1_11target_archE1030ELNS1_3gpuE2ELNS1_3repE0EEENS1_47radix_sort_onesweep_sort_config_static_selectorELNS0_4arch9wavefront6targetE1EEEvSK_
; %bb.0:
	.section	.rodata,"a",@progbits
	.p2align	6, 0x0
	.amdhsa_kernel _ZN7rocprim17ROCPRIM_400000_NS6detail17trampoline_kernelINS0_14default_configENS1_35radix_sort_onesweep_config_selectorIsNS0_10empty_typeEEEZZNS1_29radix_sort_onesweep_iterationIS3_Lb0EN6thrust23THRUST_200600_302600_NS6detail15normal_iteratorINS9_10device_ptrIsEEEESE_PS5_SF_jNS0_19identity_decomposerENS1_16block_id_wrapperIjLb1EEEEE10hipError_tT1_PNSt15iterator_traitsISK_E10value_typeET2_T3_PNSL_ISQ_E10value_typeET4_T5_PSV_SW_PNS1_23onesweep_lookback_stateEbbT6_jjT7_P12ihipStream_tbENKUlT_T0_SK_SP_E_clISE_PsSF_SF_EEDaS13_S14_SK_SP_EUlS13_E_NS1_11comp_targetILNS1_3genE8ELNS1_11target_archE1030ELNS1_3gpuE2ELNS1_3repE0EEENS1_47radix_sort_onesweep_sort_config_static_selectorELNS0_4arch9wavefront6targetE1EEEvSK_
		.amdhsa_group_segment_fixed_size 0
		.amdhsa_private_segment_fixed_size 0
		.amdhsa_kernarg_size 88
		.amdhsa_user_sgpr_count 6
		.amdhsa_user_sgpr_private_segment_buffer 1
		.amdhsa_user_sgpr_dispatch_ptr 0
		.amdhsa_user_sgpr_queue_ptr 0
		.amdhsa_user_sgpr_kernarg_segment_ptr 1
		.amdhsa_user_sgpr_dispatch_id 0
		.amdhsa_user_sgpr_flat_scratch_init 0
		.amdhsa_user_sgpr_kernarg_preload_length 0
		.amdhsa_user_sgpr_kernarg_preload_offset 0
		.amdhsa_user_sgpr_private_segment_size 0
		.amdhsa_uses_dynamic_stack 0
		.amdhsa_system_sgpr_private_segment_wavefront_offset 0
		.amdhsa_system_sgpr_workgroup_id_x 1
		.amdhsa_system_sgpr_workgroup_id_y 0
		.amdhsa_system_sgpr_workgroup_id_z 0
		.amdhsa_system_sgpr_workgroup_info 0
		.amdhsa_system_vgpr_workitem_id 0
		.amdhsa_next_free_vgpr 1
		.amdhsa_next_free_sgpr 0
		.amdhsa_accum_offset 4
		.amdhsa_reserve_vcc 0
		.amdhsa_reserve_flat_scratch 0
		.amdhsa_float_round_mode_32 0
		.amdhsa_float_round_mode_16_64 0
		.amdhsa_float_denorm_mode_32 3
		.amdhsa_float_denorm_mode_16_64 3
		.amdhsa_dx10_clamp 1
		.amdhsa_ieee_mode 1
		.amdhsa_fp16_overflow 0
		.amdhsa_tg_split 0
		.amdhsa_exception_fp_ieee_invalid_op 0
		.amdhsa_exception_fp_denorm_src 0
		.amdhsa_exception_fp_ieee_div_zero 0
		.amdhsa_exception_fp_ieee_overflow 0
		.amdhsa_exception_fp_ieee_underflow 0
		.amdhsa_exception_fp_ieee_inexact 0
		.amdhsa_exception_int_div_zero 0
	.end_amdhsa_kernel
	.section	.text._ZN7rocprim17ROCPRIM_400000_NS6detail17trampoline_kernelINS0_14default_configENS1_35radix_sort_onesweep_config_selectorIsNS0_10empty_typeEEEZZNS1_29radix_sort_onesweep_iterationIS3_Lb0EN6thrust23THRUST_200600_302600_NS6detail15normal_iteratorINS9_10device_ptrIsEEEESE_PS5_SF_jNS0_19identity_decomposerENS1_16block_id_wrapperIjLb1EEEEE10hipError_tT1_PNSt15iterator_traitsISK_E10value_typeET2_T3_PNSL_ISQ_E10value_typeET4_T5_PSV_SW_PNS1_23onesweep_lookback_stateEbbT6_jjT7_P12ihipStream_tbENKUlT_T0_SK_SP_E_clISE_PsSF_SF_EEDaS13_S14_SK_SP_EUlS13_E_NS1_11comp_targetILNS1_3genE8ELNS1_11target_archE1030ELNS1_3gpuE2ELNS1_3repE0EEENS1_47radix_sort_onesweep_sort_config_static_selectorELNS0_4arch9wavefront6targetE1EEEvSK_,"axG",@progbits,_ZN7rocprim17ROCPRIM_400000_NS6detail17trampoline_kernelINS0_14default_configENS1_35radix_sort_onesweep_config_selectorIsNS0_10empty_typeEEEZZNS1_29radix_sort_onesweep_iterationIS3_Lb0EN6thrust23THRUST_200600_302600_NS6detail15normal_iteratorINS9_10device_ptrIsEEEESE_PS5_SF_jNS0_19identity_decomposerENS1_16block_id_wrapperIjLb1EEEEE10hipError_tT1_PNSt15iterator_traitsISK_E10value_typeET2_T3_PNSL_ISQ_E10value_typeET4_T5_PSV_SW_PNS1_23onesweep_lookback_stateEbbT6_jjT7_P12ihipStream_tbENKUlT_T0_SK_SP_E_clISE_PsSF_SF_EEDaS13_S14_SK_SP_EUlS13_E_NS1_11comp_targetILNS1_3genE8ELNS1_11target_archE1030ELNS1_3gpuE2ELNS1_3repE0EEENS1_47radix_sort_onesweep_sort_config_static_selectorELNS0_4arch9wavefront6targetE1EEEvSK_,comdat
.Lfunc_end1967:
	.size	_ZN7rocprim17ROCPRIM_400000_NS6detail17trampoline_kernelINS0_14default_configENS1_35radix_sort_onesweep_config_selectorIsNS0_10empty_typeEEEZZNS1_29radix_sort_onesweep_iterationIS3_Lb0EN6thrust23THRUST_200600_302600_NS6detail15normal_iteratorINS9_10device_ptrIsEEEESE_PS5_SF_jNS0_19identity_decomposerENS1_16block_id_wrapperIjLb1EEEEE10hipError_tT1_PNSt15iterator_traitsISK_E10value_typeET2_T3_PNSL_ISQ_E10value_typeET4_T5_PSV_SW_PNS1_23onesweep_lookback_stateEbbT6_jjT7_P12ihipStream_tbENKUlT_T0_SK_SP_E_clISE_PsSF_SF_EEDaS13_S14_SK_SP_EUlS13_E_NS1_11comp_targetILNS1_3genE8ELNS1_11target_archE1030ELNS1_3gpuE2ELNS1_3repE0EEENS1_47radix_sort_onesweep_sort_config_static_selectorELNS0_4arch9wavefront6targetE1EEEvSK_, .Lfunc_end1967-_ZN7rocprim17ROCPRIM_400000_NS6detail17trampoline_kernelINS0_14default_configENS1_35radix_sort_onesweep_config_selectorIsNS0_10empty_typeEEEZZNS1_29radix_sort_onesweep_iterationIS3_Lb0EN6thrust23THRUST_200600_302600_NS6detail15normal_iteratorINS9_10device_ptrIsEEEESE_PS5_SF_jNS0_19identity_decomposerENS1_16block_id_wrapperIjLb1EEEEE10hipError_tT1_PNSt15iterator_traitsISK_E10value_typeET2_T3_PNSL_ISQ_E10value_typeET4_T5_PSV_SW_PNS1_23onesweep_lookback_stateEbbT6_jjT7_P12ihipStream_tbENKUlT_T0_SK_SP_E_clISE_PsSF_SF_EEDaS13_S14_SK_SP_EUlS13_E_NS1_11comp_targetILNS1_3genE8ELNS1_11target_archE1030ELNS1_3gpuE2ELNS1_3repE0EEENS1_47radix_sort_onesweep_sort_config_static_selectorELNS0_4arch9wavefront6targetE1EEEvSK_
                                        ; -- End function
	.section	.AMDGPU.csdata,"",@progbits
; Kernel info:
; codeLenInByte = 0
; NumSgprs: 4
; NumVgprs: 0
; NumAgprs: 0
; TotalNumVgprs: 0
; ScratchSize: 0
; MemoryBound: 0
; FloatMode: 240
; IeeeMode: 1
; LDSByteSize: 0 bytes/workgroup (compile time only)
; SGPRBlocks: 0
; VGPRBlocks: 0
; NumSGPRsForWavesPerEU: 4
; NumVGPRsForWavesPerEU: 1
; AccumOffset: 4
; Occupancy: 8
; WaveLimiterHint : 0
; COMPUTE_PGM_RSRC2:SCRATCH_EN: 0
; COMPUTE_PGM_RSRC2:USER_SGPR: 6
; COMPUTE_PGM_RSRC2:TRAP_HANDLER: 0
; COMPUTE_PGM_RSRC2:TGID_X_EN: 1
; COMPUTE_PGM_RSRC2:TGID_Y_EN: 0
; COMPUTE_PGM_RSRC2:TGID_Z_EN: 0
; COMPUTE_PGM_RSRC2:TIDIG_COMP_CNT: 0
; COMPUTE_PGM_RSRC3_GFX90A:ACCUM_OFFSET: 0
; COMPUTE_PGM_RSRC3_GFX90A:TG_SPLIT: 0
	.section	.text._ZN7rocprim17ROCPRIM_400000_NS6detail17trampoline_kernelINS0_14default_configENS1_35radix_sort_onesweep_config_selectorIsNS0_10empty_typeEEEZZNS1_29radix_sort_onesweep_iterationIS3_Lb0EN6thrust23THRUST_200600_302600_NS6detail15normal_iteratorINS9_10device_ptrIsEEEESE_PS5_SF_jNS0_19identity_decomposerENS1_16block_id_wrapperIjLb1EEEEE10hipError_tT1_PNSt15iterator_traitsISK_E10value_typeET2_T3_PNSL_ISQ_E10value_typeET4_T5_PSV_SW_PNS1_23onesweep_lookback_stateEbbT6_jjT7_P12ihipStream_tbENKUlT_T0_SK_SP_E_clIPsSE_SF_SF_EEDaS13_S14_SK_SP_EUlS13_E_NS1_11comp_targetILNS1_3genE0ELNS1_11target_archE4294967295ELNS1_3gpuE0ELNS1_3repE0EEENS1_47radix_sort_onesweep_sort_config_static_selectorELNS0_4arch9wavefront6targetE1EEEvSK_,"axG",@progbits,_ZN7rocprim17ROCPRIM_400000_NS6detail17trampoline_kernelINS0_14default_configENS1_35radix_sort_onesweep_config_selectorIsNS0_10empty_typeEEEZZNS1_29radix_sort_onesweep_iterationIS3_Lb0EN6thrust23THRUST_200600_302600_NS6detail15normal_iteratorINS9_10device_ptrIsEEEESE_PS5_SF_jNS0_19identity_decomposerENS1_16block_id_wrapperIjLb1EEEEE10hipError_tT1_PNSt15iterator_traitsISK_E10value_typeET2_T3_PNSL_ISQ_E10value_typeET4_T5_PSV_SW_PNS1_23onesweep_lookback_stateEbbT6_jjT7_P12ihipStream_tbENKUlT_T0_SK_SP_E_clIPsSE_SF_SF_EEDaS13_S14_SK_SP_EUlS13_E_NS1_11comp_targetILNS1_3genE0ELNS1_11target_archE4294967295ELNS1_3gpuE0ELNS1_3repE0EEENS1_47radix_sort_onesweep_sort_config_static_selectorELNS0_4arch9wavefront6targetE1EEEvSK_,comdat
	.protected	_ZN7rocprim17ROCPRIM_400000_NS6detail17trampoline_kernelINS0_14default_configENS1_35radix_sort_onesweep_config_selectorIsNS0_10empty_typeEEEZZNS1_29radix_sort_onesweep_iterationIS3_Lb0EN6thrust23THRUST_200600_302600_NS6detail15normal_iteratorINS9_10device_ptrIsEEEESE_PS5_SF_jNS0_19identity_decomposerENS1_16block_id_wrapperIjLb1EEEEE10hipError_tT1_PNSt15iterator_traitsISK_E10value_typeET2_T3_PNSL_ISQ_E10value_typeET4_T5_PSV_SW_PNS1_23onesweep_lookback_stateEbbT6_jjT7_P12ihipStream_tbENKUlT_T0_SK_SP_E_clIPsSE_SF_SF_EEDaS13_S14_SK_SP_EUlS13_E_NS1_11comp_targetILNS1_3genE0ELNS1_11target_archE4294967295ELNS1_3gpuE0ELNS1_3repE0EEENS1_47radix_sort_onesweep_sort_config_static_selectorELNS0_4arch9wavefront6targetE1EEEvSK_ ; -- Begin function _ZN7rocprim17ROCPRIM_400000_NS6detail17trampoline_kernelINS0_14default_configENS1_35radix_sort_onesweep_config_selectorIsNS0_10empty_typeEEEZZNS1_29radix_sort_onesweep_iterationIS3_Lb0EN6thrust23THRUST_200600_302600_NS6detail15normal_iteratorINS9_10device_ptrIsEEEESE_PS5_SF_jNS0_19identity_decomposerENS1_16block_id_wrapperIjLb1EEEEE10hipError_tT1_PNSt15iterator_traitsISK_E10value_typeET2_T3_PNSL_ISQ_E10value_typeET4_T5_PSV_SW_PNS1_23onesweep_lookback_stateEbbT6_jjT7_P12ihipStream_tbENKUlT_T0_SK_SP_E_clIPsSE_SF_SF_EEDaS13_S14_SK_SP_EUlS13_E_NS1_11comp_targetILNS1_3genE0ELNS1_11target_archE4294967295ELNS1_3gpuE0ELNS1_3repE0EEENS1_47radix_sort_onesweep_sort_config_static_selectorELNS0_4arch9wavefront6targetE1EEEvSK_
	.globl	_ZN7rocprim17ROCPRIM_400000_NS6detail17trampoline_kernelINS0_14default_configENS1_35radix_sort_onesweep_config_selectorIsNS0_10empty_typeEEEZZNS1_29radix_sort_onesweep_iterationIS3_Lb0EN6thrust23THRUST_200600_302600_NS6detail15normal_iteratorINS9_10device_ptrIsEEEESE_PS5_SF_jNS0_19identity_decomposerENS1_16block_id_wrapperIjLb1EEEEE10hipError_tT1_PNSt15iterator_traitsISK_E10value_typeET2_T3_PNSL_ISQ_E10value_typeET4_T5_PSV_SW_PNS1_23onesweep_lookback_stateEbbT6_jjT7_P12ihipStream_tbENKUlT_T0_SK_SP_E_clIPsSE_SF_SF_EEDaS13_S14_SK_SP_EUlS13_E_NS1_11comp_targetILNS1_3genE0ELNS1_11target_archE4294967295ELNS1_3gpuE0ELNS1_3repE0EEENS1_47radix_sort_onesweep_sort_config_static_selectorELNS0_4arch9wavefront6targetE1EEEvSK_
	.p2align	8
	.type	_ZN7rocprim17ROCPRIM_400000_NS6detail17trampoline_kernelINS0_14default_configENS1_35radix_sort_onesweep_config_selectorIsNS0_10empty_typeEEEZZNS1_29radix_sort_onesweep_iterationIS3_Lb0EN6thrust23THRUST_200600_302600_NS6detail15normal_iteratorINS9_10device_ptrIsEEEESE_PS5_SF_jNS0_19identity_decomposerENS1_16block_id_wrapperIjLb1EEEEE10hipError_tT1_PNSt15iterator_traitsISK_E10value_typeET2_T3_PNSL_ISQ_E10value_typeET4_T5_PSV_SW_PNS1_23onesweep_lookback_stateEbbT6_jjT7_P12ihipStream_tbENKUlT_T0_SK_SP_E_clIPsSE_SF_SF_EEDaS13_S14_SK_SP_EUlS13_E_NS1_11comp_targetILNS1_3genE0ELNS1_11target_archE4294967295ELNS1_3gpuE0ELNS1_3repE0EEENS1_47radix_sort_onesweep_sort_config_static_selectorELNS0_4arch9wavefront6targetE1EEEvSK_,@function
_ZN7rocprim17ROCPRIM_400000_NS6detail17trampoline_kernelINS0_14default_configENS1_35radix_sort_onesweep_config_selectorIsNS0_10empty_typeEEEZZNS1_29radix_sort_onesweep_iterationIS3_Lb0EN6thrust23THRUST_200600_302600_NS6detail15normal_iteratorINS9_10device_ptrIsEEEESE_PS5_SF_jNS0_19identity_decomposerENS1_16block_id_wrapperIjLb1EEEEE10hipError_tT1_PNSt15iterator_traitsISK_E10value_typeET2_T3_PNSL_ISQ_E10value_typeET4_T5_PSV_SW_PNS1_23onesweep_lookback_stateEbbT6_jjT7_P12ihipStream_tbENKUlT_T0_SK_SP_E_clIPsSE_SF_SF_EEDaS13_S14_SK_SP_EUlS13_E_NS1_11comp_targetILNS1_3genE0ELNS1_11target_archE4294967295ELNS1_3gpuE0ELNS1_3repE0EEENS1_47radix_sort_onesweep_sort_config_static_selectorELNS0_4arch9wavefront6targetE1EEEvSK_: ; @_ZN7rocprim17ROCPRIM_400000_NS6detail17trampoline_kernelINS0_14default_configENS1_35radix_sort_onesweep_config_selectorIsNS0_10empty_typeEEEZZNS1_29radix_sort_onesweep_iterationIS3_Lb0EN6thrust23THRUST_200600_302600_NS6detail15normal_iteratorINS9_10device_ptrIsEEEESE_PS5_SF_jNS0_19identity_decomposerENS1_16block_id_wrapperIjLb1EEEEE10hipError_tT1_PNSt15iterator_traitsISK_E10value_typeET2_T3_PNSL_ISQ_E10value_typeET4_T5_PSV_SW_PNS1_23onesweep_lookback_stateEbbT6_jjT7_P12ihipStream_tbENKUlT_T0_SK_SP_E_clIPsSE_SF_SF_EEDaS13_S14_SK_SP_EUlS13_E_NS1_11comp_targetILNS1_3genE0ELNS1_11target_archE4294967295ELNS1_3gpuE0ELNS1_3repE0EEENS1_47radix_sort_onesweep_sort_config_static_selectorELNS0_4arch9wavefront6targetE1EEEvSK_
; %bb.0:
	.section	.rodata,"a",@progbits
	.p2align	6, 0x0
	.amdhsa_kernel _ZN7rocprim17ROCPRIM_400000_NS6detail17trampoline_kernelINS0_14default_configENS1_35radix_sort_onesweep_config_selectorIsNS0_10empty_typeEEEZZNS1_29radix_sort_onesweep_iterationIS3_Lb0EN6thrust23THRUST_200600_302600_NS6detail15normal_iteratorINS9_10device_ptrIsEEEESE_PS5_SF_jNS0_19identity_decomposerENS1_16block_id_wrapperIjLb1EEEEE10hipError_tT1_PNSt15iterator_traitsISK_E10value_typeET2_T3_PNSL_ISQ_E10value_typeET4_T5_PSV_SW_PNS1_23onesweep_lookback_stateEbbT6_jjT7_P12ihipStream_tbENKUlT_T0_SK_SP_E_clIPsSE_SF_SF_EEDaS13_S14_SK_SP_EUlS13_E_NS1_11comp_targetILNS1_3genE0ELNS1_11target_archE4294967295ELNS1_3gpuE0ELNS1_3repE0EEENS1_47radix_sort_onesweep_sort_config_static_selectorELNS0_4arch9wavefront6targetE1EEEvSK_
		.amdhsa_group_segment_fixed_size 0
		.amdhsa_private_segment_fixed_size 0
		.amdhsa_kernarg_size 88
		.amdhsa_user_sgpr_count 6
		.amdhsa_user_sgpr_private_segment_buffer 1
		.amdhsa_user_sgpr_dispatch_ptr 0
		.amdhsa_user_sgpr_queue_ptr 0
		.amdhsa_user_sgpr_kernarg_segment_ptr 1
		.amdhsa_user_sgpr_dispatch_id 0
		.amdhsa_user_sgpr_flat_scratch_init 0
		.amdhsa_user_sgpr_kernarg_preload_length 0
		.amdhsa_user_sgpr_kernarg_preload_offset 0
		.amdhsa_user_sgpr_private_segment_size 0
		.amdhsa_uses_dynamic_stack 0
		.amdhsa_system_sgpr_private_segment_wavefront_offset 0
		.amdhsa_system_sgpr_workgroup_id_x 1
		.amdhsa_system_sgpr_workgroup_id_y 0
		.amdhsa_system_sgpr_workgroup_id_z 0
		.amdhsa_system_sgpr_workgroup_info 0
		.amdhsa_system_vgpr_workitem_id 0
		.amdhsa_next_free_vgpr 1
		.amdhsa_next_free_sgpr 0
		.amdhsa_accum_offset 4
		.amdhsa_reserve_vcc 0
		.amdhsa_reserve_flat_scratch 0
		.amdhsa_float_round_mode_32 0
		.amdhsa_float_round_mode_16_64 0
		.amdhsa_float_denorm_mode_32 3
		.amdhsa_float_denorm_mode_16_64 3
		.amdhsa_dx10_clamp 1
		.amdhsa_ieee_mode 1
		.amdhsa_fp16_overflow 0
		.amdhsa_tg_split 0
		.amdhsa_exception_fp_ieee_invalid_op 0
		.amdhsa_exception_fp_denorm_src 0
		.amdhsa_exception_fp_ieee_div_zero 0
		.amdhsa_exception_fp_ieee_overflow 0
		.amdhsa_exception_fp_ieee_underflow 0
		.amdhsa_exception_fp_ieee_inexact 0
		.amdhsa_exception_int_div_zero 0
	.end_amdhsa_kernel
	.section	.text._ZN7rocprim17ROCPRIM_400000_NS6detail17trampoline_kernelINS0_14default_configENS1_35radix_sort_onesweep_config_selectorIsNS0_10empty_typeEEEZZNS1_29radix_sort_onesweep_iterationIS3_Lb0EN6thrust23THRUST_200600_302600_NS6detail15normal_iteratorINS9_10device_ptrIsEEEESE_PS5_SF_jNS0_19identity_decomposerENS1_16block_id_wrapperIjLb1EEEEE10hipError_tT1_PNSt15iterator_traitsISK_E10value_typeET2_T3_PNSL_ISQ_E10value_typeET4_T5_PSV_SW_PNS1_23onesweep_lookback_stateEbbT6_jjT7_P12ihipStream_tbENKUlT_T0_SK_SP_E_clIPsSE_SF_SF_EEDaS13_S14_SK_SP_EUlS13_E_NS1_11comp_targetILNS1_3genE0ELNS1_11target_archE4294967295ELNS1_3gpuE0ELNS1_3repE0EEENS1_47radix_sort_onesweep_sort_config_static_selectorELNS0_4arch9wavefront6targetE1EEEvSK_,"axG",@progbits,_ZN7rocprim17ROCPRIM_400000_NS6detail17trampoline_kernelINS0_14default_configENS1_35radix_sort_onesweep_config_selectorIsNS0_10empty_typeEEEZZNS1_29radix_sort_onesweep_iterationIS3_Lb0EN6thrust23THRUST_200600_302600_NS6detail15normal_iteratorINS9_10device_ptrIsEEEESE_PS5_SF_jNS0_19identity_decomposerENS1_16block_id_wrapperIjLb1EEEEE10hipError_tT1_PNSt15iterator_traitsISK_E10value_typeET2_T3_PNSL_ISQ_E10value_typeET4_T5_PSV_SW_PNS1_23onesweep_lookback_stateEbbT6_jjT7_P12ihipStream_tbENKUlT_T0_SK_SP_E_clIPsSE_SF_SF_EEDaS13_S14_SK_SP_EUlS13_E_NS1_11comp_targetILNS1_3genE0ELNS1_11target_archE4294967295ELNS1_3gpuE0ELNS1_3repE0EEENS1_47radix_sort_onesweep_sort_config_static_selectorELNS0_4arch9wavefront6targetE1EEEvSK_,comdat
.Lfunc_end1968:
	.size	_ZN7rocprim17ROCPRIM_400000_NS6detail17trampoline_kernelINS0_14default_configENS1_35radix_sort_onesweep_config_selectorIsNS0_10empty_typeEEEZZNS1_29radix_sort_onesweep_iterationIS3_Lb0EN6thrust23THRUST_200600_302600_NS6detail15normal_iteratorINS9_10device_ptrIsEEEESE_PS5_SF_jNS0_19identity_decomposerENS1_16block_id_wrapperIjLb1EEEEE10hipError_tT1_PNSt15iterator_traitsISK_E10value_typeET2_T3_PNSL_ISQ_E10value_typeET4_T5_PSV_SW_PNS1_23onesweep_lookback_stateEbbT6_jjT7_P12ihipStream_tbENKUlT_T0_SK_SP_E_clIPsSE_SF_SF_EEDaS13_S14_SK_SP_EUlS13_E_NS1_11comp_targetILNS1_3genE0ELNS1_11target_archE4294967295ELNS1_3gpuE0ELNS1_3repE0EEENS1_47radix_sort_onesweep_sort_config_static_selectorELNS0_4arch9wavefront6targetE1EEEvSK_, .Lfunc_end1968-_ZN7rocprim17ROCPRIM_400000_NS6detail17trampoline_kernelINS0_14default_configENS1_35radix_sort_onesweep_config_selectorIsNS0_10empty_typeEEEZZNS1_29radix_sort_onesweep_iterationIS3_Lb0EN6thrust23THRUST_200600_302600_NS6detail15normal_iteratorINS9_10device_ptrIsEEEESE_PS5_SF_jNS0_19identity_decomposerENS1_16block_id_wrapperIjLb1EEEEE10hipError_tT1_PNSt15iterator_traitsISK_E10value_typeET2_T3_PNSL_ISQ_E10value_typeET4_T5_PSV_SW_PNS1_23onesweep_lookback_stateEbbT6_jjT7_P12ihipStream_tbENKUlT_T0_SK_SP_E_clIPsSE_SF_SF_EEDaS13_S14_SK_SP_EUlS13_E_NS1_11comp_targetILNS1_3genE0ELNS1_11target_archE4294967295ELNS1_3gpuE0ELNS1_3repE0EEENS1_47radix_sort_onesweep_sort_config_static_selectorELNS0_4arch9wavefront6targetE1EEEvSK_
                                        ; -- End function
	.section	.AMDGPU.csdata,"",@progbits
; Kernel info:
; codeLenInByte = 0
; NumSgprs: 4
; NumVgprs: 0
; NumAgprs: 0
; TotalNumVgprs: 0
; ScratchSize: 0
; MemoryBound: 0
; FloatMode: 240
; IeeeMode: 1
; LDSByteSize: 0 bytes/workgroup (compile time only)
; SGPRBlocks: 0
; VGPRBlocks: 0
; NumSGPRsForWavesPerEU: 4
; NumVGPRsForWavesPerEU: 1
; AccumOffset: 4
; Occupancy: 8
; WaveLimiterHint : 0
; COMPUTE_PGM_RSRC2:SCRATCH_EN: 0
; COMPUTE_PGM_RSRC2:USER_SGPR: 6
; COMPUTE_PGM_RSRC2:TRAP_HANDLER: 0
; COMPUTE_PGM_RSRC2:TGID_X_EN: 1
; COMPUTE_PGM_RSRC2:TGID_Y_EN: 0
; COMPUTE_PGM_RSRC2:TGID_Z_EN: 0
; COMPUTE_PGM_RSRC2:TIDIG_COMP_CNT: 0
; COMPUTE_PGM_RSRC3_GFX90A:ACCUM_OFFSET: 0
; COMPUTE_PGM_RSRC3_GFX90A:TG_SPLIT: 0
	.section	.text._ZN7rocprim17ROCPRIM_400000_NS6detail17trampoline_kernelINS0_14default_configENS1_35radix_sort_onesweep_config_selectorIsNS0_10empty_typeEEEZZNS1_29radix_sort_onesweep_iterationIS3_Lb0EN6thrust23THRUST_200600_302600_NS6detail15normal_iteratorINS9_10device_ptrIsEEEESE_PS5_SF_jNS0_19identity_decomposerENS1_16block_id_wrapperIjLb1EEEEE10hipError_tT1_PNSt15iterator_traitsISK_E10value_typeET2_T3_PNSL_ISQ_E10value_typeET4_T5_PSV_SW_PNS1_23onesweep_lookback_stateEbbT6_jjT7_P12ihipStream_tbENKUlT_T0_SK_SP_E_clIPsSE_SF_SF_EEDaS13_S14_SK_SP_EUlS13_E_NS1_11comp_targetILNS1_3genE6ELNS1_11target_archE950ELNS1_3gpuE13ELNS1_3repE0EEENS1_47radix_sort_onesweep_sort_config_static_selectorELNS0_4arch9wavefront6targetE1EEEvSK_,"axG",@progbits,_ZN7rocprim17ROCPRIM_400000_NS6detail17trampoline_kernelINS0_14default_configENS1_35radix_sort_onesweep_config_selectorIsNS0_10empty_typeEEEZZNS1_29radix_sort_onesweep_iterationIS3_Lb0EN6thrust23THRUST_200600_302600_NS6detail15normal_iteratorINS9_10device_ptrIsEEEESE_PS5_SF_jNS0_19identity_decomposerENS1_16block_id_wrapperIjLb1EEEEE10hipError_tT1_PNSt15iterator_traitsISK_E10value_typeET2_T3_PNSL_ISQ_E10value_typeET4_T5_PSV_SW_PNS1_23onesweep_lookback_stateEbbT6_jjT7_P12ihipStream_tbENKUlT_T0_SK_SP_E_clIPsSE_SF_SF_EEDaS13_S14_SK_SP_EUlS13_E_NS1_11comp_targetILNS1_3genE6ELNS1_11target_archE950ELNS1_3gpuE13ELNS1_3repE0EEENS1_47radix_sort_onesweep_sort_config_static_selectorELNS0_4arch9wavefront6targetE1EEEvSK_,comdat
	.protected	_ZN7rocprim17ROCPRIM_400000_NS6detail17trampoline_kernelINS0_14default_configENS1_35radix_sort_onesweep_config_selectorIsNS0_10empty_typeEEEZZNS1_29radix_sort_onesweep_iterationIS3_Lb0EN6thrust23THRUST_200600_302600_NS6detail15normal_iteratorINS9_10device_ptrIsEEEESE_PS5_SF_jNS0_19identity_decomposerENS1_16block_id_wrapperIjLb1EEEEE10hipError_tT1_PNSt15iterator_traitsISK_E10value_typeET2_T3_PNSL_ISQ_E10value_typeET4_T5_PSV_SW_PNS1_23onesweep_lookback_stateEbbT6_jjT7_P12ihipStream_tbENKUlT_T0_SK_SP_E_clIPsSE_SF_SF_EEDaS13_S14_SK_SP_EUlS13_E_NS1_11comp_targetILNS1_3genE6ELNS1_11target_archE950ELNS1_3gpuE13ELNS1_3repE0EEENS1_47radix_sort_onesweep_sort_config_static_selectorELNS0_4arch9wavefront6targetE1EEEvSK_ ; -- Begin function _ZN7rocprim17ROCPRIM_400000_NS6detail17trampoline_kernelINS0_14default_configENS1_35radix_sort_onesweep_config_selectorIsNS0_10empty_typeEEEZZNS1_29radix_sort_onesweep_iterationIS3_Lb0EN6thrust23THRUST_200600_302600_NS6detail15normal_iteratorINS9_10device_ptrIsEEEESE_PS5_SF_jNS0_19identity_decomposerENS1_16block_id_wrapperIjLb1EEEEE10hipError_tT1_PNSt15iterator_traitsISK_E10value_typeET2_T3_PNSL_ISQ_E10value_typeET4_T5_PSV_SW_PNS1_23onesweep_lookback_stateEbbT6_jjT7_P12ihipStream_tbENKUlT_T0_SK_SP_E_clIPsSE_SF_SF_EEDaS13_S14_SK_SP_EUlS13_E_NS1_11comp_targetILNS1_3genE6ELNS1_11target_archE950ELNS1_3gpuE13ELNS1_3repE0EEENS1_47radix_sort_onesweep_sort_config_static_selectorELNS0_4arch9wavefront6targetE1EEEvSK_
	.globl	_ZN7rocprim17ROCPRIM_400000_NS6detail17trampoline_kernelINS0_14default_configENS1_35radix_sort_onesweep_config_selectorIsNS0_10empty_typeEEEZZNS1_29radix_sort_onesweep_iterationIS3_Lb0EN6thrust23THRUST_200600_302600_NS6detail15normal_iteratorINS9_10device_ptrIsEEEESE_PS5_SF_jNS0_19identity_decomposerENS1_16block_id_wrapperIjLb1EEEEE10hipError_tT1_PNSt15iterator_traitsISK_E10value_typeET2_T3_PNSL_ISQ_E10value_typeET4_T5_PSV_SW_PNS1_23onesweep_lookback_stateEbbT6_jjT7_P12ihipStream_tbENKUlT_T0_SK_SP_E_clIPsSE_SF_SF_EEDaS13_S14_SK_SP_EUlS13_E_NS1_11comp_targetILNS1_3genE6ELNS1_11target_archE950ELNS1_3gpuE13ELNS1_3repE0EEENS1_47radix_sort_onesweep_sort_config_static_selectorELNS0_4arch9wavefront6targetE1EEEvSK_
	.p2align	8
	.type	_ZN7rocprim17ROCPRIM_400000_NS6detail17trampoline_kernelINS0_14default_configENS1_35radix_sort_onesweep_config_selectorIsNS0_10empty_typeEEEZZNS1_29radix_sort_onesweep_iterationIS3_Lb0EN6thrust23THRUST_200600_302600_NS6detail15normal_iteratorINS9_10device_ptrIsEEEESE_PS5_SF_jNS0_19identity_decomposerENS1_16block_id_wrapperIjLb1EEEEE10hipError_tT1_PNSt15iterator_traitsISK_E10value_typeET2_T3_PNSL_ISQ_E10value_typeET4_T5_PSV_SW_PNS1_23onesweep_lookback_stateEbbT6_jjT7_P12ihipStream_tbENKUlT_T0_SK_SP_E_clIPsSE_SF_SF_EEDaS13_S14_SK_SP_EUlS13_E_NS1_11comp_targetILNS1_3genE6ELNS1_11target_archE950ELNS1_3gpuE13ELNS1_3repE0EEENS1_47radix_sort_onesweep_sort_config_static_selectorELNS0_4arch9wavefront6targetE1EEEvSK_,@function
_ZN7rocprim17ROCPRIM_400000_NS6detail17trampoline_kernelINS0_14default_configENS1_35radix_sort_onesweep_config_selectorIsNS0_10empty_typeEEEZZNS1_29radix_sort_onesweep_iterationIS3_Lb0EN6thrust23THRUST_200600_302600_NS6detail15normal_iteratorINS9_10device_ptrIsEEEESE_PS5_SF_jNS0_19identity_decomposerENS1_16block_id_wrapperIjLb1EEEEE10hipError_tT1_PNSt15iterator_traitsISK_E10value_typeET2_T3_PNSL_ISQ_E10value_typeET4_T5_PSV_SW_PNS1_23onesweep_lookback_stateEbbT6_jjT7_P12ihipStream_tbENKUlT_T0_SK_SP_E_clIPsSE_SF_SF_EEDaS13_S14_SK_SP_EUlS13_E_NS1_11comp_targetILNS1_3genE6ELNS1_11target_archE950ELNS1_3gpuE13ELNS1_3repE0EEENS1_47radix_sort_onesweep_sort_config_static_selectorELNS0_4arch9wavefront6targetE1EEEvSK_: ; @_ZN7rocprim17ROCPRIM_400000_NS6detail17trampoline_kernelINS0_14default_configENS1_35radix_sort_onesweep_config_selectorIsNS0_10empty_typeEEEZZNS1_29radix_sort_onesweep_iterationIS3_Lb0EN6thrust23THRUST_200600_302600_NS6detail15normal_iteratorINS9_10device_ptrIsEEEESE_PS5_SF_jNS0_19identity_decomposerENS1_16block_id_wrapperIjLb1EEEEE10hipError_tT1_PNSt15iterator_traitsISK_E10value_typeET2_T3_PNSL_ISQ_E10value_typeET4_T5_PSV_SW_PNS1_23onesweep_lookback_stateEbbT6_jjT7_P12ihipStream_tbENKUlT_T0_SK_SP_E_clIPsSE_SF_SF_EEDaS13_S14_SK_SP_EUlS13_E_NS1_11comp_targetILNS1_3genE6ELNS1_11target_archE950ELNS1_3gpuE13ELNS1_3repE0EEENS1_47radix_sort_onesweep_sort_config_static_selectorELNS0_4arch9wavefront6targetE1EEEvSK_
; %bb.0:
	.section	.rodata,"a",@progbits
	.p2align	6, 0x0
	.amdhsa_kernel _ZN7rocprim17ROCPRIM_400000_NS6detail17trampoline_kernelINS0_14default_configENS1_35radix_sort_onesweep_config_selectorIsNS0_10empty_typeEEEZZNS1_29radix_sort_onesweep_iterationIS3_Lb0EN6thrust23THRUST_200600_302600_NS6detail15normal_iteratorINS9_10device_ptrIsEEEESE_PS5_SF_jNS0_19identity_decomposerENS1_16block_id_wrapperIjLb1EEEEE10hipError_tT1_PNSt15iterator_traitsISK_E10value_typeET2_T3_PNSL_ISQ_E10value_typeET4_T5_PSV_SW_PNS1_23onesweep_lookback_stateEbbT6_jjT7_P12ihipStream_tbENKUlT_T0_SK_SP_E_clIPsSE_SF_SF_EEDaS13_S14_SK_SP_EUlS13_E_NS1_11comp_targetILNS1_3genE6ELNS1_11target_archE950ELNS1_3gpuE13ELNS1_3repE0EEENS1_47radix_sort_onesweep_sort_config_static_selectorELNS0_4arch9wavefront6targetE1EEEvSK_
		.amdhsa_group_segment_fixed_size 0
		.amdhsa_private_segment_fixed_size 0
		.amdhsa_kernarg_size 88
		.amdhsa_user_sgpr_count 6
		.amdhsa_user_sgpr_private_segment_buffer 1
		.amdhsa_user_sgpr_dispatch_ptr 0
		.amdhsa_user_sgpr_queue_ptr 0
		.amdhsa_user_sgpr_kernarg_segment_ptr 1
		.amdhsa_user_sgpr_dispatch_id 0
		.amdhsa_user_sgpr_flat_scratch_init 0
		.amdhsa_user_sgpr_kernarg_preload_length 0
		.amdhsa_user_sgpr_kernarg_preload_offset 0
		.amdhsa_user_sgpr_private_segment_size 0
		.amdhsa_uses_dynamic_stack 0
		.amdhsa_system_sgpr_private_segment_wavefront_offset 0
		.amdhsa_system_sgpr_workgroup_id_x 1
		.amdhsa_system_sgpr_workgroup_id_y 0
		.amdhsa_system_sgpr_workgroup_id_z 0
		.amdhsa_system_sgpr_workgroup_info 0
		.amdhsa_system_vgpr_workitem_id 0
		.amdhsa_next_free_vgpr 1
		.amdhsa_next_free_sgpr 0
		.amdhsa_accum_offset 4
		.amdhsa_reserve_vcc 0
		.amdhsa_reserve_flat_scratch 0
		.amdhsa_float_round_mode_32 0
		.amdhsa_float_round_mode_16_64 0
		.amdhsa_float_denorm_mode_32 3
		.amdhsa_float_denorm_mode_16_64 3
		.amdhsa_dx10_clamp 1
		.amdhsa_ieee_mode 1
		.amdhsa_fp16_overflow 0
		.amdhsa_tg_split 0
		.amdhsa_exception_fp_ieee_invalid_op 0
		.amdhsa_exception_fp_denorm_src 0
		.amdhsa_exception_fp_ieee_div_zero 0
		.amdhsa_exception_fp_ieee_overflow 0
		.amdhsa_exception_fp_ieee_underflow 0
		.amdhsa_exception_fp_ieee_inexact 0
		.amdhsa_exception_int_div_zero 0
	.end_amdhsa_kernel
	.section	.text._ZN7rocprim17ROCPRIM_400000_NS6detail17trampoline_kernelINS0_14default_configENS1_35radix_sort_onesweep_config_selectorIsNS0_10empty_typeEEEZZNS1_29radix_sort_onesweep_iterationIS3_Lb0EN6thrust23THRUST_200600_302600_NS6detail15normal_iteratorINS9_10device_ptrIsEEEESE_PS5_SF_jNS0_19identity_decomposerENS1_16block_id_wrapperIjLb1EEEEE10hipError_tT1_PNSt15iterator_traitsISK_E10value_typeET2_T3_PNSL_ISQ_E10value_typeET4_T5_PSV_SW_PNS1_23onesweep_lookback_stateEbbT6_jjT7_P12ihipStream_tbENKUlT_T0_SK_SP_E_clIPsSE_SF_SF_EEDaS13_S14_SK_SP_EUlS13_E_NS1_11comp_targetILNS1_3genE6ELNS1_11target_archE950ELNS1_3gpuE13ELNS1_3repE0EEENS1_47radix_sort_onesweep_sort_config_static_selectorELNS0_4arch9wavefront6targetE1EEEvSK_,"axG",@progbits,_ZN7rocprim17ROCPRIM_400000_NS6detail17trampoline_kernelINS0_14default_configENS1_35radix_sort_onesweep_config_selectorIsNS0_10empty_typeEEEZZNS1_29radix_sort_onesweep_iterationIS3_Lb0EN6thrust23THRUST_200600_302600_NS6detail15normal_iteratorINS9_10device_ptrIsEEEESE_PS5_SF_jNS0_19identity_decomposerENS1_16block_id_wrapperIjLb1EEEEE10hipError_tT1_PNSt15iterator_traitsISK_E10value_typeET2_T3_PNSL_ISQ_E10value_typeET4_T5_PSV_SW_PNS1_23onesweep_lookback_stateEbbT6_jjT7_P12ihipStream_tbENKUlT_T0_SK_SP_E_clIPsSE_SF_SF_EEDaS13_S14_SK_SP_EUlS13_E_NS1_11comp_targetILNS1_3genE6ELNS1_11target_archE950ELNS1_3gpuE13ELNS1_3repE0EEENS1_47radix_sort_onesweep_sort_config_static_selectorELNS0_4arch9wavefront6targetE1EEEvSK_,comdat
.Lfunc_end1969:
	.size	_ZN7rocprim17ROCPRIM_400000_NS6detail17trampoline_kernelINS0_14default_configENS1_35radix_sort_onesweep_config_selectorIsNS0_10empty_typeEEEZZNS1_29radix_sort_onesweep_iterationIS3_Lb0EN6thrust23THRUST_200600_302600_NS6detail15normal_iteratorINS9_10device_ptrIsEEEESE_PS5_SF_jNS0_19identity_decomposerENS1_16block_id_wrapperIjLb1EEEEE10hipError_tT1_PNSt15iterator_traitsISK_E10value_typeET2_T3_PNSL_ISQ_E10value_typeET4_T5_PSV_SW_PNS1_23onesweep_lookback_stateEbbT6_jjT7_P12ihipStream_tbENKUlT_T0_SK_SP_E_clIPsSE_SF_SF_EEDaS13_S14_SK_SP_EUlS13_E_NS1_11comp_targetILNS1_3genE6ELNS1_11target_archE950ELNS1_3gpuE13ELNS1_3repE0EEENS1_47radix_sort_onesweep_sort_config_static_selectorELNS0_4arch9wavefront6targetE1EEEvSK_, .Lfunc_end1969-_ZN7rocprim17ROCPRIM_400000_NS6detail17trampoline_kernelINS0_14default_configENS1_35radix_sort_onesweep_config_selectorIsNS0_10empty_typeEEEZZNS1_29radix_sort_onesweep_iterationIS3_Lb0EN6thrust23THRUST_200600_302600_NS6detail15normal_iteratorINS9_10device_ptrIsEEEESE_PS5_SF_jNS0_19identity_decomposerENS1_16block_id_wrapperIjLb1EEEEE10hipError_tT1_PNSt15iterator_traitsISK_E10value_typeET2_T3_PNSL_ISQ_E10value_typeET4_T5_PSV_SW_PNS1_23onesweep_lookback_stateEbbT6_jjT7_P12ihipStream_tbENKUlT_T0_SK_SP_E_clIPsSE_SF_SF_EEDaS13_S14_SK_SP_EUlS13_E_NS1_11comp_targetILNS1_3genE6ELNS1_11target_archE950ELNS1_3gpuE13ELNS1_3repE0EEENS1_47radix_sort_onesweep_sort_config_static_selectorELNS0_4arch9wavefront6targetE1EEEvSK_
                                        ; -- End function
	.section	.AMDGPU.csdata,"",@progbits
; Kernel info:
; codeLenInByte = 0
; NumSgprs: 4
; NumVgprs: 0
; NumAgprs: 0
; TotalNumVgprs: 0
; ScratchSize: 0
; MemoryBound: 0
; FloatMode: 240
; IeeeMode: 1
; LDSByteSize: 0 bytes/workgroup (compile time only)
; SGPRBlocks: 0
; VGPRBlocks: 0
; NumSGPRsForWavesPerEU: 4
; NumVGPRsForWavesPerEU: 1
; AccumOffset: 4
; Occupancy: 8
; WaveLimiterHint : 0
; COMPUTE_PGM_RSRC2:SCRATCH_EN: 0
; COMPUTE_PGM_RSRC2:USER_SGPR: 6
; COMPUTE_PGM_RSRC2:TRAP_HANDLER: 0
; COMPUTE_PGM_RSRC2:TGID_X_EN: 1
; COMPUTE_PGM_RSRC2:TGID_Y_EN: 0
; COMPUTE_PGM_RSRC2:TGID_Z_EN: 0
; COMPUTE_PGM_RSRC2:TIDIG_COMP_CNT: 0
; COMPUTE_PGM_RSRC3_GFX90A:ACCUM_OFFSET: 0
; COMPUTE_PGM_RSRC3_GFX90A:TG_SPLIT: 0
	.section	.text._ZN7rocprim17ROCPRIM_400000_NS6detail17trampoline_kernelINS0_14default_configENS1_35radix_sort_onesweep_config_selectorIsNS0_10empty_typeEEEZZNS1_29radix_sort_onesweep_iterationIS3_Lb0EN6thrust23THRUST_200600_302600_NS6detail15normal_iteratorINS9_10device_ptrIsEEEESE_PS5_SF_jNS0_19identity_decomposerENS1_16block_id_wrapperIjLb1EEEEE10hipError_tT1_PNSt15iterator_traitsISK_E10value_typeET2_T3_PNSL_ISQ_E10value_typeET4_T5_PSV_SW_PNS1_23onesweep_lookback_stateEbbT6_jjT7_P12ihipStream_tbENKUlT_T0_SK_SP_E_clIPsSE_SF_SF_EEDaS13_S14_SK_SP_EUlS13_E_NS1_11comp_targetILNS1_3genE5ELNS1_11target_archE942ELNS1_3gpuE9ELNS1_3repE0EEENS1_47radix_sort_onesweep_sort_config_static_selectorELNS0_4arch9wavefront6targetE1EEEvSK_,"axG",@progbits,_ZN7rocprim17ROCPRIM_400000_NS6detail17trampoline_kernelINS0_14default_configENS1_35radix_sort_onesweep_config_selectorIsNS0_10empty_typeEEEZZNS1_29radix_sort_onesweep_iterationIS3_Lb0EN6thrust23THRUST_200600_302600_NS6detail15normal_iteratorINS9_10device_ptrIsEEEESE_PS5_SF_jNS0_19identity_decomposerENS1_16block_id_wrapperIjLb1EEEEE10hipError_tT1_PNSt15iterator_traitsISK_E10value_typeET2_T3_PNSL_ISQ_E10value_typeET4_T5_PSV_SW_PNS1_23onesweep_lookback_stateEbbT6_jjT7_P12ihipStream_tbENKUlT_T0_SK_SP_E_clIPsSE_SF_SF_EEDaS13_S14_SK_SP_EUlS13_E_NS1_11comp_targetILNS1_3genE5ELNS1_11target_archE942ELNS1_3gpuE9ELNS1_3repE0EEENS1_47radix_sort_onesweep_sort_config_static_selectorELNS0_4arch9wavefront6targetE1EEEvSK_,comdat
	.protected	_ZN7rocprim17ROCPRIM_400000_NS6detail17trampoline_kernelINS0_14default_configENS1_35radix_sort_onesweep_config_selectorIsNS0_10empty_typeEEEZZNS1_29radix_sort_onesweep_iterationIS3_Lb0EN6thrust23THRUST_200600_302600_NS6detail15normal_iteratorINS9_10device_ptrIsEEEESE_PS5_SF_jNS0_19identity_decomposerENS1_16block_id_wrapperIjLb1EEEEE10hipError_tT1_PNSt15iterator_traitsISK_E10value_typeET2_T3_PNSL_ISQ_E10value_typeET4_T5_PSV_SW_PNS1_23onesweep_lookback_stateEbbT6_jjT7_P12ihipStream_tbENKUlT_T0_SK_SP_E_clIPsSE_SF_SF_EEDaS13_S14_SK_SP_EUlS13_E_NS1_11comp_targetILNS1_3genE5ELNS1_11target_archE942ELNS1_3gpuE9ELNS1_3repE0EEENS1_47radix_sort_onesweep_sort_config_static_selectorELNS0_4arch9wavefront6targetE1EEEvSK_ ; -- Begin function _ZN7rocprim17ROCPRIM_400000_NS6detail17trampoline_kernelINS0_14default_configENS1_35radix_sort_onesweep_config_selectorIsNS0_10empty_typeEEEZZNS1_29radix_sort_onesweep_iterationIS3_Lb0EN6thrust23THRUST_200600_302600_NS6detail15normal_iteratorINS9_10device_ptrIsEEEESE_PS5_SF_jNS0_19identity_decomposerENS1_16block_id_wrapperIjLb1EEEEE10hipError_tT1_PNSt15iterator_traitsISK_E10value_typeET2_T3_PNSL_ISQ_E10value_typeET4_T5_PSV_SW_PNS1_23onesweep_lookback_stateEbbT6_jjT7_P12ihipStream_tbENKUlT_T0_SK_SP_E_clIPsSE_SF_SF_EEDaS13_S14_SK_SP_EUlS13_E_NS1_11comp_targetILNS1_3genE5ELNS1_11target_archE942ELNS1_3gpuE9ELNS1_3repE0EEENS1_47radix_sort_onesweep_sort_config_static_selectorELNS0_4arch9wavefront6targetE1EEEvSK_
	.globl	_ZN7rocprim17ROCPRIM_400000_NS6detail17trampoline_kernelINS0_14default_configENS1_35radix_sort_onesweep_config_selectorIsNS0_10empty_typeEEEZZNS1_29radix_sort_onesweep_iterationIS3_Lb0EN6thrust23THRUST_200600_302600_NS6detail15normal_iteratorINS9_10device_ptrIsEEEESE_PS5_SF_jNS0_19identity_decomposerENS1_16block_id_wrapperIjLb1EEEEE10hipError_tT1_PNSt15iterator_traitsISK_E10value_typeET2_T3_PNSL_ISQ_E10value_typeET4_T5_PSV_SW_PNS1_23onesweep_lookback_stateEbbT6_jjT7_P12ihipStream_tbENKUlT_T0_SK_SP_E_clIPsSE_SF_SF_EEDaS13_S14_SK_SP_EUlS13_E_NS1_11comp_targetILNS1_3genE5ELNS1_11target_archE942ELNS1_3gpuE9ELNS1_3repE0EEENS1_47radix_sort_onesweep_sort_config_static_selectorELNS0_4arch9wavefront6targetE1EEEvSK_
	.p2align	8
	.type	_ZN7rocprim17ROCPRIM_400000_NS6detail17trampoline_kernelINS0_14default_configENS1_35radix_sort_onesweep_config_selectorIsNS0_10empty_typeEEEZZNS1_29radix_sort_onesweep_iterationIS3_Lb0EN6thrust23THRUST_200600_302600_NS6detail15normal_iteratorINS9_10device_ptrIsEEEESE_PS5_SF_jNS0_19identity_decomposerENS1_16block_id_wrapperIjLb1EEEEE10hipError_tT1_PNSt15iterator_traitsISK_E10value_typeET2_T3_PNSL_ISQ_E10value_typeET4_T5_PSV_SW_PNS1_23onesweep_lookback_stateEbbT6_jjT7_P12ihipStream_tbENKUlT_T0_SK_SP_E_clIPsSE_SF_SF_EEDaS13_S14_SK_SP_EUlS13_E_NS1_11comp_targetILNS1_3genE5ELNS1_11target_archE942ELNS1_3gpuE9ELNS1_3repE0EEENS1_47radix_sort_onesweep_sort_config_static_selectorELNS0_4arch9wavefront6targetE1EEEvSK_,@function
_ZN7rocprim17ROCPRIM_400000_NS6detail17trampoline_kernelINS0_14default_configENS1_35radix_sort_onesweep_config_selectorIsNS0_10empty_typeEEEZZNS1_29radix_sort_onesweep_iterationIS3_Lb0EN6thrust23THRUST_200600_302600_NS6detail15normal_iteratorINS9_10device_ptrIsEEEESE_PS5_SF_jNS0_19identity_decomposerENS1_16block_id_wrapperIjLb1EEEEE10hipError_tT1_PNSt15iterator_traitsISK_E10value_typeET2_T3_PNSL_ISQ_E10value_typeET4_T5_PSV_SW_PNS1_23onesweep_lookback_stateEbbT6_jjT7_P12ihipStream_tbENKUlT_T0_SK_SP_E_clIPsSE_SF_SF_EEDaS13_S14_SK_SP_EUlS13_E_NS1_11comp_targetILNS1_3genE5ELNS1_11target_archE942ELNS1_3gpuE9ELNS1_3repE0EEENS1_47radix_sort_onesweep_sort_config_static_selectorELNS0_4arch9wavefront6targetE1EEEvSK_: ; @_ZN7rocprim17ROCPRIM_400000_NS6detail17trampoline_kernelINS0_14default_configENS1_35radix_sort_onesweep_config_selectorIsNS0_10empty_typeEEEZZNS1_29radix_sort_onesweep_iterationIS3_Lb0EN6thrust23THRUST_200600_302600_NS6detail15normal_iteratorINS9_10device_ptrIsEEEESE_PS5_SF_jNS0_19identity_decomposerENS1_16block_id_wrapperIjLb1EEEEE10hipError_tT1_PNSt15iterator_traitsISK_E10value_typeET2_T3_PNSL_ISQ_E10value_typeET4_T5_PSV_SW_PNS1_23onesweep_lookback_stateEbbT6_jjT7_P12ihipStream_tbENKUlT_T0_SK_SP_E_clIPsSE_SF_SF_EEDaS13_S14_SK_SP_EUlS13_E_NS1_11comp_targetILNS1_3genE5ELNS1_11target_archE942ELNS1_3gpuE9ELNS1_3repE0EEENS1_47radix_sort_onesweep_sort_config_static_selectorELNS0_4arch9wavefront6targetE1EEEvSK_
; %bb.0:
	.section	.rodata,"a",@progbits
	.p2align	6, 0x0
	.amdhsa_kernel _ZN7rocprim17ROCPRIM_400000_NS6detail17trampoline_kernelINS0_14default_configENS1_35radix_sort_onesweep_config_selectorIsNS0_10empty_typeEEEZZNS1_29radix_sort_onesweep_iterationIS3_Lb0EN6thrust23THRUST_200600_302600_NS6detail15normal_iteratorINS9_10device_ptrIsEEEESE_PS5_SF_jNS0_19identity_decomposerENS1_16block_id_wrapperIjLb1EEEEE10hipError_tT1_PNSt15iterator_traitsISK_E10value_typeET2_T3_PNSL_ISQ_E10value_typeET4_T5_PSV_SW_PNS1_23onesweep_lookback_stateEbbT6_jjT7_P12ihipStream_tbENKUlT_T0_SK_SP_E_clIPsSE_SF_SF_EEDaS13_S14_SK_SP_EUlS13_E_NS1_11comp_targetILNS1_3genE5ELNS1_11target_archE942ELNS1_3gpuE9ELNS1_3repE0EEENS1_47radix_sort_onesweep_sort_config_static_selectorELNS0_4arch9wavefront6targetE1EEEvSK_
		.amdhsa_group_segment_fixed_size 0
		.amdhsa_private_segment_fixed_size 0
		.amdhsa_kernarg_size 88
		.amdhsa_user_sgpr_count 6
		.amdhsa_user_sgpr_private_segment_buffer 1
		.amdhsa_user_sgpr_dispatch_ptr 0
		.amdhsa_user_sgpr_queue_ptr 0
		.amdhsa_user_sgpr_kernarg_segment_ptr 1
		.amdhsa_user_sgpr_dispatch_id 0
		.amdhsa_user_sgpr_flat_scratch_init 0
		.amdhsa_user_sgpr_kernarg_preload_length 0
		.amdhsa_user_sgpr_kernarg_preload_offset 0
		.amdhsa_user_sgpr_private_segment_size 0
		.amdhsa_uses_dynamic_stack 0
		.amdhsa_system_sgpr_private_segment_wavefront_offset 0
		.amdhsa_system_sgpr_workgroup_id_x 1
		.amdhsa_system_sgpr_workgroup_id_y 0
		.amdhsa_system_sgpr_workgroup_id_z 0
		.amdhsa_system_sgpr_workgroup_info 0
		.amdhsa_system_vgpr_workitem_id 0
		.amdhsa_next_free_vgpr 1
		.amdhsa_next_free_sgpr 0
		.amdhsa_accum_offset 4
		.amdhsa_reserve_vcc 0
		.amdhsa_reserve_flat_scratch 0
		.amdhsa_float_round_mode_32 0
		.amdhsa_float_round_mode_16_64 0
		.amdhsa_float_denorm_mode_32 3
		.amdhsa_float_denorm_mode_16_64 3
		.amdhsa_dx10_clamp 1
		.amdhsa_ieee_mode 1
		.amdhsa_fp16_overflow 0
		.amdhsa_tg_split 0
		.amdhsa_exception_fp_ieee_invalid_op 0
		.amdhsa_exception_fp_denorm_src 0
		.amdhsa_exception_fp_ieee_div_zero 0
		.amdhsa_exception_fp_ieee_overflow 0
		.amdhsa_exception_fp_ieee_underflow 0
		.amdhsa_exception_fp_ieee_inexact 0
		.amdhsa_exception_int_div_zero 0
	.end_amdhsa_kernel
	.section	.text._ZN7rocprim17ROCPRIM_400000_NS6detail17trampoline_kernelINS0_14default_configENS1_35radix_sort_onesweep_config_selectorIsNS0_10empty_typeEEEZZNS1_29radix_sort_onesweep_iterationIS3_Lb0EN6thrust23THRUST_200600_302600_NS6detail15normal_iteratorINS9_10device_ptrIsEEEESE_PS5_SF_jNS0_19identity_decomposerENS1_16block_id_wrapperIjLb1EEEEE10hipError_tT1_PNSt15iterator_traitsISK_E10value_typeET2_T3_PNSL_ISQ_E10value_typeET4_T5_PSV_SW_PNS1_23onesweep_lookback_stateEbbT6_jjT7_P12ihipStream_tbENKUlT_T0_SK_SP_E_clIPsSE_SF_SF_EEDaS13_S14_SK_SP_EUlS13_E_NS1_11comp_targetILNS1_3genE5ELNS1_11target_archE942ELNS1_3gpuE9ELNS1_3repE0EEENS1_47radix_sort_onesweep_sort_config_static_selectorELNS0_4arch9wavefront6targetE1EEEvSK_,"axG",@progbits,_ZN7rocprim17ROCPRIM_400000_NS6detail17trampoline_kernelINS0_14default_configENS1_35radix_sort_onesweep_config_selectorIsNS0_10empty_typeEEEZZNS1_29radix_sort_onesweep_iterationIS3_Lb0EN6thrust23THRUST_200600_302600_NS6detail15normal_iteratorINS9_10device_ptrIsEEEESE_PS5_SF_jNS0_19identity_decomposerENS1_16block_id_wrapperIjLb1EEEEE10hipError_tT1_PNSt15iterator_traitsISK_E10value_typeET2_T3_PNSL_ISQ_E10value_typeET4_T5_PSV_SW_PNS1_23onesweep_lookback_stateEbbT6_jjT7_P12ihipStream_tbENKUlT_T0_SK_SP_E_clIPsSE_SF_SF_EEDaS13_S14_SK_SP_EUlS13_E_NS1_11comp_targetILNS1_3genE5ELNS1_11target_archE942ELNS1_3gpuE9ELNS1_3repE0EEENS1_47radix_sort_onesweep_sort_config_static_selectorELNS0_4arch9wavefront6targetE1EEEvSK_,comdat
.Lfunc_end1970:
	.size	_ZN7rocprim17ROCPRIM_400000_NS6detail17trampoline_kernelINS0_14default_configENS1_35radix_sort_onesweep_config_selectorIsNS0_10empty_typeEEEZZNS1_29radix_sort_onesweep_iterationIS3_Lb0EN6thrust23THRUST_200600_302600_NS6detail15normal_iteratorINS9_10device_ptrIsEEEESE_PS5_SF_jNS0_19identity_decomposerENS1_16block_id_wrapperIjLb1EEEEE10hipError_tT1_PNSt15iterator_traitsISK_E10value_typeET2_T3_PNSL_ISQ_E10value_typeET4_T5_PSV_SW_PNS1_23onesweep_lookback_stateEbbT6_jjT7_P12ihipStream_tbENKUlT_T0_SK_SP_E_clIPsSE_SF_SF_EEDaS13_S14_SK_SP_EUlS13_E_NS1_11comp_targetILNS1_3genE5ELNS1_11target_archE942ELNS1_3gpuE9ELNS1_3repE0EEENS1_47radix_sort_onesweep_sort_config_static_selectorELNS0_4arch9wavefront6targetE1EEEvSK_, .Lfunc_end1970-_ZN7rocprim17ROCPRIM_400000_NS6detail17trampoline_kernelINS0_14default_configENS1_35radix_sort_onesweep_config_selectorIsNS0_10empty_typeEEEZZNS1_29radix_sort_onesweep_iterationIS3_Lb0EN6thrust23THRUST_200600_302600_NS6detail15normal_iteratorINS9_10device_ptrIsEEEESE_PS5_SF_jNS0_19identity_decomposerENS1_16block_id_wrapperIjLb1EEEEE10hipError_tT1_PNSt15iterator_traitsISK_E10value_typeET2_T3_PNSL_ISQ_E10value_typeET4_T5_PSV_SW_PNS1_23onesweep_lookback_stateEbbT6_jjT7_P12ihipStream_tbENKUlT_T0_SK_SP_E_clIPsSE_SF_SF_EEDaS13_S14_SK_SP_EUlS13_E_NS1_11comp_targetILNS1_3genE5ELNS1_11target_archE942ELNS1_3gpuE9ELNS1_3repE0EEENS1_47radix_sort_onesweep_sort_config_static_selectorELNS0_4arch9wavefront6targetE1EEEvSK_
                                        ; -- End function
	.section	.AMDGPU.csdata,"",@progbits
; Kernel info:
; codeLenInByte = 0
; NumSgprs: 4
; NumVgprs: 0
; NumAgprs: 0
; TotalNumVgprs: 0
; ScratchSize: 0
; MemoryBound: 0
; FloatMode: 240
; IeeeMode: 1
; LDSByteSize: 0 bytes/workgroup (compile time only)
; SGPRBlocks: 0
; VGPRBlocks: 0
; NumSGPRsForWavesPerEU: 4
; NumVGPRsForWavesPerEU: 1
; AccumOffset: 4
; Occupancy: 8
; WaveLimiterHint : 0
; COMPUTE_PGM_RSRC2:SCRATCH_EN: 0
; COMPUTE_PGM_RSRC2:USER_SGPR: 6
; COMPUTE_PGM_RSRC2:TRAP_HANDLER: 0
; COMPUTE_PGM_RSRC2:TGID_X_EN: 1
; COMPUTE_PGM_RSRC2:TGID_Y_EN: 0
; COMPUTE_PGM_RSRC2:TGID_Z_EN: 0
; COMPUTE_PGM_RSRC2:TIDIG_COMP_CNT: 0
; COMPUTE_PGM_RSRC3_GFX90A:ACCUM_OFFSET: 0
; COMPUTE_PGM_RSRC3_GFX90A:TG_SPLIT: 0
	.section	.text._ZN7rocprim17ROCPRIM_400000_NS6detail17trampoline_kernelINS0_14default_configENS1_35radix_sort_onesweep_config_selectorIsNS0_10empty_typeEEEZZNS1_29radix_sort_onesweep_iterationIS3_Lb0EN6thrust23THRUST_200600_302600_NS6detail15normal_iteratorINS9_10device_ptrIsEEEESE_PS5_SF_jNS0_19identity_decomposerENS1_16block_id_wrapperIjLb1EEEEE10hipError_tT1_PNSt15iterator_traitsISK_E10value_typeET2_T3_PNSL_ISQ_E10value_typeET4_T5_PSV_SW_PNS1_23onesweep_lookback_stateEbbT6_jjT7_P12ihipStream_tbENKUlT_T0_SK_SP_E_clIPsSE_SF_SF_EEDaS13_S14_SK_SP_EUlS13_E_NS1_11comp_targetILNS1_3genE2ELNS1_11target_archE906ELNS1_3gpuE6ELNS1_3repE0EEENS1_47radix_sort_onesweep_sort_config_static_selectorELNS0_4arch9wavefront6targetE1EEEvSK_,"axG",@progbits,_ZN7rocprim17ROCPRIM_400000_NS6detail17trampoline_kernelINS0_14default_configENS1_35radix_sort_onesweep_config_selectorIsNS0_10empty_typeEEEZZNS1_29radix_sort_onesweep_iterationIS3_Lb0EN6thrust23THRUST_200600_302600_NS6detail15normal_iteratorINS9_10device_ptrIsEEEESE_PS5_SF_jNS0_19identity_decomposerENS1_16block_id_wrapperIjLb1EEEEE10hipError_tT1_PNSt15iterator_traitsISK_E10value_typeET2_T3_PNSL_ISQ_E10value_typeET4_T5_PSV_SW_PNS1_23onesweep_lookback_stateEbbT6_jjT7_P12ihipStream_tbENKUlT_T0_SK_SP_E_clIPsSE_SF_SF_EEDaS13_S14_SK_SP_EUlS13_E_NS1_11comp_targetILNS1_3genE2ELNS1_11target_archE906ELNS1_3gpuE6ELNS1_3repE0EEENS1_47radix_sort_onesweep_sort_config_static_selectorELNS0_4arch9wavefront6targetE1EEEvSK_,comdat
	.protected	_ZN7rocprim17ROCPRIM_400000_NS6detail17trampoline_kernelINS0_14default_configENS1_35radix_sort_onesweep_config_selectorIsNS0_10empty_typeEEEZZNS1_29radix_sort_onesweep_iterationIS3_Lb0EN6thrust23THRUST_200600_302600_NS6detail15normal_iteratorINS9_10device_ptrIsEEEESE_PS5_SF_jNS0_19identity_decomposerENS1_16block_id_wrapperIjLb1EEEEE10hipError_tT1_PNSt15iterator_traitsISK_E10value_typeET2_T3_PNSL_ISQ_E10value_typeET4_T5_PSV_SW_PNS1_23onesweep_lookback_stateEbbT6_jjT7_P12ihipStream_tbENKUlT_T0_SK_SP_E_clIPsSE_SF_SF_EEDaS13_S14_SK_SP_EUlS13_E_NS1_11comp_targetILNS1_3genE2ELNS1_11target_archE906ELNS1_3gpuE6ELNS1_3repE0EEENS1_47radix_sort_onesweep_sort_config_static_selectorELNS0_4arch9wavefront6targetE1EEEvSK_ ; -- Begin function _ZN7rocprim17ROCPRIM_400000_NS6detail17trampoline_kernelINS0_14default_configENS1_35radix_sort_onesweep_config_selectorIsNS0_10empty_typeEEEZZNS1_29radix_sort_onesweep_iterationIS3_Lb0EN6thrust23THRUST_200600_302600_NS6detail15normal_iteratorINS9_10device_ptrIsEEEESE_PS5_SF_jNS0_19identity_decomposerENS1_16block_id_wrapperIjLb1EEEEE10hipError_tT1_PNSt15iterator_traitsISK_E10value_typeET2_T3_PNSL_ISQ_E10value_typeET4_T5_PSV_SW_PNS1_23onesweep_lookback_stateEbbT6_jjT7_P12ihipStream_tbENKUlT_T0_SK_SP_E_clIPsSE_SF_SF_EEDaS13_S14_SK_SP_EUlS13_E_NS1_11comp_targetILNS1_3genE2ELNS1_11target_archE906ELNS1_3gpuE6ELNS1_3repE0EEENS1_47radix_sort_onesweep_sort_config_static_selectorELNS0_4arch9wavefront6targetE1EEEvSK_
	.globl	_ZN7rocprim17ROCPRIM_400000_NS6detail17trampoline_kernelINS0_14default_configENS1_35radix_sort_onesweep_config_selectorIsNS0_10empty_typeEEEZZNS1_29radix_sort_onesweep_iterationIS3_Lb0EN6thrust23THRUST_200600_302600_NS6detail15normal_iteratorINS9_10device_ptrIsEEEESE_PS5_SF_jNS0_19identity_decomposerENS1_16block_id_wrapperIjLb1EEEEE10hipError_tT1_PNSt15iterator_traitsISK_E10value_typeET2_T3_PNSL_ISQ_E10value_typeET4_T5_PSV_SW_PNS1_23onesweep_lookback_stateEbbT6_jjT7_P12ihipStream_tbENKUlT_T0_SK_SP_E_clIPsSE_SF_SF_EEDaS13_S14_SK_SP_EUlS13_E_NS1_11comp_targetILNS1_3genE2ELNS1_11target_archE906ELNS1_3gpuE6ELNS1_3repE0EEENS1_47radix_sort_onesweep_sort_config_static_selectorELNS0_4arch9wavefront6targetE1EEEvSK_
	.p2align	8
	.type	_ZN7rocprim17ROCPRIM_400000_NS6detail17trampoline_kernelINS0_14default_configENS1_35radix_sort_onesweep_config_selectorIsNS0_10empty_typeEEEZZNS1_29radix_sort_onesweep_iterationIS3_Lb0EN6thrust23THRUST_200600_302600_NS6detail15normal_iteratorINS9_10device_ptrIsEEEESE_PS5_SF_jNS0_19identity_decomposerENS1_16block_id_wrapperIjLb1EEEEE10hipError_tT1_PNSt15iterator_traitsISK_E10value_typeET2_T3_PNSL_ISQ_E10value_typeET4_T5_PSV_SW_PNS1_23onesweep_lookback_stateEbbT6_jjT7_P12ihipStream_tbENKUlT_T0_SK_SP_E_clIPsSE_SF_SF_EEDaS13_S14_SK_SP_EUlS13_E_NS1_11comp_targetILNS1_3genE2ELNS1_11target_archE906ELNS1_3gpuE6ELNS1_3repE0EEENS1_47radix_sort_onesweep_sort_config_static_selectorELNS0_4arch9wavefront6targetE1EEEvSK_,@function
_ZN7rocprim17ROCPRIM_400000_NS6detail17trampoline_kernelINS0_14default_configENS1_35radix_sort_onesweep_config_selectorIsNS0_10empty_typeEEEZZNS1_29radix_sort_onesweep_iterationIS3_Lb0EN6thrust23THRUST_200600_302600_NS6detail15normal_iteratorINS9_10device_ptrIsEEEESE_PS5_SF_jNS0_19identity_decomposerENS1_16block_id_wrapperIjLb1EEEEE10hipError_tT1_PNSt15iterator_traitsISK_E10value_typeET2_T3_PNSL_ISQ_E10value_typeET4_T5_PSV_SW_PNS1_23onesweep_lookback_stateEbbT6_jjT7_P12ihipStream_tbENKUlT_T0_SK_SP_E_clIPsSE_SF_SF_EEDaS13_S14_SK_SP_EUlS13_E_NS1_11comp_targetILNS1_3genE2ELNS1_11target_archE906ELNS1_3gpuE6ELNS1_3repE0EEENS1_47radix_sort_onesweep_sort_config_static_selectorELNS0_4arch9wavefront6targetE1EEEvSK_: ; @_ZN7rocprim17ROCPRIM_400000_NS6detail17trampoline_kernelINS0_14default_configENS1_35radix_sort_onesweep_config_selectorIsNS0_10empty_typeEEEZZNS1_29radix_sort_onesweep_iterationIS3_Lb0EN6thrust23THRUST_200600_302600_NS6detail15normal_iteratorINS9_10device_ptrIsEEEESE_PS5_SF_jNS0_19identity_decomposerENS1_16block_id_wrapperIjLb1EEEEE10hipError_tT1_PNSt15iterator_traitsISK_E10value_typeET2_T3_PNSL_ISQ_E10value_typeET4_T5_PSV_SW_PNS1_23onesweep_lookback_stateEbbT6_jjT7_P12ihipStream_tbENKUlT_T0_SK_SP_E_clIPsSE_SF_SF_EEDaS13_S14_SK_SP_EUlS13_E_NS1_11comp_targetILNS1_3genE2ELNS1_11target_archE906ELNS1_3gpuE6ELNS1_3repE0EEENS1_47radix_sort_onesweep_sort_config_static_selectorELNS0_4arch9wavefront6targetE1EEEvSK_
; %bb.0:
	.section	.rodata,"a",@progbits
	.p2align	6, 0x0
	.amdhsa_kernel _ZN7rocprim17ROCPRIM_400000_NS6detail17trampoline_kernelINS0_14default_configENS1_35radix_sort_onesweep_config_selectorIsNS0_10empty_typeEEEZZNS1_29radix_sort_onesweep_iterationIS3_Lb0EN6thrust23THRUST_200600_302600_NS6detail15normal_iteratorINS9_10device_ptrIsEEEESE_PS5_SF_jNS0_19identity_decomposerENS1_16block_id_wrapperIjLb1EEEEE10hipError_tT1_PNSt15iterator_traitsISK_E10value_typeET2_T3_PNSL_ISQ_E10value_typeET4_T5_PSV_SW_PNS1_23onesweep_lookback_stateEbbT6_jjT7_P12ihipStream_tbENKUlT_T0_SK_SP_E_clIPsSE_SF_SF_EEDaS13_S14_SK_SP_EUlS13_E_NS1_11comp_targetILNS1_3genE2ELNS1_11target_archE906ELNS1_3gpuE6ELNS1_3repE0EEENS1_47radix_sort_onesweep_sort_config_static_selectorELNS0_4arch9wavefront6targetE1EEEvSK_
		.amdhsa_group_segment_fixed_size 0
		.amdhsa_private_segment_fixed_size 0
		.amdhsa_kernarg_size 88
		.amdhsa_user_sgpr_count 6
		.amdhsa_user_sgpr_private_segment_buffer 1
		.amdhsa_user_sgpr_dispatch_ptr 0
		.amdhsa_user_sgpr_queue_ptr 0
		.amdhsa_user_sgpr_kernarg_segment_ptr 1
		.amdhsa_user_sgpr_dispatch_id 0
		.amdhsa_user_sgpr_flat_scratch_init 0
		.amdhsa_user_sgpr_kernarg_preload_length 0
		.amdhsa_user_sgpr_kernarg_preload_offset 0
		.amdhsa_user_sgpr_private_segment_size 0
		.amdhsa_uses_dynamic_stack 0
		.amdhsa_system_sgpr_private_segment_wavefront_offset 0
		.amdhsa_system_sgpr_workgroup_id_x 1
		.amdhsa_system_sgpr_workgroup_id_y 0
		.amdhsa_system_sgpr_workgroup_id_z 0
		.amdhsa_system_sgpr_workgroup_info 0
		.amdhsa_system_vgpr_workitem_id 0
		.amdhsa_next_free_vgpr 1
		.amdhsa_next_free_sgpr 0
		.amdhsa_accum_offset 4
		.amdhsa_reserve_vcc 0
		.amdhsa_reserve_flat_scratch 0
		.amdhsa_float_round_mode_32 0
		.amdhsa_float_round_mode_16_64 0
		.amdhsa_float_denorm_mode_32 3
		.amdhsa_float_denorm_mode_16_64 3
		.amdhsa_dx10_clamp 1
		.amdhsa_ieee_mode 1
		.amdhsa_fp16_overflow 0
		.amdhsa_tg_split 0
		.amdhsa_exception_fp_ieee_invalid_op 0
		.amdhsa_exception_fp_denorm_src 0
		.amdhsa_exception_fp_ieee_div_zero 0
		.amdhsa_exception_fp_ieee_overflow 0
		.amdhsa_exception_fp_ieee_underflow 0
		.amdhsa_exception_fp_ieee_inexact 0
		.amdhsa_exception_int_div_zero 0
	.end_amdhsa_kernel
	.section	.text._ZN7rocprim17ROCPRIM_400000_NS6detail17trampoline_kernelINS0_14default_configENS1_35radix_sort_onesweep_config_selectorIsNS0_10empty_typeEEEZZNS1_29radix_sort_onesweep_iterationIS3_Lb0EN6thrust23THRUST_200600_302600_NS6detail15normal_iteratorINS9_10device_ptrIsEEEESE_PS5_SF_jNS0_19identity_decomposerENS1_16block_id_wrapperIjLb1EEEEE10hipError_tT1_PNSt15iterator_traitsISK_E10value_typeET2_T3_PNSL_ISQ_E10value_typeET4_T5_PSV_SW_PNS1_23onesweep_lookback_stateEbbT6_jjT7_P12ihipStream_tbENKUlT_T0_SK_SP_E_clIPsSE_SF_SF_EEDaS13_S14_SK_SP_EUlS13_E_NS1_11comp_targetILNS1_3genE2ELNS1_11target_archE906ELNS1_3gpuE6ELNS1_3repE0EEENS1_47radix_sort_onesweep_sort_config_static_selectorELNS0_4arch9wavefront6targetE1EEEvSK_,"axG",@progbits,_ZN7rocprim17ROCPRIM_400000_NS6detail17trampoline_kernelINS0_14default_configENS1_35radix_sort_onesweep_config_selectorIsNS0_10empty_typeEEEZZNS1_29radix_sort_onesweep_iterationIS3_Lb0EN6thrust23THRUST_200600_302600_NS6detail15normal_iteratorINS9_10device_ptrIsEEEESE_PS5_SF_jNS0_19identity_decomposerENS1_16block_id_wrapperIjLb1EEEEE10hipError_tT1_PNSt15iterator_traitsISK_E10value_typeET2_T3_PNSL_ISQ_E10value_typeET4_T5_PSV_SW_PNS1_23onesweep_lookback_stateEbbT6_jjT7_P12ihipStream_tbENKUlT_T0_SK_SP_E_clIPsSE_SF_SF_EEDaS13_S14_SK_SP_EUlS13_E_NS1_11comp_targetILNS1_3genE2ELNS1_11target_archE906ELNS1_3gpuE6ELNS1_3repE0EEENS1_47radix_sort_onesweep_sort_config_static_selectorELNS0_4arch9wavefront6targetE1EEEvSK_,comdat
.Lfunc_end1971:
	.size	_ZN7rocprim17ROCPRIM_400000_NS6detail17trampoline_kernelINS0_14default_configENS1_35radix_sort_onesweep_config_selectorIsNS0_10empty_typeEEEZZNS1_29radix_sort_onesweep_iterationIS3_Lb0EN6thrust23THRUST_200600_302600_NS6detail15normal_iteratorINS9_10device_ptrIsEEEESE_PS5_SF_jNS0_19identity_decomposerENS1_16block_id_wrapperIjLb1EEEEE10hipError_tT1_PNSt15iterator_traitsISK_E10value_typeET2_T3_PNSL_ISQ_E10value_typeET4_T5_PSV_SW_PNS1_23onesweep_lookback_stateEbbT6_jjT7_P12ihipStream_tbENKUlT_T0_SK_SP_E_clIPsSE_SF_SF_EEDaS13_S14_SK_SP_EUlS13_E_NS1_11comp_targetILNS1_3genE2ELNS1_11target_archE906ELNS1_3gpuE6ELNS1_3repE0EEENS1_47radix_sort_onesweep_sort_config_static_selectorELNS0_4arch9wavefront6targetE1EEEvSK_, .Lfunc_end1971-_ZN7rocprim17ROCPRIM_400000_NS6detail17trampoline_kernelINS0_14default_configENS1_35radix_sort_onesweep_config_selectorIsNS0_10empty_typeEEEZZNS1_29radix_sort_onesweep_iterationIS3_Lb0EN6thrust23THRUST_200600_302600_NS6detail15normal_iteratorINS9_10device_ptrIsEEEESE_PS5_SF_jNS0_19identity_decomposerENS1_16block_id_wrapperIjLb1EEEEE10hipError_tT1_PNSt15iterator_traitsISK_E10value_typeET2_T3_PNSL_ISQ_E10value_typeET4_T5_PSV_SW_PNS1_23onesweep_lookback_stateEbbT6_jjT7_P12ihipStream_tbENKUlT_T0_SK_SP_E_clIPsSE_SF_SF_EEDaS13_S14_SK_SP_EUlS13_E_NS1_11comp_targetILNS1_3genE2ELNS1_11target_archE906ELNS1_3gpuE6ELNS1_3repE0EEENS1_47radix_sort_onesweep_sort_config_static_selectorELNS0_4arch9wavefront6targetE1EEEvSK_
                                        ; -- End function
	.section	.AMDGPU.csdata,"",@progbits
; Kernel info:
; codeLenInByte = 0
; NumSgprs: 4
; NumVgprs: 0
; NumAgprs: 0
; TotalNumVgprs: 0
; ScratchSize: 0
; MemoryBound: 0
; FloatMode: 240
; IeeeMode: 1
; LDSByteSize: 0 bytes/workgroup (compile time only)
; SGPRBlocks: 0
; VGPRBlocks: 0
; NumSGPRsForWavesPerEU: 4
; NumVGPRsForWavesPerEU: 1
; AccumOffset: 4
; Occupancy: 8
; WaveLimiterHint : 0
; COMPUTE_PGM_RSRC2:SCRATCH_EN: 0
; COMPUTE_PGM_RSRC2:USER_SGPR: 6
; COMPUTE_PGM_RSRC2:TRAP_HANDLER: 0
; COMPUTE_PGM_RSRC2:TGID_X_EN: 1
; COMPUTE_PGM_RSRC2:TGID_Y_EN: 0
; COMPUTE_PGM_RSRC2:TGID_Z_EN: 0
; COMPUTE_PGM_RSRC2:TIDIG_COMP_CNT: 0
; COMPUTE_PGM_RSRC3_GFX90A:ACCUM_OFFSET: 0
; COMPUTE_PGM_RSRC3_GFX90A:TG_SPLIT: 0
	.section	.text._ZN7rocprim17ROCPRIM_400000_NS6detail17trampoline_kernelINS0_14default_configENS1_35radix_sort_onesweep_config_selectorIsNS0_10empty_typeEEEZZNS1_29radix_sort_onesweep_iterationIS3_Lb0EN6thrust23THRUST_200600_302600_NS6detail15normal_iteratorINS9_10device_ptrIsEEEESE_PS5_SF_jNS0_19identity_decomposerENS1_16block_id_wrapperIjLb1EEEEE10hipError_tT1_PNSt15iterator_traitsISK_E10value_typeET2_T3_PNSL_ISQ_E10value_typeET4_T5_PSV_SW_PNS1_23onesweep_lookback_stateEbbT6_jjT7_P12ihipStream_tbENKUlT_T0_SK_SP_E_clIPsSE_SF_SF_EEDaS13_S14_SK_SP_EUlS13_E_NS1_11comp_targetILNS1_3genE4ELNS1_11target_archE910ELNS1_3gpuE8ELNS1_3repE0EEENS1_47radix_sort_onesweep_sort_config_static_selectorELNS0_4arch9wavefront6targetE1EEEvSK_,"axG",@progbits,_ZN7rocprim17ROCPRIM_400000_NS6detail17trampoline_kernelINS0_14default_configENS1_35radix_sort_onesweep_config_selectorIsNS0_10empty_typeEEEZZNS1_29radix_sort_onesweep_iterationIS3_Lb0EN6thrust23THRUST_200600_302600_NS6detail15normal_iteratorINS9_10device_ptrIsEEEESE_PS5_SF_jNS0_19identity_decomposerENS1_16block_id_wrapperIjLb1EEEEE10hipError_tT1_PNSt15iterator_traitsISK_E10value_typeET2_T3_PNSL_ISQ_E10value_typeET4_T5_PSV_SW_PNS1_23onesweep_lookback_stateEbbT6_jjT7_P12ihipStream_tbENKUlT_T0_SK_SP_E_clIPsSE_SF_SF_EEDaS13_S14_SK_SP_EUlS13_E_NS1_11comp_targetILNS1_3genE4ELNS1_11target_archE910ELNS1_3gpuE8ELNS1_3repE0EEENS1_47radix_sort_onesweep_sort_config_static_selectorELNS0_4arch9wavefront6targetE1EEEvSK_,comdat
	.protected	_ZN7rocprim17ROCPRIM_400000_NS6detail17trampoline_kernelINS0_14default_configENS1_35radix_sort_onesweep_config_selectorIsNS0_10empty_typeEEEZZNS1_29radix_sort_onesweep_iterationIS3_Lb0EN6thrust23THRUST_200600_302600_NS6detail15normal_iteratorINS9_10device_ptrIsEEEESE_PS5_SF_jNS0_19identity_decomposerENS1_16block_id_wrapperIjLb1EEEEE10hipError_tT1_PNSt15iterator_traitsISK_E10value_typeET2_T3_PNSL_ISQ_E10value_typeET4_T5_PSV_SW_PNS1_23onesweep_lookback_stateEbbT6_jjT7_P12ihipStream_tbENKUlT_T0_SK_SP_E_clIPsSE_SF_SF_EEDaS13_S14_SK_SP_EUlS13_E_NS1_11comp_targetILNS1_3genE4ELNS1_11target_archE910ELNS1_3gpuE8ELNS1_3repE0EEENS1_47radix_sort_onesweep_sort_config_static_selectorELNS0_4arch9wavefront6targetE1EEEvSK_ ; -- Begin function _ZN7rocprim17ROCPRIM_400000_NS6detail17trampoline_kernelINS0_14default_configENS1_35radix_sort_onesweep_config_selectorIsNS0_10empty_typeEEEZZNS1_29radix_sort_onesweep_iterationIS3_Lb0EN6thrust23THRUST_200600_302600_NS6detail15normal_iteratorINS9_10device_ptrIsEEEESE_PS5_SF_jNS0_19identity_decomposerENS1_16block_id_wrapperIjLb1EEEEE10hipError_tT1_PNSt15iterator_traitsISK_E10value_typeET2_T3_PNSL_ISQ_E10value_typeET4_T5_PSV_SW_PNS1_23onesweep_lookback_stateEbbT6_jjT7_P12ihipStream_tbENKUlT_T0_SK_SP_E_clIPsSE_SF_SF_EEDaS13_S14_SK_SP_EUlS13_E_NS1_11comp_targetILNS1_3genE4ELNS1_11target_archE910ELNS1_3gpuE8ELNS1_3repE0EEENS1_47radix_sort_onesweep_sort_config_static_selectorELNS0_4arch9wavefront6targetE1EEEvSK_
	.globl	_ZN7rocprim17ROCPRIM_400000_NS6detail17trampoline_kernelINS0_14default_configENS1_35radix_sort_onesweep_config_selectorIsNS0_10empty_typeEEEZZNS1_29radix_sort_onesweep_iterationIS3_Lb0EN6thrust23THRUST_200600_302600_NS6detail15normal_iteratorINS9_10device_ptrIsEEEESE_PS5_SF_jNS0_19identity_decomposerENS1_16block_id_wrapperIjLb1EEEEE10hipError_tT1_PNSt15iterator_traitsISK_E10value_typeET2_T3_PNSL_ISQ_E10value_typeET4_T5_PSV_SW_PNS1_23onesweep_lookback_stateEbbT6_jjT7_P12ihipStream_tbENKUlT_T0_SK_SP_E_clIPsSE_SF_SF_EEDaS13_S14_SK_SP_EUlS13_E_NS1_11comp_targetILNS1_3genE4ELNS1_11target_archE910ELNS1_3gpuE8ELNS1_3repE0EEENS1_47radix_sort_onesweep_sort_config_static_selectorELNS0_4arch9wavefront6targetE1EEEvSK_
	.p2align	8
	.type	_ZN7rocprim17ROCPRIM_400000_NS6detail17trampoline_kernelINS0_14default_configENS1_35radix_sort_onesweep_config_selectorIsNS0_10empty_typeEEEZZNS1_29radix_sort_onesweep_iterationIS3_Lb0EN6thrust23THRUST_200600_302600_NS6detail15normal_iteratorINS9_10device_ptrIsEEEESE_PS5_SF_jNS0_19identity_decomposerENS1_16block_id_wrapperIjLb1EEEEE10hipError_tT1_PNSt15iterator_traitsISK_E10value_typeET2_T3_PNSL_ISQ_E10value_typeET4_T5_PSV_SW_PNS1_23onesweep_lookback_stateEbbT6_jjT7_P12ihipStream_tbENKUlT_T0_SK_SP_E_clIPsSE_SF_SF_EEDaS13_S14_SK_SP_EUlS13_E_NS1_11comp_targetILNS1_3genE4ELNS1_11target_archE910ELNS1_3gpuE8ELNS1_3repE0EEENS1_47radix_sort_onesweep_sort_config_static_selectorELNS0_4arch9wavefront6targetE1EEEvSK_,@function
_ZN7rocprim17ROCPRIM_400000_NS6detail17trampoline_kernelINS0_14default_configENS1_35radix_sort_onesweep_config_selectorIsNS0_10empty_typeEEEZZNS1_29radix_sort_onesweep_iterationIS3_Lb0EN6thrust23THRUST_200600_302600_NS6detail15normal_iteratorINS9_10device_ptrIsEEEESE_PS5_SF_jNS0_19identity_decomposerENS1_16block_id_wrapperIjLb1EEEEE10hipError_tT1_PNSt15iterator_traitsISK_E10value_typeET2_T3_PNSL_ISQ_E10value_typeET4_T5_PSV_SW_PNS1_23onesweep_lookback_stateEbbT6_jjT7_P12ihipStream_tbENKUlT_T0_SK_SP_E_clIPsSE_SF_SF_EEDaS13_S14_SK_SP_EUlS13_E_NS1_11comp_targetILNS1_3genE4ELNS1_11target_archE910ELNS1_3gpuE8ELNS1_3repE0EEENS1_47radix_sort_onesweep_sort_config_static_selectorELNS0_4arch9wavefront6targetE1EEEvSK_: ; @_ZN7rocprim17ROCPRIM_400000_NS6detail17trampoline_kernelINS0_14default_configENS1_35radix_sort_onesweep_config_selectorIsNS0_10empty_typeEEEZZNS1_29radix_sort_onesweep_iterationIS3_Lb0EN6thrust23THRUST_200600_302600_NS6detail15normal_iteratorINS9_10device_ptrIsEEEESE_PS5_SF_jNS0_19identity_decomposerENS1_16block_id_wrapperIjLb1EEEEE10hipError_tT1_PNSt15iterator_traitsISK_E10value_typeET2_T3_PNSL_ISQ_E10value_typeET4_T5_PSV_SW_PNS1_23onesweep_lookback_stateEbbT6_jjT7_P12ihipStream_tbENKUlT_T0_SK_SP_E_clIPsSE_SF_SF_EEDaS13_S14_SK_SP_EUlS13_E_NS1_11comp_targetILNS1_3genE4ELNS1_11target_archE910ELNS1_3gpuE8ELNS1_3repE0EEENS1_47radix_sort_onesweep_sort_config_static_selectorELNS0_4arch9wavefront6targetE1EEEvSK_
; %bb.0:
	s_load_dwordx4 s[16:19], s[4:5], 0x28
	s_load_dwordx2 s[14:15], s[4:5], 0x38
	s_load_dwordx4 s[20:23], s[4:5], 0x44
	v_and_b32_e32 v10, 0x3ff, v0
	v_cmp_eq_u32_e64 s[0:1], 0, v10
	s_and_saveexec_b64 s[2:3], s[0:1]
	s_cbranch_execz .LBB1972_4
; %bb.1:
	s_mov_b64 s[10:11], exec
	v_mbcnt_lo_u32_b32 v1, s10, 0
	v_mbcnt_hi_u32_b32 v1, s11, v1
	v_cmp_eq_u32_e32 vcc, 0, v1
                                        ; implicit-def: $vgpr2
	s_and_saveexec_b64 s[8:9], vcc
	s_cbranch_execz .LBB1972_3
; %bb.2:
	s_load_dwordx2 s[12:13], s[4:5], 0x50
	s_bcnt1_i32_b64 s7, s[10:11]
	v_mov_b32_e32 v2, 0
	v_mov_b32_e32 v3, s7
	s_waitcnt lgkmcnt(0)
	global_atomic_add v2, v2, v3, s[12:13] glc
.LBB1972_3:
	s_or_b64 exec, exec, s[8:9]
	s_waitcnt vmcnt(0)
	v_readfirstlane_b32 s7, v2
	v_add_u32_e32 v1, s7, v1
	v_mov_b32_e32 v2, 0
	ds_write_b32 v2, v1 offset:25600
.LBB1972_4:
	s_or_b64 exec, exec, s[2:3]
	v_mov_b32_e32 v1, 0
	s_load_dwordx4 s[24:27], s[4:5], 0x0
	s_load_dword s2, s[4:5], 0x20
	s_waitcnt lgkmcnt(0)
	s_barrier
	ds_read_b32 v1, v1 offset:25600
	s_waitcnt lgkmcnt(0)
	s_barrier
	v_readfirstlane_b32 s30, v1
	v_cmp_le_u32_e32 vcc, s22, v1
	s_mul_i32 s28, s30, 0x3000
	v_mbcnt_lo_u32_b32 v1, -1, 0
	s_cbranch_vccz .LBB1972_100
; %bb.5:
	s_mul_i32 s7, s22, 0xffffd000
	s_mov_b32 s29, 0
	s_add_i32 s7, s7, s2
	s_lshl_b64 s[2:3], s[28:29], 1
	v_mbcnt_hi_u32_b32 v11, -1, v1
	s_add_u32 s2, s24, s2
	v_and_b32_e32 v2, 63, v11
	s_addc_u32 s3, s25, s3
	v_and_b32_e32 v3, 0x3c0, v10
	v_lshlrev_b32_e32 v4, 1, v2
	v_mul_u32_u24_e32 v3, 12, v3
	v_mov_b32_e32 v5, s3
	v_add_co_u32_e32 v4, vcc, s2, v4
	v_addc_co_u32_e32 v5, vcc, 0, v5, vcc
	v_lshlrev_b32_e32 v6, 1, v3
	s_mov_b32 s8, 0x7fff7fff
	v_add_co_u32_e32 v12, vcc, v4, v6
	s_mov_b32 s9, s8
	v_addc_co_u32_e32 v13, vcc, 0, v5, vcc
	v_or_b32_e32 v14, v2, v3
	s_mov_b32 s10, s8
	s_mov_b32 s11, s8
	;; [unrolled: 1-line block ×4, first 2 shown]
	v_pk_mov_b32 v[2:3], s[8:9], s[8:9] op_sel:[0,1]
	v_cmp_gt_u32_e32 vcc, s7, v14
	v_pk_mov_b32 v[4:5], s[10:11], s[10:11] op_sel:[0,1]
	v_pk_mov_b32 v[6:7], s[12:13], s[12:13] op_sel:[0,1]
	;; [unrolled: 1-line block ×3, first 2 shown]
	s_and_saveexec_b64 s[2:3], vcc
	s_cbranch_execz .LBB1972_7
; %bb.6:
	global_load_ushort v2, v[12:13], off
	s_movk_i32 s8, 0x7fff
	v_mov_b32_e32 v7, 0x5040100
	v_mov_b32_e32 v3, 0x7fff7fff
	;; [unrolled: 1-line block ×5, first 2 shown]
	s_waitcnt vmcnt(0)
	v_perm_b32 v2, s8, v2, v7
	v_mov_b32_e32 v7, v3
.LBB1972_7:
	s_or_b64 exec, exec, s[2:3]
	v_or_b32_e32 v8, 64, v14
	v_cmp_gt_u32_e32 vcc, s7, v8
	s_and_saveexec_b64 s[2:3], vcc
	s_cbranch_execz .LBB1972_9
; %bb.8:
	global_load_ushort v8, v[12:13], off offset:128
	s_mov_b32 s8, 0x5040100
	s_waitcnt vmcnt(0)
	v_perm_b32 v2, v8, v2, s8
.LBB1972_9:
	s_or_b64 exec, exec, s[2:3]
	v_or_b32_e32 v8, 0x80, v14
	v_cmp_gt_u32_e32 vcc, s7, v8
	s_and_saveexec_b64 s[2:3], vcc
	s_cbranch_execz .LBB1972_11
; %bb.10:
	global_load_ushort v8, v[12:13], off offset:256
	s_mov_b32 s8, 0xffff
	s_waitcnt vmcnt(0)
	v_bfi_b32 v3, s8, v8, v3
.LBB1972_11:
	s_or_b64 exec, exec, s[2:3]
	v_or_b32_e32 v8, 0xc0, v14
	v_cmp_gt_u32_e32 vcc, s7, v8
	s_and_saveexec_b64 s[2:3], vcc
	s_cbranch_execz .LBB1972_13
; %bb.12:
	global_load_ushort v8, v[12:13], off offset:384
	s_mov_b32 s8, 0x5040100
	s_waitcnt vmcnt(0)
	v_perm_b32 v3, v8, v3, s8
.LBB1972_13:
	s_or_b64 exec, exec, s[2:3]
	v_add_u32_e32 v8, 0x100, v14
	v_cmp_gt_u32_e32 vcc, s7, v8
	s_and_saveexec_b64 s[2:3], vcc
	s_cbranch_execz .LBB1972_15
; %bb.14:
	global_load_ushort v8, v[12:13], off offset:512
	s_mov_b32 s8, 0xffff
	s_waitcnt vmcnt(0)
	v_bfi_b32 v4, s8, v8, v4
.LBB1972_15:
	s_or_b64 exec, exec, s[2:3]
	v_add_u32_e32 v8, 0x140, v14
	v_cmp_gt_u32_e32 vcc, s7, v8
	s_and_saveexec_b64 s[2:3], vcc
	s_cbranch_execz .LBB1972_17
; %bb.16:
	global_load_ushort v8, v[12:13], off offset:640
	s_mov_b32 s8, 0x5040100
	s_waitcnt vmcnt(0)
	v_perm_b32 v4, v8, v4, s8
.LBB1972_17:
	s_or_b64 exec, exec, s[2:3]
	v_add_u32_e32 v8, 0x180, v14
	v_cmp_gt_u32_e32 vcc, s7, v8
	s_and_saveexec_b64 s[2:3], vcc
	s_cbranch_execz .LBB1972_19
; %bb.18:
	global_load_ushort v8, v[12:13], off offset:768
	s_mov_b32 s8, 0xffff
	s_waitcnt vmcnt(0)
	v_bfi_b32 v5, s8, v8, v5
.LBB1972_19:
	s_or_b64 exec, exec, s[2:3]
	v_add_u32_e32 v8, 0x1c0, v14
	;; [unrolled: 22-line block ×4, first 2 shown]
	v_cmp_gt_u32_e32 vcc, s7, v8
	s_and_saveexec_b64 s[2:3], vcc
	s_cbranch_execz .LBB1972_29
; %bb.28:
	global_load_ushort v8, v[12:13], off offset:1408
	s_mov_b32 s8, 0x5040100
	s_waitcnt vmcnt(0)
	v_perm_b32 v7, v8, v7, s8
.LBB1972_29:
	s_or_b64 exec, exec, s[2:3]
	s_load_dword s2, s[4:5], 0x64
	s_load_dword s29, s[4:5], 0x58
	s_add_u32 s3, s4, 0x58
	s_addc_u32 s8, s5, 0
	v_mov_b32_e32 v8, 0
	s_waitcnt lgkmcnt(0)
	s_lshr_b32 s9, s2, 16
	s_cmp_lt_u32 s6, s29
	s_cselect_b32 s2, 12, 18
	s_add_u32 s2, s3, s2
	s_addc_u32 s3, s8, 0
	global_load_ushort v12, v8, s[2:3]
	v_xor_b32_e32 v14, 0xffff8000, v2
	s_lshl_b32 s2, -1, s21
	v_lshrrev_b32_sdwa v16, s20, v14 dst_sel:DWORD dst_unused:UNUSED_PAD src0_sel:DWORD src1_sel:WORD_0
	s_not_b32 s31, s2
	v_and_b32_e32 v16, s31, v16
	v_and_b32_e32 v18, 1, v16
	v_bfe_u32 v9, v0, 10, 10
	v_bfe_u32 v13, v0, 20, 10
	v_add_co_u32_e32 v19, vcc, -1, v18
	v_mad_u32_u24 v13, v13, s9, v9
	v_lshlrev_b32_e32 v9, 30, v16
	v_addc_co_u32_e64 v20, s[2:3], 0, -1, vcc
	v_cmp_ne_u32_e32 vcc, 0, v18
	v_cmp_gt_i64_e64 s[2:3], 0, v[8:9]
	v_not_b32_e32 v18, v9
	v_lshlrev_b32_e32 v9, 29, v16
	v_xor_b32_e32 v20, vcc_hi, v20
	v_xor_b32_e32 v19, vcc_lo, v19
	v_ashrrev_i32_e32 v18, 31, v18
	v_cmp_gt_i64_e32 vcc, 0, v[8:9]
	v_not_b32_e32 v21, v9
	v_lshlrev_b32_e32 v9, 28, v16
	v_and_b32_e32 v20, exec_hi, v20
	v_and_b32_e32 v19, exec_lo, v19
	v_xor_b32_e32 v22, s3, v18
	v_xor_b32_e32 v18, s2, v18
	v_ashrrev_i32_e32 v21, 31, v21
	v_cmp_gt_i64_e64 s[2:3], 0, v[8:9]
	v_not_b32_e32 v23, v9
	v_lshlrev_b32_e32 v9, 27, v16
	v_and_b32_e32 v20, v20, v22
	v_and_b32_e32 v18, v19, v18
	v_xor_b32_e32 v19, vcc_hi, v21
	v_xor_b32_e32 v21, vcc_lo, v21
	v_ashrrev_i32_e32 v22, 31, v23
	v_cmp_gt_i64_e32 vcc, 0, v[8:9]
	v_not_b32_e32 v23, v9
	v_lshlrev_b32_e32 v9, 26, v16
	v_and_b32_e32 v19, v20, v19
	v_and_b32_e32 v18, v18, v21
	v_xor_b32_e32 v20, s3, v22
	v_xor_b32_e32 v21, s2, v22
	v_ashrrev_i32_e32 v22, 31, v23
	v_cmp_gt_i64_e64 s[2:3], 0, v[8:9]
	v_not_b32_e32 v23, v9
	v_lshlrev_b32_e32 v9, 25, v16
	v_and_b32_e32 v19, v19, v20
	v_and_b32_e32 v18, v18, v21
	v_xor_b32_e32 v20, vcc_hi, v22
	v_xor_b32_e32 v21, vcc_lo, v22
	v_ashrrev_i32_e32 v22, 31, v23
	v_cmp_gt_i64_e32 vcc, 0, v[8:9]
	v_not_b32_e32 v23, v9
	v_lshlrev_b32_e32 v9, 24, v16
	v_mul_u32_u24_e32 v17, 17, v16
	v_and_b32_e32 v16, v19, v20
	v_and_b32_e32 v18, v18, v21
	v_xor_b32_e32 v19, s3, v22
	v_xor_b32_e32 v20, s2, v22
	v_ashrrev_i32_e32 v21, 31, v23
	v_cmp_gt_i64_e64 s[2:3], 0, v[8:9]
	v_not_b32_e32 v9, v9
	v_and_b32_e32 v16, v16, v19
	v_and_b32_e32 v18, v18, v20
	v_xor_b32_e32 v19, vcc_hi, v21
	v_xor_b32_e32 v20, vcc_lo, v21
	v_ashrrev_i32_e32 v9, 31, v9
	v_and_b32_e32 v16, v16, v19
	v_and_b32_e32 v18, v18, v20
	v_mul_u32_u24_e32 v15, 5, v10
	s_movk_i32 s8, 0x8000
	v_lshlrev_b32_e32 v15, 2, v15
	ds_write2_b32 v15, v8, v8 offset0:16 offset1:17
	ds_write2_b32 v15, v8, v8 offset0:18 offset1:19
	ds_write_b32 v15, v8 offset:80
	s_waitcnt lgkmcnt(0)
	s_barrier
	s_waitcnt vmcnt(0)
	v_mad_u64_u32 v[12:13], s[10:11], v13, v12, v[10:11]
	v_lshrrev_b32_e32 v26, 6, v12
	v_xor_b32_e32 v12, s3, v9
	v_xor_b32_e32 v9, s2, v9
	v_and_b32_e32 v13, v16, v12
	v_and_b32_e32 v12, v18, v9
	v_mbcnt_lo_u32_b32 v9, v12, 0
	v_mbcnt_hi_u32_b32 v16, v13, v9
	v_cmp_eq_u32_e32 vcc, 0, v16
	v_cmp_ne_u64_e64 s[2:3], 0, v[12:13]
	v_add_lshl_u32 v19, v26, v17, 2
	s_and_b64 s[10:11], s[2:3], vcc
	; wave barrier
	s_and_saveexec_b64 s[2:3], s[10:11]
	s_cbranch_execz .LBB1972_31
; %bb.30:
	v_bcnt_u32_b32 v9, v12, 0
	v_bcnt_u32_b32 v9, v13, v9
	ds_write_b32 v19, v9 offset:64
.LBB1972_31:
	s_or_b64 exec, exec, s[2:3]
	v_xor_b32_sdwa v17, v2, s8 dst_sel:DWORD dst_unused:UNUSED_PAD src0_sel:WORD_1 src1_sel:DWORD
	v_lshrrev_b32_sdwa v2, s20, v17 dst_sel:DWORD dst_unused:UNUSED_PAD src0_sel:DWORD src1_sel:WORD_0
	v_and_b32_e32 v2, s31, v2
	v_mul_u32_u24_e32 v9, 17, v2
	v_add_lshl_u32 v20, v26, v9, 2
	v_and_b32_e32 v9, 1, v2
	v_add_co_u32_e32 v12, vcc, -1, v9
	v_addc_co_u32_e64 v13, s[2:3], 0, -1, vcc
	v_cmp_ne_u32_e32 vcc, 0, v9
	v_xor_b32_e32 v9, vcc_hi, v13
	v_and_b32_e32 v13, exec_hi, v9
	v_lshlrev_b32_e32 v9, 30, v2
	v_xor_b32_e32 v12, vcc_lo, v12
	v_cmp_gt_i64_e32 vcc, 0, v[8:9]
	v_not_b32_e32 v9, v9
	v_ashrrev_i32_e32 v9, 31, v9
	v_and_b32_e32 v12, exec_lo, v12
	v_xor_b32_e32 v21, vcc_hi, v9
	v_xor_b32_e32 v9, vcc_lo, v9
	v_and_b32_e32 v12, v12, v9
	v_lshlrev_b32_e32 v9, 29, v2
	v_cmp_gt_i64_e32 vcc, 0, v[8:9]
	v_not_b32_e32 v9, v9
	v_ashrrev_i32_e32 v9, 31, v9
	v_and_b32_e32 v13, v13, v21
	v_xor_b32_e32 v21, vcc_hi, v9
	v_xor_b32_e32 v9, vcc_lo, v9
	v_and_b32_e32 v12, v12, v9
	v_lshlrev_b32_e32 v9, 28, v2
	v_cmp_gt_i64_e32 vcc, 0, v[8:9]
	v_not_b32_e32 v9, v9
	v_ashrrev_i32_e32 v9, 31, v9
	v_and_b32_e32 v13, v13, v21
	;; [unrolled: 8-line block ×5, first 2 shown]
	v_xor_b32_e32 v21, vcc_hi, v9
	v_xor_b32_e32 v9, vcc_lo, v9
	v_and_b32_e32 v12, v12, v9
	v_lshlrev_b32_e32 v9, 24, v2
	v_not_b32_e32 v2, v9
	v_cmp_gt_i64_e32 vcc, 0, v[8:9]
	v_ashrrev_i32_e32 v2, 31, v2
	v_and_b32_e32 v13, v13, v21
	v_xor_b32_e32 v8, vcc_hi, v2
	v_xor_b32_e32 v2, vcc_lo, v2
	; wave barrier
	ds_read_b32 v18, v20 offset:64
	v_and_b32_e32 v9, v13, v8
	v_and_b32_e32 v8, v12, v2
	v_mbcnt_lo_u32_b32 v2, v8, 0
	v_mbcnt_hi_u32_b32 v21, v9, v2
	v_cmp_eq_u32_e32 vcc, 0, v21
	v_cmp_ne_u64_e64 s[2:3], 0, v[8:9]
	s_and_b64 s[8:9], s[2:3], vcc
	; wave barrier
	s_and_saveexec_b64 s[2:3], s[8:9]
	s_cbranch_execz .LBB1972_33
; %bb.32:
	v_bcnt_u32_b32 v2, v8, 0
	v_bcnt_u32_b32 v2, v9, v2
	s_waitcnt lgkmcnt(0)
	v_add_u32_e32 v2, v18, v2
	ds_write_b32 v20, v2 offset:64
.LBB1972_33:
	s_or_b64 exec, exec, s[2:3]
	v_xor_b32_e32 v22, 0xffff8000, v3
	v_lshrrev_b32_sdwa v2, s20, v22 dst_sel:DWORD dst_unused:UNUSED_PAD src0_sel:DWORD src1_sel:WORD_0
	v_and_b32_e32 v2, s31, v2
	v_and_b32_e32 v9, 1, v2
	v_add_co_u32_e32 v12, vcc, -1, v9
	v_addc_co_u32_e64 v13, s[2:3], 0, -1, vcc
	v_cmp_ne_u32_e32 vcc, 0, v9
	v_mul_u32_u24_e32 v8, 17, v2
	v_xor_b32_e32 v9, vcc_hi, v13
	v_add_lshl_u32 v24, v26, v8, 2
	v_mov_b32_e32 v8, 0
	v_and_b32_e32 v13, exec_hi, v9
	v_lshlrev_b32_e32 v9, 30, v2
	v_xor_b32_e32 v12, vcc_lo, v12
	v_cmp_gt_i64_e32 vcc, 0, v[8:9]
	v_not_b32_e32 v9, v9
	v_ashrrev_i32_e32 v9, 31, v9
	v_and_b32_e32 v12, exec_lo, v12
	v_xor_b32_e32 v25, vcc_hi, v9
	v_xor_b32_e32 v9, vcc_lo, v9
	v_and_b32_e32 v12, v12, v9
	v_lshlrev_b32_e32 v9, 29, v2
	v_cmp_gt_i64_e32 vcc, 0, v[8:9]
	v_not_b32_e32 v9, v9
	v_ashrrev_i32_e32 v9, 31, v9
	v_and_b32_e32 v13, v13, v25
	v_xor_b32_e32 v25, vcc_hi, v9
	v_xor_b32_e32 v9, vcc_lo, v9
	v_and_b32_e32 v12, v12, v9
	v_lshlrev_b32_e32 v9, 28, v2
	v_cmp_gt_i64_e32 vcc, 0, v[8:9]
	v_not_b32_e32 v9, v9
	v_ashrrev_i32_e32 v9, 31, v9
	v_and_b32_e32 v13, v13, v25
	v_xor_b32_e32 v25, vcc_hi, v9
	v_xor_b32_e32 v9, vcc_lo, v9
	v_and_b32_e32 v12, v12, v9
	v_lshlrev_b32_e32 v9, 27, v2
	v_cmp_gt_i64_e32 vcc, 0, v[8:9]
	v_not_b32_e32 v9, v9
	v_ashrrev_i32_e32 v9, 31, v9
	v_and_b32_e32 v13, v13, v25
	v_xor_b32_e32 v25, vcc_hi, v9
	v_xor_b32_e32 v9, vcc_lo, v9
	v_and_b32_e32 v12, v12, v9
	v_lshlrev_b32_e32 v9, 26, v2
	v_cmp_gt_i64_e32 vcc, 0, v[8:9]
	v_not_b32_e32 v9, v9
	v_ashrrev_i32_e32 v9, 31, v9
	v_and_b32_e32 v13, v13, v25
	v_xor_b32_e32 v25, vcc_hi, v9
	v_xor_b32_e32 v9, vcc_lo, v9
	v_and_b32_e32 v12, v12, v9
	v_lshlrev_b32_e32 v9, 25, v2
	v_cmp_gt_i64_e32 vcc, 0, v[8:9]
	v_not_b32_e32 v9, v9
	v_ashrrev_i32_e32 v9, 31, v9
	v_and_b32_e32 v13, v13, v25
	v_xor_b32_e32 v25, vcc_hi, v9
	v_xor_b32_e32 v9, vcc_lo, v9
	v_and_b32_e32 v12, v12, v9
	v_lshlrev_b32_e32 v9, 24, v2
	v_not_b32_e32 v2, v9
	v_cmp_gt_i64_e32 vcc, 0, v[8:9]
	v_ashrrev_i32_e32 v2, 31, v2
	v_xor_b32_e32 v9, vcc_hi, v2
	v_xor_b32_e32 v2, vcc_lo, v2
	; wave barrier
	ds_read_b32 v23, v24 offset:64
	v_and_b32_e32 v13, v13, v25
	v_and_b32_e32 v12, v12, v2
	;; [unrolled: 1-line block ×3, first 2 shown]
	v_mbcnt_lo_u32_b32 v2, v12, 0
	v_mbcnt_hi_u32_b32 v25, v13, v2
	v_cmp_eq_u32_e32 vcc, 0, v25
	v_cmp_ne_u64_e64 s[2:3], 0, v[12:13]
	s_movk_i32 s8, 0x8000
	s_and_b64 s[10:11], s[2:3], vcc
	; wave barrier
	s_and_saveexec_b64 s[2:3], s[10:11]
	s_cbranch_execz .LBB1972_35
; %bb.34:
	v_bcnt_u32_b32 v2, v12, 0
	v_bcnt_u32_b32 v2, v13, v2
	s_waitcnt lgkmcnt(0)
	v_add_u32_e32 v2, v23, v2
	ds_write_b32 v24, v2 offset:64
.LBB1972_35:
	s_or_b64 exec, exec, s[2:3]
	v_xor_b32_sdwa v12, v3, s8 dst_sel:DWORD dst_unused:UNUSED_PAD src0_sel:WORD_1 src1_sel:DWORD
	v_lshrrev_b32_sdwa v2, s20, v12 dst_sel:DWORD dst_unused:UNUSED_PAD src0_sel:DWORD src1_sel:WORD_0
	v_and_b32_e32 v2, s31, v2
	v_mul_u32_u24_e32 v3, 17, v2
	v_add_lshl_u32 v27, v26, v3, 2
	v_and_b32_e32 v3, 1, v2
	v_add_co_u32_e32 v9, vcc, -1, v3
	v_addc_co_u32_e64 v28, s[2:3], 0, -1, vcc
	v_cmp_ne_u32_e32 vcc, 0, v3
	v_xor_b32_e32 v9, vcc_lo, v9
	v_xor_b32_e32 v3, vcc_hi, v28
	v_and_b32_e32 v28, exec_lo, v9
	v_lshlrev_b32_e32 v9, 30, v2
	v_cmp_gt_i64_e32 vcc, 0, v[8:9]
	v_not_b32_e32 v9, v9
	v_ashrrev_i32_e32 v9, 31, v9
	v_xor_b32_e32 v29, vcc_hi, v9
	v_xor_b32_e32 v9, vcc_lo, v9
	v_and_b32_e32 v28, v28, v9
	v_lshlrev_b32_e32 v9, 29, v2
	v_cmp_gt_i64_e32 vcc, 0, v[8:9]
	v_not_b32_e32 v9, v9
	v_and_b32_e32 v3, exec_hi, v3
	v_ashrrev_i32_e32 v9, 31, v9
	v_and_b32_e32 v3, v3, v29
	v_xor_b32_e32 v29, vcc_hi, v9
	v_xor_b32_e32 v9, vcc_lo, v9
	v_and_b32_e32 v28, v28, v9
	v_lshlrev_b32_e32 v9, 28, v2
	v_cmp_gt_i64_e32 vcc, 0, v[8:9]
	v_not_b32_e32 v9, v9
	v_ashrrev_i32_e32 v9, 31, v9
	v_and_b32_e32 v3, v3, v29
	v_xor_b32_e32 v29, vcc_hi, v9
	v_xor_b32_e32 v9, vcc_lo, v9
	v_and_b32_e32 v28, v28, v9
	v_lshlrev_b32_e32 v9, 27, v2
	v_cmp_gt_i64_e32 vcc, 0, v[8:9]
	v_not_b32_e32 v9, v9
	;; [unrolled: 8-line block ×4, first 2 shown]
	v_ashrrev_i32_e32 v9, 31, v9
	v_and_b32_e32 v3, v3, v29
	v_xor_b32_e32 v29, vcc_hi, v9
	v_xor_b32_e32 v9, vcc_lo, v9
	v_and_b32_e32 v28, v28, v9
	v_lshlrev_b32_e32 v9, 24, v2
	v_not_b32_e32 v2, v9
	v_cmp_gt_i64_e32 vcc, 0, v[8:9]
	v_ashrrev_i32_e32 v2, 31, v2
	v_xor_b32_e32 v8, vcc_hi, v2
	v_xor_b32_e32 v2, vcc_lo, v2
	; wave barrier
	ds_read_b32 v13, v27 offset:64
	v_and_b32_e32 v3, v3, v29
	v_and_b32_e32 v2, v28, v2
	;; [unrolled: 1-line block ×3, first 2 shown]
	v_mbcnt_lo_u32_b32 v8, v2, 0
	v_mbcnt_hi_u32_b32 v28, v3, v8
	v_cmp_eq_u32_e32 vcc, 0, v28
	v_cmp_ne_u64_e64 s[2:3], 0, v[2:3]
	s_and_b64 s[8:9], s[2:3], vcc
	; wave barrier
	s_and_saveexec_b64 s[2:3], s[8:9]
	s_cbranch_execz .LBB1972_37
; %bb.36:
	v_bcnt_u32_b32 v2, v2, 0
	v_bcnt_u32_b32 v2, v3, v2
	s_waitcnt lgkmcnt(0)
	v_add_u32_e32 v2, v13, v2
	ds_write_b32 v27, v2 offset:64
.LBB1972_37:
	s_or_b64 exec, exec, s[2:3]
	v_xor_b32_e32 v29, 0xffff8000, v4
	v_lshrrev_b32_sdwa v2, s20, v29 dst_sel:DWORD dst_unused:UNUSED_PAD src0_sel:DWORD src1_sel:WORD_0
	v_and_b32_e32 v8, s31, v2
	v_and_b32_e32 v3, 1, v8
	v_add_co_u32_e32 v9, vcc, -1, v3
	v_addc_co_u32_e64 v32, s[2:3], 0, -1, vcc
	v_cmp_ne_u32_e32 vcc, 0, v3
	v_mul_u32_u24_e32 v2, 17, v8
	v_xor_b32_e32 v3, vcc_hi, v32
	v_add_lshl_u32 v31, v26, v2, 2
	v_mov_b32_e32 v2, 0
	v_and_b32_e32 v32, exec_hi, v3
	v_lshlrev_b32_e32 v3, 30, v8
	v_xor_b32_e32 v9, vcc_lo, v9
	v_cmp_gt_i64_e32 vcc, 0, v[2:3]
	v_not_b32_e32 v3, v3
	v_ashrrev_i32_e32 v3, 31, v3
	v_and_b32_e32 v9, exec_lo, v9
	v_xor_b32_e32 v33, vcc_hi, v3
	v_xor_b32_e32 v3, vcc_lo, v3
	v_and_b32_e32 v9, v9, v3
	v_lshlrev_b32_e32 v3, 29, v8
	v_cmp_gt_i64_e32 vcc, 0, v[2:3]
	v_not_b32_e32 v3, v3
	v_ashrrev_i32_e32 v3, 31, v3
	v_and_b32_e32 v32, v32, v33
	v_xor_b32_e32 v33, vcc_hi, v3
	v_xor_b32_e32 v3, vcc_lo, v3
	v_and_b32_e32 v9, v9, v3
	v_lshlrev_b32_e32 v3, 28, v8
	v_cmp_gt_i64_e32 vcc, 0, v[2:3]
	v_not_b32_e32 v3, v3
	v_ashrrev_i32_e32 v3, 31, v3
	v_and_b32_e32 v32, v32, v33
	;; [unrolled: 8-line block ×5, first 2 shown]
	v_xor_b32_e32 v33, vcc_hi, v3
	v_xor_b32_e32 v3, vcc_lo, v3
	v_and_b32_e32 v32, v32, v33
	v_and_b32_e32 v33, v9, v3
	v_lshlrev_b32_e32 v3, 24, v8
	v_cmp_gt_i64_e32 vcc, 0, v[2:3]
	v_not_b32_e32 v3, v3
	v_ashrrev_i32_e32 v3, 31, v3
	v_xor_b32_e32 v8, vcc_hi, v3
	v_xor_b32_e32 v3, vcc_lo, v3
	; wave barrier
	ds_read_b32 v30, v31 offset:64
	v_and_b32_e32 v9, v32, v8
	v_and_b32_e32 v8, v33, v3
	v_mbcnt_lo_u32_b32 v3, v8, 0
	v_mbcnt_hi_u32_b32 v33, v9, v3
	v_cmp_eq_u32_e32 vcc, 0, v33
	v_cmp_ne_u64_e64 s[2:3], 0, v[8:9]
	s_movk_i32 s8, 0x8000
	s_and_b64 s[10:11], s[2:3], vcc
	; wave barrier
	s_and_saveexec_b64 s[2:3], s[10:11]
	s_cbranch_execz .LBB1972_39
; %bb.38:
	v_bcnt_u32_b32 v3, v8, 0
	v_bcnt_u32_b32 v3, v9, v3
	s_waitcnt lgkmcnt(0)
	v_add_u32_e32 v3, v30, v3
	ds_write_b32 v31, v3 offset:64
.LBB1972_39:
	s_or_b64 exec, exec, s[2:3]
	v_xor_b32_sdwa v32, v4, s8 dst_sel:DWORD dst_unused:UNUSED_PAD src0_sel:WORD_1 src1_sel:DWORD
	v_lshrrev_b32_sdwa v3, s20, v32 dst_sel:DWORD dst_unused:UNUSED_PAD src0_sel:DWORD src1_sel:WORD_0
	v_and_b32_e32 v4, s31, v3
	v_mul_u32_u24_e32 v3, 17, v4
	v_add_lshl_u32 v35, v26, v3, 2
	v_and_b32_e32 v3, 1, v4
	v_add_co_u32_e32 v8, vcc, -1, v3
	v_addc_co_u32_e64 v9, s[2:3], 0, -1, vcc
	v_cmp_ne_u32_e32 vcc, 0, v3
	v_xor_b32_e32 v3, vcc_hi, v9
	v_and_b32_e32 v9, exec_hi, v3
	v_lshlrev_b32_e32 v3, 30, v4
	v_xor_b32_e32 v8, vcc_lo, v8
	v_cmp_gt_i64_e32 vcc, 0, v[2:3]
	v_not_b32_e32 v3, v3
	v_ashrrev_i32_e32 v3, 31, v3
	v_and_b32_e32 v8, exec_lo, v8
	v_xor_b32_e32 v36, vcc_hi, v3
	v_xor_b32_e32 v3, vcc_lo, v3
	v_and_b32_e32 v8, v8, v3
	v_lshlrev_b32_e32 v3, 29, v4
	v_cmp_gt_i64_e32 vcc, 0, v[2:3]
	v_not_b32_e32 v3, v3
	v_ashrrev_i32_e32 v3, 31, v3
	v_and_b32_e32 v9, v9, v36
	v_xor_b32_e32 v36, vcc_hi, v3
	v_xor_b32_e32 v3, vcc_lo, v3
	v_and_b32_e32 v8, v8, v3
	v_lshlrev_b32_e32 v3, 28, v4
	v_cmp_gt_i64_e32 vcc, 0, v[2:3]
	v_not_b32_e32 v3, v3
	v_ashrrev_i32_e32 v3, 31, v3
	v_and_b32_e32 v9, v9, v36
	;; [unrolled: 8-line block ×5, first 2 shown]
	v_xor_b32_e32 v36, vcc_hi, v3
	v_xor_b32_e32 v3, vcc_lo, v3
	v_and_b32_e32 v8, v8, v3
	v_lshlrev_b32_e32 v3, 24, v4
	v_cmp_gt_i64_e32 vcc, 0, v[2:3]
	v_not_b32_e32 v2, v3
	v_ashrrev_i32_e32 v2, 31, v2
	v_xor_b32_e32 v3, vcc_hi, v2
	v_xor_b32_e32 v2, vcc_lo, v2
	; wave barrier
	ds_read_b32 v34, v35 offset:64
	v_and_b32_e32 v9, v9, v36
	v_and_b32_e32 v2, v8, v2
	v_and_b32_e32 v3, v9, v3
	v_mbcnt_lo_u32_b32 v4, v2, 0
	v_mbcnt_hi_u32_b32 v37, v3, v4
	v_cmp_eq_u32_e32 vcc, 0, v37
	v_cmp_ne_u64_e64 s[2:3], 0, v[2:3]
	s_and_b64 s[8:9], s[2:3], vcc
	; wave barrier
	s_and_saveexec_b64 s[2:3], s[8:9]
	s_cbranch_execz .LBB1972_41
; %bb.40:
	v_bcnt_u32_b32 v2, v2, 0
	v_bcnt_u32_b32 v2, v3, v2
	s_waitcnt lgkmcnt(0)
	v_add_u32_e32 v2, v34, v2
	ds_write_b32 v35, v2 offset:64
.LBB1972_41:
	s_or_b64 exec, exec, s[2:3]
	v_xor_b32_e32 v36, 0xffff8000, v5
	v_lshrrev_b32_sdwa v2, s20, v36 dst_sel:DWORD dst_unused:UNUSED_PAD src0_sel:DWORD src1_sel:WORD_0
	v_and_b32_e32 v4, s31, v2
	v_and_b32_e32 v3, 1, v4
	v_add_co_u32_e32 v8, vcc, -1, v3
	v_addc_co_u32_e64 v9, s[2:3], 0, -1, vcc
	v_cmp_ne_u32_e32 vcc, 0, v3
	v_mul_u32_u24_e32 v2, 17, v4
	v_xor_b32_e32 v3, vcc_hi, v9
	v_add_lshl_u32 v39, v26, v2, 2
	v_mov_b32_e32 v2, 0
	v_and_b32_e32 v9, exec_hi, v3
	v_lshlrev_b32_e32 v3, 30, v4
	v_xor_b32_e32 v8, vcc_lo, v8
	v_cmp_gt_i64_e32 vcc, 0, v[2:3]
	v_not_b32_e32 v3, v3
	v_ashrrev_i32_e32 v3, 31, v3
	v_and_b32_e32 v8, exec_lo, v8
	v_xor_b32_e32 v40, vcc_hi, v3
	v_xor_b32_e32 v3, vcc_lo, v3
	v_and_b32_e32 v8, v8, v3
	v_lshlrev_b32_e32 v3, 29, v4
	v_cmp_gt_i64_e32 vcc, 0, v[2:3]
	v_not_b32_e32 v3, v3
	v_ashrrev_i32_e32 v3, 31, v3
	v_and_b32_e32 v9, v9, v40
	v_xor_b32_e32 v40, vcc_hi, v3
	v_xor_b32_e32 v3, vcc_lo, v3
	v_and_b32_e32 v8, v8, v3
	v_lshlrev_b32_e32 v3, 28, v4
	v_cmp_gt_i64_e32 vcc, 0, v[2:3]
	v_not_b32_e32 v3, v3
	v_ashrrev_i32_e32 v3, 31, v3
	v_and_b32_e32 v9, v9, v40
	;; [unrolled: 8-line block ×5, first 2 shown]
	v_xor_b32_e32 v40, vcc_hi, v3
	v_xor_b32_e32 v3, vcc_lo, v3
	v_and_b32_e32 v8, v8, v3
	v_lshlrev_b32_e32 v3, 24, v4
	v_cmp_gt_i64_e32 vcc, 0, v[2:3]
	v_not_b32_e32 v3, v3
	v_ashrrev_i32_e32 v3, 31, v3
	v_xor_b32_e32 v4, vcc_hi, v3
	v_xor_b32_e32 v3, vcc_lo, v3
	; wave barrier
	ds_read_b32 v38, v39 offset:64
	v_and_b32_e32 v9, v9, v40
	v_and_b32_e32 v8, v8, v3
	v_and_b32_e32 v9, v9, v4
	v_mbcnt_lo_u32_b32 v3, v8, 0
	v_mbcnt_hi_u32_b32 v40, v9, v3
	v_cmp_eq_u32_e32 vcc, 0, v40
	v_cmp_ne_u64_e64 s[2:3], 0, v[8:9]
	s_movk_i32 s8, 0x8000
	s_and_b64 s[10:11], s[2:3], vcc
	; wave barrier
	s_and_saveexec_b64 s[2:3], s[10:11]
	s_cbranch_execz .LBB1972_43
; %bb.42:
	v_bcnt_u32_b32 v3, v8, 0
	v_bcnt_u32_b32 v3, v9, v3
	s_waitcnt lgkmcnt(0)
	v_add_u32_e32 v3, v38, v3
	ds_write_b32 v39, v3 offset:64
.LBB1972_43:
	s_or_b64 exec, exec, s[2:3]
	v_xor_b32_sdwa v8, v5, s8 dst_sel:DWORD dst_unused:UNUSED_PAD src0_sel:WORD_1 src1_sel:DWORD
	v_lshrrev_b32_sdwa v3, s20, v8 dst_sel:DWORD dst_unused:UNUSED_PAD src0_sel:DWORD src1_sel:WORD_0
	v_and_b32_e32 v4, s31, v3
	v_mul_u32_u24_e32 v3, 17, v4
	v_add_lshl_u32 v41, v26, v3, 2
	v_and_b32_e32 v3, 1, v4
	v_add_co_u32_e32 v5, vcc, -1, v3
	v_addc_co_u32_e64 v42, s[2:3], 0, -1, vcc
	v_cmp_ne_u32_e32 vcc, 0, v3
	v_xor_b32_e32 v3, vcc_hi, v42
	v_and_b32_e32 v42, exec_hi, v3
	v_lshlrev_b32_e32 v3, 30, v4
	v_xor_b32_e32 v5, vcc_lo, v5
	v_cmp_gt_i64_e32 vcc, 0, v[2:3]
	v_not_b32_e32 v3, v3
	v_ashrrev_i32_e32 v3, 31, v3
	v_and_b32_e32 v5, exec_lo, v5
	v_xor_b32_e32 v43, vcc_hi, v3
	v_xor_b32_e32 v3, vcc_lo, v3
	v_and_b32_e32 v5, v5, v3
	v_lshlrev_b32_e32 v3, 29, v4
	v_cmp_gt_i64_e32 vcc, 0, v[2:3]
	v_not_b32_e32 v3, v3
	v_ashrrev_i32_e32 v3, 31, v3
	v_and_b32_e32 v42, v42, v43
	v_xor_b32_e32 v43, vcc_hi, v3
	v_xor_b32_e32 v3, vcc_lo, v3
	v_and_b32_e32 v5, v5, v3
	v_lshlrev_b32_e32 v3, 28, v4
	v_cmp_gt_i64_e32 vcc, 0, v[2:3]
	v_not_b32_e32 v3, v3
	v_ashrrev_i32_e32 v3, 31, v3
	v_and_b32_e32 v42, v42, v43
	;; [unrolled: 8-line block ×5, first 2 shown]
	v_xor_b32_e32 v43, vcc_hi, v3
	v_xor_b32_e32 v3, vcc_lo, v3
	v_and_b32_e32 v5, v5, v3
	v_lshlrev_b32_e32 v3, 24, v4
	v_cmp_gt_i64_e32 vcc, 0, v[2:3]
	v_not_b32_e32 v2, v3
	v_ashrrev_i32_e32 v2, 31, v2
	v_xor_b32_e32 v3, vcc_hi, v2
	v_xor_b32_e32 v2, vcc_lo, v2
	; wave barrier
	ds_read_b32 v9, v41 offset:64
	v_and_b32_e32 v42, v42, v43
	v_and_b32_e32 v2, v5, v2
	;; [unrolled: 1-line block ×3, first 2 shown]
	v_mbcnt_lo_u32_b32 v4, v2, 0
	v_mbcnt_hi_u32_b32 v43, v3, v4
	v_cmp_eq_u32_e32 vcc, 0, v43
	v_cmp_ne_u64_e64 s[2:3], 0, v[2:3]
	s_and_b64 s[8:9], s[2:3], vcc
	; wave barrier
	s_and_saveexec_b64 s[2:3], s[8:9]
	s_cbranch_execz .LBB1972_45
; %bb.44:
	v_bcnt_u32_b32 v2, v2, 0
	v_bcnt_u32_b32 v2, v3, v2
	s_waitcnt lgkmcnt(0)
	v_add_u32_e32 v2, v9, v2
	ds_write_b32 v41, v2 offset:64
.LBB1972_45:
	s_or_b64 exec, exec, s[2:3]
	v_xor_b32_e32 v42, 0xffff8000, v6
	v_lshrrev_b32_sdwa v2, s20, v42 dst_sel:DWORD dst_unused:UNUSED_PAD src0_sel:DWORD src1_sel:WORD_0
	v_and_b32_e32 v4, s31, v2
	v_and_b32_e32 v3, 1, v4
	v_add_co_u32_e32 v5, vcc, -1, v3
	v_addc_co_u32_e64 v46, s[2:3], 0, -1, vcc
	v_cmp_ne_u32_e32 vcc, 0, v3
	v_mul_u32_u24_e32 v2, 17, v4
	v_xor_b32_e32 v3, vcc_hi, v46
	v_add_lshl_u32 v45, v26, v2, 2
	v_mov_b32_e32 v2, 0
	v_and_b32_e32 v46, exec_hi, v3
	v_lshlrev_b32_e32 v3, 30, v4
	v_xor_b32_e32 v5, vcc_lo, v5
	v_cmp_gt_i64_e32 vcc, 0, v[2:3]
	v_not_b32_e32 v3, v3
	v_ashrrev_i32_e32 v3, 31, v3
	v_and_b32_e32 v5, exec_lo, v5
	v_xor_b32_e32 v47, vcc_hi, v3
	v_xor_b32_e32 v3, vcc_lo, v3
	v_and_b32_e32 v5, v5, v3
	v_lshlrev_b32_e32 v3, 29, v4
	v_cmp_gt_i64_e32 vcc, 0, v[2:3]
	v_not_b32_e32 v3, v3
	v_ashrrev_i32_e32 v3, 31, v3
	v_and_b32_e32 v46, v46, v47
	v_xor_b32_e32 v47, vcc_hi, v3
	v_xor_b32_e32 v3, vcc_lo, v3
	v_and_b32_e32 v5, v5, v3
	v_lshlrev_b32_e32 v3, 28, v4
	v_cmp_gt_i64_e32 vcc, 0, v[2:3]
	v_not_b32_e32 v3, v3
	v_ashrrev_i32_e32 v3, 31, v3
	v_and_b32_e32 v46, v46, v47
	;; [unrolled: 8-line block ×5, first 2 shown]
	v_xor_b32_e32 v47, vcc_hi, v3
	v_xor_b32_e32 v3, vcc_lo, v3
	v_and_b32_e32 v46, v46, v47
	v_and_b32_e32 v47, v5, v3
	v_lshlrev_b32_e32 v3, 24, v4
	v_cmp_gt_i64_e32 vcc, 0, v[2:3]
	v_not_b32_e32 v3, v3
	v_ashrrev_i32_e32 v3, 31, v3
	v_xor_b32_e32 v4, vcc_hi, v3
	v_xor_b32_e32 v3, vcc_lo, v3
	; wave barrier
	ds_read_b32 v44, v45 offset:64
	v_and_b32_e32 v5, v46, v4
	v_and_b32_e32 v4, v47, v3
	v_mbcnt_lo_u32_b32 v3, v4, 0
	v_mbcnt_hi_u32_b32 v46, v5, v3
	v_cmp_eq_u32_e32 vcc, 0, v46
	v_cmp_ne_u64_e64 s[2:3], 0, v[4:5]
	s_movk_i32 s8, 0x8000
	s_and_b64 s[10:11], s[2:3], vcc
	; wave barrier
	s_and_saveexec_b64 s[2:3], s[10:11]
	s_cbranch_execz .LBB1972_47
; %bb.46:
	v_bcnt_u32_b32 v3, v4, 0
	v_bcnt_u32_b32 v3, v5, v3
	s_waitcnt lgkmcnt(0)
	v_add_u32_e32 v3, v44, v3
	ds_write_b32 v45, v3 offset:64
.LBB1972_47:
	s_or_b64 exec, exec, s[2:3]
	v_xor_b32_sdwa v6, v6, s8 dst_sel:DWORD dst_unused:UNUSED_PAD src0_sel:WORD_1 src1_sel:DWORD
	v_lshrrev_b32_sdwa v3, s20, v6 dst_sel:DWORD dst_unused:UNUSED_PAD src0_sel:DWORD src1_sel:WORD_0
	v_and_b32_e32 v4, s31, v3
	v_mul_u32_u24_e32 v3, 17, v4
	v_add_lshl_u32 v48, v26, v3, 2
	v_and_b32_e32 v3, 1, v4
	v_add_co_u32_e32 v5, vcc, -1, v3
	v_addc_co_u32_e64 v49, s[2:3], 0, -1, vcc
	v_cmp_ne_u32_e32 vcc, 0, v3
	v_xor_b32_e32 v3, vcc_hi, v49
	v_and_b32_e32 v49, exec_hi, v3
	v_lshlrev_b32_e32 v3, 30, v4
	v_xor_b32_e32 v5, vcc_lo, v5
	v_cmp_gt_i64_e32 vcc, 0, v[2:3]
	v_not_b32_e32 v3, v3
	v_ashrrev_i32_e32 v3, 31, v3
	v_and_b32_e32 v5, exec_lo, v5
	v_xor_b32_e32 v50, vcc_hi, v3
	v_xor_b32_e32 v3, vcc_lo, v3
	v_and_b32_e32 v5, v5, v3
	v_lshlrev_b32_e32 v3, 29, v4
	v_cmp_gt_i64_e32 vcc, 0, v[2:3]
	v_not_b32_e32 v3, v3
	v_ashrrev_i32_e32 v3, 31, v3
	v_and_b32_e32 v49, v49, v50
	v_xor_b32_e32 v50, vcc_hi, v3
	v_xor_b32_e32 v3, vcc_lo, v3
	v_and_b32_e32 v5, v5, v3
	v_lshlrev_b32_e32 v3, 28, v4
	v_cmp_gt_i64_e32 vcc, 0, v[2:3]
	v_not_b32_e32 v3, v3
	v_ashrrev_i32_e32 v3, 31, v3
	v_and_b32_e32 v49, v49, v50
	;; [unrolled: 8-line block ×5, first 2 shown]
	v_xor_b32_e32 v50, vcc_hi, v3
	v_xor_b32_e32 v3, vcc_lo, v3
	v_and_b32_e32 v5, v5, v3
	v_lshlrev_b32_e32 v3, 24, v4
	v_cmp_gt_i64_e32 vcc, 0, v[2:3]
	v_not_b32_e32 v2, v3
	v_ashrrev_i32_e32 v2, 31, v2
	v_xor_b32_e32 v3, vcc_hi, v2
	v_xor_b32_e32 v2, vcc_lo, v2
	; wave barrier
	ds_read_b32 v47, v48 offset:64
	v_and_b32_e32 v49, v49, v50
	v_and_b32_e32 v2, v5, v2
	;; [unrolled: 1-line block ×3, first 2 shown]
	v_mbcnt_lo_u32_b32 v4, v2, 0
	v_mbcnt_hi_u32_b32 v50, v3, v4
	v_cmp_eq_u32_e32 vcc, 0, v50
	v_cmp_ne_u64_e64 s[2:3], 0, v[2:3]
	s_and_b64 s[8:9], s[2:3], vcc
	; wave barrier
	s_and_saveexec_b64 s[2:3], s[8:9]
	s_cbranch_execz .LBB1972_49
; %bb.48:
	v_bcnt_u32_b32 v2, v2, 0
	v_bcnt_u32_b32 v2, v3, v2
	s_waitcnt lgkmcnt(0)
	v_add_u32_e32 v2, v47, v2
	ds_write_b32 v48, v2 offset:64
.LBB1972_49:
	s_or_b64 exec, exec, s[2:3]
	v_xor_b32_e32 v49, 0xffff8000, v7
	v_lshrrev_b32_sdwa v2, s20, v49 dst_sel:DWORD dst_unused:UNUSED_PAD src0_sel:DWORD src1_sel:WORD_0
	v_and_b32_e32 v4, s31, v2
	v_and_b32_e32 v3, 1, v4
	v_add_co_u32_e32 v5, vcc, -1, v3
	v_addc_co_u32_e64 v53, s[2:3], 0, -1, vcc
	v_cmp_ne_u32_e32 vcc, 0, v3
	v_mul_u32_u24_e32 v2, 17, v4
	v_xor_b32_e32 v3, vcc_hi, v53
	v_add_lshl_u32 v52, v26, v2, 2
	v_mov_b32_e32 v2, 0
	v_and_b32_e32 v53, exec_hi, v3
	v_lshlrev_b32_e32 v3, 30, v4
	v_xor_b32_e32 v5, vcc_lo, v5
	v_cmp_gt_i64_e32 vcc, 0, v[2:3]
	v_not_b32_e32 v3, v3
	v_ashrrev_i32_e32 v3, 31, v3
	v_and_b32_e32 v5, exec_lo, v5
	v_xor_b32_e32 v54, vcc_hi, v3
	v_xor_b32_e32 v3, vcc_lo, v3
	v_and_b32_e32 v5, v5, v3
	v_lshlrev_b32_e32 v3, 29, v4
	v_cmp_gt_i64_e32 vcc, 0, v[2:3]
	v_not_b32_e32 v3, v3
	v_ashrrev_i32_e32 v3, 31, v3
	v_and_b32_e32 v53, v53, v54
	v_xor_b32_e32 v54, vcc_hi, v3
	v_xor_b32_e32 v3, vcc_lo, v3
	v_and_b32_e32 v5, v5, v3
	v_lshlrev_b32_e32 v3, 28, v4
	v_cmp_gt_i64_e32 vcc, 0, v[2:3]
	v_not_b32_e32 v3, v3
	v_ashrrev_i32_e32 v3, 31, v3
	v_and_b32_e32 v53, v53, v54
	;; [unrolled: 8-line block ×5, first 2 shown]
	v_xor_b32_e32 v54, vcc_hi, v3
	v_xor_b32_e32 v3, vcc_lo, v3
	v_and_b32_e32 v53, v53, v54
	v_and_b32_e32 v54, v5, v3
	v_lshlrev_b32_e32 v3, 24, v4
	v_cmp_gt_i64_e32 vcc, 0, v[2:3]
	v_not_b32_e32 v3, v3
	v_ashrrev_i32_e32 v3, 31, v3
	v_xor_b32_e32 v4, vcc_hi, v3
	v_xor_b32_e32 v3, vcc_lo, v3
	; wave barrier
	ds_read_b32 v51, v52 offset:64
	v_and_b32_e32 v5, v53, v4
	v_and_b32_e32 v4, v54, v3
	v_mbcnt_lo_u32_b32 v3, v4, 0
	v_mbcnt_hi_u32_b32 v53, v5, v3
	v_cmp_eq_u32_e32 vcc, 0, v53
	v_cmp_ne_u64_e64 s[2:3], 0, v[4:5]
	s_movk_i32 s8, 0x8000
	s_and_b64 s[10:11], s[2:3], vcc
	; wave barrier
	s_and_saveexec_b64 s[2:3], s[10:11]
	s_cbranch_execz .LBB1972_51
; %bb.50:
	v_bcnt_u32_b32 v3, v4, 0
	v_bcnt_u32_b32 v3, v5, v3
	s_waitcnt lgkmcnt(0)
	v_add_u32_e32 v3, v51, v3
	ds_write_b32 v52, v3 offset:64
.LBB1972_51:
	s_or_b64 exec, exec, s[2:3]
	v_xor_b32_sdwa v7, v7, s8 dst_sel:DWORD dst_unused:UNUSED_PAD src0_sel:WORD_1 src1_sel:DWORD
	v_lshrrev_b32_sdwa v3, s20, v7 dst_sel:DWORD dst_unused:UNUSED_PAD src0_sel:DWORD src1_sel:WORD_0
	v_and_b32_e32 v4, s31, v3
	v_mul_u32_u24_e32 v3, 17, v4
	v_add_lshl_u32 v54, v26, v3, 2
	v_and_b32_e32 v3, 1, v4
	v_add_co_u32_e32 v5, vcc, -1, v3
	v_addc_co_u32_e64 v56, s[2:3], 0, -1, vcc
	v_cmp_ne_u32_e32 vcc, 0, v3
	v_xor_b32_e32 v3, vcc_hi, v56
	v_and_b32_e32 v56, exec_hi, v3
	v_lshlrev_b32_e32 v3, 30, v4
	v_xor_b32_e32 v5, vcc_lo, v5
	v_cmp_gt_i64_e32 vcc, 0, v[2:3]
	v_not_b32_e32 v3, v3
	v_ashrrev_i32_e32 v3, 31, v3
	v_and_b32_e32 v5, exec_lo, v5
	v_xor_b32_e32 v57, vcc_hi, v3
	v_xor_b32_e32 v3, vcc_lo, v3
	v_and_b32_e32 v5, v5, v3
	v_lshlrev_b32_e32 v3, 29, v4
	v_cmp_gt_i64_e32 vcc, 0, v[2:3]
	v_not_b32_e32 v3, v3
	v_ashrrev_i32_e32 v3, 31, v3
	v_and_b32_e32 v56, v56, v57
	v_xor_b32_e32 v57, vcc_hi, v3
	v_xor_b32_e32 v3, vcc_lo, v3
	v_and_b32_e32 v5, v5, v3
	v_lshlrev_b32_e32 v3, 28, v4
	v_cmp_gt_i64_e32 vcc, 0, v[2:3]
	v_not_b32_e32 v3, v3
	v_ashrrev_i32_e32 v3, 31, v3
	v_and_b32_e32 v56, v56, v57
	;; [unrolled: 8-line block ×5, first 2 shown]
	v_xor_b32_e32 v57, vcc_hi, v3
	v_xor_b32_e32 v3, vcc_lo, v3
	v_and_b32_e32 v5, v5, v3
	v_lshlrev_b32_e32 v3, 24, v4
	v_cmp_gt_i64_e32 vcc, 0, v[2:3]
	v_not_b32_e32 v2, v3
	v_ashrrev_i32_e32 v2, 31, v2
	v_xor_b32_e32 v3, vcc_hi, v2
	v_xor_b32_e32 v2, vcc_lo, v2
	; wave barrier
	ds_read_b32 v26, v54 offset:64
	v_and_b32_e32 v56, v56, v57
	v_and_b32_e32 v2, v5, v2
	;; [unrolled: 1-line block ×3, first 2 shown]
	v_mbcnt_lo_u32_b32 v4, v2, 0
	v_mbcnt_hi_u32_b32 v56, v3, v4
	v_cmp_eq_u32_e32 vcc, 0, v56
	v_cmp_ne_u64_e64 s[2:3], 0, v[2:3]
	v_add_u32_e32 v55, 64, v15
	s_and_b64 s[8:9], s[2:3], vcc
	; wave barrier
	s_and_saveexec_b64 s[2:3], s[8:9]
	s_cbranch_execz .LBB1972_53
; %bb.52:
	v_bcnt_u32_b32 v2, v2, 0
	v_bcnt_u32_b32 v2, v3, v2
	s_waitcnt lgkmcnt(0)
	v_add_u32_e32 v2, v26, v2
	ds_write_b32 v54, v2 offset:64
.LBB1972_53:
	s_or_b64 exec, exec, s[2:3]
	; wave barrier
	s_waitcnt lgkmcnt(0)
	s_barrier
	ds_read2_b32 v[4:5], v15 offset0:16 offset1:17
	ds_read2_b32 v[2:3], v55 offset0:2 offset1:3
	ds_read_b32 v57, v55 offset:16
	v_cmp_lt_u32_e64 s[12:13], 31, v11
	s_waitcnt lgkmcnt(1)
	v_add3_u32 v58, v5, v4, v2
	s_waitcnt lgkmcnt(0)
	v_add3_u32 v57, v58, v3, v57
	v_and_b32_e32 v58, 15, v11
	v_cmp_eq_u32_e32 vcc, 0, v58
	v_mov_b32_dpp v59, v57 row_shr:1 row_mask:0xf bank_mask:0xf
	v_cndmask_b32_e64 v59, v59, 0, vcc
	v_add_u32_e32 v57, v59, v57
	v_cmp_lt_u32_e64 s[2:3], 1, v58
	v_cmp_lt_u32_e64 s[10:11], 3, v58
	v_mov_b32_dpp v59, v57 row_shr:2 row_mask:0xf bank_mask:0xf
	v_cndmask_b32_e64 v59, 0, v59, s[2:3]
	v_add_u32_e32 v57, v57, v59
	v_cmp_lt_u32_e64 s[8:9], 7, v58
	s_nop 0
	v_mov_b32_dpp v59, v57 row_shr:4 row_mask:0xf bank_mask:0xf
	v_cndmask_b32_e64 v59, 0, v59, s[10:11]
	v_add_u32_e32 v57, v57, v59
	s_nop 1
	v_mov_b32_dpp v59, v57 row_shr:8 row_mask:0xf bank_mask:0xf
	v_cndmask_b32_e64 v58, 0, v59, s[8:9]
	v_add_u32_e32 v57, v57, v58
	v_bfe_i32 v59, v11, 4, 1
	s_nop 0
	v_mov_b32_dpp v58, v57 row_bcast:15 row_mask:0xf bank_mask:0xf
	v_and_b32_e32 v58, v59, v58
	v_add_u32_e32 v57, v57, v58
	v_and_b32_e32 v59, 63, v10
	s_nop 0
	v_mov_b32_dpp v58, v57 row_bcast:31 row_mask:0xf bank_mask:0xf
	v_cndmask_b32_e64 v58, 0, v58, s[12:13]
	v_add_u32_e32 v57, v57, v58
	v_lshrrev_b32_e32 v58, 6, v10
	v_cmp_eq_u32_e64 s[12:13], 63, v59
	s_and_saveexec_b64 s[22:23], s[12:13]
	s_cbranch_execz .LBB1972_55
; %bb.54:
	v_lshlrev_b32_e32 v59, 2, v58
	ds_write_b32 v59, v57
.LBB1972_55:
	s_or_b64 exec, exec, s[22:23]
	v_cmp_gt_u32_e64 s[12:13], 16, v10
	s_waitcnt lgkmcnt(0)
	s_barrier
	s_and_saveexec_b64 s[22:23], s[12:13]
	s_cbranch_execz .LBB1972_57
; %bb.56:
	v_lshlrev_b32_e32 v59, 2, v10
	ds_read_b32 v60, v59
	s_waitcnt lgkmcnt(0)
	s_nop 0
	v_mov_b32_dpp v61, v60 row_shr:1 row_mask:0xf bank_mask:0xf
	v_cndmask_b32_e64 v61, v61, 0, vcc
	v_add_u32_e32 v60, v61, v60
	s_nop 1
	v_mov_b32_dpp v61, v60 row_shr:2 row_mask:0xf bank_mask:0xf
	v_cndmask_b32_e64 v61, 0, v61, s[2:3]
	v_add_u32_e32 v60, v60, v61
	s_nop 1
	v_mov_b32_dpp v61, v60 row_shr:4 row_mask:0xf bank_mask:0xf
	v_cndmask_b32_e64 v61, 0, v61, s[10:11]
	;; [unrolled: 4-line block ×3, first 2 shown]
	v_add_u32_e32 v60, v60, v61
	ds_write_b32 v59, v60
.LBB1972_57:
	s_or_b64 exec, exec, s[22:23]
	v_cmp_lt_u32_e32 vcc, 63, v10
	v_mov_b32_e32 v59, 0
	s_waitcnt lgkmcnt(0)
	s_barrier
	s_and_saveexec_b64 s[2:3], vcc
	s_cbranch_execz .LBB1972_59
; %bb.58:
	v_lshl_add_u32 v58, v58, 2, -4
	ds_read_b32 v59, v58
.LBB1972_59:
	s_or_b64 exec, exec, s[2:3]
	v_add_u32_e32 v58, -1, v11
	v_and_b32_e32 v60, 64, v11
	v_cmp_lt_i32_e32 vcc, v58, v60
	v_cndmask_b32_e32 v58, v58, v11, vcc
	s_waitcnt lgkmcnt(0)
	v_add_u32_e32 v57, v59, v57
	v_lshlrev_b32_e32 v58, 2, v58
	ds_bpermute_b32 v57, v58, v57
	v_cmp_eq_u32_e32 vcc, 0, v11
	s_movk_i32 s2, 0x100
	s_waitcnt lgkmcnt(0)
	v_cndmask_b32_e32 v11, v57, v59, vcc
	v_cndmask_b32_e64 v11, v11, 0, s[0:1]
	v_add_u32_e32 v4, v11, v4
	v_add_u32_e32 v5, v4, v5
	;; [unrolled: 1-line block ×4, first 2 shown]
	ds_write2_b32 v15, v11, v4 offset0:16 offset1:17
	ds_write2_b32 v55, v5, v2 offset0:2 offset1:3
	ds_write_b32 v55, v3 offset:16
	s_waitcnt lgkmcnt(0)
	s_barrier
	ds_read_b32 v59, v19 offset:64
	ds_read_b32 v58, v20 offset:64
	ds_read_b32 v57, v24 offset:64
	ds_read_b32 v55, v27 offset:64
	ds_read_b32 v27, v31 offset:64
	ds_read_b32 v24, v35 offset:64
	ds_read_b32 v20, v39 offset:64
	ds_read_b32 v19, v41 offset:64
	ds_read_b32 v5, v45 offset:64
	ds_read_b32 v4, v48 offset:64
	ds_read_b32 v3, v52 offset:64
	ds_read_b32 v2, v54 offset:64
	v_cmp_gt_u32_e32 vcc, s2, v10
                                        ; implicit-def: $vgpr11
                                        ; implicit-def: $vgpr15
	s_and_saveexec_b64 s[8:9], vcc
	s_cbranch_execz .LBB1972_63
; %bb.60:
	v_mul_u32_u24_e32 v11, 17, v10
	v_lshlrev_b32_e32 v31, 2, v11
	ds_read_b32 v11, v31 offset:64
	s_movk_i32 s2, 0xff
	v_cmp_ne_u32_e64 s[2:3], s2, v10
	v_mov_b32_e32 v15, 0x3000
	s_and_saveexec_b64 s[10:11], s[2:3]
	s_cbranch_execz .LBB1972_62
; %bb.61:
	ds_read_b32 v15, v31 offset:132
.LBB1972_62:
	s_or_b64 exec, exec, s[10:11]
	s_waitcnt lgkmcnt(0)
	v_sub_u32_e32 v15, v15, v11
.LBB1972_63:
	s_or_b64 exec, exec, s[8:9]
	v_add_u32_e32 v18, v21, v18
	s_waitcnt lgkmcnt(11)
	v_add_lshl_u32 v16, v59, v16, 1
	v_add_u32_e32 v13, v28, v13
	v_add_u32_e32 v23, v25, v23
	s_waitcnt lgkmcnt(0)
	s_barrier
	ds_write_b16 v16, v14 offset:1024
	v_add_lshl_u32 v14, v18, v58, 1
	v_add_u32_e32 v30, v33, v30
	ds_write_b16 v14, v17 offset:1024
	v_add_lshl_u32 v14, v23, v57, 1
	v_add_lshl_u32 v13, v13, v55, 1
	v_add_u32_e32 v34, v37, v34
	ds_write_b16 v14, v22 offset:1024
	ds_write_b16 v13, v12 offset:1024
	v_add_lshl_u32 v12, v30, v27, 1
	v_add_u32_e32 v26, v56, v26
	v_add_u32_e32 v31, v53, v51
	;; [unrolled: 1-line block ×6, first 2 shown]
	ds_write_b16 v12, v29 offset:1024
	v_add_lshl_u32 v12, v34, v24, 1
	ds_write_b16 v12, v32 offset:1024
	v_add_lshl_u32 v12, v38, v20, 1
	v_add_lshl_u32 v9, v9, v19, 1
	;; [unrolled: 1-line block ×6, first 2 shown]
	ds_write_b16 v12, v36 offset:1024
	ds_write_b16 v9, v8 offset:1024
	;; [unrolled: 1-line block ×6, first 2 shown]
	s_and_saveexec_b64 s[8:9], vcc
	s_cbranch_execz .LBB1972_73
; %bb.64:
	v_lshl_or_b32 v2, s30, 8, v10
	v_mov_b32_e32 v3, 0
	v_lshlrev_b64 v[4:5], 2, v[2:3]
	v_mov_b32_e32 v8, s15
	v_add_co_u32_e64 v4, s[2:3], s14, v4
	v_addc_co_u32_e64 v5, s[2:3], v8, v5, s[2:3]
	v_or_b32_e32 v2, 2.0, v15
	s_mov_b64 s[10:11], 0
	s_brev_b32 s33, 1
	s_mov_b32 s34, s30
	v_mov_b32_e32 v9, 0
	global_store_dword v[4:5], v2, off
                                        ; implicit-def: $sgpr2_sgpr3
	s_branch .LBB1972_66
.LBB1972_65:                            ;   in Loop: Header=BB1972_66 Depth=1
	s_or_b64 exec, exec, s[12:13]
	v_and_b32_e32 v6, 0x3fffffff, v12
	v_add_u32_e32 v9, v6, v9
	v_cmp_eq_u32_e64 s[2:3], s33, v2
	s_and_b64 s[12:13], exec, s[2:3]
	s_or_b64 s[10:11], s[12:13], s[10:11]
	s_andn2_b64 exec, exec, s[10:11]
	s_cbranch_execz .LBB1972_72
.LBB1972_66:                            ; =>This Loop Header: Depth=1
                                        ;     Child Loop BB1972_69 Depth 2
	s_or_b64 s[2:3], s[2:3], exec
	s_cmp_eq_u32 s34, 0
	s_cbranch_scc1 .LBB1972_71
; %bb.67:                               ;   in Loop: Header=BB1972_66 Depth=1
	s_add_i32 s34, s34, -1
	v_lshl_or_b32 v2, s34, 8, v10
	v_lshlrev_b64 v[6:7], 2, v[2:3]
	v_add_co_u32_e64 v6, s[2:3], s14, v6
	v_addc_co_u32_e64 v7, s[2:3], v8, v7, s[2:3]
	global_load_dword v12, v[6:7], off glc
	s_waitcnt vmcnt(0)
	v_and_b32_e32 v2, -2.0, v12
	v_cmp_eq_u32_e64 s[2:3], 0, v2
	s_and_saveexec_b64 s[12:13], s[2:3]
	s_cbranch_execz .LBB1972_65
; %bb.68:                               ;   in Loop: Header=BB1972_66 Depth=1
	s_mov_b64 s[22:23], 0
.LBB1972_69:                            ;   Parent Loop BB1972_66 Depth=1
                                        ; =>  This Inner Loop Header: Depth=2
	global_load_dword v12, v[6:7], off glc
	s_waitcnt vmcnt(0)
	v_and_b32_e32 v2, -2.0, v12
	v_cmp_ne_u32_e64 s[2:3], 0, v2
	s_or_b64 s[22:23], s[2:3], s[22:23]
	s_andn2_b64 exec, exec, s[22:23]
	s_cbranch_execnz .LBB1972_69
; %bb.70:                               ;   in Loop: Header=BB1972_66 Depth=1
	s_or_b64 exec, exec, s[22:23]
	s_branch .LBB1972_65
.LBB1972_71:                            ;   in Loop: Header=BB1972_66 Depth=1
                                        ; implicit-def: $sgpr34
	s_and_b64 s[12:13], exec, s[2:3]
	s_or_b64 s[10:11], s[12:13], s[10:11]
	s_andn2_b64 exec, exec, s[10:11]
	s_cbranch_execnz .LBB1972_66
.LBB1972_72:
	s_or_b64 exec, exec, s[10:11]
	v_add_u32_e32 v2, v9, v15
	v_or_b32_e32 v2, 0x80000000, v2
	global_store_dword v[4:5], v2, off
	v_lshlrev_b32_e32 v2, 2, v10
	global_load_dword v3, v2, s[16:17]
	v_sub_u32_e32 v4, v9, v11
	s_waitcnt vmcnt(0)
	v_add_u32_e32 v3, v4, v3
	ds_write_b32 v2, v3
.LBB1972_73:
	s_or_b64 exec, exec, s[8:9]
	v_cmp_gt_u32_e64 s[2:3], s7, v10
	s_waitcnt lgkmcnt(0)
	s_barrier
	s_and_saveexec_b64 s[8:9], s[2:3]
	s_cbranch_execz .LBB1972_75
; %bb.74:
	v_lshlrev_b32_e32 v2, 1, v10
	ds_read_u16 v2, v2 offset:1024
	v_mov_b32_e32 v5, s27
	s_waitcnt lgkmcnt(0)
	v_lshrrev_b32_sdwa v3, s20, v2 dst_sel:DWORD dst_unused:UNUSED_PAD src0_sel:DWORD src1_sel:WORD_0
	v_and_b32_e32 v3, s31, v3
	v_lshlrev_b32_e32 v3, 2, v3
	ds_read_b32 v4, v3
	v_mov_b32_e32 v3, 0
	v_xor_b32_e32 v6, 0xffff8000, v2
	s_waitcnt lgkmcnt(0)
	v_add_u32_e32 v2, v4, v10
	v_lshlrev_b64 v[2:3], 1, v[2:3]
	v_add_co_u32_e64 v2, s[2:3], s26, v2
	v_addc_co_u32_e64 v3, s[2:3], v5, v3, s[2:3]
	global_store_short v[2:3], v6, off
.LBB1972_75:
	s_or_b64 exec, exec, s[8:9]
	v_or_b32_e32 v2, 0x400, v10
	v_cmp_gt_u32_e64 s[2:3], s7, v2
	s_and_saveexec_b64 s[8:9], s[2:3]
	s_cbranch_execz .LBB1972_77
; %bb.76:
	v_lshlrev_b32_e32 v3, 1, v10
	ds_read_u16 v4, v3 offset:3072
	v_mov_b32_e32 v6, s27
	s_waitcnt lgkmcnt(0)
	v_lshrrev_b32_sdwa v3, s20, v4 dst_sel:DWORD dst_unused:UNUSED_PAD src0_sel:DWORD src1_sel:WORD_0
	v_and_b32_e32 v3, s31, v3
	v_lshlrev_b32_e32 v3, 2, v3
	ds_read_b32 v5, v3
	v_mov_b32_e32 v3, 0
	v_xor_b32_e32 v4, 0xffff8000, v4
	s_waitcnt lgkmcnt(0)
	v_add_u32_e32 v2, v5, v2
	v_lshlrev_b64 v[2:3], 1, v[2:3]
	v_add_co_u32_e64 v2, s[2:3], s26, v2
	v_addc_co_u32_e64 v3, s[2:3], v6, v3, s[2:3]
	global_store_short v[2:3], v4, off
.LBB1972_77:
	s_or_b64 exec, exec, s[8:9]
	v_or_b32_e32 v2, 0x800, v10
	v_cmp_gt_u32_e64 s[2:3], s7, v2
	;; [unrolled: 23-line block ×11, first 2 shown]
	s_and_saveexec_b64 s[8:9], s[2:3]
	s_cbranch_execz .LBB1972_97
; %bb.96:
	v_lshlrev_b32_e32 v3, 1, v10
	ds_read_u16 v4, v3 offset:23552
	v_mov_b32_e32 v6, s27
	s_waitcnt lgkmcnt(0)
	v_lshrrev_b32_sdwa v3, s20, v4 dst_sel:DWORD dst_unused:UNUSED_PAD src0_sel:DWORD src1_sel:WORD_0
	v_and_b32_e32 v3, s31, v3
	v_lshlrev_b32_e32 v3, 2, v3
	ds_read_b32 v5, v3
	v_mov_b32_e32 v3, 0
	v_xor_b32_e32 v4, 0xffff8000, v4
	s_waitcnt lgkmcnt(0)
	v_add_u32_e32 v2, v5, v2
	v_lshlrev_b64 v[2:3], 1, v[2:3]
	v_add_co_u32_e64 v2, s[2:3], s26, v2
	v_addc_co_u32_e64 v3, s[2:3], v6, v3, s[2:3]
	global_store_short v[2:3], v4, off
.LBB1972_97:
	s_or_b64 exec, exec, s[8:9]
	s_add_i32 s29, s29, -1
	s_cmp_eq_u32 s29, s30
	s_cselect_b64 s[2:3], -1, 0
	s_and_b64 s[8:9], vcc, s[2:3]
	s_mov_b64 s[2:3], 0
	s_mov_b64 s[10:11], 0
                                        ; implicit-def: $vgpr2
	s_and_saveexec_b64 s[12:13], s[8:9]
	s_xor_b64 s[8:9], exec, s[12:13]
; %bb.98:
	s_mov_b64 s[10:11], exec
	v_add_u32_e32 v2, v11, v15
	v_mov_b32_e32 v11, 0
; %bb.99:
	s_or_b64 exec, exec, s[8:9]
	s_and_b64 vcc, exec, s[2:3]
	s_cbranch_vccnz .LBB1972_101
	s_branch .LBB1972_150
.LBB1972_100:
	s_mov_b64 s[10:11], 0
                                        ; implicit-def: $vgpr2
	s_cbranch_execz .LBB1972_150
.LBB1972_101:
	s_mov_b32 s29, 0
	v_mbcnt_hi_u32_b32 v5, -1, v1
	s_lshl_b64 s[2:3], s[28:29], 1
	v_and_b32_e32 v1, 63, v5
	s_add_u32 s2, s24, s2
	v_lshlrev_b32_e32 v1, 1, v1
	v_add_co_u32_e32 v1, vcc, s2, v1
	s_load_dword s22, s[4:5], 0x58
	s_load_dword s2, s[4:5], 0x64
	s_addc_u32 s3, s25, s3
	v_and_b32_e32 v3, 0x3c0, v10
	v_mul_u32_u24_e32 v3, 12, v3
	v_mov_b32_e32 v4, s3
	v_addc_co_u32_e32 v4, vcc, 0, v4, vcc
	v_lshlrev_b32_e32 v3, 1, v3
	s_add_u32 s3, s4, 0x58
	v_add_co_u32_e32 v12, vcc, v1, v3
	s_addc_u32 s4, s5, 0
	s_waitcnt lgkmcnt(0)
	s_lshr_b32 s5, s2, 16
	v_addc_co_u32_e32 v13, vcc, 0, v4, vcc
	s_cmp_lt_u32 s6, s22
	global_load_ushort v1, v[12:13], off
	s_cselect_b32 s2, 12, 18
	s_add_u32 s2, s3, s2
	v_mov_b32_e32 v2, 0
	s_addc_u32 s3, s4, 0
	global_load_ushort v3, v2, s[2:3]
	v_mul_u32_u24_e32 v6, 5, v10
	v_lshlrev_b32_e32 v6, 2, v6
	ds_write2_b32 v6, v2, v2 offset0:16 offset1:17
	ds_write2_b32 v6, v2, v2 offset0:18 offset1:19
	ds_write_b32 v6, v2 offset:80
	global_load_ushort v9, v[12:13], off offset:128
	global_load_ushort v14, v[12:13], off offset:256
	;; [unrolled: 1-line block ×11, first 2 shown]
	v_bfe_u32 v4, v0, 10, 10
	v_bfe_u32 v0, v0, 20, 10
	v_mad_u32_u24 v0, v0, s5, v4
	s_lshl_b32 s2, -1, s21
	s_not_b32 s21, s2
	s_waitcnt lgkmcnt(0)
	s_barrier
	s_waitcnt lgkmcnt(0)
	; wave barrier
	s_waitcnt vmcnt(12)
	v_xor_b32_e32 v4, 0xffff8000, v1
	v_lshrrev_b32_sdwa v1, s20, v4 dst_sel:DWORD dst_unused:UNUSED_PAD src0_sel:DWORD src1_sel:WORD_0
	v_and_b32_e32 v8, s21, v1
	v_and_b32_e32 v7, 1, v8
	s_waitcnt vmcnt(11)
	v_mad_u64_u32 v[0:1], s[2:3], v0, v3, v[10:11]
	v_lshrrev_b32_e32 v17, 6, v0
	v_add_co_u32_e32 v0, vcc, -1, v7
	v_lshlrev_b32_e32 v3, 30, v8
	v_addc_co_u32_e64 v11, s[2:3], 0, -1, vcc
	v_mul_u32_u24_e32 v1, 17, v8
	v_cmp_ne_u32_e32 vcc, 0, v7
	v_cmp_gt_i64_e64 s[2:3], 0, v[2:3]
	v_not_b32_e32 v12, v3
	v_lshlrev_b32_e32 v3, 29, v8
	v_add_lshl_u32 v7, v17, v1, 2
	v_xor_b32_e32 v1, vcc_hi, v11
	v_xor_b32_e32 v0, vcc_lo, v0
	v_ashrrev_i32_e32 v11, 31, v12
	v_cmp_gt_i64_e32 vcc, 0, v[2:3]
	v_not_b32_e32 v12, v3
	v_lshlrev_b32_e32 v3, 28, v8
	v_and_b32_e32 v1, exec_hi, v1
	v_and_b32_e32 v0, exec_lo, v0
	v_xor_b32_e32 v13, s3, v11
	v_xor_b32_e32 v11, s2, v11
	v_ashrrev_i32_e32 v12, 31, v12
	v_cmp_gt_i64_e64 s[2:3], 0, v[2:3]
	v_not_b32_e32 v3, v3
	v_and_b32_e32 v1, v1, v13
	v_and_b32_e32 v0, v0, v11
	v_xor_b32_e32 v11, vcc_hi, v12
	v_xor_b32_e32 v12, vcc_lo, v12
	v_ashrrev_i32_e32 v3, 31, v3
	v_and_b32_e32 v1, v1, v11
	v_and_b32_e32 v0, v0, v12
	v_xor_b32_e32 v11, s3, v3
	v_xor_b32_e32 v3, s2, v3
	v_and_b32_e32 v0, v0, v3
	v_lshlrev_b32_e32 v3, 27, v8
	v_cmp_gt_i64_e32 vcc, 0, v[2:3]
	v_not_b32_e32 v3, v3
	v_ashrrev_i32_e32 v3, 31, v3
	v_and_b32_e32 v1, v1, v11
	v_xor_b32_e32 v11, vcc_hi, v3
	v_xor_b32_e32 v3, vcc_lo, v3
	v_and_b32_e32 v0, v0, v3
	v_lshlrev_b32_e32 v3, 26, v8
	v_cmp_gt_i64_e32 vcc, 0, v[2:3]
	v_not_b32_e32 v3, v3
	v_ashrrev_i32_e32 v3, 31, v3
	v_and_b32_e32 v1, v1, v11
	v_xor_b32_e32 v11, vcc_hi, v3
	v_xor_b32_e32 v3, vcc_lo, v3
	;; [unrolled: 8-line block ×3, first 2 shown]
	v_and_b32_e32 v0, v0, v3
	v_lshlrev_b32_e32 v3, 24, v8
	v_cmp_gt_i64_e32 vcc, 0, v[2:3]
	v_not_b32_e32 v3, v3
	v_ashrrev_i32_e32 v3, 31, v3
	v_xor_b32_e32 v8, vcc_hi, v3
	v_xor_b32_e32 v3, vcc_lo, v3
	v_and_b32_e32 v1, v1, v11
	v_and_b32_e32 v0, v0, v3
	;; [unrolled: 1-line block ×3, first 2 shown]
	v_mbcnt_lo_u32_b32 v3, v0, 0
	v_mbcnt_hi_u32_b32 v8, v1, v3
	v_cmp_eq_u32_e32 vcc, 0, v8
	v_cmp_ne_u64_e64 s[2:3], 0, v[0:1]
	s_and_b64 s[4:5], s[2:3], vcc
	s_and_saveexec_b64 s[2:3], s[4:5]
	s_cbranch_execz .LBB1972_103
; %bb.102:
	v_bcnt_u32_b32 v0, v0, 0
	v_bcnt_u32_b32 v0, v1, v0
	ds_write_b32 v7, v0 offset:64
.LBB1972_103:
	s_or_b64 exec, exec, s[2:3]
	s_waitcnt vmcnt(10)
	v_xor_b32_e32 v9, 0xffff8000, v9
	v_lshrrev_b32_sdwa v0, s20, v9 dst_sel:DWORD dst_unused:UNUSED_PAD src0_sel:DWORD src1_sel:WORD_0
	v_and_b32_e32 v0, s21, v0
	v_mul_u32_u24_e32 v1, 17, v0
	v_add_lshl_u32 v12, v17, v1, 2
	v_and_b32_e32 v1, 1, v0
	v_add_co_u32_e32 v3, vcc, -1, v1
	v_addc_co_u32_e64 v13, s[2:3], 0, -1, vcc
	v_cmp_ne_u32_e32 vcc, 0, v1
	v_xor_b32_e32 v3, vcc_lo, v3
	v_xor_b32_e32 v1, vcc_hi, v13
	v_and_b32_e32 v13, exec_lo, v3
	v_lshlrev_b32_e32 v3, 30, v0
	v_cmp_gt_i64_e32 vcc, 0, v[2:3]
	v_not_b32_e32 v3, v3
	v_ashrrev_i32_e32 v3, 31, v3
	v_xor_b32_e32 v15, vcc_hi, v3
	v_xor_b32_e32 v3, vcc_lo, v3
	v_and_b32_e32 v13, v13, v3
	v_lshlrev_b32_e32 v3, 29, v0
	v_cmp_gt_i64_e32 vcc, 0, v[2:3]
	v_not_b32_e32 v3, v3
	v_and_b32_e32 v1, exec_hi, v1
	v_ashrrev_i32_e32 v3, 31, v3
	v_and_b32_e32 v1, v1, v15
	v_xor_b32_e32 v15, vcc_hi, v3
	v_xor_b32_e32 v3, vcc_lo, v3
	v_and_b32_e32 v13, v13, v3
	v_lshlrev_b32_e32 v3, 28, v0
	v_cmp_gt_i64_e32 vcc, 0, v[2:3]
	v_not_b32_e32 v3, v3
	v_ashrrev_i32_e32 v3, 31, v3
	v_and_b32_e32 v1, v1, v15
	v_xor_b32_e32 v15, vcc_hi, v3
	v_xor_b32_e32 v3, vcc_lo, v3
	v_and_b32_e32 v13, v13, v3
	v_lshlrev_b32_e32 v3, 27, v0
	v_cmp_gt_i64_e32 vcc, 0, v[2:3]
	v_not_b32_e32 v3, v3
	;; [unrolled: 8-line block ×4, first 2 shown]
	v_ashrrev_i32_e32 v3, 31, v3
	v_and_b32_e32 v1, v1, v15
	v_xor_b32_e32 v15, vcc_hi, v3
	v_xor_b32_e32 v3, vcc_lo, v3
	v_and_b32_e32 v13, v13, v3
	v_lshlrev_b32_e32 v3, 24, v0
	v_not_b32_e32 v0, v3
	v_cmp_gt_i64_e32 vcc, 0, v[2:3]
	v_ashrrev_i32_e32 v0, 31, v0
	v_xor_b32_e32 v2, vcc_hi, v0
	v_xor_b32_e32 v0, vcc_lo, v0
	; wave barrier
	ds_read_b32 v11, v12 offset:64
	v_and_b32_e32 v1, v1, v15
	v_and_b32_e32 v0, v13, v0
	;; [unrolled: 1-line block ×3, first 2 shown]
	v_mbcnt_lo_u32_b32 v2, v0, 0
	v_mbcnt_hi_u32_b32 v13, v1, v2
	v_cmp_eq_u32_e32 vcc, 0, v13
	v_cmp_ne_u64_e64 s[2:3], 0, v[0:1]
	s_and_b64 s[4:5], s[2:3], vcc
	; wave barrier
	s_and_saveexec_b64 s[2:3], s[4:5]
	s_cbranch_execz .LBB1972_105
; %bb.104:
	v_bcnt_u32_b32 v0, v0, 0
	v_bcnt_u32_b32 v0, v1, v0
	s_waitcnt lgkmcnt(0)
	v_add_u32_e32 v0, v11, v0
	ds_write_b32 v12, v0 offset:64
.LBB1972_105:
	s_or_b64 exec, exec, s[2:3]
	s_waitcnt vmcnt(9)
	v_xor_b32_e32 v14, 0xffff8000, v14
	v_lshrrev_b32_sdwa v0, s20, v14 dst_sel:DWORD dst_unused:UNUSED_PAD src0_sel:DWORD src1_sel:WORD_0
	v_and_b32_e32 v2, s21, v0
	v_and_b32_e32 v1, 1, v2
	v_add_co_u32_e32 v3, vcc, -1, v1
	v_addc_co_u32_e64 v19, s[2:3], 0, -1, vcc
	v_cmp_ne_u32_e32 vcc, 0, v1
	v_mul_u32_u24_e32 v0, 17, v2
	v_xor_b32_e32 v1, vcc_hi, v19
	v_add_lshl_u32 v18, v17, v0, 2
	v_mov_b32_e32 v0, 0
	v_and_b32_e32 v19, exec_hi, v1
	v_lshlrev_b32_e32 v1, 30, v2
	v_xor_b32_e32 v3, vcc_lo, v3
	v_cmp_gt_i64_e32 vcc, 0, v[0:1]
	v_not_b32_e32 v1, v1
	v_ashrrev_i32_e32 v1, 31, v1
	v_and_b32_e32 v3, exec_lo, v3
	v_xor_b32_e32 v21, vcc_hi, v1
	v_xor_b32_e32 v1, vcc_lo, v1
	v_and_b32_e32 v3, v3, v1
	v_lshlrev_b32_e32 v1, 29, v2
	v_cmp_gt_i64_e32 vcc, 0, v[0:1]
	v_not_b32_e32 v1, v1
	v_ashrrev_i32_e32 v1, 31, v1
	v_and_b32_e32 v19, v19, v21
	v_xor_b32_e32 v21, vcc_hi, v1
	v_xor_b32_e32 v1, vcc_lo, v1
	v_and_b32_e32 v3, v3, v1
	v_lshlrev_b32_e32 v1, 28, v2
	v_cmp_gt_i64_e32 vcc, 0, v[0:1]
	v_not_b32_e32 v1, v1
	v_ashrrev_i32_e32 v1, 31, v1
	v_and_b32_e32 v19, v19, v21
	;; [unrolled: 8-line block ×5, first 2 shown]
	v_xor_b32_e32 v21, vcc_hi, v1
	v_xor_b32_e32 v1, vcc_lo, v1
	v_and_b32_e32 v19, v19, v21
	v_and_b32_e32 v21, v3, v1
	v_lshlrev_b32_e32 v1, 24, v2
	v_cmp_gt_i64_e32 vcc, 0, v[0:1]
	v_not_b32_e32 v1, v1
	v_ashrrev_i32_e32 v1, 31, v1
	v_xor_b32_e32 v2, vcc_hi, v1
	v_xor_b32_e32 v1, vcc_lo, v1
	; wave barrier
	ds_read_b32 v15, v18 offset:64
	v_and_b32_e32 v3, v19, v2
	v_and_b32_e32 v2, v21, v1
	v_mbcnt_lo_u32_b32 v1, v2, 0
	v_mbcnt_hi_u32_b32 v19, v3, v1
	v_cmp_eq_u32_e32 vcc, 0, v19
	v_cmp_ne_u64_e64 s[2:3], 0, v[2:3]
	s_and_b64 s[4:5], s[2:3], vcc
	; wave barrier
	s_and_saveexec_b64 s[2:3], s[4:5]
	s_cbranch_execz .LBB1972_107
; %bb.106:
	v_bcnt_u32_b32 v1, v2, 0
	v_bcnt_u32_b32 v1, v3, v1
	s_waitcnt lgkmcnt(0)
	v_add_u32_e32 v1, v15, v1
	ds_write_b32 v18, v1 offset:64
.LBB1972_107:
	s_or_b64 exec, exec, s[2:3]
	s_waitcnt vmcnt(8)
	v_xor_b32_e32 v20, 0xffff8000, v20
	v_lshrrev_b32_sdwa v1, s20, v20 dst_sel:DWORD dst_unused:UNUSED_PAD src0_sel:DWORD src1_sel:WORD_0
	v_and_b32_e32 v2, s21, v1
	v_mul_u32_u24_e32 v1, 17, v2
	v_add_lshl_u32 v23, v17, v1, 2
	v_and_b32_e32 v1, 1, v2
	v_add_co_u32_e32 v3, vcc, -1, v1
	v_addc_co_u32_e64 v24, s[2:3], 0, -1, vcc
	v_cmp_ne_u32_e32 vcc, 0, v1
	v_xor_b32_e32 v1, vcc_hi, v24
	v_and_b32_e32 v24, exec_hi, v1
	v_lshlrev_b32_e32 v1, 30, v2
	v_xor_b32_e32 v3, vcc_lo, v3
	v_cmp_gt_i64_e32 vcc, 0, v[0:1]
	v_not_b32_e32 v1, v1
	v_ashrrev_i32_e32 v1, 31, v1
	v_and_b32_e32 v3, exec_lo, v3
	v_xor_b32_e32 v26, vcc_hi, v1
	v_xor_b32_e32 v1, vcc_lo, v1
	v_and_b32_e32 v3, v3, v1
	v_lshlrev_b32_e32 v1, 29, v2
	v_cmp_gt_i64_e32 vcc, 0, v[0:1]
	v_not_b32_e32 v1, v1
	v_ashrrev_i32_e32 v1, 31, v1
	v_and_b32_e32 v24, v24, v26
	v_xor_b32_e32 v26, vcc_hi, v1
	v_xor_b32_e32 v1, vcc_lo, v1
	v_and_b32_e32 v3, v3, v1
	v_lshlrev_b32_e32 v1, 28, v2
	v_cmp_gt_i64_e32 vcc, 0, v[0:1]
	v_not_b32_e32 v1, v1
	v_ashrrev_i32_e32 v1, 31, v1
	v_and_b32_e32 v24, v24, v26
	;; [unrolled: 8-line block ×5, first 2 shown]
	v_xor_b32_e32 v26, vcc_hi, v1
	v_xor_b32_e32 v1, vcc_lo, v1
	v_and_b32_e32 v3, v3, v1
	v_lshlrev_b32_e32 v1, 24, v2
	v_cmp_gt_i64_e32 vcc, 0, v[0:1]
	v_not_b32_e32 v0, v1
	v_ashrrev_i32_e32 v0, 31, v0
	v_xor_b32_e32 v1, vcc_hi, v0
	v_xor_b32_e32 v0, vcc_lo, v0
	; wave barrier
	ds_read_b32 v21, v23 offset:64
	v_and_b32_e32 v24, v24, v26
	v_and_b32_e32 v0, v3, v0
	;; [unrolled: 1-line block ×3, first 2 shown]
	v_mbcnt_lo_u32_b32 v2, v0, 0
	v_mbcnt_hi_u32_b32 v24, v1, v2
	v_cmp_eq_u32_e32 vcc, 0, v24
	v_cmp_ne_u64_e64 s[2:3], 0, v[0:1]
	s_and_b64 s[4:5], s[2:3], vcc
	; wave barrier
	s_and_saveexec_b64 s[2:3], s[4:5]
	s_cbranch_execz .LBB1972_109
; %bb.108:
	v_bcnt_u32_b32 v0, v0, 0
	v_bcnt_u32_b32 v0, v1, v0
	s_waitcnt lgkmcnt(0)
	v_add_u32_e32 v0, v21, v0
	ds_write_b32 v23, v0 offset:64
.LBB1972_109:
	s_or_b64 exec, exec, s[2:3]
	s_waitcnt vmcnt(7)
	v_xor_b32_e32 v25, 0xffff8000, v25
	v_lshrrev_b32_sdwa v0, s20, v25 dst_sel:DWORD dst_unused:UNUSED_PAD src0_sel:DWORD src1_sel:WORD_0
	v_and_b32_e32 v2, s21, v0
	v_and_b32_e32 v1, 1, v2
	v_add_co_u32_e32 v3, vcc, -1, v1
	v_addc_co_u32_e64 v30, s[2:3], 0, -1, vcc
	v_cmp_ne_u32_e32 vcc, 0, v1
	v_mul_u32_u24_e32 v0, 17, v2
	v_xor_b32_e32 v1, vcc_hi, v30
	v_add_lshl_u32 v28, v17, v0, 2
	v_mov_b32_e32 v0, 0
	v_and_b32_e32 v30, exec_hi, v1
	v_lshlrev_b32_e32 v1, 30, v2
	v_xor_b32_e32 v3, vcc_lo, v3
	v_cmp_gt_i64_e32 vcc, 0, v[0:1]
	v_not_b32_e32 v1, v1
	v_ashrrev_i32_e32 v1, 31, v1
	v_and_b32_e32 v3, exec_lo, v3
	v_xor_b32_e32 v31, vcc_hi, v1
	v_xor_b32_e32 v1, vcc_lo, v1
	v_and_b32_e32 v3, v3, v1
	v_lshlrev_b32_e32 v1, 29, v2
	v_cmp_gt_i64_e32 vcc, 0, v[0:1]
	v_not_b32_e32 v1, v1
	v_ashrrev_i32_e32 v1, 31, v1
	v_and_b32_e32 v30, v30, v31
	v_xor_b32_e32 v31, vcc_hi, v1
	v_xor_b32_e32 v1, vcc_lo, v1
	v_and_b32_e32 v3, v3, v1
	v_lshlrev_b32_e32 v1, 28, v2
	v_cmp_gt_i64_e32 vcc, 0, v[0:1]
	v_not_b32_e32 v1, v1
	v_ashrrev_i32_e32 v1, 31, v1
	v_and_b32_e32 v30, v30, v31
	;; [unrolled: 8-line block ×5, first 2 shown]
	v_xor_b32_e32 v31, vcc_hi, v1
	v_xor_b32_e32 v1, vcc_lo, v1
	v_and_b32_e32 v30, v30, v31
	v_and_b32_e32 v31, v3, v1
	v_lshlrev_b32_e32 v1, 24, v2
	v_cmp_gt_i64_e32 vcc, 0, v[0:1]
	v_not_b32_e32 v1, v1
	v_ashrrev_i32_e32 v1, 31, v1
	v_xor_b32_e32 v2, vcc_hi, v1
	v_xor_b32_e32 v1, vcc_lo, v1
	; wave barrier
	ds_read_b32 v26, v28 offset:64
	v_and_b32_e32 v3, v30, v2
	v_and_b32_e32 v2, v31, v1
	v_mbcnt_lo_u32_b32 v1, v2, 0
	v_mbcnt_hi_u32_b32 v30, v3, v1
	v_cmp_eq_u32_e32 vcc, 0, v30
	v_cmp_ne_u64_e64 s[2:3], 0, v[2:3]
	s_and_b64 s[4:5], s[2:3], vcc
	; wave barrier
	s_and_saveexec_b64 s[2:3], s[4:5]
	s_cbranch_execz .LBB1972_111
; %bb.110:
	v_bcnt_u32_b32 v1, v2, 0
	v_bcnt_u32_b32 v1, v3, v1
	s_waitcnt lgkmcnt(0)
	v_add_u32_e32 v1, v26, v1
	ds_write_b32 v28, v1 offset:64
.LBB1972_111:
	s_or_b64 exec, exec, s[2:3]
	s_waitcnt vmcnt(6)
	v_xor_b32_e32 v29, 0xffff8000, v29
	v_lshrrev_b32_sdwa v1, s20, v29 dst_sel:DWORD dst_unused:UNUSED_PAD src0_sel:DWORD src1_sel:WORD_0
	v_and_b32_e32 v2, s21, v1
	v_mul_u32_u24_e32 v1, 17, v2
	v_add_lshl_u32 v33, v17, v1, 2
	v_and_b32_e32 v1, 1, v2
	v_add_co_u32_e32 v3, vcc, -1, v1
	v_addc_co_u32_e64 v35, s[2:3], 0, -1, vcc
	v_cmp_ne_u32_e32 vcc, 0, v1
	v_xor_b32_e32 v1, vcc_hi, v35
	v_and_b32_e32 v35, exec_hi, v1
	v_lshlrev_b32_e32 v1, 30, v2
	v_xor_b32_e32 v3, vcc_lo, v3
	v_cmp_gt_i64_e32 vcc, 0, v[0:1]
	v_not_b32_e32 v1, v1
	v_ashrrev_i32_e32 v1, 31, v1
	v_and_b32_e32 v3, exec_lo, v3
	v_xor_b32_e32 v36, vcc_hi, v1
	v_xor_b32_e32 v1, vcc_lo, v1
	v_and_b32_e32 v3, v3, v1
	v_lshlrev_b32_e32 v1, 29, v2
	v_cmp_gt_i64_e32 vcc, 0, v[0:1]
	v_not_b32_e32 v1, v1
	v_ashrrev_i32_e32 v1, 31, v1
	v_and_b32_e32 v35, v35, v36
	v_xor_b32_e32 v36, vcc_hi, v1
	v_xor_b32_e32 v1, vcc_lo, v1
	v_and_b32_e32 v3, v3, v1
	v_lshlrev_b32_e32 v1, 28, v2
	v_cmp_gt_i64_e32 vcc, 0, v[0:1]
	v_not_b32_e32 v1, v1
	v_ashrrev_i32_e32 v1, 31, v1
	v_and_b32_e32 v35, v35, v36
	;; [unrolled: 8-line block ×5, first 2 shown]
	v_xor_b32_e32 v36, vcc_hi, v1
	v_xor_b32_e32 v1, vcc_lo, v1
	v_and_b32_e32 v3, v3, v1
	v_lshlrev_b32_e32 v1, 24, v2
	v_cmp_gt_i64_e32 vcc, 0, v[0:1]
	v_not_b32_e32 v0, v1
	v_ashrrev_i32_e32 v0, 31, v0
	v_xor_b32_e32 v1, vcc_hi, v0
	v_xor_b32_e32 v0, vcc_lo, v0
	; wave barrier
	ds_read_b32 v31, v33 offset:64
	v_and_b32_e32 v35, v35, v36
	v_and_b32_e32 v0, v3, v0
	;; [unrolled: 1-line block ×3, first 2 shown]
	v_mbcnt_lo_u32_b32 v2, v0, 0
	v_mbcnt_hi_u32_b32 v35, v1, v2
	v_cmp_eq_u32_e32 vcc, 0, v35
	v_cmp_ne_u64_e64 s[2:3], 0, v[0:1]
	s_and_b64 s[4:5], s[2:3], vcc
	; wave barrier
	s_and_saveexec_b64 s[2:3], s[4:5]
	s_cbranch_execz .LBB1972_113
; %bb.112:
	v_bcnt_u32_b32 v0, v0, 0
	v_bcnt_u32_b32 v0, v1, v0
	s_waitcnt lgkmcnt(0)
	v_add_u32_e32 v0, v31, v0
	ds_write_b32 v33, v0 offset:64
.LBB1972_113:
	s_or_b64 exec, exec, s[2:3]
	s_waitcnt vmcnt(5)
	v_xor_b32_e32 v34, 0xffff8000, v34
	v_lshrrev_b32_sdwa v0, s20, v34 dst_sel:DWORD dst_unused:UNUSED_PAD src0_sel:DWORD src1_sel:WORD_0
	v_and_b32_e32 v2, s21, v0
	v_and_b32_e32 v1, 1, v2
	v_add_co_u32_e32 v3, vcc, -1, v1
	v_addc_co_u32_e64 v39, s[2:3], 0, -1, vcc
	v_cmp_ne_u32_e32 vcc, 0, v1
	v_mul_u32_u24_e32 v0, 17, v2
	v_xor_b32_e32 v1, vcc_hi, v39
	v_add_lshl_u32 v38, v17, v0, 2
	v_mov_b32_e32 v0, 0
	v_and_b32_e32 v39, exec_hi, v1
	v_lshlrev_b32_e32 v1, 30, v2
	v_xor_b32_e32 v3, vcc_lo, v3
	v_cmp_gt_i64_e32 vcc, 0, v[0:1]
	v_not_b32_e32 v1, v1
	v_ashrrev_i32_e32 v1, 31, v1
	v_and_b32_e32 v3, exec_lo, v3
	v_xor_b32_e32 v40, vcc_hi, v1
	v_xor_b32_e32 v1, vcc_lo, v1
	v_and_b32_e32 v3, v3, v1
	v_lshlrev_b32_e32 v1, 29, v2
	v_cmp_gt_i64_e32 vcc, 0, v[0:1]
	v_not_b32_e32 v1, v1
	v_ashrrev_i32_e32 v1, 31, v1
	v_and_b32_e32 v39, v39, v40
	v_xor_b32_e32 v40, vcc_hi, v1
	v_xor_b32_e32 v1, vcc_lo, v1
	v_and_b32_e32 v3, v3, v1
	v_lshlrev_b32_e32 v1, 28, v2
	v_cmp_gt_i64_e32 vcc, 0, v[0:1]
	v_not_b32_e32 v1, v1
	v_ashrrev_i32_e32 v1, 31, v1
	v_and_b32_e32 v39, v39, v40
	;; [unrolled: 8-line block ×5, first 2 shown]
	v_xor_b32_e32 v40, vcc_hi, v1
	v_xor_b32_e32 v1, vcc_lo, v1
	v_and_b32_e32 v39, v39, v40
	v_and_b32_e32 v40, v3, v1
	v_lshlrev_b32_e32 v1, 24, v2
	v_cmp_gt_i64_e32 vcc, 0, v[0:1]
	v_not_b32_e32 v1, v1
	v_ashrrev_i32_e32 v1, 31, v1
	v_xor_b32_e32 v2, vcc_hi, v1
	v_xor_b32_e32 v1, vcc_lo, v1
	; wave barrier
	ds_read_b32 v36, v38 offset:64
	v_and_b32_e32 v3, v39, v2
	v_and_b32_e32 v2, v40, v1
	v_mbcnt_lo_u32_b32 v1, v2, 0
	v_mbcnt_hi_u32_b32 v39, v3, v1
	v_cmp_eq_u32_e32 vcc, 0, v39
	v_cmp_ne_u64_e64 s[2:3], 0, v[2:3]
	s_and_b64 s[4:5], s[2:3], vcc
	; wave barrier
	s_and_saveexec_b64 s[2:3], s[4:5]
	s_cbranch_execz .LBB1972_115
; %bb.114:
	v_bcnt_u32_b32 v1, v2, 0
	v_bcnt_u32_b32 v1, v3, v1
	s_waitcnt lgkmcnt(0)
	v_add_u32_e32 v1, v36, v1
	ds_write_b32 v38, v1 offset:64
.LBB1972_115:
	s_or_b64 exec, exec, s[2:3]
	s_waitcnt vmcnt(4)
	v_xor_b32_e32 v37, 0xffff8000, v37
	v_lshrrev_b32_sdwa v1, s20, v37 dst_sel:DWORD dst_unused:UNUSED_PAD src0_sel:DWORD src1_sel:WORD_0
	v_and_b32_e32 v2, s21, v1
	v_mul_u32_u24_e32 v1, 17, v2
	v_add_lshl_u32 v41, v17, v1, 2
	v_and_b32_e32 v1, 1, v2
	v_add_co_u32_e32 v3, vcc, -1, v1
	v_addc_co_u32_e64 v42, s[2:3], 0, -1, vcc
	v_cmp_ne_u32_e32 vcc, 0, v1
	v_xor_b32_e32 v1, vcc_hi, v42
	v_and_b32_e32 v42, exec_hi, v1
	v_lshlrev_b32_e32 v1, 30, v2
	v_xor_b32_e32 v3, vcc_lo, v3
	v_cmp_gt_i64_e32 vcc, 0, v[0:1]
	v_not_b32_e32 v1, v1
	v_ashrrev_i32_e32 v1, 31, v1
	v_and_b32_e32 v3, exec_lo, v3
	v_xor_b32_e32 v43, vcc_hi, v1
	v_xor_b32_e32 v1, vcc_lo, v1
	v_and_b32_e32 v3, v3, v1
	v_lshlrev_b32_e32 v1, 29, v2
	v_cmp_gt_i64_e32 vcc, 0, v[0:1]
	v_not_b32_e32 v1, v1
	v_ashrrev_i32_e32 v1, 31, v1
	v_and_b32_e32 v42, v42, v43
	v_xor_b32_e32 v43, vcc_hi, v1
	v_xor_b32_e32 v1, vcc_lo, v1
	v_and_b32_e32 v3, v3, v1
	v_lshlrev_b32_e32 v1, 28, v2
	v_cmp_gt_i64_e32 vcc, 0, v[0:1]
	v_not_b32_e32 v1, v1
	v_ashrrev_i32_e32 v1, 31, v1
	v_and_b32_e32 v42, v42, v43
	;; [unrolled: 8-line block ×5, first 2 shown]
	v_xor_b32_e32 v43, vcc_hi, v1
	v_xor_b32_e32 v1, vcc_lo, v1
	v_and_b32_e32 v3, v3, v1
	v_lshlrev_b32_e32 v1, 24, v2
	v_cmp_gt_i64_e32 vcc, 0, v[0:1]
	v_not_b32_e32 v0, v1
	v_ashrrev_i32_e32 v0, 31, v0
	v_xor_b32_e32 v1, vcc_hi, v0
	v_xor_b32_e32 v0, vcc_lo, v0
	; wave barrier
	ds_read_b32 v40, v41 offset:64
	v_and_b32_e32 v42, v42, v43
	v_and_b32_e32 v0, v3, v0
	;; [unrolled: 1-line block ×3, first 2 shown]
	v_mbcnt_lo_u32_b32 v2, v0, 0
	v_mbcnt_hi_u32_b32 v42, v1, v2
	v_cmp_eq_u32_e32 vcc, 0, v42
	v_cmp_ne_u64_e64 s[2:3], 0, v[0:1]
	s_and_b64 s[4:5], s[2:3], vcc
	; wave barrier
	s_and_saveexec_b64 s[2:3], s[4:5]
	s_cbranch_execz .LBB1972_117
; %bb.116:
	v_bcnt_u32_b32 v0, v0, 0
	v_bcnt_u32_b32 v0, v1, v0
	s_waitcnt lgkmcnt(0)
	v_add_u32_e32 v0, v40, v0
	ds_write_b32 v41, v0 offset:64
.LBB1972_117:
	s_or_b64 exec, exec, s[2:3]
	s_waitcnt vmcnt(3)
	v_xor_b32_e32 v32, 0xffff8000, v32
	v_lshrrev_b32_sdwa v0, s20, v32 dst_sel:DWORD dst_unused:UNUSED_PAD src0_sel:DWORD src1_sel:WORD_0
	v_and_b32_e32 v2, s21, v0
	v_and_b32_e32 v1, 1, v2
	v_add_co_u32_e32 v3, vcc, -1, v1
	v_addc_co_u32_e64 v45, s[2:3], 0, -1, vcc
	v_cmp_ne_u32_e32 vcc, 0, v1
	v_mul_u32_u24_e32 v0, 17, v2
	v_xor_b32_e32 v1, vcc_hi, v45
	v_add_lshl_u32 v44, v17, v0, 2
	v_mov_b32_e32 v0, 0
	v_and_b32_e32 v45, exec_hi, v1
	v_lshlrev_b32_e32 v1, 30, v2
	v_xor_b32_e32 v3, vcc_lo, v3
	v_cmp_gt_i64_e32 vcc, 0, v[0:1]
	v_not_b32_e32 v1, v1
	v_ashrrev_i32_e32 v1, 31, v1
	v_and_b32_e32 v3, exec_lo, v3
	v_xor_b32_e32 v46, vcc_hi, v1
	v_xor_b32_e32 v1, vcc_lo, v1
	v_and_b32_e32 v3, v3, v1
	v_lshlrev_b32_e32 v1, 29, v2
	v_cmp_gt_i64_e32 vcc, 0, v[0:1]
	v_not_b32_e32 v1, v1
	v_ashrrev_i32_e32 v1, 31, v1
	v_and_b32_e32 v45, v45, v46
	v_xor_b32_e32 v46, vcc_hi, v1
	v_xor_b32_e32 v1, vcc_lo, v1
	v_and_b32_e32 v3, v3, v1
	v_lshlrev_b32_e32 v1, 28, v2
	v_cmp_gt_i64_e32 vcc, 0, v[0:1]
	v_not_b32_e32 v1, v1
	v_ashrrev_i32_e32 v1, 31, v1
	v_and_b32_e32 v45, v45, v46
	;; [unrolled: 8-line block ×5, first 2 shown]
	v_xor_b32_e32 v46, vcc_hi, v1
	v_xor_b32_e32 v1, vcc_lo, v1
	v_and_b32_e32 v45, v45, v46
	v_and_b32_e32 v46, v3, v1
	v_lshlrev_b32_e32 v1, 24, v2
	v_cmp_gt_i64_e32 vcc, 0, v[0:1]
	v_not_b32_e32 v1, v1
	v_ashrrev_i32_e32 v1, 31, v1
	v_xor_b32_e32 v2, vcc_hi, v1
	v_xor_b32_e32 v1, vcc_lo, v1
	; wave barrier
	ds_read_b32 v43, v44 offset:64
	v_and_b32_e32 v3, v45, v2
	v_and_b32_e32 v2, v46, v1
	v_mbcnt_lo_u32_b32 v1, v2, 0
	v_mbcnt_hi_u32_b32 v45, v3, v1
	v_cmp_eq_u32_e32 vcc, 0, v45
	v_cmp_ne_u64_e64 s[2:3], 0, v[2:3]
	s_and_b64 s[4:5], s[2:3], vcc
	; wave barrier
	s_and_saveexec_b64 s[2:3], s[4:5]
	s_cbranch_execz .LBB1972_119
; %bb.118:
	v_bcnt_u32_b32 v1, v2, 0
	v_bcnt_u32_b32 v1, v3, v1
	s_waitcnt lgkmcnt(0)
	v_add_u32_e32 v1, v43, v1
	ds_write_b32 v44, v1 offset:64
.LBB1972_119:
	s_or_b64 exec, exec, s[2:3]
	s_waitcnt vmcnt(2)
	v_xor_b32_e32 v27, 0xffff8000, v27
	v_lshrrev_b32_sdwa v1, s20, v27 dst_sel:DWORD dst_unused:UNUSED_PAD src0_sel:DWORD src1_sel:WORD_0
	v_and_b32_e32 v2, s21, v1
	v_mul_u32_u24_e32 v1, 17, v2
	v_add_lshl_u32 v47, v17, v1, 2
	v_and_b32_e32 v1, 1, v2
	v_add_co_u32_e32 v3, vcc, -1, v1
	v_addc_co_u32_e64 v48, s[2:3], 0, -1, vcc
	v_cmp_ne_u32_e32 vcc, 0, v1
	v_xor_b32_e32 v1, vcc_hi, v48
	v_and_b32_e32 v48, exec_hi, v1
	v_lshlrev_b32_e32 v1, 30, v2
	v_xor_b32_e32 v3, vcc_lo, v3
	v_cmp_gt_i64_e32 vcc, 0, v[0:1]
	v_not_b32_e32 v1, v1
	v_ashrrev_i32_e32 v1, 31, v1
	v_and_b32_e32 v3, exec_lo, v3
	v_xor_b32_e32 v49, vcc_hi, v1
	v_xor_b32_e32 v1, vcc_lo, v1
	v_and_b32_e32 v3, v3, v1
	v_lshlrev_b32_e32 v1, 29, v2
	v_cmp_gt_i64_e32 vcc, 0, v[0:1]
	v_not_b32_e32 v1, v1
	v_ashrrev_i32_e32 v1, 31, v1
	v_and_b32_e32 v48, v48, v49
	v_xor_b32_e32 v49, vcc_hi, v1
	v_xor_b32_e32 v1, vcc_lo, v1
	v_and_b32_e32 v3, v3, v1
	v_lshlrev_b32_e32 v1, 28, v2
	v_cmp_gt_i64_e32 vcc, 0, v[0:1]
	v_not_b32_e32 v1, v1
	v_ashrrev_i32_e32 v1, 31, v1
	v_and_b32_e32 v48, v48, v49
	v_xor_b32_e32 v49, vcc_hi, v1
	v_xor_b32_e32 v1, vcc_lo, v1
	v_and_b32_e32 v3, v3, v1
	v_lshlrev_b32_e32 v1, 27, v2
	v_cmp_gt_i64_e32 vcc, 0, v[0:1]
	v_not_b32_e32 v1, v1
	v_ashrrev_i32_e32 v1, 31, v1
	v_and_b32_e32 v48, v48, v49
	v_xor_b32_e32 v49, vcc_hi, v1
	v_xor_b32_e32 v1, vcc_lo, v1
	v_and_b32_e32 v3, v3, v1
	v_lshlrev_b32_e32 v1, 26, v2
	v_cmp_gt_i64_e32 vcc, 0, v[0:1]
	v_not_b32_e32 v1, v1
	v_ashrrev_i32_e32 v1, 31, v1
	v_and_b32_e32 v48, v48, v49
	v_xor_b32_e32 v49, vcc_hi, v1
	v_xor_b32_e32 v1, vcc_lo, v1
	v_and_b32_e32 v3, v3, v1
	v_lshlrev_b32_e32 v1, 25, v2
	v_cmp_gt_i64_e32 vcc, 0, v[0:1]
	v_not_b32_e32 v1, v1
	v_ashrrev_i32_e32 v1, 31, v1
	v_and_b32_e32 v48, v48, v49
	v_xor_b32_e32 v49, vcc_hi, v1
	v_xor_b32_e32 v1, vcc_lo, v1
	v_and_b32_e32 v3, v3, v1
	v_lshlrev_b32_e32 v1, 24, v2
	v_cmp_gt_i64_e32 vcc, 0, v[0:1]
	v_not_b32_e32 v0, v1
	v_ashrrev_i32_e32 v0, 31, v0
	v_xor_b32_e32 v1, vcc_hi, v0
	v_xor_b32_e32 v0, vcc_lo, v0
	; wave barrier
	ds_read_b32 v46, v47 offset:64
	v_and_b32_e32 v48, v48, v49
	v_and_b32_e32 v0, v3, v0
	;; [unrolled: 1-line block ×3, first 2 shown]
	v_mbcnt_lo_u32_b32 v2, v0, 0
	v_mbcnt_hi_u32_b32 v48, v1, v2
	v_cmp_eq_u32_e32 vcc, 0, v48
	v_cmp_ne_u64_e64 s[2:3], 0, v[0:1]
	s_and_b64 s[4:5], s[2:3], vcc
	; wave barrier
	s_and_saveexec_b64 s[2:3], s[4:5]
	s_cbranch_execz .LBB1972_121
; %bb.120:
	v_bcnt_u32_b32 v0, v0, 0
	v_bcnt_u32_b32 v0, v1, v0
	s_waitcnt lgkmcnt(0)
	v_add_u32_e32 v0, v46, v0
	ds_write_b32 v47, v0 offset:64
.LBB1972_121:
	s_or_b64 exec, exec, s[2:3]
	s_waitcnt vmcnt(1)
	v_xor_b32_e32 v22, 0xffff8000, v22
	v_lshrrev_b32_sdwa v0, s20, v22 dst_sel:DWORD dst_unused:UNUSED_PAD src0_sel:DWORD src1_sel:WORD_0
	v_and_b32_e32 v2, s21, v0
	v_and_b32_e32 v1, 1, v2
	v_add_co_u32_e32 v3, vcc, -1, v1
	v_addc_co_u32_e64 v51, s[2:3], 0, -1, vcc
	v_cmp_ne_u32_e32 vcc, 0, v1
	v_mul_u32_u24_e32 v0, 17, v2
	v_xor_b32_e32 v1, vcc_hi, v51
	v_add_lshl_u32 v50, v17, v0, 2
	v_mov_b32_e32 v0, 0
	v_and_b32_e32 v51, exec_hi, v1
	v_lshlrev_b32_e32 v1, 30, v2
	v_xor_b32_e32 v3, vcc_lo, v3
	v_cmp_gt_i64_e32 vcc, 0, v[0:1]
	v_not_b32_e32 v1, v1
	v_ashrrev_i32_e32 v1, 31, v1
	v_and_b32_e32 v3, exec_lo, v3
	v_xor_b32_e32 v52, vcc_hi, v1
	v_xor_b32_e32 v1, vcc_lo, v1
	v_and_b32_e32 v3, v3, v1
	v_lshlrev_b32_e32 v1, 29, v2
	v_cmp_gt_i64_e32 vcc, 0, v[0:1]
	v_not_b32_e32 v1, v1
	v_ashrrev_i32_e32 v1, 31, v1
	v_and_b32_e32 v51, v51, v52
	v_xor_b32_e32 v52, vcc_hi, v1
	v_xor_b32_e32 v1, vcc_lo, v1
	v_and_b32_e32 v3, v3, v1
	v_lshlrev_b32_e32 v1, 28, v2
	v_cmp_gt_i64_e32 vcc, 0, v[0:1]
	v_not_b32_e32 v1, v1
	v_ashrrev_i32_e32 v1, 31, v1
	v_and_b32_e32 v51, v51, v52
	;; [unrolled: 8-line block ×5, first 2 shown]
	v_xor_b32_e32 v52, vcc_hi, v1
	v_xor_b32_e32 v1, vcc_lo, v1
	v_and_b32_e32 v51, v51, v52
	v_and_b32_e32 v52, v3, v1
	v_lshlrev_b32_e32 v1, 24, v2
	v_cmp_gt_i64_e32 vcc, 0, v[0:1]
	v_not_b32_e32 v1, v1
	v_ashrrev_i32_e32 v1, 31, v1
	v_xor_b32_e32 v2, vcc_hi, v1
	v_xor_b32_e32 v1, vcc_lo, v1
	; wave barrier
	ds_read_b32 v49, v50 offset:64
	v_and_b32_e32 v3, v51, v2
	v_and_b32_e32 v2, v52, v1
	v_mbcnt_lo_u32_b32 v1, v2, 0
	v_mbcnt_hi_u32_b32 v51, v3, v1
	v_cmp_eq_u32_e32 vcc, 0, v51
	v_cmp_ne_u64_e64 s[2:3], 0, v[2:3]
	s_and_b64 s[4:5], s[2:3], vcc
	; wave barrier
	s_and_saveexec_b64 s[2:3], s[4:5]
	s_cbranch_execz .LBB1972_123
; %bb.122:
	v_bcnt_u32_b32 v1, v2, 0
	v_bcnt_u32_b32 v1, v3, v1
	s_waitcnt lgkmcnt(0)
	v_add_u32_e32 v1, v49, v1
	ds_write_b32 v50, v1 offset:64
.LBB1972_123:
	s_or_b64 exec, exec, s[2:3]
	s_waitcnt vmcnt(0)
	v_xor_b32_e32 v16, 0xffff8000, v16
	v_lshrrev_b32_sdwa v1, s20, v16 dst_sel:DWORD dst_unused:UNUSED_PAD src0_sel:DWORD src1_sel:WORD_0
	v_and_b32_e32 v2, s21, v1
	v_mul_u32_u24_e32 v1, 17, v2
	v_add_lshl_u32 v53, v17, v1, 2
	v_and_b32_e32 v1, 1, v2
	v_add_co_u32_e32 v3, vcc, -1, v1
	v_addc_co_u32_e64 v17, s[2:3], 0, -1, vcc
	v_cmp_ne_u32_e32 vcc, 0, v1
	v_xor_b32_e32 v1, vcc_hi, v17
	v_and_b32_e32 v17, exec_hi, v1
	v_lshlrev_b32_e32 v1, 30, v2
	v_xor_b32_e32 v3, vcc_lo, v3
	v_cmp_gt_i64_e32 vcc, 0, v[0:1]
	v_not_b32_e32 v1, v1
	v_ashrrev_i32_e32 v1, 31, v1
	v_and_b32_e32 v3, exec_lo, v3
	v_xor_b32_e32 v55, vcc_hi, v1
	v_xor_b32_e32 v1, vcc_lo, v1
	v_and_b32_e32 v3, v3, v1
	v_lshlrev_b32_e32 v1, 29, v2
	v_cmp_gt_i64_e32 vcc, 0, v[0:1]
	v_not_b32_e32 v1, v1
	v_ashrrev_i32_e32 v1, 31, v1
	v_and_b32_e32 v17, v17, v55
	v_xor_b32_e32 v55, vcc_hi, v1
	v_xor_b32_e32 v1, vcc_lo, v1
	v_and_b32_e32 v3, v3, v1
	v_lshlrev_b32_e32 v1, 28, v2
	v_cmp_gt_i64_e32 vcc, 0, v[0:1]
	v_not_b32_e32 v1, v1
	v_ashrrev_i32_e32 v1, 31, v1
	v_and_b32_e32 v17, v17, v55
	;; [unrolled: 8-line block ×5, first 2 shown]
	v_xor_b32_e32 v55, vcc_hi, v1
	v_xor_b32_e32 v1, vcc_lo, v1
	v_and_b32_e32 v3, v3, v1
	v_lshlrev_b32_e32 v1, 24, v2
	v_cmp_gt_i64_e32 vcc, 0, v[0:1]
	v_not_b32_e32 v0, v1
	v_ashrrev_i32_e32 v0, 31, v0
	v_xor_b32_e32 v1, vcc_hi, v0
	v_xor_b32_e32 v0, vcc_lo, v0
	; wave barrier
	ds_read_b32 v52, v53 offset:64
	v_and_b32_e32 v17, v17, v55
	v_and_b32_e32 v0, v3, v0
	;; [unrolled: 1-line block ×3, first 2 shown]
	v_mbcnt_lo_u32_b32 v2, v0, 0
	v_mbcnt_hi_u32_b32 v55, v1, v2
	v_cmp_eq_u32_e32 vcc, 0, v55
	v_cmp_ne_u64_e64 s[2:3], 0, v[0:1]
	v_add_u32_e32 v54, 64, v6
	s_and_b64 s[4:5], s[2:3], vcc
	; wave barrier
	s_and_saveexec_b64 s[2:3], s[4:5]
	s_cbranch_execz .LBB1972_125
; %bb.124:
	v_bcnt_u32_b32 v0, v0, 0
	v_bcnt_u32_b32 v0, v1, v0
	s_waitcnt lgkmcnt(0)
	v_add_u32_e32 v0, v52, v0
	ds_write_b32 v53, v0 offset:64
.LBB1972_125:
	s_or_b64 exec, exec, s[2:3]
	; wave barrier
	s_waitcnt lgkmcnt(0)
	s_barrier
	ds_read2_b32 v[2:3], v6 offset0:16 offset1:17
	ds_read2_b32 v[0:1], v54 offset0:2 offset1:3
	ds_read_b32 v17, v54 offset:16
	v_cmp_lt_u32_e64 s[8:9], 31, v5
	s_waitcnt lgkmcnt(1)
	v_add3_u32 v56, v3, v2, v0
	s_waitcnt lgkmcnt(0)
	v_add3_u32 v17, v56, v1, v17
	v_and_b32_e32 v56, 15, v5
	v_cmp_eq_u32_e32 vcc, 0, v56
	v_mov_b32_dpp v57, v17 row_shr:1 row_mask:0xf bank_mask:0xf
	v_cndmask_b32_e64 v57, v57, 0, vcc
	v_add_u32_e32 v17, v57, v17
	v_cmp_lt_u32_e64 s[2:3], 1, v56
	v_cmp_lt_u32_e64 s[4:5], 3, v56
	v_mov_b32_dpp v57, v17 row_shr:2 row_mask:0xf bank_mask:0xf
	v_cndmask_b32_e64 v57, 0, v57, s[2:3]
	v_add_u32_e32 v17, v17, v57
	v_cmp_lt_u32_e64 s[6:7], 7, v56
	s_nop 0
	v_mov_b32_dpp v57, v17 row_shr:4 row_mask:0xf bank_mask:0xf
	v_cndmask_b32_e64 v57, 0, v57, s[4:5]
	v_add_u32_e32 v17, v17, v57
	s_nop 1
	v_mov_b32_dpp v57, v17 row_shr:8 row_mask:0xf bank_mask:0xf
	v_cndmask_b32_e64 v56, 0, v57, s[6:7]
	v_add_u32_e32 v17, v17, v56
	v_bfe_i32 v57, v5, 4, 1
	s_nop 0
	v_mov_b32_dpp v56, v17 row_bcast:15 row_mask:0xf bank_mask:0xf
	v_and_b32_e32 v56, v57, v56
	v_add_u32_e32 v17, v17, v56
	v_lshrrev_b32_e32 v57, 6, v10
	s_nop 0
	v_mov_b32_dpp v56, v17 row_bcast:31 row_mask:0xf bank_mask:0xf
	v_cndmask_b32_e64 v56, 0, v56, s[8:9]
	v_add_u32_e32 v56, v17, v56
	v_and_b32_e32 v17, 63, v10
	v_cmp_eq_u32_e64 s[8:9], 63, v17
	s_and_saveexec_b64 s[12:13], s[8:9]
	s_cbranch_execz .LBB1972_127
; %bb.126:
	v_lshlrev_b32_e32 v17, 2, v57
	ds_write_b32 v17, v56
.LBB1972_127:
	s_or_b64 exec, exec, s[12:13]
	v_cmp_gt_u32_e64 s[8:9], 16, v10
	v_lshlrev_b32_e32 v17, 2, v10
	s_waitcnt lgkmcnt(0)
	s_barrier
	s_and_saveexec_b64 s[12:13], s[8:9]
	s_cbranch_execz .LBB1972_129
; %bb.128:
	ds_read_b32 v58, v17
	s_waitcnt lgkmcnt(0)
	s_nop 0
	v_mov_b32_dpp v59, v58 row_shr:1 row_mask:0xf bank_mask:0xf
	v_cndmask_b32_e64 v59, v59, 0, vcc
	v_add_u32_e32 v58, v59, v58
	s_nop 1
	v_mov_b32_dpp v59, v58 row_shr:2 row_mask:0xf bank_mask:0xf
	v_cndmask_b32_e64 v59, 0, v59, s[2:3]
	v_add_u32_e32 v58, v58, v59
	s_nop 1
	v_mov_b32_dpp v59, v58 row_shr:4 row_mask:0xf bank_mask:0xf
	v_cndmask_b32_e64 v59, 0, v59, s[4:5]
	;; [unrolled: 4-line block ×3, first 2 shown]
	v_add_u32_e32 v58, v58, v59
	ds_write_b32 v17, v58
.LBB1972_129:
	s_or_b64 exec, exec, s[12:13]
	v_cmp_lt_u32_e32 vcc, 63, v10
	v_mov_b32_e32 v58, 0
	s_waitcnt lgkmcnt(0)
	s_barrier
	s_and_saveexec_b64 s[2:3], vcc
	s_cbranch_execz .LBB1972_131
; %bb.130:
	v_lshl_add_u32 v57, v57, 2, -4
	ds_read_b32 v58, v57
.LBB1972_131:
	s_or_b64 exec, exec, s[2:3]
	v_add_u32_e32 v57, -1, v5
	v_and_b32_e32 v59, 64, v5
	v_cmp_lt_i32_e32 vcc, v57, v59
	v_cndmask_b32_e32 v57, v57, v5, vcc
	s_waitcnt lgkmcnt(0)
	v_add_u32_e32 v56, v58, v56
	v_lshlrev_b32_e32 v57, 2, v57
	ds_bpermute_b32 v56, v57, v56
	v_cmp_eq_u32_e32 vcc, 0, v5
	s_movk_i32 s2, 0xff
	s_movk_i32 s3, 0x100
	s_waitcnt lgkmcnt(0)
	v_cndmask_b32_e32 v5, v56, v58, vcc
	v_cndmask_b32_e64 v5, v5, 0, s[0:1]
	v_add_u32_e32 v2, v5, v2
	v_add_u32_e32 v3, v2, v3
	;; [unrolled: 1-line block ×4, first 2 shown]
	ds_write2_b32 v6, v5, v2 offset0:16 offset1:17
	ds_write2_b32 v54, v3, v0 offset0:2 offset1:3
	ds_write_b32 v54, v1 offset:16
	s_waitcnt lgkmcnt(0)
	s_barrier
	ds_read_b32 v58, v7 offset:64
	ds_read_b32 v57, v12 offset:64
	;; [unrolled: 1-line block ×12, first 2 shown]
	v_cmp_lt_u32_e64 s[0:1], s2, v10
	v_cmp_gt_u32_e32 vcc, s3, v10
                                        ; implicit-def: $vgpr6
                                        ; implicit-def: $vgpr7
	s_and_saveexec_b64 s[4:5], vcc
	s_cbranch_execz .LBB1972_135
; %bb.132:
	v_mul_u32_u24_e32 v6, 17, v10
	v_lshlrev_b32_e32 v28, 2, v6
	ds_read_b32 v6, v28 offset:64
	v_cmp_ne_u32_e64 s[2:3], s2, v10
	v_mov_b32_e32 v7, 0x3000
	s_and_saveexec_b64 s[6:7], s[2:3]
	s_cbranch_execz .LBB1972_134
; %bb.133:
	ds_read_b32 v7, v28 offset:132
.LBB1972_134:
	s_or_b64 exec, exec, s[6:7]
	s_waitcnt lgkmcnt(0)
	v_sub_u32_e32 v7, v7, v6
.LBB1972_135:
	s_or_b64 exec, exec, s[4:5]
	v_add_u32_e32 v11, v13, v11
	s_waitcnt lgkmcnt(11)
	v_add_lshl_u32 v8, v58, v8, 1
	v_add_u32_e32 v15, v19, v15
	s_waitcnt lgkmcnt(0)
	s_barrier
	ds_write_b16 v8, v4 offset:1024
	v_add_lshl_u32 v4, v11, v57, 1
	v_add_u32_e32 v21, v24, v21
	ds_write_b16 v4, v9 offset:1024
	v_add_lshl_u32 v4, v15, v56, 1
	v_add_u32_e32 v26, v30, v26
	;; [unrolled: 3-line block ×5, first 2 shown]
	v_add_u32_e32 v33, v51, v49
	v_add_u32_e32 v38, v48, v46
	;; [unrolled: 1-line block ×4, first 2 shown]
	ds_write_b16 v4, v29 offset:1024
	v_add_lshl_u32 v4, v36, v12, 1
	ds_write_b16 v4, v34 offset:1024
	v_add_lshl_u32 v4, v40, v5, 1
	v_add_lshl_u32 v3, v41, v3, 1
	;; [unrolled: 1-line block ×5, first 2 shown]
	ds_write_b16 v4, v37 offset:1024
	ds_write_b16 v3, v32 offset:1024
	;; [unrolled: 1-line block ×5, first 2 shown]
	s_and_saveexec_b64 s[2:3], s[0:1]
	s_xor_b64 s[0:1], exec, s[2:3]
; %bb.136:
	v_mov_b32_e32 v11, 0
                                        ; implicit-def: $vgpr17
; %bb.137:
	s_andn2_saveexec_b64 s[2:3], s[0:1]
	s_cbranch_execz .LBB1972_147
; %bb.138:
	v_lshl_or_b32 v0, s30, 8, v10
	v_mov_b32_e32 v1, 0
	v_lshlrev_b64 v[2:3], 2, v[0:1]
	v_mov_b32_e32 v8, s15
	v_add_co_u32_e64 v2, s[0:1], s14, v2
	v_addc_co_u32_e64 v3, s[0:1], v8, v3, s[0:1]
	v_or_b32_e32 v0, 2.0, v7
	s_mov_b64 s[4:5], 0
	s_brev_b32 s12, 1
	s_mov_b32 s13, s30
	v_mov_b32_e32 v9, 0
	global_store_dword v[2:3], v0, off
                                        ; implicit-def: $sgpr0_sgpr1
	s_branch .LBB1972_141
.LBB1972_139:                           ;   in Loop: Header=BB1972_141 Depth=1
	s_or_b64 exec, exec, s[8:9]
.LBB1972_140:                           ;   in Loop: Header=BB1972_141 Depth=1
	s_or_b64 exec, exec, s[6:7]
	v_and_b32_e32 v4, 0x3fffffff, v11
	v_add_u32_e32 v9, v4, v9
	v_cmp_eq_u32_e64 s[0:1], s12, v0
	s_and_b64 s[6:7], exec, s[0:1]
	s_or_b64 s[4:5], s[6:7], s[4:5]
	s_andn2_b64 exec, exec, s[4:5]
	s_cbranch_execz .LBB1972_146
.LBB1972_141:                           ; =>This Loop Header: Depth=1
                                        ;     Child Loop BB1972_144 Depth 2
	s_or_b64 s[0:1], s[0:1], exec
	s_cmp_eq_u32 s13, 0
	s_cbranch_scc1 .LBB1972_145
; %bb.142:                              ;   in Loop: Header=BB1972_141 Depth=1
	s_add_i32 s13, s13, -1
	v_lshl_or_b32 v0, s13, 8, v10
	v_lshlrev_b64 v[4:5], 2, v[0:1]
	v_add_co_u32_e64 v4, s[0:1], s14, v4
	v_addc_co_u32_e64 v5, s[0:1], v8, v5, s[0:1]
	global_load_dword v11, v[4:5], off glc
	s_waitcnt vmcnt(0)
	v_and_b32_e32 v0, -2.0, v11
	v_cmp_eq_u32_e64 s[0:1], 0, v0
	s_and_saveexec_b64 s[6:7], s[0:1]
	s_cbranch_execz .LBB1972_140
; %bb.143:                              ;   in Loop: Header=BB1972_141 Depth=1
	s_mov_b64 s[8:9], 0
.LBB1972_144:                           ;   Parent Loop BB1972_141 Depth=1
                                        ; =>  This Inner Loop Header: Depth=2
	global_load_dword v11, v[4:5], off glc
	s_waitcnt vmcnt(0)
	v_and_b32_e32 v0, -2.0, v11
	v_cmp_ne_u32_e64 s[0:1], 0, v0
	s_or_b64 s[8:9], s[0:1], s[8:9]
	s_andn2_b64 exec, exec, s[8:9]
	s_cbranch_execnz .LBB1972_144
	s_branch .LBB1972_139
.LBB1972_145:                           ;   in Loop: Header=BB1972_141 Depth=1
                                        ; implicit-def: $sgpr13
	s_and_b64 s[6:7], exec, s[0:1]
	s_or_b64 s[4:5], s[6:7], s[4:5]
	s_andn2_b64 exec, exec, s[4:5]
	s_cbranch_execnz .LBB1972_141
.LBB1972_146:
	s_or_b64 exec, exec, s[4:5]
	v_add_u32_e32 v0, v9, v7
	v_or_b32_e32 v0, 0x80000000, v0
	global_store_dword v[2:3], v0, off
	global_load_dword v0, v17, s[16:17]
	v_sub_u32_e32 v1, v9, v6
	v_mov_b32_e32 v11, 0
	s_waitcnt vmcnt(0)
	v_add_u32_e32 v0, v1, v0
	ds_write_b32 v17, v0
.LBB1972_147:
	s_or_b64 exec, exec, s[2:3]
	v_lshlrev_b32_e32 v0, 1, v10
	s_waitcnt lgkmcnt(0)
	s_barrier
	v_lshlrev_b32_e32 v1, 1, v10
	ds_read_u16 v0, v0 offset:1024
	ds_read_u16 v4, v1 offset:3072
	;; [unrolled: 1-line block ×7, first 2 shown]
	s_waitcnt lgkmcnt(6)
	v_lshrrev_b32_sdwa v2, s20, v0 dst_sel:DWORD dst_unused:UNUSED_PAD src0_sel:DWORD src1_sel:WORD_0
	v_and_b32_e32 v2, s21, v2
	s_waitcnt lgkmcnt(4)
	v_lshrrev_b32_sdwa v3, s20, v5 dst_sel:DWORD dst_unused:UNUSED_PAD src0_sel:DWORD src1_sel:WORD_0
	v_xor_b32_e32 v14, 0xffff8000, v0
	v_lshlrev_b32_e32 v0, 2, v2
	v_lshrrev_b32_sdwa v2, s20, v4 dst_sel:DWORD dst_unused:UNUSED_PAD src0_sel:DWORD src1_sel:WORD_0
	v_and_b32_e32 v3, s21, v3
	v_and_b32_e32 v2, s21, v2
	v_lshlrev_b32_e32 v3, 2, v3
	v_lshlrev_b32_e32 v2, 2, v2
	ds_read_b32 v15, v3
	ds_read_b32 v0, v0
	ds_read_u16 v16, v1 offset:5120
	ds_read_u16 v17, v1 offset:9216
	;; [unrolled: 1-line block ×4, first 2 shown]
	ds_read_b32 v20, v2
	ds_read_u16 v21, v1 offset:21504
	s_waitcnt lgkmcnt(6)
	v_add_u32_e32 v0, v0, v10
	v_mov_b32_e32 v1, 0
	v_lshlrev_b64 v[2:3], 1, v[0:1]
	v_mov_b32_e32 v0, s27
	v_add_co_u32_e64 v2, s[0:1], s26, v2
	v_addc_co_u32_e64 v3, s[0:1], v0, v3, s[0:1]
	s_movk_i32 s0, 0x400
	s_waitcnt lgkmcnt(1)
	v_add3_u32 v0, v20, v10, s0
	global_store_short v[2:3], v14, off
	v_lshlrev_b64 v[2:3], 1, v[0:1]
	v_mov_b32_e32 v0, s27
	v_add_co_u32_e64 v2, s[0:1], s26, v2
	v_xor_b32_e32 v4, 0xffff8000, v4
	v_addc_co_u32_e64 v3, s[0:1], v0, v3, s[0:1]
	global_store_short v[2:3], v4, off
	v_lshrrev_b32_sdwa v0, s20, v16 dst_sel:DWORD dst_unused:UNUSED_PAD src0_sel:DWORD src1_sel:WORD_0
	v_xor_b32_e32 v4, 0xffff8000, v16
	v_lshrrev_b32_sdwa v14, s20, v18 dst_sel:DWORD dst_unused:UNUSED_PAD src0_sel:DWORD src1_sel:WORD_0
	v_lshrrev_b32_sdwa v16, s20, v9 dst_sel:DWORD dst_unused:UNUSED_PAD src0_sel:DWORD src1_sel:WORD_0
	v_lshrrev_b32_sdwa v20, s20, v19 dst_sel:DWORD dst_unused:UNUSED_PAD src0_sel:DWORD src1_sel:WORD_0
	v_lshrrev_b32_sdwa v22, s20, v12 dst_sel:DWORD dst_unused:UNUSED_PAD src0_sel:DWORD src1_sel:WORD_0
	s_waitcnt lgkmcnt(0)
	v_lshrrev_b32_sdwa v23, s20, v21 dst_sel:DWORD dst_unused:UNUSED_PAD src0_sel:DWORD src1_sel:WORD_0
	v_and_b32_e32 v0, s21, v0
	v_lshrrev_b32_sdwa v2, s20, v17 dst_sel:DWORD dst_unused:UNUSED_PAD src0_sel:DWORD src1_sel:WORD_0
	v_lshrrev_b32_sdwa v3, s20, v8 dst_sel:DWORD dst_unused:UNUSED_PAD src0_sel:DWORD src1_sel:WORD_0
	v_and_b32_e32 v14, s21, v14
	v_and_b32_e32 v16, s21, v16
	;; [unrolled: 1-line block ×5, first 2 shown]
	v_lshlrev_b32_e32 v0, 2, v0
	v_and_b32_e32 v2, s21, v2
	v_and_b32_e32 v3, s21, v3
	v_lshlrev_b32_e32 v14, 2, v14
	v_lshlrev_b32_e32 v16, 2, v16
	v_lshlrev_b32_e32 v20, 2, v20
	v_lshlrev_b32_e32 v22, 2, v22
	v_lshlrev_b32_e32 v23, 2, v23
	s_movk_i32 s0, 0x800
	v_lshlrev_b32_e32 v2, 2, v2
	v_lshlrev_b32_e32 v3, 2, v3
	ds_read_b32 v0, v0
	ds_read_b32 v24, v2
	;; [unrolled: 1-line block ×8, first 2 shown]
	s_waitcnt lgkmcnt(7)
	v_add3_u32 v0, v0, v10, s0
	v_lshlrev_b64 v[2:3], 1, v[0:1]
	v_mov_b32_e32 v0, s27
	v_add_co_u32_e64 v2, s[0:1], s26, v2
	v_addc_co_u32_e64 v3, s[0:1], v0, v3, s[0:1]
	s_movk_i32 s0, 0xc00
	v_add3_u32 v0, v15, v10, s0
	global_store_short v[2:3], v4, off
	v_lshlrev_b64 v[2:3], 1, v[0:1]
	v_mov_b32_e32 v0, s27
	v_add_co_u32_e64 v2, s[0:1], s26, v2
	v_addc_co_u32_e64 v3, s[0:1], v0, v3, s[0:1]
	s_movk_i32 s0, 0x1000
	v_xor_b32_e32 v4, 0xffff8000, v5
	s_waitcnt lgkmcnt(6)
	v_add3_u32 v0, v24, v10, s0
	global_store_short v[2:3], v4, off
	v_lshlrev_b64 v[2:3], 1, v[0:1]
	v_mov_b32_e32 v0, s27
	v_add_co_u32_e64 v2, s[0:1], s26, v2
	v_addc_co_u32_e64 v3, s[0:1], v0, v3, s[0:1]
	s_movk_i32 s0, 0x1400
	v_xor_b32_e32 v4, 0xffff8000, v17
	s_waitcnt lgkmcnt(5)
	;; [unrolled: 9-line block ×6, first 2 shown]
	v_add3_u32 v0, v22, v10, s0
	global_store_short v[2:3], v4, off
	v_lshlrev_b64 v[2:3], 1, v[0:1]
	v_mov_b32_e32 v0, s27
	v_add_co_u32_e64 v2, s[0:1], s26, v2
	v_lshrrev_b32_sdwa v5, s20, v13 dst_sel:DWORD dst_unused:UNUSED_PAD src0_sel:DWORD src1_sel:WORD_0
	v_addc_co_u32_e64 v3, s[0:1], v0, v3, s[0:1]
	v_and_b32_e32 v5, s21, v5
	s_movk_i32 s0, 0x2800
	v_lshlrev_b32_e32 v5, 2, v5
	v_xor_b32_e32 v4, 0xffff8000, v12
	s_waitcnt lgkmcnt(0)
	v_add3_u32 v0, v23, v10, s0
	ds_read_b32 v5, v5
	global_store_short v[2:3], v4, off
	v_lshlrev_b64 v[2:3], 1, v[0:1]
	v_mov_b32_e32 v0, s27
	v_add_co_u32_e64 v2, s[0:1], s26, v2
	v_addc_co_u32_e64 v3, s[0:1], v0, v3, s[0:1]
	s_movk_i32 s0, 0x2c00
	s_waitcnt lgkmcnt(0)
	v_add3_u32 v0, v5, v10, s0
	v_xor_b32_e32 v4, 0xffff8000, v21
	v_lshlrev_b64 v[0:1], 1, v[0:1]
	global_store_short v[2:3], v4, off
	v_mov_b32_e32 v3, s27
	v_add_co_u32_e64 v0, s[0:1], s26, v0
	s_add_i32 s22, s22, -1
	v_addc_co_u32_e64 v1, s[0:1], v3, v1, s[0:1]
	s_cmp_eq_u32 s22, s30
	s_cselect_b64 s[0:1], -1, 0
	v_xor_b32_e32 v2, 0xffff8000, v13
	s_and_b64 s[2:3], vcc, s[0:1]
	global_store_short v[0:1], v2, off
                                        ; implicit-def: $vgpr2
	s_and_saveexec_b64 s[0:1], s[2:3]
; %bb.148:
	v_add_u32_e32 v2, v6, v7
	s_or_b64 s[10:11], s[10:11], exec
; %bb.149:
	s_or_b64 exec, exec, s[0:1]
.LBB1972_150:
	s_and_saveexec_b64 s[0:1], s[10:11]
	s_cbranch_execnz .LBB1972_152
; %bb.151:
	s_endpgm
.LBB1972_152:
	v_lshlrev_b32_e32 v3, 2, v10
	ds_read_b32 v3, v3
	v_lshlrev_b64 v[0:1], 2, v[10:11]
	v_mov_b32_e32 v4, s19
	v_add_co_u32_e32 v0, vcc, s18, v0
	v_addc_co_u32_e32 v1, vcc, v4, v1, vcc
	s_waitcnt lgkmcnt(0)
	v_add_u32_e32 v2, v3, v2
	global_store_dword v[0:1], v2, off
	s_endpgm
	.section	.rodata,"a",@progbits
	.p2align	6, 0x0
	.amdhsa_kernel _ZN7rocprim17ROCPRIM_400000_NS6detail17trampoline_kernelINS0_14default_configENS1_35radix_sort_onesweep_config_selectorIsNS0_10empty_typeEEEZZNS1_29radix_sort_onesweep_iterationIS3_Lb0EN6thrust23THRUST_200600_302600_NS6detail15normal_iteratorINS9_10device_ptrIsEEEESE_PS5_SF_jNS0_19identity_decomposerENS1_16block_id_wrapperIjLb1EEEEE10hipError_tT1_PNSt15iterator_traitsISK_E10value_typeET2_T3_PNSL_ISQ_E10value_typeET4_T5_PSV_SW_PNS1_23onesweep_lookback_stateEbbT6_jjT7_P12ihipStream_tbENKUlT_T0_SK_SP_E_clIPsSE_SF_SF_EEDaS13_S14_SK_SP_EUlS13_E_NS1_11comp_targetILNS1_3genE4ELNS1_11target_archE910ELNS1_3gpuE8ELNS1_3repE0EEENS1_47radix_sort_onesweep_sort_config_static_selectorELNS0_4arch9wavefront6targetE1EEEvSK_
		.amdhsa_group_segment_fixed_size 25608
		.amdhsa_private_segment_fixed_size 0
		.amdhsa_kernarg_size 344
		.amdhsa_user_sgpr_count 6
		.amdhsa_user_sgpr_private_segment_buffer 1
		.amdhsa_user_sgpr_dispatch_ptr 0
		.amdhsa_user_sgpr_queue_ptr 0
		.amdhsa_user_sgpr_kernarg_segment_ptr 1
		.amdhsa_user_sgpr_dispatch_id 0
		.amdhsa_user_sgpr_flat_scratch_init 0
		.amdhsa_user_sgpr_kernarg_preload_length 0
		.amdhsa_user_sgpr_kernarg_preload_offset 0
		.amdhsa_user_sgpr_private_segment_size 0
		.amdhsa_uses_dynamic_stack 0
		.amdhsa_system_sgpr_private_segment_wavefront_offset 0
		.amdhsa_system_sgpr_workgroup_id_x 1
		.amdhsa_system_sgpr_workgroup_id_y 0
		.amdhsa_system_sgpr_workgroup_id_z 0
		.amdhsa_system_sgpr_workgroup_info 0
		.amdhsa_system_vgpr_workitem_id 2
		.amdhsa_next_free_vgpr 62
		.amdhsa_next_free_sgpr 35
		.amdhsa_accum_offset 64
		.amdhsa_reserve_vcc 1
		.amdhsa_reserve_flat_scratch 0
		.amdhsa_float_round_mode_32 0
		.amdhsa_float_round_mode_16_64 0
		.amdhsa_float_denorm_mode_32 3
		.amdhsa_float_denorm_mode_16_64 3
		.amdhsa_dx10_clamp 1
		.amdhsa_ieee_mode 1
		.amdhsa_fp16_overflow 0
		.amdhsa_tg_split 0
		.amdhsa_exception_fp_ieee_invalid_op 0
		.amdhsa_exception_fp_denorm_src 0
		.amdhsa_exception_fp_ieee_div_zero 0
		.amdhsa_exception_fp_ieee_overflow 0
		.amdhsa_exception_fp_ieee_underflow 0
		.amdhsa_exception_fp_ieee_inexact 0
		.amdhsa_exception_int_div_zero 0
	.end_amdhsa_kernel
	.section	.text._ZN7rocprim17ROCPRIM_400000_NS6detail17trampoline_kernelINS0_14default_configENS1_35radix_sort_onesweep_config_selectorIsNS0_10empty_typeEEEZZNS1_29radix_sort_onesweep_iterationIS3_Lb0EN6thrust23THRUST_200600_302600_NS6detail15normal_iteratorINS9_10device_ptrIsEEEESE_PS5_SF_jNS0_19identity_decomposerENS1_16block_id_wrapperIjLb1EEEEE10hipError_tT1_PNSt15iterator_traitsISK_E10value_typeET2_T3_PNSL_ISQ_E10value_typeET4_T5_PSV_SW_PNS1_23onesweep_lookback_stateEbbT6_jjT7_P12ihipStream_tbENKUlT_T0_SK_SP_E_clIPsSE_SF_SF_EEDaS13_S14_SK_SP_EUlS13_E_NS1_11comp_targetILNS1_3genE4ELNS1_11target_archE910ELNS1_3gpuE8ELNS1_3repE0EEENS1_47radix_sort_onesweep_sort_config_static_selectorELNS0_4arch9wavefront6targetE1EEEvSK_,"axG",@progbits,_ZN7rocprim17ROCPRIM_400000_NS6detail17trampoline_kernelINS0_14default_configENS1_35radix_sort_onesweep_config_selectorIsNS0_10empty_typeEEEZZNS1_29radix_sort_onesweep_iterationIS3_Lb0EN6thrust23THRUST_200600_302600_NS6detail15normal_iteratorINS9_10device_ptrIsEEEESE_PS5_SF_jNS0_19identity_decomposerENS1_16block_id_wrapperIjLb1EEEEE10hipError_tT1_PNSt15iterator_traitsISK_E10value_typeET2_T3_PNSL_ISQ_E10value_typeET4_T5_PSV_SW_PNS1_23onesweep_lookback_stateEbbT6_jjT7_P12ihipStream_tbENKUlT_T0_SK_SP_E_clIPsSE_SF_SF_EEDaS13_S14_SK_SP_EUlS13_E_NS1_11comp_targetILNS1_3genE4ELNS1_11target_archE910ELNS1_3gpuE8ELNS1_3repE0EEENS1_47radix_sort_onesweep_sort_config_static_selectorELNS0_4arch9wavefront6targetE1EEEvSK_,comdat
.Lfunc_end1972:
	.size	_ZN7rocprim17ROCPRIM_400000_NS6detail17trampoline_kernelINS0_14default_configENS1_35radix_sort_onesweep_config_selectorIsNS0_10empty_typeEEEZZNS1_29radix_sort_onesweep_iterationIS3_Lb0EN6thrust23THRUST_200600_302600_NS6detail15normal_iteratorINS9_10device_ptrIsEEEESE_PS5_SF_jNS0_19identity_decomposerENS1_16block_id_wrapperIjLb1EEEEE10hipError_tT1_PNSt15iterator_traitsISK_E10value_typeET2_T3_PNSL_ISQ_E10value_typeET4_T5_PSV_SW_PNS1_23onesweep_lookback_stateEbbT6_jjT7_P12ihipStream_tbENKUlT_T0_SK_SP_E_clIPsSE_SF_SF_EEDaS13_S14_SK_SP_EUlS13_E_NS1_11comp_targetILNS1_3genE4ELNS1_11target_archE910ELNS1_3gpuE8ELNS1_3repE0EEENS1_47radix_sort_onesweep_sort_config_static_selectorELNS0_4arch9wavefront6targetE1EEEvSK_, .Lfunc_end1972-_ZN7rocprim17ROCPRIM_400000_NS6detail17trampoline_kernelINS0_14default_configENS1_35radix_sort_onesweep_config_selectorIsNS0_10empty_typeEEEZZNS1_29radix_sort_onesweep_iterationIS3_Lb0EN6thrust23THRUST_200600_302600_NS6detail15normal_iteratorINS9_10device_ptrIsEEEESE_PS5_SF_jNS0_19identity_decomposerENS1_16block_id_wrapperIjLb1EEEEE10hipError_tT1_PNSt15iterator_traitsISK_E10value_typeET2_T3_PNSL_ISQ_E10value_typeET4_T5_PSV_SW_PNS1_23onesweep_lookback_stateEbbT6_jjT7_P12ihipStream_tbENKUlT_T0_SK_SP_E_clIPsSE_SF_SF_EEDaS13_S14_SK_SP_EUlS13_E_NS1_11comp_targetILNS1_3genE4ELNS1_11target_archE910ELNS1_3gpuE8ELNS1_3repE0EEENS1_47radix_sort_onesweep_sort_config_static_selectorELNS0_4arch9wavefront6targetE1EEEvSK_
                                        ; -- End function
	.section	.AMDGPU.csdata,"",@progbits
; Kernel info:
; codeLenInByte = 16052
; NumSgprs: 39
; NumVgprs: 62
; NumAgprs: 0
; TotalNumVgprs: 62
; ScratchSize: 0
; MemoryBound: 0
; FloatMode: 240
; IeeeMode: 1
; LDSByteSize: 25608 bytes/workgroup (compile time only)
; SGPRBlocks: 4
; VGPRBlocks: 7
; NumSGPRsForWavesPerEU: 39
; NumVGPRsForWavesPerEU: 62
; AccumOffset: 64
; Occupancy: 8
; WaveLimiterHint : 1
; COMPUTE_PGM_RSRC2:SCRATCH_EN: 0
; COMPUTE_PGM_RSRC2:USER_SGPR: 6
; COMPUTE_PGM_RSRC2:TRAP_HANDLER: 0
; COMPUTE_PGM_RSRC2:TGID_X_EN: 1
; COMPUTE_PGM_RSRC2:TGID_Y_EN: 0
; COMPUTE_PGM_RSRC2:TGID_Z_EN: 0
; COMPUTE_PGM_RSRC2:TIDIG_COMP_CNT: 2
; COMPUTE_PGM_RSRC3_GFX90A:ACCUM_OFFSET: 15
; COMPUTE_PGM_RSRC3_GFX90A:TG_SPLIT: 0
	.section	.text._ZN7rocprim17ROCPRIM_400000_NS6detail17trampoline_kernelINS0_14default_configENS1_35radix_sort_onesweep_config_selectorIsNS0_10empty_typeEEEZZNS1_29radix_sort_onesweep_iterationIS3_Lb0EN6thrust23THRUST_200600_302600_NS6detail15normal_iteratorINS9_10device_ptrIsEEEESE_PS5_SF_jNS0_19identity_decomposerENS1_16block_id_wrapperIjLb1EEEEE10hipError_tT1_PNSt15iterator_traitsISK_E10value_typeET2_T3_PNSL_ISQ_E10value_typeET4_T5_PSV_SW_PNS1_23onesweep_lookback_stateEbbT6_jjT7_P12ihipStream_tbENKUlT_T0_SK_SP_E_clIPsSE_SF_SF_EEDaS13_S14_SK_SP_EUlS13_E_NS1_11comp_targetILNS1_3genE3ELNS1_11target_archE908ELNS1_3gpuE7ELNS1_3repE0EEENS1_47radix_sort_onesweep_sort_config_static_selectorELNS0_4arch9wavefront6targetE1EEEvSK_,"axG",@progbits,_ZN7rocprim17ROCPRIM_400000_NS6detail17trampoline_kernelINS0_14default_configENS1_35radix_sort_onesweep_config_selectorIsNS0_10empty_typeEEEZZNS1_29radix_sort_onesweep_iterationIS3_Lb0EN6thrust23THRUST_200600_302600_NS6detail15normal_iteratorINS9_10device_ptrIsEEEESE_PS5_SF_jNS0_19identity_decomposerENS1_16block_id_wrapperIjLb1EEEEE10hipError_tT1_PNSt15iterator_traitsISK_E10value_typeET2_T3_PNSL_ISQ_E10value_typeET4_T5_PSV_SW_PNS1_23onesweep_lookback_stateEbbT6_jjT7_P12ihipStream_tbENKUlT_T0_SK_SP_E_clIPsSE_SF_SF_EEDaS13_S14_SK_SP_EUlS13_E_NS1_11comp_targetILNS1_3genE3ELNS1_11target_archE908ELNS1_3gpuE7ELNS1_3repE0EEENS1_47radix_sort_onesweep_sort_config_static_selectorELNS0_4arch9wavefront6targetE1EEEvSK_,comdat
	.protected	_ZN7rocprim17ROCPRIM_400000_NS6detail17trampoline_kernelINS0_14default_configENS1_35radix_sort_onesweep_config_selectorIsNS0_10empty_typeEEEZZNS1_29radix_sort_onesweep_iterationIS3_Lb0EN6thrust23THRUST_200600_302600_NS6detail15normal_iteratorINS9_10device_ptrIsEEEESE_PS5_SF_jNS0_19identity_decomposerENS1_16block_id_wrapperIjLb1EEEEE10hipError_tT1_PNSt15iterator_traitsISK_E10value_typeET2_T3_PNSL_ISQ_E10value_typeET4_T5_PSV_SW_PNS1_23onesweep_lookback_stateEbbT6_jjT7_P12ihipStream_tbENKUlT_T0_SK_SP_E_clIPsSE_SF_SF_EEDaS13_S14_SK_SP_EUlS13_E_NS1_11comp_targetILNS1_3genE3ELNS1_11target_archE908ELNS1_3gpuE7ELNS1_3repE0EEENS1_47radix_sort_onesweep_sort_config_static_selectorELNS0_4arch9wavefront6targetE1EEEvSK_ ; -- Begin function _ZN7rocprim17ROCPRIM_400000_NS6detail17trampoline_kernelINS0_14default_configENS1_35radix_sort_onesweep_config_selectorIsNS0_10empty_typeEEEZZNS1_29radix_sort_onesweep_iterationIS3_Lb0EN6thrust23THRUST_200600_302600_NS6detail15normal_iteratorINS9_10device_ptrIsEEEESE_PS5_SF_jNS0_19identity_decomposerENS1_16block_id_wrapperIjLb1EEEEE10hipError_tT1_PNSt15iterator_traitsISK_E10value_typeET2_T3_PNSL_ISQ_E10value_typeET4_T5_PSV_SW_PNS1_23onesweep_lookback_stateEbbT6_jjT7_P12ihipStream_tbENKUlT_T0_SK_SP_E_clIPsSE_SF_SF_EEDaS13_S14_SK_SP_EUlS13_E_NS1_11comp_targetILNS1_3genE3ELNS1_11target_archE908ELNS1_3gpuE7ELNS1_3repE0EEENS1_47radix_sort_onesweep_sort_config_static_selectorELNS0_4arch9wavefront6targetE1EEEvSK_
	.globl	_ZN7rocprim17ROCPRIM_400000_NS6detail17trampoline_kernelINS0_14default_configENS1_35radix_sort_onesweep_config_selectorIsNS0_10empty_typeEEEZZNS1_29radix_sort_onesweep_iterationIS3_Lb0EN6thrust23THRUST_200600_302600_NS6detail15normal_iteratorINS9_10device_ptrIsEEEESE_PS5_SF_jNS0_19identity_decomposerENS1_16block_id_wrapperIjLb1EEEEE10hipError_tT1_PNSt15iterator_traitsISK_E10value_typeET2_T3_PNSL_ISQ_E10value_typeET4_T5_PSV_SW_PNS1_23onesweep_lookback_stateEbbT6_jjT7_P12ihipStream_tbENKUlT_T0_SK_SP_E_clIPsSE_SF_SF_EEDaS13_S14_SK_SP_EUlS13_E_NS1_11comp_targetILNS1_3genE3ELNS1_11target_archE908ELNS1_3gpuE7ELNS1_3repE0EEENS1_47radix_sort_onesweep_sort_config_static_selectorELNS0_4arch9wavefront6targetE1EEEvSK_
	.p2align	8
	.type	_ZN7rocprim17ROCPRIM_400000_NS6detail17trampoline_kernelINS0_14default_configENS1_35radix_sort_onesweep_config_selectorIsNS0_10empty_typeEEEZZNS1_29radix_sort_onesweep_iterationIS3_Lb0EN6thrust23THRUST_200600_302600_NS6detail15normal_iteratorINS9_10device_ptrIsEEEESE_PS5_SF_jNS0_19identity_decomposerENS1_16block_id_wrapperIjLb1EEEEE10hipError_tT1_PNSt15iterator_traitsISK_E10value_typeET2_T3_PNSL_ISQ_E10value_typeET4_T5_PSV_SW_PNS1_23onesweep_lookback_stateEbbT6_jjT7_P12ihipStream_tbENKUlT_T0_SK_SP_E_clIPsSE_SF_SF_EEDaS13_S14_SK_SP_EUlS13_E_NS1_11comp_targetILNS1_3genE3ELNS1_11target_archE908ELNS1_3gpuE7ELNS1_3repE0EEENS1_47radix_sort_onesweep_sort_config_static_selectorELNS0_4arch9wavefront6targetE1EEEvSK_,@function
_ZN7rocprim17ROCPRIM_400000_NS6detail17trampoline_kernelINS0_14default_configENS1_35radix_sort_onesweep_config_selectorIsNS0_10empty_typeEEEZZNS1_29radix_sort_onesweep_iterationIS3_Lb0EN6thrust23THRUST_200600_302600_NS6detail15normal_iteratorINS9_10device_ptrIsEEEESE_PS5_SF_jNS0_19identity_decomposerENS1_16block_id_wrapperIjLb1EEEEE10hipError_tT1_PNSt15iterator_traitsISK_E10value_typeET2_T3_PNSL_ISQ_E10value_typeET4_T5_PSV_SW_PNS1_23onesweep_lookback_stateEbbT6_jjT7_P12ihipStream_tbENKUlT_T0_SK_SP_E_clIPsSE_SF_SF_EEDaS13_S14_SK_SP_EUlS13_E_NS1_11comp_targetILNS1_3genE3ELNS1_11target_archE908ELNS1_3gpuE7ELNS1_3repE0EEENS1_47radix_sort_onesweep_sort_config_static_selectorELNS0_4arch9wavefront6targetE1EEEvSK_: ; @_ZN7rocprim17ROCPRIM_400000_NS6detail17trampoline_kernelINS0_14default_configENS1_35radix_sort_onesweep_config_selectorIsNS0_10empty_typeEEEZZNS1_29radix_sort_onesweep_iterationIS3_Lb0EN6thrust23THRUST_200600_302600_NS6detail15normal_iteratorINS9_10device_ptrIsEEEESE_PS5_SF_jNS0_19identity_decomposerENS1_16block_id_wrapperIjLb1EEEEE10hipError_tT1_PNSt15iterator_traitsISK_E10value_typeET2_T3_PNSL_ISQ_E10value_typeET4_T5_PSV_SW_PNS1_23onesweep_lookback_stateEbbT6_jjT7_P12ihipStream_tbENKUlT_T0_SK_SP_E_clIPsSE_SF_SF_EEDaS13_S14_SK_SP_EUlS13_E_NS1_11comp_targetILNS1_3genE3ELNS1_11target_archE908ELNS1_3gpuE7ELNS1_3repE0EEENS1_47radix_sort_onesweep_sort_config_static_selectorELNS0_4arch9wavefront6targetE1EEEvSK_
; %bb.0:
	.section	.rodata,"a",@progbits
	.p2align	6, 0x0
	.amdhsa_kernel _ZN7rocprim17ROCPRIM_400000_NS6detail17trampoline_kernelINS0_14default_configENS1_35radix_sort_onesweep_config_selectorIsNS0_10empty_typeEEEZZNS1_29radix_sort_onesweep_iterationIS3_Lb0EN6thrust23THRUST_200600_302600_NS6detail15normal_iteratorINS9_10device_ptrIsEEEESE_PS5_SF_jNS0_19identity_decomposerENS1_16block_id_wrapperIjLb1EEEEE10hipError_tT1_PNSt15iterator_traitsISK_E10value_typeET2_T3_PNSL_ISQ_E10value_typeET4_T5_PSV_SW_PNS1_23onesweep_lookback_stateEbbT6_jjT7_P12ihipStream_tbENKUlT_T0_SK_SP_E_clIPsSE_SF_SF_EEDaS13_S14_SK_SP_EUlS13_E_NS1_11comp_targetILNS1_3genE3ELNS1_11target_archE908ELNS1_3gpuE7ELNS1_3repE0EEENS1_47radix_sort_onesweep_sort_config_static_selectorELNS0_4arch9wavefront6targetE1EEEvSK_
		.amdhsa_group_segment_fixed_size 0
		.amdhsa_private_segment_fixed_size 0
		.amdhsa_kernarg_size 88
		.amdhsa_user_sgpr_count 6
		.amdhsa_user_sgpr_private_segment_buffer 1
		.amdhsa_user_sgpr_dispatch_ptr 0
		.amdhsa_user_sgpr_queue_ptr 0
		.amdhsa_user_sgpr_kernarg_segment_ptr 1
		.amdhsa_user_sgpr_dispatch_id 0
		.amdhsa_user_sgpr_flat_scratch_init 0
		.amdhsa_user_sgpr_kernarg_preload_length 0
		.amdhsa_user_sgpr_kernarg_preload_offset 0
		.amdhsa_user_sgpr_private_segment_size 0
		.amdhsa_uses_dynamic_stack 0
		.amdhsa_system_sgpr_private_segment_wavefront_offset 0
		.amdhsa_system_sgpr_workgroup_id_x 1
		.amdhsa_system_sgpr_workgroup_id_y 0
		.amdhsa_system_sgpr_workgroup_id_z 0
		.amdhsa_system_sgpr_workgroup_info 0
		.amdhsa_system_vgpr_workitem_id 0
		.amdhsa_next_free_vgpr 1
		.amdhsa_next_free_sgpr 0
		.amdhsa_accum_offset 4
		.amdhsa_reserve_vcc 0
		.amdhsa_reserve_flat_scratch 0
		.amdhsa_float_round_mode_32 0
		.amdhsa_float_round_mode_16_64 0
		.amdhsa_float_denorm_mode_32 3
		.amdhsa_float_denorm_mode_16_64 3
		.amdhsa_dx10_clamp 1
		.amdhsa_ieee_mode 1
		.amdhsa_fp16_overflow 0
		.amdhsa_tg_split 0
		.amdhsa_exception_fp_ieee_invalid_op 0
		.amdhsa_exception_fp_denorm_src 0
		.amdhsa_exception_fp_ieee_div_zero 0
		.amdhsa_exception_fp_ieee_overflow 0
		.amdhsa_exception_fp_ieee_underflow 0
		.amdhsa_exception_fp_ieee_inexact 0
		.amdhsa_exception_int_div_zero 0
	.end_amdhsa_kernel
	.section	.text._ZN7rocprim17ROCPRIM_400000_NS6detail17trampoline_kernelINS0_14default_configENS1_35radix_sort_onesweep_config_selectorIsNS0_10empty_typeEEEZZNS1_29radix_sort_onesweep_iterationIS3_Lb0EN6thrust23THRUST_200600_302600_NS6detail15normal_iteratorINS9_10device_ptrIsEEEESE_PS5_SF_jNS0_19identity_decomposerENS1_16block_id_wrapperIjLb1EEEEE10hipError_tT1_PNSt15iterator_traitsISK_E10value_typeET2_T3_PNSL_ISQ_E10value_typeET4_T5_PSV_SW_PNS1_23onesweep_lookback_stateEbbT6_jjT7_P12ihipStream_tbENKUlT_T0_SK_SP_E_clIPsSE_SF_SF_EEDaS13_S14_SK_SP_EUlS13_E_NS1_11comp_targetILNS1_3genE3ELNS1_11target_archE908ELNS1_3gpuE7ELNS1_3repE0EEENS1_47radix_sort_onesweep_sort_config_static_selectorELNS0_4arch9wavefront6targetE1EEEvSK_,"axG",@progbits,_ZN7rocprim17ROCPRIM_400000_NS6detail17trampoline_kernelINS0_14default_configENS1_35radix_sort_onesweep_config_selectorIsNS0_10empty_typeEEEZZNS1_29radix_sort_onesweep_iterationIS3_Lb0EN6thrust23THRUST_200600_302600_NS6detail15normal_iteratorINS9_10device_ptrIsEEEESE_PS5_SF_jNS0_19identity_decomposerENS1_16block_id_wrapperIjLb1EEEEE10hipError_tT1_PNSt15iterator_traitsISK_E10value_typeET2_T3_PNSL_ISQ_E10value_typeET4_T5_PSV_SW_PNS1_23onesweep_lookback_stateEbbT6_jjT7_P12ihipStream_tbENKUlT_T0_SK_SP_E_clIPsSE_SF_SF_EEDaS13_S14_SK_SP_EUlS13_E_NS1_11comp_targetILNS1_3genE3ELNS1_11target_archE908ELNS1_3gpuE7ELNS1_3repE0EEENS1_47radix_sort_onesweep_sort_config_static_selectorELNS0_4arch9wavefront6targetE1EEEvSK_,comdat
.Lfunc_end1973:
	.size	_ZN7rocprim17ROCPRIM_400000_NS6detail17trampoline_kernelINS0_14default_configENS1_35radix_sort_onesweep_config_selectorIsNS0_10empty_typeEEEZZNS1_29radix_sort_onesweep_iterationIS3_Lb0EN6thrust23THRUST_200600_302600_NS6detail15normal_iteratorINS9_10device_ptrIsEEEESE_PS5_SF_jNS0_19identity_decomposerENS1_16block_id_wrapperIjLb1EEEEE10hipError_tT1_PNSt15iterator_traitsISK_E10value_typeET2_T3_PNSL_ISQ_E10value_typeET4_T5_PSV_SW_PNS1_23onesweep_lookback_stateEbbT6_jjT7_P12ihipStream_tbENKUlT_T0_SK_SP_E_clIPsSE_SF_SF_EEDaS13_S14_SK_SP_EUlS13_E_NS1_11comp_targetILNS1_3genE3ELNS1_11target_archE908ELNS1_3gpuE7ELNS1_3repE0EEENS1_47radix_sort_onesweep_sort_config_static_selectorELNS0_4arch9wavefront6targetE1EEEvSK_, .Lfunc_end1973-_ZN7rocprim17ROCPRIM_400000_NS6detail17trampoline_kernelINS0_14default_configENS1_35radix_sort_onesweep_config_selectorIsNS0_10empty_typeEEEZZNS1_29radix_sort_onesweep_iterationIS3_Lb0EN6thrust23THRUST_200600_302600_NS6detail15normal_iteratorINS9_10device_ptrIsEEEESE_PS5_SF_jNS0_19identity_decomposerENS1_16block_id_wrapperIjLb1EEEEE10hipError_tT1_PNSt15iterator_traitsISK_E10value_typeET2_T3_PNSL_ISQ_E10value_typeET4_T5_PSV_SW_PNS1_23onesweep_lookback_stateEbbT6_jjT7_P12ihipStream_tbENKUlT_T0_SK_SP_E_clIPsSE_SF_SF_EEDaS13_S14_SK_SP_EUlS13_E_NS1_11comp_targetILNS1_3genE3ELNS1_11target_archE908ELNS1_3gpuE7ELNS1_3repE0EEENS1_47radix_sort_onesweep_sort_config_static_selectorELNS0_4arch9wavefront6targetE1EEEvSK_
                                        ; -- End function
	.section	.AMDGPU.csdata,"",@progbits
; Kernel info:
; codeLenInByte = 0
; NumSgprs: 4
; NumVgprs: 0
; NumAgprs: 0
; TotalNumVgprs: 0
; ScratchSize: 0
; MemoryBound: 0
; FloatMode: 240
; IeeeMode: 1
; LDSByteSize: 0 bytes/workgroup (compile time only)
; SGPRBlocks: 0
; VGPRBlocks: 0
; NumSGPRsForWavesPerEU: 4
; NumVGPRsForWavesPerEU: 1
; AccumOffset: 4
; Occupancy: 8
; WaveLimiterHint : 0
; COMPUTE_PGM_RSRC2:SCRATCH_EN: 0
; COMPUTE_PGM_RSRC2:USER_SGPR: 6
; COMPUTE_PGM_RSRC2:TRAP_HANDLER: 0
; COMPUTE_PGM_RSRC2:TGID_X_EN: 1
; COMPUTE_PGM_RSRC2:TGID_Y_EN: 0
; COMPUTE_PGM_RSRC2:TGID_Z_EN: 0
; COMPUTE_PGM_RSRC2:TIDIG_COMP_CNT: 0
; COMPUTE_PGM_RSRC3_GFX90A:ACCUM_OFFSET: 0
; COMPUTE_PGM_RSRC3_GFX90A:TG_SPLIT: 0
	.section	.text._ZN7rocprim17ROCPRIM_400000_NS6detail17trampoline_kernelINS0_14default_configENS1_35radix_sort_onesweep_config_selectorIsNS0_10empty_typeEEEZZNS1_29radix_sort_onesweep_iterationIS3_Lb0EN6thrust23THRUST_200600_302600_NS6detail15normal_iteratorINS9_10device_ptrIsEEEESE_PS5_SF_jNS0_19identity_decomposerENS1_16block_id_wrapperIjLb1EEEEE10hipError_tT1_PNSt15iterator_traitsISK_E10value_typeET2_T3_PNSL_ISQ_E10value_typeET4_T5_PSV_SW_PNS1_23onesweep_lookback_stateEbbT6_jjT7_P12ihipStream_tbENKUlT_T0_SK_SP_E_clIPsSE_SF_SF_EEDaS13_S14_SK_SP_EUlS13_E_NS1_11comp_targetILNS1_3genE10ELNS1_11target_archE1201ELNS1_3gpuE5ELNS1_3repE0EEENS1_47radix_sort_onesweep_sort_config_static_selectorELNS0_4arch9wavefront6targetE1EEEvSK_,"axG",@progbits,_ZN7rocprim17ROCPRIM_400000_NS6detail17trampoline_kernelINS0_14default_configENS1_35radix_sort_onesweep_config_selectorIsNS0_10empty_typeEEEZZNS1_29radix_sort_onesweep_iterationIS3_Lb0EN6thrust23THRUST_200600_302600_NS6detail15normal_iteratorINS9_10device_ptrIsEEEESE_PS5_SF_jNS0_19identity_decomposerENS1_16block_id_wrapperIjLb1EEEEE10hipError_tT1_PNSt15iterator_traitsISK_E10value_typeET2_T3_PNSL_ISQ_E10value_typeET4_T5_PSV_SW_PNS1_23onesweep_lookback_stateEbbT6_jjT7_P12ihipStream_tbENKUlT_T0_SK_SP_E_clIPsSE_SF_SF_EEDaS13_S14_SK_SP_EUlS13_E_NS1_11comp_targetILNS1_3genE10ELNS1_11target_archE1201ELNS1_3gpuE5ELNS1_3repE0EEENS1_47radix_sort_onesweep_sort_config_static_selectorELNS0_4arch9wavefront6targetE1EEEvSK_,comdat
	.protected	_ZN7rocprim17ROCPRIM_400000_NS6detail17trampoline_kernelINS0_14default_configENS1_35radix_sort_onesweep_config_selectorIsNS0_10empty_typeEEEZZNS1_29radix_sort_onesweep_iterationIS3_Lb0EN6thrust23THRUST_200600_302600_NS6detail15normal_iteratorINS9_10device_ptrIsEEEESE_PS5_SF_jNS0_19identity_decomposerENS1_16block_id_wrapperIjLb1EEEEE10hipError_tT1_PNSt15iterator_traitsISK_E10value_typeET2_T3_PNSL_ISQ_E10value_typeET4_T5_PSV_SW_PNS1_23onesweep_lookback_stateEbbT6_jjT7_P12ihipStream_tbENKUlT_T0_SK_SP_E_clIPsSE_SF_SF_EEDaS13_S14_SK_SP_EUlS13_E_NS1_11comp_targetILNS1_3genE10ELNS1_11target_archE1201ELNS1_3gpuE5ELNS1_3repE0EEENS1_47radix_sort_onesweep_sort_config_static_selectorELNS0_4arch9wavefront6targetE1EEEvSK_ ; -- Begin function _ZN7rocprim17ROCPRIM_400000_NS6detail17trampoline_kernelINS0_14default_configENS1_35radix_sort_onesweep_config_selectorIsNS0_10empty_typeEEEZZNS1_29radix_sort_onesweep_iterationIS3_Lb0EN6thrust23THRUST_200600_302600_NS6detail15normal_iteratorINS9_10device_ptrIsEEEESE_PS5_SF_jNS0_19identity_decomposerENS1_16block_id_wrapperIjLb1EEEEE10hipError_tT1_PNSt15iterator_traitsISK_E10value_typeET2_T3_PNSL_ISQ_E10value_typeET4_T5_PSV_SW_PNS1_23onesweep_lookback_stateEbbT6_jjT7_P12ihipStream_tbENKUlT_T0_SK_SP_E_clIPsSE_SF_SF_EEDaS13_S14_SK_SP_EUlS13_E_NS1_11comp_targetILNS1_3genE10ELNS1_11target_archE1201ELNS1_3gpuE5ELNS1_3repE0EEENS1_47radix_sort_onesweep_sort_config_static_selectorELNS0_4arch9wavefront6targetE1EEEvSK_
	.globl	_ZN7rocprim17ROCPRIM_400000_NS6detail17trampoline_kernelINS0_14default_configENS1_35radix_sort_onesweep_config_selectorIsNS0_10empty_typeEEEZZNS1_29radix_sort_onesweep_iterationIS3_Lb0EN6thrust23THRUST_200600_302600_NS6detail15normal_iteratorINS9_10device_ptrIsEEEESE_PS5_SF_jNS0_19identity_decomposerENS1_16block_id_wrapperIjLb1EEEEE10hipError_tT1_PNSt15iterator_traitsISK_E10value_typeET2_T3_PNSL_ISQ_E10value_typeET4_T5_PSV_SW_PNS1_23onesweep_lookback_stateEbbT6_jjT7_P12ihipStream_tbENKUlT_T0_SK_SP_E_clIPsSE_SF_SF_EEDaS13_S14_SK_SP_EUlS13_E_NS1_11comp_targetILNS1_3genE10ELNS1_11target_archE1201ELNS1_3gpuE5ELNS1_3repE0EEENS1_47radix_sort_onesweep_sort_config_static_selectorELNS0_4arch9wavefront6targetE1EEEvSK_
	.p2align	8
	.type	_ZN7rocprim17ROCPRIM_400000_NS6detail17trampoline_kernelINS0_14default_configENS1_35radix_sort_onesweep_config_selectorIsNS0_10empty_typeEEEZZNS1_29radix_sort_onesweep_iterationIS3_Lb0EN6thrust23THRUST_200600_302600_NS6detail15normal_iteratorINS9_10device_ptrIsEEEESE_PS5_SF_jNS0_19identity_decomposerENS1_16block_id_wrapperIjLb1EEEEE10hipError_tT1_PNSt15iterator_traitsISK_E10value_typeET2_T3_PNSL_ISQ_E10value_typeET4_T5_PSV_SW_PNS1_23onesweep_lookback_stateEbbT6_jjT7_P12ihipStream_tbENKUlT_T0_SK_SP_E_clIPsSE_SF_SF_EEDaS13_S14_SK_SP_EUlS13_E_NS1_11comp_targetILNS1_3genE10ELNS1_11target_archE1201ELNS1_3gpuE5ELNS1_3repE0EEENS1_47radix_sort_onesweep_sort_config_static_selectorELNS0_4arch9wavefront6targetE1EEEvSK_,@function
_ZN7rocprim17ROCPRIM_400000_NS6detail17trampoline_kernelINS0_14default_configENS1_35radix_sort_onesweep_config_selectorIsNS0_10empty_typeEEEZZNS1_29radix_sort_onesweep_iterationIS3_Lb0EN6thrust23THRUST_200600_302600_NS6detail15normal_iteratorINS9_10device_ptrIsEEEESE_PS5_SF_jNS0_19identity_decomposerENS1_16block_id_wrapperIjLb1EEEEE10hipError_tT1_PNSt15iterator_traitsISK_E10value_typeET2_T3_PNSL_ISQ_E10value_typeET4_T5_PSV_SW_PNS1_23onesweep_lookback_stateEbbT6_jjT7_P12ihipStream_tbENKUlT_T0_SK_SP_E_clIPsSE_SF_SF_EEDaS13_S14_SK_SP_EUlS13_E_NS1_11comp_targetILNS1_3genE10ELNS1_11target_archE1201ELNS1_3gpuE5ELNS1_3repE0EEENS1_47radix_sort_onesweep_sort_config_static_selectorELNS0_4arch9wavefront6targetE1EEEvSK_: ; @_ZN7rocprim17ROCPRIM_400000_NS6detail17trampoline_kernelINS0_14default_configENS1_35radix_sort_onesweep_config_selectorIsNS0_10empty_typeEEEZZNS1_29radix_sort_onesweep_iterationIS3_Lb0EN6thrust23THRUST_200600_302600_NS6detail15normal_iteratorINS9_10device_ptrIsEEEESE_PS5_SF_jNS0_19identity_decomposerENS1_16block_id_wrapperIjLb1EEEEE10hipError_tT1_PNSt15iterator_traitsISK_E10value_typeET2_T3_PNSL_ISQ_E10value_typeET4_T5_PSV_SW_PNS1_23onesweep_lookback_stateEbbT6_jjT7_P12ihipStream_tbENKUlT_T0_SK_SP_E_clIPsSE_SF_SF_EEDaS13_S14_SK_SP_EUlS13_E_NS1_11comp_targetILNS1_3genE10ELNS1_11target_archE1201ELNS1_3gpuE5ELNS1_3repE0EEENS1_47radix_sort_onesweep_sort_config_static_selectorELNS0_4arch9wavefront6targetE1EEEvSK_
; %bb.0:
	.section	.rodata,"a",@progbits
	.p2align	6, 0x0
	.amdhsa_kernel _ZN7rocprim17ROCPRIM_400000_NS6detail17trampoline_kernelINS0_14default_configENS1_35radix_sort_onesweep_config_selectorIsNS0_10empty_typeEEEZZNS1_29radix_sort_onesweep_iterationIS3_Lb0EN6thrust23THRUST_200600_302600_NS6detail15normal_iteratorINS9_10device_ptrIsEEEESE_PS5_SF_jNS0_19identity_decomposerENS1_16block_id_wrapperIjLb1EEEEE10hipError_tT1_PNSt15iterator_traitsISK_E10value_typeET2_T3_PNSL_ISQ_E10value_typeET4_T5_PSV_SW_PNS1_23onesweep_lookback_stateEbbT6_jjT7_P12ihipStream_tbENKUlT_T0_SK_SP_E_clIPsSE_SF_SF_EEDaS13_S14_SK_SP_EUlS13_E_NS1_11comp_targetILNS1_3genE10ELNS1_11target_archE1201ELNS1_3gpuE5ELNS1_3repE0EEENS1_47radix_sort_onesweep_sort_config_static_selectorELNS0_4arch9wavefront6targetE1EEEvSK_
		.amdhsa_group_segment_fixed_size 0
		.amdhsa_private_segment_fixed_size 0
		.amdhsa_kernarg_size 88
		.amdhsa_user_sgpr_count 6
		.amdhsa_user_sgpr_private_segment_buffer 1
		.amdhsa_user_sgpr_dispatch_ptr 0
		.amdhsa_user_sgpr_queue_ptr 0
		.amdhsa_user_sgpr_kernarg_segment_ptr 1
		.amdhsa_user_sgpr_dispatch_id 0
		.amdhsa_user_sgpr_flat_scratch_init 0
		.amdhsa_user_sgpr_kernarg_preload_length 0
		.amdhsa_user_sgpr_kernarg_preload_offset 0
		.amdhsa_user_sgpr_private_segment_size 0
		.amdhsa_uses_dynamic_stack 0
		.amdhsa_system_sgpr_private_segment_wavefront_offset 0
		.amdhsa_system_sgpr_workgroup_id_x 1
		.amdhsa_system_sgpr_workgroup_id_y 0
		.amdhsa_system_sgpr_workgroup_id_z 0
		.amdhsa_system_sgpr_workgroup_info 0
		.amdhsa_system_vgpr_workitem_id 0
		.amdhsa_next_free_vgpr 1
		.amdhsa_next_free_sgpr 0
		.amdhsa_accum_offset 4
		.amdhsa_reserve_vcc 0
		.amdhsa_reserve_flat_scratch 0
		.amdhsa_float_round_mode_32 0
		.amdhsa_float_round_mode_16_64 0
		.amdhsa_float_denorm_mode_32 3
		.amdhsa_float_denorm_mode_16_64 3
		.amdhsa_dx10_clamp 1
		.amdhsa_ieee_mode 1
		.amdhsa_fp16_overflow 0
		.amdhsa_tg_split 0
		.amdhsa_exception_fp_ieee_invalid_op 0
		.amdhsa_exception_fp_denorm_src 0
		.amdhsa_exception_fp_ieee_div_zero 0
		.amdhsa_exception_fp_ieee_overflow 0
		.amdhsa_exception_fp_ieee_underflow 0
		.amdhsa_exception_fp_ieee_inexact 0
		.amdhsa_exception_int_div_zero 0
	.end_amdhsa_kernel
	.section	.text._ZN7rocprim17ROCPRIM_400000_NS6detail17trampoline_kernelINS0_14default_configENS1_35radix_sort_onesweep_config_selectorIsNS0_10empty_typeEEEZZNS1_29radix_sort_onesweep_iterationIS3_Lb0EN6thrust23THRUST_200600_302600_NS6detail15normal_iteratorINS9_10device_ptrIsEEEESE_PS5_SF_jNS0_19identity_decomposerENS1_16block_id_wrapperIjLb1EEEEE10hipError_tT1_PNSt15iterator_traitsISK_E10value_typeET2_T3_PNSL_ISQ_E10value_typeET4_T5_PSV_SW_PNS1_23onesweep_lookback_stateEbbT6_jjT7_P12ihipStream_tbENKUlT_T0_SK_SP_E_clIPsSE_SF_SF_EEDaS13_S14_SK_SP_EUlS13_E_NS1_11comp_targetILNS1_3genE10ELNS1_11target_archE1201ELNS1_3gpuE5ELNS1_3repE0EEENS1_47radix_sort_onesweep_sort_config_static_selectorELNS0_4arch9wavefront6targetE1EEEvSK_,"axG",@progbits,_ZN7rocprim17ROCPRIM_400000_NS6detail17trampoline_kernelINS0_14default_configENS1_35radix_sort_onesweep_config_selectorIsNS0_10empty_typeEEEZZNS1_29radix_sort_onesweep_iterationIS3_Lb0EN6thrust23THRUST_200600_302600_NS6detail15normal_iteratorINS9_10device_ptrIsEEEESE_PS5_SF_jNS0_19identity_decomposerENS1_16block_id_wrapperIjLb1EEEEE10hipError_tT1_PNSt15iterator_traitsISK_E10value_typeET2_T3_PNSL_ISQ_E10value_typeET4_T5_PSV_SW_PNS1_23onesweep_lookback_stateEbbT6_jjT7_P12ihipStream_tbENKUlT_T0_SK_SP_E_clIPsSE_SF_SF_EEDaS13_S14_SK_SP_EUlS13_E_NS1_11comp_targetILNS1_3genE10ELNS1_11target_archE1201ELNS1_3gpuE5ELNS1_3repE0EEENS1_47radix_sort_onesweep_sort_config_static_selectorELNS0_4arch9wavefront6targetE1EEEvSK_,comdat
.Lfunc_end1974:
	.size	_ZN7rocprim17ROCPRIM_400000_NS6detail17trampoline_kernelINS0_14default_configENS1_35radix_sort_onesweep_config_selectorIsNS0_10empty_typeEEEZZNS1_29radix_sort_onesweep_iterationIS3_Lb0EN6thrust23THRUST_200600_302600_NS6detail15normal_iteratorINS9_10device_ptrIsEEEESE_PS5_SF_jNS0_19identity_decomposerENS1_16block_id_wrapperIjLb1EEEEE10hipError_tT1_PNSt15iterator_traitsISK_E10value_typeET2_T3_PNSL_ISQ_E10value_typeET4_T5_PSV_SW_PNS1_23onesweep_lookback_stateEbbT6_jjT7_P12ihipStream_tbENKUlT_T0_SK_SP_E_clIPsSE_SF_SF_EEDaS13_S14_SK_SP_EUlS13_E_NS1_11comp_targetILNS1_3genE10ELNS1_11target_archE1201ELNS1_3gpuE5ELNS1_3repE0EEENS1_47radix_sort_onesweep_sort_config_static_selectorELNS0_4arch9wavefront6targetE1EEEvSK_, .Lfunc_end1974-_ZN7rocprim17ROCPRIM_400000_NS6detail17trampoline_kernelINS0_14default_configENS1_35radix_sort_onesweep_config_selectorIsNS0_10empty_typeEEEZZNS1_29radix_sort_onesweep_iterationIS3_Lb0EN6thrust23THRUST_200600_302600_NS6detail15normal_iteratorINS9_10device_ptrIsEEEESE_PS5_SF_jNS0_19identity_decomposerENS1_16block_id_wrapperIjLb1EEEEE10hipError_tT1_PNSt15iterator_traitsISK_E10value_typeET2_T3_PNSL_ISQ_E10value_typeET4_T5_PSV_SW_PNS1_23onesweep_lookback_stateEbbT6_jjT7_P12ihipStream_tbENKUlT_T0_SK_SP_E_clIPsSE_SF_SF_EEDaS13_S14_SK_SP_EUlS13_E_NS1_11comp_targetILNS1_3genE10ELNS1_11target_archE1201ELNS1_3gpuE5ELNS1_3repE0EEENS1_47radix_sort_onesweep_sort_config_static_selectorELNS0_4arch9wavefront6targetE1EEEvSK_
                                        ; -- End function
	.section	.AMDGPU.csdata,"",@progbits
; Kernel info:
; codeLenInByte = 0
; NumSgprs: 4
; NumVgprs: 0
; NumAgprs: 0
; TotalNumVgprs: 0
; ScratchSize: 0
; MemoryBound: 0
; FloatMode: 240
; IeeeMode: 1
; LDSByteSize: 0 bytes/workgroup (compile time only)
; SGPRBlocks: 0
; VGPRBlocks: 0
; NumSGPRsForWavesPerEU: 4
; NumVGPRsForWavesPerEU: 1
; AccumOffset: 4
; Occupancy: 8
; WaveLimiterHint : 0
; COMPUTE_PGM_RSRC2:SCRATCH_EN: 0
; COMPUTE_PGM_RSRC2:USER_SGPR: 6
; COMPUTE_PGM_RSRC2:TRAP_HANDLER: 0
; COMPUTE_PGM_RSRC2:TGID_X_EN: 1
; COMPUTE_PGM_RSRC2:TGID_Y_EN: 0
; COMPUTE_PGM_RSRC2:TGID_Z_EN: 0
; COMPUTE_PGM_RSRC2:TIDIG_COMP_CNT: 0
; COMPUTE_PGM_RSRC3_GFX90A:ACCUM_OFFSET: 0
; COMPUTE_PGM_RSRC3_GFX90A:TG_SPLIT: 0
	.section	.text._ZN7rocprim17ROCPRIM_400000_NS6detail17trampoline_kernelINS0_14default_configENS1_35radix_sort_onesweep_config_selectorIsNS0_10empty_typeEEEZZNS1_29radix_sort_onesweep_iterationIS3_Lb0EN6thrust23THRUST_200600_302600_NS6detail15normal_iteratorINS9_10device_ptrIsEEEESE_PS5_SF_jNS0_19identity_decomposerENS1_16block_id_wrapperIjLb1EEEEE10hipError_tT1_PNSt15iterator_traitsISK_E10value_typeET2_T3_PNSL_ISQ_E10value_typeET4_T5_PSV_SW_PNS1_23onesweep_lookback_stateEbbT6_jjT7_P12ihipStream_tbENKUlT_T0_SK_SP_E_clIPsSE_SF_SF_EEDaS13_S14_SK_SP_EUlS13_E_NS1_11comp_targetILNS1_3genE9ELNS1_11target_archE1100ELNS1_3gpuE3ELNS1_3repE0EEENS1_47radix_sort_onesweep_sort_config_static_selectorELNS0_4arch9wavefront6targetE1EEEvSK_,"axG",@progbits,_ZN7rocprim17ROCPRIM_400000_NS6detail17trampoline_kernelINS0_14default_configENS1_35radix_sort_onesweep_config_selectorIsNS0_10empty_typeEEEZZNS1_29radix_sort_onesweep_iterationIS3_Lb0EN6thrust23THRUST_200600_302600_NS6detail15normal_iteratorINS9_10device_ptrIsEEEESE_PS5_SF_jNS0_19identity_decomposerENS1_16block_id_wrapperIjLb1EEEEE10hipError_tT1_PNSt15iterator_traitsISK_E10value_typeET2_T3_PNSL_ISQ_E10value_typeET4_T5_PSV_SW_PNS1_23onesweep_lookback_stateEbbT6_jjT7_P12ihipStream_tbENKUlT_T0_SK_SP_E_clIPsSE_SF_SF_EEDaS13_S14_SK_SP_EUlS13_E_NS1_11comp_targetILNS1_3genE9ELNS1_11target_archE1100ELNS1_3gpuE3ELNS1_3repE0EEENS1_47radix_sort_onesweep_sort_config_static_selectorELNS0_4arch9wavefront6targetE1EEEvSK_,comdat
	.protected	_ZN7rocprim17ROCPRIM_400000_NS6detail17trampoline_kernelINS0_14default_configENS1_35radix_sort_onesweep_config_selectorIsNS0_10empty_typeEEEZZNS1_29radix_sort_onesweep_iterationIS3_Lb0EN6thrust23THRUST_200600_302600_NS6detail15normal_iteratorINS9_10device_ptrIsEEEESE_PS5_SF_jNS0_19identity_decomposerENS1_16block_id_wrapperIjLb1EEEEE10hipError_tT1_PNSt15iterator_traitsISK_E10value_typeET2_T3_PNSL_ISQ_E10value_typeET4_T5_PSV_SW_PNS1_23onesweep_lookback_stateEbbT6_jjT7_P12ihipStream_tbENKUlT_T0_SK_SP_E_clIPsSE_SF_SF_EEDaS13_S14_SK_SP_EUlS13_E_NS1_11comp_targetILNS1_3genE9ELNS1_11target_archE1100ELNS1_3gpuE3ELNS1_3repE0EEENS1_47radix_sort_onesweep_sort_config_static_selectorELNS0_4arch9wavefront6targetE1EEEvSK_ ; -- Begin function _ZN7rocprim17ROCPRIM_400000_NS6detail17trampoline_kernelINS0_14default_configENS1_35radix_sort_onesweep_config_selectorIsNS0_10empty_typeEEEZZNS1_29radix_sort_onesweep_iterationIS3_Lb0EN6thrust23THRUST_200600_302600_NS6detail15normal_iteratorINS9_10device_ptrIsEEEESE_PS5_SF_jNS0_19identity_decomposerENS1_16block_id_wrapperIjLb1EEEEE10hipError_tT1_PNSt15iterator_traitsISK_E10value_typeET2_T3_PNSL_ISQ_E10value_typeET4_T5_PSV_SW_PNS1_23onesweep_lookback_stateEbbT6_jjT7_P12ihipStream_tbENKUlT_T0_SK_SP_E_clIPsSE_SF_SF_EEDaS13_S14_SK_SP_EUlS13_E_NS1_11comp_targetILNS1_3genE9ELNS1_11target_archE1100ELNS1_3gpuE3ELNS1_3repE0EEENS1_47radix_sort_onesweep_sort_config_static_selectorELNS0_4arch9wavefront6targetE1EEEvSK_
	.globl	_ZN7rocprim17ROCPRIM_400000_NS6detail17trampoline_kernelINS0_14default_configENS1_35radix_sort_onesweep_config_selectorIsNS0_10empty_typeEEEZZNS1_29radix_sort_onesweep_iterationIS3_Lb0EN6thrust23THRUST_200600_302600_NS6detail15normal_iteratorINS9_10device_ptrIsEEEESE_PS5_SF_jNS0_19identity_decomposerENS1_16block_id_wrapperIjLb1EEEEE10hipError_tT1_PNSt15iterator_traitsISK_E10value_typeET2_T3_PNSL_ISQ_E10value_typeET4_T5_PSV_SW_PNS1_23onesweep_lookback_stateEbbT6_jjT7_P12ihipStream_tbENKUlT_T0_SK_SP_E_clIPsSE_SF_SF_EEDaS13_S14_SK_SP_EUlS13_E_NS1_11comp_targetILNS1_3genE9ELNS1_11target_archE1100ELNS1_3gpuE3ELNS1_3repE0EEENS1_47radix_sort_onesweep_sort_config_static_selectorELNS0_4arch9wavefront6targetE1EEEvSK_
	.p2align	8
	.type	_ZN7rocprim17ROCPRIM_400000_NS6detail17trampoline_kernelINS0_14default_configENS1_35radix_sort_onesweep_config_selectorIsNS0_10empty_typeEEEZZNS1_29radix_sort_onesweep_iterationIS3_Lb0EN6thrust23THRUST_200600_302600_NS6detail15normal_iteratorINS9_10device_ptrIsEEEESE_PS5_SF_jNS0_19identity_decomposerENS1_16block_id_wrapperIjLb1EEEEE10hipError_tT1_PNSt15iterator_traitsISK_E10value_typeET2_T3_PNSL_ISQ_E10value_typeET4_T5_PSV_SW_PNS1_23onesweep_lookback_stateEbbT6_jjT7_P12ihipStream_tbENKUlT_T0_SK_SP_E_clIPsSE_SF_SF_EEDaS13_S14_SK_SP_EUlS13_E_NS1_11comp_targetILNS1_3genE9ELNS1_11target_archE1100ELNS1_3gpuE3ELNS1_3repE0EEENS1_47radix_sort_onesweep_sort_config_static_selectorELNS0_4arch9wavefront6targetE1EEEvSK_,@function
_ZN7rocprim17ROCPRIM_400000_NS6detail17trampoline_kernelINS0_14default_configENS1_35radix_sort_onesweep_config_selectorIsNS0_10empty_typeEEEZZNS1_29radix_sort_onesweep_iterationIS3_Lb0EN6thrust23THRUST_200600_302600_NS6detail15normal_iteratorINS9_10device_ptrIsEEEESE_PS5_SF_jNS0_19identity_decomposerENS1_16block_id_wrapperIjLb1EEEEE10hipError_tT1_PNSt15iterator_traitsISK_E10value_typeET2_T3_PNSL_ISQ_E10value_typeET4_T5_PSV_SW_PNS1_23onesweep_lookback_stateEbbT6_jjT7_P12ihipStream_tbENKUlT_T0_SK_SP_E_clIPsSE_SF_SF_EEDaS13_S14_SK_SP_EUlS13_E_NS1_11comp_targetILNS1_3genE9ELNS1_11target_archE1100ELNS1_3gpuE3ELNS1_3repE0EEENS1_47radix_sort_onesweep_sort_config_static_selectorELNS0_4arch9wavefront6targetE1EEEvSK_: ; @_ZN7rocprim17ROCPRIM_400000_NS6detail17trampoline_kernelINS0_14default_configENS1_35radix_sort_onesweep_config_selectorIsNS0_10empty_typeEEEZZNS1_29radix_sort_onesweep_iterationIS3_Lb0EN6thrust23THRUST_200600_302600_NS6detail15normal_iteratorINS9_10device_ptrIsEEEESE_PS5_SF_jNS0_19identity_decomposerENS1_16block_id_wrapperIjLb1EEEEE10hipError_tT1_PNSt15iterator_traitsISK_E10value_typeET2_T3_PNSL_ISQ_E10value_typeET4_T5_PSV_SW_PNS1_23onesweep_lookback_stateEbbT6_jjT7_P12ihipStream_tbENKUlT_T0_SK_SP_E_clIPsSE_SF_SF_EEDaS13_S14_SK_SP_EUlS13_E_NS1_11comp_targetILNS1_3genE9ELNS1_11target_archE1100ELNS1_3gpuE3ELNS1_3repE0EEENS1_47radix_sort_onesweep_sort_config_static_selectorELNS0_4arch9wavefront6targetE1EEEvSK_
; %bb.0:
	.section	.rodata,"a",@progbits
	.p2align	6, 0x0
	.amdhsa_kernel _ZN7rocprim17ROCPRIM_400000_NS6detail17trampoline_kernelINS0_14default_configENS1_35radix_sort_onesweep_config_selectorIsNS0_10empty_typeEEEZZNS1_29radix_sort_onesweep_iterationIS3_Lb0EN6thrust23THRUST_200600_302600_NS6detail15normal_iteratorINS9_10device_ptrIsEEEESE_PS5_SF_jNS0_19identity_decomposerENS1_16block_id_wrapperIjLb1EEEEE10hipError_tT1_PNSt15iterator_traitsISK_E10value_typeET2_T3_PNSL_ISQ_E10value_typeET4_T5_PSV_SW_PNS1_23onesweep_lookback_stateEbbT6_jjT7_P12ihipStream_tbENKUlT_T0_SK_SP_E_clIPsSE_SF_SF_EEDaS13_S14_SK_SP_EUlS13_E_NS1_11comp_targetILNS1_3genE9ELNS1_11target_archE1100ELNS1_3gpuE3ELNS1_3repE0EEENS1_47radix_sort_onesweep_sort_config_static_selectorELNS0_4arch9wavefront6targetE1EEEvSK_
		.amdhsa_group_segment_fixed_size 0
		.amdhsa_private_segment_fixed_size 0
		.amdhsa_kernarg_size 88
		.amdhsa_user_sgpr_count 6
		.amdhsa_user_sgpr_private_segment_buffer 1
		.amdhsa_user_sgpr_dispatch_ptr 0
		.amdhsa_user_sgpr_queue_ptr 0
		.amdhsa_user_sgpr_kernarg_segment_ptr 1
		.amdhsa_user_sgpr_dispatch_id 0
		.amdhsa_user_sgpr_flat_scratch_init 0
		.amdhsa_user_sgpr_kernarg_preload_length 0
		.amdhsa_user_sgpr_kernarg_preload_offset 0
		.amdhsa_user_sgpr_private_segment_size 0
		.amdhsa_uses_dynamic_stack 0
		.amdhsa_system_sgpr_private_segment_wavefront_offset 0
		.amdhsa_system_sgpr_workgroup_id_x 1
		.amdhsa_system_sgpr_workgroup_id_y 0
		.amdhsa_system_sgpr_workgroup_id_z 0
		.amdhsa_system_sgpr_workgroup_info 0
		.amdhsa_system_vgpr_workitem_id 0
		.amdhsa_next_free_vgpr 1
		.amdhsa_next_free_sgpr 0
		.amdhsa_accum_offset 4
		.amdhsa_reserve_vcc 0
		.amdhsa_reserve_flat_scratch 0
		.amdhsa_float_round_mode_32 0
		.amdhsa_float_round_mode_16_64 0
		.amdhsa_float_denorm_mode_32 3
		.amdhsa_float_denorm_mode_16_64 3
		.amdhsa_dx10_clamp 1
		.amdhsa_ieee_mode 1
		.amdhsa_fp16_overflow 0
		.amdhsa_tg_split 0
		.amdhsa_exception_fp_ieee_invalid_op 0
		.amdhsa_exception_fp_denorm_src 0
		.amdhsa_exception_fp_ieee_div_zero 0
		.amdhsa_exception_fp_ieee_overflow 0
		.amdhsa_exception_fp_ieee_underflow 0
		.amdhsa_exception_fp_ieee_inexact 0
		.amdhsa_exception_int_div_zero 0
	.end_amdhsa_kernel
	.section	.text._ZN7rocprim17ROCPRIM_400000_NS6detail17trampoline_kernelINS0_14default_configENS1_35radix_sort_onesweep_config_selectorIsNS0_10empty_typeEEEZZNS1_29radix_sort_onesweep_iterationIS3_Lb0EN6thrust23THRUST_200600_302600_NS6detail15normal_iteratorINS9_10device_ptrIsEEEESE_PS5_SF_jNS0_19identity_decomposerENS1_16block_id_wrapperIjLb1EEEEE10hipError_tT1_PNSt15iterator_traitsISK_E10value_typeET2_T3_PNSL_ISQ_E10value_typeET4_T5_PSV_SW_PNS1_23onesweep_lookback_stateEbbT6_jjT7_P12ihipStream_tbENKUlT_T0_SK_SP_E_clIPsSE_SF_SF_EEDaS13_S14_SK_SP_EUlS13_E_NS1_11comp_targetILNS1_3genE9ELNS1_11target_archE1100ELNS1_3gpuE3ELNS1_3repE0EEENS1_47radix_sort_onesweep_sort_config_static_selectorELNS0_4arch9wavefront6targetE1EEEvSK_,"axG",@progbits,_ZN7rocprim17ROCPRIM_400000_NS6detail17trampoline_kernelINS0_14default_configENS1_35radix_sort_onesweep_config_selectorIsNS0_10empty_typeEEEZZNS1_29radix_sort_onesweep_iterationIS3_Lb0EN6thrust23THRUST_200600_302600_NS6detail15normal_iteratorINS9_10device_ptrIsEEEESE_PS5_SF_jNS0_19identity_decomposerENS1_16block_id_wrapperIjLb1EEEEE10hipError_tT1_PNSt15iterator_traitsISK_E10value_typeET2_T3_PNSL_ISQ_E10value_typeET4_T5_PSV_SW_PNS1_23onesweep_lookback_stateEbbT6_jjT7_P12ihipStream_tbENKUlT_T0_SK_SP_E_clIPsSE_SF_SF_EEDaS13_S14_SK_SP_EUlS13_E_NS1_11comp_targetILNS1_3genE9ELNS1_11target_archE1100ELNS1_3gpuE3ELNS1_3repE0EEENS1_47radix_sort_onesweep_sort_config_static_selectorELNS0_4arch9wavefront6targetE1EEEvSK_,comdat
.Lfunc_end1975:
	.size	_ZN7rocprim17ROCPRIM_400000_NS6detail17trampoline_kernelINS0_14default_configENS1_35radix_sort_onesweep_config_selectorIsNS0_10empty_typeEEEZZNS1_29radix_sort_onesweep_iterationIS3_Lb0EN6thrust23THRUST_200600_302600_NS6detail15normal_iteratorINS9_10device_ptrIsEEEESE_PS5_SF_jNS0_19identity_decomposerENS1_16block_id_wrapperIjLb1EEEEE10hipError_tT1_PNSt15iterator_traitsISK_E10value_typeET2_T3_PNSL_ISQ_E10value_typeET4_T5_PSV_SW_PNS1_23onesweep_lookback_stateEbbT6_jjT7_P12ihipStream_tbENKUlT_T0_SK_SP_E_clIPsSE_SF_SF_EEDaS13_S14_SK_SP_EUlS13_E_NS1_11comp_targetILNS1_3genE9ELNS1_11target_archE1100ELNS1_3gpuE3ELNS1_3repE0EEENS1_47radix_sort_onesweep_sort_config_static_selectorELNS0_4arch9wavefront6targetE1EEEvSK_, .Lfunc_end1975-_ZN7rocprim17ROCPRIM_400000_NS6detail17trampoline_kernelINS0_14default_configENS1_35radix_sort_onesweep_config_selectorIsNS0_10empty_typeEEEZZNS1_29radix_sort_onesweep_iterationIS3_Lb0EN6thrust23THRUST_200600_302600_NS6detail15normal_iteratorINS9_10device_ptrIsEEEESE_PS5_SF_jNS0_19identity_decomposerENS1_16block_id_wrapperIjLb1EEEEE10hipError_tT1_PNSt15iterator_traitsISK_E10value_typeET2_T3_PNSL_ISQ_E10value_typeET4_T5_PSV_SW_PNS1_23onesweep_lookback_stateEbbT6_jjT7_P12ihipStream_tbENKUlT_T0_SK_SP_E_clIPsSE_SF_SF_EEDaS13_S14_SK_SP_EUlS13_E_NS1_11comp_targetILNS1_3genE9ELNS1_11target_archE1100ELNS1_3gpuE3ELNS1_3repE0EEENS1_47radix_sort_onesweep_sort_config_static_selectorELNS0_4arch9wavefront6targetE1EEEvSK_
                                        ; -- End function
	.section	.AMDGPU.csdata,"",@progbits
; Kernel info:
; codeLenInByte = 0
; NumSgprs: 4
; NumVgprs: 0
; NumAgprs: 0
; TotalNumVgprs: 0
; ScratchSize: 0
; MemoryBound: 0
; FloatMode: 240
; IeeeMode: 1
; LDSByteSize: 0 bytes/workgroup (compile time only)
; SGPRBlocks: 0
; VGPRBlocks: 0
; NumSGPRsForWavesPerEU: 4
; NumVGPRsForWavesPerEU: 1
; AccumOffset: 4
; Occupancy: 8
; WaveLimiterHint : 0
; COMPUTE_PGM_RSRC2:SCRATCH_EN: 0
; COMPUTE_PGM_RSRC2:USER_SGPR: 6
; COMPUTE_PGM_RSRC2:TRAP_HANDLER: 0
; COMPUTE_PGM_RSRC2:TGID_X_EN: 1
; COMPUTE_PGM_RSRC2:TGID_Y_EN: 0
; COMPUTE_PGM_RSRC2:TGID_Z_EN: 0
; COMPUTE_PGM_RSRC2:TIDIG_COMP_CNT: 0
; COMPUTE_PGM_RSRC3_GFX90A:ACCUM_OFFSET: 0
; COMPUTE_PGM_RSRC3_GFX90A:TG_SPLIT: 0
	.section	.text._ZN7rocprim17ROCPRIM_400000_NS6detail17trampoline_kernelINS0_14default_configENS1_35radix_sort_onesweep_config_selectorIsNS0_10empty_typeEEEZZNS1_29radix_sort_onesweep_iterationIS3_Lb0EN6thrust23THRUST_200600_302600_NS6detail15normal_iteratorINS9_10device_ptrIsEEEESE_PS5_SF_jNS0_19identity_decomposerENS1_16block_id_wrapperIjLb1EEEEE10hipError_tT1_PNSt15iterator_traitsISK_E10value_typeET2_T3_PNSL_ISQ_E10value_typeET4_T5_PSV_SW_PNS1_23onesweep_lookback_stateEbbT6_jjT7_P12ihipStream_tbENKUlT_T0_SK_SP_E_clIPsSE_SF_SF_EEDaS13_S14_SK_SP_EUlS13_E_NS1_11comp_targetILNS1_3genE8ELNS1_11target_archE1030ELNS1_3gpuE2ELNS1_3repE0EEENS1_47radix_sort_onesweep_sort_config_static_selectorELNS0_4arch9wavefront6targetE1EEEvSK_,"axG",@progbits,_ZN7rocprim17ROCPRIM_400000_NS6detail17trampoline_kernelINS0_14default_configENS1_35radix_sort_onesweep_config_selectorIsNS0_10empty_typeEEEZZNS1_29radix_sort_onesweep_iterationIS3_Lb0EN6thrust23THRUST_200600_302600_NS6detail15normal_iteratorINS9_10device_ptrIsEEEESE_PS5_SF_jNS0_19identity_decomposerENS1_16block_id_wrapperIjLb1EEEEE10hipError_tT1_PNSt15iterator_traitsISK_E10value_typeET2_T3_PNSL_ISQ_E10value_typeET4_T5_PSV_SW_PNS1_23onesweep_lookback_stateEbbT6_jjT7_P12ihipStream_tbENKUlT_T0_SK_SP_E_clIPsSE_SF_SF_EEDaS13_S14_SK_SP_EUlS13_E_NS1_11comp_targetILNS1_3genE8ELNS1_11target_archE1030ELNS1_3gpuE2ELNS1_3repE0EEENS1_47radix_sort_onesweep_sort_config_static_selectorELNS0_4arch9wavefront6targetE1EEEvSK_,comdat
	.protected	_ZN7rocprim17ROCPRIM_400000_NS6detail17trampoline_kernelINS0_14default_configENS1_35radix_sort_onesweep_config_selectorIsNS0_10empty_typeEEEZZNS1_29radix_sort_onesweep_iterationIS3_Lb0EN6thrust23THRUST_200600_302600_NS6detail15normal_iteratorINS9_10device_ptrIsEEEESE_PS5_SF_jNS0_19identity_decomposerENS1_16block_id_wrapperIjLb1EEEEE10hipError_tT1_PNSt15iterator_traitsISK_E10value_typeET2_T3_PNSL_ISQ_E10value_typeET4_T5_PSV_SW_PNS1_23onesweep_lookback_stateEbbT6_jjT7_P12ihipStream_tbENKUlT_T0_SK_SP_E_clIPsSE_SF_SF_EEDaS13_S14_SK_SP_EUlS13_E_NS1_11comp_targetILNS1_3genE8ELNS1_11target_archE1030ELNS1_3gpuE2ELNS1_3repE0EEENS1_47radix_sort_onesweep_sort_config_static_selectorELNS0_4arch9wavefront6targetE1EEEvSK_ ; -- Begin function _ZN7rocprim17ROCPRIM_400000_NS6detail17trampoline_kernelINS0_14default_configENS1_35radix_sort_onesweep_config_selectorIsNS0_10empty_typeEEEZZNS1_29radix_sort_onesweep_iterationIS3_Lb0EN6thrust23THRUST_200600_302600_NS6detail15normal_iteratorINS9_10device_ptrIsEEEESE_PS5_SF_jNS0_19identity_decomposerENS1_16block_id_wrapperIjLb1EEEEE10hipError_tT1_PNSt15iterator_traitsISK_E10value_typeET2_T3_PNSL_ISQ_E10value_typeET4_T5_PSV_SW_PNS1_23onesweep_lookback_stateEbbT6_jjT7_P12ihipStream_tbENKUlT_T0_SK_SP_E_clIPsSE_SF_SF_EEDaS13_S14_SK_SP_EUlS13_E_NS1_11comp_targetILNS1_3genE8ELNS1_11target_archE1030ELNS1_3gpuE2ELNS1_3repE0EEENS1_47radix_sort_onesweep_sort_config_static_selectorELNS0_4arch9wavefront6targetE1EEEvSK_
	.globl	_ZN7rocprim17ROCPRIM_400000_NS6detail17trampoline_kernelINS0_14default_configENS1_35radix_sort_onesweep_config_selectorIsNS0_10empty_typeEEEZZNS1_29radix_sort_onesweep_iterationIS3_Lb0EN6thrust23THRUST_200600_302600_NS6detail15normal_iteratorINS9_10device_ptrIsEEEESE_PS5_SF_jNS0_19identity_decomposerENS1_16block_id_wrapperIjLb1EEEEE10hipError_tT1_PNSt15iterator_traitsISK_E10value_typeET2_T3_PNSL_ISQ_E10value_typeET4_T5_PSV_SW_PNS1_23onesweep_lookback_stateEbbT6_jjT7_P12ihipStream_tbENKUlT_T0_SK_SP_E_clIPsSE_SF_SF_EEDaS13_S14_SK_SP_EUlS13_E_NS1_11comp_targetILNS1_3genE8ELNS1_11target_archE1030ELNS1_3gpuE2ELNS1_3repE0EEENS1_47radix_sort_onesweep_sort_config_static_selectorELNS0_4arch9wavefront6targetE1EEEvSK_
	.p2align	8
	.type	_ZN7rocprim17ROCPRIM_400000_NS6detail17trampoline_kernelINS0_14default_configENS1_35radix_sort_onesweep_config_selectorIsNS0_10empty_typeEEEZZNS1_29radix_sort_onesweep_iterationIS3_Lb0EN6thrust23THRUST_200600_302600_NS6detail15normal_iteratorINS9_10device_ptrIsEEEESE_PS5_SF_jNS0_19identity_decomposerENS1_16block_id_wrapperIjLb1EEEEE10hipError_tT1_PNSt15iterator_traitsISK_E10value_typeET2_T3_PNSL_ISQ_E10value_typeET4_T5_PSV_SW_PNS1_23onesweep_lookback_stateEbbT6_jjT7_P12ihipStream_tbENKUlT_T0_SK_SP_E_clIPsSE_SF_SF_EEDaS13_S14_SK_SP_EUlS13_E_NS1_11comp_targetILNS1_3genE8ELNS1_11target_archE1030ELNS1_3gpuE2ELNS1_3repE0EEENS1_47radix_sort_onesweep_sort_config_static_selectorELNS0_4arch9wavefront6targetE1EEEvSK_,@function
_ZN7rocprim17ROCPRIM_400000_NS6detail17trampoline_kernelINS0_14default_configENS1_35radix_sort_onesweep_config_selectorIsNS0_10empty_typeEEEZZNS1_29radix_sort_onesweep_iterationIS3_Lb0EN6thrust23THRUST_200600_302600_NS6detail15normal_iteratorINS9_10device_ptrIsEEEESE_PS5_SF_jNS0_19identity_decomposerENS1_16block_id_wrapperIjLb1EEEEE10hipError_tT1_PNSt15iterator_traitsISK_E10value_typeET2_T3_PNSL_ISQ_E10value_typeET4_T5_PSV_SW_PNS1_23onesweep_lookback_stateEbbT6_jjT7_P12ihipStream_tbENKUlT_T0_SK_SP_E_clIPsSE_SF_SF_EEDaS13_S14_SK_SP_EUlS13_E_NS1_11comp_targetILNS1_3genE8ELNS1_11target_archE1030ELNS1_3gpuE2ELNS1_3repE0EEENS1_47radix_sort_onesweep_sort_config_static_selectorELNS0_4arch9wavefront6targetE1EEEvSK_: ; @_ZN7rocprim17ROCPRIM_400000_NS6detail17trampoline_kernelINS0_14default_configENS1_35radix_sort_onesweep_config_selectorIsNS0_10empty_typeEEEZZNS1_29radix_sort_onesweep_iterationIS3_Lb0EN6thrust23THRUST_200600_302600_NS6detail15normal_iteratorINS9_10device_ptrIsEEEESE_PS5_SF_jNS0_19identity_decomposerENS1_16block_id_wrapperIjLb1EEEEE10hipError_tT1_PNSt15iterator_traitsISK_E10value_typeET2_T3_PNSL_ISQ_E10value_typeET4_T5_PSV_SW_PNS1_23onesweep_lookback_stateEbbT6_jjT7_P12ihipStream_tbENKUlT_T0_SK_SP_E_clIPsSE_SF_SF_EEDaS13_S14_SK_SP_EUlS13_E_NS1_11comp_targetILNS1_3genE8ELNS1_11target_archE1030ELNS1_3gpuE2ELNS1_3repE0EEENS1_47radix_sort_onesweep_sort_config_static_selectorELNS0_4arch9wavefront6targetE1EEEvSK_
; %bb.0:
	.section	.rodata,"a",@progbits
	.p2align	6, 0x0
	.amdhsa_kernel _ZN7rocprim17ROCPRIM_400000_NS6detail17trampoline_kernelINS0_14default_configENS1_35radix_sort_onesweep_config_selectorIsNS0_10empty_typeEEEZZNS1_29radix_sort_onesweep_iterationIS3_Lb0EN6thrust23THRUST_200600_302600_NS6detail15normal_iteratorINS9_10device_ptrIsEEEESE_PS5_SF_jNS0_19identity_decomposerENS1_16block_id_wrapperIjLb1EEEEE10hipError_tT1_PNSt15iterator_traitsISK_E10value_typeET2_T3_PNSL_ISQ_E10value_typeET4_T5_PSV_SW_PNS1_23onesweep_lookback_stateEbbT6_jjT7_P12ihipStream_tbENKUlT_T0_SK_SP_E_clIPsSE_SF_SF_EEDaS13_S14_SK_SP_EUlS13_E_NS1_11comp_targetILNS1_3genE8ELNS1_11target_archE1030ELNS1_3gpuE2ELNS1_3repE0EEENS1_47radix_sort_onesweep_sort_config_static_selectorELNS0_4arch9wavefront6targetE1EEEvSK_
		.amdhsa_group_segment_fixed_size 0
		.amdhsa_private_segment_fixed_size 0
		.amdhsa_kernarg_size 88
		.amdhsa_user_sgpr_count 6
		.amdhsa_user_sgpr_private_segment_buffer 1
		.amdhsa_user_sgpr_dispatch_ptr 0
		.amdhsa_user_sgpr_queue_ptr 0
		.amdhsa_user_sgpr_kernarg_segment_ptr 1
		.amdhsa_user_sgpr_dispatch_id 0
		.amdhsa_user_sgpr_flat_scratch_init 0
		.amdhsa_user_sgpr_kernarg_preload_length 0
		.amdhsa_user_sgpr_kernarg_preload_offset 0
		.amdhsa_user_sgpr_private_segment_size 0
		.amdhsa_uses_dynamic_stack 0
		.amdhsa_system_sgpr_private_segment_wavefront_offset 0
		.amdhsa_system_sgpr_workgroup_id_x 1
		.amdhsa_system_sgpr_workgroup_id_y 0
		.amdhsa_system_sgpr_workgroup_id_z 0
		.amdhsa_system_sgpr_workgroup_info 0
		.amdhsa_system_vgpr_workitem_id 0
		.amdhsa_next_free_vgpr 1
		.amdhsa_next_free_sgpr 0
		.amdhsa_accum_offset 4
		.amdhsa_reserve_vcc 0
		.amdhsa_reserve_flat_scratch 0
		.amdhsa_float_round_mode_32 0
		.amdhsa_float_round_mode_16_64 0
		.amdhsa_float_denorm_mode_32 3
		.amdhsa_float_denorm_mode_16_64 3
		.amdhsa_dx10_clamp 1
		.amdhsa_ieee_mode 1
		.amdhsa_fp16_overflow 0
		.amdhsa_tg_split 0
		.amdhsa_exception_fp_ieee_invalid_op 0
		.amdhsa_exception_fp_denorm_src 0
		.amdhsa_exception_fp_ieee_div_zero 0
		.amdhsa_exception_fp_ieee_overflow 0
		.amdhsa_exception_fp_ieee_underflow 0
		.amdhsa_exception_fp_ieee_inexact 0
		.amdhsa_exception_int_div_zero 0
	.end_amdhsa_kernel
	.section	.text._ZN7rocprim17ROCPRIM_400000_NS6detail17trampoline_kernelINS0_14default_configENS1_35radix_sort_onesweep_config_selectorIsNS0_10empty_typeEEEZZNS1_29radix_sort_onesweep_iterationIS3_Lb0EN6thrust23THRUST_200600_302600_NS6detail15normal_iteratorINS9_10device_ptrIsEEEESE_PS5_SF_jNS0_19identity_decomposerENS1_16block_id_wrapperIjLb1EEEEE10hipError_tT1_PNSt15iterator_traitsISK_E10value_typeET2_T3_PNSL_ISQ_E10value_typeET4_T5_PSV_SW_PNS1_23onesweep_lookback_stateEbbT6_jjT7_P12ihipStream_tbENKUlT_T0_SK_SP_E_clIPsSE_SF_SF_EEDaS13_S14_SK_SP_EUlS13_E_NS1_11comp_targetILNS1_3genE8ELNS1_11target_archE1030ELNS1_3gpuE2ELNS1_3repE0EEENS1_47radix_sort_onesweep_sort_config_static_selectorELNS0_4arch9wavefront6targetE1EEEvSK_,"axG",@progbits,_ZN7rocprim17ROCPRIM_400000_NS6detail17trampoline_kernelINS0_14default_configENS1_35radix_sort_onesweep_config_selectorIsNS0_10empty_typeEEEZZNS1_29radix_sort_onesweep_iterationIS3_Lb0EN6thrust23THRUST_200600_302600_NS6detail15normal_iteratorINS9_10device_ptrIsEEEESE_PS5_SF_jNS0_19identity_decomposerENS1_16block_id_wrapperIjLb1EEEEE10hipError_tT1_PNSt15iterator_traitsISK_E10value_typeET2_T3_PNSL_ISQ_E10value_typeET4_T5_PSV_SW_PNS1_23onesweep_lookback_stateEbbT6_jjT7_P12ihipStream_tbENKUlT_T0_SK_SP_E_clIPsSE_SF_SF_EEDaS13_S14_SK_SP_EUlS13_E_NS1_11comp_targetILNS1_3genE8ELNS1_11target_archE1030ELNS1_3gpuE2ELNS1_3repE0EEENS1_47radix_sort_onesweep_sort_config_static_selectorELNS0_4arch9wavefront6targetE1EEEvSK_,comdat
.Lfunc_end1976:
	.size	_ZN7rocprim17ROCPRIM_400000_NS6detail17trampoline_kernelINS0_14default_configENS1_35radix_sort_onesweep_config_selectorIsNS0_10empty_typeEEEZZNS1_29radix_sort_onesweep_iterationIS3_Lb0EN6thrust23THRUST_200600_302600_NS6detail15normal_iteratorINS9_10device_ptrIsEEEESE_PS5_SF_jNS0_19identity_decomposerENS1_16block_id_wrapperIjLb1EEEEE10hipError_tT1_PNSt15iterator_traitsISK_E10value_typeET2_T3_PNSL_ISQ_E10value_typeET4_T5_PSV_SW_PNS1_23onesweep_lookback_stateEbbT6_jjT7_P12ihipStream_tbENKUlT_T0_SK_SP_E_clIPsSE_SF_SF_EEDaS13_S14_SK_SP_EUlS13_E_NS1_11comp_targetILNS1_3genE8ELNS1_11target_archE1030ELNS1_3gpuE2ELNS1_3repE0EEENS1_47radix_sort_onesweep_sort_config_static_selectorELNS0_4arch9wavefront6targetE1EEEvSK_, .Lfunc_end1976-_ZN7rocprim17ROCPRIM_400000_NS6detail17trampoline_kernelINS0_14default_configENS1_35radix_sort_onesweep_config_selectorIsNS0_10empty_typeEEEZZNS1_29radix_sort_onesweep_iterationIS3_Lb0EN6thrust23THRUST_200600_302600_NS6detail15normal_iteratorINS9_10device_ptrIsEEEESE_PS5_SF_jNS0_19identity_decomposerENS1_16block_id_wrapperIjLb1EEEEE10hipError_tT1_PNSt15iterator_traitsISK_E10value_typeET2_T3_PNSL_ISQ_E10value_typeET4_T5_PSV_SW_PNS1_23onesweep_lookback_stateEbbT6_jjT7_P12ihipStream_tbENKUlT_T0_SK_SP_E_clIPsSE_SF_SF_EEDaS13_S14_SK_SP_EUlS13_E_NS1_11comp_targetILNS1_3genE8ELNS1_11target_archE1030ELNS1_3gpuE2ELNS1_3repE0EEENS1_47radix_sort_onesweep_sort_config_static_selectorELNS0_4arch9wavefront6targetE1EEEvSK_
                                        ; -- End function
	.section	.AMDGPU.csdata,"",@progbits
; Kernel info:
; codeLenInByte = 0
; NumSgprs: 4
; NumVgprs: 0
; NumAgprs: 0
; TotalNumVgprs: 0
; ScratchSize: 0
; MemoryBound: 0
; FloatMode: 240
; IeeeMode: 1
; LDSByteSize: 0 bytes/workgroup (compile time only)
; SGPRBlocks: 0
; VGPRBlocks: 0
; NumSGPRsForWavesPerEU: 4
; NumVGPRsForWavesPerEU: 1
; AccumOffset: 4
; Occupancy: 8
; WaveLimiterHint : 0
; COMPUTE_PGM_RSRC2:SCRATCH_EN: 0
; COMPUTE_PGM_RSRC2:USER_SGPR: 6
; COMPUTE_PGM_RSRC2:TRAP_HANDLER: 0
; COMPUTE_PGM_RSRC2:TGID_X_EN: 1
; COMPUTE_PGM_RSRC2:TGID_Y_EN: 0
; COMPUTE_PGM_RSRC2:TGID_Z_EN: 0
; COMPUTE_PGM_RSRC2:TIDIG_COMP_CNT: 0
; COMPUTE_PGM_RSRC3_GFX90A:ACCUM_OFFSET: 0
; COMPUTE_PGM_RSRC3_GFX90A:TG_SPLIT: 0
	.section	.text._ZN7rocprim17ROCPRIM_400000_NS6detail17trampoline_kernelINS0_14default_configENS1_35radix_sort_onesweep_config_selectorIsNS0_10empty_typeEEEZZNS1_29radix_sort_onesweep_iterationIS3_Lb0EN6thrust23THRUST_200600_302600_NS6detail15normal_iteratorINS9_10device_ptrIsEEEESE_PS5_SF_jNS0_19identity_decomposerENS1_16block_id_wrapperIjLb0EEEEE10hipError_tT1_PNSt15iterator_traitsISK_E10value_typeET2_T3_PNSL_ISQ_E10value_typeET4_T5_PSV_SW_PNS1_23onesweep_lookback_stateEbbT6_jjT7_P12ihipStream_tbENKUlT_T0_SK_SP_E_clISE_SE_SF_SF_EEDaS13_S14_SK_SP_EUlS13_E_NS1_11comp_targetILNS1_3genE0ELNS1_11target_archE4294967295ELNS1_3gpuE0ELNS1_3repE0EEENS1_47radix_sort_onesweep_sort_config_static_selectorELNS0_4arch9wavefront6targetE1EEEvSK_,"axG",@progbits,_ZN7rocprim17ROCPRIM_400000_NS6detail17trampoline_kernelINS0_14default_configENS1_35radix_sort_onesweep_config_selectorIsNS0_10empty_typeEEEZZNS1_29radix_sort_onesweep_iterationIS3_Lb0EN6thrust23THRUST_200600_302600_NS6detail15normal_iteratorINS9_10device_ptrIsEEEESE_PS5_SF_jNS0_19identity_decomposerENS1_16block_id_wrapperIjLb0EEEEE10hipError_tT1_PNSt15iterator_traitsISK_E10value_typeET2_T3_PNSL_ISQ_E10value_typeET4_T5_PSV_SW_PNS1_23onesweep_lookback_stateEbbT6_jjT7_P12ihipStream_tbENKUlT_T0_SK_SP_E_clISE_SE_SF_SF_EEDaS13_S14_SK_SP_EUlS13_E_NS1_11comp_targetILNS1_3genE0ELNS1_11target_archE4294967295ELNS1_3gpuE0ELNS1_3repE0EEENS1_47radix_sort_onesweep_sort_config_static_selectorELNS0_4arch9wavefront6targetE1EEEvSK_,comdat
	.protected	_ZN7rocprim17ROCPRIM_400000_NS6detail17trampoline_kernelINS0_14default_configENS1_35radix_sort_onesweep_config_selectorIsNS0_10empty_typeEEEZZNS1_29radix_sort_onesweep_iterationIS3_Lb0EN6thrust23THRUST_200600_302600_NS6detail15normal_iteratorINS9_10device_ptrIsEEEESE_PS5_SF_jNS0_19identity_decomposerENS1_16block_id_wrapperIjLb0EEEEE10hipError_tT1_PNSt15iterator_traitsISK_E10value_typeET2_T3_PNSL_ISQ_E10value_typeET4_T5_PSV_SW_PNS1_23onesweep_lookback_stateEbbT6_jjT7_P12ihipStream_tbENKUlT_T0_SK_SP_E_clISE_SE_SF_SF_EEDaS13_S14_SK_SP_EUlS13_E_NS1_11comp_targetILNS1_3genE0ELNS1_11target_archE4294967295ELNS1_3gpuE0ELNS1_3repE0EEENS1_47radix_sort_onesweep_sort_config_static_selectorELNS0_4arch9wavefront6targetE1EEEvSK_ ; -- Begin function _ZN7rocprim17ROCPRIM_400000_NS6detail17trampoline_kernelINS0_14default_configENS1_35radix_sort_onesweep_config_selectorIsNS0_10empty_typeEEEZZNS1_29radix_sort_onesweep_iterationIS3_Lb0EN6thrust23THRUST_200600_302600_NS6detail15normal_iteratorINS9_10device_ptrIsEEEESE_PS5_SF_jNS0_19identity_decomposerENS1_16block_id_wrapperIjLb0EEEEE10hipError_tT1_PNSt15iterator_traitsISK_E10value_typeET2_T3_PNSL_ISQ_E10value_typeET4_T5_PSV_SW_PNS1_23onesweep_lookback_stateEbbT6_jjT7_P12ihipStream_tbENKUlT_T0_SK_SP_E_clISE_SE_SF_SF_EEDaS13_S14_SK_SP_EUlS13_E_NS1_11comp_targetILNS1_3genE0ELNS1_11target_archE4294967295ELNS1_3gpuE0ELNS1_3repE0EEENS1_47radix_sort_onesweep_sort_config_static_selectorELNS0_4arch9wavefront6targetE1EEEvSK_
	.globl	_ZN7rocprim17ROCPRIM_400000_NS6detail17trampoline_kernelINS0_14default_configENS1_35radix_sort_onesweep_config_selectorIsNS0_10empty_typeEEEZZNS1_29radix_sort_onesweep_iterationIS3_Lb0EN6thrust23THRUST_200600_302600_NS6detail15normal_iteratorINS9_10device_ptrIsEEEESE_PS5_SF_jNS0_19identity_decomposerENS1_16block_id_wrapperIjLb0EEEEE10hipError_tT1_PNSt15iterator_traitsISK_E10value_typeET2_T3_PNSL_ISQ_E10value_typeET4_T5_PSV_SW_PNS1_23onesweep_lookback_stateEbbT6_jjT7_P12ihipStream_tbENKUlT_T0_SK_SP_E_clISE_SE_SF_SF_EEDaS13_S14_SK_SP_EUlS13_E_NS1_11comp_targetILNS1_3genE0ELNS1_11target_archE4294967295ELNS1_3gpuE0ELNS1_3repE0EEENS1_47radix_sort_onesweep_sort_config_static_selectorELNS0_4arch9wavefront6targetE1EEEvSK_
	.p2align	8
	.type	_ZN7rocprim17ROCPRIM_400000_NS6detail17trampoline_kernelINS0_14default_configENS1_35radix_sort_onesweep_config_selectorIsNS0_10empty_typeEEEZZNS1_29radix_sort_onesweep_iterationIS3_Lb0EN6thrust23THRUST_200600_302600_NS6detail15normal_iteratorINS9_10device_ptrIsEEEESE_PS5_SF_jNS0_19identity_decomposerENS1_16block_id_wrapperIjLb0EEEEE10hipError_tT1_PNSt15iterator_traitsISK_E10value_typeET2_T3_PNSL_ISQ_E10value_typeET4_T5_PSV_SW_PNS1_23onesweep_lookback_stateEbbT6_jjT7_P12ihipStream_tbENKUlT_T0_SK_SP_E_clISE_SE_SF_SF_EEDaS13_S14_SK_SP_EUlS13_E_NS1_11comp_targetILNS1_3genE0ELNS1_11target_archE4294967295ELNS1_3gpuE0ELNS1_3repE0EEENS1_47radix_sort_onesweep_sort_config_static_selectorELNS0_4arch9wavefront6targetE1EEEvSK_,@function
_ZN7rocprim17ROCPRIM_400000_NS6detail17trampoline_kernelINS0_14default_configENS1_35radix_sort_onesweep_config_selectorIsNS0_10empty_typeEEEZZNS1_29radix_sort_onesweep_iterationIS3_Lb0EN6thrust23THRUST_200600_302600_NS6detail15normal_iteratorINS9_10device_ptrIsEEEESE_PS5_SF_jNS0_19identity_decomposerENS1_16block_id_wrapperIjLb0EEEEE10hipError_tT1_PNSt15iterator_traitsISK_E10value_typeET2_T3_PNSL_ISQ_E10value_typeET4_T5_PSV_SW_PNS1_23onesweep_lookback_stateEbbT6_jjT7_P12ihipStream_tbENKUlT_T0_SK_SP_E_clISE_SE_SF_SF_EEDaS13_S14_SK_SP_EUlS13_E_NS1_11comp_targetILNS1_3genE0ELNS1_11target_archE4294967295ELNS1_3gpuE0ELNS1_3repE0EEENS1_47radix_sort_onesweep_sort_config_static_selectorELNS0_4arch9wavefront6targetE1EEEvSK_: ; @_ZN7rocprim17ROCPRIM_400000_NS6detail17trampoline_kernelINS0_14default_configENS1_35radix_sort_onesweep_config_selectorIsNS0_10empty_typeEEEZZNS1_29radix_sort_onesweep_iterationIS3_Lb0EN6thrust23THRUST_200600_302600_NS6detail15normal_iteratorINS9_10device_ptrIsEEEESE_PS5_SF_jNS0_19identity_decomposerENS1_16block_id_wrapperIjLb0EEEEE10hipError_tT1_PNSt15iterator_traitsISK_E10value_typeET2_T3_PNSL_ISQ_E10value_typeET4_T5_PSV_SW_PNS1_23onesweep_lookback_stateEbbT6_jjT7_P12ihipStream_tbENKUlT_T0_SK_SP_E_clISE_SE_SF_SF_EEDaS13_S14_SK_SP_EUlS13_E_NS1_11comp_targetILNS1_3genE0ELNS1_11target_archE4294967295ELNS1_3gpuE0ELNS1_3repE0EEENS1_47radix_sort_onesweep_sort_config_static_selectorELNS0_4arch9wavefront6targetE1EEEvSK_
; %bb.0:
	.section	.rodata,"a",@progbits
	.p2align	6, 0x0
	.amdhsa_kernel _ZN7rocprim17ROCPRIM_400000_NS6detail17trampoline_kernelINS0_14default_configENS1_35radix_sort_onesweep_config_selectorIsNS0_10empty_typeEEEZZNS1_29radix_sort_onesweep_iterationIS3_Lb0EN6thrust23THRUST_200600_302600_NS6detail15normal_iteratorINS9_10device_ptrIsEEEESE_PS5_SF_jNS0_19identity_decomposerENS1_16block_id_wrapperIjLb0EEEEE10hipError_tT1_PNSt15iterator_traitsISK_E10value_typeET2_T3_PNSL_ISQ_E10value_typeET4_T5_PSV_SW_PNS1_23onesweep_lookback_stateEbbT6_jjT7_P12ihipStream_tbENKUlT_T0_SK_SP_E_clISE_SE_SF_SF_EEDaS13_S14_SK_SP_EUlS13_E_NS1_11comp_targetILNS1_3genE0ELNS1_11target_archE4294967295ELNS1_3gpuE0ELNS1_3repE0EEENS1_47radix_sort_onesweep_sort_config_static_selectorELNS0_4arch9wavefront6targetE1EEEvSK_
		.amdhsa_group_segment_fixed_size 0
		.amdhsa_private_segment_fixed_size 0
		.amdhsa_kernarg_size 88
		.amdhsa_user_sgpr_count 6
		.amdhsa_user_sgpr_private_segment_buffer 1
		.amdhsa_user_sgpr_dispatch_ptr 0
		.amdhsa_user_sgpr_queue_ptr 0
		.amdhsa_user_sgpr_kernarg_segment_ptr 1
		.amdhsa_user_sgpr_dispatch_id 0
		.amdhsa_user_sgpr_flat_scratch_init 0
		.amdhsa_user_sgpr_kernarg_preload_length 0
		.amdhsa_user_sgpr_kernarg_preload_offset 0
		.amdhsa_user_sgpr_private_segment_size 0
		.amdhsa_uses_dynamic_stack 0
		.amdhsa_system_sgpr_private_segment_wavefront_offset 0
		.amdhsa_system_sgpr_workgroup_id_x 1
		.amdhsa_system_sgpr_workgroup_id_y 0
		.amdhsa_system_sgpr_workgroup_id_z 0
		.amdhsa_system_sgpr_workgroup_info 0
		.amdhsa_system_vgpr_workitem_id 0
		.amdhsa_next_free_vgpr 1
		.amdhsa_next_free_sgpr 0
		.amdhsa_accum_offset 4
		.amdhsa_reserve_vcc 0
		.amdhsa_reserve_flat_scratch 0
		.amdhsa_float_round_mode_32 0
		.amdhsa_float_round_mode_16_64 0
		.amdhsa_float_denorm_mode_32 3
		.amdhsa_float_denorm_mode_16_64 3
		.amdhsa_dx10_clamp 1
		.amdhsa_ieee_mode 1
		.amdhsa_fp16_overflow 0
		.amdhsa_tg_split 0
		.amdhsa_exception_fp_ieee_invalid_op 0
		.amdhsa_exception_fp_denorm_src 0
		.amdhsa_exception_fp_ieee_div_zero 0
		.amdhsa_exception_fp_ieee_overflow 0
		.amdhsa_exception_fp_ieee_underflow 0
		.amdhsa_exception_fp_ieee_inexact 0
		.amdhsa_exception_int_div_zero 0
	.end_amdhsa_kernel
	.section	.text._ZN7rocprim17ROCPRIM_400000_NS6detail17trampoline_kernelINS0_14default_configENS1_35radix_sort_onesweep_config_selectorIsNS0_10empty_typeEEEZZNS1_29radix_sort_onesweep_iterationIS3_Lb0EN6thrust23THRUST_200600_302600_NS6detail15normal_iteratorINS9_10device_ptrIsEEEESE_PS5_SF_jNS0_19identity_decomposerENS1_16block_id_wrapperIjLb0EEEEE10hipError_tT1_PNSt15iterator_traitsISK_E10value_typeET2_T3_PNSL_ISQ_E10value_typeET4_T5_PSV_SW_PNS1_23onesweep_lookback_stateEbbT6_jjT7_P12ihipStream_tbENKUlT_T0_SK_SP_E_clISE_SE_SF_SF_EEDaS13_S14_SK_SP_EUlS13_E_NS1_11comp_targetILNS1_3genE0ELNS1_11target_archE4294967295ELNS1_3gpuE0ELNS1_3repE0EEENS1_47radix_sort_onesweep_sort_config_static_selectorELNS0_4arch9wavefront6targetE1EEEvSK_,"axG",@progbits,_ZN7rocprim17ROCPRIM_400000_NS6detail17trampoline_kernelINS0_14default_configENS1_35radix_sort_onesweep_config_selectorIsNS0_10empty_typeEEEZZNS1_29radix_sort_onesweep_iterationIS3_Lb0EN6thrust23THRUST_200600_302600_NS6detail15normal_iteratorINS9_10device_ptrIsEEEESE_PS5_SF_jNS0_19identity_decomposerENS1_16block_id_wrapperIjLb0EEEEE10hipError_tT1_PNSt15iterator_traitsISK_E10value_typeET2_T3_PNSL_ISQ_E10value_typeET4_T5_PSV_SW_PNS1_23onesweep_lookback_stateEbbT6_jjT7_P12ihipStream_tbENKUlT_T0_SK_SP_E_clISE_SE_SF_SF_EEDaS13_S14_SK_SP_EUlS13_E_NS1_11comp_targetILNS1_3genE0ELNS1_11target_archE4294967295ELNS1_3gpuE0ELNS1_3repE0EEENS1_47radix_sort_onesweep_sort_config_static_selectorELNS0_4arch9wavefront6targetE1EEEvSK_,comdat
.Lfunc_end1977:
	.size	_ZN7rocprim17ROCPRIM_400000_NS6detail17trampoline_kernelINS0_14default_configENS1_35radix_sort_onesweep_config_selectorIsNS0_10empty_typeEEEZZNS1_29radix_sort_onesweep_iterationIS3_Lb0EN6thrust23THRUST_200600_302600_NS6detail15normal_iteratorINS9_10device_ptrIsEEEESE_PS5_SF_jNS0_19identity_decomposerENS1_16block_id_wrapperIjLb0EEEEE10hipError_tT1_PNSt15iterator_traitsISK_E10value_typeET2_T3_PNSL_ISQ_E10value_typeET4_T5_PSV_SW_PNS1_23onesweep_lookback_stateEbbT6_jjT7_P12ihipStream_tbENKUlT_T0_SK_SP_E_clISE_SE_SF_SF_EEDaS13_S14_SK_SP_EUlS13_E_NS1_11comp_targetILNS1_3genE0ELNS1_11target_archE4294967295ELNS1_3gpuE0ELNS1_3repE0EEENS1_47radix_sort_onesweep_sort_config_static_selectorELNS0_4arch9wavefront6targetE1EEEvSK_, .Lfunc_end1977-_ZN7rocprim17ROCPRIM_400000_NS6detail17trampoline_kernelINS0_14default_configENS1_35radix_sort_onesweep_config_selectorIsNS0_10empty_typeEEEZZNS1_29radix_sort_onesweep_iterationIS3_Lb0EN6thrust23THRUST_200600_302600_NS6detail15normal_iteratorINS9_10device_ptrIsEEEESE_PS5_SF_jNS0_19identity_decomposerENS1_16block_id_wrapperIjLb0EEEEE10hipError_tT1_PNSt15iterator_traitsISK_E10value_typeET2_T3_PNSL_ISQ_E10value_typeET4_T5_PSV_SW_PNS1_23onesweep_lookback_stateEbbT6_jjT7_P12ihipStream_tbENKUlT_T0_SK_SP_E_clISE_SE_SF_SF_EEDaS13_S14_SK_SP_EUlS13_E_NS1_11comp_targetILNS1_3genE0ELNS1_11target_archE4294967295ELNS1_3gpuE0ELNS1_3repE0EEENS1_47radix_sort_onesweep_sort_config_static_selectorELNS0_4arch9wavefront6targetE1EEEvSK_
                                        ; -- End function
	.section	.AMDGPU.csdata,"",@progbits
; Kernel info:
; codeLenInByte = 0
; NumSgprs: 4
; NumVgprs: 0
; NumAgprs: 0
; TotalNumVgprs: 0
; ScratchSize: 0
; MemoryBound: 0
; FloatMode: 240
; IeeeMode: 1
; LDSByteSize: 0 bytes/workgroup (compile time only)
; SGPRBlocks: 0
; VGPRBlocks: 0
; NumSGPRsForWavesPerEU: 4
; NumVGPRsForWavesPerEU: 1
; AccumOffset: 4
; Occupancy: 8
; WaveLimiterHint : 0
; COMPUTE_PGM_RSRC2:SCRATCH_EN: 0
; COMPUTE_PGM_RSRC2:USER_SGPR: 6
; COMPUTE_PGM_RSRC2:TRAP_HANDLER: 0
; COMPUTE_PGM_RSRC2:TGID_X_EN: 1
; COMPUTE_PGM_RSRC2:TGID_Y_EN: 0
; COMPUTE_PGM_RSRC2:TGID_Z_EN: 0
; COMPUTE_PGM_RSRC2:TIDIG_COMP_CNT: 0
; COMPUTE_PGM_RSRC3_GFX90A:ACCUM_OFFSET: 0
; COMPUTE_PGM_RSRC3_GFX90A:TG_SPLIT: 0
	.section	.text._ZN7rocprim17ROCPRIM_400000_NS6detail17trampoline_kernelINS0_14default_configENS1_35radix_sort_onesweep_config_selectorIsNS0_10empty_typeEEEZZNS1_29radix_sort_onesweep_iterationIS3_Lb0EN6thrust23THRUST_200600_302600_NS6detail15normal_iteratorINS9_10device_ptrIsEEEESE_PS5_SF_jNS0_19identity_decomposerENS1_16block_id_wrapperIjLb0EEEEE10hipError_tT1_PNSt15iterator_traitsISK_E10value_typeET2_T3_PNSL_ISQ_E10value_typeET4_T5_PSV_SW_PNS1_23onesweep_lookback_stateEbbT6_jjT7_P12ihipStream_tbENKUlT_T0_SK_SP_E_clISE_SE_SF_SF_EEDaS13_S14_SK_SP_EUlS13_E_NS1_11comp_targetILNS1_3genE6ELNS1_11target_archE950ELNS1_3gpuE13ELNS1_3repE0EEENS1_47radix_sort_onesweep_sort_config_static_selectorELNS0_4arch9wavefront6targetE1EEEvSK_,"axG",@progbits,_ZN7rocprim17ROCPRIM_400000_NS6detail17trampoline_kernelINS0_14default_configENS1_35radix_sort_onesweep_config_selectorIsNS0_10empty_typeEEEZZNS1_29radix_sort_onesweep_iterationIS3_Lb0EN6thrust23THRUST_200600_302600_NS6detail15normal_iteratorINS9_10device_ptrIsEEEESE_PS5_SF_jNS0_19identity_decomposerENS1_16block_id_wrapperIjLb0EEEEE10hipError_tT1_PNSt15iterator_traitsISK_E10value_typeET2_T3_PNSL_ISQ_E10value_typeET4_T5_PSV_SW_PNS1_23onesweep_lookback_stateEbbT6_jjT7_P12ihipStream_tbENKUlT_T0_SK_SP_E_clISE_SE_SF_SF_EEDaS13_S14_SK_SP_EUlS13_E_NS1_11comp_targetILNS1_3genE6ELNS1_11target_archE950ELNS1_3gpuE13ELNS1_3repE0EEENS1_47radix_sort_onesweep_sort_config_static_selectorELNS0_4arch9wavefront6targetE1EEEvSK_,comdat
	.protected	_ZN7rocprim17ROCPRIM_400000_NS6detail17trampoline_kernelINS0_14default_configENS1_35radix_sort_onesweep_config_selectorIsNS0_10empty_typeEEEZZNS1_29radix_sort_onesweep_iterationIS3_Lb0EN6thrust23THRUST_200600_302600_NS6detail15normal_iteratorINS9_10device_ptrIsEEEESE_PS5_SF_jNS0_19identity_decomposerENS1_16block_id_wrapperIjLb0EEEEE10hipError_tT1_PNSt15iterator_traitsISK_E10value_typeET2_T3_PNSL_ISQ_E10value_typeET4_T5_PSV_SW_PNS1_23onesweep_lookback_stateEbbT6_jjT7_P12ihipStream_tbENKUlT_T0_SK_SP_E_clISE_SE_SF_SF_EEDaS13_S14_SK_SP_EUlS13_E_NS1_11comp_targetILNS1_3genE6ELNS1_11target_archE950ELNS1_3gpuE13ELNS1_3repE0EEENS1_47radix_sort_onesweep_sort_config_static_selectorELNS0_4arch9wavefront6targetE1EEEvSK_ ; -- Begin function _ZN7rocprim17ROCPRIM_400000_NS6detail17trampoline_kernelINS0_14default_configENS1_35radix_sort_onesweep_config_selectorIsNS0_10empty_typeEEEZZNS1_29radix_sort_onesweep_iterationIS3_Lb0EN6thrust23THRUST_200600_302600_NS6detail15normal_iteratorINS9_10device_ptrIsEEEESE_PS5_SF_jNS0_19identity_decomposerENS1_16block_id_wrapperIjLb0EEEEE10hipError_tT1_PNSt15iterator_traitsISK_E10value_typeET2_T3_PNSL_ISQ_E10value_typeET4_T5_PSV_SW_PNS1_23onesweep_lookback_stateEbbT6_jjT7_P12ihipStream_tbENKUlT_T0_SK_SP_E_clISE_SE_SF_SF_EEDaS13_S14_SK_SP_EUlS13_E_NS1_11comp_targetILNS1_3genE6ELNS1_11target_archE950ELNS1_3gpuE13ELNS1_3repE0EEENS1_47radix_sort_onesweep_sort_config_static_selectorELNS0_4arch9wavefront6targetE1EEEvSK_
	.globl	_ZN7rocprim17ROCPRIM_400000_NS6detail17trampoline_kernelINS0_14default_configENS1_35radix_sort_onesweep_config_selectorIsNS0_10empty_typeEEEZZNS1_29radix_sort_onesweep_iterationIS3_Lb0EN6thrust23THRUST_200600_302600_NS6detail15normal_iteratorINS9_10device_ptrIsEEEESE_PS5_SF_jNS0_19identity_decomposerENS1_16block_id_wrapperIjLb0EEEEE10hipError_tT1_PNSt15iterator_traitsISK_E10value_typeET2_T3_PNSL_ISQ_E10value_typeET4_T5_PSV_SW_PNS1_23onesweep_lookback_stateEbbT6_jjT7_P12ihipStream_tbENKUlT_T0_SK_SP_E_clISE_SE_SF_SF_EEDaS13_S14_SK_SP_EUlS13_E_NS1_11comp_targetILNS1_3genE6ELNS1_11target_archE950ELNS1_3gpuE13ELNS1_3repE0EEENS1_47radix_sort_onesweep_sort_config_static_selectorELNS0_4arch9wavefront6targetE1EEEvSK_
	.p2align	8
	.type	_ZN7rocprim17ROCPRIM_400000_NS6detail17trampoline_kernelINS0_14default_configENS1_35radix_sort_onesweep_config_selectorIsNS0_10empty_typeEEEZZNS1_29radix_sort_onesweep_iterationIS3_Lb0EN6thrust23THRUST_200600_302600_NS6detail15normal_iteratorINS9_10device_ptrIsEEEESE_PS5_SF_jNS0_19identity_decomposerENS1_16block_id_wrapperIjLb0EEEEE10hipError_tT1_PNSt15iterator_traitsISK_E10value_typeET2_T3_PNSL_ISQ_E10value_typeET4_T5_PSV_SW_PNS1_23onesweep_lookback_stateEbbT6_jjT7_P12ihipStream_tbENKUlT_T0_SK_SP_E_clISE_SE_SF_SF_EEDaS13_S14_SK_SP_EUlS13_E_NS1_11comp_targetILNS1_3genE6ELNS1_11target_archE950ELNS1_3gpuE13ELNS1_3repE0EEENS1_47radix_sort_onesweep_sort_config_static_selectorELNS0_4arch9wavefront6targetE1EEEvSK_,@function
_ZN7rocprim17ROCPRIM_400000_NS6detail17trampoline_kernelINS0_14default_configENS1_35radix_sort_onesweep_config_selectorIsNS0_10empty_typeEEEZZNS1_29radix_sort_onesweep_iterationIS3_Lb0EN6thrust23THRUST_200600_302600_NS6detail15normal_iteratorINS9_10device_ptrIsEEEESE_PS5_SF_jNS0_19identity_decomposerENS1_16block_id_wrapperIjLb0EEEEE10hipError_tT1_PNSt15iterator_traitsISK_E10value_typeET2_T3_PNSL_ISQ_E10value_typeET4_T5_PSV_SW_PNS1_23onesweep_lookback_stateEbbT6_jjT7_P12ihipStream_tbENKUlT_T0_SK_SP_E_clISE_SE_SF_SF_EEDaS13_S14_SK_SP_EUlS13_E_NS1_11comp_targetILNS1_3genE6ELNS1_11target_archE950ELNS1_3gpuE13ELNS1_3repE0EEENS1_47radix_sort_onesweep_sort_config_static_selectorELNS0_4arch9wavefront6targetE1EEEvSK_: ; @_ZN7rocprim17ROCPRIM_400000_NS6detail17trampoline_kernelINS0_14default_configENS1_35radix_sort_onesweep_config_selectorIsNS0_10empty_typeEEEZZNS1_29radix_sort_onesweep_iterationIS3_Lb0EN6thrust23THRUST_200600_302600_NS6detail15normal_iteratorINS9_10device_ptrIsEEEESE_PS5_SF_jNS0_19identity_decomposerENS1_16block_id_wrapperIjLb0EEEEE10hipError_tT1_PNSt15iterator_traitsISK_E10value_typeET2_T3_PNSL_ISQ_E10value_typeET4_T5_PSV_SW_PNS1_23onesweep_lookback_stateEbbT6_jjT7_P12ihipStream_tbENKUlT_T0_SK_SP_E_clISE_SE_SF_SF_EEDaS13_S14_SK_SP_EUlS13_E_NS1_11comp_targetILNS1_3genE6ELNS1_11target_archE950ELNS1_3gpuE13ELNS1_3repE0EEENS1_47radix_sort_onesweep_sort_config_static_selectorELNS0_4arch9wavefront6targetE1EEEvSK_
; %bb.0:
	.section	.rodata,"a",@progbits
	.p2align	6, 0x0
	.amdhsa_kernel _ZN7rocprim17ROCPRIM_400000_NS6detail17trampoline_kernelINS0_14default_configENS1_35radix_sort_onesweep_config_selectorIsNS0_10empty_typeEEEZZNS1_29radix_sort_onesweep_iterationIS3_Lb0EN6thrust23THRUST_200600_302600_NS6detail15normal_iteratorINS9_10device_ptrIsEEEESE_PS5_SF_jNS0_19identity_decomposerENS1_16block_id_wrapperIjLb0EEEEE10hipError_tT1_PNSt15iterator_traitsISK_E10value_typeET2_T3_PNSL_ISQ_E10value_typeET4_T5_PSV_SW_PNS1_23onesweep_lookback_stateEbbT6_jjT7_P12ihipStream_tbENKUlT_T0_SK_SP_E_clISE_SE_SF_SF_EEDaS13_S14_SK_SP_EUlS13_E_NS1_11comp_targetILNS1_3genE6ELNS1_11target_archE950ELNS1_3gpuE13ELNS1_3repE0EEENS1_47radix_sort_onesweep_sort_config_static_selectorELNS0_4arch9wavefront6targetE1EEEvSK_
		.amdhsa_group_segment_fixed_size 0
		.amdhsa_private_segment_fixed_size 0
		.amdhsa_kernarg_size 88
		.amdhsa_user_sgpr_count 6
		.amdhsa_user_sgpr_private_segment_buffer 1
		.amdhsa_user_sgpr_dispatch_ptr 0
		.amdhsa_user_sgpr_queue_ptr 0
		.amdhsa_user_sgpr_kernarg_segment_ptr 1
		.amdhsa_user_sgpr_dispatch_id 0
		.amdhsa_user_sgpr_flat_scratch_init 0
		.amdhsa_user_sgpr_kernarg_preload_length 0
		.amdhsa_user_sgpr_kernarg_preload_offset 0
		.amdhsa_user_sgpr_private_segment_size 0
		.amdhsa_uses_dynamic_stack 0
		.amdhsa_system_sgpr_private_segment_wavefront_offset 0
		.amdhsa_system_sgpr_workgroup_id_x 1
		.amdhsa_system_sgpr_workgroup_id_y 0
		.amdhsa_system_sgpr_workgroup_id_z 0
		.amdhsa_system_sgpr_workgroup_info 0
		.amdhsa_system_vgpr_workitem_id 0
		.amdhsa_next_free_vgpr 1
		.amdhsa_next_free_sgpr 0
		.amdhsa_accum_offset 4
		.amdhsa_reserve_vcc 0
		.amdhsa_reserve_flat_scratch 0
		.amdhsa_float_round_mode_32 0
		.amdhsa_float_round_mode_16_64 0
		.amdhsa_float_denorm_mode_32 3
		.amdhsa_float_denorm_mode_16_64 3
		.amdhsa_dx10_clamp 1
		.amdhsa_ieee_mode 1
		.amdhsa_fp16_overflow 0
		.amdhsa_tg_split 0
		.amdhsa_exception_fp_ieee_invalid_op 0
		.amdhsa_exception_fp_denorm_src 0
		.amdhsa_exception_fp_ieee_div_zero 0
		.amdhsa_exception_fp_ieee_overflow 0
		.amdhsa_exception_fp_ieee_underflow 0
		.amdhsa_exception_fp_ieee_inexact 0
		.amdhsa_exception_int_div_zero 0
	.end_amdhsa_kernel
	.section	.text._ZN7rocprim17ROCPRIM_400000_NS6detail17trampoline_kernelINS0_14default_configENS1_35radix_sort_onesweep_config_selectorIsNS0_10empty_typeEEEZZNS1_29radix_sort_onesweep_iterationIS3_Lb0EN6thrust23THRUST_200600_302600_NS6detail15normal_iteratorINS9_10device_ptrIsEEEESE_PS5_SF_jNS0_19identity_decomposerENS1_16block_id_wrapperIjLb0EEEEE10hipError_tT1_PNSt15iterator_traitsISK_E10value_typeET2_T3_PNSL_ISQ_E10value_typeET4_T5_PSV_SW_PNS1_23onesweep_lookback_stateEbbT6_jjT7_P12ihipStream_tbENKUlT_T0_SK_SP_E_clISE_SE_SF_SF_EEDaS13_S14_SK_SP_EUlS13_E_NS1_11comp_targetILNS1_3genE6ELNS1_11target_archE950ELNS1_3gpuE13ELNS1_3repE0EEENS1_47radix_sort_onesweep_sort_config_static_selectorELNS0_4arch9wavefront6targetE1EEEvSK_,"axG",@progbits,_ZN7rocprim17ROCPRIM_400000_NS6detail17trampoline_kernelINS0_14default_configENS1_35radix_sort_onesweep_config_selectorIsNS0_10empty_typeEEEZZNS1_29radix_sort_onesweep_iterationIS3_Lb0EN6thrust23THRUST_200600_302600_NS6detail15normal_iteratorINS9_10device_ptrIsEEEESE_PS5_SF_jNS0_19identity_decomposerENS1_16block_id_wrapperIjLb0EEEEE10hipError_tT1_PNSt15iterator_traitsISK_E10value_typeET2_T3_PNSL_ISQ_E10value_typeET4_T5_PSV_SW_PNS1_23onesweep_lookback_stateEbbT6_jjT7_P12ihipStream_tbENKUlT_T0_SK_SP_E_clISE_SE_SF_SF_EEDaS13_S14_SK_SP_EUlS13_E_NS1_11comp_targetILNS1_3genE6ELNS1_11target_archE950ELNS1_3gpuE13ELNS1_3repE0EEENS1_47radix_sort_onesweep_sort_config_static_selectorELNS0_4arch9wavefront6targetE1EEEvSK_,comdat
.Lfunc_end1978:
	.size	_ZN7rocprim17ROCPRIM_400000_NS6detail17trampoline_kernelINS0_14default_configENS1_35radix_sort_onesweep_config_selectorIsNS0_10empty_typeEEEZZNS1_29radix_sort_onesweep_iterationIS3_Lb0EN6thrust23THRUST_200600_302600_NS6detail15normal_iteratorINS9_10device_ptrIsEEEESE_PS5_SF_jNS0_19identity_decomposerENS1_16block_id_wrapperIjLb0EEEEE10hipError_tT1_PNSt15iterator_traitsISK_E10value_typeET2_T3_PNSL_ISQ_E10value_typeET4_T5_PSV_SW_PNS1_23onesweep_lookback_stateEbbT6_jjT7_P12ihipStream_tbENKUlT_T0_SK_SP_E_clISE_SE_SF_SF_EEDaS13_S14_SK_SP_EUlS13_E_NS1_11comp_targetILNS1_3genE6ELNS1_11target_archE950ELNS1_3gpuE13ELNS1_3repE0EEENS1_47radix_sort_onesweep_sort_config_static_selectorELNS0_4arch9wavefront6targetE1EEEvSK_, .Lfunc_end1978-_ZN7rocprim17ROCPRIM_400000_NS6detail17trampoline_kernelINS0_14default_configENS1_35radix_sort_onesweep_config_selectorIsNS0_10empty_typeEEEZZNS1_29radix_sort_onesweep_iterationIS3_Lb0EN6thrust23THRUST_200600_302600_NS6detail15normal_iteratorINS9_10device_ptrIsEEEESE_PS5_SF_jNS0_19identity_decomposerENS1_16block_id_wrapperIjLb0EEEEE10hipError_tT1_PNSt15iterator_traitsISK_E10value_typeET2_T3_PNSL_ISQ_E10value_typeET4_T5_PSV_SW_PNS1_23onesweep_lookback_stateEbbT6_jjT7_P12ihipStream_tbENKUlT_T0_SK_SP_E_clISE_SE_SF_SF_EEDaS13_S14_SK_SP_EUlS13_E_NS1_11comp_targetILNS1_3genE6ELNS1_11target_archE950ELNS1_3gpuE13ELNS1_3repE0EEENS1_47radix_sort_onesweep_sort_config_static_selectorELNS0_4arch9wavefront6targetE1EEEvSK_
                                        ; -- End function
	.section	.AMDGPU.csdata,"",@progbits
; Kernel info:
; codeLenInByte = 0
; NumSgprs: 4
; NumVgprs: 0
; NumAgprs: 0
; TotalNumVgprs: 0
; ScratchSize: 0
; MemoryBound: 0
; FloatMode: 240
; IeeeMode: 1
; LDSByteSize: 0 bytes/workgroup (compile time only)
; SGPRBlocks: 0
; VGPRBlocks: 0
; NumSGPRsForWavesPerEU: 4
; NumVGPRsForWavesPerEU: 1
; AccumOffset: 4
; Occupancy: 8
; WaveLimiterHint : 0
; COMPUTE_PGM_RSRC2:SCRATCH_EN: 0
; COMPUTE_PGM_RSRC2:USER_SGPR: 6
; COMPUTE_PGM_RSRC2:TRAP_HANDLER: 0
; COMPUTE_PGM_RSRC2:TGID_X_EN: 1
; COMPUTE_PGM_RSRC2:TGID_Y_EN: 0
; COMPUTE_PGM_RSRC2:TGID_Z_EN: 0
; COMPUTE_PGM_RSRC2:TIDIG_COMP_CNT: 0
; COMPUTE_PGM_RSRC3_GFX90A:ACCUM_OFFSET: 0
; COMPUTE_PGM_RSRC3_GFX90A:TG_SPLIT: 0
	.section	.text._ZN7rocprim17ROCPRIM_400000_NS6detail17trampoline_kernelINS0_14default_configENS1_35radix_sort_onesweep_config_selectorIsNS0_10empty_typeEEEZZNS1_29radix_sort_onesweep_iterationIS3_Lb0EN6thrust23THRUST_200600_302600_NS6detail15normal_iteratorINS9_10device_ptrIsEEEESE_PS5_SF_jNS0_19identity_decomposerENS1_16block_id_wrapperIjLb0EEEEE10hipError_tT1_PNSt15iterator_traitsISK_E10value_typeET2_T3_PNSL_ISQ_E10value_typeET4_T5_PSV_SW_PNS1_23onesweep_lookback_stateEbbT6_jjT7_P12ihipStream_tbENKUlT_T0_SK_SP_E_clISE_SE_SF_SF_EEDaS13_S14_SK_SP_EUlS13_E_NS1_11comp_targetILNS1_3genE5ELNS1_11target_archE942ELNS1_3gpuE9ELNS1_3repE0EEENS1_47radix_sort_onesweep_sort_config_static_selectorELNS0_4arch9wavefront6targetE1EEEvSK_,"axG",@progbits,_ZN7rocprim17ROCPRIM_400000_NS6detail17trampoline_kernelINS0_14default_configENS1_35radix_sort_onesweep_config_selectorIsNS0_10empty_typeEEEZZNS1_29radix_sort_onesweep_iterationIS3_Lb0EN6thrust23THRUST_200600_302600_NS6detail15normal_iteratorINS9_10device_ptrIsEEEESE_PS5_SF_jNS0_19identity_decomposerENS1_16block_id_wrapperIjLb0EEEEE10hipError_tT1_PNSt15iterator_traitsISK_E10value_typeET2_T3_PNSL_ISQ_E10value_typeET4_T5_PSV_SW_PNS1_23onesweep_lookback_stateEbbT6_jjT7_P12ihipStream_tbENKUlT_T0_SK_SP_E_clISE_SE_SF_SF_EEDaS13_S14_SK_SP_EUlS13_E_NS1_11comp_targetILNS1_3genE5ELNS1_11target_archE942ELNS1_3gpuE9ELNS1_3repE0EEENS1_47radix_sort_onesweep_sort_config_static_selectorELNS0_4arch9wavefront6targetE1EEEvSK_,comdat
	.protected	_ZN7rocprim17ROCPRIM_400000_NS6detail17trampoline_kernelINS0_14default_configENS1_35radix_sort_onesweep_config_selectorIsNS0_10empty_typeEEEZZNS1_29radix_sort_onesweep_iterationIS3_Lb0EN6thrust23THRUST_200600_302600_NS6detail15normal_iteratorINS9_10device_ptrIsEEEESE_PS5_SF_jNS0_19identity_decomposerENS1_16block_id_wrapperIjLb0EEEEE10hipError_tT1_PNSt15iterator_traitsISK_E10value_typeET2_T3_PNSL_ISQ_E10value_typeET4_T5_PSV_SW_PNS1_23onesweep_lookback_stateEbbT6_jjT7_P12ihipStream_tbENKUlT_T0_SK_SP_E_clISE_SE_SF_SF_EEDaS13_S14_SK_SP_EUlS13_E_NS1_11comp_targetILNS1_3genE5ELNS1_11target_archE942ELNS1_3gpuE9ELNS1_3repE0EEENS1_47radix_sort_onesweep_sort_config_static_selectorELNS0_4arch9wavefront6targetE1EEEvSK_ ; -- Begin function _ZN7rocprim17ROCPRIM_400000_NS6detail17trampoline_kernelINS0_14default_configENS1_35radix_sort_onesweep_config_selectorIsNS0_10empty_typeEEEZZNS1_29radix_sort_onesweep_iterationIS3_Lb0EN6thrust23THRUST_200600_302600_NS6detail15normal_iteratorINS9_10device_ptrIsEEEESE_PS5_SF_jNS0_19identity_decomposerENS1_16block_id_wrapperIjLb0EEEEE10hipError_tT1_PNSt15iterator_traitsISK_E10value_typeET2_T3_PNSL_ISQ_E10value_typeET4_T5_PSV_SW_PNS1_23onesweep_lookback_stateEbbT6_jjT7_P12ihipStream_tbENKUlT_T0_SK_SP_E_clISE_SE_SF_SF_EEDaS13_S14_SK_SP_EUlS13_E_NS1_11comp_targetILNS1_3genE5ELNS1_11target_archE942ELNS1_3gpuE9ELNS1_3repE0EEENS1_47radix_sort_onesweep_sort_config_static_selectorELNS0_4arch9wavefront6targetE1EEEvSK_
	.globl	_ZN7rocprim17ROCPRIM_400000_NS6detail17trampoline_kernelINS0_14default_configENS1_35radix_sort_onesweep_config_selectorIsNS0_10empty_typeEEEZZNS1_29radix_sort_onesweep_iterationIS3_Lb0EN6thrust23THRUST_200600_302600_NS6detail15normal_iteratorINS9_10device_ptrIsEEEESE_PS5_SF_jNS0_19identity_decomposerENS1_16block_id_wrapperIjLb0EEEEE10hipError_tT1_PNSt15iterator_traitsISK_E10value_typeET2_T3_PNSL_ISQ_E10value_typeET4_T5_PSV_SW_PNS1_23onesweep_lookback_stateEbbT6_jjT7_P12ihipStream_tbENKUlT_T0_SK_SP_E_clISE_SE_SF_SF_EEDaS13_S14_SK_SP_EUlS13_E_NS1_11comp_targetILNS1_3genE5ELNS1_11target_archE942ELNS1_3gpuE9ELNS1_3repE0EEENS1_47radix_sort_onesweep_sort_config_static_selectorELNS0_4arch9wavefront6targetE1EEEvSK_
	.p2align	8
	.type	_ZN7rocprim17ROCPRIM_400000_NS6detail17trampoline_kernelINS0_14default_configENS1_35radix_sort_onesweep_config_selectorIsNS0_10empty_typeEEEZZNS1_29radix_sort_onesweep_iterationIS3_Lb0EN6thrust23THRUST_200600_302600_NS6detail15normal_iteratorINS9_10device_ptrIsEEEESE_PS5_SF_jNS0_19identity_decomposerENS1_16block_id_wrapperIjLb0EEEEE10hipError_tT1_PNSt15iterator_traitsISK_E10value_typeET2_T3_PNSL_ISQ_E10value_typeET4_T5_PSV_SW_PNS1_23onesweep_lookback_stateEbbT6_jjT7_P12ihipStream_tbENKUlT_T0_SK_SP_E_clISE_SE_SF_SF_EEDaS13_S14_SK_SP_EUlS13_E_NS1_11comp_targetILNS1_3genE5ELNS1_11target_archE942ELNS1_3gpuE9ELNS1_3repE0EEENS1_47radix_sort_onesweep_sort_config_static_selectorELNS0_4arch9wavefront6targetE1EEEvSK_,@function
_ZN7rocprim17ROCPRIM_400000_NS6detail17trampoline_kernelINS0_14default_configENS1_35radix_sort_onesweep_config_selectorIsNS0_10empty_typeEEEZZNS1_29radix_sort_onesweep_iterationIS3_Lb0EN6thrust23THRUST_200600_302600_NS6detail15normal_iteratorINS9_10device_ptrIsEEEESE_PS5_SF_jNS0_19identity_decomposerENS1_16block_id_wrapperIjLb0EEEEE10hipError_tT1_PNSt15iterator_traitsISK_E10value_typeET2_T3_PNSL_ISQ_E10value_typeET4_T5_PSV_SW_PNS1_23onesweep_lookback_stateEbbT6_jjT7_P12ihipStream_tbENKUlT_T0_SK_SP_E_clISE_SE_SF_SF_EEDaS13_S14_SK_SP_EUlS13_E_NS1_11comp_targetILNS1_3genE5ELNS1_11target_archE942ELNS1_3gpuE9ELNS1_3repE0EEENS1_47radix_sort_onesweep_sort_config_static_selectorELNS0_4arch9wavefront6targetE1EEEvSK_: ; @_ZN7rocprim17ROCPRIM_400000_NS6detail17trampoline_kernelINS0_14default_configENS1_35radix_sort_onesweep_config_selectorIsNS0_10empty_typeEEEZZNS1_29radix_sort_onesweep_iterationIS3_Lb0EN6thrust23THRUST_200600_302600_NS6detail15normal_iteratorINS9_10device_ptrIsEEEESE_PS5_SF_jNS0_19identity_decomposerENS1_16block_id_wrapperIjLb0EEEEE10hipError_tT1_PNSt15iterator_traitsISK_E10value_typeET2_T3_PNSL_ISQ_E10value_typeET4_T5_PSV_SW_PNS1_23onesweep_lookback_stateEbbT6_jjT7_P12ihipStream_tbENKUlT_T0_SK_SP_E_clISE_SE_SF_SF_EEDaS13_S14_SK_SP_EUlS13_E_NS1_11comp_targetILNS1_3genE5ELNS1_11target_archE942ELNS1_3gpuE9ELNS1_3repE0EEENS1_47radix_sort_onesweep_sort_config_static_selectorELNS0_4arch9wavefront6targetE1EEEvSK_
; %bb.0:
	.section	.rodata,"a",@progbits
	.p2align	6, 0x0
	.amdhsa_kernel _ZN7rocprim17ROCPRIM_400000_NS6detail17trampoline_kernelINS0_14default_configENS1_35radix_sort_onesweep_config_selectorIsNS0_10empty_typeEEEZZNS1_29radix_sort_onesweep_iterationIS3_Lb0EN6thrust23THRUST_200600_302600_NS6detail15normal_iteratorINS9_10device_ptrIsEEEESE_PS5_SF_jNS0_19identity_decomposerENS1_16block_id_wrapperIjLb0EEEEE10hipError_tT1_PNSt15iterator_traitsISK_E10value_typeET2_T3_PNSL_ISQ_E10value_typeET4_T5_PSV_SW_PNS1_23onesweep_lookback_stateEbbT6_jjT7_P12ihipStream_tbENKUlT_T0_SK_SP_E_clISE_SE_SF_SF_EEDaS13_S14_SK_SP_EUlS13_E_NS1_11comp_targetILNS1_3genE5ELNS1_11target_archE942ELNS1_3gpuE9ELNS1_3repE0EEENS1_47radix_sort_onesweep_sort_config_static_selectorELNS0_4arch9wavefront6targetE1EEEvSK_
		.amdhsa_group_segment_fixed_size 0
		.amdhsa_private_segment_fixed_size 0
		.amdhsa_kernarg_size 88
		.amdhsa_user_sgpr_count 6
		.amdhsa_user_sgpr_private_segment_buffer 1
		.amdhsa_user_sgpr_dispatch_ptr 0
		.amdhsa_user_sgpr_queue_ptr 0
		.amdhsa_user_sgpr_kernarg_segment_ptr 1
		.amdhsa_user_sgpr_dispatch_id 0
		.amdhsa_user_sgpr_flat_scratch_init 0
		.amdhsa_user_sgpr_kernarg_preload_length 0
		.amdhsa_user_sgpr_kernarg_preload_offset 0
		.amdhsa_user_sgpr_private_segment_size 0
		.amdhsa_uses_dynamic_stack 0
		.amdhsa_system_sgpr_private_segment_wavefront_offset 0
		.amdhsa_system_sgpr_workgroup_id_x 1
		.amdhsa_system_sgpr_workgroup_id_y 0
		.amdhsa_system_sgpr_workgroup_id_z 0
		.amdhsa_system_sgpr_workgroup_info 0
		.amdhsa_system_vgpr_workitem_id 0
		.amdhsa_next_free_vgpr 1
		.amdhsa_next_free_sgpr 0
		.amdhsa_accum_offset 4
		.amdhsa_reserve_vcc 0
		.amdhsa_reserve_flat_scratch 0
		.amdhsa_float_round_mode_32 0
		.amdhsa_float_round_mode_16_64 0
		.amdhsa_float_denorm_mode_32 3
		.amdhsa_float_denorm_mode_16_64 3
		.amdhsa_dx10_clamp 1
		.amdhsa_ieee_mode 1
		.amdhsa_fp16_overflow 0
		.amdhsa_tg_split 0
		.amdhsa_exception_fp_ieee_invalid_op 0
		.amdhsa_exception_fp_denorm_src 0
		.amdhsa_exception_fp_ieee_div_zero 0
		.amdhsa_exception_fp_ieee_overflow 0
		.amdhsa_exception_fp_ieee_underflow 0
		.amdhsa_exception_fp_ieee_inexact 0
		.amdhsa_exception_int_div_zero 0
	.end_amdhsa_kernel
	.section	.text._ZN7rocprim17ROCPRIM_400000_NS6detail17trampoline_kernelINS0_14default_configENS1_35radix_sort_onesweep_config_selectorIsNS0_10empty_typeEEEZZNS1_29radix_sort_onesweep_iterationIS3_Lb0EN6thrust23THRUST_200600_302600_NS6detail15normal_iteratorINS9_10device_ptrIsEEEESE_PS5_SF_jNS0_19identity_decomposerENS1_16block_id_wrapperIjLb0EEEEE10hipError_tT1_PNSt15iterator_traitsISK_E10value_typeET2_T3_PNSL_ISQ_E10value_typeET4_T5_PSV_SW_PNS1_23onesweep_lookback_stateEbbT6_jjT7_P12ihipStream_tbENKUlT_T0_SK_SP_E_clISE_SE_SF_SF_EEDaS13_S14_SK_SP_EUlS13_E_NS1_11comp_targetILNS1_3genE5ELNS1_11target_archE942ELNS1_3gpuE9ELNS1_3repE0EEENS1_47radix_sort_onesweep_sort_config_static_selectorELNS0_4arch9wavefront6targetE1EEEvSK_,"axG",@progbits,_ZN7rocprim17ROCPRIM_400000_NS6detail17trampoline_kernelINS0_14default_configENS1_35radix_sort_onesweep_config_selectorIsNS0_10empty_typeEEEZZNS1_29radix_sort_onesweep_iterationIS3_Lb0EN6thrust23THRUST_200600_302600_NS6detail15normal_iteratorINS9_10device_ptrIsEEEESE_PS5_SF_jNS0_19identity_decomposerENS1_16block_id_wrapperIjLb0EEEEE10hipError_tT1_PNSt15iterator_traitsISK_E10value_typeET2_T3_PNSL_ISQ_E10value_typeET4_T5_PSV_SW_PNS1_23onesweep_lookback_stateEbbT6_jjT7_P12ihipStream_tbENKUlT_T0_SK_SP_E_clISE_SE_SF_SF_EEDaS13_S14_SK_SP_EUlS13_E_NS1_11comp_targetILNS1_3genE5ELNS1_11target_archE942ELNS1_3gpuE9ELNS1_3repE0EEENS1_47radix_sort_onesweep_sort_config_static_selectorELNS0_4arch9wavefront6targetE1EEEvSK_,comdat
.Lfunc_end1979:
	.size	_ZN7rocprim17ROCPRIM_400000_NS6detail17trampoline_kernelINS0_14default_configENS1_35radix_sort_onesweep_config_selectorIsNS0_10empty_typeEEEZZNS1_29radix_sort_onesweep_iterationIS3_Lb0EN6thrust23THRUST_200600_302600_NS6detail15normal_iteratorINS9_10device_ptrIsEEEESE_PS5_SF_jNS0_19identity_decomposerENS1_16block_id_wrapperIjLb0EEEEE10hipError_tT1_PNSt15iterator_traitsISK_E10value_typeET2_T3_PNSL_ISQ_E10value_typeET4_T5_PSV_SW_PNS1_23onesweep_lookback_stateEbbT6_jjT7_P12ihipStream_tbENKUlT_T0_SK_SP_E_clISE_SE_SF_SF_EEDaS13_S14_SK_SP_EUlS13_E_NS1_11comp_targetILNS1_3genE5ELNS1_11target_archE942ELNS1_3gpuE9ELNS1_3repE0EEENS1_47radix_sort_onesweep_sort_config_static_selectorELNS0_4arch9wavefront6targetE1EEEvSK_, .Lfunc_end1979-_ZN7rocprim17ROCPRIM_400000_NS6detail17trampoline_kernelINS0_14default_configENS1_35radix_sort_onesweep_config_selectorIsNS0_10empty_typeEEEZZNS1_29radix_sort_onesweep_iterationIS3_Lb0EN6thrust23THRUST_200600_302600_NS6detail15normal_iteratorINS9_10device_ptrIsEEEESE_PS5_SF_jNS0_19identity_decomposerENS1_16block_id_wrapperIjLb0EEEEE10hipError_tT1_PNSt15iterator_traitsISK_E10value_typeET2_T3_PNSL_ISQ_E10value_typeET4_T5_PSV_SW_PNS1_23onesweep_lookback_stateEbbT6_jjT7_P12ihipStream_tbENKUlT_T0_SK_SP_E_clISE_SE_SF_SF_EEDaS13_S14_SK_SP_EUlS13_E_NS1_11comp_targetILNS1_3genE5ELNS1_11target_archE942ELNS1_3gpuE9ELNS1_3repE0EEENS1_47radix_sort_onesweep_sort_config_static_selectorELNS0_4arch9wavefront6targetE1EEEvSK_
                                        ; -- End function
	.section	.AMDGPU.csdata,"",@progbits
; Kernel info:
; codeLenInByte = 0
; NumSgprs: 4
; NumVgprs: 0
; NumAgprs: 0
; TotalNumVgprs: 0
; ScratchSize: 0
; MemoryBound: 0
; FloatMode: 240
; IeeeMode: 1
; LDSByteSize: 0 bytes/workgroup (compile time only)
; SGPRBlocks: 0
; VGPRBlocks: 0
; NumSGPRsForWavesPerEU: 4
; NumVGPRsForWavesPerEU: 1
; AccumOffset: 4
; Occupancy: 8
; WaveLimiterHint : 0
; COMPUTE_PGM_RSRC2:SCRATCH_EN: 0
; COMPUTE_PGM_RSRC2:USER_SGPR: 6
; COMPUTE_PGM_RSRC2:TRAP_HANDLER: 0
; COMPUTE_PGM_RSRC2:TGID_X_EN: 1
; COMPUTE_PGM_RSRC2:TGID_Y_EN: 0
; COMPUTE_PGM_RSRC2:TGID_Z_EN: 0
; COMPUTE_PGM_RSRC2:TIDIG_COMP_CNT: 0
; COMPUTE_PGM_RSRC3_GFX90A:ACCUM_OFFSET: 0
; COMPUTE_PGM_RSRC3_GFX90A:TG_SPLIT: 0
	.section	.text._ZN7rocprim17ROCPRIM_400000_NS6detail17trampoline_kernelINS0_14default_configENS1_35radix_sort_onesweep_config_selectorIsNS0_10empty_typeEEEZZNS1_29radix_sort_onesweep_iterationIS3_Lb0EN6thrust23THRUST_200600_302600_NS6detail15normal_iteratorINS9_10device_ptrIsEEEESE_PS5_SF_jNS0_19identity_decomposerENS1_16block_id_wrapperIjLb0EEEEE10hipError_tT1_PNSt15iterator_traitsISK_E10value_typeET2_T3_PNSL_ISQ_E10value_typeET4_T5_PSV_SW_PNS1_23onesweep_lookback_stateEbbT6_jjT7_P12ihipStream_tbENKUlT_T0_SK_SP_E_clISE_SE_SF_SF_EEDaS13_S14_SK_SP_EUlS13_E_NS1_11comp_targetILNS1_3genE2ELNS1_11target_archE906ELNS1_3gpuE6ELNS1_3repE0EEENS1_47radix_sort_onesweep_sort_config_static_selectorELNS0_4arch9wavefront6targetE1EEEvSK_,"axG",@progbits,_ZN7rocprim17ROCPRIM_400000_NS6detail17trampoline_kernelINS0_14default_configENS1_35radix_sort_onesweep_config_selectorIsNS0_10empty_typeEEEZZNS1_29radix_sort_onesweep_iterationIS3_Lb0EN6thrust23THRUST_200600_302600_NS6detail15normal_iteratorINS9_10device_ptrIsEEEESE_PS5_SF_jNS0_19identity_decomposerENS1_16block_id_wrapperIjLb0EEEEE10hipError_tT1_PNSt15iterator_traitsISK_E10value_typeET2_T3_PNSL_ISQ_E10value_typeET4_T5_PSV_SW_PNS1_23onesweep_lookback_stateEbbT6_jjT7_P12ihipStream_tbENKUlT_T0_SK_SP_E_clISE_SE_SF_SF_EEDaS13_S14_SK_SP_EUlS13_E_NS1_11comp_targetILNS1_3genE2ELNS1_11target_archE906ELNS1_3gpuE6ELNS1_3repE0EEENS1_47radix_sort_onesweep_sort_config_static_selectorELNS0_4arch9wavefront6targetE1EEEvSK_,comdat
	.protected	_ZN7rocprim17ROCPRIM_400000_NS6detail17trampoline_kernelINS0_14default_configENS1_35radix_sort_onesweep_config_selectorIsNS0_10empty_typeEEEZZNS1_29radix_sort_onesweep_iterationIS3_Lb0EN6thrust23THRUST_200600_302600_NS6detail15normal_iteratorINS9_10device_ptrIsEEEESE_PS5_SF_jNS0_19identity_decomposerENS1_16block_id_wrapperIjLb0EEEEE10hipError_tT1_PNSt15iterator_traitsISK_E10value_typeET2_T3_PNSL_ISQ_E10value_typeET4_T5_PSV_SW_PNS1_23onesweep_lookback_stateEbbT6_jjT7_P12ihipStream_tbENKUlT_T0_SK_SP_E_clISE_SE_SF_SF_EEDaS13_S14_SK_SP_EUlS13_E_NS1_11comp_targetILNS1_3genE2ELNS1_11target_archE906ELNS1_3gpuE6ELNS1_3repE0EEENS1_47radix_sort_onesweep_sort_config_static_selectorELNS0_4arch9wavefront6targetE1EEEvSK_ ; -- Begin function _ZN7rocprim17ROCPRIM_400000_NS6detail17trampoline_kernelINS0_14default_configENS1_35radix_sort_onesweep_config_selectorIsNS0_10empty_typeEEEZZNS1_29radix_sort_onesweep_iterationIS3_Lb0EN6thrust23THRUST_200600_302600_NS6detail15normal_iteratorINS9_10device_ptrIsEEEESE_PS5_SF_jNS0_19identity_decomposerENS1_16block_id_wrapperIjLb0EEEEE10hipError_tT1_PNSt15iterator_traitsISK_E10value_typeET2_T3_PNSL_ISQ_E10value_typeET4_T5_PSV_SW_PNS1_23onesweep_lookback_stateEbbT6_jjT7_P12ihipStream_tbENKUlT_T0_SK_SP_E_clISE_SE_SF_SF_EEDaS13_S14_SK_SP_EUlS13_E_NS1_11comp_targetILNS1_3genE2ELNS1_11target_archE906ELNS1_3gpuE6ELNS1_3repE0EEENS1_47radix_sort_onesweep_sort_config_static_selectorELNS0_4arch9wavefront6targetE1EEEvSK_
	.globl	_ZN7rocprim17ROCPRIM_400000_NS6detail17trampoline_kernelINS0_14default_configENS1_35radix_sort_onesweep_config_selectorIsNS0_10empty_typeEEEZZNS1_29radix_sort_onesweep_iterationIS3_Lb0EN6thrust23THRUST_200600_302600_NS6detail15normal_iteratorINS9_10device_ptrIsEEEESE_PS5_SF_jNS0_19identity_decomposerENS1_16block_id_wrapperIjLb0EEEEE10hipError_tT1_PNSt15iterator_traitsISK_E10value_typeET2_T3_PNSL_ISQ_E10value_typeET4_T5_PSV_SW_PNS1_23onesweep_lookback_stateEbbT6_jjT7_P12ihipStream_tbENKUlT_T0_SK_SP_E_clISE_SE_SF_SF_EEDaS13_S14_SK_SP_EUlS13_E_NS1_11comp_targetILNS1_3genE2ELNS1_11target_archE906ELNS1_3gpuE6ELNS1_3repE0EEENS1_47radix_sort_onesweep_sort_config_static_selectorELNS0_4arch9wavefront6targetE1EEEvSK_
	.p2align	8
	.type	_ZN7rocprim17ROCPRIM_400000_NS6detail17trampoline_kernelINS0_14default_configENS1_35radix_sort_onesweep_config_selectorIsNS0_10empty_typeEEEZZNS1_29radix_sort_onesweep_iterationIS3_Lb0EN6thrust23THRUST_200600_302600_NS6detail15normal_iteratorINS9_10device_ptrIsEEEESE_PS5_SF_jNS0_19identity_decomposerENS1_16block_id_wrapperIjLb0EEEEE10hipError_tT1_PNSt15iterator_traitsISK_E10value_typeET2_T3_PNSL_ISQ_E10value_typeET4_T5_PSV_SW_PNS1_23onesweep_lookback_stateEbbT6_jjT7_P12ihipStream_tbENKUlT_T0_SK_SP_E_clISE_SE_SF_SF_EEDaS13_S14_SK_SP_EUlS13_E_NS1_11comp_targetILNS1_3genE2ELNS1_11target_archE906ELNS1_3gpuE6ELNS1_3repE0EEENS1_47radix_sort_onesweep_sort_config_static_selectorELNS0_4arch9wavefront6targetE1EEEvSK_,@function
_ZN7rocprim17ROCPRIM_400000_NS6detail17trampoline_kernelINS0_14default_configENS1_35radix_sort_onesweep_config_selectorIsNS0_10empty_typeEEEZZNS1_29radix_sort_onesweep_iterationIS3_Lb0EN6thrust23THRUST_200600_302600_NS6detail15normal_iteratorINS9_10device_ptrIsEEEESE_PS5_SF_jNS0_19identity_decomposerENS1_16block_id_wrapperIjLb0EEEEE10hipError_tT1_PNSt15iterator_traitsISK_E10value_typeET2_T3_PNSL_ISQ_E10value_typeET4_T5_PSV_SW_PNS1_23onesweep_lookback_stateEbbT6_jjT7_P12ihipStream_tbENKUlT_T0_SK_SP_E_clISE_SE_SF_SF_EEDaS13_S14_SK_SP_EUlS13_E_NS1_11comp_targetILNS1_3genE2ELNS1_11target_archE906ELNS1_3gpuE6ELNS1_3repE0EEENS1_47radix_sort_onesweep_sort_config_static_selectorELNS0_4arch9wavefront6targetE1EEEvSK_: ; @_ZN7rocprim17ROCPRIM_400000_NS6detail17trampoline_kernelINS0_14default_configENS1_35radix_sort_onesweep_config_selectorIsNS0_10empty_typeEEEZZNS1_29radix_sort_onesweep_iterationIS3_Lb0EN6thrust23THRUST_200600_302600_NS6detail15normal_iteratorINS9_10device_ptrIsEEEESE_PS5_SF_jNS0_19identity_decomposerENS1_16block_id_wrapperIjLb0EEEEE10hipError_tT1_PNSt15iterator_traitsISK_E10value_typeET2_T3_PNSL_ISQ_E10value_typeET4_T5_PSV_SW_PNS1_23onesweep_lookback_stateEbbT6_jjT7_P12ihipStream_tbENKUlT_T0_SK_SP_E_clISE_SE_SF_SF_EEDaS13_S14_SK_SP_EUlS13_E_NS1_11comp_targetILNS1_3genE2ELNS1_11target_archE906ELNS1_3gpuE6ELNS1_3repE0EEENS1_47radix_sort_onesweep_sort_config_static_selectorELNS0_4arch9wavefront6targetE1EEEvSK_
; %bb.0:
	.section	.rodata,"a",@progbits
	.p2align	6, 0x0
	.amdhsa_kernel _ZN7rocprim17ROCPRIM_400000_NS6detail17trampoline_kernelINS0_14default_configENS1_35radix_sort_onesweep_config_selectorIsNS0_10empty_typeEEEZZNS1_29radix_sort_onesweep_iterationIS3_Lb0EN6thrust23THRUST_200600_302600_NS6detail15normal_iteratorINS9_10device_ptrIsEEEESE_PS5_SF_jNS0_19identity_decomposerENS1_16block_id_wrapperIjLb0EEEEE10hipError_tT1_PNSt15iterator_traitsISK_E10value_typeET2_T3_PNSL_ISQ_E10value_typeET4_T5_PSV_SW_PNS1_23onesweep_lookback_stateEbbT6_jjT7_P12ihipStream_tbENKUlT_T0_SK_SP_E_clISE_SE_SF_SF_EEDaS13_S14_SK_SP_EUlS13_E_NS1_11comp_targetILNS1_3genE2ELNS1_11target_archE906ELNS1_3gpuE6ELNS1_3repE0EEENS1_47radix_sort_onesweep_sort_config_static_selectorELNS0_4arch9wavefront6targetE1EEEvSK_
		.amdhsa_group_segment_fixed_size 0
		.amdhsa_private_segment_fixed_size 0
		.amdhsa_kernarg_size 88
		.amdhsa_user_sgpr_count 6
		.amdhsa_user_sgpr_private_segment_buffer 1
		.amdhsa_user_sgpr_dispatch_ptr 0
		.amdhsa_user_sgpr_queue_ptr 0
		.amdhsa_user_sgpr_kernarg_segment_ptr 1
		.amdhsa_user_sgpr_dispatch_id 0
		.amdhsa_user_sgpr_flat_scratch_init 0
		.amdhsa_user_sgpr_kernarg_preload_length 0
		.amdhsa_user_sgpr_kernarg_preload_offset 0
		.amdhsa_user_sgpr_private_segment_size 0
		.amdhsa_uses_dynamic_stack 0
		.amdhsa_system_sgpr_private_segment_wavefront_offset 0
		.amdhsa_system_sgpr_workgroup_id_x 1
		.amdhsa_system_sgpr_workgroup_id_y 0
		.amdhsa_system_sgpr_workgroup_id_z 0
		.amdhsa_system_sgpr_workgroup_info 0
		.amdhsa_system_vgpr_workitem_id 0
		.amdhsa_next_free_vgpr 1
		.amdhsa_next_free_sgpr 0
		.amdhsa_accum_offset 4
		.amdhsa_reserve_vcc 0
		.amdhsa_reserve_flat_scratch 0
		.amdhsa_float_round_mode_32 0
		.amdhsa_float_round_mode_16_64 0
		.amdhsa_float_denorm_mode_32 3
		.amdhsa_float_denorm_mode_16_64 3
		.amdhsa_dx10_clamp 1
		.amdhsa_ieee_mode 1
		.amdhsa_fp16_overflow 0
		.amdhsa_tg_split 0
		.amdhsa_exception_fp_ieee_invalid_op 0
		.amdhsa_exception_fp_denorm_src 0
		.amdhsa_exception_fp_ieee_div_zero 0
		.amdhsa_exception_fp_ieee_overflow 0
		.amdhsa_exception_fp_ieee_underflow 0
		.amdhsa_exception_fp_ieee_inexact 0
		.amdhsa_exception_int_div_zero 0
	.end_amdhsa_kernel
	.section	.text._ZN7rocprim17ROCPRIM_400000_NS6detail17trampoline_kernelINS0_14default_configENS1_35radix_sort_onesweep_config_selectorIsNS0_10empty_typeEEEZZNS1_29radix_sort_onesweep_iterationIS3_Lb0EN6thrust23THRUST_200600_302600_NS6detail15normal_iteratorINS9_10device_ptrIsEEEESE_PS5_SF_jNS0_19identity_decomposerENS1_16block_id_wrapperIjLb0EEEEE10hipError_tT1_PNSt15iterator_traitsISK_E10value_typeET2_T3_PNSL_ISQ_E10value_typeET4_T5_PSV_SW_PNS1_23onesweep_lookback_stateEbbT6_jjT7_P12ihipStream_tbENKUlT_T0_SK_SP_E_clISE_SE_SF_SF_EEDaS13_S14_SK_SP_EUlS13_E_NS1_11comp_targetILNS1_3genE2ELNS1_11target_archE906ELNS1_3gpuE6ELNS1_3repE0EEENS1_47radix_sort_onesweep_sort_config_static_selectorELNS0_4arch9wavefront6targetE1EEEvSK_,"axG",@progbits,_ZN7rocprim17ROCPRIM_400000_NS6detail17trampoline_kernelINS0_14default_configENS1_35radix_sort_onesweep_config_selectorIsNS0_10empty_typeEEEZZNS1_29radix_sort_onesweep_iterationIS3_Lb0EN6thrust23THRUST_200600_302600_NS6detail15normal_iteratorINS9_10device_ptrIsEEEESE_PS5_SF_jNS0_19identity_decomposerENS1_16block_id_wrapperIjLb0EEEEE10hipError_tT1_PNSt15iterator_traitsISK_E10value_typeET2_T3_PNSL_ISQ_E10value_typeET4_T5_PSV_SW_PNS1_23onesweep_lookback_stateEbbT6_jjT7_P12ihipStream_tbENKUlT_T0_SK_SP_E_clISE_SE_SF_SF_EEDaS13_S14_SK_SP_EUlS13_E_NS1_11comp_targetILNS1_3genE2ELNS1_11target_archE906ELNS1_3gpuE6ELNS1_3repE0EEENS1_47radix_sort_onesweep_sort_config_static_selectorELNS0_4arch9wavefront6targetE1EEEvSK_,comdat
.Lfunc_end1980:
	.size	_ZN7rocprim17ROCPRIM_400000_NS6detail17trampoline_kernelINS0_14default_configENS1_35radix_sort_onesweep_config_selectorIsNS0_10empty_typeEEEZZNS1_29radix_sort_onesweep_iterationIS3_Lb0EN6thrust23THRUST_200600_302600_NS6detail15normal_iteratorINS9_10device_ptrIsEEEESE_PS5_SF_jNS0_19identity_decomposerENS1_16block_id_wrapperIjLb0EEEEE10hipError_tT1_PNSt15iterator_traitsISK_E10value_typeET2_T3_PNSL_ISQ_E10value_typeET4_T5_PSV_SW_PNS1_23onesweep_lookback_stateEbbT6_jjT7_P12ihipStream_tbENKUlT_T0_SK_SP_E_clISE_SE_SF_SF_EEDaS13_S14_SK_SP_EUlS13_E_NS1_11comp_targetILNS1_3genE2ELNS1_11target_archE906ELNS1_3gpuE6ELNS1_3repE0EEENS1_47radix_sort_onesweep_sort_config_static_selectorELNS0_4arch9wavefront6targetE1EEEvSK_, .Lfunc_end1980-_ZN7rocprim17ROCPRIM_400000_NS6detail17trampoline_kernelINS0_14default_configENS1_35radix_sort_onesweep_config_selectorIsNS0_10empty_typeEEEZZNS1_29radix_sort_onesweep_iterationIS3_Lb0EN6thrust23THRUST_200600_302600_NS6detail15normal_iteratorINS9_10device_ptrIsEEEESE_PS5_SF_jNS0_19identity_decomposerENS1_16block_id_wrapperIjLb0EEEEE10hipError_tT1_PNSt15iterator_traitsISK_E10value_typeET2_T3_PNSL_ISQ_E10value_typeET4_T5_PSV_SW_PNS1_23onesweep_lookback_stateEbbT6_jjT7_P12ihipStream_tbENKUlT_T0_SK_SP_E_clISE_SE_SF_SF_EEDaS13_S14_SK_SP_EUlS13_E_NS1_11comp_targetILNS1_3genE2ELNS1_11target_archE906ELNS1_3gpuE6ELNS1_3repE0EEENS1_47radix_sort_onesweep_sort_config_static_selectorELNS0_4arch9wavefront6targetE1EEEvSK_
                                        ; -- End function
	.section	.AMDGPU.csdata,"",@progbits
; Kernel info:
; codeLenInByte = 0
; NumSgprs: 4
; NumVgprs: 0
; NumAgprs: 0
; TotalNumVgprs: 0
; ScratchSize: 0
; MemoryBound: 0
; FloatMode: 240
; IeeeMode: 1
; LDSByteSize: 0 bytes/workgroup (compile time only)
; SGPRBlocks: 0
; VGPRBlocks: 0
; NumSGPRsForWavesPerEU: 4
; NumVGPRsForWavesPerEU: 1
; AccumOffset: 4
; Occupancy: 8
; WaveLimiterHint : 0
; COMPUTE_PGM_RSRC2:SCRATCH_EN: 0
; COMPUTE_PGM_RSRC2:USER_SGPR: 6
; COMPUTE_PGM_RSRC2:TRAP_HANDLER: 0
; COMPUTE_PGM_RSRC2:TGID_X_EN: 1
; COMPUTE_PGM_RSRC2:TGID_Y_EN: 0
; COMPUTE_PGM_RSRC2:TGID_Z_EN: 0
; COMPUTE_PGM_RSRC2:TIDIG_COMP_CNT: 0
; COMPUTE_PGM_RSRC3_GFX90A:ACCUM_OFFSET: 0
; COMPUTE_PGM_RSRC3_GFX90A:TG_SPLIT: 0
	.section	.text._ZN7rocprim17ROCPRIM_400000_NS6detail17trampoline_kernelINS0_14default_configENS1_35radix_sort_onesweep_config_selectorIsNS0_10empty_typeEEEZZNS1_29radix_sort_onesweep_iterationIS3_Lb0EN6thrust23THRUST_200600_302600_NS6detail15normal_iteratorINS9_10device_ptrIsEEEESE_PS5_SF_jNS0_19identity_decomposerENS1_16block_id_wrapperIjLb0EEEEE10hipError_tT1_PNSt15iterator_traitsISK_E10value_typeET2_T3_PNSL_ISQ_E10value_typeET4_T5_PSV_SW_PNS1_23onesweep_lookback_stateEbbT6_jjT7_P12ihipStream_tbENKUlT_T0_SK_SP_E_clISE_SE_SF_SF_EEDaS13_S14_SK_SP_EUlS13_E_NS1_11comp_targetILNS1_3genE4ELNS1_11target_archE910ELNS1_3gpuE8ELNS1_3repE0EEENS1_47radix_sort_onesweep_sort_config_static_selectorELNS0_4arch9wavefront6targetE1EEEvSK_,"axG",@progbits,_ZN7rocprim17ROCPRIM_400000_NS6detail17trampoline_kernelINS0_14default_configENS1_35radix_sort_onesweep_config_selectorIsNS0_10empty_typeEEEZZNS1_29radix_sort_onesweep_iterationIS3_Lb0EN6thrust23THRUST_200600_302600_NS6detail15normal_iteratorINS9_10device_ptrIsEEEESE_PS5_SF_jNS0_19identity_decomposerENS1_16block_id_wrapperIjLb0EEEEE10hipError_tT1_PNSt15iterator_traitsISK_E10value_typeET2_T3_PNSL_ISQ_E10value_typeET4_T5_PSV_SW_PNS1_23onesweep_lookback_stateEbbT6_jjT7_P12ihipStream_tbENKUlT_T0_SK_SP_E_clISE_SE_SF_SF_EEDaS13_S14_SK_SP_EUlS13_E_NS1_11comp_targetILNS1_3genE4ELNS1_11target_archE910ELNS1_3gpuE8ELNS1_3repE0EEENS1_47radix_sort_onesweep_sort_config_static_selectorELNS0_4arch9wavefront6targetE1EEEvSK_,comdat
	.protected	_ZN7rocprim17ROCPRIM_400000_NS6detail17trampoline_kernelINS0_14default_configENS1_35radix_sort_onesweep_config_selectorIsNS0_10empty_typeEEEZZNS1_29radix_sort_onesweep_iterationIS3_Lb0EN6thrust23THRUST_200600_302600_NS6detail15normal_iteratorINS9_10device_ptrIsEEEESE_PS5_SF_jNS0_19identity_decomposerENS1_16block_id_wrapperIjLb0EEEEE10hipError_tT1_PNSt15iterator_traitsISK_E10value_typeET2_T3_PNSL_ISQ_E10value_typeET4_T5_PSV_SW_PNS1_23onesweep_lookback_stateEbbT6_jjT7_P12ihipStream_tbENKUlT_T0_SK_SP_E_clISE_SE_SF_SF_EEDaS13_S14_SK_SP_EUlS13_E_NS1_11comp_targetILNS1_3genE4ELNS1_11target_archE910ELNS1_3gpuE8ELNS1_3repE0EEENS1_47radix_sort_onesweep_sort_config_static_selectorELNS0_4arch9wavefront6targetE1EEEvSK_ ; -- Begin function _ZN7rocprim17ROCPRIM_400000_NS6detail17trampoline_kernelINS0_14default_configENS1_35radix_sort_onesweep_config_selectorIsNS0_10empty_typeEEEZZNS1_29radix_sort_onesweep_iterationIS3_Lb0EN6thrust23THRUST_200600_302600_NS6detail15normal_iteratorINS9_10device_ptrIsEEEESE_PS5_SF_jNS0_19identity_decomposerENS1_16block_id_wrapperIjLb0EEEEE10hipError_tT1_PNSt15iterator_traitsISK_E10value_typeET2_T3_PNSL_ISQ_E10value_typeET4_T5_PSV_SW_PNS1_23onesweep_lookback_stateEbbT6_jjT7_P12ihipStream_tbENKUlT_T0_SK_SP_E_clISE_SE_SF_SF_EEDaS13_S14_SK_SP_EUlS13_E_NS1_11comp_targetILNS1_3genE4ELNS1_11target_archE910ELNS1_3gpuE8ELNS1_3repE0EEENS1_47radix_sort_onesweep_sort_config_static_selectorELNS0_4arch9wavefront6targetE1EEEvSK_
	.globl	_ZN7rocprim17ROCPRIM_400000_NS6detail17trampoline_kernelINS0_14default_configENS1_35radix_sort_onesweep_config_selectorIsNS0_10empty_typeEEEZZNS1_29radix_sort_onesweep_iterationIS3_Lb0EN6thrust23THRUST_200600_302600_NS6detail15normal_iteratorINS9_10device_ptrIsEEEESE_PS5_SF_jNS0_19identity_decomposerENS1_16block_id_wrapperIjLb0EEEEE10hipError_tT1_PNSt15iterator_traitsISK_E10value_typeET2_T3_PNSL_ISQ_E10value_typeET4_T5_PSV_SW_PNS1_23onesweep_lookback_stateEbbT6_jjT7_P12ihipStream_tbENKUlT_T0_SK_SP_E_clISE_SE_SF_SF_EEDaS13_S14_SK_SP_EUlS13_E_NS1_11comp_targetILNS1_3genE4ELNS1_11target_archE910ELNS1_3gpuE8ELNS1_3repE0EEENS1_47radix_sort_onesweep_sort_config_static_selectorELNS0_4arch9wavefront6targetE1EEEvSK_
	.p2align	8
	.type	_ZN7rocprim17ROCPRIM_400000_NS6detail17trampoline_kernelINS0_14default_configENS1_35radix_sort_onesweep_config_selectorIsNS0_10empty_typeEEEZZNS1_29radix_sort_onesweep_iterationIS3_Lb0EN6thrust23THRUST_200600_302600_NS6detail15normal_iteratorINS9_10device_ptrIsEEEESE_PS5_SF_jNS0_19identity_decomposerENS1_16block_id_wrapperIjLb0EEEEE10hipError_tT1_PNSt15iterator_traitsISK_E10value_typeET2_T3_PNSL_ISQ_E10value_typeET4_T5_PSV_SW_PNS1_23onesweep_lookback_stateEbbT6_jjT7_P12ihipStream_tbENKUlT_T0_SK_SP_E_clISE_SE_SF_SF_EEDaS13_S14_SK_SP_EUlS13_E_NS1_11comp_targetILNS1_3genE4ELNS1_11target_archE910ELNS1_3gpuE8ELNS1_3repE0EEENS1_47radix_sort_onesweep_sort_config_static_selectorELNS0_4arch9wavefront6targetE1EEEvSK_,@function
_ZN7rocprim17ROCPRIM_400000_NS6detail17trampoline_kernelINS0_14default_configENS1_35radix_sort_onesweep_config_selectorIsNS0_10empty_typeEEEZZNS1_29radix_sort_onesweep_iterationIS3_Lb0EN6thrust23THRUST_200600_302600_NS6detail15normal_iteratorINS9_10device_ptrIsEEEESE_PS5_SF_jNS0_19identity_decomposerENS1_16block_id_wrapperIjLb0EEEEE10hipError_tT1_PNSt15iterator_traitsISK_E10value_typeET2_T3_PNSL_ISQ_E10value_typeET4_T5_PSV_SW_PNS1_23onesweep_lookback_stateEbbT6_jjT7_P12ihipStream_tbENKUlT_T0_SK_SP_E_clISE_SE_SF_SF_EEDaS13_S14_SK_SP_EUlS13_E_NS1_11comp_targetILNS1_3genE4ELNS1_11target_archE910ELNS1_3gpuE8ELNS1_3repE0EEENS1_47radix_sort_onesweep_sort_config_static_selectorELNS0_4arch9wavefront6targetE1EEEvSK_: ; @_ZN7rocprim17ROCPRIM_400000_NS6detail17trampoline_kernelINS0_14default_configENS1_35radix_sort_onesweep_config_selectorIsNS0_10empty_typeEEEZZNS1_29radix_sort_onesweep_iterationIS3_Lb0EN6thrust23THRUST_200600_302600_NS6detail15normal_iteratorINS9_10device_ptrIsEEEESE_PS5_SF_jNS0_19identity_decomposerENS1_16block_id_wrapperIjLb0EEEEE10hipError_tT1_PNSt15iterator_traitsISK_E10value_typeET2_T3_PNSL_ISQ_E10value_typeET4_T5_PSV_SW_PNS1_23onesweep_lookback_stateEbbT6_jjT7_P12ihipStream_tbENKUlT_T0_SK_SP_E_clISE_SE_SF_SF_EEDaS13_S14_SK_SP_EUlS13_E_NS1_11comp_targetILNS1_3genE4ELNS1_11target_archE910ELNS1_3gpuE8ELNS1_3repE0EEENS1_47radix_sort_onesweep_sort_config_static_selectorELNS0_4arch9wavefront6targetE1EEEvSK_
; %bb.0:
	s_load_dwordx4 s[20:23], s[4:5], 0x44
	s_load_dwordx2 s[24:25], s[4:5], 0x38
	s_load_dwordx4 s[16:19], s[4:5], 0x0
	s_load_dwordx4 s[12:15], s[4:5], 0x28
	s_mul_i32 s26, s6, 0x3000
	s_waitcnt lgkmcnt(0)
	s_cmp_ge_u32 s6, s22
	v_mbcnt_lo_u32_b32 v1, -1, 0
	s_cbranch_scc0 .LBB1981_96
; %bb.1:
	s_load_dword s7, s[4:5], 0x20
	s_mul_i32 s2, s22, 0xffffd000
	s_mov_b32 s27, 0
	s_lshl_b64 s[0:1], s[26:27], 1
	v_mbcnt_hi_u32_b32 v11, -1, v1
	s_waitcnt lgkmcnt(0)
	s_add_i32 s7, s7, s2
	v_and_b32_e32 v10, 0x3ff, v0
	s_add_u32 s0, s16, s0
	v_and_b32_e32 v2, 63, v11
	s_addc_u32 s1, s17, s1
	v_and_b32_e32 v3, 0x3c0, v10
	v_lshlrev_b32_e32 v4, 1, v2
	v_mul_u32_u24_e32 v3, 12, v3
	v_mov_b32_e32 v5, s1
	v_add_co_u32_e32 v4, vcc, s0, v4
	v_addc_co_u32_e32 v5, vcc, 0, v5, vcc
	v_lshlrev_b32_e32 v6, 1, v3
	s_mov_b32 s36, 0x7fff7fff
	v_add_co_u32_e32 v12, vcc, v4, v6
	s_mov_b32 s37, s36
	v_addc_co_u32_e32 v13, vcc, 0, v5, vcc
	v_or_b32_e32 v14, v2, v3
	s_mov_b32 s38, s36
	s_mov_b32 s39, s36
	;; [unrolled: 1-line block ×4, first 2 shown]
	v_pk_mov_b32 v[2:3], s[36:37], s[36:37] op_sel:[0,1]
	v_cmp_gt_u32_e32 vcc, s7, v14
	v_pk_mov_b32 v[4:5], s[38:39], s[38:39] op_sel:[0,1]
	v_pk_mov_b32 v[6:7], s[40:41], s[40:41] op_sel:[0,1]
	;; [unrolled: 1-line block ×3, first 2 shown]
	s_and_saveexec_b64 s[0:1], vcc
	s_cbranch_execz .LBB1981_3
; %bb.2:
	global_load_ushort v2, v[12:13], off
	s_movk_i32 s2, 0x7fff
	v_mov_b32_e32 v7, 0x5040100
	v_mov_b32_e32 v3, 0x7fff7fff
	;; [unrolled: 1-line block ×5, first 2 shown]
	s_waitcnt vmcnt(0)
	v_perm_b32 v2, s2, v2, v7
	v_mov_b32_e32 v7, v3
.LBB1981_3:
	s_or_b64 exec, exec, s[0:1]
	v_or_b32_e32 v8, 64, v14
	v_cmp_gt_u32_e32 vcc, s7, v8
	s_and_saveexec_b64 s[0:1], vcc
	s_cbranch_execz .LBB1981_5
; %bb.4:
	global_load_ushort v8, v[12:13], off offset:128
	s_mov_b32 s2, 0x5040100
	s_waitcnt vmcnt(0)
	v_perm_b32 v2, v8, v2, s2
.LBB1981_5:
	s_or_b64 exec, exec, s[0:1]
	v_or_b32_e32 v8, 0x80, v14
	v_cmp_gt_u32_e32 vcc, s7, v8
	s_and_saveexec_b64 s[0:1], vcc
	s_cbranch_execz .LBB1981_7
; %bb.6:
	global_load_ushort v8, v[12:13], off offset:256
	s_mov_b32 s2, 0xffff
	s_waitcnt vmcnt(0)
	v_bfi_b32 v3, s2, v8, v3
.LBB1981_7:
	s_or_b64 exec, exec, s[0:1]
	v_or_b32_e32 v8, 0xc0, v14
	v_cmp_gt_u32_e32 vcc, s7, v8
	s_and_saveexec_b64 s[0:1], vcc
	s_cbranch_execz .LBB1981_9
; %bb.8:
	global_load_ushort v8, v[12:13], off offset:384
	s_mov_b32 s2, 0x5040100
	s_waitcnt vmcnt(0)
	v_perm_b32 v3, v8, v3, s2
.LBB1981_9:
	s_or_b64 exec, exec, s[0:1]
	v_add_u32_e32 v8, 0x100, v14
	v_cmp_gt_u32_e32 vcc, s7, v8
	s_and_saveexec_b64 s[0:1], vcc
	s_cbranch_execz .LBB1981_11
; %bb.10:
	global_load_ushort v8, v[12:13], off offset:512
	s_mov_b32 s2, 0xffff
	s_waitcnt vmcnt(0)
	v_bfi_b32 v4, s2, v8, v4
.LBB1981_11:
	s_or_b64 exec, exec, s[0:1]
	v_add_u32_e32 v8, 0x140, v14
	v_cmp_gt_u32_e32 vcc, s7, v8
	s_and_saveexec_b64 s[0:1], vcc
	s_cbranch_execz .LBB1981_13
; %bb.12:
	global_load_ushort v8, v[12:13], off offset:640
	s_mov_b32 s2, 0x5040100
	s_waitcnt vmcnt(0)
	v_perm_b32 v4, v8, v4, s2
.LBB1981_13:
	s_or_b64 exec, exec, s[0:1]
	v_add_u32_e32 v8, 0x180, v14
	v_cmp_gt_u32_e32 vcc, s7, v8
	s_and_saveexec_b64 s[0:1], vcc
	s_cbranch_execz .LBB1981_15
; %bb.14:
	global_load_ushort v8, v[12:13], off offset:768
	s_mov_b32 s2, 0xffff
	s_waitcnt vmcnt(0)
	v_bfi_b32 v5, s2, v8, v5
.LBB1981_15:
	s_or_b64 exec, exec, s[0:1]
	v_add_u32_e32 v8, 0x1c0, v14
	v_cmp_gt_u32_e32 vcc, s7, v8
	s_and_saveexec_b64 s[0:1], vcc
	s_cbranch_execz .LBB1981_17
; %bb.16:
	global_load_ushort v8, v[12:13], off offset:896
	s_mov_b32 s2, 0x5040100
	s_waitcnt vmcnt(0)
	v_perm_b32 v5, v8, v5, s2
.LBB1981_17:
	s_or_b64 exec, exec, s[0:1]
	v_add_u32_e32 v8, 0x200, v14
	v_cmp_gt_u32_e32 vcc, s7, v8
	s_and_saveexec_b64 s[0:1], vcc
	s_cbranch_execz .LBB1981_19
; %bb.18:
	global_load_ushort v8, v[12:13], off offset:1024
	s_mov_b32 s2, 0xffff
	s_waitcnt vmcnt(0)
	v_bfi_b32 v6, s2, v8, v6
.LBB1981_19:
	s_or_b64 exec, exec, s[0:1]
	v_add_u32_e32 v8, 0x240, v14
	v_cmp_gt_u32_e32 vcc, s7, v8
	s_and_saveexec_b64 s[0:1], vcc
	s_cbranch_execz .LBB1981_21
; %bb.20:
	global_load_ushort v8, v[12:13], off offset:1152
	s_mov_b32 s2, 0x5040100
	s_waitcnt vmcnt(0)
	v_perm_b32 v6, v8, v6, s2
.LBB1981_21:
	s_or_b64 exec, exec, s[0:1]
	v_add_u32_e32 v8, 0x280, v14
	v_cmp_gt_u32_e32 vcc, s7, v8
	s_and_saveexec_b64 s[0:1], vcc
	s_cbranch_execz .LBB1981_23
; %bb.22:
	global_load_ushort v8, v[12:13], off offset:1280
	s_mov_b32 s2, 0xffff
	s_waitcnt vmcnt(0)
	v_bfi_b32 v7, s2, v8, v7
.LBB1981_23:
	s_or_b64 exec, exec, s[0:1]
	v_add_u32_e32 v8, 0x2c0, v14
	v_cmp_gt_u32_e32 vcc, s7, v8
	s_and_saveexec_b64 s[0:1], vcc
	s_cbranch_execz .LBB1981_25
; %bb.24:
	global_load_ushort v8, v[12:13], off offset:1408
	s_mov_b32 s2, 0x5040100
	s_waitcnt vmcnt(0)
	v_perm_b32 v7, v8, v7, s2
.LBB1981_25:
	s_or_b64 exec, exec, s[0:1]
	s_load_dword s0, s[4:5], 0x64
	s_load_dword s27, s[4:5], 0x58
	s_add_u32 s1, s4, 0x58
	s_addc_u32 s2, s5, 0
	v_mov_b32_e32 v8, 0
	s_waitcnt lgkmcnt(0)
	s_lshr_b32 s3, s0, 16
	s_cmp_lt_u32 s6, s27
	s_cselect_b32 s0, 12, 18
	s_add_u32 s0, s1, s0
	s_addc_u32 s1, s2, 0
	global_load_ushort v12, v8, s[0:1]
	v_xor_b32_e32 v14, 0xffff8000, v2
	s_lshl_b32 s0, -1, s21
	v_lshrrev_b32_sdwa v16, s20, v14 dst_sel:DWORD dst_unused:UNUSED_PAD src0_sel:DWORD src1_sel:WORD_0
	s_not_b32 s28, s0
	v_and_b32_e32 v16, s28, v16
	v_and_b32_e32 v18, 1, v16
	v_bfe_u32 v9, v0, 10, 10
	v_bfe_u32 v13, v0, 20, 10
	v_add_co_u32_e32 v19, vcc, -1, v18
	v_mad_u32_u24 v13, v13, s3, v9
	v_lshlrev_b32_e32 v9, 30, v16
	v_addc_co_u32_e64 v20, s[0:1], 0, -1, vcc
	v_cmp_ne_u32_e32 vcc, 0, v18
	v_cmp_gt_i64_e64 s[0:1], 0, v[8:9]
	v_not_b32_e32 v18, v9
	v_lshlrev_b32_e32 v9, 29, v16
	v_xor_b32_e32 v20, vcc_hi, v20
	v_xor_b32_e32 v19, vcc_lo, v19
	v_ashrrev_i32_e32 v18, 31, v18
	v_cmp_gt_i64_e32 vcc, 0, v[8:9]
	v_not_b32_e32 v21, v9
	v_lshlrev_b32_e32 v9, 28, v16
	v_and_b32_e32 v20, exec_hi, v20
	v_and_b32_e32 v19, exec_lo, v19
	v_xor_b32_e32 v22, s1, v18
	v_xor_b32_e32 v18, s0, v18
	v_ashrrev_i32_e32 v21, 31, v21
	v_cmp_gt_i64_e64 s[0:1], 0, v[8:9]
	v_not_b32_e32 v23, v9
	v_lshlrev_b32_e32 v9, 27, v16
	v_and_b32_e32 v20, v20, v22
	v_and_b32_e32 v18, v19, v18
	v_xor_b32_e32 v19, vcc_hi, v21
	v_xor_b32_e32 v21, vcc_lo, v21
	v_ashrrev_i32_e32 v22, 31, v23
	v_cmp_gt_i64_e32 vcc, 0, v[8:9]
	v_not_b32_e32 v23, v9
	v_lshlrev_b32_e32 v9, 26, v16
	v_and_b32_e32 v19, v20, v19
	v_and_b32_e32 v18, v18, v21
	v_xor_b32_e32 v20, s1, v22
	v_xor_b32_e32 v21, s0, v22
	v_ashrrev_i32_e32 v22, 31, v23
	v_cmp_gt_i64_e64 s[0:1], 0, v[8:9]
	v_not_b32_e32 v23, v9
	v_lshlrev_b32_e32 v9, 25, v16
	v_and_b32_e32 v19, v19, v20
	v_and_b32_e32 v18, v18, v21
	v_xor_b32_e32 v20, vcc_hi, v22
	v_xor_b32_e32 v21, vcc_lo, v22
	v_ashrrev_i32_e32 v22, 31, v23
	v_cmp_gt_i64_e32 vcc, 0, v[8:9]
	v_not_b32_e32 v23, v9
	v_lshlrev_b32_e32 v9, 24, v16
	v_mul_u32_u24_e32 v17, 17, v16
	v_and_b32_e32 v16, v19, v20
	v_and_b32_e32 v18, v18, v21
	v_xor_b32_e32 v19, s1, v22
	v_xor_b32_e32 v20, s0, v22
	v_ashrrev_i32_e32 v21, 31, v23
	v_cmp_gt_i64_e64 s[0:1], 0, v[8:9]
	v_not_b32_e32 v9, v9
	v_and_b32_e32 v16, v16, v19
	v_and_b32_e32 v18, v18, v20
	v_xor_b32_e32 v19, vcc_hi, v21
	v_xor_b32_e32 v20, vcc_lo, v21
	v_ashrrev_i32_e32 v9, 31, v9
	v_and_b32_e32 v16, v16, v19
	v_and_b32_e32 v18, v18, v20
	v_mul_u32_u24_e32 v15, 5, v10
	s_movk_i32 s2, 0x8000
	v_lshlrev_b32_e32 v15, 2, v15
	ds_write2_b32 v15, v8, v8 offset0:16 offset1:17
	ds_write2_b32 v15, v8, v8 offset0:18 offset1:19
	ds_write_b32 v15, v8 offset:80
	s_waitcnt lgkmcnt(0)
	s_barrier
	s_waitcnt vmcnt(0)
	v_mad_u64_u32 v[12:13], s[8:9], v13, v12, v[10:11]
	v_lshrrev_b32_e32 v26, 6, v12
	v_xor_b32_e32 v12, s1, v9
	v_xor_b32_e32 v9, s0, v9
	v_and_b32_e32 v13, v16, v12
	v_and_b32_e32 v12, v18, v9
	v_mbcnt_lo_u32_b32 v9, v12, 0
	v_mbcnt_hi_u32_b32 v16, v13, v9
	v_cmp_eq_u32_e32 vcc, 0, v16
	v_cmp_ne_u64_e64 s[0:1], 0, v[12:13]
	v_add_lshl_u32 v19, v26, v17, 2
	s_and_b64 s[8:9], s[0:1], vcc
	; wave barrier
	s_and_saveexec_b64 s[0:1], s[8:9]
	s_cbranch_execz .LBB1981_27
; %bb.26:
	v_bcnt_u32_b32 v9, v12, 0
	v_bcnt_u32_b32 v9, v13, v9
	ds_write_b32 v19, v9 offset:64
.LBB1981_27:
	s_or_b64 exec, exec, s[0:1]
	v_xor_b32_sdwa v17, v2, s2 dst_sel:DWORD dst_unused:UNUSED_PAD src0_sel:WORD_1 src1_sel:DWORD
	v_lshrrev_b32_sdwa v2, s20, v17 dst_sel:DWORD dst_unused:UNUSED_PAD src0_sel:DWORD src1_sel:WORD_0
	v_and_b32_e32 v2, s28, v2
	v_mul_u32_u24_e32 v9, 17, v2
	v_add_lshl_u32 v20, v26, v9, 2
	v_and_b32_e32 v9, 1, v2
	v_add_co_u32_e32 v12, vcc, -1, v9
	v_addc_co_u32_e64 v13, s[0:1], 0, -1, vcc
	v_cmp_ne_u32_e32 vcc, 0, v9
	v_xor_b32_e32 v9, vcc_hi, v13
	v_and_b32_e32 v13, exec_hi, v9
	v_lshlrev_b32_e32 v9, 30, v2
	v_xor_b32_e32 v12, vcc_lo, v12
	v_cmp_gt_i64_e32 vcc, 0, v[8:9]
	v_not_b32_e32 v9, v9
	v_ashrrev_i32_e32 v9, 31, v9
	v_and_b32_e32 v12, exec_lo, v12
	v_xor_b32_e32 v21, vcc_hi, v9
	v_xor_b32_e32 v9, vcc_lo, v9
	v_and_b32_e32 v12, v12, v9
	v_lshlrev_b32_e32 v9, 29, v2
	v_cmp_gt_i64_e32 vcc, 0, v[8:9]
	v_not_b32_e32 v9, v9
	v_ashrrev_i32_e32 v9, 31, v9
	v_and_b32_e32 v13, v13, v21
	v_xor_b32_e32 v21, vcc_hi, v9
	v_xor_b32_e32 v9, vcc_lo, v9
	v_and_b32_e32 v12, v12, v9
	v_lshlrev_b32_e32 v9, 28, v2
	v_cmp_gt_i64_e32 vcc, 0, v[8:9]
	v_not_b32_e32 v9, v9
	v_ashrrev_i32_e32 v9, 31, v9
	v_and_b32_e32 v13, v13, v21
	;; [unrolled: 8-line block ×5, first 2 shown]
	v_xor_b32_e32 v21, vcc_hi, v9
	v_xor_b32_e32 v9, vcc_lo, v9
	v_and_b32_e32 v12, v12, v9
	v_lshlrev_b32_e32 v9, 24, v2
	v_not_b32_e32 v2, v9
	v_cmp_gt_i64_e32 vcc, 0, v[8:9]
	v_ashrrev_i32_e32 v2, 31, v2
	v_and_b32_e32 v13, v13, v21
	v_xor_b32_e32 v8, vcc_hi, v2
	v_xor_b32_e32 v2, vcc_lo, v2
	; wave barrier
	ds_read_b32 v18, v20 offset:64
	v_and_b32_e32 v9, v13, v8
	v_and_b32_e32 v8, v12, v2
	v_mbcnt_lo_u32_b32 v2, v8, 0
	v_mbcnt_hi_u32_b32 v21, v9, v2
	v_cmp_eq_u32_e32 vcc, 0, v21
	v_cmp_ne_u64_e64 s[0:1], 0, v[8:9]
	s_and_b64 s[2:3], s[0:1], vcc
	; wave barrier
	s_and_saveexec_b64 s[0:1], s[2:3]
	s_cbranch_execz .LBB1981_29
; %bb.28:
	v_bcnt_u32_b32 v2, v8, 0
	v_bcnt_u32_b32 v2, v9, v2
	s_waitcnt lgkmcnt(0)
	v_add_u32_e32 v2, v18, v2
	ds_write_b32 v20, v2 offset:64
.LBB1981_29:
	s_or_b64 exec, exec, s[0:1]
	v_xor_b32_e32 v22, 0xffff8000, v3
	v_lshrrev_b32_sdwa v2, s20, v22 dst_sel:DWORD dst_unused:UNUSED_PAD src0_sel:DWORD src1_sel:WORD_0
	v_and_b32_e32 v2, s28, v2
	v_and_b32_e32 v9, 1, v2
	v_add_co_u32_e32 v12, vcc, -1, v9
	v_addc_co_u32_e64 v13, s[0:1], 0, -1, vcc
	v_cmp_ne_u32_e32 vcc, 0, v9
	v_mul_u32_u24_e32 v8, 17, v2
	v_xor_b32_e32 v9, vcc_hi, v13
	v_add_lshl_u32 v24, v26, v8, 2
	v_mov_b32_e32 v8, 0
	v_and_b32_e32 v13, exec_hi, v9
	v_lshlrev_b32_e32 v9, 30, v2
	v_xor_b32_e32 v12, vcc_lo, v12
	v_cmp_gt_i64_e32 vcc, 0, v[8:9]
	v_not_b32_e32 v9, v9
	v_ashrrev_i32_e32 v9, 31, v9
	v_and_b32_e32 v12, exec_lo, v12
	v_xor_b32_e32 v25, vcc_hi, v9
	v_xor_b32_e32 v9, vcc_lo, v9
	v_and_b32_e32 v12, v12, v9
	v_lshlrev_b32_e32 v9, 29, v2
	v_cmp_gt_i64_e32 vcc, 0, v[8:9]
	v_not_b32_e32 v9, v9
	v_ashrrev_i32_e32 v9, 31, v9
	v_and_b32_e32 v13, v13, v25
	v_xor_b32_e32 v25, vcc_hi, v9
	v_xor_b32_e32 v9, vcc_lo, v9
	v_and_b32_e32 v12, v12, v9
	v_lshlrev_b32_e32 v9, 28, v2
	v_cmp_gt_i64_e32 vcc, 0, v[8:9]
	v_not_b32_e32 v9, v9
	v_ashrrev_i32_e32 v9, 31, v9
	v_and_b32_e32 v13, v13, v25
	;; [unrolled: 8-line block ×5, first 2 shown]
	v_xor_b32_e32 v25, vcc_hi, v9
	v_xor_b32_e32 v9, vcc_lo, v9
	v_and_b32_e32 v12, v12, v9
	v_lshlrev_b32_e32 v9, 24, v2
	v_not_b32_e32 v2, v9
	v_cmp_gt_i64_e32 vcc, 0, v[8:9]
	v_ashrrev_i32_e32 v2, 31, v2
	v_xor_b32_e32 v9, vcc_hi, v2
	v_xor_b32_e32 v2, vcc_lo, v2
	; wave barrier
	ds_read_b32 v23, v24 offset:64
	v_and_b32_e32 v13, v13, v25
	v_and_b32_e32 v12, v12, v2
	;; [unrolled: 1-line block ×3, first 2 shown]
	v_mbcnt_lo_u32_b32 v2, v12, 0
	v_mbcnt_hi_u32_b32 v25, v13, v2
	v_cmp_eq_u32_e32 vcc, 0, v25
	v_cmp_ne_u64_e64 s[0:1], 0, v[12:13]
	s_movk_i32 s2, 0x8000
	s_and_b64 s[8:9], s[0:1], vcc
	; wave barrier
	s_and_saveexec_b64 s[0:1], s[8:9]
	s_cbranch_execz .LBB1981_31
; %bb.30:
	v_bcnt_u32_b32 v2, v12, 0
	v_bcnt_u32_b32 v2, v13, v2
	s_waitcnt lgkmcnt(0)
	v_add_u32_e32 v2, v23, v2
	ds_write_b32 v24, v2 offset:64
.LBB1981_31:
	s_or_b64 exec, exec, s[0:1]
	v_xor_b32_sdwa v12, v3, s2 dst_sel:DWORD dst_unused:UNUSED_PAD src0_sel:WORD_1 src1_sel:DWORD
	v_lshrrev_b32_sdwa v2, s20, v12 dst_sel:DWORD dst_unused:UNUSED_PAD src0_sel:DWORD src1_sel:WORD_0
	v_and_b32_e32 v2, s28, v2
	v_mul_u32_u24_e32 v3, 17, v2
	v_add_lshl_u32 v27, v26, v3, 2
	v_and_b32_e32 v3, 1, v2
	v_add_co_u32_e32 v9, vcc, -1, v3
	v_addc_co_u32_e64 v28, s[0:1], 0, -1, vcc
	v_cmp_ne_u32_e32 vcc, 0, v3
	v_xor_b32_e32 v9, vcc_lo, v9
	v_xor_b32_e32 v3, vcc_hi, v28
	v_and_b32_e32 v28, exec_lo, v9
	v_lshlrev_b32_e32 v9, 30, v2
	v_cmp_gt_i64_e32 vcc, 0, v[8:9]
	v_not_b32_e32 v9, v9
	v_ashrrev_i32_e32 v9, 31, v9
	v_xor_b32_e32 v29, vcc_hi, v9
	v_xor_b32_e32 v9, vcc_lo, v9
	v_and_b32_e32 v28, v28, v9
	v_lshlrev_b32_e32 v9, 29, v2
	v_cmp_gt_i64_e32 vcc, 0, v[8:9]
	v_not_b32_e32 v9, v9
	v_and_b32_e32 v3, exec_hi, v3
	v_ashrrev_i32_e32 v9, 31, v9
	v_and_b32_e32 v3, v3, v29
	v_xor_b32_e32 v29, vcc_hi, v9
	v_xor_b32_e32 v9, vcc_lo, v9
	v_and_b32_e32 v28, v28, v9
	v_lshlrev_b32_e32 v9, 28, v2
	v_cmp_gt_i64_e32 vcc, 0, v[8:9]
	v_not_b32_e32 v9, v9
	v_ashrrev_i32_e32 v9, 31, v9
	v_and_b32_e32 v3, v3, v29
	v_xor_b32_e32 v29, vcc_hi, v9
	v_xor_b32_e32 v9, vcc_lo, v9
	v_and_b32_e32 v28, v28, v9
	v_lshlrev_b32_e32 v9, 27, v2
	v_cmp_gt_i64_e32 vcc, 0, v[8:9]
	v_not_b32_e32 v9, v9
	v_ashrrev_i32_e32 v9, 31, v9
	v_and_b32_e32 v3, v3, v29
	v_xor_b32_e32 v29, vcc_hi, v9
	v_xor_b32_e32 v9, vcc_lo, v9
	v_and_b32_e32 v28, v28, v9
	v_lshlrev_b32_e32 v9, 26, v2
	v_cmp_gt_i64_e32 vcc, 0, v[8:9]
	v_not_b32_e32 v9, v9
	v_ashrrev_i32_e32 v9, 31, v9
	v_and_b32_e32 v3, v3, v29
	v_xor_b32_e32 v29, vcc_hi, v9
	v_xor_b32_e32 v9, vcc_lo, v9
	v_and_b32_e32 v28, v28, v9
	v_lshlrev_b32_e32 v9, 25, v2
	v_cmp_gt_i64_e32 vcc, 0, v[8:9]
	v_not_b32_e32 v9, v9
	v_ashrrev_i32_e32 v9, 31, v9
	v_and_b32_e32 v3, v3, v29
	v_xor_b32_e32 v29, vcc_hi, v9
	v_xor_b32_e32 v9, vcc_lo, v9
	v_and_b32_e32 v28, v28, v9
	v_lshlrev_b32_e32 v9, 24, v2
	v_not_b32_e32 v2, v9
	v_cmp_gt_i64_e32 vcc, 0, v[8:9]
	v_ashrrev_i32_e32 v2, 31, v2
	v_xor_b32_e32 v8, vcc_hi, v2
	v_xor_b32_e32 v2, vcc_lo, v2
	; wave barrier
	ds_read_b32 v13, v27 offset:64
	v_and_b32_e32 v3, v3, v29
	v_and_b32_e32 v2, v28, v2
	;; [unrolled: 1-line block ×3, first 2 shown]
	v_mbcnt_lo_u32_b32 v8, v2, 0
	v_mbcnt_hi_u32_b32 v28, v3, v8
	v_cmp_eq_u32_e32 vcc, 0, v28
	v_cmp_ne_u64_e64 s[0:1], 0, v[2:3]
	s_and_b64 s[2:3], s[0:1], vcc
	; wave barrier
	s_and_saveexec_b64 s[0:1], s[2:3]
	s_cbranch_execz .LBB1981_33
; %bb.32:
	v_bcnt_u32_b32 v2, v2, 0
	v_bcnt_u32_b32 v2, v3, v2
	s_waitcnt lgkmcnt(0)
	v_add_u32_e32 v2, v13, v2
	ds_write_b32 v27, v2 offset:64
.LBB1981_33:
	s_or_b64 exec, exec, s[0:1]
	v_xor_b32_e32 v29, 0xffff8000, v4
	v_lshrrev_b32_sdwa v2, s20, v29 dst_sel:DWORD dst_unused:UNUSED_PAD src0_sel:DWORD src1_sel:WORD_0
	v_and_b32_e32 v8, s28, v2
	v_and_b32_e32 v3, 1, v8
	v_add_co_u32_e32 v9, vcc, -1, v3
	v_addc_co_u32_e64 v32, s[0:1], 0, -1, vcc
	v_cmp_ne_u32_e32 vcc, 0, v3
	v_mul_u32_u24_e32 v2, 17, v8
	v_xor_b32_e32 v3, vcc_hi, v32
	v_add_lshl_u32 v31, v26, v2, 2
	v_mov_b32_e32 v2, 0
	v_and_b32_e32 v32, exec_hi, v3
	v_lshlrev_b32_e32 v3, 30, v8
	v_xor_b32_e32 v9, vcc_lo, v9
	v_cmp_gt_i64_e32 vcc, 0, v[2:3]
	v_not_b32_e32 v3, v3
	v_ashrrev_i32_e32 v3, 31, v3
	v_and_b32_e32 v9, exec_lo, v9
	v_xor_b32_e32 v33, vcc_hi, v3
	v_xor_b32_e32 v3, vcc_lo, v3
	v_and_b32_e32 v9, v9, v3
	v_lshlrev_b32_e32 v3, 29, v8
	v_cmp_gt_i64_e32 vcc, 0, v[2:3]
	v_not_b32_e32 v3, v3
	v_ashrrev_i32_e32 v3, 31, v3
	v_and_b32_e32 v32, v32, v33
	v_xor_b32_e32 v33, vcc_hi, v3
	v_xor_b32_e32 v3, vcc_lo, v3
	v_and_b32_e32 v9, v9, v3
	v_lshlrev_b32_e32 v3, 28, v8
	v_cmp_gt_i64_e32 vcc, 0, v[2:3]
	v_not_b32_e32 v3, v3
	v_ashrrev_i32_e32 v3, 31, v3
	v_and_b32_e32 v32, v32, v33
	;; [unrolled: 8-line block ×5, first 2 shown]
	v_xor_b32_e32 v33, vcc_hi, v3
	v_xor_b32_e32 v3, vcc_lo, v3
	v_and_b32_e32 v32, v32, v33
	v_and_b32_e32 v33, v9, v3
	v_lshlrev_b32_e32 v3, 24, v8
	v_cmp_gt_i64_e32 vcc, 0, v[2:3]
	v_not_b32_e32 v3, v3
	v_ashrrev_i32_e32 v3, 31, v3
	v_xor_b32_e32 v8, vcc_hi, v3
	v_xor_b32_e32 v3, vcc_lo, v3
	; wave barrier
	ds_read_b32 v30, v31 offset:64
	v_and_b32_e32 v9, v32, v8
	v_and_b32_e32 v8, v33, v3
	v_mbcnt_lo_u32_b32 v3, v8, 0
	v_mbcnt_hi_u32_b32 v33, v9, v3
	v_cmp_eq_u32_e32 vcc, 0, v33
	v_cmp_ne_u64_e64 s[0:1], 0, v[8:9]
	s_movk_i32 s2, 0x8000
	s_and_b64 s[8:9], s[0:1], vcc
	; wave barrier
	s_and_saveexec_b64 s[0:1], s[8:9]
	s_cbranch_execz .LBB1981_35
; %bb.34:
	v_bcnt_u32_b32 v3, v8, 0
	v_bcnt_u32_b32 v3, v9, v3
	s_waitcnt lgkmcnt(0)
	v_add_u32_e32 v3, v30, v3
	ds_write_b32 v31, v3 offset:64
.LBB1981_35:
	s_or_b64 exec, exec, s[0:1]
	v_xor_b32_sdwa v32, v4, s2 dst_sel:DWORD dst_unused:UNUSED_PAD src0_sel:WORD_1 src1_sel:DWORD
	v_lshrrev_b32_sdwa v3, s20, v32 dst_sel:DWORD dst_unused:UNUSED_PAD src0_sel:DWORD src1_sel:WORD_0
	v_and_b32_e32 v4, s28, v3
	v_mul_u32_u24_e32 v3, 17, v4
	v_add_lshl_u32 v35, v26, v3, 2
	v_and_b32_e32 v3, 1, v4
	v_add_co_u32_e32 v8, vcc, -1, v3
	v_addc_co_u32_e64 v9, s[0:1], 0, -1, vcc
	v_cmp_ne_u32_e32 vcc, 0, v3
	v_xor_b32_e32 v3, vcc_hi, v9
	v_and_b32_e32 v9, exec_hi, v3
	v_lshlrev_b32_e32 v3, 30, v4
	v_xor_b32_e32 v8, vcc_lo, v8
	v_cmp_gt_i64_e32 vcc, 0, v[2:3]
	v_not_b32_e32 v3, v3
	v_ashrrev_i32_e32 v3, 31, v3
	v_and_b32_e32 v8, exec_lo, v8
	v_xor_b32_e32 v36, vcc_hi, v3
	v_xor_b32_e32 v3, vcc_lo, v3
	v_and_b32_e32 v8, v8, v3
	v_lshlrev_b32_e32 v3, 29, v4
	v_cmp_gt_i64_e32 vcc, 0, v[2:3]
	v_not_b32_e32 v3, v3
	v_ashrrev_i32_e32 v3, 31, v3
	v_and_b32_e32 v9, v9, v36
	v_xor_b32_e32 v36, vcc_hi, v3
	v_xor_b32_e32 v3, vcc_lo, v3
	v_and_b32_e32 v8, v8, v3
	v_lshlrev_b32_e32 v3, 28, v4
	v_cmp_gt_i64_e32 vcc, 0, v[2:3]
	v_not_b32_e32 v3, v3
	v_ashrrev_i32_e32 v3, 31, v3
	v_and_b32_e32 v9, v9, v36
	;; [unrolled: 8-line block ×5, first 2 shown]
	v_xor_b32_e32 v36, vcc_hi, v3
	v_xor_b32_e32 v3, vcc_lo, v3
	v_and_b32_e32 v8, v8, v3
	v_lshlrev_b32_e32 v3, 24, v4
	v_cmp_gt_i64_e32 vcc, 0, v[2:3]
	v_not_b32_e32 v2, v3
	v_ashrrev_i32_e32 v2, 31, v2
	v_xor_b32_e32 v3, vcc_hi, v2
	v_xor_b32_e32 v2, vcc_lo, v2
	; wave barrier
	ds_read_b32 v34, v35 offset:64
	v_and_b32_e32 v9, v9, v36
	v_and_b32_e32 v2, v8, v2
	;; [unrolled: 1-line block ×3, first 2 shown]
	v_mbcnt_lo_u32_b32 v4, v2, 0
	v_mbcnt_hi_u32_b32 v37, v3, v4
	v_cmp_eq_u32_e32 vcc, 0, v37
	v_cmp_ne_u64_e64 s[0:1], 0, v[2:3]
	s_and_b64 s[2:3], s[0:1], vcc
	; wave barrier
	s_and_saveexec_b64 s[0:1], s[2:3]
	s_cbranch_execz .LBB1981_37
; %bb.36:
	v_bcnt_u32_b32 v2, v2, 0
	v_bcnt_u32_b32 v2, v3, v2
	s_waitcnt lgkmcnt(0)
	v_add_u32_e32 v2, v34, v2
	ds_write_b32 v35, v2 offset:64
.LBB1981_37:
	s_or_b64 exec, exec, s[0:1]
	v_xor_b32_e32 v36, 0xffff8000, v5
	v_lshrrev_b32_sdwa v2, s20, v36 dst_sel:DWORD dst_unused:UNUSED_PAD src0_sel:DWORD src1_sel:WORD_0
	v_and_b32_e32 v4, s28, v2
	v_and_b32_e32 v3, 1, v4
	v_add_co_u32_e32 v8, vcc, -1, v3
	v_addc_co_u32_e64 v9, s[0:1], 0, -1, vcc
	v_cmp_ne_u32_e32 vcc, 0, v3
	v_mul_u32_u24_e32 v2, 17, v4
	v_xor_b32_e32 v3, vcc_hi, v9
	v_add_lshl_u32 v39, v26, v2, 2
	v_mov_b32_e32 v2, 0
	v_and_b32_e32 v9, exec_hi, v3
	v_lshlrev_b32_e32 v3, 30, v4
	v_xor_b32_e32 v8, vcc_lo, v8
	v_cmp_gt_i64_e32 vcc, 0, v[2:3]
	v_not_b32_e32 v3, v3
	v_ashrrev_i32_e32 v3, 31, v3
	v_and_b32_e32 v8, exec_lo, v8
	v_xor_b32_e32 v40, vcc_hi, v3
	v_xor_b32_e32 v3, vcc_lo, v3
	v_and_b32_e32 v8, v8, v3
	v_lshlrev_b32_e32 v3, 29, v4
	v_cmp_gt_i64_e32 vcc, 0, v[2:3]
	v_not_b32_e32 v3, v3
	v_ashrrev_i32_e32 v3, 31, v3
	v_and_b32_e32 v9, v9, v40
	v_xor_b32_e32 v40, vcc_hi, v3
	v_xor_b32_e32 v3, vcc_lo, v3
	v_and_b32_e32 v8, v8, v3
	v_lshlrev_b32_e32 v3, 28, v4
	v_cmp_gt_i64_e32 vcc, 0, v[2:3]
	v_not_b32_e32 v3, v3
	v_ashrrev_i32_e32 v3, 31, v3
	v_and_b32_e32 v9, v9, v40
	;; [unrolled: 8-line block ×5, first 2 shown]
	v_xor_b32_e32 v40, vcc_hi, v3
	v_xor_b32_e32 v3, vcc_lo, v3
	v_and_b32_e32 v8, v8, v3
	v_lshlrev_b32_e32 v3, 24, v4
	v_cmp_gt_i64_e32 vcc, 0, v[2:3]
	v_not_b32_e32 v3, v3
	v_ashrrev_i32_e32 v3, 31, v3
	v_xor_b32_e32 v4, vcc_hi, v3
	v_xor_b32_e32 v3, vcc_lo, v3
	; wave barrier
	ds_read_b32 v38, v39 offset:64
	v_and_b32_e32 v9, v9, v40
	v_and_b32_e32 v8, v8, v3
	;; [unrolled: 1-line block ×3, first 2 shown]
	v_mbcnt_lo_u32_b32 v3, v8, 0
	v_mbcnt_hi_u32_b32 v40, v9, v3
	v_cmp_eq_u32_e32 vcc, 0, v40
	v_cmp_ne_u64_e64 s[0:1], 0, v[8:9]
	s_movk_i32 s2, 0x8000
	s_and_b64 s[8:9], s[0:1], vcc
	; wave barrier
	s_and_saveexec_b64 s[0:1], s[8:9]
	s_cbranch_execz .LBB1981_39
; %bb.38:
	v_bcnt_u32_b32 v3, v8, 0
	v_bcnt_u32_b32 v3, v9, v3
	s_waitcnt lgkmcnt(0)
	v_add_u32_e32 v3, v38, v3
	ds_write_b32 v39, v3 offset:64
.LBB1981_39:
	s_or_b64 exec, exec, s[0:1]
	v_xor_b32_sdwa v8, v5, s2 dst_sel:DWORD dst_unused:UNUSED_PAD src0_sel:WORD_1 src1_sel:DWORD
	v_lshrrev_b32_sdwa v3, s20, v8 dst_sel:DWORD dst_unused:UNUSED_PAD src0_sel:DWORD src1_sel:WORD_0
	v_and_b32_e32 v4, s28, v3
	v_mul_u32_u24_e32 v3, 17, v4
	v_add_lshl_u32 v41, v26, v3, 2
	v_and_b32_e32 v3, 1, v4
	v_add_co_u32_e32 v5, vcc, -1, v3
	v_addc_co_u32_e64 v42, s[0:1], 0, -1, vcc
	v_cmp_ne_u32_e32 vcc, 0, v3
	v_xor_b32_e32 v3, vcc_hi, v42
	v_and_b32_e32 v42, exec_hi, v3
	v_lshlrev_b32_e32 v3, 30, v4
	v_xor_b32_e32 v5, vcc_lo, v5
	v_cmp_gt_i64_e32 vcc, 0, v[2:3]
	v_not_b32_e32 v3, v3
	v_ashrrev_i32_e32 v3, 31, v3
	v_and_b32_e32 v5, exec_lo, v5
	v_xor_b32_e32 v43, vcc_hi, v3
	v_xor_b32_e32 v3, vcc_lo, v3
	v_and_b32_e32 v5, v5, v3
	v_lshlrev_b32_e32 v3, 29, v4
	v_cmp_gt_i64_e32 vcc, 0, v[2:3]
	v_not_b32_e32 v3, v3
	v_ashrrev_i32_e32 v3, 31, v3
	v_and_b32_e32 v42, v42, v43
	v_xor_b32_e32 v43, vcc_hi, v3
	v_xor_b32_e32 v3, vcc_lo, v3
	v_and_b32_e32 v5, v5, v3
	v_lshlrev_b32_e32 v3, 28, v4
	v_cmp_gt_i64_e32 vcc, 0, v[2:3]
	v_not_b32_e32 v3, v3
	v_ashrrev_i32_e32 v3, 31, v3
	v_and_b32_e32 v42, v42, v43
	;; [unrolled: 8-line block ×5, first 2 shown]
	v_xor_b32_e32 v43, vcc_hi, v3
	v_xor_b32_e32 v3, vcc_lo, v3
	v_and_b32_e32 v5, v5, v3
	v_lshlrev_b32_e32 v3, 24, v4
	v_cmp_gt_i64_e32 vcc, 0, v[2:3]
	v_not_b32_e32 v2, v3
	v_ashrrev_i32_e32 v2, 31, v2
	v_xor_b32_e32 v3, vcc_hi, v2
	v_xor_b32_e32 v2, vcc_lo, v2
	; wave barrier
	ds_read_b32 v9, v41 offset:64
	v_and_b32_e32 v42, v42, v43
	v_and_b32_e32 v2, v5, v2
	;; [unrolled: 1-line block ×3, first 2 shown]
	v_mbcnt_lo_u32_b32 v4, v2, 0
	v_mbcnt_hi_u32_b32 v43, v3, v4
	v_cmp_eq_u32_e32 vcc, 0, v43
	v_cmp_ne_u64_e64 s[0:1], 0, v[2:3]
	s_and_b64 s[2:3], s[0:1], vcc
	; wave barrier
	s_and_saveexec_b64 s[0:1], s[2:3]
	s_cbranch_execz .LBB1981_41
; %bb.40:
	v_bcnt_u32_b32 v2, v2, 0
	v_bcnt_u32_b32 v2, v3, v2
	s_waitcnt lgkmcnt(0)
	v_add_u32_e32 v2, v9, v2
	ds_write_b32 v41, v2 offset:64
.LBB1981_41:
	s_or_b64 exec, exec, s[0:1]
	v_xor_b32_e32 v42, 0xffff8000, v6
	v_lshrrev_b32_sdwa v2, s20, v42 dst_sel:DWORD dst_unused:UNUSED_PAD src0_sel:DWORD src1_sel:WORD_0
	v_and_b32_e32 v4, s28, v2
	v_and_b32_e32 v3, 1, v4
	v_add_co_u32_e32 v5, vcc, -1, v3
	v_addc_co_u32_e64 v46, s[0:1], 0, -1, vcc
	v_cmp_ne_u32_e32 vcc, 0, v3
	v_mul_u32_u24_e32 v2, 17, v4
	v_xor_b32_e32 v3, vcc_hi, v46
	v_add_lshl_u32 v45, v26, v2, 2
	v_mov_b32_e32 v2, 0
	v_and_b32_e32 v46, exec_hi, v3
	v_lshlrev_b32_e32 v3, 30, v4
	v_xor_b32_e32 v5, vcc_lo, v5
	v_cmp_gt_i64_e32 vcc, 0, v[2:3]
	v_not_b32_e32 v3, v3
	v_ashrrev_i32_e32 v3, 31, v3
	v_and_b32_e32 v5, exec_lo, v5
	v_xor_b32_e32 v47, vcc_hi, v3
	v_xor_b32_e32 v3, vcc_lo, v3
	v_and_b32_e32 v5, v5, v3
	v_lshlrev_b32_e32 v3, 29, v4
	v_cmp_gt_i64_e32 vcc, 0, v[2:3]
	v_not_b32_e32 v3, v3
	v_ashrrev_i32_e32 v3, 31, v3
	v_and_b32_e32 v46, v46, v47
	v_xor_b32_e32 v47, vcc_hi, v3
	v_xor_b32_e32 v3, vcc_lo, v3
	v_and_b32_e32 v5, v5, v3
	v_lshlrev_b32_e32 v3, 28, v4
	v_cmp_gt_i64_e32 vcc, 0, v[2:3]
	v_not_b32_e32 v3, v3
	v_ashrrev_i32_e32 v3, 31, v3
	v_and_b32_e32 v46, v46, v47
	v_xor_b32_e32 v47, vcc_hi, v3
	v_xor_b32_e32 v3, vcc_lo, v3
	v_and_b32_e32 v5, v5, v3
	v_lshlrev_b32_e32 v3, 27, v4
	v_cmp_gt_i64_e32 vcc, 0, v[2:3]
	v_not_b32_e32 v3, v3
	v_ashrrev_i32_e32 v3, 31, v3
	v_and_b32_e32 v46, v46, v47
	v_xor_b32_e32 v47, vcc_hi, v3
	v_xor_b32_e32 v3, vcc_lo, v3
	v_and_b32_e32 v5, v5, v3
	v_lshlrev_b32_e32 v3, 26, v4
	v_cmp_gt_i64_e32 vcc, 0, v[2:3]
	v_not_b32_e32 v3, v3
	v_ashrrev_i32_e32 v3, 31, v3
	v_and_b32_e32 v46, v46, v47
	v_xor_b32_e32 v47, vcc_hi, v3
	v_xor_b32_e32 v3, vcc_lo, v3
	v_and_b32_e32 v5, v5, v3
	v_lshlrev_b32_e32 v3, 25, v4
	v_cmp_gt_i64_e32 vcc, 0, v[2:3]
	v_not_b32_e32 v3, v3
	v_ashrrev_i32_e32 v3, 31, v3
	v_and_b32_e32 v46, v46, v47
	v_xor_b32_e32 v47, vcc_hi, v3
	v_xor_b32_e32 v3, vcc_lo, v3
	v_and_b32_e32 v46, v46, v47
	v_and_b32_e32 v47, v5, v3
	v_lshlrev_b32_e32 v3, 24, v4
	v_cmp_gt_i64_e32 vcc, 0, v[2:3]
	v_not_b32_e32 v3, v3
	v_ashrrev_i32_e32 v3, 31, v3
	v_xor_b32_e32 v4, vcc_hi, v3
	v_xor_b32_e32 v3, vcc_lo, v3
	; wave barrier
	ds_read_b32 v44, v45 offset:64
	v_and_b32_e32 v5, v46, v4
	v_and_b32_e32 v4, v47, v3
	v_mbcnt_lo_u32_b32 v3, v4, 0
	v_mbcnt_hi_u32_b32 v46, v5, v3
	v_cmp_eq_u32_e32 vcc, 0, v46
	v_cmp_ne_u64_e64 s[0:1], 0, v[4:5]
	s_movk_i32 s2, 0x8000
	s_and_b64 s[8:9], s[0:1], vcc
	; wave barrier
	s_and_saveexec_b64 s[0:1], s[8:9]
	s_cbranch_execz .LBB1981_43
; %bb.42:
	v_bcnt_u32_b32 v3, v4, 0
	v_bcnt_u32_b32 v3, v5, v3
	s_waitcnt lgkmcnt(0)
	v_add_u32_e32 v3, v44, v3
	ds_write_b32 v45, v3 offset:64
.LBB1981_43:
	s_or_b64 exec, exec, s[0:1]
	v_xor_b32_sdwa v6, v6, s2 dst_sel:DWORD dst_unused:UNUSED_PAD src0_sel:WORD_1 src1_sel:DWORD
	v_lshrrev_b32_sdwa v3, s20, v6 dst_sel:DWORD dst_unused:UNUSED_PAD src0_sel:DWORD src1_sel:WORD_0
	v_and_b32_e32 v4, s28, v3
	v_mul_u32_u24_e32 v3, 17, v4
	v_add_lshl_u32 v48, v26, v3, 2
	v_and_b32_e32 v3, 1, v4
	v_add_co_u32_e32 v5, vcc, -1, v3
	v_addc_co_u32_e64 v49, s[0:1], 0, -1, vcc
	v_cmp_ne_u32_e32 vcc, 0, v3
	v_xor_b32_e32 v3, vcc_hi, v49
	v_and_b32_e32 v49, exec_hi, v3
	v_lshlrev_b32_e32 v3, 30, v4
	v_xor_b32_e32 v5, vcc_lo, v5
	v_cmp_gt_i64_e32 vcc, 0, v[2:3]
	v_not_b32_e32 v3, v3
	v_ashrrev_i32_e32 v3, 31, v3
	v_and_b32_e32 v5, exec_lo, v5
	v_xor_b32_e32 v50, vcc_hi, v3
	v_xor_b32_e32 v3, vcc_lo, v3
	v_and_b32_e32 v5, v5, v3
	v_lshlrev_b32_e32 v3, 29, v4
	v_cmp_gt_i64_e32 vcc, 0, v[2:3]
	v_not_b32_e32 v3, v3
	v_ashrrev_i32_e32 v3, 31, v3
	v_and_b32_e32 v49, v49, v50
	v_xor_b32_e32 v50, vcc_hi, v3
	v_xor_b32_e32 v3, vcc_lo, v3
	v_and_b32_e32 v5, v5, v3
	v_lshlrev_b32_e32 v3, 28, v4
	v_cmp_gt_i64_e32 vcc, 0, v[2:3]
	v_not_b32_e32 v3, v3
	v_ashrrev_i32_e32 v3, 31, v3
	v_and_b32_e32 v49, v49, v50
	;; [unrolled: 8-line block ×5, first 2 shown]
	v_xor_b32_e32 v50, vcc_hi, v3
	v_xor_b32_e32 v3, vcc_lo, v3
	v_and_b32_e32 v5, v5, v3
	v_lshlrev_b32_e32 v3, 24, v4
	v_cmp_gt_i64_e32 vcc, 0, v[2:3]
	v_not_b32_e32 v2, v3
	v_ashrrev_i32_e32 v2, 31, v2
	v_xor_b32_e32 v3, vcc_hi, v2
	v_xor_b32_e32 v2, vcc_lo, v2
	; wave barrier
	ds_read_b32 v47, v48 offset:64
	v_and_b32_e32 v49, v49, v50
	v_and_b32_e32 v2, v5, v2
	;; [unrolled: 1-line block ×3, first 2 shown]
	v_mbcnt_lo_u32_b32 v4, v2, 0
	v_mbcnt_hi_u32_b32 v50, v3, v4
	v_cmp_eq_u32_e32 vcc, 0, v50
	v_cmp_ne_u64_e64 s[0:1], 0, v[2:3]
	s_and_b64 s[2:3], s[0:1], vcc
	; wave barrier
	s_and_saveexec_b64 s[0:1], s[2:3]
	s_cbranch_execz .LBB1981_45
; %bb.44:
	v_bcnt_u32_b32 v2, v2, 0
	v_bcnt_u32_b32 v2, v3, v2
	s_waitcnt lgkmcnt(0)
	v_add_u32_e32 v2, v47, v2
	ds_write_b32 v48, v2 offset:64
.LBB1981_45:
	s_or_b64 exec, exec, s[0:1]
	v_xor_b32_e32 v49, 0xffff8000, v7
	v_lshrrev_b32_sdwa v2, s20, v49 dst_sel:DWORD dst_unused:UNUSED_PAD src0_sel:DWORD src1_sel:WORD_0
	v_and_b32_e32 v4, s28, v2
	v_and_b32_e32 v3, 1, v4
	v_add_co_u32_e32 v5, vcc, -1, v3
	v_addc_co_u32_e64 v53, s[0:1], 0, -1, vcc
	v_cmp_ne_u32_e32 vcc, 0, v3
	v_mul_u32_u24_e32 v2, 17, v4
	v_xor_b32_e32 v3, vcc_hi, v53
	v_add_lshl_u32 v52, v26, v2, 2
	v_mov_b32_e32 v2, 0
	v_and_b32_e32 v53, exec_hi, v3
	v_lshlrev_b32_e32 v3, 30, v4
	v_xor_b32_e32 v5, vcc_lo, v5
	v_cmp_gt_i64_e32 vcc, 0, v[2:3]
	v_not_b32_e32 v3, v3
	v_ashrrev_i32_e32 v3, 31, v3
	v_and_b32_e32 v5, exec_lo, v5
	v_xor_b32_e32 v54, vcc_hi, v3
	v_xor_b32_e32 v3, vcc_lo, v3
	v_and_b32_e32 v5, v5, v3
	v_lshlrev_b32_e32 v3, 29, v4
	v_cmp_gt_i64_e32 vcc, 0, v[2:3]
	v_not_b32_e32 v3, v3
	v_ashrrev_i32_e32 v3, 31, v3
	v_and_b32_e32 v53, v53, v54
	v_xor_b32_e32 v54, vcc_hi, v3
	v_xor_b32_e32 v3, vcc_lo, v3
	v_and_b32_e32 v5, v5, v3
	v_lshlrev_b32_e32 v3, 28, v4
	v_cmp_gt_i64_e32 vcc, 0, v[2:3]
	v_not_b32_e32 v3, v3
	v_ashrrev_i32_e32 v3, 31, v3
	v_and_b32_e32 v53, v53, v54
	;; [unrolled: 8-line block ×5, first 2 shown]
	v_xor_b32_e32 v54, vcc_hi, v3
	v_xor_b32_e32 v3, vcc_lo, v3
	v_and_b32_e32 v53, v53, v54
	v_and_b32_e32 v54, v5, v3
	v_lshlrev_b32_e32 v3, 24, v4
	v_cmp_gt_i64_e32 vcc, 0, v[2:3]
	v_not_b32_e32 v3, v3
	v_ashrrev_i32_e32 v3, 31, v3
	v_xor_b32_e32 v4, vcc_hi, v3
	v_xor_b32_e32 v3, vcc_lo, v3
	; wave barrier
	ds_read_b32 v51, v52 offset:64
	v_and_b32_e32 v5, v53, v4
	v_and_b32_e32 v4, v54, v3
	v_mbcnt_lo_u32_b32 v3, v4, 0
	v_mbcnt_hi_u32_b32 v53, v5, v3
	v_cmp_eq_u32_e32 vcc, 0, v53
	v_cmp_ne_u64_e64 s[0:1], 0, v[4:5]
	s_movk_i32 s2, 0x8000
	s_and_b64 s[8:9], s[0:1], vcc
	; wave barrier
	s_and_saveexec_b64 s[0:1], s[8:9]
	s_cbranch_execz .LBB1981_47
; %bb.46:
	v_bcnt_u32_b32 v3, v4, 0
	v_bcnt_u32_b32 v3, v5, v3
	s_waitcnt lgkmcnt(0)
	v_add_u32_e32 v3, v51, v3
	ds_write_b32 v52, v3 offset:64
.LBB1981_47:
	s_or_b64 exec, exec, s[0:1]
	v_xor_b32_sdwa v7, v7, s2 dst_sel:DWORD dst_unused:UNUSED_PAD src0_sel:WORD_1 src1_sel:DWORD
	v_lshrrev_b32_sdwa v3, s20, v7 dst_sel:DWORD dst_unused:UNUSED_PAD src0_sel:DWORD src1_sel:WORD_0
	v_and_b32_e32 v4, s28, v3
	v_mul_u32_u24_e32 v3, 17, v4
	v_add_lshl_u32 v55, v26, v3, 2
	v_and_b32_e32 v3, 1, v4
	v_add_co_u32_e32 v5, vcc, -1, v3
	v_addc_co_u32_e64 v54, s[0:1], 0, -1, vcc
	v_cmp_ne_u32_e32 vcc, 0, v3
	v_xor_b32_e32 v3, vcc_hi, v54
	v_and_b32_e32 v54, exec_hi, v3
	v_lshlrev_b32_e32 v3, 30, v4
	v_xor_b32_e32 v5, vcc_lo, v5
	v_cmp_gt_i64_e32 vcc, 0, v[2:3]
	v_not_b32_e32 v3, v3
	v_ashrrev_i32_e32 v3, 31, v3
	v_and_b32_e32 v5, exec_lo, v5
	v_xor_b32_e32 v57, vcc_hi, v3
	v_xor_b32_e32 v3, vcc_lo, v3
	v_and_b32_e32 v5, v5, v3
	v_lshlrev_b32_e32 v3, 29, v4
	v_cmp_gt_i64_e32 vcc, 0, v[2:3]
	v_not_b32_e32 v3, v3
	v_ashrrev_i32_e32 v3, 31, v3
	v_and_b32_e32 v54, v54, v57
	v_xor_b32_e32 v57, vcc_hi, v3
	v_xor_b32_e32 v3, vcc_lo, v3
	v_and_b32_e32 v5, v5, v3
	v_lshlrev_b32_e32 v3, 28, v4
	v_cmp_gt_i64_e32 vcc, 0, v[2:3]
	v_not_b32_e32 v3, v3
	v_ashrrev_i32_e32 v3, 31, v3
	v_and_b32_e32 v54, v54, v57
	;; [unrolled: 8-line block ×5, first 2 shown]
	v_xor_b32_e32 v57, vcc_hi, v3
	v_xor_b32_e32 v3, vcc_lo, v3
	v_and_b32_e32 v5, v5, v3
	v_lshlrev_b32_e32 v3, 24, v4
	v_cmp_gt_i64_e32 vcc, 0, v[2:3]
	v_not_b32_e32 v2, v3
	v_ashrrev_i32_e32 v2, 31, v2
	v_xor_b32_e32 v3, vcc_hi, v2
	v_xor_b32_e32 v2, vcc_lo, v2
	; wave barrier
	ds_read_b32 v26, v55 offset:64
	v_and_b32_e32 v54, v54, v57
	v_and_b32_e32 v2, v5, v2
	;; [unrolled: 1-line block ×3, first 2 shown]
	v_mbcnt_lo_u32_b32 v4, v2, 0
	v_mbcnt_hi_u32_b32 v57, v3, v4
	v_cmp_eq_u32_e32 vcc, 0, v57
	v_cmp_ne_u64_e64 s[0:1], 0, v[2:3]
	v_add_u32_e32 v56, 64, v15
	s_and_b64 s[2:3], s[0:1], vcc
	; wave barrier
	s_and_saveexec_b64 s[0:1], s[2:3]
	s_cbranch_execz .LBB1981_49
; %bb.48:
	v_bcnt_u32_b32 v2, v2, 0
	v_bcnt_u32_b32 v2, v3, v2
	s_waitcnt lgkmcnt(0)
	v_add_u32_e32 v2, v26, v2
	ds_write_b32 v55, v2 offset:64
.LBB1981_49:
	s_or_b64 exec, exec, s[0:1]
	; wave barrier
	s_waitcnt lgkmcnt(0)
	s_barrier
	ds_read2_b32 v[4:5], v15 offset0:16 offset1:17
	ds_read2_b32 v[2:3], v56 offset0:2 offset1:3
	ds_read_b32 v54, v56 offset:16
	v_cmp_lt_u32_e64 s[10:11], 31, v11
	s_waitcnt lgkmcnt(1)
	v_add3_u32 v58, v5, v4, v2
	s_waitcnt lgkmcnt(0)
	v_add3_u32 v54, v58, v3, v54
	v_and_b32_e32 v58, 15, v11
	v_cmp_eq_u32_e32 vcc, 0, v58
	v_mov_b32_dpp v59, v54 row_shr:1 row_mask:0xf bank_mask:0xf
	v_cndmask_b32_e64 v59, v59, 0, vcc
	v_add_u32_e32 v54, v59, v54
	v_cmp_lt_u32_e64 s[0:1], 1, v58
	v_cmp_lt_u32_e64 s[2:3], 3, v58
	v_mov_b32_dpp v59, v54 row_shr:2 row_mask:0xf bank_mask:0xf
	v_cndmask_b32_e64 v59, 0, v59, s[0:1]
	v_add_u32_e32 v54, v54, v59
	v_cmp_lt_u32_e64 s[8:9], 7, v58
	s_nop 0
	v_mov_b32_dpp v59, v54 row_shr:4 row_mask:0xf bank_mask:0xf
	v_cndmask_b32_e64 v59, 0, v59, s[2:3]
	v_add_u32_e32 v54, v54, v59
	s_nop 1
	v_mov_b32_dpp v59, v54 row_shr:8 row_mask:0xf bank_mask:0xf
	v_cndmask_b32_e64 v58, 0, v59, s[8:9]
	v_add_u32_e32 v54, v54, v58
	v_bfe_i32 v59, v11, 4, 1
	s_nop 0
	v_mov_b32_dpp v58, v54 row_bcast:15 row_mask:0xf bank_mask:0xf
	v_and_b32_e32 v58, v59, v58
	v_add_u32_e32 v54, v54, v58
	v_lshrrev_b32_e32 v59, 6, v10
	s_nop 0
	v_mov_b32_dpp v58, v54 row_bcast:31 row_mask:0xf bank_mask:0xf
	v_cndmask_b32_e64 v58, 0, v58, s[10:11]
	v_add_u32_e32 v58, v54, v58
	v_and_b32_e32 v54, 63, v10
	v_cmp_eq_u32_e64 s[10:11], 63, v54
	s_and_saveexec_b64 s[22:23], s[10:11]
	s_cbranch_execz .LBB1981_51
; %bb.50:
	v_lshlrev_b32_e32 v54, 2, v59
	ds_write_b32 v54, v58
.LBB1981_51:
	s_or_b64 exec, exec, s[22:23]
	v_cmp_gt_u32_e64 s[10:11], 16, v10
	v_lshlrev_b32_e32 v54, 2, v10
	s_waitcnt lgkmcnt(0)
	s_barrier
	s_and_saveexec_b64 s[22:23], s[10:11]
	s_cbranch_execz .LBB1981_53
; %bb.52:
	ds_read_b32 v60, v54
	s_waitcnt lgkmcnt(0)
	s_nop 0
	v_mov_b32_dpp v61, v60 row_shr:1 row_mask:0xf bank_mask:0xf
	v_cndmask_b32_e64 v61, v61, 0, vcc
	v_add_u32_e32 v60, v61, v60
	s_nop 1
	v_mov_b32_dpp v61, v60 row_shr:2 row_mask:0xf bank_mask:0xf
	v_cndmask_b32_e64 v61, 0, v61, s[0:1]
	v_add_u32_e32 v60, v60, v61
	s_nop 1
	v_mov_b32_dpp v61, v60 row_shr:4 row_mask:0xf bank_mask:0xf
	v_cndmask_b32_e64 v61, 0, v61, s[2:3]
	;; [unrolled: 4-line block ×3, first 2 shown]
	v_add_u32_e32 v60, v60, v61
	ds_write_b32 v54, v60
.LBB1981_53:
	s_or_b64 exec, exec, s[22:23]
	v_cmp_lt_u32_e32 vcc, 63, v10
	v_mov_b32_e32 v60, 0
	s_waitcnt lgkmcnt(0)
	s_barrier
	s_and_saveexec_b64 s[0:1], vcc
	s_cbranch_execz .LBB1981_55
; %bb.54:
	v_lshl_add_u32 v59, v59, 2, -4
	ds_read_b32 v60, v59
.LBB1981_55:
	s_or_b64 exec, exec, s[0:1]
	v_add_u32_e32 v59, -1, v11
	v_and_b32_e32 v61, 64, v11
	v_cmp_lt_i32_e32 vcc, v59, v61
	v_cndmask_b32_e32 v59, v59, v11, vcc
	s_waitcnt lgkmcnt(0)
	v_add_u32_e32 v58, v60, v58
	v_lshlrev_b32_e32 v59, 2, v59
	ds_bpermute_b32 v58, v59, v58
	v_cmp_eq_u32_e32 vcc, 0, v11
	s_movk_i32 s0, 0x100
	s_waitcnt lgkmcnt(0)
	v_cndmask_b32_e32 v11, v58, v60, vcc
	v_cmp_ne_u32_e32 vcc, 0, v10
	v_cndmask_b32_e32 v11, 0, v11, vcc
	v_add_u32_e32 v4, v11, v4
	v_add_u32_e32 v5, v4, v5
	;; [unrolled: 1-line block ×4, first 2 shown]
	ds_write2_b32 v15, v11, v4 offset0:16 offset1:17
	ds_write2_b32 v56, v5, v2 offset0:2 offset1:3
	ds_write_b32 v56, v3 offset:16
	s_waitcnt lgkmcnt(0)
	s_barrier
	ds_read_b32 v60, v19 offset:64
	ds_read_b32 v59, v20 offset:64
	;; [unrolled: 1-line block ×12, first 2 shown]
	v_cmp_gt_u32_e32 vcc, s0, v10
                                        ; implicit-def: $vgpr11
                                        ; implicit-def: $vgpr15
	s_and_saveexec_b64 s[2:3], vcc
	s_cbranch_execz .LBB1981_59
; %bb.56:
	v_mul_u32_u24_e32 v11, 17, v10
	v_lshlrev_b32_e32 v31, 2, v11
	ds_read_b32 v11, v31 offset:64
	s_movk_i32 s0, 0xff
	v_cmp_ne_u32_e64 s[0:1], s0, v10
	v_mov_b32_e32 v15, 0x3000
	s_and_saveexec_b64 s[8:9], s[0:1]
	s_cbranch_execz .LBB1981_58
; %bb.57:
	ds_read_b32 v15, v31 offset:132
.LBB1981_58:
	s_or_b64 exec, exec, s[8:9]
	s_waitcnt lgkmcnt(0)
	v_sub_u32_e32 v15, v15, v11
.LBB1981_59:
	s_or_b64 exec, exec, s[2:3]
	v_add_u32_e32 v18, v21, v18
	s_waitcnt lgkmcnt(11)
	v_add_lshl_u32 v16, v60, v16, 1
	v_add_u32_e32 v13, v28, v13
	v_add_u32_e32 v23, v25, v23
	s_waitcnt lgkmcnt(0)
	s_barrier
	ds_write_b16 v16, v14 offset:1024
	v_add_lshl_u32 v14, v18, v59, 1
	v_add_u32_e32 v30, v33, v30
	ds_write_b16 v14, v17 offset:1024
	v_add_lshl_u32 v14, v23, v58, 1
	v_add_lshl_u32 v13, v13, v56, 1
	v_add_u32_e32 v34, v37, v34
	ds_write_b16 v14, v22 offset:1024
	ds_write_b16 v13, v12 offset:1024
	v_add_lshl_u32 v12, v30, v27, 1
	v_add_u32_e32 v26, v57, v26
	v_add_u32_e32 v31, v53, v51
	;; [unrolled: 1-line block ×6, first 2 shown]
	ds_write_b16 v12, v29 offset:1024
	v_add_lshl_u32 v12, v34, v24, 1
	ds_write_b16 v12, v32 offset:1024
	v_add_lshl_u32 v12, v38, v20, 1
	v_add_lshl_u32 v9, v9, v19, 1
	;; [unrolled: 1-line block ×6, first 2 shown]
	ds_write_b16 v12, v36 offset:1024
	ds_write_b16 v9, v8 offset:1024
	;; [unrolled: 1-line block ×6, first 2 shown]
	s_and_saveexec_b64 s[2:3], vcc
	s_cbranch_execz .LBB1981_69
; %bb.60:
	v_lshl_or_b32 v2, s6, 8, v10
	v_mov_b32_e32 v3, 0
	v_lshlrev_b64 v[4:5], 2, v[2:3]
	v_mov_b32_e32 v8, s25
	v_add_co_u32_e64 v4, s[0:1], s24, v4
	v_addc_co_u32_e64 v5, s[0:1], v8, v5, s[0:1]
	v_or_b32_e32 v2, 2.0, v15
	s_mov_b64 s[8:9], 0
	s_brev_b32 s29, 1
	s_mov_b32 s30, s6
	v_mov_b32_e32 v9, 0
	global_store_dword v[4:5], v2, off
                                        ; implicit-def: $sgpr0_sgpr1
	s_branch .LBB1981_62
.LBB1981_61:                            ;   in Loop: Header=BB1981_62 Depth=1
	s_or_b64 exec, exec, s[10:11]
	v_and_b32_e32 v6, 0x3fffffff, v12
	v_add_u32_e32 v9, v6, v9
	v_cmp_eq_u32_e64 s[0:1], s29, v2
	s_and_b64 s[10:11], exec, s[0:1]
	s_or_b64 s[8:9], s[10:11], s[8:9]
	s_andn2_b64 exec, exec, s[8:9]
	s_cbranch_execz .LBB1981_68
.LBB1981_62:                            ; =>This Loop Header: Depth=1
                                        ;     Child Loop BB1981_65 Depth 2
	s_or_b64 s[0:1], s[0:1], exec
	s_cmp_eq_u32 s30, 0
	s_cbranch_scc1 .LBB1981_67
; %bb.63:                               ;   in Loop: Header=BB1981_62 Depth=1
	s_add_i32 s30, s30, -1
	v_lshl_or_b32 v2, s30, 8, v10
	v_lshlrev_b64 v[6:7], 2, v[2:3]
	v_add_co_u32_e64 v6, s[0:1], s24, v6
	v_addc_co_u32_e64 v7, s[0:1], v8, v7, s[0:1]
	global_load_dword v12, v[6:7], off glc
	s_waitcnt vmcnt(0)
	v_and_b32_e32 v2, -2.0, v12
	v_cmp_eq_u32_e64 s[0:1], 0, v2
	s_and_saveexec_b64 s[10:11], s[0:1]
	s_cbranch_execz .LBB1981_61
; %bb.64:                               ;   in Loop: Header=BB1981_62 Depth=1
	s_mov_b64 s[22:23], 0
.LBB1981_65:                            ;   Parent Loop BB1981_62 Depth=1
                                        ; =>  This Inner Loop Header: Depth=2
	global_load_dword v12, v[6:7], off glc
	s_waitcnt vmcnt(0)
	v_and_b32_e32 v2, -2.0, v12
	v_cmp_ne_u32_e64 s[0:1], 0, v2
	s_or_b64 s[22:23], s[0:1], s[22:23]
	s_andn2_b64 exec, exec, s[22:23]
	s_cbranch_execnz .LBB1981_65
; %bb.66:                               ;   in Loop: Header=BB1981_62 Depth=1
	s_or_b64 exec, exec, s[22:23]
	s_branch .LBB1981_61
.LBB1981_67:                            ;   in Loop: Header=BB1981_62 Depth=1
                                        ; implicit-def: $sgpr30
	s_and_b64 s[10:11], exec, s[0:1]
	s_or_b64 s[8:9], s[10:11], s[8:9]
	s_andn2_b64 exec, exec, s[8:9]
	s_cbranch_execnz .LBB1981_62
.LBB1981_68:
	s_or_b64 exec, exec, s[8:9]
	v_add_u32_e32 v2, v9, v15
	v_or_b32_e32 v2, 0x80000000, v2
	global_store_dword v[4:5], v2, off
	global_load_dword v2, v54, s[12:13]
	v_sub_u32_e32 v3, v9, v11
	s_waitcnt vmcnt(0)
	v_add_u32_e32 v2, v3, v2
	ds_write_b32 v54, v2
.LBB1981_69:
	s_or_b64 exec, exec, s[2:3]
	v_cmp_gt_u32_e64 s[0:1], s7, v10
	v_lshlrev_b32_e32 v2, 1, v10
	s_waitcnt lgkmcnt(0)
	s_barrier
	s_and_saveexec_b64 s[2:3], s[0:1]
	s_cbranch_execz .LBB1981_71
; %bb.70:
	ds_read_u16 v3, v2 offset:1024
	v_mov_b32_e32 v5, 0
	v_mov_b32_e32 v6, s19
	s_waitcnt lgkmcnt(0)
	v_lshrrev_b32_sdwa v4, s20, v3 dst_sel:DWORD dst_unused:UNUSED_PAD src0_sel:DWORD src1_sel:WORD_0
	v_and_b32_e32 v4, s28, v4
	v_lshlrev_b32_e32 v4, 2, v4
	ds_read_b32 v4, v4
	v_xor_b32_e32 v3, 0xffff8000, v3
	s_waitcnt lgkmcnt(0)
	v_add_u32_e32 v4, v4, v10
	v_lshlrev_b64 v[4:5], 1, v[4:5]
	v_add_co_u32_e64 v4, s[0:1], s18, v4
	v_addc_co_u32_e64 v5, s[0:1], v6, v5, s[0:1]
	global_store_short v[4:5], v3, off
.LBB1981_71:
	s_or_b64 exec, exec, s[2:3]
	v_or_b32_e32 v3, 0x400, v10
	v_cmp_gt_u32_e64 s[0:1], s7, v3
	s_and_saveexec_b64 s[2:3], s[0:1]
	s_cbranch_execz .LBB1981_73
; %bb.72:
	ds_read_u16 v4, v2 offset:3072
	v_mov_b32_e32 v7, s19
	s_waitcnt lgkmcnt(0)
	v_lshrrev_b32_sdwa v5, s20, v4 dst_sel:DWORD dst_unused:UNUSED_PAD src0_sel:DWORD src1_sel:WORD_0
	v_and_b32_e32 v5, s28, v5
	v_lshlrev_b32_e32 v5, 2, v5
	ds_read_b32 v6, v5
	v_mov_b32_e32 v5, 0
	v_xor_b32_e32 v8, 0xffff8000, v4
	s_waitcnt lgkmcnt(0)
	v_add_u32_e32 v4, v6, v3
	v_lshlrev_b64 v[4:5], 1, v[4:5]
	v_add_co_u32_e64 v4, s[0:1], s18, v4
	v_addc_co_u32_e64 v5, s[0:1], v7, v5, s[0:1]
	global_store_short v[4:5], v8, off
.LBB1981_73:
	s_or_b64 exec, exec, s[2:3]
	v_or_b32_e32 v3, 0x800, v10
	v_cmp_gt_u32_e64 s[0:1], s7, v3
	s_and_saveexec_b64 s[2:3], s[0:1]
	s_cbranch_execz .LBB1981_75
; %bb.74:
	ds_read_u16 v4, v2 offset:5120
	v_mov_b32_e32 v7, s19
	s_waitcnt lgkmcnt(0)
	v_lshrrev_b32_sdwa v5, s20, v4 dst_sel:DWORD dst_unused:UNUSED_PAD src0_sel:DWORD src1_sel:WORD_0
	v_and_b32_e32 v5, s28, v5
	v_lshlrev_b32_e32 v5, 2, v5
	ds_read_b32 v6, v5
	v_mov_b32_e32 v5, 0
	v_xor_b32_e32 v8, 0xffff8000, v4
	s_waitcnt lgkmcnt(0)
	v_add_u32_e32 v4, v6, v3
	v_lshlrev_b64 v[4:5], 1, v[4:5]
	v_add_co_u32_e64 v4, s[0:1], s18, v4
	v_addc_co_u32_e64 v5, s[0:1], v7, v5, s[0:1]
	global_store_short v[4:5], v8, off
.LBB1981_75:
	;; [unrolled: 22-line block ×10, first 2 shown]
	s_or_b64 exec, exec, s[2:3]
	v_or_b32_e32 v3, 0x2c00, v10
	v_cmp_gt_u32_e64 s[0:1], s7, v3
	s_and_saveexec_b64 s[2:3], s[0:1]
	s_cbranch_execz .LBB1981_93
; %bb.92:
	ds_read_u16 v2, v2 offset:23552
	v_mov_b32_e32 v5, 0
	v_mov_b32_e32 v6, s19
	s_waitcnt lgkmcnt(0)
	v_lshrrev_b32_sdwa v4, s20, v2 dst_sel:DWORD dst_unused:UNUSED_PAD src0_sel:DWORD src1_sel:WORD_0
	v_and_b32_e32 v4, s28, v4
	v_lshlrev_b32_e32 v4, 2, v4
	ds_read_b32 v4, v4
	v_xor_b32_e32 v7, 0xffff8000, v2
	s_waitcnt lgkmcnt(0)
	v_add_u32_e32 v4, v4, v3
	v_lshlrev_b64 v[2:3], 1, v[4:5]
	v_add_co_u32_e64 v2, s[0:1], s18, v2
	v_addc_co_u32_e64 v3, s[0:1], v6, v3, s[0:1]
	global_store_short v[2:3], v7, off
.LBB1981_93:
	s_or_b64 exec, exec, s[2:3]
	s_add_i32 s27, s27, -1
	s_cmp_eq_u32 s27, s6
	s_cselect_b64 s[0:1], -1, 0
	s_and_b64 s[2:3], vcc, s[0:1]
	s_mov_b64 s[0:1], 0
	s_mov_b64 s[10:11], 0
                                        ; implicit-def: $vgpr2
	s_and_saveexec_b64 s[8:9], s[2:3]
	s_xor_b64 s[2:3], exec, s[8:9]
; %bb.94:
	s_mov_b64 s[10:11], exec
	v_add_u32_e32 v2, v11, v15
	v_mov_b32_e32 v11, 0
; %bb.95:
	s_or_b64 exec, exec, s[2:3]
	s_and_b64 vcc, exec, s[0:1]
	s_cbranch_vccnz .LBB1981_97
	s_branch .LBB1981_146
.LBB1981_96:
	s_mov_b64 s[10:11], 0
                                        ; implicit-def: $vgpr2
                                        ; implicit-def: $vgpr10_vgpr11
	s_cbranch_execz .LBB1981_146
.LBB1981_97:
	s_mov_b32 s27, 0
	v_mbcnt_hi_u32_b32 v5, -1, v1
	s_lshl_b64 s[0:1], s[26:27], 1
	v_and_b32_e32 v1, 63, v5
	s_add_u32 s0, s16, s0
	v_lshlrev_b32_e32 v1, 1, v1
	v_add_co_u32_e32 v1, vcc, s0, v1
	s_load_dword s7, s[4:5], 0x58
	s_load_dword s0, s[4:5], 0x64
	v_and_b32_e32 v10, 0x3ff, v0
	s_addc_u32 s1, s17, s1
	v_and_b32_e32 v3, 0x3c0, v10
	v_mul_u32_u24_e32 v3, 12, v3
	v_mov_b32_e32 v4, s1
	v_addc_co_u32_e32 v4, vcc, 0, v4, vcc
	v_lshlrev_b32_e32 v3, 1, v3
	s_add_u32 s1, s4, 0x58
	v_add_co_u32_e32 v12, vcc, v1, v3
	s_addc_u32 s2, s5, 0
	s_waitcnt lgkmcnt(0)
	s_lshr_b32 s3, s0, 16
	v_addc_co_u32_e32 v13, vcc, 0, v4, vcc
	s_cmp_lt_u32 s6, s7
	global_load_ushort v1, v[12:13], off
	s_cselect_b32 s0, 12, 18
	s_add_u32 s0, s1, s0
	v_mov_b32_e32 v2, 0
	s_addc_u32 s1, s2, 0
	global_load_ushort v3, v2, s[0:1]
	v_mul_u32_u24_e32 v6, 5, v10
	v_lshlrev_b32_e32 v6, 2, v6
	ds_write2_b32 v6, v2, v2 offset0:16 offset1:17
	ds_write2_b32 v6, v2, v2 offset0:18 offset1:19
	ds_write_b32 v6, v2 offset:80
	global_load_ushort v9, v[12:13], off offset:128
	global_load_ushort v14, v[12:13], off offset:256
	;; [unrolled: 1-line block ×11, first 2 shown]
	v_bfe_u32 v4, v0, 10, 10
	v_bfe_u32 v0, v0, 20, 10
	v_mad_u32_u24 v0, v0, s3, v4
	s_lshl_b32 s0, -1, s21
	s_not_b32 s21, s0
	s_waitcnt lgkmcnt(0)
	s_barrier
	s_waitcnt lgkmcnt(0)
	; wave barrier
	s_waitcnt vmcnt(12)
	v_xor_b32_e32 v4, 0xffff8000, v1
	v_lshrrev_b32_sdwa v1, s20, v4 dst_sel:DWORD dst_unused:UNUSED_PAD src0_sel:DWORD src1_sel:WORD_0
	v_and_b32_e32 v8, s21, v1
	v_and_b32_e32 v7, 1, v8
	s_waitcnt vmcnt(11)
	v_mad_u64_u32 v[0:1], s[0:1], v0, v3, v[10:11]
	v_lshrrev_b32_e32 v17, 6, v0
	v_add_co_u32_e32 v0, vcc, -1, v7
	v_lshlrev_b32_e32 v3, 30, v8
	v_addc_co_u32_e64 v11, s[0:1], 0, -1, vcc
	v_mul_u32_u24_e32 v1, 17, v8
	v_cmp_ne_u32_e32 vcc, 0, v7
	v_cmp_gt_i64_e64 s[0:1], 0, v[2:3]
	v_not_b32_e32 v12, v3
	v_lshlrev_b32_e32 v3, 29, v8
	v_add_lshl_u32 v7, v17, v1, 2
	v_xor_b32_e32 v1, vcc_hi, v11
	v_xor_b32_e32 v0, vcc_lo, v0
	v_ashrrev_i32_e32 v11, 31, v12
	v_cmp_gt_i64_e32 vcc, 0, v[2:3]
	v_not_b32_e32 v12, v3
	v_lshlrev_b32_e32 v3, 28, v8
	v_and_b32_e32 v1, exec_hi, v1
	v_and_b32_e32 v0, exec_lo, v0
	v_xor_b32_e32 v13, s1, v11
	v_xor_b32_e32 v11, s0, v11
	v_ashrrev_i32_e32 v12, 31, v12
	v_cmp_gt_i64_e64 s[0:1], 0, v[2:3]
	v_not_b32_e32 v3, v3
	v_and_b32_e32 v1, v1, v13
	v_and_b32_e32 v0, v0, v11
	v_xor_b32_e32 v11, vcc_hi, v12
	v_xor_b32_e32 v12, vcc_lo, v12
	v_ashrrev_i32_e32 v3, 31, v3
	v_and_b32_e32 v1, v1, v11
	v_and_b32_e32 v0, v0, v12
	v_xor_b32_e32 v11, s1, v3
	v_xor_b32_e32 v3, s0, v3
	v_and_b32_e32 v0, v0, v3
	v_lshlrev_b32_e32 v3, 27, v8
	v_cmp_gt_i64_e32 vcc, 0, v[2:3]
	v_not_b32_e32 v3, v3
	v_ashrrev_i32_e32 v3, 31, v3
	v_and_b32_e32 v1, v1, v11
	v_xor_b32_e32 v11, vcc_hi, v3
	v_xor_b32_e32 v3, vcc_lo, v3
	v_and_b32_e32 v0, v0, v3
	v_lshlrev_b32_e32 v3, 26, v8
	v_cmp_gt_i64_e32 vcc, 0, v[2:3]
	v_not_b32_e32 v3, v3
	v_ashrrev_i32_e32 v3, 31, v3
	v_and_b32_e32 v1, v1, v11
	v_xor_b32_e32 v11, vcc_hi, v3
	v_xor_b32_e32 v3, vcc_lo, v3
	;; [unrolled: 8-line block ×3, first 2 shown]
	v_and_b32_e32 v0, v0, v3
	v_lshlrev_b32_e32 v3, 24, v8
	v_cmp_gt_i64_e32 vcc, 0, v[2:3]
	v_not_b32_e32 v3, v3
	v_ashrrev_i32_e32 v3, 31, v3
	v_xor_b32_e32 v8, vcc_hi, v3
	v_xor_b32_e32 v3, vcc_lo, v3
	v_and_b32_e32 v1, v1, v11
	v_and_b32_e32 v0, v0, v3
	;; [unrolled: 1-line block ×3, first 2 shown]
	v_mbcnt_lo_u32_b32 v3, v0, 0
	v_mbcnt_hi_u32_b32 v8, v1, v3
	v_cmp_eq_u32_e32 vcc, 0, v8
	v_cmp_ne_u64_e64 s[0:1], 0, v[0:1]
	s_and_b64 s[2:3], s[0:1], vcc
	s_and_saveexec_b64 s[0:1], s[2:3]
	s_cbranch_execz .LBB1981_99
; %bb.98:
	v_bcnt_u32_b32 v0, v0, 0
	v_bcnt_u32_b32 v0, v1, v0
	ds_write_b32 v7, v0 offset:64
.LBB1981_99:
	s_or_b64 exec, exec, s[0:1]
	s_waitcnt vmcnt(10)
	v_xor_b32_e32 v9, 0xffff8000, v9
	v_lshrrev_b32_sdwa v0, s20, v9 dst_sel:DWORD dst_unused:UNUSED_PAD src0_sel:DWORD src1_sel:WORD_0
	v_and_b32_e32 v0, s21, v0
	v_mul_u32_u24_e32 v1, 17, v0
	v_add_lshl_u32 v12, v17, v1, 2
	v_and_b32_e32 v1, 1, v0
	v_add_co_u32_e32 v3, vcc, -1, v1
	v_addc_co_u32_e64 v13, s[0:1], 0, -1, vcc
	v_cmp_ne_u32_e32 vcc, 0, v1
	v_xor_b32_e32 v3, vcc_lo, v3
	v_xor_b32_e32 v1, vcc_hi, v13
	v_and_b32_e32 v13, exec_lo, v3
	v_lshlrev_b32_e32 v3, 30, v0
	v_cmp_gt_i64_e32 vcc, 0, v[2:3]
	v_not_b32_e32 v3, v3
	v_ashrrev_i32_e32 v3, 31, v3
	v_xor_b32_e32 v15, vcc_hi, v3
	v_xor_b32_e32 v3, vcc_lo, v3
	v_and_b32_e32 v13, v13, v3
	v_lshlrev_b32_e32 v3, 29, v0
	v_cmp_gt_i64_e32 vcc, 0, v[2:3]
	v_not_b32_e32 v3, v3
	v_and_b32_e32 v1, exec_hi, v1
	v_ashrrev_i32_e32 v3, 31, v3
	v_and_b32_e32 v1, v1, v15
	v_xor_b32_e32 v15, vcc_hi, v3
	v_xor_b32_e32 v3, vcc_lo, v3
	v_and_b32_e32 v13, v13, v3
	v_lshlrev_b32_e32 v3, 28, v0
	v_cmp_gt_i64_e32 vcc, 0, v[2:3]
	v_not_b32_e32 v3, v3
	v_ashrrev_i32_e32 v3, 31, v3
	v_and_b32_e32 v1, v1, v15
	v_xor_b32_e32 v15, vcc_hi, v3
	v_xor_b32_e32 v3, vcc_lo, v3
	v_and_b32_e32 v13, v13, v3
	v_lshlrev_b32_e32 v3, 27, v0
	v_cmp_gt_i64_e32 vcc, 0, v[2:3]
	v_not_b32_e32 v3, v3
	;; [unrolled: 8-line block ×4, first 2 shown]
	v_ashrrev_i32_e32 v3, 31, v3
	v_and_b32_e32 v1, v1, v15
	v_xor_b32_e32 v15, vcc_hi, v3
	v_xor_b32_e32 v3, vcc_lo, v3
	v_and_b32_e32 v13, v13, v3
	v_lshlrev_b32_e32 v3, 24, v0
	v_not_b32_e32 v0, v3
	v_cmp_gt_i64_e32 vcc, 0, v[2:3]
	v_ashrrev_i32_e32 v0, 31, v0
	v_xor_b32_e32 v2, vcc_hi, v0
	v_xor_b32_e32 v0, vcc_lo, v0
	; wave barrier
	ds_read_b32 v11, v12 offset:64
	v_and_b32_e32 v1, v1, v15
	v_and_b32_e32 v0, v13, v0
	;; [unrolled: 1-line block ×3, first 2 shown]
	v_mbcnt_lo_u32_b32 v2, v0, 0
	v_mbcnt_hi_u32_b32 v13, v1, v2
	v_cmp_eq_u32_e32 vcc, 0, v13
	v_cmp_ne_u64_e64 s[0:1], 0, v[0:1]
	s_and_b64 s[2:3], s[0:1], vcc
	; wave barrier
	s_and_saveexec_b64 s[0:1], s[2:3]
	s_cbranch_execz .LBB1981_101
; %bb.100:
	v_bcnt_u32_b32 v0, v0, 0
	v_bcnt_u32_b32 v0, v1, v0
	s_waitcnt lgkmcnt(0)
	v_add_u32_e32 v0, v11, v0
	ds_write_b32 v12, v0 offset:64
.LBB1981_101:
	s_or_b64 exec, exec, s[0:1]
	s_waitcnt vmcnt(9)
	v_xor_b32_e32 v14, 0xffff8000, v14
	v_lshrrev_b32_sdwa v0, s20, v14 dst_sel:DWORD dst_unused:UNUSED_PAD src0_sel:DWORD src1_sel:WORD_0
	v_and_b32_e32 v2, s21, v0
	v_and_b32_e32 v1, 1, v2
	v_add_co_u32_e32 v3, vcc, -1, v1
	v_addc_co_u32_e64 v19, s[0:1], 0, -1, vcc
	v_cmp_ne_u32_e32 vcc, 0, v1
	v_mul_u32_u24_e32 v0, 17, v2
	v_xor_b32_e32 v1, vcc_hi, v19
	v_add_lshl_u32 v18, v17, v0, 2
	v_mov_b32_e32 v0, 0
	v_and_b32_e32 v19, exec_hi, v1
	v_lshlrev_b32_e32 v1, 30, v2
	v_xor_b32_e32 v3, vcc_lo, v3
	v_cmp_gt_i64_e32 vcc, 0, v[0:1]
	v_not_b32_e32 v1, v1
	v_ashrrev_i32_e32 v1, 31, v1
	v_and_b32_e32 v3, exec_lo, v3
	v_xor_b32_e32 v21, vcc_hi, v1
	v_xor_b32_e32 v1, vcc_lo, v1
	v_and_b32_e32 v3, v3, v1
	v_lshlrev_b32_e32 v1, 29, v2
	v_cmp_gt_i64_e32 vcc, 0, v[0:1]
	v_not_b32_e32 v1, v1
	v_ashrrev_i32_e32 v1, 31, v1
	v_and_b32_e32 v19, v19, v21
	v_xor_b32_e32 v21, vcc_hi, v1
	v_xor_b32_e32 v1, vcc_lo, v1
	v_and_b32_e32 v3, v3, v1
	v_lshlrev_b32_e32 v1, 28, v2
	v_cmp_gt_i64_e32 vcc, 0, v[0:1]
	v_not_b32_e32 v1, v1
	v_ashrrev_i32_e32 v1, 31, v1
	v_and_b32_e32 v19, v19, v21
	;; [unrolled: 8-line block ×5, first 2 shown]
	v_xor_b32_e32 v21, vcc_hi, v1
	v_xor_b32_e32 v1, vcc_lo, v1
	v_and_b32_e32 v19, v19, v21
	v_and_b32_e32 v21, v3, v1
	v_lshlrev_b32_e32 v1, 24, v2
	v_cmp_gt_i64_e32 vcc, 0, v[0:1]
	v_not_b32_e32 v1, v1
	v_ashrrev_i32_e32 v1, 31, v1
	v_xor_b32_e32 v2, vcc_hi, v1
	v_xor_b32_e32 v1, vcc_lo, v1
	; wave barrier
	ds_read_b32 v15, v18 offset:64
	v_and_b32_e32 v3, v19, v2
	v_and_b32_e32 v2, v21, v1
	v_mbcnt_lo_u32_b32 v1, v2, 0
	v_mbcnt_hi_u32_b32 v19, v3, v1
	v_cmp_eq_u32_e32 vcc, 0, v19
	v_cmp_ne_u64_e64 s[0:1], 0, v[2:3]
	s_and_b64 s[2:3], s[0:1], vcc
	; wave barrier
	s_and_saveexec_b64 s[0:1], s[2:3]
	s_cbranch_execz .LBB1981_103
; %bb.102:
	v_bcnt_u32_b32 v1, v2, 0
	v_bcnt_u32_b32 v1, v3, v1
	s_waitcnt lgkmcnt(0)
	v_add_u32_e32 v1, v15, v1
	ds_write_b32 v18, v1 offset:64
.LBB1981_103:
	s_or_b64 exec, exec, s[0:1]
	s_waitcnt vmcnt(8)
	v_xor_b32_e32 v20, 0xffff8000, v20
	v_lshrrev_b32_sdwa v1, s20, v20 dst_sel:DWORD dst_unused:UNUSED_PAD src0_sel:DWORD src1_sel:WORD_0
	v_and_b32_e32 v2, s21, v1
	v_mul_u32_u24_e32 v1, 17, v2
	v_add_lshl_u32 v23, v17, v1, 2
	v_and_b32_e32 v1, 1, v2
	v_add_co_u32_e32 v3, vcc, -1, v1
	v_addc_co_u32_e64 v24, s[0:1], 0, -1, vcc
	v_cmp_ne_u32_e32 vcc, 0, v1
	v_xor_b32_e32 v1, vcc_hi, v24
	v_and_b32_e32 v24, exec_hi, v1
	v_lshlrev_b32_e32 v1, 30, v2
	v_xor_b32_e32 v3, vcc_lo, v3
	v_cmp_gt_i64_e32 vcc, 0, v[0:1]
	v_not_b32_e32 v1, v1
	v_ashrrev_i32_e32 v1, 31, v1
	v_and_b32_e32 v3, exec_lo, v3
	v_xor_b32_e32 v26, vcc_hi, v1
	v_xor_b32_e32 v1, vcc_lo, v1
	v_and_b32_e32 v3, v3, v1
	v_lshlrev_b32_e32 v1, 29, v2
	v_cmp_gt_i64_e32 vcc, 0, v[0:1]
	v_not_b32_e32 v1, v1
	v_ashrrev_i32_e32 v1, 31, v1
	v_and_b32_e32 v24, v24, v26
	v_xor_b32_e32 v26, vcc_hi, v1
	v_xor_b32_e32 v1, vcc_lo, v1
	v_and_b32_e32 v3, v3, v1
	v_lshlrev_b32_e32 v1, 28, v2
	v_cmp_gt_i64_e32 vcc, 0, v[0:1]
	v_not_b32_e32 v1, v1
	v_ashrrev_i32_e32 v1, 31, v1
	v_and_b32_e32 v24, v24, v26
	;; [unrolled: 8-line block ×5, first 2 shown]
	v_xor_b32_e32 v26, vcc_hi, v1
	v_xor_b32_e32 v1, vcc_lo, v1
	v_and_b32_e32 v3, v3, v1
	v_lshlrev_b32_e32 v1, 24, v2
	v_cmp_gt_i64_e32 vcc, 0, v[0:1]
	v_not_b32_e32 v0, v1
	v_ashrrev_i32_e32 v0, 31, v0
	v_xor_b32_e32 v1, vcc_hi, v0
	v_xor_b32_e32 v0, vcc_lo, v0
	; wave barrier
	ds_read_b32 v21, v23 offset:64
	v_and_b32_e32 v24, v24, v26
	v_and_b32_e32 v0, v3, v0
	;; [unrolled: 1-line block ×3, first 2 shown]
	v_mbcnt_lo_u32_b32 v2, v0, 0
	v_mbcnt_hi_u32_b32 v24, v1, v2
	v_cmp_eq_u32_e32 vcc, 0, v24
	v_cmp_ne_u64_e64 s[0:1], 0, v[0:1]
	s_and_b64 s[2:3], s[0:1], vcc
	; wave barrier
	s_and_saveexec_b64 s[0:1], s[2:3]
	s_cbranch_execz .LBB1981_105
; %bb.104:
	v_bcnt_u32_b32 v0, v0, 0
	v_bcnt_u32_b32 v0, v1, v0
	s_waitcnt lgkmcnt(0)
	v_add_u32_e32 v0, v21, v0
	ds_write_b32 v23, v0 offset:64
.LBB1981_105:
	s_or_b64 exec, exec, s[0:1]
	s_waitcnt vmcnt(7)
	v_xor_b32_e32 v25, 0xffff8000, v25
	v_lshrrev_b32_sdwa v0, s20, v25 dst_sel:DWORD dst_unused:UNUSED_PAD src0_sel:DWORD src1_sel:WORD_0
	v_and_b32_e32 v2, s21, v0
	v_and_b32_e32 v1, 1, v2
	v_add_co_u32_e32 v3, vcc, -1, v1
	v_addc_co_u32_e64 v30, s[0:1], 0, -1, vcc
	v_cmp_ne_u32_e32 vcc, 0, v1
	v_mul_u32_u24_e32 v0, 17, v2
	v_xor_b32_e32 v1, vcc_hi, v30
	v_add_lshl_u32 v28, v17, v0, 2
	v_mov_b32_e32 v0, 0
	v_and_b32_e32 v30, exec_hi, v1
	v_lshlrev_b32_e32 v1, 30, v2
	v_xor_b32_e32 v3, vcc_lo, v3
	v_cmp_gt_i64_e32 vcc, 0, v[0:1]
	v_not_b32_e32 v1, v1
	v_ashrrev_i32_e32 v1, 31, v1
	v_and_b32_e32 v3, exec_lo, v3
	v_xor_b32_e32 v31, vcc_hi, v1
	v_xor_b32_e32 v1, vcc_lo, v1
	v_and_b32_e32 v3, v3, v1
	v_lshlrev_b32_e32 v1, 29, v2
	v_cmp_gt_i64_e32 vcc, 0, v[0:1]
	v_not_b32_e32 v1, v1
	v_ashrrev_i32_e32 v1, 31, v1
	v_and_b32_e32 v30, v30, v31
	v_xor_b32_e32 v31, vcc_hi, v1
	v_xor_b32_e32 v1, vcc_lo, v1
	v_and_b32_e32 v3, v3, v1
	v_lshlrev_b32_e32 v1, 28, v2
	v_cmp_gt_i64_e32 vcc, 0, v[0:1]
	v_not_b32_e32 v1, v1
	v_ashrrev_i32_e32 v1, 31, v1
	v_and_b32_e32 v30, v30, v31
	;; [unrolled: 8-line block ×5, first 2 shown]
	v_xor_b32_e32 v31, vcc_hi, v1
	v_xor_b32_e32 v1, vcc_lo, v1
	v_and_b32_e32 v30, v30, v31
	v_and_b32_e32 v31, v3, v1
	v_lshlrev_b32_e32 v1, 24, v2
	v_cmp_gt_i64_e32 vcc, 0, v[0:1]
	v_not_b32_e32 v1, v1
	v_ashrrev_i32_e32 v1, 31, v1
	v_xor_b32_e32 v2, vcc_hi, v1
	v_xor_b32_e32 v1, vcc_lo, v1
	; wave barrier
	ds_read_b32 v26, v28 offset:64
	v_and_b32_e32 v3, v30, v2
	v_and_b32_e32 v2, v31, v1
	v_mbcnt_lo_u32_b32 v1, v2, 0
	v_mbcnt_hi_u32_b32 v30, v3, v1
	v_cmp_eq_u32_e32 vcc, 0, v30
	v_cmp_ne_u64_e64 s[0:1], 0, v[2:3]
	s_and_b64 s[2:3], s[0:1], vcc
	; wave barrier
	s_and_saveexec_b64 s[0:1], s[2:3]
	s_cbranch_execz .LBB1981_107
; %bb.106:
	v_bcnt_u32_b32 v1, v2, 0
	v_bcnt_u32_b32 v1, v3, v1
	s_waitcnt lgkmcnt(0)
	v_add_u32_e32 v1, v26, v1
	ds_write_b32 v28, v1 offset:64
.LBB1981_107:
	s_or_b64 exec, exec, s[0:1]
	s_waitcnt vmcnt(6)
	v_xor_b32_e32 v29, 0xffff8000, v29
	v_lshrrev_b32_sdwa v1, s20, v29 dst_sel:DWORD dst_unused:UNUSED_PAD src0_sel:DWORD src1_sel:WORD_0
	v_and_b32_e32 v2, s21, v1
	v_mul_u32_u24_e32 v1, 17, v2
	v_add_lshl_u32 v33, v17, v1, 2
	v_and_b32_e32 v1, 1, v2
	v_add_co_u32_e32 v3, vcc, -1, v1
	v_addc_co_u32_e64 v35, s[0:1], 0, -1, vcc
	v_cmp_ne_u32_e32 vcc, 0, v1
	v_xor_b32_e32 v1, vcc_hi, v35
	v_and_b32_e32 v35, exec_hi, v1
	v_lshlrev_b32_e32 v1, 30, v2
	v_xor_b32_e32 v3, vcc_lo, v3
	v_cmp_gt_i64_e32 vcc, 0, v[0:1]
	v_not_b32_e32 v1, v1
	v_ashrrev_i32_e32 v1, 31, v1
	v_and_b32_e32 v3, exec_lo, v3
	v_xor_b32_e32 v36, vcc_hi, v1
	v_xor_b32_e32 v1, vcc_lo, v1
	v_and_b32_e32 v3, v3, v1
	v_lshlrev_b32_e32 v1, 29, v2
	v_cmp_gt_i64_e32 vcc, 0, v[0:1]
	v_not_b32_e32 v1, v1
	v_ashrrev_i32_e32 v1, 31, v1
	v_and_b32_e32 v35, v35, v36
	v_xor_b32_e32 v36, vcc_hi, v1
	v_xor_b32_e32 v1, vcc_lo, v1
	v_and_b32_e32 v3, v3, v1
	v_lshlrev_b32_e32 v1, 28, v2
	v_cmp_gt_i64_e32 vcc, 0, v[0:1]
	v_not_b32_e32 v1, v1
	v_ashrrev_i32_e32 v1, 31, v1
	v_and_b32_e32 v35, v35, v36
	;; [unrolled: 8-line block ×5, first 2 shown]
	v_xor_b32_e32 v36, vcc_hi, v1
	v_xor_b32_e32 v1, vcc_lo, v1
	v_and_b32_e32 v3, v3, v1
	v_lshlrev_b32_e32 v1, 24, v2
	v_cmp_gt_i64_e32 vcc, 0, v[0:1]
	v_not_b32_e32 v0, v1
	v_ashrrev_i32_e32 v0, 31, v0
	v_xor_b32_e32 v1, vcc_hi, v0
	v_xor_b32_e32 v0, vcc_lo, v0
	; wave barrier
	ds_read_b32 v31, v33 offset:64
	v_and_b32_e32 v35, v35, v36
	v_and_b32_e32 v0, v3, v0
	;; [unrolled: 1-line block ×3, first 2 shown]
	v_mbcnt_lo_u32_b32 v2, v0, 0
	v_mbcnt_hi_u32_b32 v35, v1, v2
	v_cmp_eq_u32_e32 vcc, 0, v35
	v_cmp_ne_u64_e64 s[0:1], 0, v[0:1]
	s_and_b64 s[2:3], s[0:1], vcc
	; wave barrier
	s_and_saveexec_b64 s[0:1], s[2:3]
	s_cbranch_execz .LBB1981_109
; %bb.108:
	v_bcnt_u32_b32 v0, v0, 0
	v_bcnt_u32_b32 v0, v1, v0
	s_waitcnt lgkmcnt(0)
	v_add_u32_e32 v0, v31, v0
	ds_write_b32 v33, v0 offset:64
.LBB1981_109:
	s_or_b64 exec, exec, s[0:1]
	s_waitcnt vmcnt(5)
	v_xor_b32_e32 v34, 0xffff8000, v34
	v_lshrrev_b32_sdwa v0, s20, v34 dst_sel:DWORD dst_unused:UNUSED_PAD src0_sel:DWORD src1_sel:WORD_0
	v_and_b32_e32 v2, s21, v0
	v_and_b32_e32 v1, 1, v2
	v_add_co_u32_e32 v3, vcc, -1, v1
	v_addc_co_u32_e64 v39, s[0:1], 0, -1, vcc
	v_cmp_ne_u32_e32 vcc, 0, v1
	v_mul_u32_u24_e32 v0, 17, v2
	v_xor_b32_e32 v1, vcc_hi, v39
	v_add_lshl_u32 v38, v17, v0, 2
	v_mov_b32_e32 v0, 0
	v_and_b32_e32 v39, exec_hi, v1
	v_lshlrev_b32_e32 v1, 30, v2
	v_xor_b32_e32 v3, vcc_lo, v3
	v_cmp_gt_i64_e32 vcc, 0, v[0:1]
	v_not_b32_e32 v1, v1
	v_ashrrev_i32_e32 v1, 31, v1
	v_and_b32_e32 v3, exec_lo, v3
	v_xor_b32_e32 v40, vcc_hi, v1
	v_xor_b32_e32 v1, vcc_lo, v1
	v_and_b32_e32 v3, v3, v1
	v_lshlrev_b32_e32 v1, 29, v2
	v_cmp_gt_i64_e32 vcc, 0, v[0:1]
	v_not_b32_e32 v1, v1
	v_ashrrev_i32_e32 v1, 31, v1
	v_and_b32_e32 v39, v39, v40
	v_xor_b32_e32 v40, vcc_hi, v1
	v_xor_b32_e32 v1, vcc_lo, v1
	v_and_b32_e32 v3, v3, v1
	v_lshlrev_b32_e32 v1, 28, v2
	v_cmp_gt_i64_e32 vcc, 0, v[0:1]
	v_not_b32_e32 v1, v1
	v_ashrrev_i32_e32 v1, 31, v1
	v_and_b32_e32 v39, v39, v40
	v_xor_b32_e32 v40, vcc_hi, v1
	v_xor_b32_e32 v1, vcc_lo, v1
	v_and_b32_e32 v3, v3, v1
	v_lshlrev_b32_e32 v1, 27, v2
	v_cmp_gt_i64_e32 vcc, 0, v[0:1]
	v_not_b32_e32 v1, v1
	v_ashrrev_i32_e32 v1, 31, v1
	v_and_b32_e32 v39, v39, v40
	v_xor_b32_e32 v40, vcc_hi, v1
	v_xor_b32_e32 v1, vcc_lo, v1
	v_and_b32_e32 v3, v3, v1
	v_lshlrev_b32_e32 v1, 26, v2
	v_cmp_gt_i64_e32 vcc, 0, v[0:1]
	v_not_b32_e32 v1, v1
	v_ashrrev_i32_e32 v1, 31, v1
	v_and_b32_e32 v39, v39, v40
	v_xor_b32_e32 v40, vcc_hi, v1
	v_xor_b32_e32 v1, vcc_lo, v1
	v_and_b32_e32 v3, v3, v1
	v_lshlrev_b32_e32 v1, 25, v2
	v_cmp_gt_i64_e32 vcc, 0, v[0:1]
	v_not_b32_e32 v1, v1
	v_ashrrev_i32_e32 v1, 31, v1
	v_and_b32_e32 v39, v39, v40
	v_xor_b32_e32 v40, vcc_hi, v1
	v_xor_b32_e32 v1, vcc_lo, v1
	v_and_b32_e32 v39, v39, v40
	v_and_b32_e32 v40, v3, v1
	v_lshlrev_b32_e32 v1, 24, v2
	v_cmp_gt_i64_e32 vcc, 0, v[0:1]
	v_not_b32_e32 v1, v1
	v_ashrrev_i32_e32 v1, 31, v1
	v_xor_b32_e32 v2, vcc_hi, v1
	v_xor_b32_e32 v1, vcc_lo, v1
	; wave barrier
	ds_read_b32 v36, v38 offset:64
	v_and_b32_e32 v3, v39, v2
	v_and_b32_e32 v2, v40, v1
	v_mbcnt_lo_u32_b32 v1, v2, 0
	v_mbcnt_hi_u32_b32 v39, v3, v1
	v_cmp_eq_u32_e32 vcc, 0, v39
	v_cmp_ne_u64_e64 s[0:1], 0, v[2:3]
	s_and_b64 s[2:3], s[0:1], vcc
	; wave barrier
	s_and_saveexec_b64 s[0:1], s[2:3]
	s_cbranch_execz .LBB1981_111
; %bb.110:
	v_bcnt_u32_b32 v1, v2, 0
	v_bcnt_u32_b32 v1, v3, v1
	s_waitcnt lgkmcnt(0)
	v_add_u32_e32 v1, v36, v1
	ds_write_b32 v38, v1 offset:64
.LBB1981_111:
	s_or_b64 exec, exec, s[0:1]
	s_waitcnt vmcnt(4)
	v_xor_b32_e32 v37, 0xffff8000, v37
	v_lshrrev_b32_sdwa v1, s20, v37 dst_sel:DWORD dst_unused:UNUSED_PAD src0_sel:DWORD src1_sel:WORD_0
	v_and_b32_e32 v2, s21, v1
	v_mul_u32_u24_e32 v1, 17, v2
	v_add_lshl_u32 v41, v17, v1, 2
	v_and_b32_e32 v1, 1, v2
	v_add_co_u32_e32 v3, vcc, -1, v1
	v_addc_co_u32_e64 v42, s[0:1], 0, -1, vcc
	v_cmp_ne_u32_e32 vcc, 0, v1
	v_xor_b32_e32 v1, vcc_hi, v42
	v_and_b32_e32 v42, exec_hi, v1
	v_lshlrev_b32_e32 v1, 30, v2
	v_xor_b32_e32 v3, vcc_lo, v3
	v_cmp_gt_i64_e32 vcc, 0, v[0:1]
	v_not_b32_e32 v1, v1
	v_ashrrev_i32_e32 v1, 31, v1
	v_and_b32_e32 v3, exec_lo, v3
	v_xor_b32_e32 v43, vcc_hi, v1
	v_xor_b32_e32 v1, vcc_lo, v1
	v_and_b32_e32 v3, v3, v1
	v_lshlrev_b32_e32 v1, 29, v2
	v_cmp_gt_i64_e32 vcc, 0, v[0:1]
	v_not_b32_e32 v1, v1
	v_ashrrev_i32_e32 v1, 31, v1
	v_and_b32_e32 v42, v42, v43
	v_xor_b32_e32 v43, vcc_hi, v1
	v_xor_b32_e32 v1, vcc_lo, v1
	v_and_b32_e32 v3, v3, v1
	v_lshlrev_b32_e32 v1, 28, v2
	v_cmp_gt_i64_e32 vcc, 0, v[0:1]
	v_not_b32_e32 v1, v1
	v_ashrrev_i32_e32 v1, 31, v1
	v_and_b32_e32 v42, v42, v43
	v_xor_b32_e32 v43, vcc_hi, v1
	v_xor_b32_e32 v1, vcc_lo, v1
	v_and_b32_e32 v3, v3, v1
	v_lshlrev_b32_e32 v1, 27, v2
	v_cmp_gt_i64_e32 vcc, 0, v[0:1]
	v_not_b32_e32 v1, v1
	v_ashrrev_i32_e32 v1, 31, v1
	v_and_b32_e32 v42, v42, v43
	v_xor_b32_e32 v43, vcc_hi, v1
	v_xor_b32_e32 v1, vcc_lo, v1
	v_and_b32_e32 v3, v3, v1
	v_lshlrev_b32_e32 v1, 26, v2
	v_cmp_gt_i64_e32 vcc, 0, v[0:1]
	v_not_b32_e32 v1, v1
	v_ashrrev_i32_e32 v1, 31, v1
	v_and_b32_e32 v42, v42, v43
	v_xor_b32_e32 v43, vcc_hi, v1
	v_xor_b32_e32 v1, vcc_lo, v1
	v_and_b32_e32 v3, v3, v1
	v_lshlrev_b32_e32 v1, 25, v2
	v_cmp_gt_i64_e32 vcc, 0, v[0:1]
	v_not_b32_e32 v1, v1
	v_ashrrev_i32_e32 v1, 31, v1
	v_and_b32_e32 v42, v42, v43
	v_xor_b32_e32 v43, vcc_hi, v1
	v_xor_b32_e32 v1, vcc_lo, v1
	v_and_b32_e32 v3, v3, v1
	v_lshlrev_b32_e32 v1, 24, v2
	v_cmp_gt_i64_e32 vcc, 0, v[0:1]
	v_not_b32_e32 v0, v1
	v_ashrrev_i32_e32 v0, 31, v0
	v_xor_b32_e32 v1, vcc_hi, v0
	v_xor_b32_e32 v0, vcc_lo, v0
	; wave barrier
	ds_read_b32 v40, v41 offset:64
	v_and_b32_e32 v42, v42, v43
	v_and_b32_e32 v0, v3, v0
	;; [unrolled: 1-line block ×3, first 2 shown]
	v_mbcnt_lo_u32_b32 v2, v0, 0
	v_mbcnt_hi_u32_b32 v42, v1, v2
	v_cmp_eq_u32_e32 vcc, 0, v42
	v_cmp_ne_u64_e64 s[0:1], 0, v[0:1]
	s_and_b64 s[2:3], s[0:1], vcc
	; wave barrier
	s_and_saveexec_b64 s[0:1], s[2:3]
	s_cbranch_execz .LBB1981_113
; %bb.112:
	v_bcnt_u32_b32 v0, v0, 0
	v_bcnt_u32_b32 v0, v1, v0
	s_waitcnt lgkmcnt(0)
	v_add_u32_e32 v0, v40, v0
	ds_write_b32 v41, v0 offset:64
.LBB1981_113:
	s_or_b64 exec, exec, s[0:1]
	s_waitcnt vmcnt(3)
	v_xor_b32_e32 v32, 0xffff8000, v32
	v_lshrrev_b32_sdwa v0, s20, v32 dst_sel:DWORD dst_unused:UNUSED_PAD src0_sel:DWORD src1_sel:WORD_0
	v_and_b32_e32 v2, s21, v0
	v_and_b32_e32 v1, 1, v2
	v_add_co_u32_e32 v3, vcc, -1, v1
	v_addc_co_u32_e64 v45, s[0:1], 0, -1, vcc
	v_cmp_ne_u32_e32 vcc, 0, v1
	v_mul_u32_u24_e32 v0, 17, v2
	v_xor_b32_e32 v1, vcc_hi, v45
	v_add_lshl_u32 v44, v17, v0, 2
	v_mov_b32_e32 v0, 0
	v_and_b32_e32 v45, exec_hi, v1
	v_lshlrev_b32_e32 v1, 30, v2
	v_xor_b32_e32 v3, vcc_lo, v3
	v_cmp_gt_i64_e32 vcc, 0, v[0:1]
	v_not_b32_e32 v1, v1
	v_ashrrev_i32_e32 v1, 31, v1
	v_and_b32_e32 v3, exec_lo, v3
	v_xor_b32_e32 v46, vcc_hi, v1
	v_xor_b32_e32 v1, vcc_lo, v1
	v_and_b32_e32 v3, v3, v1
	v_lshlrev_b32_e32 v1, 29, v2
	v_cmp_gt_i64_e32 vcc, 0, v[0:1]
	v_not_b32_e32 v1, v1
	v_ashrrev_i32_e32 v1, 31, v1
	v_and_b32_e32 v45, v45, v46
	v_xor_b32_e32 v46, vcc_hi, v1
	v_xor_b32_e32 v1, vcc_lo, v1
	v_and_b32_e32 v3, v3, v1
	v_lshlrev_b32_e32 v1, 28, v2
	v_cmp_gt_i64_e32 vcc, 0, v[0:1]
	v_not_b32_e32 v1, v1
	v_ashrrev_i32_e32 v1, 31, v1
	v_and_b32_e32 v45, v45, v46
	;; [unrolled: 8-line block ×5, first 2 shown]
	v_xor_b32_e32 v46, vcc_hi, v1
	v_xor_b32_e32 v1, vcc_lo, v1
	v_and_b32_e32 v45, v45, v46
	v_and_b32_e32 v46, v3, v1
	v_lshlrev_b32_e32 v1, 24, v2
	v_cmp_gt_i64_e32 vcc, 0, v[0:1]
	v_not_b32_e32 v1, v1
	v_ashrrev_i32_e32 v1, 31, v1
	v_xor_b32_e32 v2, vcc_hi, v1
	v_xor_b32_e32 v1, vcc_lo, v1
	; wave barrier
	ds_read_b32 v43, v44 offset:64
	v_and_b32_e32 v3, v45, v2
	v_and_b32_e32 v2, v46, v1
	v_mbcnt_lo_u32_b32 v1, v2, 0
	v_mbcnt_hi_u32_b32 v45, v3, v1
	v_cmp_eq_u32_e32 vcc, 0, v45
	v_cmp_ne_u64_e64 s[0:1], 0, v[2:3]
	s_and_b64 s[2:3], s[0:1], vcc
	; wave barrier
	s_and_saveexec_b64 s[0:1], s[2:3]
	s_cbranch_execz .LBB1981_115
; %bb.114:
	v_bcnt_u32_b32 v1, v2, 0
	v_bcnt_u32_b32 v1, v3, v1
	s_waitcnt lgkmcnt(0)
	v_add_u32_e32 v1, v43, v1
	ds_write_b32 v44, v1 offset:64
.LBB1981_115:
	s_or_b64 exec, exec, s[0:1]
	s_waitcnt vmcnt(2)
	v_xor_b32_e32 v27, 0xffff8000, v27
	v_lshrrev_b32_sdwa v1, s20, v27 dst_sel:DWORD dst_unused:UNUSED_PAD src0_sel:DWORD src1_sel:WORD_0
	v_and_b32_e32 v2, s21, v1
	v_mul_u32_u24_e32 v1, 17, v2
	v_add_lshl_u32 v47, v17, v1, 2
	v_and_b32_e32 v1, 1, v2
	v_add_co_u32_e32 v3, vcc, -1, v1
	v_addc_co_u32_e64 v48, s[0:1], 0, -1, vcc
	v_cmp_ne_u32_e32 vcc, 0, v1
	v_xor_b32_e32 v1, vcc_hi, v48
	v_and_b32_e32 v48, exec_hi, v1
	v_lshlrev_b32_e32 v1, 30, v2
	v_xor_b32_e32 v3, vcc_lo, v3
	v_cmp_gt_i64_e32 vcc, 0, v[0:1]
	v_not_b32_e32 v1, v1
	v_ashrrev_i32_e32 v1, 31, v1
	v_and_b32_e32 v3, exec_lo, v3
	v_xor_b32_e32 v49, vcc_hi, v1
	v_xor_b32_e32 v1, vcc_lo, v1
	v_and_b32_e32 v3, v3, v1
	v_lshlrev_b32_e32 v1, 29, v2
	v_cmp_gt_i64_e32 vcc, 0, v[0:1]
	v_not_b32_e32 v1, v1
	v_ashrrev_i32_e32 v1, 31, v1
	v_and_b32_e32 v48, v48, v49
	v_xor_b32_e32 v49, vcc_hi, v1
	v_xor_b32_e32 v1, vcc_lo, v1
	v_and_b32_e32 v3, v3, v1
	v_lshlrev_b32_e32 v1, 28, v2
	v_cmp_gt_i64_e32 vcc, 0, v[0:1]
	v_not_b32_e32 v1, v1
	v_ashrrev_i32_e32 v1, 31, v1
	v_and_b32_e32 v48, v48, v49
	;; [unrolled: 8-line block ×5, first 2 shown]
	v_xor_b32_e32 v49, vcc_hi, v1
	v_xor_b32_e32 v1, vcc_lo, v1
	v_and_b32_e32 v3, v3, v1
	v_lshlrev_b32_e32 v1, 24, v2
	v_cmp_gt_i64_e32 vcc, 0, v[0:1]
	v_not_b32_e32 v0, v1
	v_ashrrev_i32_e32 v0, 31, v0
	v_xor_b32_e32 v1, vcc_hi, v0
	v_xor_b32_e32 v0, vcc_lo, v0
	; wave barrier
	ds_read_b32 v46, v47 offset:64
	v_and_b32_e32 v48, v48, v49
	v_and_b32_e32 v0, v3, v0
	;; [unrolled: 1-line block ×3, first 2 shown]
	v_mbcnt_lo_u32_b32 v2, v0, 0
	v_mbcnt_hi_u32_b32 v48, v1, v2
	v_cmp_eq_u32_e32 vcc, 0, v48
	v_cmp_ne_u64_e64 s[0:1], 0, v[0:1]
	s_and_b64 s[2:3], s[0:1], vcc
	; wave barrier
	s_and_saveexec_b64 s[0:1], s[2:3]
	s_cbranch_execz .LBB1981_117
; %bb.116:
	v_bcnt_u32_b32 v0, v0, 0
	v_bcnt_u32_b32 v0, v1, v0
	s_waitcnt lgkmcnt(0)
	v_add_u32_e32 v0, v46, v0
	ds_write_b32 v47, v0 offset:64
.LBB1981_117:
	s_or_b64 exec, exec, s[0:1]
	s_waitcnt vmcnt(1)
	v_xor_b32_e32 v22, 0xffff8000, v22
	v_lshrrev_b32_sdwa v0, s20, v22 dst_sel:DWORD dst_unused:UNUSED_PAD src0_sel:DWORD src1_sel:WORD_0
	v_and_b32_e32 v2, s21, v0
	v_and_b32_e32 v1, 1, v2
	v_add_co_u32_e32 v3, vcc, -1, v1
	v_addc_co_u32_e64 v51, s[0:1], 0, -1, vcc
	v_cmp_ne_u32_e32 vcc, 0, v1
	v_mul_u32_u24_e32 v0, 17, v2
	v_xor_b32_e32 v1, vcc_hi, v51
	v_add_lshl_u32 v50, v17, v0, 2
	v_mov_b32_e32 v0, 0
	v_and_b32_e32 v51, exec_hi, v1
	v_lshlrev_b32_e32 v1, 30, v2
	v_xor_b32_e32 v3, vcc_lo, v3
	v_cmp_gt_i64_e32 vcc, 0, v[0:1]
	v_not_b32_e32 v1, v1
	v_ashrrev_i32_e32 v1, 31, v1
	v_and_b32_e32 v3, exec_lo, v3
	v_xor_b32_e32 v52, vcc_hi, v1
	v_xor_b32_e32 v1, vcc_lo, v1
	v_and_b32_e32 v3, v3, v1
	v_lshlrev_b32_e32 v1, 29, v2
	v_cmp_gt_i64_e32 vcc, 0, v[0:1]
	v_not_b32_e32 v1, v1
	v_ashrrev_i32_e32 v1, 31, v1
	v_and_b32_e32 v51, v51, v52
	v_xor_b32_e32 v52, vcc_hi, v1
	v_xor_b32_e32 v1, vcc_lo, v1
	v_and_b32_e32 v3, v3, v1
	v_lshlrev_b32_e32 v1, 28, v2
	v_cmp_gt_i64_e32 vcc, 0, v[0:1]
	v_not_b32_e32 v1, v1
	v_ashrrev_i32_e32 v1, 31, v1
	v_and_b32_e32 v51, v51, v52
	;; [unrolled: 8-line block ×5, first 2 shown]
	v_xor_b32_e32 v52, vcc_hi, v1
	v_xor_b32_e32 v1, vcc_lo, v1
	v_and_b32_e32 v51, v51, v52
	v_and_b32_e32 v52, v3, v1
	v_lshlrev_b32_e32 v1, 24, v2
	v_cmp_gt_i64_e32 vcc, 0, v[0:1]
	v_not_b32_e32 v1, v1
	v_ashrrev_i32_e32 v1, 31, v1
	v_xor_b32_e32 v2, vcc_hi, v1
	v_xor_b32_e32 v1, vcc_lo, v1
	; wave barrier
	ds_read_b32 v49, v50 offset:64
	v_and_b32_e32 v3, v51, v2
	v_and_b32_e32 v2, v52, v1
	v_mbcnt_lo_u32_b32 v1, v2, 0
	v_mbcnt_hi_u32_b32 v51, v3, v1
	v_cmp_eq_u32_e32 vcc, 0, v51
	v_cmp_ne_u64_e64 s[0:1], 0, v[2:3]
	s_and_b64 s[2:3], s[0:1], vcc
	; wave barrier
	s_and_saveexec_b64 s[0:1], s[2:3]
	s_cbranch_execz .LBB1981_119
; %bb.118:
	v_bcnt_u32_b32 v1, v2, 0
	v_bcnt_u32_b32 v1, v3, v1
	s_waitcnt lgkmcnt(0)
	v_add_u32_e32 v1, v49, v1
	ds_write_b32 v50, v1 offset:64
.LBB1981_119:
	s_or_b64 exec, exec, s[0:1]
	s_waitcnt vmcnt(0)
	v_xor_b32_e32 v16, 0xffff8000, v16
	v_lshrrev_b32_sdwa v1, s20, v16 dst_sel:DWORD dst_unused:UNUSED_PAD src0_sel:DWORD src1_sel:WORD_0
	v_and_b32_e32 v2, s21, v1
	v_mul_u32_u24_e32 v1, 17, v2
	v_add_lshl_u32 v53, v17, v1, 2
	v_and_b32_e32 v1, 1, v2
	v_add_co_u32_e32 v3, vcc, -1, v1
	v_addc_co_u32_e64 v17, s[0:1], 0, -1, vcc
	v_cmp_ne_u32_e32 vcc, 0, v1
	v_xor_b32_e32 v1, vcc_hi, v17
	v_and_b32_e32 v17, exec_hi, v1
	v_lshlrev_b32_e32 v1, 30, v2
	v_xor_b32_e32 v3, vcc_lo, v3
	v_cmp_gt_i64_e32 vcc, 0, v[0:1]
	v_not_b32_e32 v1, v1
	v_ashrrev_i32_e32 v1, 31, v1
	v_and_b32_e32 v3, exec_lo, v3
	v_xor_b32_e32 v55, vcc_hi, v1
	v_xor_b32_e32 v1, vcc_lo, v1
	v_and_b32_e32 v3, v3, v1
	v_lshlrev_b32_e32 v1, 29, v2
	v_cmp_gt_i64_e32 vcc, 0, v[0:1]
	v_not_b32_e32 v1, v1
	v_ashrrev_i32_e32 v1, 31, v1
	v_and_b32_e32 v17, v17, v55
	v_xor_b32_e32 v55, vcc_hi, v1
	v_xor_b32_e32 v1, vcc_lo, v1
	v_and_b32_e32 v3, v3, v1
	v_lshlrev_b32_e32 v1, 28, v2
	v_cmp_gt_i64_e32 vcc, 0, v[0:1]
	v_not_b32_e32 v1, v1
	v_ashrrev_i32_e32 v1, 31, v1
	v_and_b32_e32 v17, v17, v55
	;; [unrolled: 8-line block ×5, first 2 shown]
	v_xor_b32_e32 v55, vcc_hi, v1
	v_xor_b32_e32 v1, vcc_lo, v1
	v_and_b32_e32 v3, v3, v1
	v_lshlrev_b32_e32 v1, 24, v2
	v_cmp_gt_i64_e32 vcc, 0, v[0:1]
	v_not_b32_e32 v0, v1
	v_ashrrev_i32_e32 v0, 31, v0
	v_xor_b32_e32 v1, vcc_hi, v0
	v_xor_b32_e32 v0, vcc_lo, v0
	; wave barrier
	ds_read_b32 v52, v53 offset:64
	v_and_b32_e32 v17, v17, v55
	v_and_b32_e32 v0, v3, v0
	;; [unrolled: 1-line block ×3, first 2 shown]
	v_mbcnt_lo_u32_b32 v2, v0, 0
	v_mbcnt_hi_u32_b32 v55, v1, v2
	v_cmp_eq_u32_e32 vcc, 0, v55
	v_cmp_ne_u64_e64 s[0:1], 0, v[0:1]
	v_add_u32_e32 v54, 64, v6
	s_and_b64 s[2:3], s[0:1], vcc
	; wave barrier
	s_and_saveexec_b64 s[0:1], s[2:3]
	s_cbranch_execz .LBB1981_121
; %bb.120:
	v_bcnt_u32_b32 v0, v0, 0
	v_bcnt_u32_b32 v0, v1, v0
	s_waitcnt lgkmcnt(0)
	v_add_u32_e32 v0, v52, v0
	ds_write_b32 v53, v0 offset:64
.LBB1981_121:
	s_or_b64 exec, exec, s[0:1]
	; wave barrier
	s_waitcnt lgkmcnt(0)
	s_barrier
	ds_read2_b32 v[2:3], v6 offset0:16 offset1:17
	ds_read2_b32 v[0:1], v54 offset0:2 offset1:3
	ds_read_b32 v17, v54 offset:16
	v_cmp_lt_u32_e64 s[8:9], 31, v5
	s_waitcnt lgkmcnt(1)
	v_add3_u32 v56, v3, v2, v0
	s_waitcnt lgkmcnt(0)
	v_add3_u32 v17, v56, v1, v17
	v_and_b32_e32 v56, 15, v5
	v_cmp_eq_u32_e32 vcc, 0, v56
	v_mov_b32_dpp v57, v17 row_shr:1 row_mask:0xf bank_mask:0xf
	v_cndmask_b32_e64 v57, v57, 0, vcc
	v_add_u32_e32 v17, v57, v17
	v_cmp_lt_u32_e64 s[0:1], 1, v56
	v_cmp_lt_u32_e64 s[2:3], 3, v56
	v_mov_b32_dpp v57, v17 row_shr:2 row_mask:0xf bank_mask:0xf
	v_cndmask_b32_e64 v57, 0, v57, s[0:1]
	v_add_u32_e32 v17, v17, v57
	v_cmp_lt_u32_e64 s[4:5], 7, v56
	s_nop 0
	v_mov_b32_dpp v57, v17 row_shr:4 row_mask:0xf bank_mask:0xf
	v_cndmask_b32_e64 v57, 0, v57, s[2:3]
	v_add_u32_e32 v17, v17, v57
	s_nop 1
	v_mov_b32_dpp v57, v17 row_shr:8 row_mask:0xf bank_mask:0xf
	v_cndmask_b32_e64 v56, 0, v57, s[4:5]
	v_add_u32_e32 v17, v17, v56
	v_bfe_i32 v57, v5, 4, 1
	s_nop 0
	v_mov_b32_dpp v56, v17 row_bcast:15 row_mask:0xf bank_mask:0xf
	v_and_b32_e32 v56, v57, v56
	v_add_u32_e32 v17, v17, v56
	v_lshrrev_b32_e32 v57, 6, v10
	s_nop 0
	v_mov_b32_dpp v56, v17 row_bcast:31 row_mask:0xf bank_mask:0xf
	v_cndmask_b32_e64 v56, 0, v56, s[8:9]
	v_add_u32_e32 v56, v17, v56
	v_and_b32_e32 v17, 63, v10
	v_cmp_eq_u32_e64 s[8:9], 63, v17
	s_and_saveexec_b64 s[16:17], s[8:9]
	s_cbranch_execz .LBB1981_123
; %bb.122:
	v_lshlrev_b32_e32 v17, 2, v57
	ds_write_b32 v17, v56
.LBB1981_123:
	s_or_b64 exec, exec, s[16:17]
	v_cmp_gt_u32_e64 s[8:9], 16, v10
	v_lshlrev_b32_e32 v17, 2, v10
	s_waitcnt lgkmcnt(0)
	s_barrier
	s_and_saveexec_b64 s[16:17], s[8:9]
	s_cbranch_execz .LBB1981_125
; %bb.124:
	ds_read_b32 v58, v17
	s_waitcnt lgkmcnt(0)
	s_nop 0
	v_mov_b32_dpp v59, v58 row_shr:1 row_mask:0xf bank_mask:0xf
	v_cndmask_b32_e64 v59, v59, 0, vcc
	v_add_u32_e32 v58, v59, v58
	s_nop 1
	v_mov_b32_dpp v59, v58 row_shr:2 row_mask:0xf bank_mask:0xf
	v_cndmask_b32_e64 v59, 0, v59, s[0:1]
	v_add_u32_e32 v58, v58, v59
	s_nop 1
	v_mov_b32_dpp v59, v58 row_shr:4 row_mask:0xf bank_mask:0xf
	v_cndmask_b32_e64 v59, 0, v59, s[2:3]
	;; [unrolled: 4-line block ×3, first 2 shown]
	v_add_u32_e32 v58, v58, v59
	ds_write_b32 v17, v58
.LBB1981_125:
	s_or_b64 exec, exec, s[16:17]
	v_cmp_lt_u32_e32 vcc, 63, v10
	v_mov_b32_e32 v58, 0
	s_waitcnt lgkmcnt(0)
	s_barrier
	s_and_saveexec_b64 s[0:1], vcc
	s_cbranch_execz .LBB1981_127
; %bb.126:
	v_lshl_add_u32 v57, v57, 2, -4
	ds_read_b32 v58, v57
.LBB1981_127:
	s_or_b64 exec, exec, s[0:1]
	v_add_u32_e32 v57, -1, v5
	v_and_b32_e32 v59, 64, v5
	v_cmp_lt_i32_e32 vcc, v57, v59
	v_cndmask_b32_e32 v57, v57, v5, vcc
	s_waitcnt lgkmcnt(0)
	v_add_u32_e32 v56, v58, v56
	v_lshlrev_b32_e32 v57, 2, v57
	ds_bpermute_b32 v56, v57, v56
	v_cmp_eq_u32_e32 vcc, 0, v5
	s_movk_i32 s2, 0xff
	s_movk_i32 s3, 0x100
	v_cmp_lt_u32_e64 s[0:1], s2, v10
	s_waitcnt lgkmcnt(0)
	v_cndmask_b32_e32 v5, v56, v58, vcc
	v_cmp_ne_u32_e32 vcc, 0, v10
	v_cndmask_b32_e32 v5, 0, v5, vcc
	v_add_u32_e32 v2, v5, v2
	v_add_u32_e32 v3, v2, v3
	v_add_u32_e32 v0, v3, v0
	v_add_u32_e32 v1, v0, v1
	ds_write2_b32 v6, v5, v2 offset0:16 offset1:17
	ds_write2_b32 v54, v3, v0 offset0:2 offset1:3
	ds_write_b32 v54, v1 offset:16
	s_waitcnt lgkmcnt(0)
	s_barrier
	ds_read_b32 v58, v7 offset:64
	ds_read_b32 v57, v12 offset:64
	;; [unrolled: 1-line block ×12, first 2 shown]
	v_cmp_gt_u32_e32 vcc, s3, v10
                                        ; implicit-def: $vgpr6
                                        ; implicit-def: $vgpr7
	s_and_saveexec_b64 s[4:5], vcc
	s_cbranch_execz .LBB1981_131
; %bb.128:
	v_mul_u32_u24_e32 v6, 17, v10
	v_lshlrev_b32_e32 v28, 2, v6
	ds_read_b32 v6, v28 offset:64
	v_cmp_ne_u32_e64 s[2:3], s2, v10
	v_mov_b32_e32 v7, 0x3000
	s_and_saveexec_b64 s[8:9], s[2:3]
	s_cbranch_execz .LBB1981_130
; %bb.129:
	ds_read_b32 v7, v28 offset:132
.LBB1981_130:
	s_or_b64 exec, exec, s[8:9]
	s_waitcnt lgkmcnt(0)
	v_sub_u32_e32 v7, v7, v6
.LBB1981_131:
	s_or_b64 exec, exec, s[4:5]
	v_add_u32_e32 v11, v13, v11
	s_waitcnt lgkmcnt(11)
	v_add_lshl_u32 v8, v58, v8, 1
	v_add_u32_e32 v15, v19, v15
	s_waitcnt lgkmcnt(0)
	s_barrier
	ds_write_b16 v8, v4 offset:1024
	v_add_lshl_u32 v4, v11, v57, 1
	v_add_u32_e32 v21, v24, v21
	ds_write_b16 v4, v9 offset:1024
	v_add_lshl_u32 v4, v15, v56, 1
	v_add_u32_e32 v26, v30, v26
	;; [unrolled: 3-line block ×5, first 2 shown]
	v_add_u32_e32 v33, v51, v49
	v_add_u32_e32 v38, v48, v46
	;; [unrolled: 1-line block ×4, first 2 shown]
	ds_write_b16 v4, v29 offset:1024
	v_add_lshl_u32 v4, v36, v12, 1
	ds_write_b16 v4, v34 offset:1024
	v_add_lshl_u32 v4, v40, v5, 1
	v_add_lshl_u32 v3, v41, v3, 1
	;; [unrolled: 1-line block ×5, first 2 shown]
	ds_write_b16 v4, v37 offset:1024
	ds_write_b16 v3, v32 offset:1024
	;; [unrolled: 1-line block ×5, first 2 shown]
	s_and_saveexec_b64 s[2:3], s[0:1]
	s_xor_b64 s[0:1], exec, s[2:3]
; %bb.132:
	v_mov_b32_e32 v11, 0
                                        ; implicit-def: $vgpr17
; %bb.133:
	s_andn2_saveexec_b64 s[2:3], s[0:1]
	s_cbranch_execz .LBB1981_143
; %bb.134:
	v_lshl_or_b32 v0, s6, 8, v10
	v_mov_b32_e32 v1, 0
	v_lshlrev_b64 v[2:3], 2, v[0:1]
	v_mov_b32_e32 v8, s25
	v_add_co_u32_e64 v2, s[0:1], s24, v2
	v_addc_co_u32_e64 v3, s[0:1], v8, v3, s[0:1]
	v_or_b32_e32 v0, 2.0, v7
	s_mov_b64 s[4:5], 0
	s_brev_b32 s22, 1
	s_mov_b32 s23, s6
	v_mov_b32_e32 v9, 0
	global_store_dword v[2:3], v0, off
                                        ; implicit-def: $sgpr0_sgpr1
	s_branch .LBB1981_137
.LBB1981_135:                           ;   in Loop: Header=BB1981_137 Depth=1
	s_or_b64 exec, exec, s[16:17]
.LBB1981_136:                           ;   in Loop: Header=BB1981_137 Depth=1
	s_or_b64 exec, exec, s[8:9]
	v_and_b32_e32 v4, 0x3fffffff, v11
	v_add_u32_e32 v9, v4, v9
	v_cmp_eq_u32_e64 s[0:1], s22, v0
	s_and_b64 s[8:9], exec, s[0:1]
	s_or_b64 s[4:5], s[8:9], s[4:5]
	s_andn2_b64 exec, exec, s[4:5]
	s_cbranch_execz .LBB1981_142
.LBB1981_137:                           ; =>This Loop Header: Depth=1
                                        ;     Child Loop BB1981_140 Depth 2
	s_or_b64 s[0:1], s[0:1], exec
	s_cmp_eq_u32 s23, 0
	s_cbranch_scc1 .LBB1981_141
; %bb.138:                              ;   in Loop: Header=BB1981_137 Depth=1
	s_add_i32 s23, s23, -1
	v_lshl_or_b32 v0, s23, 8, v10
	v_lshlrev_b64 v[4:5], 2, v[0:1]
	v_add_co_u32_e64 v4, s[0:1], s24, v4
	v_addc_co_u32_e64 v5, s[0:1], v8, v5, s[0:1]
	global_load_dword v11, v[4:5], off glc
	s_waitcnt vmcnt(0)
	v_and_b32_e32 v0, -2.0, v11
	v_cmp_eq_u32_e64 s[0:1], 0, v0
	s_and_saveexec_b64 s[8:9], s[0:1]
	s_cbranch_execz .LBB1981_136
; %bb.139:                              ;   in Loop: Header=BB1981_137 Depth=1
	s_mov_b64 s[16:17], 0
.LBB1981_140:                           ;   Parent Loop BB1981_137 Depth=1
                                        ; =>  This Inner Loop Header: Depth=2
	global_load_dword v11, v[4:5], off glc
	s_waitcnt vmcnt(0)
	v_and_b32_e32 v0, -2.0, v11
	v_cmp_ne_u32_e64 s[0:1], 0, v0
	s_or_b64 s[16:17], s[0:1], s[16:17]
	s_andn2_b64 exec, exec, s[16:17]
	s_cbranch_execnz .LBB1981_140
	s_branch .LBB1981_135
.LBB1981_141:                           ;   in Loop: Header=BB1981_137 Depth=1
                                        ; implicit-def: $sgpr23
	s_and_b64 s[8:9], exec, s[0:1]
	s_or_b64 s[4:5], s[8:9], s[4:5]
	s_andn2_b64 exec, exec, s[4:5]
	s_cbranch_execnz .LBB1981_137
.LBB1981_142:
	s_or_b64 exec, exec, s[4:5]
	v_add_u32_e32 v0, v9, v7
	v_or_b32_e32 v0, 0x80000000, v0
	global_store_dword v[2:3], v0, off
	global_load_dword v0, v17, s[12:13]
	v_sub_u32_e32 v1, v9, v6
	v_mov_b32_e32 v11, 0
	s_waitcnt vmcnt(0)
	v_add_u32_e32 v0, v1, v0
	ds_write_b32 v17, v0
.LBB1981_143:
	s_or_b64 exec, exec, s[2:3]
	v_lshlrev_b32_e32 v0, 1, v10
	s_waitcnt lgkmcnt(0)
	s_barrier
	v_lshlrev_b32_e32 v1, 1, v10
	ds_read_u16 v0, v0 offset:1024
	ds_read_u16 v4, v1 offset:3072
	;; [unrolled: 1-line block ×7, first 2 shown]
	s_waitcnt lgkmcnt(6)
	v_lshrrev_b32_sdwa v2, s20, v0 dst_sel:DWORD dst_unused:UNUSED_PAD src0_sel:DWORD src1_sel:WORD_0
	v_and_b32_e32 v2, s21, v2
	s_waitcnt lgkmcnt(4)
	v_lshrrev_b32_sdwa v3, s20, v5 dst_sel:DWORD dst_unused:UNUSED_PAD src0_sel:DWORD src1_sel:WORD_0
	v_xor_b32_e32 v14, 0xffff8000, v0
	v_lshlrev_b32_e32 v0, 2, v2
	v_lshrrev_b32_sdwa v2, s20, v4 dst_sel:DWORD dst_unused:UNUSED_PAD src0_sel:DWORD src1_sel:WORD_0
	v_and_b32_e32 v3, s21, v3
	v_and_b32_e32 v2, s21, v2
	v_lshlrev_b32_e32 v3, 2, v3
	v_lshlrev_b32_e32 v2, 2, v2
	ds_read_b32 v15, v3
	ds_read_b32 v0, v0
	ds_read_u16 v16, v1 offset:5120
	ds_read_u16 v17, v1 offset:9216
	;; [unrolled: 1-line block ×4, first 2 shown]
	ds_read_b32 v20, v2
	ds_read_u16 v21, v1 offset:21504
	s_waitcnt lgkmcnt(6)
	v_add_u32_e32 v0, v0, v10
	v_mov_b32_e32 v1, 0
	v_lshlrev_b64 v[2:3], 1, v[0:1]
	v_mov_b32_e32 v0, s19
	v_add_co_u32_e64 v2, s[0:1], s18, v2
	v_addc_co_u32_e64 v3, s[0:1], v0, v3, s[0:1]
	s_movk_i32 s0, 0x400
	s_waitcnt lgkmcnt(1)
	v_add3_u32 v0, v20, v10, s0
	global_store_short v[2:3], v14, off
	v_lshlrev_b64 v[2:3], 1, v[0:1]
	v_mov_b32_e32 v0, s19
	v_add_co_u32_e64 v2, s[0:1], s18, v2
	v_xor_b32_e32 v4, 0xffff8000, v4
	v_addc_co_u32_e64 v3, s[0:1], v0, v3, s[0:1]
	global_store_short v[2:3], v4, off
	v_lshrrev_b32_sdwa v0, s20, v16 dst_sel:DWORD dst_unused:UNUSED_PAD src0_sel:DWORD src1_sel:WORD_0
	v_xor_b32_e32 v4, 0xffff8000, v16
	v_lshrrev_b32_sdwa v14, s20, v18 dst_sel:DWORD dst_unused:UNUSED_PAD src0_sel:DWORD src1_sel:WORD_0
	v_lshrrev_b32_sdwa v16, s20, v9 dst_sel:DWORD dst_unused:UNUSED_PAD src0_sel:DWORD src1_sel:WORD_0
	;; [unrolled: 1-line block ×4, first 2 shown]
	s_waitcnt lgkmcnt(0)
	v_lshrrev_b32_sdwa v23, s20, v21 dst_sel:DWORD dst_unused:UNUSED_PAD src0_sel:DWORD src1_sel:WORD_0
	v_and_b32_e32 v0, s21, v0
	v_lshrrev_b32_sdwa v2, s20, v17 dst_sel:DWORD dst_unused:UNUSED_PAD src0_sel:DWORD src1_sel:WORD_0
	v_lshrrev_b32_sdwa v3, s20, v8 dst_sel:DWORD dst_unused:UNUSED_PAD src0_sel:DWORD src1_sel:WORD_0
	v_and_b32_e32 v14, s21, v14
	v_and_b32_e32 v16, s21, v16
	;; [unrolled: 1-line block ×5, first 2 shown]
	v_lshlrev_b32_e32 v0, 2, v0
	v_and_b32_e32 v2, s21, v2
	v_and_b32_e32 v3, s21, v3
	v_lshlrev_b32_e32 v14, 2, v14
	v_lshlrev_b32_e32 v16, 2, v16
	;; [unrolled: 1-line block ×5, first 2 shown]
	s_movk_i32 s0, 0x800
	v_lshlrev_b32_e32 v2, 2, v2
	v_lshlrev_b32_e32 v3, 2, v3
	ds_read_b32 v0, v0
	ds_read_b32 v24, v2
	;; [unrolled: 1-line block ×8, first 2 shown]
	s_waitcnt lgkmcnt(7)
	v_add3_u32 v0, v0, v10, s0
	v_lshlrev_b64 v[2:3], 1, v[0:1]
	v_mov_b32_e32 v0, s19
	v_add_co_u32_e64 v2, s[0:1], s18, v2
	v_addc_co_u32_e64 v3, s[0:1], v0, v3, s[0:1]
	s_movk_i32 s0, 0xc00
	v_add3_u32 v0, v15, v10, s0
	global_store_short v[2:3], v4, off
	v_lshlrev_b64 v[2:3], 1, v[0:1]
	v_mov_b32_e32 v0, s19
	v_add_co_u32_e64 v2, s[0:1], s18, v2
	v_addc_co_u32_e64 v3, s[0:1], v0, v3, s[0:1]
	s_movk_i32 s0, 0x1000
	v_xor_b32_e32 v4, 0xffff8000, v5
	s_waitcnt lgkmcnt(6)
	v_add3_u32 v0, v24, v10, s0
	global_store_short v[2:3], v4, off
	v_lshlrev_b64 v[2:3], 1, v[0:1]
	v_mov_b32_e32 v0, s19
	v_add_co_u32_e64 v2, s[0:1], s18, v2
	v_addc_co_u32_e64 v3, s[0:1], v0, v3, s[0:1]
	s_movk_i32 s0, 0x1400
	v_xor_b32_e32 v4, 0xffff8000, v17
	s_waitcnt lgkmcnt(5)
	;; [unrolled: 9-line block ×6, first 2 shown]
	v_add3_u32 v0, v22, v10, s0
	global_store_short v[2:3], v4, off
	v_lshlrev_b64 v[2:3], 1, v[0:1]
	v_mov_b32_e32 v0, s19
	v_add_co_u32_e64 v2, s[0:1], s18, v2
	v_lshrrev_b32_sdwa v5, s20, v13 dst_sel:DWORD dst_unused:UNUSED_PAD src0_sel:DWORD src1_sel:WORD_0
	v_addc_co_u32_e64 v3, s[0:1], v0, v3, s[0:1]
	v_and_b32_e32 v5, s21, v5
	s_movk_i32 s0, 0x2800
	v_lshlrev_b32_e32 v5, 2, v5
	v_xor_b32_e32 v4, 0xffff8000, v12
	s_waitcnt lgkmcnt(0)
	v_add3_u32 v0, v23, v10, s0
	ds_read_b32 v5, v5
	global_store_short v[2:3], v4, off
	v_lshlrev_b64 v[2:3], 1, v[0:1]
	v_mov_b32_e32 v0, s19
	v_add_co_u32_e64 v2, s[0:1], s18, v2
	v_addc_co_u32_e64 v3, s[0:1], v0, v3, s[0:1]
	s_movk_i32 s0, 0x2c00
	s_waitcnt lgkmcnt(0)
	v_add3_u32 v0, v5, v10, s0
	v_xor_b32_e32 v4, 0xffff8000, v21
	v_lshlrev_b64 v[0:1], 1, v[0:1]
	global_store_short v[2:3], v4, off
	v_mov_b32_e32 v3, s19
	v_add_co_u32_e64 v0, s[0:1], s18, v0
	s_add_i32 s7, s7, -1
	v_addc_co_u32_e64 v1, s[0:1], v3, v1, s[0:1]
	s_cmp_eq_u32 s7, s6
	s_cselect_b64 s[0:1], -1, 0
	v_xor_b32_e32 v2, 0xffff8000, v13
	s_and_b64 s[2:3], vcc, s[0:1]
	global_store_short v[0:1], v2, off
                                        ; implicit-def: $vgpr2
	s_and_saveexec_b64 s[0:1], s[2:3]
; %bb.144:
	v_add_u32_e32 v2, v6, v7
	s_or_b64 s[10:11], s[10:11], exec
; %bb.145:
	s_or_b64 exec, exec, s[0:1]
.LBB1981_146:
	s_and_saveexec_b64 s[0:1], s[10:11]
	s_cbranch_execnz .LBB1981_148
; %bb.147:
	s_endpgm
.LBB1981_148:
	v_lshlrev_b32_e32 v3, 2, v10
	ds_read_b32 v3, v3
	v_lshlrev_b64 v[0:1], 2, v[10:11]
	v_mov_b32_e32 v4, s15
	v_add_co_u32_e32 v0, vcc, s14, v0
	v_addc_co_u32_e32 v1, vcc, v4, v1, vcc
	s_waitcnt lgkmcnt(0)
	v_add_u32_e32 v2, v3, v2
	global_store_dword v[0:1], v2, off
	s_endpgm
	.section	.rodata,"a",@progbits
	.p2align	6, 0x0
	.amdhsa_kernel _ZN7rocprim17ROCPRIM_400000_NS6detail17trampoline_kernelINS0_14default_configENS1_35radix_sort_onesweep_config_selectorIsNS0_10empty_typeEEEZZNS1_29radix_sort_onesweep_iterationIS3_Lb0EN6thrust23THRUST_200600_302600_NS6detail15normal_iteratorINS9_10device_ptrIsEEEESE_PS5_SF_jNS0_19identity_decomposerENS1_16block_id_wrapperIjLb0EEEEE10hipError_tT1_PNSt15iterator_traitsISK_E10value_typeET2_T3_PNSL_ISQ_E10value_typeET4_T5_PSV_SW_PNS1_23onesweep_lookback_stateEbbT6_jjT7_P12ihipStream_tbENKUlT_T0_SK_SP_E_clISE_SE_SF_SF_EEDaS13_S14_SK_SP_EUlS13_E_NS1_11comp_targetILNS1_3genE4ELNS1_11target_archE910ELNS1_3gpuE8ELNS1_3repE0EEENS1_47radix_sort_onesweep_sort_config_static_selectorELNS0_4arch9wavefront6targetE1EEEvSK_
		.amdhsa_group_segment_fixed_size 25608
		.amdhsa_private_segment_fixed_size 0
		.amdhsa_kernarg_size 344
		.amdhsa_user_sgpr_count 6
		.amdhsa_user_sgpr_private_segment_buffer 1
		.amdhsa_user_sgpr_dispatch_ptr 0
		.amdhsa_user_sgpr_queue_ptr 0
		.amdhsa_user_sgpr_kernarg_segment_ptr 1
		.amdhsa_user_sgpr_dispatch_id 0
		.amdhsa_user_sgpr_flat_scratch_init 0
		.amdhsa_user_sgpr_kernarg_preload_length 0
		.amdhsa_user_sgpr_kernarg_preload_offset 0
		.amdhsa_user_sgpr_private_segment_size 0
		.amdhsa_uses_dynamic_stack 0
		.amdhsa_system_sgpr_private_segment_wavefront_offset 0
		.amdhsa_system_sgpr_workgroup_id_x 1
		.amdhsa_system_sgpr_workgroup_id_y 0
		.amdhsa_system_sgpr_workgroup_id_z 0
		.amdhsa_system_sgpr_workgroup_info 0
		.amdhsa_system_vgpr_workitem_id 2
		.amdhsa_next_free_vgpr 62
		.amdhsa_next_free_sgpr 44
		.amdhsa_accum_offset 64
		.amdhsa_reserve_vcc 1
		.amdhsa_reserve_flat_scratch 0
		.amdhsa_float_round_mode_32 0
		.amdhsa_float_round_mode_16_64 0
		.amdhsa_float_denorm_mode_32 3
		.amdhsa_float_denorm_mode_16_64 3
		.amdhsa_dx10_clamp 1
		.amdhsa_ieee_mode 1
		.amdhsa_fp16_overflow 0
		.amdhsa_tg_split 0
		.amdhsa_exception_fp_ieee_invalid_op 0
		.amdhsa_exception_fp_denorm_src 0
		.amdhsa_exception_fp_ieee_div_zero 0
		.amdhsa_exception_fp_ieee_overflow 0
		.amdhsa_exception_fp_ieee_underflow 0
		.amdhsa_exception_fp_ieee_inexact 0
		.amdhsa_exception_int_div_zero 0
	.end_amdhsa_kernel
	.section	.text._ZN7rocprim17ROCPRIM_400000_NS6detail17trampoline_kernelINS0_14default_configENS1_35radix_sort_onesweep_config_selectorIsNS0_10empty_typeEEEZZNS1_29radix_sort_onesweep_iterationIS3_Lb0EN6thrust23THRUST_200600_302600_NS6detail15normal_iteratorINS9_10device_ptrIsEEEESE_PS5_SF_jNS0_19identity_decomposerENS1_16block_id_wrapperIjLb0EEEEE10hipError_tT1_PNSt15iterator_traitsISK_E10value_typeET2_T3_PNSL_ISQ_E10value_typeET4_T5_PSV_SW_PNS1_23onesweep_lookback_stateEbbT6_jjT7_P12ihipStream_tbENKUlT_T0_SK_SP_E_clISE_SE_SF_SF_EEDaS13_S14_SK_SP_EUlS13_E_NS1_11comp_targetILNS1_3genE4ELNS1_11target_archE910ELNS1_3gpuE8ELNS1_3repE0EEENS1_47radix_sort_onesweep_sort_config_static_selectorELNS0_4arch9wavefront6targetE1EEEvSK_,"axG",@progbits,_ZN7rocprim17ROCPRIM_400000_NS6detail17trampoline_kernelINS0_14default_configENS1_35radix_sort_onesweep_config_selectorIsNS0_10empty_typeEEEZZNS1_29radix_sort_onesweep_iterationIS3_Lb0EN6thrust23THRUST_200600_302600_NS6detail15normal_iteratorINS9_10device_ptrIsEEEESE_PS5_SF_jNS0_19identity_decomposerENS1_16block_id_wrapperIjLb0EEEEE10hipError_tT1_PNSt15iterator_traitsISK_E10value_typeET2_T3_PNSL_ISQ_E10value_typeET4_T5_PSV_SW_PNS1_23onesweep_lookback_stateEbbT6_jjT7_P12ihipStream_tbENKUlT_T0_SK_SP_E_clISE_SE_SF_SF_EEDaS13_S14_SK_SP_EUlS13_E_NS1_11comp_targetILNS1_3genE4ELNS1_11target_archE910ELNS1_3gpuE8ELNS1_3repE0EEENS1_47radix_sort_onesweep_sort_config_static_selectorELNS0_4arch9wavefront6targetE1EEEvSK_,comdat
.Lfunc_end1981:
	.size	_ZN7rocprim17ROCPRIM_400000_NS6detail17trampoline_kernelINS0_14default_configENS1_35radix_sort_onesweep_config_selectorIsNS0_10empty_typeEEEZZNS1_29radix_sort_onesweep_iterationIS3_Lb0EN6thrust23THRUST_200600_302600_NS6detail15normal_iteratorINS9_10device_ptrIsEEEESE_PS5_SF_jNS0_19identity_decomposerENS1_16block_id_wrapperIjLb0EEEEE10hipError_tT1_PNSt15iterator_traitsISK_E10value_typeET2_T3_PNSL_ISQ_E10value_typeET4_T5_PSV_SW_PNS1_23onesweep_lookback_stateEbbT6_jjT7_P12ihipStream_tbENKUlT_T0_SK_SP_E_clISE_SE_SF_SF_EEDaS13_S14_SK_SP_EUlS13_E_NS1_11comp_targetILNS1_3genE4ELNS1_11target_archE910ELNS1_3gpuE8ELNS1_3repE0EEENS1_47radix_sort_onesweep_sort_config_static_selectorELNS0_4arch9wavefront6targetE1EEEvSK_, .Lfunc_end1981-_ZN7rocprim17ROCPRIM_400000_NS6detail17trampoline_kernelINS0_14default_configENS1_35radix_sort_onesweep_config_selectorIsNS0_10empty_typeEEEZZNS1_29radix_sort_onesweep_iterationIS3_Lb0EN6thrust23THRUST_200600_302600_NS6detail15normal_iteratorINS9_10device_ptrIsEEEESE_PS5_SF_jNS0_19identity_decomposerENS1_16block_id_wrapperIjLb0EEEEE10hipError_tT1_PNSt15iterator_traitsISK_E10value_typeET2_T3_PNSL_ISQ_E10value_typeET4_T5_PSV_SW_PNS1_23onesweep_lookback_stateEbbT6_jjT7_P12ihipStream_tbENKUlT_T0_SK_SP_E_clISE_SE_SF_SF_EEDaS13_S14_SK_SP_EUlS13_E_NS1_11comp_targetILNS1_3genE4ELNS1_11target_archE910ELNS1_3gpuE8ELNS1_3repE0EEENS1_47radix_sort_onesweep_sort_config_static_selectorELNS0_4arch9wavefront6targetE1EEEvSK_
                                        ; -- End function
	.section	.AMDGPU.csdata,"",@progbits
; Kernel info:
; codeLenInByte = 15876
; NumSgprs: 48
; NumVgprs: 62
; NumAgprs: 0
; TotalNumVgprs: 62
; ScratchSize: 0
; MemoryBound: 0
; FloatMode: 240
; IeeeMode: 1
; LDSByteSize: 25608 bytes/workgroup (compile time only)
; SGPRBlocks: 5
; VGPRBlocks: 7
; NumSGPRsForWavesPerEU: 48
; NumVGPRsForWavesPerEU: 62
; AccumOffset: 64
; Occupancy: 8
; WaveLimiterHint : 1
; COMPUTE_PGM_RSRC2:SCRATCH_EN: 0
; COMPUTE_PGM_RSRC2:USER_SGPR: 6
; COMPUTE_PGM_RSRC2:TRAP_HANDLER: 0
; COMPUTE_PGM_RSRC2:TGID_X_EN: 1
; COMPUTE_PGM_RSRC2:TGID_Y_EN: 0
; COMPUTE_PGM_RSRC2:TGID_Z_EN: 0
; COMPUTE_PGM_RSRC2:TIDIG_COMP_CNT: 2
; COMPUTE_PGM_RSRC3_GFX90A:ACCUM_OFFSET: 15
; COMPUTE_PGM_RSRC3_GFX90A:TG_SPLIT: 0
	.section	.text._ZN7rocprim17ROCPRIM_400000_NS6detail17trampoline_kernelINS0_14default_configENS1_35radix_sort_onesweep_config_selectorIsNS0_10empty_typeEEEZZNS1_29radix_sort_onesweep_iterationIS3_Lb0EN6thrust23THRUST_200600_302600_NS6detail15normal_iteratorINS9_10device_ptrIsEEEESE_PS5_SF_jNS0_19identity_decomposerENS1_16block_id_wrapperIjLb0EEEEE10hipError_tT1_PNSt15iterator_traitsISK_E10value_typeET2_T3_PNSL_ISQ_E10value_typeET4_T5_PSV_SW_PNS1_23onesweep_lookback_stateEbbT6_jjT7_P12ihipStream_tbENKUlT_T0_SK_SP_E_clISE_SE_SF_SF_EEDaS13_S14_SK_SP_EUlS13_E_NS1_11comp_targetILNS1_3genE3ELNS1_11target_archE908ELNS1_3gpuE7ELNS1_3repE0EEENS1_47radix_sort_onesweep_sort_config_static_selectorELNS0_4arch9wavefront6targetE1EEEvSK_,"axG",@progbits,_ZN7rocprim17ROCPRIM_400000_NS6detail17trampoline_kernelINS0_14default_configENS1_35radix_sort_onesweep_config_selectorIsNS0_10empty_typeEEEZZNS1_29radix_sort_onesweep_iterationIS3_Lb0EN6thrust23THRUST_200600_302600_NS6detail15normal_iteratorINS9_10device_ptrIsEEEESE_PS5_SF_jNS0_19identity_decomposerENS1_16block_id_wrapperIjLb0EEEEE10hipError_tT1_PNSt15iterator_traitsISK_E10value_typeET2_T3_PNSL_ISQ_E10value_typeET4_T5_PSV_SW_PNS1_23onesweep_lookback_stateEbbT6_jjT7_P12ihipStream_tbENKUlT_T0_SK_SP_E_clISE_SE_SF_SF_EEDaS13_S14_SK_SP_EUlS13_E_NS1_11comp_targetILNS1_3genE3ELNS1_11target_archE908ELNS1_3gpuE7ELNS1_3repE0EEENS1_47radix_sort_onesweep_sort_config_static_selectorELNS0_4arch9wavefront6targetE1EEEvSK_,comdat
	.protected	_ZN7rocprim17ROCPRIM_400000_NS6detail17trampoline_kernelINS0_14default_configENS1_35radix_sort_onesweep_config_selectorIsNS0_10empty_typeEEEZZNS1_29radix_sort_onesweep_iterationIS3_Lb0EN6thrust23THRUST_200600_302600_NS6detail15normal_iteratorINS9_10device_ptrIsEEEESE_PS5_SF_jNS0_19identity_decomposerENS1_16block_id_wrapperIjLb0EEEEE10hipError_tT1_PNSt15iterator_traitsISK_E10value_typeET2_T3_PNSL_ISQ_E10value_typeET4_T5_PSV_SW_PNS1_23onesweep_lookback_stateEbbT6_jjT7_P12ihipStream_tbENKUlT_T0_SK_SP_E_clISE_SE_SF_SF_EEDaS13_S14_SK_SP_EUlS13_E_NS1_11comp_targetILNS1_3genE3ELNS1_11target_archE908ELNS1_3gpuE7ELNS1_3repE0EEENS1_47radix_sort_onesweep_sort_config_static_selectorELNS0_4arch9wavefront6targetE1EEEvSK_ ; -- Begin function _ZN7rocprim17ROCPRIM_400000_NS6detail17trampoline_kernelINS0_14default_configENS1_35radix_sort_onesweep_config_selectorIsNS0_10empty_typeEEEZZNS1_29radix_sort_onesweep_iterationIS3_Lb0EN6thrust23THRUST_200600_302600_NS6detail15normal_iteratorINS9_10device_ptrIsEEEESE_PS5_SF_jNS0_19identity_decomposerENS1_16block_id_wrapperIjLb0EEEEE10hipError_tT1_PNSt15iterator_traitsISK_E10value_typeET2_T3_PNSL_ISQ_E10value_typeET4_T5_PSV_SW_PNS1_23onesweep_lookback_stateEbbT6_jjT7_P12ihipStream_tbENKUlT_T0_SK_SP_E_clISE_SE_SF_SF_EEDaS13_S14_SK_SP_EUlS13_E_NS1_11comp_targetILNS1_3genE3ELNS1_11target_archE908ELNS1_3gpuE7ELNS1_3repE0EEENS1_47radix_sort_onesweep_sort_config_static_selectorELNS0_4arch9wavefront6targetE1EEEvSK_
	.globl	_ZN7rocprim17ROCPRIM_400000_NS6detail17trampoline_kernelINS0_14default_configENS1_35radix_sort_onesweep_config_selectorIsNS0_10empty_typeEEEZZNS1_29radix_sort_onesweep_iterationIS3_Lb0EN6thrust23THRUST_200600_302600_NS6detail15normal_iteratorINS9_10device_ptrIsEEEESE_PS5_SF_jNS0_19identity_decomposerENS1_16block_id_wrapperIjLb0EEEEE10hipError_tT1_PNSt15iterator_traitsISK_E10value_typeET2_T3_PNSL_ISQ_E10value_typeET4_T5_PSV_SW_PNS1_23onesweep_lookback_stateEbbT6_jjT7_P12ihipStream_tbENKUlT_T0_SK_SP_E_clISE_SE_SF_SF_EEDaS13_S14_SK_SP_EUlS13_E_NS1_11comp_targetILNS1_3genE3ELNS1_11target_archE908ELNS1_3gpuE7ELNS1_3repE0EEENS1_47radix_sort_onesweep_sort_config_static_selectorELNS0_4arch9wavefront6targetE1EEEvSK_
	.p2align	8
	.type	_ZN7rocprim17ROCPRIM_400000_NS6detail17trampoline_kernelINS0_14default_configENS1_35radix_sort_onesweep_config_selectorIsNS0_10empty_typeEEEZZNS1_29radix_sort_onesweep_iterationIS3_Lb0EN6thrust23THRUST_200600_302600_NS6detail15normal_iteratorINS9_10device_ptrIsEEEESE_PS5_SF_jNS0_19identity_decomposerENS1_16block_id_wrapperIjLb0EEEEE10hipError_tT1_PNSt15iterator_traitsISK_E10value_typeET2_T3_PNSL_ISQ_E10value_typeET4_T5_PSV_SW_PNS1_23onesweep_lookback_stateEbbT6_jjT7_P12ihipStream_tbENKUlT_T0_SK_SP_E_clISE_SE_SF_SF_EEDaS13_S14_SK_SP_EUlS13_E_NS1_11comp_targetILNS1_3genE3ELNS1_11target_archE908ELNS1_3gpuE7ELNS1_3repE0EEENS1_47radix_sort_onesweep_sort_config_static_selectorELNS0_4arch9wavefront6targetE1EEEvSK_,@function
_ZN7rocprim17ROCPRIM_400000_NS6detail17trampoline_kernelINS0_14default_configENS1_35radix_sort_onesweep_config_selectorIsNS0_10empty_typeEEEZZNS1_29radix_sort_onesweep_iterationIS3_Lb0EN6thrust23THRUST_200600_302600_NS6detail15normal_iteratorINS9_10device_ptrIsEEEESE_PS5_SF_jNS0_19identity_decomposerENS1_16block_id_wrapperIjLb0EEEEE10hipError_tT1_PNSt15iterator_traitsISK_E10value_typeET2_T3_PNSL_ISQ_E10value_typeET4_T5_PSV_SW_PNS1_23onesweep_lookback_stateEbbT6_jjT7_P12ihipStream_tbENKUlT_T0_SK_SP_E_clISE_SE_SF_SF_EEDaS13_S14_SK_SP_EUlS13_E_NS1_11comp_targetILNS1_3genE3ELNS1_11target_archE908ELNS1_3gpuE7ELNS1_3repE0EEENS1_47radix_sort_onesweep_sort_config_static_selectorELNS0_4arch9wavefront6targetE1EEEvSK_: ; @_ZN7rocprim17ROCPRIM_400000_NS6detail17trampoline_kernelINS0_14default_configENS1_35radix_sort_onesweep_config_selectorIsNS0_10empty_typeEEEZZNS1_29radix_sort_onesweep_iterationIS3_Lb0EN6thrust23THRUST_200600_302600_NS6detail15normal_iteratorINS9_10device_ptrIsEEEESE_PS5_SF_jNS0_19identity_decomposerENS1_16block_id_wrapperIjLb0EEEEE10hipError_tT1_PNSt15iterator_traitsISK_E10value_typeET2_T3_PNSL_ISQ_E10value_typeET4_T5_PSV_SW_PNS1_23onesweep_lookback_stateEbbT6_jjT7_P12ihipStream_tbENKUlT_T0_SK_SP_E_clISE_SE_SF_SF_EEDaS13_S14_SK_SP_EUlS13_E_NS1_11comp_targetILNS1_3genE3ELNS1_11target_archE908ELNS1_3gpuE7ELNS1_3repE0EEENS1_47radix_sort_onesweep_sort_config_static_selectorELNS0_4arch9wavefront6targetE1EEEvSK_
; %bb.0:
	.section	.rodata,"a",@progbits
	.p2align	6, 0x0
	.amdhsa_kernel _ZN7rocprim17ROCPRIM_400000_NS6detail17trampoline_kernelINS0_14default_configENS1_35radix_sort_onesweep_config_selectorIsNS0_10empty_typeEEEZZNS1_29radix_sort_onesweep_iterationIS3_Lb0EN6thrust23THRUST_200600_302600_NS6detail15normal_iteratorINS9_10device_ptrIsEEEESE_PS5_SF_jNS0_19identity_decomposerENS1_16block_id_wrapperIjLb0EEEEE10hipError_tT1_PNSt15iterator_traitsISK_E10value_typeET2_T3_PNSL_ISQ_E10value_typeET4_T5_PSV_SW_PNS1_23onesweep_lookback_stateEbbT6_jjT7_P12ihipStream_tbENKUlT_T0_SK_SP_E_clISE_SE_SF_SF_EEDaS13_S14_SK_SP_EUlS13_E_NS1_11comp_targetILNS1_3genE3ELNS1_11target_archE908ELNS1_3gpuE7ELNS1_3repE0EEENS1_47radix_sort_onesweep_sort_config_static_selectorELNS0_4arch9wavefront6targetE1EEEvSK_
		.amdhsa_group_segment_fixed_size 0
		.amdhsa_private_segment_fixed_size 0
		.amdhsa_kernarg_size 88
		.amdhsa_user_sgpr_count 6
		.amdhsa_user_sgpr_private_segment_buffer 1
		.amdhsa_user_sgpr_dispatch_ptr 0
		.amdhsa_user_sgpr_queue_ptr 0
		.amdhsa_user_sgpr_kernarg_segment_ptr 1
		.amdhsa_user_sgpr_dispatch_id 0
		.amdhsa_user_sgpr_flat_scratch_init 0
		.amdhsa_user_sgpr_kernarg_preload_length 0
		.amdhsa_user_sgpr_kernarg_preload_offset 0
		.amdhsa_user_sgpr_private_segment_size 0
		.amdhsa_uses_dynamic_stack 0
		.amdhsa_system_sgpr_private_segment_wavefront_offset 0
		.amdhsa_system_sgpr_workgroup_id_x 1
		.amdhsa_system_sgpr_workgroup_id_y 0
		.amdhsa_system_sgpr_workgroup_id_z 0
		.amdhsa_system_sgpr_workgroup_info 0
		.amdhsa_system_vgpr_workitem_id 0
		.amdhsa_next_free_vgpr 1
		.amdhsa_next_free_sgpr 0
		.amdhsa_accum_offset 4
		.amdhsa_reserve_vcc 0
		.amdhsa_reserve_flat_scratch 0
		.amdhsa_float_round_mode_32 0
		.amdhsa_float_round_mode_16_64 0
		.amdhsa_float_denorm_mode_32 3
		.amdhsa_float_denorm_mode_16_64 3
		.amdhsa_dx10_clamp 1
		.amdhsa_ieee_mode 1
		.amdhsa_fp16_overflow 0
		.amdhsa_tg_split 0
		.amdhsa_exception_fp_ieee_invalid_op 0
		.amdhsa_exception_fp_denorm_src 0
		.amdhsa_exception_fp_ieee_div_zero 0
		.amdhsa_exception_fp_ieee_overflow 0
		.amdhsa_exception_fp_ieee_underflow 0
		.amdhsa_exception_fp_ieee_inexact 0
		.amdhsa_exception_int_div_zero 0
	.end_amdhsa_kernel
	.section	.text._ZN7rocprim17ROCPRIM_400000_NS6detail17trampoline_kernelINS0_14default_configENS1_35radix_sort_onesweep_config_selectorIsNS0_10empty_typeEEEZZNS1_29radix_sort_onesweep_iterationIS3_Lb0EN6thrust23THRUST_200600_302600_NS6detail15normal_iteratorINS9_10device_ptrIsEEEESE_PS5_SF_jNS0_19identity_decomposerENS1_16block_id_wrapperIjLb0EEEEE10hipError_tT1_PNSt15iterator_traitsISK_E10value_typeET2_T3_PNSL_ISQ_E10value_typeET4_T5_PSV_SW_PNS1_23onesweep_lookback_stateEbbT6_jjT7_P12ihipStream_tbENKUlT_T0_SK_SP_E_clISE_SE_SF_SF_EEDaS13_S14_SK_SP_EUlS13_E_NS1_11comp_targetILNS1_3genE3ELNS1_11target_archE908ELNS1_3gpuE7ELNS1_3repE0EEENS1_47radix_sort_onesweep_sort_config_static_selectorELNS0_4arch9wavefront6targetE1EEEvSK_,"axG",@progbits,_ZN7rocprim17ROCPRIM_400000_NS6detail17trampoline_kernelINS0_14default_configENS1_35radix_sort_onesweep_config_selectorIsNS0_10empty_typeEEEZZNS1_29radix_sort_onesweep_iterationIS3_Lb0EN6thrust23THRUST_200600_302600_NS6detail15normal_iteratorINS9_10device_ptrIsEEEESE_PS5_SF_jNS0_19identity_decomposerENS1_16block_id_wrapperIjLb0EEEEE10hipError_tT1_PNSt15iterator_traitsISK_E10value_typeET2_T3_PNSL_ISQ_E10value_typeET4_T5_PSV_SW_PNS1_23onesweep_lookback_stateEbbT6_jjT7_P12ihipStream_tbENKUlT_T0_SK_SP_E_clISE_SE_SF_SF_EEDaS13_S14_SK_SP_EUlS13_E_NS1_11comp_targetILNS1_3genE3ELNS1_11target_archE908ELNS1_3gpuE7ELNS1_3repE0EEENS1_47radix_sort_onesweep_sort_config_static_selectorELNS0_4arch9wavefront6targetE1EEEvSK_,comdat
.Lfunc_end1982:
	.size	_ZN7rocprim17ROCPRIM_400000_NS6detail17trampoline_kernelINS0_14default_configENS1_35radix_sort_onesweep_config_selectorIsNS0_10empty_typeEEEZZNS1_29radix_sort_onesweep_iterationIS3_Lb0EN6thrust23THRUST_200600_302600_NS6detail15normal_iteratorINS9_10device_ptrIsEEEESE_PS5_SF_jNS0_19identity_decomposerENS1_16block_id_wrapperIjLb0EEEEE10hipError_tT1_PNSt15iterator_traitsISK_E10value_typeET2_T3_PNSL_ISQ_E10value_typeET4_T5_PSV_SW_PNS1_23onesweep_lookback_stateEbbT6_jjT7_P12ihipStream_tbENKUlT_T0_SK_SP_E_clISE_SE_SF_SF_EEDaS13_S14_SK_SP_EUlS13_E_NS1_11comp_targetILNS1_3genE3ELNS1_11target_archE908ELNS1_3gpuE7ELNS1_3repE0EEENS1_47radix_sort_onesweep_sort_config_static_selectorELNS0_4arch9wavefront6targetE1EEEvSK_, .Lfunc_end1982-_ZN7rocprim17ROCPRIM_400000_NS6detail17trampoline_kernelINS0_14default_configENS1_35radix_sort_onesweep_config_selectorIsNS0_10empty_typeEEEZZNS1_29radix_sort_onesweep_iterationIS3_Lb0EN6thrust23THRUST_200600_302600_NS6detail15normal_iteratorINS9_10device_ptrIsEEEESE_PS5_SF_jNS0_19identity_decomposerENS1_16block_id_wrapperIjLb0EEEEE10hipError_tT1_PNSt15iterator_traitsISK_E10value_typeET2_T3_PNSL_ISQ_E10value_typeET4_T5_PSV_SW_PNS1_23onesweep_lookback_stateEbbT6_jjT7_P12ihipStream_tbENKUlT_T0_SK_SP_E_clISE_SE_SF_SF_EEDaS13_S14_SK_SP_EUlS13_E_NS1_11comp_targetILNS1_3genE3ELNS1_11target_archE908ELNS1_3gpuE7ELNS1_3repE0EEENS1_47radix_sort_onesweep_sort_config_static_selectorELNS0_4arch9wavefront6targetE1EEEvSK_
                                        ; -- End function
	.section	.AMDGPU.csdata,"",@progbits
; Kernel info:
; codeLenInByte = 0
; NumSgprs: 4
; NumVgprs: 0
; NumAgprs: 0
; TotalNumVgprs: 0
; ScratchSize: 0
; MemoryBound: 0
; FloatMode: 240
; IeeeMode: 1
; LDSByteSize: 0 bytes/workgroup (compile time only)
; SGPRBlocks: 0
; VGPRBlocks: 0
; NumSGPRsForWavesPerEU: 4
; NumVGPRsForWavesPerEU: 1
; AccumOffset: 4
; Occupancy: 8
; WaveLimiterHint : 0
; COMPUTE_PGM_RSRC2:SCRATCH_EN: 0
; COMPUTE_PGM_RSRC2:USER_SGPR: 6
; COMPUTE_PGM_RSRC2:TRAP_HANDLER: 0
; COMPUTE_PGM_RSRC2:TGID_X_EN: 1
; COMPUTE_PGM_RSRC2:TGID_Y_EN: 0
; COMPUTE_PGM_RSRC2:TGID_Z_EN: 0
; COMPUTE_PGM_RSRC2:TIDIG_COMP_CNT: 0
; COMPUTE_PGM_RSRC3_GFX90A:ACCUM_OFFSET: 0
; COMPUTE_PGM_RSRC3_GFX90A:TG_SPLIT: 0
	.section	.text._ZN7rocprim17ROCPRIM_400000_NS6detail17trampoline_kernelINS0_14default_configENS1_35radix_sort_onesweep_config_selectorIsNS0_10empty_typeEEEZZNS1_29radix_sort_onesweep_iterationIS3_Lb0EN6thrust23THRUST_200600_302600_NS6detail15normal_iteratorINS9_10device_ptrIsEEEESE_PS5_SF_jNS0_19identity_decomposerENS1_16block_id_wrapperIjLb0EEEEE10hipError_tT1_PNSt15iterator_traitsISK_E10value_typeET2_T3_PNSL_ISQ_E10value_typeET4_T5_PSV_SW_PNS1_23onesweep_lookback_stateEbbT6_jjT7_P12ihipStream_tbENKUlT_T0_SK_SP_E_clISE_SE_SF_SF_EEDaS13_S14_SK_SP_EUlS13_E_NS1_11comp_targetILNS1_3genE10ELNS1_11target_archE1201ELNS1_3gpuE5ELNS1_3repE0EEENS1_47radix_sort_onesweep_sort_config_static_selectorELNS0_4arch9wavefront6targetE1EEEvSK_,"axG",@progbits,_ZN7rocprim17ROCPRIM_400000_NS6detail17trampoline_kernelINS0_14default_configENS1_35radix_sort_onesweep_config_selectorIsNS0_10empty_typeEEEZZNS1_29radix_sort_onesweep_iterationIS3_Lb0EN6thrust23THRUST_200600_302600_NS6detail15normal_iteratorINS9_10device_ptrIsEEEESE_PS5_SF_jNS0_19identity_decomposerENS1_16block_id_wrapperIjLb0EEEEE10hipError_tT1_PNSt15iterator_traitsISK_E10value_typeET2_T3_PNSL_ISQ_E10value_typeET4_T5_PSV_SW_PNS1_23onesweep_lookback_stateEbbT6_jjT7_P12ihipStream_tbENKUlT_T0_SK_SP_E_clISE_SE_SF_SF_EEDaS13_S14_SK_SP_EUlS13_E_NS1_11comp_targetILNS1_3genE10ELNS1_11target_archE1201ELNS1_3gpuE5ELNS1_3repE0EEENS1_47radix_sort_onesweep_sort_config_static_selectorELNS0_4arch9wavefront6targetE1EEEvSK_,comdat
	.protected	_ZN7rocprim17ROCPRIM_400000_NS6detail17trampoline_kernelINS0_14default_configENS1_35radix_sort_onesweep_config_selectorIsNS0_10empty_typeEEEZZNS1_29radix_sort_onesweep_iterationIS3_Lb0EN6thrust23THRUST_200600_302600_NS6detail15normal_iteratorINS9_10device_ptrIsEEEESE_PS5_SF_jNS0_19identity_decomposerENS1_16block_id_wrapperIjLb0EEEEE10hipError_tT1_PNSt15iterator_traitsISK_E10value_typeET2_T3_PNSL_ISQ_E10value_typeET4_T5_PSV_SW_PNS1_23onesweep_lookback_stateEbbT6_jjT7_P12ihipStream_tbENKUlT_T0_SK_SP_E_clISE_SE_SF_SF_EEDaS13_S14_SK_SP_EUlS13_E_NS1_11comp_targetILNS1_3genE10ELNS1_11target_archE1201ELNS1_3gpuE5ELNS1_3repE0EEENS1_47radix_sort_onesweep_sort_config_static_selectorELNS0_4arch9wavefront6targetE1EEEvSK_ ; -- Begin function _ZN7rocprim17ROCPRIM_400000_NS6detail17trampoline_kernelINS0_14default_configENS1_35radix_sort_onesweep_config_selectorIsNS0_10empty_typeEEEZZNS1_29radix_sort_onesweep_iterationIS3_Lb0EN6thrust23THRUST_200600_302600_NS6detail15normal_iteratorINS9_10device_ptrIsEEEESE_PS5_SF_jNS0_19identity_decomposerENS1_16block_id_wrapperIjLb0EEEEE10hipError_tT1_PNSt15iterator_traitsISK_E10value_typeET2_T3_PNSL_ISQ_E10value_typeET4_T5_PSV_SW_PNS1_23onesweep_lookback_stateEbbT6_jjT7_P12ihipStream_tbENKUlT_T0_SK_SP_E_clISE_SE_SF_SF_EEDaS13_S14_SK_SP_EUlS13_E_NS1_11comp_targetILNS1_3genE10ELNS1_11target_archE1201ELNS1_3gpuE5ELNS1_3repE0EEENS1_47radix_sort_onesweep_sort_config_static_selectorELNS0_4arch9wavefront6targetE1EEEvSK_
	.globl	_ZN7rocprim17ROCPRIM_400000_NS6detail17trampoline_kernelINS0_14default_configENS1_35radix_sort_onesweep_config_selectorIsNS0_10empty_typeEEEZZNS1_29radix_sort_onesweep_iterationIS3_Lb0EN6thrust23THRUST_200600_302600_NS6detail15normal_iteratorINS9_10device_ptrIsEEEESE_PS5_SF_jNS0_19identity_decomposerENS1_16block_id_wrapperIjLb0EEEEE10hipError_tT1_PNSt15iterator_traitsISK_E10value_typeET2_T3_PNSL_ISQ_E10value_typeET4_T5_PSV_SW_PNS1_23onesweep_lookback_stateEbbT6_jjT7_P12ihipStream_tbENKUlT_T0_SK_SP_E_clISE_SE_SF_SF_EEDaS13_S14_SK_SP_EUlS13_E_NS1_11comp_targetILNS1_3genE10ELNS1_11target_archE1201ELNS1_3gpuE5ELNS1_3repE0EEENS1_47radix_sort_onesweep_sort_config_static_selectorELNS0_4arch9wavefront6targetE1EEEvSK_
	.p2align	8
	.type	_ZN7rocprim17ROCPRIM_400000_NS6detail17trampoline_kernelINS0_14default_configENS1_35radix_sort_onesweep_config_selectorIsNS0_10empty_typeEEEZZNS1_29radix_sort_onesweep_iterationIS3_Lb0EN6thrust23THRUST_200600_302600_NS6detail15normal_iteratorINS9_10device_ptrIsEEEESE_PS5_SF_jNS0_19identity_decomposerENS1_16block_id_wrapperIjLb0EEEEE10hipError_tT1_PNSt15iterator_traitsISK_E10value_typeET2_T3_PNSL_ISQ_E10value_typeET4_T5_PSV_SW_PNS1_23onesweep_lookback_stateEbbT6_jjT7_P12ihipStream_tbENKUlT_T0_SK_SP_E_clISE_SE_SF_SF_EEDaS13_S14_SK_SP_EUlS13_E_NS1_11comp_targetILNS1_3genE10ELNS1_11target_archE1201ELNS1_3gpuE5ELNS1_3repE0EEENS1_47radix_sort_onesweep_sort_config_static_selectorELNS0_4arch9wavefront6targetE1EEEvSK_,@function
_ZN7rocprim17ROCPRIM_400000_NS6detail17trampoline_kernelINS0_14default_configENS1_35radix_sort_onesweep_config_selectorIsNS0_10empty_typeEEEZZNS1_29radix_sort_onesweep_iterationIS3_Lb0EN6thrust23THRUST_200600_302600_NS6detail15normal_iteratorINS9_10device_ptrIsEEEESE_PS5_SF_jNS0_19identity_decomposerENS1_16block_id_wrapperIjLb0EEEEE10hipError_tT1_PNSt15iterator_traitsISK_E10value_typeET2_T3_PNSL_ISQ_E10value_typeET4_T5_PSV_SW_PNS1_23onesweep_lookback_stateEbbT6_jjT7_P12ihipStream_tbENKUlT_T0_SK_SP_E_clISE_SE_SF_SF_EEDaS13_S14_SK_SP_EUlS13_E_NS1_11comp_targetILNS1_3genE10ELNS1_11target_archE1201ELNS1_3gpuE5ELNS1_3repE0EEENS1_47radix_sort_onesweep_sort_config_static_selectorELNS0_4arch9wavefront6targetE1EEEvSK_: ; @_ZN7rocprim17ROCPRIM_400000_NS6detail17trampoline_kernelINS0_14default_configENS1_35radix_sort_onesweep_config_selectorIsNS0_10empty_typeEEEZZNS1_29radix_sort_onesweep_iterationIS3_Lb0EN6thrust23THRUST_200600_302600_NS6detail15normal_iteratorINS9_10device_ptrIsEEEESE_PS5_SF_jNS0_19identity_decomposerENS1_16block_id_wrapperIjLb0EEEEE10hipError_tT1_PNSt15iterator_traitsISK_E10value_typeET2_T3_PNSL_ISQ_E10value_typeET4_T5_PSV_SW_PNS1_23onesweep_lookback_stateEbbT6_jjT7_P12ihipStream_tbENKUlT_T0_SK_SP_E_clISE_SE_SF_SF_EEDaS13_S14_SK_SP_EUlS13_E_NS1_11comp_targetILNS1_3genE10ELNS1_11target_archE1201ELNS1_3gpuE5ELNS1_3repE0EEENS1_47radix_sort_onesweep_sort_config_static_selectorELNS0_4arch9wavefront6targetE1EEEvSK_
; %bb.0:
	.section	.rodata,"a",@progbits
	.p2align	6, 0x0
	.amdhsa_kernel _ZN7rocprim17ROCPRIM_400000_NS6detail17trampoline_kernelINS0_14default_configENS1_35radix_sort_onesweep_config_selectorIsNS0_10empty_typeEEEZZNS1_29radix_sort_onesweep_iterationIS3_Lb0EN6thrust23THRUST_200600_302600_NS6detail15normal_iteratorINS9_10device_ptrIsEEEESE_PS5_SF_jNS0_19identity_decomposerENS1_16block_id_wrapperIjLb0EEEEE10hipError_tT1_PNSt15iterator_traitsISK_E10value_typeET2_T3_PNSL_ISQ_E10value_typeET4_T5_PSV_SW_PNS1_23onesweep_lookback_stateEbbT6_jjT7_P12ihipStream_tbENKUlT_T0_SK_SP_E_clISE_SE_SF_SF_EEDaS13_S14_SK_SP_EUlS13_E_NS1_11comp_targetILNS1_3genE10ELNS1_11target_archE1201ELNS1_3gpuE5ELNS1_3repE0EEENS1_47radix_sort_onesweep_sort_config_static_selectorELNS0_4arch9wavefront6targetE1EEEvSK_
		.amdhsa_group_segment_fixed_size 0
		.amdhsa_private_segment_fixed_size 0
		.amdhsa_kernarg_size 88
		.amdhsa_user_sgpr_count 6
		.amdhsa_user_sgpr_private_segment_buffer 1
		.amdhsa_user_sgpr_dispatch_ptr 0
		.amdhsa_user_sgpr_queue_ptr 0
		.amdhsa_user_sgpr_kernarg_segment_ptr 1
		.amdhsa_user_sgpr_dispatch_id 0
		.amdhsa_user_sgpr_flat_scratch_init 0
		.amdhsa_user_sgpr_kernarg_preload_length 0
		.amdhsa_user_sgpr_kernarg_preload_offset 0
		.amdhsa_user_sgpr_private_segment_size 0
		.amdhsa_uses_dynamic_stack 0
		.amdhsa_system_sgpr_private_segment_wavefront_offset 0
		.amdhsa_system_sgpr_workgroup_id_x 1
		.amdhsa_system_sgpr_workgroup_id_y 0
		.amdhsa_system_sgpr_workgroup_id_z 0
		.amdhsa_system_sgpr_workgroup_info 0
		.amdhsa_system_vgpr_workitem_id 0
		.amdhsa_next_free_vgpr 1
		.amdhsa_next_free_sgpr 0
		.amdhsa_accum_offset 4
		.amdhsa_reserve_vcc 0
		.amdhsa_reserve_flat_scratch 0
		.amdhsa_float_round_mode_32 0
		.amdhsa_float_round_mode_16_64 0
		.amdhsa_float_denorm_mode_32 3
		.amdhsa_float_denorm_mode_16_64 3
		.amdhsa_dx10_clamp 1
		.amdhsa_ieee_mode 1
		.amdhsa_fp16_overflow 0
		.amdhsa_tg_split 0
		.amdhsa_exception_fp_ieee_invalid_op 0
		.amdhsa_exception_fp_denorm_src 0
		.amdhsa_exception_fp_ieee_div_zero 0
		.amdhsa_exception_fp_ieee_overflow 0
		.amdhsa_exception_fp_ieee_underflow 0
		.amdhsa_exception_fp_ieee_inexact 0
		.amdhsa_exception_int_div_zero 0
	.end_amdhsa_kernel
	.section	.text._ZN7rocprim17ROCPRIM_400000_NS6detail17trampoline_kernelINS0_14default_configENS1_35radix_sort_onesweep_config_selectorIsNS0_10empty_typeEEEZZNS1_29radix_sort_onesweep_iterationIS3_Lb0EN6thrust23THRUST_200600_302600_NS6detail15normal_iteratorINS9_10device_ptrIsEEEESE_PS5_SF_jNS0_19identity_decomposerENS1_16block_id_wrapperIjLb0EEEEE10hipError_tT1_PNSt15iterator_traitsISK_E10value_typeET2_T3_PNSL_ISQ_E10value_typeET4_T5_PSV_SW_PNS1_23onesweep_lookback_stateEbbT6_jjT7_P12ihipStream_tbENKUlT_T0_SK_SP_E_clISE_SE_SF_SF_EEDaS13_S14_SK_SP_EUlS13_E_NS1_11comp_targetILNS1_3genE10ELNS1_11target_archE1201ELNS1_3gpuE5ELNS1_3repE0EEENS1_47radix_sort_onesweep_sort_config_static_selectorELNS0_4arch9wavefront6targetE1EEEvSK_,"axG",@progbits,_ZN7rocprim17ROCPRIM_400000_NS6detail17trampoline_kernelINS0_14default_configENS1_35radix_sort_onesweep_config_selectorIsNS0_10empty_typeEEEZZNS1_29radix_sort_onesweep_iterationIS3_Lb0EN6thrust23THRUST_200600_302600_NS6detail15normal_iteratorINS9_10device_ptrIsEEEESE_PS5_SF_jNS0_19identity_decomposerENS1_16block_id_wrapperIjLb0EEEEE10hipError_tT1_PNSt15iterator_traitsISK_E10value_typeET2_T3_PNSL_ISQ_E10value_typeET4_T5_PSV_SW_PNS1_23onesweep_lookback_stateEbbT6_jjT7_P12ihipStream_tbENKUlT_T0_SK_SP_E_clISE_SE_SF_SF_EEDaS13_S14_SK_SP_EUlS13_E_NS1_11comp_targetILNS1_3genE10ELNS1_11target_archE1201ELNS1_3gpuE5ELNS1_3repE0EEENS1_47radix_sort_onesweep_sort_config_static_selectorELNS0_4arch9wavefront6targetE1EEEvSK_,comdat
.Lfunc_end1983:
	.size	_ZN7rocprim17ROCPRIM_400000_NS6detail17trampoline_kernelINS0_14default_configENS1_35radix_sort_onesweep_config_selectorIsNS0_10empty_typeEEEZZNS1_29radix_sort_onesweep_iterationIS3_Lb0EN6thrust23THRUST_200600_302600_NS6detail15normal_iteratorINS9_10device_ptrIsEEEESE_PS5_SF_jNS0_19identity_decomposerENS1_16block_id_wrapperIjLb0EEEEE10hipError_tT1_PNSt15iterator_traitsISK_E10value_typeET2_T3_PNSL_ISQ_E10value_typeET4_T5_PSV_SW_PNS1_23onesweep_lookback_stateEbbT6_jjT7_P12ihipStream_tbENKUlT_T0_SK_SP_E_clISE_SE_SF_SF_EEDaS13_S14_SK_SP_EUlS13_E_NS1_11comp_targetILNS1_3genE10ELNS1_11target_archE1201ELNS1_3gpuE5ELNS1_3repE0EEENS1_47radix_sort_onesweep_sort_config_static_selectorELNS0_4arch9wavefront6targetE1EEEvSK_, .Lfunc_end1983-_ZN7rocprim17ROCPRIM_400000_NS6detail17trampoline_kernelINS0_14default_configENS1_35radix_sort_onesweep_config_selectorIsNS0_10empty_typeEEEZZNS1_29radix_sort_onesweep_iterationIS3_Lb0EN6thrust23THRUST_200600_302600_NS6detail15normal_iteratorINS9_10device_ptrIsEEEESE_PS5_SF_jNS0_19identity_decomposerENS1_16block_id_wrapperIjLb0EEEEE10hipError_tT1_PNSt15iterator_traitsISK_E10value_typeET2_T3_PNSL_ISQ_E10value_typeET4_T5_PSV_SW_PNS1_23onesweep_lookback_stateEbbT6_jjT7_P12ihipStream_tbENKUlT_T0_SK_SP_E_clISE_SE_SF_SF_EEDaS13_S14_SK_SP_EUlS13_E_NS1_11comp_targetILNS1_3genE10ELNS1_11target_archE1201ELNS1_3gpuE5ELNS1_3repE0EEENS1_47radix_sort_onesweep_sort_config_static_selectorELNS0_4arch9wavefront6targetE1EEEvSK_
                                        ; -- End function
	.section	.AMDGPU.csdata,"",@progbits
; Kernel info:
; codeLenInByte = 0
; NumSgprs: 4
; NumVgprs: 0
; NumAgprs: 0
; TotalNumVgprs: 0
; ScratchSize: 0
; MemoryBound: 0
; FloatMode: 240
; IeeeMode: 1
; LDSByteSize: 0 bytes/workgroup (compile time only)
; SGPRBlocks: 0
; VGPRBlocks: 0
; NumSGPRsForWavesPerEU: 4
; NumVGPRsForWavesPerEU: 1
; AccumOffset: 4
; Occupancy: 8
; WaveLimiterHint : 0
; COMPUTE_PGM_RSRC2:SCRATCH_EN: 0
; COMPUTE_PGM_RSRC2:USER_SGPR: 6
; COMPUTE_PGM_RSRC2:TRAP_HANDLER: 0
; COMPUTE_PGM_RSRC2:TGID_X_EN: 1
; COMPUTE_PGM_RSRC2:TGID_Y_EN: 0
; COMPUTE_PGM_RSRC2:TGID_Z_EN: 0
; COMPUTE_PGM_RSRC2:TIDIG_COMP_CNT: 0
; COMPUTE_PGM_RSRC3_GFX90A:ACCUM_OFFSET: 0
; COMPUTE_PGM_RSRC3_GFX90A:TG_SPLIT: 0
	.section	.text._ZN7rocprim17ROCPRIM_400000_NS6detail17trampoline_kernelINS0_14default_configENS1_35radix_sort_onesweep_config_selectorIsNS0_10empty_typeEEEZZNS1_29radix_sort_onesweep_iterationIS3_Lb0EN6thrust23THRUST_200600_302600_NS6detail15normal_iteratorINS9_10device_ptrIsEEEESE_PS5_SF_jNS0_19identity_decomposerENS1_16block_id_wrapperIjLb0EEEEE10hipError_tT1_PNSt15iterator_traitsISK_E10value_typeET2_T3_PNSL_ISQ_E10value_typeET4_T5_PSV_SW_PNS1_23onesweep_lookback_stateEbbT6_jjT7_P12ihipStream_tbENKUlT_T0_SK_SP_E_clISE_SE_SF_SF_EEDaS13_S14_SK_SP_EUlS13_E_NS1_11comp_targetILNS1_3genE9ELNS1_11target_archE1100ELNS1_3gpuE3ELNS1_3repE0EEENS1_47radix_sort_onesweep_sort_config_static_selectorELNS0_4arch9wavefront6targetE1EEEvSK_,"axG",@progbits,_ZN7rocprim17ROCPRIM_400000_NS6detail17trampoline_kernelINS0_14default_configENS1_35radix_sort_onesweep_config_selectorIsNS0_10empty_typeEEEZZNS1_29radix_sort_onesweep_iterationIS3_Lb0EN6thrust23THRUST_200600_302600_NS6detail15normal_iteratorINS9_10device_ptrIsEEEESE_PS5_SF_jNS0_19identity_decomposerENS1_16block_id_wrapperIjLb0EEEEE10hipError_tT1_PNSt15iterator_traitsISK_E10value_typeET2_T3_PNSL_ISQ_E10value_typeET4_T5_PSV_SW_PNS1_23onesweep_lookback_stateEbbT6_jjT7_P12ihipStream_tbENKUlT_T0_SK_SP_E_clISE_SE_SF_SF_EEDaS13_S14_SK_SP_EUlS13_E_NS1_11comp_targetILNS1_3genE9ELNS1_11target_archE1100ELNS1_3gpuE3ELNS1_3repE0EEENS1_47radix_sort_onesweep_sort_config_static_selectorELNS0_4arch9wavefront6targetE1EEEvSK_,comdat
	.protected	_ZN7rocprim17ROCPRIM_400000_NS6detail17trampoline_kernelINS0_14default_configENS1_35radix_sort_onesweep_config_selectorIsNS0_10empty_typeEEEZZNS1_29radix_sort_onesweep_iterationIS3_Lb0EN6thrust23THRUST_200600_302600_NS6detail15normal_iteratorINS9_10device_ptrIsEEEESE_PS5_SF_jNS0_19identity_decomposerENS1_16block_id_wrapperIjLb0EEEEE10hipError_tT1_PNSt15iterator_traitsISK_E10value_typeET2_T3_PNSL_ISQ_E10value_typeET4_T5_PSV_SW_PNS1_23onesweep_lookback_stateEbbT6_jjT7_P12ihipStream_tbENKUlT_T0_SK_SP_E_clISE_SE_SF_SF_EEDaS13_S14_SK_SP_EUlS13_E_NS1_11comp_targetILNS1_3genE9ELNS1_11target_archE1100ELNS1_3gpuE3ELNS1_3repE0EEENS1_47radix_sort_onesweep_sort_config_static_selectorELNS0_4arch9wavefront6targetE1EEEvSK_ ; -- Begin function _ZN7rocprim17ROCPRIM_400000_NS6detail17trampoline_kernelINS0_14default_configENS1_35radix_sort_onesweep_config_selectorIsNS0_10empty_typeEEEZZNS1_29radix_sort_onesweep_iterationIS3_Lb0EN6thrust23THRUST_200600_302600_NS6detail15normal_iteratorINS9_10device_ptrIsEEEESE_PS5_SF_jNS0_19identity_decomposerENS1_16block_id_wrapperIjLb0EEEEE10hipError_tT1_PNSt15iterator_traitsISK_E10value_typeET2_T3_PNSL_ISQ_E10value_typeET4_T5_PSV_SW_PNS1_23onesweep_lookback_stateEbbT6_jjT7_P12ihipStream_tbENKUlT_T0_SK_SP_E_clISE_SE_SF_SF_EEDaS13_S14_SK_SP_EUlS13_E_NS1_11comp_targetILNS1_3genE9ELNS1_11target_archE1100ELNS1_3gpuE3ELNS1_3repE0EEENS1_47radix_sort_onesweep_sort_config_static_selectorELNS0_4arch9wavefront6targetE1EEEvSK_
	.globl	_ZN7rocprim17ROCPRIM_400000_NS6detail17trampoline_kernelINS0_14default_configENS1_35radix_sort_onesweep_config_selectorIsNS0_10empty_typeEEEZZNS1_29radix_sort_onesweep_iterationIS3_Lb0EN6thrust23THRUST_200600_302600_NS6detail15normal_iteratorINS9_10device_ptrIsEEEESE_PS5_SF_jNS0_19identity_decomposerENS1_16block_id_wrapperIjLb0EEEEE10hipError_tT1_PNSt15iterator_traitsISK_E10value_typeET2_T3_PNSL_ISQ_E10value_typeET4_T5_PSV_SW_PNS1_23onesweep_lookback_stateEbbT6_jjT7_P12ihipStream_tbENKUlT_T0_SK_SP_E_clISE_SE_SF_SF_EEDaS13_S14_SK_SP_EUlS13_E_NS1_11comp_targetILNS1_3genE9ELNS1_11target_archE1100ELNS1_3gpuE3ELNS1_3repE0EEENS1_47radix_sort_onesweep_sort_config_static_selectorELNS0_4arch9wavefront6targetE1EEEvSK_
	.p2align	8
	.type	_ZN7rocprim17ROCPRIM_400000_NS6detail17trampoline_kernelINS0_14default_configENS1_35radix_sort_onesweep_config_selectorIsNS0_10empty_typeEEEZZNS1_29radix_sort_onesweep_iterationIS3_Lb0EN6thrust23THRUST_200600_302600_NS6detail15normal_iteratorINS9_10device_ptrIsEEEESE_PS5_SF_jNS0_19identity_decomposerENS1_16block_id_wrapperIjLb0EEEEE10hipError_tT1_PNSt15iterator_traitsISK_E10value_typeET2_T3_PNSL_ISQ_E10value_typeET4_T5_PSV_SW_PNS1_23onesweep_lookback_stateEbbT6_jjT7_P12ihipStream_tbENKUlT_T0_SK_SP_E_clISE_SE_SF_SF_EEDaS13_S14_SK_SP_EUlS13_E_NS1_11comp_targetILNS1_3genE9ELNS1_11target_archE1100ELNS1_3gpuE3ELNS1_3repE0EEENS1_47radix_sort_onesweep_sort_config_static_selectorELNS0_4arch9wavefront6targetE1EEEvSK_,@function
_ZN7rocprim17ROCPRIM_400000_NS6detail17trampoline_kernelINS0_14default_configENS1_35radix_sort_onesweep_config_selectorIsNS0_10empty_typeEEEZZNS1_29radix_sort_onesweep_iterationIS3_Lb0EN6thrust23THRUST_200600_302600_NS6detail15normal_iteratorINS9_10device_ptrIsEEEESE_PS5_SF_jNS0_19identity_decomposerENS1_16block_id_wrapperIjLb0EEEEE10hipError_tT1_PNSt15iterator_traitsISK_E10value_typeET2_T3_PNSL_ISQ_E10value_typeET4_T5_PSV_SW_PNS1_23onesweep_lookback_stateEbbT6_jjT7_P12ihipStream_tbENKUlT_T0_SK_SP_E_clISE_SE_SF_SF_EEDaS13_S14_SK_SP_EUlS13_E_NS1_11comp_targetILNS1_3genE9ELNS1_11target_archE1100ELNS1_3gpuE3ELNS1_3repE0EEENS1_47radix_sort_onesweep_sort_config_static_selectorELNS0_4arch9wavefront6targetE1EEEvSK_: ; @_ZN7rocprim17ROCPRIM_400000_NS6detail17trampoline_kernelINS0_14default_configENS1_35radix_sort_onesweep_config_selectorIsNS0_10empty_typeEEEZZNS1_29radix_sort_onesweep_iterationIS3_Lb0EN6thrust23THRUST_200600_302600_NS6detail15normal_iteratorINS9_10device_ptrIsEEEESE_PS5_SF_jNS0_19identity_decomposerENS1_16block_id_wrapperIjLb0EEEEE10hipError_tT1_PNSt15iterator_traitsISK_E10value_typeET2_T3_PNSL_ISQ_E10value_typeET4_T5_PSV_SW_PNS1_23onesweep_lookback_stateEbbT6_jjT7_P12ihipStream_tbENKUlT_T0_SK_SP_E_clISE_SE_SF_SF_EEDaS13_S14_SK_SP_EUlS13_E_NS1_11comp_targetILNS1_3genE9ELNS1_11target_archE1100ELNS1_3gpuE3ELNS1_3repE0EEENS1_47radix_sort_onesweep_sort_config_static_selectorELNS0_4arch9wavefront6targetE1EEEvSK_
; %bb.0:
	.section	.rodata,"a",@progbits
	.p2align	6, 0x0
	.amdhsa_kernel _ZN7rocprim17ROCPRIM_400000_NS6detail17trampoline_kernelINS0_14default_configENS1_35radix_sort_onesweep_config_selectorIsNS0_10empty_typeEEEZZNS1_29radix_sort_onesweep_iterationIS3_Lb0EN6thrust23THRUST_200600_302600_NS6detail15normal_iteratorINS9_10device_ptrIsEEEESE_PS5_SF_jNS0_19identity_decomposerENS1_16block_id_wrapperIjLb0EEEEE10hipError_tT1_PNSt15iterator_traitsISK_E10value_typeET2_T3_PNSL_ISQ_E10value_typeET4_T5_PSV_SW_PNS1_23onesweep_lookback_stateEbbT6_jjT7_P12ihipStream_tbENKUlT_T0_SK_SP_E_clISE_SE_SF_SF_EEDaS13_S14_SK_SP_EUlS13_E_NS1_11comp_targetILNS1_3genE9ELNS1_11target_archE1100ELNS1_3gpuE3ELNS1_3repE0EEENS1_47radix_sort_onesweep_sort_config_static_selectorELNS0_4arch9wavefront6targetE1EEEvSK_
		.amdhsa_group_segment_fixed_size 0
		.amdhsa_private_segment_fixed_size 0
		.amdhsa_kernarg_size 88
		.amdhsa_user_sgpr_count 6
		.amdhsa_user_sgpr_private_segment_buffer 1
		.amdhsa_user_sgpr_dispatch_ptr 0
		.amdhsa_user_sgpr_queue_ptr 0
		.amdhsa_user_sgpr_kernarg_segment_ptr 1
		.amdhsa_user_sgpr_dispatch_id 0
		.amdhsa_user_sgpr_flat_scratch_init 0
		.amdhsa_user_sgpr_kernarg_preload_length 0
		.amdhsa_user_sgpr_kernarg_preload_offset 0
		.amdhsa_user_sgpr_private_segment_size 0
		.amdhsa_uses_dynamic_stack 0
		.amdhsa_system_sgpr_private_segment_wavefront_offset 0
		.amdhsa_system_sgpr_workgroup_id_x 1
		.amdhsa_system_sgpr_workgroup_id_y 0
		.amdhsa_system_sgpr_workgroup_id_z 0
		.amdhsa_system_sgpr_workgroup_info 0
		.amdhsa_system_vgpr_workitem_id 0
		.amdhsa_next_free_vgpr 1
		.amdhsa_next_free_sgpr 0
		.amdhsa_accum_offset 4
		.amdhsa_reserve_vcc 0
		.amdhsa_reserve_flat_scratch 0
		.amdhsa_float_round_mode_32 0
		.amdhsa_float_round_mode_16_64 0
		.amdhsa_float_denorm_mode_32 3
		.amdhsa_float_denorm_mode_16_64 3
		.amdhsa_dx10_clamp 1
		.amdhsa_ieee_mode 1
		.amdhsa_fp16_overflow 0
		.amdhsa_tg_split 0
		.amdhsa_exception_fp_ieee_invalid_op 0
		.amdhsa_exception_fp_denorm_src 0
		.amdhsa_exception_fp_ieee_div_zero 0
		.amdhsa_exception_fp_ieee_overflow 0
		.amdhsa_exception_fp_ieee_underflow 0
		.amdhsa_exception_fp_ieee_inexact 0
		.amdhsa_exception_int_div_zero 0
	.end_amdhsa_kernel
	.section	.text._ZN7rocprim17ROCPRIM_400000_NS6detail17trampoline_kernelINS0_14default_configENS1_35radix_sort_onesweep_config_selectorIsNS0_10empty_typeEEEZZNS1_29radix_sort_onesweep_iterationIS3_Lb0EN6thrust23THRUST_200600_302600_NS6detail15normal_iteratorINS9_10device_ptrIsEEEESE_PS5_SF_jNS0_19identity_decomposerENS1_16block_id_wrapperIjLb0EEEEE10hipError_tT1_PNSt15iterator_traitsISK_E10value_typeET2_T3_PNSL_ISQ_E10value_typeET4_T5_PSV_SW_PNS1_23onesweep_lookback_stateEbbT6_jjT7_P12ihipStream_tbENKUlT_T0_SK_SP_E_clISE_SE_SF_SF_EEDaS13_S14_SK_SP_EUlS13_E_NS1_11comp_targetILNS1_3genE9ELNS1_11target_archE1100ELNS1_3gpuE3ELNS1_3repE0EEENS1_47radix_sort_onesweep_sort_config_static_selectorELNS0_4arch9wavefront6targetE1EEEvSK_,"axG",@progbits,_ZN7rocprim17ROCPRIM_400000_NS6detail17trampoline_kernelINS0_14default_configENS1_35radix_sort_onesweep_config_selectorIsNS0_10empty_typeEEEZZNS1_29radix_sort_onesweep_iterationIS3_Lb0EN6thrust23THRUST_200600_302600_NS6detail15normal_iteratorINS9_10device_ptrIsEEEESE_PS5_SF_jNS0_19identity_decomposerENS1_16block_id_wrapperIjLb0EEEEE10hipError_tT1_PNSt15iterator_traitsISK_E10value_typeET2_T3_PNSL_ISQ_E10value_typeET4_T5_PSV_SW_PNS1_23onesweep_lookback_stateEbbT6_jjT7_P12ihipStream_tbENKUlT_T0_SK_SP_E_clISE_SE_SF_SF_EEDaS13_S14_SK_SP_EUlS13_E_NS1_11comp_targetILNS1_3genE9ELNS1_11target_archE1100ELNS1_3gpuE3ELNS1_3repE0EEENS1_47radix_sort_onesweep_sort_config_static_selectorELNS0_4arch9wavefront6targetE1EEEvSK_,comdat
.Lfunc_end1984:
	.size	_ZN7rocprim17ROCPRIM_400000_NS6detail17trampoline_kernelINS0_14default_configENS1_35radix_sort_onesweep_config_selectorIsNS0_10empty_typeEEEZZNS1_29radix_sort_onesweep_iterationIS3_Lb0EN6thrust23THRUST_200600_302600_NS6detail15normal_iteratorINS9_10device_ptrIsEEEESE_PS5_SF_jNS0_19identity_decomposerENS1_16block_id_wrapperIjLb0EEEEE10hipError_tT1_PNSt15iterator_traitsISK_E10value_typeET2_T3_PNSL_ISQ_E10value_typeET4_T5_PSV_SW_PNS1_23onesweep_lookback_stateEbbT6_jjT7_P12ihipStream_tbENKUlT_T0_SK_SP_E_clISE_SE_SF_SF_EEDaS13_S14_SK_SP_EUlS13_E_NS1_11comp_targetILNS1_3genE9ELNS1_11target_archE1100ELNS1_3gpuE3ELNS1_3repE0EEENS1_47radix_sort_onesweep_sort_config_static_selectorELNS0_4arch9wavefront6targetE1EEEvSK_, .Lfunc_end1984-_ZN7rocprim17ROCPRIM_400000_NS6detail17trampoline_kernelINS0_14default_configENS1_35radix_sort_onesweep_config_selectorIsNS0_10empty_typeEEEZZNS1_29radix_sort_onesweep_iterationIS3_Lb0EN6thrust23THRUST_200600_302600_NS6detail15normal_iteratorINS9_10device_ptrIsEEEESE_PS5_SF_jNS0_19identity_decomposerENS1_16block_id_wrapperIjLb0EEEEE10hipError_tT1_PNSt15iterator_traitsISK_E10value_typeET2_T3_PNSL_ISQ_E10value_typeET4_T5_PSV_SW_PNS1_23onesweep_lookback_stateEbbT6_jjT7_P12ihipStream_tbENKUlT_T0_SK_SP_E_clISE_SE_SF_SF_EEDaS13_S14_SK_SP_EUlS13_E_NS1_11comp_targetILNS1_3genE9ELNS1_11target_archE1100ELNS1_3gpuE3ELNS1_3repE0EEENS1_47radix_sort_onesweep_sort_config_static_selectorELNS0_4arch9wavefront6targetE1EEEvSK_
                                        ; -- End function
	.section	.AMDGPU.csdata,"",@progbits
; Kernel info:
; codeLenInByte = 0
; NumSgprs: 4
; NumVgprs: 0
; NumAgprs: 0
; TotalNumVgprs: 0
; ScratchSize: 0
; MemoryBound: 0
; FloatMode: 240
; IeeeMode: 1
; LDSByteSize: 0 bytes/workgroup (compile time only)
; SGPRBlocks: 0
; VGPRBlocks: 0
; NumSGPRsForWavesPerEU: 4
; NumVGPRsForWavesPerEU: 1
; AccumOffset: 4
; Occupancy: 8
; WaveLimiterHint : 0
; COMPUTE_PGM_RSRC2:SCRATCH_EN: 0
; COMPUTE_PGM_RSRC2:USER_SGPR: 6
; COMPUTE_PGM_RSRC2:TRAP_HANDLER: 0
; COMPUTE_PGM_RSRC2:TGID_X_EN: 1
; COMPUTE_PGM_RSRC2:TGID_Y_EN: 0
; COMPUTE_PGM_RSRC2:TGID_Z_EN: 0
; COMPUTE_PGM_RSRC2:TIDIG_COMP_CNT: 0
; COMPUTE_PGM_RSRC3_GFX90A:ACCUM_OFFSET: 0
; COMPUTE_PGM_RSRC3_GFX90A:TG_SPLIT: 0
	.section	.text._ZN7rocprim17ROCPRIM_400000_NS6detail17trampoline_kernelINS0_14default_configENS1_35radix_sort_onesweep_config_selectorIsNS0_10empty_typeEEEZZNS1_29radix_sort_onesweep_iterationIS3_Lb0EN6thrust23THRUST_200600_302600_NS6detail15normal_iteratorINS9_10device_ptrIsEEEESE_PS5_SF_jNS0_19identity_decomposerENS1_16block_id_wrapperIjLb0EEEEE10hipError_tT1_PNSt15iterator_traitsISK_E10value_typeET2_T3_PNSL_ISQ_E10value_typeET4_T5_PSV_SW_PNS1_23onesweep_lookback_stateEbbT6_jjT7_P12ihipStream_tbENKUlT_T0_SK_SP_E_clISE_SE_SF_SF_EEDaS13_S14_SK_SP_EUlS13_E_NS1_11comp_targetILNS1_3genE8ELNS1_11target_archE1030ELNS1_3gpuE2ELNS1_3repE0EEENS1_47radix_sort_onesweep_sort_config_static_selectorELNS0_4arch9wavefront6targetE1EEEvSK_,"axG",@progbits,_ZN7rocprim17ROCPRIM_400000_NS6detail17trampoline_kernelINS0_14default_configENS1_35radix_sort_onesweep_config_selectorIsNS0_10empty_typeEEEZZNS1_29radix_sort_onesweep_iterationIS3_Lb0EN6thrust23THRUST_200600_302600_NS6detail15normal_iteratorINS9_10device_ptrIsEEEESE_PS5_SF_jNS0_19identity_decomposerENS1_16block_id_wrapperIjLb0EEEEE10hipError_tT1_PNSt15iterator_traitsISK_E10value_typeET2_T3_PNSL_ISQ_E10value_typeET4_T5_PSV_SW_PNS1_23onesweep_lookback_stateEbbT6_jjT7_P12ihipStream_tbENKUlT_T0_SK_SP_E_clISE_SE_SF_SF_EEDaS13_S14_SK_SP_EUlS13_E_NS1_11comp_targetILNS1_3genE8ELNS1_11target_archE1030ELNS1_3gpuE2ELNS1_3repE0EEENS1_47radix_sort_onesweep_sort_config_static_selectorELNS0_4arch9wavefront6targetE1EEEvSK_,comdat
	.protected	_ZN7rocprim17ROCPRIM_400000_NS6detail17trampoline_kernelINS0_14default_configENS1_35radix_sort_onesweep_config_selectorIsNS0_10empty_typeEEEZZNS1_29radix_sort_onesweep_iterationIS3_Lb0EN6thrust23THRUST_200600_302600_NS6detail15normal_iteratorINS9_10device_ptrIsEEEESE_PS5_SF_jNS0_19identity_decomposerENS1_16block_id_wrapperIjLb0EEEEE10hipError_tT1_PNSt15iterator_traitsISK_E10value_typeET2_T3_PNSL_ISQ_E10value_typeET4_T5_PSV_SW_PNS1_23onesweep_lookback_stateEbbT6_jjT7_P12ihipStream_tbENKUlT_T0_SK_SP_E_clISE_SE_SF_SF_EEDaS13_S14_SK_SP_EUlS13_E_NS1_11comp_targetILNS1_3genE8ELNS1_11target_archE1030ELNS1_3gpuE2ELNS1_3repE0EEENS1_47radix_sort_onesweep_sort_config_static_selectorELNS0_4arch9wavefront6targetE1EEEvSK_ ; -- Begin function _ZN7rocprim17ROCPRIM_400000_NS6detail17trampoline_kernelINS0_14default_configENS1_35radix_sort_onesweep_config_selectorIsNS0_10empty_typeEEEZZNS1_29radix_sort_onesweep_iterationIS3_Lb0EN6thrust23THRUST_200600_302600_NS6detail15normal_iteratorINS9_10device_ptrIsEEEESE_PS5_SF_jNS0_19identity_decomposerENS1_16block_id_wrapperIjLb0EEEEE10hipError_tT1_PNSt15iterator_traitsISK_E10value_typeET2_T3_PNSL_ISQ_E10value_typeET4_T5_PSV_SW_PNS1_23onesweep_lookback_stateEbbT6_jjT7_P12ihipStream_tbENKUlT_T0_SK_SP_E_clISE_SE_SF_SF_EEDaS13_S14_SK_SP_EUlS13_E_NS1_11comp_targetILNS1_3genE8ELNS1_11target_archE1030ELNS1_3gpuE2ELNS1_3repE0EEENS1_47radix_sort_onesweep_sort_config_static_selectorELNS0_4arch9wavefront6targetE1EEEvSK_
	.globl	_ZN7rocprim17ROCPRIM_400000_NS6detail17trampoline_kernelINS0_14default_configENS1_35radix_sort_onesweep_config_selectorIsNS0_10empty_typeEEEZZNS1_29radix_sort_onesweep_iterationIS3_Lb0EN6thrust23THRUST_200600_302600_NS6detail15normal_iteratorINS9_10device_ptrIsEEEESE_PS5_SF_jNS0_19identity_decomposerENS1_16block_id_wrapperIjLb0EEEEE10hipError_tT1_PNSt15iterator_traitsISK_E10value_typeET2_T3_PNSL_ISQ_E10value_typeET4_T5_PSV_SW_PNS1_23onesweep_lookback_stateEbbT6_jjT7_P12ihipStream_tbENKUlT_T0_SK_SP_E_clISE_SE_SF_SF_EEDaS13_S14_SK_SP_EUlS13_E_NS1_11comp_targetILNS1_3genE8ELNS1_11target_archE1030ELNS1_3gpuE2ELNS1_3repE0EEENS1_47radix_sort_onesweep_sort_config_static_selectorELNS0_4arch9wavefront6targetE1EEEvSK_
	.p2align	8
	.type	_ZN7rocprim17ROCPRIM_400000_NS6detail17trampoline_kernelINS0_14default_configENS1_35radix_sort_onesweep_config_selectorIsNS0_10empty_typeEEEZZNS1_29radix_sort_onesweep_iterationIS3_Lb0EN6thrust23THRUST_200600_302600_NS6detail15normal_iteratorINS9_10device_ptrIsEEEESE_PS5_SF_jNS0_19identity_decomposerENS1_16block_id_wrapperIjLb0EEEEE10hipError_tT1_PNSt15iterator_traitsISK_E10value_typeET2_T3_PNSL_ISQ_E10value_typeET4_T5_PSV_SW_PNS1_23onesweep_lookback_stateEbbT6_jjT7_P12ihipStream_tbENKUlT_T0_SK_SP_E_clISE_SE_SF_SF_EEDaS13_S14_SK_SP_EUlS13_E_NS1_11comp_targetILNS1_3genE8ELNS1_11target_archE1030ELNS1_3gpuE2ELNS1_3repE0EEENS1_47radix_sort_onesweep_sort_config_static_selectorELNS0_4arch9wavefront6targetE1EEEvSK_,@function
_ZN7rocprim17ROCPRIM_400000_NS6detail17trampoline_kernelINS0_14default_configENS1_35radix_sort_onesweep_config_selectorIsNS0_10empty_typeEEEZZNS1_29radix_sort_onesweep_iterationIS3_Lb0EN6thrust23THRUST_200600_302600_NS6detail15normal_iteratorINS9_10device_ptrIsEEEESE_PS5_SF_jNS0_19identity_decomposerENS1_16block_id_wrapperIjLb0EEEEE10hipError_tT1_PNSt15iterator_traitsISK_E10value_typeET2_T3_PNSL_ISQ_E10value_typeET4_T5_PSV_SW_PNS1_23onesweep_lookback_stateEbbT6_jjT7_P12ihipStream_tbENKUlT_T0_SK_SP_E_clISE_SE_SF_SF_EEDaS13_S14_SK_SP_EUlS13_E_NS1_11comp_targetILNS1_3genE8ELNS1_11target_archE1030ELNS1_3gpuE2ELNS1_3repE0EEENS1_47radix_sort_onesweep_sort_config_static_selectorELNS0_4arch9wavefront6targetE1EEEvSK_: ; @_ZN7rocprim17ROCPRIM_400000_NS6detail17trampoline_kernelINS0_14default_configENS1_35radix_sort_onesweep_config_selectorIsNS0_10empty_typeEEEZZNS1_29radix_sort_onesweep_iterationIS3_Lb0EN6thrust23THRUST_200600_302600_NS6detail15normal_iteratorINS9_10device_ptrIsEEEESE_PS5_SF_jNS0_19identity_decomposerENS1_16block_id_wrapperIjLb0EEEEE10hipError_tT1_PNSt15iterator_traitsISK_E10value_typeET2_T3_PNSL_ISQ_E10value_typeET4_T5_PSV_SW_PNS1_23onesweep_lookback_stateEbbT6_jjT7_P12ihipStream_tbENKUlT_T0_SK_SP_E_clISE_SE_SF_SF_EEDaS13_S14_SK_SP_EUlS13_E_NS1_11comp_targetILNS1_3genE8ELNS1_11target_archE1030ELNS1_3gpuE2ELNS1_3repE0EEENS1_47radix_sort_onesweep_sort_config_static_selectorELNS0_4arch9wavefront6targetE1EEEvSK_
; %bb.0:
	.section	.rodata,"a",@progbits
	.p2align	6, 0x0
	.amdhsa_kernel _ZN7rocprim17ROCPRIM_400000_NS6detail17trampoline_kernelINS0_14default_configENS1_35radix_sort_onesweep_config_selectorIsNS0_10empty_typeEEEZZNS1_29radix_sort_onesweep_iterationIS3_Lb0EN6thrust23THRUST_200600_302600_NS6detail15normal_iteratorINS9_10device_ptrIsEEEESE_PS5_SF_jNS0_19identity_decomposerENS1_16block_id_wrapperIjLb0EEEEE10hipError_tT1_PNSt15iterator_traitsISK_E10value_typeET2_T3_PNSL_ISQ_E10value_typeET4_T5_PSV_SW_PNS1_23onesweep_lookback_stateEbbT6_jjT7_P12ihipStream_tbENKUlT_T0_SK_SP_E_clISE_SE_SF_SF_EEDaS13_S14_SK_SP_EUlS13_E_NS1_11comp_targetILNS1_3genE8ELNS1_11target_archE1030ELNS1_3gpuE2ELNS1_3repE0EEENS1_47radix_sort_onesweep_sort_config_static_selectorELNS0_4arch9wavefront6targetE1EEEvSK_
		.amdhsa_group_segment_fixed_size 0
		.amdhsa_private_segment_fixed_size 0
		.amdhsa_kernarg_size 88
		.amdhsa_user_sgpr_count 6
		.amdhsa_user_sgpr_private_segment_buffer 1
		.amdhsa_user_sgpr_dispatch_ptr 0
		.amdhsa_user_sgpr_queue_ptr 0
		.amdhsa_user_sgpr_kernarg_segment_ptr 1
		.amdhsa_user_sgpr_dispatch_id 0
		.amdhsa_user_sgpr_flat_scratch_init 0
		.amdhsa_user_sgpr_kernarg_preload_length 0
		.amdhsa_user_sgpr_kernarg_preload_offset 0
		.amdhsa_user_sgpr_private_segment_size 0
		.amdhsa_uses_dynamic_stack 0
		.amdhsa_system_sgpr_private_segment_wavefront_offset 0
		.amdhsa_system_sgpr_workgroup_id_x 1
		.amdhsa_system_sgpr_workgroup_id_y 0
		.amdhsa_system_sgpr_workgroup_id_z 0
		.amdhsa_system_sgpr_workgroup_info 0
		.amdhsa_system_vgpr_workitem_id 0
		.amdhsa_next_free_vgpr 1
		.amdhsa_next_free_sgpr 0
		.amdhsa_accum_offset 4
		.amdhsa_reserve_vcc 0
		.amdhsa_reserve_flat_scratch 0
		.amdhsa_float_round_mode_32 0
		.amdhsa_float_round_mode_16_64 0
		.amdhsa_float_denorm_mode_32 3
		.amdhsa_float_denorm_mode_16_64 3
		.amdhsa_dx10_clamp 1
		.amdhsa_ieee_mode 1
		.amdhsa_fp16_overflow 0
		.amdhsa_tg_split 0
		.amdhsa_exception_fp_ieee_invalid_op 0
		.amdhsa_exception_fp_denorm_src 0
		.amdhsa_exception_fp_ieee_div_zero 0
		.amdhsa_exception_fp_ieee_overflow 0
		.amdhsa_exception_fp_ieee_underflow 0
		.amdhsa_exception_fp_ieee_inexact 0
		.amdhsa_exception_int_div_zero 0
	.end_amdhsa_kernel
	.section	.text._ZN7rocprim17ROCPRIM_400000_NS6detail17trampoline_kernelINS0_14default_configENS1_35radix_sort_onesweep_config_selectorIsNS0_10empty_typeEEEZZNS1_29radix_sort_onesweep_iterationIS3_Lb0EN6thrust23THRUST_200600_302600_NS6detail15normal_iteratorINS9_10device_ptrIsEEEESE_PS5_SF_jNS0_19identity_decomposerENS1_16block_id_wrapperIjLb0EEEEE10hipError_tT1_PNSt15iterator_traitsISK_E10value_typeET2_T3_PNSL_ISQ_E10value_typeET4_T5_PSV_SW_PNS1_23onesweep_lookback_stateEbbT6_jjT7_P12ihipStream_tbENKUlT_T0_SK_SP_E_clISE_SE_SF_SF_EEDaS13_S14_SK_SP_EUlS13_E_NS1_11comp_targetILNS1_3genE8ELNS1_11target_archE1030ELNS1_3gpuE2ELNS1_3repE0EEENS1_47radix_sort_onesweep_sort_config_static_selectorELNS0_4arch9wavefront6targetE1EEEvSK_,"axG",@progbits,_ZN7rocprim17ROCPRIM_400000_NS6detail17trampoline_kernelINS0_14default_configENS1_35radix_sort_onesweep_config_selectorIsNS0_10empty_typeEEEZZNS1_29radix_sort_onesweep_iterationIS3_Lb0EN6thrust23THRUST_200600_302600_NS6detail15normal_iteratorINS9_10device_ptrIsEEEESE_PS5_SF_jNS0_19identity_decomposerENS1_16block_id_wrapperIjLb0EEEEE10hipError_tT1_PNSt15iterator_traitsISK_E10value_typeET2_T3_PNSL_ISQ_E10value_typeET4_T5_PSV_SW_PNS1_23onesweep_lookback_stateEbbT6_jjT7_P12ihipStream_tbENKUlT_T0_SK_SP_E_clISE_SE_SF_SF_EEDaS13_S14_SK_SP_EUlS13_E_NS1_11comp_targetILNS1_3genE8ELNS1_11target_archE1030ELNS1_3gpuE2ELNS1_3repE0EEENS1_47radix_sort_onesweep_sort_config_static_selectorELNS0_4arch9wavefront6targetE1EEEvSK_,comdat
.Lfunc_end1985:
	.size	_ZN7rocprim17ROCPRIM_400000_NS6detail17trampoline_kernelINS0_14default_configENS1_35radix_sort_onesweep_config_selectorIsNS0_10empty_typeEEEZZNS1_29radix_sort_onesweep_iterationIS3_Lb0EN6thrust23THRUST_200600_302600_NS6detail15normal_iteratorINS9_10device_ptrIsEEEESE_PS5_SF_jNS0_19identity_decomposerENS1_16block_id_wrapperIjLb0EEEEE10hipError_tT1_PNSt15iterator_traitsISK_E10value_typeET2_T3_PNSL_ISQ_E10value_typeET4_T5_PSV_SW_PNS1_23onesweep_lookback_stateEbbT6_jjT7_P12ihipStream_tbENKUlT_T0_SK_SP_E_clISE_SE_SF_SF_EEDaS13_S14_SK_SP_EUlS13_E_NS1_11comp_targetILNS1_3genE8ELNS1_11target_archE1030ELNS1_3gpuE2ELNS1_3repE0EEENS1_47radix_sort_onesweep_sort_config_static_selectorELNS0_4arch9wavefront6targetE1EEEvSK_, .Lfunc_end1985-_ZN7rocprim17ROCPRIM_400000_NS6detail17trampoline_kernelINS0_14default_configENS1_35radix_sort_onesweep_config_selectorIsNS0_10empty_typeEEEZZNS1_29radix_sort_onesweep_iterationIS3_Lb0EN6thrust23THRUST_200600_302600_NS6detail15normal_iteratorINS9_10device_ptrIsEEEESE_PS5_SF_jNS0_19identity_decomposerENS1_16block_id_wrapperIjLb0EEEEE10hipError_tT1_PNSt15iterator_traitsISK_E10value_typeET2_T3_PNSL_ISQ_E10value_typeET4_T5_PSV_SW_PNS1_23onesweep_lookback_stateEbbT6_jjT7_P12ihipStream_tbENKUlT_T0_SK_SP_E_clISE_SE_SF_SF_EEDaS13_S14_SK_SP_EUlS13_E_NS1_11comp_targetILNS1_3genE8ELNS1_11target_archE1030ELNS1_3gpuE2ELNS1_3repE0EEENS1_47radix_sort_onesweep_sort_config_static_selectorELNS0_4arch9wavefront6targetE1EEEvSK_
                                        ; -- End function
	.section	.AMDGPU.csdata,"",@progbits
; Kernel info:
; codeLenInByte = 0
; NumSgprs: 4
; NumVgprs: 0
; NumAgprs: 0
; TotalNumVgprs: 0
; ScratchSize: 0
; MemoryBound: 0
; FloatMode: 240
; IeeeMode: 1
; LDSByteSize: 0 bytes/workgroup (compile time only)
; SGPRBlocks: 0
; VGPRBlocks: 0
; NumSGPRsForWavesPerEU: 4
; NumVGPRsForWavesPerEU: 1
; AccumOffset: 4
; Occupancy: 8
; WaveLimiterHint : 0
; COMPUTE_PGM_RSRC2:SCRATCH_EN: 0
; COMPUTE_PGM_RSRC2:USER_SGPR: 6
; COMPUTE_PGM_RSRC2:TRAP_HANDLER: 0
; COMPUTE_PGM_RSRC2:TGID_X_EN: 1
; COMPUTE_PGM_RSRC2:TGID_Y_EN: 0
; COMPUTE_PGM_RSRC2:TGID_Z_EN: 0
; COMPUTE_PGM_RSRC2:TIDIG_COMP_CNT: 0
; COMPUTE_PGM_RSRC3_GFX90A:ACCUM_OFFSET: 0
; COMPUTE_PGM_RSRC3_GFX90A:TG_SPLIT: 0
	.section	.text._ZN7rocprim17ROCPRIM_400000_NS6detail17trampoline_kernelINS0_14default_configENS1_35radix_sort_onesweep_config_selectorIsNS0_10empty_typeEEEZZNS1_29radix_sort_onesweep_iterationIS3_Lb0EN6thrust23THRUST_200600_302600_NS6detail15normal_iteratorINS9_10device_ptrIsEEEESE_PS5_SF_jNS0_19identity_decomposerENS1_16block_id_wrapperIjLb0EEEEE10hipError_tT1_PNSt15iterator_traitsISK_E10value_typeET2_T3_PNSL_ISQ_E10value_typeET4_T5_PSV_SW_PNS1_23onesweep_lookback_stateEbbT6_jjT7_P12ihipStream_tbENKUlT_T0_SK_SP_E_clISE_PsSF_SF_EEDaS13_S14_SK_SP_EUlS13_E_NS1_11comp_targetILNS1_3genE0ELNS1_11target_archE4294967295ELNS1_3gpuE0ELNS1_3repE0EEENS1_47radix_sort_onesweep_sort_config_static_selectorELNS0_4arch9wavefront6targetE1EEEvSK_,"axG",@progbits,_ZN7rocprim17ROCPRIM_400000_NS6detail17trampoline_kernelINS0_14default_configENS1_35radix_sort_onesweep_config_selectorIsNS0_10empty_typeEEEZZNS1_29radix_sort_onesweep_iterationIS3_Lb0EN6thrust23THRUST_200600_302600_NS6detail15normal_iteratorINS9_10device_ptrIsEEEESE_PS5_SF_jNS0_19identity_decomposerENS1_16block_id_wrapperIjLb0EEEEE10hipError_tT1_PNSt15iterator_traitsISK_E10value_typeET2_T3_PNSL_ISQ_E10value_typeET4_T5_PSV_SW_PNS1_23onesweep_lookback_stateEbbT6_jjT7_P12ihipStream_tbENKUlT_T0_SK_SP_E_clISE_PsSF_SF_EEDaS13_S14_SK_SP_EUlS13_E_NS1_11comp_targetILNS1_3genE0ELNS1_11target_archE4294967295ELNS1_3gpuE0ELNS1_3repE0EEENS1_47radix_sort_onesweep_sort_config_static_selectorELNS0_4arch9wavefront6targetE1EEEvSK_,comdat
	.protected	_ZN7rocprim17ROCPRIM_400000_NS6detail17trampoline_kernelINS0_14default_configENS1_35radix_sort_onesweep_config_selectorIsNS0_10empty_typeEEEZZNS1_29radix_sort_onesweep_iterationIS3_Lb0EN6thrust23THRUST_200600_302600_NS6detail15normal_iteratorINS9_10device_ptrIsEEEESE_PS5_SF_jNS0_19identity_decomposerENS1_16block_id_wrapperIjLb0EEEEE10hipError_tT1_PNSt15iterator_traitsISK_E10value_typeET2_T3_PNSL_ISQ_E10value_typeET4_T5_PSV_SW_PNS1_23onesweep_lookback_stateEbbT6_jjT7_P12ihipStream_tbENKUlT_T0_SK_SP_E_clISE_PsSF_SF_EEDaS13_S14_SK_SP_EUlS13_E_NS1_11comp_targetILNS1_3genE0ELNS1_11target_archE4294967295ELNS1_3gpuE0ELNS1_3repE0EEENS1_47radix_sort_onesweep_sort_config_static_selectorELNS0_4arch9wavefront6targetE1EEEvSK_ ; -- Begin function _ZN7rocprim17ROCPRIM_400000_NS6detail17trampoline_kernelINS0_14default_configENS1_35radix_sort_onesweep_config_selectorIsNS0_10empty_typeEEEZZNS1_29radix_sort_onesweep_iterationIS3_Lb0EN6thrust23THRUST_200600_302600_NS6detail15normal_iteratorINS9_10device_ptrIsEEEESE_PS5_SF_jNS0_19identity_decomposerENS1_16block_id_wrapperIjLb0EEEEE10hipError_tT1_PNSt15iterator_traitsISK_E10value_typeET2_T3_PNSL_ISQ_E10value_typeET4_T5_PSV_SW_PNS1_23onesweep_lookback_stateEbbT6_jjT7_P12ihipStream_tbENKUlT_T0_SK_SP_E_clISE_PsSF_SF_EEDaS13_S14_SK_SP_EUlS13_E_NS1_11comp_targetILNS1_3genE0ELNS1_11target_archE4294967295ELNS1_3gpuE0ELNS1_3repE0EEENS1_47radix_sort_onesweep_sort_config_static_selectorELNS0_4arch9wavefront6targetE1EEEvSK_
	.globl	_ZN7rocprim17ROCPRIM_400000_NS6detail17trampoline_kernelINS0_14default_configENS1_35radix_sort_onesweep_config_selectorIsNS0_10empty_typeEEEZZNS1_29radix_sort_onesweep_iterationIS3_Lb0EN6thrust23THRUST_200600_302600_NS6detail15normal_iteratorINS9_10device_ptrIsEEEESE_PS5_SF_jNS0_19identity_decomposerENS1_16block_id_wrapperIjLb0EEEEE10hipError_tT1_PNSt15iterator_traitsISK_E10value_typeET2_T3_PNSL_ISQ_E10value_typeET4_T5_PSV_SW_PNS1_23onesweep_lookback_stateEbbT6_jjT7_P12ihipStream_tbENKUlT_T0_SK_SP_E_clISE_PsSF_SF_EEDaS13_S14_SK_SP_EUlS13_E_NS1_11comp_targetILNS1_3genE0ELNS1_11target_archE4294967295ELNS1_3gpuE0ELNS1_3repE0EEENS1_47radix_sort_onesweep_sort_config_static_selectorELNS0_4arch9wavefront6targetE1EEEvSK_
	.p2align	8
	.type	_ZN7rocprim17ROCPRIM_400000_NS6detail17trampoline_kernelINS0_14default_configENS1_35radix_sort_onesweep_config_selectorIsNS0_10empty_typeEEEZZNS1_29radix_sort_onesweep_iterationIS3_Lb0EN6thrust23THRUST_200600_302600_NS6detail15normal_iteratorINS9_10device_ptrIsEEEESE_PS5_SF_jNS0_19identity_decomposerENS1_16block_id_wrapperIjLb0EEEEE10hipError_tT1_PNSt15iterator_traitsISK_E10value_typeET2_T3_PNSL_ISQ_E10value_typeET4_T5_PSV_SW_PNS1_23onesweep_lookback_stateEbbT6_jjT7_P12ihipStream_tbENKUlT_T0_SK_SP_E_clISE_PsSF_SF_EEDaS13_S14_SK_SP_EUlS13_E_NS1_11comp_targetILNS1_3genE0ELNS1_11target_archE4294967295ELNS1_3gpuE0ELNS1_3repE0EEENS1_47radix_sort_onesweep_sort_config_static_selectorELNS0_4arch9wavefront6targetE1EEEvSK_,@function
_ZN7rocprim17ROCPRIM_400000_NS6detail17trampoline_kernelINS0_14default_configENS1_35radix_sort_onesweep_config_selectorIsNS0_10empty_typeEEEZZNS1_29radix_sort_onesweep_iterationIS3_Lb0EN6thrust23THRUST_200600_302600_NS6detail15normal_iteratorINS9_10device_ptrIsEEEESE_PS5_SF_jNS0_19identity_decomposerENS1_16block_id_wrapperIjLb0EEEEE10hipError_tT1_PNSt15iterator_traitsISK_E10value_typeET2_T3_PNSL_ISQ_E10value_typeET4_T5_PSV_SW_PNS1_23onesweep_lookback_stateEbbT6_jjT7_P12ihipStream_tbENKUlT_T0_SK_SP_E_clISE_PsSF_SF_EEDaS13_S14_SK_SP_EUlS13_E_NS1_11comp_targetILNS1_3genE0ELNS1_11target_archE4294967295ELNS1_3gpuE0ELNS1_3repE0EEENS1_47radix_sort_onesweep_sort_config_static_selectorELNS0_4arch9wavefront6targetE1EEEvSK_: ; @_ZN7rocprim17ROCPRIM_400000_NS6detail17trampoline_kernelINS0_14default_configENS1_35radix_sort_onesweep_config_selectorIsNS0_10empty_typeEEEZZNS1_29radix_sort_onesweep_iterationIS3_Lb0EN6thrust23THRUST_200600_302600_NS6detail15normal_iteratorINS9_10device_ptrIsEEEESE_PS5_SF_jNS0_19identity_decomposerENS1_16block_id_wrapperIjLb0EEEEE10hipError_tT1_PNSt15iterator_traitsISK_E10value_typeET2_T3_PNSL_ISQ_E10value_typeET4_T5_PSV_SW_PNS1_23onesweep_lookback_stateEbbT6_jjT7_P12ihipStream_tbENKUlT_T0_SK_SP_E_clISE_PsSF_SF_EEDaS13_S14_SK_SP_EUlS13_E_NS1_11comp_targetILNS1_3genE0ELNS1_11target_archE4294967295ELNS1_3gpuE0ELNS1_3repE0EEENS1_47radix_sort_onesweep_sort_config_static_selectorELNS0_4arch9wavefront6targetE1EEEvSK_
; %bb.0:
	.section	.rodata,"a",@progbits
	.p2align	6, 0x0
	.amdhsa_kernel _ZN7rocprim17ROCPRIM_400000_NS6detail17trampoline_kernelINS0_14default_configENS1_35radix_sort_onesweep_config_selectorIsNS0_10empty_typeEEEZZNS1_29radix_sort_onesweep_iterationIS3_Lb0EN6thrust23THRUST_200600_302600_NS6detail15normal_iteratorINS9_10device_ptrIsEEEESE_PS5_SF_jNS0_19identity_decomposerENS1_16block_id_wrapperIjLb0EEEEE10hipError_tT1_PNSt15iterator_traitsISK_E10value_typeET2_T3_PNSL_ISQ_E10value_typeET4_T5_PSV_SW_PNS1_23onesweep_lookback_stateEbbT6_jjT7_P12ihipStream_tbENKUlT_T0_SK_SP_E_clISE_PsSF_SF_EEDaS13_S14_SK_SP_EUlS13_E_NS1_11comp_targetILNS1_3genE0ELNS1_11target_archE4294967295ELNS1_3gpuE0ELNS1_3repE0EEENS1_47radix_sort_onesweep_sort_config_static_selectorELNS0_4arch9wavefront6targetE1EEEvSK_
		.amdhsa_group_segment_fixed_size 0
		.amdhsa_private_segment_fixed_size 0
		.amdhsa_kernarg_size 88
		.amdhsa_user_sgpr_count 6
		.amdhsa_user_sgpr_private_segment_buffer 1
		.amdhsa_user_sgpr_dispatch_ptr 0
		.amdhsa_user_sgpr_queue_ptr 0
		.amdhsa_user_sgpr_kernarg_segment_ptr 1
		.amdhsa_user_sgpr_dispatch_id 0
		.amdhsa_user_sgpr_flat_scratch_init 0
		.amdhsa_user_sgpr_kernarg_preload_length 0
		.amdhsa_user_sgpr_kernarg_preload_offset 0
		.amdhsa_user_sgpr_private_segment_size 0
		.amdhsa_uses_dynamic_stack 0
		.amdhsa_system_sgpr_private_segment_wavefront_offset 0
		.amdhsa_system_sgpr_workgroup_id_x 1
		.amdhsa_system_sgpr_workgroup_id_y 0
		.amdhsa_system_sgpr_workgroup_id_z 0
		.amdhsa_system_sgpr_workgroup_info 0
		.amdhsa_system_vgpr_workitem_id 0
		.amdhsa_next_free_vgpr 1
		.amdhsa_next_free_sgpr 0
		.amdhsa_accum_offset 4
		.amdhsa_reserve_vcc 0
		.amdhsa_reserve_flat_scratch 0
		.amdhsa_float_round_mode_32 0
		.amdhsa_float_round_mode_16_64 0
		.amdhsa_float_denorm_mode_32 3
		.amdhsa_float_denorm_mode_16_64 3
		.amdhsa_dx10_clamp 1
		.amdhsa_ieee_mode 1
		.amdhsa_fp16_overflow 0
		.amdhsa_tg_split 0
		.amdhsa_exception_fp_ieee_invalid_op 0
		.amdhsa_exception_fp_denorm_src 0
		.amdhsa_exception_fp_ieee_div_zero 0
		.amdhsa_exception_fp_ieee_overflow 0
		.amdhsa_exception_fp_ieee_underflow 0
		.amdhsa_exception_fp_ieee_inexact 0
		.amdhsa_exception_int_div_zero 0
	.end_amdhsa_kernel
	.section	.text._ZN7rocprim17ROCPRIM_400000_NS6detail17trampoline_kernelINS0_14default_configENS1_35radix_sort_onesweep_config_selectorIsNS0_10empty_typeEEEZZNS1_29radix_sort_onesweep_iterationIS3_Lb0EN6thrust23THRUST_200600_302600_NS6detail15normal_iteratorINS9_10device_ptrIsEEEESE_PS5_SF_jNS0_19identity_decomposerENS1_16block_id_wrapperIjLb0EEEEE10hipError_tT1_PNSt15iterator_traitsISK_E10value_typeET2_T3_PNSL_ISQ_E10value_typeET4_T5_PSV_SW_PNS1_23onesweep_lookback_stateEbbT6_jjT7_P12ihipStream_tbENKUlT_T0_SK_SP_E_clISE_PsSF_SF_EEDaS13_S14_SK_SP_EUlS13_E_NS1_11comp_targetILNS1_3genE0ELNS1_11target_archE4294967295ELNS1_3gpuE0ELNS1_3repE0EEENS1_47radix_sort_onesweep_sort_config_static_selectorELNS0_4arch9wavefront6targetE1EEEvSK_,"axG",@progbits,_ZN7rocprim17ROCPRIM_400000_NS6detail17trampoline_kernelINS0_14default_configENS1_35radix_sort_onesweep_config_selectorIsNS0_10empty_typeEEEZZNS1_29radix_sort_onesweep_iterationIS3_Lb0EN6thrust23THRUST_200600_302600_NS6detail15normal_iteratorINS9_10device_ptrIsEEEESE_PS5_SF_jNS0_19identity_decomposerENS1_16block_id_wrapperIjLb0EEEEE10hipError_tT1_PNSt15iterator_traitsISK_E10value_typeET2_T3_PNSL_ISQ_E10value_typeET4_T5_PSV_SW_PNS1_23onesweep_lookback_stateEbbT6_jjT7_P12ihipStream_tbENKUlT_T0_SK_SP_E_clISE_PsSF_SF_EEDaS13_S14_SK_SP_EUlS13_E_NS1_11comp_targetILNS1_3genE0ELNS1_11target_archE4294967295ELNS1_3gpuE0ELNS1_3repE0EEENS1_47radix_sort_onesweep_sort_config_static_selectorELNS0_4arch9wavefront6targetE1EEEvSK_,comdat
.Lfunc_end1986:
	.size	_ZN7rocprim17ROCPRIM_400000_NS6detail17trampoline_kernelINS0_14default_configENS1_35radix_sort_onesweep_config_selectorIsNS0_10empty_typeEEEZZNS1_29radix_sort_onesweep_iterationIS3_Lb0EN6thrust23THRUST_200600_302600_NS6detail15normal_iteratorINS9_10device_ptrIsEEEESE_PS5_SF_jNS0_19identity_decomposerENS1_16block_id_wrapperIjLb0EEEEE10hipError_tT1_PNSt15iterator_traitsISK_E10value_typeET2_T3_PNSL_ISQ_E10value_typeET4_T5_PSV_SW_PNS1_23onesweep_lookback_stateEbbT6_jjT7_P12ihipStream_tbENKUlT_T0_SK_SP_E_clISE_PsSF_SF_EEDaS13_S14_SK_SP_EUlS13_E_NS1_11comp_targetILNS1_3genE0ELNS1_11target_archE4294967295ELNS1_3gpuE0ELNS1_3repE0EEENS1_47radix_sort_onesweep_sort_config_static_selectorELNS0_4arch9wavefront6targetE1EEEvSK_, .Lfunc_end1986-_ZN7rocprim17ROCPRIM_400000_NS6detail17trampoline_kernelINS0_14default_configENS1_35radix_sort_onesweep_config_selectorIsNS0_10empty_typeEEEZZNS1_29radix_sort_onesweep_iterationIS3_Lb0EN6thrust23THRUST_200600_302600_NS6detail15normal_iteratorINS9_10device_ptrIsEEEESE_PS5_SF_jNS0_19identity_decomposerENS1_16block_id_wrapperIjLb0EEEEE10hipError_tT1_PNSt15iterator_traitsISK_E10value_typeET2_T3_PNSL_ISQ_E10value_typeET4_T5_PSV_SW_PNS1_23onesweep_lookback_stateEbbT6_jjT7_P12ihipStream_tbENKUlT_T0_SK_SP_E_clISE_PsSF_SF_EEDaS13_S14_SK_SP_EUlS13_E_NS1_11comp_targetILNS1_3genE0ELNS1_11target_archE4294967295ELNS1_3gpuE0ELNS1_3repE0EEENS1_47radix_sort_onesweep_sort_config_static_selectorELNS0_4arch9wavefront6targetE1EEEvSK_
                                        ; -- End function
	.section	.AMDGPU.csdata,"",@progbits
; Kernel info:
; codeLenInByte = 0
; NumSgprs: 4
; NumVgprs: 0
; NumAgprs: 0
; TotalNumVgprs: 0
; ScratchSize: 0
; MemoryBound: 0
; FloatMode: 240
; IeeeMode: 1
; LDSByteSize: 0 bytes/workgroup (compile time only)
; SGPRBlocks: 0
; VGPRBlocks: 0
; NumSGPRsForWavesPerEU: 4
; NumVGPRsForWavesPerEU: 1
; AccumOffset: 4
; Occupancy: 8
; WaveLimiterHint : 0
; COMPUTE_PGM_RSRC2:SCRATCH_EN: 0
; COMPUTE_PGM_RSRC2:USER_SGPR: 6
; COMPUTE_PGM_RSRC2:TRAP_HANDLER: 0
; COMPUTE_PGM_RSRC2:TGID_X_EN: 1
; COMPUTE_PGM_RSRC2:TGID_Y_EN: 0
; COMPUTE_PGM_RSRC2:TGID_Z_EN: 0
; COMPUTE_PGM_RSRC2:TIDIG_COMP_CNT: 0
; COMPUTE_PGM_RSRC3_GFX90A:ACCUM_OFFSET: 0
; COMPUTE_PGM_RSRC3_GFX90A:TG_SPLIT: 0
	.section	.text._ZN7rocprim17ROCPRIM_400000_NS6detail17trampoline_kernelINS0_14default_configENS1_35radix_sort_onesweep_config_selectorIsNS0_10empty_typeEEEZZNS1_29radix_sort_onesweep_iterationIS3_Lb0EN6thrust23THRUST_200600_302600_NS6detail15normal_iteratorINS9_10device_ptrIsEEEESE_PS5_SF_jNS0_19identity_decomposerENS1_16block_id_wrapperIjLb0EEEEE10hipError_tT1_PNSt15iterator_traitsISK_E10value_typeET2_T3_PNSL_ISQ_E10value_typeET4_T5_PSV_SW_PNS1_23onesweep_lookback_stateEbbT6_jjT7_P12ihipStream_tbENKUlT_T0_SK_SP_E_clISE_PsSF_SF_EEDaS13_S14_SK_SP_EUlS13_E_NS1_11comp_targetILNS1_3genE6ELNS1_11target_archE950ELNS1_3gpuE13ELNS1_3repE0EEENS1_47radix_sort_onesweep_sort_config_static_selectorELNS0_4arch9wavefront6targetE1EEEvSK_,"axG",@progbits,_ZN7rocprim17ROCPRIM_400000_NS6detail17trampoline_kernelINS0_14default_configENS1_35radix_sort_onesweep_config_selectorIsNS0_10empty_typeEEEZZNS1_29radix_sort_onesweep_iterationIS3_Lb0EN6thrust23THRUST_200600_302600_NS6detail15normal_iteratorINS9_10device_ptrIsEEEESE_PS5_SF_jNS0_19identity_decomposerENS1_16block_id_wrapperIjLb0EEEEE10hipError_tT1_PNSt15iterator_traitsISK_E10value_typeET2_T3_PNSL_ISQ_E10value_typeET4_T5_PSV_SW_PNS1_23onesweep_lookback_stateEbbT6_jjT7_P12ihipStream_tbENKUlT_T0_SK_SP_E_clISE_PsSF_SF_EEDaS13_S14_SK_SP_EUlS13_E_NS1_11comp_targetILNS1_3genE6ELNS1_11target_archE950ELNS1_3gpuE13ELNS1_3repE0EEENS1_47radix_sort_onesweep_sort_config_static_selectorELNS0_4arch9wavefront6targetE1EEEvSK_,comdat
	.protected	_ZN7rocprim17ROCPRIM_400000_NS6detail17trampoline_kernelINS0_14default_configENS1_35radix_sort_onesweep_config_selectorIsNS0_10empty_typeEEEZZNS1_29radix_sort_onesweep_iterationIS3_Lb0EN6thrust23THRUST_200600_302600_NS6detail15normal_iteratorINS9_10device_ptrIsEEEESE_PS5_SF_jNS0_19identity_decomposerENS1_16block_id_wrapperIjLb0EEEEE10hipError_tT1_PNSt15iterator_traitsISK_E10value_typeET2_T3_PNSL_ISQ_E10value_typeET4_T5_PSV_SW_PNS1_23onesweep_lookback_stateEbbT6_jjT7_P12ihipStream_tbENKUlT_T0_SK_SP_E_clISE_PsSF_SF_EEDaS13_S14_SK_SP_EUlS13_E_NS1_11comp_targetILNS1_3genE6ELNS1_11target_archE950ELNS1_3gpuE13ELNS1_3repE0EEENS1_47radix_sort_onesweep_sort_config_static_selectorELNS0_4arch9wavefront6targetE1EEEvSK_ ; -- Begin function _ZN7rocprim17ROCPRIM_400000_NS6detail17trampoline_kernelINS0_14default_configENS1_35radix_sort_onesweep_config_selectorIsNS0_10empty_typeEEEZZNS1_29radix_sort_onesweep_iterationIS3_Lb0EN6thrust23THRUST_200600_302600_NS6detail15normal_iteratorINS9_10device_ptrIsEEEESE_PS5_SF_jNS0_19identity_decomposerENS1_16block_id_wrapperIjLb0EEEEE10hipError_tT1_PNSt15iterator_traitsISK_E10value_typeET2_T3_PNSL_ISQ_E10value_typeET4_T5_PSV_SW_PNS1_23onesweep_lookback_stateEbbT6_jjT7_P12ihipStream_tbENKUlT_T0_SK_SP_E_clISE_PsSF_SF_EEDaS13_S14_SK_SP_EUlS13_E_NS1_11comp_targetILNS1_3genE6ELNS1_11target_archE950ELNS1_3gpuE13ELNS1_3repE0EEENS1_47radix_sort_onesweep_sort_config_static_selectorELNS0_4arch9wavefront6targetE1EEEvSK_
	.globl	_ZN7rocprim17ROCPRIM_400000_NS6detail17trampoline_kernelINS0_14default_configENS1_35radix_sort_onesweep_config_selectorIsNS0_10empty_typeEEEZZNS1_29radix_sort_onesweep_iterationIS3_Lb0EN6thrust23THRUST_200600_302600_NS6detail15normal_iteratorINS9_10device_ptrIsEEEESE_PS5_SF_jNS0_19identity_decomposerENS1_16block_id_wrapperIjLb0EEEEE10hipError_tT1_PNSt15iterator_traitsISK_E10value_typeET2_T3_PNSL_ISQ_E10value_typeET4_T5_PSV_SW_PNS1_23onesweep_lookback_stateEbbT6_jjT7_P12ihipStream_tbENKUlT_T0_SK_SP_E_clISE_PsSF_SF_EEDaS13_S14_SK_SP_EUlS13_E_NS1_11comp_targetILNS1_3genE6ELNS1_11target_archE950ELNS1_3gpuE13ELNS1_3repE0EEENS1_47radix_sort_onesweep_sort_config_static_selectorELNS0_4arch9wavefront6targetE1EEEvSK_
	.p2align	8
	.type	_ZN7rocprim17ROCPRIM_400000_NS6detail17trampoline_kernelINS0_14default_configENS1_35radix_sort_onesweep_config_selectorIsNS0_10empty_typeEEEZZNS1_29radix_sort_onesweep_iterationIS3_Lb0EN6thrust23THRUST_200600_302600_NS6detail15normal_iteratorINS9_10device_ptrIsEEEESE_PS5_SF_jNS0_19identity_decomposerENS1_16block_id_wrapperIjLb0EEEEE10hipError_tT1_PNSt15iterator_traitsISK_E10value_typeET2_T3_PNSL_ISQ_E10value_typeET4_T5_PSV_SW_PNS1_23onesweep_lookback_stateEbbT6_jjT7_P12ihipStream_tbENKUlT_T0_SK_SP_E_clISE_PsSF_SF_EEDaS13_S14_SK_SP_EUlS13_E_NS1_11comp_targetILNS1_3genE6ELNS1_11target_archE950ELNS1_3gpuE13ELNS1_3repE0EEENS1_47radix_sort_onesweep_sort_config_static_selectorELNS0_4arch9wavefront6targetE1EEEvSK_,@function
_ZN7rocprim17ROCPRIM_400000_NS6detail17trampoline_kernelINS0_14default_configENS1_35radix_sort_onesweep_config_selectorIsNS0_10empty_typeEEEZZNS1_29radix_sort_onesweep_iterationIS3_Lb0EN6thrust23THRUST_200600_302600_NS6detail15normal_iteratorINS9_10device_ptrIsEEEESE_PS5_SF_jNS0_19identity_decomposerENS1_16block_id_wrapperIjLb0EEEEE10hipError_tT1_PNSt15iterator_traitsISK_E10value_typeET2_T3_PNSL_ISQ_E10value_typeET4_T5_PSV_SW_PNS1_23onesweep_lookback_stateEbbT6_jjT7_P12ihipStream_tbENKUlT_T0_SK_SP_E_clISE_PsSF_SF_EEDaS13_S14_SK_SP_EUlS13_E_NS1_11comp_targetILNS1_3genE6ELNS1_11target_archE950ELNS1_3gpuE13ELNS1_3repE0EEENS1_47radix_sort_onesweep_sort_config_static_selectorELNS0_4arch9wavefront6targetE1EEEvSK_: ; @_ZN7rocprim17ROCPRIM_400000_NS6detail17trampoline_kernelINS0_14default_configENS1_35radix_sort_onesweep_config_selectorIsNS0_10empty_typeEEEZZNS1_29radix_sort_onesweep_iterationIS3_Lb0EN6thrust23THRUST_200600_302600_NS6detail15normal_iteratorINS9_10device_ptrIsEEEESE_PS5_SF_jNS0_19identity_decomposerENS1_16block_id_wrapperIjLb0EEEEE10hipError_tT1_PNSt15iterator_traitsISK_E10value_typeET2_T3_PNSL_ISQ_E10value_typeET4_T5_PSV_SW_PNS1_23onesweep_lookback_stateEbbT6_jjT7_P12ihipStream_tbENKUlT_T0_SK_SP_E_clISE_PsSF_SF_EEDaS13_S14_SK_SP_EUlS13_E_NS1_11comp_targetILNS1_3genE6ELNS1_11target_archE950ELNS1_3gpuE13ELNS1_3repE0EEENS1_47radix_sort_onesweep_sort_config_static_selectorELNS0_4arch9wavefront6targetE1EEEvSK_
; %bb.0:
	.section	.rodata,"a",@progbits
	.p2align	6, 0x0
	.amdhsa_kernel _ZN7rocprim17ROCPRIM_400000_NS6detail17trampoline_kernelINS0_14default_configENS1_35radix_sort_onesweep_config_selectorIsNS0_10empty_typeEEEZZNS1_29radix_sort_onesweep_iterationIS3_Lb0EN6thrust23THRUST_200600_302600_NS6detail15normal_iteratorINS9_10device_ptrIsEEEESE_PS5_SF_jNS0_19identity_decomposerENS1_16block_id_wrapperIjLb0EEEEE10hipError_tT1_PNSt15iterator_traitsISK_E10value_typeET2_T3_PNSL_ISQ_E10value_typeET4_T5_PSV_SW_PNS1_23onesweep_lookback_stateEbbT6_jjT7_P12ihipStream_tbENKUlT_T0_SK_SP_E_clISE_PsSF_SF_EEDaS13_S14_SK_SP_EUlS13_E_NS1_11comp_targetILNS1_3genE6ELNS1_11target_archE950ELNS1_3gpuE13ELNS1_3repE0EEENS1_47radix_sort_onesweep_sort_config_static_selectorELNS0_4arch9wavefront6targetE1EEEvSK_
		.amdhsa_group_segment_fixed_size 0
		.amdhsa_private_segment_fixed_size 0
		.amdhsa_kernarg_size 88
		.amdhsa_user_sgpr_count 6
		.amdhsa_user_sgpr_private_segment_buffer 1
		.amdhsa_user_sgpr_dispatch_ptr 0
		.amdhsa_user_sgpr_queue_ptr 0
		.amdhsa_user_sgpr_kernarg_segment_ptr 1
		.amdhsa_user_sgpr_dispatch_id 0
		.amdhsa_user_sgpr_flat_scratch_init 0
		.amdhsa_user_sgpr_kernarg_preload_length 0
		.amdhsa_user_sgpr_kernarg_preload_offset 0
		.amdhsa_user_sgpr_private_segment_size 0
		.amdhsa_uses_dynamic_stack 0
		.amdhsa_system_sgpr_private_segment_wavefront_offset 0
		.amdhsa_system_sgpr_workgroup_id_x 1
		.amdhsa_system_sgpr_workgroup_id_y 0
		.amdhsa_system_sgpr_workgroup_id_z 0
		.amdhsa_system_sgpr_workgroup_info 0
		.amdhsa_system_vgpr_workitem_id 0
		.amdhsa_next_free_vgpr 1
		.amdhsa_next_free_sgpr 0
		.amdhsa_accum_offset 4
		.amdhsa_reserve_vcc 0
		.amdhsa_reserve_flat_scratch 0
		.amdhsa_float_round_mode_32 0
		.amdhsa_float_round_mode_16_64 0
		.amdhsa_float_denorm_mode_32 3
		.amdhsa_float_denorm_mode_16_64 3
		.amdhsa_dx10_clamp 1
		.amdhsa_ieee_mode 1
		.amdhsa_fp16_overflow 0
		.amdhsa_tg_split 0
		.amdhsa_exception_fp_ieee_invalid_op 0
		.amdhsa_exception_fp_denorm_src 0
		.amdhsa_exception_fp_ieee_div_zero 0
		.amdhsa_exception_fp_ieee_overflow 0
		.amdhsa_exception_fp_ieee_underflow 0
		.amdhsa_exception_fp_ieee_inexact 0
		.amdhsa_exception_int_div_zero 0
	.end_amdhsa_kernel
	.section	.text._ZN7rocprim17ROCPRIM_400000_NS6detail17trampoline_kernelINS0_14default_configENS1_35radix_sort_onesweep_config_selectorIsNS0_10empty_typeEEEZZNS1_29radix_sort_onesweep_iterationIS3_Lb0EN6thrust23THRUST_200600_302600_NS6detail15normal_iteratorINS9_10device_ptrIsEEEESE_PS5_SF_jNS0_19identity_decomposerENS1_16block_id_wrapperIjLb0EEEEE10hipError_tT1_PNSt15iterator_traitsISK_E10value_typeET2_T3_PNSL_ISQ_E10value_typeET4_T5_PSV_SW_PNS1_23onesweep_lookback_stateEbbT6_jjT7_P12ihipStream_tbENKUlT_T0_SK_SP_E_clISE_PsSF_SF_EEDaS13_S14_SK_SP_EUlS13_E_NS1_11comp_targetILNS1_3genE6ELNS1_11target_archE950ELNS1_3gpuE13ELNS1_3repE0EEENS1_47radix_sort_onesweep_sort_config_static_selectorELNS0_4arch9wavefront6targetE1EEEvSK_,"axG",@progbits,_ZN7rocprim17ROCPRIM_400000_NS6detail17trampoline_kernelINS0_14default_configENS1_35radix_sort_onesweep_config_selectorIsNS0_10empty_typeEEEZZNS1_29radix_sort_onesweep_iterationIS3_Lb0EN6thrust23THRUST_200600_302600_NS6detail15normal_iteratorINS9_10device_ptrIsEEEESE_PS5_SF_jNS0_19identity_decomposerENS1_16block_id_wrapperIjLb0EEEEE10hipError_tT1_PNSt15iterator_traitsISK_E10value_typeET2_T3_PNSL_ISQ_E10value_typeET4_T5_PSV_SW_PNS1_23onesweep_lookback_stateEbbT6_jjT7_P12ihipStream_tbENKUlT_T0_SK_SP_E_clISE_PsSF_SF_EEDaS13_S14_SK_SP_EUlS13_E_NS1_11comp_targetILNS1_3genE6ELNS1_11target_archE950ELNS1_3gpuE13ELNS1_3repE0EEENS1_47radix_sort_onesweep_sort_config_static_selectorELNS0_4arch9wavefront6targetE1EEEvSK_,comdat
.Lfunc_end1987:
	.size	_ZN7rocprim17ROCPRIM_400000_NS6detail17trampoline_kernelINS0_14default_configENS1_35radix_sort_onesweep_config_selectorIsNS0_10empty_typeEEEZZNS1_29radix_sort_onesweep_iterationIS3_Lb0EN6thrust23THRUST_200600_302600_NS6detail15normal_iteratorINS9_10device_ptrIsEEEESE_PS5_SF_jNS0_19identity_decomposerENS1_16block_id_wrapperIjLb0EEEEE10hipError_tT1_PNSt15iterator_traitsISK_E10value_typeET2_T3_PNSL_ISQ_E10value_typeET4_T5_PSV_SW_PNS1_23onesweep_lookback_stateEbbT6_jjT7_P12ihipStream_tbENKUlT_T0_SK_SP_E_clISE_PsSF_SF_EEDaS13_S14_SK_SP_EUlS13_E_NS1_11comp_targetILNS1_3genE6ELNS1_11target_archE950ELNS1_3gpuE13ELNS1_3repE0EEENS1_47radix_sort_onesweep_sort_config_static_selectorELNS0_4arch9wavefront6targetE1EEEvSK_, .Lfunc_end1987-_ZN7rocprim17ROCPRIM_400000_NS6detail17trampoline_kernelINS0_14default_configENS1_35radix_sort_onesweep_config_selectorIsNS0_10empty_typeEEEZZNS1_29radix_sort_onesweep_iterationIS3_Lb0EN6thrust23THRUST_200600_302600_NS6detail15normal_iteratorINS9_10device_ptrIsEEEESE_PS5_SF_jNS0_19identity_decomposerENS1_16block_id_wrapperIjLb0EEEEE10hipError_tT1_PNSt15iterator_traitsISK_E10value_typeET2_T3_PNSL_ISQ_E10value_typeET4_T5_PSV_SW_PNS1_23onesweep_lookback_stateEbbT6_jjT7_P12ihipStream_tbENKUlT_T0_SK_SP_E_clISE_PsSF_SF_EEDaS13_S14_SK_SP_EUlS13_E_NS1_11comp_targetILNS1_3genE6ELNS1_11target_archE950ELNS1_3gpuE13ELNS1_3repE0EEENS1_47radix_sort_onesweep_sort_config_static_selectorELNS0_4arch9wavefront6targetE1EEEvSK_
                                        ; -- End function
	.section	.AMDGPU.csdata,"",@progbits
; Kernel info:
; codeLenInByte = 0
; NumSgprs: 4
; NumVgprs: 0
; NumAgprs: 0
; TotalNumVgprs: 0
; ScratchSize: 0
; MemoryBound: 0
; FloatMode: 240
; IeeeMode: 1
; LDSByteSize: 0 bytes/workgroup (compile time only)
; SGPRBlocks: 0
; VGPRBlocks: 0
; NumSGPRsForWavesPerEU: 4
; NumVGPRsForWavesPerEU: 1
; AccumOffset: 4
; Occupancy: 8
; WaveLimiterHint : 0
; COMPUTE_PGM_RSRC2:SCRATCH_EN: 0
; COMPUTE_PGM_RSRC2:USER_SGPR: 6
; COMPUTE_PGM_RSRC2:TRAP_HANDLER: 0
; COMPUTE_PGM_RSRC2:TGID_X_EN: 1
; COMPUTE_PGM_RSRC2:TGID_Y_EN: 0
; COMPUTE_PGM_RSRC2:TGID_Z_EN: 0
; COMPUTE_PGM_RSRC2:TIDIG_COMP_CNT: 0
; COMPUTE_PGM_RSRC3_GFX90A:ACCUM_OFFSET: 0
; COMPUTE_PGM_RSRC3_GFX90A:TG_SPLIT: 0
	.section	.text._ZN7rocprim17ROCPRIM_400000_NS6detail17trampoline_kernelINS0_14default_configENS1_35radix_sort_onesweep_config_selectorIsNS0_10empty_typeEEEZZNS1_29radix_sort_onesweep_iterationIS3_Lb0EN6thrust23THRUST_200600_302600_NS6detail15normal_iteratorINS9_10device_ptrIsEEEESE_PS5_SF_jNS0_19identity_decomposerENS1_16block_id_wrapperIjLb0EEEEE10hipError_tT1_PNSt15iterator_traitsISK_E10value_typeET2_T3_PNSL_ISQ_E10value_typeET4_T5_PSV_SW_PNS1_23onesweep_lookback_stateEbbT6_jjT7_P12ihipStream_tbENKUlT_T0_SK_SP_E_clISE_PsSF_SF_EEDaS13_S14_SK_SP_EUlS13_E_NS1_11comp_targetILNS1_3genE5ELNS1_11target_archE942ELNS1_3gpuE9ELNS1_3repE0EEENS1_47radix_sort_onesweep_sort_config_static_selectorELNS0_4arch9wavefront6targetE1EEEvSK_,"axG",@progbits,_ZN7rocprim17ROCPRIM_400000_NS6detail17trampoline_kernelINS0_14default_configENS1_35radix_sort_onesweep_config_selectorIsNS0_10empty_typeEEEZZNS1_29radix_sort_onesweep_iterationIS3_Lb0EN6thrust23THRUST_200600_302600_NS6detail15normal_iteratorINS9_10device_ptrIsEEEESE_PS5_SF_jNS0_19identity_decomposerENS1_16block_id_wrapperIjLb0EEEEE10hipError_tT1_PNSt15iterator_traitsISK_E10value_typeET2_T3_PNSL_ISQ_E10value_typeET4_T5_PSV_SW_PNS1_23onesweep_lookback_stateEbbT6_jjT7_P12ihipStream_tbENKUlT_T0_SK_SP_E_clISE_PsSF_SF_EEDaS13_S14_SK_SP_EUlS13_E_NS1_11comp_targetILNS1_3genE5ELNS1_11target_archE942ELNS1_3gpuE9ELNS1_3repE0EEENS1_47radix_sort_onesweep_sort_config_static_selectorELNS0_4arch9wavefront6targetE1EEEvSK_,comdat
	.protected	_ZN7rocprim17ROCPRIM_400000_NS6detail17trampoline_kernelINS0_14default_configENS1_35radix_sort_onesweep_config_selectorIsNS0_10empty_typeEEEZZNS1_29radix_sort_onesweep_iterationIS3_Lb0EN6thrust23THRUST_200600_302600_NS6detail15normal_iteratorINS9_10device_ptrIsEEEESE_PS5_SF_jNS0_19identity_decomposerENS1_16block_id_wrapperIjLb0EEEEE10hipError_tT1_PNSt15iterator_traitsISK_E10value_typeET2_T3_PNSL_ISQ_E10value_typeET4_T5_PSV_SW_PNS1_23onesweep_lookback_stateEbbT6_jjT7_P12ihipStream_tbENKUlT_T0_SK_SP_E_clISE_PsSF_SF_EEDaS13_S14_SK_SP_EUlS13_E_NS1_11comp_targetILNS1_3genE5ELNS1_11target_archE942ELNS1_3gpuE9ELNS1_3repE0EEENS1_47radix_sort_onesweep_sort_config_static_selectorELNS0_4arch9wavefront6targetE1EEEvSK_ ; -- Begin function _ZN7rocprim17ROCPRIM_400000_NS6detail17trampoline_kernelINS0_14default_configENS1_35radix_sort_onesweep_config_selectorIsNS0_10empty_typeEEEZZNS1_29radix_sort_onesweep_iterationIS3_Lb0EN6thrust23THRUST_200600_302600_NS6detail15normal_iteratorINS9_10device_ptrIsEEEESE_PS5_SF_jNS0_19identity_decomposerENS1_16block_id_wrapperIjLb0EEEEE10hipError_tT1_PNSt15iterator_traitsISK_E10value_typeET2_T3_PNSL_ISQ_E10value_typeET4_T5_PSV_SW_PNS1_23onesweep_lookback_stateEbbT6_jjT7_P12ihipStream_tbENKUlT_T0_SK_SP_E_clISE_PsSF_SF_EEDaS13_S14_SK_SP_EUlS13_E_NS1_11comp_targetILNS1_3genE5ELNS1_11target_archE942ELNS1_3gpuE9ELNS1_3repE0EEENS1_47radix_sort_onesweep_sort_config_static_selectorELNS0_4arch9wavefront6targetE1EEEvSK_
	.globl	_ZN7rocprim17ROCPRIM_400000_NS6detail17trampoline_kernelINS0_14default_configENS1_35radix_sort_onesweep_config_selectorIsNS0_10empty_typeEEEZZNS1_29radix_sort_onesweep_iterationIS3_Lb0EN6thrust23THRUST_200600_302600_NS6detail15normal_iteratorINS9_10device_ptrIsEEEESE_PS5_SF_jNS0_19identity_decomposerENS1_16block_id_wrapperIjLb0EEEEE10hipError_tT1_PNSt15iterator_traitsISK_E10value_typeET2_T3_PNSL_ISQ_E10value_typeET4_T5_PSV_SW_PNS1_23onesweep_lookback_stateEbbT6_jjT7_P12ihipStream_tbENKUlT_T0_SK_SP_E_clISE_PsSF_SF_EEDaS13_S14_SK_SP_EUlS13_E_NS1_11comp_targetILNS1_3genE5ELNS1_11target_archE942ELNS1_3gpuE9ELNS1_3repE0EEENS1_47radix_sort_onesweep_sort_config_static_selectorELNS0_4arch9wavefront6targetE1EEEvSK_
	.p2align	8
	.type	_ZN7rocprim17ROCPRIM_400000_NS6detail17trampoline_kernelINS0_14default_configENS1_35radix_sort_onesweep_config_selectorIsNS0_10empty_typeEEEZZNS1_29radix_sort_onesweep_iterationIS3_Lb0EN6thrust23THRUST_200600_302600_NS6detail15normal_iteratorINS9_10device_ptrIsEEEESE_PS5_SF_jNS0_19identity_decomposerENS1_16block_id_wrapperIjLb0EEEEE10hipError_tT1_PNSt15iterator_traitsISK_E10value_typeET2_T3_PNSL_ISQ_E10value_typeET4_T5_PSV_SW_PNS1_23onesweep_lookback_stateEbbT6_jjT7_P12ihipStream_tbENKUlT_T0_SK_SP_E_clISE_PsSF_SF_EEDaS13_S14_SK_SP_EUlS13_E_NS1_11comp_targetILNS1_3genE5ELNS1_11target_archE942ELNS1_3gpuE9ELNS1_3repE0EEENS1_47radix_sort_onesweep_sort_config_static_selectorELNS0_4arch9wavefront6targetE1EEEvSK_,@function
_ZN7rocprim17ROCPRIM_400000_NS6detail17trampoline_kernelINS0_14default_configENS1_35radix_sort_onesweep_config_selectorIsNS0_10empty_typeEEEZZNS1_29radix_sort_onesweep_iterationIS3_Lb0EN6thrust23THRUST_200600_302600_NS6detail15normal_iteratorINS9_10device_ptrIsEEEESE_PS5_SF_jNS0_19identity_decomposerENS1_16block_id_wrapperIjLb0EEEEE10hipError_tT1_PNSt15iterator_traitsISK_E10value_typeET2_T3_PNSL_ISQ_E10value_typeET4_T5_PSV_SW_PNS1_23onesweep_lookback_stateEbbT6_jjT7_P12ihipStream_tbENKUlT_T0_SK_SP_E_clISE_PsSF_SF_EEDaS13_S14_SK_SP_EUlS13_E_NS1_11comp_targetILNS1_3genE5ELNS1_11target_archE942ELNS1_3gpuE9ELNS1_3repE0EEENS1_47radix_sort_onesweep_sort_config_static_selectorELNS0_4arch9wavefront6targetE1EEEvSK_: ; @_ZN7rocprim17ROCPRIM_400000_NS6detail17trampoline_kernelINS0_14default_configENS1_35radix_sort_onesweep_config_selectorIsNS0_10empty_typeEEEZZNS1_29radix_sort_onesweep_iterationIS3_Lb0EN6thrust23THRUST_200600_302600_NS6detail15normal_iteratorINS9_10device_ptrIsEEEESE_PS5_SF_jNS0_19identity_decomposerENS1_16block_id_wrapperIjLb0EEEEE10hipError_tT1_PNSt15iterator_traitsISK_E10value_typeET2_T3_PNSL_ISQ_E10value_typeET4_T5_PSV_SW_PNS1_23onesweep_lookback_stateEbbT6_jjT7_P12ihipStream_tbENKUlT_T0_SK_SP_E_clISE_PsSF_SF_EEDaS13_S14_SK_SP_EUlS13_E_NS1_11comp_targetILNS1_3genE5ELNS1_11target_archE942ELNS1_3gpuE9ELNS1_3repE0EEENS1_47radix_sort_onesweep_sort_config_static_selectorELNS0_4arch9wavefront6targetE1EEEvSK_
; %bb.0:
	.section	.rodata,"a",@progbits
	.p2align	6, 0x0
	.amdhsa_kernel _ZN7rocprim17ROCPRIM_400000_NS6detail17trampoline_kernelINS0_14default_configENS1_35radix_sort_onesweep_config_selectorIsNS0_10empty_typeEEEZZNS1_29radix_sort_onesweep_iterationIS3_Lb0EN6thrust23THRUST_200600_302600_NS6detail15normal_iteratorINS9_10device_ptrIsEEEESE_PS5_SF_jNS0_19identity_decomposerENS1_16block_id_wrapperIjLb0EEEEE10hipError_tT1_PNSt15iterator_traitsISK_E10value_typeET2_T3_PNSL_ISQ_E10value_typeET4_T5_PSV_SW_PNS1_23onesweep_lookback_stateEbbT6_jjT7_P12ihipStream_tbENKUlT_T0_SK_SP_E_clISE_PsSF_SF_EEDaS13_S14_SK_SP_EUlS13_E_NS1_11comp_targetILNS1_3genE5ELNS1_11target_archE942ELNS1_3gpuE9ELNS1_3repE0EEENS1_47radix_sort_onesweep_sort_config_static_selectorELNS0_4arch9wavefront6targetE1EEEvSK_
		.amdhsa_group_segment_fixed_size 0
		.amdhsa_private_segment_fixed_size 0
		.amdhsa_kernarg_size 88
		.amdhsa_user_sgpr_count 6
		.amdhsa_user_sgpr_private_segment_buffer 1
		.amdhsa_user_sgpr_dispatch_ptr 0
		.amdhsa_user_sgpr_queue_ptr 0
		.amdhsa_user_sgpr_kernarg_segment_ptr 1
		.amdhsa_user_sgpr_dispatch_id 0
		.amdhsa_user_sgpr_flat_scratch_init 0
		.amdhsa_user_sgpr_kernarg_preload_length 0
		.amdhsa_user_sgpr_kernarg_preload_offset 0
		.amdhsa_user_sgpr_private_segment_size 0
		.amdhsa_uses_dynamic_stack 0
		.amdhsa_system_sgpr_private_segment_wavefront_offset 0
		.amdhsa_system_sgpr_workgroup_id_x 1
		.amdhsa_system_sgpr_workgroup_id_y 0
		.amdhsa_system_sgpr_workgroup_id_z 0
		.amdhsa_system_sgpr_workgroup_info 0
		.amdhsa_system_vgpr_workitem_id 0
		.amdhsa_next_free_vgpr 1
		.amdhsa_next_free_sgpr 0
		.amdhsa_accum_offset 4
		.amdhsa_reserve_vcc 0
		.amdhsa_reserve_flat_scratch 0
		.amdhsa_float_round_mode_32 0
		.amdhsa_float_round_mode_16_64 0
		.amdhsa_float_denorm_mode_32 3
		.amdhsa_float_denorm_mode_16_64 3
		.amdhsa_dx10_clamp 1
		.amdhsa_ieee_mode 1
		.amdhsa_fp16_overflow 0
		.amdhsa_tg_split 0
		.amdhsa_exception_fp_ieee_invalid_op 0
		.amdhsa_exception_fp_denorm_src 0
		.amdhsa_exception_fp_ieee_div_zero 0
		.amdhsa_exception_fp_ieee_overflow 0
		.amdhsa_exception_fp_ieee_underflow 0
		.amdhsa_exception_fp_ieee_inexact 0
		.amdhsa_exception_int_div_zero 0
	.end_amdhsa_kernel
	.section	.text._ZN7rocprim17ROCPRIM_400000_NS6detail17trampoline_kernelINS0_14default_configENS1_35radix_sort_onesweep_config_selectorIsNS0_10empty_typeEEEZZNS1_29radix_sort_onesweep_iterationIS3_Lb0EN6thrust23THRUST_200600_302600_NS6detail15normal_iteratorINS9_10device_ptrIsEEEESE_PS5_SF_jNS0_19identity_decomposerENS1_16block_id_wrapperIjLb0EEEEE10hipError_tT1_PNSt15iterator_traitsISK_E10value_typeET2_T3_PNSL_ISQ_E10value_typeET4_T5_PSV_SW_PNS1_23onesweep_lookback_stateEbbT6_jjT7_P12ihipStream_tbENKUlT_T0_SK_SP_E_clISE_PsSF_SF_EEDaS13_S14_SK_SP_EUlS13_E_NS1_11comp_targetILNS1_3genE5ELNS1_11target_archE942ELNS1_3gpuE9ELNS1_3repE0EEENS1_47radix_sort_onesweep_sort_config_static_selectorELNS0_4arch9wavefront6targetE1EEEvSK_,"axG",@progbits,_ZN7rocprim17ROCPRIM_400000_NS6detail17trampoline_kernelINS0_14default_configENS1_35radix_sort_onesweep_config_selectorIsNS0_10empty_typeEEEZZNS1_29radix_sort_onesweep_iterationIS3_Lb0EN6thrust23THRUST_200600_302600_NS6detail15normal_iteratorINS9_10device_ptrIsEEEESE_PS5_SF_jNS0_19identity_decomposerENS1_16block_id_wrapperIjLb0EEEEE10hipError_tT1_PNSt15iterator_traitsISK_E10value_typeET2_T3_PNSL_ISQ_E10value_typeET4_T5_PSV_SW_PNS1_23onesweep_lookback_stateEbbT6_jjT7_P12ihipStream_tbENKUlT_T0_SK_SP_E_clISE_PsSF_SF_EEDaS13_S14_SK_SP_EUlS13_E_NS1_11comp_targetILNS1_3genE5ELNS1_11target_archE942ELNS1_3gpuE9ELNS1_3repE0EEENS1_47radix_sort_onesweep_sort_config_static_selectorELNS0_4arch9wavefront6targetE1EEEvSK_,comdat
.Lfunc_end1988:
	.size	_ZN7rocprim17ROCPRIM_400000_NS6detail17trampoline_kernelINS0_14default_configENS1_35radix_sort_onesweep_config_selectorIsNS0_10empty_typeEEEZZNS1_29radix_sort_onesweep_iterationIS3_Lb0EN6thrust23THRUST_200600_302600_NS6detail15normal_iteratorINS9_10device_ptrIsEEEESE_PS5_SF_jNS0_19identity_decomposerENS1_16block_id_wrapperIjLb0EEEEE10hipError_tT1_PNSt15iterator_traitsISK_E10value_typeET2_T3_PNSL_ISQ_E10value_typeET4_T5_PSV_SW_PNS1_23onesweep_lookback_stateEbbT6_jjT7_P12ihipStream_tbENKUlT_T0_SK_SP_E_clISE_PsSF_SF_EEDaS13_S14_SK_SP_EUlS13_E_NS1_11comp_targetILNS1_3genE5ELNS1_11target_archE942ELNS1_3gpuE9ELNS1_3repE0EEENS1_47radix_sort_onesweep_sort_config_static_selectorELNS0_4arch9wavefront6targetE1EEEvSK_, .Lfunc_end1988-_ZN7rocprim17ROCPRIM_400000_NS6detail17trampoline_kernelINS0_14default_configENS1_35radix_sort_onesweep_config_selectorIsNS0_10empty_typeEEEZZNS1_29radix_sort_onesweep_iterationIS3_Lb0EN6thrust23THRUST_200600_302600_NS6detail15normal_iteratorINS9_10device_ptrIsEEEESE_PS5_SF_jNS0_19identity_decomposerENS1_16block_id_wrapperIjLb0EEEEE10hipError_tT1_PNSt15iterator_traitsISK_E10value_typeET2_T3_PNSL_ISQ_E10value_typeET4_T5_PSV_SW_PNS1_23onesweep_lookback_stateEbbT6_jjT7_P12ihipStream_tbENKUlT_T0_SK_SP_E_clISE_PsSF_SF_EEDaS13_S14_SK_SP_EUlS13_E_NS1_11comp_targetILNS1_3genE5ELNS1_11target_archE942ELNS1_3gpuE9ELNS1_3repE0EEENS1_47radix_sort_onesweep_sort_config_static_selectorELNS0_4arch9wavefront6targetE1EEEvSK_
                                        ; -- End function
	.section	.AMDGPU.csdata,"",@progbits
; Kernel info:
; codeLenInByte = 0
; NumSgprs: 4
; NumVgprs: 0
; NumAgprs: 0
; TotalNumVgprs: 0
; ScratchSize: 0
; MemoryBound: 0
; FloatMode: 240
; IeeeMode: 1
; LDSByteSize: 0 bytes/workgroup (compile time only)
; SGPRBlocks: 0
; VGPRBlocks: 0
; NumSGPRsForWavesPerEU: 4
; NumVGPRsForWavesPerEU: 1
; AccumOffset: 4
; Occupancy: 8
; WaveLimiterHint : 0
; COMPUTE_PGM_RSRC2:SCRATCH_EN: 0
; COMPUTE_PGM_RSRC2:USER_SGPR: 6
; COMPUTE_PGM_RSRC2:TRAP_HANDLER: 0
; COMPUTE_PGM_RSRC2:TGID_X_EN: 1
; COMPUTE_PGM_RSRC2:TGID_Y_EN: 0
; COMPUTE_PGM_RSRC2:TGID_Z_EN: 0
; COMPUTE_PGM_RSRC2:TIDIG_COMP_CNT: 0
; COMPUTE_PGM_RSRC3_GFX90A:ACCUM_OFFSET: 0
; COMPUTE_PGM_RSRC3_GFX90A:TG_SPLIT: 0
	.section	.text._ZN7rocprim17ROCPRIM_400000_NS6detail17trampoline_kernelINS0_14default_configENS1_35radix_sort_onesweep_config_selectorIsNS0_10empty_typeEEEZZNS1_29radix_sort_onesweep_iterationIS3_Lb0EN6thrust23THRUST_200600_302600_NS6detail15normal_iteratorINS9_10device_ptrIsEEEESE_PS5_SF_jNS0_19identity_decomposerENS1_16block_id_wrapperIjLb0EEEEE10hipError_tT1_PNSt15iterator_traitsISK_E10value_typeET2_T3_PNSL_ISQ_E10value_typeET4_T5_PSV_SW_PNS1_23onesweep_lookback_stateEbbT6_jjT7_P12ihipStream_tbENKUlT_T0_SK_SP_E_clISE_PsSF_SF_EEDaS13_S14_SK_SP_EUlS13_E_NS1_11comp_targetILNS1_3genE2ELNS1_11target_archE906ELNS1_3gpuE6ELNS1_3repE0EEENS1_47radix_sort_onesweep_sort_config_static_selectorELNS0_4arch9wavefront6targetE1EEEvSK_,"axG",@progbits,_ZN7rocprim17ROCPRIM_400000_NS6detail17trampoline_kernelINS0_14default_configENS1_35radix_sort_onesweep_config_selectorIsNS0_10empty_typeEEEZZNS1_29radix_sort_onesweep_iterationIS3_Lb0EN6thrust23THRUST_200600_302600_NS6detail15normal_iteratorINS9_10device_ptrIsEEEESE_PS5_SF_jNS0_19identity_decomposerENS1_16block_id_wrapperIjLb0EEEEE10hipError_tT1_PNSt15iterator_traitsISK_E10value_typeET2_T3_PNSL_ISQ_E10value_typeET4_T5_PSV_SW_PNS1_23onesweep_lookback_stateEbbT6_jjT7_P12ihipStream_tbENKUlT_T0_SK_SP_E_clISE_PsSF_SF_EEDaS13_S14_SK_SP_EUlS13_E_NS1_11comp_targetILNS1_3genE2ELNS1_11target_archE906ELNS1_3gpuE6ELNS1_3repE0EEENS1_47radix_sort_onesweep_sort_config_static_selectorELNS0_4arch9wavefront6targetE1EEEvSK_,comdat
	.protected	_ZN7rocprim17ROCPRIM_400000_NS6detail17trampoline_kernelINS0_14default_configENS1_35radix_sort_onesweep_config_selectorIsNS0_10empty_typeEEEZZNS1_29radix_sort_onesweep_iterationIS3_Lb0EN6thrust23THRUST_200600_302600_NS6detail15normal_iteratorINS9_10device_ptrIsEEEESE_PS5_SF_jNS0_19identity_decomposerENS1_16block_id_wrapperIjLb0EEEEE10hipError_tT1_PNSt15iterator_traitsISK_E10value_typeET2_T3_PNSL_ISQ_E10value_typeET4_T5_PSV_SW_PNS1_23onesweep_lookback_stateEbbT6_jjT7_P12ihipStream_tbENKUlT_T0_SK_SP_E_clISE_PsSF_SF_EEDaS13_S14_SK_SP_EUlS13_E_NS1_11comp_targetILNS1_3genE2ELNS1_11target_archE906ELNS1_3gpuE6ELNS1_3repE0EEENS1_47radix_sort_onesweep_sort_config_static_selectorELNS0_4arch9wavefront6targetE1EEEvSK_ ; -- Begin function _ZN7rocprim17ROCPRIM_400000_NS6detail17trampoline_kernelINS0_14default_configENS1_35radix_sort_onesweep_config_selectorIsNS0_10empty_typeEEEZZNS1_29radix_sort_onesweep_iterationIS3_Lb0EN6thrust23THRUST_200600_302600_NS6detail15normal_iteratorINS9_10device_ptrIsEEEESE_PS5_SF_jNS0_19identity_decomposerENS1_16block_id_wrapperIjLb0EEEEE10hipError_tT1_PNSt15iterator_traitsISK_E10value_typeET2_T3_PNSL_ISQ_E10value_typeET4_T5_PSV_SW_PNS1_23onesweep_lookback_stateEbbT6_jjT7_P12ihipStream_tbENKUlT_T0_SK_SP_E_clISE_PsSF_SF_EEDaS13_S14_SK_SP_EUlS13_E_NS1_11comp_targetILNS1_3genE2ELNS1_11target_archE906ELNS1_3gpuE6ELNS1_3repE0EEENS1_47radix_sort_onesweep_sort_config_static_selectorELNS0_4arch9wavefront6targetE1EEEvSK_
	.globl	_ZN7rocprim17ROCPRIM_400000_NS6detail17trampoline_kernelINS0_14default_configENS1_35radix_sort_onesweep_config_selectorIsNS0_10empty_typeEEEZZNS1_29radix_sort_onesweep_iterationIS3_Lb0EN6thrust23THRUST_200600_302600_NS6detail15normal_iteratorINS9_10device_ptrIsEEEESE_PS5_SF_jNS0_19identity_decomposerENS1_16block_id_wrapperIjLb0EEEEE10hipError_tT1_PNSt15iterator_traitsISK_E10value_typeET2_T3_PNSL_ISQ_E10value_typeET4_T5_PSV_SW_PNS1_23onesweep_lookback_stateEbbT6_jjT7_P12ihipStream_tbENKUlT_T0_SK_SP_E_clISE_PsSF_SF_EEDaS13_S14_SK_SP_EUlS13_E_NS1_11comp_targetILNS1_3genE2ELNS1_11target_archE906ELNS1_3gpuE6ELNS1_3repE0EEENS1_47radix_sort_onesweep_sort_config_static_selectorELNS0_4arch9wavefront6targetE1EEEvSK_
	.p2align	8
	.type	_ZN7rocprim17ROCPRIM_400000_NS6detail17trampoline_kernelINS0_14default_configENS1_35radix_sort_onesweep_config_selectorIsNS0_10empty_typeEEEZZNS1_29radix_sort_onesweep_iterationIS3_Lb0EN6thrust23THRUST_200600_302600_NS6detail15normal_iteratorINS9_10device_ptrIsEEEESE_PS5_SF_jNS0_19identity_decomposerENS1_16block_id_wrapperIjLb0EEEEE10hipError_tT1_PNSt15iterator_traitsISK_E10value_typeET2_T3_PNSL_ISQ_E10value_typeET4_T5_PSV_SW_PNS1_23onesweep_lookback_stateEbbT6_jjT7_P12ihipStream_tbENKUlT_T0_SK_SP_E_clISE_PsSF_SF_EEDaS13_S14_SK_SP_EUlS13_E_NS1_11comp_targetILNS1_3genE2ELNS1_11target_archE906ELNS1_3gpuE6ELNS1_3repE0EEENS1_47radix_sort_onesweep_sort_config_static_selectorELNS0_4arch9wavefront6targetE1EEEvSK_,@function
_ZN7rocprim17ROCPRIM_400000_NS6detail17trampoline_kernelINS0_14default_configENS1_35radix_sort_onesweep_config_selectorIsNS0_10empty_typeEEEZZNS1_29radix_sort_onesweep_iterationIS3_Lb0EN6thrust23THRUST_200600_302600_NS6detail15normal_iteratorINS9_10device_ptrIsEEEESE_PS5_SF_jNS0_19identity_decomposerENS1_16block_id_wrapperIjLb0EEEEE10hipError_tT1_PNSt15iterator_traitsISK_E10value_typeET2_T3_PNSL_ISQ_E10value_typeET4_T5_PSV_SW_PNS1_23onesweep_lookback_stateEbbT6_jjT7_P12ihipStream_tbENKUlT_T0_SK_SP_E_clISE_PsSF_SF_EEDaS13_S14_SK_SP_EUlS13_E_NS1_11comp_targetILNS1_3genE2ELNS1_11target_archE906ELNS1_3gpuE6ELNS1_3repE0EEENS1_47radix_sort_onesweep_sort_config_static_selectorELNS0_4arch9wavefront6targetE1EEEvSK_: ; @_ZN7rocprim17ROCPRIM_400000_NS6detail17trampoline_kernelINS0_14default_configENS1_35radix_sort_onesweep_config_selectorIsNS0_10empty_typeEEEZZNS1_29radix_sort_onesweep_iterationIS3_Lb0EN6thrust23THRUST_200600_302600_NS6detail15normal_iteratorINS9_10device_ptrIsEEEESE_PS5_SF_jNS0_19identity_decomposerENS1_16block_id_wrapperIjLb0EEEEE10hipError_tT1_PNSt15iterator_traitsISK_E10value_typeET2_T3_PNSL_ISQ_E10value_typeET4_T5_PSV_SW_PNS1_23onesweep_lookback_stateEbbT6_jjT7_P12ihipStream_tbENKUlT_T0_SK_SP_E_clISE_PsSF_SF_EEDaS13_S14_SK_SP_EUlS13_E_NS1_11comp_targetILNS1_3genE2ELNS1_11target_archE906ELNS1_3gpuE6ELNS1_3repE0EEENS1_47radix_sort_onesweep_sort_config_static_selectorELNS0_4arch9wavefront6targetE1EEEvSK_
; %bb.0:
	.section	.rodata,"a",@progbits
	.p2align	6, 0x0
	.amdhsa_kernel _ZN7rocprim17ROCPRIM_400000_NS6detail17trampoline_kernelINS0_14default_configENS1_35radix_sort_onesweep_config_selectorIsNS0_10empty_typeEEEZZNS1_29radix_sort_onesweep_iterationIS3_Lb0EN6thrust23THRUST_200600_302600_NS6detail15normal_iteratorINS9_10device_ptrIsEEEESE_PS5_SF_jNS0_19identity_decomposerENS1_16block_id_wrapperIjLb0EEEEE10hipError_tT1_PNSt15iterator_traitsISK_E10value_typeET2_T3_PNSL_ISQ_E10value_typeET4_T5_PSV_SW_PNS1_23onesweep_lookback_stateEbbT6_jjT7_P12ihipStream_tbENKUlT_T0_SK_SP_E_clISE_PsSF_SF_EEDaS13_S14_SK_SP_EUlS13_E_NS1_11comp_targetILNS1_3genE2ELNS1_11target_archE906ELNS1_3gpuE6ELNS1_3repE0EEENS1_47radix_sort_onesweep_sort_config_static_selectorELNS0_4arch9wavefront6targetE1EEEvSK_
		.amdhsa_group_segment_fixed_size 0
		.amdhsa_private_segment_fixed_size 0
		.amdhsa_kernarg_size 88
		.amdhsa_user_sgpr_count 6
		.amdhsa_user_sgpr_private_segment_buffer 1
		.amdhsa_user_sgpr_dispatch_ptr 0
		.amdhsa_user_sgpr_queue_ptr 0
		.amdhsa_user_sgpr_kernarg_segment_ptr 1
		.amdhsa_user_sgpr_dispatch_id 0
		.amdhsa_user_sgpr_flat_scratch_init 0
		.amdhsa_user_sgpr_kernarg_preload_length 0
		.amdhsa_user_sgpr_kernarg_preload_offset 0
		.amdhsa_user_sgpr_private_segment_size 0
		.amdhsa_uses_dynamic_stack 0
		.amdhsa_system_sgpr_private_segment_wavefront_offset 0
		.amdhsa_system_sgpr_workgroup_id_x 1
		.amdhsa_system_sgpr_workgroup_id_y 0
		.amdhsa_system_sgpr_workgroup_id_z 0
		.amdhsa_system_sgpr_workgroup_info 0
		.amdhsa_system_vgpr_workitem_id 0
		.amdhsa_next_free_vgpr 1
		.amdhsa_next_free_sgpr 0
		.amdhsa_accum_offset 4
		.amdhsa_reserve_vcc 0
		.amdhsa_reserve_flat_scratch 0
		.amdhsa_float_round_mode_32 0
		.amdhsa_float_round_mode_16_64 0
		.amdhsa_float_denorm_mode_32 3
		.amdhsa_float_denorm_mode_16_64 3
		.amdhsa_dx10_clamp 1
		.amdhsa_ieee_mode 1
		.amdhsa_fp16_overflow 0
		.amdhsa_tg_split 0
		.amdhsa_exception_fp_ieee_invalid_op 0
		.amdhsa_exception_fp_denorm_src 0
		.amdhsa_exception_fp_ieee_div_zero 0
		.amdhsa_exception_fp_ieee_overflow 0
		.amdhsa_exception_fp_ieee_underflow 0
		.amdhsa_exception_fp_ieee_inexact 0
		.amdhsa_exception_int_div_zero 0
	.end_amdhsa_kernel
	.section	.text._ZN7rocprim17ROCPRIM_400000_NS6detail17trampoline_kernelINS0_14default_configENS1_35radix_sort_onesweep_config_selectorIsNS0_10empty_typeEEEZZNS1_29radix_sort_onesweep_iterationIS3_Lb0EN6thrust23THRUST_200600_302600_NS6detail15normal_iteratorINS9_10device_ptrIsEEEESE_PS5_SF_jNS0_19identity_decomposerENS1_16block_id_wrapperIjLb0EEEEE10hipError_tT1_PNSt15iterator_traitsISK_E10value_typeET2_T3_PNSL_ISQ_E10value_typeET4_T5_PSV_SW_PNS1_23onesweep_lookback_stateEbbT6_jjT7_P12ihipStream_tbENKUlT_T0_SK_SP_E_clISE_PsSF_SF_EEDaS13_S14_SK_SP_EUlS13_E_NS1_11comp_targetILNS1_3genE2ELNS1_11target_archE906ELNS1_3gpuE6ELNS1_3repE0EEENS1_47radix_sort_onesweep_sort_config_static_selectorELNS0_4arch9wavefront6targetE1EEEvSK_,"axG",@progbits,_ZN7rocprim17ROCPRIM_400000_NS6detail17trampoline_kernelINS0_14default_configENS1_35radix_sort_onesweep_config_selectorIsNS0_10empty_typeEEEZZNS1_29radix_sort_onesweep_iterationIS3_Lb0EN6thrust23THRUST_200600_302600_NS6detail15normal_iteratorINS9_10device_ptrIsEEEESE_PS5_SF_jNS0_19identity_decomposerENS1_16block_id_wrapperIjLb0EEEEE10hipError_tT1_PNSt15iterator_traitsISK_E10value_typeET2_T3_PNSL_ISQ_E10value_typeET4_T5_PSV_SW_PNS1_23onesweep_lookback_stateEbbT6_jjT7_P12ihipStream_tbENKUlT_T0_SK_SP_E_clISE_PsSF_SF_EEDaS13_S14_SK_SP_EUlS13_E_NS1_11comp_targetILNS1_3genE2ELNS1_11target_archE906ELNS1_3gpuE6ELNS1_3repE0EEENS1_47radix_sort_onesweep_sort_config_static_selectorELNS0_4arch9wavefront6targetE1EEEvSK_,comdat
.Lfunc_end1989:
	.size	_ZN7rocprim17ROCPRIM_400000_NS6detail17trampoline_kernelINS0_14default_configENS1_35radix_sort_onesweep_config_selectorIsNS0_10empty_typeEEEZZNS1_29radix_sort_onesweep_iterationIS3_Lb0EN6thrust23THRUST_200600_302600_NS6detail15normal_iteratorINS9_10device_ptrIsEEEESE_PS5_SF_jNS0_19identity_decomposerENS1_16block_id_wrapperIjLb0EEEEE10hipError_tT1_PNSt15iterator_traitsISK_E10value_typeET2_T3_PNSL_ISQ_E10value_typeET4_T5_PSV_SW_PNS1_23onesweep_lookback_stateEbbT6_jjT7_P12ihipStream_tbENKUlT_T0_SK_SP_E_clISE_PsSF_SF_EEDaS13_S14_SK_SP_EUlS13_E_NS1_11comp_targetILNS1_3genE2ELNS1_11target_archE906ELNS1_3gpuE6ELNS1_3repE0EEENS1_47radix_sort_onesweep_sort_config_static_selectorELNS0_4arch9wavefront6targetE1EEEvSK_, .Lfunc_end1989-_ZN7rocprim17ROCPRIM_400000_NS6detail17trampoline_kernelINS0_14default_configENS1_35radix_sort_onesweep_config_selectorIsNS0_10empty_typeEEEZZNS1_29radix_sort_onesweep_iterationIS3_Lb0EN6thrust23THRUST_200600_302600_NS6detail15normal_iteratorINS9_10device_ptrIsEEEESE_PS5_SF_jNS0_19identity_decomposerENS1_16block_id_wrapperIjLb0EEEEE10hipError_tT1_PNSt15iterator_traitsISK_E10value_typeET2_T3_PNSL_ISQ_E10value_typeET4_T5_PSV_SW_PNS1_23onesweep_lookback_stateEbbT6_jjT7_P12ihipStream_tbENKUlT_T0_SK_SP_E_clISE_PsSF_SF_EEDaS13_S14_SK_SP_EUlS13_E_NS1_11comp_targetILNS1_3genE2ELNS1_11target_archE906ELNS1_3gpuE6ELNS1_3repE0EEENS1_47radix_sort_onesweep_sort_config_static_selectorELNS0_4arch9wavefront6targetE1EEEvSK_
                                        ; -- End function
	.section	.AMDGPU.csdata,"",@progbits
; Kernel info:
; codeLenInByte = 0
; NumSgprs: 4
; NumVgprs: 0
; NumAgprs: 0
; TotalNumVgprs: 0
; ScratchSize: 0
; MemoryBound: 0
; FloatMode: 240
; IeeeMode: 1
; LDSByteSize: 0 bytes/workgroup (compile time only)
; SGPRBlocks: 0
; VGPRBlocks: 0
; NumSGPRsForWavesPerEU: 4
; NumVGPRsForWavesPerEU: 1
; AccumOffset: 4
; Occupancy: 8
; WaveLimiterHint : 0
; COMPUTE_PGM_RSRC2:SCRATCH_EN: 0
; COMPUTE_PGM_RSRC2:USER_SGPR: 6
; COMPUTE_PGM_RSRC2:TRAP_HANDLER: 0
; COMPUTE_PGM_RSRC2:TGID_X_EN: 1
; COMPUTE_PGM_RSRC2:TGID_Y_EN: 0
; COMPUTE_PGM_RSRC2:TGID_Z_EN: 0
; COMPUTE_PGM_RSRC2:TIDIG_COMP_CNT: 0
; COMPUTE_PGM_RSRC3_GFX90A:ACCUM_OFFSET: 0
; COMPUTE_PGM_RSRC3_GFX90A:TG_SPLIT: 0
	.section	.text._ZN7rocprim17ROCPRIM_400000_NS6detail17trampoline_kernelINS0_14default_configENS1_35radix_sort_onesweep_config_selectorIsNS0_10empty_typeEEEZZNS1_29radix_sort_onesweep_iterationIS3_Lb0EN6thrust23THRUST_200600_302600_NS6detail15normal_iteratorINS9_10device_ptrIsEEEESE_PS5_SF_jNS0_19identity_decomposerENS1_16block_id_wrapperIjLb0EEEEE10hipError_tT1_PNSt15iterator_traitsISK_E10value_typeET2_T3_PNSL_ISQ_E10value_typeET4_T5_PSV_SW_PNS1_23onesweep_lookback_stateEbbT6_jjT7_P12ihipStream_tbENKUlT_T0_SK_SP_E_clISE_PsSF_SF_EEDaS13_S14_SK_SP_EUlS13_E_NS1_11comp_targetILNS1_3genE4ELNS1_11target_archE910ELNS1_3gpuE8ELNS1_3repE0EEENS1_47radix_sort_onesweep_sort_config_static_selectorELNS0_4arch9wavefront6targetE1EEEvSK_,"axG",@progbits,_ZN7rocprim17ROCPRIM_400000_NS6detail17trampoline_kernelINS0_14default_configENS1_35radix_sort_onesweep_config_selectorIsNS0_10empty_typeEEEZZNS1_29radix_sort_onesweep_iterationIS3_Lb0EN6thrust23THRUST_200600_302600_NS6detail15normal_iteratorINS9_10device_ptrIsEEEESE_PS5_SF_jNS0_19identity_decomposerENS1_16block_id_wrapperIjLb0EEEEE10hipError_tT1_PNSt15iterator_traitsISK_E10value_typeET2_T3_PNSL_ISQ_E10value_typeET4_T5_PSV_SW_PNS1_23onesweep_lookback_stateEbbT6_jjT7_P12ihipStream_tbENKUlT_T0_SK_SP_E_clISE_PsSF_SF_EEDaS13_S14_SK_SP_EUlS13_E_NS1_11comp_targetILNS1_3genE4ELNS1_11target_archE910ELNS1_3gpuE8ELNS1_3repE0EEENS1_47radix_sort_onesweep_sort_config_static_selectorELNS0_4arch9wavefront6targetE1EEEvSK_,comdat
	.protected	_ZN7rocprim17ROCPRIM_400000_NS6detail17trampoline_kernelINS0_14default_configENS1_35radix_sort_onesweep_config_selectorIsNS0_10empty_typeEEEZZNS1_29radix_sort_onesweep_iterationIS3_Lb0EN6thrust23THRUST_200600_302600_NS6detail15normal_iteratorINS9_10device_ptrIsEEEESE_PS5_SF_jNS0_19identity_decomposerENS1_16block_id_wrapperIjLb0EEEEE10hipError_tT1_PNSt15iterator_traitsISK_E10value_typeET2_T3_PNSL_ISQ_E10value_typeET4_T5_PSV_SW_PNS1_23onesweep_lookback_stateEbbT6_jjT7_P12ihipStream_tbENKUlT_T0_SK_SP_E_clISE_PsSF_SF_EEDaS13_S14_SK_SP_EUlS13_E_NS1_11comp_targetILNS1_3genE4ELNS1_11target_archE910ELNS1_3gpuE8ELNS1_3repE0EEENS1_47radix_sort_onesweep_sort_config_static_selectorELNS0_4arch9wavefront6targetE1EEEvSK_ ; -- Begin function _ZN7rocprim17ROCPRIM_400000_NS6detail17trampoline_kernelINS0_14default_configENS1_35radix_sort_onesweep_config_selectorIsNS0_10empty_typeEEEZZNS1_29radix_sort_onesweep_iterationIS3_Lb0EN6thrust23THRUST_200600_302600_NS6detail15normal_iteratorINS9_10device_ptrIsEEEESE_PS5_SF_jNS0_19identity_decomposerENS1_16block_id_wrapperIjLb0EEEEE10hipError_tT1_PNSt15iterator_traitsISK_E10value_typeET2_T3_PNSL_ISQ_E10value_typeET4_T5_PSV_SW_PNS1_23onesweep_lookback_stateEbbT6_jjT7_P12ihipStream_tbENKUlT_T0_SK_SP_E_clISE_PsSF_SF_EEDaS13_S14_SK_SP_EUlS13_E_NS1_11comp_targetILNS1_3genE4ELNS1_11target_archE910ELNS1_3gpuE8ELNS1_3repE0EEENS1_47radix_sort_onesweep_sort_config_static_selectorELNS0_4arch9wavefront6targetE1EEEvSK_
	.globl	_ZN7rocprim17ROCPRIM_400000_NS6detail17trampoline_kernelINS0_14default_configENS1_35radix_sort_onesweep_config_selectorIsNS0_10empty_typeEEEZZNS1_29radix_sort_onesweep_iterationIS3_Lb0EN6thrust23THRUST_200600_302600_NS6detail15normal_iteratorINS9_10device_ptrIsEEEESE_PS5_SF_jNS0_19identity_decomposerENS1_16block_id_wrapperIjLb0EEEEE10hipError_tT1_PNSt15iterator_traitsISK_E10value_typeET2_T3_PNSL_ISQ_E10value_typeET4_T5_PSV_SW_PNS1_23onesweep_lookback_stateEbbT6_jjT7_P12ihipStream_tbENKUlT_T0_SK_SP_E_clISE_PsSF_SF_EEDaS13_S14_SK_SP_EUlS13_E_NS1_11comp_targetILNS1_3genE4ELNS1_11target_archE910ELNS1_3gpuE8ELNS1_3repE0EEENS1_47radix_sort_onesweep_sort_config_static_selectorELNS0_4arch9wavefront6targetE1EEEvSK_
	.p2align	8
	.type	_ZN7rocprim17ROCPRIM_400000_NS6detail17trampoline_kernelINS0_14default_configENS1_35radix_sort_onesweep_config_selectorIsNS0_10empty_typeEEEZZNS1_29radix_sort_onesweep_iterationIS3_Lb0EN6thrust23THRUST_200600_302600_NS6detail15normal_iteratorINS9_10device_ptrIsEEEESE_PS5_SF_jNS0_19identity_decomposerENS1_16block_id_wrapperIjLb0EEEEE10hipError_tT1_PNSt15iterator_traitsISK_E10value_typeET2_T3_PNSL_ISQ_E10value_typeET4_T5_PSV_SW_PNS1_23onesweep_lookback_stateEbbT6_jjT7_P12ihipStream_tbENKUlT_T0_SK_SP_E_clISE_PsSF_SF_EEDaS13_S14_SK_SP_EUlS13_E_NS1_11comp_targetILNS1_3genE4ELNS1_11target_archE910ELNS1_3gpuE8ELNS1_3repE0EEENS1_47radix_sort_onesweep_sort_config_static_selectorELNS0_4arch9wavefront6targetE1EEEvSK_,@function
_ZN7rocprim17ROCPRIM_400000_NS6detail17trampoline_kernelINS0_14default_configENS1_35radix_sort_onesweep_config_selectorIsNS0_10empty_typeEEEZZNS1_29radix_sort_onesweep_iterationIS3_Lb0EN6thrust23THRUST_200600_302600_NS6detail15normal_iteratorINS9_10device_ptrIsEEEESE_PS5_SF_jNS0_19identity_decomposerENS1_16block_id_wrapperIjLb0EEEEE10hipError_tT1_PNSt15iterator_traitsISK_E10value_typeET2_T3_PNSL_ISQ_E10value_typeET4_T5_PSV_SW_PNS1_23onesweep_lookback_stateEbbT6_jjT7_P12ihipStream_tbENKUlT_T0_SK_SP_E_clISE_PsSF_SF_EEDaS13_S14_SK_SP_EUlS13_E_NS1_11comp_targetILNS1_3genE4ELNS1_11target_archE910ELNS1_3gpuE8ELNS1_3repE0EEENS1_47radix_sort_onesweep_sort_config_static_selectorELNS0_4arch9wavefront6targetE1EEEvSK_: ; @_ZN7rocprim17ROCPRIM_400000_NS6detail17trampoline_kernelINS0_14default_configENS1_35radix_sort_onesweep_config_selectorIsNS0_10empty_typeEEEZZNS1_29radix_sort_onesweep_iterationIS3_Lb0EN6thrust23THRUST_200600_302600_NS6detail15normal_iteratorINS9_10device_ptrIsEEEESE_PS5_SF_jNS0_19identity_decomposerENS1_16block_id_wrapperIjLb0EEEEE10hipError_tT1_PNSt15iterator_traitsISK_E10value_typeET2_T3_PNSL_ISQ_E10value_typeET4_T5_PSV_SW_PNS1_23onesweep_lookback_stateEbbT6_jjT7_P12ihipStream_tbENKUlT_T0_SK_SP_E_clISE_PsSF_SF_EEDaS13_S14_SK_SP_EUlS13_E_NS1_11comp_targetILNS1_3genE4ELNS1_11target_archE910ELNS1_3gpuE8ELNS1_3repE0EEENS1_47radix_sort_onesweep_sort_config_static_selectorELNS0_4arch9wavefront6targetE1EEEvSK_
; %bb.0:
	s_load_dwordx4 s[20:23], s[4:5], 0x44
	s_load_dwordx2 s[24:25], s[4:5], 0x38
	s_load_dwordx4 s[16:19], s[4:5], 0x0
	s_load_dwordx4 s[12:15], s[4:5], 0x28
	s_mul_i32 s26, s6, 0x3000
	s_waitcnt lgkmcnt(0)
	s_cmp_ge_u32 s6, s22
	v_mbcnt_lo_u32_b32 v1, -1, 0
	s_cbranch_scc0 .LBB1990_96
; %bb.1:
	s_load_dword s7, s[4:5], 0x20
	s_mul_i32 s2, s22, 0xffffd000
	s_mov_b32 s27, 0
	s_lshl_b64 s[0:1], s[26:27], 1
	v_mbcnt_hi_u32_b32 v11, -1, v1
	s_waitcnt lgkmcnt(0)
	s_add_i32 s7, s7, s2
	v_and_b32_e32 v10, 0x3ff, v0
	s_add_u32 s0, s16, s0
	v_and_b32_e32 v2, 63, v11
	s_addc_u32 s1, s17, s1
	v_and_b32_e32 v3, 0x3c0, v10
	v_lshlrev_b32_e32 v4, 1, v2
	v_mul_u32_u24_e32 v3, 12, v3
	v_mov_b32_e32 v5, s1
	v_add_co_u32_e32 v4, vcc, s0, v4
	v_addc_co_u32_e32 v5, vcc, 0, v5, vcc
	v_lshlrev_b32_e32 v6, 1, v3
	s_mov_b32 s36, 0x7fff7fff
	v_add_co_u32_e32 v12, vcc, v4, v6
	s_mov_b32 s37, s36
	v_addc_co_u32_e32 v13, vcc, 0, v5, vcc
	v_or_b32_e32 v14, v2, v3
	s_mov_b32 s38, s36
	s_mov_b32 s39, s36
	;; [unrolled: 1-line block ×4, first 2 shown]
	v_pk_mov_b32 v[2:3], s[36:37], s[36:37] op_sel:[0,1]
	v_cmp_gt_u32_e32 vcc, s7, v14
	v_pk_mov_b32 v[4:5], s[38:39], s[38:39] op_sel:[0,1]
	v_pk_mov_b32 v[6:7], s[40:41], s[40:41] op_sel:[0,1]
	;; [unrolled: 1-line block ×3, first 2 shown]
	s_and_saveexec_b64 s[0:1], vcc
	s_cbranch_execz .LBB1990_3
; %bb.2:
	global_load_ushort v2, v[12:13], off
	s_movk_i32 s2, 0x7fff
	v_mov_b32_e32 v7, 0x5040100
	v_mov_b32_e32 v3, 0x7fff7fff
	;; [unrolled: 1-line block ×5, first 2 shown]
	s_waitcnt vmcnt(0)
	v_perm_b32 v2, s2, v2, v7
	v_mov_b32_e32 v7, v3
.LBB1990_3:
	s_or_b64 exec, exec, s[0:1]
	v_or_b32_e32 v8, 64, v14
	v_cmp_gt_u32_e32 vcc, s7, v8
	s_and_saveexec_b64 s[0:1], vcc
	s_cbranch_execz .LBB1990_5
; %bb.4:
	global_load_ushort v8, v[12:13], off offset:128
	s_mov_b32 s2, 0x5040100
	s_waitcnt vmcnt(0)
	v_perm_b32 v2, v8, v2, s2
.LBB1990_5:
	s_or_b64 exec, exec, s[0:1]
	v_or_b32_e32 v8, 0x80, v14
	v_cmp_gt_u32_e32 vcc, s7, v8
	s_and_saveexec_b64 s[0:1], vcc
	s_cbranch_execz .LBB1990_7
; %bb.6:
	global_load_ushort v8, v[12:13], off offset:256
	s_mov_b32 s2, 0xffff
	s_waitcnt vmcnt(0)
	v_bfi_b32 v3, s2, v8, v3
.LBB1990_7:
	s_or_b64 exec, exec, s[0:1]
	v_or_b32_e32 v8, 0xc0, v14
	v_cmp_gt_u32_e32 vcc, s7, v8
	s_and_saveexec_b64 s[0:1], vcc
	s_cbranch_execz .LBB1990_9
; %bb.8:
	global_load_ushort v8, v[12:13], off offset:384
	s_mov_b32 s2, 0x5040100
	s_waitcnt vmcnt(0)
	v_perm_b32 v3, v8, v3, s2
.LBB1990_9:
	s_or_b64 exec, exec, s[0:1]
	v_add_u32_e32 v8, 0x100, v14
	v_cmp_gt_u32_e32 vcc, s7, v8
	s_and_saveexec_b64 s[0:1], vcc
	s_cbranch_execz .LBB1990_11
; %bb.10:
	global_load_ushort v8, v[12:13], off offset:512
	s_mov_b32 s2, 0xffff
	s_waitcnt vmcnt(0)
	v_bfi_b32 v4, s2, v8, v4
.LBB1990_11:
	s_or_b64 exec, exec, s[0:1]
	v_add_u32_e32 v8, 0x140, v14
	v_cmp_gt_u32_e32 vcc, s7, v8
	s_and_saveexec_b64 s[0:1], vcc
	s_cbranch_execz .LBB1990_13
; %bb.12:
	global_load_ushort v8, v[12:13], off offset:640
	s_mov_b32 s2, 0x5040100
	s_waitcnt vmcnt(0)
	v_perm_b32 v4, v8, v4, s2
.LBB1990_13:
	s_or_b64 exec, exec, s[0:1]
	v_add_u32_e32 v8, 0x180, v14
	v_cmp_gt_u32_e32 vcc, s7, v8
	s_and_saveexec_b64 s[0:1], vcc
	s_cbranch_execz .LBB1990_15
; %bb.14:
	global_load_ushort v8, v[12:13], off offset:768
	s_mov_b32 s2, 0xffff
	s_waitcnt vmcnt(0)
	v_bfi_b32 v5, s2, v8, v5
.LBB1990_15:
	s_or_b64 exec, exec, s[0:1]
	v_add_u32_e32 v8, 0x1c0, v14
	;; [unrolled: 22-line block ×4, first 2 shown]
	v_cmp_gt_u32_e32 vcc, s7, v8
	s_and_saveexec_b64 s[0:1], vcc
	s_cbranch_execz .LBB1990_25
; %bb.24:
	global_load_ushort v8, v[12:13], off offset:1408
	s_mov_b32 s2, 0x5040100
	s_waitcnt vmcnt(0)
	v_perm_b32 v7, v8, v7, s2
.LBB1990_25:
	s_or_b64 exec, exec, s[0:1]
	s_load_dword s0, s[4:5], 0x64
	s_load_dword s27, s[4:5], 0x58
	s_add_u32 s1, s4, 0x58
	s_addc_u32 s2, s5, 0
	v_mov_b32_e32 v8, 0
	s_waitcnt lgkmcnt(0)
	s_lshr_b32 s3, s0, 16
	s_cmp_lt_u32 s6, s27
	s_cselect_b32 s0, 12, 18
	s_add_u32 s0, s1, s0
	s_addc_u32 s1, s2, 0
	global_load_ushort v12, v8, s[0:1]
	v_xor_b32_e32 v14, 0xffff8000, v2
	s_lshl_b32 s0, -1, s21
	v_lshrrev_b32_sdwa v16, s20, v14 dst_sel:DWORD dst_unused:UNUSED_PAD src0_sel:DWORD src1_sel:WORD_0
	s_not_b32 s28, s0
	v_and_b32_e32 v16, s28, v16
	v_and_b32_e32 v18, 1, v16
	v_bfe_u32 v9, v0, 10, 10
	v_bfe_u32 v13, v0, 20, 10
	v_add_co_u32_e32 v19, vcc, -1, v18
	v_mad_u32_u24 v13, v13, s3, v9
	v_lshlrev_b32_e32 v9, 30, v16
	v_addc_co_u32_e64 v20, s[0:1], 0, -1, vcc
	v_cmp_ne_u32_e32 vcc, 0, v18
	v_cmp_gt_i64_e64 s[0:1], 0, v[8:9]
	v_not_b32_e32 v18, v9
	v_lshlrev_b32_e32 v9, 29, v16
	v_xor_b32_e32 v20, vcc_hi, v20
	v_xor_b32_e32 v19, vcc_lo, v19
	v_ashrrev_i32_e32 v18, 31, v18
	v_cmp_gt_i64_e32 vcc, 0, v[8:9]
	v_not_b32_e32 v21, v9
	v_lshlrev_b32_e32 v9, 28, v16
	v_and_b32_e32 v20, exec_hi, v20
	v_and_b32_e32 v19, exec_lo, v19
	v_xor_b32_e32 v22, s1, v18
	v_xor_b32_e32 v18, s0, v18
	v_ashrrev_i32_e32 v21, 31, v21
	v_cmp_gt_i64_e64 s[0:1], 0, v[8:9]
	v_not_b32_e32 v23, v9
	v_lshlrev_b32_e32 v9, 27, v16
	v_and_b32_e32 v20, v20, v22
	v_and_b32_e32 v18, v19, v18
	v_xor_b32_e32 v19, vcc_hi, v21
	v_xor_b32_e32 v21, vcc_lo, v21
	v_ashrrev_i32_e32 v22, 31, v23
	v_cmp_gt_i64_e32 vcc, 0, v[8:9]
	v_not_b32_e32 v23, v9
	v_lshlrev_b32_e32 v9, 26, v16
	v_and_b32_e32 v19, v20, v19
	v_and_b32_e32 v18, v18, v21
	v_xor_b32_e32 v20, s1, v22
	v_xor_b32_e32 v21, s0, v22
	v_ashrrev_i32_e32 v22, 31, v23
	v_cmp_gt_i64_e64 s[0:1], 0, v[8:9]
	v_not_b32_e32 v23, v9
	v_lshlrev_b32_e32 v9, 25, v16
	v_and_b32_e32 v19, v19, v20
	v_and_b32_e32 v18, v18, v21
	v_xor_b32_e32 v20, vcc_hi, v22
	v_xor_b32_e32 v21, vcc_lo, v22
	v_ashrrev_i32_e32 v22, 31, v23
	v_cmp_gt_i64_e32 vcc, 0, v[8:9]
	v_not_b32_e32 v23, v9
	v_lshlrev_b32_e32 v9, 24, v16
	v_mul_u32_u24_e32 v17, 17, v16
	v_and_b32_e32 v16, v19, v20
	v_and_b32_e32 v18, v18, v21
	v_xor_b32_e32 v19, s1, v22
	v_xor_b32_e32 v20, s0, v22
	v_ashrrev_i32_e32 v21, 31, v23
	v_cmp_gt_i64_e64 s[0:1], 0, v[8:9]
	v_not_b32_e32 v9, v9
	v_and_b32_e32 v16, v16, v19
	v_and_b32_e32 v18, v18, v20
	v_xor_b32_e32 v19, vcc_hi, v21
	v_xor_b32_e32 v20, vcc_lo, v21
	v_ashrrev_i32_e32 v9, 31, v9
	v_and_b32_e32 v16, v16, v19
	v_and_b32_e32 v18, v18, v20
	v_mul_u32_u24_e32 v15, 5, v10
	s_movk_i32 s2, 0x8000
	v_lshlrev_b32_e32 v15, 2, v15
	ds_write2_b32 v15, v8, v8 offset0:16 offset1:17
	ds_write2_b32 v15, v8, v8 offset0:18 offset1:19
	ds_write_b32 v15, v8 offset:80
	s_waitcnt lgkmcnt(0)
	s_barrier
	s_waitcnt vmcnt(0)
	v_mad_u64_u32 v[12:13], s[8:9], v13, v12, v[10:11]
	v_lshrrev_b32_e32 v26, 6, v12
	v_xor_b32_e32 v12, s1, v9
	v_xor_b32_e32 v9, s0, v9
	v_and_b32_e32 v13, v16, v12
	v_and_b32_e32 v12, v18, v9
	v_mbcnt_lo_u32_b32 v9, v12, 0
	v_mbcnt_hi_u32_b32 v16, v13, v9
	v_cmp_eq_u32_e32 vcc, 0, v16
	v_cmp_ne_u64_e64 s[0:1], 0, v[12:13]
	v_add_lshl_u32 v19, v26, v17, 2
	s_and_b64 s[8:9], s[0:1], vcc
	; wave barrier
	s_and_saveexec_b64 s[0:1], s[8:9]
	s_cbranch_execz .LBB1990_27
; %bb.26:
	v_bcnt_u32_b32 v9, v12, 0
	v_bcnt_u32_b32 v9, v13, v9
	ds_write_b32 v19, v9 offset:64
.LBB1990_27:
	s_or_b64 exec, exec, s[0:1]
	v_xor_b32_sdwa v17, v2, s2 dst_sel:DWORD dst_unused:UNUSED_PAD src0_sel:WORD_1 src1_sel:DWORD
	v_lshrrev_b32_sdwa v2, s20, v17 dst_sel:DWORD dst_unused:UNUSED_PAD src0_sel:DWORD src1_sel:WORD_0
	v_and_b32_e32 v2, s28, v2
	v_mul_u32_u24_e32 v9, 17, v2
	v_add_lshl_u32 v20, v26, v9, 2
	v_and_b32_e32 v9, 1, v2
	v_add_co_u32_e32 v12, vcc, -1, v9
	v_addc_co_u32_e64 v13, s[0:1], 0, -1, vcc
	v_cmp_ne_u32_e32 vcc, 0, v9
	v_xor_b32_e32 v9, vcc_hi, v13
	v_and_b32_e32 v13, exec_hi, v9
	v_lshlrev_b32_e32 v9, 30, v2
	v_xor_b32_e32 v12, vcc_lo, v12
	v_cmp_gt_i64_e32 vcc, 0, v[8:9]
	v_not_b32_e32 v9, v9
	v_ashrrev_i32_e32 v9, 31, v9
	v_and_b32_e32 v12, exec_lo, v12
	v_xor_b32_e32 v21, vcc_hi, v9
	v_xor_b32_e32 v9, vcc_lo, v9
	v_and_b32_e32 v12, v12, v9
	v_lshlrev_b32_e32 v9, 29, v2
	v_cmp_gt_i64_e32 vcc, 0, v[8:9]
	v_not_b32_e32 v9, v9
	v_ashrrev_i32_e32 v9, 31, v9
	v_and_b32_e32 v13, v13, v21
	v_xor_b32_e32 v21, vcc_hi, v9
	v_xor_b32_e32 v9, vcc_lo, v9
	v_and_b32_e32 v12, v12, v9
	v_lshlrev_b32_e32 v9, 28, v2
	v_cmp_gt_i64_e32 vcc, 0, v[8:9]
	v_not_b32_e32 v9, v9
	v_ashrrev_i32_e32 v9, 31, v9
	v_and_b32_e32 v13, v13, v21
	;; [unrolled: 8-line block ×5, first 2 shown]
	v_xor_b32_e32 v21, vcc_hi, v9
	v_xor_b32_e32 v9, vcc_lo, v9
	v_and_b32_e32 v12, v12, v9
	v_lshlrev_b32_e32 v9, 24, v2
	v_not_b32_e32 v2, v9
	v_cmp_gt_i64_e32 vcc, 0, v[8:9]
	v_ashrrev_i32_e32 v2, 31, v2
	v_and_b32_e32 v13, v13, v21
	v_xor_b32_e32 v8, vcc_hi, v2
	v_xor_b32_e32 v2, vcc_lo, v2
	; wave barrier
	ds_read_b32 v18, v20 offset:64
	v_and_b32_e32 v9, v13, v8
	v_and_b32_e32 v8, v12, v2
	v_mbcnt_lo_u32_b32 v2, v8, 0
	v_mbcnt_hi_u32_b32 v21, v9, v2
	v_cmp_eq_u32_e32 vcc, 0, v21
	v_cmp_ne_u64_e64 s[0:1], 0, v[8:9]
	s_and_b64 s[2:3], s[0:1], vcc
	; wave barrier
	s_and_saveexec_b64 s[0:1], s[2:3]
	s_cbranch_execz .LBB1990_29
; %bb.28:
	v_bcnt_u32_b32 v2, v8, 0
	v_bcnt_u32_b32 v2, v9, v2
	s_waitcnt lgkmcnt(0)
	v_add_u32_e32 v2, v18, v2
	ds_write_b32 v20, v2 offset:64
.LBB1990_29:
	s_or_b64 exec, exec, s[0:1]
	v_xor_b32_e32 v22, 0xffff8000, v3
	v_lshrrev_b32_sdwa v2, s20, v22 dst_sel:DWORD dst_unused:UNUSED_PAD src0_sel:DWORD src1_sel:WORD_0
	v_and_b32_e32 v2, s28, v2
	v_and_b32_e32 v9, 1, v2
	v_add_co_u32_e32 v12, vcc, -1, v9
	v_addc_co_u32_e64 v13, s[0:1], 0, -1, vcc
	v_cmp_ne_u32_e32 vcc, 0, v9
	v_mul_u32_u24_e32 v8, 17, v2
	v_xor_b32_e32 v9, vcc_hi, v13
	v_add_lshl_u32 v24, v26, v8, 2
	v_mov_b32_e32 v8, 0
	v_and_b32_e32 v13, exec_hi, v9
	v_lshlrev_b32_e32 v9, 30, v2
	v_xor_b32_e32 v12, vcc_lo, v12
	v_cmp_gt_i64_e32 vcc, 0, v[8:9]
	v_not_b32_e32 v9, v9
	v_ashrrev_i32_e32 v9, 31, v9
	v_and_b32_e32 v12, exec_lo, v12
	v_xor_b32_e32 v25, vcc_hi, v9
	v_xor_b32_e32 v9, vcc_lo, v9
	v_and_b32_e32 v12, v12, v9
	v_lshlrev_b32_e32 v9, 29, v2
	v_cmp_gt_i64_e32 vcc, 0, v[8:9]
	v_not_b32_e32 v9, v9
	v_ashrrev_i32_e32 v9, 31, v9
	v_and_b32_e32 v13, v13, v25
	v_xor_b32_e32 v25, vcc_hi, v9
	v_xor_b32_e32 v9, vcc_lo, v9
	v_and_b32_e32 v12, v12, v9
	v_lshlrev_b32_e32 v9, 28, v2
	v_cmp_gt_i64_e32 vcc, 0, v[8:9]
	v_not_b32_e32 v9, v9
	v_ashrrev_i32_e32 v9, 31, v9
	v_and_b32_e32 v13, v13, v25
	;; [unrolled: 8-line block ×5, first 2 shown]
	v_xor_b32_e32 v25, vcc_hi, v9
	v_xor_b32_e32 v9, vcc_lo, v9
	v_and_b32_e32 v12, v12, v9
	v_lshlrev_b32_e32 v9, 24, v2
	v_not_b32_e32 v2, v9
	v_cmp_gt_i64_e32 vcc, 0, v[8:9]
	v_ashrrev_i32_e32 v2, 31, v2
	v_xor_b32_e32 v9, vcc_hi, v2
	v_xor_b32_e32 v2, vcc_lo, v2
	; wave barrier
	ds_read_b32 v23, v24 offset:64
	v_and_b32_e32 v13, v13, v25
	v_and_b32_e32 v12, v12, v2
	;; [unrolled: 1-line block ×3, first 2 shown]
	v_mbcnt_lo_u32_b32 v2, v12, 0
	v_mbcnt_hi_u32_b32 v25, v13, v2
	v_cmp_eq_u32_e32 vcc, 0, v25
	v_cmp_ne_u64_e64 s[0:1], 0, v[12:13]
	s_movk_i32 s2, 0x8000
	s_and_b64 s[8:9], s[0:1], vcc
	; wave barrier
	s_and_saveexec_b64 s[0:1], s[8:9]
	s_cbranch_execz .LBB1990_31
; %bb.30:
	v_bcnt_u32_b32 v2, v12, 0
	v_bcnt_u32_b32 v2, v13, v2
	s_waitcnt lgkmcnt(0)
	v_add_u32_e32 v2, v23, v2
	ds_write_b32 v24, v2 offset:64
.LBB1990_31:
	s_or_b64 exec, exec, s[0:1]
	v_xor_b32_sdwa v12, v3, s2 dst_sel:DWORD dst_unused:UNUSED_PAD src0_sel:WORD_1 src1_sel:DWORD
	v_lshrrev_b32_sdwa v2, s20, v12 dst_sel:DWORD dst_unused:UNUSED_PAD src0_sel:DWORD src1_sel:WORD_0
	v_and_b32_e32 v2, s28, v2
	v_mul_u32_u24_e32 v3, 17, v2
	v_add_lshl_u32 v27, v26, v3, 2
	v_and_b32_e32 v3, 1, v2
	v_add_co_u32_e32 v9, vcc, -1, v3
	v_addc_co_u32_e64 v28, s[0:1], 0, -1, vcc
	v_cmp_ne_u32_e32 vcc, 0, v3
	v_xor_b32_e32 v9, vcc_lo, v9
	v_xor_b32_e32 v3, vcc_hi, v28
	v_and_b32_e32 v28, exec_lo, v9
	v_lshlrev_b32_e32 v9, 30, v2
	v_cmp_gt_i64_e32 vcc, 0, v[8:9]
	v_not_b32_e32 v9, v9
	v_ashrrev_i32_e32 v9, 31, v9
	v_xor_b32_e32 v29, vcc_hi, v9
	v_xor_b32_e32 v9, vcc_lo, v9
	v_and_b32_e32 v28, v28, v9
	v_lshlrev_b32_e32 v9, 29, v2
	v_cmp_gt_i64_e32 vcc, 0, v[8:9]
	v_not_b32_e32 v9, v9
	v_and_b32_e32 v3, exec_hi, v3
	v_ashrrev_i32_e32 v9, 31, v9
	v_and_b32_e32 v3, v3, v29
	v_xor_b32_e32 v29, vcc_hi, v9
	v_xor_b32_e32 v9, vcc_lo, v9
	v_and_b32_e32 v28, v28, v9
	v_lshlrev_b32_e32 v9, 28, v2
	v_cmp_gt_i64_e32 vcc, 0, v[8:9]
	v_not_b32_e32 v9, v9
	v_ashrrev_i32_e32 v9, 31, v9
	v_and_b32_e32 v3, v3, v29
	v_xor_b32_e32 v29, vcc_hi, v9
	v_xor_b32_e32 v9, vcc_lo, v9
	v_and_b32_e32 v28, v28, v9
	v_lshlrev_b32_e32 v9, 27, v2
	v_cmp_gt_i64_e32 vcc, 0, v[8:9]
	v_not_b32_e32 v9, v9
	;; [unrolled: 8-line block ×4, first 2 shown]
	v_ashrrev_i32_e32 v9, 31, v9
	v_and_b32_e32 v3, v3, v29
	v_xor_b32_e32 v29, vcc_hi, v9
	v_xor_b32_e32 v9, vcc_lo, v9
	v_and_b32_e32 v28, v28, v9
	v_lshlrev_b32_e32 v9, 24, v2
	v_not_b32_e32 v2, v9
	v_cmp_gt_i64_e32 vcc, 0, v[8:9]
	v_ashrrev_i32_e32 v2, 31, v2
	v_xor_b32_e32 v8, vcc_hi, v2
	v_xor_b32_e32 v2, vcc_lo, v2
	; wave barrier
	ds_read_b32 v13, v27 offset:64
	v_and_b32_e32 v3, v3, v29
	v_and_b32_e32 v2, v28, v2
	;; [unrolled: 1-line block ×3, first 2 shown]
	v_mbcnt_lo_u32_b32 v8, v2, 0
	v_mbcnt_hi_u32_b32 v28, v3, v8
	v_cmp_eq_u32_e32 vcc, 0, v28
	v_cmp_ne_u64_e64 s[0:1], 0, v[2:3]
	s_and_b64 s[2:3], s[0:1], vcc
	; wave barrier
	s_and_saveexec_b64 s[0:1], s[2:3]
	s_cbranch_execz .LBB1990_33
; %bb.32:
	v_bcnt_u32_b32 v2, v2, 0
	v_bcnt_u32_b32 v2, v3, v2
	s_waitcnt lgkmcnt(0)
	v_add_u32_e32 v2, v13, v2
	ds_write_b32 v27, v2 offset:64
.LBB1990_33:
	s_or_b64 exec, exec, s[0:1]
	v_xor_b32_e32 v29, 0xffff8000, v4
	v_lshrrev_b32_sdwa v2, s20, v29 dst_sel:DWORD dst_unused:UNUSED_PAD src0_sel:DWORD src1_sel:WORD_0
	v_and_b32_e32 v8, s28, v2
	v_and_b32_e32 v3, 1, v8
	v_add_co_u32_e32 v9, vcc, -1, v3
	v_addc_co_u32_e64 v32, s[0:1], 0, -1, vcc
	v_cmp_ne_u32_e32 vcc, 0, v3
	v_mul_u32_u24_e32 v2, 17, v8
	v_xor_b32_e32 v3, vcc_hi, v32
	v_add_lshl_u32 v31, v26, v2, 2
	v_mov_b32_e32 v2, 0
	v_and_b32_e32 v32, exec_hi, v3
	v_lshlrev_b32_e32 v3, 30, v8
	v_xor_b32_e32 v9, vcc_lo, v9
	v_cmp_gt_i64_e32 vcc, 0, v[2:3]
	v_not_b32_e32 v3, v3
	v_ashrrev_i32_e32 v3, 31, v3
	v_and_b32_e32 v9, exec_lo, v9
	v_xor_b32_e32 v33, vcc_hi, v3
	v_xor_b32_e32 v3, vcc_lo, v3
	v_and_b32_e32 v9, v9, v3
	v_lshlrev_b32_e32 v3, 29, v8
	v_cmp_gt_i64_e32 vcc, 0, v[2:3]
	v_not_b32_e32 v3, v3
	v_ashrrev_i32_e32 v3, 31, v3
	v_and_b32_e32 v32, v32, v33
	v_xor_b32_e32 v33, vcc_hi, v3
	v_xor_b32_e32 v3, vcc_lo, v3
	v_and_b32_e32 v9, v9, v3
	v_lshlrev_b32_e32 v3, 28, v8
	v_cmp_gt_i64_e32 vcc, 0, v[2:3]
	v_not_b32_e32 v3, v3
	v_ashrrev_i32_e32 v3, 31, v3
	v_and_b32_e32 v32, v32, v33
	;; [unrolled: 8-line block ×5, first 2 shown]
	v_xor_b32_e32 v33, vcc_hi, v3
	v_xor_b32_e32 v3, vcc_lo, v3
	v_and_b32_e32 v32, v32, v33
	v_and_b32_e32 v33, v9, v3
	v_lshlrev_b32_e32 v3, 24, v8
	v_cmp_gt_i64_e32 vcc, 0, v[2:3]
	v_not_b32_e32 v3, v3
	v_ashrrev_i32_e32 v3, 31, v3
	v_xor_b32_e32 v8, vcc_hi, v3
	v_xor_b32_e32 v3, vcc_lo, v3
	; wave barrier
	ds_read_b32 v30, v31 offset:64
	v_and_b32_e32 v9, v32, v8
	v_and_b32_e32 v8, v33, v3
	v_mbcnt_lo_u32_b32 v3, v8, 0
	v_mbcnt_hi_u32_b32 v33, v9, v3
	v_cmp_eq_u32_e32 vcc, 0, v33
	v_cmp_ne_u64_e64 s[0:1], 0, v[8:9]
	s_movk_i32 s2, 0x8000
	s_and_b64 s[8:9], s[0:1], vcc
	; wave barrier
	s_and_saveexec_b64 s[0:1], s[8:9]
	s_cbranch_execz .LBB1990_35
; %bb.34:
	v_bcnt_u32_b32 v3, v8, 0
	v_bcnt_u32_b32 v3, v9, v3
	s_waitcnt lgkmcnt(0)
	v_add_u32_e32 v3, v30, v3
	ds_write_b32 v31, v3 offset:64
.LBB1990_35:
	s_or_b64 exec, exec, s[0:1]
	v_xor_b32_sdwa v32, v4, s2 dst_sel:DWORD dst_unused:UNUSED_PAD src0_sel:WORD_1 src1_sel:DWORD
	v_lshrrev_b32_sdwa v3, s20, v32 dst_sel:DWORD dst_unused:UNUSED_PAD src0_sel:DWORD src1_sel:WORD_0
	v_and_b32_e32 v4, s28, v3
	v_mul_u32_u24_e32 v3, 17, v4
	v_add_lshl_u32 v35, v26, v3, 2
	v_and_b32_e32 v3, 1, v4
	v_add_co_u32_e32 v8, vcc, -1, v3
	v_addc_co_u32_e64 v9, s[0:1], 0, -1, vcc
	v_cmp_ne_u32_e32 vcc, 0, v3
	v_xor_b32_e32 v3, vcc_hi, v9
	v_and_b32_e32 v9, exec_hi, v3
	v_lshlrev_b32_e32 v3, 30, v4
	v_xor_b32_e32 v8, vcc_lo, v8
	v_cmp_gt_i64_e32 vcc, 0, v[2:3]
	v_not_b32_e32 v3, v3
	v_ashrrev_i32_e32 v3, 31, v3
	v_and_b32_e32 v8, exec_lo, v8
	v_xor_b32_e32 v36, vcc_hi, v3
	v_xor_b32_e32 v3, vcc_lo, v3
	v_and_b32_e32 v8, v8, v3
	v_lshlrev_b32_e32 v3, 29, v4
	v_cmp_gt_i64_e32 vcc, 0, v[2:3]
	v_not_b32_e32 v3, v3
	v_ashrrev_i32_e32 v3, 31, v3
	v_and_b32_e32 v9, v9, v36
	v_xor_b32_e32 v36, vcc_hi, v3
	v_xor_b32_e32 v3, vcc_lo, v3
	v_and_b32_e32 v8, v8, v3
	v_lshlrev_b32_e32 v3, 28, v4
	v_cmp_gt_i64_e32 vcc, 0, v[2:3]
	v_not_b32_e32 v3, v3
	v_ashrrev_i32_e32 v3, 31, v3
	v_and_b32_e32 v9, v9, v36
	;; [unrolled: 8-line block ×5, first 2 shown]
	v_xor_b32_e32 v36, vcc_hi, v3
	v_xor_b32_e32 v3, vcc_lo, v3
	v_and_b32_e32 v8, v8, v3
	v_lshlrev_b32_e32 v3, 24, v4
	v_cmp_gt_i64_e32 vcc, 0, v[2:3]
	v_not_b32_e32 v2, v3
	v_ashrrev_i32_e32 v2, 31, v2
	v_xor_b32_e32 v3, vcc_hi, v2
	v_xor_b32_e32 v2, vcc_lo, v2
	; wave barrier
	ds_read_b32 v34, v35 offset:64
	v_and_b32_e32 v9, v9, v36
	v_and_b32_e32 v2, v8, v2
	;; [unrolled: 1-line block ×3, first 2 shown]
	v_mbcnt_lo_u32_b32 v4, v2, 0
	v_mbcnt_hi_u32_b32 v37, v3, v4
	v_cmp_eq_u32_e32 vcc, 0, v37
	v_cmp_ne_u64_e64 s[0:1], 0, v[2:3]
	s_and_b64 s[2:3], s[0:1], vcc
	; wave barrier
	s_and_saveexec_b64 s[0:1], s[2:3]
	s_cbranch_execz .LBB1990_37
; %bb.36:
	v_bcnt_u32_b32 v2, v2, 0
	v_bcnt_u32_b32 v2, v3, v2
	s_waitcnt lgkmcnt(0)
	v_add_u32_e32 v2, v34, v2
	ds_write_b32 v35, v2 offset:64
.LBB1990_37:
	s_or_b64 exec, exec, s[0:1]
	v_xor_b32_e32 v36, 0xffff8000, v5
	v_lshrrev_b32_sdwa v2, s20, v36 dst_sel:DWORD dst_unused:UNUSED_PAD src0_sel:DWORD src1_sel:WORD_0
	v_and_b32_e32 v4, s28, v2
	v_and_b32_e32 v3, 1, v4
	v_add_co_u32_e32 v8, vcc, -1, v3
	v_addc_co_u32_e64 v9, s[0:1], 0, -1, vcc
	v_cmp_ne_u32_e32 vcc, 0, v3
	v_mul_u32_u24_e32 v2, 17, v4
	v_xor_b32_e32 v3, vcc_hi, v9
	v_add_lshl_u32 v39, v26, v2, 2
	v_mov_b32_e32 v2, 0
	v_and_b32_e32 v9, exec_hi, v3
	v_lshlrev_b32_e32 v3, 30, v4
	v_xor_b32_e32 v8, vcc_lo, v8
	v_cmp_gt_i64_e32 vcc, 0, v[2:3]
	v_not_b32_e32 v3, v3
	v_ashrrev_i32_e32 v3, 31, v3
	v_and_b32_e32 v8, exec_lo, v8
	v_xor_b32_e32 v40, vcc_hi, v3
	v_xor_b32_e32 v3, vcc_lo, v3
	v_and_b32_e32 v8, v8, v3
	v_lshlrev_b32_e32 v3, 29, v4
	v_cmp_gt_i64_e32 vcc, 0, v[2:3]
	v_not_b32_e32 v3, v3
	v_ashrrev_i32_e32 v3, 31, v3
	v_and_b32_e32 v9, v9, v40
	v_xor_b32_e32 v40, vcc_hi, v3
	v_xor_b32_e32 v3, vcc_lo, v3
	v_and_b32_e32 v8, v8, v3
	v_lshlrev_b32_e32 v3, 28, v4
	v_cmp_gt_i64_e32 vcc, 0, v[2:3]
	v_not_b32_e32 v3, v3
	v_ashrrev_i32_e32 v3, 31, v3
	v_and_b32_e32 v9, v9, v40
	;; [unrolled: 8-line block ×5, first 2 shown]
	v_xor_b32_e32 v40, vcc_hi, v3
	v_xor_b32_e32 v3, vcc_lo, v3
	v_and_b32_e32 v8, v8, v3
	v_lshlrev_b32_e32 v3, 24, v4
	v_cmp_gt_i64_e32 vcc, 0, v[2:3]
	v_not_b32_e32 v3, v3
	v_ashrrev_i32_e32 v3, 31, v3
	v_xor_b32_e32 v4, vcc_hi, v3
	v_xor_b32_e32 v3, vcc_lo, v3
	; wave barrier
	ds_read_b32 v38, v39 offset:64
	v_and_b32_e32 v9, v9, v40
	v_and_b32_e32 v8, v8, v3
	;; [unrolled: 1-line block ×3, first 2 shown]
	v_mbcnt_lo_u32_b32 v3, v8, 0
	v_mbcnt_hi_u32_b32 v40, v9, v3
	v_cmp_eq_u32_e32 vcc, 0, v40
	v_cmp_ne_u64_e64 s[0:1], 0, v[8:9]
	s_movk_i32 s2, 0x8000
	s_and_b64 s[8:9], s[0:1], vcc
	; wave barrier
	s_and_saveexec_b64 s[0:1], s[8:9]
	s_cbranch_execz .LBB1990_39
; %bb.38:
	v_bcnt_u32_b32 v3, v8, 0
	v_bcnt_u32_b32 v3, v9, v3
	s_waitcnt lgkmcnt(0)
	v_add_u32_e32 v3, v38, v3
	ds_write_b32 v39, v3 offset:64
.LBB1990_39:
	s_or_b64 exec, exec, s[0:1]
	v_xor_b32_sdwa v8, v5, s2 dst_sel:DWORD dst_unused:UNUSED_PAD src0_sel:WORD_1 src1_sel:DWORD
	v_lshrrev_b32_sdwa v3, s20, v8 dst_sel:DWORD dst_unused:UNUSED_PAD src0_sel:DWORD src1_sel:WORD_0
	v_and_b32_e32 v4, s28, v3
	v_mul_u32_u24_e32 v3, 17, v4
	v_add_lshl_u32 v41, v26, v3, 2
	v_and_b32_e32 v3, 1, v4
	v_add_co_u32_e32 v5, vcc, -1, v3
	v_addc_co_u32_e64 v42, s[0:1], 0, -1, vcc
	v_cmp_ne_u32_e32 vcc, 0, v3
	v_xor_b32_e32 v3, vcc_hi, v42
	v_and_b32_e32 v42, exec_hi, v3
	v_lshlrev_b32_e32 v3, 30, v4
	v_xor_b32_e32 v5, vcc_lo, v5
	v_cmp_gt_i64_e32 vcc, 0, v[2:3]
	v_not_b32_e32 v3, v3
	v_ashrrev_i32_e32 v3, 31, v3
	v_and_b32_e32 v5, exec_lo, v5
	v_xor_b32_e32 v43, vcc_hi, v3
	v_xor_b32_e32 v3, vcc_lo, v3
	v_and_b32_e32 v5, v5, v3
	v_lshlrev_b32_e32 v3, 29, v4
	v_cmp_gt_i64_e32 vcc, 0, v[2:3]
	v_not_b32_e32 v3, v3
	v_ashrrev_i32_e32 v3, 31, v3
	v_and_b32_e32 v42, v42, v43
	v_xor_b32_e32 v43, vcc_hi, v3
	v_xor_b32_e32 v3, vcc_lo, v3
	v_and_b32_e32 v5, v5, v3
	v_lshlrev_b32_e32 v3, 28, v4
	v_cmp_gt_i64_e32 vcc, 0, v[2:3]
	v_not_b32_e32 v3, v3
	v_ashrrev_i32_e32 v3, 31, v3
	v_and_b32_e32 v42, v42, v43
	;; [unrolled: 8-line block ×5, first 2 shown]
	v_xor_b32_e32 v43, vcc_hi, v3
	v_xor_b32_e32 v3, vcc_lo, v3
	v_and_b32_e32 v5, v5, v3
	v_lshlrev_b32_e32 v3, 24, v4
	v_cmp_gt_i64_e32 vcc, 0, v[2:3]
	v_not_b32_e32 v2, v3
	v_ashrrev_i32_e32 v2, 31, v2
	v_xor_b32_e32 v3, vcc_hi, v2
	v_xor_b32_e32 v2, vcc_lo, v2
	; wave barrier
	ds_read_b32 v9, v41 offset:64
	v_and_b32_e32 v42, v42, v43
	v_and_b32_e32 v2, v5, v2
	;; [unrolled: 1-line block ×3, first 2 shown]
	v_mbcnt_lo_u32_b32 v4, v2, 0
	v_mbcnt_hi_u32_b32 v43, v3, v4
	v_cmp_eq_u32_e32 vcc, 0, v43
	v_cmp_ne_u64_e64 s[0:1], 0, v[2:3]
	s_and_b64 s[2:3], s[0:1], vcc
	; wave barrier
	s_and_saveexec_b64 s[0:1], s[2:3]
	s_cbranch_execz .LBB1990_41
; %bb.40:
	v_bcnt_u32_b32 v2, v2, 0
	v_bcnt_u32_b32 v2, v3, v2
	s_waitcnt lgkmcnt(0)
	v_add_u32_e32 v2, v9, v2
	ds_write_b32 v41, v2 offset:64
.LBB1990_41:
	s_or_b64 exec, exec, s[0:1]
	v_xor_b32_e32 v42, 0xffff8000, v6
	v_lshrrev_b32_sdwa v2, s20, v42 dst_sel:DWORD dst_unused:UNUSED_PAD src0_sel:DWORD src1_sel:WORD_0
	v_and_b32_e32 v4, s28, v2
	v_and_b32_e32 v3, 1, v4
	v_add_co_u32_e32 v5, vcc, -1, v3
	v_addc_co_u32_e64 v46, s[0:1], 0, -1, vcc
	v_cmp_ne_u32_e32 vcc, 0, v3
	v_mul_u32_u24_e32 v2, 17, v4
	v_xor_b32_e32 v3, vcc_hi, v46
	v_add_lshl_u32 v45, v26, v2, 2
	v_mov_b32_e32 v2, 0
	v_and_b32_e32 v46, exec_hi, v3
	v_lshlrev_b32_e32 v3, 30, v4
	v_xor_b32_e32 v5, vcc_lo, v5
	v_cmp_gt_i64_e32 vcc, 0, v[2:3]
	v_not_b32_e32 v3, v3
	v_ashrrev_i32_e32 v3, 31, v3
	v_and_b32_e32 v5, exec_lo, v5
	v_xor_b32_e32 v47, vcc_hi, v3
	v_xor_b32_e32 v3, vcc_lo, v3
	v_and_b32_e32 v5, v5, v3
	v_lshlrev_b32_e32 v3, 29, v4
	v_cmp_gt_i64_e32 vcc, 0, v[2:3]
	v_not_b32_e32 v3, v3
	v_ashrrev_i32_e32 v3, 31, v3
	v_and_b32_e32 v46, v46, v47
	v_xor_b32_e32 v47, vcc_hi, v3
	v_xor_b32_e32 v3, vcc_lo, v3
	v_and_b32_e32 v5, v5, v3
	v_lshlrev_b32_e32 v3, 28, v4
	v_cmp_gt_i64_e32 vcc, 0, v[2:3]
	v_not_b32_e32 v3, v3
	v_ashrrev_i32_e32 v3, 31, v3
	v_and_b32_e32 v46, v46, v47
	;; [unrolled: 8-line block ×5, first 2 shown]
	v_xor_b32_e32 v47, vcc_hi, v3
	v_xor_b32_e32 v3, vcc_lo, v3
	v_and_b32_e32 v46, v46, v47
	v_and_b32_e32 v47, v5, v3
	v_lshlrev_b32_e32 v3, 24, v4
	v_cmp_gt_i64_e32 vcc, 0, v[2:3]
	v_not_b32_e32 v3, v3
	v_ashrrev_i32_e32 v3, 31, v3
	v_xor_b32_e32 v4, vcc_hi, v3
	v_xor_b32_e32 v3, vcc_lo, v3
	; wave barrier
	ds_read_b32 v44, v45 offset:64
	v_and_b32_e32 v5, v46, v4
	v_and_b32_e32 v4, v47, v3
	v_mbcnt_lo_u32_b32 v3, v4, 0
	v_mbcnt_hi_u32_b32 v46, v5, v3
	v_cmp_eq_u32_e32 vcc, 0, v46
	v_cmp_ne_u64_e64 s[0:1], 0, v[4:5]
	s_movk_i32 s2, 0x8000
	s_and_b64 s[8:9], s[0:1], vcc
	; wave barrier
	s_and_saveexec_b64 s[0:1], s[8:9]
	s_cbranch_execz .LBB1990_43
; %bb.42:
	v_bcnt_u32_b32 v3, v4, 0
	v_bcnt_u32_b32 v3, v5, v3
	s_waitcnt lgkmcnt(0)
	v_add_u32_e32 v3, v44, v3
	ds_write_b32 v45, v3 offset:64
.LBB1990_43:
	s_or_b64 exec, exec, s[0:1]
	v_xor_b32_sdwa v6, v6, s2 dst_sel:DWORD dst_unused:UNUSED_PAD src0_sel:WORD_1 src1_sel:DWORD
	v_lshrrev_b32_sdwa v3, s20, v6 dst_sel:DWORD dst_unused:UNUSED_PAD src0_sel:DWORD src1_sel:WORD_0
	v_and_b32_e32 v4, s28, v3
	v_mul_u32_u24_e32 v3, 17, v4
	v_add_lshl_u32 v48, v26, v3, 2
	v_and_b32_e32 v3, 1, v4
	v_add_co_u32_e32 v5, vcc, -1, v3
	v_addc_co_u32_e64 v49, s[0:1], 0, -1, vcc
	v_cmp_ne_u32_e32 vcc, 0, v3
	v_xor_b32_e32 v3, vcc_hi, v49
	v_and_b32_e32 v49, exec_hi, v3
	v_lshlrev_b32_e32 v3, 30, v4
	v_xor_b32_e32 v5, vcc_lo, v5
	v_cmp_gt_i64_e32 vcc, 0, v[2:3]
	v_not_b32_e32 v3, v3
	v_ashrrev_i32_e32 v3, 31, v3
	v_and_b32_e32 v5, exec_lo, v5
	v_xor_b32_e32 v50, vcc_hi, v3
	v_xor_b32_e32 v3, vcc_lo, v3
	v_and_b32_e32 v5, v5, v3
	v_lshlrev_b32_e32 v3, 29, v4
	v_cmp_gt_i64_e32 vcc, 0, v[2:3]
	v_not_b32_e32 v3, v3
	v_ashrrev_i32_e32 v3, 31, v3
	v_and_b32_e32 v49, v49, v50
	v_xor_b32_e32 v50, vcc_hi, v3
	v_xor_b32_e32 v3, vcc_lo, v3
	v_and_b32_e32 v5, v5, v3
	v_lshlrev_b32_e32 v3, 28, v4
	v_cmp_gt_i64_e32 vcc, 0, v[2:3]
	v_not_b32_e32 v3, v3
	v_ashrrev_i32_e32 v3, 31, v3
	v_and_b32_e32 v49, v49, v50
	;; [unrolled: 8-line block ×5, first 2 shown]
	v_xor_b32_e32 v50, vcc_hi, v3
	v_xor_b32_e32 v3, vcc_lo, v3
	v_and_b32_e32 v5, v5, v3
	v_lshlrev_b32_e32 v3, 24, v4
	v_cmp_gt_i64_e32 vcc, 0, v[2:3]
	v_not_b32_e32 v2, v3
	v_ashrrev_i32_e32 v2, 31, v2
	v_xor_b32_e32 v3, vcc_hi, v2
	v_xor_b32_e32 v2, vcc_lo, v2
	; wave barrier
	ds_read_b32 v47, v48 offset:64
	v_and_b32_e32 v49, v49, v50
	v_and_b32_e32 v2, v5, v2
	;; [unrolled: 1-line block ×3, first 2 shown]
	v_mbcnt_lo_u32_b32 v4, v2, 0
	v_mbcnt_hi_u32_b32 v50, v3, v4
	v_cmp_eq_u32_e32 vcc, 0, v50
	v_cmp_ne_u64_e64 s[0:1], 0, v[2:3]
	s_and_b64 s[2:3], s[0:1], vcc
	; wave barrier
	s_and_saveexec_b64 s[0:1], s[2:3]
	s_cbranch_execz .LBB1990_45
; %bb.44:
	v_bcnt_u32_b32 v2, v2, 0
	v_bcnt_u32_b32 v2, v3, v2
	s_waitcnt lgkmcnt(0)
	v_add_u32_e32 v2, v47, v2
	ds_write_b32 v48, v2 offset:64
.LBB1990_45:
	s_or_b64 exec, exec, s[0:1]
	v_xor_b32_e32 v49, 0xffff8000, v7
	v_lshrrev_b32_sdwa v2, s20, v49 dst_sel:DWORD dst_unused:UNUSED_PAD src0_sel:DWORD src1_sel:WORD_0
	v_and_b32_e32 v4, s28, v2
	v_and_b32_e32 v3, 1, v4
	v_add_co_u32_e32 v5, vcc, -1, v3
	v_addc_co_u32_e64 v53, s[0:1], 0, -1, vcc
	v_cmp_ne_u32_e32 vcc, 0, v3
	v_mul_u32_u24_e32 v2, 17, v4
	v_xor_b32_e32 v3, vcc_hi, v53
	v_add_lshl_u32 v52, v26, v2, 2
	v_mov_b32_e32 v2, 0
	v_and_b32_e32 v53, exec_hi, v3
	v_lshlrev_b32_e32 v3, 30, v4
	v_xor_b32_e32 v5, vcc_lo, v5
	v_cmp_gt_i64_e32 vcc, 0, v[2:3]
	v_not_b32_e32 v3, v3
	v_ashrrev_i32_e32 v3, 31, v3
	v_and_b32_e32 v5, exec_lo, v5
	v_xor_b32_e32 v54, vcc_hi, v3
	v_xor_b32_e32 v3, vcc_lo, v3
	v_and_b32_e32 v5, v5, v3
	v_lshlrev_b32_e32 v3, 29, v4
	v_cmp_gt_i64_e32 vcc, 0, v[2:3]
	v_not_b32_e32 v3, v3
	v_ashrrev_i32_e32 v3, 31, v3
	v_and_b32_e32 v53, v53, v54
	v_xor_b32_e32 v54, vcc_hi, v3
	v_xor_b32_e32 v3, vcc_lo, v3
	v_and_b32_e32 v5, v5, v3
	v_lshlrev_b32_e32 v3, 28, v4
	v_cmp_gt_i64_e32 vcc, 0, v[2:3]
	v_not_b32_e32 v3, v3
	v_ashrrev_i32_e32 v3, 31, v3
	v_and_b32_e32 v53, v53, v54
	;; [unrolled: 8-line block ×5, first 2 shown]
	v_xor_b32_e32 v54, vcc_hi, v3
	v_xor_b32_e32 v3, vcc_lo, v3
	v_and_b32_e32 v53, v53, v54
	v_and_b32_e32 v54, v5, v3
	v_lshlrev_b32_e32 v3, 24, v4
	v_cmp_gt_i64_e32 vcc, 0, v[2:3]
	v_not_b32_e32 v3, v3
	v_ashrrev_i32_e32 v3, 31, v3
	v_xor_b32_e32 v4, vcc_hi, v3
	v_xor_b32_e32 v3, vcc_lo, v3
	; wave barrier
	ds_read_b32 v51, v52 offset:64
	v_and_b32_e32 v5, v53, v4
	v_and_b32_e32 v4, v54, v3
	v_mbcnt_lo_u32_b32 v3, v4, 0
	v_mbcnt_hi_u32_b32 v53, v5, v3
	v_cmp_eq_u32_e32 vcc, 0, v53
	v_cmp_ne_u64_e64 s[0:1], 0, v[4:5]
	s_movk_i32 s2, 0x8000
	s_and_b64 s[8:9], s[0:1], vcc
	; wave barrier
	s_and_saveexec_b64 s[0:1], s[8:9]
	s_cbranch_execz .LBB1990_47
; %bb.46:
	v_bcnt_u32_b32 v3, v4, 0
	v_bcnt_u32_b32 v3, v5, v3
	s_waitcnt lgkmcnt(0)
	v_add_u32_e32 v3, v51, v3
	ds_write_b32 v52, v3 offset:64
.LBB1990_47:
	s_or_b64 exec, exec, s[0:1]
	v_xor_b32_sdwa v7, v7, s2 dst_sel:DWORD dst_unused:UNUSED_PAD src0_sel:WORD_1 src1_sel:DWORD
	v_lshrrev_b32_sdwa v3, s20, v7 dst_sel:DWORD dst_unused:UNUSED_PAD src0_sel:DWORD src1_sel:WORD_0
	v_and_b32_e32 v4, s28, v3
	v_mul_u32_u24_e32 v3, 17, v4
	v_add_lshl_u32 v55, v26, v3, 2
	v_and_b32_e32 v3, 1, v4
	v_add_co_u32_e32 v5, vcc, -1, v3
	v_addc_co_u32_e64 v54, s[0:1], 0, -1, vcc
	v_cmp_ne_u32_e32 vcc, 0, v3
	v_xor_b32_e32 v3, vcc_hi, v54
	v_and_b32_e32 v54, exec_hi, v3
	v_lshlrev_b32_e32 v3, 30, v4
	v_xor_b32_e32 v5, vcc_lo, v5
	v_cmp_gt_i64_e32 vcc, 0, v[2:3]
	v_not_b32_e32 v3, v3
	v_ashrrev_i32_e32 v3, 31, v3
	v_and_b32_e32 v5, exec_lo, v5
	v_xor_b32_e32 v57, vcc_hi, v3
	v_xor_b32_e32 v3, vcc_lo, v3
	v_and_b32_e32 v5, v5, v3
	v_lshlrev_b32_e32 v3, 29, v4
	v_cmp_gt_i64_e32 vcc, 0, v[2:3]
	v_not_b32_e32 v3, v3
	v_ashrrev_i32_e32 v3, 31, v3
	v_and_b32_e32 v54, v54, v57
	v_xor_b32_e32 v57, vcc_hi, v3
	v_xor_b32_e32 v3, vcc_lo, v3
	v_and_b32_e32 v5, v5, v3
	v_lshlrev_b32_e32 v3, 28, v4
	v_cmp_gt_i64_e32 vcc, 0, v[2:3]
	v_not_b32_e32 v3, v3
	v_ashrrev_i32_e32 v3, 31, v3
	v_and_b32_e32 v54, v54, v57
	;; [unrolled: 8-line block ×5, first 2 shown]
	v_xor_b32_e32 v57, vcc_hi, v3
	v_xor_b32_e32 v3, vcc_lo, v3
	v_and_b32_e32 v5, v5, v3
	v_lshlrev_b32_e32 v3, 24, v4
	v_cmp_gt_i64_e32 vcc, 0, v[2:3]
	v_not_b32_e32 v2, v3
	v_ashrrev_i32_e32 v2, 31, v2
	v_xor_b32_e32 v3, vcc_hi, v2
	v_xor_b32_e32 v2, vcc_lo, v2
	; wave barrier
	ds_read_b32 v26, v55 offset:64
	v_and_b32_e32 v54, v54, v57
	v_and_b32_e32 v2, v5, v2
	;; [unrolled: 1-line block ×3, first 2 shown]
	v_mbcnt_lo_u32_b32 v4, v2, 0
	v_mbcnt_hi_u32_b32 v57, v3, v4
	v_cmp_eq_u32_e32 vcc, 0, v57
	v_cmp_ne_u64_e64 s[0:1], 0, v[2:3]
	v_add_u32_e32 v56, 64, v15
	s_and_b64 s[2:3], s[0:1], vcc
	; wave barrier
	s_and_saveexec_b64 s[0:1], s[2:3]
	s_cbranch_execz .LBB1990_49
; %bb.48:
	v_bcnt_u32_b32 v2, v2, 0
	v_bcnt_u32_b32 v2, v3, v2
	s_waitcnt lgkmcnt(0)
	v_add_u32_e32 v2, v26, v2
	ds_write_b32 v55, v2 offset:64
.LBB1990_49:
	s_or_b64 exec, exec, s[0:1]
	; wave barrier
	s_waitcnt lgkmcnt(0)
	s_barrier
	ds_read2_b32 v[4:5], v15 offset0:16 offset1:17
	ds_read2_b32 v[2:3], v56 offset0:2 offset1:3
	ds_read_b32 v54, v56 offset:16
	v_cmp_lt_u32_e64 s[10:11], 31, v11
	s_waitcnt lgkmcnt(1)
	v_add3_u32 v58, v5, v4, v2
	s_waitcnt lgkmcnt(0)
	v_add3_u32 v54, v58, v3, v54
	v_and_b32_e32 v58, 15, v11
	v_cmp_eq_u32_e32 vcc, 0, v58
	v_mov_b32_dpp v59, v54 row_shr:1 row_mask:0xf bank_mask:0xf
	v_cndmask_b32_e64 v59, v59, 0, vcc
	v_add_u32_e32 v54, v59, v54
	v_cmp_lt_u32_e64 s[0:1], 1, v58
	v_cmp_lt_u32_e64 s[2:3], 3, v58
	v_mov_b32_dpp v59, v54 row_shr:2 row_mask:0xf bank_mask:0xf
	v_cndmask_b32_e64 v59, 0, v59, s[0:1]
	v_add_u32_e32 v54, v54, v59
	v_cmp_lt_u32_e64 s[8:9], 7, v58
	s_nop 0
	v_mov_b32_dpp v59, v54 row_shr:4 row_mask:0xf bank_mask:0xf
	v_cndmask_b32_e64 v59, 0, v59, s[2:3]
	v_add_u32_e32 v54, v54, v59
	s_nop 1
	v_mov_b32_dpp v59, v54 row_shr:8 row_mask:0xf bank_mask:0xf
	v_cndmask_b32_e64 v58, 0, v59, s[8:9]
	v_add_u32_e32 v54, v54, v58
	v_bfe_i32 v59, v11, 4, 1
	s_nop 0
	v_mov_b32_dpp v58, v54 row_bcast:15 row_mask:0xf bank_mask:0xf
	v_and_b32_e32 v58, v59, v58
	v_add_u32_e32 v54, v54, v58
	v_lshrrev_b32_e32 v59, 6, v10
	s_nop 0
	v_mov_b32_dpp v58, v54 row_bcast:31 row_mask:0xf bank_mask:0xf
	v_cndmask_b32_e64 v58, 0, v58, s[10:11]
	v_add_u32_e32 v58, v54, v58
	v_and_b32_e32 v54, 63, v10
	v_cmp_eq_u32_e64 s[10:11], 63, v54
	s_and_saveexec_b64 s[22:23], s[10:11]
	s_cbranch_execz .LBB1990_51
; %bb.50:
	v_lshlrev_b32_e32 v54, 2, v59
	ds_write_b32 v54, v58
.LBB1990_51:
	s_or_b64 exec, exec, s[22:23]
	v_cmp_gt_u32_e64 s[10:11], 16, v10
	v_lshlrev_b32_e32 v54, 2, v10
	s_waitcnt lgkmcnt(0)
	s_barrier
	s_and_saveexec_b64 s[22:23], s[10:11]
	s_cbranch_execz .LBB1990_53
; %bb.52:
	ds_read_b32 v60, v54
	s_waitcnt lgkmcnt(0)
	s_nop 0
	v_mov_b32_dpp v61, v60 row_shr:1 row_mask:0xf bank_mask:0xf
	v_cndmask_b32_e64 v61, v61, 0, vcc
	v_add_u32_e32 v60, v61, v60
	s_nop 1
	v_mov_b32_dpp v61, v60 row_shr:2 row_mask:0xf bank_mask:0xf
	v_cndmask_b32_e64 v61, 0, v61, s[0:1]
	v_add_u32_e32 v60, v60, v61
	s_nop 1
	v_mov_b32_dpp v61, v60 row_shr:4 row_mask:0xf bank_mask:0xf
	v_cndmask_b32_e64 v61, 0, v61, s[2:3]
	;; [unrolled: 4-line block ×3, first 2 shown]
	v_add_u32_e32 v60, v60, v61
	ds_write_b32 v54, v60
.LBB1990_53:
	s_or_b64 exec, exec, s[22:23]
	v_cmp_lt_u32_e32 vcc, 63, v10
	v_mov_b32_e32 v60, 0
	s_waitcnt lgkmcnt(0)
	s_barrier
	s_and_saveexec_b64 s[0:1], vcc
	s_cbranch_execz .LBB1990_55
; %bb.54:
	v_lshl_add_u32 v59, v59, 2, -4
	ds_read_b32 v60, v59
.LBB1990_55:
	s_or_b64 exec, exec, s[0:1]
	v_add_u32_e32 v59, -1, v11
	v_and_b32_e32 v61, 64, v11
	v_cmp_lt_i32_e32 vcc, v59, v61
	v_cndmask_b32_e32 v59, v59, v11, vcc
	s_waitcnt lgkmcnt(0)
	v_add_u32_e32 v58, v60, v58
	v_lshlrev_b32_e32 v59, 2, v59
	ds_bpermute_b32 v58, v59, v58
	v_cmp_eq_u32_e32 vcc, 0, v11
	s_movk_i32 s0, 0x100
	s_waitcnt lgkmcnt(0)
	v_cndmask_b32_e32 v11, v58, v60, vcc
	v_cmp_ne_u32_e32 vcc, 0, v10
	v_cndmask_b32_e32 v11, 0, v11, vcc
	v_add_u32_e32 v4, v11, v4
	v_add_u32_e32 v5, v4, v5
	v_add_u32_e32 v2, v5, v2
	v_add_u32_e32 v3, v2, v3
	ds_write2_b32 v15, v11, v4 offset0:16 offset1:17
	ds_write2_b32 v56, v5, v2 offset0:2 offset1:3
	ds_write_b32 v56, v3 offset:16
	s_waitcnt lgkmcnt(0)
	s_barrier
	ds_read_b32 v60, v19 offset:64
	ds_read_b32 v59, v20 offset:64
	;; [unrolled: 1-line block ×12, first 2 shown]
	v_cmp_gt_u32_e32 vcc, s0, v10
                                        ; implicit-def: $vgpr11
                                        ; implicit-def: $vgpr15
	s_and_saveexec_b64 s[2:3], vcc
	s_cbranch_execz .LBB1990_59
; %bb.56:
	v_mul_u32_u24_e32 v11, 17, v10
	v_lshlrev_b32_e32 v31, 2, v11
	ds_read_b32 v11, v31 offset:64
	s_movk_i32 s0, 0xff
	v_cmp_ne_u32_e64 s[0:1], s0, v10
	v_mov_b32_e32 v15, 0x3000
	s_and_saveexec_b64 s[8:9], s[0:1]
	s_cbranch_execz .LBB1990_58
; %bb.57:
	ds_read_b32 v15, v31 offset:132
.LBB1990_58:
	s_or_b64 exec, exec, s[8:9]
	s_waitcnt lgkmcnt(0)
	v_sub_u32_e32 v15, v15, v11
.LBB1990_59:
	s_or_b64 exec, exec, s[2:3]
	v_add_u32_e32 v18, v21, v18
	s_waitcnt lgkmcnt(11)
	v_add_lshl_u32 v16, v60, v16, 1
	v_add_u32_e32 v13, v28, v13
	v_add_u32_e32 v23, v25, v23
	s_waitcnt lgkmcnt(0)
	s_barrier
	ds_write_b16 v16, v14 offset:1024
	v_add_lshl_u32 v14, v18, v59, 1
	v_add_u32_e32 v30, v33, v30
	ds_write_b16 v14, v17 offset:1024
	v_add_lshl_u32 v14, v23, v58, 1
	v_add_lshl_u32 v13, v13, v56, 1
	v_add_u32_e32 v34, v37, v34
	ds_write_b16 v14, v22 offset:1024
	ds_write_b16 v13, v12 offset:1024
	v_add_lshl_u32 v12, v30, v27, 1
	v_add_u32_e32 v26, v57, v26
	v_add_u32_e32 v31, v53, v51
	v_add_u32_e32 v35, v50, v47
	v_add_u32_e32 v39, v46, v44
	v_add_u32_e32 v9, v43, v9
	v_add_u32_e32 v38, v40, v38
	ds_write_b16 v12, v29 offset:1024
	v_add_lshl_u32 v12, v34, v24, 1
	ds_write_b16 v12, v32 offset:1024
	v_add_lshl_u32 v12, v38, v20, 1
	v_add_lshl_u32 v9, v9, v19, 1
	;; [unrolled: 1-line block ×6, first 2 shown]
	ds_write_b16 v12, v36 offset:1024
	ds_write_b16 v9, v8 offset:1024
	;; [unrolled: 1-line block ×6, first 2 shown]
	s_and_saveexec_b64 s[2:3], vcc
	s_cbranch_execz .LBB1990_69
; %bb.60:
	v_lshl_or_b32 v2, s6, 8, v10
	v_mov_b32_e32 v3, 0
	v_lshlrev_b64 v[4:5], 2, v[2:3]
	v_mov_b32_e32 v8, s25
	v_add_co_u32_e64 v4, s[0:1], s24, v4
	v_addc_co_u32_e64 v5, s[0:1], v8, v5, s[0:1]
	v_or_b32_e32 v2, 2.0, v15
	s_mov_b64 s[8:9], 0
	s_brev_b32 s29, 1
	s_mov_b32 s30, s6
	v_mov_b32_e32 v9, 0
	global_store_dword v[4:5], v2, off
                                        ; implicit-def: $sgpr0_sgpr1
	s_branch .LBB1990_62
.LBB1990_61:                            ;   in Loop: Header=BB1990_62 Depth=1
	s_or_b64 exec, exec, s[10:11]
	v_and_b32_e32 v6, 0x3fffffff, v12
	v_add_u32_e32 v9, v6, v9
	v_cmp_eq_u32_e64 s[0:1], s29, v2
	s_and_b64 s[10:11], exec, s[0:1]
	s_or_b64 s[8:9], s[10:11], s[8:9]
	s_andn2_b64 exec, exec, s[8:9]
	s_cbranch_execz .LBB1990_68
.LBB1990_62:                            ; =>This Loop Header: Depth=1
                                        ;     Child Loop BB1990_65 Depth 2
	s_or_b64 s[0:1], s[0:1], exec
	s_cmp_eq_u32 s30, 0
	s_cbranch_scc1 .LBB1990_67
; %bb.63:                               ;   in Loop: Header=BB1990_62 Depth=1
	s_add_i32 s30, s30, -1
	v_lshl_or_b32 v2, s30, 8, v10
	v_lshlrev_b64 v[6:7], 2, v[2:3]
	v_add_co_u32_e64 v6, s[0:1], s24, v6
	v_addc_co_u32_e64 v7, s[0:1], v8, v7, s[0:1]
	global_load_dword v12, v[6:7], off glc
	s_waitcnt vmcnt(0)
	v_and_b32_e32 v2, -2.0, v12
	v_cmp_eq_u32_e64 s[0:1], 0, v2
	s_and_saveexec_b64 s[10:11], s[0:1]
	s_cbranch_execz .LBB1990_61
; %bb.64:                               ;   in Loop: Header=BB1990_62 Depth=1
	s_mov_b64 s[22:23], 0
.LBB1990_65:                            ;   Parent Loop BB1990_62 Depth=1
                                        ; =>  This Inner Loop Header: Depth=2
	global_load_dword v12, v[6:7], off glc
	s_waitcnt vmcnt(0)
	v_and_b32_e32 v2, -2.0, v12
	v_cmp_ne_u32_e64 s[0:1], 0, v2
	s_or_b64 s[22:23], s[0:1], s[22:23]
	s_andn2_b64 exec, exec, s[22:23]
	s_cbranch_execnz .LBB1990_65
; %bb.66:                               ;   in Loop: Header=BB1990_62 Depth=1
	s_or_b64 exec, exec, s[22:23]
	s_branch .LBB1990_61
.LBB1990_67:                            ;   in Loop: Header=BB1990_62 Depth=1
                                        ; implicit-def: $sgpr30
	s_and_b64 s[10:11], exec, s[0:1]
	s_or_b64 s[8:9], s[10:11], s[8:9]
	s_andn2_b64 exec, exec, s[8:9]
	s_cbranch_execnz .LBB1990_62
.LBB1990_68:
	s_or_b64 exec, exec, s[8:9]
	v_add_u32_e32 v2, v9, v15
	v_or_b32_e32 v2, 0x80000000, v2
	global_store_dword v[4:5], v2, off
	global_load_dword v2, v54, s[12:13]
	v_sub_u32_e32 v3, v9, v11
	s_waitcnt vmcnt(0)
	v_add_u32_e32 v2, v3, v2
	ds_write_b32 v54, v2
.LBB1990_69:
	s_or_b64 exec, exec, s[2:3]
	v_cmp_gt_u32_e64 s[0:1], s7, v10
	v_lshlrev_b32_e32 v2, 1, v10
	s_waitcnt lgkmcnt(0)
	s_barrier
	s_and_saveexec_b64 s[2:3], s[0:1]
	s_cbranch_execz .LBB1990_71
; %bb.70:
	ds_read_u16 v3, v2 offset:1024
	v_mov_b32_e32 v5, 0
	v_mov_b32_e32 v6, s19
	s_waitcnt lgkmcnt(0)
	v_lshrrev_b32_sdwa v4, s20, v3 dst_sel:DWORD dst_unused:UNUSED_PAD src0_sel:DWORD src1_sel:WORD_0
	v_and_b32_e32 v4, s28, v4
	v_lshlrev_b32_e32 v4, 2, v4
	ds_read_b32 v4, v4
	v_xor_b32_e32 v3, 0xffff8000, v3
	s_waitcnt lgkmcnt(0)
	v_add_u32_e32 v4, v4, v10
	v_lshlrev_b64 v[4:5], 1, v[4:5]
	v_add_co_u32_e64 v4, s[0:1], s18, v4
	v_addc_co_u32_e64 v5, s[0:1], v6, v5, s[0:1]
	global_store_short v[4:5], v3, off
.LBB1990_71:
	s_or_b64 exec, exec, s[2:3]
	v_or_b32_e32 v3, 0x400, v10
	v_cmp_gt_u32_e64 s[0:1], s7, v3
	s_and_saveexec_b64 s[2:3], s[0:1]
	s_cbranch_execz .LBB1990_73
; %bb.72:
	ds_read_u16 v4, v2 offset:3072
	v_mov_b32_e32 v7, s19
	s_waitcnt lgkmcnt(0)
	v_lshrrev_b32_sdwa v5, s20, v4 dst_sel:DWORD dst_unused:UNUSED_PAD src0_sel:DWORD src1_sel:WORD_0
	v_and_b32_e32 v5, s28, v5
	v_lshlrev_b32_e32 v5, 2, v5
	ds_read_b32 v6, v5
	v_mov_b32_e32 v5, 0
	v_xor_b32_e32 v8, 0xffff8000, v4
	s_waitcnt lgkmcnt(0)
	v_add_u32_e32 v4, v6, v3
	v_lshlrev_b64 v[4:5], 1, v[4:5]
	v_add_co_u32_e64 v4, s[0:1], s18, v4
	v_addc_co_u32_e64 v5, s[0:1], v7, v5, s[0:1]
	global_store_short v[4:5], v8, off
.LBB1990_73:
	s_or_b64 exec, exec, s[2:3]
	v_or_b32_e32 v3, 0x800, v10
	v_cmp_gt_u32_e64 s[0:1], s7, v3
	s_and_saveexec_b64 s[2:3], s[0:1]
	s_cbranch_execz .LBB1990_75
; %bb.74:
	ds_read_u16 v4, v2 offset:5120
	v_mov_b32_e32 v7, s19
	s_waitcnt lgkmcnt(0)
	v_lshrrev_b32_sdwa v5, s20, v4 dst_sel:DWORD dst_unused:UNUSED_PAD src0_sel:DWORD src1_sel:WORD_0
	v_and_b32_e32 v5, s28, v5
	v_lshlrev_b32_e32 v5, 2, v5
	ds_read_b32 v6, v5
	v_mov_b32_e32 v5, 0
	v_xor_b32_e32 v8, 0xffff8000, v4
	s_waitcnt lgkmcnt(0)
	v_add_u32_e32 v4, v6, v3
	v_lshlrev_b64 v[4:5], 1, v[4:5]
	v_add_co_u32_e64 v4, s[0:1], s18, v4
	v_addc_co_u32_e64 v5, s[0:1], v7, v5, s[0:1]
	global_store_short v[4:5], v8, off
.LBB1990_75:
	;; [unrolled: 22-line block ×10, first 2 shown]
	s_or_b64 exec, exec, s[2:3]
	v_or_b32_e32 v3, 0x2c00, v10
	v_cmp_gt_u32_e64 s[0:1], s7, v3
	s_and_saveexec_b64 s[2:3], s[0:1]
	s_cbranch_execz .LBB1990_93
; %bb.92:
	ds_read_u16 v2, v2 offset:23552
	v_mov_b32_e32 v5, 0
	v_mov_b32_e32 v6, s19
	s_waitcnt lgkmcnt(0)
	v_lshrrev_b32_sdwa v4, s20, v2 dst_sel:DWORD dst_unused:UNUSED_PAD src0_sel:DWORD src1_sel:WORD_0
	v_and_b32_e32 v4, s28, v4
	v_lshlrev_b32_e32 v4, 2, v4
	ds_read_b32 v4, v4
	v_xor_b32_e32 v7, 0xffff8000, v2
	s_waitcnt lgkmcnt(0)
	v_add_u32_e32 v4, v4, v3
	v_lshlrev_b64 v[2:3], 1, v[4:5]
	v_add_co_u32_e64 v2, s[0:1], s18, v2
	v_addc_co_u32_e64 v3, s[0:1], v6, v3, s[0:1]
	global_store_short v[2:3], v7, off
.LBB1990_93:
	s_or_b64 exec, exec, s[2:3]
	s_add_i32 s27, s27, -1
	s_cmp_eq_u32 s27, s6
	s_cselect_b64 s[0:1], -1, 0
	s_and_b64 s[2:3], vcc, s[0:1]
	s_mov_b64 s[0:1], 0
	s_mov_b64 s[10:11], 0
                                        ; implicit-def: $vgpr2
	s_and_saveexec_b64 s[8:9], s[2:3]
	s_xor_b64 s[2:3], exec, s[8:9]
; %bb.94:
	s_mov_b64 s[10:11], exec
	v_add_u32_e32 v2, v11, v15
	v_mov_b32_e32 v11, 0
; %bb.95:
	s_or_b64 exec, exec, s[2:3]
	s_and_b64 vcc, exec, s[0:1]
	s_cbranch_vccnz .LBB1990_97
	s_branch .LBB1990_146
.LBB1990_96:
	s_mov_b64 s[10:11], 0
                                        ; implicit-def: $vgpr2
                                        ; implicit-def: $vgpr10_vgpr11
	s_cbranch_execz .LBB1990_146
.LBB1990_97:
	s_mov_b32 s27, 0
	v_mbcnt_hi_u32_b32 v5, -1, v1
	s_lshl_b64 s[0:1], s[26:27], 1
	v_and_b32_e32 v1, 63, v5
	s_add_u32 s0, s16, s0
	v_lshlrev_b32_e32 v1, 1, v1
	v_add_co_u32_e32 v1, vcc, s0, v1
	s_load_dword s7, s[4:5], 0x58
	s_load_dword s0, s[4:5], 0x64
	v_and_b32_e32 v10, 0x3ff, v0
	s_addc_u32 s1, s17, s1
	v_and_b32_e32 v3, 0x3c0, v10
	v_mul_u32_u24_e32 v3, 12, v3
	v_mov_b32_e32 v4, s1
	v_addc_co_u32_e32 v4, vcc, 0, v4, vcc
	v_lshlrev_b32_e32 v3, 1, v3
	s_add_u32 s1, s4, 0x58
	v_add_co_u32_e32 v12, vcc, v1, v3
	s_addc_u32 s2, s5, 0
	s_waitcnt lgkmcnt(0)
	s_lshr_b32 s3, s0, 16
	v_addc_co_u32_e32 v13, vcc, 0, v4, vcc
	s_cmp_lt_u32 s6, s7
	global_load_ushort v1, v[12:13], off
	s_cselect_b32 s0, 12, 18
	s_add_u32 s0, s1, s0
	v_mov_b32_e32 v2, 0
	s_addc_u32 s1, s2, 0
	global_load_ushort v3, v2, s[0:1]
	v_mul_u32_u24_e32 v6, 5, v10
	v_lshlrev_b32_e32 v6, 2, v6
	ds_write2_b32 v6, v2, v2 offset0:16 offset1:17
	ds_write2_b32 v6, v2, v2 offset0:18 offset1:19
	ds_write_b32 v6, v2 offset:80
	global_load_ushort v9, v[12:13], off offset:128
	global_load_ushort v14, v[12:13], off offset:256
	;; [unrolled: 1-line block ×11, first 2 shown]
	v_bfe_u32 v4, v0, 10, 10
	v_bfe_u32 v0, v0, 20, 10
	v_mad_u32_u24 v0, v0, s3, v4
	s_lshl_b32 s0, -1, s21
	s_not_b32 s21, s0
	s_waitcnt lgkmcnt(0)
	s_barrier
	s_waitcnt lgkmcnt(0)
	; wave barrier
	s_waitcnt vmcnt(12)
	v_xor_b32_e32 v4, 0xffff8000, v1
	v_lshrrev_b32_sdwa v1, s20, v4 dst_sel:DWORD dst_unused:UNUSED_PAD src0_sel:DWORD src1_sel:WORD_0
	v_and_b32_e32 v8, s21, v1
	v_and_b32_e32 v7, 1, v8
	s_waitcnt vmcnt(11)
	v_mad_u64_u32 v[0:1], s[0:1], v0, v3, v[10:11]
	v_lshrrev_b32_e32 v17, 6, v0
	v_add_co_u32_e32 v0, vcc, -1, v7
	v_lshlrev_b32_e32 v3, 30, v8
	v_addc_co_u32_e64 v11, s[0:1], 0, -1, vcc
	v_mul_u32_u24_e32 v1, 17, v8
	v_cmp_ne_u32_e32 vcc, 0, v7
	v_cmp_gt_i64_e64 s[0:1], 0, v[2:3]
	v_not_b32_e32 v12, v3
	v_lshlrev_b32_e32 v3, 29, v8
	v_add_lshl_u32 v7, v17, v1, 2
	v_xor_b32_e32 v1, vcc_hi, v11
	v_xor_b32_e32 v0, vcc_lo, v0
	v_ashrrev_i32_e32 v11, 31, v12
	v_cmp_gt_i64_e32 vcc, 0, v[2:3]
	v_not_b32_e32 v12, v3
	v_lshlrev_b32_e32 v3, 28, v8
	v_and_b32_e32 v1, exec_hi, v1
	v_and_b32_e32 v0, exec_lo, v0
	v_xor_b32_e32 v13, s1, v11
	v_xor_b32_e32 v11, s0, v11
	v_ashrrev_i32_e32 v12, 31, v12
	v_cmp_gt_i64_e64 s[0:1], 0, v[2:3]
	v_not_b32_e32 v3, v3
	v_and_b32_e32 v1, v1, v13
	v_and_b32_e32 v0, v0, v11
	v_xor_b32_e32 v11, vcc_hi, v12
	v_xor_b32_e32 v12, vcc_lo, v12
	v_ashrrev_i32_e32 v3, 31, v3
	v_and_b32_e32 v1, v1, v11
	v_and_b32_e32 v0, v0, v12
	v_xor_b32_e32 v11, s1, v3
	v_xor_b32_e32 v3, s0, v3
	v_and_b32_e32 v0, v0, v3
	v_lshlrev_b32_e32 v3, 27, v8
	v_cmp_gt_i64_e32 vcc, 0, v[2:3]
	v_not_b32_e32 v3, v3
	v_ashrrev_i32_e32 v3, 31, v3
	v_and_b32_e32 v1, v1, v11
	v_xor_b32_e32 v11, vcc_hi, v3
	v_xor_b32_e32 v3, vcc_lo, v3
	v_and_b32_e32 v0, v0, v3
	v_lshlrev_b32_e32 v3, 26, v8
	v_cmp_gt_i64_e32 vcc, 0, v[2:3]
	v_not_b32_e32 v3, v3
	v_ashrrev_i32_e32 v3, 31, v3
	v_and_b32_e32 v1, v1, v11
	v_xor_b32_e32 v11, vcc_hi, v3
	v_xor_b32_e32 v3, vcc_lo, v3
	;; [unrolled: 8-line block ×3, first 2 shown]
	v_and_b32_e32 v0, v0, v3
	v_lshlrev_b32_e32 v3, 24, v8
	v_cmp_gt_i64_e32 vcc, 0, v[2:3]
	v_not_b32_e32 v3, v3
	v_ashrrev_i32_e32 v3, 31, v3
	v_xor_b32_e32 v8, vcc_hi, v3
	v_xor_b32_e32 v3, vcc_lo, v3
	v_and_b32_e32 v1, v1, v11
	v_and_b32_e32 v0, v0, v3
	;; [unrolled: 1-line block ×3, first 2 shown]
	v_mbcnt_lo_u32_b32 v3, v0, 0
	v_mbcnt_hi_u32_b32 v8, v1, v3
	v_cmp_eq_u32_e32 vcc, 0, v8
	v_cmp_ne_u64_e64 s[0:1], 0, v[0:1]
	s_and_b64 s[2:3], s[0:1], vcc
	s_and_saveexec_b64 s[0:1], s[2:3]
	s_cbranch_execz .LBB1990_99
; %bb.98:
	v_bcnt_u32_b32 v0, v0, 0
	v_bcnt_u32_b32 v0, v1, v0
	ds_write_b32 v7, v0 offset:64
.LBB1990_99:
	s_or_b64 exec, exec, s[0:1]
	s_waitcnt vmcnt(10)
	v_xor_b32_e32 v9, 0xffff8000, v9
	v_lshrrev_b32_sdwa v0, s20, v9 dst_sel:DWORD dst_unused:UNUSED_PAD src0_sel:DWORD src1_sel:WORD_0
	v_and_b32_e32 v0, s21, v0
	v_mul_u32_u24_e32 v1, 17, v0
	v_add_lshl_u32 v12, v17, v1, 2
	v_and_b32_e32 v1, 1, v0
	v_add_co_u32_e32 v3, vcc, -1, v1
	v_addc_co_u32_e64 v13, s[0:1], 0, -1, vcc
	v_cmp_ne_u32_e32 vcc, 0, v1
	v_xor_b32_e32 v3, vcc_lo, v3
	v_xor_b32_e32 v1, vcc_hi, v13
	v_and_b32_e32 v13, exec_lo, v3
	v_lshlrev_b32_e32 v3, 30, v0
	v_cmp_gt_i64_e32 vcc, 0, v[2:3]
	v_not_b32_e32 v3, v3
	v_ashrrev_i32_e32 v3, 31, v3
	v_xor_b32_e32 v15, vcc_hi, v3
	v_xor_b32_e32 v3, vcc_lo, v3
	v_and_b32_e32 v13, v13, v3
	v_lshlrev_b32_e32 v3, 29, v0
	v_cmp_gt_i64_e32 vcc, 0, v[2:3]
	v_not_b32_e32 v3, v3
	v_and_b32_e32 v1, exec_hi, v1
	v_ashrrev_i32_e32 v3, 31, v3
	v_and_b32_e32 v1, v1, v15
	v_xor_b32_e32 v15, vcc_hi, v3
	v_xor_b32_e32 v3, vcc_lo, v3
	v_and_b32_e32 v13, v13, v3
	v_lshlrev_b32_e32 v3, 28, v0
	v_cmp_gt_i64_e32 vcc, 0, v[2:3]
	v_not_b32_e32 v3, v3
	v_ashrrev_i32_e32 v3, 31, v3
	v_and_b32_e32 v1, v1, v15
	v_xor_b32_e32 v15, vcc_hi, v3
	v_xor_b32_e32 v3, vcc_lo, v3
	v_and_b32_e32 v13, v13, v3
	v_lshlrev_b32_e32 v3, 27, v0
	v_cmp_gt_i64_e32 vcc, 0, v[2:3]
	v_not_b32_e32 v3, v3
	;; [unrolled: 8-line block ×4, first 2 shown]
	v_ashrrev_i32_e32 v3, 31, v3
	v_and_b32_e32 v1, v1, v15
	v_xor_b32_e32 v15, vcc_hi, v3
	v_xor_b32_e32 v3, vcc_lo, v3
	v_and_b32_e32 v13, v13, v3
	v_lshlrev_b32_e32 v3, 24, v0
	v_not_b32_e32 v0, v3
	v_cmp_gt_i64_e32 vcc, 0, v[2:3]
	v_ashrrev_i32_e32 v0, 31, v0
	v_xor_b32_e32 v2, vcc_hi, v0
	v_xor_b32_e32 v0, vcc_lo, v0
	; wave barrier
	ds_read_b32 v11, v12 offset:64
	v_and_b32_e32 v1, v1, v15
	v_and_b32_e32 v0, v13, v0
	;; [unrolled: 1-line block ×3, first 2 shown]
	v_mbcnt_lo_u32_b32 v2, v0, 0
	v_mbcnt_hi_u32_b32 v13, v1, v2
	v_cmp_eq_u32_e32 vcc, 0, v13
	v_cmp_ne_u64_e64 s[0:1], 0, v[0:1]
	s_and_b64 s[2:3], s[0:1], vcc
	; wave barrier
	s_and_saveexec_b64 s[0:1], s[2:3]
	s_cbranch_execz .LBB1990_101
; %bb.100:
	v_bcnt_u32_b32 v0, v0, 0
	v_bcnt_u32_b32 v0, v1, v0
	s_waitcnt lgkmcnt(0)
	v_add_u32_e32 v0, v11, v0
	ds_write_b32 v12, v0 offset:64
.LBB1990_101:
	s_or_b64 exec, exec, s[0:1]
	s_waitcnt vmcnt(9)
	v_xor_b32_e32 v14, 0xffff8000, v14
	v_lshrrev_b32_sdwa v0, s20, v14 dst_sel:DWORD dst_unused:UNUSED_PAD src0_sel:DWORD src1_sel:WORD_0
	v_and_b32_e32 v2, s21, v0
	v_and_b32_e32 v1, 1, v2
	v_add_co_u32_e32 v3, vcc, -1, v1
	v_addc_co_u32_e64 v19, s[0:1], 0, -1, vcc
	v_cmp_ne_u32_e32 vcc, 0, v1
	v_mul_u32_u24_e32 v0, 17, v2
	v_xor_b32_e32 v1, vcc_hi, v19
	v_add_lshl_u32 v18, v17, v0, 2
	v_mov_b32_e32 v0, 0
	v_and_b32_e32 v19, exec_hi, v1
	v_lshlrev_b32_e32 v1, 30, v2
	v_xor_b32_e32 v3, vcc_lo, v3
	v_cmp_gt_i64_e32 vcc, 0, v[0:1]
	v_not_b32_e32 v1, v1
	v_ashrrev_i32_e32 v1, 31, v1
	v_and_b32_e32 v3, exec_lo, v3
	v_xor_b32_e32 v21, vcc_hi, v1
	v_xor_b32_e32 v1, vcc_lo, v1
	v_and_b32_e32 v3, v3, v1
	v_lshlrev_b32_e32 v1, 29, v2
	v_cmp_gt_i64_e32 vcc, 0, v[0:1]
	v_not_b32_e32 v1, v1
	v_ashrrev_i32_e32 v1, 31, v1
	v_and_b32_e32 v19, v19, v21
	v_xor_b32_e32 v21, vcc_hi, v1
	v_xor_b32_e32 v1, vcc_lo, v1
	v_and_b32_e32 v3, v3, v1
	v_lshlrev_b32_e32 v1, 28, v2
	v_cmp_gt_i64_e32 vcc, 0, v[0:1]
	v_not_b32_e32 v1, v1
	v_ashrrev_i32_e32 v1, 31, v1
	v_and_b32_e32 v19, v19, v21
	;; [unrolled: 8-line block ×5, first 2 shown]
	v_xor_b32_e32 v21, vcc_hi, v1
	v_xor_b32_e32 v1, vcc_lo, v1
	v_and_b32_e32 v19, v19, v21
	v_and_b32_e32 v21, v3, v1
	v_lshlrev_b32_e32 v1, 24, v2
	v_cmp_gt_i64_e32 vcc, 0, v[0:1]
	v_not_b32_e32 v1, v1
	v_ashrrev_i32_e32 v1, 31, v1
	v_xor_b32_e32 v2, vcc_hi, v1
	v_xor_b32_e32 v1, vcc_lo, v1
	; wave barrier
	ds_read_b32 v15, v18 offset:64
	v_and_b32_e32 v3, v19, v2
	v_and_b32_e32 v2, v21, v1
	v_mbcnt_lo_u32_b32 v1, v2, 0
	v_mbcnt_hi_u32_b32 v19, v3, v1
	v_cmp_eq_u32_e32 vcc, 0, v19
	v_cmp_ne_u64_e64 s[0:1], 0, v[2:3]
	s_and_b64 s[2:3], s[0:1], vcc
	; wave barrier
	s_and_saveexec_b64 s[0:1], s[2:3]
	s_cbranch_execz .LBB1990_103
; %bb.102:
	v_bcnt_u32_b32 v1, v2, 0
	v_bcnt_u32_b32 v1, v3, v1
	s_waitcnt lgkmcnt(0)
	v_add_u32_e32 v1, v15, v1
	ds_write_b32 v18, v1 offset:64
.LBB1990_103:
	s_or_b64 exec, exec, s[0:1]
	s_waitcnt vmcnt(8)
	v_xor_b32_e32 v20, 0xffff8000, v20
	v_lshrrev_b32_sdwa v1, s20, v20 dst_sel:DWORD dst_unused:UNUSED_PAD src0_sel:DWORD src1_sel:WORD_0
	v_and_b32_e32 v2, s21, v1
	v_mul_u32_u24_e32 v1, 17, v2
	v_add_lshl_u32 v23, v17, v1, 2
	v_and_b32_e32 v1, 1, v2
	v_add_co_u32_e32 v3, vcc, -1, v1
	v_addc_co_u32_e64 v24, s[0:1], 0, -1, vcc
	v_cmp_ne_u32_e32 vcc, 0, v1
	v_xor_b32_e32 v1, vcc_hi, v24
	v_and_b32_e32 v24, exec_hi, v1
	v_lshlrev_b32_e32 v1, 30, v2
	v_xor_b32_e32 v3, vcc_lo, v3
	v_cmp_gt_i64_e32 vcc, 0, v[0:1]
	v_not_b32_e32 v1, v1
	v_ashrrev_i32_e32 v1, 31, v1
	v_and_b32_e32 v3, exec_lo, v3
	v_xor_b32_e32 v26, vcc_hi, v1
	v_xor_b32_e32 v1, vcc_lo, v1
	v_and_b32_e32 v3, v3, v1
	v_lshlrev_b32_e32 v1, 29, v2
	v_cmp_gt_i64_e32 vcc, 0, v[0:1]
	v_not_b32_e32 v1, v1
	v_ashrrev_i32_e32 v1, 31, v1
	v_and_b32_e32 v24, v24, v26
	v_xor_b32_e32 v26, vcc_hi, v1
	v_xor_b32_e32 v1, vcc_lo, v1
	v_and_b32_e32 v3, v3, v1
	v_lshlrev_b32_e32 v1, 28, v2
	v_cmp_gt_i64_e32 vcc, 0, v[0:1]
	v_not_b32_e32 v1, v1
	v_ashrrev_i32_e32 v1, 31, v1
	v_and_b32_e32 v24, v24, v26
	;; [unrolled: 8-line block ×5, first 2 shown]
	v_xor_b32_e32 v26, vcc_hi, v1
	v_xor_b32_e32 v1, vcc_lo, v1
	v_and_b32_e32 v3, v3, v1
	v_lshlrev_b32_e32 v1, 24, v2
	v_cmp_gt_i64_e32 vcc, 0, v[0:1]
	v_not_b32_e32 v0, v1
	v_ashrrev_i32_e32 v0, 31, v0
	v_xor_b32_e32 v1, vcc_hi, v0
	v_xor_b32_e32 v0, vcc_lo, v0
	; wave barrier
	ds_read_b32 v21, v23 offset:64
	v_and_b32_e32 v24, v24, v26
	v_and_b32_e32 v0, v3, v0
	;; [unrolled: 1-line block ×3, first 2 shown]
	v_mbcnt_lo_u32_b32 v2, v0, 0
	v_mbcnt_hi_u32_b32 v24, v1, v2
	v_cmp_eq_u32_e32 vcc, 0, v24
	v_cmp_ne_u64_e64 s[0:1], 0, v[0:1]
	s_and_b64 s[2:3], s[0:1], vcc
	; wave barrier
	s_and_saveexec_b64 s[0:1], s[2:3]
	s_cbranch_execz .LBB1990_105
; %bb.104:
	v_bcnt_u32_b32 v0, v0, 0
	v_bcnt_u32_b32 v0, v1, v0
	s_waitcnt lgkmcnt(0)
	v_add_u32_e32 v0, v21, v0
	ds_write_b32 v23, v0 offset:64
.LBB1990_105:
	s_or_b64 exec, exec, s[0:1]
	s_waitcnt vmcnt(7)
	v_xor_b32_e32 v25, 0xffff8000, v25
	v_lshrrev_b32_sdwa v0, s20, v25 dst_sel:DWORD dst_unused:UNUSED_PAD src0_sel:DWORD src1_sel:WORD_0
	v_and_b32_e32 v2, s21, v0
	v_and_b32_e32 v1, 1, v2
	v_add_co_u32_e32 v3, vcc, -1, v1
	v_addc_co_u32_e64 v30, s[0:1], 0, -1, vcc
	v_cmp_ne_u32_e32 vcc, 0, v1
	v_mul_u32_u24_e32 v0, 17, v2
	v_xor_b32_e32 v1, vcc_hi, v30
	v_add_lshl_u32 v28, v17, v0, 2
	v_mov_b32_e32 v0, 0
	v_and_b32_e32 v30, exec_hi, v1
	v_lshlrev_b32_e32 v1, 30, v2
	v_xor_b32_e32 v3, vcc_lo, v3
	v_cmp_gt_i64_e32 vcc, 0, v[0:1]
	v_not_b32_e32 v1, v1
	v_ashrrev_i32_e32 v1, 31, v1
	v_and_b32_e32 v3, exec_lo, v3
	v_xor_b32_e32 v31, vcc_hi, v1
	v_xor_b32_e32 v1, vcc_lo, v1
	v_and_b32_e32 v3, v3, v1
	v_lshlrev_b32_e32 v1, 29, v2
	v_cmp_gt_i64_e32 vcc, 0, v[0:1]
	v_not_b32_e32 v1, v1
	v_ashrrev_i32_e32 v1, 31, v1
	v_and_b32_e32 v30, v30, v31
	v_xor_b32_e32 v31, vcc_hi, v1
	v_xor_b32_e32 v1, vcc_lo, v1
	v_and_b32_e32 v3, v3, v1
	v_lshlrev_b32_e32 v1, 28, v2
	v_cmp_gt_i64_e32 vcc, 0, v[0:1]
	v_not_b32_e32 v1, v1
	v_ashrrev_i32_e32 v1, 31, v1
	v_and_b32_e32 v30, v30, v31
	;; [unrolled: 8-line block ×5, first 2 shown]
	v_xor_b32_e32 v31, vcc_hi, v1
	v_xor_b32_e32 v1, vcc_lo, v1
	v_and_b32_e32 v30, v30, v31
	v_and_b32_e32 v31, v3, v1
	v_lshlrev_b32_e32 v1, 24, v2
	v_cmp_gt_i64_e32 vcc, 0, v[0:1]
	v_not_b32_e32 v1, v1
	v_ashrrev_i32_e32 v1, 31, v1
	v_xor_b32_e32 v2, vcc_hi, v1
	v_xor_b32_e32 v1, vcc_lo, v1
	; wave barrier
	ds_read_b32 v26, v28 offset:64
	v_and_b32_e32 v3, v30, v2
	v_and_b32_e32 v2, v31, v1
	v_mbcnt_lo_u32_b32 v1, v2, 0
	v_mbcnt_hi_u32_b32 v30, v3, v1
	v_cmp_eq_u32_e32 vcc, 0, v30
	v_cmp_ne_u64_e64 s[0:1], 0, v[2:3]
	s_and_b64 s[2:3], s[0:1], vcc
	; wave barrier
	s_and_saveexec_b64 s[0:1], s[2:3]
	s_cbranch_execz .LBB1990_107
; %bb.106:
	v_bcnt_u32_b32 v1, v2, 0
	v_bcnt_u32_b32 v1, v3, v1
	s_waitcnt lgkmcnt(0)
	v_add_u32_e32 v1, v26, v1
	ds_write_b32 v28, v1 offset:64
.LBB1990_107:
	s_or_b64 exec, exec, s[0:1]
	s_waitcnt vmcnt(6)
	v_xor_b32_e32 v29, 0xffff8000, v29
	v_lshrrev_b32_sdwa v1, s20, v29 dst_sel:DWORD dst_unused:UNUSED_PAD src0_sel:DWORD src1_sel:WORD_0
	v_and_b32_e32 v2, s21, v1
	v_mul_u32_u24_e32 v1, 17, v2
	v_add_lshl_u32 v33, v17, v1, 2
	v_and_b32_e32 v1, 1, v2
	v_add_co_u32_e32 v3, vcc, -1, v1
	v_addc_co_u32_e64 v35, s[0:1], 0, -1, vcc
	v_cmp_ne_u32_e32 vcc, 0, v1
	v_xor_b32_e32 v1, vcc_hi, v35
	v_and_b32_e32 v35, exec_hi, v1
	v_lshlrev_b32_e32 v1, 30, v2
	v_xor_b32_e32 v3, vcc_lo, v3
	v_cmp_gt_i64_e32 vcc, 0, v[0:1]
	v_not_b32_e32 v1, v1
	v_ashrrev_i32_e32 v1, 31, v1
	v_and_b32_e32 v3, exec_lo, v3
	v_xor_b32_e32 v36, vcc_hi, v1
	v_xor_b32_e32 v1, vcc_lo, v1
	v_and_b32_e32 v3, v3, v1
	v_lshlrev_b32_e32 v1, 29, v2
	v_cmp_gt_i64_e32 vcc, 0, v[0:1]
	v_not_b32_e32 v1, v1
	v_ashrrev_i32_e32 v1, 31, v1
	v_and_b32_e32 v35, v35, v36
	v_xor_b32_e32 v36, vcc_hi, v1
	v_xor_b32_e32 v1, vcc_lo, v1
	v_and_b32_e32 v3, v3, v1
	v_lshlrev_b32_e32 v1, 28, v2
	v_cmp_gt_i64_e32 vcc, 0, v[0:1]
	v_not_b32_e32 v1, v1
	v_ashrrev_i32_e32 v1, 31, v1
	v_and_b32_e32 v35, v35, v36
	;; [unrolled: 8-line block ×5, first 2 shown]
	v_xor_b32_e32 v36, vcc_hi, v1
	v_xor_b32_e32 v1, vcc_lo, v1
	v_and_b32_e32 v3, v3, v1
	v_lshlrev_b32_e32 v1, 24, v2
	v_cmp_gt_i64_e32 vcc, 0, v[0:1]
	v_not_b32_e32 v0, v1
	v_ashrrev_i32_e32 v0, 31, v0
	v_xor_b32_e32 v1, vcc_hi, v0
	v_xor_b32_e32 v0, vcc_lo, v0
	; wave barrier
	ds_read_b32 v31, v33 offset:64
	v_and_b32_e32 v35, v35, v36
	v_and_b32_e32 v0, v3, v0
	;; [unrolled: 1-line block ×3, first 2 shown]
	v_mbcnt_lo_u32_b32 v2, v0, 0
	v_mbcnt_hi_u32_b32 v35, v1, v2
	v_cmp_eq_u32_e32 vcc, 0, v35
	v_cmp_ne_u64_e64 s[0:1], 0, v[0:1]
	s_and_b64 s[2:3], s[0:1], vcc
	; wave barrier
	s_and_saveexec_b64 s[0:1], s[2:3]
	s_cbranch_execz .LBB1990_109
; %bb.108:
	v_bcnt_u32_b32 v0, v0, 0
	v_bcnt_u32_b32 v0, v1, v0
	s_waitcnt lgkmcnt(0)
	v_add_u32_e32 v0, v31, v0
	ds_write_b32 v33, v0 offset:64
.LBB1990_109:
	s_or_b64 exec, exec, s[0:1]
	s_waitcnt vmcnt(5)
	v_xor_b32_e32 v34, 0xffff8000, v34
	v_lshrrev_b32_sdwa v0, s20, v34 dst_sel:DWORD dst_unused:UNUSED_PAD src0_sel:DWORD src1_sel:WORD_0
	v_and_b32_e32 v2, s21, v0
	v_and_b32_e32 v1, 1, v2
	v_add_co_u32_e32 v3, vcc, -1, v1
	v_addc_co_u32_e64 v39, s[0:1], 0, -1, vcc
	v_cmp_ne_u32_e32 vcc, 0, v1
	v_mul_u32_u24_e32 v0, 17, v2
	v_xor_b32_e32 v1, vcc_hi, v39
	v_add_lshl_u32 v38, v17, v0, 2
	v_mov_b32_e32 v0, 0
	v_and_b32_e32 v39, exec_hi, v1
	v_lshlrev_b32_e32 v1, 30, v2
	v_xor_b32_e32 v3, vcc_lo, v3
	v_cmp_gt_i64_e32 vcc, 0, v[0:1]
	v_not_b32_e32 v1, v1
	v_ashrrev_i32_e32 v1, 31, v1
	v_and_b32_e32 v3, exec_lo, v3
	v_xor_b32_e32 v40, vcc_hi, v1
	v_xor_b32_e32 v1, vcc_lo, v1
	v_and_b32_e32 v3, v3, v1
	v_lshlrev_b32_e32 v1, 29, v2
	v_cmp_gt_i64_e32 vcc, 0, v[0:1]
	v_not_b32_e32 v1, v1
	v_ashrrev_i32_e32 v1, 31, v1
	v_and_b32_e32 v39, v39, v40
	v_xor_b32_e32 v40, vcc_hi, v1
	v_xor_b32_e32 v1, vcc_lo, v1
	v_and_b32_e32 v3, v3, v1
	v_lshlrev_b32_e32 v1, 28, v2
	v_cmp_gt_i64_e32 vcc, 0, v[0:1]
	v_not_b32_e32 v1, v1
	v_ashrrev_i32_e32 v1, 31, v1
	v_and_b32_e32 v39, v39, v40
	;; [unrolled: 8-line block ×5, first 2 shown]
	v_xor_b32_e32 v40, vcc_hi, v1
	v_xor_b32_e32 v1, vcc_lo, v1
	v_and_b32_e32 v39, v39, v40
	v_and_b32_e32 v40, v3, v1
	v_lshlrev_b32_e32 v1, 24, v2
	v_cmp_gt_i64_e32 vcc, 0, v[0:1]
	v_not_b32_e32 v1, v1
	v_ashrrev_i32_e32 v1, 31, v1
	v_xor_b32_e32 v2, vcc_hi, v1
	v_xor_b32_e32 v1, vcc_lo, v1
	; wave barrier
	ds_read_b32 v36, v38 offset:64
	v_and_b32_e32 v3, v39, v2
	v_and_b32_e32 v2, v40, v1
	v_mbcnt_lo_u32_b32 v1, v2, 0
	v_mbcnt_hi_u32_b32 v39, v3, v1
	v_cmp_eq_u32_e32 vcc, 0, v39
	v_cmp_ne_u64_e64 s[0:1], 0, v[2:3]
	s_and_b64 s[2:3], s[0:1], vcc
	; wave barrier
	s_and_saveexec_b64 s[0:1], s[2:3]
	s_cbranch_execz .LBB1990_111
; %bb.110:
	v_bcnt_u32_b32 v1, v2, 0
	v_bcnt_u32_b32 v1, v3, v1
	s_waitcnt lgkmcnt(0)
	v_add_u32_e32 v1, v36, v1
	ds_write_b32 v38, v1 offset:64
.LBB1990_111:
	s_or_b64 exec, exec, s[0:1]
	s_waitcnt vmcnt(4)
	v_xor_b32_e32 v37, 0xffff8000, v37
	v_lshrrev_b32_sdwa v1, s20, v37 dst_sel:DWORD dst_unused:UNUSED_PAD src0_sel:DWORD src1_sel:WORD_0
	v_and_b32_e32 v2, s21, v1
	v_mul_u32_u24_e32 v1, 17, v2
	v_add_lshl_u32 v41, v17, v1, 2
	v_and_b32_e32 v1, 1, v2
	v_add_co_u32_e32 v3, vcc, -1, v1
	v_addc_co_u32_e64 v42, s[0:1], 0, -1, vcc
	v_cmp_ne_u32_e32 vcc, 0, v1
	v_xor_b32_e32 v1, vcc_hi, v42
	v_and_b32_e32 v42, exec_hi, v1
	v_lshlrev_b32_e32 v1, 30, v2
	v_xor_b32_e32 v3, vcc_lo, v3
	v_cmp_gt_i64_e32 vcc, 0, v[0:1]
	v_not_b32_e32 v1, v1
	v_ashrrev_i32_e32 v1, 31, v1
	v_and_b32_e32 v3, exec_lo, v3
	v_xor_b32_e32 v43, vcc_hi, v1
	v_xor_b32_e32 v1, vcc_lo, v1
	v_and_b32_e32 v3, v3, v1
	v_lshlrev_b32_e32 v1, 29, v2
	v_cmp_gt_i64_e32 vcc, 0, v[0:1]
	v_not_b32_e32 v1, v1
	v_ashrrev_i32_e32 v1, 31, v1
	v_and_b32_e32 v42, v42, v43
	v_xor_b32_e32 v43, vcc_hi, v1
	v_xor_b32_e32 v1, vcc_lo, v1
	v_and_b32_e32 v3, v3, v1
	v_lshlrev_b32_e32 v1, 28, v2
	v_cmp_gt_i64_e32 vcc, 0, v[0:1]
	v_not_b32_e32 v1, v1
	v_ashrrev_i32_e32 v1, 31, v1
	v_and_b32_e32 v42, v42, v43
	;; [unrolled: 8-line block ×5, first 2 shown]
	v_xor_b32_e32 v43, vcc_hi, v1
	v_xor_b32_e32 v1, vcc_lo, v1
	v_and_b32_e32 v3, v3, v1
	v_lshlrev_b32_e32 v1, 24, v2
	v_cmp_gt_i64_e32 vcc, 0, v[0:1]
	v_not_b32_e32 v0, v1
	v_ashrrev_i32_e32 v0, 31, v0
	v_xor_b32_e32 v1, vcc_hi, v0
	v_xor_b32_e32 v0, vcc_lo, v0
	; wave barrier
	ds_read_b32 v40, v41 offset:64
	v_and_b32_e32 v42, v42, v43
	v_and_b32_e32 v0, v3, v0
	;; [unrolled: 1-line block ×3, first 2 shown]
	v_mbcnt_lo_u32_b32 v2, v0, 0
	v_mbcnt_hi_u32_b32 v42, v1, v2
	v_cmp_eq_u32_e32 vcc, 0, v42
	v_cmp_ne_u64_e64 s[0:1], 0, v[0:1]
	s_and_b64 s[2:3], s[0:1], vcc
	; wave barrier
	s_and_saveexec_b64 s[0:1], s[2:3]
	s_cbranch_execz .LBB1990_113
; %bb.112:
	v_bcnt_u32_b32 v0, v0, 0
	v_bcnt_u32_b32 v0, v1, v0
	s_waitcnt lgkmcnt(0)
	v_add_u32_e32 v0, v40, v0
	ds_write_b32 v41, v0 offset:64
.LBB1990_113:
	s_or_b64 exec, exec, s[0:1]
	s_waitcnt vmcnt(3)
	v_xor_b32_e32 v32, 0xffff8000, v32
	v_lshrrev_b32_sdwa v0, s20, v32 dst_sel:DWORD dst_unused:UNUSED_PAD src0_sel:DWORD src1_sel:WORD_0
	v_and_b32_e32 v2, s21, v0
	v_and_b32_e32 v1, 1, v2
	v_add_co_u32_e32 v3, vcc, -1, v1
	v_addc_co_u32_e64 v45, s[0:1], 0, -1, vcc
	v_cmp_ne_u32_e32 vcc, 0, v1
	v_mul_u32_u24_e32 v0, 17, v2
	v_xor_b32_e32 v1, vcc_hi, v45
	v_add_lshl_u32 v44, v17, v0, 2
	v_mov_b32_e32 v0, 0
	v_and_b32_e32 v45, exec_hi, v1
	v_lshlrev_b32_e32 v1, 30, v2
	v_xor_b32_e32 v3, vcc_lo, v3
	v_cmp_gt_i64_e32 vcc, 0, v[0:1]
	v_not_b32_e32 v1, v1
	v_ashrrev_i32_e32 v1, 31, v1
	v_and_b32_e32 v3, exec_lo, v3
	v_xor_b32_e32 v46, vcc_hi, v1
	v_xor_b32_e32 v1, vcc_lo, v1
	v_and_b32_e32 v3, v3, v1
	v_lshlrev_b32_e32 v1, 29, v2
	v_cmp_gt_i64_e32 vcc, 0, v[0:1]
	v_not_b32_e32 v1, v1
	v_ashrrev_i32_e32 v1, 31, v1
	v_and_b32_e32 v45, v45, v46
	v_xor_b32_e32 v46, vcc_hi, v1
	v_xor_b32_e32 v1, vcc_lo, v1
	v_and_b32_e32 v3, v3, v1
	v_lshlrev_b32_e32 v1, 28, v2
	v_cmp_gt_i64_e32 vcc, 0, v[0:1]
	v_not_b32_e32 v1, v1
	v_ashrrev_i32_e32 v1, 31, v1
	v_and_b32_e32 v45, v45, v46
	;; [unrolled: 8-line block ×5, first 2 shown]
	v_xor_b32_e32 v46, vcc_hi, v1
	v_xor_b32_e32 v1, vcc_lo, v1
	v_and_b32_e32 v45, v45, v46
	v_and_b32_e32 v46, v3, v1
	v_lshlrev_b32_e32 v1, 24, v2
	v_cmp_gt_i64_e32 vcc, 0, v[0:1]
	v_not_b32_e32 v1, v1
	v_ashrrev_i32_e32 v1, 31, v1
	v_xor_b32_e32 v2, vcc_hi, v1
	v_xor_b32_e32 v1, vcc_lo, v1
	; wave barrier
	ds_read_b32 v43, v44 offset:64
	v_and_b32_e32 v3, v45, v2
	v_and_b32_e32 v2, v46, v1
	v_mbcnt_lo_u32_b32 v1, v2, 0
	v_mbcnt_hi_u32_b32 v45, v3, v1
	v_cmp_eq_u32_e32 vcc, 0, v45
	v_cmp_ne_u64_e64 s[0:1], 0, v[2:3]
	s_and_b64 s[2:3], s[0:1], vcc
	; wave barrier
	s_and_saveexec_b64 s[0:1], s[2:3]
	s_cbranch_execz .LBB1990_115
; %bb.114:
	v_bcnt_u32_b32 v1, v2, 0
	v_bcnt_u32_b32 v1, v3, v1
	s_waitcnt lgkmcnt(0)
	v_add_u32_e32 v1, v43, v1
	ds_write_b32 v44, v1 offset:64
.LBB1990_115:
	s_or_b64 exec, exec, s[0:1]
	s_waitcnt vmcnt(2)
	v_xor_b32_e32 v27, 0xffff8000, v27
	v_lshrrev_b32_sdwa v1, s20, v27 dst_sel:DWORD dst_unused:UNUSED_PAD src0_sel:DWORD src1_sel:WORD_0
	v_and_b32_e32 v2, s21, v1
	v_mul_u32_u24_e32 v1, 17, v2
	v_add_lshl_u32 v47, v17, v1, 2
	v_and_b32_e32 v1, 1, v2
	v_add_co_u32_e32 v3, vcc, -1, v1
	v_addc_co_u32_e64 v48, s[0:1], 0, -1, vcc
	v_cmp_ne_u32_e32 vcc, 0, v1
	v_xor_b32_e32 v1, vcc_hi, v48
	v_and_b32_e32 v48, exec_hi, v1
	v_lshlrev_b32_e32 v1, 30, v2
	v_xor_b32_e32 v3, vcc_lo, v3
	v_cmp_gt_i64_e32 vcc, 0, v[0:1]
	v_not_b32_e32 v1, v1
	v_ashrrev_i32_e32 v1, 31, v1
	v_and_b32_e32 v3, exec_lo, v3
	v_xor_b32_e32 v49, vcc_hi, v1
	v_xor_b32_e32 v1, vcc_lo, v1
	v_and_b32_e32 v3, v3, v1
	v_lshlrev_b32_e32 v1, 29, v2
	v_cmp_gt_i64_e32 vcc, 0, v[0:1]
	v_not_b32_e32 v1, v1
	v_ashrrev_i32_e32 v1, 31, v1
	v_and_b32_e32 v48, v48, v49
	v_xor_b32_e32 v49, vcc_hi, v1
	v_xor_b32_e32 v1, vcc_lo, v1
	v_and_b32_e32 v3, v3, v1
	v_lshlrev_b32_e32 v1, 28, v2
	v_cmp_gt_i64_e32 vcc, 0, v[0:1]
	v_not_b32_e32 v1, v1
	v_ashrrev_i32_e32 v1, 31, v1
	v_and_b32_e32 v48, v48, v49
	;; [unrolled: 8-line block ×5, first 2 shown]
	v_xor_b32_e32 v49, vcc_hi, v1
	v_xor_b32_e32 v1, vcc_lo, v1
	v_and_b32_e32 v3, v3, v1
	v_lshlrev_b32_e32 v1, 24, v2
	v_cmp_gt_i64_e32 vcc, 0, v[0:1]
	v_not_b32_e32 v0, v1
	v_ashrrev_i32_e32 v0, 31, v0
	v_xor_b32_e32 v1, vcc_hi, v0
	v_xor_b32_e32 v0, vcc_lo, v0
	; wave barrier
	ds_read_b32 v46, v47 offset:64
	v_and_b32_e32 v48, v48, v49
	v_and_b32_e32 v0, v3, v0
	;; [unrolled: 1-line block ×3, first 2 shown]
	v_mbcnt_lo_u32_b32 v2, v0, 0
	v_mbcnt_hi_u32_b32 v48, v1, v2
	v_cmp_eq_u32_e32 vcc, 0, v48
	v_cmp_ne_u64_e64 s[0:1], 0, v[0:1]
	s_and_b64 s[2:3], s[0:1], vcc
	; wave barrier
	s_and_saveexec_b64 s[0:1], s[2:3]
	s_cbranch_execz .LBB1990_117
; %bb.116:
	v_bcnt_u32_b32 v0, v0, 0
	v_bcnt_u32_b32 v0, v1, v0
	s_waitcnt lgkmcnt(0)
	v_add_u32_e32 v0, v46, v0
	ds_write_b32 v47, v0 offset:64
.LBB1990_117:
	s_or_b64 exec, exec, s[0:1]
	s_waitcnt vmcnt(1)
	v_xor_b32_e32 v22, 0xffff8000, v22
	v_lshrrev_b32_sdwa v0, s20, v22 dst_sel:DWORD dst_unused:UNUSED_PAD src0_sel:DWORD src1_sel:WORD_0
	v_and_b32_e32 v2, s21, v0
	v_and_b32_e32 v1, 1, v2
	v_add_co_u32_e32 v3, vcc, -1, v1
	v_addc_co_u32_e64 v51, s[0:1], 0, -1, vcc
	v_cmp_ne_u32_e32 vcc, 0, v1
	v_mul_u32_u24_e32 v0, 17, v2
	v_xor_b32_e32 v1, vcc_hi, v51
	v_add_lshl_u32 v50, v17, v0, 2
	v_mov_b32_e32 v0, 0
	v_and_b32_e32 v51, exec_hi, v1
	v_lshlrev_b32_e32 v1, 30, v2
	v_xor_b32_e32 v3, vcc_lo, v3
	v_cmp_gt_i64_e32 vcc, 0, v[0:1]
	v_not_b32_e32 v1, v1
	v_ashrrev_i32_e32 v1, 31, v1
	v_and_b32_e32 v3, exec_lo, v3
	v_xor_b32_e32 v52, vcc_hi, v1
	v_xor_b32_e32 v1, vcc_lo, v1
	v_and_b32_e32 v3, v3, v1
	v_lshlrev_b32_e32 v1, 29, v2
	v_cmp_gt_i64_e32 vcc, 0, v[0:1]
	v_not_b32_e32 v1, v1
	v_ashrrev_i32_e32 v1, 31, v1
	v_and_b32_e32 v51, v51, v52
	v_xor_b32_e32 v52, vcc_hi, v1
	v_xor_b32_e32 v1, vcc_lo, v1
	v_and_b32_e32 v3, v3, v1
	v_lshlrev_b32_e32 v1, 28, v2
	v_cmp_gt_i64_e32 vcc, 0, v[0:1]
	v_not_b32_e32 v1, v1
	v_ashrrev_i32_e32 v1, 31, v1
	v_and_b32_e32 v51, v51, v52
	;; [unrolled: 8-line block ×5, first 2 shown]
	v_xor_b32_e32 v52, vcc_hi, v1
	v_xor_b32_e32 v1, vcc_lo, v1
	v_and_b32_e32 v51, v51, v52
	v_and_b32_e32 v52, v3, v1
	v_lshlrev_b32_e32 v1, 24, v2
	v_cmp_gt_i64_e32 vcc, 0, v[0:1]
	v_not_b32_e32 v1, v1
	v_ashrrev_i32_e32 v1, 31, v1
	v_xor_b32_e32 v2, vcc_hi, v1
	v_xor_b32_e32 v1, vcc_lo, v1
	; wave barrier
	ds_read_b32 v49, v50 offset:64
	v_and_b32_e32 v3, v51, v2
	v_and_b32_e32 v2, v52, v1
	v_mbcnt_lo_u32_b32 v1, v2, 0
	v_mbcnt_hi_u32_b32 v51, v3, v1
	v_cmp_eq_u32_e32 vcc, 0, v51
	v_cmp_ne_u64_e64 s[0:1], 0, v[2:3]
	s_and_b64 s[2:3], s[0:1], vcc
	; wave barrier
	s_and_saveexec_b64 s[0:1], s[2:3]
	s_cbranch_execz .LBB1990_119
; %bb.118:
	v_bcnt_u32_b32 v1, v2, 0
	v_bcnt_u32_b32 v1, v3, v1
	s_waitcnt lgkmcnt(0)
	v_add_u32_e32 v1, v49, v1
	ds_write_b32 v50, v1 offset:64
.LBB1990_119:
	s_or_b64 exec, exec, s[0:1]
	s_waitcnt vmcnt(0)
	v_xor_b32_e32 v16, 0xffff8000, v16
	v_lshrrev_b32_sdwa v1, s20, v16 dst_sel:DWORD dst_unused:UNUSED_PAD src0_sel:DWORD src1_sel:WORD_0
	v_and_b32_e32 v2, s21, v1
	v_mul_u32_u24_e32 v1, 17, v2
	v_add_lshl_u32 v53, v17, v1, 2
	v_and_b32_e32 v1, 1, v2
	v_add_co_u32_e32 v3, vcc, -1, v1
	v_addc_co_u32_e64 v17, s[0:1], 0, -1, vcc
	v_cmp_ne_u32_e32 vcc, 0, v1
	v_xor_b32_e32 v1, vcc_hi, v17
	v_and_b32_e32 v17, exec_hi, v1
	v_lshlrev_b32_e32 v1, 30, v2
	v_xor_b32_e32 v3, vcc_lo, v3
	v_cmp_gt_i64_e32 vcc, 0, v[0:1]
	v_not_b32_e32 v1, v1
	v_ashrrev_i32_e32 v1, 31, v1
	v_and_b32_e32 v3, exec_lo, v3
	v_xor_b32_e32 v55, vcc_hi, v1
	v_xor_b32_e32 v1, vcc_lo, v1
	v_and_b32_e32 v3, v3, v1
	v_lshlrev_b32_e32 v1, 29, v2
	v_cmp_gt_i64_e32 vcc, 0, v[0:1]
	v_not_b32_e32 v1, v1
	v_ashrrev_i32_e32 v1, 31, v1
	v_and_b32_e32 v17, v17, v55
	v_xor_b32_e32 v55, vcc_hi, v1
	v_xor_b32_e32 v1, vcc_lo, v1
	v_and_b32_e32 v3, v3, v1
	v_lshlrev_b32_e32 v1, 28, v2
	v_cmp_gt_i64_e32 vcc, 0, v[0:1]
	v_not_b32_e32 v1, v1
	v_ashrrev_i32_e32 v1, 31, v1
	v_and_b32_e32 v17, v17, v55
	;; [unrolled: 8-line block ×5, first 2 shown]
	v_xor_b32_e32 v55, vcc_hi, v1
	v_xor_b32_e32 v1, vcc_lo, v1
	v_and_b32_e32 v3, v3, v1
	v_lshlrev_b32_e32 v1, 24, v2
	v_cmp_gt_i64_e32 vcc, 0, v[0:1]
	v_not_b32_e32 v0, v1
	v_ashrrev_i32_e32 v0, 31, v0
	v_xor_b32_e32 v1, vcc_hi, v0
	v_xor_b32_e32 v0, vcc_lo, v0
	; wave barrier
	ds_read_b32 v52, v53 offset:64
	v_and_b32_e32 v17, v17, v55
	v_and_b32_e32 v0, v3, v0
	;; [unrolled: 1-line block ×3, first 2 shown]
	v_mbcnt_lo_u32_b32 v2, v0, 0
	v_mbcnt_hi_u32_b32 v55, v1, v2
	v_cmp_eq_u32_e32 vcc, 0, v55
	v_cmp_ne_u64_e64 s[0:1], 0, v[0:1]
	v_add_u32_e32 v54, 64, v6
	s_and_b64 s[2:3], s[0:1], vcc
	; wave barrier
	s_and_saveexec_b64 s[0:1], s[2:3]
	s_cbranch_execz .LBB1990_121
; %bb.120:
	v_bcnt_u32_b32 v0, v0, 0
	v_bcnt_u32_b32 v0, v1, v0
	s_waitcnt lgkmcnt(0)
	v_add_u32_e32 v0, v52, v0
	ds_write_b32 v53, v0 offset:64
.LBB1990_121:
	s_or_b64 exec, exec, s[0:1]
	; wave barrier
	s_waitcnt lgkmcnt(0)
	s_barrier
	ds_read2_b32 v[2:3], v6 offset0:16 offset1:17
	ds_read2_b32 v[0:1], v54 offset0:2 offset1:3
	ds_read_b32 v17, v54 offset:16
	v_cmp_lt_u32_e64 s[8:9], 31, v5
	s_waitcnt lgkmcnt(1)
	v_add3_u32 v56, v3, v2, v0
	s_waitcnt lgkmcnt(0)
	v_add3_u32 v17, v56, v1, v17
	v_and_b32_e32 v56, 15, v5
	v_cmp_eq_u32_e32 vcc, 0, v56
	v_mov_b32_dpp v57, v17 row_shr:1 row_mask:0xf bank_mask:0xf
	v_cndmask_b32_e64 v57, v57, 0, vcc
	v_add_u32_e32 v17, v57, v17
	v_cmp_lt_u32_e64 s[0:1], 1, v56
	v_cmp_lt_u32_e64 s[2:3], 3, v56
	v_mov_b32_dpp v57, v17 row_shr:2 row_mask:0xf bank_mask:0xf
	v_cndmask_b32_e64 v57, 0, v57, s[0:1]
	v_add_u32_e32 v17, v17, v57
	v_cmp_lt_u32_e64 s[4:5], 7, v56
	s_nop 0
	v_mov_b32_dpp v57, v17 row_shr:4 row_mask:0xf bank_mask:0xf
	v_cndmask_b32_e64 v57, 0, v57, s[2:3]
	v_add_u32_e32 v17, v17, v57
	s_nop 1
	v_mov_b32_dpp v57, v17 row_shr:8 row_mask:0xf bank_mask:0xf
	v_cndmask_b32_e64 v56, 0, v57, s[4:5]
	v_add_u32_e32 v17, v17, v56
	v_bfe_i32 v57, v5, 4, 1
	s_nop 0
	v_mov_b32_dpp v56, v17 row_bcast:15 row_mask:0xf bank_mask:0xf
	v_and_b32_e32 v56, v57, v56
	v_add_u32_e32 v17, v17, v56
	v_lshrrev_b32_e32 v57, 6, v10
	s_nop 0
	v_mov_b32_dpp v56, v17 row_bcast:31 row_mask:0xf bank_mask:0xf
	v_cndmask_b32_e64 v56, 0, v56, s[8:9]
	v_add_u32_e32 v56, v17, v56
	v_and_b32_e32 v17, 63, v10
	v_cmp_eq_u32_e64 s[8:9], 63, v17
	s_and_saveexec_b64 s[16:17], s[8:9]
	s_cbranch_execz .LBB1990_123
; %bb.122:
	v_lshlrev_b32_e32 v17, 2, v57
	ds_write_b32 v17, v56
.LBB1990_123:
	s_or_b64 exec, exec, s[16:17]
	v_cmp_gt_u32_e64 s[8:9], 16, v10
	v_lshlrev_b32_e32 v17, 2, v10
	s_waitcnt lgkmcnt(0)
	s_barrier
	s_and_saveexec_b64 s[16:17], s[8:9]
	s_cbranch_execz .LBB1990_125
; %bb.124:
	ds_read_b32 v58, v17
	s_waitcnt lgkmcnt(0)
	s_nop 0
	v_mov_b32_dpp v59, v58 row_shr:1 row_mask:0xf bank_mask:0xf
	v_cndmask_b32_e64 v59, v59, 0, vcc
	v_add_u32_e32 v58, v59, v58
	s_nop 1
	v_mov_b32_dpp v59, v58 row_shr:2 row_mask:0xf bank_mask:0xf
	v_cndmask_b32_e64 v59, 0, v59, s[0:1]
	v_add_u32_e32 v58, v58, v59
	s_nop 1
	v_mov_b32_dpp v59, v58 row_shr:4 row_mask:0xf bank_mask:0xf
	v_cndmask_b32_e64 v59, 0, v59, s[2:3]
	;; [unrolled: 4-line block ×3, first 2 shown]
	v_add_u32_e32 v58, v58, v59
	ds_write_b32 v17, v58
.LBB1990_125:
	s_or_b64 exec, exec, s[16:17]
	v_cmp_lt_u32_e32 vcc, 63, v10
	v_mov_b32_e32 v58, 0
	s_waitcnt lgkmcnt(0)
	s_barrier
	s_and_saveexec_b64 s[0:1], vcc
	s_cbranch_execz .LBB1990_127
; %bb.126:
	v_lshl_add_u32 v57, v57, 2, -4
	ds_read_b32 v58, v57
.LBB1990_127:
	s_or_b64 exec, exec, s[0:1]
	v_add_u32_e32 v57, -1, v5
	v_and_b32_e32 v59, 64, v5
	v_cmp_lt_i32_e32 vcc, v57, v59
	v_cndmask_b32_e32 v57, v57, v5, vcc
	s_waitcnt lgkmcnt(0)
	v_add_u32_e32 v56, v58, v56
	v_lshlrev_b32_e32 v57, 2, v57
	ds_bpermute_b32 v56, v57, v56
	v_cmp_eq_u32_e32 vcc, 0, v5
	s_movk_i32 s2, 0xff
	s_movk_i32 s3, 0x100
	v_cmp_lt_u32_e64 s[0:1], s2, v10
	s_waitcnt lgkmcnt(0)
	v_cndmask_b32_e32 v5, v56, v58, vcc
	v_cmp_ne_u32_e32 vcc, 0, v10
	v_cndmask_b32_e32 v5, 0, v5, vcc
	v_add_u32_e32 v2, v5, v2
	v_add_u32_e32 v3, v2, v3
	;; [unrolled: 1-line block ×4, first 2 shown]
	ds_write2_b32 v6, v5, v2 offset0:16 offset1:17
	ds_write2_b32 v54, v3, v0 offset0:2 offset1:3
	ds_write_b32 v54, v1 offset:16
	s_waitcnt lgkmcnt(0)
	s_barrier
	ds_read_b32 v58, v7 offset:64
	ds_read_b32 v57, v12 offset:64
	;; [unrolled: 1-line block ×12, first 2 shown]
	v_cmp_gt_u32_e32 vcc, s3, v10
                                        ; implicit-def: $vgpr6
                                        ; implicit-def: $vgpr7
	s_and_saveexec_b64 s[4:5], vcc
	s_cbranch_execz .LBB1990_131
; %bb.128:
	v_mul_u32_u24_e32 v6, 17, v10
	v_lshlrev_b32_e32 v28, 2, v6
	ds_read_b32 v6, v28 offset:64
	v_cmp_ne_u32_e64 s[2:3], s2, v10
	v_mov_b32_e32 v7, 0x3000
	s_and_saveexec_b64 s[8:9], s[2:3]
	s_cbranch_execz .LBB1990_130
; %bb.129:
	ds_read_b32 v7, v28 offset:132
.LBB1990_130:
	s_or_b64 exec, exec, s[8:9]
	s_waitcnt lgkmcnt(0)
	v_sub_u32_e32 v7, v7, v6
.LBB1990_131:
	s_or_b64 exec, exec, s[4:5]
	v_add_u32_e32 v11, v13, v11
	s_waitcnt lgkmcnt(11)
	v_add_lshl_u32 v8, v58, v8, 1
	v_add_u32_e32 v15, v19, v15
	s_waitcnt lgkmcnt(0)
	s_barrier
	ds_write_b16 v8, v4 offset:1024
	v_add_lshl_u32 v4, v11, v57, 1
	v_add_u32_e32 v21, v24, v21
	ds_write_b16 v4, v9 offset:1024
	v_add_lshl_u32 v4, v15, v56, 1
	v_add_u32_e32 v26, v30, v26
	;; [unrolled: 3-line block ×5, first 2 shown]
	v_add_u32_e32 v33, v51, v49
	v_add_u32_e32 v38, v48, v46
	;; [unrolled: 1-line block ×4, first 2 shown]
	ds_write_b16 v4, v29 offset:1024
	v_add_lshl_u32 v4, v36, v12, 1
	ds_write_b16 v4, v34 offset:1024
	v_add_lshl_u32 v4, v40, v5, 1
	v_add_lshl_u32 v3, v41, v3, 1
	;; [unrolled: 1-line block ×5, first 2 shown]
	ds_write_b16 v4, v37 offset:1024
	ds_write_b16 v3, v32 offset:1024
	;; [unrolled: 1-line block ×5, first 2 shown]
	s_and_saveexec_b64 s[2:3], s[0:1]
	s_xor_b64 s[0:1], exec, s[2:3]
; %bb.132:
	v_mov_b32_e32 v11, 0
                                        ; implicit-def: $vgpr17
; %bb.133:
	s_andn2_saveexec_b64 s[2:3], s[0:1]
	s_cbranch_execz .LBB1990_143
; %bb.134:
	v_lshl_or_b32 v0, s6, 8, v10
	v_mov_b32_e32 v1, 0
	v_lshlrev_b64 v[2:3], 2, v[0:1]
	v_mov_b32_e32 v8, s25
	v_add_co_u32_e64 v2, s[0:1], s24, v2
	v_addc_co_u32_e64 v3, s[0:1], v8, v3, s[0:1]
	v_or_b32_e32 v0, 2.0, v7
	s_mov_b64 s[4:5], 0
	s_brev_b32 s22, 1
	s_mov_b32 s23, s6
	v_mov_b32_e32 v9, 0
	global_store_dword v[2:3], v0, off
                                        ; implicit-def: $sgpr0_sgpr1
	s_branch .LBB1990_137
.LBB1990_135:                           ;   in Loop: Header=BB1990_137 Depth=1
	s_or_b64 exec, exec, s[16:17]
.LBB1990_136:                           ;   in Loop: Header=BB1990_137 Depth=1
	s_or_b64 exec, exec, s[8:9]
	v_and_b32_e32 v4, 0x3fffffff, v11
	v_add_u32_e32 v9, v4, v9
	v_cmp_eq_u32_e64 s[0:1], s22, v0
	s_and_b64 s[8:9], exec, s[0:1]
	s_or_b64 s[4:5], s[8:9], s[4:5]
	s_andn2_b64 exec, exec, s[4:5]
	s_cbranch_execz .LBB1990_142
.LBB1990_137:                           ; =>This Loop Header: Depth=1
                                        ;     Child Loop BB1990_140 Depth 2
	s_or_b64 s[0:1], s[0:1], exec
	s_cmp_eq_u32 s23, 0
	s_cbranch_scc1 .LBB1990_141
; %bb.138:                              ;   in Loop: Header=BB1990_137 Depth=1
	s_add_i32 s23, s23, -1
	v_lshl_or_b32 v0, s23, 8, v10
	v_lshlrev_b64 v[4:5], 2, v[0:1]
	v_add_co_u32_e64 v4, s[0:1], s24, v4
	v_addc_co_u32_e64 v5, s[0:1], v8, v5, s[0:1]
	global_load_dword v11, v[4:5], off glc
	s_waitcnt vmcnt(0)
	v_and_b32_e32 v0, -2.0, v11
	v_cmp_eq_u32_e64 s[0:1], 0, v0
	s_and_saveexec_b64 s[8:9], s[0:1]
	s_cbranch_execz .LBB1990_136
; %bb.139:                              ;   in Loop: Header=BB1990_137 Depth=1
	s_mov_b64 s[16:17], 0
.LBB1990_140:                           ;   Parent Loop BB1990_137 Depth=1
                                        ; =>  This Inner Loop Header: Depth=2
	global_load_dword v11, v[4:5], off glc
	s_waitcnt vmcnt(0)
	v_and_b32_e32 v0, -2.0, v11
	v_cmp_ne_u32_e64 s[0:1], 0, v0
	s_or_b64 s[16:17], s[0:1], s[16:17]
	s_andn2_b64 exec, exec, s[16:17]
	s_cbranch_execnz .LBB1990_140
	s_branch .LBB1990_135
.LBB1990_141:                           ;   in Loop: Header=BB1990_137 Depth=1
                                        ; implicit-def: $sgpr23
	s_and_b64 s[8:9], exec, s[0:1]
	s_or_b64 s[4:5], s[8:9], s[4:5]
	s_andn2_b64 exec, exec, s[4:5]
	s_cbranch_execnz .LBB1990_137
.LBB1990_142:
	s_or_b64 exec, exec, s[4:5]
	v_add_u32_e32 v0, v9, v7
	v_or_b32_e32 v0, 0x80000000, v0
	global_store_dword v[2:3], v0, off
	global_load_dword v0, v17, s[12:13]
	v_sub_u32_e32 v1, v9, v6
	v_mov_b32_e32 v11, 0
	s_waitcnt vmcnt(0)
	v_add_u32_e32 v0, v1, v0
	ds_write_b32 v17, v0
.LBB1990_143:
	s_or_b64 exec, exec, s[2:3]
	v_lshlrev_b32_e32 v0, 1, v10
	s_waitcnt lgkmcnt(0)
	s_barrier
	v_lshlrev_b32_e32 v1, 1, v10
	ds_read_u16 v0, v0 offset:1024
	ds_read_u16 v4, v1 offset:3072
	;; [unrolled: 1-line block ×7, first 2 shown]
	s_waitcnt lgkmcnt(6)
	v_lshrrev_b32_sdwa v2, s20, v0 dst_sel:DWORD dst_unused:UNUSED_PAD src0_sel:DWORD src1_sel:WORD_0
	v_and_b32_e32 v2, s21, v2
	s_waitcnt lgkmcnt(4)
	v_lshrrev_b32_sdwa v3, s20, v5 dst_sel:DWORD dst_unused:UNUSED_PAD src0_sel:DWORD src1_sel:WORD_0
	v_xor_b32_e32 v14, 0xffff8000, v0
	v_lshlrev_b32_e32 v0, 2, v2
	v_lshrrev_b32_sdwa v2, s20, v4 dst_sel:DWORD dst_unused:UNUSED_PAD src0_sel:DWORD src1_sel:WORD_0
	v_and_b32_e32 v3, s21, v3
	v_and_b32_e32 v2, s21, v2
	v_lshlrev_b32_e32 v3, 2, v3
	v_lshlrev_b32_e32 v2, 2, v2
	ds_read_b32 v15, v3
	ds_read_b32 v0, v0
	ds_read_u16 v16, v1 offset:5120
	ds_read_u16 v17, v1 offset:9216
	;; [unrolled: 1-line block ×4, first 2 shown]
	ds_read_b32 v20, v2
	ds_read_u16 v21, v1 offset:21504
	s_waitcnt lgkmcnt(6)
	v_add_u32_e32 v0, v0, v10
	v_mov_b32_e32 v1, 0
	v_lshlrev_b64 v[2:3], 1, v[0:1]
	v_mov_b32_e32 v0, s19
	v_add_co_u32_e64 v2, s[0:1], s18, v2
	v_addc_co_u32_e64 v3, s[0:1], v0, v3, s[0:1]
	s_movk_i32 s0, 0x400
	s_waitcnt lgkmcnt(1)
	v_add3_u32 v0, v20, v10, s0
	global_store_short v[2:3], v14, off
	v_lshlrev_b64 v[2:3], 1, v[0:1]
	v_mov_b32_e32 v0, s19
	v_add_co_u32_e64 v2, s[0:1], s18, v2
	v_xor_b32_e32 v4, 0xffff8000, v4
	v_addc_co_u32_e64 v3, s[0:1], v0, v3, s[0:1]
	global_store_short v[2:3], v4, off
	v_lshrrev_b32_sdwa v0, s20, v16 dst_sel:DWORD dst_unused:UNUSED_PAD src0_sel:DWORD src1_sel:WORD_0
	v_xor_b32_e32 v4, 0xffff8000, v16
	v_lshrrev_b32_sdwa v14, s20, v18 dst_sel:DWORD dst_unused:UNUSED_PAD src0_sel:DWORD src1_sel:WORD_0
	v_lshrrev_b32_sdwa v16, s20, v9 dst_sel:DWORD dst_unused:UNUSED_PAD src0_sel:DWORD src1_sel:WORD_0
	;; [unrolled: 1-line block ×4, first 2 shown]
	s_waitcnt lgkmcnt(0)
	v_lshrrev_b32_sdwa v23, s20, v21 dst_sel:DWORD dst_unused:UNUSED_PAD src0_sel:DWORD src1_sel:WORD_0
	v_and_b32_e32 v0, s21, v0
	v_lshrrev_b32_sdwa v2, s20, v17 dst_sel:DWORD dst_unused:UNUSED_PAD src0_sel:DWORD src1_sel:WORD_0
	v_lshrrev_b32_sdwa v3, s20, v8 dst_sel:DWORD dst_unused:UNUSED_PAD src0_sel:DWORD src1_sel:WORD_0
	v_and_b32_e32 v14, s21, v14
	v_and_b32_e32 v16, s21, v16
	;; [unrolled: 1-line block ×5, first 2 shown]
	v_lshlrev_b32_e32 v0, 2, v0
	v_and_b32_e32 v2, s21, v2
	v_and_b32_e32 v3, s21, v3
	v_lshlrev_b32_e32 v14, 2, v14
	v_lshlrev_b32_e32 v16, 2, v16
	;; [unrolled: 1-line block ×5, first 2 shown]
	s_movk_i32 s0, 0x800
	v_lshlrev_b32_e32 v2, 2, v2
	v_lshlrev_b32_e32 v3, 2, v3
	ds_read_b32 v0, v0
	ds_read_b32 v24, v2
	;; [unrolled: 1-line block ×8, first 2 shown]
	s_waitcnt lgkmcnt(7)
	v_add3_u32 v0, v0, v10, s0
	v_lshlrev_b64 v[2:3], 1, v[0:1]
	v_mov_b32_e32 v0, s19
	v_add_co_u32_e64 v2, s[0:1], s18, v2
	v_addc_co_u32_e64 v3, s[0:1], v0, v3, s[0:1]
	s_movk_i32 s0, 0xc00
	v_add3_u32 v0, v15, v10, s0
	global_store_short v[2:3], v4, off
	v_lshlrev_b64 v[2:3], 1, v[0:1]
	v_mov_b32_e32 v0, s19
	v_add_co_u32_e64 v2, s[0:1], s18, v2
	v_addc_co_u32_e64 v3, s[0:1], v0, v3, s[0:1]
	s_movk_i32 s0, 0x1000
	v_xor_b32_e32 v4, 0xffff8000, v5
	s_waitcnt lgkmcnt(6)
	v_add3_u32 v0, v24, v10, s0
	global_store_short v[2:3], v4, off
	v_lshlrev_b64 v[2:3], 1, v[0:1]
	v_mov_b32_e32 v0, s19
	v_add_co_u32_e64 v2, s[0:1], s18, v2
	v_addc_co_u32_e64 v3, s[0:1], v0, v3, s[0:1]
	s_movk_i32 s0, 0x1400
	v_xor_b32_e32 v4, 0xffff8000, v17
	s_waitcnt lgkmcnt(5)
	;; [unrolled: 9-line block ×6, first 2 shown]
	v_add3_u32 v0, v22, v10, s0
	global_store_short v[2:3], v4, off
	v_lshlrev_b64 v[2:3], 1, v[0:1]
	v_mov_b32_e32 v0, s19
	v_add_co_u32_e64 v2, s[0:1], s18, v2
	v_lshrrev_b32_sdwa v5, s20, v13 dst_sel:DWORD dst_unused:UNUSED_PAD src0_sel:DWORD src1_sel:WORD_0
	v_addc_co_u32_e64 v3, s[0:1], v0, v3, s[0:1]
	v_and_b32_e32 v5, s21, v5
	s_movk_i32 s0, 0x2800
	v_lshlrev_b32_e32 v5, 2, v5
	v_xor_b32_e32 v4, 0xffff8000, v12
	s_waitcnt lgkmcnt(0)
	v_add3_u32 v0, v23, v10, s0
	ds_read_b32 v5, v5
	global_store_short v[2:3], v4, off
	v_lshlrev_b64 v[2:3], 1, v[0:1]
	v_mov_b32_e32 v0, s19
	v_add_co_u32_e64 v2, s[0:1], s18, v2
	v_addc_co_u32_e64 v3, s[0:1], v0, v3, s[0:1]
	s_movk_i32 s0, 0x2c00
	s_waitcnt lgkmcnt(0)
	v_add3_u32 v0, v5, v10, s0
	v_xor_b32_e32 v4, 0xffff8000, v21
	v_lshlrev_b64 v[0:1], 1, v[0:1]
	global_store_short v[2:3], v4, off
	v_mov_b32_e32 v3, s19
	v_add_co_u32_e64 v0, s[0:1], s18, v0
	s_add_i32 s7, s7, -1
	v_addc_co_u32_e64 v1, s[0:1], v3, v1, s[0:1]
	s_cmp_eq_u32 s7, s6
	s_cselect_b64 s[0:1], -1, 0
	v_xor_b32_e32 v2, 0xffff8000, v13
	s_and_b64 s[2:3], vcc, s[0:1]
	global_store_short v[0:1], v2, off
                                        ; implicit-def: $vgpr2
	s_and_saveexec_b64 s[0:1], s[2:3]
; %bb.144:
	v_add_u32_e32 v2, v6, v7
	s_or_b64 s[10:11], s[10:11], exec
; %bb.145:
	s_or_b64 exec, exec, s[0:1]
.LBB1990_146:
	s_and_saveexec_b64 s[0:1], s[10:11]
	s_cbranch_execnz .LBB1990_148
; %bb.147:
	s_endpgm
.LBB1990_148:
	v_lshlrev_b32_e32 v3, 2, v10
	ds_read_b32 v3, v3
	v_lshlrev_b64 v[0:1], 2, v[10:11]
	v_mov_b32_e32 v4, s15
	v_add_co_u32_e32 v0, vcc, s14, v0
	v_addc_co_u32_e32 v1, vcc, v4, v1, vcc
	s_waitcnt lgkmcnt(0)
	v_add_u32_e32 v2, v3, v2
	global_store_dword v[0:1], v2, off
	s_endpgm
	.section	.rodata,"a",@progbits
	.p2align	6, 0x0
	.amdhsa_kernel _ZN7rocprim17ROCPRIM_400000_NS6detail17trampoline_kernelINS0_14default_configENS1_35radix_sort_onesweep_config_selectorIsNS0_10empty_typeEEEZZNS1_29radix_sort_onesweep_iterationIS3_Lb0EN6thrust23THRUST_200600_302600_NS6detail15normal_iteratorINS9_10device_ptrIsEEEESE_PS5_SF_jNS0_19identity_decomposerENS1_16block_id_wrapperIjLb0EEEEE10hipError_tT1_PNSt15iterator_traitsISK_E10value_typeET2_T3_PNSL_ISQ_E10value_typeET4_T5_PSV_SW_PNS1_23onesweep_lookback_stateEbbT6_jjT7_P12ihipStream_tbENKUlT_T0_SK_SP_E_clISE_PsSF_SF_EEDaS13_S14_SK_SP_EUlS13_E_NS1_11comp_targetILNS1_3genE4ELNS1_11target_archE910ELNS1_3gpuE8ELNS1_3repE0EEENS1_47radix_sort_onesweep_sort_config_static_selectorELNS0_4arch9wavefront6targetE1EEEvSK_
		.amdhsa_group_segment_fixed_size 25608
		.amdhsa_private_segment_fixed_size 0
		.amdhsa_kernarg_size 344
		.amdhsa_user_sgpr_count 6
		.amdhsa_user_sgpr_private_segment_buffer 1
		.amdhsa_user_sgpr_dispatch_ptr 0
		.amdhsa_user_sgpr_queue_ptr 0
		.amdhsa_user_sgpr_kernarg_segment_ptr 1
		.amdhsa_user_sgpr_dispatch_id 0
		.amdhsa_user_sgpr_flat_scratch_init 0
		.amdhsa_user_sgpr_kernarg_preload_length 0
		.amdhsa_user_sgpr_kernarg_preload_offset 0
		.amdhsa_user_sgpr_private_segment_size 0
		.amdhsa_uses_dynamic_stack 0
		.amdhsa_system_sgpr_private_segment_wavefront_offset 0
		.amdhsa_system_sgpr_workgroup_id_x 1
		.amdhsa_system_sgpr_workgroup_id_y 0
		.amdhsa_system_sgpr_workgroup_id_z 0
		.amdhsa_system_sgpr_workgroup_info 0
		.amdhsa_system_vgpr_workitem_id 2
		.amdhsa_next_free_vgpr 62
		.amdhsa_next_free_sgpr 44
		.amdhsa_accum_offset 64
		.amdhsa_reserve_vcc 1
		.amdhsa_reserve_flat_scratch 0
		.amdhsa_float_round_mode_32 0
		.amdhsa_float_round_mode_16_64 0
		.amdhsa_float_denorm_mode_32 3
		.amdhsa_float_denorm_mode_16_64 3
		.amdhsa_dx10_clamp 1
		.amdhsa_ieee_mode 1
		.amdhsa_fp16_overflow 0
		.amdhsa_tg_split 0
		.amdhsa_exception_fp_ieee_invalid_op 0
		.amdhsa_exception_fp_denorm_src 0
		.amdhsa_exception_fp_ieee_div_zero 0
		.amdhsa_exception_fp_ieee_overflow 0
		.amdhsa_exception_fp_ieee_underflow 0
		.amdhsa_exception_fp_ieee_inexact 0
		.amdhsa_exception_int_div_zero 0
	.end_amdhsa_kernel
	.section	.text._ZN7rocprim17ROCPRIM_400000_NS6detail17trampoline_kernelINS0_14default_configENS1_35radix_sort_onesweep_config_selectorIsNS0_10empty_typeEEEZZNS1_29radix_sort_onesweep_iterationIS3_Lb0EN6thrust23THRUST_200600_302600_NS6detail15normal_iteratorINS9_10device_ptrIsEEEESE_PS5_SF_jNS0_19identity_decomposerENS1_16block_id_wrapperIjLb0EEEEE10hipError_tT1_PNSt15iterator_traitsISK_E10value_typeET2_T3_PNSL_ISQ_E10value_typeET4_T5_PSV_SW_PNS1_23onesweep_lookback_stateEbbT6_jjT7_P12ihipStream_tbENKUlT_T0_SK_SP_E_clISE_PsSF_SF_EEDaS13_S14_SK_SP_EUlS13_E_NS1_11comp_targetILNS1_3genE4ELNS1_11target_archE910ELNS1_3gpuE8ELNS1_3repE0EEENS1_47radix_sort_onesweep_sort_config_static_selectorELNS0_4arch9wavefront6targetE1EEEvSK_,"axG",@progbits,_ZN7rocprim17ROCPRIM_400000_NS6detail17trampoline_kernelINS0_14default_configENS1_35radix_sort_onesweep_config_selectorIsNS0_10empty_typeEEEZZNS1_29radix_sort_onesweep_iterationIS3_Lb0EN6thrust23THRUST_200600_302600_NS6detail15normal_iteratorINS9_10device_ptrIsEEEESE_PS5_SF_jNS0_19identity_decomposerENS1_16block_id_wrapperIjLb0EEEEE10hipError_tT1_PNSt15iterator_traitsISK_E10value_typeET2_T3_PNSL_ISQ_E10value_typeET4_T5_PSV_SW_PNS1_23onesweep_lookback_stateEbbT6_jjT7_P12ihipStream_tbENKUlT_T0_SK_SP_E_clISE_PsSF_SF_EEDaS13_S14_SK_SP_EUlS13_E_NS1_11comp_targetILNS1_3genE4ELNS1_11target_archE910ELNS1_3gpuE8ELNS1_3repE0EEENS1_47radix_sort_onesweep_sort_config_static_selectorELNS0_4arch9wavefront6targetE1EEEvSK_,comdat
.Lfunc_end1990:
	.size	_ZN7rocprim17ROCPRIM_400000_NS6detail17trampoline_kernelINS0_14default_configENS1_35radix_sort_onesweep_config_selectorIsNS0_10empty_typeEEEZZNS1_29radix_sort_onesweep_iterationIS3_Lb0EN6thrust23THRUST_200600_302600_NS6detail15normal_iteratorINS9_10device_ptrIsEEEESE_PS5_SF_jNS0_19identity_decomposerENS1_16block_id_wrapperIjLb0EEEEE10hipError_tT1_PNSt15iterator_traitsISK_E10value_typeET2_T3_PNSL_ISQ_E10value_typeET4_T5_PSV_SW_PNS1_23onesweep_lookback_stateEbbT6_jjT7_P12ihipStream_tbENKUlT_T0_SK_SP_E_clISE_PsSF_SF_EEDaS13_S14_SK_SP_EUlS13_E_NS1_11comp_targetILNS1_3genE4ELNS1_11target_archE910ELNS1_3gpuE8ELNS1_3repE0EEENS1_47radix_sort_onesweep_sort_config_static_selectorELNS0_4arch9wavefront6targetE1EEEvSK_, .Lfunc_end1990-_ZN7rocprim17ROCPRIM_400000_NS6detail17trampoline_kernelINS0_14default_configENS1_35radix_sort_onesweep_config_selectorIsNS0_10empty_typeEEEZZNS1_29radix_sort_onesweep_iterationIS3_Lb0EN6thrust23THRUST_200600_302600_NS6detail15normal_iteratorINS9_10device_ptrIsEEEESE_PS5_SF_jNS0_19identity_decomposerENS1_16block_id_wrapperIjLb0EEEEE10hipError_tT1_PNSt15iterator_traitsISK_E10value_typeET2_T3_PNSL_ISQ_E10value_typeET4_T5_PSV_SW_PNS1_23onesweep_lookback_stateEbbT6_jjT7_P12ihipStream_tbENKUlT_T0_SK_SP_E_clISE_PsSF_SF_EEDaS13_S14_SK_SP_EUlS13_E_NS1_11comp_targetILNS1_3genE4ELNS1_11target_archE910ELNS1_3gpuE8ELNS1_3repE0EEENS1_47radix_sort_onesweep_sort_config_static_selectorELNS0_4arch9wavefront6targetE1EEEvSK_
                                        ; -- End function
	.section	.AMDGPU.csdata,"",@progbits
; Kernel info:
; codeLenInByte = 15876
; NumSgprs: 48
; NumVgprs: 62
; NumAgprs: 0
; TotalNumVgprs: 62
; ScratchSize: 0
; MemoryBound: 0
; FloatMode: 240
; IeeeMode: 1
; LDSByteSize: 25608 bytes/workgroup (compile time only)
; SGPRBlocks: 5
; VGPRBlocks: 7
; NumSGPRsForWavesPerEU: 48
; NumVGPRsForWavesPerEU: 62
; AccumOffset: 64
; Occupancy: 8
; WaveLimiterHint : 1
; COMPUTE_PGM_RSRC2:SCRATCH_EN: 0
; COMPUTE_PGM_RSRC2:USER_SGPR: 6
; COMPUTE_PGM_RSRC2:TRAP_HANDLER: 0
; COMPUTE_PGM_RSRC2:TGID_X_EN: 1
; COMPUTE_PGM_RSRC2:TGID_Y_EN: 0
; COMPUTE_PGM_RSRC2:TGID_Z_EN: 0
; COMPUTE_PGM_RSRC2:TIDIG_COMP_CNT: 2
; COMPUTE_PGM_RSRC3_GFX90A:ACCUM_OFFSET: 15
; COMPUTE_PGM_RSRC3_GFX90A:TG_SPLIT: 0
	.section	.text._ZN7rocprim17ROCPRIM_400000_NS6detail17trampoline_kernelINS0_14default_configENS1_35radix_sort_onesweep_config_selectorIsNS0_10empty_typeEEEZZNS1_29radix_sort_onesweep_iterationIS3_Lb0EN6thrust23THRUST_200600_302600_NS6detail15normal_iteratorINS9_10device_ptrIsEEEESE_PS5_SF_jNS0_19identity_decomposerENS1_16block_id_wrapperIjLb0EEEEE10hipError_tT1_PNSt15iterator_traitsISK_E10value_typeET2_T3_PNSL_ISQ_E10value_typeET4_T5_PSV_SW_PNS1_23onesweep_lookback_stateEbbT6_jjT7_P12ihipStream_tbENKUlT_T0_SK_SP_E_clISE_PsSF_SF_EEDaS13_S14_SK_SP_EUlS13_E_NS1_11comp_targetILNS1_3genE3ELNS1_11target_archE908ELNS1_3gpuE7ELNS1_3repE0EEENS1_47radix_sort_onesweep_sort_config_static_selectorELNS0_4arch9wavefront6targetE1EEEvSK_,"axG",@progbits,_ZN7rocprim17ROCPRIM_400000_NS6detail17trampoline_kernelINS0_14default_configENS1_35radix_sort_onesweep_config_selectorIsNS0_10empty_typeEEEZZNS1_29radix_sort_onesweep_iterationIS3_Lb0EN6thrust23THRUST_200600_302600_NS6detail15normal_iteratorINS9_10device_ptrIsEEEESE_PS5_SF_jNS0_19identity_decomposerENS1_16block_id_wrapperIjLb0EEEEE10hipError_tT1_PNSt15iterator_traitsISK_E10value_typeET2_T3_PNSL_ISQ_E10value_typeET4_T5_PSV_SW_PNS1_23onesweep_lookback_stateEbbT6_jjT7_P12ihipStream_tbENKUlT_T0_SK_SP_E_clISE_PsSF_SF_EEDaS13_S14_SK_SP_EUlS13_E_NS1_11comp_targetILNS1_3genE3ELNS1_11target_archE908ELNS1_3gpuE7ELNS1_3repE0EEENS1_47radix_sort_onesweep_sort_config_static_selectorELNS0_4arch9wavefront6targetE1EEEvSK_,comdat
	.protected	_ZN7rocprim17ROCPRIM_400000_NS6detail17trampoline_kernelINS0_14default_configENS1_35radix_sort_onesweep_config_selectorIsNS0_10empty_typeEEEZZNS1_29radix_sort_onesweep_iterationIS3_Lb0EN6thrust23THRUST_200600_302600_NS6detail15normal_iteratorINS9_10device_ptrIsEEEESE_PS5_SF_jNS0_19identity_decomposerENS1_16block_id_wrapperIjLb0EEEEE10hipError_tT1_PNSt15iterator_traitsISK_E10value_typeET2_T3_PNSL_ISQ_E10value_typeET4_T5_PSV_SW_PNS1_23onesweep_lookback_stateEbbT6_jjT7_P12ihipStream_tbENKUlT_T0_SK_SP_E_clISE_PsSF_SF_EEDaS13_S14_SK_SP_EUlS13_E_NS1_11comp_targetILNS1_3genE3ELNS1_11target_archE908ELNS1_3gpuE7ELNS1_3repE0EEENS1_47radix_sort_onesweep_sort_config_static_selectorELNS0_4arch9wavefront6targetE1EEEvSK_ ; -- Begin function _ZN7rocprim17ROCPRIM_400000_NS6detail17trampoline_kernelINS0_14default_configENS1_35radix_sort_onesweep_config_selectorIsNS0_10empty_typeEEEZZNS1_29radix_sort_onesweep_iterationIS3_Lb0EN6thrust23THRUST_200600_302600_NS6detail15normal_iteratorINS9_10device_ptrIsEEEESE_PS5_SF_jNS0_19identity_decomposerENS1_16block_id_wrapperIjLb0EEEEE10hipError_tT1_PNSt15iterator_traitsISK_E10value_typeET2_T3_PNSL_ISQ_E10value_typeET4_T5_PSV_SW_PNS1_23onesweep_lookback_stateEbbT6_jjT7_P12ihipStream_tbENKUlT_T0_SK_SP_E_clISE_PsSF_SF_EEDaS13_S14_SK_SP_EUlS13_E_NS1_11comp_targetILNS1_3genE3ELNS1_11target_archE908ELNS1_3gpuE7ELNS1_3repE0EEENS1_47radix_sort_onesweep_sort_config_static_selectorELNS0_4arch9wavefront6targetE1EEEvSK_
	.globl	_ZN7rocprim17ROCPRIM_400000_NS6detail17trampoline_kernelINS0_14default_configENS1_35radix_sort_onesweep_config_selectorIsNS0_10empty_typeEEEZZNS1_29radix_sort_onesweep_iterationIS3_Lb0EN6thrust23THRUST_200600_302600_NS6detail15normal_iteratorINS9_10device_ptrIsEEEESE_PS5_SF_jNS0_19identity_decomposerENS1_16block_id_wrapperIjLb0EEEEE10hipError_tT1_PNSt15iterator_traitsISK_E10value_typeET2_T3_PNSL_ISQ_E10value_typeET4_T5_PSV_SW_PNS1_23onesweep_lookback_stateEbbT6_jjT7_P12ihipStream_tbENKUlT_T0_SK_SP_E_clISE_PsSF_SF_EEDaS13_S14_SK_SP_EUlS13_E_NS1_11comp_targetILNS1_3genE3ELNS1_11target_archE908ELNS1_3gpuE7ELNS1_3repE0EEENS1_47radix_sort_onesweep_sort_config_static_selectorELNS0_4arch9wavefront6targetE1EEEvSK_
	.p2align	8
	.type	_ZN7rocprim17ROCPRIM_400000_NS6detail17trampoline_kernelINS0_14default_configENS1_35radix_sort_onesweep_config_selectorIsNS0_10empty_typeEEEZZNS1_29radix_sort_onesweep_iterationIS3_Lb0EN6thrust23THRUST_200600_302600_NS6detail15normal_iteratorINS9_10device_ptrIsEEEESE_PS5_SF_jNS0_19identity_decomposerENS1_16block_id_wrapperIjLb0EEEEE10hipError_tT1_PNSt15iterator_traitsISK_E10value_typeET2_T3_PNSL_ISQ_E10value_typeET4_T5_PSV_SW_PNS1_23onesweep_lookback_stateEbbT6_jjT7_P12ihipStream_tbENKUlT_T0_SK_SP_E_clISE_PsSF_SF_EEDaS13_S14_SK_SP_EUlS13_E_NS1_11comp_targetILNS1_3genE3ELNS1_11target_archE908ELNS1_3gpuE7ELNS1_3repE0EEENS1_47radix_sort_onesweep_sort_config_static_selectorELNS0_4arch9wavefront6targetE1EEEvSK_,@function
_ZN7rocprim17ROCPRIM_400000_NS6detail17trampoline_kernelINS0_14default_configENS1_35radix_sort_onesweep_config_selectorIsNS0_10empty_typeEEEZZNS1_29radix_sort_onesweep_iterationIS3_Lb0EN6thrust23THRUST_200600_302600_NS6detail15normal_iteratorINS9_10device_ptrIsEEEESE_PS5_SF_jNS0_19identity_decomposerENS1_16block_id_wrapperIjLb0EEEEE10hipError_tT1_PNSt15iterator_traitsISK_E10value_typeET2_T3_PNSL_ISQ_E10value_typeET4_T5_PSV_SW_PNS1_23onesweep_lookback_stateEbbT6_jjT7_P12ihipStream_tbENKUlT_T0_SK_SP_E_clISE_PsSF_SF_EEDaS13_S14_SK_SP_EUlS13_E_NS1_11comp_targetILNS1_3genE3ELNS1_11target_archE908ELNS1_3gpuE7ELNS1_3repE0EEENS1_47radix_sort_onesweep_sort_config_static_selectorELNS0_4arch9wavefront6targetE1EEEvSK_: ; @_ZN7rocprim17ROCPRIM_400000_NS6detail17trampoline_kernelINS0_14default_configENS1_35radix_sort_onesweep_config_selectorIsNS0_10empty_typeEEEZZNS1_29radix_sort_onesweep_iterationIS3_Lb0EN6thrust23THRUST_200600_302600_NS6detail15normal_iteratorINS9_10device_ptrIsEEEESE_PS5_SF_jNS0_19identity_decomposerENS1_16block_id_wrapperIjLb0EEEEE10hipError_tT1_PNSt15iterator_traitsISK_E10value_typeET2_T3_PNSL_ISQ_E10value_typeET4_T5_PSV_SW_PNS1_23onesweep_lookback_stateEbbT6_jjT7_P12ihipStream_tbENKUlT_T0_SK_SP_E_clISE_PsSF_SF_EEDaS13_S14_SK_SP_EUlS13_E_NS1_11comp_targetILNS1_3genE3ELNS1_11target_archE908ELNS1_3gpuE7ELNS1_3repE0EEENS1_47radix_sort_onesweep_sort_config_static_selectorELNS0_4arch9wavefront6targetE1EEEvSK_
; %bb.0:
	.section	.rodata,"a",@progbits
	.p2align	6, 0x0
	.amdhsa_kernel _ZN7rocprim17ROCPRIM_400000_NS6detail17trampoline_kernelINS0_14default_configENS1_35radix_sort_onesweep_config_selectorIsNS0_10empty_typeEEEZZNS1_29radix_sort_onesweep_iterationIS3_Lb0EN6thrust23THRUST_200600_302600_NS6detail15normal_iteratorINS9_10device_ptrIsEEEESE_PS5_SF_jNS0_19identity_decomposerENS1_16block_id_wrapperIjLb0EEEEE10hipError_tT1_PNSt15iterator_traitsISK_E10value_typeET2_T3_PNSL_ISQ_E10value_typeET4_T5_PSV_SW_PNS1_23onesweep_lookback_stateEbbT6_jjT7_P12ihipStream_tbENKUlT_T0_SK_SP_E_clISE_PsSF_SF_EEDaS13_S14_SK_SP_EUlS13_E_NS1_11comp_targetILNS1_3genE3ELNS1_11target_archE908ELNS1_3gpuE7ELNS1_3repE0EEENS1_47radix_sort_onesweep_sort_config_static_selectorELNS0_4arch9wavefront6targetE1EEEvSK_
		.amdhsa_group_segment_fixed_size 0
		.amdhsa_private_segment_fixed_size 0
		.amdhsa_kernarg_size 88
		.amdhsa_user_sgpr_count 6
		.amdhsa_user_sgpr_private_segment_buffer 1
		.amdhsa_user_sgpr_dispatch_ptr 0
		.amdhsa_user_sgpr_queue_ptr 0
		.amdhsa_user_sgpr_kernarg_segment_ptr 1
		.amdhsa_user_sgpr_dispatch_id 0
		.amdhsa_user_sgpr_flat_scratch_init 0
		.amdhsa_user_sgpr_kernarg_preload_length 0
		.amdhsa_user_sgpr_kernarg_preload_offset 0
		.amdhsa_user_sgpr_private_segment_size 0
		.amdhsa_uses_dynamic_stack 0
		.amdhsa_system_sgpr_private_segment_wavefront_offset 0
		.amdhsa_system_sgpr_workgroup_id_x 1
		.amdhsa_system_sgpr_workgroup_id_y 0
		.amdhsa_system_sgpr_workgroup_id_z 0
		.amdhsa_system_sgpr_workgroup_info 0
		.amdhsa_system_vgpr_workitem_id 0
		.amdhsa_next_free_vgpr 1
		.amdhsa_next_free_sgpr 0
		.amdhsa_accum_offset 4
		.amdhsa_reserve_vcc 0
		.amdhsa_reserve_flat_scratch 0
		.amdhsa_float_round_mode_32 0
		.amdhsa_float_round_mode_16_64 0
		.amdhsa_float_denorm_mode_32 3
		.amdhsa_float_denorm_mode_16_64 3
		.amdhsa_dx10_clamp 1
		.amdhsa_ieee_mode 1
		.amdhsa_fp16_overflow 0
		.amdhsa_tg_split 0
		.amdhsa_exception_fp_ieee_invalid_op 0
		.amdhsa_exception_fp_denorm_src 0
		.amdhsa_exception_fp_ieee_div_zero 0
		.amdhsa_exception_fp_ieee_overflow 0
		.amdhsa_exception_fp_ieee_underflow 0
		.amdhsa_exception_fp_ieee_inexact 0
		.amdhsa_exception_int_div_zero 0
	.end_amdhsa_kernel
	.section	.text._ZN7rocprim17ROCPRIM_400000_NS6detail17trampoline_kernelINS0_14default_configENS1_35radix_sort_onesweep_config_selectorIsNS0_10empty_typeEEEZZNS1_29radix_sort_onesweep_iterationIS3_Lb0EN6thrust23THRUST_200600_302600_NS6detail15normal_iteratorINS9_10device_ptrIsEEEESE_PS5_SF_jNS0_19identity_decomposerENS1_16block_id_wrapperIjLb0EEEEE10hipError_tT1_PNSt15iterator_traitsISK_E10value_typeET2_T3_PNSL_ISQ_E10value_typeET4_T5_PSV_SW_PNS1_23onesweep_lookback_stateEbbT6_jjT7_P12ihipStream_tbENKUlT_T0_SK_SP_E_clISE_PsSF_SF_EEDaS13_S14_SK_SP_EUlS13_E_NS1_11comp_targetILNS1_3genE3ELNS1_11target_archE908ELNS1_3gpuE7ELNS1_3repE0EEENS1_47radix_sort_onesweep_sort_config_static_selectorELNS0_4arch9wavefront6targetE1EEEvSK_,"axG",@progbits,_ZN7rocprim17ROCPRIM_400000_NS6detail17trampoline_kernelINS0_14default_configENS1_35radix_sort_onesweep_config_selectorIsNS0_10empty_typeEEEZZNS1_29radix_sort_onesweep_iterationIS3_Lb0EN6thrust23THRUST_200600_302600_NS6detail15normal_iteratorINS9_10device_ptrIsEEEESE_PS5_SF_jNS0_19identity_decomposerENS1_16block_id_wrapperIjLb0EEEEE10hipError_tT1_PNSt15iterator_traitsISK_E10value_typeET2_T3_PNSL_ISQ_E10value_typeET4_T5_PSV_SW_PNS1_23onesweep_lookback_stateEbbT6_jjT7_P12ihipStream_tbENKUlT_T0_SK_SP_E_clISE_PsSF_SF_EEDaS13_S14_SK_SP_EUlS13_E_NS1_11comp_targetILNS1_3genE3ELNS1_11target_archE908ELNS1_3gpuE7ELNS1_3repE0EEENS1_47radix_sort_onesweep_sort_config_static_selectorELNS0_4arch9wavefront6targetE1EEEvSK_,comdat
.Lfunc_end1991:
	.size	_ZN7rocprim17ROCPRIM_400000_NS6detail17trampoline_kernelINS0_14default_configENS1_35radix_sort_onesweep_config_selectorIsNS0_10empty_typeEEEZZNS1_29radix_sort_onesweep_iterationIS3_Lb0EN6thrust23THRUST_200600_302600_NS6detail15normal_iteratorINS9_10device_ptrIsEEEESE_PS5_SF_jNS0_19identity_decomposerENS1_16block_id_wrapperIjLb0EEEEE10hipError_tT1_PNSt15iterator_traitsISK_E10value_typeET2_T3_PNSL_ISQ_E10value_typeET4_T5_PSV_SW_PNS1_23onesweep_lookback_stateEbbT6_jjT7_P12ihipStream_tbENKUlT_T0_SK_SP_E_clISE_PsSF_SF_EEDaS13_S14_SK_SP_EUlS13_E_NS1_11comp_targetILNS1_3genE3ELNS1_11target_archE908ELNS1_3gpuE7ELNS1_3repE0EEENS1_47radix_sort_onesweep_sort_config_static_selectorELNS0_4arch9wavefront6targetE1EEEvSK_, .Lfunc_end1991-_ZN7rocprim17ROCPRIM_400000_NS6detail17trampoline_kernelINS0_14default_configENS1_35radix_sort_onesweep_config_selectorIsNS0_10empty_typeEEEZZNS1_29radix_sort_onesweep_iterationIS3_Lb0EN6thrust23THRUST_200600_302600_NS6detail15normal_iteratorINS9_10device_ptrIsEEEESE_PS5_SF_jNS0_19identity_decomposerENS1_16block_id_wrapperIjLb0EEEEE10hipError_tT1_PNSt15iterator_traitsISK_E10value_typeET2_T3_PNSL_ISQ_E10value_typeET4_T5_PSV_SW_PNS1_23onesweep_lookback_stateEbbT6_jjT7_P12ihipStream_tbENKUlT_T0_SK_SP_E_clISE_PsSF_SF_EEDaS13_S14_SK_SP_EUlS13_E_NS1_11comp_targetILNS1_3genE3ELNS1_11target_archE908ELNS1_3gpuE7ELNS1_3repE0EEENS1_47radix_sort_onesweep_sort_config_static_selectorELNS0_4arch9wavefront6targetE1EEEvSK_
                                        ; -- End function
	.section	.AMDGPU.csdata,"",@progbits
; Kernel info:
; codeLenInByte = 0
; NumSgprs: 4
; NumVgprs: 0
; NumAgprs: 0
; TotalNumVgprs: 0
; ScratchSize: 0
; MemoryBound: 0
; FloatMode: 240
; IeeeMode: 1
; LDSByteSize: 0 bytes/workgroup (compile time only)
; SGPRBlocks: 0
; VGPRBlocks: 0
; NumSGPRsForWavesPerEU: 4
; NumVGPRsForWavesPerEU: 1
; AccumOffset: 4
; Occupancy: 8
; WaveLimiterHint : 0
; COMPUTE_PGM_RSRC2:SCRATCH_EN: 0
; COMPUTE_PGM_RSRC2:USER_SGPR: 6
; COMPUTE_PGM_RSRC2:TRAP_HANDLER: 0
; COMPUTE_PGM_RSRC2:TGID_X_EN: 1
; COMPUTE_PGM_RSRC2:TGID_Y_EN: 0
; COMPUTE_PGM_RSRC2:TGID_Z_EN: 0
; COMPUTE_PGM_RSRC2:TIDIG_COMP_CNT: 0
; COMPUTE_PGM_RSRC3_GFX90A:ACCUM_OFFSET: 0
; COMPUTE_PGM_RSRC3_GFX90A:TG_SPLIT: 0
	.section	.text._ZN7rocprim17ROCPRIM_400000_NS6detail17trampoline_kernelINS0_14default_configENS1_35radix_sort_onesweep_config_selectorIsNS0_10empty_typeEEEZZNS1_29radix_sort_onesweep_iterationIS3_Lb0EN6thrust23THRUST_200600_302600_NS6detail15normal_iteratorINS9_10device_ptrIsEEEESE_PS5_SF_jNS0_19identity_decomposerENS1_16block_id_wrapperIjLb0EEEEE10hipError_tT1_PNSt15iterator_traitsISK_E10value_typeET2_T3_PNSL_ISQ_E10value_typeET4_T5_PSV_SW_PNS1_23onesweep_lookback_stateEbbT6_jjT7_P12ihipStream_tbENKUlT_T0_SK_SP_E_clISE_PsSF_SF_EEDaS13_S14_SK_SP_EUlS13_E_NS1_11comp_targetILNS1_3genE10ELNS1_11target_archE1201ELNS1_3gpuE5ELNS1_3repE0EEENS1_47radix_sort_onesweep_sort_config_static_selectorELNS0_4arch9wavefront6targetE1EEEvSK_,"axG",@progbits,_ZN7rocprim17ROCPRIM_400000_NS6detail17trampoline_kernelINS0_14default_configENS1_35radix_sort_onesweep_config_selectorIsNS0_10empty_typeEEEZZNS1_29radix_sort_onesweep_iterationIS3_Lb0EN6thrust23THRUST_200600_302600_NS6detail15normal_iteratorINS9_10device_ptrIsEEEESE_PS5_SF_jNS0_19identity_decomposerENS1_16block_id_wrapperIjLb0EEEEE10hipError_tT1_PNSt15iterator_traitsISK_E10value_typeET2_T3_PNSL_ISQ_E10value_typeET4_T5_PSV_SW_PNS1_23onesweep_lookback_stateEbbT6_jjT7_P12ihipStream_tbENKUlT_T0_SK_SP_E_clISE_PsSF_SF_EEDaS13_S14_SK_SP_EUlS13_E_NS1_11comp_targetILNS1_3genE10ELNS1_11target_archE1201ELNS1_3gpuE5ELNS1_3repE0EEENS1_47radix_sort_onesweep_sort_config_static_selectorELNS0_4arch9wavefront6targetE1EEEvSK_,comdat
	.protected	_ZN7rocprim17ROCPRIM_400000_NS6detail17trampoline_kernelINS0_14default_configENS1_35radix_sort_onesweep_config_selectorIsNS0_10empty_typeEEEZZNS1_29radix_sort_onesweep_iterationIS3_Lb0EN6thrust23THRUST_200600_302600_NS6detail15normal_iteratorINS9_10device_ptrIsEEEESE_PS5_SF_jNS0_19identity_decomposerENS1_16block_id_wrapperIjLb0EEEEE10hipError_tT1_PNSt15iterator_traitsISK_E10value_typeET2_T3_PNSL_ISQ_E10value_typeET4_T5_PSV_SW_PNS1_23onesweep_lookback_stateEbbT6_jjT7_P12ihipStream_tbENKUlT_T0_SK_SP_E_clISE_PsSF_SF_EEDaS13_S14_SK_SP_EUlS13_E_NS1_11comp_targetILNS1_3genE10ELNS1_11target_archE1201ELNS1_3gpuE5ELNS1_3repE0EEENS1_47radix_sort_onesweep_sort_config_static_selectorELNS0_4arch9wavefront6targetE1EEEvSK_ ; -- Begin function _ZN7rocprim17ROCPRIM_400000_NS6detail17trampoline_kernelINS0_14default_configENS1_35radix_sort_onesweep_config_selectorIsNS0_10empty_typeEEEZZNS1_29radix_sort_onesweep_iterationIS3_Lb0EN6thrust23THRUST_200600_302600_NS6detail15normal_iteratorINS9_10device_ptrIsEEEESE_PS5_SF_jNS0_19identity_decomposerENS1_16block_id_wrapperIjLb0EEEEE10hipError_tT1_PNSt15iterator_traitsISK_E10value_typeET2_T3_PNSL_ISQ_E10value_typeET4_T5_PSV_SW_PNS1_23onesweep_lookback_stateEbbT6_jjT7_P12ihipStream_tbENKUlT_T0_SK_SP_E_clISE_PsSF_SF_EEDaS13_S14_SK_SP_EUlS13_E_NS1_11comp_targetILNS1_3genE10ELNS1_11target_archE1201ELNS1_3gpuE5ELNS1_3repE0EEENS1_47radix_sort_onesweep_sort_config_static_selectorELNS0_4arch9wavefront6targetE1EEEvSK_
	.globl	_ZN7rocprim17ROCPRIM_400000_NS6detail17trampoline_kernelINS0_14default_configENS1_35radix_sort_onesweep_config_selectorIsNS0_10empty_typeEEEZZNS1_29radix_sort_onesweep_iterationIS3_Lb0EN6thrust23THRUST_200600_302600_NS6detail15normal_iteratorINS9_10device_ptrIsEEEESE_PS5_SF_jNS0_19identity_decomposerENS1_16block_id_wrapperIjLb0EEEEE10hipError_tT1_PNSt15iterator_traitsISK_E10value_typeET2_T3_PNSL_ISQ_E10value_typeET4_T5_PSV_SW_PNS1_23onesweep_lookback_stateEbbT6_jjT7_P12ihipStream_tbENKUlT_T0_SK_SP_E_clISE_PsSF_SF_EEDaS13_S14_SK_SP_EUlS13_E_NS1_11comp_targetILNS1_3genE10ELNS1_11target_archE1201ELNS1_3gpuE5ELNS1_3repE0EEENS1_47radix_sort_onesweep_sort_config_static_selectorELNS0_4arch9wavefront6targetE1EEEvSK_
	.p2align	8
	.type	_ZN7rocprim17ROCPRIM_400000_NS6detail17trampoline_kernelINS0_14default_configENS1_35radix_sort_onesweep_config_selectorIsNS0_10empty_typeEEEZZNS1_29radix_sort_onesweep_iterationIS3_Lb0EN6thrust23THRUST_200600_302600_NS6detail15normal_iteratorINS9_10device_ptrIsEEEESE_PS5_SF_jNS0_19identity_decomposerENS1_16block_id_wrapperIjLb0EEEEE10hipError_tT1_PNSt15iterator_traitsISK_E10value_typeET2_T3_PNSL_ISQ_E10value_typeET4_T5_PSV_SW_PNS1_23onesweep_lookback_stateEbbT6_jjT7_P12ihipStream_tbENKUlT_T0_SK_SP_E_clISE_PsSF_SF_EEDaS13_S14_SK_SP_EUlS13_E_NS1_11comp_targetILNS1_3genE10ELNS1_11target_archE1201ELNS1_3gpuE5ELNS1_3repE0EEENS1_47radix_sort_onesweep_sort_config_static_selectorELNS0_4arch9wavefront6targetE1EEEvSK_,@function
_ZN7rocprim17ROCPRIM_400000_NS6detail17trampoline_kernelINS0_14default_configENS1_35radix_sort_onesweep_config_selectorIsNS0_10empty_typeEEEZZNS1_29radix_sort_onesweep_iterationIS3_Lb0EN6thrust23THRUST_200600_302600_NS6detail15normal_iteratorINS9_10device_ptrIsEEEESE_PS5_SF_jNS0_19identity_decomposerENS1_16block_id_wrapperIjLb0EEEEE10hipError_tT1_PNSt15iterator_traitsISK_E10value_typeET2_T3_PNSL_ISQ_E10value_typeET4_T5_PSV_SW_PNS1_23onesweep_lookback_stateEbbT6_jjT7_P12ihipStream_tbENKUlT_T0_SK_SP_E_clISE_PsSF_SF_EEDaS13_S14_SK_SP_EUlS13_E_NS1_11comp_targetILNS1_3genE10ELNS1_11target_archE1201ELNS1_3gpuE5ELNS1_3repE0EEENS1_47radix_sort_onesweep_sort_config_static_selectorELNS0_4arch9wavefront6targetE1EEEvSK_: ; @_ZN7rocprim17ROCPRIM_400000_NS6detail17trampoline_kernelINS0_14default_configENS1_35radix_sort_onesweep_config_selectorIsNS0_10empty_typeEEEZZNS1_29radix_sort_onesweep_iterationIS3_Lb0EN6thrust23THRUST_200600_302600_NS6detail15normal_iteratorINS9_10device_ptrIsEEEESE_PS5_SF_jNS0_19identity_decomposerENS1_16block_id_wrapperIjLb0EEEEE10hipError_tT1_PNSt15iterator_traitsISK_E10value_typeET2_T3_PNSL_ISQ_E10value_typeET4_T5_PSV_SW_PNS1_23onesweep_lookback_stateEbbT6_jjT7_P12ihipStream_tbENKUlT_T0_SK_SP_E_clISE_PsSF_SF_EEDaS13_S14_SK_SP_EUlS13_E_NS1_11comp_targetILNS1_3genE10ELNS1_11target_archE1201ELNS1_3gpuE5ELNS1_3repE0EEENS1_47radix_sort_onesweep_sort_config_static_selectorELNS0_4arch9wavefront6targetE1EEEvSK_
; %bb.0:
	.section	.rodata,"a",@progbits
	.p2align	6, 0x0
	.amdhsa_kernel _ZN7rocprim17ROCPRIM_400000_NS6detail17trampoline_kernelINS0_14default_configENS1_35radix_sort_onesweep_config_selectorIsNS0_10empty_typeEEEZZNS1_29radix_sort_onesweep_iterationIS3_Lb0EN6thrust23THRUST_200600_302600_NS6detail15normal_iteratorINS9_10device_ptrIsEEEESE_PS5_SF_jNS0_19identity_decomposerENS1_16block_id_wrapperIjLb0EEEEE10hipError_tT1_PNSt15iterator_traitsISK_E10value_typeET2_T3_PNSL_ISQ_E10value_typeET4_T5_PSV_SW_PNS1_23onesweep_lookback_stateEbbT6_jjT7_P12ihipStream_tbENKUlT_T0_SK_SP_E_clISE_PsSF_SF_EEDaS13_S14_SK_SP_EUlS13_E_NS1_11comp_targetILNS1_3genE10ELNS1_11target_archE1201ELNS1_3gpuE5ELNS1_3repE0EEENS1_47radix_sort_onesweep_sort_config_static_selectorELNS0_4arch9wavefront6targetE1EEEvSK_
		.amdhsa_group_segment_fixed_size 0
		.amdhsa_private_segment_fixed_size 0
		.amdhsa_kernarg_size 88
		.amdhsa_user_sgpr_count 6
		.amdhsa_user_sgpr_private_segment_buffer 1
		.amdhsa_user_sgpr_dispatch_ptr 0
		.amdhsa_user_sgpr_queue_ptr 0
		.amdhsa_user_sgpr_kernarg_segment_ptr 1
		.amdhsa_user_sgpr_dispatch_id 0
		.amdhsa_user_sgpr_flat_scratch_init 0
		.amdhsa_user_sgpr_kernarg_preload_length 0
		.amdhsa_user_sgpr_kernarg_preload_offset 0
		.amdhsa_user_sgpr_private_segment_size 0
		.amdhsa_uses_dynamic_stack 0
		.amdhsa_system_sgpr_private_segment_wavefront_offset 0
		.amdhsa_system_sgpr_workgroup_id_x 1
		.amdhsa_system_sgpr_workgroup_id_y 0
		.amdhsa_system_sgpr_workgroup_id_z 0
		.amdhsa_system_sgpr_workgroup_info 0
		.amdhsa_system_vgpr_workitem_id 0
		.amdhsa_next_free_vgpr 1
		.amdhsa_next_free_sgpr 0
		.amdhsa_accum_offset 4
		.amdhsa_reserve_vcc 0
		.amdhsa_reserve_flat_scratch 0
		.amdhsa_float_round_mode_32 0
		.amdhsa_float_round_mode_16_64 0
		.amdhsa_float_denorm_mode_32 3
		.amdhsa_float_denorm_mode_16_64 3
		.amdhsa_dx10_clamp 1
		.amdhsa_ieee_mode 1
		.amdhsa_fp16_overflow 0
		.amdhsa_tg_split 0
		.amdhsa_exception_fp_ieee_invalid_op 0
		.amdhsa_exception_fp_denorm_src 0
		.amdhsa_exception_fp_ieee_div_zero 0
		.amdhsa_exception_fp_ieee_overflow 0
		.amdhsa_exception_fp_ieee_underflow 0
		.amdhsa_exception_fp_ieee_inexact 0
		.amdhsa_exception_int_div_zero 0
	.end_amdhsa_kernel
	.section	.text._ZN7rocprim17ROCPRIM_400000_NS6detail17trampoline_kernelINS0_14default_configENS1_35radix_sort_onesweep_config_selectorIsNS0_10empty_typeEEEZZNS1_29radix_sort_onesweep_iterationIS3_Lb0EN6thrust23THRUST_200600_302600_NS6detail15normal_iteratorINS9_10device_ptrIsEEEESE_PS5_SF_jNS0_19identity_decomposerENS1_16block_id_wrapperIjLb0EEEEE10hipError_tT1_PNSt15iterator_traitsISK_E10value_typeET2_T3_PNSL_ISQ_E10value_typeET4_T5_PSV_SW_PNS1_23onesweep_lookback_stateEbbT6_jjT7_P12ihipStream_tbENKUlT_T0_SK_SP_E_clISE_PsSF_SF_EEDaS13_S14_SK_SP_EUlS13_E_NS1_11comp_targetILNS1_3genE10ELNS1_11target_archE1201ELNS1_3gpuE5ELNS1_3repE0EEENS1_47radix_sort_onesweep_sort_config_static_selectorELNS0_4arch9wavefront6targetE1EEEvSK_,"axG",@progbits,_ZN7rocprim17ROCPRIM_400000_NS6detail17trampoline_kernelINS0_14default_configENS1_35radix_sort_onesweep_config_selectorIsNS0_10empty_typeEEEZZNS1_29radix_sort_onesweep_iterationIS3_Lb0EN6thrust23THRUST_200600_302600_NS6detail15normal_iteratorINS9_10device_ptrIsEEEESE_PS5_SF_jNS0_19identity_decomposerENS1_16block_id_wrapperIjLb0EEEEE10hipError_tT1_PNSt15iterator_traitsISK_E10value_typeET2_T3_PNSL_ISQ_E10value_typeET4_T5_PSV_SW_PNS1_23onesweep_lookback_stateEbbT6_jjT7_P12ihipStream_tbENKUlT_T0_SK_SP_E_clISE_PsSF_SF_EEDaS13_S14_SK_SP_EUlS13_E_NS1_11comp_targetILNS1_3genE10ELNS1_11target_archE1201ELNS1_3gpuE5ELNS1_3repE0EEENS1_47radix_sort_onesweep_sort_config_static_selectorELNS0_4arch9wavefront6targetE1EEEvSK_,comdat
.Lfunc_end1992:
	.size	_ZN7rocprim17ROCPRIM_400000_NS6detail17trampoline_kernelINS0_14default_configENS1_35radix_sort_onesweep_config_selectorIsNS0_10empty_typeEEEZZNS1_29radix_sort_onesweep_iterationIS3_Lb0EN6thrust23THRUST_200600_302600_NS6detail15normal_iteratorINS9_10device_ptrIsEEEESE_PS5_SF_jNS0_19identity_decomposerENS1_16block_id_wrapperIjLb0EEEEE10hipError_tT1_PNSt15iterator_traitsISK_E10value_typeET2_T3_PNSL_ISQ_E10value_typeET4_T5_PSV_SW_PNS1_23onesweep_lookback_stateEbbT6_jjT7_P12ihipStream_tbENKUlT_T0_SK_SP_E_clISE_PsSF_SF_EEDaS13_S14_SK_SP_EUlS13_E_NS1_11comp_targetILNS1_3genE10ELNS1_11target_archE1201ELNS1_3gpuE5ELNS1_3repE0EEENS1_47radix_sort_onesweep_sort_config_static_selectorELNS0_4arch9wavefront6targetE1EEEvSK_, .Lfunc_end1992-_ZN7rocprim17ROCPRIM_400000_NS6detail17trampoline_kernelINS0_14default_configENS1_35radix_sort_onesweep_config_selectorIsNS0_10empty_typeEEEZZNS1_29radix_sort_onesweep_iterationIS3_Lb0EN6thrust23THRUST_200600_302600_NS6detail15normal_iteratorINS9_10device_ptrIsEEEESE_PS5_SF_jNS0_19identity_decomposerENS1_16block_id_wrapperIjLb0EEEEE10hipError_tT1_PNSt15iterator_traitsISK_E10value_typeET2_T3_PNSL_ISQ_E10value_typeET4_T5_PSV_SW_PNS1_23onesweep_lookback_stateEbbT6_jjT7_P12ihipStream_tbENKUlT_T0_SK_SP_E_clISE_PsSF_SF_EEDaS13_S14_SK_SP_EUlS13_E_NS1_11comp_targetILNS1_3genE10ELNS1_11target_archE1201ELNS1_3gpuE5ELNS1_3repE0EEENS1_47radix_sort_onesweep_sort_config_static_selectorELNS0_4arch9wavefront6targetE1EEEvSK_
                                        ; -- End function
	.section	.AMDGPU.csdata,"",@progbits
; Kernel info:
; codeLenInByte = 0
; NumSgprs: 4
; NumVgprs: 0
; NumAgprs: 0
; TotalNumVgprs: 0
; ScratchSize: 0
; MemoryBound: 0
; FloatMode: 240
; IeeeMode: 1
; LDSByteSize: 0 bytes/workgroup (compile time only)
; SGPRBlocks: 0
; VGPRBlocks: 0
; NumSGPRsForWavesPerEU: 4
; NumVGPRsForWavesPerEU: 1
; AccumOffset: 4
; Occupancy: 8
; WaveLimiterHint : 0
; COMPUTE_PGM_RSRC2:SCRATCH_EN: 0
; COMPUTE_PGM_RSRC2:USER_SGPR: 6
; COMPUTE_PGM_RSRC2:TRAP_HANDLER: 0
; COMPUTE_PGM_RSRC2:TGID_X_EN: 1
; COMPUTE_PGM_RSRC2:TGID_Y_EN: 0
; COMPUTE_PGM_RSRC2:TGID_Z_EN: 0
; COMPUTE_PGM_RSRC2:TIDIG_COMP_CNT: 0
; COMPUTE_PGM_RSRC3_GFX90A:ACCUM_OFFSET: 0
; COMPUTE_PGM_RSRC3_GFX90A:TG_SPLIT: 0
	.section	.text._ZN7rocprim17ROCPRIM_400000_NS6detail17trampoline_kernelINS0_14default_configENS1_35radix_sort_onesweep_config_selectorIsNS0_10empty_typeEEEZZNS1_29radix_sort_onesweep_iterationIS3_Lb0EN6thrust23THRUST_200600_302600_NS6detail15normal_iteratorINS9_10device_ptrIsEEEESE_PS5_SF_jNS0_19identity_decomposerENS1_16block_id_wrapperIjLb0EEEEE10hipError_tT1_PNSt15iterator_traitsISK_E10value_typeET2_T3_PNSL_ISQ_E10value_typeET4_T5_PSV_SW_PNS1_23onesweep_lookback_stateEbbT6_jjT7_P12ihipStream_tbENKUlT_T0_SK_SP_E_clISE_PsSF_SF_EEDaS13_S14_SK_SP_EUlS13_E_NS1_11comp_targetILNS1_3genE9ELNS1_11target_archE1100ELNS1_3gpuE3ELNS1_3repE0EEENS1_47radix_sort_onesweep_sort_config_static_selectorELNS0_4arch9wavefront6targetE1EEEvSK_,"axG",@progbits,_ZN7rocprim17ROCPRIM_400000_NS6detail17trampoline_kernelINS0_14default_configENS1_35radix_sort_onesweep_config_selectorIsNS0_10empty_typeEEEZZNS1_29radix_sort_onesweep_iterationIS3_Lb0EN6thrust23THRUST_200600_302600_NS6detail15normal_iteratorINS9_10device_ptrIsEEEESE_PS5_SF_jNS0_19identity_decomposerENS1_16block_id_wrapperIjLb0EEEEE10hipError_tT1_PNSt15iterator_traitsISK_E10value_typeET2_T3_PNSL_ISQ_E10value_typeET4_T5_PSV_SW_PNS1_23onesweep_lookback_stateEbbT6_jjT7_P12ihipStream_tbENKUlT_T0_SK_SP_E_clISE_PsSF_SF_EEDaS13_S14_SK_SP_EUlS13_E_NS1_11comp_targetILNS1_3genE9ELNS1_11target_archE1100ELNS1_3gpuE3ELNS1_3repE0EEENS1_47radix_sort_onesweep_sort_config_static_selectorELNS0_4arch9wavefront6targetE1EEEvSK_,comdat
	.protected	_ZN7rocprim17ROCPRIM_400000_NS6detail17trampoline_kernelINS0_14default_configENS1_35radix_sort_onesweep_config_selectorIsNS0_10empty_typeEEEZZNS1_29radix_sort_onesweep_iterationIS3_Lb0EN6thrust23THRUST_200600_302600_NS6detail15normal_iteratorINS9_10device_ptrIsEEEESE_PS5_SF_jNS0_19identity_decomposerENS1_16block_id_wrapperIjLb0EEEEE10hipError_tT1_PNSt15iterator_traitsISK_E10value_typeET2_T3_PNSL_ISQ_E10value_typeET4_T5_PSV_SW_PNS1_23onesweep_lookback_stateEbbT6_jjT7_P12ihipStream_tbENKUlT_T0_SK_SP_E_clISE_PsSF_SF_EEDaS13_S14_SK_SP_EUlS13_E_NS1_11comp_targetILNS1_3genE9ELNS1_11target_archE1100ELNS1_3gpuE3ELNS1_3repE0EEENS1_47radix_sort_onesweep_sort_config_static_selectorELNS0_4arch9wavefront6targetE1EEEvSK_ ; -- Begin function _ZN7rocprim17ROCPRIM_400000_NS6detail17trampoline_kernelINS0_14default_configENS1_35radix_sort_onesweep_config_selectorIsNS0_10empty_typeEEEZZNS1_29radix_sort_onesweep_iterationIS3_Lb0EN6thrust23THRUST_200600_302600_NS6detail15normal_iteratorINS9_10device_ptrIsEEEESE_PS5_SF_jNS0_19identity_decomposerENS1_16block_id_wrapperIjLb0EEEEE10hipError_tT1_PNSt15iterator_traitsISK_E10value_typeET2_T3_PNSL_ISQ_E10value_typeET4_T5_PSV_SW_PNS1_23onesweep_lookback_stateEbbT6_jjT7_P12ihipStream_tbENKUlT_T0_SK_SP_E_clISE_PsSF_SF_EEDaS13_S14_SK_SP_EUlS13_E_NS1_11comp_targetILNS1_3genE9ELNS1_11target_archE1100ELNS1_3gpuE3ELNS1_3repE0EEENS1_47radix_sort_onesweep_sort_config_static_selectorELNS0_4arch9wavefront6targetE1EEEvSK_
	.globl	_ZN7rocprim17ROCPRIM_400000_NS6detail17trampoline_kernelINS0_14default_configENS1_35radix_sort_onesweep_config_selectorIsNS0_10empty_typeEEEZZNS1_29radix_sort_onesweep_iterationIS3_Lb0EN6thrust23THRUST_200600_302600_NS6detail15normal_iteratorINS9_10device_ptrIsEEEESE_PS5_SF_jNS0_19identity_decomposerENS1_16block_id_wrapperIjLb0EEEEE10hipError_tT1_PNSt15iterator_traitsISK_E10value_typeET2_T3_PNSL_ISQ_E10value_typeET4_T5_PSV_SW_PNS1_23onesweep_lookback_stateEbbT6_jjT7_P12ihipStream_tbENKUlT_T0_SK_SP_E_clISE_PsSF_SF_EEDaS13_S14_SK_SP_EUlS13_E_NS1_11comp_targetILNS1_3genE9ELNS1_11target_archE1100ELNS1_3gpuE3ELNS1_3repE0EEENS1_47radix_sort_onesweep_sort_config_static_selectorELNS0_4arch9wavefront6targetE1EEEvSK_
	.p2align	8
	.type	_ZN7rocprim17ROCPRIM_400000_NS6detail17trampoline_kernelINS0_14default_configENS1_35radix_sort_onesweep_config_selectorIsNS0_10empty_typeEEEZZNS1_29radix_sort_onesweep_iterationIS3_Lb0EN6thrust23THRUST_200600_302600_NS6detail15normal_iteratorINS9_10device_ptrIsEEEESE_PS5_SF_jNS0_19identity_decomposerENS1_16block_id_wrapperIjLb0EEEEE10hipError_tT1_PNSt15iterator_traitsISK_E10value_typeET2_T3_PNSL_ISQ_E10value_typeET4_T5_PSV_SW_PNS1_23onesweep_lookback_stateEbbT6_jjT7_P12ihipStream_tbENKUlT_T0_SK_SP_E_clISE_PsSF_SF_EEDaS13_S14_SK_SP_EUlS13_E_NS1_11comp_targetILNS1_3genE9ELNS1_11target_archE1100ELNS1_3gpuE3ELNS1_3repE0EEENS1_47radix_sort_onesweep_sort_config_static_selectorELNS0_4arch9wavefront6targetE1EEEvSK_,@function
_ZN7rocprim17ROCPRIM_400000_NS6detail17trampoline_kernelINS0_14default_configENS1_35radix_sort_onesweep_config_selectorIsNS0_10empty_typeEEEZZNS1_29radix_sort_onesweep_iterationIS3_Lb0EN6thrust23THRUST_200600_302600_NS6detail15normal_iteratorINS9_10device_ptrIsEEEESE_PS5_SF_jNS0_19identity_decomposerENS1_16block_id_wrapperIjLb0EEEEE10hipError_tT1_PNSt15iterator_traitsISK_E10value_typeET2_T3_PNSL_ISQ_E10value_typeET4_T5_PSV_SW_PNS1_23onesweep_lookback_stateEbbT6_jjT7_P12ihipStream_tbENKUlT_T0_SK_SP_E_clISE_PsSF_SF_EEDaS13_S14_SK_SP_EUlS13_E_NS1_11comp_targetILNS1_3genE9ELNS1_11target_archE1100ELNS1_3gpuE3ELNS1_3repE0EEENS1_47radix_sort_onesweep_sort_config_static_selectorELNS0_4arch9wavefront6targetE1EEEvSK_: ; @_ZN7rocprim17ROCPRIM_400000_NS6detail17trampoline_kernelINS0_14default_configENS1_35radix_sort_onesweep_config_selectorIsNS0_10empty_typeEEEZZNS1_29radix_sort_onesweep_iterationIS3_Lb0EN6thrust23THRUST_200600_302600_NS6detail15normal_iteratorINS9_10device_ptrIsEEEESE_PS5_SF_jNS0_19identity_decomposerENS1_16block_id_wrapperIjLb0EEEEE10hipError_tT1_PNSt15iterator_traitsISK_E10value_typeET2_T3_PNSL_ISQ_E10value_typeET4_T5_PSV_SW_PNS1_23onesweep_lookback_stateEbbT6_jjT7_P12ihipStream_tbENKUlT_T0_SK_SP_E_clISE_PsSF_SF_EEDaS13_S14_SK_SP_EUlS13_E_NS1_11comp_targetILNS1_3genE9ELNS1_11target_archE1100ELNS1_3gpuE3ELNS1_3repE0EEENS1_47radix_sort_onesweep_sort_config_static_selectorELNS0_4arch9wavefront6targetE1EEEvSK_
; %bb.0:
	.section	.rodata,"a",@progbits
	.p2align	6, 0x0
	.amdhsa_kernel _ZN7rocprim17ROCPRIM_400000_NS6detail17trampoline_kernelINS0_14default_configENS1_35radix_sort_onesweep_config_selectorIsNS0_10empty_typeEEEZZNS1_29radix_sort_onesweep_iterationIS3_Lb0EN6thrust23THRUST_200600_302600_NS6detail15normal_iteratorINS9_10device_ptrIsEEEESE_PS5_SF_jNS0_19identity_decomposerENS1_16block_id_wrapperIjLb0EEEEE10hipError_tT1_PNSt15iterator_traitsISK_E10value_typeET2_T3_PNSL_ISQ_E10value_typeET4_T5_PSV_SW_PNS1_23onesweep_lookback_stateEbbT6_jjT7_P12ihipStream_tbENKUlT_T0_SK_SP_E_clISE_PsSF_SF_EEDaS13_S14_SK_SP_EUlS13_E_NS1_11comp_targetILNS1_3genE9ELNS1_11target_archE1100ELNS1_3gpuE3ELNS1_3repE0EEENS1_47radix_sort_onesweep_sort_config_static_selectorELNS0_4arch9wavefront6targetE1EEEvSK_
		.amdhsa_group_segment_fixed_size 0
		.amdhsa_private_segment_fixed_size 0
		.amdhsa_kernarg_size 88
		.amdhsa_user_sgpr_count 6
		.amdhsa_user_sgpr_private_segment_buffer 1
		.amdhsa_user_sgpr_dispatch_ptr 0
		.amdhsa_user_sgpr_queue_ptr 0
		.amdhsa_user_sgpr_kernarg_segment_ptr 1
		.amdhsa_user_sgpr_dispatch_id 0
		.amdhsa_user_sgpr_flat_scratch_init 0
		.amdhsa_user_sgpr_kernarg_preload_length 0
		.amdhsa_user_sgpr_kernarg_preload_offset 0
		.amdhsa_user_sgpr_private_segment_size 0
		.amdhsa_uses_dynamic_stack 0
		.amdhsa_system_sgpr_private_segment_wavefront_offset 0
		.amdhsa_system_sgpr_workgroup_id_x 1
		.amdhsa_system_sgpr_workgroup_id_y 0
		.amdhsa_system_sgpr_workgroup_id_z 0
		.amdhsa_system_sgpr_workgroup_info 0
		.amdhsa_system_vgpr_workitem_id 0
		.amdhsa_next_free_vgpr 1
		.amdhsa_next_free_sgpr 0
		.amdhsa_accum_offset 4
		.amdhsa_reserve_vcc 0
		.amdhsa_reserve_flat_scratch 0
		.amdhsa_float_round_mode_32 0
		.amdhsa_float_round_mode_16_64 0
		.amdhsa_float_denorm_mode_32 3
		.amdhsa_float_denorm_mode_16_64 3
		.amdhsa_dx10_clamp 1
		.amdhsa_ieee_mode 1
		.amdhsa_fp16_overflow 0
		.amdhsa_tg_split 0
		.amdhsa_exception_fp_ieee_invalid_op 0
		.amdhsa_exception_fp_denorm_src 0
		.amdhsa_exception_fp_ieee_div_zero 0
		.amdhsa_exception_fp_ieee_overflow 0
		.amdhsa_exception_fp_ieee_underflow 0
		.amdhsa_exception_fp_ieee_inexact 0
		.amdhsa_exception_int_div_zero 0
	.end_amdhsa_kernel
	.section	.text._ZN7rocprim17ROCPRIM_400000_NS6detail17trampoline_kernelINS0_14default_configENS1_35radix_sort_onesweep_config_selectorIsNS0_10empty_typeEEEZZNS1_29radix_sort_onesweep_iterationIS3_Lb0EN6thrust23THRUST_200600_302600_NS6detail15normal_iteratorINS9_10device_ptrIsEEEESE_PS5_SF_jNS0_19identity_decomposerENS1_16block_id_wrapperIjLb0EEEEE10hipError_tT1_PNSt15iterator_traitsISK_E10value_typeET2_T3_PNSL_ISQ_E10value_typeET4_T5_PSV_SW_PNS1_23onesweep_lookback_stateEbbT6_jjT7_P12ihipStream_tbENKUlT_T0_SK_SP_E_clISE_PsSF_SF_EEDaS13_S14_SK_SP_EUlS13_E_NS1_11comp_targetILNS1_3genE9ELNS1_11target_archE1100ELNS1_3gpuE3ELNS1_3repE0EEENS1_47radix_sort_onesweep_sort_config_static_selectorELNS0_4arch9wavefront6targetE1EEEvSK_,"axG",@progbits,_ZN7rocprim17ROCPRIM_400000_NS6detail17trampoline_kernelINS0_14default_configENS1_35radix_sort_onesweep_config_selectorIsNS0_10empty_typeEEEZZNS1_29radix_sort_onesweep_iterationIS3_Lb0EN6thrust23THRUST_200600_302600_NS6detail15normal_iteratorINS9_10device_ptrIsEEEESE_PS5_SF_jNS0_19identity_decomposerENS1_16block_id_wrapperIjLb0EEEEE10hipError_tT1_PNSt15iterator_traitsISK_E10value_typeET2_T3_PNSL_ISQ_E10value_typeET4_T5_PSV_SW_PNS1_23onesweep_lookback_stateEbbT6_jjT7_P12ihipStream_tbENKUlT_T0_SK_SP_E_clISE_PsSF_SF_EEDaS13_S14_SK_SP_EUlS13_E_NS1_11comp_targetILNS1_3genE9ELNS1_11target_archE1100ELNS1_3gpuE3ELNS1_3repE0EEENS1_47radix_sort_onesweep_sort_config_static_selectorELNS0_4arch9wavefront6targetE1EEEvSK_,comdat
.Lfunc_end1993:
	.size	_ZN7rocprim17ROCPRIM_400000_NS6detail17trampoline_kernelINS0_14default_configENS1_35radix_sort_onesweep_config_selectorIsNS0_10empty_typeEEEZZNS1_29radix_sort_onesweep_iterationIS3_Lb0EN6thrust23THRUST_200600_302600_NS6detail15normal_iteratorINS9_10device_ptrIsEEEESE_PS5_SF_jNS0_19identity_decomposerENS1_16block_id_wrapperIjLb0EEEEE10hipError_tT1_PNSt15iterator_traitsISK_E10value_typeET2_T3_PNSL_ISQ_E10value_typeET4_T5_PSV_SW_PNS1_23onesweep_lookback_stateEbbT6_jjT7_P12ihipStream_tbENKUlT_T0_SK_SP_E_clISE_PsSF_SF_EEDaS13_S14_SK_SP_EUlS13_E_NS1_11comp_targetILNS1_3genE9ELNS1_11target_archE1100ELNS1_3gpuE3ELNS1_3repE0EEENS1_47radix_sort_onesweep_sort_config_static_selectorELNS0_4arch9wavefront6targetE1EEEvSK_, .Lfunc_end1993-_ZN7rocprim17ROCPRIM_400000_NS6detail17trampoline_kernelINS0_14default_configENS1_35radix_sort_onesweep_config_selectorIsNS0_10empty_typeEEEZZNS1_29radix_sort_onesweep_iterationIS3_Lb0EN6thrust23THRUST_200600_302600_NS6detail15normal_iteratorINS9_10device_ptrIsEEEESE_PS5_SF_jNS0_19identity_decomposerENS1_16block_id_wrapperIjLb0EEEEE10hipError_tT1_PNSt15iterator_traitsISK_E10value_typeET2_T3_PNSL_ISQ_E10value_typeET4_T5_PSV_SW_PNS1_23onesweep_lookback_stateEbbT6_jjT7_P12ihipStream_tbENKUlT_T0_SK_SP_E_clISE_PsSF_SF_EEDaS13_S14_SK_SP_EUlS13_E_NS1_11comp_targetILNS1_3genE9ELNS1_11target_archE1100ELNS1_3gpuE3ELNS1_3repE0EEENS1_47radix_sort_onesweep_sort_config_static_selectorELNS0_4arch9wavefront6targetE1EEEvSK_
                                        ; -- End function
	.section	.AMDGPU.csdata,"",@progbits
; Kernel info:
; codeLenInByte = 0
; NumSgprs: 4
; NumVgprs: 0
; NumAgprs: 0
; TotalNumVgprs: 0
; ScratchSize: 0
; MemoryBound: 0
; FloatMode: 240
; IeeeMode: 1
; LDSByteSize: 0 bytes/workgroup (compile time only)
; SGPRBlocks: 0
; VGPRBlocks: 0
; NumSGPRsForWavesPerEU: 4
; NumVGPRsForWavesPerEU: 1
; AccumOffset: 4
; Occupancy: 8
; WaveLimiterHint : 0
; COMPUTE_PGM_RSRC2:SCRATCH_EN: 0
; COMPUTE_PGM_RSRC2:USER_SGPR: 6
; COMPUTE_PGM_RSRC2:TRAP_HANDLER: 0
; COMPUTE_PGM_RSRC2:TGID_X_EN: 1
; COMPUTE_PGM_RSRC2:TGID_Y_EN: 0
; COMPUTE_PGM_RSRC2:TGID_Z_EN: 0
; COMPUTE_PGM_RSRC2:TIDIG_COMP_CNT: 0
; COMPUTE_PGM_RSRC3_GFX90A:ACCUM_OFFSET: 0
; COMPUTE_PGM_RSRC3_GFX90A:TG_SPLIT: 0
	.section	.text._ZN7rocprim17ROCPRIM_400000_NS6detail17trampoline_kernelINS0_14default_configENS1_35radix_sort_onesweep_config_selectorIsNS0_10empty_typeEEEZZNS1_29radix_sort_onesweep_iterationIS3_Lb0EN6thrust23THRUST_200600_302600_NS6detail15normal_iteratorINS9_10device_ptrIsEEEESE_PS5_SF_jNS0_19identity_decomposerENS1_16block_id_wrapperIjLb0EEEEE10hipError_tT1_PNSt15iterator_traitsISK_E10value_typeET2_T3_PNSL_ISQ_E10value_typeET4_T5_PSV_SW_PNS1_23onesweep_lookback_stateEbbT6_jjT7_P12ihipStream_tbENKUlT_T0_SK_SP_E_clISE_PsSF_SF_EEDaS13_S14_SK_SP_EUlS13_E_NS1_11comp_targetILNS1_3genE8ELNS1_11target_archE1030ELNS1_3gpuE2ELNS1_3repE0EEENS1_47radix_sort_onesweep_sort_config_static_selectorELNS0_4arch9wavefront6targetE1EEEvSK_,"axG",@progbits,_ZN7rocprim17ROCPRIM_400000_NS6detail17trampoline_kernelINS0_14default_configENS1_35radix_sort_onesweep_config_selectorIsNS0_10empty_typeEEEZZNS1_29radix_sort_onesweep_iterationIS3_Lb0EN6thrust23THRUST_200600_302600_NS6detail15normal_iteratorINS9_10device_ptrIsEEEESE_PS5_SF_jNS0_19identity_decomposerENS1_16block_id_wrapperIjLb0EEEEE10hipError_tT1_PNSt15iterator_traitsISK_E10value_typeET2_T3_PNSL_ISQ_E10value_typeET4_T5_PSV_SW_PNS1_23onesweep_lookback_stateEbbT6_jjT7_P12ihipStream_tbENKUlT_T0_SK_SP_E_clISE_PsSF_SF_EEDaS13_S14_SK_SP_EUlS13_E_NS1_11comp_targetILNS1_3genE8ELNS1_11target_archE1030ELNS1_3gpuE2ELNS1_3repE0EEENS1_47radix_sort_onesweep_sort_config_static_selectorELNS0_4arch9wavefront6targetE1EEEvSK_,comdat
	.protected	_ZN7rocprim17ROCPRIM_400000_NS6detail17trampoline_kernelINS0_14default_configENS1_35radix_sort_onesweep_config_selectorIsNS0_10empty_typeEEEZZNS1_29radix_sort_onesweep_iterationIS3_Lb0EN6thrust23THRUST_200600_302600_NS6detail15normal_iteratorINS9_10device_ptrIsEEEESE_PS5_SF_jNS0_19identity_decomposerENS1_16block_id_wrapperIjLb0EEEEE10hipError_tT1_PNSt15iterator_traitsISK_E10value_typeET2_T3_PNSL_ISQ_E10value_typeET4_T5_PSV_SW_PNS1_23onesweep_lookback_stateEbbT6_jjT7_P12ihipStream_tbENKUlT_T0_SK_SP_E_clISE_PsSF_SF_EEDaS13_S14_SK_SP_EUlS13_E_NS1_11comp_targetILNS1_3genE8ELNS1_11target_archE1030ELNS1_3gpuE2ELNS1_3repE0EEENS1_47radix_sort_onesweep_sort_config_static_selectorELNS0_4arch9wavefront6targetE1EEEvSK_ ; -- Begin function _ZN7rocprim17ROCPRIM_400000_NS6detail17trampoline_kernelINS0_14default_configENS1_35radix_sort_onesweep_config_selectorIsNS0_10empty_typeEEEZZNS1_29radix_sort_onesweep_iterationIS3_Lb0EN6thrust23THRUST_200600_302600_NS6detail15normal_iteratorINS9_10device_ptrIsEEEESE_PS5_SF_jNS0_19identity_decomposerENS1_16block_id_wrapperIjLb0EEEEE10hipError_tT1_PNSt15iterator_traitsISK_E10value_typeET2_T3_PNSL_ISQ_E10value_typeET4_T5_PSV_SW_PNS1_23onesweep_lookback_stateEbbT6_jjT7_P12ihipStream_tbENKUlT_T0_SK_SP_E_clISE_PsSF_SF_EEDaS13_S14_SK_SP_EUlS13_E_NS1_11comp_targetILNS1_3genE8ELNS1_11target_archE1030ELNS1_3gpuE2ELNS1_3repE0EEENS1_47radix_sort_onesweep_sort_config_static_selectorELNS0_4arch9wavefront6targetE1EEEvSK_
	.globl	_ZN7rocprim17ROCPRIM_400000_NS6detail17trampoline_kernelINS0_14default_configENS1_35radix_sort_onesweep_config_selectorIsNS0_10empty_typeEEEZZNS1_29radix_sort_onesweep_iterationIS3_Lb0EN6thrust23THRUST_200600_302600_NS6detail15normal_iteratorINS9_10device_ptrIsEEEESE_PS5_SF_jNS0_19identity_decomposerENS1_16block_id_wrapperIjLb0EEEEE10hipError_tT1_PNSt15iterator_traitsISK_E10value_typeET2_T3_PNSL_ISQ_E10value_typeET4_T5_PSV_SW_PNS1_23onesweep_lookback_stateEbbT6_jjT7_P12ihipStream_tbENKUlT_T0_SK_SP_E_clISE_PsSF_SF_EEDaS13_S14_SK_SP_EUlS13_E_NS1_11comp_targetILNS1_3genE8ELNS1_11target_archE1030ELNS1_3gpuE2ELNS1_3repE0EEENS1_47radix_sort_onesweep_sort_config_static_selectorELNS0_4arch9wavefront6targetE1EEEvSK_
	.p2align	8
	.type	_ZN7rocprim17ROCPRIM_400000_NS6detail17trampoline_kernelINS0_14default_configENS1_35radix_sort_onesweep_config_selectorIsNS0_10empty_typeEEEZZNS1_29radix_sort_onesweep_iterationIS3_Lb0EN6thrust23THRUST_200600_302600_NS6detail15normal_iteratorINS9_10device_ptrIsEEEESE_PS5_SF_jNS0_19identity_decomposerENS1_16block_id_wrapperIjLb0EEEEE10hipError_tT1_PNSt15iterator_traitsISK_E10value_typeET2_T3_PNSL_ISQ_E10value_typeET4_T5_PSV_SW_PNS1_23onesweep_lookback_stateEbbT6_jjT7_P12ihipStream_tbENKUlT_T0_SK_SP_E_clISE_PsSF_SF_EEDaS13_S14_SK_SP_EUlS13_E_NS1_11comp_targetILNS1_3genE8ELNS1_11target_archE1030ELNS1_3gpuE2ELNS1_3repE0EEENS1_47radix_sort_onesweep_sort_config_static_selectorELNS0_4arch9wavefront6targetE1EEEvSK_,@function
_ZN7rocprim17ROCPRIM_400000_NS6detail17trampoline_kernelINS0_14default_configENS1_35radix_sort_onesweep_config_selectorIsNS0_10empty_typeEEEZZNS1_29radix_sort_onesweep_iterationIS3_Lb0EN6thrust23THRUST_200600_302600_NS6detail15normal_iteratorINS9_10device_ptrIsEEEESE_PS5_SF_jNS0_19identity_decomposerENS1_16block_id_wrapperIjLb0EEEEE10hipError_tT1_PNSt15iterator_traitsISK_E10value_typeET2_T3_PNSL_ISQ_E10value_typeET4_T5_PSV_SW_PNS1_23onesweep_lookback_stateEbbT6_jjT7_P12ihipStream_tbENKUlT_T0_SK_SP_E_clISE_PsSF_SF_EEDaS13_S14_SK_SP_EUlS13_E_NS1_11comp_targetILNS1_3genE8ELNS1_11target_archE1030ELNS1_3gpuE2ELNS1_3repE0EEENS1_47radix_sort_onesweep_sort_config_static_selectorELNS0_4arch9wavefront6targetE1EEEvSK_: ; @_ZN7rocprim17ROCPRIM_400000_NS6detail17trampoline_kernelINS0_14default_configENS1_35radix_sort_onesweep_config_selectorIsNS0_10empty_typeEEEZZNS1_29radix_sort_onesweep_iterationIS3_Lb0EN6thrust23THRUST_200600_302600_NS6detail15normal_iteratorINS9_10device_ptrIsEEEESE_PS5_SF_jNS0_19identity_decomposerENS1_16block_id_wrapperIjLb0EEEEE10hipError_tT1_PNSt15iterator_traitsISK_E10value_typeET2_T3_PNSL_ISQ_E10value_typeET4_T5_PSV_SW_PNS1_23onesweep_lookback_stateEbbT6_jjT7_P12ihipStream_tbENKUlT_T0_SK_SP_E_clISE_PsSF_SF_EEDaS13_S14_SK_SP_EUlS13_E_NS1_11comp_targetILNS1_3genE8ELNS1_11target_archE1030ELNS1_3gpuE2ELNS1_3repE0EEENS1_47radix_sort_onesweep_sort_config_static_selectorELNS0_4arch9wavefront6targetE1EEEvSK_
; %bb.0:
	.section	.rodata,"a",@progbits
	.p2align	6, 0x0
	.amdhsa_kernel _ZN7rocprim17ROCPRIM_400000_NS6detail17trampoline_kernelINS0_14default_configENS1_35radix_sort_onesweep_config_selectorIsNS0_10empty_typeEEEZZNS1_29radix_sort_onesweep_iterationIS3_Lb0EN6thrust23THRUST_200600_302600_NS6detail15normal_iteratorINS9_10device_ptrIsEEEESE_PS5_SF_jNS0_19identity_decomposerENS1_16block_id_wrapperIjLb0EEEEE10hipError_tT1_PNSt15iterator_traitsISK_E10value_typeET2_T3_PNSL_ISQ_E10value_typeET4_T5_PSV_SW_PNS1_23onesweep_lookback_stateEbbT6_jjT7_P12ihipStream_tbENKUlT_T0_SK_SP_E_clISE_PsSF_SF_EEDaS13_S14_SK_SP_EUlS13_E_NS1_11comp_targetILNS1_3genE8ELNS1_11target_archE1030ELNS1_3gpuE2ELNS1_3repE0EEENS1_47radix_sort_onesweep_sort_config_static_selectorELNS0_4arch9wavefront6targetE1EEEvSK_
		.amdhsa_group_segment_fixed_size 0
		.amdhsa_private_segment_fixed_size 0
		.amdhsa_kernarg_size 88
		.amdhsa_user_sgpr_count 6
		.amdhsa_user_sgpr_private_segment_buffer 1
		.amdhsa_user_sgpr_dispatch_ptr 0
		.amdhsa_user_sgpr_queue_ptr 0
		.amdhsa_user_sgpr_kernarg_segment_ptr 1
		.amdhsa_user_sgpr_dispatch_id 0
		.amdhsa_user_sgpr_flat_scratch_init 0
		.amdhsa_user_sgpr_kernarg_preload_length 0
		.amdhsa_user_sgpr_kernarg_preload_offset 0
		.amdhsa_user_sgpr_private_segment_size 0
		.amdhsa_uses_dynamic_stack 0
		.amdhsa_system_sgpr_private_segment_wavefront_offset 0
		.amdhsa_system_sgpr_workgroup_id_x 1
		.amdhsa_system_sgpr_workgroup_id_y 0
		.amdhsa_system_sgpr_workgroup_id_z 0
		.amdhsa_system_sgpr_workgroup_info 0
		.amdhsa_system_vgpr_workitem_id 0
		.amdhsa_next_free_vgpr 1
		.amdhsa_next_free_sgpr 0
		.amdhsa_accum_offset 4
		.amdhsa_reserve_vcc 0
		.amdhsa_reserve_flat_scratch 0
		.amdhsa_float_round_mode_32 0
		.amdhsa_float_round_mode_16_64 0
		.amdhsa_float_denorm_mode_32 3
		.amdhsa_float_denorm_mode_16_64 3
		.amdhsa_dx10_clamp 1
		.amdhsa_ieee_mode 1
		.amdhsa_fp16_overflow 0
		.amdhsa_tg_split 0
		.amdhsa_exception_fp_ieee_invalid_op 0
		.amdhsa_exception_fp_denorm_src 0
		.amdhsa_exception_fp_ieee_div_zero 0
		.amdhsa_exception_fp_ieee_overflow 0
		.amdhsa_exception_fp_ieee_underflow 0
		.amdhsa_exception_fp_ieee_inexact 0
		.amdhsa_exception_int_div_zero 0
	.end_amdhsa_kernel
	.section	.text._ZN7rocprim17ROCPRIM_400000_NS6detail17trampoline_kernelINS0_14default_configENS1_35radix_sort_onesweep_config_selectorIsNS0_10empty_typeEEEZZNS1_29radix_sort_onesweep_iterationIS3_Lb0EN6thrust23THRUST_200600_302600_NS6detail15normal_iteratorINS9_10device_ptrIsEEEESE_PS5_SF_jNS0_19identity_decomposerENS1_16block_id_wrapperIjLb0EEEEE10hipError_tT1_PNSt15iterator_traitsISK_E10value_typeET2_T3_PNSL_ISQ_E10value_typeET4_T5_PSV_SW_PNS1_23onesweep_lookback_stateEbbT6_jjT7_P12ihipStream_tbENKUlT_T0_SK_SP_E_clISE_PsSF_SF_EEDaS13_S14_SK_SP_EUlS13_E_NS1_11comp_targetILNS1_3genE8ELNS1_11target_archE1030ELNS1_3gpuE2ELNS1_3repE0EEENS1_47radix_sort_onesweep_sort_config_static_selectorELNS0_4arch9wavefront6targetE1EEEvSK_,"axG",@progbits,_ZN7rocprim17ROCPRIM_400000_NS6detail17trampoline_kernelINS0_14default_configENS1_35radix_sort_onesweep_config_selectorIsNS0_10empty_typeEEEZZNS1_29radix_sort_onesweep_iterationIS3_Lb0EN6thrust23THRUST_200600_302600_NS6detail15normal_iteratorINS9_10device_ptrIsEEEESE_PS5_SF_jNS0_19identity_decomposerENS1_16block_id_wrapperIjLb0EEEEE10hipError_tT1_PNSt15iterator_traitsISK_E10value_typeET2_T3_PNSL_ISQ_E10value_typeET4_T5_PSV_SW_PNS1_23onesweep_lookback_stateEbbT6_jjT7_P12ihipStream_tbENKUlT_T0_SK_SP_E_clISE_PsSF_SF_EEDaS13_S14_SK_SP_EUlS13_E_NS1_11comp_targetILNS1_3genE8ELNS1_11target_archE1030ELNS1_3gpuE2ELNS1_3repE0EEENS1_47radix_sort_onesweep_sort_config_static_selectorELNS0_4arch9wavefront6targetE1EEEvSK_,comdat
.Lfunc_end1994:
	.size	_ZN7rocprim17ROCPRIM_400000_NS6detail17trampoline_kernelINS0_14default_configENS1_35radix_sort_onesweep_config_selectorIsNS0_10empty_typeEEEZZNS1_29radix_sort_onesweep_iterationIS3_Lb0EN6thrust23THRUST_200600_302600_NS6detail15normal_iteratorINS9_10device_ptrIsEEEESE_PS5_SF_jNS0_19identity_decomposerENS1_16block_id_wrapperIjLb0EEEEE10hipError_tT1_PNSt15iterator_traitsISK_E10value_typeET2_T3_PNSL_ISQ_E10value_typeET4_T5_PSV_SW_PNS1_23onesweep_lookback_stateEbbT6_jjT7_P12ihipStream_tbENKUlT_T0_SK_SP_E_clISE_PsSF_SF_EEDaS13_S14_SK_SP_EUlS13_E_NS1_11comp_targetILNS1_3genE8ELNS1_11target_archE1030ELNS1_3gpuE2ELNS1_3repE0EEENS1_47radix_sort_onesweep_sort_config_static_selectorELNS0_4arch9wavefront6targetE1EEEvSK_, .Lfunc_end1994-_ZN7rocprim17ROCPRIM_400000_NS6detail17trampoline_kernelINS0_14default_configENS1_35radix_sort_onesweep_config_selectorIsNS0_10empty_typeEEEZZNS1_29radix_sort_onesweep_iterationIS3_Lb0EN6thrust23THRUST_200600_302600_NS6detail15normal_iteratorINS9_10device_ptrIsEEEESE_PS5_SF_jNS0_19identity_decomposerENS1_16block_id_wrapperIjLb0EEEEE10hipError_tT1_PNSt15iterator_traitsISK_E10value_typeET2_T3_PNSL_ISQ_E10value_typeET4_T5_PSV_SW_PNS1_23onesweep_lookback_stateEbbT6_jjT7_P12ihipStream_tbENKUlT_T0_SK_SP_E_clISE_PsSF_SF_EEDaS13_S14_SK_SP_EUlS13_E_NS1_11comp_targetILNS1_3genE8ELNS1_11target_archE1030ELNS1_3gpuE2ELNS1_3repE0EEENS1_47radix_sort_onesweep_sort_config_static_selectorELNS0_4arch9wavefront6targetE1EEEvSK_
                                        ; -- End function
	.section	.AMDGPU.csdata,"",@progbits
; Kernel info:
; codeLenInByte = 0
; NumSgprs: 4
; NumVgprs: 0
; NumAgprs: 0
; TotalNumVgprs: 0
; ScratchSize: 0
; MemoryBound: 0
; FloatMode: 240
; IeeeMode: 1
; LDSByteSize: 0 bytes/workgroup (compile time only)
; SGPRBlocks: 0
; VGPRBlocks: 0
; NumSGPRsForWavesPerEU: 4
; NumVGPRsForWavesPerEU: 1
; AccumOffset: 4
; Occupancy: 8
; WaveLimiterHint : 0
; COMPUTE_PGM_RSRC2:SCRATCH_EN: 0
; COMPUTE_PGM_RSRC2:USER_SGPR: 6
; COMPUTE_PGM_RSRC2:TRAP_HANDLER: 0
; COMPUTE_PGM_RSRC2:TGID_X_EN: 1
; COMPUTE_PGM_RSRC2:TGID_Y_EN: 0
; COMPUTE_PGM_RSRC2:TGID_Z_EN: 0
; COMPUTE_PGM_RSRC2:TIDIG_COMP_CNT: 0
; COMPUTE_PGM_RSRC3_GFX90A:ACCUM_OFFSET: 0
; COMPUTE_PGM_RSRC3_GFX90A:TG_SPLIT: 0
	.section	.text._ZN7rocprim17ROCPRIM_400000_NS6detail17trampoline_kernelINS0_14default_configENS1_35radix_sort_onesweep_config_selectorIsNS0_10empty_typeEEEZZNS1_29radix_sort_onesweep_iterationIS3_Lb0EN6thrust23THRUST_200600_302600_NS6detail15normal_iteratorINS9_10device_ptrIsEEEESE_PS5_SF_jNS0_19identity_decomposerENS1_16block_id_wrapperIjLb0EEEEE10hipError_tT1_PNSt15iterator_traitsISK_E10value_typeET2_T3_PNSL_ISQ_E10value_typeET4_T5_PSV_SW_PNS1_23onesweep_lookback_stateEbbT6_jjT7_P12ihipStream_tbENKUlT_T0_SK_SP_E_clIPsSE_SF_SF_EEDaS13_S14_SK_SP_EUlS13_E_NS1_11comp_targetILNS1_3genE0ELNS1_11target_archE4294967295ELNS1_3gpuE0ELNS1_3repE0EEENS1_47radix_sort_onesweep_sort_config_static_selectorELNS0_4arch9wavefront6targetE1EEEvSK_,"axG",@progbits,_ZN7rocprim17ROCPRIM_400000_NS6detail17trampoline_kernelINS0_14default_configENS1_35radix_sort_onesweep_config_selectorIsNS0_10empty_typeEEEZZNS1_29radix_sort_onesweep_iterationIS3_Lb0EN6thrust23THRUST_200600_302600_NS6detail15normal_iteratorINS9_10device_ptrIsEEEESE_PS5_SF_jNS0_19identity_decomposerENS1_16block_id_wrapperIjLb0EEEEE10hipError_tT1_PNSt15iterator_traitsISK_E10value_typeET2_T3_PNSL_ISQ_E10value_typeET4_T5_PSV_SW_PNS1_23onesweep_lookback_stateEbbT6_jjT7_P12ihipStream_tbENKUlT_T0_SK_SP_E_clIPsSE_SF_SF_EEDaS13_S14_SK_SP_EUlS13_E_NS1_11comp_targetILNS1_3genE0ELNS1_11target_archE4294967295ELNS1_3gpuE0ELNS1_3repE0EEENS1_47radix_sort_onesweep_sort_config_static_selectorELNS0_4arch9wavefront6targetE1EEEvSK_,comdat
	.protected	_ZN7rocprim17ROCPRIM_400000_NS6detail17trampoline_kernelINS0_14default_configENS1_35radix_sort_onesweep_config_selectorIsNS0_10empty_typeEEEZZNS1_29radix_sort_onesweep_iterationIS3_Lb0EN6thrust23THRUST_200600_302600_NS6detail15normal_iteratorINS9_10device_ptrIsEEEESE_PS5_SF_jNS0_19identity_decomposerENS1_16block_id_wrapperIjLb0EEEEE10hipError_tT1_PNSt15iterator_traitsISK_E10value_typeET2_T3_PNSL_ISQ_E10value_typeET4_T5_PSV_SW_PNS1_23onesweep_lookback_stateEbbT6_jjT7_P12ihipStream_tbENKUlT_T0_SK_SP_E_clIPsSE_SF_SF_EEDaS13_S14_SK_SP_EUlS13_E_NS1_11comp_targetILNS1_3genE0ELNS1_11target_archE4294967295ELNS1_3gpuE0ELNS1_3repE0EEENS1_47radix_sort_onesweep_sort_config_static_selectorELNS0_4arch9wavefront6targetE1EEEvSK_ ; -- Begin function _ZN7rocprim17ROCPRIM_400000_NS6detail17trampoline_kernelINS0_14default_configENS1_35radix_sort_onesweep_config_selectorIsNS0_10empty_typeEEEZZNS1_29radix_sort_onesweep_iterationIS3_Lb0EN6thrust23THRUST_200600_302600_NS6detail15normal_iteratorINS9_10device_ptrIsEEEESE_PS5_SF_jNS0_19identity_decomposerENS1_16block_id_wrapperIjLb0EEEEE10hipError_tT1_PNSt15iterator_traitsISK_E10value_typeET2_T3_PNSL_ISQ_E10value_typeET4_T5_PSV_SW_PNS1_23onesweep_lookback_stateEbbT6_jjT7_P12ihipStream_tbENKUlT_T0_SK_SP_E_clIPsSE_SF_SF_EEDaS13_S14_SK_SP_EUlS13_E_NS1_11comp_targetILNS1_3genE0ELNS1_11target_archE4294967295ELNS1_3gpuE0ELNS1_3repE0EEENS1_47radix_sort_onesweep_sort_config_static_selectorELNS0_4arch9wavefront6targetE1EEEvSK_
	.globl	_ZN7rocprim17ROCPRIM_400000_NS6detail17trampoline_kernelINS0_14default_configENS1_35radix_sort_onesweep_config_selectorIsNS0_10empty_typeEEEZZNS1_29radix_sort_onesweep_iterationIS3_Lb0EN6thrust23THRUST_200600_302600_NS6detail15normal_iteratorINS9_10device_ptrIsEEEESE_PS5_SF_jNS0_19identity_decomposerENS1_16block_id_wrapperIjLb0EEEEE10hipError_tT1_PNSt15iterator_traitsISK_E10value_typeET2_T3_PNSL_ISQ_E10value_typeET4_T5_PSV_SW_PNS1_23onesweep_lookback_stateEbbT6_jjT7_P12ihipStream_tbENKUlT_T0_SK_SP_E_clIPsSE_SF_SF_EEDaS13_S14_SK_SP_EUlS13_E_NS1_11comp_targetILNS1_3genE0ELNS1_11target_archE4294967295ELNS1_3gpuE0ELNS1_3repE0EEENS1_47radix_sort_onesweep_sort_config_static_selectorELNS0_4arch9wavefront6targetE1EEEvSK_
	.p2align	8
	.type	_ZN7rocprim17ROCPRIM_400000_NS6detail17trampoline_kernelINS0_14default_configENS1_35radix_sort_onesweep_config_selectorIsNS0_10empty_typeEEEZZNS1_29radix_sort_onesweep_iterationIS3_Lb0EN6thrust23THRUST_200600_302600_NS6detail15normal_iteratorINS9_10device_ptrIsEEEESE_PS5_SF_jNS0_19identity_decomposerENS1_16block_id_wrapperIjLb0EEEEE10hipError_tT1_PNSt15iterator_traitsISK_E10value_typeET2_T3_PNSL_ISQ_E10value_typeET4_T5_PSV_SW_PNS1_23onesweep_lookback_stateEbbT6_jjT7_P12ihipStream_tbENKUlT_T0_SK_SP_E_clIPsSE_SF_SF_EEDaS13_S14_SK_SP_EUlS13_E_NS1_11comp_targetILNS1_3genE0ELNS1_11target_archE4294967295ELNS1_3gpuE0ELNS1_3repE0EEENS1_47radix_sort_onesweep_sort_config_static_selectorELNS0_4arch9wavefront6targetE1EEEvSK_,@function
_ZN7rocprim17ROCPRIM_400000_NS6detail17trampoline_kernelINS0_14default_configENS1_35radix_sort_onesweep_config_selectorIsNS0_10empty_typeEEEZZNS1_29radix_sort_onesweep_iterationIS3_Lb0EN6thrust23THRUST_200600_302600_NS6detail15normal_iteratorINS9_10device_ptrIsEEEESE_PS5_SF_jNS0_19identity_decomposerENS1_16block_id_wrapperIjLb0EEEEE10hipError_tT1_PNSt15iterator_traitsISK_E10value_typeET2_T3_PNSL_ISQ_E10value_typeET4_T5_PSV_SW_PNS1_23onesweep_lookback_stateEbbT6_jjT7_P12ihipStream_tbENKUlT_T0_SK_SP_E_clIPsSE_SF_SF_EEDaS13_S14_SK_SP_EUlS13_E_NS1_11comp_targetILNS1_3genE0ELNS1_11target_archE4294967295ELNS1_3gpuE0ELNS1_3repE0EEENS1_47radix_sort_onesweep_sort_config_static_selectorELNS0_4arch9wavefront6targetE1EEEvSK_: ; @_ZN7rocprim17ROCPRIM_400000_NS6detail17trampoline_kernelINS0_14default_configENS1_35radix_sort_onesweep_config_selectorIsNS0_10empty_typeEEEZZNS1_29radix_sort_onesweep_iterationIS3_Lb0EN6thrust23THRUST_200600_302600_NS6detail15normal_iteratorINS9_10device_ptrIsEEEESE_PS5_SF_jNS0_19identity_decomposerENS1_16block_id_wrapperIjLb0EEEEE10hipError_tT1_PNSt15iterator_traitsISK_E10value_typeET2_T3_PNSL_ISQ_E10value_typeET4_T5_PSV_SW_PNS1_23onesweep_lookback_stateEbbT6_jjT7_P12ihipStream_tbENKUlT_T0_SK_SP_E_clIPsSE_SF_SF_EEDaS13_S14_SK_SP_EUlS13_E_NS1_11comp_targetILNS1_3genE0ELNS1_11target_archE4294967295ELNS1_3gpuE0ELNS1_3repE0EEENS1_47radix_sort_onesweep_sort_config_static_selectorELNS0_4arch9wavefront6targetE1EEEvSK_
; %bb.0:
	.section	.rodata,"a",@progbits
	.p2align	6, 0x0
	.amdhsa_kernel _ZN7rocprim17ROCPRIM_400000_NS6detail17trampoline_kernelINS0_14default_configENS1_35radix_sort_onesweep_config_selectorIsNS0_10empty_typeEEEZZNS1_29radix_sort_onesweep_iterationIS3_Lb0EN6thrust23THRUST_200600_302600_NS6detail15normal_iteratorINS9_10device_ptrIsEEEESE_PS5_SF_jNS0_19identity_decomposerENS1_16block_id_wrapperIjLb0EEEEE10hipError_tT1_PNSt15iterator_traitsISK_E10value_typeET2_T3_PNSL_ISQ_E10value_typeET4_T5_PSV_SW_PNS1_23onesweep_lookback_stateEbbT6_jjT7_P12ihipStream_tbENKUlT_T0_SK_SP_E_clIPsSE_SF_SF_EEDaS13_S14_SK_SP_EUlS13_E_NS1_11comp_targetILNS1_3genE0ELNS1_11target_archE4294967295ELNS1_3gpuE0ELNS1_3repE0EEENS1_47radix_sort_onesweep_sort_config_static_selectorELNS0_4arch9wavefront6targetE1EEEvSK_
		.amdhsa_group_segment_fixed_size 0
		.amdhsa_private_segment_fixed_size 0
		.amdhsa_kernarg_size 88
		.amdhsa_user_sgpr_count 6
		.amdhsa_user_sgpr_private_segment_buffer 1
		.amdhsa_user_sgpr_dispatch_ptr 0
		.amdhsa_user_sgpr_queue_ptr 0
		.amdhsa_user_sgpr_kernarg_segment_ptr 1
		.amdhsa_user_sgpr_dispatch_id 0
		.amdhsa_user_sgpr_flat_scratch_init 0
		.amdhsa_user_sgpr_kernarg_preload_length 0
		.amdhsa_user_sgpr_kernarg_preload_offset 0
		.amdhsa_user_sgpr_private_segment_size 0
		.amdhsa_uses_dynamic_stack 0
		.amdhsa_system_sgpr_private_segment_wavefront_offset 0
		.amdhsa_system_sgpr_workgroup_id_x 1
		.amdhsa_system_sgpr_workgroup_id_y 0
		.amdhsa_system_sgpr_workgroup_id_z 0
		.amdhsa_system_sgpr_workgroup_info 0
		.amdhsa_system_vgpr_workitem_id 0
		.amdhsa_next_free_vgpr 1
		.amdhsa_next_free_sgpr 0
		.amdhsa_accum_offset 4
		.amdhsa_reserve_vcc 0
		.amdhsa_reserve_flat_scratch 0
		.amdhsa_float_round_mode_32 0
		.amdhsa_float_round_mode_16_64 0
		.amdhsa_float_denorm_mode_32 3
		.amdhsa_float_denorm_mode_16_64 3
		.amdhsa_dx10_clamp 1
		.amdhsa_ieee_mode 1
		.amdhsa_fp16_overflow 0
		.amdhsa_tg_split 0
		.amdhsa_exception_fp_ieee_invalid_op 0
		.amdhsa_exception_fp_denorm_src 0
		.amdhsa_exception_fp_ieee_div_zero 0
		.amdhsa_exception_fp_ieee_overflow 0
		.amdhsa_exception_fp_ieee_underflow 0
		.amdhsa_exception_fp_ieee_inexact 0
		.amdhsa_exception_int_div_zero 0
	.end_amdhsa_kernel
	.section	.text._ZN7rocprim17ROCPRIM_400000_NS6detail17trampoline_kernelINS0_14default_configENS1_35radix_sort_onesweep_config_selectorIsNS0_10empty_typeEEEZZNS1_29radix_sort_onesweep_iterationIS3_Lb0EN6thrust23THRUST_200600_302600_NS6detail15normal_iteratorINS9_10device_ptrIsEEEESE_PS5_SF_jNS0_19identity_decomposerENS1_16block_id_wrapperIjLb0EEEEE10hipError_tT1_PNSt15iterator_traitsISK_E10value_typeET2_T3_PNSL_ISQ_E10value_typeET4_T5_PSV_SW_PNS1_23onesweep_lookback_stateEbbT6_jjT7_P12ihipStream_tbENKUlT_T0_SK_SP_E_clIPsSE_SF_SF_EEDaS13_S14_SK_SP_EUlS13_E_NS1_11comp_targetILNS1_3genE0ELNS1_11target_archE4294967295ELNS1_3gpuE0ELNS1_3repE0EEENS1_47radix_sort_onesweep_sort_config_static_selectorELNS0_4arch9wavefront6targetE1EEEvSK_,"axG",@progbits,_ZN7rocprim17ROCPRIM_400000_NS6detail17trampoline_kernelINS0_14default_configENS1_35radix_sort_onesweep_config_selectorIsNS0_10empty_typeEEEZZNS1_29radix_sort_onesweep_iterationIS3_Lb0EN6thrust23THRUST_200600_302600_NS6detail15normal_iteratorINS9_10device_ptrIsEEEESE_PS5_SF_jNS0_19identity_decomposerENS1_16block_id_wrapperIjLb0EEEEE10hipError_tT1_PNSt15iterator_traitsISK_E10value_typeET2_T3_PNSL_ISQ_E10value_typeET4_T5_PSV_SW_PNS1_23onesweep_lookback_stateEbbT6_jjT7_P12ihipStream_tbENKUlT_T0_SK_SP_E_clIPsSE_SF_SF_EEDaS13_S14_SK_SP_EUlS13_E_NS1_11comp_targetILNS1_3genE0ELNS1_11target_archE4294967295ELNS1_3gpuE0ELNS1_3repE0EEENS1_47radix_sort_onesweep_sort_config_static_selectorELNS0_4arch9wavefront6targetE1EEEvSK_,comdat
.Lfunc_end1995:
	.size	_ZN7rocprim17ROCPRIM_400000_NS6detail17trampoline_kernelINS0_14default_configENS1_35radix_sort_onesweep_config_selectorIsNS0_10empty_typeEEEZZNS1_29radix_sort_onesweep_iterationIS3_Lb0EN6thrust23THRUST_200600_302600_NS6detail15normal_iteratorINS9_10device_ptrIsEEEESE_PS5_SF_jNS0_19identity_decomposerENS1_16block_id_wrapperIjLb0EEEEE10hipError_tT1_PNSt15iterator_traitsISK_E10value_typeET2_T3_PNSL_ISQ_E10value_typeET4_T5_PSV_SW_PNS1_23onesweep_lookback_stateEbbT6_jjT7_P12ihipStream_tbENKUlT_T0_SK_SP_E_clIPsSE_SF_SF_EEDaS13_S14_SK_SP_EUlS13_E_NS1_11comp_targetILNS1_3genE0ELNS1_11target_archE4294967295ELNS1_3gpuE0ELNS1_3repE0EEENS1_47radix_sort_onesweep_sort_config_static_selectorELNS0_4arch9wavefront6targetE1EEEvSK_, .Lfunc_end1995-_ZN7rocprim17ROCPRIM_400000_NS6detail17trampoline_kernelINS0_14default_configENS1_35radix_sort_onesweep_config_selectorIsNS0_10empty_typeEEEZZNS1_29radix_sort_onesweep_iterationIS3_Lb0EN6thrust23THRUST_200600_302600_NS6detail15normal_iteratorINS9_10device_ptrIsEEEESE_PS5_SF_jNS0_19identity_decomposerENS1_16block_id_wrapperIjLb0EEEEE10hipError_tT1_PNSt15iterator_traitsISK_E10value_typeET2_T3_PNSL_ISQ_E10value_typeET4_T5_PSV_SW_PNS1_23onesweep_lookback_stateEbbT6_jjT7_P12ihipStream_tbENKUlT_T0_SK_SP_E_clIPsSE_SF_SF_EEDaS13_S14_SK_SP_EUlS13_E_NS1_11comp_targetILNS1_3genE0ELNS1_11target_archE4294967295ELNS1_3gpuE0ELNS1_3repE0EEENS1_47radix_sort_onesweep_sort_config_static_selectorELNS0_4arch9wavefront6targetE1EEEvSK_
                                        ; -- End function
	.section	.AMDGPU.csdata,"",@progbits
; Kernel info:
; codeLenInByte = 0
; NumSgprs: 4
; NumVgprs: 0
; NumAgprs: 0
; TotalNumVgprs: 0
; ScratchSize: 0
; MemoryBound: 0
; FloatMode: 240
; IeeeMode: 1
; LDSByteSize: 0 bytes/workgroup (compile time only)
; SGPRBlocks: 0
; VGPRBlocks: 0
; NumSGPRsForWavesPerEU: 4
; NumVGPRsForWavesPerEU: 1
; AccumOffset: 4
; Occupancy: 8
; WaveLimiterHint : 0
; COMPUTE_PGM_RSRC2:SCRATCH_EN: 0
; COMPUTE_PGM_RSRC2:USER_SGPR: 6
; COMPUTE_PGM_RSRC2:TRAP_HANDLER: 0
; COMPUTE_PGM_RSRC2:TGID_X_EN: 1
; COMPUTE_PGM_RSRC2:TGID_Y_EN: 0
; COMPUTE_PGM_RSRC2:TGID_Z_EN: 0
; COMPUTE_PGM_RSRC2:TIDIG_COMP_CNT: 0
; COMPUTE_PGM_RSRC3_GFX90A:ACCUM_OFFSET: 0
; COMPUTE_PGM_RSRC3_GFX90A:TG_SPLIT: 0
	.section	.text._ZN7rocprim17ROCPRIM_400000_NS6detail17trampoline_kernelINS0_14default_configENS1_35radix_sort_onesweep_config_selectorIsNS0_10empty_typeEEEZZNS1_29radix_sort_onesweep_iterationIS3_Lb0EN6thrust23THRUST_200600_302600_NS6detail15normal_iteratorINS9_10device_ptrIsEEEESE_PS5_SF_jNS0_19identity_decomposerENS1_16block_id_wrapperIjLb0EEEEE10hipError_tT1_PNSt15iterator_traitsISK_E10value_typeET2_T3_PNSL_ISQ_E10value_typeET4_T5_PSV_SW_PNS1_23onesweep_lookback_stateEbbT6_jjT7_P12ihipStream_tbENKUlT_T0_SK_SP_E_clIPsSE_SF_SF_EEDaS13_S14_SK_SP_EUlS13_E_NS1_11comp_targetILNS1_3genE6ELNS1_11target_archE950ELNS1_3gpuE13ELNS1_3repE0EEENS1_47radix_sort_onesweep_sort_config_static_selectorELNS0_4arch9wavefront6targetE1EEEvSK_,"axG",@progbits,_ZN7rocprim17ROCPRIM_400000_NS6detail17trampoline_kernelINS0_14default_configENS1_35radix_sort_onesweep_config_selectorIsNS0_10empty_typeEEEZZNS1_29radix_sort_onesweep_iterationIS3_Lb0EN6thrust23THRUST_200600_302600_NS6detail15normal_iteratorINS9_10device_ptrIsEEEESE_PS5_SF_jNS0_19identity_decomposerENS1_16block_id_wrapperIjLb0EEEEE10hipError_tT1_PNSt15iterator_traitsISK_E10value_typeET2_T3_PNSL_ISQ_E10value_typeET4_T5_PSV_SW_PNS1_23onesweep_lookback_stateEbbT6_jjT7_P12ihipStream_tbENKUlT_T0_SK_SP_E_clIPsSE_SF_SF_EEDaS13_S14_SK_SP_EUlS13_E_NS1_11comp_targetILNS1_3genE6ELNS1_11target_archE950ELNS1_3gpuE13ELNS1_3repE0EEENS1_47radix_sort_onesweep_sort_config_static_selectorELNS0_4arch9wavefront6targetE1EEEvSK_,comdat
	.protected	_ZN7rocprim17ROCPRIM_400000_NS6detail17trampoline_kernelINS0_14default_configENS1_35radix_sort_onesweep_config_selectorIsNS0_10empty_typeEEEZZNS1_29radix_sort_onesweep_iterationIS3_Lb0EN6thrust23THRUST_200600_302600_NS6detail15normal_iteratorINS9_10device_ptrIsEEEESE_PS5_SF_jNS0_19identity_decomposerENS1_16block_id_wrapperIjLb0EEEEE10hipError_tT1_PNSt15iterator_traitsISK_E10value_typeET2_T3_PNSL_ISQ_E10value_typeET4_T5_PSV_SW_PNS1_23onesweep_lookback_stateEbbT6_jjT7_P12ihipStream_tbENKUlT_T0_SK_SP_E_clIPsSE_SF_SF_EEDaS13_S14_SK_SP_EUlS13_E_NS1_11comp_targetILNS1_3genE6ELNS1_11target_archE950ELNS1_3gpuE13ELNS1_3repE0EEENS1_47radix_sort_onesweep_sort_config_static_selectorELNS0_4arch9wavefront6targetE1EEEvSK_ ; -- Begin function _ZN7rocprim17ROCPRIM_400000_NS6detail17trampoline_kernelINS0_14default_configENS1_35radix_sort_onesweep_config_selectorIsNS0_10empty_typeEEEZZNS1_29radix_sort_onesweep_iterationIS3_Lb0EN6thrust23THRUST_200600_302600_NS6detail15normal_iteratorINS9_10device_ptrIsEEEESE_PS5_SF_jNS0_19identity_decomposerENS1_16block_id_wrapperIjLb0EEEEE10hipError_tT1_PNSt15iterator_traitsISK_E10value_typeET2_T3_PNSL_ISQ_E10value_typeET4_T5_PSV_SW_PNS1_23onesweep_lookback_stateEbbT6_jjT7_P12ihipStream_tbENKUlT_T0_SK_SP_E_clIPsSE_SF_SF_EEDaS13_S14_SK_SP_EUlS13_E_NS1_11comp_targetILNS1_3genE6ELNS1_11target_archE950ELNS1_3gpuE13ELNS1_3repE0EEENS1_47radix_sort_onesweep_sort_config_static_selectorELNS0_4arch9wavefront6targetE1EEEvSK_
	.globl	_ZN7rocprim17ROCPRIM_400000_NS6detail17trampoline_kernelINS0_14default_configENS1_35radix_sort_onesweep_config_selectorIsNS0_10empty_typeEEEZZNS1_29radix_sort_onesweep_iterationIS3_Lb0EN6thrust23THRUST_200600_302600_NS6detail15normal_iteratorINS9_10device_ptrIsEEEESE_PS5_SF_jNS0_19identity_decomposerENS1_16block_id_wrapperIjLb0EEEEE10hipError_tT1_PNSt15iterator_traitsISK_E10value_typeET2_T3_PNSL_ISQ_E10value_typeET4_T5_PSV_SW_PNS1_23onesweep_lookback_stateEbbT6_jjT7_P12ihipStream_tbENKUlT_T0_SK_SP_E_clIPsSE_SF_SF_EEDaS13_S14_SK_SP_EUlS13_E_NS1_11comp_targetILNS1_3genE6ELNS1_11target_archE950ELNS1_3gpuE13ELNS1_3repE0EEENS1_47radix_sort_onesweep_sort_config_static_selectorELNS0_4arch9wavefront6targetE1EEEvSK_
	.p2align	8
	.type	_ZN7rocprim17ROCPRIM_400000_NS6detail17trampoline_kernelINS0_14default_configENS1_35radix_sort_onesweep_config_selectorIsNS0_10empty_typeEEEZZNS1_29radix_sort_onesweep_iterationIS3_Lb0EN6thrust23THRUST_200600_302600_NS6detail15normal_iteratorINS9_10device_ptrIsEEEESE_PS5_SF_jNS0_19identity_decomposerENS1_16block_id_wrapperIjLb0EEEEE10hipError_tT1_PNSt15iterator_traitsISK_E10value_typeET2_T3_PNSL_ISQ_E10value_typeET4_T5_PSV_SW_PNS1_23onesweep_lookback_stateEbbT6_jjT7_P12ihipStream_tbENKUlT_T0_SK_SP_E_clIPsSE_SF_SF_EEDaS13_S14_SK_SP_EUlS13_E_NS1_11comp_targetILNS1_3genE6ELNS1_11target_archE950ELNS1_3gpuE13ELNS1_3repE0EEENS1_47radix_sort_onesweep_sort_config_static_selectorELNS0_4arch9wavefront6targetE1EEEvSK_,@function
_ZN7rocprim17ROCPRIM_400000_NS6detail17trampoline_kernelINS0_14default_configENS1_35radix_sort_onesweep_config_selectorIsNS0_10empty_typeEEEZZNS1_29radix_sort_onesweep_iterationIS3_Lb0EN6thrust23THRUST_200600_302600_NS6detail15normal_iteratorINS9_10device_ptrIsEEEESE_PS5_SF_jNS0_19identity_decomposerENS1_16block_id_wrapperIjLb0EEEEE10hipError_tT1_PNSt15iterator_traitsISK_E10value_typeET2_T3_PNSL_ISQ_E10value_typeET4_T5_PSV_SW_PNS1_23onesweep_lookback_stateEbbT6_jjT7_P12ihipStream_tbENKUlT_T0_SK_SP_E_clIPsSE_SF_SF_EEDaS13_S14_SK_SP_EUlS13_E_NS1_11comp_targetILNS1_3genE6ELNS1_11target_archE950ELNS1_3gpuE13ELNS1_3repE0EEENS1_47radix_sort_onesweep_sort_config_static_selectorELNS0_4arch9wavefront6targetE1EEEvSK_: ; @_ZN7rocprim17ROCPRIM_400000_NS6detail17trampoline_kernelINS0_14default_configENS1_35radix_sort_onesweep_config_selectorIsNS0_10empty_typeEEEZZNS1_29radix_sort_onesweep_iterationIS3_Lb0EN6thrust23THRUST_200600_302600_NS6detail15normal_iteratorINS9_10device_ptrIsEEEESE_PS5_SF_jNS0_19identity_decomposerENS1_16block_id_wrapperIjLb0EEEEE10hipError_tT1_PNSt15iterator_traitsISK_E10value_typeET2_T3_PNSL_ISQ_E10value_typeET4_T5_PSV_SW_PNS1_23onesweep_lookback_stateEbbT6_jjT7_P12ihipStream_tbENKUlT_T0_SK_SP_E_clIPsSE_SF_SF_EEDaS13_S14_SK_SP_EUlS13_E_NS1_11comp_targetILNS1_3genE6ELNS1_11target_archE950ELNS1_3gpuE13ELNS1_3repE0EEENS1_47radix_sort_onesweep_sort_config_static_selectorELNS0_4arch9wavefront6targetE1EEEvSK_
; %bb.0:
	.section	.rodata,"a",@progbits
	.p2align	6, 0x0
	.amdhsa_kernel _ZN7rocprim17ROCPRIM_400000_NS6detail17trampoline_kernelINS0_14default_configENS1_35radix_sort_onesweep_config_selectorIsNS0_10empty_typeEEEZZNS1_29radix_sort_onesweep_iterationIS3_Lb0EN6thrust23THRUST_200600_302600_NS6detail15normal_iteratorINS9_10device_ptrIsEEEESE_PS5_SF_jNS0_19identity_decomposerENS1_16block_id_wrapperIjLb0EEEEE10hipError_tT1_PNSt15iterator_traitsISK_E10value_typeET2_T3_PNSL_ISQ_E10value_typeET4_T5_PSV_SW_PNS1_23onesweep_lookback_stateEbbT6_jjT7_P12ihipStream_tbENKUlT_T0_SK_SP_E_clIPsSE_SF_SF_EEDaS13_S14_SK_SP_EUlS13_E_NS1_11comp_targetILNS1_3genE6ELNS1_11target_archE950ELNS1_3gpuE13ELNS1_3repE0EEENS1_47radix_sort_onesweep_sort_config_static_selectorELNS0_4arch9wavefront6targetE1EEEvSK_
		.amdhsa_group_segment_fixed_size 0
		.amdhsa_private_segment_fixed_size 0
		.amdhsa_kernarg_size 88
		.amdhsa_user_sgpr_count 6
		.amdhsa_user_sgpr_private_segment_buffer 1
		.amdhsa_user_sgpr_dispatch_ptr 0
		.amdhsa_user_sgpr_queue_ptr 0
		.amdhsa_user_sgpr_kernarg_segment_ptr 1
		.amdhsa_user_sgpr_dispatch_id 0
		.amdhsa_user_sgpr_flat_scratch_init 0
		.amdhsa_user_sgpr_kernarg_preload_length 0
		.amdhsa_user_sgpr_kernarg_preload_offset 0
		.amdhsa_user_sgpr_private_segment_size 0
		.amdhsa_uses_dynamic_stack 0
		.amdhsa_system_sgpr_private_segment_wavefront_offset 0
		.amdhsa_system_sgpr_workgroup_id_x 1
		.amdhsa_system_sgpr_workgroup_id_y 0
		.amdhsa_system_sgpr_workgroup_id_z 0
		.amdhsa_system_sgpr_workgroup_info 0
		.amdhsa_system_vgpr_workitem_id 0
		.amdhsa_next_free_vgpr 1
		.amdhsa_next_free_sgpr 0
		.amdhsa_accum_offset 4
		.amdhsa_reserve_vcc 0
		.amdhsa_reserve_flat_scratch 0
		.amdhsa_float_round_mode_32 0
		.amdhsa_float_round_mode_16_64 0
		.amdhsa_float_denorm_mode_32 3
		.amdhsa_float_denorm_mode_16_64 3
		.amdhsa_dx10_clamp 1
		.amdhsa_ieee_mode 1
		.amdhsa_fp16_overflow 0
		.amdhsa_tg_split 0
		.amdhsa_exception_fp_ieee_invalid_op 0
		.amdhsa_exception_fp_denorm_src 0
		.amdhsa_exception_fp_ieee_div_zero 0
		.amdhsa_exception_fp_ieee_overflow 0
		.amdhsa_exception_fp_ieee_underflow 0
		.amdhsa_exception_fp_ieee_inexact 0
		.amdhsa_exception_int_div_zero 0
	.end_amdhsa_kernel
	.section	.text._ZN7rocprim17ROCPRIM_400000_NS6detail17trampoline_kernelINS0_14default_configENS1_35radix_sort_onesweep_config_selectorIsNS0_10empty_typeEEEZZNS1_29radix_sort_onesweep_iterationIS3_Lb0EN6thrust23THRUST_200600_302600_NS6detail15normal_iteratorINS9_10device_ptrIsEEEESE_PS5_SF_jNS0_19identity_decomposerENS1_16block_id_wrapperIjLb0EEEEE10hipError_tT1_PNSt15iterator_traitsISK_E10value_typeET2_T3_PNSL_ISQ_E10value_typeET4_T5_PSV_SW_PNS1_23onesweep_lookback_stateEbbT6_jjT7_P12ihipStream_tbENKUlT_T0_SK_SP_E_clIPsSE_SF_SF_EEDaS13_S14_SK_SP_EUlS13_E_NS1_11comp_targetILNS1_3genE6ELNS1_11target_archE950ELNS1_3gpuE13ELNS1_3repE0EEENS1_47radix_sort_onesweep_sort_config_static_selectorELNS0_4arch9wavefront6targetE1EEEvSK_,"axG",@progbits,_ZN7rocprim17ROCPRIM_400000_NS6detail17trampoline_kernelINS0_14default_configENS1_35radix_sort_onesweep_config_selectorIsNS0_10empty_typeEEEZZNS1_29radix_sort_onesweep_iterationIS3_Lb0EN6thrust23THRUST_200600_302600_NS6detail15normal_iteratorINS9_10device_ptrIsEEEESE_PS5_SF_jNS0_19identity_decomposerENS1_16block_id_wrapperIjLb0EEEEE10hipError_tT1_PNSt15iterator_traitsISK_E10value_typeET2_T3_PNSL_ISQ_E10value_typeET4_T5_PSV_SW_PNS1_23onesweep_lookback_stateEbbT6_jjT7_P12ihipStream_tbENKUlT_T0_SK_SP_E_clIPsSE_SF_SF_EEDaS13_S14_SK_SP_EUlS13_E_NS1_11comp_targetILNS1_3genE6ELNS1_11target_archE950ELNS1_3gpuE13ELNS1_3repE0EEENS1_47radix_sort_onesweep_sort_config_static_selectorELNS0_4arch9wavefront6targetE1EEEvSK_,comdat
.Lfunc_end1996:
	.size	_ZN7rocprim17ROCPRIM_400000_NS6detail17trampoline_kernelINS0_14default_configENS1_35radix_sort_onesweep_config_selectorIsNS0_10empty_typeEEEZZNS1_29radix_sort_onesweep_iterationIS3_Lb0EN6thrust23THRUST_200600_302600_NS6detail15normal_iteratorINS9_10device_ptrIsEEEESE_PS5_SF_jNS0_19identity_decomposerENS1_16block_id_wrapperIjLb0EEEEE10hipError_tT1_PNSt15iterator_traitsISK_E10value_typeET2_T3_PNSL_ISQ_E10value_typeET4_T5_PSV_SW_PNS1_23onesweep_lookback_stateEbbT6_jjT7_P12ihipStream_tbENKUlT_T0_SK_SP_E_clIPsSE_SF_SF_EEDaS13_S14_SK_SP_EUlS13_E_NS1_11comp_targetILNS1_3genE6ELNS1_11target_archE950ELNS1_3gpuE13ELNS1_3repE0EEENS1_47radix_sort_onesweep_sort_config_static_selectorELNS0_4arch9wavefront6targetE1EEEvSK_, .Lfunc_end1996-_ZN7rocprim17ROCPRIM_400000_NS6detail17trampoline_kernelINS0_14default_configENS1_35radix_sort_onesweep_config_selectorIsNS0_10empty_typeEEEZZNS1_29radix_sort_onesweep_iterationIS3_Lb0EN6thrust23THRUST_200600_302600_NS6detail15normal_iteratorINS9_10device_ptrIsEEEESE_PS5_SF_jNS0_19identity_decomposerENS1_16block_id_wrapperIjLb0EEEEE10hipError_tT1_PNSt15iterator_traitsISK_E10value_typeET2_T3_PNSL_ISQ_E10value_typeET4_T5_PSV_SW_PNS1_23onesweep_lookback_stateEbbT6_jjT7_P12ihipStream_tbENKUlT_T0_SK_SP_E_clIPsSE_SF_SF_EEDaS13_S14_SK_SP_EUlS13_E_NS1_11comp_targetILNS1_3genE6ELNS1_11target_archE950ELNS1_3gpuE13ELNS1_3repE0EEENS1_47radix_sort_onesweep_sort_config_static_selectorELNS0_4arch9wavefront6targetE1EEEvSK_
                                        ; -- End function
	.section	.AMDGPU.csdata,"",@progbits
; Kernel info:
; codeLenInByte = 0
; NumSgprs: 4
; NumVgprs: 0
; NumAgprs: 0
; TotalNumVgprs: 0
; ScratchSize: 0
; MemoryBound: 0
; FloatMode: 240
; IeeeMode: 1
; LDSByteSize: 0 bytes/workgroup (compile time only)
; SGPRBlocks: 0
; VGPRBlocks: 0
; NumSGPRsForWavesPerEU: 4
; NumVGPRsForWavesPerEU: 1
; AccumOffset: 4
; Occupancy: 8
; WaveLimiterHint : 0
; COMPUTE_PGM_RSRC2:SCRATCH_EN: 0
; COMPUTE_PGM_RSRC2:USER_SGPR: 6
; COMPUTE_PGM_RSRC2:TRAP_HANDLER: 0
; COMPUTE_PGM_RSRC2:TGID_X_EN: 1
; COMPUTE_PGM_RSRC2:TGID_Y_EN: 0
; COMPUTE_PGM_RSRC2:TGID_Z_EN: 0
; COMPUTE_PGM_RSRC2:TIDIG_COMP_CNT: 0
; COMPUTE_PGM_RSRC3_GFX90A:ACCUM_OFFSET: 0
; COMPUTE_PGM_RSRC3_GFX90A:TG_SPLIT: 0
	.section	.text._ZN7rocprim17ROCPRIM_400000_NS6detail17trampoline_kernelINS0_14default_configENS1_35radix_sort_onesweep_config_selectorIsNS0_10empty_typeEEEZZNS1_29radix_sort_onesweep_iterationIS3_Lb0EN6thrust23THRUST_200600_302600_NS6detail15normal_iteratorINS9_10device_ptrIsEEEESE_PS5_SF_jNS0_19identity_decomposerENS1_16block_id_wrapperIjLb0EEEEE10hipError_tT1_PNSt15iterator_traitsISK_E10value_typeET2_T3_PNSL_ISQ_E10value_typeET4_T5_PSV_SW_PNS1_23onesweep_lookback_stateEbbT6_jjT7_P12ihipStream_tbENKUlT_T0_SK_SP_E_clIPsSE_SF_SF_EEDaS13_S14_SK_SP_EUlS13_E_NS1_11comp_targetILNS1_3genE5ELNS1_11target_archE942ELNS1_3gpuE9ELNS1_3repE0EEENS1_47radix_sort_onesweep_sort_config_static_selectorELNS0_4arch9wavefront6targetE1EEEvSK_,"axG",@progbits,_ZN7rocprim17ROCPRIM_400000_NS6detail17trampoline_kernelINS0_14default_configENS1_35radix_sort_onesweep_config_selectorIsNS0_10empty_typeEEEZZNS1_29radix_sort_onesweep_iterationIS3_Lb0EN6thrust23THRUST_200600_302600_NS6detail15normal_iteratorINS9_10device_ptrIsEEEESE_PS5_SF_jNS0_19identity_decomposerENS1_16block_id_wrapperIjLb0EEEEE10hipError_tT1_PNSt15iterator_traitsISK_E10value_typeET2_T3_PNSL_ISQ_E10value_typeET4_T5_PSV_SW_PNS1_23onesweep_lookback_stateEbbT6_jjT7_P12ihipStream_tbENKUlT_T0_SK_SP_E_clIPsSE_SF_SF_EEDaS13_S14_SK_SP_EUlS13_E_NS1_11comp_targetILNS1_3genE5ELNS1_11target_archE942ELNS1_3gpuE9ELNS1_3repE0EEENS1_47radix_sort_onesweep_sort_config_static_selectorELNS0_4arch9wavefront6targetE1EEEvSK_,comdat
	.protected	_ZN7rocprim17ROCPRIM_400000_NS6detail17trampoline_kernelINS0_14default_configENS1_35radix_sort_onesweep_config_selectorIsNS0_10empty_typeEEEZZNS1_29radix_sort_onesweep_iterationIS3_Lb0EN6thrust23THRUST_200600_302600_NS6detail15normal_iteratorINS9_10device_ptrIsEEEESE_PS5_SF_jNS0_19identity_decomposerENS1_16block_id_wrapperIjLb0EEEEE10hipError_tT1_PNSt15iterator_traitsISK_E10value_typeET2_T3_PNSL_ISQ_E10value_typeET4_T5_PSV_SW_PNS1_23onesweep_lookback_stateEbbT6_jjT7_P12ihipStream_tbENKUlT_T0_SK_SP_E_clIPsSE_SF_SF_EEDaS13_S14_SK_SP_EUlS13_E_NS1_11comp_targetILNS1_3genE5ELNS1_11target_archE942ELNS1_3gpuE9ELNS1_3repE0EEENS1_47radix_sort_onesweep_sort_config_static_selectorELNS0_4arch9wavefront6targetE1EEEvSK_ ; -- Begin function _ZN7rocprim17ROCPRIM_400000_NS6detail17trampoline_kernelINS0_14default_configENS1_35radix_sort_onesweep_config_selectorIsNS0_10empty_typeEEEZZNS1_29radix_sort_onesweep_iterationIS3_Lb0EN6thrust23THRUST_200600_302600_NS6detail15normal_iteratorINS9_10device_ptrIsEEEESE_PS5_SF_jNS0_19identity_decomposerENS1_16block_id_wrapperIjLb0EEEEE10hipError_tT1_PNSt15iterator_traitsISK_E10value_typeET2_T3_PNSL_ISQ_E10value_typeET4_T5_PSV_SW_PNS1_23onesweep_lookback_stateEbbT6_jjT7_P12ihipStream_tbENKUlT_T0_SK_SP_E_clIPsSE_SF_SF_EEDaS13_S14_SK_SP_EUlS13_E_NS1_11comp_targetILNS1_3genE5ELNS1_11target_archE942ELNS1_3gpuE9ELNS1_3repE0EEENS1_47radix_sort_onesweep_sort_config_static_selectorELNS0_4arch9wavefront6targetE1EEEvSK_
	.globl	_ZN7rocprim17ROCPRIM_400000_NS6detail17trampoline_kernelINS0_14default_configENS1_35radix_sort_onesweep_config_selectorIsNS0_10empty_typeEEEZZNS1_29radix_sort_onesweep_iterationIS3_Lb0EN6thrust23THRUST_200600_302600_NS6detail15normal_iteratorINS9_10device_ptrIsEEEESE_PS5_SF_jNS0_19identity_decomposerENS1_16block_id_wrapperIjLb0EEEEE10hipError_tT1_PNSt15iterator_traitsISK_E10value_typeET2_T3_PNSL_ISQ_E10value_typeET4_T5_PSV_SW_PNS1_23onesweep_lookback_stateEbbT6_jjT7_P12ihipStream_tbENKUlT_T0_SK_SP_E_clIPsSE_SF_SF_EEDaS13_S14_SK_SP_EUlS13_E_NS1_11comp_targetILNS1_3genE5ELNS1_11target_archE942ELNS1_3gpuE9ELNS1_3repE0EEENS1_47radix_sort_onesweep_sort_config_static_selectorELNS0_4arch9wavefront6targetE1EEEvSK_
	.p2align	8
	.type	_ZN7rocprim17ROCPRIM_400000_NS6detail17trampoline_kernelINS0_14default_configENS1_35radix_sort_onesweep_config_selectorIsNS0_10empty_typeEEEZZNS1_29radix_sort_onesweep_iterationIS3_Lb0EN6thrust23THRUST_200600_302600_NS6detail15normal_iteratorINS9_10device_ptrIsEEEESE_PS5_SF_jNS0_19identity_decomposerENS1_16block_id_wrapperIjLb0EEEEE10hipError_tT1_PNSt15iterator_traitsISK_E10value_typeET2_T3_PNSL_ISQ_E10value_typeET4_T5_PSV_SW_PNS1_23onesweep_lookback_stateEbbT6_jjT7_P12ihipStream_tbENKUlT_T0_SK_SP_E_clIPsSE_SF_SF_EEDaS13_S14_SK_SP_EUlS13_E_NS1_11comp_targetILNS1_3genE5ELNS1_11target_archE942ELNS1_3gpuE9ELNS1_3repE0EEENS1_47radix_sort_onesweep_sort_config_static_selectorELNS0_4arch9wavefront6targetE1EEEvSK_,@function
_ZN7rocprim17ROCPRIM_400000_NS6detail17trampoline_kernelINS0_14default_configENS1_35radix_sort_onesweep_config_selectorIsNS0_10empty_typeEEEZZNS1_29radix_sort_onesweep_iterationIS3_Lb0EN6thrust23THRUST_200600_302600_NS6detail15normal_iteratorINS9_10device_ptrIsEEEESE_PS5_SF_jNS0_19identity_decomposerENS1_16block_id_wrapperIjLb0EEEEE10hipError_tT1_PNSt15iterator_traitsISK_E10value_typeET2_T3_PNSL_ISQ_E10value_typeET4_T5_PSV_SW_PNS1_23onesweep_lookback_stateEbbT6_jjT7_P12ihipStream_tbENKUlT_T0_SK_SP_E_clIPsSE_SF_SF_EEDaS13_S14_SK_SP_EUlS13_E_NS1_11comp_targetILNS1_3genE5ELNS1_11target_archE942ELNS1_3gpuE9ELNS1_3repE0EEENS1_47radix_sort_onesweep_sort_config_static_selectorELNS0_4arch9wavefront6targetE1EEEvSK_: ; @_ZN7rocprim17ROCPRIM_400000_NS6detail17trampoline_kernelINS0_14default_configENS1_35radix_sort_onesweep_config_selectorIsNS0_10empty_typeEEEZZNS1_29radix_sort_onesweep_iterationIS3_Lb0EN6thrust23THRUST_200600_302600_NS6detail15normal_iteratorINS9_10device_ptrIsEEEESE_PS5_SF_jNS0_19identity_decomposerENS1_16block_id_wrapperIjLb0EEEEE10hipError_tT1_PNSt15iterator_traitsISK_E10value_typeET2_T3_PNSL_ISQ_E10value_typeET4_T5_PSV_SW_PNS1_23onesweep_lookback_stateEbbT6_jjT7_P12ihipStream_tbENKUlT_T0_SK_SP_E_clIPsSE_SF_SF_EEDaS13_S14_SK_SP_EUlS13_E_NS1_11comp_targetILNS1_3genE5ELNS1_11target_archE942ELNS1_3gpuE9ELNS1_3repE0EEENS1_47radix_sort_onesweep_sort_config_static_selectorELNS0_4arch9wavefront6targetE1EEEvSK_
; %bb.0:
	.section	.rodata,"a",@progbits
	.p2align	6, 0x0
	.amdhsa_kernel _ZN7rocprim17ROCPRIM_400000_NS6detail17trampoline_kernelINS0_14default_configENS1_35radix_sort_onesweep_config_selectorIsNS0_10empty_typeEEEZZNS1_29radix_sort_onesweep_iterationIS3_Lb0EN6thrust23THRUST_200600_302600_NS6detail15normal_iteratorINS9_10device_ptrIsEEEESE_PS5_SF_jNS0_19identity_decomposerENS1_16block_id_wrapperIjLb0EEEEE10hipError_tT1_PNSt15iterator_traitsISK_E10value_typeET2_T3_PNSL_ISQ_E10value_typeET4_T5_PSV_SW_PNS1_23onesweep_lookback_stateEbbT6_jjT7_P12ihipStream_tbENKUlT_T0_SK_SP_E_clIPsSE_SF_SF_EEDaS13_S14_SK_SP_EUlS13_E_NS1_11comp_targetILNS1_3genE5ELNS1_11target_archE942ELNS1_3gpuE9ELNS1_3repE0EEENS1_47radix_sort_onesweep_sort_config_static_selectorELNS0_4arch9wavefront6targetE1EEEvSK_
		.amdhsa_group_segment_fixed_size 0
		.amdhsa_private_segment_fixed_size 0
		.amdhsa_kernarg_size 88
		.amdhsa_user_sgpr_count 6
		.amdhsa_user_sgpr_private_segment_buffer 1
		.amdhsa_user_sgpr_dispatch_ptr 0
		.amdhsa_user_sgpr_queue_ptr 0
		.amdhsa_user_sgpr_kernarg_segment_ptr 1
		.amdhsa_user_sgpr_dispatch_id 0
		.amdhsa_user_sgpr_flat_scratch_init 0
		.amdhsa_user_sgpr_kernarg_preload_length 0
		.amdhsa_user_sgpr_kernarg_preload_offset 0
		.amdhsa_user_sgpr_private_segment_size 0
		.amdhsa_uses_dynamic_stack 0
		.amdhsa_system_sgpr_private_segment_wavefront_offset 0
		.amdhsa_system_sgpr_workgroup_id_x 1
		.amdhsa_system_sgpr_workgroup_id_y 0
		.amdhsa_system_sgpr_workgroup_id_z 0
		.amdhsa_system_sgpr_workgroup_info 0
		.amdhsa_system_vgpr_workitem_id 0
		.amdhsa_next_free_vgpr 1
		.amdhsa_next_free_sgpr 0
		.amdhsa_accum_offset 4
		.amdhsa_reserve_vcc 0
		.amdhsa_reserve_flat_scratch 0
		.amdhsa_float_round_mode_32 0
		.amdhsa_float_round_mode_16_64 0
		.amdhsa_float_denorm_mode_32 3
		.amdhsa_float_denorm_mode_16_64 3
		.amdhsa_dx10_clamp 1
		.amdhsa_ieee_mode 1
		.amdhsa_fp16_overflow 0
		.amdhsa_tg_split 0
		.amdhsa_exception_fp_ieee_invalid_op 0
		.amdhsa_exception_fp_denorm_src 0
		.amdhsa_exception_fp_ieee_div_zero 0
		.amdhsa_exception_fp_ieee_overflow 0
		.amdhsa_exception_fp_ieee_underflow 0
		.amdhsa_exception_fp_ieee_inexact 0
		.amdhsa_exception_int_div_zero 0
	.end_amdhsa_kernel
	.section	.text._ZN7rocprim17ROCPRIM_400000_NS6detail17trampoline_kernelINS0_14default_configENS1_35radix_sort_onesweep_config_selectorIsNS0_10empty_typeEEEZZNS1_29radix_sort_onesweep_iterationIS3_Lb0EN6thrust23THRUST_200600_302600_NS6detail15normal_iteratorINS9_10device_ptrIsEEEESE_PS5_SF_jNS0_19identity_decomposerENS1_16block_id_wrapperIjLb0EEEEE10hipError_tT1_PNSt15iterator_traitsISK_E10value_typeET2_T3_PNSL_ISQ_E10value_typeET4_T5_PSV_SW_PNS1_23onesweep_lookback_stateEbbT6_jjT7_P12ihipStream_tbENKUlT_T0_SK_SP_E_clIPsSE_SF_SF_EEDaS13_S14_SK_SP_EUlS13_E_NS1_11comp_targetILNS1_3genE5ELNS1_11target_archE942ELNS1_3gpuE9ELNS1_3repE0EEENS1_47radix_sort_onesweep_sort_config_static_selectorELNS0_4arch9wavefront6targetE1EEEvSK_,"axG",@progbits,_ZN7rocprim17ROCPRIM_400000_NS6detail17trampoline_kernelINS0_14default_configENS1_35radix_sort_onesweep_config_selectorIsNS0_10empty_typeEEEZZNS1_29radix_sort_onesweep_iterationIS3_Lb0EN6thrust23THRUST_200600_302600_NS6detail15normal_iteratorINS9_10device_ptrIsEEEESE_PS5_SF_jNS0_19identity_decomposerENS1_16block_id_wrapperIjLb0EEEEE10hipError_tT1_PNSt15iterator_traitsISK_E10value_typeET2_T3_PNSL_ISQ_E10value_typeET4_T5_PSV_SW_PNS1_23onesweep_lookback_stateEbbT6_jjT7_P12ihipStream_tbENKUlT_T0_SK_SP_E_clIPsSE_SF_SF_EEDaS13_S14_SK_SP_EUlS13_E_NS1_11comp_targetILNS1_3genE5ELNS1_11target_archE942ELNS1_3gpuE9ELNS1_3repE0EEENS1_47radix_sort_onesweep_sort_config_static_selectorELNS0_4arch9wavefront6targetE1EEEvSK_,comdat
.Lfunc_end1997:
	.size	_ZN7rocprim17ROCPRIM_400000_NS6detail17trampoline_kernelINS0_14default_configENS1_35radix_sort_onesweep_config_selectorIsNS0_10empty_typeEEEZZNS1_29radix_sort_onesweep_iterationIS3_Lb0EN6thrust23THRUST_200600_302600_NS6detail15normal_iteratorINS9_10device_ptrIsEEEESE_PS5_SF_jNS0_19identity_decomposerENS1_16block_id_wrapperIjLb0EEEEE10hipError_tT1_PNSt15iterator_traitsISK_E10value_typeET2_T3_PNSL_ISQ_E10value_typeET4_T5_PSV_SW_PNS1_23onesweep_lookback_stateEbbT6_jjT7_P12ihipStream_tbENKUlT_T0_SK_SP_E_clIPsSE_SF_SF_EEDaS13_S14_SK_SP_EUlS13_E_NS1_11comp_targetILNS1_3genE5ELNS1_11target_archE942ELNS1_3gpuE9ELNS1_3repE0EEENS1_47radix_sort_onesweep_sort_config_static_selectorELNS0_4arch9wavefront6targetE1EEEvSK_, .Lfunc_end1997-_ZN7rocprim17ROCPRIM_400000_NS6detail17trampoline_kernelINS0_14default_configENS1_35radix_sort_onesweep_config_selectorIsNS0_10empty_typeEEEZZNS1_29radix_sort_onesweep_iterationIS3_Lb0EN6thrust23THRUST_200600_302600_NS6detail15normal_iteratorINS9_10device_ptrIsEEEESE_PS5_SF_jNS0_19identity_decomposerENS1_16block_id_wrapperIjLb0EEEEE10hipError_tT1_PNSt15iterator_traitsISK_E10value_typeET2_T3_PNSL_ISQ_E10value_typeET4_T5_PSV_SW_PNS1_23onesweep_lookback_stateEbbT6_jjT7_P12ihipStream_tbENKUlT_T0_SK_SP_E_clIPsSE_SF_SF_EEDaS13_S14_SK_SP_EUlS13_E_NS1_11comp_targetILNS1_3genE5ELNS1_11target_archE942ELNS1_3gpuE9ELNS1_3repE0EEENS1_47radix_sort_onesweep_sort_config_static_selectorELNS0_4arch9wavefront6targetE1EEEvSK_
                                        ; -- End function
	.section	.AMDGPU.csdata,"",@progbits
; Kernel info:
; codeLenInByte = 0
; NumSgprs: 4
; NumVgprs: 0
; NumAgprs: 0
; TotalNumVgprs: 0
; ScratchSize: 0
; MemoryBound: 0
; FloatMode: 240
; IeeeMode: 1
; LDSByteSize: 0 bytes/workgroup (compile time only)
; SGPRBlocks: 0
; VGPRBlocks: 0
; NumSGPRsForWavesPerEU: 4
; NumVGPRsForWavesPerEU: 1
; AccumOffset: 4
; Occupancy: 8
; WaveLimiterHint : 0
; COMPUTE_PGM_RSRC2:SCRATCH_EN: 0
; COMPUTE_PGM_RSRC2:USER_SGPR: 6
; COMPUTE_PGM_RSRC2:TRAP_HANDLER: 0
; COMPUTE_PGM_RSRC2:TGID_X_EN: 1
; COMPUTE_PGM_RSRC2:TGID_Y_EN: 0
; COMPUTE_PGM_RSRC2:TGID_Z_EN: 0
; COMPUTE_PGM_RSRC2:TIDIG_COMP_CNT: 0
; COMPUTE_PGM_RSRC3_GFX90A:ACCUM_OFFSET: 0
; COMPUTE_PGM_RSRC3_GFX90A:TG_SPLIT: 0
	.section	.text._ZN7rocprim17ROCPRIM_400000_NS6detail17trampoline_kernelINS0_14default_configENS1_35radix_sort_onesweep_config_selectorIsNS0_10empty_typeEEEZZNS1_29radix_sort_onesweep_iterationIS3_Lb0EN6thrust23THRUST_200600_302600_NS6detail15normal_iteratorINS9_10device_ptrIsEEEESE_PS5_SF_jNS0_19identity_decomposerENS1_16block_id_wrapperIjLb0EEEEE10hipError_tT1_PNSt15iterator_traitsISK_E10value_typeET2_T3_PNSL_ISQ_E10value_typeET4_T5_PSV_SW_PNS1_23onesweep_lookback_stateEbbT6_jjT7_P12ihipStream_tbENKUlT_T0_SK_SP_E_clIPsSE_SF_SF_EEDaS13_S14_SK_SP_EUlS13_E_NS1_11comp_targetILNS1_3genE2ELNS1_11target_archE906ELNS1_3gpuE6ELNS1_3repE0EEENS1_47radix_sort_onesweep_sort_config_static_selectorELNS0_4arch9wavefront6targetE1EEEvSK_,"axG",@progbits,_ZN7rocprim17ROCPRIM_400000_NS6detail17trampoline_kernelINS0_14default_configENS1_35radix_sort_onesweep_config_selectorIsNS0_10empty_typeEEEZZNS1_29radix_sort_onesweep_iterationIS3_Lb0EN6thrust23THRUST_200600_302600_NS6detail15normal_iteratorINS9_10device_ptrIsEEEESE_PS5_SF_jNS0_19identity_decomposerENS1_16block_id_wrapperIjLb0EEEEE10hipError_tT1_PNSt15iterator_traitsISK_E10value_typeET2_T3_PNSL_ISQ_E10value_typeET4_T5_PSV_SW_PNS1_23onesweep_lookback_stateEbbT6_jjT7_P12ihipStream_tbENKUlT_T0_SK_SP_E_clIPsSE_SF_SF_EEDaS13_S14_SK_SP_EUlS13_E_NS1_11comp_targetILNS1_3genE2ELNS1_11target_archE906ELNS1_3gpuE6ELNS1_3repE0EEENS1_47radix_sort_onesweep_sort_config_static_selectorELNS0_4arch9wavefront6targetE1EEEvSK_,comdat
	.protected	_ZN7rocprim17ROCPRIM_400000_NS6detail17trampoline_kernelINS0_14default_configENS1_35radix_sort_onesweep_config_selectorIsNS0_10empty_typeEEEZZNS1_29radix_sort_onesweep_iterationIS3_Lb0EN6thrust23THRUST_200600_302600_NS6detail15normal_iteratorINS9_10device_ptrIsEEEESE_PS5_SF_jNS0_19identity_decomposerENS1_16block_id_wrapperIjLb0EEEEE10hipError_tT1_PNSt15iterator_traitsISK_E10value_typeET2_T3_PNSL_ISQ_E10value_typeET4_T5_PSV_SW_PNS1_23onesweep_lookback_stateEbbT6_jjT7_P12ihipStream_tbENKUlT_T0_SK_SP_E_clIPsSE_SF_SF_EEDaS13_S14_SK_SP_EUlS13_E_NS1_11comp_targetILNS1_3genE2ELNS1_11target_archE906ELNS1_3gpuE6ELNS1_3repE0EEENS1_47radix_sort_onesweep_sort_config_static_selectorELNS0_4arch9wavefront6targetE1EEEvSK_ ; -- Begin function _ZN7rocprim17ROCPRIM_400000_NS6detail17trampoline_kernelINS0_14default_configENS1_35radix_sort_onesweep_config_selectorIsNS0_10empty_typeEEEZZNS1_29radix_sort_onesweep_iterationIS3_Lb0EN6thrust23THRUST_200600_302600_NS6detail15normal_iteratorINS9_10device_ptrIsEEEESE_PS5_SF_jNS0_19identity_decomposerENS1_16block_id_wrapperIjLb0EEEEE10hipError_tT1_PNSt15iterator_traitsISK_E10value_typeET2_T3_PNSL_ISQ_E10value_typeET4_T5_PSV_SW_PNS1_23onesweep_lookback_stateEbbT6_jjT7_P12ihipStream_tbENKUlT_T0_SK_SP_E_clIPsSE_SF_SF_EEDaS13_S14_SK_SP_EUlS13_E_NS1_11comp_targetILNS1_3genE2ELNS1_11target_archE906ELNS1_3gpuE6ELNS1_3repE0EEENS1_47radix_sort_onesweep_sort_config_static_selectorELNS0_4arch9wavefront6targetE1EEEvSK_
	.globl	_ZN7rocprim17ROCPRIM_400000_NS6detail17trampoline_kernelINS0_14default_configENS1_35radix_sort_onesweep_config_selectorIsNS0_10empty_typeEEEZZNS1_29radix_sort_onesweep_iterationIS3_Lb0EN6thrust23THRUST_200600_302600_NS6detail15normal_iteratorINS9_10device_ptrIsEEEESE_PS5_SF_jNS0_19identity_decomposerENS1_16block_id_wrapperIjLb0EEEEE10hipError_tT1_PNSt15iterator_traitsISK_E10value_typeET2_T3_PNSL_ISQ_E10value_typeET4_T5_PSV_SW_PNS1_23onesweep_lookback_stateEbbT6_jjT7_P12ihipStream_tbENKUlT_T0_SK_SP_E_clIPsSE_SF_SF_EEDaS13_S14_SK_SP_EUlS13_E_NS1_11comp_targetILNS1_3genE2ELNS1_11target_archE906ELNS1_3gpuE6ELNS1_3repE0EEENS1_47radix_sort_onesweep_sort_config_static_selectorELNS0_4arch9wavefront6targetE1EEEvSK_
	.p2align	8
	.type	_ZN7rocprim17ROCPRIM_400000_NS6detail17trampoline_kernelINS0_14default_configENS1_35radix_sort_onesweep_config_selectorIsNS0_10empty_typeEEEZZNS1_29radix_sort_onesweep_iterationIS3_Lb0EN6thrust23THRUST_200600_302600_NS6detail15normal_iteratorINS9_10device_ptrIsEEEESE_PS5_SF_jNS0_19identity_decomposerENS1_16block_id_wrapperIjLb0EEEEE10hipError_tT1_PNSt15iterator_traitsISK_E10value_typeET2_T3_PNSL_ISQ_E10value_typeET4_T5_PSV_SW_PNS1_23onesweep_lookback_stateEbbT6_jjT7_P12ihipStream_tbENKUlT_T0_SK_SP_E_clIPsSE_SF_SF_EEDaS13_S14_SK_SP_EUlS13_E_NS1_11comp_targetILNS1_3genE2ELNS1_11target_archE906ELNS1_3gpuE6ELNS1_3repE0EEENS1_47radix_sort_onesweep_sort_config_static_selectorELNS0_4arch9wavefront6targetE1EEEvSK_,@function
_ZN7rocprim17ROCPRIM_400000_NS6detail17trampoline_kernelINS0_14default_configENS1_35radix_sort_onesweep_config_selectorIsNS0_10empty_typeEEEZZNS1_29radix_sort_onesweep_iterationIS3_Lb0EN6thrust23THRUST_200600_302600_NS6detail15normal_iteratorINS9_10device_ptrIsEEEESE_PS5_SF_jNS0_19identity_decomposerENS1_16block_id_wrapperIjLb0EEEEE10hipError_tT1_PNSt15iterator_traitsISK_E10value_typeET2_T3_PNSL_ISQ_E10value_typeET4_T5_PSV_SW_PNS1_23onesweep_lookback_stateEbbT6_jjT7_P12ihipStream_tbENKUlT_T0_SK_SP_E_clIPsSE_SF_SF_EEDaS13_S14_SK_SP_EUlS13_E_NS1_11comp_targetILNS1_3genE2ELNS1_11target_archE906ELNS1_3gpuE6ELNS1_3repE0EEENS1_47radix_sort_onesweep_sort_config_static_selectorELNS0_4arch9wavefront6targetE1EEEvSK_: ; @_ZN7rocprim17ROCPRIM_400000_NS6detail17trampoline_kernelINS0_14default_configENS1_35radix_sort_onesweep_config_selectorIsNS0_10empty_typeEEEZZNS1_29radix_sort_onesweep_iterationIS3_Lb0EN6thrust23THRUST_200600_302600_NS6detail15normal_iteratorINS9_10device_ptrIsEEEESE_PS5_SF_jNS0_19identity_decomposerENS1_16block_id_wrapperIjLb0EEEEE10hipError_tT1_PNSt15iterator_traitsISK_E10value_typeET2_T3_PNSL_ISQ_E10value_typeET4_T5_PSV_SW_PNS1_23onesweep_lookback_stateEbbT6_jjT7_P12ihipStream_tbENKUlT_T0_SK_SP_E_clIPsSE_SF_SF_EEDaS13_S14_SK_SP_EUlS13_E_NS1_11comp_targetILNS1_3genE2ELNS1_11target_archE906ELNS1_3gpuE6ELNS1_3repE0EEENS1_47radix_sort_onesweep_sort_config_static_selectorELNS0_4arch9wavefront6targetE1EEEvSK_
; %bb.0:
	.section	.rodata,"a",@progbits
	.p2align	6, 0x0
	.amdhsa_kernel _ZN7rocprim17ROCPRIM_400000_NS6detail17trampoline_kernelINS0_14default_configENS1_35radix_sort_onesweep_config_selectorIsNS0_10empty_typeEEEZZNS1_29radix_sort_onesweep_iterationIS3_Lb0EN6thrust23THRUST_200600_302600_NS6detail15normal_iteratorINS9_10device_ptrIsEEEESE_PS5_SF_jNS0_19identity_decomposerENS1_16block_id_wrapperIjLb0EEEEE10hipError_tT1_PNSt15iterator_traitsISK_E10value_typeET2_T3_PNSL_ISQ_E10value_typeET4_T5_PSV_SW_PNS1_23onesweep_lookback_stateEbbT6_jjT7_P12ihipStream_tbENKUlT_T0_SK_SP_E_clIPsSE_SF_SF_EEDaS13_S14_SK_SP_EUlS13_E_NS1_11comp_targetILNS1_3genE2ELNS1_11target_archE906ELNS1_3gpuE6ELNS1_3repE0EEENS1_47radix_sort_onesweep_sort_config_static_selectorELNS0_4arch9wavefront6targetE1EEEvSK_
		.amdhsa_group_segment_fixed_size 0
		.amdhsa_private_segment_fixed_size 0
		.amdhsa_kernarg_size 88
		.amdhsa_user_sgpr_count 6
		.amdhsa_user_sgpr_private_segment_buffer 1
		.amdhsa_user_sgpr_dispatch_ptr 0
		.amdhsa_user_sgpr_queue_ptr 0
		.amdhsa_user_sgpr_kernarg_segment_ptr 1
		.amdhsa_user_sgpr_dispatch_id 0
		.amdhsa_user_sgpr_flat_scratch_init 0
		.amdhsa_user_sgpr_kernarg_preload_length 0
		.amdhsa_user_sgpr_kernarg_preload_offset 0
		.amdhsa_user_sgpr_private_segment_size 0
		.amdhsa_uses_dynamic_stack 0
		.amdhsa_system_sgpr_private_segment_wavefront_offset 0
		.amdhsa_system_sgpr_workgroup_id_x 1
		.amdhsa_system_sgpr_workgroup_id_y 0
		.amdhsa_system_sgpr_workgroup_id_z 0
		.amdhsa_system_sgpr_workgroup_info 0
		.amdhsa_system_vgpr_workitem_id 0
		.amdhsa_next_free_vgpr 1
		.amdhsa_next_free_sgpr 0
		.amdhsa_accum_offset 4
		.amdhsa_reserve_vcc 0
		.amdhsa_reserve_flat_scratch 0
		.amdhsa_float_round_mode_32 0
		.amdhsa_float_round_mode_16_64 0
		.amdhsa_float_denorm_mode_32 3
		.amdhsa_float_denorm_mode_16_64 3
		.amdhsa_dx10_clamp 1
		.amdhsa_ieee_mode 1
		.amdhsa_fp16_overflow 0
		.amdhsa_tg_split 0
		.amdhsa_exception_fp_ieee_invalid_op 0
		.amdhsa_exception_fp_denorm_src 0
		.amdhsa_exception_fp_ieee_div_zero 0
		.amdhsa_exception_fp_ieee_overflow 0
		.amdhsa_exception_fp_ieee_underflow 0
		.amdhsa_exception_fp_ieee_inexact 0
		.amdhsa_exception_int_div_zero 0
	.end_amdhsa_kernel
	.section	.text._ZN7rocprim17ROCPRIM_400000_NS6detail17trampoline_kernelINS0_14default_configENS1_35radix_sort_onesweep_config_selectorIsNS0_10empty_typeEEEZZNS1_29radix_sort_onesweep_iterationIS3_Lb0EN6thrust23THRUST_200600_302600_NS6detail15normal_iteratorINS9_10device_ptrIsEEEESE_PS5_SF_jNS0_19identity_decomposerENS1_16block_id_wrapperIjLb0EEEEE10hipError_tT1_PNSt15iterator_traitsISK_E10value_typeET2_T3_PNSL_ISQ_E10value_typeET4_T5_PSV_SW_PNS1_23onesweep_lookback_stateEbbT6_jjT7_P12ihipStream_tbENKUlT_T0_SK_SP_E_clIPsSE_SF_SF_EEDaS13_S14_SK_SP_EUlS13_E_NS1_11comp_targetILNS1_3genE2ELNS1_11target_archE906ELNS1_3gpuE6ELNS1_3repE0EEENS1_47radix_sort_onesweep_sort_config_static_selectorELNS0_4arch9wavefront6targetE1EEEvSK_,"axG",@progbits,_ZN7rocprim17ROCPRIM_400000_NS6detail17trampoline_kernelINS0_14default_configENS1_35radix_sort_onesweep_config_selectorIsNS0_10empty_typeEEEZZNS1_29radix_sort_onesweep_iterationIS3_Lb0EN6thrust23THRUST_200600_302600_NS6detail15normal_iteratorINS9_10device_ptrIsEEEESE_PS5_SF_jNS0_19identity_decomposerENS1_16block_id_wrapperIjLb0EEEEE10hipError_tT1_PNSt15iterator_traitsISK_E10value_typeET2_T3_PNSL_ISQ_E10value_typeET4_T5_PSV_SW_PNS1_23onesweep_lookback_stateEbbT6_jjT7_P12ihipStream_tbENKUlT_T0_SK_SP_E_clIPsSE_SF_SF_EEDaS13_S14_SK_SP_EUlS13_E_NS1_11comp_targetILNS1_3genE2ELNS1_11target_archE906ELNS1_3gpuE6ELNS1_3repE0EEENS1_47radix_sort_onesweep_sort_config_static_selectorELNS0_4arch9wavefront6targetE1EEEvSK_,comdat
.Lfunc_end1998:
	.size	_ZN7rocprim17ROCPRIM_400000_NS6detail17trampoline_kernelINS0_14default_configENS1_35radix_sort_onesweep_config_selectorIsNS0_10empty_typeEEEZZNS1_29radix_sort_onesweep_iterationIS3_Lb0EN6thrust23THRUST_200600_302600_NS6detail15normal_iteratorINS9_10device_ptrIsEEEESE_PS5_SF_jNS0_19identity_decomposerENS1_16block_id_wrapperIjLb0EEEEE10hipError_tT1_PNSt15iterator_traitsISK_E10value_typeET2_T3_PNSL_ISQ_E10value_typeET4_T5_PSV_SW_PNS1_23onesweep_lookback_stateEbbT6_jjT7_P12ihipStream_tbENKUlT_T0_SK_SP_E_clIPsSE_SF_SF_EEDaS13_S14_SK_SP_EUlS13_E_NS1_11comp_targetILNS1_3genE2ELNS1_11target_archE906ELNS1_3gpuE6ELNS1_3repE0EEENS1_47radix_sort_onesweep_sort_config_static_selectorELNS0_4arch9wavefront6targetE1EEEvSK_, .Lfunc_end1998-_ZN7rocprim17ROCPRIM_400000_NS6detail17trampoline_kernelINS0_14default_configENS1_35radix_sort_onesweep_config_selectorIsNS0_10empty_typeEEEZZNS1_29radix_sort_onesweep_iterationIS3_Lb0EN6thrust23THRUST_200600_302600_NS6detail15normal_iteratorINS9_10device_ptrIsEEEESE_PS5_SF_jNS0_19identity_decomposerENS1_16block_id_wrapperIjLb0EEEEE10hipError_tT1_PNSt15iterator_traitsISK_E10value_typeET2_T3_PNSL_ISQ_E10value_typeET4_T5_PSV_SW_PNS1_23onesweep_lookback_stateEbbT6_jjT7_P12ihipStream_tbENKUlT_T0_SK_SP_E_clIPsSE_SF_SF_EEDaS13_S14_SK_SP_EUlS13_E_NS1_11comp_targetILNS1_3genE2ELNS1_11target_archE906ELNS1_3gpuE6ELNS1_3repE0EEENS1_47radix_sort_onesweep_sort_config_static_selectorELNS0_4arch9wavefront6targetE1EEEvSK_
                                        ; -- End function
	.section	.AMDGPU.csdata,"",@progbits
; Kernel info:
; codeLenInByte = 0
; NumSgprs: 4
; NumVgprs: 0
; NumAgprs: 0
; TotalNumVgprs: 0
; ScratchSize: 0
; MemoryBound: 0
; FloatMode: 240
; IeeeMode: 1
; LDSByteSize: 0 bytes/workgroup (compile time only)
; SGPRBlocks: 0
; VGPRBlocks: 0
; NumSGPRsForWavesPerEU: 4
; NumVGPRsForWavesPerEU: 1
; AccumOffset: 4
; Occupancy: 8
; WaveLimiterHint : 0
; COMPUTE_PGM_RSRC2:SCRATCH_EN: 0
; COMPUTE_PGM_RSRC2:USER_SGPR: 6
; COMPUTE_PGM_RSRC2:TRAP_HANDLER: 0
; COMPUTE_PGM_RSRC2:TGID_X_EN: 1
; COMPUTE_PGM_RSRC2:TGID_Y_EN: 0
; COMPUTE_PGM_RSRC2:TGID_Z_EN: 0
; COMPUTE_PGM_RSRC2:TIDIG_COMP_CNT: 0
; COMPUTE_PGM_RSRC3_GFX90A:ACCUM_OFFSET: 0
; COMPUTE_PGM_RSRC3_GFX90A:TG_SPLIT: 0
	.section	.text._ZN7rocprim17ROCPRIM_400000_NS6detail17trampoline_kernelINS0_14default_configENS1_35radix_sort_onesweep_config_selectorIsNS0_10empty_typeEEEZZNS1_29radix_sort_onesweep_iterationIS3_Lb0EN6thrust23THRUST_200600_302600_NS6detail15normal_iteratorINS9_10device_ptrIsEEEESE_PS5_SF_jNS0_19identity_decomposerENS1_16block_id_wrapperIjLb0EEEEE10hipError_tT1_PNSt15iterator_traitsISK_E10value_typeET2_T3_PNSL_ISQ_E10value_typeET4_T5_PSV_SW_PNS1_23onesweep_lookback_stateEbbT6_jjT7_P12ihipStream_tbENKUlT_T0_SK_SP_E_clIPsSE_SF_SF_EEDaS13_S14_SK_SP_EUlS13_E_NS1_11comp_targetILNS1_3genE4ELNS1_11target_archE910ELNS1_3gpuE8ELNS1_3repE0EEENS1_47radix_sort_onesweep_sort_config_static_selectorELNS0_4arch9wavefront6targetE1EEEvSK_,"axG",@progbits,_ZN7rocprim17ROCPRIM_400000_NS6detail17trampoline_kernelINS0_14default_configENS1_35radix_sort_onesweep_config_selectorIsNS0_10empty_typeEEEZZNS1_29radix_sort_onesweep_iterationIS3_Lb0EN6thrust23THRUST_200600_302600_NS6detail15normal_iteratorINS9_10device_ptrIsEEEESE_PS5_SF_jNS0_19identity_decomposerENS1_16block_id_wrapperIjLb0EEEEE10hipError_tT1_PNSt15iterator_traitsISK_E10value_typeET2_T3_PNSL_ISQ_E10value_typeET4_T5_PSV_SW_PNS1_23onesweep_lookback_stateEbbT6_jjT7_P12ihipStream_tbENKUlT_T0_SK_SP_E_clIPsSE_SF_SF_EEDaS13_S14_SK_SP_EUlS13_E_NS1_11comp_targetILNS1_3genE4ELNS1_11target_archE910ELNS1_3gpuE8ELNS1_3repE0EEENS1_47radix_sort_onesweep_sort_config_static_selectorELNS0_4arch9wavefront6targetE1EEEvSK_,comdat
	.protected	_ZN7rocprim17ROCPRIM_400000_NS6detail17trampoline_kernelINS0_14default_configENS1_35radix_sort_onesweep_config_selectorIsNS0_10empty_typeEEEZZNS1_29radix_sort_onesweep_iterationIS3_Lb0EN6thrust23THRUST_200600_302600_NS6detail15normal_iteratorINS9_10device_ptrIsEEEESE_PS5_SF_jNS0_19identity_decomposerENS1_16block_id_wrapperIjLb0EEEEE10hipError_tT1_PNSt15iterator_traitsISK_E10value_typeET2_T3_PNSL_ISQ_E10value_typeET4_T5_PSV_SW_PNS1_23onesweep_lookback_stateEbbT6_jjT7_P12ihipStream_tbENKUlT_T0_SK_SP_E_clIPsSE_SF_SF_EEDaS13_S14_SK_SP_EUlS13_E_NS1_11comp_targetILNS1_3genE4ELNS1_11target_archE910ELNS1_3gpuE8ELNS1_3repE0EEENS1_47radix_sort_onesweep_sort_config_static_selectorELNS0_4arch9wavefront6targetE1EEEvSK_ ; -- Begin function _ZN7rocprim17ROCPRIM_400000_NS6detail17trampoline_kernelINS0_14default_configENS1_35radix_sort_onesweep_config_selectorIsNS0_10empty_typeEEEZZNS1_29radix_sort_onesweep_iterationIS3_Lb0EN6thrust23THRUST_200600_302600_NS6detail15normal_iteratorINS9_10device_ptrIsEEEESE_PS5_SF_jNS0_19identity_decomposerENS1_16block_id_wrapperIjLb0EEEEE10hipError_tT1_PNSt15iterator_traitsISK_E10value_typeET2_T3_PNSL_ISQ_E10value_typeET4_T5_PSV_SW_PNS1_23onesweep_lookback_stateEbbT6_jjT7_P12ihipStream_tbENKUlT_T0_SK_SP_E_clIPsSE_SF_SF_EEDaS13_S14_SK_SP_EUlS13_E_NS1_11comp_targetILNS1_3genE4ELNS1_11target_archE910ELNS1_3gpuE8ELNS1_3repE0EEENS1_47radix_sort_onesweep_sort_config_static_selectorELNS0_4arch9wavefront6targetE1EEEvSK_
	.globl	_ZN7rocprim17ROCPRIM_400000_NS6detail17trampoline_kernelINS0_14default_configENS1_35radix_sort_onesweep_config_selectorIsNS0_10empty_typeEEEZZNS1_29radix_sort_onesweep_iterationIS3_Lb0EN6thrust23THRUST_200600_302600_NS6detail15normal_iteratorINS9_10device_ptrIsEEEESE_PS5_SF_jNS0_19identity_decomposerENS1_16block_id_wrapperIjLb0EEEEE10hipError_tT1_PNSt15iterator_traitsISK_E10value_typeET2_T3_PNSL_ISQ_E10value_typeET4_T5_PSV_SW_PNS1_23onesweep_lookback_stateEbbT6_jjT7_P12ihipStream_tbENKUlT_T0_SK_SP_E_clIPsSE_SF_SF_EEDaS13_S14_SK_SP_EUlS13_E_NS1_11comp_targetILNS1_3genE4ELNS1_11target_archE910ELNS1_3gpuE8ELNS1_3repE0EEENS1_47radix_sort_onesweep_sort_config_static_selectorELNS0_4arch9wavefront6targetE1EEEvSK_
	.p2align	8
	.type	_ZN7rocprim17ROCPRIM_400000_NS6detail17trampoline_kernelINS0_14default_configENS1_35radix_sort_onesweep_config_selectorIsNS0_10empty_typeEEEZZNS1_29radix_sort_onesweep_iterationIS3_Lb0EN6thrust23THRUST_200600_302600_NS6detail15normal_iteratorINS9_10device_ptrIsEEEESE_PS5_SF_jNS0_19identity_decomposerENS1_16block_id_wrapperIjLb0EEEEE10hipError_tT1_PNSt15iterator_traitsISK_E10value_typeET2_T3_PNSL_ISQ_E10value_typeET4_T5_PSV_SW_PNS1_23onesweep_lookback_stateEbbT6_jjT7_P12ihipStream_tbENKUlT_T0_SK_SP_E_clIPsSE_SF_SF_EEDaS13_S14_SK_SP_EUlS13_E_NS1_11comp_targetILNS1_3genE4ELNS1_11target_archE910ELNS1_3gpuE8ELNS1_3repE0EEENS1_47radix_sort_onesweep_sort_config_static_selectorELNS0_4arch9wavefront6targetE1EEEvSK_,@function
_ZN7rocprim17ROCPRIM_400000_NS6detail17trampoline_kernelINS0_14default_configENS1_35radix_sort_onesweep_config_selectorIsNS0_10empty_typeEEEZZNS1_29radix_sort_onesweep_iterationIS3_Lb0EN6thrust23THRUST_200600_302600_NS6detail15normal_iteratorINS9_10device_ptrIsEEEESE_PS5_SF_jNS0_19identity_decomposerENS1_16block_id_wrapperIjLb0EEEEE10hipError_tT1_PNSt15iterator_traitsISK_E10value_typeET2_T3_PNSL_ISQ_E10value_typeET4_T5_PSV_SW_PNS1_23onesweep_lookback_stateEbbT6_jjT7_P12ihipStream_tbENKUlT_T0_SK_SP_E_clIPsSE_SF_SF_EEDaS13_S14_SK_SP_EUlS13_E_NS1_11comp_targetILNS1_3genE4ELNS1_11target_archE910ELNS1_3gpuE8ELNS1_3repE0EEENS1_47radix_sort_onesweep_sort_config_static_selectorELNS0_4arch9wavefront6targetE1EEEvSK_: ; @_ZN7rocprim17ROCPRIM_400000_NS6detail17trampoline_kernelINS0_14default_configENS1_35radix_sort_onesweep_config_selectorIsNS0_10empty_typeEEEZZNS1_29radix_sort_onesweep_iterationIS3_Lb0EN6thrust23THRUST_200600_302600_NS6detail15normal_iteratorINS9_10device_ptrIsEEEESE_PS5_SF_jNS0_19identity_decomposerENS1_16block_id_wrapperIjLb0EEEEE10hipError_tT1_PNSt15iterator_traitsISK_E10value_typeET2_T3_PNSL_ISQ_E10value_typeET4_T5_PSV_SW_PNS1_23onesweep_lookback_stateEbbT6_jjT7_P12ihipStream_tbENKUlT_T0_SK_SP_E_clIPsSE_SF_SF_EEDaS13_S14_SK_SP_EUlS13_E_NS1_11comp_targetILNS1_3genE4ELNS1_11target_archE910ELNS1_3gpuE8ELNS1_3repE0EEENS1_47radix_sort_onesweep_sort_config_static_selectorELNS0_4arch9wavefront6targetE1EEEvSK_
; %bb.0:
	s_load_dwordx4 s[20:23], s[4:5], 0x44
	s_load_dwordx2 s[24:25], s[4:5], 0x38
	s_load_dwordx4 s[16:19], s[4:5], 0x0
	s_load_dwordx4 s[12:15], s[4:5], 0x28
	s_mul_i32 s26, s6, 0x3000
	s_waitcnt lgkmcnt(0)
	s_cmp_ge_u32 s6, s22
	v_mbcnt_lo_u32_b32 v1, -1, 0
	s_cbranch_scc0 .LBB1999_96
; %bb.1:
	s_load_dword s7, s[4:5], 0x20
	s_mul_i32 s2, s22, 0xffffd000
	s_mov_b32 s27, 0
	s_lshl_b64 s[0:1], s[26:27], 1
	v_mbcnt_hi_u32_b32 v11, -1, v1
	s_waitcnt lgkmcnt(0)
	s_add_i32 s7, s7, s2
	v_and_b32_e32 v10, 0x3ff, v0
	s_add_u32 s0, s16, s0
	v_and_b32_e32 v2, 63, v11
	s_addc_u32 s1, s17, s1
	v_and_b32_e32 v3, 0x3c0, v10
	v_lshlrev_b32_e32 v4, 1, v2
	v_mul_u32_u24_e32 v3, 12, v3
	v_mov_b32_e32 v5, s1
	v_add_co_u32_e32 v4, vcc, s0, v4
	v_addc_co_u32_e32 v5, vcc, 0, v5, vcc
	v_lshlrev_b32_e32 v6, 1, v3
	s_mov_b32 s36, 0x7fff7fff
	v_add_co_u32_e32 v12, vcc, v4, v6
	s_mov_b32 s37, s36
	v_addc_co_u32_e32 v13, vcc, 0, v5, vcc
	v_or_b32_e32 v14, v2, v3
	s_mov_b32 s38, s36
	s_mov_b32 s39, s36
	;; [unrolled: 1-line block ×4, first 2 shown]
	v_pk_mov_b32 v[2:3], s[36:37], s[36:37] op_sel:[0,1]
	v_cmp_gt_u32_e32 vcc, s7, v14
	v_pk_mov_b32 v[4:5], s[38:39], s[38:39] op_sel:[0,1]
	v_pk_mov_b32 v[6:7], s[40:41], s[40:41] op_sel:[0,1]
	;; [unrolled: 1-line block ×3, first 2 shown]
	s_and_saveexec_b64 s[0:1], vcc
	s_cbranch_execz .LBB1999_3
; %bb.2:
	global_load_ushort v2, v[12:13], off
	s_movk_i32 s2, 0x7fff
	v_mov_b32_e32 v7, 0x5040100
	v_mov_b32_e32 v3, 0x7fff7fff
	;; [unrolled: 1-line block ×5, first 2 shown]
	s_waitcnt vmcnt(0)
	v_perm_b32 v2, s2, v2, v7
	v_mov_b32_e32 v7, v3
.LBB1999_3:
	s_or_b64 exec, exec, s[0:1]
	v_or_b32_e32 v8, 64, v14
	v_cmp_gt_u32_e32 vcc, s7, v8
	s_and_saveexec_b64 s[0:1], vcc
	s_cbranch_execz .LBB1999_5
; %bb.4:
	global_load_ushort v8, v[12:13], off offset:128
	s_mov_b32 s2, 0x5040100
	s_waitcnt vmcnt(0)
	v_perm_b32 v2, v8, v2, s2
.LBB1999_5:
	s_or_b64 exec, exec, s[0:1]
	v_or_b32_e32 v8, 0x80, v14
	v_cmp_gt_u32_e32 vcc, s7, v8
	s_and_saveexec_b64 s[0:1], vcc
	s_cbranch_execz .LBB1999_7
; %bb.6:
	global_load_ushort v8, v[12:13], off offset:256
	s_mov_b32 s2, 0xffff
	s_waitcnt vmcnt(0)
	v_bfi_b32 v3, s2, v8, v3
.LBB1999_7:
	s_or_b64 exec, exec, s[0:1]
	v_or_b32_e32 v8, 0xc0, v14
	v_cmp_gt_u32_e32 vcc, s7, v8
	s_and_saveexec_b64 s[0:1], vcc
	s_cbranch_execz .LBB1999_9
; %bb.8:
	global_load_ushort v8, v[12:13], off offset:384
	s_mov_b32 s2, 0x5040100
	s_waitcnt vmcnt(0)
	v_perm_b32 v3, v8, v3, s2
.LBB1999_9:
	s_or_b64 exec, exec, s[0:1]
	v_add_u32_e32 v8, 0x100, v14
	v_cmp_gt_u32_e32 vcc, s7, v8
	s_and_saveexec_b64 s[0:1], vcc
	s_cbranch_execz .LBB1999_11
; %bb.10:
	global_load_ushort v8, v[12:13], off offset:512
	s_mov_b32 s2, 0xffff
	s_waitcnt vmcnt(0)
	v_bfi_b32 v4, s2, v8, v4
.LBB1999_11:
	s_or_b64 exec, exec, s[0:1]
	v_add_u32_e32 v8, 0x140, v14
	v_cmp_gt_u32_e32 vcc, s7, v8
	s_and_saveexec_b64 s[0:1], vcc
	s_cbranch_execz .LBB1999_13
; %bb.12:
	global_load_ushort v8, v[12:13], off offset:640
	s_mov_b32 s2, 0x5040100
	s_waitcnt vmcnt(0)
	v_perm_b32 v4, v8, v4, s2
.LBB1999_13:
	s_or_b64 exec, exec, s[0:1]
	v_add_u32_e32 v8, 0x180, v14
	v_cmp_gt_u32_e32 vcc, s7, v8
	s_and_saveexec_b64 s[0:1], vcc
	s_cbranch_execz .LBB1999_15
; %bb.14:
	global_load_ushort v8, v[12:13], off offset:768
	s_mov_b32 s2, 0xffff
	s_waitcnt vmcnt(0)
	v_bfi_b32 v5, s2, v8, v5
.LBB1999_15:
	s_or_b64 exec, exec, s[0:1]
	v_add_u32_e32 v8, 0x1c0, v14
	;; [unrolled: 22-line block ×4, first 2 shown]
	v_cmp_gt_u32_e32 vcc, s7, v8
	s_and_saveexec_b64 s[0:1], vcc
	s_cbranch_execz .LBB1999_25
; %bb.24:
	global_load_ushort v8, v[12:13], off offset:1408
	s_mov_b32 s2, 0x5040100
	s_waitcnt vmcnt(0)
	v_perm_b32 v7, v8, v7, s2
.LBB1999_25:
	s_or_b64 exec, exec, s[0:1]
	s_load_dword s0, s[4:5], 0x64
	s_load_dword s27, s[4:5], 0x58
	s_add_u32 s1, s4, 0x58
	s_addc_u32 s2, s5, 0
	v_mov_b32_e32 v8, 0
	s_waitcnt lgkmcnt(0)
	s_lshr_b32 s3, s0, 16
	s_cmp_lt_u32 s6, s27
	s_cselect_b32 s0, 12, 18
	s_add_u32 s0, s1, s0
	s_addc_u32 s1, s2, 0
	global_load_ushort v12, v8, s[0:1]
	v_xor_b32_e32 v14, 0xffff8000, v2
	s_lshl_b32 s0, -1, s21
	v_lshrrev_b32_sdwa v16, s20, v14 dst_sel:DWORD dst_unused:UNUSED_PAD src0_sel:DWORD src1_sel:WORD_0
	s_not_b32 s28, s0
	v_and_b32_e32 v16, s28, v16
	v_and_b32_e32 v18, 1, v16
	v_bfe_u32 v9, v0, 10, 10
	v_bfe_u32 v13, v0, 20, 10
	v_add_co_u32_e32 v19, vcc, -1, v18
	v_mad_u32_u24 v13, v13, s3, v9
	v_lshlrev_b32_e32 v9, 30, v16
	v_addc_co_u32_e64 v20, s[0:1], 0, -1, vcc
	v_cmp_ne_u32_e32 vcc, 0, v18
	v_cmp_gt_i64_e64 s[0:1], 0, v[8:9]
	v_not_b32_e32 v18, v9
	v_lshlrev_b32_e32 v9, 29, v16
	v_xor_b32_e32 v20, vcc_hi, v20
	v_xor_b32_e32 v19, vcc_lo, v19
	v_ashrrev_i32_e32 v18, 31, v18
	v_cmp_gt_i64_e32 vcc, 0, v[8:9]
	v_not_b32_e32 v21, v9
	v_lshlrev_b32_e32 v9, 28, v16
	v_and_b32_e32 v20, exec_hi, v20
	v_and_b32_e32 v19, exec_lo, v19
	v_xor_b32_e32 v22, s1, v18
	v_xor_b32_e32 v18, s0, v18
	v_ashrrev_i32_e32 v21, 31, v21
	v_cmp_gt_i64_e64 s[0:1], 0, v[8:9]
	v_not_b32_e32 v23, v9
	v_lshlrev_b32_e32 v9, 27, v16
	v_and_b32_e32 v20, v20, v22
	v_and_b32_e32 v18, v19, v18
	v_xor_b32_e32 v19, vcc_hi, v21
	v_xor_b32_e32 v21, vcc_lo, v21
	v_ashrrev_i32_e32 v22, 31, v23
	v_cmp_gt_i64_e32 vcc, 0, v[8:9]
	v_not_b32_e32 v23, v9
	v_lshlrev_b32_e32 v9, 26, v16
	v_and_b32_e32 v19, v20, v19
	v_and_b32_e32 v18, v18, v21
	v_xor_b32_e32 v20, s1, v22
	v_xor_b32_e32 v21, s0, v22
	v_ashrrev_i32_e32 v22, 31, v23
	v_cmp_gt_i64_e64 s[0:1], 0, v[8:9]
	v_not_b32_e32 v23, v9
	v_lshlrev_b32_e32 v9, 25, v16
	v_and_b32_e32 v19, v19, v20
	v_and_b32_e32 v18, v18, v21
	v_xor_b32_e32 v20, vcc_hi, v22
	v_xor_b32_e32 v21, vcc_lo, v22
	v_ashrrev_i32_e32 v22, 31, v23
	v_cmp_gt_i64_e32 vcc, 0, v[8:9]
	v_not_b32_e32 v23, v9
	v_lshlrev_b32_e32 v9, 24, v16
	v_mul_u32_u24_e32 v17, 17, v16
	v_and_b32_e32 v16, v19, v20
	v_and_b32_e32 v18, v18, v21
	v_xor_b32_e32 v19, s1, v22
	v_xor_b32_e32 v20, s0, v22
	v_ashrrev_i32_e32 v21, 31, v23
	v_cmp_gt_i64_e64 s[0:1], 0, v[8:9]
	v_not_b32_e32 v9, v9
	v_and_b32_e32 v16, v16, v19
	v_and_b32_e32 v18, v18, v20
	v_xor_b32_e32 v19, vcc_hi, v21
	v_xor_b32_e32 v20, vcc_lo, v21
	v_ashrrev_i32_e32 v9, 31, v9
	v_and_b32_e32 v16, v16, v19
	v_and_b32_e32 v18, v18, v20
	v_mul_u32_u24_e32 v15, 5, v10
	s_movk_i32 s2, 0x8000
	v_lshlrev_b32_e32 v15, 2, v15
	ds_write2_b32 v15, v8, v8 offset0:16 offset1:17
	ds_write2_b32 v15, v8, v8 offset0:18 offset1:19
	ds_write_b32 v15, v8 offset:80
	s_waitcnt lgkmcnt(0)
	s_barrier
	s_waitcnt vmcnt(0)
	v_mad_u64_u32 v[12:13], s[8:9], v13, v12, v[10:11]
	v_lshrrev_b32_e32 v26, 6, v12
	v_xor_b32_e32 v12, s1, v9
	v_xor_b32_e32 v9, s0, v9
	v_and_b32_e32 v13, v16, v12
	v_and_b32_e32 v12, v18, v9
	v_mbcnt_lo_u32_b32 v9, v12, 0
	v_mbcnt_hi_u32_b32 v16, v13, v9
	v_cmp_eq_u32_e32 vcc, 0, v16
	v_cmp_ne_u64_e64 s[0:1], 0, v[12:13]
	v_add_lshl_u32 v19, v26, v17, 2
	s_and_b64 s[8:9], s[0:1], vcc
	; wave barrier
	s_and_saveexec_b64 s[0:1], s[8:9]
	s_cbranch_execz .LBB1999_27
; %bb.26:
	v_bcnt_u32_b32 v9, v12, 0
	v_bcnt_u32_b32 v9, v13, v9
	ds_write_b32 v19, v9 offset:64
.LBB1999_27:
	s_or_b64 exec, exec, s[0:1]
	v_xor_b32_sdwa v17, v2, s2 dst_sel:DWORD dst_unused:UNUSED_PAD src0_sel:WORD_1 src1_sel:DWORD
	v_lshrrev_b32_sdwa v2, s20, v17 dst_sel:DWORD dst_unused:UNUSED_PAD src0_sel:DWORD src1_sel:WORD_0
	v_and_b32_e32 v2, s28, v2
	v_mul_u32_u24_e32 v9, 17, v2
	v_add_lshl_u32 v20, v26, v9, 2
	v_and_b32_e32 v9, 1, v2
	v_add_co_u32_e32 v12, vcc, -1, v9
	v_addc_co_u32_e64 v13, s[0:1], 0, -1, vcc
	v_cmp_ne_u32_e32 vcc, 0, v9
	v_xor_b32_e32 v9, vcc_hi, v13
	v_and_b32_e32 v13, exec_hi, v9
	v_lshlrev_b32_e32 v9, 30, v2
	v_xor_b32_e32 v12, vcc_lo, v12
	v_cmp_gt_i64_e32 vcc, 0, v[8:9]
	v_not_b32_e32 v9, v9
	v_ashrrev_i32_e32 v9, 31, v9
	v_and_b32_e32 v12, exec_lo, v12
	v_xor_b32_e32 v21, vcc_hi, v9
	v_xor_b32_e32 v9, vcc_lo, v9
	v_and_b32_e32 v12, v12, v9
	v_lshlrev_b32_e32 v9, 29, v2
	v_cmp_gt_i64_e32 vcc, 0, v[8:9]
	v_not_b32_e32 v9, v9
	v_ashrrev_i32_e32 v9, 31, v9
	v_and_b32_e32 v13, v13, v21
	v_xor_b32_e32 v21, vcc_hi, v9
	v_xor_b32_e32 v9, vcc_lo, v9
	v_and_b32_e32 v12, v12, v9
	v_lshlrev_b32_e32 v9, 28, v2
	v_cmp_gt_i64_e32 vcc, 0, v[8:9]
	v_not_b32_e32 v9, v9
	v_ashrrev_i32_e32 v9, 31, v9
	v_and_b32_e32 v13, v13, v21
	;; [unrolled: 8-line block ×5, first 2 shown]
	v_xor_b32_e32 v21, vcc_hi, v9
	v_xor_b32_e32 v9, vcc_lo, v9
	v_and_b32_e32 v12, v12, v9
	v_lshlrev_b32_e32 v9, 24, v2
	v_not_b32_e32 v2, v9
	v_cmp_gt_i64_e32 vcc, 0, v[8:9]
	v_ashrrev_i32_e32 v2, 31, v2
	v_and_b32_e32 v13, v13, v21
	v_xor_b32_e32 v8, vcc_hi, v2
	v_xor_b32_e32 v2, vcc_lo, v2
	; wave barrier
	ds_read_b32 v18, v20 offset:64
	v_and_b32_e32 v9, v13, v8
	v_and_b32_e32 v8, v12, v2
	v_mbcnt_lo_u32_b32 v2, v8, 0
	v_mbcnt_hi_u32_b32 v21, v9, v2
	v_cmp_eq_u32_e32 vcc, 0, v21
	v_cmp_ne_u64_e64 s[0:1], 0, v[8:9]
	s_and_b64 s[2:3], s[0:1], vcc
	; wave barrier
	s_and_saveexec_b64 s[0:1], s[2:3]
	s_cbranch_execz .LBB1999_29
; %bb.28:
	v_bcnt_u32_b32 v2, v8, 0
	v_bcnt_u32_b32 v2, v9, v2
	s_waitcnt lgkmcnt(0)
	v_add_u32_e32 v2, v18, v2
	ds_write_b32 v20, v2 offset:64
.LBB1999_29:
	s_or_b64 exec, exec, s[0:1]
	v_xor_b32_e32 v22, 0xffff8000, v3
	v_lshrrev_b32_sdwa v2, s20, v22 dst_sel:DWORD dst_unused:UNUSED_PAD src0_sel:DWORD src1_sel:WORD_0
	v_and_b32_e32 v2, s28, v2
	v_and_b32_e32 v9, 1, v2
	v_add_co_u32_e32 v12, vcc, -1, v9
	v_addc_co_u32_e64 v13, s[0:1], 0, -1, vcc
	v_cmp_ne_u32_e32 vcc, 0, v9
	v_mul_u32_u24_e32 v8, 17, v2
	v_xor_b32_e32 v9, vcc_hi, v13
	v_add_lshl_u32 v24, v26, v8, 2
	v_mov_b32_e32 v8, 0
	v_and_b32_e32 v13, exec_hi, v9
	v_lshlrev_b32_e32 v9, 30, v2
	v_xor_b32_e32 v12, vcc_lo, v12
	v_cmp_gt_i64_e32 vcc, 0, v[8:9]
	v_not_b32_e32 v9, v9
	v_ashrrev_i32_e32 v9, 31, v9
	v_and_b32_e32 v12, exec_lo, v12
	v_xor_b32_e32 v25, vcc_hi, v9
	v_xor_b32_e32 v9, vcc_lo, v9
	v_and_b32_e32 v12, v12, v9
	v_lshlrev_b32_e32 v9, 29, v2
	v_cmp_gt_i64_e32 vcc, 0, v[8:9]
	v_not_b32_e32 v9, v9
	v_ashrrev_i32_e32 v9, 31, v9
	v_and_b32_e32 v13, v13, v25
	v_xor_b32_e32 v25, vcc_hi, v9
	v_xor_b32_e32 v9, vcc_lo, v9
	v_and_b32_e32 v12, v12, v9
	v_lshlrev_b32_e32 v9, 28, v2
	v_cmp_gt_i64_e32 vcc, 0, v[8:9]
	v_not_b32_e32 v9, v9
	v_ashrrev_i32_e32 v9, 31, v9
	v_and_b32_e32 v13, v13, v25
	;; [unrolled: 8-line block ×5, first 2 shown]
	v_xor_b32_e32 v25, vcc_hi, v9
	v_xor_b32_e32 v9, vcc_lo, v9
	v_and_b32_e32 v12, v12, v9
	v_lshlrev_b32_e32 v9, 24, v2
	v_not_b32_e32 v2, v9
	v_cmp_gt_i64_e32 vcc, 0, v[8:9]
	v_ashrrev_i32_e32 v2, 31, v2
	v_xor_b32_e32 v9, vcc_hi, v2
	v_xor_b32_e32 v2, vcc_lo, v2
	; wave barrier
	ds_read_b32 v23, v24 offset:64
	v_and_b32_e32 v13, v13, v25
	v_and_b32_e32 v12, v12, v2
	;; [unrolled: 1-line block ×3, first 2 shown]
	v_mbcnt_lo_u32_b32 v2, v12, 0
	v_mbcnt_hi_u32_b32 v25, v13, v2
	v_cmp_eq_u32_e32 vcc, 0, v25
	v_cmp_ne_u64_e64 s[0:1], 0, v[12:13]
	s_movk_i32 s2, 0x8000
	s_and_b64 s[8:9], s[0:1], vcc
	; wave barrier
	s_and_saveexec_b64 s[0:1], s[8:9]
	s_cbranch_execz .LBB1999_31
; %bb.30:
	v_bcnt_u32_b32 v2, v12, 0
	v_bcnt_u32_b32 v2, v13, v2
	s_waitcnt lgkmcnt(0)
	v_add_u32_e32 v2, v23, v2
	ds_write_b32 v24, v2 offset:64
.LBB1999_31:
	s_or_b64 exec, exec, s[0:1]
	v_xor_b32_sdwa v12, v3, s2 dst_sel:DWORD dst_unused:UNUSED_PAD src0_sel:WORD_1 src1_sel:DWORD
	v_lshrrev_b32_sdwa v2, s20, v12 dst_sel:DWORD dst_unused:UNUSED_PAD src0_sel:DWORD src1_sel:WORD_0
	v_and_b32_e32 v2, s28, v2
	v_mul_u32_u24_e32 v3, 17, v2
	v_add_lshl_u32 v27, v26, v3, 2
	v_and_b32_e32 v3, 1, v2
	v_add_co_u32_e32 v9, vcc, -1, v3
	v_addc_co_u32_e64 v28, s[0:1], 0, -1, vcc
	v_cmp_ne_u32_e32 vcc, 0, v3
	v_xor_b32_e32 v9, vcc_lo, v9
	v_xor_b32_e32 v3, vcc_hi, v28
	v_and_b32_e32 v28, exec_lo, v9
	v_lshlrev_b32_e32 v9, 30, v2
	v_cmp_gt_i64_e32 vcc, 0, v[8:9]
	v_not_b32_e32 v9, v9
	v_ashrrev_i32_e32 v9, 31, v9
	v_xor_b32_e32 v29, vcc_hi, v9
	v_xor_b32_e32 v9, vcc_lo, v9
	v_and_b32_e32 v28, v28, v9
	v_lshlrev_b32_e32 v9, 29, v2
	v_cmp_gt_i64_e32 vcc, 0, v[8:9]
	v_not_b32_e32 v9, v9
	v_and_b32_e32 v3, exec_hi, v3
	v_ashrrev_i32_e32 v9, 31, v9
	v_and_b32_e32 v3, v3, v29
	v_xor_b32_e32 v29, vcc_hi, v9
	v_xor_b32_e32 v9, vcc_lo, v9
	v_and_b32_e32 v28, v28, v9
	v_lshlrev_b32_e32 v9, 28, v2
	v_cmp_gt_i64_e32 vcc, 0, v[8:9]
	v_not_b32_e32 v9, v9
	v_ashrrev_i32_e32 v9, 31, v9
	v_and_b32_e32 v3, v3, v29
	v_xor_b32_e32 v29, vcc_hi, v9
	v_xor_b32_e32 v9, vcc_lo, v9
	v_and_b32_e32 v28, v28, v9
	v_lshlrev_b32_e32 v9, 27, v2
	v_cmp_gt_i64_e32 vcc, 0, v[8:9]
	v_not_b32_e32 v9, v9
	;; [unrolled: 8-line block ×4, first 2 shown]
	v_ashrrev_i32_e32 v9, 31, v9
	v_and_b32_e32 v3, v3, v29
	v_xor_b32_e32 v29, vcc_hi, v9
	v_xor_b32_e32 v9, vcc_lo, v9
	v_and_b32_e32 v28, v28, v9
	v_lshlrev_b32_e32 v9, 24, v2
	v_not_b32_e32 v2, v9
	v_cmp_gt_i64_e32 vcc, 0, v[8:9]
	v_ashrrev_i32_e32 v2, 31, v2
	v_xor_b32_e32 v8, vcc_hi, v2
	v_xor_b32_e32 v2, vcc_lo, v2
	; wave barrier
	ds_read_b32 v13, v27 offset:64
	v_and_b32_e32 v3, v3, v29
	v_and_b32_e32 v2, v28, v2
	;; [unrolled: 1-line block ×3, first 2 shown]
	v_mbcnt_lo_u32_b32 v8, v2, 0
	v_mbcnt_hi_u32_b32 v28, v3, v8
	v_cmp_eq_u32_e32 vcc, 0, v28
	v_cmp_ne_u64_e64 s[0:1], 0, v[2:3]
	s_and_b64 s[2:3], s[0:1], vcc
	; wave barrier
	s_and_saveexec_b64 s[0:1], s[2:3]
	s_cbranch_execz .LBB1999_33
; %bb.32:
	v_bcnt_u32_b32 v2, v2, 0
	v_bcnt_u32_b32 v2, v3, v2
	s_waitcnt lgkmcnt(0)
	v_add_u32_e32 v2, v13, v2
	ds_write_b32 v27, v2 offset:64
.LBB1999_33:
	s_or_b64 exec, exec, s[0:1]
	v_xor_b32_e32 v29, 0xffff8000, v4
	v_lshrrev_b32_sdwa v2, s20, v29 dst_sel:DWORD dst_unused:UNUSED_PAD src0_sel:DWORD src1_sel:WORD_0
	v_and_b32_e32 v8, s28, v2
	v_and_b32_e32 v3, 1, v8
	v_add_co_u32_e32 v9, vcc, -1, v3
	v_addc_co_u32_e64 v32, s[0:1], 0, -1, vcc
	v_cmp_ne_u32_e32 vcc, 0, v3
	v_mul_u32_u24_e32 v2, 17, v8
	v_xor_b32_e32 v3, vcc_hi, v32
	v_add_lshl_u32 v31, v26, v2, 2
	v_mov_b32_e32 v2, 0
	v_and_b32_e32 v32, exec_hi, v3
	v_lshlrev_b32_e32 v3, 30, v8
	v_xor_b32_e32 v9, vcc_lo, v9
	v_cmp_gt_i64_e32 vcc, 0, v[2:3]
	v_not_b32_e32 v3, v3
	v_ashrrev_i32_e32 v3, 31, v3
	v_and_b32_e32 v9, exec_lo, v9
	v_xor_b32_e32 v33, vcc_hi, v3
	v_xor_b32_e32 v3, vcc_lo, v3
	v_and_b32_e32 v9, v9, v3
	v_lshlrev_b32_e32 v3, 29, v8
	v_cmp_gt_i64_e32 vcc, 0, v[2:3]
	v_not_b32_e32 v3, v3
	v_ashrrev_i32_e32 v3, 31, v3
	v_and_b32_e32 v32, v32, v33
	v_xor_b32_e32 v33, vcc_hi, v3
	v_xor_b32_e32 v3, vcc_lo, v3
	v_and_b32_e32 v9, v9, v3
	v_lshlrev_b32_e32 v3, 28, v8
	v_cmp_gt_i64_e32 vcc, 0, v[2:3]
	v_not_b32_e32 v3, v3
	v_ashrrev_i32_e32 v3, 31, v3
	v_and_b32_e32 v32, v32, v33
	;; [unrolled: 8-line block ×5, first 2 shown]
	v_xor_b32_e32 v33, vcc_hi, v3
	v_xor_b32_e32 v3, vcc_lo, v3
	v_and_b32_e32 v32, v32, v33
	v_and_b32_e32 v33, v9, v3
	v_lshlrev_b32_e32 v3, 24, v8
	v_cmp_gt_i64_e32 vcc, 0, v[2:3]
	v_not_b32_e32 v3, v3
	v_ashrrev_i32_e32 v3, 31, v3
	v_xor_b32_e32 v8, vcc_hi, v3
	v_xor_b32_e32 v3, vcc_lo, v3
	; wave barrier
	ds_read_b32 v30, v31 offset:64
	v_and_b32_e32 v9, v32, v8
	v_and_b32_e32 v8, v33, v3
	v_mbcnt_lo_u32_b32 v3, v8, 0
	v_mbcnt_hi_u32_b32 v33, v9, v3
	v_cmp_eq_u32_e32 vcc, 0, v33
	v_cmp_ne_u64_e64 s[0:1], 0, v[8:9]
	s_movk_i32 s2, 0x8000
	s_and_b64 s[8:9], s[0:1], vcc
	; wave barrier
	s_and_saveexec_b64 s[0:1], s[8:9]
	s_cbranch_execz .LBB1999_35
; %bb.34:
	v_bcnt_u32_b32 v3, v8, 0
	v_bcnt_u32_b32 v3, v9, v3
	s_waitcnt lgkmcnt(0)
	v_add_u32_e32 v3, v30, v3
	ds_write_b32 v31, v3 offset:64
.LBB1999_35:
	s_or_b64 exec, exec, s[0:1]
	v_xor_b32_sdwa v32, v4, s2 dst_sel:DWORD dst_unused:UNUSED_PAD src0_sel:WORD_1 src1_sel:DWORD
	v_lshrrev_b32_sdwa v3, s20, v32 dst_sel:DWORD dst_unused:UNUSED_PAD src0_sel:DWORD src1_sel:WORD_0
	v_and_b32_e32 v4, s28, v3
	v_mul_u32_u24_e32 v3, 17, v4
	v_add_lshl_u32 v35, v26, v3, 2
	v_and_b32_e32 v3, 1, v4
	v_add_co_u32_e32 v8, vcc, -1, v3
	v_addc_co_u32_e64 v9, s[0:1], 0, -1, vcc
	v_cmp_ne_u32_e32 vcc, 0, v3
	v_xor_b32_e32 v3, vcc_hi, v9
	v_and_b32_e32 v9, exec_hi, v3
	v_lshlrev_b32_e32 v3, 30, v4
	v_xor_b32_e32 v8, vcc_lo, v8
	v_cmp_gt_i64_e32 vcc, 0, v[2:3]
	v_not_b32_e32 v3, v3
	v_ashrrev_i32_e32 v3, 31, v3
	v_and_b32_e32 v8, exec_lo, v8
	v_xor_b32_e32 v36, vcc_hi, v3
	v_xor_b32_e32 v3, vcc_lo, v3
	v_and_b32_e32 v8, v8, v3
	v_lshlrev_b32_e32 v3, 29, v4
	v_cmp_gt_i64_e32 vcc, 0, v[2:3]
	v_not_b32_e32 v3, v3
	v_ashrrev_i32_e32 v3, 31, v3
	v_and_b32_e32 v9, v9, v36
	v_xor_b32_e32 v36, vcc_hi, v3
	v_xor_b32_e32 v3, vcc_lo, v3
	v_and_b32_e32 v8, v8, v3
	v_lshlrev_b32_e32 v3, 28, v4
	v_cmp_gt_i64_e32 vcc, 0, v[2:3]
	v_not_b32_e32 v3, v3
	v_ashrrev_i32_e32 v3, 31, v3
	v_and_b32_e32 v9, v9, v36
	;; [unrolled: 8-line block ×5, first 2 shown]
	v_xor_b32_e32 v36, vcc_hi, v3
	v_xor_b32_e32 v3, vcc_lo, v3
	v_and_b32_e32 v8, v8, v3
	v_lshlrev_b32_e32 v3, 24, v4
	v_cmp_gt_i64_e32 vcc, 0, v[2:3]
	v_not_b32_e32 v2, v3
	v_ashrrev_i32_e32 v2, 31, v2
	v_xor_b32_e32 v3, vcc_hi, v2
	v_xor_b32_e32 v2, vcc_lo, v2
	; wave barrier
	ds_read_b32 v34, v35 offset:64
	v_and_b32_e32 v9, v9, v36
	v_and_b32_e32 v2, v8, v2
	;; [unrolled: 1-line block ×3, first 2 shown]
	v_mbcnt_lo_u32_b32 v4, v2, 0
	v_mbcnt_hi_u32_b32 v37, v3, v4
	v_cmp_eq_u32_e32 vcc, 0, v37
	v_cmp_ne_u64_e64 s[0:1], 0, v[2:3]
	s_and_b64 s[2:3], s[0:1], vcc
	; wave barrier
	s_and_saveexec_b64 s[0:1], s[2:3]
	s_cbranch_execz .LBB1999_37
; %bb.36:
	v_bcnt_u32_b32 v2, v2, 0
	v_bcnt_u32_b32 v2, v3, v2
	s_waitcnt lgkmcnt(0)
	v_add_u32_e32 v2, v34, v2
	ds_write_b32 v35, v2 offset:64
.LBB1999_37:
	s_or_b64 exec, exec, s[0:1]
	v_xor_b32_e32 v36, 0xffff8000, v5
	v_lshrrev_b32_sdwa v2, s20, v36 dst_sel:DWORD dst_unused:UNUSED_PAD src0_sel:DWORD src1_sel:WORD_0
	v_and_b32_e32 v4, s28, v2
	v_and_b32_e32 v3, 1, v4
	v_add_co_u32_e32 v8, vcc, -1, v3
	v_addc_co_u32_e64 v9, s[0:1], 0, -1, vcc
	v_cmp_ne_u32_e32 vcc, 0, v3
	v_mul_u32_u24_e32 v2, 17, v4
	v_xor_b32_e32 v3, vcc_hi, v9
	v_add_lshl_u32 v39, v26, v2, 2
	v_mov_b32_e32 v2, 0
	v_and_b32_e32 v9, exec_hi, v3
	v_lshlrev_b32_e32 v3, 30, v4
	v_xor_b32_e32 v8, vcc_lo, v8
	v_cmp_gt_i64_e32 vcc, 0, v[2:3]
	v_not_b32_e32 v3, v3
	v_ashrrev_i32_e32 v3, 31, v3
	v_and_b32_e32 v8, exec_lo, v8
	v_xor_b32_e32 v40, vcc_hi, v3
	v_xor_b32_e32 v3, vcc_lo, v3
	v_and_b32_e32 v8, v8, v3
	v_lshlrev_b32_e32 v3, 29, v4
	v_cmp_gt_i64_e32 vcc, 0, v[2:3]
	v_not_b32_e32 v3, v3
	v_ashrrev_i32_e32 v3, 31, v3
	v_and_b32_e32 v9, v9, v40
	v_xor_b32_e32 v40, vcc_hi, v3
	v_xor_b32_e32 v3, vcc_lo, v3
	v_and_b32_e32 v8, v8, v3
	v_lshlrev_b32_e32 v3, 28, v4
	v_cmp_gt_i64_e32 vcc, 0, v[2:3]
	v_not_b32_e32 v3, v3
	v_ashrrev_i32_e32 v3, 31, v3
	v_and_b32_e32 v9, v9, v40
	;; [unrolled: 8-line block ×5, first 2 shown]
	v_xor_b32_e32 v40, vcc_hi, v3
	v_xor_b32_e32 v3, vcc_lo, v3
	v_and_b32_e32 v8, v8, v3
	v_lshlrev_b32_e32 v3, 24, v4
	v_cmp_gt_i64_e32 vcc, 0, v[2:3]
	v_not_b32_e32 v3, v3
	v_ashrrev_i32_e32 v3, 31, v3
	v_xor_b32_e32 v4, vcc_hi, v3
	v_xor_b32_e32 v3, vcc_lo, v3
	; wave barrier
	ds_read_b32 v38, v39 offset:64
	v_and_b32_e32 v9, v9, v40
	v_and_b32_e32 v8, v8, v3
	;; [unrolled: 1-line block ×3, first 2 shown]
	v_mbcnt_lo_u32_b32 v3, v8, 0
	v_mbcnt_hi_u32_b32 v40, v9, v3
	v_cmp_eq_u32_e32 vcc, 0, v40
	v_cmp_ne_u64_e64 s[0:1], 0, v[8:9]
	s_movk_i32 s2, 0x8000
	s_and_b64 s[8:9], s[0:1], vcc
	; wave barrier
	s_and_saveexec_b64 s[0:1], s[8:9]
	s_cbranch_execz .LBB1999_39
; %bb.38:
	v_bcnt_u32_b32 v3, v8, 0
	v_bcnt_u32_b32 v3, v9, v3
	s_waitcnt lgkmcnt(0)
	v_add_u32_e32 v3, v38, v3
	ds_write_b32 v39, v3 offset:64
.LBB1999_39:
	s_or_b64 exec, exec, s[0:1]
	v_xor_b32_sdwa v8, v5, s2 dst_sel:DWORD dst_unused:UNUSED_PAD src0_sel:WORD_1 src1_sel:DWORD
	v_lshrrev_b32_sdwa v3, s20, v8 dst_sel:DWORD dst_unused:UNUSED_PAD src0_sel:DWORD src1_sel:WORD_0
	v_and_b32_e32 v4, s28, v3
	v_mul_u32_u24_e32 v3, 17, v4
	v_add_lshl_u32 v41, v26, v3, 2
	v_and_b32_e32 v3, 1, v4
	v_add_co_u32_e32 v5, vcc, -1, v3
	v_addc_co_u32_e64 v42, s[0:1], 0, -1, vcc
	v_cmp_ne_u32_e32 vcc, 0, v3
	v_xor_b32_e32 v3, vcc_hi, v42
	v_and_b32_e32 v42, exec_hi, v3
	v_lshlrev_b32_e32 v3, 30, v4
	v_xor_b32_e32 v5, vcc_lo, v5
	v_cmp_gt_i64_e32 vcc, 0, v[2:3]
	v_not_b32_e32 v3, v3
	v_ashrrev_i32_e32 v3, 31, v3
	v_and_b32_e32 v5, exec_lo, v5
	v_xor_b32_e32 v43, vcc_hi, v3
	v_xor_b32_e32 v3, vcc_lo, v3
	v_and_b32_e32 v5, v5, v3
	v_lshlrev_b32_e32 v3, 29, v4
	v_cmp_gt_i64_e32 vcc, 0, v[2:3]
	v_not_b32_e32 v3, v3
	v_ashrrev_i32_e32 v3, 31, v3
	v_and_b32_e32 v42, v42, v43
	v_xor_b32_e32 v43, vcc_hi, v3
	v_xor_b32_e32 v3, vcc_lo, v3
	v_and_b32_e32 v5, v5, v3
	v_lshlrev_b32_e32 v3, 28, v4
	v_cmp_gt_i64_e32 vcc, 0, v[2:3]
	v_not_b32_e32 v3, v3
	v_ashrrev_i32_e32 v3, 31, v3
	v_and_b32_e32 v42, v42, v43
	;; [unrolled: 8-line block ×5, first 2 shown]
	v_xor_b32_e32 v43, vcc_hi, v3
	v_xor_b32_e32 v3, vcc_lo, v3
	v_and_b32_e32 v5, v5, v3
	v_lshlrev_b32_e32 v3, 24, v4
	v_cmp_gt_i64_e32 vcc, 0, v[2:3]
	v_not_b32_e32 v2, v3
	v_ashrrev_i32_e32 v2, 31, v2
	v_xor_b32_e32 v3, vcc_hi, v2
	v_xor_b32_e32 v2, vcc_lo, v2
	; wave barrier
	ds_read_b32 v9, v41 offset:64
	v_and_b32_e32 v42, v42, v43
	v_and_b32_e32 v2, v5, v2
	;; [unrolled: 1-line block ×3, first 2 shown]
	v_mbcnt_lo_u32_b32 v4, v2, 0
	v_mbcnt_hi_u32_b32 v43, v3, v4
	v_cmp_eq_u32_e32 vcc, 0, v43
	v_cmp_ne_u64_e64 s[0:1], 0, v[2:3]
	s_and_b64 s[2:3], s[0:1], vcc
	; wave barrier
	s_and_saveexec_b64 s[0:1], s[2:3]
	s_cbranch_execz .LBB1999_41
; %bb.40:
	v_bcnt_u32_b32 v2, v2, 0
	v_bcnt_u32_b32 v2, v3, v2
	s_waitcnt lgkmcnt(0)
	v_add_u32_e32 v2, v9, v2
	ds_write_b32 v41, v2 offset:64
.LBB1999_41:
	s_or_b64 exec, exec, s[0:1]
	v_xor_b32_e32 v42, 0xffff8000, v6
	v_lshrrev_b32_sdwa v2, s20, v42 dst_sel:DWORD dst_unused:UNUSED_PAD src0_sel:DWORD src1_sel:WORD_0
	v_and_b32_e32 v4, s28, v2
	v_and_b32_e32 v3, 1, v4
	v_add_co_u32_e32 v5, vcc, -1, v3
	v_addc_co_u32_e64 v46, s[0:1], 0, -1, vcc
	v_cmp_ne_u32_e32 vcc, 0, v3
	v_mul_u32_u24_e32 v2, 17, v4
	v_xor_b32_e32 v3, vcc_hi, v46
	v_add_lshl_u32 v45, v26, v2, 2
	v_mov_b32_e32 v2, 0
	v_and_b32_e32 v46, exec_hi, v3
	v_lshlrev_b32_e32 v3, 30, v4
	v_xor_b32_e32 v5, vcc_lo, v5
	v_cmp_gt_i64_e32 vcc, 0, v[2:3]
	v_not_b32_e32 v3, v3
	v_ashrrev_i32_e32 v3, 31, v3
	v_and_b32_e32 v5, exec_lo, v5
	v_xor_b32_e32 v47, vcc_hi, v3
	v_xor_b32_e32 v3, vcc_lo, v3
	v_and_b32_e32 v5, v5, v3
	v_lshlrev_b32_e32 v3, 29, v4
	v_cmp_gt_i64_e32 vcc, 0, v[2:3]
	v_not_b32_e32 v3, v3
	v_ashrrev_i32_e32 v3, 31, v3
	v_and_b32_e32 v46, v46, v47
	v_xor_b32_e32 v47, vcc_hi, v3
	v_xor_b32_e32 v3, vcc_lo, v3
	v_and_b32_e32 v5, v5, v3
	v_lshlrev_b32_e32 v3, 28, v4
	v_cmp_gt_i64_e32 vcc, 0, v[2:3]
	v_not_b32_e32 v3, v3
	v_ashrrev_i32_e32 v3, 31, v3
	v_and_b32_e32 v46, v46, v47
	;; [unrolled: 8-line block ×5, first 2 shown]
	v_xor_b32_e32 v47, vcc_hi, v3
	v_xor_b32_e32 v3, vcc_lo, v3
	v_and_b32_e32 v46, v46, v47
	v_and_b32_e32 v47, v5, v3
	v_lshlrev_b32_e32 v3, 24, v4
	v_cmp_gt_i64_e32 vcc, 0, v[2:3]
	v_not_b32_e32 v3, v3
	v_ashrrev_i32_e32 v3, 31, v3
	v_xor_b32_e32 v4, vcc_hi, v3
	v_xor_b32_e32 v3, vcc_lo, v3
	; wave barrier
	ds_read_b32 v44, v45 offset:64
	v_and_b32_e32 v5, v46, v4
	v_and_b32_e32 v4, v47, v3
	v_mbcnt_lo_u32_b32 v3, v4, 0
	v_mbcnt_hi_u32_b32 v46, v5, v3
	v_cmp_eq_u32_e32 vcc, 0, v46
	v_cmp_ne_u64_e64 s[0:1], 0, v[4:5]
	s_movk_i32 s2, 0x8000
	s_and_b64 s[8:9], s[0:1], vcc
	; wave barrier
	s_and_saveexec_b64 s[0:1], s[8:9]
	s_cbranch_execz .LBB1999_43
; %bb.42:
	v_bcnt_u32_b32 v3, v4, 0
	v_bcnt_u32_b32 v3, v5, v3
	s_waitcnt lgkmcnt(0)
	v_add_u32_e32 v3, v44, v3
	ds_write_b32 v45, v3 offset:64
.LBB1999_43:
	s_or_b64 exec, exec, s[0:1]
	v_xor_b32_sdwa v6, v6, s2 dst_sel:DWORD dst_unused:UNUSED_PAD src0_sel:WORD_1 src1_sel:DWORD
	v_lshrrev_b32_sdwa v3, s20, v6 dst_sel:DWORD dst_unused:UNUSED_PAD src0_sel:DWORD src1_sel:WORD_0
	v_and_b32_e32 v4, s28, v3
	v_mul_u32_u24_e32 v3, 17, v4
	v_add_lshl_u32 v48, v26, v3, 2
	v_and_b32_e32 v3, 1, v4
	v_add_co_u32_e32 v5, vcc, -1, v3
	v_addc_co_u32_e64 v49, s[0:1], 0, -1, vcc
	v_cmp_ne_u32_e32 vcc, 0, v3
	v_xor_b32_e32 v3, vcc_hi, v49
	v_and_b32_e32 v49, exec_hi, v3
	v_lshlrev_b32_e32 v3, 30, v4
	v_xor_b32_e32 v5, vcc_lo, v5
	v_cmp_gt_i64_e32 vcc, 0, v[2:3]
	v_not_b32_e32 v3, v3
	v_ashrrev_i32_e32 v3, 31, v3
	v_and_b32_e32 v5, exec_lo, v5
	v_xor_b32_e32 v50, vcc_hi, v3
	v_xor_b32_e32 v3, vcc_lo, v3
	v_and_b32_e32 v5, v5, v3
	v_lshlrev_b32_e32 v3, 29, v4
	v_cmp_gt_i64_e32 vcc, 0, v[2:3]
	v_not_b32_e32 v3, v3
	v_ashrrev_i32_e32 v3, 31, v3
	v_and_b32_e32 v49, v49, v50
	v_xor_b32_e32 v50, vcc_hi, v3
	v_xor_b32_e32 v3, vcc_lo, v3
	v_and_b32_e32 v5, v5, v3
	v_lshlrev_b32_e32 v3, 28, v4
	v_cmp_gt_i64_e32 vcc, 0, v[2:3]
	v_not_b32_e32 v3, v3
	v_ashrrev_i32_e32 v3, 31, v3
	v_and_b32_e32 v49, v49, v50
	;; [unrolled: 8-line block ×5, first 2 shown]
	v_xor_b32_e32 v50, vcc_hi, v3
	v_xor_b32_e32 v3, vcc_lo, v3
	v_and_b32_e32 v5, v5, v3
	v_lshlrev_b32_e32 v3, 24, v4
	v_cmp_gt_i64_e32 vcc, 0, v[2:3]
	v_not_b32_e32 v2, v3
	v_ashrrev_i32_e32 v2, 31, v2
	v_xor_b32_e32 v3, vcc_hi, v2
	v_xor_b32_e32 v2, vcc_lo, v2
	; wave barrier
	ds_read_b32 v47, v48 offset:64
	v_and_b32_e32 v49, v49, v50
	v_and_b32_e32 v2, v5, v2
	;; [unrolled: 1-line block ×3, first 2 shown]
	v_mbcnt_lo_u32_b32 v4, v2, 0
	v_mbcnt_hi_u32_b32 v50, v3, v4
	v_cmp_eq_u32_e32 vcc, 0, v50
	v_cmp_ne_u64_e64 s[0:1], 0, v[2:3]
	s_and_b64 s[2:3], s[0:1], vcc
	; wave barrier
	s_and_saveexec_b64 s[0:1], s[2:3]
	s_cbranch_execz .LBB1999_45
; %bb.44:
	v_bcnt_u32_b32 v2, v2, 0
	v_bcnt_u32_b32 v2, v3, v2
	s_waitcnt lgkmcnt(0)
	v_add_u32_e32 v2, v47, v2
	ds_write_b32 v48, v2 offset:64
.LBB1999_45:
	s_or_b64 exec, exec, s[0:1]
	v_xor_b32_e32 v49, 0xffff8000, v7
	v_lshrrev_b32_sdwa v2, s20, v49 dst_sel:DWORD dst_unused:UNUSED_PAD src0_sel:DWORD src1_sel:WORD_0
	v_and_b32_e32 v4, s28, v2
	v_and_b32_e32 v3, 1, v4
	v_add_co_u32_e32 v5, vcc, -1, v3
	v_addc_co_u32_e64 v53, s[0:1], 0, -1, vcc
	v_cmp_ne_u32_e32 vcc, 0, v3
	v_mul_u32_u24_e32 v2, 17, v4
	v_xor_b32_e32 v3, vcc_hi, v53
	v_add_lshl_u32 v52, v26, v2, 2
	v_mov_b32_e32 v2, 0
	v_and_b32_e32 v53, exec_hi, v3
	v_lshlrev_b32_e32 v3, 30, v4
	v_xor_b32_e32 v5, vcc_lo, v5
	v_cmp_gt_i64_e32 vcc, 0, v[2:3]
	v_not_b32_e32 v3, v3
	v_ashrrev_i32_e32 v3, 31, v3
	v_and_b32_e32 v5, exec_lo, v5
	v_xor_b32_e32 v54, vcc_hi, v3
	v_xor_b32_e32 v3, vcc_lo, v3
	v_and_b32_e32 v5, v5, v3
	v_lshlrev_b32_e32 v3, 29, v4
	v_cmp_gt_i64_e32 vcc, 0, v[2:3]
	v_not_b32_e32 v3, v3
	v_ashrrev_i32_e32 v3, 31, v3
	v_and_b32_e32 v53, v53, v54
	v_xor_b32_e32 v54, vcc_hi, v3
	v_xor_b32_e32 v3, vcc_lo, v3
	v_and_b32_e32 v5, v5, v3
	v_lshlrev_b32_e32 v3, 28, v4
	v_cmp_gt_i64_e32 vcc, 0, v[2:3]
	v_not_b32_e32 v3, v3
	v_ashrrev_i32_e32 v3, 31, v3
	v_and_b32_e32 v53, v53, v54
	;; [unrolled: 8-line block ×5, first 2 shown]
	v_xor_b32_e32 v54, vcc_hi, v3
	v_xor_b32_e32 v3, vcc_lo, v3
	v_and_b32_e32 v53, v53, v54
	v_and_b32_e32 v54, v5, v3
	v_lshlrev_b32_e32 v3, 24, v4
	v_cmp_gt_i64_e32 vcc, 0, v[2:3]
	v_not_b32_e32 v3, v3
	v_ashrrev_i32_e32 v3, 31, v3
	v_xor_b32_e32 v4, vcc_hi, v3
	v_xor_b32_e32 v3, vcc_lo, v3
	; wave barrier
	ds_read_b32 v51, v52 offset:64
	v_and_b32_e32 v5, v53, v4
	v_and_b32_e32 v4, v54, v3
	v_mbcnt_lo_u32_b32 v3, v4, 0
	v_mbcnt_hi_u32_b32 v53, v5, v3
	v_cmp_eq_u32_e32 vcc, 0, v53
	v_cmp_ne_u64_e64 s[0:1], 0, v[4:5]
	s_movk_i32 s2, 0x8000
	s_and_b64 s[8:9], s[0:1], vcc
	; wave barrier
	s_and_saveexec_b64 s[0:1], s[8:9]
	s_cbranch_execz .LBB1999_47
; %bb.46:
	v_bcnt_u32_b32 v3, v4, 0
	v_bcnt_u32_b32 v3, v5, v3
	s_waitcnt lgkmcnt(0)
	v_add_u32_e32 v3, v51, v3
	ds_write_b32 v52, v3 offset:64
.LBB1999_47:
	s_or_b64 exec, exec, s[0:1]
	v_xor_b32_sdwa v7, v7, s2 dst_sel:DWORD dst_unused:UNUSED_PAD src0_sel:WORD_1 src1_sel:DWORD
	v_lshrrev_b32_sdwa v3, s20, v7 dst_sel:DWORD dst_unused:UNUSED_PAD src0_sel:DWORD src1_sel:WORD_0
	v_and_b32_e32 v4, s28, v3
	v_mul_u32_u24_e32 v3, 17, v4
	v_add_lshl_u32 v55, v26, v3, 2
	v_and_b32_e32 v3, 1, v4
	v_add_co_u32_e32 v5, vcc, -1, v3
	v_addc_co_u32_e64 v54, s[0:1], 0, -1, vcc
	v_cmp_ne_u32_e32 vcc, 0, v3
	v_xor_b32_e32 v3, vcc_hi, v54
	v_and_b32_e32 v54, exec_hi, v3
	v_lshlrev_b32_e32 v3, 30, v4
	v_xor_b32_e32 v5, vcc_lo, v5
	v_cmp_gt_i64_e32 vcc, 0, v[2:3]
	v_not_b32_e32 v3, v3
	v_ashrrev_i32_e32 v3, 31, v3
	v_and_b32_e32 v5, exec_lo, v5
	v_xor_b32_e32 v57, vcc_hi, v3
	v_xor_b32_e32 v3, vcc_lo, v3
	v_and_b32_e32 v5, v5, v3
	v_lshlrev_b32_e32 v3, 29, v4
	v_cmp_gt_i64_e32 vcc, 0, v[2:3]
	v_not_b32_e32 v3, v3
	v_ashrrev_i32_e32 v3, 31, v3
	v_and_b32_e32 v54, v54, v57
	v_xor_b32_e32 v57, vcc_hi, v3
	v_xor_b32_e32 v3, vcc_lo, v3
	v_and_b32_e32 v5, v5, v3
	v_lshlrev_b32_e32 v3, 28, v4
	v_cmp_gt_i64_e32 vcc, 0, v[2:3]
	v_not_b32_e32 v3, v3
	v_ashrrev_i32_e32 v3, 31, v3
	v_and_b32_e32 v54, v54, v57
	;; [unrolled: 8-line block ×5, first 2 shown]
	v_xor_b32_e32 v57, vcc_hi, v3
	v_xor_b32_e32 v3, vcc_lo, v3
	v_and_b32_e32 v5, v5, v3
	v_lshlrev_b32_e32 v3, 24, v4
	v_cmp_gt_i64_e32 vcc, 0, v[2:3]
	v_not_b32_e32 v2, v3
	v_ashrrev_i32_e32 v2, 31, v2
	v_xor_b32_e32 v3, vcc_hi, v2
	v_xor_b32_e32 v2, vcc_lo, v2
	; wave barrier
	ds_read_b32 v26, v55 offset:64
	v_and_b32_e32 v54, v54, v57
	v_and_b32_e32 v2, v5, v2
	;; [unrolled: 1-line block ×3, first 2 shown]
	v_mbcnt_lo_u32_b32 v4, v2, 0
	v_mbcnt_hi_u32_b32 v57, v3, v4
	v_cmp_eq_u32_e32 vcc, 0, v57
	v_cmp_ne_u64_e64 s[0:1], 0, v[2:3]
	v_add_u32_e32 v56, 64, v15
	s_and_b64 s[2:3], s[0:1], vcc
	; wave barrier
	s_and_saveexec_b64 s[0:1], s[2:3]
	s_cbranch_execz .LBB1999_49
; %bb.48:
	v_bcnt_u32_b32 v2, v2, 0
	v_bcnt_u32_b32 v2, v3, v2
	s_waitcnt lgkmcnt(0)
	v_add_u32_e32 v2, v26, v2
	ds_write_b32 v55, v2 offset:64
.LBB1999_49:
	s_or_b64 exec, exec, s[0:1]
	; wave barrier
	s_waitcnt lgkmcnt(0)
	s_barrier
	ds_read2_b32 v[4:5], v15 offset0:16 offset1:17
	ds_read2_b32 v[2:3], v56 offset0:2 offset1:3
	ds_read_b32 v54, v56 offset:16
	v_cmp_lt_u32_e64 s[10:11], 31, v11
	s_waitcnt lgkmcnt(1)
	v_add3_u32 v58, v5, v4, v2
	s_waitcnt lgkmcnt(0)
	v_add3_u32 v54, v58, v3, v54
	v_and_b32_e32 v58, 15, v11
	v_cmp_eq_u32_e32 vcc, 0, v58
	v_mov_b32_dpp v59, v54 row_shr:1 row_mask:0xf bank_mask:0xf
	v_cndmask_b32_e64 v59, v59, 0, vcc
	v_add_u32_e32 v54, v59, v54
	v_cmp_lt_u32_e64 s[0:1], 1, v58
	v_cmp_lt_u32_e64 s[2:3], 3, v58
	v_mov_b32_dpp v59, v54 row_shr:2 row_mask:0xf bank_mask:0xf
	v_cndmask_b32_e64 v59, 0, v59, s[0:1]
	v_add_u32_e32 v54, v54, v59
	v_cmp_lt_u32_e64 s[8:9], 7, v58
	s_nop 0
	v_mov_b32_dpp v59, v54 row_shr:4 row_mask:0xf bank_mask:0xf
	v_cndmask_b32_e64 v59, 0, v59, s[2:3]
	v_add_u32_e32 v54, v54, v59
	s_nop 1
	v_mov_b32_dpp v59, v54 row_shr:8 row_mask:0xf bank_mask:0xf
	v_cndmask_b32_e64 v58, 0, v59, s[8:9]
	v_add_u32_e32 v54, v54, v58
	v_bfe_i32 v59, v11, 4, 1
	s_nop 0
	v_mov_b32_dpp v58, v54 row_bcast:15 row_mask:0xf bank_mask:0xf
	v_and_b32_e32 v58, v59, v58
	v_add_u32_e32 v54, v54, v58
	v_lshrrev_b32_e32 v59, 6, v10
	s_nop 0
	v_mov_b32_dpp v58, v54 row_bcast:31 row_mask:0xf bank_mask:0xf
	v_cndmask_b32_e64 v58, 0, v58, s[10:11]
	v_add_u32_e32 v58, v54, v58
	v_and_b32_e32 v54, 63, v10
	v_cmp_eq_u32_e64 s[10:11], 63, v54
	s_and_saveexec_b64 s[22:23], s[10:11]
	s_cbranch_execz .LBB1999_51
; %bb.50:
	v_lshlrev_b32_e32 v54, 2, v59
	ds_write_b32 v54, v58
.LBB1999_51:
	s_or_b64 exec, exec, s[22:23]
	v_cmp_gt_u32_e64 s[10:11], 16, v10
	v_lshlrev_b32_e32 v54, 2, v10
	s_waitcnt lgkmcnt(0)
	s_barrier
	s_and_saveexec_b64 s[22:23], s[10:11]
	s_cbranch_execz .LBB1999_53
; %bb.52:
	ds_read_b32 v60, v54
	s_waitcnt lgkmcnt(0)
	s_nop 0
	v_mov_b32_dpp v61, v60 row_shr:1 row_mask:0xf bank_mask:0xf
	v_cndmask_b32_e64 v61, v61, 0, vcc
	v_add_u32_e32 v60, v61, v60
	s_nop 1
	v_mov_b32_dpp v61, v60 row_shr:2 row_mask:0xf bank_mask:0xf
	v_cndmask_b32_e64 v61, 0, v61, s[0:1]
	v_add_u32_e32 v60, v60, v61
	s_nop 1
	v_mov_b32_dpp v61, v60 row_shr:4 row_mask:0xf bank_mask:0xf
	v_cndmask_b32_e64 v61, 0, v61, s[2:3]
	v_add_u32_e32 v60, v60, v61
	s_nop 1
	v_mov_b32_dpp v61, v60 row_shr:8 row_mask:0xf bank_mask:0xf
	v_cndmask_b32_e64 v61, 0, v61, s[8:9]
	v_add_u32_e32 v60, v60, v61
	ds_write_b32 v54, v60
.LBB1999_53:
	s_or_b64 exec, exec, s[22:23]
	v_cmp_lt_u32_e32 vcc, 63, v10
	v_mov_b32_e32 v60, 0
	s_waitcnt lgkmcnt(0)
	s_barrier
	s_and_saveexec_b64 s[0:1], vcc
	s_cbranch_execz .LBB1999_55
; %bb.54:
	v_lshl_add_u32 v59, v59, 2, -4
	ds_read_b32 v60, v59
.LBB1999_55:
	s_or_b64 exec, exec, s[0:1]
	v_add_u32_e32 v59, -1, v11
	v_and_b32_e32 v61, 64, v11
	v_cmp_lt_i32_e32 vcc, v59, v61
	v_cndmask_b32_e32 v59, v59, v11, vcc
	s_waitcnt lgkmcnt(0)
	v_add_u32_e32 v58, v60, v58
	v_lshlrev_b32_e32 v59, 2, v59
	ds_bpermute_b32 v58, v59, v58
	v_cmp_eq_u32_e32 vcc, 0, v11
	s_movk_i32 s0, 0x100
	s_waitcnt lgkmcnt(0)
	v_cndmask_b32_e32 v11, v58, v60, vcc
	v_cmp_ne_u32_e32 vcc, 0, v10
	v_cndmask_b32_e32 v11, 0, v11, vcc
	v_add_u32_e32 v4, v11, v4
	v_add_u32_e32 v5, v4, v5
	;; [unrolled: 1-line block ×4, first 2 shown]
	ds_write2_b32 v15, v11, v4 offset0:16 offset1:17
	ds_write2_b32 v56, v5, v2 offset0:2 offset1:3
	ds_write_b32 v56, v3 offset:16
	s_waitcnt lgkmcnt(0)
	s_barrier
	ds_read_b32 v60, v19 offset:64
	ds_read_b32 v59, v20 offset:64
	;; [unrolled: 1-line block ×12, first 2 shown]
	v_cmp_gt_u32_e32 vcc, s0, v10
                                        ; implicit-def: $vgpr11
                                        ; implicit-def: $vgpr15
	s_and_saveexec_b64 s[2:3], vcc
	s_cbranch_execz .LBB1999_59
; %bb.56:
	v_mul_u32_u24_e32 v11, 17, v10
	v_lshlrev_b32_e32 v31, 2, v11
	ds_read_b32 v11, v31 offset:64
	s_movk_i32 s0, 0xff
	v_cmp_ne_u32_e64 s[0:1], s0, v10
	v_mov_b32_e32 v15, 0x3000
	s_and_saveexec_b64 s[8:9], s[0:1]
	s_cbranch_execz .LBB1999_58
; %bb.57:
	ds_read_b32 v15, v31 offset:132
.LBB1999_58:
	s_or_b64 exec, exec, s[8:9]
	s_waitcnt lgkmcnt(0)
	v_sub_u32_e32 v15, v15, v11
.LBB1999_59:
	s_or_b64 exec, exec, s[2:3]
	v_add_u32_e32 v18, v21, v18
	s_waitcnt lgkmcnt(11)
	v_add_lshl_u32 v16, v60, v16, 1
	v_add_u32_e32 v13, v28, v13
	v_add_u32_e32 v23, v25, v23
	s_waitcnt lgkmcnt(0)
	s_barrier
	ds_write_b16 v16, v14 offset:1024
	v_add_lshl_u32 v14, v18, v59, 1
	v_add_u32_e32 v30, v33, v30
	ds_write_b16 v14, v17 offset:1024
	v_add_lshl_u32 v14, v23, v58, 1
	v_add_lshl_u32 v13, v13, v56, 1
	v_add_u32_e32 v34, v37, v34
	ds_write_b16 v14, v22 offset:1024
	ds_write_b16 v13, v12 offset:1024
	v_add_lshl_u32 v12, v30, v27, 1
	v_add_u32_e32 v26, v57, v26
	v_add_u32_e32 v31, v53, v51
	;; [unrolled: 1-line block ×6, first 2 shown]
	ds_write_b16 v12, v29 offset:1024
	v_add_lshl_u32 v12, v34, v24, 1
	ds_write_b16 v12, v32 offset:1024
	v_add_lshl_u32 v12, v38, v20, 1
	v_add_lshl_u32 v9, v9, v19, 1
	;; [unrolled: 1-line block ×6, first 2 shown]
	ds_write_b16 v12, v36 offset:1024
	ds_write_b16 v9, v8 offset:1024
	;; [unrolled: 1-line block ×6, first 2 shown]
	s_and_saveexec_b64 s[2:3], vcc
	s_cbranch_execz .LBB1999_69
; %bb.60:
	v_lshl_or_b32 v2, s6, 8, v10
	v_mov_b32_e32 v3, 0
	v_lshlrev_b64 v[4:5], 2, v[2:3]
	v_mov_b32_e32 v8, s25
	v_add_co_u32_e64 v4, s[0:1], s24, v4
	v_addc_co_u32_e64 v5, s[0:1], v8, v5, s[0:1]
	v_or_b32_e32 v2, 2.0, v15
	s_mov_b64 s[8:9], 0
	s_brev_b32 s29, 1
	s_mov_b32 s30, s6
	v_mov_b32_e32 v9, 0
	global_store_dword v[4:5], v2, off
                                        ; implicit-def: $sgpr0_sgpr1
	s_branch .LBB1999_62
.LBB1999_61:                            ;   in Loop: Header=BB1999_62 Depth=1
	s_or_b64 exec, exec, s[10:11]
	v_and_b32_e32 v6, 0x3fffffff, v12
	v_add_u32_e32 v9, v6, v9
	v_cmp_eq_u32_e64 s[0:1], s29, v2
	s_and_b64 s[10:11], exec, s[0:1]
	s_or_b64 s[8:9], s[10:11], s[8:9]
	s_andn2_b64 exec, exec, s[8:9]
	s_cbranch_execz .LBB1999_68
.LBB1999_62:                            ; =>This Loop Header: Depth=1
                                        ;     Child Loop BB1999_65 Depth 2
	s_or_b64 s[0:1], s[0:1], exec
	s_cmp_eq_u32 s30, 0
	s_cbranch_scc1 .LBB1999_67
; %bb.63:                               ;   in Loop: Header=BB1999_62 Depth=1
	s_add_i32 s30, s30, -1
	v_lshl_or_b32 v2, s30, 8, v10
	v_lshlrev_b64 v[6:7], 2, v[2:3]
	v_add_co_u32_e64 v6, s[0:1], s24, v6
	v_addc_co_u32_e64 v7, s[0:1], v8, v7, s[0:1]
	global_load_dword v12, v[6:7], off glc
	s_waitcnt vmcnt(0)
	v_and_b32_e32 v2, -2.0, v12
	v_cmp_eq_u32_e64 s[0:1], 0, v2
	s_and_saveexec_b64 s[10:11], s[0:1]
	s_cbranch_execz .LBB1999_61
; %bb.64:                               ;   in Loop: Header=BB1999_62 Depth=1
	s_mov_b64 s[22:23], 0
.LBB1999_65:                            ;   Parent Loop BB1999_62 Depth=1
                                        ; =>  This Inner Loop Header: Depth=2
	global_load_dword v12, v[6:7], off glc
	s_waitcnt vmcnt(0)
	v_and_b32_e32 v2, -2.0, v12
	v_cmp_ne_u32_e64 s[0:1], 0, v2
	s_or_b64 s[22:23], s[0:1], s[22:23]
	s_andn2_b64 exec, exec, s[22:23]
	s_cbranch_execnz .LBB1999_65
; %bb.66:                               ;   in Loop: Header=BB1999_62 Depth=1
	s_or_b64 exec, exec, s[22:23]
	s_branch .LBB1999_61
.LBB1999_67:                            ;   in Loop: Header=BB1999_62 Depth=1
                                        ; implicit-def: $sgpr30
	s_and_b64 s[10:11], exec, s[0:1]
	s_or_b64 s[8:9], s[10:11], s[8:9]
	s_andn2_b64 exec, exec, s[8:9]
	s_cbranch_execnz .LBB1999_62
.LBB1999_68:
	s_or_b64 exec, exec, s[8:9]
	v_add_u32_e32 v2, v9, v15
	v_or_b32_e32 v2, 0x80000000, v2
	global_store_dword v[4:5], v2, off
	global_load_dword v2, v54, s[12:13]
	v_sub_u32_e32 v3, v9, v11
	s_waitcnt vmcnt(0)
	v_add_u32_e32 v2, v3, v2
	ds_write_b32 v54, v2
.LBB1999_69:
	s_or_b64 exec, exec, s[2:3]
	v_cmp_gt_u32_e64 s[0:1], s7, v10
	v_lshlrev_b32_e32 v2, 1, v10
	s_waitcnt lgkmcnt(0)
	s_barrier
	s_and_saveexec_b64 s[2:3], s[0:1]
	s_cbranch_execz .LBB1999_71
; %bb.70:
	ds_read_u16 v3, v2 offset:1024
	v_mov_b32_e32 v5, 0
	v_mov_b32_e32 v6, s19
	s_waitcnt lgkmcnt(0)
	v_lshrrev_b32_sdwa v4, s20, v3 dst_sel:DWORD dst_unused:UNUSED_PAD src0_sel:DWORD src1_sel:WORD_0
	v_and_b32_e32 v4, s28, v4
	v_lshlrev_b32_e32 v4, 2, v4
	ds_read_b32 v4, v4
	v_xor_b32_e32 v3, 0xffff8000, v3
	s_waitcnt lgkmcnt(0)
	v_add_u32_e32 v4, v4, v10
	v_lshlrev_b64 v[4:5], 1, v[4:5]
	v_add_co_u32_e64 v4, s[0:1], s18, v4
	v_addc_co_u32_e64 v5, s[0:1], v6, v5, s[0:1]
	global_store_short v[4:5], v3, off
.LBB1999_71:
	s_or_b64 exec, exec, s[2:3]
	v_or_b32_e32 v3, 0x400, v10
	v_cmp_gt_u32_e64 s[0:1], s7, v3
	s_and_saveexec_b64 s[2:3], s[0:1]
	s_cbranch_execz .LBB1999_73
; %bb.72:
	ds_read_u16 v4, v2 offset:3072
	v_mov_b32_e32 v7, s19
	s_waitcnt lgkmcnt(0)
	v_lshrrev_b32_sdwa v5, s20, v4 dst_sel:DWORD dst_unused:UNUSED_PAD src0_sel:DWORD src1_sel:WORD_0
	v_and_b32_e32 v5, s28, v5
	v_lshlrev_b32_e32 v5, 2, v5
	ds_read_b32 v6, v5
	v_mov_b32_e32 v5, 0
	v_xor_b32_e32 v8, 0xffff8000, v4
	s_waitcnt lgkmcnt(0)
	v_add_u32_e32 v4, v6, v3
	v_lshlrev_b64 v[4:5], 1, v[4:5]
	v_add_co_u32_e64 v4, s[0:1], s18, v4
	v_addc_co_u32_e64 v5, s[0:1], v7, v5, s[0:1]
	global_store_short v[4:5], v8, off
.LBB1999_73:
	s_or_b64 exec, exec, s[2:3]
	v_or_b32_e32 v3, 0x800, v10
	v_cmp_gt_u32_e64 s[0:1], s7, v3
	s_and_saveexec_b64 s[2:3], s[0:1]
	s_cbranch_execz .LBB1999_75
; %bb.74:
	ds_read_u16 v4, v2 offset:5120
	v_mov_b32_e32 v7, s19
	s_waitcnt lgkmcnt(0)
	v_lshrrev_b32_sdwa v5, s20, v4 dst_sel:DWORD dst_unused:UNUSED_PAD src0_sel:DWORD src1_sel:WORD_0
	v_and_b32_e32 v5, s28, v5
	v_lshlrev_b32_e32 v5, 2, v5
	ds_read_b32 v6, v5
	v_mov_b32_e32 v5, 0
	v_xor_b32_e32 v8, 0xffff8000, v4
	s_waitcnt lgkmcnt(0)
	v_add_u32_e32 v4, v6, v3
	v_lshlrev_b64 v[4:5], 1, v[4:5]
	v_add_co_u32_e64 v4, s[0:1], s18, v4
	v_addc_co_u32_e64 v5, s[0:1], v7, v5, s[0:1]
	global_store_short v[4:5], v8, off
.LBB1999_75:
	;; [unrolled: 22-line block ×10, first 2 shown]
	s_or_b64 exec, exec, s[2:3]
	v_or_b32_e32 v3, 0x2c00, v10
	v_cmp_gt_u32_e64 s[0:1], s7, v3
	s_and_saveexec_b64 s[2:3], s[0:1]
	s_cbranch_execz .LBB1999_93
; %bb.92:
	ds_read_u16 v2, v2 offset:23552
	v_mov_b32_e32 v5, 0
	v_mov_b32_e32 v6, s19
	s_waitcnt lgkmcnt(0)
	v_lshrrev_b32_sdwa v4, s20, v2 dst_sel:DWORD dst_unused:UNUSED_PAD src0_sel:DWORD src1_sel:WORD_0
	v_and_b32_e32 v4, s28, v4
	v_lshlrev_b32_e32 v4, 2, v4
	ds_read_b32 v4, v4
	v_xor_b32_e32 v7, 0xffff8000, v2
	s_waitcnt lgkmcnt(0)
	v_add_u32_e32 v4, v4, v3
	v_lshlrev_b64 v[2:3], 1, v[4:5]
	v_add_co_u32_e64 v2, s[0:1], s18, v2
	v_addc_co_u32_e64 v3, s[0:1], v6, v3, s[0:1]
	global_store_short v[2:3], v7, off
.LBB1999_93:
	s_or_b64 exec, exec, s[2:3]
	s_add_i32 s27, s27, -1
	s_cmp_eq_u32 s27, s6
	s_cselect_b64 s[0:1], -1, 0
	s_and_b64 s[2:3], vcc, s[0:1]
	s_mov_b64 s[0:1], 0
	s_mov_b64 s[10:11], 0
                                        ; implicit-def: $vgpr2
	s_and_saveexec_b64 s[8:9], s[2:3]
	s_xor_b64 s[2:3], exec, s[8:9]
; %bb.94:
	s_mov_b64 s[10:11], exec
	v_add_u32_e32 v2, v11, v15
	v_mov_b32_e32 v11, 0
; %bb.95:
	s_or_b64 exec, exec, s[2:3]
	s_and_b64 vcc, exec, s[0:1]
	s_cbranch_vccnz .LBB1999_97
	s_branch .LBB1999_146
.LBB1999_96:
	s_mov_b64 s[10:11], 0
                                        ; implicit-def: $vgpr2
                                        ; implicit-def: $vgpr10_vgpr11
	s_cbranch_execz .LBB1999_146
.LBB1999_97:
	s_mov_b32 s27, 0
	v_mbcnt_hi_u32_b32 v5, -1, v1
	s_lshl_b64 s[0:1], s[26:27], 1
	v_and_b32_e32 v1, 63, v5
	s_add_u32 s0, s16, s0
	v_lshlrev_b32_e32 v1, 1, v1
	v_add_co_u32_e32 v1, vcc, s0, v1
	s_load_dword s7, s[4:5], 0x58
	s_load_dword s0, s[4:5], 0x64
	v_and_b32_e32 v10, 0x3ff, v0
	s_addc_u32 s1, s17, s1
	v_and_b32_e32 v3, 0x3c0, v10
	v_mul_u32_u24_e32 v3, 12, v3
	v_mov_b32_e32 v4, s1
	v_addc_co_u32_e32 v4, vcc, 0, v4, vcc
	v_lshlrev_b32_e32 v3, 1, v3
	s_add_u32 s1, s4, 0x58
	v_add_co_u32_e32 v12, vcc, v1, v3
	s_addc_u32 s2, s5, 0
	s_waitcnt lgkmcnt(0)
	s_lshr_b32 s3, s0, 16
	v_addc_co_u32_e32 v13, vcc, 0, v4, vcc
	s_cmp_lt_u32 s6, s7
	global_load_ushort v1, v[12:13], off
	s_cselect_b32 s0, 12, 18
	s_add_u32 s0, s1, s0
	v_mov_b32_e32 v2, 0
	s_addc_u32 s1, s2, 0
	global_load_ushort v3, v2, s[0:1]
	v_mul_u32_u24_e32 v6, 5, v10
	v_lshlrev_b32_e32 v6, 2, v6
	ds_write2_b32 v6, v2, v2 offset0:16 offset1:17
	ds_write2_b32 v6, v2, v2 offset0:18 offset1:19
	ds_write_b32 v6, v2 offset:80
	global_load_ushort v9, v[12:13], off offset:128
	global_load_ushort v14, v[12:13], off offset:256
	;; [unrolled: 1-line block ×11, first 2 shown]
	v_bfe_u32 v4, v0, 10, 10
	v_bfe_u32 v0, v0, 20, 10
	v_mad_u32_u24 v0, v0, s3, v4
	s_lshl_b32 s0, -1, s21
	s_not_b32 s21, s0
	s_waitcnt lgkmcnt(0)
	s_barrier
	s_waitcnt lgkmcnt(0)
	; wave barrier
	s_waitcnt vmcnt(12)
	v_xor_b32_e32 v4, 0xffff8000, v1
	v_lshrrev_b32_sdwa v1, s20, v4 dst_sel:DWORD dst_unused:UNUSED_PAD src0_sel:DWORD src1_sel:WORD_0
	v_and_b32_e32 v8, s21, v1
	v_and_b32_e32 v7, 1, v8
	s_waitcnt vmcnt(11)
	v_mad_u64_u32 v[0:1], s[0:1], v0, v3, v[10:11]
	v_lshrrev_b32_e32 v17, 6, v0
	v_add_co_u32_e32 v0, vcc, -1, v7
	v_lshlrev_b32_e32 v3, 30, v8
	v_addc_co_u32_e64 v11, s[0:1], 0, -1, vcc
	v_mul_u32_u24_e32 v1, 17, v8
	v_cmp_ne_u32_e32 vcc, 0, v7
	v_cmp_gt_i64_e64 s[0:1], 0, v[2:3]
	v_not_b32_e32 v12, v3
	v_lshlrev_b32_e32 v3, 29, v8
	v_add_lshl_u32 v7, v17, v1, 2
	v_xor_b32_e32 v1, vcc_hi, v11
	v_xor_b32_e32 v0, vcc_lo, v0
	v_ashrrev_i32_e32 v11, 31, v12
	v_cmp_gt_i64_e32 vcc, 0, v[2:3]
	v_not_b32_e32 v12, v3
	v_lshlrev_b32_e32 v3, 28, v8
	v_and_b32_e32 v1, exec_hi, v1
	v_and_b32_e32 v0, exec_lo, v0
	v_xor_b32_e32 v13, s1, v11
	v_xor_b32_e32 v11, s0, v11
	v_ashrrev_i32_e32 v12, 31, v12
	v_cmp_gt_i64_e64 s[0:1], 0, v[2:3]
	v_not_b32_e32 v3, v3
	v_and_b32_e32 v1, v1, v13
	v_and_b32_e32 v0, v0, v11
	v_xor_b32_e32 v11, vcc_hi, v12
	v_xor_b32_e32 v12, vcc_lo, v12
	v_ashrrev_i32_e32 v3, 31, v3
	v_and_b32_e32 v1, v1, v11
	v_and_b32_e32 v0, v0, v12
	v_xor_b32_e32 v11, s1, v3
	v_xor_b32_e32 v3, s0, v3
	v_and_b32_e32 v0, v0, v3
	v_lshlrev_b32_e32 v3, 27, v8
	v_cmp_gt_i64_e32 vcc, 0, v[2:3]
	v_not_b32_e32 v3, v3
	v_ashrrev_i32_e32 v3, 31, v3
	v_and_b32_e32 v1, v1, v11
	v_xor_b32_e32 v11, vcc_hi, v3
	v_xor_b32_e32 v3, vcc_lo, v3
	v_and_b32_e32 v0, v0, v3
	v_lshlrev_b32_e32 v3, 26, v8
	v_cmp_gt_i64_e32 vcc, 0, v[2:3]
	v_not_b32_e32 v3, v3
	v_ashrrev_i32_e32 v3, 31, v3
	v_and_b32_e32 v1, v1, v11
	v_xor_b32_e32 v11, vcc_hi, v3
	v_xor_b32_e32 v3, vcc_lo, v3
	;; [unrolled: 8-line block ×3, first 2 shown]
	v_and_b32_e32 v0, v0, v3
	v_lshlrev_b32_e32 v3, 24, v8
	v_cmp_gt_i64_e32 vcc, 0, v[2:3]
	v_not_b32_e32 v3, v3
	v_ashrrev_i32_e32 v3, 31, v3
	v_xor_b32_e32 v8, vcc_hi, v3
	v_xor_b32_e32 v3, vcc_lo, v3
	v_and_b32_e32 v1, v1, v11
	v_and_b32_e32 v0, v0, v3
	;; [unrolled: 1-line block ×3, first 2 shown]
	v_mbcnt_lo_u32_b32 v3, v0, 0
	v_mbcnt_hi_u32_b32 v8, v1, v3
	v_cmp_eq_u32_e32 vcc, 0, v8
	v_cmp_ne_u64_e64 s[0:1], 0, v[0:1]
	s_and_b64 s[2:3], s[0:1], vcc
	s_and_saveexec_b64 s[0:1], s[2:3]
	s_cbranch_execz .LBB1999_99
; %bb.98:
	v_bcnt_u32_b32 v0, v0, 0
	v_bcnt_u32_b32 v0, v1, v0
	ds_write_b32 v7, v0 offset:64
.LBB1999_99:
	s_or_b64 exec, exec, s[0:1]
	s_waitcnt vmcnt(10)
	v_xor_b32_e32 v9, 0xffff8000, v9
	v_lshrrev_b32_sdwa v0, s20, v9 dst_sel:DWORD dst_unused:UNUSED_PAD src0_sel:DWORD src1_sel:WORD_0
	v_and_b32_e32 v0, s21, v0
	v_mul_u32_u24_e32 v1, 17, v0
	v_add_lshl_u32 v12, v17, v1, 2
	v_and_b32_e32 v1, 1, v0
	v_add_co_u32_e32 v3, vcc, -1, v1
	v_addc_co_u32_e64 v13, s[0:1], 0, -1, vcc
	v_cmp_ne_u32_e32 vcc, 0, v1
	v_xor_b32_e32 v3, vcc_lo, v3
	v_xor_b32_e32 v1, vcc_hi, v13
	v_and_b32_e32 v13, exec_lo, v3
	v_lshlrev_b32_e32 v3, 30, v0
	v_cmp_gt_i64_e32 vcc, 0, v[2:3]
	v_not_b32_e32 v3, v3
	v_ashrrev_i32_e32 v3, 31, v3
	v_xor_b32_e32 v15, vcc_hi, v3
	v_xor_b32_e32 v3, vcc_lo, v3
	v_and_b32_e32 v13, v13, v3
	v_lshlrev_b32_e32 v3, 29, v0
	v_cmp_gt_i64_e32 vcc, 0, v[2:3]
	v_not_b32_e32 v3, v3
	v_and_b32_e32 v1, exec_hi, v1
	v_ashrrev_i32_e32 v3, 31, v3
	v_and_b32_e32 v1, v1, v15
	v_xor_b32_e32 v15, vcc_hi, v3
	v_xor_b32_e32 v3, vcc_lo, v3
	v_and_b32_e32 v13, v13, v3
	v_lshlrev_b32_e32 v3, 28, v0
	v_cmp_gt_i64_e32 vcc, 0, v[2:3]
	v_not_b32_e32 v3, v3
	v_ashrrev_i32_e32 v3, 31, v3
	v_and_b32_e32 v1, v1, v15
	v_xor_b32_e32 v15, vcc_hi, v3
	v_xor_b32_e32 v3, vcc_lo, v3
	v_and_b32_e32 v13, v13, v3
	v_lshlrev_b32_e32 v3, 27, v0
	v_cmp_gt_i64_e32 vcc, 0, v[2:3]
	v_not_b32_e32 v3, v3
	v_ashrrev_i32_e32 v3, 31, v3
	v_and_b32_e32 v1, v1, v15
	v_xor_b32_e32 v15, vcc_hi, v3
	v_xor_b32_e32 v3, vcc_lo, v3
	v_and_b32_e32 v13, v13, v3
	v_lshlrev_b32_e32 v3, 26, v0
	v_cmp_gt_i64_e32 vcc, 0, v[2:3]
	v_not_b32_e32 v3, v3
	v_ashrrev_i32_e32 v3, 31, v3
	v_and_b32_e32 v1, v1, v15
	v_xor_b32_e32 v15, vcc_hi, v3
	v_xor_b32_e32 v3, vcc_lo, v3
	v_and_b32_e32 v13, v13, v3
	v_lshlrev_b32_e32 v3, 25, v0
	v_cmp_gt_i64_e32 vcc, 0, v[2:3]
	v_not_b32_e32 v3, v3
	v_ashrrev_i32_e32 v3, 31, v3
	v_and_b32_e32 v1, v1, v15
	v_xor_b32_e32 v15, vcc_hi, v3
	v_xor_b32_e32 v3, vcc_lo, v3
	v_and_b32_e32 v13, v13, v3
	v_lshlrev_b32_e32 v3, 24, v0
	v_not_b32_e32 v0, v3
	v_cmp_gt_i64_e32 vcc, 0, v[2:3]
	v_ashrrev_i32_e32 v0, 31, v0
	v_xor_b32_e32 v2, vcc_hi, v0
	v_xor_b32_e32 v0, vcc_lo, v0
	; wave barrier
	ds_read_b32 v11, v12 offset:64
	v_and_b32_e32 v1, v1, v15
	v_and_b32_e32 v0, v13, v0
	;; [unrolled: 1-line block ×3, first 2 shown]
	v_mbcnt_lo_u32_b32 v2, v0, 0
	v_mbcnt_hi_u32_b32 v13, v1, v2
	v_cmp_eq_u32_e32 vcc, 0, v13
	v_cmp_ne_u64_e64 s[0:1], 0, v[0:1]
	s_and_b64 s[2:3], s[0:1], vcc
	; wave barrier
	s_and_saveexec_b64 s[0:1], s[2:3]
	s_cbranch_execz .LBB1999_101
; %bb.100:
	v_bcnt_u32_b32 v0, v0, 0
	v_bcnt_u32_b32 v0, v1, v0
	s_waitcnt lgkmcnt(0)
	v_add_u32_e32 v0, v11, v0
	ds_write_b32 v12, v0 offset:64
.LBB1999_101:
	s_or_b64 exec, exec, s[0:1]
	s_waitcnt vmcnt(9)
	v_xor_b32_e32 v14, 0xffff8000, v14
	v_lshrrev_b32_sdwa v0, s20, v14 dst_sel:DWORD dst_unused:UNUSED_PAD src0_sel:DWORD src1_sel:WORD_0
	v_and_b32_e32 v2, s21, v0
	v_and_b32_e32 v1, 1, v2
	v_add_co_u32_e32 v3, vcc, -1, v1
	v_addc_co_u32_e64 v19, s[0:1], 0, -1, vcc
	v_cmp_ne_u32_e32 vcc, 0, v1
	v_mul_u32_u24_e32 v0, 17, v2
	v_xor_b32_e32 v1, vcc_hi, v19
	v_add_lshl_u32 v18, v17, v0, 2
	v_mov_b32_e32 v0, 0
	v_and_b32_e32 v19, exec_hi, v1
	v_lshlrev_b32_e32 v1, 30, v2
	v_xor_b32_e32 v3, vcc_lo, v3
	v_cmp_gt_i64_e32 vcc, 0, v[0:1]
	v_not_b32_e32 v1, v1
	v_ashrrev_i32_e32 v1, 31, v1
	v_and_b32_e32 v3, exec_lo, v3
	v_xor_b32_e32 v21, vcc_hi, v1
	v_xor_b32_e32 v1, vcc_lo, v1
	v_and_b32_e32 v3, v3, v1
	v_lshlrev_b32_e32 v1, 29, v2
	v_cmp_gt_i64_e32 vcc, 0, v[0:1]
	v_not_b32_e32 v1, v1
	v_ashrrev_i32_e32 v1, 31, v1
	v_and_b32_e32 v19, v19, v21
	v_xor_b32_e32 v21, vcc_hi, v1
	v_xor_b32_e32 v1, vcc_lo, v1
	v_and_b32_e32 v3, v3, v1
	v_lshlrev_b32_e32 v1, 28, v2
	v_cmp_gt_i64_e32 vcc, 0, v[0:1]
	v_not_b32_e32 v1, v1
	v_ashrrev_i32_e32 v1, 31, v1
	v_and_b32_e32 v19, v19, v21
	;; [unrolled: 8-line block ×5, first 2 shown]
	v_xor_b32_e32 v21, vcc_hi, v1
	v_xor_b32_e32 v1, vcc_lo, v1
	v_and_b32_e32 v19, v19, v21
	v_and_b32_e32 v21, v3, v1
	v_lshlrev_b32_e32 v1, 24, v2
	v_cmp_gt_i64_e32 vcc, 0, v[0:1]
	v_not_b32_e32 v1, v1
	v_ashrrev_i32_e32 v1, 31, v1
	v_xor_b32_e32 v2, vcc_hi, v1
	v_xor_b32_e32 v1, vcc_lo, v1
	; wave barrier
	ds_read_b32 v15, v18 offset:64
	v_and_b32_e32 v3, v19, v2
	v_and_b32_e32 v2, v21, v1
	v_mbcnt_lo_u32_b32 v1, v2, 0
	v_mbcnt_hi_u32_b32 v19, v3, v1
	v_cmp_eq_u32_e32 vcc, 0, v19
	v_cmp_ne_u64_e64 s[0:1], 0, v[2:3]
	s_and_b64 s[2:3], s[0:1], vcc
	; wave barrier
	s_and_saveexec_b64 s[0:1], s[2:3]
	s_cbranch_execz .LBB1999_103
; %bb.102:
	v_bcnt_u32_b32 v1, v2, 0
	v_bcnt_u32_b32 v1, v3, v1
	s_waitcnt lgkmcnt(0)
	v_add_u32_e32 v1, v15, v1
	ds_write_b32 v18, v1 offset:64
.LBB1999_103:
	s_or_b64 exec, exec, s[0:1]
	s_waitcnt vmcnt(8)
	v_xor_b32_e32 v20, 0xffff8000, v20
	v_lshrrev_b32_sdwa v1, s20, v20 dst_sel:DWORD dst_unused:UNUSED_PAD src0_sel:DWORD src1_sel:WORD_0
	v_and_b32_e32 v2, s21, v1
	v_mul_u32_u24_e32 v1, 17, v2
	v_add_lshl_u32 v23, v17, v1, 2
	v_and_b32_e32 v1, 1, v2
	v_add_co_u32_e32 v3, vcc, -1, v1
	v_addc_co_u32_e64 v24, s[0:1], 0, -1, vcc
	v_cmp_ne_u32_e32 vcc, 0, v1
	v_xor_b32_e32 v1, vcc_hi, v24
	v_and_b32_e32 v24, exec_hi, v1
	v_lshlrev_b32_e32 v1, 30, v2
	v_xor_b32_e32 v3, vcc_lo, v3
	v_cmp_gt_i64_e32 vcc, 0, v[0:1]
	v_not_b32_e32 v1, v1
	v_ashrrev_i32_e32 v1, 31, v1
	v_and_b32_e32 v3, exec_lo, v3
	v_xor_b32_e32 v26, vcc_hi, v1
	v_xor_b32_e32 v1, vcc_lo, v1
	v_and_b32_e32 v3, v3, v1
	v_lshlrev_b32_e32 v1, 29, v2
	v_cmp_gt_i64_e32 vcc, 0, v[0:1]
	v_not_b32_e32 v1, v1
	v_ashrrev_i32_e32 v1, 31, v1
	v_and_b32_e32 v24, v24, v26
	v_xor_b32_e32 v26, vcc_hi, v1
	v_xor_b32_e32 v1, vcc_lo, v1
	v_and_b32_e32 v3, v3, v1
	v_lshlrev_b32_e32 v1, 28, v2
	v_cmp_gt_i64_e32 vcc, 0, v[0:1]
	v_not_b32_e32 v1, v1
	v_ashrrev_i32_e32 v1, 31, v1
	v_and_b32_e32 v24, v24, v26
	v_xor_b32_e32 v26, vcc_hi, v1
	v_xor_b32_e32 v1, vcc_lo, v1
	v_and_b32_e32 v3, v3, v1
	v_lshlrev_b32_e32 v1, 27, v2
	v_cmp_gt_i64_e32 vcc, 0, v[0:1]
	v_not_b32_e32 v1, v1
	v_ashrrev_i32_e32 v1, 31, v1
	v_and_b32_e32 v24, v24, v26
	v_xor_b32_e32 v26, vcc_hi, v1
	v_xor_b32_e32 v1, vcc_lo, v1
	v_and_b32_e32 v3, v3, v1
	v_lshlrev_b32_e32 v1, 26, v2
	v_cmp_gt_i64_e32 vcc, 0, v[0:1]
	v_not_b32_e32 v1, v1
	v_ashrrev_i32_e32 v1, 31, v1
	v_and_b32_e32 v24, v24, v26
	v_xor_b32_e32 v26, vcc_hi, v1
	v_xor_b32_e32 v1, vcc_lo, v1
	v_and_b32_e32 v3, v3, v1
	v_lshlrev_b32_e32 v1, 25, v2
	v_cmp_gt_i64_e32 vcc, 0, v[0:1]
	v_not_b32_e32 v1, v1
	v_ashrrev_i32_e32 v1, 31, v1
	v_and_b32_e32 v24, v24, v26
	v_xor_b32_e32 v26, vcc_hi, v1
	v_xor_b32_e32 v1, vcc_lo, v1
	v_and_b32_e32 v3, v3, v1
	v_lshlrev_b32_e32 v1, 24, v2
	v_cmp_gt_i64_e32 vcc, 0, v[0:1]
	v_not_b32_e32 v0, v1
	v_ashrrev_i32_e32 v0, 31, v0
	v_xor_b32_e32 v1, vcc_hi, v0
	v_xor_b32_e32 v0, vcc_lo, v0
	; wave barrier
	ds_read_b32 v21, v23 offset:64
	v_and_b32_e32 v24, v24, v26
	v_and_b32_e32 v0, v3, v0
	v_and_b32_e32 v1, v24, v1
	v_mbcnt_lo_u32_b32 v2, v0, 0
	v_mbcnt_hi_u32_b32 v24, v1, v2
	v_cmp_eq_u32_e32 vcc, 0, v24
	v_cmp_ne_u64_e64 s[0:1], 0, v[0:1]
	s_and_b64 s[2:3], s[0:1], vcc
	; wave barrier
	s_and_saveexec_b64 s[0:1], s[2:3]
	s_cbranch_execz .LBB1999_105
; %bb.104:
	v_bcnt_u32_b32 v0, v0, 0
	v_bcnt_u32_b32 v0, v1, v0
	s_waitcnt lgkmcnt(0)
	v_add_u32_e32 v0, v21, v0
	ds_write_b32 v23, v0 offset:64
.LBB1999_105:
	s_or_b64 exec, exec, s[0:1]
	s_waitcnt vmcnt(7)
	v_xor_b32_e32 v25, 0xffff8000, v25
	v_lshrrev_b32_sdwa v0, s20, v25 dst_sel:DWORD dst_unused:UNUSED_PAD src0_sel:DWORD src1_sel:WORD_0
	v_and_b32_e32 v2, s21, v0
	v_and_b32_e32 v1, 1, v2
	v_add_co_u32_e32 v3, vcc, -1, v1
	v_addc_co_u32_e64 v30, s[0:1], 0, -1, vcc
	v_cmp_ne_u32_e32 vcc, 0, v1
	v_mul_u32_u24_e32 v0, 17, v2
	v_xor_b32_e32 v1, vcc_hi, v30
	v_add_lshl_u32 v28, v17, v0, 2
	v_mov_b32_e32 v0, 0
	v_and_b32_e32 v30, exec_hi, v1
	v_lshlrev_b32_e32 v1, 30, v2
	v_xor_b32_e32 v3, vcc_lo, v3
	v_cmp_gt_i64_e32 vcc, 0, v[0:1]
	v_not_b32_e32 v1, v1
	v_ashrrev_i32_e32 v1, 31, v1
	v_and_b32_e32 v3, exec_lo, v3
	v_xor_b32_e32 v31, vcc_hi, v1
	v_xor_b32_e32 v1, vcc_lo, v1
	v_and_b32_e32 v3, v3, v1
	v_lshlrev_b32_e32 v1, 29, v2
	v_cmp_gt_i64_e32 vcc, 0, v[0:1]
	v_not_b32_e32 v1, v1
	v_ashrrev_i32_e32 v1, 31, v1
	v_and_b32_e32 v30, v30, v31
	v_xor_b32_e32 v31, vcc_hi, v1
	v_xor_b32_e32 v1, vcc_lo, v1
	v_and_b32_e32 v3, v3, v1
	v_lshlrev_b32_e32 v1, 28, v2
	v_cmp_gt_i64_e32 vcc, 0, v[0:1]
	v_not_b32_e32 v1, v1
	v_ashrrev_i32_e32 v1, 31, v1
	v_and_b32_e32 v30, v30, v31
	;; [unrolled: 8-line block ×5, first 2 shown]
	v_xor_b32_e32 v31, vcc_hi, v1
	v_xor_b32_e32 v1, vcc_lo, v1
	v_and_b32_e32 v30, v30, v31
	v_and_b32_e32 v31, v3, v1
	v_lshlrev_b32_e32 v1, 24, v2
	v_cmp_gt_i64_e32 vcc, 0, v[0:1]
	v_not_b32_e32 v1, v1
	v_ashrrev_i32_e32 v1, 31, v1
	v_xor_b32_e32 v2, vcc_hi, v1
	v_xor_b32_e32 v1, vcc_lo, v1
	; wave barrier
	ds_read_b32 v26, v28 offset:64
	v_and_b32_e32 v3, v30, v2
	v_and_b32_e32 v2, v31, v1
	v_mbcnt_lo_u32_b32 v1, v2, 0
	v_mbcnt_hi_u32_b32 v30, v3, v1
	v_cmp_eq_u32_e32 vcc, 0, v30
	v_cmp_ne_u64_e64 s[0:1], 0, v[2:3]
	s_and_b64 s[2:3], s[0:1], vcc
	; wave barrier
	s_and_saveexec_b64 s[0:1], s[2:3]
	s_cbranch_execz .LBB1999_107
; %bb.106:
	v_bcnt_u32_b32 v1, v2, 0
	v_bcnt_u32_b32 v1, v3, v1
	s_waitcnt lgkmcnt(0)
	v_add_u32_e32 v1, v26, v1
	ds_write_b32 v28, v1 offset:64
.LBB1999_107:
	s_or_b64 exec, exec, s[0:1]
	s_waitcnt vmcnt(6)
	v_xor_b32_e32 v29, 0xffff8000, v29
	v_lshrrev_b32_sdwa v1, s20, v29 dst_sel:DWORD dst_unused:UNUSED_PAD src0_sel:DWORD src1_sel:WORD_0
	v_and_b32_e32 v2, s21, v1
	v_mul_u32_u24_e32 v1, 17, v2
	v_add_lshl_u32 v33, v17, v1, 2
	v_and_b32_e32 v1, 1, v2
	v_add_co_u32_e32 v3, vcc, -1, v1
	v_addc_co_u32_e64 v35, s[0:1], 0, -1, vcc
	v_cmp_ne_u32_e32 vcc, 0, v1
	v_xor_b32_e32 v1, vcc_hi, v35
	v_and_b32_e32 v35, exec_hi, v1
	v_lshlrev_b32_e32 v1, 30, v2
	v_xor_b32_e32 v3, vcc_lo, v3
	v_cmp_gt_i64_e32 vcc, 0, v[0:1]
	v_not_b32_e32 v1, v1
	v_ashrrev_i32_e32 v1, 31, v1
	v_and_b32_e32 v3, exec_lo, v3
	v_xor_b32_e32 v36, vcc_hi, v1
	v_xor_b32_e32 v1, vcc_lo, v1
	v_and_b32_e32 v3, v3, v1
	v_lshlrev_b32_e32 v1, 29, v2
	v_cmp_gt_i64_e32 vcc, 0, v[0:1]
	v_not_b32_e32 v1, v1
	v_ashrrev_i32_e32 v1, 31, v1
	v_and_b32_e32 v35, v35, v36
	v_xor_b32_e32 v36, vcc_hi, v1
	v_xor_b32_e32 v1, vcc_lo, v1
	v_and_b32_e32 v3, v3, v1
	v_lshlrev_b32_e32 v1, 28, v2
	v_cmp_gt_i64_e32 vcc, 0, v[0:1]
	v_not_b32_e32 v1, v1
	v_ashrrev_i32_e32 v1, 31, v1
	v_and_b32_e32 v35, v35, v36
	;; [unrolled: 8-line block ×5, first 2 shown]
	v_xor_b32_e32 v36, vcc_hi, v1
	v_xor_b32_e32 v1, vcc_lo, v1
	v_and_b32_e32 v3, v3, v1
	v_lshlrev_b32_e32 v1, 24, v2
	v_cmp_gt_i64_e32 vcc, 0, v[0:1]
	v_not_b32_e32 v0, v1
	v_ashrrev_i32_e32 v0, 31, v0
	v_xor_b32_e32 v1, vcc_hi, v0
	v_xor_b32_e32 v0, vcc_lo, v0
	; wave barrier
	ds_read_b32 v31, v33 offset:64
	v_and_b32_e32 v35, v35, v36
	v_and_b32_e32 v0, v3, v0
	;; [unrolled: 1-line block ×3, first 2 shown]
	v_mbcnt_lo_u32_b32 v2, v0, 0
	v_mbcnt_hi_u32_b32 v35, v1, v2
	v_cmp_eq_u32_e32 vcc, 0, v35
	v_cmp_ne_u64_e64 s[0:1], 0, v[0:1]
	s_and_b64 s[2:3], s[0:1], vcc
	; wave barrier
	s_and_saveexec_b64 s[0:1], s[2:3]
	s_cbranch_execz .LBB1999_109
; %bb.108:
	v_bcnt_u32_b32 v0, v0, 0
	v_bcnt_u32_b32 v0, v1, v0
	s_waitcnt lgkmcnt(0)
	v_add_u32_e32 v0, v31, v0
	ds_write_b32 v33, v0 offset:64
.LBB1999_109:
	s_or_b64 exec, exec, s[0:1]
	s_waitcnt vmcnt(5)
	v_xor_b32_e32 v34, 0xffff8000, v34
	v_lshrrev_b32_sdwa v0, s20, v34 dst_sel:DWORD dst_unused:UNUSED_PAD src0_sel:DWORD src1_sel:WORD_0
	v_and_b32_e32 v2, s21, v0
	v_and_b32_e32 v1, 1, v2
	v_add_co_u32_e32 v3, vcc, -1, v1
	v_addc_co_u32_e64 v39, s[0:1], 0, -1, vcc
	v_cmp_ne_u32_e32 vcc, 0, v1
	v_mul_u32_u24_e32 v0, 17, v2
	v_xor_b32_e32 v1, vcc_hi, v39
	v_add_lshl_u32 v38, v17, v0, 2
	v_mov_b32_e32 v0, 0
	v_and_b32_e32 v39, exec_hi, v1
	v_lshlrev_b32_e32 v1, 30, v2
	v_xor_b32_e32 v3, vcc_lo, v3
	v_cmp_gt_i64_e32 vcc, 0, v[0:1]
	v_not_b32_e32 v1, v1
	v_ashrrev_i32_e32 v1, 31, v1
	v_and_b32_e32 v3, exec_lo, v3
	v_xor_b32_e32 v40, vcc_hi, v1
	v_xor_b32_e32 v1, vcc_lo, v1
	v_and_b32_e32 v3, v3, v1
	v_lshlrev_b32_e32 v1, 29, v2
	v_cmp_gt_i64_e32 vcc, 0, v[0:1]
	v_not_b32_e32 v1, v1
	v_ashrrev_i32_e32 v1, 31, v1
	v_and_b32_e32 v39, v39, v40
	v_xor_b32_e32 v40, vcc_hi, v1
	v_xor_b32_e32 v1, vcc_lo, v1
	v_and_b32_e32 v3, v3, v1
	v_lshlrev_b32_e32 v1, 28, v2
	v_cmp_gt_i64_e32 vcc, 0, v[0:1]
	v_not_b32_e32 v1, v1
	v_ashrrev_i32_e32 v1, 31, v1
	v_and_b32_e32 v39, v39, v40
	;; [unrolled: 8-line block ×5, first 2 shown]
	v_xor_b32_e32 v40, vcc_hi, v1
	v_xor_b32_e32 v1, vcc_lo, v1
	v_and_b32_e32 v39, v39, v40
	v_and_b32_e32 v40, v3, v1
	v_lshlrev_b32_e32 v1, 24, v2
	v_cmp_gt_i64_e32 vcc, 0, v[0:1]
	v_not_b32_e32 v1, v1
	v_ashrrev_i32_e32 v1, 31, v1
	v_xor_b32_e32 v2, vcc_hi, v1
	v_xor_b32_e32 v1, vcc_lo, v1
	; wave barrier
	ds_read_b32 v36, v38 offset:64
	v_and_b32_e32 v3, v39, v2
	v_and_b32_e32 v2, v40, v1
	v_mbcnt_lo_u32_b32 v1, v2, 0
	v_mbcnt_hi_u32_b32 v39, v3, v1
	v_cmp_eq_u32_e32 vcc, 0, v39
	v_cmp_ne_u64_e64 s[0:1], 0, v[2:3]
	s_and_b64 s[2:3], s[0:1], vcc
	; wave barrier
	s_and_saveexec_b64 s[0:1], s[2:3]
	s_cbranch_execz .LBB1999_111
; %bb.110:
	v_bcnt_u32_b32 v1, v2, 0
	v_bcnt_u32_b32 v1, v3, v1
	s_waitcnt lgkmcnt(0)
	v_add_u32_e32 v1, v36, v1
	ds_write_b32 v38, v1 offset:64
.LBB1999_111:
	s_or_b64 exec, exec, s[0:1]
	s_waitcnt vmcnt(4)
	v_xor_b32_e32 v37, 0xffff8000, v37
	v_lshrrev_b32_sdwa v1, s20, v37 dst_sel:DWORD dst_unused:UNUSED_PAD src0_sel:DWORD src1_sel:WORD_0
	v_and_b32_e32 v2, s21, v1
	v_mul_u32_u24_e32 v1, 17, v2
	v_add_lshl_u32 v41, v17, v1, 2
	v_and_b32_e32 v1, 1, v2
	v_add_co_u32_e32 v3, vcc, -1, v1
	v_addc_co_u32_e64 v42, s[0:1], 0, -1, vcc
	v_cmp_ne_u32_e32 vcc, 0, v1
	v_xor_b32_e32 v1, vcc_hi, v42
	v_and_b32_e32 v42, exec_hi, v1
	v_lshlrev_b32_e32 v1, 30, v2
	v_xor_b32_e32 v3, vcc_lo, v3
	v_cmp_gt_i64_e32 vcc, 0, v[0:1]
	v_not_b32_e32 v1, v1
	v_ashrrev_i32_e32 v1, 31, v1
	v_and_b32_e32 v3, exec_lo, v3
	v_xor_b32_e32 v43, vcc_hi, v1
	v_xor_b32_e32 v1, vcc_lo, v1
	v_and_b32_e32 v3, v3, v1
	v_lshlrev_b32_e32 v1, 29, v2
	v_cmp_gt_i64_e32 vcc, 0, v[0:1]
	v_not_b32_e32 v1, v1
	v_ashrrev_i32_e32 v1, 31, v1
	v_and_b32_e32 v42, v42, v43
	v_xor_b32_e32 v43, vcc_hi, v1
	v_xor_b32_e32 v1, vcc_lo, v1
	v_and_b32_e32 v3, v3, v1
	v_lshlrev_b32_e32 v1, 28, v2
	v_cmp_gt_i64_e32 vcc, 0, v[0:1]
	v_not_b32_e32 v1, v1
	v_ashrrev_i32_e32 v1, 31, v1
	v_and_b32_e32 v42, v42, v43
	;; [unrolled: 8-line block ×5, first 2 shown]
	v_xor_b32_e32 v43, vcc_hi, v1
	v_xor_b32_e32 v1, vcc_lo, v1
	v_and_b32_e32 v3, v3, v1
	v_lshlrev_b32_e32 v1, 24, v2
	v_cmp_gt_i64_e32 vcc, 0, v[0:1]
	v_not_b32_e32 v0, v1
	v_ashrrev_i32_e32 v0, 31, v0
	v_xor_b32_e32 v1, vcc_hi, v0
	v_xor_b32_e32 v0, vcc_lo, v0
	; wave barrier
	ds_read_b32 v40, v41 offset:64
	v_and_b32_e32 v42, v42, v43
	v_and_b32_e32 v0, v3, v0
	;; [unrolled: 1-line block ×3, first 2 shown]
	v_mbcnt_lo_u32_b32 v2, v0, 0
	v_mbcnt_hi_u32_b32 v42, v1, v2
	v_cmp_eq_u32_e32 vcc, 0, v42
	v_cmp_ne_u64_e64 s[0:1], 0, v[0:1]
	s_and_b64 s[2:3], s[0:1], vcc
	; wave barrier
	s_and_saveexec_b64 s[0:1], s[2:3]
	s_cbranch_execz .LBB1999_113
; %bb.112:
	v_bcnt_u32_b32 v0, v0, 0
	v_bcnt_u32_b32 v0, v1, v0
	s_waitcnt lgkmcnt(0)
	v_add_u32_e32 v0, v40, v0
	ds_write_b32 v41, v0 offset:64
.LBB1999_113:
	s_or_b64 exec, exec, s[0:1]
	s_waitcnt vmcnt(3)
	v_xor_b32_e32 v32, 0xffff8000, v32
	v_lshrrev_b32_sdwa v0, s20, v32 dst_sel:DWORD dst_unused:UNUSED_PAD src0_sel:DWORD src1_sel:WORD_0
	v_and_b32_e32 v2, s21, v0
	v_and_b32_e32 v1, 1, v2
	v_add_co_u32_e32 v3, vcc, -1, v1
	v_addc_co_u32_e64 v45, s[0:1], 0, -1, vcc
	v_cmp_ne_u32_e32 vcc, 0, v1
	v_mul_u32_u24_e32 v0, 17, v2
	v_xor_b32_e32 v1, vcc_hi, v45
	v_add_lshl_u32 v44, v17, v0, 2
	v_mov_b32_e32 v0, 0
	v_and_b32_e32 v45, exec_hi, v1
	v_lshlrev_b32_e32 v1, 30, v2
	v_xor_b32_e32 v3, vcc_lo, v3
	v_cmp_gt_i64_e32 vcc, 0, v[0:1]
	v_not_b32_e32 v1, v1
	v_ashrrev_i32_e32 v1, 31, v1
	v_and_b32_e32 v3, exec_lo, v3
	v_xor_b32_e32 v46, vcc_hi, v1
	v_xor_b32_e32 v1, vcc_lo, v1
	v_and_b32_e32 v3, v3, v1
	v_lshlrev_b32_e32 v1, 29, v2
	v_cmp_gt_i64_e32 vcc, 0, v[0:1]
	v_not_b32_e32 v1, v1
	v_ashrrev_i32_e32 v1, 31, v1
	v_and_b32_e32 v45, v45, v46
	v_xor_b32_e32 v46, vcc_hi, v1
	v_xor_b32_e32 v1, vcc_lo, v1
	v_and_b32_e32 v3, v3, v1
	v_lshlrev_b32_e32 v1, 28, v2
	v_cmp_gt_i64_e32 vcc, 0, v[0:1]
	v_not_b32_e32 v1, v1
	v_ashrrev_i32_e32 v1, 31, v1
	v_and_b32_e32 v45, v45, v46
	;; [unrolled: 8-line block ×5, first 2 shown]
	v_xor_b32_e32 v46, vcc_hi, v1
	v_xor_b32_e32 v1, vcc_lo, v1
	v_and_b32_e32 v45, v45, v46
	v_and_b32_e32 v46, v3, v1
	v_lshlrev_b32_e32 v1, 24, v2
	v_cmp_gt_i64_e32 vcc, 0, v[0:1]
	v_not_b32_e32 v1, v1
	v_ashrrev_i32_e32 v1, 31, v1
	v_xor_b32_e32 v2, vcc_hi, v1
	v_xor_b32_e32 v1, vcc_lo, v1
	; wave barrier
	ds_read_b32 v43, v44 offset:64
	v_and_b32_e32 v3, v45, v2
	v_and_b32_e32 v2, v46, v1
	v_mbcnt_lo_u32_b32 v1, v2, 0
	v_mbcnt_hi_u32_b32 v45, v3, v1
	v_cmp_eq_u32_e32 vcc, 0, v45
	v_cmp_ne_u64_e64 s[0:1], 0, v[2:3]
	s_and_b64 s[2:3], s[0:1], vcc
	; wave barrier
	s_and_saveexec_b64 s[0:1], s[2:3]
	s_cbranch_execz .LBB1999_115
; %bb.114:
	v_bcnt_u32_b32 v1, v2, 0
	v_bcnt_u32_b32 v1, v3, v1
	s_waitcnt lgkmcnt(0)
	v_add_u32_e32 v1, v43, v1
	ds_write_b32 v44, v1 offset:64
.LBB1999_115:
	s_or_b64 exec, exec, s[0:1]
	s_waitcnt vmcnt(2)
	v_xor_b32_e32 v27, 0xffff8000, v27
	v_lshrrev_b32_sdwa v1, s20, v27 dst_sel:DWORD dst_unused:UNUSED_PAD src0_sel:DWORD src1_sel:WORD_0
	v_and_b32_e32 v2, s21, v1
	v_mul_u32_u24_e32 v1, 17, v2
	v_add_lshl_u32 v47, v17, v1, 2
	v_and_b32_e32 v1, 1, v2
	v_add_co_u32_e32 v3, vcc, -1, v1
	v_addc_co_u32_e64 v48, s[0:1], 0, -1, vcc
	v_cmp_ne_u32_e32 vcc, 0, v1
	v_xor_b32_e32 v1, vcc_hi, v48
	v_and_b32_e32 v48, exec_hi, v1
	v_lshlrev_b32_e32 v1, 30, v2
	v_xor_b32_e32 v3, vcc_lo, v3
	v_cmp_gt_i64_e32 vcc, 0, v[0:1]
	v_not_b32_e32 v1, v1
	v_ashrrev_i32_e32 v1, 31, v1
	v_and_b32_e32 v3, exec_lo, v3
	v_xor_b32_e32 v49, vcc_hi, v1
	v_xor_b32_e32 v1, vcc_lo, v1
	v_and_b32_e32 v3, v3, v1
	v_lshlrev_b32_e32 v1, 29, v2
	v_cmp_gt_i64_e32 vcc, 0, v[0:1]
	v_not_b32_e32 v1, v1
	v_ashrrev_i32_e32 v1, 31, v1
	v_and_b32_e32 v48, v48, v49
	v_xor_b32_e32 v49, vcc_hi, v1
	v_xor_b32_e32 v1, vcc_lo, v1
	v_and_b32_e32 v3, v3, v1
	v_lshlrev_b32_e32 v1, 28, v2
	v_cmp_gt_i64_e32 vcc, 0, v[0:1]
	v_not_b32_e32 v1, v1
	v_ashrrev_i32_e32 v1, 31, v1
	v_and_b32_e32 v48, v48, v49
	v_xor_b32_e32 v49, vcc_hi, v1
	v_xor_b32_e32 v1, vcc_lo, v1
	v_and_b32_e32 v3, v3, v1
	v_lshlrev_b32_e32 v1, 27, v2
	v_cmp_gt_i64_e32 vcc, 0, v[0:1]
	v_not_b32_e32 v1, v1
	v_ashrrev_i32_e32 v1, 31, v1
	v_and_b32_e32 v48, v48, v49
	v_xor_b32_e32 v49, vcc_hi, v1
	v_xor_b32_e32 v1, vcc_lo, v1
	v_and_b32_e32 v3, v3, v1
	v_lshlrev_b32_e32 v1, 26, v2
	v_cmp_gt_i64_e32 vcc, 0, v[0:1]
	v_not_b32_e32 v1, v1
	v_ashrrev_i32_e32 v1, 31, v1
	v_and_b32_e32 v48, v48, v49
	v_xor_b32_e32 v49, vcc_hi, v1
	v_xor_b32_e32 v1, vcc_lo, v1
	v_and_b32_e32 v3, v3, v1
	v_lshlrev_b32_e32 v1, 25, v2
	v_cmp_gt_i64_e32 vcc, 0, v[0:1]
	v_not_b32_e32 v1, v1
	v_ashrrev_i32_e32 v1, 31, v1
	v_and_b32_e32 v48, v48, v49
	v_xor_b32_e32 v49, vcc_hi, v1
	v_xor_b32_e32 v1, vcc_lo, v1
	v_and_b32_e32 v3, v3, v1
	v_lshlrev_b32_e32 v1, 24, v2
	v_cmp_gt_i64_e32 vcc, 0, v[0:1]
	v_not_b32_e32 v0, v1
	v_ashrrev_i32_e32 v0, 31, v0
	v_xor_b32_e32 v1, vcc_hi, v0
	v_xor_b32_e32 v0, vcc_lo, v0
	; wave barrier
	ds_read_b32 v46, v47 offset:64
	v_and_b32_e32 v48, v48, v49
	v_and_b32_e32 v0, v3, v0
	;; [unrolled: 1-line block ×3, first 2 shown]
	v_mbcnt_lo_u32_b32 v2, v0, 0
	v_mbcnt_hi_u32_b32 v48, v1, v2
	v_cmp_eq_u32_e32 vcc, 0, v48
	v_cmp_ne_u64_e64 s[0:1], 0, v[0:1]
	s_and_b64 s[2:3], s[0:1], vcc
	; wave barrier
	s_and_saveexec_b64 s[0:1], s[2:3]
	s_cbranch_execz .LBB1999_117
; %bb.116:
	v_bcnt_u32_b32 v0, v0, 0
	v_bcnt_u32_b32 v0, v1, v0
	s_waitcnt lgkmcnt(0)
	v_add_u32_e32 v0, v46, v0
	ds_write_b32 v47, v0 offset:64
.LBB1999_117:
	s_or_b64 exec, exec, s[0:1]
	s_waitcnt vmcnt(1)
	v_xor_b32_e32 v22, 0xffff8000, v22
	v_lshrrev_b32_sdwa v0, s20, v22 dst_sel:DWORD dst_unused:UNUSED_PAD src0_sel:DWORD src1_sel:WORD_0
	v_and_b32_e32 v2, s21, v0
	v_and_b32_e32 v1, 1, v2
	v_add_co_u32_e32 v3, vcc, -1, v1
	v_addc_co_u32_e64 v51, s[0:1], 0, -1, vcc
	v_cmp_ne_u32_e32 vcc, 0, v1
	v_mul_u32_u24_e32 v0, 17, v2
	v_xor_b32_e32 v1, vcc_hi, v51
	v_add_lshl_u32 v50, v17, v0, 2
	v_mov_b32_e32 v0, 0
	v_and_b32_e32 v51, exec_hi, v1
	v_lshlrev_b32_e32 v1, 30, v2
	v_xor_b32_e32 v3, vcc_lo, v3
	v_cmp_gt_i64_e32 vcc, 0, v[0:1]
	v_not_b32_e32 v1, v1
	v_ashrrev_i32_e32 v1, 31, v1
	v_and_b32_e32 v3, exec_lo, v3
	v_xor_b32_e32 v52, vcc_hi, v1
	v_xor_b32_e32 v1, vcc_lo, v1
	v_and_b32_e32 v3, v3, v1
	v_lshlrev_b32_e32 v1, 29, v2
	v_cmp_gt_i64_e32 vcc, 0, v[0:1]
	v_not_b32_e32 v1, v1
	v_ashrrev_i32_e32 v1, 31, v1
	v_and_b32_e32 v51, v51, v52
	v_xor_b32_e32 v52, vcc_hi, v1
	v_xor_b32_e32 v1, vcc_lo, v1
	v_and_b32_e32 v3, v3, v1
	v_lshlrev_b32_e32 v1, 28, v2
	v_cmp_gt_i64_e32 vcc, 0, v[0:1]
	v_not_b32_e32 v1, v1
	v_ashrrev_i32_e32 v1, 31, v1
	v_and_b32_e32 v51, v51, v52
	;; [unrolled: 8-line block ×5, first 2 shown]
	v_xor_b32_e32 v52, vcc_hi, v1
	v_xor_b32_e32 v1, vcc_lo, v1
	v_and_b32_e32 v51, v51, v52
	v_and_b32_e32 v52, v3, v1
	v_lshlrev_b32_e32 v1, 24, v2
	v_cmp_gt_i64_e32 vcc, 0, v[0:1]
	v_not_b32_e32 v1, v1
	v_ashrrev_i32_e32 v1, 31, v1
	v_xor_b32_e32 v2, vcc_hi, v1
	v_xor_b32_e32 v1, vcc_lo, v1
	; wave barrier
	ds_read_b32 v49, v50 offset:64
	v_and_b32_e32 v3, v51, v2
	v_and_b32_e32 v2, v52, v1
	v_mbcnt_lo_u32_b32 v1, v2, 0
	v_mbcnt_hi_u32_b32 v51, v3, v1
	v_cmp_eq_u32_e32 vcc, 0, v51
	v_cmp_ne_u64_e64 s[0:1], 0, v[2:3]
	s_and_b64 s[2:3], s[0:1], vcc
	; wave barrier
	s_and_saveexec_b64 s[0:1], s[2:3]
	s_cbranch_execz .LBB1999_119
; %bb.118:
	v_bcnt_u32_b32 v1, v2, 0
	v_bcnt_u32_b32 v1, v3, v1
	s_waitcnt lgkmcnt(0)
	v_add_u32_e32 v1, v49, v1
	ds_write_b32 v50, v1 offset:64
.LBB1999_119:
	s_or_b64 exec, exec, s[0:1]
	s_waitcnt vmcnt(0)
	v_xor_b32_e32 v16, 0xffff8000, v16
	v_lshrrev_b32_sdwa v1, s20, v16 dst_sel:DWORD dst_unused:UNUSED_PAD src0_sel:DWORD src1_sel:WORD_0
	v_and_b32_e32 v2, s21, v1
	v_mul_u32_u24_e32 v1, 17, v2
	v_add_lshl_u32 v53, v17, v1, 2
	v_and_b32_e32 v1, 1, v2
	v_add_co_u32_e32 v3, vcc, -1, v1
	v_addc_co_u32_e64 v17, s[0:1], 0, -1, vcc
	v_cmp_ne_u32_e32 vcc, 0, v1
	v_xor_b32_e32 v1, vcc_hi, v17
	v_and_b32_e32 v17, exec_hi, v1
	v_lshlrev_b32_e32 v1, 30, v2
	v_xor_b32_e32 v3, vcc_lo, v3
	v_cmp_gt_i64_e32 vcc, 0, v[0:1]
	v_not_b32_e32 v1, v1
	v_ashrrev_i32_e32 v1, 31, v1
	v_and_b32_e32 v3, exec_lo, v3
	v_xor_b32_e32 v55, vcc_hi, v1
	v_xor_b32_e32 v1, vcc_lo, v1
	v_and_b32_e32 v3, v3, v1
	v_lshlrev_b32_e32 v1, 29, v2
	v_cmp_gt_i64_e32 vcc, 0, v[0:1]
	v_not_b32_e32 v1, v1
	v_ashrrev_i32_e32 v1, 31, v1
	v_and_b32_e32 v17, v17, v55
	v_xor_b32_e32 v55, vcc_hi, v1
	v_xor_b32_e32 v1, vcc_lo, v1
	v_and_b32_e32 v3, v3, v1
	v_lshlrev_b32_e32 v1, 28, v2
	v_cmp_gt_i64_e32 vcc, 0, v[0:1]
	v_not_b32_e32 v1, v1
	v_ashrrev_i32_e32 v1, 31, v1
	v_and_b32_e32 v17, v17, v55
	;; [unrolled: 8-line block ×5, first 2 shown]
	v_xor_b32_e32 v55, vcc_hi, v1
	v_xor_b32_e32 v1, vcc_lo, v1
	v_and_b32_e32 v3, v3, v1
	v_lshlrev_b32_e32 v1, 24, v2
	v_cmp_gt_i64_e32 vcc, 0, v[0:1]
	v_not_b32_e32 v0, v1
	v_ashrrev_i32_e32 v0, 31, v0
	v_xor_b32_e32 v1, vcc_hi, v0
	v_xor_b32_e32 v0, vcc_lo, v0
	; wave barrier
	ds_read_b32 v52, v53 offset:64
	v_and_b32_e32 v17, v17, v55
	v_and_b32_e32 v0, v3, v0
	;; [unrolled: 1-line block ×3, first 2 shown]
	v_mbcnt_lo_u32_b32 v2, v0, 0
	v_mbcnt_hi_u32_b32 v55, v1, v2
	v_cmp_eq_u32_e32 vcc, 0, v55
	v_cmp_ne_u64_e64 s[0:1], 0, v[0:1]
	v_add_u32_e32 v54, 64, v6
	s_and_b64 s[2:3], s[0:1], vcc
	; wave barrier
	s_and_saveexec_b64 s[0:1], s[2:3]
	s_cbranch_execz .LBB1999_121
; %bb.120:
	v_bcnt_u32_b32 v0, v0, 0
	v_bcnt_u32_b32 v0, v1, v0
	s_waitcnt lgkmcnt(0)
	v_add_u32_e32 v0, v52, v0
	ds_write_b32 v53, v0 offset:64
.LBB1999_121:
	s_or_b64 exec, exec, s[0:1]
	; wave barrier
	s_waitcnt lgkmcnt(0)
	s_barrier
	ds_read2_b32 v[2:3], v6 offset0:16 offset1:17
	ds_read2_b32 v[0:1], v54 offset0:2 offset1:3
	ds_read_b32 v17, v54 offset:16
	v_cmp_lt_u32_e64 s[8:9], 31, v5
	s_waitcnt lgkmcnt(1)
	v_add3_u32 v56, v3, v2, v0
	s_waitcnt lgkmcnt(0)
	v_add3_u32 v17, v56, v1, v17
	v_and_b32_e32 v56, 15, v5
	v_cmp_eq_u32_e32 vcc, 0, v56
	v_mov_b32_dpp v57, v17 row_shr:1 row_mask:0xf bank_mask:0xf
	v_cndmask_b32_e64 v57, v57, 0, vcc
	v_add_u32_e32 v17, v57, v17
	v_cmp_lt_u32_e64 s[0:1], 1, v56
	v_cmp_lt_u32_e64 s[2:3], 3, v56
	v_mov_b32_dpp v57, v17 row_shr:2 row_mask:0xf bank_mask:0xf
	v_cndmask_b32_e64 v57, 0, v57, s[0:1]
	v_add_u32_e32 v17, v17, v57
	v_cmp_lt_u32_e64 s[4:5], 7, v56
	s_nop 0
	v_mov_b32_dpp v57, v17 row_shr:4 row_mask:0xf bank_mask:0xf
	v_cndmask_b32_e64 v57, 0, v57, s[2:3]
	v_add_u32_e32 v17, v17, v57
	s_nop 1
	v_mov_b32_dpp v57, v17 row_shr:8 row_mask:0xf bank_mask:0xf
	v_cndmask_b32_e64 v56, 0, v57, s[4:5]
	v_add_u32_e32 v17, v17, v56
	v_bfe_i32 v57, v5, 4, 1
	s_nop 0
	v_mov_b32_dpp v56, v17 row_bcast:15 row_mask:0xf bank_mask:0xf
	v_and_b32_e32 v56, v57, v56
	v_add_u32_e32 v17, v17, v56
	v_lshrrev_b32_e32 v57, 6, v10
	s_nop 0
	v_mov_b32_dpp v56, v17 row_bcast:31 row_mask:0xf bank_mask:0xf
	v_cndmask_b32_e64 v56, 0, v56, s[8:9]
	v_add_u32_e32 v56, v17, v56
	v_and_b32_e32 v17, 63, v10
	v_cmp_eq_u32_e64 s[8:9], 63, v17
	s_and_saveexec_b64 s[16:17], s[8:9]
	s_cbranch_execz .LBB1999_123
; %bb.122:
	v_lshlrev_b32_e32 v17, 2, v57
	ds_write_b32 v17, v56
.LBB1999_123:
	s_or_b64 exec, exec, s[16:17]
	v_cmp_gt_u32_e64 s[8:9], 16, v10
	v_lshlrev_b32_e32 v17, 2, v10
	s_waitcnt lgkmcnt(0)
	s_barrier
	s_and_saveexec_b64 s[16:17], s[8:9]
	s_cbranch_execz .LBB1999_125
; %bb.124:
	ds_read_b32 v58, v17
	s_waitcnt lgkmcnt(0)
	s_nop 0
	v_mov_b32_dpp v59, v58 row_shr:1 row_mask:0xf bank_mask:0xf
	v_cndmask_b32_e64 v59, v59, 0, vcc
	v_add_u32_e32 v58, v59, v58
	s_nop 1
	v_mov_b32_dpp v59, v58 row_shr:2 row_mask:0xf bank_mask:0xf
	v_cndmask_b32_e64 v59, 0, v59, s[0:1]
	v_add_u32_e32 v58, v58, v59
	s_nop 1
	v_mov_b32_dpp v59, v58 row_shr:4 row_mask:0xf bank_mask:0xf
	v_cndmask_b32_e64 v59, 0, v59, s[2:3]
	;; [unrolled: 4-line block ×3, first 2 shown]
	v_add_u32_e32 v58, v58, v59
	ds_write_b32 v17, v58
.LBB1999_125:
	s_or_b64 exec, exec, s[16:17]
	v_cmp_lt_u32_e32 vcc, 63, v10
	v_mov_b32_e32 v58, 0
	s_waitcnt lgkmcnt(0)
	s_barrier
	s_and_saveexec_b64 s[0:1], vcc
	s_cbranch_execz .LBB1999_127
; %bb.126:
	v_lshl_add_u32 v57, v57, 2, -4
	ds_read_b32 v58, v57
.LBB1999_127:
	s_or_b64 exec, exec, s[0:1]
	v_add_u32_e32 v57, -1, v5
	v_and_b32_e32 v59, 64, v5
	v_cmp_lt_i32_e32 vcc, v57, v59
	v_cndmask_b32_e32 v57, v57, v5, vcc
	s_waitcnt lgkmcnt(0)
	v_add_u32_e32 v56, v58, v56
	v_lshlrev_b32_e32 v57, 2, v57
	ds_bpermute_b32 v56, v57, v56
	v_cmp_eq_u32_e32 vcc, 0, v5
	s_movk_i32 s2, 0xff
	s_movk_i32 s3, 0x100
	v_cmp_lt_u32_e64 s[0:1], s2, v10
	s_waitcnt lgkmcnt(0)
	v_cndmask_b32_e32 v5, v56, v58, vcc
	v_cmp_ne_u32_e32 vcc, 0, v10
	v_cndmask_b32_e32 v5, 0, v5, vcc
	v_add_u32_e32 v2, v5, v2
	v_add_u32_e32 v3, v2, v3
	;; [unrolled: 1-line block ×4, first 2 shown]
	ds_write2_b32 v6, v5, v2 offset0:16 offset1:17
	ds_write2_b32 v54, v3, v0 offset0:2 offset1:3
	ds_write_b32 v54, v1 offset:16
	s_waitcnt lgkmcnt(0)
	s_barrier
	ds_read_b32 v58, v7 offset:64
	ds_read_b32 v57, v12 offset:64
	;; [unrolled: 1-line block ×12, first 2 shown]
	v_cmp_gt_u32_e32 vcc, s3, v10
                                        ; implicit-def: $vgpr6
                                        ; implicit-def: $vgpr7
	s_and_saveexec_b64 s[4:5], vcc
	s_cbranch_execz .LBB1999_131
; %bb.128:
	v_mul_u32_u24_e32 v6, 17, v10
	v_lshlrev_b32_e32 v28, 2, v6
	ds_read_b32 v6, v28 offset:64
	v_cmp_ne_u32_e64 s[2:3], s2, v10
	v_mov_b32_e32 v7, 0x3000
	s_and_saveexec_b64 s[8:9], s[2:3]
	s_cbranch_execz .LBB1999_130
; %bb.129:
	ds_read_b32 v7, v28 offset:132
.LBB1999_130:
	s_or_b64 exec, exec, s[8:9]
	s_waitcnt lgkmcnt(0)
	v_sub_u32_e32 v7, v7, v6
.LBB1999_131:
	s_or_b64 exec, exec, s[4:5]
	v_add_u32_e32 v11, v13, v11
	s_waitcnt lgkmcnt(11)
	v_add_lshl_u32 v8, v58, v8, 1
	v_add_u32_e32 v15, v19, v15
	s_waitcnt lgkmcnt(0)
	s_barrier
	ds_write_b16 v8, v4 offset:1024
	v_add_lshl_u32 v4, v11, v57, 1
	v_add_u32_e32 v21, v24, v21
	ds_write_b16 v4, v9 offset:1024
	v_add_lshl_u32 v4, v15, v56, 1
	v_add_u32_e32 v26, v30, v26
	;; [unrolled: 3-line block ×5, first 2 shown]
	v_add_u32_e32 v33, v51, v49
	v_add_u32_e32 v38, v48, v46
	;; [unrolled: 1-line block ×4, first 2 shown]
	ds_write_b16 v4, v29 offset:1024
	v_add_lshl_u32 v4, v36, v12, 1
	ds_write_b16 v4, v34 offset:1024
	v_add_lshl_u32 v4, v40, v5, 1
	v_add_lshl_u32 v3, v41, v3, 1
	;; [unrolled: 1-line block ×5, first 2 shown]
	ds_write_b16 v4, v37 offset:1024
	ds_write_b16 v3, v32 offset:1024
	ds_write_b16 v2, v27 offset:1024
	ds_write_b16 v1, v22 offset:1024
	ds_write_b16 v0, v16 offset:1024
	s_and_saveexec_b64 s[2:3], s[0:1]
	s_xor_b64 s[0:1], exec, s[2:3]
; %bb.132:
	v_mov_b32_e32 v11, 0
                                        ; implicit-def: $vgpr17
; %bb.133:
	s_andn2_saveexec_b64 s[2:3], s[0:1]
	s_cbranch_execz .LBB1999_143
; %bb.134:
	v_lshl_or_b32 v0, s6, 8, v10
	v_mov_b32_e32 v1, 0
	v_lshlrev_b64 v[2:3], 2, v[0:1]
	v_mov_b32_e32 v8, s25
	v_add_co_u32_e64 v2, s[0:1], s24, v2
	v_addc_co_u32_e64 v3, s[0:1], v8, v3, s[0:1]
	v_or_b32_e32 v0, 2.0, v7
	s_mov_b64 s[4:5], 0
	s_brev_b32 s22, 1
	s_mov_b32 s23, s6
	v_mov_b32_e32 v9, 0
	global_store_dword v[2:3], v0, off
                                        ; implicit-def: $sgpr0_sgpr1
	s_branch .LBB1999_137
.LBB1999_135:                           ;   in Loop: Header=BB1999_137 Depth=1
	s_or_b64 exec, exec, s[16:17]
.LBB1999_136:                           ;   in Loop: Header=BB1999_137 Depth=1
	s_or_b64 exec, exec, s[8:9]
	v_and_b32_e32 v4, 0x3fffffff, v11
	v_add_u32_e32 v9, v4, v9
	v_cmp_eq_u32_e64 s[0:1], s22, v0
	s_and_b64 s[8:9], exec, s[0:1]
	s_or_b64 s[4:5], s[8:9], s[4:5]
	s_andn2_b64 exec, exec, s[4:5]
	s_cbranch_execz .LBB1999_142
.LBB1999_137:                           ; =>This Loop Header: Depth=1
                                        ;     Child Loop BB1999_140 Depth 2
	s_or_b64 s[0:1], s[0:1], exec
	s_cmp_eq_u32 s23, 0
	s_cbranch_scc1 .LBB1999_141
; %bb.138:                              ;   in Loop: Header=BB1999_137 Depth=1
	s_add_i32 s23, s23, -1
	v_lshl_or_b32 v0, s23, 8, v10
	v_lshlrev_b64 v[4:5], 2, v[0:1]
	v_add_co_u32_e64 v4, s[0:1], s24, v4
	v_addc_co_u32_e64 v5, s[0:1], v8, v5, s[0:1]
	global_load_dword v11, v[4:5], off glc
	s_waitcnt vmcnt(0)
	v_and_b32_e32 v0, -2.0, v11
	v_cmp_eq_u32_e64 s[0:1], 0, v0
	s_and_saveexec_b64 s[8:9], s[0:1]
	s_cbranch_execz .LBB1999_136
; %bb.139:                              ;   in Loop: Header=BB1999_137 Depth=1
	s_mov_b64 s[16:17], 0
.LBB1999_140:                           ;   Parent Loop BB1999_137 Depth=1
                                        ; =>  This Inner Loop Header: Depth=2
	global_load_dword v11, v[4:5], off glc
	s_waitcnt vmcnt(0)
	v_and_b32_e32 v0, -2.0, v11
	v_cmp_ne_u32_e64 s[0:1], 0, v0
	s_or_b64 s[16:17], s[0:1], s[16:17]
	s_andn2_b64 exec, exec, s[16:17]
	s_cbranch_execnz .LBB1999_140
	s_branch .LBB1999_135
.LBB1999_141:                           ;   in Loop: Header=BB1999_137 Depth=1
                                        ; implicit-def: $sgpr23
	s_and_b64 s[8:9], exec, s[0:1]
	s_or_b64 s[4:5], s[8:9], s[4:5]
	s_andn2_b64 exec, exec, s[4:5]
	s_cbranch_execnz .LBB1999_137
.LBB1999_142:
	s_or_b64 exec, exec, s[4:5]
	v_add_u32_e32 v0, v9, v7
	v_or_b32_e32 v0, 0x80000000, v0
	global_store_dword v[2:3], v0, off
	global_load_dword v0, v17, s[12:13]
	v_sub_u32_e32 v1, v9, v6
	v_mov_b32_e32 v11, 0
	s_waitcnt vmcnt(0)
	v_add_u32_e32 v0, v1, v0
	ds_write_b32 v17, v0
.LBB1999_143:
	s_or_b64 exec, exec, s[2:3]
	v_lshlrev_b32_e32 v0, 1, v10
	s_waitcnt lgkmcnt(0)
	s_barrier
	v_lshlrev_b32_e32 v1, 1, v10
	ds_read_u16 v0, v0 offset:1024
	ds_read_u16 v4, v1 offset:3072
	;; [unrolled: 1-line block ×7, first 2 shown]
	s_waitcnt lgkmcnt(6)
	v_lshrrev_b32_sdwa v2, s20, v0 dst_sel:DWORD dst_unused:UNUSED_PAD src0_sel:DWORD src1_sel:WORD_0
	v_and_b32_e32 v2, s21, v2
	s_waitcnt lgkmcnt(4)
	v_lshrrev_b32_sdwa v3, s20, v5 dst_sel:DWORD dst_unused:UNUSED_PAD src0_sel:DWORD src1_sel:WORD_0
	v_xor_b32_e32 v14, 0xffff8000, v0
	v_lshlrev_b32_e32 v0, 2, v2
	v_lshrrev_b32_sdwa v2, s20, v4 dst_sel:DWORD dst_unused:UNUSED_PAD src0_sel:DWORD src1_sel:WORD_0
	v_and_b32_e32 v3, s21, v3
	v_and_b32_e32 v2, s21, v2
	v_lshlrev_b32_e32 v3, 2, v3
	v_lshlrev_b32_e32 v2, 2, v2
	ds_read_b32 v15, v3
	ds_read_b32 v0, v0
	ds_read_u16 v16, v1 offset:5120
	ds_read_u16 v17, v1 offset:9216
	;; [unrolled: 1-line block ×4, first 2 shown]
	ds_read_b32 v20, v2
	ds_read_u16 v21, v1 offset:21504
	s_waitcnt lgkmcnt(6)
	v_add_u32_e32 v0, v0, v10
	v_mov_b32_e32 v1, 0
	v_lshlrev_b64 v[2:3], 1, v[0:1]
	v_mov_b32_e32 v0, s19
	v_add_co_u32_e64 v2, s[0:1], s18, v2
	v_addc_co_u32_e64 v3, s[0:1], v0, v3, s[0:1]
	s_movk_i32 s0, 0x400
	s_waitcnt lgkmcnt(1)
	v_add3_u32 v0, v20, v10, s0
	global_store_short v[2:3], v14, off
	v_lshlrev_b64 v[2:3], 1, v[0:1]
	v_mov_b32_e32 v0, s19
	v_add_co_u32_e64 v2, s[0:1], s18, v2
	v_xor_b32_e32 v4, 0xffff8000, v4
	v_addc_co_u32_e64 v3, s[0:1], v0, v3, s[0:1]
	global_store_short v[2:3], v4, off
	v_lshrrev_b32_sdwa v0, s20, v16 dst_sel:DWORD dst_unused:UNUSED_PAD src0_sel:DWORD src1_sel:WORD_0
	v_xor_b32_e32 v4, 0xffff8000, v16
	v_lshrrev_b32_sdwa v14, s20, v18 dst_sel:DWORD dst_unused:UNUSED_PAD src0_sel:DWORD src1_sel:WORD_0
	v_lshrrev_b32_sdwa v16, s20, v9 dst_sel:DWORD dst_unused:UNUSED_PAD src0_sel:DWORD src1_sel:WORD_0
	;; [unrolled: 1-line block ×4, first 2 shown]
	s_waitcnt lgkmcnt(0)
	v_lshrrev_b32_sdwa v23, s20, v21 dst_sel:DWORD dst_unused:UNUSED_PAD src0_sel:DWORD src1_sel:WORD_0
	v_and_b32_e32 v0, s21, v0
	v_lshrrev_b32_sdwa v2, s20, v17 dst_sel:DWORD dst_unused:UNUSED_PAD src0_sel:DWORD src1_sel:WORD_0
	v_lshrrev_b32_sdwa v3, s20, v8 dst_sel:DWORD dst_unused:UNUSED_PAD src0_sel:DWORD src1_sel:WORD_0
	v_and_b32_e32 v14, s21, v14
	v_and_b32_e32 v16, s21, v16
	;; [unrolled: 1-line block ×5, first 2 shown]
	v_lshlrev_b32_e32 v0, 2, v0
	v_and_b32_e32 v2, s21, v2
	v_and_b32_e32 v3, s21, v3
	v_lshlrev_b32_e32 v14, 2, v14
	v_lshlrev_b32_e32 v16, 2, v16
	;; [unrolled: 1-line block ×5, first 2 shown]
	s_movk_i32 s0, 0x800
	v_lshlrev_b32_e32 v2, 2, v2
	v_lshlrev_b32_e32 v3, 2, v3
	ds_read_b32 v0, v0
	ds_read_b32 v24, v2
	ds_read_b32 v25, v3
	ds_read_b32 v14, v14
	ds_read_b32 v16, v16
	ds_read_b32 v20, v20
	ds_read_b32 v22, v22
	ds_read_b32 v23, v23
	s_waitcnt lgkmcnt(7)
	v_add3_u32 v0, v0, v10, s0
	v_lshlrev_b64 v[2:3], 1, v[0:1]
	v_mov_b32_e32 v0, s19
	v_add_co_u32_e64 v2, s[0:1], s18, v2
	v_addc_co_u32_e64 v3, s[0:1], v0, v3, s[0:1]
	s_movk_i32 s0, 0xc00
	v_add3_u32 v0, v15, v10, s0
	global_store_short v[2:3], v4, off
	v_lshlrev_b64 v[2:3], 1, v[0:1]
	v_mov_b32_e32 v0, s19
	v_add_co_u32_e64 v2, s[0:1], s18, v2
	v_addc_co_u32_e64 v3, s[0:1], v0, v3, s[0:1]
	s_movk_i32 s0, 0x1000
	v_xor_b32_e32 v4, 0xffff8000, v5
	s_waitcnt lgkmcnt(6)
	v_add3_u32 v0, v24, v10, s0
	global_store_short v[2:3], v4, off
	v_lshlrev_b64 v[2:3], 1, v[0:1]
	v_mov_b32_e32 v0, s19
	v_add_co_u32_e64 v2, s[0:1], s18, v2
	v_addc_co_u32_e64 v3, s[0:1], v0, v3, s[0:1]
	s_movk_i32 s0, 0x1400
	v_xor_b32_e32 v4, 0xffff8000, v17
	s_waitcnt lgkmcnt(5)
	;; [unrolled: 9-line block ×6, first 2 shown]
	v_add3_u32 v0, v22, v10, s0
	global_store_short v[2:3], v4, off
	v_lshlrev_b64 v[2:3], 1, v[0:1]
	v_mov_b32_e32 v0, s19
	v_add_co_u32_e64 v2, s[0:1], s18, v2
	v_lshrrev_b32_sdwa v5, s20, v13 dst_sel:DWORD dst_unused:UNUSED_PAD src0_sel:DWORD src1_sel:WORD_0
	v_addc_co_u32_e64 v3, s[0:1], v0, v3, s[0:1]
	v_and_b32_e32 v5, s21, v5
	s_movk_i32 s0, 0x2800
	v_lshlrev_b32_e32 v5, 2, v5
	v_xor_b32_e32 v4, 0xffff8000, v12
	s_waitcnt lgkmcnt(0)
	v_add3_u32 v0, v23, v10, s0
	ds_read_b32 v5, v5
	global_store_short v[2:3], v4, off
	v_lshlrev_b64 v[2:3], 1, v[0:1]
	v_mov_b32_e32 v0, s19
	v_add_co_u32_e64 v2, s[0:1], s18, v2
	v_addc_co_u32_e64 v3, s[0:1], v0, v3, s[0:1]
	s_movk_i32 s0, 0x2c00
	s_waitcnt lgkmcnt(0)
	v_add3_u32 v0, v5, v10, s0
	v_xor_b32_e32 v4, 0xffff8000, v21
	v_lshlrev_b64 v[0:1], 1, v[0:1]
	global_store_short v[2:3], v4, off
	v_mov_b32_e32 v3, s19
	v_add_co_u32_e64 v0, s[0:1], s18, v0
	s_add_i32 s7, s7, -1
	v_addc_co_u32_e64 v1, s[0:1], v3, v1, s[0:1]
	s_cmp_eq_u32 s7, s6
	s_cselect_b64 s[0:1], -1, 0
	v_xor_b32_e32 v2, 0xffff8000, v13
	s_and_b64 s[2:3], vcc, s[0:1]
	global_store_short v[0:1], v2, off
                                        ; implicit-def: $vgpr2
	s_and_saveexec_b64 s[0:1], s[2:3]
; %bb.144:
	v_add_u32_e32 v2, v6, v7
	s_or_b64 s[10:11], s[10:11], exec
; %bb.145:
	s_or_b64 exec, exec, s[0:1]
.LBB1999_146:
	s_and_saveexec_b64 s[0:1], s[10:11]
	s_cbranch_execnz .LBB1999_148
; %bb.147:
	s_endpgm
.LBB1999_148:
	v_lshlrev_b32_e32 v3, 2, v10
	ds_read_b32 v3, v3
	v_lshlrev_b64 v[0:1], 2, v[10:11]
	v_mov_b32_e32 v4, s15
	v_add_co_u32_e32 v0, vcc, s14, v0
	v_addc_co_u32_e32 v1, vcc, v4, v1, vcc
	s_waitcnt lgkmcnt(0)
	v_add_u32_e32 v2, v3, v2
	global_store_dword v[0:1], v2, off
	s_endpgm
	.section	.rodata,"a",@progbits
	.p2align	6, 0x0
	.amdhsa_kernel _ZN7rocprim17ROCPRIM_400000_NS6detail17trampoline_kernelINS0_14default_configENS1_35radix_sort_onesweep_config_selectorIsNS0_10empty_typeEEEZZNS1_29radix_sort_onesweep_iterationIS3_Lb0EN6thrust23THRUST_200600_302600_NS6detail15normal_iteratorINS9_10device_ptrIsEEEESE_PS5_SF_jNS0_19identity_decomposerENS1_16block_id_wrapperIjLb0EEEEE10hipError_tT1_PNSt15iterator_traitsISK_E10value_typeET2_T3_PNSL_ISQ_E10value_typeET4_T5_PSV_SW_PNS1_23onesweep_lookback_stateEbbT6_jjT7_P12ihipStream_tbENKUlT_T0_SK_SP_E_clIPsSE_SF_SF_EEDaS13_S14_SK_SP_EUlS13_E_NS1_11comp_targetILNS1_3genE4ELNS1_11target_archE910ELNS1_3gpuE8ELNS1_3repE0EEENS1_47radix_sort_onesweep_sort_config_static_selectorELNS0_4arch9wavefront6targetE1EEEvSK_
		.amdhsa_group_segment_fixed_size 25608
		.amdhsa_private_segment_fixed_size 0
		.amdhsa_kernarg_size 344
		.amdhsa_user_sgpr_count 6
		.amdhsa_user_sgpr_private_segment_buffer 1
		.amdhsa_user_sgpr_dispatch_ptr 0
		.amdhsa_user_sgpr_queue_ptr 0
		.amdhsa_user_sgpr_kernarg_segment_ptr 1
		.amdhsa_user_sgpr_dispatch_id 0
		.amdhsa_user_sgpr_flat_scratch_init 0
		.amdhsa_user_sgpr_kernarg_preload_length 0
		.amdhsa_user_sgpr_kernarg_preload_offset 0
		.amdhsa_user_sgpr_private_segment_size 0
		.amdhsa_uses_dynamic_stack 0
		.amdhsa_system_sgpr_private_segment_wavefront_offset 0
		.amdhsa_system_sgpr_workgroup_id_x 1
		.amdhsa_system_sgpr_workgroup_id_y 0
		.amdhsa_system_sgpr_workgroup_id_z 0
		.amdhsa_system_sgpr_workgroup_info 0
		.amdhsa_system_vgpr_workitem_id 2
		.amdhsa_next_free_vgpr 62
		.amdhsa_next_free_sgpr 44
		.amdhsa_accum_offset 64
		.amdhsa_reserve_vcc 1
		.amdhsa_reserve_flat_scratch 0
		.amdhsa_float_round_mode_32 0
		.amdhsa_float_round_mode_16_64 0
		.amdhsa_float_denorm_mode_32 3
		.amdhsa_float_denorm_mode_16_64 3
		.amdhsa_dx10_clamp 1
		.amdhsa_ieee_mode 1
		.amdhsa_fp16_overflow 0
		.amdhsa_tg_split 0
		.amdhsa_exception_fp_ieee_invalid_op 0
		.amdhsa_exception_fp_denorm_src 0
		.amdhsa_exception_fp_ieee_div_zero 0
		.amdhsa_exception_fp_ieee_overflow 0
		.amdhsa_exception_fp_ieee_underflow 0
		.amdhsa_exception_fp_ieee_inexact 0
		.amdhsa_exception_int_div_zero 0
	.end_amdhsa_kernel
	.section	.text._ZN7rocprim17ROCPRIM_400000_NS6detail17trampoline_kernelINS0_14default_configENS1_35radix_sort_onesweep_config_selectorIsNS0_10empty_typeEEEZZNS1_29radix_sort_onesweep_iterationIS3_Lb0EN6thrust23THRUST_200600_302600_NS6detail15normal_iteratorINS9_10device_ptrIsEEEESE_PS5_SF_jNS0_19identity_decomposerENS1_16block_id_wrapperIjLb0EEEEE10hipError_tT1_PNSt15iterator_traitsISK_E10value_typeET2_T3_PNSL_ISQ_E10value_typeET4_T5_PSV_SW_PNS1_23onesweep_lookback_stateEbbT6_jjT7_P12ihipStream_tbENKUlT_T0_SK_SP_E_clIPsSE_SF_SF_EEDaS13_S14_SK_SP_EUlS13_E_NS1_11comp_targetILNS1_3genE4ELNS1_11target_archE910ELNS1_3gpuE8ELNS1_3repE0EEENS1_47radix_sort_onesweep_sort_config_static_selectorELNS0_4arch9wavefront6targetE1EEEvSK_,"axG",@progbits,_ZN7rocprim17ROCPRIM_400000_NS6detail17trampoline_kernelINS0_14default_configENS1_35radix_sort_onesweep_config_selectorIsNS0_10empty_typeEEEZZNS1_29radix_sort_onesweep_iterationIS3_Lb0EN6thrust23THRUST_200600_302600_NS6detail15normal_iteratorINS9_10device_ptrIsEEEESE_PS5_SF_jNS0_19identity_decomposerENS1_16block_id_wrapperIjLb0EEEEE10hipError_tT1_PNSt15iterator_traitsISK_E10value_typeET2_T3_PNSL_ISQ_E10value_typeET4_T5_PSV_SW_PNS1_23onesweep_lookback_stateEbbT6_jjT7_P12ihipStream_tbENKUlT_T0_SK_SP_E_clIPsSE_SF_SF_EEDaS13_S14_SK_SP_EUlS13_E_NS1_11comp_targetILNS1_3genE4ELNS1_11target_archE910ELNS1_3gpuE8ELNS1_3repE0EEENS1_47radix_sort_onesweep_sort_config_static_selectorELNS0_4arch9wavefront6targetE1EEEvSK_,comdat
.Lfunc_end1999:
	.size	_ZN7rocprim17ROCPRIM_400000_NS6detail17trampoline_kernelINS0_14default_configENS1_35radix_sort_onesweep_config_selectorIsNS0_10empty_typeEEEZZNS1_29radix_sort_onesweep_iterationIS3_Lb0EN6thrust23THRUST_200600_302600_NS6detail15normal_iteratorINS9_10device_ptrIsEEEESE_PS5_SF_jNS0_19identity_decomposerENS1_16block_id_wrapperIjLb0EEEEE10hipError_tT1_PNSt15iterator_traitsISK_E10value_typeET2_T3_PNSL_ISQ_E10value_typeET4_T5_PSV_SW_PNS1_23onesweep_lookback_stateEbbT6_jjT7_P12ihipStream_tbENKUlT_T0_SK_SP_E_clIPsSE_SF_SF_EEDaS13_S14_SK_SP_EUlS13_E_NS1_11comp_targetILNS1_3genE4ELNS1_11target_archE910ELNS1_3gpuE8ELNS1_3repE0EEENS1_47radix_sort_onesweep_sort_config_static_selectorELNS0_4arch9wavefront6targetE1EEEvSK_, .Lfunc_end1999-_ZN7rocprim17ROCPRIM_400000_NS6detail17trampoline_kernelINS0_14default_configENS1_35radix_sort_onesweep_config_selectorIsNS0_10empty_typeEEEZZNS1_29radix_sort_onesweep_iterationIS3_Lb0EN6thrust23THRUST_200600_302600_NS6detail15normal_iteratorINS9_10device_ptrIsEEEESE_PS5_SF_jNS0_19identity_decomposerENS1_16block_id_wrapperIjLb0EEEEE10hipError_tT1_PNSt15iterator_traitsISK_E10value_typeET2_T3_PNSL_ISQ_E10value_typeET4_T5_PSV_SW_PNS1_23onesweep_lookback_stateEbbT6_jjT7_P12ihipStream_tbENKUlT_T0_SK_SP_E_clIPsSE_SF_SF_EEDaS13_S14_SK_SP_EUlS13_E_NS1_11comp_targetILNS1_3genE4ELNS1_11target_archE910ELNS1_3gpuE8ELNS1_3repE0EEENS1_47radix_sort_onesweep_sort_config_static_selectorELNS0_4arch9wavefront6targetE1EEEvSK_
                                        ; -- End function
	.section	.AMDGPU.csdata,"",@progbits
; Kernel info:
; codeLenInByte = 15876
; NumSgprs: 48
; NumVgprs: 62
; NumAgprs: 0
; TotalNumVgprs: 62
; ScratchSize: 0
; MemoryBound: 0
; FloatMode: 240
; IeeeMode: 1
; LDSByteSize: 25608 bytes/workgroup (compile time only)
; SGPRBlocks: 5
; VGPRBlocks: 7
; NumSGPRsForWavesPerEU: 48
; NumVGPRsForWavesPerEU: 62
; AccumOffset: 64
; Occupancy: 8
; WaveLimiterHint : 1
; COMPUTE_PGM_RSRC2:SCRATCH_EN: 0
; COMPUTE_PGM_RSRC2:USER_SGPR: 6
; COMPUTE_PGM_RSRC2:TRAP_HANDLER: 0
; COMPUTE_PGM_RSRC2:TGID_X_EN: 1
; COMPUTE_PGM_RSRC2:TGID_Y_EN: 0
; COMPUTE_PGM_RSRC2:TGID_Z_EN: 0
; COMPUTE_PGM_RSRC2:TIDIG_COMP_CNT: 2
; COMPUTE_PGM_RSRC3_GFX90A:ACCUM_OFFSET: 15
; COMPUTE_PGM_RSRC3_GFX90A:TG_SPLIT: 0
	.section	.text._ZN7rocprim17ROCPRIM_400000_NS6detail17trampoline_kernelINS0_14default_configENS1_35radix_sort_onesweep_config_selectorIsNS0_10empty_typeEEEZZNS1_29radix_sort_onesweep_iterationIS3_Lb0EN6thrust23THRUST_200600_302600_NS6detail15normal_iteratorINS9_10device_ptrIsEEEESE_PS5_SF_jNS0_19identity_decomposerENS1_16block_id_wrapperIjLb0EEEEE10hipError_tT1_PNSt15iterator_traitsISK_E10value_typeET2_T3_PNSL_ISQ_E10value_typeET4_T5_PSV_SW_PNS1_23onesweep_lookback_stateEbbT6_jjT7_P12ihipStream_tbENKUlT_T0_SK_SP_E_clIPsSE_SF_SF_EEDaS13_S14_SK_SP_EUlS13_E_NS1_11comp_targetILNS1_3genE3ELNS1_11target_archE908ELNS1_3gpuE7ELNS1_3repE0EEENS1_47radix_sort_onesweep_sort_config_static_selectorELNS0_4arch9wavefront6targetE1EEEvSK_,"axG",@progbits,_ZN7rocprim17ROCPRIM_400000_NS6detail17trampoline_kernelINS0_14default_configENS1_35radix_sort_onesweep_config_selectorIsNS0_10empty_typeEEEZZNS1_29radix_sort_onesweep_iterationIS3_Lb0EN6thrust23THRUST_200600_302600_NS6detail15normal_iteratorINS9_10device_ptrIsEEEESE_PS5_SF_jNS0_19identity_decomposerENS1_16block_id_wrapperIjLb0EEEEE10hipError_tT1_PNSt15iterator_traitsISK_E10value_typeET2_T3_PNSL_ISQ_E10value_typeET4_T5_PSV_SW_PNS1_23onesweep_lookback_stateEbbT6_jjT7_P12ihipStream_tbENKUlT_T0_SK_SP_E_clIPsSE_SF_SF_EEDaS13_S14_SK_SP_EUlS13_E_NS1_11comp_targetILNS1_3genE3ELNS1_11target_archE908ELNS1_3gpuE7ELNS1_3repE0EEENS1_47radix_sort_onesweep_sort_config_static_selectorELNS0_4arch9wavefront6targetE1EEEvSK_,comdat
	.protected	_ZN7rocprim17ROCPRIM_400000_NS6detail17trampoline_kernelINS0_14default_configENS1_35radix_sort_onesweep_config_selectorIsNS0_10empty_typeEEEZZNS1_29radix_sort_onesweep_iterationIS3_Lb0EN6thrust23THRUST_200600_302600_NS6detail15normal_iteratorINS9_10device_ptrIsEEEESE_PS5_SF_jNS0_19identity_decomposerENS1_16block_id_wrapperIjLb0EEEEE10hipError_tT1_PNSt15iterator_traitsISK_E10value_typeET2_T3_PNSL_ISQ_E10value_typeET4_T5_PSV_SW_PNS1_23onesweep_lookback_stateEbbT6_jjT7_P12ihipStream_tbENKUlT_T0_SK_SP_E_clIPsSE_SF_SF_EEDaS13_S14_SK_SP_EUlS13_E_NS1_11comp_targetILNS1_3genE3ELNS1_11target_archE908ELNS1_3gpuE7ELNS1_3repE0EEENS1_47radix_sort_onesweep_sort_config_static_selectorELNS0_4arch9wavefront6targetE1EEEvSK_ ; -- Begin function _ZN7rocprim17ROCPRIM_400000_NS6detail17trampoline_kernelINS0_14default_configENS1_35radix_sort_onesweep_config_selectorIsNS0_10empty_typeEEEZZNS1_29radix_sort_onesweep_iterationIS3_Lb0EN6thrust23THRUST_200600_302600_NS6detail15normal_iteratorINS9_10device_ptrIsEEEESE_PS5_SF_jNS0_19identity_decomposerENS1_16block_id_wrapperIjLb0EEEEE10hipError_tT1_PNSt15iterator_traitsISK_E10value_typeET2_T3_PNSL_ISQ_E10value_typeET4_T5_PSV_SW_PNS1_23onesweep_lookback_stateEbbT6_jjT7_P12ihipStream_tbENKUlT_T0_SK_SP_E_clIPsSE_SF_SF_EEDaS13_S14_SK_SP_EUlS13_E_NS1_11comp_targetILNS1_3genE3ELNS1_11target_archE908ELNS1_3gpuE7ELNS1_3repE0EEENS1_47radix_sort_onesweep_sort_config_static_selectorELNS0_4arch9wavefront6targetE1EEEvSK_
	.globl	_ZN7rocprim17ROCPRIM_400000_NS6detail17trampoline_kernelINS0_14default_configENS1_35radix_sort_onesweep_config_selectorIsNS0_10empty_typeEEEZZNS1_29radix_sort_onesweep_iterationIS3_Lb0EN6thrust23THRUST_200600_302600_NS6detail15normal_iteratorINS9_10device_ptrIsEEEESE_PS5_SF_jNS0_19identity_decomposerENS1_16block_id_wrapperIjLb0EEEEE10hipError_tT1_PNSt15iterator_traitsISK_E10value_typeET2_T3_PNSL_ISQ_E10value_typeET4_T5_PSV_SW_PNS1_23onesweep_lookback_stateEbbT6_jjT7_P12ihipStream_tbENKUlT_T0_SK_SP_E_clIPsSE_SF_SF_EEDaS13_S14_SK_SP_EUlS13_E_NS1_11comp_targetILNS1_3genE3ELNS1_11target_archE908ELNS1_3gpuE7ELNS1_3repE0EEENS1_47radix_sort_onesweep_sort_config_static_selectorELNS0_4arch9wavefront6targetE1EEEvSK_
	.p2align	8
	.type	_ZN7rocprim17ROCPRIM_400000_NS6detail17trampoline_kernelINS0_14default_configENS1_35radix_sort_onesweep_config_selectorIsNS0_10empty_typeEEEZZNS1_29radix_sort_onesweep_iterationIS3_Lb0EN6thrust23THRUST_200600_302600_NS6detail15normal_iteratorINS9_10device_ptrIsEEEESE_PS5_SF_jNS0_19identity_decomposerENS1_16block_id_wrapperIjLb0EEEEE10hipError_tT1_PNSt15iterator_traitsISK_E10value_typeET2_T3_PNSL_ISQ_E10value_typeET4_T5_PSV_SW_PNS1_23onesweep_lookback_stateEbbT6_jjT7_P12ihipStream_tbENKUlT_T0_SK_SP_E_clIPsSE_SF_SF_EEDaS13_S14_SK_SP_EUlS13_E_NS1_11comp_targetILNS1_3genE3ELNS1_11target_archE908ELNS1_3gpuE7ELNS1_3repE0EEENS1_47radix_sort_onesweep_sort_config_static_selectorELNS0_4arch9wavefront6targetE1EEEvSK_,@function
_ZN7rocprim17ROCPRIM_400000_NS6detail17trampoline_kernelINS0_14default_configENS1_35radix_sort_onesweep_config_selectorIsNS0_10empty_typeEEEZZNS1_29radix_sort_onesweep_iterationIS3_Lb0EN6thrust23THRUST_200600_302600_NS6detail15normal_iteratorINS9_10device_ptrIsEEEESE_PS5_SF_jNS0_19identity_decomposerENS1_16block_id_wrapperIjLb0EEEEE10hipError_tT1_PNSt15iterator_traitsISK_E10value_typeET2_T3_PNSL_ISQ_E10value_typeET4_T5_PSV_SW_PNS1_23onesweep_lookback_stateEbbT6_jjT7_P12ihipStream_tbENKUlT_T0_SK_SP_E_clIPsSE_SF_SF_EEDaS13_S14_SK_SP_EUlS13_E_NS1_11comp_targetILNS1_3genE3ELNS1_11target_archE908ELNS1_3gpuE7ELNS1_3repE0EEENS1_47radix_sort_onesweep_sort_config_static_selectorELNS0_4arch9wavefront6targetE1EEEvSK_: ; @_ZN7rocprim17ROCPRIM_400000_NS6detail17trampoline_kernelINS0_14default_configENS1_35radix_sort_onesweep_config_selectorIsNS0_10empty_typeEEEZZNS1_29radix_sort_onesweep_iterationIS3_Lb0EN6thrust23THRUST_200600_302600_NS6detail15normal_iteratorINS9_10device_ptrIsEEEESE_PS5_SF_jNS0_19identity_decomposerENS1_16block_id_wrapperIjLb0EEEEE10hipError_tT1_PNSt15iterator_traitsISK_E10value_typeET2_T3_PNSL_ISQ_E10value_typeET4_T5_PSV_SW_PNS1_23onesweep_lookback_stateEbbT6_jjT7_P12ihipStream_tbENKUlT_T0_SK_SP_E_clIPsSE_SF_SF_EEDaS13_S14_SK_SP_EUlS13_E_NS1_11comp_targetILNS1_3genE3ELNS1_11target_archE908ELNS1_3gpuE7ELNS1_3repE0EEENS1_47radix_sort_onesweep_sort_config_static_selectorELNS0_4arch9wavefront6targetE1EEEvSK_
; %bb.0:
	.section	.rodata,"a",@progbits
	.p2align	6, 0x0
	.amdhsa_kernel _ZN7rocprim17ROCPRIM_400000_NS6detail17trampoline_kernelINS0_14default_configENS1_35radix_sort_onesweep_config_selectorIsNS0_10empty_typeEEEZZNS1_29radix_sort_onesweep_iterationIS3_Lb0EN6thrust23THRUST_200600_302600_NS6detail15normal_iteratorINS9_10device_ptrIsEEEESE_PS5_SF_jNS0_19identity_decomposerENS1_16block_id_wrapperIjLb0EEEEE10hipError_tT1_PNSt15iterator_traitsISK_E10value_typeET2_T3_PNSL_ISQ_E10value_typeET4_T5_PSV_SW_PNS1_23onesweep_lookback_stateEbbT6_jjT7_P12ihipStream_tbENKUlT_T0_SK_SP_E_clIPsSE_SF_SF_EEDaS13_S14_SK_SP_EUlS13_E_NS1_11comp_targetILNS1_3genE3ELNS1_11target_archE908ELNS1_3gpuE7ELNS1_3repE0EEENS1_47radix_sort_onesweep_sort_config_static_selectorELNS0_4arch9wavefront6targetE1EEEvSK_
		.amdhsa_group_segment_fixed_size 0
		.amdhsa_private_segment_fixed_size 0
		.amdhsa_kernarg_size 88
		.amdhsa_user_sgpr_count 6
		.amdhsa_user_sgpr_private_segment_buffer 1
		.amdhsa_user_sgpr_dispatch_ptr 0
		.amdhsa_user_sgpr_queue_ptr 0
		.amdhsa_user_sgpr_kernarg_segment_ptr 1
		.amdhsa_user_sgpr_dispatch_id 0
		.amdhsa_user_sgpr_flat_scratch_init 0
		.amdhsa_user_sgpr_kernarg_preload_length 0
		.amdhsa_user_sgpr_kernarg_preload_offset 0
		.amdhsa_user_sgpr_private_segment_size 0
		.amdhsa_uses_dynamic_stack 0
		.amdhsa_system_sgpr_private_segment_wavefront_offset 0
		.amdhsa_system_sgpr_workgroup_id_x 1
		.amdhsa_system_sgpr_workgroup_id_y 0
		.amdhsa_system_sgpr_workgroup_id_z 0
		.amdhsa_system_sgpr_workgroup_info 0
		.amdhsa_system_vgpr_workitem_id 0
		.amdhsa_next_free_vgpr 1
		.amdhsa_next_free_sgpr 0
		.amdhsa_accum_offset 4
		.amdhsa_reserve_vcc 0
		.amdhsa_reserve_flat_scratch 0
		.amdhsa_float_round_mode_32 0
		.amdhsa_float_round_mode_16_64 0
		.amdhsa_float_denorm_mode_32 3
		.amdhsa_float_denorm_mode_16_64 3
		.amdhsa_dx10_clamp 1
		.amdhsa_ieee_mode 1
		.amdhsa_fp16_overflow 0
		.amdhsa_tg_split 0
		.amdhsa_exception_fp_ieee_invalid_op 0
		.amdhsa_exception_fp_denorm_src 0
		.amdhsa_exception_fp_ieee_div_zero 0
		.amdhsa_exception_fp_ieee_overflow 0
		.amdhsa_exception_fp_ieee_underflow 0
		.amdhsa_exception_fp_ieee_inexact 0
		.amdhsa_exception_int_div_zero 0
	.end_amdhsa_kernel
	.section	.text._ZN7rocprim17ROCPRIM_400000_NS6detail17trampoline_kernelINS0_14default_configENS1_35radix_sort_onesweep_config_selectorIsNS0_10empty_typeEEEZZNS1_29radix_sort_onesweep_iterationIS3_Lb0EN6thrust23THRUST_200600_302600_NS6detail15normal_iteratorINS9_10device_ptrIsEEEESE_PS5_SF_jNS0_19identity_decomposerENS1_16block_id_wrapperIjLb0EEEEE10hipError_tT1_PNSt15iterator_traitsISK_E10value_typeET2_T3_PNSL_ISQ_E10value_typeET4_T5_PSV_SW_PNS1_23onesweep_lookback_stateEbbT6_jjT7_P12ihipStream_tbENKUlT_T0_SK_SP_E_clIPsSE_SF_SF_EEDaS13_S14_SK_SP_EUlS13_E_NS1_11comp_targetILNS1_3genE3ELNS1_11target_archE908ELNS1_3gpuE7ELNS1_3repE0EEENS1_47radix_sort_onesweep_sort_config_static_selectorELNS0_4arch9wavefront6targetE1EEEvSK_,"axG",@progbits,_ZN7rocprim17ROCPRIM_400000_NS6detail17trampoline_kernelINS0_14default_configENS1_35radix_sort_onesweep_config_selectorIsNS0_10empty_typeEEEZZNS1_29radix_sort_onesweep_iterationIS3_Lb0EN6thrust23THRUST_200600_302600_NS6detail15normal_iteratorINS9_10device_ptrIsEEEESE_PS5_SF_jNS0_19identity_decomposerENS1_16block_id_wrapperIjLb0EEEEE10hipError_tT1_PNSt15iterator_traitsISK_E10value_typeET2_T3_PNSL_ISQ_E10value_typeET4_T5_PSV_SW_PNS1_23onesweep_lookback_stateEbbT6_jjT7_P12ihipStream_tbENKUlT_T0_SK_SP_E_clIPsSE_SF_SF_EEDaS13_S14_SK_SP_EUlS13_E_NS1_11comp_targetILNS1_3genE3ELNS1_11target_archE908ELNS1_3gpuE7ELNS1_3repE0EEENS1_47radix_sort_onesweep_sort_config_static_selectorELNS0_4arch9wavefront6targetE1EEEvSK_,comdat
.Lfunc_end2000:
	.size	_ZN7rocprim17ROCPRIM_400000_NS6detail17trampoline_kernelINS0_14default_configENS1_35radix_sort_onesweep_config_selectorIsNS0_10empty_typeEEEZZNS1_29radix_sort_onesweep_iterationIS3_Lb0EN6thrust23THRUST_200600_302600_NS6detail15normal_iteratorINS9_10device_ptrIsEEEESE_PS5_SF_jNS0_19identity_decomposerENS1_16block_id_wrapperIjLb0EEEEE10hipError_tT1_PNSt15iterator_traitsISK_E10value_typeET2_T3_PNSL_ISQ_E10value_typeET4_T5_PSV_SW_PNS1_23onesweep_lookback_stateEbbT6_jjT7_P12ihipStream_tbENKUlT_T0_SK_SP_E_clIPsSE_SF_SF_EEDaS13_S14_SK_SP_EUlS13_E_NS1_11comp_targetILNS1_3genE3ELNS1_11target_archE908ELNS1_3gpuE7ELNS1_3repE0EEENS1_47radix_sort_onesweep_sort_config_static_selectorELNS0_4arch9wavefront6targetE1EEEvSK_, .Lfunc_end2000-_ZN7rocprim17ROCPRIM_400000_NS6detail17trampoline_kernelINS0_14default_configENS1_35radix_sort_onesweep_config_selectorIsNS0_10empty_typeEEEZZNS1_29radix_sort_onesweep_iterationIS3_Lb0EN6thrust23THRUST_200600_302600_NS6detail15normal_iteratorINS9_10device_ptrIsEEEESE_PS5_SF_jNS0_19identity_decomposerENS1_16block_id_wrapperIjLb0EEEEE10hipError_tT1_PNSt15iterator_traitsISK_E10value_typeET2_T3_PNSL_ISQ_E10value_typeET4_T5_PSV_SW_PNS1_23onesweep_lookback_stateEbbT6_jjT7_P12ihipStream_tbENKUlT_T0_SK_SP_E_clIPsSE_SF_SF_EEDaS13_S14_SK_SP_EUlS13_E_NS1_11comp_targetILNS1_3genE3ELNS1_11target_archE908ELNS1_3gpuE7ELNS1_3repE0EEENS1_47radix_sort_onesweep_sort_config_static_selectorELNS0_4arch9wavefront6targetE1EEEvSK_
                                        ; -- End function
	.section	.AMDGPU.csdata,"",@progbits
; Kernel info:
; codeLenInByte = 0
; NumSgprs: 4
; NumVgprs: 0
; NumAgprs: 0
; TotalNumVgprs: 0
; ScratchSize: 0
; MemoryBound: 0
; FloatMode: 240
; IeeeMode: 1
; LDSByteSize: 0 bytes/workgroup (compile time only)
; SGPRBlocks: 0
; VGPRBlocks: 0
; NumSGPRsForWavesPerEU: 4
; NumVGPRsForWavesPerEU: 1
; AccumOffset: 4
; Occupancy: 8
; WaveLimiterHint : 0
; COMPUTE_PGM_RSRC2:SCRATCH_EN: 0
; COMPUTE_PGM_RSRC2:USER_SGPR: 6
; COMPUTE_PGM_RSRC2:TRAP_HANDLER: 0
; COMPUTE_PGM_RSRC2:TGID_X_EN: 1
; COMPUTE_PGM_RSRC2:TGID_Y_EN: 0
; COMPUTE_PGM_RSRC2:TGID_Z_EN: 0
; COMPUTE_PGM_RSRC2:TIDIG_COMP_CNT: 0
; COMPUTE_PGM_RSRC3_GFX90A:ACCUM_OFFSET: 0
; COMPUTE_PGM_RSRC3_GFX90A:TG_SPLIT: 0
	.section	.text._ZN7rocprim17ROCPRIM_400000_NS6detail17trampoline_kernelINS0_14default_configENS1_35radix_sort_onesweep_config_selectorIsNS0_10empty_typeEEEZZNS1_29radix_sort_onesweep_iterationIS3_Lb0EN6thrust23THRUST_200600_302600_NS6detail15normal_iteratorINS9_10device_ptrIsEEEESE_PS5_SF_jNS0_19identity_decomposerENS1_16block_id_wrapperIjLb0EEEEE10hipError_tT1_PNSt15iterator_traitsISK_E10value_typeET2_T3_PNSL_ISQ_E10value_typeET4_T5_PSV_SW_PNS1_23onesweep_lookback_stateEbbT6_jjT7_P12ihipStream_tbENKUlT_T0_SK_SP_E_clIPsSE_SF_SF_EEDaS13_S14_SK_SP_EUlS13_E_NS1_11comp_targetILNS1_3genE10ELNS1_11target_archE1201ELNS1_3gpuE5ELNS1_3repE0EEENS1_47radix_sort_onesweep_sort_config_static_selectorELNS0_4arch9wavefront6targetE1EEEvSK_,"axG",@progbits,_ZN7rocprim17ROCPRIM_400000_NS6detail17trampoline_kernelINS0_14default_configENS1_35radix_sort_onesweep_config_selectorIsNS0_10empty_typeEEEZZNS1_29radix_sort_onesweep_iterationIS3_Lb0EN6thrust23THRUST_200600_302600_NS6detail15normal_iteratorINS9_10device_ptrIsEEEESE_PS5_SF_jNS0_19identity_decomposerENS1_16block_id_wrapperIjLb0EEEEE10hipError_tT1_PNSt15iterator_traitsISK_E10value_typeET2_T3_PNSL_ISQ_E10value_typeET4_T5_PSV_SW_PNS1_23onesweep_lookback_stateEbbT6_jjT7_P12ihipStream_tbENKUlT_T0_SK_SP_E_clIPsSE_SF_SF_EEDaS13_S14_SK_SP_EUlS13_E_NS1_11comp_targetILNS1_3genE10ELNS1_11target_archE1201ELNS1_3gpuE5ELNS1_3repE0EEENS1_47radix_sort_onesweep_sort_config_static_selectorELNS0_4arch9wavefront6targetE1EEEvSK_,comdat
	.protected	_ZN7rocprim17ROCPRIM_400000_NS6detail17trampoline_kernelINS0_14default_configENS1_35radix_sort_onesweep_config_selectorIsNS0_10empty_typeEEEZZNS1_29radix_sort_onesweep_iterationIS3_Lb0EN6thrust23THRUST_200600_302600_NS6detail15normal_iteratorINS9_10device_ptrIsEEEESE_PS5_SF_jNS0_19identity_decomposerENS1_16block_id_wrapperIjLb0EEEEE10hipError_tT1_PNSt15iterator_traitsISK_E10value_typeET2_T3_PNSL_ISQ_E10value_typeET4_T5_PSV_SW_PNS1_23onesweep_lookback_stateEbbT6_jjT7_P12ihipStream_tbENKUlT_T0_SK_SP_E_clIPsSE_SF_SF_EEDaS13_S14_SK_SP_EUlS13_E_NS1_11comp_targetILNS1_3genE10ELNS1_11target_archE1201ELNS1_3gpuE5ELNS1_3repE0EEENS1_47radix_sort_onesweep_sort_config_static_selectorELNS0_4arch9wavefront6targetE1EEEvSK_ ; -- Begin function _ZN7rocprim17ROCPRIM_400000_NS6detail17trampoline_kernelINS0_14default_configENS1_35radix_sort_onesweep_config_selectorIsNS0_10empty_typeEEEZZNS1_29radix_sort_onesweep_iterationIS3_Lb0EN6thrust23THRUST_200600_302600_NS6detail15normal_iteratorINS9_10device_ptrIsEEEESE_PS5_SF_jNS0_19identity_decomposerENS1_16block_id_wrapperIjLb0EEEEE10hipError_tT1_PNSt15iterator_traitsISK_E10value_typeET2_T3_PNSL_ISQ_E10value_typeET4_T5_PSV_SW_PNS1_23onesweep_lookback_stateEbbT6_jjT7_P12ihipStream_tbENKUlT_T0_SK_SP_E_clIPsSE_SF_SF_EEDaS13_S14_SK_SP_EUlS13_E_NS1_11comp_targetILNS1_3genE10ELNS1_11target_archE1201ELNS1_3gpuE5ELNS1_3repE0EEENS1_47radix_sort_onesweep_sort_config_static_selectorELNS0_4arch9wavefront6targetE1EEEvSK_
	.globl	_ZN7rocprim17ROCPRIM_400000_NS6detail17trampoline_kernelINS0_14default_configENS1_35radix_sort_onesweep_config_selectorIsNS0_10empty_typeEEEZZNS1_29radix_sort_onesweep_iterationIS3_Lb0EN6thrust23THRUST_200600_302600_NS6detail15normal_iteratorINS9_10device_ptrIsEEEESE_PS5_SF_jNS0_19identity_decomposerENS1_16block_id_wrapperIjLb0EEEEE10hipError_tT1_PNSt15iterator_traitsISK_E10value_typeET2_T3_PNSL_ISQ_E10value_typeET4_T5_PSV_SW_PNS1_23onesweep_lookback_stateEbbT6_jjT7_P12ihipStream_tbENKUlT_T0_SK_SP_E_clIPsSE_SF_SF_EEDaS13_S14_SK_SP_EUlS13_E_NS1_11comp_targetILNS1_3genE10ELNS1_11target_archE1201ELNS1_3gpuE5ELNS1_3repE0EEENS1_47radix_sort_onesweep_sort_config_static_selectorELNS0_4arch9wavefront6targetE1EEEvSK_
	.p2align	8
	.type	_ZN7rocprim17ROCPRIM_400000_NS6detail17trampoline_kernelINS0_14default_configENS1_35radix_sort_onesweep_config_selectorIsNS0_10empty_typeEEEZZNS1_29radix_sort_onesweep_iterationIS3_Lb0EN6thrust23THRUST_200600_302600_NS6detail15normal_iteratorINS9_10device_ptrIsEEEESE_PS5_SF_jNS0_19identity_decomposerENS1_16block_id_wrapperIjLb0EEEEE10hipError_tT1_PNSt15iterator_traitsISK_E10value_typeET2_T3_PNSL_ISQ_E10value_typeET4_T5_PSV_SW_PNS1_23onesweep_lookback_stateEbbT6_jjT7_P12ihipStream_tbENKUlT_T0_SK_SP_E_clIPsSE_SF_SF_EEDaS13_S14_SK_SP_EUlS13_E_NS1_11comp_targetILNS1_3genE10ELNS1_11target_archE1201ELNS1_3gpuE5ELNS1_3repE0EEENS1_47radix_sort_onesweep_sort_config_static_selectorELNS0_4arch9wavefront6targetE1EEEvSK_,@function
_ZN7rocprim17ROCPRIM_400000_NS6detail17trampoline_kernelINS0_14default_configENS1_35radix_sort_onesweep_config_selectorIsNS0_10empty_typeEEEZZNS1_29radix_sort_onesweep_iterationIS3_Lb0EN6thrust23THRUST_200600_302600_NS6detail15normal_iteratorINS9_10device_ptrIsEEEESE_PS5_SF_jNS0_19identity_decomposerENS1_16block_id_wrapperIjLb0EEEEE10hipError_tT1_PNSt15iterator_traitsISK_E10value_typeET2_T3_PNSL_ISQ_E10value_typeET4_T5_PSV_SW_PNS1_23onesweep_lookback_stateEbbT6_jjT7_P12ihipStream_tbENKUlT_T0_SK_SP_E_clIPsSE_SF_SF_EEDaS13_S14_SK_SP_EUlS13_E_NS1_11comp_targetILNS1_3genE10ELNS1_11target_archE1201ELNS1_3gpuE5ELNS1_3repE0EEENS1_47radix_sort_onesweep_sort_config_static_selectorELNS0_4arch9wavefront6targetE1EEEvSK_: ; @_ZN7rocprim17ROCPRIM_400000_NS6detail17trampoline_kernelINS0_14default_configENS1_35radix_sort_onesweep_config_selectorIsNS0_10empty_typeEEEZZNS1_29radix_sort_onesweep_iterationIS3_Lb0EN6thrust23THRUST_200600_302600_NS6detail15normal_iteratorINS9_10device_ptrIsEEEESE_PS5_SF_jNS0_19identity_decomposerENS1_16block_id_wrapperIjLb0EEEEE10hipError_tT1_PNSt15iterator_traitsISK_E10value_typeET2_T3_PNSL_ISQ_E10value_typeET4_T5_PSV_SW_PNS1_23onesweep_lookback_stateEbbT6_jjT7_P12ihipStream_tbENKUlT_T0_SK_SP_E_clIPsSE_SF_SF_EEDaS13_S14_SK_SP_EUlS13_E_NS1_11comp_targetILNS1_3genE10ELNS1_11target_archE1201ELNS1_3gpuE5ELNS1_3repE0EEENS1_47radix_sort_onesweep_sort_config_static_selectorELNS0_4arch9wavefront6targetE1EEEvSK_
; %bb.0:
	.section	.rodata,"a",@progbits
	.p2align	6, 0x0
	.amdhsa_kernel _ZN7rocprim17ROCPRIM_400000_NS6detail17trampoline_kernelINS0_14default_configENS1_35radix_sort_onesweep_config_selectorIsNS0_10empty_typeEEEZZNS1_29radix_sort_onesweep_iterationIS3_Lb0EN6thrust23THRUST_200600_302600_NS6detail15normal_iteratorINS9_10device_ptrIsEEEESE_PS5_SF_jNS0_19identity_decomposerENS1_16block_id_wrapperIjLb0EEEEE10hipError_tT1_PNSt15iterator_traitsISK_E10value_typeET2_T3_PNSL_ISQ_E10value_typeET4_T5_PSV_SW_PNS1_23onesweep_lookback_stateEbbT6_jjT7_P12ihipStream_tbENKUlT_T0_SK_SP_E_clIPsSE_SF_SF_EEDaS13_S14_SK_SP_EUlS13_E_NS1_11comp_targetILNS1_3genE10ELNS1_11target_archE1201ELNS1_3gpuE5ELNS1_3repE0EEENS1_47radix_sort_onesweep_sort_config_static_selectorELNS0_4arch9wavefront6targetE1EEEvSK_
		.amdhsa_group_segment_fixed_size 0
		.amdhsa_private_segment_fixed_size 0
		.amdhsa_kernarg_size 88
		.amdhsa_user_sgpr_count 6
		.amdhsa_user_sgpr_private_segment_buffer 1
		.amdhsa_user_sgpr_dispatch_ptr 0
		.amdhsa_user_sgpr_queue_ptr 0
		.amdhsa_user_sgpr_kernarg_segment_ptr 1
		.amdhsa_user_sgpr_dispatch_id 0
		.amdhsa_user_sgpr_flat_scratch_init 0
		.amdhsa_user_sgpr_kernarg_preload_length 0
		.amdhsa_user_sgpr_kernarg_preload_offset 0
		.amdhsa_user_sgpr_private_segment_size 0
		.amdhsa_uses_dynamic_stack 0
		.amdhsa_system_sgpr_private_segment_wavefront_offset 0
		.amdhsa_system_sgpr_workgroup_id_x 1
		.amdhsa_system_sgpr_workgroup_id_y 0
		.amdhsa_system_sgpr_workgroup_id_z 0
		.amdhsa_system_sgpr_workgroup_info 0
		.amdhsa_system_vgpr_workitem_id 0
		.amdhsa_next_free_vgpr 1
		.amdhsa_next_free_sgpr 0
		.amdhsa_accum_offset 4
		.amdhsa_reserve_vcc 0
		.amdhsa_reserve_flat_scratch 0
		.amdhsa_float_round_mode_32 0
		.amdhsa_float_round_mode_16_64 0
		.amdhsa_float_denorm_mode_32 3
		.amdhsa_float_denorm_mode_16_64 3
		.amdhsa_dx10_clamp 1
		.amdhsa_ieee_mode 1
		.amdhsa_fp16_overflow 0
		.amdhsa_tg_split 0
		.amdhsa_exception_fp_ieee_invalid_op 0
		.amdhsa_exception_fp_denorm_src 0
		.amdhsa_exception_fp_ieee_div_zero 0
		.amdhsa_exception_fp_ieee_overflow 0
		.amdhsa_exception_fp_ieee_underflow 0
		.amdhsa_exception_fp_ieee_inexact 0
		.amdhsa_exception_int_div_zero 0
	.end_amdhsa_kernel
	.section	.text._ZN7rocprim17ROCPRIM_400000_NS6detail17trampoline_kernelINS0_14default_configENS1_35radix_sort_onesweep_config_selectorIsNS0_10empty_typeEEEZZNS1_29radix_sort_onesweep_iterationIS3_Lb0EN6thrust23THRUST_200600_302600_NS6detail15normal_iteratorINS9_10device_ptrIsEEEESE_PS5_SF_jNS0_19identity_decomposerENS1_16block_id_wrapperIjLb0EEEEE10hipError_tT1_PNSt15iterator_traitsISK_E10value_typeET2_T3_PNSL_ISQ_E10value_typeET4_T5_PSV_SW_PNS1_23onesweep_lookback_stateEbbT6_jjT7_P12ihipStream_tbENKUlT_T0_SK_SP_E_clIPsSE_SF_SF_EEDaS13_S14_SK_SP_EUlS13_E_NS1_11comp_targetILNS1_3genE10ELNS1_11target_archE1201ELNS1_3gpuE5ELNS1_3repE0EEENS1_47radix_sort_onesweep_sort_config_static_selectorELNS0_4arch9wavefront6targetE1EEEvSK_,"axG",@progbits,_ZN7rocprim17ROCPRIM_400000_NS6detail17trampoline_kernelINS0_14default_configENS1_35radix_sort_onesweep_config_selectorIsNS0_10empty_typeEEEZZNS1_29radix_sort_onesweep_iterationIS3_Lb0EN6thrust23THRUST_200600_302600_NS6detail15normal_iteratorINS9_10device_ptrIsEEEESE_PS5_SF_jNS0_19identity_decomposerENS1_16block_id_wrapperIjLb0EEEEE10hipError_tT1_PNSt15iterator_traitsISK_E10value_typeET2_T3_PNSL_ISQ_E10value_typeET4_T5_PSV_SW_PNS1_23onesweep_lookback_stateEbbT6_jjT7_P12ihipStream_tbENKUlT_T0_SK_SP_E_clIPsSE_SF_SF_EEDaS13_S14_SK_SP_EUlS13_E_NS1_11comp_targetILNS1_3genE10ELNS1_11target_archE1201ELNS1_3gpuE5ELNS1_3repE0EEENS1_47radix_sort_onesweep_sort_config_static_selectorELNS0_4arch9wavefront6targetE1EEEvSK_,comdat
.Lfunc_end2001:
	.size	_ZN7rocprim17ROCPRIM_400000_NS6detail17trampoline_kernelINS0_14default_configENS1_35radix_sort_onesweep_config_selectorIsNS0_10empty_typeEEEZZNS1_29radix_sort_onesweep_iterationIS3_Lb0EN6thrust23THRUST_200600_302600_NS6detail15normal_iteratorINS9_10device_ptrIsEEEESE_PS5_SF_jNS0_19identity_decomposerENS1_16block_id_wrapperIjLb0EEEEE10hipError_tT1_PNSt15iterator_traitsISK_E10value_typeET2_T3_PNSL_ISQ_E10value_typeET4_T5_PSV_SW_PNS1_23onesweep_lookback_stateEbbT6_jjT7_P12ihipStream_tbENKUlT_T0_SK_SP_E_clIPsSE_SF_SF_EEDaS13_S14_SK_SP_EUlS13_E_NS1_11comp_targetILNS1_3genE10ELNS1_11target_archE1201ELNS1_3gpuE5ELNS1_3repE0EEENS1_47radix_sort_onesweep_sort_config_static_selectorELNS0_4arch9wavefront6targetE1EEEvSK_, .Lfunc_end2001-_ZN7rocprim17ROCPRIM_400000_NS6detail17trampoline_kernelINS0_14default_configENS1_35radix_sort_onesweep_config_selectorIsNS0_10empty_typeEEEZZNS1_29radix_sort_onesweep_iterationIS3_Lb0EN6thrust23THRUST_200600_302600_NS6detail15normal_iteratorINS9_10device_ptrIsEEEESE_PS5_SF_jNS0_19identity_decomposerENS1_16block_id_wrapperIjLb0EEEEE10hipError_tT1_PNSt15iterator_traitsISK_E10value_typeET2_T3_PNSL_ISQ_E10value_typeET4_T5_PSV_SW_PNS1_23onesweep_lookback_stateEbbT6_jjT7_P12ihipStream_tbENKUlT_T0_SK_SP_E_clIPsSE_SF_SF_EEDaS13_S14_SK_SP_EUlS13_E_NS1_11comp_targetILNS1_3genE10ELNS1_11target_archE1201ELNS1_3gpuE5ELNS1_3repE0EEENS1_47radix_sort_onesweep_sort_config_static_selectorELNS0_4arch9wavefront6targetE1EEEvSK_
                                        ; -- End function
	.section	.AMDGPU.csdata,"",@progbits
; Kernel info:
; codeLenInByte = 0
; NumSgprs: 4
; NumVgprs: 0
; NumAgprs: 0
; TotalNumVgprs: 0
; ScratchSize: 0
; MemoryBound: 0
; FloatMode: 240
; IeeeMode: 1
; LDSByteSize: 0 bytes/workgroup (compile time only)
; SGPRBlocks: 0
; VGPRBlocks: 0
; NumSGPRsForWavesPerEU: 4
; NumVGPRsForWavesPerEU: 1
; AccumOffset: 4
; Occupancy: 8
; WaveLimiterHint : 0
; COMPUTE_PGM_RSRC2:SCRATCH_EN: 0
; COMPUTE_PGM_RSRC2:USER_SGPR: 6
; COMPUTE_PGM_RSRC2:TRAP_HANDLER: 0
; COMPUTE_PGM_RSRC2:TGID_X_EN: 1
; COMPUTE_PGM_RSRC2:TGID_Y_EN: 0
; COMPUTE_PGM_RSRC2:TGID_Z_EN: 0
; COMPUTE_PGM_RSRC2:TIDIG_COMP_CNT: 0
; COMPUTE_PGM_RSRC3_GFX90A:ACCUM_OFFSET: 0
; COMPUTE_PGM_RSRC3_GFX90A:TG_SPLIT: 0
	.section	.text._ZN7rocprim17ROCPRIM_400000_NS6detail17trampoline_kernelINS0_14default_configENS1_35radix_sort_onesweep_config_selectorIsNS0_10empty_typeEEEZZNS1_29radix_sort_onesweep_iterationIS3_Lb0EN6thrust23THRUST_200600_302600_NS6detail15normal_iteratorINS9_10device_ptrIsEEEESE_PS5_SF_jNS0_19identity_decomposerENS1_16block_id_wrapperIjLb0EEEEE10hipError_tT1_PNSt15iterator_traitsISK_E10value_typeET2_T3_PNSL_ISQ_E10value_typeET4_T5_PSV_SW_PNS1_23onesweep_lookback_stateEbbT6_jjT7_P12ihipStream_tbENKUlT_T0_SK_SP_E_clIPsSE_SF_SF_EEDaS13_S14_SK_SP_EUlS13_E_NS1_11comp_targetILNS1_3genE9ELNS1_11target_archE1100ELNS1_3gpuE3ELNS1_3repE0EEENS1_47radix_sort_onesweep_sort_config_static_selectorELNS0_4arch9wavefront6targetE1EEEvSK_,"axG",@progbits,_ZN7rocprim17ROCPRIM_400000_NS6detail17trampoline_kernelINS0_14default_configENS1_35radix_sort_onesweep_config_selectorIsNS0_10empty_typeEEEZZNS1_29radix_sort_onesweep_iterationIS3_Lb0EN6thrust23THRUST_200600_302600_NS6detail15normal_iteratorINS9_10device_ptrIsEEEESE_PS5_SF_jNS0_19identity_decomposerENS1_16block_id_wrapperIjLb0EEEEE10hipError_tT1_PNSt15iterator_traitsISK_E10value_typeET2_T3_PNSL_ISQ_E10value_typeET4_T5_PSV_SW_PNS1_23onesweep_lookback_stateEbbT6_jjT7_P12ihipStream_tbENKUlT_T0_SK_SP_E_clIPsSE_SF_SF_EEDaS13_S14_SK_SP_EUlS13_E_NS1_11comp_targetILNS1_3genE9ELNS1_11target_archE1100ELNS1_3gpuE3ELNS1_3repE0EEENS1_47radix_sort_onesweep_sort_config_static_selectorELNS0_4arch9wavefront6targetE1EEEvSK_,comdat
	.protected	_ZN7rocprim17ROCPRIM_400000_NS6detail17trampoline_kernelINS0_14default_configENS1_35radix_sort_onesweep_config_selectorIsNS0_10empty_typeEEEZZNS1_29radix_sort_onesweep_iterationIS3_Lb0EN6thrust23THRUST_200600_302600_NS6detail15normal_iteratorINS9_10device_ptrIsEEEESE_PS5_SF_jNS0_19identity_decomposerENS1_16block_id_wrapperIjLb0EEEEE10hipError_tT1_PNSt15iterator_traitsISK_E10value_typeET2_T3_PNSL_ISQ_E10value_typeET4_T5_PSV_SW_PNS1_23onesweep_lookback_stateEbbT6_jjT7_P12ihipStream_tbENKUlT_T0_SK_SP_E_clIPsSE_SF_SF_EEDaS13_S14_SK_SP_EUlS13_E_NS1_11comp_targetILNS1_3genE9ELNS1_11target_archE1100ELNS1_3gpuE3ELNS1_3repE0EEENS1_47radix_sort_onesweep_sort_config_static_selectorELNS0_4arch9wavefront6targetE1EEEvSK_ ; -- Begin function _ZN7rocprim17ROCPRIM_400000_NS6detail17trampoline_kernelINS0_14default_configENS1_35radix_sort_onesweep_config_selectorIsNS0_10empty_typeEEEZZNS1_29radix_sort_onesweep_iterationIS3_Lb0EN6thrust23THRUST_200600_302600_NS6detail15normal_iteratorINS9_10device_ptrIsEEEESE_PS5_SF_jNS0_19identity_decomposerENS1_16block_id_wrapperIjLb0EEEEE10hipError_tT1_PNSt15iterator_traitsISK_E10value_typeET2_T3_PNSL_ISQ_E10value_typeET4_T5_PSV_SW_PNS1_23onesweep_lookback_stateEbbT6_jjT7_P12ihipStream_tbENKUlT_T0_SK_SP_E_clIPsSE_SF_SF_EEDaS13_S14_SK_SP_EUlS13_E_NS1_11comp_targetILNS1_3genE9ELNS1_11target_archE1100ELNS1_3gpuE3ELNS1_3repE0EEENS1_47radix_sort_onesweep_sort_config_static_selectorELNS0_4arch9wavefront6targetE1EEEvSK_
	.globl	_ZN7rocprim17ROCPRIM_400000_NS6detail17trampoline_kernelINS0_14default_configENS1_35radix_sort_onesweep_config_selectorIsNS0_10empty_typeEEEZZNS1_29radix_sort_onesweep_iterationIS3_Lb0EN6thrust23THRUST_200600_302600_NS6detail15normal_iteratorINS9_10device_ptrIsEEEESE_PS5_SF_jNS0_19identity_decomposerENS1_16block_id_wrapperIjLb0EEEEE10hipError_tT1_PNSt15iterator_traitsISK_E10value_typeET2_T3_PNSL_ISQ_E10value_typeET4_T5_PSV_SW_PNS1_23onesweep_lookback_stateEbbT6_jjT7_P12ihipStream_tbENKUlT_T0_SK_SP_E_clIPsSE_SF_SF_EEDaS13_S14_SK_SP_EUlS13_E_NS1_11comp_targetILNS1_3genE9ELNS1_11target_archE1100ELNS1_3gpuE3ELNS1_3repE0EEENS1_47radix_sort_onesweep_sort_config_static_selectorELNS0_4arch9wavefront6targetE1EEEvSK_
	.p2align	8
	.type	_ZN7rocprim17ROCPRIM_400000_NS6detail17trampoline_kernelINS0_14default_configENS1_35radix_sort_onesweep_config_selectorIsNS0_10empty_typeEEEZZNS1_29radix_sort_onesweep_iterationIS3_Lb0EN6thrust23THRUST_200600_302600_NS6detail15normal_iteratorINS9_10device_ptrIsEEEESE_PS5_SF_jNS0_19identity_decomposerENS1_16block_id_wrapperIjLb0EEEEE10hipError_tT1_PNSt15iterator_traitsISK_E10value_typeET2_T3_PNSL_ISQ_E10value_typeET4_T5_PSV_SW_PNS1_23onesweep_lookback_stateEbbT6_jjT7_P12ihipStream_tbENKUlT_T0_SK_SP_E_clIPsSE_SF_SF_EEDaS13_S14_SK_SP_EUlS13_E_NS1_11comp_targetILNS1_3genE9ELNS1_11target_archE1100ELNS1_3gpuE3ELNS1_3repE0EEENS1_47radix_sort_onesweep_sort_config_static_selectorELNS0_4arch9wavefront6targetE1EEEvSK_,@function
_ZN7rocprim17ROCPRIM_400000_NS6detail17trampoline_kernelINS0_14default_configENS1_35radix_sort_onesweep_config_selectorIsNS0_10empty_typeEEEZZNS1_29radix_sort_onesweep_iterationIS3_Lb0EN6thrust23THRUST_200600_302600_NS6detail15normal_iteratorINS9_10device_ptrIsEEEESE_PS5_SF_jNS0_19identity_decomposerENS1_16block_id_wrapperIjLb0EEEEE10hipError_tT1_PNSt15iterator_traitsISK_E10value_typeET2_T3_PNSL_ISQ_E10value_typeET4_T5_PSV_SW_PNS1_23onesweep_lookback_stateEbbT6_jjT7_P12ihipStream_tbENKUlT_T0_SK_SP_E_clIPsSE_SF_SF_EEDaS13_S14_SK_SP_EUlS13_E_NS1_11comp_targetILNS1_3genE9ELNS1_11target_archE1100ELNS1_3gpuE3ELNS1_3repE0EEENS1_47radix_sort_onesweep_sort_config_static_selectorELNS0_4arch9wavefront6targetE1EEEvSK_: ; @_ZN7rocprim17ROCPRIM_400000_NS6detail17trampoline_kernelINS0_14default_configENS1_35radix_sort_onesweep_config_selectorIsNS0_10empty_typeEEEZZNS1_29radix_sort_onesweep_iterationIS3_Lb0EN6thrust23THRUST_200600_302600_NS6detail15normal_iteratorINS9_10device_ptrIsEEEESE_PS5_SF_jNS0_19identity_decomposerENS1_16block_id_wrapperIjLb0EEEEE10hipError_tT1_PNSt15iterator_traitsISK_E10value_typeET2_T3_PNSL_ISQ_E10value_typeET4_T5_PSV_SW_PNS1_23onesweep_lookback_stateEbbT6_jjT7_P12ihipStream_tbENKUlT_T0_SK_SP_E_clIPsSE_SF_SF_EEDaS13_S14_SK_SP_EUlS13_E_NS1_11comp_targetILNS1_3genE9ELNS1_11target_archE1100ELNS1_3gpuE3ELNS1_3repE0EEENS1_47radix_sort_onesweep_sort_config_static_selectorELNS0_4arch9wavefront6targetE1EEEvSK_
; %bb.0:
	.section	.rodata,"a",@progbits
	.p2align	6, 0x0
	.amdhsa_kernel _ZN7rocprim17ROCPRIM_400000_NS6detail17trampoline_kernelINS0_14default_configENS1_35radix_sort_onesweep_config_selectorIsNS0_10empty_typeEEEZZNS1_29radix_sort_onesweep_iterationIS3_Lb0EN6thrust23THRUST_200600_302600_NS6detail15normal_iteratorINS9_10device_ptrIsEEEESE_PS5_SF_jNS0_19identity_decomposerENS1_16block_id_wrapperIjLb0EEEEE10hipError_tT1_PNSt15iterator_traitsISK_E10value_typeET2_T3_PNSL_ISQ_E10value_typeET4_T5_PSV_SW_PNS1_23onesweep_lookback_stateEbbT6_jjT7_P12ihipStream_tbENKUlT_T0_SK_SP_E_clIPsSE_SF_SF_EEDaS13_S14_SK_SP_EUlS13_E_NS1_11comp_targetILNS1_3genE9ELNS1_11target_archE1100ELNS1_3gpuE3ELNS1_3repE0EEENS1_47radix_sort_onesweep_sort_config_static_selectorELNS0_4arch9wavefront6targetE1EEEvSK_
		.amdhsa_group_segment_fixed_size 0
		.amdhsa_private_segment_fixed_size 0
		.amdhsa_kernarg_size 88
		.amdhsa_user_sgpr_count 6
		.amdhsa_user_sgpr_private_segment_buffer 1
		.amdhsa_user_sgpr_dispatch_ptr 0
		.amdhsa_user_sgpr_queue_ptr 0
		.amdhsa_user_sgpr_kernarg_segment_ptr 1
		.amdhsa_user_sgpr_dispatch_id 0
		.amdhsa_user_sgpr_flat_scratch_init 0
		.amdhsa_user_sgpr_kernarg_preload_length 0
		.amdhsa_user_sgpr_kernarg_preload_offset 0
		.amdhsa_user_sgpr_private_segment_size 0
		.amdhsa_uses_dynamic_stack 0
		.amdhsa_system_sgpr_private_segment_wavefront_offset 0
		.amdhsa_system_sgpr_workgroup_id_x 1
		.amdhsa_system_sgpr_workgroup_id_y 0
		.amdhsa_system_sgpr_workgroup_id_z 0
		.amdhsa_system_sgpr_workgroup_info 0
		.amdhsa_system_vgpr_workitem_id 0
		.amdhsa_next_free_vgpr 1
		.amdhsa_next_free_sgpr 0
		.amdhsa_accum_offset 4
		.amdhsa_reserve_vcc 0
		.amdhsa_reserve_flat_scratch 0
		.amdhsa_float_round_mode_32 0
		.amdhsa_float_round_mode_16_64 0
		.amdhsa_float_denorm_mode_32 3
		.amdhsa_float_denorm_mode_16_64 3
		.amdhsa_dx10_clamp 1
		.amdhsa_ieee_mode 1
		.amdhsa_fp16_overflow 0
		.amdhsa_tg_split 0
		.amdhsa_exception_fp_ieee_invalid_op 0
		.amdhsa_exception_fp_denorm_src 0
		.amdhsa_exception_fp_ieee_div_zero 0
		.amdhsa_exception_fp_ieee_overflow 0
		.amdhsa_exception_fp_ieee_underflow 0
		.amdhsa_exception_fp_ieee_inexact 0
		.amdhsa_exception_int_div_zero 0
	.end_amdhsa_kernel
	.section	.text._ZN7rocprim17ROCPRIM_400000_NS6detail17trampoline_kernelINS0_14default_configENS1_35radix_sort_onesweep_config_selectorIsNS0_10empty_typeEEEZZNS1_29radix_sort_onesweep_iterationIS3_Lb0EN6thrust23THRUST_200600_302600_NS6detail15normal_iteratorINS9_10device_ptrIsEEEESE_PS5_SF_jNS0_19identity_decomposerENS1_16block_id_wrapperIjLb0EEEEE10hipError_tT1_PNSt15iterator_traitsISK_E10value_typeET2_T3_PNSL_ISQ_E10value_typeET4_T5_PSV_SW_PNS1_23onesweep_lookback_stateEbbT6_jjT7_P12ihipStream_tbENKUlT_T0_SK_SP_E_clIPsSE_SF_SF_EEDaS13_S14_SK_SP_EUlS13_E_NS1_11comp_targetILNS1_3genE9ELNS1_11target_archE1100ELNS1_3gpuE3ELNS1_3repE0EEENS1_47radix_sort_onesweep_sort_config_static_selectorELNS0_4arch9wavefront6targetE1EEEvSK_,"axG",@progbits,_ZN7rocprim17ROCPRIM_400000_NS6detail17trampoline_kernelINS0_14default_configENS1_35radix_sort_onesweep_config_selectorIsNS0_10empty_typeEEEZZNS1_29radix_sort_onesweep_iterationIS3_Lb0EN6thrust23THRUST_200600_302600_NS6detail15normal_iteratorINS9_10device_ptrIsEEEESE_PS5_SF_jNS0_19identity_decomposerENS1_16block_id_wrapperIjLb0EEEEE10hipError_tT1_PNSt15iterator_traitsISK_E10value_typeET2_T3_PNSL_ISQ_E10value_typeET4_T5_PSV_SW_PNS1_23onesweep_lookback_stateEbbT6_jjT7_P12ihipStream_tbENKUlT_T0_SK_SP_E_clIPsSE_SF_SF_EEDaS13_S14_SK_SP_EUlS13_E_NS1_11comp_targetILNS1_3genE9ELNS1_11target_archE1100ELNS1_3gpuE3ELNS1_3repE0EEENS1_47radix_sort_onesweep_sort_config_static_selectorELNS0_4arch9wavefront6targetE1EEEvSK_,comdat
.Lfunc_end2002:
	.size	_ZN7rocprim17ROCPRIM_400000_NS6detail17trampoline_kernelINS0_14default_configENS1_35radix_sort_onesweep_config_selectorIsNS0_10empty_typeEEEZZNS1_29radix_sort_onesweep_iterationIS3_Lb0EN6thrust23THRUST_200600_302600_NS6detail15normal_iteratorINS9_10device_ptrIsEEEESE_PS5_SF_jNS0_19identity_decomposerENS1_16block_id_wrapperIjLb0EEEEE10hipError_tT1_PNSt15iterator_traitsISK_E10value_typeET2_T3_PNSL_ISQ_E10value_typeET4_T5_PSV_SW_PNS1_23onesweep_lookback_stateEbbT6_jjT7_P12ihipStream_tbENKUlT_T0_SK_SP_E_clIPsSE_SF_SF_EEDaS13_S14_SK_SP_EUlS13_E_NS1_11comp_targetILNS1_3genE9ELNS1_11target_archE1100ELNS1_3gpuE3ELNS1_3repE0EEENS1_47radix_sort_onesweep_sort_config_static_selectorELNS0_4arch9wavefront6targetE1EEEvSK_, .Lfunc_end2002-_ZN7rocprim17ROCPRIM_400000_NS6detail17trampoline_kernelINS0_14default_configENS1_35radix_sort_onesweep_config_selectorIsNS0_10empty_typeEEEZZNS1_29radix_sort_onesweep_iterationIS3_Lb0EN6thrust23THRUST_200600_302600_NS6detail15normal_iteratorINS9_10device_ptrIsEEEESE_PS5_SF_jNS0_19identity_decomposerENS1_16block_id_wrapperIjLb0EEEEE10hipError_tT1_PNSt15iterator_traitsISK_E10value_typeET2_T3_PNSL_ISQ_E10value_typeET4_T5_PSV_SW_PNS1_23onesweep_lookback_stateEbbT6_jjT7_P12ihipStream_tbENKUlT_T0_SK_SP_E_clIPsSE_SF_SF_EEDaS13_S14_SK_SP_EUlS13_E_NS1_11comp_targetILNS1_3genE9ELNS1_11target_archE1100ELNS1_3gpuE3ELNS1_3repE0EEENS1_47radix_sort_onesweep_sort_config_static_selectorELNS0_4arch9wavefront6targetE1EEEvSK_
                                        ; -- End function
	.section	.AMDGPU.csdata,"",@progbits
; Kernel info:
; codeLenInByte = 0
; NumSgprs: 4
; NumVgprs: 0
; NumAgprs: 0
; TotalNumVgprs: 0
; ScratchSize: 0
; MemoryBound: 0
; FloatMode: 240
; IeeeMode: 1
; LDSByteSize: 0 bytes/workgroup (compile time only)
; SGPRBlocks: 0
; VGPRBlocks: 0
; NumSGPRsForWavesPerEU: 4
; NumVGPRsForWavesPerEU: 1
; AccumOffset: 4
; Occupancy: 8
; WaveLimiterHint : 0
; COMPUTE_PGM_RSRC2:SCRATCH_EN: 0
; COMPUTE_PGM_RSRC2:USER_SGPR: 6
; COMPUTE_PGM_RSRC2:TRAP_HANDLER: 0
; COMPUTE_PGM_RSRC2:TGID_X_EN: 1
; COMPUTE_PGM_RSRC2:TGID_Y_EN: 0
; COMPUTE_PGM_RSRC2:TGID_Z_EN: 0
; COMPUTE_PGM_RSRC2:TIDIG_COMP_CNT: 0
; COMPUTE_PGM_RSRC3_GFX90A:ACCUM_OFFSET: 0
; COMPUTE_PGM_RSRC3_GFX90A:TG_SPLIT: 0
	.section	.text._ZN7rocprim17ROCPRIM_400000_NS6detail17trampoline_kernelINS0_14default_configENS1_35radix_sort_onesweep_config_selectorIsNS0_10empty_typeEEEZZNS1_29radix_sort_onesweep_iterationIS3_Lb0EN6thrust23THRUST_200600_302600_NS6detail15normal_iteratorINS9_10device_ptrIsEEEESE_PS5_SF_jNS0_19identity_decomposerENS1_16block_id_wrapperIjLb0EEEEE10hipError_tT1_PNSt15iterator_traitsISK_E10value_typeET2_T3_PNSL_ISQ_E10value_typeET4_T5_PSV_SW_PNS1_23onesweep_lookback_stateEbbT6_jjT7_P12ihipStream_tbENKUlT_T0_SK_SP_E_clIPsSE_SF_SF_EEDaS13_S14_SK_SP_EUlS13_E_NS1_11comp_targetILNS1_3genE8ELNS1_11target_archE1030ELNS1_3gpuE2ELNS1_3repE0EEENS1_47radix_sort_onesweep_sort_config_static_selectorELNS0_4arch9wavefront6targetE1EEEvSK_,"axG",@progbits,_ZN7rocprim17ROCPRIM_400000_NS6detail17trampoline_kernelINS0_14default_configENS1_35radix_sort_onesweep_config_selectorIsNS0_10empty_typeEEEZZNS1_29radix_sort_onesweep_iterationIS3_Lb0EN6thrust23THRUST_200600_302600_NS6detail15normal_iteratorINS9_10device_ptrIsEEEESE_PS5_SF_jNS0_19identity_decomposerENS1_16block_id_wrapperIjLb0EEEEE10hipError_tT1_PNSt15iterator_traitsISK_E10value_typeET2_T3_PNSL_ISQ_E10value_typeET4_T5_PSV_SW_PNS1_23onesweep_lookback_stateEbbT6_jjT7_P12ihipStream_tbENKUlT_T0_SK_SP_E_clIPsSE_SF_SF_EEDaS13_S14_SK_SP_EUlS13_E_NS1_11comp_targetILNS1_3genE8ELNS1_11target_archE1030ELNS1_3gpuE2ELNS1_3repE0EEENS1_47radix_sort_onesweep_sort_config_static_selectorELNS0_4arch9wavefront6targetE1EEEvSK_,comdat
	.protected	_ZN7rocprim17ROCPRIM_400000_NS6detail17trampoline_kernelINS0_14default_configENS1_35radix_sort_onesweep_config_selectorIsNS0_10empty_typeEEEZZNS1_29radix_sort_onesweep_iterationIS3_Lb0EN6thrust23THRUST_200600_302600_NS6detail15normal_iteratorINS9_10device_ptrIsEEEESE_PS5_SF_jNS0_19identity_decomposerENS1_16block_id_wrapperIjLb0EEEEE10hipError_tT1_PNSt15iterator_traitsISK_E10value_typeET2_T3_PNSL_ISQ_E10value_typeET4_T5_PSV_SW_PNS1_23onesweep_lookback_stateEbbT6_jjT7_P12ihipStream_tbENKUlT_T0_SK_SP_E_clIPsSE_SF_SF_EEDaS13_S14_SK_SP_EUlS13_E_NS1_11comp_targetILNS1_3genE8ELNS1_11target_archE1030ELNS1_3gpuE2ELNS1_3repE0EEENS1_47radix_sort_onesweep_sort_config_static_selectorELNS0_4arch9wavefront6targetE1EEEvSK_ ; -- Begin function _ZN7rocprim17ROCPRIM_400000_NS6detail17trampoline_kernelINS0_14default_configENS1_35radix_sort_onesweep_config_selectorIsNS0_10empty_typeEEEZZNS1_29radix_sort_onesweep_iterationIS3_Lb0EN6thrust23THRUST_200600_302600_NS6detail15normal_iteratorINS9_10device_ptrIsEEEESE_PS5_SF_jNS0_19identity_decomposerENS1_16block_id_wrapperIjLb0EEEEE10hipError_tT1_PNSt15iterator_traitsISK_E10value_typeET2_T3_PNSL_ISQ_E10value_typeET4_T5_PSV_SW_PNS1_23onesweep_lookback_stateEbbT6_jjT7_P12ihipStream_tbENKUlT_T0_SK_SP_E_clIPsSE_SF_SF_EEDaS13_S14_SK_SP_EUlS13_E_NS1_11comp_targetILNS1_3genE8ELNS1_11target_archE1030ELNS1_3gpuE2ELNS1_3repE0EEENS1_47radix_sort_onesweep_sort_config_static_selectorELNS0_4arch9wavefront6targetE1EEEvSK_
	.globl	_ZN7rocprim17ROCPRIM_400000_NS6detail17trampoline_kernelINS0_14default_configENS1_35radix_sort_onesweep_config_selectorIsNS0_10empty_typeEEEZZNS1_29radix_sort_onesweep_iterationIS3_Lb0EN6thrust23THRUST_200600_302600_NS6detail15normal_iteratorINS9_10device_ptrIsEEEESE_PS5_SF_jNS0_19identity_decomposerENS1_16block_id_wrapperIjLb0EEEEE10hipError_tT1_PNSt15iterator_traitsISK_E10value_typeET2_T3_PNSL_ISQ_E10value_typeET4_T5_PSV_SW_PNS1_23onesweep_lookback_stateEbbT6_jjT7_P12ihipStream_tbENKUlT_T0_SK_SP_E_clIPsSE_SF_SF_EEDaS13_S14_SK_SP_EUlS13_E_NS1_11comp_targetILNS1_3genE8ELNS1_11target_archE1030ELNS1_3gpuE2ELNS1_3repE0EEENS1_47radix_sort_onesweep_sort_config_static_selectorELNS0_4arch9wavefront6targetE1EEEvSK_
	.p2align	8
	.type	_ZN7rocprim17ROCPRIM_400000_NS6detail17trampoline_kernelINS0_14default_configENS1_35radix_sort_onesweep_config_selectorIsNS0_10empty_typeEEEZZNS1_29radix_sort_onesweep_iterationIS3_Lb0EN6thrust23THRUST_200600_302600_NS6detail15normal_iteratorINS9_10device_ptrIsEEEESE_PS5_SF_jNS0_19identity_decomposerENS1_16block_id_wrapperIjLb0EEEEE10hipError_tT1_PNSt15iterator_traitsISK_E10value_typeET2_T3_PNSL_ISQ_E10value_typeET4_T5_PSV_SW_PNS1_23onesweep_lookback_stateEbbT6_jjT7_P12ihipStream_tbENKUlT_T0_SK_SP_E_clIPsSE_SF_SF_EEDaS13_S14_SK_SP_EUlS13_E_NS1_11comp_targetILNS1_3genE8ELNS1_11target_archE1030ELNS1_3gpuE2ELNS1_3repE0EEENS1_47radix_sort_onesweep_sort_config_static_selectorELNS0_4arch9wavefront6targetE1EEEvSK_,@function
_ZN7rocprim17ROCPRIM_400000_NS6detail17trampoline_kernelINS0_14default_configENS1_35radix_sort_onesweep_config_selectorIsNS0_10empty_typeEEEZZNS1_29radix_sort_onesweep_iterationIS3_Lb0EN6thrust23THRUST_200600_302600_NS6detail15normal_iteratorINS9_10device_ptrIsEEEESE_PS5_SF_jNS0_19identity_decomposerENS1_16block_id_wrapperIjLb0EEEEE10hipError_tT1_PNSt15iterator_traitsISK_E10value_typeET2_T3_PNSL_ISQ_E10value_typeET4_T5_PSV_SW_PNS1_23onesweep_lookback_stateEbbT6_jjT7_P12ihipStream_tbENKUlT_T0_SK_SP_E_clIPsSE_SF_SF_EEDaS13_S14_SK_SP_EUlS13_E_NS1_11comp_targetILNS1_3genE8ELNS1_11target_archE1030ELNS1_3gpuE2ELNS1_3repE0EEENS1_47radix_sort_onesweep_sort_config_static_selectorELNS0_4arch9wavefront6targetE1EEEvSK_: ; @_ZN7rocprim17ROCPRIM_400000_NS6detail17trampoline_kernelINS0_14default_configENS1_35radix_sort_onesweep_config_selectorIsNS0_10empty_typeEEEZZNS1_29radix_sort_onesweep_iterationIS3_Lb0EN6thrust23THRUST_200600_302600_NS6detail15normal_iteratorINS9_10device_ptrIsEEEESE_PS5_SF_jNS0_19identity_decomposerENS1_16block_id_wrapperIjLb0EEEEE10hipError_tT1_PNSt15iterator_traitsISK_E10value_typeET2_T3_PNSL_ISQ_E10value_typeET4_T5_PSV_SW_PNS1_23onesweep_lookback_stateEbbT6_jjT7_P12ihipStream_tbENKUlT_T0_SK_SP_E_clIPsSE_SF_SF_EEDaS13_S14_SK_SP_EUlS13_E_NS1_11comp_targetILNS1_3genE8ELNS1_11target_archE1030ELNS1_3gpuE2ELNS1_3repE0EEENS1_47radix_sort_onesweep_sort_config_static_selectorELNS0_4arch9wavefront6targetE1EEEvSK_
; %bb.0:
	.section	.rodata,"a",@progbits
	.p2align	6, 0x0
	.amdhsa_kernel _ZN7rocprim17ROCPRIM_400000_NS6detail17trampoline_kernelINS0_14default_configENS1_35radix_sort_onesweep_config_selectorIsNS0_10empty_typeEEEZZNS1_29radix_sort_onesweep_iterationIS3_Lb0EN6thrust23THRUST_200600_302600_NS6detail15normal_iteratorINS9_10device_ptrIsEEEESE_PS5_SF_jNS0_19identity_decomposerENS1_16block_id_wrapperIjLb0EEEEE10hipError_tT1_PNSt15iterator_traitsISK_E10value_typeET2_T3_PNSL_ISQ_E10value_typeET4_T5_PSV_SW_PNS1_23onesweep_lookback_stateEbbT6_jjT7_P12ihipStream_tbENKUlT_T0_SK_SP_E_clIPsSE_SF_SF_EEDaS13_S14_SK_SP_EUlS13_E_NS1_11comp_targetILNS1_3genE8ELNS1_11target_archE1030ELNS1_3gpuE2ELNS1_3repE0EEENS1_47radix_sort_onesweep_sort_config_static_selectorELNS0_4arch9wavefront6targetE1EEEvSK_
		.amdhsa_group_segment_fixed_size 0
		.amdhsa_private_segment_fixed_size 0
		.amdhsa_kernarg_size 88
		.amdhsa_user_sgpr_count 6
		.amdhsa_user_sgpr_private_segment_buffer 1
		.amdhsa_user_sgpr_dispatch_ptr 0
		.amdhsa_user_sgpr_queue_ptr 0
		.amdhsa_user_sgpr_kernarg_segment_ptr 1
		.amdhsa_user_sgpr_dispatch_id 0
		.amdhsa_user_sgpr_flat_scratch_init 0
		.amdhsa_user_sgpr_kernarg_preload_length 0
		.amdhsa_user_sgpr_kernarg_preload_offset 0
		.amdhsa_user_sgpr_private_segment_size 0
		.amdhsa_uses_dynamic_stack 0
		.amdhsa_system_sgpr_private_segment_wavefront_offset 0
		.amdhsa_system_sgpr_workgroup_id_x 1
		.amdhsa_system_sgpr_workgroup_id_y 0
		.amdhsa_system_sgpr_workgroup_id_z 0
		.amdhsa_system_sgpr_workgroup_info 0
		.amdhsa_system_vgpr_workitem_id 0
		.amdhsa_next_free_vgpr 1
		.amdhsa_next_free_sgpr 0
		.amdhsa_accum_offset 4
		.amdhsa_reserve_vcc 0
		.amdhsa_reserve_flat_scratch 0
		.amdhsa_float_round_mode_32 0
		.amdhsa_float_round_mode_16_64 0
		.amdhsa_float_denorm_mode_32 3
		.amdhsa_float_denorm_mode_16_64 3
		.amdhsa_dx10_clamp 1
		.amdhsa_ieee_mode 1
		.amdhsa_fp16_overflow 0
		.amdhsa_tg_split 0
		.amdhsa_exception_fp_ieee_invalid_op 0
		.amdhsa_exception_fp_denorm_src 0
		.amdhsa_exception_fp_ieee_div_zero 0
		.amdhsa_exception_fp_ieee_overflow 0
		.amdhsa_exception_fp_ieee_underflow 0
		.amdhsa_exception_fp_ieee_inexact 0
		.amdhsa_exception_int_div_zero 0
	.end_amdhsa_kernel
	.section	.text._ZN7rocprim17ROCPRIM_400000_NS6detail17trampoline_kernelINS0_14default_configENS1_35radix_sort_onesweep_config_selectorIsNS0_10empty_typeEEEZZNS1_29radix_sort_onesweep_iterationIS3_Lb0EN6thrust23THRUST_200600_302600_NS6detail15normal_iteratorINS9_10device_ptrIsEEEESE_PS5_SF_jNS0_19identity_decomposerENS1_16block_id_wrapperIjLb0EEEEE10hipError_tT1_PNSt15iterator_traitsISK_E10value_typeET2_T3_PNSL_ISQ_E10value_typeET4_T5_PSV_SW_PNS1_23onesweep_lookback_stateEbbT6_jjT7_P12ihipStream_tbENKUlT_T0_SK_SP_E_clIPsSE_SF_SF_EEDaS13_S14_SK_SP_EUlS13_E_NS1_11comp_targetILNS1_3genE8ELNS1_11target_archE1030ELNS1_3gpuE2ELNS1_3repE0EEENS1_47radix_sort_onesweep_sort_config_static_selectorELNS0_4arch9wavefront6targetE1EEEvSK_,"axG",@progbits,_ZN7rocprim17ROCPRIM_400000_NS6detail17trampoline_kernelINS0_14default_configENS1_35radix_sort_onesweep_config_selectorIsNS0_10empty_typeEEEZZNS1_29radix_sort_onesweep_iterationIS3_Lb0EN6thrust23THRUST_200600_302600_NS6detail15normal_iteratorINS9_10device_ptrIsEEEESE_PS5_SF_jNS0_19identity_decomposerENS1_16block_id_wrapperIjLb0EEEEE10hipError_tT1_PNSt15iterator_traitsISK_E10value_typeET2_T3_PNSL_ISQ_E10value_typeET4_T5_PSV_SW_PNS1_23onesweep_lookback_stateEbbT6_jjT7_P12ihipStream_tbENKUlT_T0_SK_SP_E_clIPsSE_SF_SF_EEDaS13_S14_SK_SP_EUlS13_E_NS1_11comp_targetILNS1_3genE8ELNS1_11target_archE1030ELNS1_3gpuE2ELNS1_3repE0EEENS1_47radix_sort_onesweep_sort_config_static_selectorELNS0_4arch9wavefront6targetE1EEEvSK_,comdat
.Lfunc_end2003:
	.size	_ZN7rocprim17ROCPRIM_400000_NS6detail17trampoline_kernelINS0_14default_configENS1_35radix_sort_onesweep_config_selectorIsNS0_10empty_typeEEEZZNS1_29radix_sort_onesweep_iterationIS3_Lb0EN6thrust23THRUST_200600_302600_NS6detail15normal_iteratorINS9_10device_ptrIsEEEESE_PS5_SF_jNS0_19identity_decomposerENS1_16block_id_wrapperIjLb0EEEEE10hipError_tT1_PNSt15iterator_traitsISK_E10value_typeET2_T3_PNSL_ISQ_E10value_typeET4_T5_PSV_SW_PNS1_23onesweep_lookback_stateEbbT6_jjT7_P12ihipStream_tbENKUlT_T0_SK_SP_E_clIPsSE_SF_SF_EEDaS13_S14_SK_SP_EUlS13_E_NS1_11comp_targetILNS1_3genE8ELNS1_11target_archE1030ELNS1_3gpuE2ELNS1_3repE0EEENS1_47radix_sort_onesweep_sort_config_static_selectorELNS0_4arch9wavefront6targetE1EEEvSK_, .Lfunc_end2003-_ZN7rocprim17ROCPRIM_400000_NS6detail17trampoline_kernelINS0_14default_configENS1_35radix_sort_onesweep_config_selectorIsNS0_10empty_typeEEEZZNS1_29radix_sort_onesweep_iterationIS3_Lb0EN6thrust23THRUST_200600_302600_NS6detail15normal_iteratorINS9_10device_ptrIsEEEESE_PS5_SF_jNS0_19identity_decomposerENS1_16block_id_wrapperIjLb0EEEEE10hipError_tT1_PNSt15iterator_traitsISK_E10value_typeET2_T3_PNSL_ISQ_E10value_typeET4_T5_PSV_SW_PNS1_23onesweep_lookback_stateEbbT6_jjT7_P12ihipStream_tbENKUlT_T0_SK_SP_E_clIPsSE_SF_SF_EEDaS13_S14_SK_SP_EUlS13_E_NS1_11comp_targetILNS1_3genE8ELNS1_11target_archE1030ELNS1_3gpuE2ELNS1_3repE0EEENS1_47radix_sort_onesweep_sort_config_static_selectorELNS0_4arch9wavefront6targetE1EEEvSK_
                                        ; -- End function
	.section	.AMDGPU.csdata,"",@progbits
; Kernel info:
; codeLenInByte = 0
; NumSgprs: 4
; NumVgprs: 0
; NumAgprs: 0
; TotalNumVgprs: 0
; ScratchSize: 0
; MemoryBound: 0
; FloatMode: 240
; IeeeMode: 1
; LDSByteSize: 0 bytes/workgroup (compile time only)
; SGPRBlocks: 0
; VGPRBlocks: 0
; NumSGPRsForWavesPerEU: 4
; NumVGPRsForWavesPerEU: 1
; AccumOffset: 4
; Occupancy: 8
; WaveLimiterHint : 0
; COMPUTE_PGM_RSRC2:SCRATCH_EN: 0
; COMPUTE_PGM_RSRC2:USER_SGPR: 6
; COMPUTE_PGM_RSRC2:TRAP_HANDLER: 0
; COMPUTE_PGM_RSRC2:TGID_X_EN: 1
; COMPUTE_PGM_RSRC2:TGID_Y_EN: 0
; COMPUTE_PGM_RSRC2:TGID_Z_EN: 0
; COMPUTE_PGM_RSRC2:TIDIG_COMP_CNT: 0
; COMPUTE_PGM_RSRC3_GFX90A:ACCUM_OFFSET: 0
; COMPUTE_PGM_RSRC3_GFX90A:TG_SPLIT: 0
	.section	.text._ZN7rocprim17ROCPRIM_400000_NS6detail17trampoline_kernelINS0_14default_configENS1_25partition_config_selectorILNS1_17partition_subalgoE2EyNS0_10empty_typeEbEEZZNS1_14partition_implILS5_2ELb0ES3_jN6thrust23THRUST_200600_302600_NS6detail15normal_iteratorINSA_7pointerIyNSA_11hip_rocprim3tagENSA_11use_defaultESG_EEEEPS6_NSA_18transform_iteratorI7is_evenIyENSC_INSA_10device_ptrIyEEEESG_SG_EENS0_5tupleIJPySJ_EEENSR_IJSJ_SJ_EEES6_PlJS6_EEE10hipError_tPvRmT3_T4_T5_T6_T7_T9_mT8_P12ihipStream_tbDpT10_ENKUlT_T0_E_clISt17integral_constantIbLb0EES1F_EEDaS1A_S1B_EUlS1A_E_NS1_11comp_targetILNS1_3genE0ELNS1_11target_archE4294967295ELNS1_3gpuE0ELNS1_3repE0EEENS1_30default_config_static_selectorELNS0_4arch9wavefront6targetE1EEEvT1_,"axG",@progbits,_ZN7rocprim17ROCPRIM_400000_NS6detail17trampoline_kernelINS0_14default_configENS1_25partition_config_selectorILNS1_17partition_subalgoE2EyNS0_10empty_typeEbEEZZNS1_14partition_implILS5_2ELb0ES3_jN6thrust23THRUST_200600_302600_NS6detail15normal_iteratorINSA_7pointerIyNSA_11hip_rocprim3tagENSA_11use_defaultESG_EEEEPS6_NSA_18transform_iteratorI7is_evenIyENSC_INSA_10device_ptrIyEEEESG_SG_EENS0_5tupleIJPySJ_EEENSR_IJSJ_SJ_EEES6_PlJS6_EEE10hipError_tPvRmT3_T4_T5_T6_T7_T9_mT8_P12ihipStream_tbDpT10_ENKUlT_T0_E_clISt17integral_constantIbLb0EES1F_EEDaS1A_S1B_EUlS1A_E_NS1_11comp_targetILNS1_3genE0ELNS1_11target_archE4294967295ELNS1_3gpuE0ELNS1_3repE0EEENS1_30default_config_static_selectorELNS0_4arch9wavefront6targetE1EEEvT1_,comdat
	.protected	_ZN7rocprim17ROCPRIM_400000_NS6detail17trampoline_kernelINS0_14default_configENS1_25partition_config_selectorILNS1_17partition_subalgoE2EyNS0_10empty_typeEbEEZZNS1_14partition_implILS5_2ELb0ES3_jN6thrust23THRUST_200600_302600_NS6detail15normal_iteratorINSA_7pointerIyNSA_11hip_rocprim3tagENSA_11use_defaultESG_EEEEPS6_NSA_18transform_iteratorI7is_evenIyENSC_INSA_10device_ptrIyEEEESG_SG_EENS0_5tupleIJPySJ_EEENSR_IJSJ_SJ_EEES6_PlJS6_EEE10hipError_tPvRmT3_T4_T5_T6_T7_T9_mT8_P12ihipStream_tbDpT10_ENKUlT_T0_E_clISt17integral_constantIbLb0EES1F_EEDaS1A_S1B_EUlS1A_E_NS1_11comp_targetILNS1_3genE0ELNS1_11target_archE4294967295ELNS1_3gpuE0ELNS1_3repE0EEENS1_30default_config_static_selectorELNS0_4arch9wavefront6targetE1EEEvT1_ ; -- Begin function _ZN7rocprim17ROCPRIM_400000_NS6detail17trampoline_kernelINS0_14default_configENS1_25partition_config_selectorILNS1_17partition_subalgoE2EyNS0_10empty_typeEbEEZZNS1_14partition_implILS5_2ELb0ES3_jN6thrust23THRUST_200600_302600_NS6detail15normal_iteratorINSA_7pointerIyNSA_11hip_rocprim3tagENSA_11use_defaultESG_EEEEPS6_NSA_18transform_iteratorI7is_evenIyENSC_INSA_10device_ptrIyEEEESG_SG_EENS0_5tupleIJPySJ_EEENSR_IJSJ_SJ_EEES6_PlJS6_EEE10hipError_tPvRmT3_T4_T5_T6_T7_T9_mT8_P12ihipStream_tbDpT10_ENKUlT_T0_E_clISt17integral_constantIbLb0EES1F_EEDaS1A_S1B_EUlS1A_E_NS1_11comp_targetILNS1_3genE0ELNS1_11target_archE4294967295ELNS1_3gpuE0ELNS1_3repE0EEENS1_30default_config_static_selectorELNS0_4arch9wavefront6targetE1EEEvT1_
	.globl	_ZN7rocprim17ROCPRIM_400000_NS6detail17trampoline_kernelINS0_14default_configENS1_25partition_config_selectorILNS1_17partition_subalgoE2EyNS0_10empty_typeEbEEZZNS1_14partition_implILS5_2ELb0ES3_jN6thrust23THRUST_200600_302600_NS6detail15normal_iteratorINSA_7pointerIyNSA_11hip_rocprim3tagENSA_11use_defaultESG_EEEEPS6_NSA_18transform_iteratorI7is_evenIyENSC_INSA_10device_ptrIyEEEESG_SG_EENS0_5tupleIJPySJ_EEENSR_IJSJ_SJ_EEES6_PlJS6_EEE10hipError_tPvRmT3_T4_T5_T6_T7_T9_mT8_P12ihipStream_tbDpT10_ENKUlT_T0_E_clISt17integral_constantIbLb0EES1F_EEDaS1A_S1B_EUlS1A_E_NS1_11comp_targetILNS1_3genE0ELNS1_11target_archE4294967295ELNS1_3gpuE0ELNS1_3repE0EEENS1_30default_config_static_selectorELNS0_4arch9wavefront6targetE1EEEvT1_
	.p2align	8
	.type	_ZN7rocprim17ROCPRIM_400000_NS6detail17trampoline_kernelINS0_14default_configENS1_25partition_config_selectorILNS1_17partition_subalgoE2EyNS0_10empty_typeEbEEZZNS1_14partition_implILS5_2ELb0ES3_jN6thrust23THRUST_200600_302600_NS6detail15normal_iteratorINSA_7pointerIyNSA_11hip_rocprim3tagENSA_11use_defaultESG_EEEEPS6_NSA_18transform_iteratorI7is_evenIyENSC_INSA_10device_ptrIyEEEESG_SG_EENS0_5tupleIJPySJ_EEENSR_IJSJ_SJ_EEES6_PlJS6_EEE10hipError_tPvRmT3_T4_T5_T6_T7_T9_mT8_P12ihipStream_tbDpT10_ENKUlT_T0_E_clISt17integral_constantIbLb0EES1F_EEDaS1A_S1B_EUlS1A_E_NS1_11comp_targetILNS1_3genE0ELNS1_11target_archE4294967295ELNS1_3gpuE0ELNS1_3repE0EEENS1_30default_config_static_selectorELNS0_4arch9wavefront6targetE1EEEvT1_,@function
_ZN7rocprim17ROCPRIM_400000_NS6detail17trampoline_kernelINS0_14default_configENS1_25partition_config_selectorILNS1_17partition_subalgoE2EyNS0_10empty_typeEbEEZZNS1_14partition_implILS5_2ELb0ES3_jN6thrust23THRUST_200600_302600_NS6detail15normal_iteratorINSA_7pointerIyNSA_11hip_rocprim3tagENSA_11use_defaultESG_EEEEPS6_NSA_18transform_iteratorI7is_evenIyENSC_INSA_10device_ptrIyEEEESG_SG_EENS0_5tupleIJPySJ_EEENSR_IJSJ_SJ_EEES6_PlJS6_EEE10hipError_tPvRmT3_T4_T5_T6_T7_T9_mT8_P12ihipStream_tbDpT10_ENKUlT_T0_E_clISt17integral_constantIbLb0EES1F_EEDaS1A_S1B_EUlS1A_E_NS1_11comp_targetILNS1_3genE0ELNS1_11target_archE4294967295ELNS1_3gpuE0ELNS1_3repE0EEENS1_30default_config_static_selectorELNS0_4arch9wavefront6targetE1EEEvT1_: ; @_ZN7rocprim17ROCPRIM_400000_NS6detail17trampoline_kernelINS0_14default_configENS1_25partition_config_selectorILNS1_17partition_subalgoE2EyNS0_10empty_typeEbEEZZNS1_14partition_implILS5_2ELb0ES3_jN6thrust23THRUST_200600_302600_NS6detail15normal_iteratorINSA_7pointerIyNSA_11hip_rocprim3tagENSA_11use_defaultESG_EEEEPS6_NSA_18transform_iteratorI7is_evenIyENSC_INSA_10device_ptrIyEEEESG_SG_EENS0_5tupleIJPySJ_EEENSR_IJSJ_SJ_EEES6_PlJS6_EEE10hipError_tPvRmT3_T4_T5_T6_T7_T9_mT8_P12ihipStream_tbDpT10_ENKUlT_T0_E_clISt17integral_constantIbLb0EES1F_EEDaS1A_S1B_EUlS1A_E_NS1_11comp_targetILNS1_3genE0ELNS1_11target_archE4294967295ELNS1_3gpuE0ELNS1_3repE0EEENS1_30default_config_static_selectorELNS0_4arch9wavefront6targetE1EEEvT1_
; %bb.0:
	.section	.rodata,"a",@progbits
	.p2align	6, 0x0
	.amdhsa_kernel _ZN7rocprim17ROCPRIM_400000_NS6detail17trampoline_kernelINS0_14default_configENS1_25partition_config_selectorILNS1_17partition_subalgoE2EyNS0_10empty_typeEbEEZZNS1_14partition_implILS5_2ELb0ES3_jN6thrust23THRUST_200600_302600_NS6detail15normal_iteratorINSA_7pointerIyNSA_11hip_rocprim3tagENSA_11use_defaultESG_EEEEPS6_NSA_18transform_iteratorI7is_evenIyENSC_INSA_10device_ptrIyEEEESG_SG_EENS0_5tupleIJPySJ_EEENSR_IJSJ_SJ_EEES6_PlJS6_EEE10hipError_tPvRmT3_T4_T5_T6_T7_T9_mT8_P12ihipStream_tbDpT10_ENKUlT_T0_E_clISt17integral_constantIbLb0EES1F_EEDaS1A_S1B_EUlS1A_E_NS1_11comp_targetILNS1_3genE0ELNS1_11target_archE4294967295ELNS1_3gpuE0ELNS1_3repE0EEENS1_30default_config_static_selectorELNS0_4arch9wavefront6targetE1EEEvT1_
		.amdhsa_group_segment_fixed_size 0
		.amdhsa_private_segment_fixed_size 0
		.amdhsa_kernarg_size 128
		.amdhsa_user_sgpr_count 6
		.amdhsa_user_sgpr_private_segment_buffer 1
		.amdhsa_user_sgpr_dispatch_ptr 0
		.amdhsa_user_sgpr_queue_ptr 0
		.amdhsa_user_sgpr_kernarg_segment_ptr 1
		.amdhsa_user_sgpr_dispatch_id 0
		.amdhsa_user_sgpr_flat_scratch_init 0
		.amdhsa_user_sgpr_kernarg_preload_length 0
		.amdhsa_user_sgpr_kernarg_preload_offset 0
		.amdhsa_user_sgpr_private_segment_size 0
		.amdhsa_uses_dynamic_stack 0
		.amdhsa_system_sgpr_private_segment_wavefront_offset 0
		.amdhsa_system_sgpr_workgroup_id_x 1
		.amdhsa_system_sgpr_workgroup_id_y 0
		.amdhsa_system_sgpr_workgroup_id_z 0
		.amdhsa_system_sgpr_workgroup_info 0
		.amdhsa_system_vgpr_workitem_id 0
		.amdhsa_next_free_vgpr 1
		.amdhsa_next_free_sgpr 0
		.amdhsa_accum_offset 4
		.amdhsa_reserve_vcc 0
		.amdhsa_reserve_flat_scratch 0
		.amdhsa_float_round_mode_32 0
		.amdhsa_float_round_mode_16_64 0
		.amdhsa_float_denorm_mode_32 3
		.amdhsa_float_denorm_mode_16_64 3
		.amdhsa_dx10_clamp 1
		.amdhsa_ieee_mode 1
		.amdhsa_fp16_overflow 0
		.amdhsa_tg_split 0
		.amdhsa_exception_fp_ieee_invalid_op 0
		.amdhsa_exception_fp_denorm_src 0
		.amdhsa_exception_fp_ieee_div_zero 0
		.amdhsa_exception_fp_ieee_overflow 0
		.amdhsa_exception_fp_ieee_underflow 0
		.amdhsa_exception_fp_ieee_inexact 0
		.amdhsa_exception_int_div_zero 0
	.end_amdhsa_kernel
	.section	.text._ZN7rocprim17ROCPRIM_400000_NS6detail17trampoline_kernelINS0_14default_configENS1_25partition_config_selectorILNS1_17partition_subalgoE2EyNS0_10empty_typeEbEEZZNS1_14partition_implILS5_2ELb0ES3_jN6thrust23THRUST_200600_302600_NS6detail15normal_iteratorINSA_7pointerIyNSA_11hip_rocprim3tagENSA_11use_defaultESG_EEEEPS6_NSA_18transform_iteratorI7is_evenIyENSC_INSA_10device_ptrIyEEEESG_SG_EENS0_5tupleIJPySJ_EEENSR_IJSJ_SJ_EEES6_PlJS6_EEE10hipError_tPvRmT3_T4_T5_T6_T7_T9_mT8_P12ihipStream_tbDpT10_ENKUlT_T0_E_clISt17integral_constantIbLb0EES1F_EEDaS1A_S1B_EUlS1A_E_NS1_11comp_targetILNS1_3genE0ELNS1_11target_archE4294967295ELNS1_3gpuE0ELNS1_3repE0EEENS1_30default_config_static_selectorELNS0_4arch9wavefront6targetE1EEEvT1_,"axG",@progbits,_ZN7rocprim17ROCPRIM_400000_NS6detail17trampoline_kernelINS0_14default_configENS1_25partition_config_selectorILNS1_17partition_subalgoE2EyNS0_10empty_typeEbEEZZNS1_14partition_implILS5_2ELb0ES3_jN6thrust23THRUST_200600_302600_NS6detail15normal_iteratorINSA_7pointerIyNSA_11hip_rocprim3tagENSA_11use_defaultESG_EEEEPS6_NSA_18transform_iteratorI7is_evenIyENSC_INSA_10device_ptrIyEEEESG_SG_EENS0_5tupleIJPySJ_EEENSR_IJSJ_SJ_EEES6_PlJS6_EEE10hipError_tPvRmT3_T4_T5_T6_T7_T9_mT8_P12ihipStream_tbDpT10_ENKUlT_T0_E_clISt17integral_constantIbLb0EES1F_EEDaS1A_S1B_EUlS1A_E_NS1_11comp_targetILNS1_3genE0ELNS1_11target_archE4294967295ELNS1_3gpuE0ELNS1_3repE0EEENS1_30default_config_static_selectorELNS0_4arch9wavefront6targetE1EEEvT1_,comdat
.Lfunc_end2004:
	.size	_ZN7rocprim17ROCPRIM_400000_NS6detail17trampoline_kernelINS0_14default_configENS1_25partition_config_selectorILNS1_17partition_subalgoE2EyNS0_10empty_typeEbEEZZNS1_14partition_implILS5_2ELb0ES3_jN6thrust23THRUST_200600_302600_NS6detail15normal_iteratorINSA_7pointerIyNSA_11hip_rocprim3tagENSA_11use_defaultESG_EEEEPS6_NSA_18transform_iteratorI7is_evenIyENSC_INSA_10device_ptrIyEEEESG_SG_EENS0_5tupleIJPySJ_EEENSR_IJSJ_SJ_EEES6_PlJS6_EEE10hipError_tPvRmT3_T4_T5_T6_T7_T9_mT8_P12ihipStream_tbDpT10_ENKUlT_T0_E_clISt17integral_constantIbLb0EES1F_EEDaS1A_S1B_EUlS1A_E_NS1_11comp_targetILNS1_3genE0ELNS1_11target_archE4294967295ELNS1_3gpuE0ELNS1_3repE0EEENS1_30default_config_static_selectorELNS0_4arch9wavefront6targetE1EEEvT1_, .Lfunc_end2004-_ZN7rocprim17ROCPRIM_400000_NS6detail17trampoline_kernelINS0_14default_configENS1_25partition_config_selectorILNS1_17partition_subalgoE2EyNS0_10empty_typeEbEEZZNS1_14partition_implILS5_2ELb0ES3_jN6thrust23THRUST_200600_302600_NS6detail15normal_iteratorINSA_7pointerIyNSA_11hip_rocprim3tagENSA_11use_defaultESG_EEEEPS6_NSA_18transform_iteratorI7is_evenIyENSC_INSA_10device_ptrIyEEEESG_SG_EENS0_5tupleIJPySJ_EEENSR_IJSJ_SJ_EEES6_PlJS6_EEE10hipError_tPvRmT3_T4_T5_T6_T7_T9_mT8_P12ihipStream_tbDpT10_ENKUlT_T0_E_clISt17integral_constantIbLb0EES1F_EEDaS1A_S1B_EUlS1A_E_NS1_11comp_targetILNS1_3genE0ELNS1_11target_archE4294967295ELNS1_3gpuE0ELNS1_3repE0EEENS1_30default_config_static_selectorELNS0_4arch9wavefront6targetE1EEEvT1_
                                        ; -- End function
	.section	.AMDGPU.csdata,"",@progbits
; Kernel info:
; codeLenInByte = 0
; NumSgprs: 4
; NumVgprs: 0
; NumAgprs: 0
; TotalNumVgprs: 0
; ScratchSize: 0
; MemoryBound: 0
; FloatMode: 240
; IeeeMode: 1
; LDSByteSize: 0 bytes/workgroup (compile time only)
; SGPRBlocks: 0
; VGPRBlocks: 0
; NumSGPRsForWavesPerEU: 4
; NumVGPRsForWavesPerEU: 1
; AccumOffset: 4
; Occupancy: 8
; WaveLimiterHint : 0
; COMPUTE_PGM_RSRC2:SCRATCH_EN: 0
; COMPUTE_PGM_RSRC2:USER_SGPR: 6
; COMPUTE_PGM_RSRC2:TRAP_HANDLER: 0
; COMPUTE_PGM_RSRC2:TGID_X_EN: 1
; COMPUTE_PGM_RSRC2:TGID_Y_EN: 0
; COMPUTE_PGM_RSRC2:TGID_Z_EN: 0
; COMPUTE_PGM_RSRC2:TIDIG_COMP_CNT: 0
; COMPUTE_PGM_RSRC3_GFX90A:ACCUM_OFFSET: 0
; COMPUTE_PGM_RSRC3_GFX90A:TG_SPLIT: 0
	.section	.text._ZN7rocprim17ROCPRIM_400000_NS6detail17trampoline_kernelINS0_14default_configENS1_25partition_config_selectorILNS1_17partition_subalgoE2EyNS0_10empty_typeEbEEZZNS1_14partition_implILS5_2ELb0ES3_jN6thrust23THRUST_200600_302600_NS6detail15normal_iteratorINSA_7pointerIyNSA_11hip_rocprim3tagENSA_11use_defaultESG_EEEEPS6_NSA_18transform_iteratorI7is_evenIyENSC_INSA_10device_ptrIyEEEESG_SG_EENS0_5tupleIJPySJ_EEENSR_IJSJ_SJ_EEES6_PlJS6_EEE10hipError_tPvRmT3_T4_T5_T6_T7_T9_mT8_P12ihipStream_tbDpT10_ENKUlT_T0_E_clISt17integral_constantIbLb0EES1F_EEDaS1A_S1B_EUlS1A_E_NS1_11comp_targetILNS1_3genE5ELNS1_11target_archE942ELNS1_3gpuE9ELNS1_3repE0EEENS1_30default_config_static_selectorELNS0_4arch9wavefront6targetE1EEEvT1_,"axG",@progbits,_ZN7rocprim17ROCPRIM_400000_NS6detail17trampoline_kernelINS0_14default_configENS1_25partition_config_selectorILNS1_17partition_subalgoE2EyNS0_10empty_typeEbEEZZNS1_14partition_implILS5_2ELb0ES3_jN6thrust23THRUST_200600_302600_NS6detail15normal_iteratorINSA_7pointerIyNSA_11hip_rocprim3tagENSA_11use_defaultESG_EEEEPS6_NSA_18transform_iteratorI7is_evenIyENSC_INSA_10device_ptrIyEEEESG_SG_EENS0_5tupleIJPySJ_EEENSR_IJSJ_SJ_EEES6_PlJS6_EEE10hipError_tPvRmT3_T4_T5_T6_T7_T9_mT8_P12ihipStream_tbDpT10_ENKUlT_T0_E_clISt17integral_constantIbLb0EES1F_EEDaS1A_S1B_EUlS1A_E_NS1_11comp_targetILNS1_3genE5ELNS1_11target_archE942ELNS1_3gpuE9ELNS1_3repE0EEENS1_30default_config_static_selectorELNS0_4arch9wavefront6targetE1EEEvT1_,comdat
	.protected	_ZN7rocprim17ROCPRIM_400000_NS6detail17trampoline_kernelINS0_14default_configENS1_25partition_config_selectorILNS1_17partition_subalgoE2EyNS0_10empty_typeEbEEZZNS1_14partition_implILS5_2ELb0ES3_jN6thrust23THRUST_200600_302600_NS6detail15normal_iteratorINSA_7pointerIyNSA_11hip_rocprim3tagENSA_11use_defaultESG_EEEEPS6_NSA_18transform_iteratorI7is_evenIyENSC_INSA_10device_ptrIyEEEESG_SG_EENS0_5tupleIJPySJ_EEENSR_IJSJ_SJ_EEES6_PlJS6_EEE10hipError_tPvRmT3_T4_T5_T6_T7_T9_mT8_P12ihipStream_tbDpT10_ENKUlT_T0_E_clISt17integral_constantIbLb0EES1F_EEDaS1A_S1B_EUlS1A_E_NS1_11comp_targetILNS1_3genE5ELNS1_11target_archE942ELNS1_3gpuE9ELNS1_3repE0EEENS1_30default_config_static_selectorELNS0_4arch9wavefront6targetE1EEEvT1_ ; -- Begin function _ZN7rocprim17ROCPRIM_400000_NS6detail17trampoline_kernelINS0_14default_configENS1_25partition_config_selectorILNS1_17partition_subalgoE2EyNS0_10empty_typeEbEEZZNS1_14partition_implILS5_2ELb0ES3_jN6thrust23THRUST_200600_302600_NS6detail15normal_iteratorINSA_7pointerIyNSA_11hip_rocprim3tagENSA_11use_defaultESG_EEEEPS6_NSA_18transform_iteratorI7is_evenIyENSC_INSA_10device_ptrIyEEEESG_SG_EENS0_5tupleIJPySJ_EEENSR_IJSJ_SJ_EEES6_PlJS6_EEE10hipError_tPvRmT3_T4_T5_T6_T7_T9_mT8_P12ihipStream_tbDpT10_ENKUlT_T0_E_clISt17integral_constantIbLb0EES1F_EEDaS1A_S1B_EUlS1A_E_NS1_11comp_targetILNS1_3genE5ELNS1_11target_archE942ELNS1_3gpuE9ELNS1_3repE0EEENS1_30default_config_static_selectorELNS0_4arch9wavefront6targetE1EEEvT1_
	.globl	_ZN7rocprim17ROCPRIM_400000_NS6detail17trampoline_kernelINS0_14default_configENS1_25partition_config_selectorILNS1_17partition_subalgoE2EyNS0_10empty_typeEbEEZZNS1_14partition_implILS5_2ELb0ES3_jN6thrust23THRUST_200600_302600_NS6detail15normal_iteratorINSA_7pointerIyNSA_11hip_rocprim3tagENSA_11use_defaultESG_EEEEPS6_NSA_18transform_iteratorI7is_evenIyENSC_INSA_10device_ptrIyEEEESG_SG_EENS0_5tupleIJPySJ_EEENSR_IJSJ_SJ_EEES6_PlJS6_EEE10hipError_tPvRmT3_T4_T5_T6_T7_T9_mT8_P12ihipStream_tbDpT10_ENKUlT_T0_E_clISt17integral_constantIbLb0EES1F_EEDaS1A_S1B_EUlS1A_E_NS1_11comp_targetILNS1_3genE5ELNS1_11target_archE942ELNS1_3gpuE9ELNS1_3repE0EEENS1_30default_config_static_selectorELNS0_4arch9wavefront6targetE1EEEvT1_
	.p2align	8
	.type	_ZN7rocprim17ROCPRIM_400000_NS6detail17trampoline_kernelINS0_14default_configENS1_25partition_config_selectorILNS1_17partition_subalgoE2EyNS0_10empty_typeEbEEZZNS1_14partition_implILS5_2ELb0ES3_jN6thrust23THRUST_200600_302600_NS6detail15normal_iteratorINSA_7pointerIyNSA_11hip_rocprim3tagENSA_11use_defaultESG_EEEEPS6_NSA_18transform_iteratorI7is_evenIyENSC_INSA_10device_ptrIyEEEESG_SG_EENS0_5tupleIJPySJ_EEENSR_IJSJ_SJ_EEES6_PlJS6_EEE10hipError_tPvRmT3_T4_T5_T6_T7_T9_mT8_P12ihipStream_tbDpT10_ENKUlT_T0_E_clISt17integral_constantIbLb0EES1F_EEDaS1A_S1B_EUlS1A_E_NS1_11comp_targetILNS1_3genE5ELNS1_11target_archE942ELNS1_3gpuE9ELNS1_3repE0EEENS1_30default_config_static_selectorELNS0_4arch9wavefront6targetE1EEEvT1_,@function
_ZN7rocprim17ROCPRIM_400000_NS6detail17trampoline_kernelINS0_14default_configENS1_25partition_config_selectorILNS1_17partition_subalgoE2EyNS0_10empty_typeEbEEZZNS1_14partition_implILS5_2ELb0ES3_jN6thrust23THRUST_200600_302600_NS6detail15normal_iteratorINSA_7pointerIyNSA_11hip_rocprim3tagENSA_11use_defaultESG_EEEEPS6_NSA_18transform_iteratorI7is_evenIyENSC_INSA_10device_ptrIyEEEESG_SG_EENS0_5tupleIJPySJ_EEENSR_IJSJ_SJ_EEES6_PlJS6_EEE10hipError_tPvRmT3_T4_T5_T6_T7_T9_mT8_P12ihipStream_tbDpT10_ENKUlT_T0_E_clISt17integral_constantIbLb0EES1F_EEDaS1A_S1B_EUlS1A_E_NS1_11comp_targetILNS1_3genE5ELNS1_11target_archE942ELNS1_3gpuE9ELNS1_3repE0EEENS1_30default_config_static_selectorELNS0_4arch9wavefront6targetE1EEEvT1_: ; @_ZN7rocprim17ROCPRIM_400000_NS6detail17trampoline_kernelINS0_14default_configENS1_25partition_config_selectorILNS1_17partition_subalgoE2EyNS0_10empty_typeEbEEZZNS1_14partition_implILS5_2ELb0ES3_jN6thrust23THRUST_200600_302600_NS6detail15normal_iteratorINSA_7pointerIyNSA_11hip_rocprim3tagENSA_11use_defaultESG_EEEEPS6_NSA_18transform_iteratorI7is_evenIyENSC_INSA_10device_ptrIyEEEESG_SG_EENS0_5tupleIJPySJ_EEENSR_IJSJ_SJ_EEES6_PlJS6_EEE10hipError_tPvRmT3_T4_T5_T6_T7_T9_mT8_P12ihipStream_tbDpT10_ENKUlT_T0_E_clISt17integral_constantIbLb0EES1F_EEDaS1A_S1B_EUlS1A_E_NS1_11comp_targetILNS1_3genE5ELNS1_11target_archE942ELNS1_3gpuE9ELNS1_3repE0EEENS1_30default_config_static_selectorELNS0_4arch9wavefront6targetE1EEEvT1_
; %bb.0:
	.section	.rodata,"a",@progbits
	.p2align	6, 0x0
	.amdhsa_kernel _ZN7rocprim17ROCPRIM_400000_NS6detail17trampoline_kernelINS0_14default_configENS1_25partition_config_selectorILNS1_17partition_subalgoE2EyNS0_10empty_typeEbEEZZNS1_14partition_implILS5_2ELb0ES3_jN6thrust23THRUST_200600_302600_NS6detail15normal_iteratorINSA_7pointerIyNSA_11hip_rocprim3tagENSA_11use_defaultESG_EEEEPS6_NSA_18transform_iteratorI7is_evenIyENSC_INSA_10device_ptrIyEEEESG_SG_EENS0_5tupleIJPySJ_EEENSR_IJSJ_SJ_EEES6_PlJS6_EEE10hipError_tPvRmT3_T4_T5_T6_T7_T9_mT8_P12ihipStream_tbDpT10_ENKUlT_T0_E_clISt17integral_constantIbLb0EES1F_EEDaS1A_S1B_EUlS1A_E_NS1_11comp_targetILNS1_3genE5ELNS1_11target_archE942ELNS1_3gpuE9ELNS1_3repE0EEENS1_30default_config_static_selectorELNS0_4arch9wavefront6targetE1EEEvT1_
		.amdhsa_group_segment_fixed_size 0
		.amdhsa_private_segment_fixed_size 0
		.amdhsa_kernarg_size 128
		.amdhsa_user_sgpr_count 6
		.amdhsa_user_sgpr_private_segment_buffer 1
		.amdhsa_user_sgpr_dispatch_ptr 0
		.amdhsa_user_sgpr_queue_ptr 0
		.amdhsa_user_sgpr_kernarg_segment_ptr 1
		.amdhsa_user_sgpr_dispatch_id 0
		.amdhsa_user_sgpr_flat_scratch_init 0
		.amdhsa_user_sgpr_kernarg_preload_length 0
		.amdhsa_user_sgpr_kernarg_preload_offset 0
		.amdhsa_user_sgpr_private_segment_size 0
		.amdhsa_uses_dynamic_stack 0
		.amdhsa_system_sgpr_private_segment_wavefront_offset 0
		.amdhsa_system_sgpr_workgroup_id_x 1
		.amdhsa_system_sgpr_workgroup_id_y 0
		.amdhsa_system_sgpr_workgroup_id_z 0
		.amdhsa_system_sgpr_workgroup_info 0
		.amdhsa_system_vgpr_workitem_id 0
		.amdhsa_next_free_vgpr 1
		.amdhsa_next_free_sgpr 0
		.amdhsa_accum_offset 4
		.amdhsa_reserve_vcc 0
		.amdhsa_reserve_flat_scratch 0
		.amdhsa_float_round_mode_32 0
		.amdhsa_float_round_mode_16_64 0
		.amdhsa_float_denorm_mode_32 3
		.amdhsa_float_denorm_mode_16_64 3
		.amdhsa_dx10_clamp 1
		.amdhsa_ieee_mode 1
		.amdhsa_fp16_overflow 0
		.amdhsa_tg_split 0
		.amdhsa_exception_fp_ieee_invalid_op 0
		.amdhsa_exception_fp_denorm_src 0
		.amdhsa_exception_fp_ieee_div_zero 0
		.amdhsa_exception_fp_ieee_overflow 0
		.amdhsa_exception_fp_ieee_underflow 0
		.amdhsa_exception_fp_ieee_inexact 0
		.amdhsa_exception_int_div_zero 0
	.end_amdhsa_kernel
	.section	.text._ZN7rocprim17ROCPRIM_400000_NS6detail17trampoline_kernelINS0_14default_configENS1_25partition_config_selectorILNS1_17partition_subalgoE2EyNS0_10empty_typeEbEEZZNS1_14partition_implILS5_2ELb0ES3_jN6thrust23THRUST_200600_302600_NS6detail15normal_iteratorINSA_7pointerIyNSA_11hip_rocprim3tagENSA_11use_defaultESG_EEEEPS6_NSA_18transform_iteratorI7is_evenIyENSC_INSA_10device_ptrIyEEEESG_SG_EENS0_5tupleIJPySJ_EEENSR_IJSJ_SJ_EEES6_PlJS6_EEE10hipError_tPvRmT3_T4_T5_T6_T7_T9_mT8_P12ihipStream_tbDpT10_ENKUlT_T0_E_clISt17integral_constantIbLb0EES1F_EEDaS1A_S1B_EUlS1A_E_NS1_11comp_targetILNS1_3genE5ELNS1_11target_archE942ELNS1_3gpuE9ELNS1_3repE0EEENS1_30default_config_static_selectorELNS0_4arch9wavefront6targetE1EEEvT1_,"axG",@progbits,_ZN7rocprim17ROCPRIM_400000_NS6detail17trampoline_kernelINS0_14default_configENS1_25partition_config_selectorILNS1_17partition_subalgoE2EyNS0_10empty_typeEbEEZZNS1_14partition_implILS5_2ELb0ES3_jN6thrust23THRUST_200600_302600_NS6detail15normal_iteratorINSA_7pointerIyNSA_11hip_rocprim3tagENSA_11use_defaultESG_EEEEPS6_NSA_18transform_iteratorI7is_evenIyENSC_INSA_10device_ptrIyEEEESG_SG_EENS0_5tupleIJPySJ_EEENSR_IJSJ_SJ_EEES6_PlJS6_EEE10hipError_tPvRmT3_T4_T5_T6_T7_T9_mT8_P12ihipStream_tbDpT10_ENKUlT_T0_E_clISt17integral_constantIbLb0EES1F_EEDaS1A_S1B_EUlS1A_E_NS1_11comp_targetILNS1_3genE5ELNS1_11target_archE942ELNS1_3gpuE9ELNS1_3repE0EEENS1_30default_config_static_selectorELNS0_4arch9wavefront6targetE1EEEvT1_,comdat
.Lfunc_end2005:
	.size	_ZN7rocprim17ROCPRIM_400000_NS6detail17trampoline_kernelINS0_14default_configENS1_25partition_config_selectorILNS1_17partition_subalgoE2EyNS0_10empty_typeEbEEZZNS1_14partition_implILS5_2ELb0ES3_jN6thrust23THRUST_200600_302600_NS6detail15normal_iteratorINSA_7pointerIyNSA_11hip_rocprim3tagENSA_11use_defaultESG_EEEEPS6_NSA_18transform_iteratorI7is_evenIyENSC_INSA_10device_ptrIyEEEESG_SG_EENS0_5tupleIJPySJ_EEENSR_IJSJ_SJ_EEES6_PlJS6_EEE10hipError_tPvRmT3_T4_T5_T6_T7_T9_mT8_P12ihipStream_tbDpT10_ENKUlT_T0_E_clISt17integral_constantIbLb0EES1F_EEDaS1A_S1B_EUlS1A_E_NS1_11comp_targetILNS1_3genE5ELNS1_11target_archE942ELNS1_3gpuE9ELNS1_3repE0EEENS1_30default_config_static_selectorELNS0_4arch9wavefront6targetE1EEEvT1_, .Lfunc_end2005-_ZN7rocprim17ROCPRIM_400000_NS6detail17trampoline_kernelINS0_14default_configENS1_25partition_config_selectorILNS1_17partition_subalgoE2EyNS0_10empty_typeEbEEZZNS1_14partition_implILS5_2ELb0ES3_jN6thrust23THRUST_200600_302600_NS6detail15normal_iteratorINSA_7pointerIyNSA_11hip_rocprim3tagENSA_11use_defaultESG_EEEEPS6_NSA_18transform_iteratorI7is_evenIyENSC_INSA_10device_ptrIyEEEESG_SG_EENS0_5tupleIJPySJ_EEENSR_IJSJ_SJ_EEES6_PlJS6_EEE10hipError_tPvRmT3_T4_T5_T6_T7_T9_mT8_P12ihipStream_tbDpT10_ENKUlT_T0_E_clISt17integral_constantIbLb0EES1F_EEDaS1A_S1B_EUlS1A_E_NS1_11comp_targetILNS1_3genE5ELNS1_11target_archE942ELNS1_3gpuE9ELNS1_3repE0EEENS1_30default_config_static_selectorELNS0_4arch9wavefront6targetE1EEEvT1_
                                        ; -- End function
	.section	.AMDGPU.csdata,"",@progbits
; Kernel info:
; codeLenInByte = 0
; NumSgprs: 4
; NumVgprs: 0
; NumAgprs: 0
; TotalNumVgprs: 0
; ScratchSize: 0
; MemoryBound: 0
; FloatMode: 240
; IeeeMode: 1
; LDSByteSize: 0 bytes/workgroup (compile time only)
; SGPRBlocks: 0
; VGPRBlocks: 0
; NumSGPRsForWavesPerEU: 4
; NumVGPRsForWavesPerEU: 1
; AccumOffset: 4
; Occupancy: 8
; WaveLimiterHint : 0
; COMPUTE_PGM_RSRC2:SCRATCH_EN: 0
; COMPUTE_PGM_RSRC2:USER_SGPR: 6
; COMPUTE_PGM_RSRC2:TRAP_HANDLER: 0
; COMPUTE_PGM_RSRC2:TGID_X_EN: 1
; COMPUTE_PGM_RSRC2:TGID_Y_EN: 0
; COMPUTE_PGM_RSRC2:TGID_Z_EN: 0
; COMPUTE_PGM_RSRC2:TIDIG_COMP_CNT: 0
; COMPUTE_PGM_RSRC3_GFX90A:ACCUM_OFFSET: 0
; COMPUTE_PGM_RSRC3_GFX90A:TG_SPLIT: 0
	.section	.text._ZN7rocprim17ROCPRIM_400000_NS6detail17trampoline_kernelINS0_14default_configENS1_25partition_config_selectorILNS1_17partition_subalgoE2EyNS0_10empty_typeEbEEZZNS1_14partition_implILS5_2ELb0ES3_jN6thrust23THRUST_200600_302600_NS6detail15normal_iteratorINSA_7pointerIyNSA_11hip_rocprim3tagENSA_11use_defaultESG_EEEEPS6_NSA_18transform_iteratorI7is_evenIyENSC_INSA_10device_ptrIyEEEESG_SG_EENS0_5tupleIJPySJ_EEENSR_IJSJ_SJ_EEES6_PlJS6_EEE10hipError_tPvRmT3_T4_T5_T6_T7_T9_mT8_P12ihipStream_tbDpT10_ENKUlT_T0_E_clISt17integral_constantIbLb0EES1F_EEDaS1A_S1B_EUlS1A_E_NS1_11comp_targetILNS1_3genE4ELNS1_11target_archE910ELNS1_3gpuE8ELNS1_3repE0EEENS1_30default_config_static_selectorELNS0_4arch9wavefront6targetE1EEEvT1_,"axG",@progbits,_ZN7rocprim17ROCPRIM_400000_NS6detail17trampoline_kernelINS0_14default_configENS1_25partition_config_selectorILNS1_17partition_subalgoE2EyNS0_10empty_typeEbEEZZNS1_14partition_implILS5_2ELb0ES3_jN6thrust23THRUST_200600_302600_NS6detail15normal_iteratorINSA_7pointerIyNSA_11hip_rocprim3tagENSA_11use_defaultESG_EEEEPS6_NSA_18transform_iteratorI7is_evenIyENSC_INSA_10device_ptrIyEEEESG_SG_EENS0_5tupleIJPySJ_EEENSR_IJSJ_SJ_EEES6_PlJS6_EEE10hipError_tPvRmT3_T4_T5_T6_T7_T9_mT8_P12ihipStream_tbDpT10_ENKUlT_T0_E_clISt17integral_constantIbLb0EES1F_EEDaS1A_S1B_EUlS1A_E_NS1_11comp_targetILNS1_3genE4ELNS1_11target_archE910ELNS1_3gpuE8ELNS1_3repE0EEENS1_30default_config_static_selectorELNS0_4arch9wavefront6targetE1EEEvT1_,comdat
	.protected	_ZN7rocprim17ROCPRIM_400000_NS6detail17trampoline_kernelINS0_14default_configENS1_25partition_config_selectorILNS1_17partition_subalgoE2EyNS0_10empty_typeEbEEZZNS1_14partition_implILS5_2ELb0ES3_jN6thrust23THRUST_200600_302600_NS6detail15normal_iteratorINSA_7pointerIyNSA_11hip_rocprim3tagENSA_11use_defaultESG_EEEEPS6_NSA_18transform_iteratorI7is_evenIyENSC_INSA_10device_ptrIyEEEESG_SG_EENS0_5tupleIJPySJ_EEENSR_IJSJ_SJ_EEES6_PlJS6_EEE10hipError_tPvRmT3_T4_T5_T6_T7_T9_mT8_P12ihipStream_tbDpT10_ENKUlT_T0_E_clISt17integral_constantIbLb0EES1F_EEDaS1A_S1B_EUlS1A_E_NS1_11comp_targetILNS1_3genE4ELNS1_11target_archE910ELNS1_3gpuE8ELNS1_3repE0EEENS1_30default_config_static_selectorELNS0_4arch9wavefront6targetE1EEEvT1_ ; -- Begin function _ZN7rocprim17ROCPRIM_400000_NS6detail17trampoline_kernelINS0_14default_configENS1_25partition_config_selectorILNS1_17partition_subalgoE2EyNS0_10empty_typeEbEEZZNS1_14partition_implILS5_2ELb0ES3_jN6thrust23THRUST_200600_302600_NS6detail15normal_iteratorINSA_7pointerIyNSA_11hip_rocprim3tagENSA_11use_defaultESG_EEEEPS6_NSA_18transform_iteratorI7is_evenIyENSC_INSA_10device_ptrIyEEEESG_SG_EENS0_5tupleIJPySJ_EEENSR_IJSJ_SJ_EEES6_PlJS6_EEE10hipError_tPvRmT3_T4_T5_T6_T7_T9_mT8_P12ihipStream_tbDpT10_ENKUlT_T0_E_clISt17integral_constantIbLb0EES1F_EEDaS1A_S1B_EUlS1A_E_NS1_11comp_targetILNS1_3genE4ELNS1_11target_archE910ELNS1_3gpuE8ELNS1_3repE0EEENS1_30default_config_static_selectorELNS0_4arch9wavefront6targetE1EEEvT1_
	.globl	_ZN7rocprim17ROCPRIM_400000_NS6detail17trampoline_kernelINS0_14default_configENS1_25partition_config_selectorILNS1_17partition_subalgoE2EyNS0_10empty_typeEbEEZZNS1_14partition_implILS5_2ELb0ES3_jN6thrust23THRUST_200600_302600_NS6detail15normal_iteratorINSA_7pointerIyNSA_11hip_rocprim3tagENSA_11use_defaultESG_EEEEPS6_NSA_18transform_iteratorI7is_evenIyENSC_INSA_10device_ptrIyEEEESG_SG_EENS0_5tupleIJPySJ_EEENSR_IJSJ_SJ_EEES6_PlJS6_EEE10hipError_tPvRmT3_T4_T5_T6_T7_T9_mT8_P12ihipStream_tbDpT10_ENKUlT_T0_E_clISt17integral_constantIbLb0EES1F_EEDaS1A_S1B_EUlS1A_E_NS1_11comp_targetILNS1_3genE4ELNS1_11target_archE910ELNS1_3gpuE8ELNS1_3repE0EEENS1_30default_config_static_selectorELNS0_4arch9wavefront6targetE1EEEvT1_
	.p2align	8
	.type	_ZN7rocprim17ROCPRIM_400000_NS6detail17trampoline_kernelINS0_14default_configENS1_25partition_config_selectorILNS1_17partition_subalgoE2EyNS0_10empty_typeEbEEZZNS1_14partition_implILS5_2ELb0ES3_jN6thrust23THRUST_200600_302600_NS6detail15normal_iteratorINSA_7pointerIyNSA_11hip_rocprim3tagENSA_11use_defaultESG_EEEEPS6_NSA_18transform_iteratorI7is_evenIyENSC_INSA_10device_ptrIyEEEESG_SG_EENS0_5tupleIJPySJ_EEENSR_IJSJ_SJ_EEES6_PlJS6_EEE10hipError_tPvRmT3_T4_T5_T6_T7_T9_mT8_P12ihipStream_tbDpT10_ENKUlT_T0_E_clISt17integral_constantIbLb0EES1F_EEDaS1A_S1B_EUlS1A_E_NS1_11comp_targetILNS1_3genE4ELNS1_11target_archE910ELNS1_3gpuE8ELNS1_3repE0EEENS1_30default_config_static_selectorELNS0_4arch9wavefront6targetE1EEEvT1_,@function
_ZN7rocprim17ROCPRIM_400000_NS6detail17trampoline_kernelINS0_14default_configENS1_25partition_config_selectorILNS1_17partition_subalgoE2EyNS0_10empty_typeEbEEZZNS1_14partition_implILS5_2ELb0ES3_jN6thrust23THRUST_200600_302600_NS6detail15normal_iteratorINSA_7pointerIyNSA_11hip_rocprim3tagENSA_11use_defaultESG_EEEEPS6_NSA_18transform_iteratorI7is_evenIyENSC_INSA_10device_ptrIyEEEESG_SG_EENS0_5tupleIJPySJ_EEENSR_IJSJ_SJ_EEES6_PlJS6_EEE10hipError_tPvRmT3_T4_T5_T6_T7_T9_mT8_P12ihipStream_tbDpT10_ENKUlT_T0_E_clISt17integral_constantIbLb0EES1F_EEDaS1A_S1B_EUlS1A_E_NS1_11comp_targetILNS1_3genE4ELNS1_11target_archE910ELNS1_3gpuE8ELNS1_3repE0EEENS1_30default_config_static_selectorELNS0_4arch9wavefront6targetE1EEEvT1_: ; @_ZN7rocprim17ROCPRIM_400000_NS6detail17trampoline_kernelINS0_14default_configENS1_25partition_config_selectorILNS1_17partition_subalgoE2EyNS0_10empty_typeEbEEZZNS1_14partition_implILS5_2ELb0ES3_jN6thrust23THRUST_200600_302600_NS6detail15normal_iteratorINSA_7pointerIyNSA_11hip_rocprim3tagENSA_11use_defaultESG_EEEEPS6_NSA_18transform_iteratorI7is_evenIyENSC_INSA_10device_ptrIyEEEESG_SG_EENS0_5tupleIJPySJ_EEENSR_IJSJ_SJ_EEES6_PlJS6_EEE10hipError_tPvRmT3_T4_T5_T6_T7_T9_mT8_P12ihipStream_tbDpT10_ENKUlT_T0_E_clISt17integral_constantIbLb0EES1F_EEDaS1A_S1B_EUlS1A_E_NS1_11comp_targetILNS1_3genE4ELNS1_11target_archE910ELNS1_3gpuE8ELNS1_3repE0EEENS1_30default_config_static_selectorELNS0_4arch9wavefront6targetE1EEEvT1_
; %bb.0:
	s_load_dwordx4 s[24:27], s[4:5], 0x8
	s_load_dwordx2 s[2:3], s[4:5], 0x20
	s_load_dwordx2 s[28:29], s[4:5], 0x60
	s_load_dwordx4 s[20:23], s[4:5], 0x50
	s_load_dword s0, s[4:5], 0x78
	s_waitcnt lgkmcnt(0)
	s_lshl_b64 s[8:9], s[26:27], 3
	s_add_u32 s7, s24, s8
	s_addc_u32 s12, s25, s9
	s_load_dwordx2 s[30:31], s[22:23], 0x0
	s_add_i32 s10, s0, -1
	s_mulk_i32 s0, 0x300
	s_add_i32 s1, s0, s26
	s_sub_i32 s33, s28, s1
	s_addk_i32 s33, 0x300
	s_add_u32 s0, s26, s0
	s_addc_u32 s1, s27, 0
	s_cmp_eq_u32 s6, s10
	v_pk_mov_b32 v[2:3], s[28:29], s[28:29] op_sel:[0,1]
	s_cselect_b64 s[22:23], -1, 0
	s_cmp_lg_u32 s6, s10
	s_mul_i32 s24, s6, 0x300
	s_mov_b32 s25, 0
	v_cmp_lt_u64_e32 vcc, s[0:1], v[2:3]
	s_cselect_b64 s[0:1], -1, 0
	s_or_b64 s[34:35], s[0:1], vcc
	s_lshl_b64 s[10:11], s[24:25], 3
	s_add_u32 s7, s7, s10
	s_addc_u32 s14, s12, s11
	s_mov_b64 s[0:1], -1
	s_and_b64 vcc, exec, s[34:35]
	v_lshlrev_b32_e32 v1, 3, v0
	v_lshrrev_b32_e32 v10, 2, v0
	s_cbranch_vccz .LBB2006_2
; %bb.1:
	v_mov_b32_e32 v3, s14
	v_add_co_u32_e32 v2, vcc, s7, v1
	v_addc_co_u32_e32 v3, vcc, 0, v3, vcc
	v_add_co_u32_e32 v4, vcc, 0x1000, v2
	v_addc_co_u32_e32 v5, vcc, 0, v3, vcc
	flat_load_dwordx2 v[6:7], v[2:3]
	flat_load_dwordx2 v[8:9], v[2:3] offset:1536
	flat_load_dwordx2 v[12:13], v[2:3] offset:3072
	;; [unrolled: 1-line block ×3, first 2 shown]
	v_add_u32_e32 v3, 0xc0, v0
	v_add_u32_e32 v4, 0x180, v0
	;; [unrolled: 1-line block ×3, first 2 shown]
	v_and_b32_e32 v2, 56, v10
	v_lshrrev_b32_e32 v3, 2, v3
	v_lshrrev_b32_e32 v4, 2, v4
	;; [unrolled: 1-line block ×3, first 2 shown]
	v_add_u32_e32 v2, v2, v1
	v_and_b32_e32 v3, 0x78, v3
	v_and_b32_e32 v4, 0xf8, v4
	;; [unrolled: 1-line block ×3, first 2 shown]
	v_add_u32_e32 v3, v3, v1
	v_add_u32_e32 v4, v4, v1
	;; [unrolled: 1-line block ×3, first 2 shown]
	s_mov_b64 s[0:1], 0
	s_waitcnt vmcnt(0) lgkmcnt(0)
	ds_write_b64 v2, v[6:7]
	ds_write_b64 v3, v[8:9] offset:1536
	ds_write_b64 v4, v[12:13] offset:3072
	;; [unrolled: 1-line block ×3, first 2 shown]
	s_waitcnt lgkmcnt(0)
	s_barrier
.LBB2006_2:
	s_andn2_b64 vcc, exec, s[0:1]
	v_cmp_gt_u32_e64 s[0:1], s33, v0
	s_cbranch_vccnz .LBB2006_12
; %bb.3:
                                        ; implicit-def: $vgpr2_vgpr3_vgpr4_vgpr5_vgpr6_vgpr7_vgpr8_vgpr9
	s_and_saveexec_b64 s[12:13], s[0:1]
	s_cbranch_execz .LBB2006_5
; %bb.4:
	v_mov_b32_e32 v3, s14
	v_add_co_u32_e32 v2, vcc, s7, v1
	v_addc_co_u32_e32 v3, vcc, 0, v3, vcc
	flat_load_dwordx2 v[2:3], v[2:3]
.LBB2006_5:
	s_or_b64 exec, exec, s[12:13]
	v_add_u32_e32 v11, 0xc0, v0
	v_cmp_gt_u32_e32 vcc, s33, v11
	s_and_saveexec_b64 s[0:1], vcc
	s_cbranch_execz .LBB2006_7
; %bb.6:
	v_mov_b32_e32 v5, s14
	v_add_co_u32_e32 v4, vcc, s7, v1
	v_addc_co_u32_e32 v5, vcc, 0, v5, vcc
	flat_load_dwordx2 v[4:5], v[4:5] offset:1536
.LBB2006_7:
	s_or_b64 exec, exec, s[0:1]
	v_add_u32_e32 v12, 0x180, v0
	v_cmp_gt_u32_e32 vcc, s33, v12
	s_and_saveexec_b64 s[0:1], vcc
	s_cbranch_execz .LBB2006_9
; %bb.8:
	v_mov_b32_e32 v7, s14
	v_add_co_u32_e32 v6, vcc, s7, v1
	v_addc_co_u32_e32 v7, vcc, 0, v7, vcc
	flat_load_dwordx2 v[6:7], v[6:7] offset:3072
.LBB2006_9:
	s_or_b64 exec, exec, s[0:1]
	v_add_u32_e32 v13, 0x240, v0
	v_cmp_gt_u32_e32 vcc, s33, v13
	s_and_saveexec_b64 s[0:1], vcc
	s_cbranch_execz .LBB2006_11
; %bb.10:
	v_lshlrev_b32_e32 v8, 3, v13
	v_mov_b32_e32 v9, s14
	v_add_co_u32_e32 v8, vcc, s7, v8
	v_addc_co_u32_e32 v9, vcc, 0, v9, vcc
	flat_load_dwordx2 v[8:9], v[8:9]
.LBB2006_11:
	s_or_b64 exec, exec, s[0:1]
	v_and_b32_e32 v10, 56, v10
	v_add_u32_e32 v10, v10, v1
	s_waitcnt vmcnt(0) lgkmcnt(0)
	ds_write_b64 v10, v[2:3]
	v_lshrrev_b32_e32 v2, 2, v11
	v_and_b32_e32 v2, 0x78, v2
	v_add_u32_e32 v2, v2, v1
	ds_write_b64 v2, v[4:5] offset:1536
	v_lshrrev_b32_e32 v2, 2, v12
	v_and_b32_e32 v2, 0xf8, v2
	v_add_u32_e32 v2, v2, v1
	ds_write_b64 v2, v[6:7] offset:3072
	;; [unrolled: 4-line block ×3, first 2 shown]
	s_waitcnt lgkmcnt(0)
	s_barrier
.LBB2006_12:
	v_lshlrev_b32_e32 v20, 2, v0
	v_lshrrev_b32_e32 v10, 3, v0
	v_add_lshl_u32 v2, v10, v20, 3
	s_waitcnt lgkmcnt(0)
	ds_read2_b64 v[6:9], v2 offset1:1
	ds_read2_b64 v[2:5], v2 offset0:2 offset1:3
	s_add_u32 s0, s2, s8
	s_addc_u32 s1, s3, s9
	s_add_u32 s0, s0, s10
	s_addc_u32 s1, s1, s11
	s_mov_b64 s[2:3], -1
	s_and_b64 vcc, exec, s[34:35]
	v_lshrrev_b32_e32 v11, 5, v0
	s_waitcnt lgkmcnt(0)
	s_barrier
	s_cbranch_vccz .LBB2006_14
; %bb.13:
	global_load_dwordx2 v[12:13], v1, s[0:1]
	global_load_dwordx2 v[14:15], v1, s[0:1] offset:1536
	global_load_dwordx2 v[16:17], v1, s[0:1] offset:3072
	v_mov_b32_e32 v18, s1
	s_waitcnt vmcnt(2)
	v_add_co_u32_e32 v13, vcc, s0, v1
	s_waitcnt vmcnt(1)
	v_addc_co_u32_e32 v15, vcc, 0, v18, vcc
	v_add_co_u32_e32 v18, vcc, 0x1000, v13
	v_addc_co_u32_e32 v19, vcc, 0, v15, vcc
	global_load_dwordx2 v[18:19], v[18:19], off offset:512
	v_add_u32_e32 v15, 0xc0, v0
	s_waitcnt vmcnt(1)
	v_add_u32_e32 v17, 0x180, v0
	v_and_b32_e32 v13, 4, v11
	s_waitcnt vmcnt(0)
	v_add_u32_e32 v19, 0x240, v0
	v_lshrrev_b32_e32 v15, 5, v15
	v_lshrrev_b32_e32 v17, 5, v17
	v_add_u32_e32 v13, v13, v0
	v_lshrrev_b32_e32 v19, 5, v19
	v_and_b32_e32 v15, 12, v15
	v_and_b32_e32 v17, 28, v17
	;; [unrolled: 1-line block ×3, first 2 shown]
	v_add_u32_e32 v15, v15, v0
	v_add_u32_e32 v17, v17, v0
	v_add_u32_e32 v19, v19, v0
	s_mov_b64 s[2:3], 0
	v_xor_b32_e32 v12, -1, v12
	v_xor_b32_e32 v14, -1, v14
	;; [unrolled: 1-line block ×3, first 2 shown]
	v_and_b32_e32 v12, 1, v12
	v_and_b32_e32 v14, 1, v14
	v_and_b32_e32 v16, 1, v16
	ds_write_b8 v13, v12
	ds_write_b8 v15, v14 offset:192
	ds_write_b8 v17, v16 offset:384
	v_xor_b32_e32 v12, -1, v18
	v_and_b32_e32 v12, 1, v12
	ds_write_b8 v19, v12 offset:576
	s_waitcnt lgkmcnt(0)
	s_barrier
.LBB2006_14:
	s_load_dwordx2 s[36:37], s[4:5], 0x70
	s_andn2_b64 vcc, exec, s[2:3]
	s_cbranch_vccnz .LBB2006_24
; %bb.15:
	v_cmp_gt_u32_e32 vcc, s33, v0
	v_mov_b32_e32 v12, 0
	v_mov_b32_e32 v13, 0
	s_and_saveexec_b64 s[2:3], vcc
	s_cbranch_execz .LBB2006_17
; %bb.16:
	global_load_dwordx2 v[14:15], v1, s[0:1]
	s_waitcnt vmcnt(0)
	v_xor_b32_e32 v13, -1, v14
	v_and_b32_e32 v13, 1, v13
.LBB2006_17:
	s_or_b64 exec, exec, s[2:3]
	v_add_u32_e32 v14, 0xc0, v0
	v_cmp_gt_u32_e32 vcc, s33, v14
	s_and_saveexec_b64 s[2:3], vcc
	s_cbranch_execz .LBB2006_19
; %bb.18:
	global_load_dwordx2 v[16:17], v1, s[0:1] offset:1536
	s_waitcnt vmcnt(0)
	v_xor_b32_e32 v12, -1, v16
	v_and_b32_e32 v12, 1, v12
.LBB2006_19:
	s_or_b64 exec, exec, s[2:3]
	v_add_u32_e32 v16, 0x180, v0
	v_cmp_gt_u32_e32 vcc, s33, v16
	v_mov_b32_e32 v15, 0
	v_mov_b32_e32 v17, 0
	s_and_saveexec_b64 s[2:3], vcc
	s_cbranch_execz .LBB2006_21
; %bb.20:
	global_load_dwordx2 v[18:19], v1, s[0:1] offset:3072
	s_waitcnt vmcnt(0)
	v_xor_b32_e32 v17, -1, v18
	v_and_b32_e32 v17, 1, v17
.LBB2006_21:
	s_or_b64 exec, exec, s[2:3]
	v_add_u32_e32 v18, 0x240, v0
	v_cmp_gt_u32_e32 vcc, s33, v18
	s_and_saveexec_b64 s[2:3], vcc
	s_cbranch_execz .LBB2006_23
; %bb.22:
	v_lshlrev_b32_e32 v15, 3, v18
	global_load_dwordx2 v[22:23], v15, s[0:1]
	s_waitcnt vmcnt(0)
	v_xor_b32_e32 v15, -1, v22
	v_and_b32_e32 v15, 1, v15
.LBB2006_23:
	s_or_b64 exec, exec, s[2:3]
	v_and_b32_e32 v11, 4, v11
	v_add_u32_e32 v11, v11, v0
	ds_write_b8 v11, v13
	v_lshrrev_b32_e32 v11, 5, v14
	v_and_b32_e32 v11, 12, v11
	v_add_u32_e32 v11, v11, v0
	ds_write_b8 v11, v12 offset:192
	v_lshrrev_b32_e32 v11, 5, v16
	v_and_b32_e32 v11, 28, v11
	v_add_u32_e32 v11, v11, v0
	ds_write_b8 v11, v17 offset:384
	;; [unrolled: 4-line block ×3, first 2 shown]
	s_waitcnt lgkmcnt(0)
	s_barrier
.LBB2006_24:
	v_and_b32_e32 v10, 28, v10
	v_add_u32_e32 v10, v10, v20
	s_waitcnt lgkmcnt(0)
	ds_read_b32 v22, v10
	s_cmp_lg_u32 s6, 0
	v_lshrrev_b32_e32 v25, 6, v0
	s_waitcnt lgkmcnt(0)
	s_barrier
	v_lshrrev_b32_e32 v21, 24, v22
	v_bfe_u32 v23, v22, 16, 8
	v_add_u32_sdwa v10, v22, v22 dst_sel:DWORD dst_unused:UNUSED_PAD src0_sel:BYTE_1 src1_sel:BYTE_0
	v_add3_u32 v26, v10, v23, v21
	v_mbcnt_lo_u32_b32 v10, -1, 0
	v_mbcnt_hi_u32_b32 v24, -1, v10
	v_and_b32_e32 v10, 15, v24
	v_cmp_eq_u32_e64 s[14:15], 0, v10
	v_cmp_lt_u32_e64 s[12:13], 1, v10
	v_cmp_lt_u32_e64 s[10:11], 3, v10
	;; [unrolled: 1-line block ×3, first 2 shown]
	v_and_b32_e32 v10, 16, v24
	v_cmp_eq_u32_e64 s[2:3], 0, v10
	v_and_b32_e32 v10, 0xc0, v0
	v_min_u32_e32 v10, 0x80, v10
	v_or_b32_e32 v10, 63, v10
	v_cmp_lt_u32_e64 s[0:1], 31, v24
	v_cmp_eq_u32_e64 s[18:19], v10, v0
	s_cbranch_scc0 .LBB2006_51
; %bb.25:
	v_mov_b32_dpp v10, v26 row_shr:1 row_mask:0xf bank_mask:0xf
	v_cndmask_b32_e64 v10, v10, 0, s[14:15]
	v_add_u32_e32 v10, v10, v26
	s_nop 1
	v_mov_b32_dpp v11, v10 row_shr:2 row_mask:0xf bank_mask:0xf
	v_cndmask_b32_e64 v11, 0, v11, s[12:13]
	v_add_u32_e32 v10, v10, v11
	s_nop 1
	;; [unrolled: 4-line block ×4, first 2 shown]
	v_mov_b32_dpp v11, v10 row_bcast:15 row_mask:0xf bank_mask:0xf
	v_cndmask_b32_e64 v11, v11, 0, s[2:3]
	v_add_u32_e32 v10, v10, v11
	s_nop 1
	v_mov_b32_dpp v11, v10 row_bcast:31 row_mask:0xf bank_mask:0xf
	v_cndmask_b32_e64 v11, 0, v11, s[0:1]
	v_add_u32_e32 v10, v10, v11
	s_and_saveexec_b64 s[16:17], s[18:19]
	s_cbranch_execz .LBB2006_27
; %bb.26:
	v_lshlrev_b32_e32 v11, 2, v25
	ds_write_b32 v11, v10
.LBB2006_27:
	s_or_b64 exec, exec, s[16:17]
	v_cmp_gt_u32_e32 vcc, 3, v0
	s_waitcnt lgkmcnt(0)
	s_barrier
	s_and_saveexec_b64 s[16:17], vcc
	s_cbranch_execz .LBB2006_29
; %bb.28:
	ds_read_b32 v11, v20
	v_and_b32_e32 v12, 3, v24
	v_cmp_ne_u32_e32 vcc, 0, v12
	s_waitcnt lgkmcnt(0)
	v_mov_b32_dpp v13, v11 row_shr:1 row_mask:0xf bank_mask:0xf
	v_cndmask_b32_e32 v13, 0, v13, vcc
	v_add_u32_e32 v11, v13, v11
	v_cmp_lt_u32_e32 vcc, 1, v12
	s_nop 0
	v_mov_b32_dpp v13, v11 row_shr:2 row_mask:0xf bank_mask:0xf
	v_cndmask_b32_e32 v12, 0, v13, vcc
	v_add_u32_e32 v11, v11, v12
	ds_write_b32 v20, v11
.LBB2006_29:
	s_or_b64 exec, exec, s[16:17]
	v_cmp_gt_u32_e32 vcc, 64, v0
	v_cmp_lt_u32_e64 s[16:17], 63, v0
	s_waitcnt lgkmcnt(0)
	s_barrier
	s_waitcnt lgkmcnt(0)
                                        ; implicit-def: $vgpr27
	s_and_saveexec_b64 s[38:39], s[16:17]
	s_cbranch_execz .LBB2006_31
; %bb.30:
	v_lshl_add_u32 v11, v25, 2, -4
	ds_read_b32 v27, v11
	s_waitcnt lgkmcnt(0)
	v_add_u32_e32 v10, v27, v10
.LBB2006_31:
	s_or_b64 exec, exec, s[38:39]
	v_add_u32_e32 v11, -1, v24
	v_and_b32_e32 v12, 64, v24
	v_cmp_lt_i32_e64 s[16:17], v11, v12
	v_cndmask_b32_e64 v11, v11, v24, s[16:17]
	v_lshlrev_b32_e32 v11, 2, v11
	ds_bpermute_b32 v28, v11, v10
	v_cmp_eq_u32_e64 s[16:17], 0, v24
	s_and_saveexec_b64 s[38:39], vcc
	s_cbranch_execz .LBB2006_50
; %bb.32:
	v_mov_b32_e32 v17, 0
	ds_read_b32 v10, v17 offset:8
	s_and_saveexec_b64 s[40:41], s[16:17]
	s_cbranch_execz .LBB2006_34
; %bb.33:
	s_add_i32 s42, s6, 64
	s_mov_b32 s43, 0
	s_lshl_b64 s[42:43], s[42:43], 3
	s_add_u32 s42, s36, s42
	v_mov_b32_e32 v11, 1
	s_addc_u32 s43, s37, s43
	s_waitcnt lgkmcnt(0)
	global_store_dwordx2 v17, v[10:11], s[42:43]
.LBB2006_34:
	s_or_b64 exec, exec, s[40:41]
	v_xad_u32 v12, v24, -1, s6
	v_add_u32_e32 v16, 64, v12
	v_lshlrev_b64 v[14:15], 3, v[16:17]
	v_mov_b32_e32 v11, s37
	v_add_co_u32_e32 v18, vcc, s36, v14
	v_addc_co_u32_e32 v19, vcc, v11, v15, vcc
	global_load_dwordx2 v[14:15], v[18:19], off glc
	s_waitcnt vmcnt(0)
	v_cmp_eq_u16_sdwa s[42:43], v15, v17 src0_sel:BYTE_0 src1_sel:DWORD
	s_and_saveexec_b64 s[40:41], s[42:43]
	s_cbranch_execz .LBB2006_38
; %bb.35:
	s_mov_b64 s[42:43], 0
	v_mov_b32_e32 v11, 0
.LBB2006_36:                            ; =>This Inner Loop Header: Depth=1
	global_load_dwordx2 v[14:15], v[18:19], off glc
	s_waitcnt vmcnt(0)
	v_cmp_ne_u16_sdwa s[44:45], v15, v11 src0_sel:BYTE_0 src1_sel:DWORD
	s_or_b64 s[42:43], s[44:45], s[42:43]
	s_andn2_b64 exec, exec, s[42:43]
	s_cbranch_execnz .LBB2006_36
; %bb.37:
	s_or_b64 exec, exec, s[42:43]
.LBB2006_38:
	s_or_b64 exec, exec, s[40:41]
	v_and_b32_e32 v30, 63, v24
	v_mov_b32_e32 v29, 2
	v_cmp_ne_u32_e32 vcc, 63, v30
	v_cmp_eq_u16_sdwa s[40:41], v15, v29 src0_sel:BYTE_0 src1_sel:DWORD
	v_lshlrev_b64 v[16:17], v24, -1
	v_addc_co_u32_e32 v18, vcc, 0, v24, vcc
	v_and_b32_e32 v11, s41, v17
	v_lshlrev_b32_e32 v31, 2, v18
	v_or_b32_e32 v11, 0x80000000, v11
	ds_bpermute_b32 v18, v31, v14
	v_and_b32_e32 v13, s40, v16
	v_ffbl_b32_e32 v11, v11
	v_add_u32_e32 v11, 32, v11
	v_ffbl_b32_e32 v13, v13
	v_min_u32_e32 v11, v13, v11
	v_cmp_lt_u32_e32 vcc, v30, v11
	s_waitcnt lgkmcnt(0)
	v_cndmask_b32_e32 v13, 0, v18, vcc
	v_cmp_gt_u32_e32 vcc, 62, v30
	v_add_u32_e32 v13, v13, v14
	v_cndmask_b32_e64 v14, 0, 1, vcc
	v_lshlrev_b32_e32 v14, 1, v14
	v_add_lshl_u32 v32, v14, v24, 2
	ds_bpermute_b32 v14, v32, v13
	v_add_u32_e32 v33, 2, v30
	v_cmp_le_u32_e32 vcc, v33, v11
	v_add_u32_e32 v35, 4, v30
	v_add_u32_e32 v37, 8, v30
	s_waitcnt lgkmcnt(0)
	v_cndmask_b32_e32 v14, 0, v14, vcc
	v_cmp_gt_u32_e32 vcc, 60, v30
	v_add_u32_e32 v13, v13, v14
	v_cndmask_b32_e64 v14, 0, 1, vcc
	v_lshlrev_b32_e32 v14, 2, v14
	v_add_lshl_u32 v34, v14, v24, 2
	ds_bpermute_b32 v14, v34, v13
	v_cmp_le_u32_e32 vcc, v35, v11
	v_add_u32_e32 v39, 16, v30
	v_add_u32_e32 v41, 32, v30
	s_waitcnt lgkmcnt(0)
	v_cndmask_b32_e32 v14, 0, v14, vcc
	v_cmp_gt_u32_e32 vcc, 56, v30
	v_add_u32_e32 v13, v13, v14
	v_cndmask_b32_e64 v14, 0, 1, vcc
	v_lshlrev_b32_e32 v14, 3, v14
	v_add_lshl_u32 v36, v14, v24, 2
	ds_bpermute_b32 v14, v36, v13
	v_cmp_le_u32_e32 vcc, v37, v11
	s_waitcnt lgkmcnt(0)
	v_cndmask_b32_e32 v14, 0, v14, vcc
	v_cmp_gt_u32_e32 vcc, 48, v30
	v_add_u32_e32 v13, v13, v14
	v_cndmask_b32_e64 v14, 0, 1, vcc
	v_lshlrev_b32_e32 v14, 4, v14
	v_add_lshl_u32 v38, v14, v24, 2
	ds_bpermute_b32 v14, v38, v13
	v_cmp_le_u32_e32 vcc, v39, v11
	;; [unrolled: 9-line block ×3, first 2 shown]
	s_waitcnt lgkmcnt(0)
	v_cndmask_b32_e32 v11, 0, v14, vcc
	v_add_u32_e32 v14, v13, v11
	v_mov_b32_e32 v13, 0
	s_branch .LBB2006_40
.LBB2006_39:                            ;   in Loop: Header=BB2006_40 Depth=1
	s_or_b64 exec, exec, s[40:41]
	v_cmp_eq_u16_sdwa s[40:41], v15, v29 src0_sel:BYTE_0 src1_sel:DWORD
	v_and_b32_e32 v18, s41, v17
	v_or_b32_e32 v18, 0x80000000, v18
	ds_bpermute_b32 v42, v31, v14
	v_and_b32_e32 v19, s40, v16
	v_ffbl_b32_e32 v18, v18
	v_add_u32_e32 v18, 32, v18
	v_ffbl_b32_e32 v19, v19
	v_min_u32_e32 v18, v19, v18
	v_cmp_lt_u32_e32 vcc, v30, v18
	s_waitcnt lgkmcnt(0)
	v_cndmask_b32_e32 v19, 0, v42, vcc
	v_add_u32_e32 v14, v19, v14
	ds_bpermute_b32 v19, v32, v14
	v_cmp_le_u32_e32 vcc, v33, v18
	v_subrev_u32_e32 v12, 64, v12
	s_waitcnt lgkmcnt(0)
	v_cndmask_b32_e32 v19, 0, v19, vcc
	v_add_u32_e32 v14, v14, v19
	ds_bpermute_b32 v19, v34, v14
	v_cmp_le_u32_e32 vcc, v35, v18
	s_waitcnt lgkmcnt(0)
	v_cndmask_b32_e32 v19, 0, v19, vcc
	v_add_u32_e32 v14, v14, v19
	ds_bpermute_b32 v19, v36, v14
	v_cmp_le_u32_e32 vcc, v37, v18
	;; [unrolled: 5-line block ×4, first 2 shown]
	s_waitcnt lgkmcnt(0)
	v_cndmask_b32_e32 v18, 0, v19, vcc
	v_add3_u32 v14, v18, v11, v14
.LBB2006_40:                            ; =>This Loop Header: Depth=1
                                        ;     Child Loop BB2006_43 Depth 2
	v_cmp_ne_u16_sdwa s[40:41], v15, v29 src0_sel:BYTE_0 src1_sel:DWORD
	v_cndmask_b32_e64 v11, 0, 1, s[40:41]
	;;#ASMSTART
	;;#ASMEND
	v_cmp_ne_u32_e32 vcc, 0, v11
	s_cmp_lg_u64 vcc, exec
	v_mov_b32_e32 v11, v14
	s_cbranch_scc1 .LBB2006_45
; %bb.41:                               ;   in Loop: Header=BB2006_40 Depth=1
	v_lshlrev_b64 v[14:15], 3, v[12:13]
	v_mov_b32_e32 v19, s37
	v_add_co_u32_e32 v18, vcc, s36, v14
	v_addc_co_u32_e32 v19, vcc, v19, v15, vcc
	global_load_dwordx2 v[14:15], v[18:19], off glc
	s_waitcnt vmcnt(0)
	v_cmp_eq_u16_sdwa s[42:43], v15, v13 src0_sel:BYTE_0 src1_sel:DWORD
	s_and_saveexec_b64 s[40:41], s[42:43]
	s_cbranch_execz .LBB2006_39
; %bb.42:                               ;   in Loop: Header=BB2006_40 Depth=1
	s_mov_b64 s[42:43], 0
.LBB2006_43:                            ;   Parent Loop BB2006_40 Depth=1
                                        ; =>  This Inner Loop Header: Depth=2
	global_load_dwordx2 v[14:15], v[18:19], off glc
	s_waitcnt vmcnt(0)
	v_cmp_ne_u16_sdwa s[44:45], v15, v13 src0_sel:BYTE_0 src1_sel:DWORD
	s_or_b64 s[42:43], s[44:45], s[42:43]
	s_andn2_b64 exec, exec, s[42:43]
	s_cbranch_execnz .LBB2006_43
; %bb.44:                               ;   in Loop: Header=BB2006_40 Depth=1
	s_or_b64 exec, exec, s[42:43]
	s_branch .LBB2006_39
.LBB2006_45:                            ;   in Loop: Header=BB2006_40 Depth=1
                                        ; implicit-def: $vgpr14
                                        ; implicit-def: $vgpr15
	s_cbranch_execz .LBB2006_40
; %bb.46:
	s_and_saveexec_b64 s[40:41], s[16:17]
	s_cbranch_execz .LBB2006_48
; %bb.47:
	s_add_i32 s6, s6, 64
	s_mov_b32 s7, 0
	s_lshl_b64 s[6:7], s[6:7], 3
	s_add_u32 s6, s36, s6
	v_add_u32_e32 v12, v11, v10
	v_mov_b32_e32 v13, 2
	s_addc_u32 s7, s37, s7
	v_mov_b32_e32 v14, 0
	global_store_dwordx2 v14, v[12:13], s[6:7]
	ds_write_b64 v14, v[10:11] offset:6336
.LBB2006_48:
	s_or_b64 exec, exec, s[40:41]
	v_cmp_eq_u32_e32 vcc, 0, v0
	s_and_b64 exec, exec, vcc
	s_cbranch_execz .LBB2006_50
; %bb.49:
	v_mov_b32_e32 v10, 0
	ds_write_b32 v10, v11 offset:8
.LBB2006_50:
	s_or_b64 exec, exec, s[38:39]
	v_mov_b32_e32 v10, 0
	s_waitcnt lgkmcnt(0)
	s_barrier
	ds_read_b32 v11, v10 offset:8
	v_cndmask_b32_e64 v12, v28, v27, s[16:17]
	v_cmp_ne_u32_e32 vcc, 0, v0
	v_cndmask_b32_e32 v12, 0, v12, vcc
	s_waitcnt lgkmcnt(0)
	v_add_u32_e32 v14, v11, v12
	s_barrier
	ds_read_b64 v[10:11], v10 offset:6336
	v_add_u32_sdwa v15, v14, v22 dst_sel:DWORD dst_unused:UNUSED_PAD src0_sel:DWORD src1_sel:BYTE_0
	v_add_u32_sdwa v13, v15, v22 dst_sel:DWORD dst_unused:UNUSED_PAD src0_sel:DWORD src1_sel:BYTE_1
	v_add_u32_e32 v12, v13, v23
	s_load_dwordx2 s[4:5], s[4:5], 0x30
	s_branch .LBB2006_61
.LBB2006_51:
                                        ; implicit-def: $vgpr11
                                        ; implicit-def: $vgpr12
                                        ; implicit-def: $vgpr13
                                        ; implicit-def: $vgpr15
                                        ; implicit-def: $vgpr14
	s_load_dwordx2 s[4:5], s[4:5], 0x30
	s_cbranch_execz .LBB2006_61
; %bb.52:
	s_waitcnt lgkmcnt(0)
	v_mov_b32_dpp v10, v26 row_shr:1 row_mask:0xf bank_mask:0xf
	v_cndmask_b32_e64 v10, v10, 0, s[14:15]
	v_add_u32_e32 v10, v10, v26
	s_nop 1
	v_mov_b32_dpp v11, v10 row_shr:2 row_mask:0xf bank_mask:0xf
	v_cndmask_b32_e64 v11, 0, v11, s[12:13]
	v_add_u32_e32 v10, v10, v11
	s_nop 1
	;; [unrolled: 4-line block ×4, first 2 shown]
	v_mov_b32_dpp v11, v10 row_bcast:15 row_mask:0xf bank_mask:0xf
	v_cndmask_b32_e64 v11, v11, 0, s[2:3]
	v_add_u32_e32 v10, v10, v11
	s_nop 1
	v_mov_b32_dpp v11, v10 row_bcast:31 row_mask:0xf bank_mask:0xf
	v_cndmask_b32_e64 v11, 0, v11, s[0:1]
	v_add_u32_e32 v10, v10, v11
	s_and_saveexec_b64 s[0:1], s[18:19]
	s_cbranch_execz .LBB2006_54
; %bb.53:
	v_lshlrev_b32_e32 v11, 2, v25
	ds_write_b32 v11, v10
.LBB2006_54:
	s_or_b64 exec, exec, s[0:1]
	v_cmp_gt_u32_e32 vcc, 3, v0
	s_waitcnt lgkmcnt(0)
	s_barrier
	s_and_saveexec_b64 s[0:1], vcc
	s_cbranch_execz .LBB2006_56
; %bb.55:
	ds_read_b32 v11, v20
	v_and_b32_e32 v12, 3, v24
	v_cmp_ne_u32_e32 vcc, 0, v12
	s_waitcnt lgkmcnt(0)
	v_mov_b32_dpp v13, v11 row_shr:1 row_mask:0xf bank_mask:0xf
	v_cndmask_b32_e32 v13, 0, v13, vcc
	v_add_u32_e32 v11, v13, v11
	v_cmp_lt_u32_e32 vcc, 1, v12
	s_nop 0
	v_mov_b32_dpp v13, v11 row_shr:2 row_mask:0xf bank_mask:0xf
	v_cndmask_b32_e32 v12, 0, v13, vcc
	v_add_u32_e32 v11, v11, v12
	ds_write_b32 v20, v11
.LBB2006_56:
	s_or_b64 exec, exec, s[0:1]
	v_cmp_lt_u32_e32 vcc, 63, v0
	v_mov_b32_e32 v11, 0
	v_mov_b32_e32 v12, 0
	s_waitcnt lgkmcnt(0)
	s_barrier
	s_and_saveexec_b64 s[0:1], vcc
	s_cbranch_execz .LBB2006_58
; %bb.57:
	v_lshl_add_u32 v12, v25, 2, -4
	ds_read_b32 v12, v12
.LBB2006_58:
	s_or_b64 exec, exec, s[0:1]
	v_add_u32_e32 v13, -1, v24
	v_and_b32_e32 v14, 64, v24
	v_cmp_lt_i32_e32 vcc, v13, v14
	v_cndmask_b32_e32 v13, v13, v24, vcc
	s_waitcnt lgkmcnt(0)
	v_add_u32_e32 v10, v12, v10
	v_lshlrev_b32_e32 v13, 2, v13
	ds_bpermute_b32 v13, v13, v10
	ds_read_b32 v10, v11 offset:8
	v_cmp_eq_u32_e32 vcc, 0, v0
	s_and_saveexec_b64 s[0:1], vcc
	s_cbranch_execz .LBB2006_60
; %bb.59:
	v_mov_b32_e32 v14, 0
	v_mov_b32_e32 v11, 2
	s_waitcnt lgkmcnt(0)
	global_store_dwordx2 v14, v[10:11], s[36:37] offset:512
.LBB2006_60:
	s_or_b64 exec, exec, s[0:1]
	v_cmp_eq_u32_e64 s[0:1], 0, v24
	s_waitcnt lgkmcnt(1)
	v_cndmask_b32_e64 v12, v13, v12, s[0:1]
	v_cndmask_b32_e64 v14, v12, 0, vcc
	v_add_u32_sdwa v15, v14, v22 dst_sel:DWORD dst_unused:UNUSED_PAD src0_sel:DWORD src1_sel:BYTE_0
	v_add_u32_sdwa v13, v15, v22 dst_sel:DWORD dst_unused:UNUSED_PAD src0_sel:DWORD src1_sel:BYTE_1
	v_mov_b32_e32 v11, 0
	v_add_u32_e32 v12, v13, v23
	s_waitcnt lgkmcnt(0)
	s_barrier
.LBB2006_61:
	s_waitcnt lgkmcnt(0)
	v_add_u32_e32 v17, v10, v20
	v_sub_u32_e32 v14, v14, v11
	v_and_b32_e32 v19, 1, v22
	v_sub_u32_e32 v18, v17, v14
	v_cmp_eq_u32_e32 vcc, 1, v19
	v_cndmask_b32_e32 v14, v18, v14, vcc
	v_lshlrev_b32_e32 v14, 3, v14
	v_lshrrev_b32_e32 v16, 8, v22
	ds_write_b64 v14, v[6:7]
	v_sub_u32_e32 v6, v15, v11
	v_sub_u32_e32 v7, v17, v6
	v_and_b32_e32 v14, 1, v16
	v_add_u32_e32 v7, 1, v7
	v_cmp_eq_u32_e32 vcc, 1, v14
	v_cndmask_b32_e32 v6, v7, v6, vcc
	v_lshlrev_b32_e32 v6, 3, v6
	ds_write_b64 v6, v[8:9]
	v_sub_u32_e32 v6, v13, v11
	v_mov_b32_e32 v8, 1
	v_sub_u32_e32 v7, v17, v6
	v_and_b32_sdwa v8, v8, v22 dst_sel:DWORD dst_unused:UNUSED_PAD src0_sel:DWORD src1_sel:WORD_1
	v_add_u32_e32 v7, 2, v7
	v_cmp_eq_u32_e32 vcc, 1, v8
	v_cndmask_b32_e32 v6, v7, v6, vcc
	v_lshlrev_b32_e32 v6, 3, v6
	ds_write_b64 v6, v[2:3]
	v_sub_u32_e32 v2, v12, v11
	v_sub_u32_e32 v3, v17, v2
	v_and_b32_e32 v6, 1, v21
	v_add_u32_e32 v3, 3, v3
	v_cmp_eq_u32_e32 vcc, 1, v6
	v_cndmask_b32_e32 v2, v3, v2, vcc
	s_add_u32 s0, s26, s24
	v_lshlrev_b32_e32 v2, 3, v2
	s_addc_u32 s1, s27, 0
	ds_write_b64 v2, v[4:5]
	s_waitcnt lgkmcnt(0)
	s_barrier
	ds_read2st64_b64 v[6:9], v1 offset1:3
	ds_read2st64_b64 v[2:5], v1 offset0:6 offset1:9
	v_mov_b32_e32 v12, s31
	v_add_co_u32_e32 v1, vcc, s30, v11
	s_sub_u32 s0, s28, s0
	v_addc_co_u32_e32 v11, vcc, 0, v12, vcc
	s_subb_u32 s1, s29, s1
	v_mov_b32_e32 v12, s1
	v_add_co_u32_e32 v13, vcc, s0, v10
	v_addc_co_u32_e32 v12, vcc, 0, v12, vcc
	v_add_co_u32_e64 v15, s[0:1], v13, v1
	v_add_u32_e32 v18, 0xc0, v0
	v_add_u32_e32 v17, 0x180, v0
	;; [unrolled: 1-line block ×3, first 2 shown]
	s_andn2_b64 vcc, exec, s[34:35]
	v_addc_co_u32_e64 v16, s[0:1], v12, v11, s[0:1]
	s_cbranch_vccnz .LBB2006_79
; %bb.62:
	v_cmp_ge_u32_e32 vcc, v0, v10
                                        ; implicit-def: $vgpr12_vgpr13
	s_and_saveexec_b64 s[0:1], vcc
	s_xor_b64 s[0:1], exec, s[0:1]
; %bb.63:
	v_not_b32_e32 v12, v0
	v_ashrrev_i32_e32 v13, 31, v12
	v_add_co_u32_e32 v12, vcc, v15, v12
	v_addc_co_u32_e32 v13, vcc, v16, v13, vcc
; %bb.64:
	s_andn2_saveexec_b64 s[0:1], s[0:1]
; %bb.65:
	v_add_co_u32_e32 v12, vcc, v1, v0
	v_addc_co_u32_e32 v13, vcc, 0, v11, vcc
; %bb.66:
	s_or_b64 exec, exec, s[0:1]
	v_lshlrev_b64 v[12:13], 3, v[12:13]
	v_mov_b32_e32 v19, s5
	v_add_co_u32_e32 v12, vcc, s4, v12
	v_addc_co_u32_e32 v13, vcc, v19, v13, vcc
	v_cmp_ge_u32_e32 vcc, v18, v10
	s_waitcnt lgkmcnt(1)
	global_store_dwordx2 v[12:13], v[6:7], off
                                        ; implicit-def: $vgpr12_vgpr13
	s_and_saveexec_b64 s[0:1], vcc
	s_xor_b64 s[0:1], exec, s[0:1]
; %bb.67:
	v_sub_u32_e32 v12, 0xffffff3f, v0
	v_ashrrev_i32_e32 v13, 31, v12
	v_add_co_u32_e32 v12, vcc, v15, v12
	v_addc_co_u32_e32 v13, vcc, v16, v13, vcc
; %bb.68:
	s_andn2_saveexec_b64 s[0:1], s[0:1]
; %bb.69:
	v_add_co_u32_e32 v12, vcc, v1, v18
	v_addc_co_u32_e32 v13, vcc, 0, v11, vcc
; %bb.70:
	s_or_b64 exec, exec, s[0:1]
	v_lshlrev_b64 v[12:13], 3, v[12:13]
	v_mov_b32_e32 v19, s5
	v_add_co_u32_e32 v12, vcc, s4, v12
	v_addc_co_u32_e32 v13, vcc, v19, v13, vcc
	v_cmp_ge_u32_e32 vcc, v17, v10
	global_store_dwordx2 v[12:13], v[8:9], off
                                        ; implicit-def: $vgpr12_vgpr13
	s_and_saveexec_b64 s[0:1], vcc
	s_xor_b64 s[0:1], exec, s[0:1]
; %bb.71:
	v_sub_u32_e32 v12, 0xfffffe7f, v0
	v_ashrrev_i32_e32 v13, 31, v12
	v_add_co_u32_e32 v12, vcc, v15, v12
	v_addc_co_u32_e32 v13, vcc, v16, v13, vcc
; %bb.72:
	s_andn2_saveexec_b64 s[0:1], s[0:1]
; %bb.73:
	v_add_co_u32_e32 v12, vcc, v1, v17
	v_addc_co_u32_e32 v13, vcc, 0, v11, vcc
; %bb.74:
	s_or_b64 exec, exec, s[0:1]
	v_lshlrev_b64 v[12:13], 3, v[12:13]
	v_mov_b32_e32 v19, s5
	v_add_co_u32_e32 v12, vcc, s4, v12
	v_addc_co_u32_e32 v13, vcc, v19, v13, vcc
	v_cmp_ge_u32_e32 vcc, v14, v10
	s_waitcnt lgkmcnt(0)
	global_store_dwordx2 v[12:13], v[2:3], off
                                        ; implicit-def: $vgpr12_vgpr13
	s_and_saveexec_b64 s[0:1], vcc
	s_xor_b64 s[0:1], exec, s[0:1]
; %bb.75:
	v_sub_u32_e32 v12, 0xfffffdbf, v0
	v_ashrrev_i32_e32 v13, 31, v12
	v_add_co_u32_e32 v12, vcc, v15, v12
	v_addc_co_u32_e32 v13, vcc, v16, v13, vcc
; %bb.76:
	s_andn2_saveexec_b64 s[0:1], s[0:1]
; %bb.77:
	v_add_co_u32_e32 v12, vcc, v1, v14
	v_addc_co_u32_e32 v13, vcc, 0, v11, vcc
; %bb.78:
	s_or_b64 exec, exec, s[0:1]
	s_mov_b64 s[0:1], -1
	s_branch .LBB2006_105
.LBB2006_79:
	s_mov_b64 s[0:1], 0
                                        ; implicit-def: $vgpr12_vgpr13
	s_cbranch_execz .LBB2006_105
; %bb.80:
	v_cmp_gt_u32_e32 vcc, s33, v0
	s_and_saveexec_b64 s[2:3], vcc
	s_cbranch_execz .LBB2006_88
; %bb.81:
	v_cmp_ge_u32_e32 vcc, v0, v10
                                        ; implicit-def: $vgpr12_vgpr13
	s_and_saveexec_b64 s[6:7], vcc
	s_xor_b64 s[6:7], exec, s[6:7]
; %bb.82:
	v_not_b32_e32 v12, v0
	v_ashrrev_i32_e32 v13, 31, v12
	v_add_co_u32_e32 v12, vcc, v15, v12
	v_addc_co_u32_e32 v13, vcc, v16, v13, vcc
; %bb.83:
	s_andn2_saveexec_b64 s[6:7], s[6:7]
; %bb.84:
	v_add_co_u32_e32 v12, vcc, v1, v0
	v_addc_co_u32_e32 v13, vcc, 0, v11, vcc
; %bb.85:
	s_or_b64 exec, exec, s[6:7]
	v_lshlrev_b64 v[12:13], 3, v[12:13]
	v_mov_b32_e32 v19, s5
	v_add_co_u32_e32 v12, vcc, s4, v12
	v_addc_co_u32_e32 v13, vcc, v19, v13, vcc
	s_waitcnt lgkmcnt(1)
	global_store_dwordx2 v[12:13], v[6:7], off
	s_or_b64 exec, exec, s[2:3]
	v_cmp_gt_u32_e32 vcc, s33, v18
	s_and_saveexec_b64 s[2:3], vcc
	s_cbranch_execnz .LBB2006_89
.LBB2006_86:
	s_or_b64 exec, exec, s[2:3]
	v_cmp_gt_u32_e32 vcc, s33, v17
	s_and_saveexec_b64 s[2:3], vcc
	s_cbranch_execnz .LBB2006_94
.LBB2006_87:
	s_or_b64 exec, exec, s[2:3]
	v_cmp_gt_u32_e32 vcc, s33, v14
                                        ; implicit-def: $vgpr12_vgpr13
	s_and_saveexec_b64 s[2:3], vcc
	s_cbranch_execz .LBB2006_104
	s_branch .LBB2006_99
.LBB2006_88:
	s_or_b64 exec, exec, s[2:3]
	v_cmp_gt_u32_e32 vcc, s33, v18
	s_and_saveexec_b64 s[2:3], vcc
	s_cbranch_execz .LBB2006_86
.LBB2006_89:
	v_cmp_ge_u32_e32 vcc, v18, v10
                                        ; implicit-def: $vgpr6_vgpr7
	s_and_saveexec_b64 s[6:7], vcc
	s_xor_b64 s[6:7], exec, s[6:7]
	s_cbranch_execz .LBB2006_91
; %bb.90:
	s_waitcnt lgkmcnt(1)
	v_sub_u32_e32 v6, 0xffffff3f, v0
	v_ashrrev_i32_e32 v7, 31, v6
	v_add_co_u32_e32 v6, vcc, v15, v6
	v_addc_co_u32_e32 v7, vcc, v16, v7, vcc
                                        ; implicit-def: $vgpr18
.LBB2006_91:
	s_andn2_saveexec_b64 s[6:7], s[6:7]
	s_cbranch_execz .LBB2006_93
; %bb.92:
	s_waitcnt lgkmcnt(1)
	v_add_co_u32_e32 v6, vcc, v1, v18
	v_addc_co_u32_e32 v7, vcc, 0, v11, vcc
.LBB2006_93:
	s_or_b64 exec, exec, s[6:7]
	s_waitcnt lgkmcnt(1)
	v_lshlrev_b64 v[6:7], 3, v[6:7]
	v_mov_b32_e32 v12, s5
	v_add_co_u32_e32 v6, vcc, s4, v6
	v_addc_co_u32_e32 v7, vcc, v12, v7, vcc
	global_store_dwordx2 v[6:7], v[8:9], off
	s_or_b64 exec, exec, s[2:3]
	v_cmp_gt_u32_e32 vcc, s33, v17
	s_and_saveexec_b64 s[2:3], vcc
	s_cbranch_execz .LBB2006_87
.LBB2006_94:
	v_cmp_ge_u32_e32 vcc, v17, v10
                                        ; implicit-def: $vgpr6_vgpr7
	s_and_saveexec_b64 s[6:7], vcc
	s_xor_b64 s[6:7], exec, s[6:7]
	s_cbranch_execz .LBB2006_96
; %bb.95:
	s_waitcnt lgkmcnt(1)
	v_sub_u32_e32 v6, 0xfffffe7f, v0
	v_ashrrev_i32_e32 v7, 31, v6
	v_add_co_u32_e32 v6, vcc, v15, v6
	v_addc_co_u32_e32 v7, vcc, v16, v7, vcc
                                        ; implicit-def: $vgpr17
.LBB2006_96:
	s_andn2_saveexec_b64 s[6:7], s[6:7]
	s_cbranch_execz .LBB2006_98
; %bb.97:
	s_waitcnt lgkmcnt(1)
	v_add_co_u32_e32 v6, vcc, v1, v17
	v_addc_co_u32_e32 v7, vcc, 0, v11, vcc
.LBB2006_98:
	s_or_b64 exec, exec, s[6:7]
	s_waitcnt lgkmcnt(1)
	v_lshlrev_b64 v[6:7], 3, v[6:7]
	v_mov_b32_e32 v8, s5
	v_add_co_u32_e32 v6, vcc, s4, v6
	v_addc_co_u32_e32 v7, vcc, v8, v7, vcc
	s_waitcnt lgkmcnt(0)
	global_store_dwordx2 v[6:7], v[2:3], off
	s_or_b64 exec, exec, s[2:3]
	v_cmp_gt_u32_e32 vcc, s33, v14
                                        ; implicit-def: $vgpr12_vgpr13
	s_and_saveexec_b64 s[2:3], vcc
	s_cbranch_execz .LBB2006_104
.LBB2006_99:
	v_cmp_ge_u32_e32 vcc, v14, v10
                                        ; implicit-def: $vgpr12_vgpr13
	s_and_saveexec_b64 s[6:7], vcc
	s_xor_b64 s[6:7], exec, s[6:7]
	s_cbranch_execz .LBB2006_101
; %bb.100:
	s_waitcnt lgkmcnt(0)
	v_sub_u32_e32 v2, 0xfffffdbf, v0
	v_ashrrev_i32_e32 v3, 31, v2
	v_add_co_u32_e32 v12, vcc, v15, v2
	v_addc_co_u32_e32 v13, vcc, v16, v3, vcc
                                        ; implicit-def: $vgpr14
.LBB2006_101:
	s_andn2_saveexec_b64 s[6:7], s[6:7]
; %bb.102:
	v_add_co_u32_e32 v12, vcc, v1, v14
	v_addc_co_u32_e32 v13, vcc, 0, v11, vcc
; %bb.103:
	s_or_b64 exec, exec, s[6:7]
	s_or_b64 s[0:1], s[0:1], exec
.LBB2006_104:
	s_or_b64 exec, exec, s[2:3]
.LBB2006_105:
	s_and_saveexec_b64 s[2:3], s[0:1]
	s_cbranch_execz .LBB2006_107
; %bb.106:
	s_waitcnt lgkmcnt(0)
	v_lshlrev_b64 v[2:3], 3, v[12:13]
	v_mov_b32_e32 v6, s5
	v_add_co_u32_e32 v2, vcc, s4, v2
	v_addc_co_u32_e32 v3, vcc, v6, v3, vcc
	global_store_dwordx2 v[2:3], v[4:5], off
.LBB2006_107:
	s_or_b64 exec, exec, s[2:3]
	v_cmp_eq_u32_e32 vcc, 0, v0
	s_and_b64 s[0:1], vcc, s[22:23]
	s_and_saveexec_b64 s[2:3], s[0:1]
	s_cbranch_execz .LBB2006_109
; %bb.108:
	v_add_co_u32_e32 v0, vcc, v1, v10
	s_waitcnt lgkmcnt(0)
	v_mov_b32_e32 v2, 0
	v_addc_co_u32_e32 v1, vcc, 0, v11, vcc
	global_store_dwordx2 v2, v[0:1], s[20:21]
.LBB2006_109:
	s_endpgm
	.section	.rodata,"a",@progbits
	.p2align	6, 0x0
	.amdhsa_kernel _ZN7rocprim17ROCPRIM_400000_NS6detail17trampoline_kernelINS0_14default_configENS1_25partition_config_selectorILNS1_17partition_subalgoE2EyNS0_10empty_typeEbEEZZNS1_14partition_implILS5_2ELb0ES3_jN6thrust23THRUST_200600_302600_NS6detail15normal_iteratorINSA_7pointerIyNSA_11hip_rocprim3tagENSA_11use_defaultESG_EEEEPS6_NSA_18transform_iteratorI7is_evenIyENSC_INSA_10device_ptrIyEEEESG_SG_EENS0_5tupleIJPySJ_EEENSR_IJSJ_SJ_EEES6_PlJS6_EEE10hipError_tPvRmT3_T4_T5_T6_T7_T9_mT8_P12ihipStream_tbDpT10_ENKUlT_T0_E_clISt17integral_constantIbLb0EES1F_EEDaS1A_S1B_EUlS1A_E_NS1_11comp_targetILNS1_3genE4ELNS1_11target_archE910ELNS1_3gpuE8ELNS1_3repE0EEENS1_30default_config_static_selectorELNS0_4arch9wavefront6targetE1EEEvT1_
		.amdhsa_group_segment_fixed_size 6344
		.amdhsa_private_segment_fixed_size 0
		.amdhsa_kernarg_size 128
		.amdhsa_user_sgpr_count 6
		.amdhsa_user_sgpr_private_segment_buffer 1
		.amdhsa_user_sgpr_dispatch_ptr 0
		.amdhsa_user_sgpr_queue_ptr 0
		.amdhsa_user_sgpr_kernarg_segment_ptr 1
		.amdhsa_user_sgpr_dispatch_id 0
		.amdhsa_user_sgpr_flat_scratch_init 0
		.amdhsa_user_sgpr_kernarg_preload_length 0
		.amdhsa_user_sgpr_kernarg_preload_offset 0
		.amdhsa_user_sgpr_private_segment_size 0
		.amdhsa_uses_dynamic_stack 0
		.amdhsa_system_sgpr_private_segment_wavefront_offset 0
		.amdhsa_system_sgpr_workgroup_id_x 1
		.amdhsa_system_sgpr_workgroup_id_y 0
		.amdhsa_system_sgpr_workgroup_id_z 0
		.amdhsa_system_sgpr_workgroup_info 0
		.amdhsa_system_vgpr_workitem_id 0
		.amdhsa_next_free_vgpr 43
		.amdhsa_next_free_sgpr 46
		.amdhsa_accum_offset 44
		.amdhsa_reserve_vcc 1
		.amdhsa_reserve_flat_scratch 0
		.amdhsa_float_round_mode_32 0
		.amdhsa_float_round_mode_16_64 0
		.amdhsa_float_denorm_mode_32 3
		.amdhsa_float_denorm_mode_16_64 3
		.amdhsa_dx10_clamp 1
		.amdhsa_ieee_mode 1
		.amdhsa_fp16_overflow 0
		.amdhsa_tg_split 0
		.amdhsa_exception_fp_ieee_invalid_op 0
		.amdhsa_exception_fp_denorm_src 0
		.amdhsa_exception_fp_ieee_div_zero 0
		.amdhsa_exception_fp_ieee_overflow 0
		.amdhsa_exception_fp_ieee_underflow 0
		.amdhsa_exception_fp_ieee_inexact 0
		.amdhsa_exception_int_div_zero 0
	.end_amdhsa_kernel
	.section	.text._ZN7rocprim17ROCPRIM_400000_NS6detail17trampoline_kernelINS0_14default_configENS1_25partition_config_selectorILNS1_17partition_subalgoE2EyNS0_10empty_typeEbEEZZNS1_14partition_implILS5_2ELb0ES3_jN6thrust23THRUST_200600_302600_NS6detail15normal_iteratorINSA_7pointerIyNSA_11hip_rocprim3tagENSA_11use_defaultESG_EEEEPS6_NSA_18transform_iteratorI7is_evenIyENSC_INSA_10device_ptrIyEEEESG_SG_EENS0_5tupleIJPySJ_EEENSR_IJSJ_SJ_EEES6_PlJS6_EEE10hipError_tPvRmT3_T4_T5_T6_T7_T9_mT8_P12ihipStream_tbDpT10_ENKUlT_T0_E_clISt17integral_constantIbLb0EES1F_EEDaS1A_S1B_EUlS1A_E_NS1_11comp_targetILNS1_3genE4ELNS1_11target_archE910ELNS1_3gpuE8ELNS1_3repE0EEENS1_30default_config_static_selectorELNS0_4arch9wavefront6targetE1EEEvT1_,"axG",@progbits,_ZN7rocprim17ROCPRIM_400000_NS6detail17trampoline_kernelINS0_14default_configENS1_25partition_config_selectorILNS1_17partition_subalgoE2EyNS0_10empty_typeEbEEZZNS1_14partition_implILS5_2ELb0ES3_jN6thrust23THRUST_200600_302600_NS6detail15normal_iteratorINSA_7pointerIyNSA_11hip_rocprim3tagENSA_11use_defaultESG_EEEEPS6_NSA_18transform_iteratorI7is_evenIyENSC_INSA_10device_ptrIyEEEESG_SG_EENS0_5tupleIJPySJ_EEENSR_IJSJ_SJ_EEES6_PlJS6_EEE10hipError_tPvRmT3_T4_T5_T6_T7_T9_mT8_P12ihipStream_tbDpT10_ENKUlT_T0_E_clISt17integral_constantIbLb0EES1F_EEDaS1A_S1B_EUlS1A_E_NS1_11comp_targetILNS1_3genE4ELNS1_11target_archE910ELNS1_3gpuE8ELNS1_3repE0EEENS1_30default_config_static_selectorELNS0_4arch9wavefront6targetE1EEEvT1_,comdat
.Lfunc_end2006:
	.size	_ZN7rocprim17ROCPRIM_400000_NS6detail17trampoline_kernelINS0_14default_configENS1_25partition_config_selectorILNS1_17partition_subalgoE2EyNS0_10empty_typeEbEEZZNS1_14partition_implILS5_2ELb0ES3_jN6thrust23THRUST_200600_302600_NS6detail15normal_iteratorINSA_7pointerIyNSA_11hip_rocprim3tagENSA_11use_defaultESG_EEEEPS6_NSA_18transform_iteratorI7is_evenIyENSC_INSA_10device_ptrIyEEEESG_SG_EENS0_5tupleIJPySJ_EEENSR_IJSJ_SJ_EEES6_PlJS6_EEE10hipError_tPvRmT3_T4_T5_T6_T7_T9_mT8_P12ihipStream_tbDpT10_ENKUlT_T0_E_clISt17integral_constantIbLb0EES1F_EEDaS1A_S1B_EUlS1A_E_NS1_11comp_targetILNS1_3genE4ELNS1_11target_archE910ELNS1_3gpuE8ELNS1_3repE0EEENS1_30default_config_static_selectorELNS0_4arch9wavefront6targetE1EEEvT1_, .Lfunc_end2006-_ZN7rocprim17ROCPRIM_400000_NS6detail17trampoline_kernelINS0_14default_configENS1_25partition_config_selectorILNS1_17partition_subalgoE2EyNS0_10empty_typeEbEEZZNS1_14partition_implILS5_2ELb0ES3_jN6thrust23THRUST_200600_302600_NS6detail15normal_iteratorINSA_7pointerIyNSA_11hip_rocprim3tagENSA_11use_defaultESG_EEEEPS6_NSA_18transform_iteratorI7is_evenIyENSC_INSA_10device_ptrIyEEEESG_SG_EENS0_5tupleIJPySJ_EEENSR_IJSJ_SJ_EEES6_PlJS6_EEE10hipError_tPvRmT3_T4_T5_T6_T7_T9_mT8_P12ihipStream_tbDpT10_ENKUlT_T0_E_clISt17integral_constantIbLb0EES1F_EEDaS1A_S1B_EUlS1A_E_NS1_11comp_targetILNS1_3genE4ELNS1_11target_archE910ELNS1_3gpuE8ELNS1_3repE0EEENS1_30default_config_static_selectorELNS0_4arch9wavefront6targetE1EEEvT1_
                                        ; -- End function
	.section	.AMDGPU.csdata,"",@progbits
; Kernel info:
; codeLenInByte = 4344
; NumSgprs: 50
; NumVgprs: 43
; NumAgprs: 0
; TotalNumVgprs: 43
; ScratchSize: 0
; MemoryBound: 0
; FloatMode: 240
; IeeeMode: 1
; LDSByteSize: 6344 bytes/workgroup (compile time only)
; SGPRBlocks: 6
; VGPRBlocks: 5
; NumSGPRsForWavesPerEU: 50
; NumVGPRsForWavesPerEU: 43
; AccumOffset: 44
; Occupancy: 8
; WaveLimiterHint : 1
; COMPUTE_PGM_RSRC2:SCRATCH_EN: 0
; COMPUTE_PGM_RSRC2:USER_SGPR: 6
; COMPUTE_PGM_RSRC2:TRAP_HANDLER: 0
; COMPUTE_PGM_RSRC2:TGID_X_EN: 1
; COMPUTE_PGM_RSRC2:TGID_Y_EN: 0
; COMPUTE_PGM_RSRC2:TGID_Z_EN: 0
; COMPUTE_PGM_RSRC2:TIDIG_COMP_CNT: 0
; COMPUTE_PGM_RSRC3_GFX90A:ACCUM_OFFSET: 10
; COMPUTE_PGM_RSRC3_GFX90A:TG_SPLIT: 0
	.section	.text._ZN7rocprim17ROCPRIM_400000_NS6detail17trampoline_kernelINS0_14default_configENS1_25partition_config_selectorILNS1_17partition_subalgoE2EyNS0_10empty_typeEbEEZZNS1_14partition_implILS5_2ELb0ES3_jN6thrust23THRUST_200600_302600_NS6detail15normal_iteratorINSA_7pointerIyNSA_11hip_rocprim3tagENSA_11use_defaultESG_EEEEPS6_NSA_18transform_iteratorI7is_evenIyENSC_INSA_10device_ptrIyEEEESG_SG_EENS0_5tupleIJPySJ_EEENSR_IJSJ_SJ_EEES6_PlJS6_EEE10hipError_tPvRmT3_T4_T5_T6_T7_T9_mT8_P12ihipStream_tbDpT10_ENKUlT_T0_E_clISt17integral_constantIbLb0EES1F_EEDaS1A_S1B_EUlS1A_E_NS1_11comp_targetILNS1_3genE3ELNS1_11target_archE908ELNS1_3gpuE7ELNS1_3repE0EEENS1_30default_config_static_selectorELNS0_4arch9wavefront6targetE1EEEvT1_,"axG",@progbits,_ZN7rocprim17ROCPRIM_400000_NS6detail17trampoline_kernelINS0_14default_configENS1_25partition_config_selectorILNS1_17partition_subalgoE2EyNS0_10empty_typeEbEEZZNS1_14partition_implILS5_2ELb0ES3_jN6thrust23THRUST_200600_302600_NS6detail15normal_iteratorINSA_7pointerIyNSA_11hip_rocprim3tagENSA_11use_defaultESG_EEEEPS6_NSA_18transform_iteratorI7is_evenIyENSC_INSA_10device_ptrIyEEEESG_SG_EENS0_5tupleIJPySJ_EEENSR_IJSJ_SJ_EEES6_PlJS6_EEE10hipError_tPvRmT3_T4_T5_T6_T7_T9_mT8_P12ihipStream_tbDpT10_ENKUlT_T0_E_clISt17integral_constantIbLb0EES1F_EEDaS1A_S1B_EUlS1A_E_NS1_11comp_targetILNS1_3genE3ELNS1_11target_archE908ELNS1_3gpuE7ELNS1_3repE0EEENS1_30default_config_static_selectorELNS0_4arch9wavefront6targetE1EEEvT1_,comdat
	.protected	_ZN7rocprim17ROCPRIM_400000_NS6detail17trampoline_kernelINS0_14default_configENS1_25partition_config_selectorILNS1_17partition_subalgoE2EyNS0_10empty_typeEbEEZZNS1_14partition_implILS5_2ELb0ES3_jN6thrust23THRUST_200600_302600_NS6detail15normal_iteratorINSA_7pointerIyNSA_11hip_rocprim3tagENSA_11use_defaultESG_EEEEPS6_NSA_18transform_iteratorI7is_evenIyENSC_INSA_10device_ptrIyEEEESG_SG_EENS0_5tupleIJPySJ_EEENSR_IJSJ_SJ_EEES6_PlJS6_EEE10hipError_tPvRmT3_T4_T5_T6_T7_T9_mT8_P12ihipStream_tbDpT10_ENKUlT_T0_E_clISt17integral_constantIbLb0EES1F_EEDaS1A_S1B_EUlS1A_E_NS1_11comp_targetILNS1_3genE3ELNS1_11target_archE908ELNS1_3gpuE7ELNS1_3repE0EEENS1_30default_config_static_selectorELNS0_4arch9wavefront6targetE1EEEvT1_ ; -- Begin function _ZN7rocprim17ROCPRIM_400000_NS6detail17trampoline_kernelINS0_14default_configENS1_25partition_config_selectorILNS1_17partition_subalgoE2EyNS0_10empty_typeEbEEZZNS1_14partition_implILS5_2ELb0ES3_jN6thrust23THRUST_200600_302600_NS6detail15normal_iteratorINSA_7pointerIyNSA_11hip_rocprim3tagENSA_11use_defaultESG_EEEEPS6_NSA_18transform_iteratorI7is_evenIyENSC_INSA_10device_ptrIyEEEESG_SG_EENS0_5tupleIJPySJ_EEENSR_IJSJ_SJ_EEES6_PlJS6_EEE10hipError_tPvRmT3_T4_T5_T6_T7_T9_mT8_P12ihipStream_tbDpT10_ENKUlT_T0_E_clISt17integral_constantIbLb0EES1F_EEDaS1A_S1B_EUlS1A_E_NS1_11comp_targetILNS1_3genE3ELNS1_11target_archE908ELNS1_3gpuE7ELNS1_3repE0EEENS1_30default_config_static_selectorELNS0_4arch9wavefront6targetE1EEEvT1_
	.globl	_ZN7rocprim17ROCPRIM_400000_NS6detail17trampoline_kernelINS0_14default_configENS1_25partition_config_selectorILNS1_17partition_subalgoE2EyNS0_10empty_typeEbEEZZNS1_14partition_implILS5_2ELb0ES3_jN6thrust23THRUST_200600_302600_NS6detail15normal_iteratorINSA_7pointerIyNSA_11hip_rocprim3tagENSA_11use_defaultESG_EEEEPS6_NSA_18transform_iteratorI7is_evenIyENSC_INSA_10device_ptrIyEEEESG_SG_EENS0_5tupleIJPySJ_EEENSR_IJSJ_SJ_EEES6_PlJS6_EEE10hipError_tPvRmT3_T4_T5_T6_T7_T9_mT8_P12ihipStream_tbDpT10_ENKUlT_T0_E_clISt17integral_constantIbLb0EES1F_EEDaS1A_S1B_EUlS1A_E_NS1_11comp_targetILNS1_3genE3ELNS1_11target_archE908ELNS1_3gpuE7ELNS1_3repE0EEENS1_30default_config_static_selectorELNS0_4arch9wavefront6targetE1EEEvT1_
	.p2align	8
	.type	_ZN7rocprim17ROCPRIM_400000_NS6detail17trampoline_kernelINS0_14default_configENS1_25partition_config_selectorILNS1_17partition_subalgoE2EyNS0_10empty_typeEbEEZZNS1_14partition_implILS5_2ELb0ES3_jN6thrust23THRUST_200600_302600_NS6detail15normal_iteratorINSA_7pointerIyNSA_11hip_rocprim3tagENSA_11use_defaultESG_EEEEPS6_NSA_18transform_iteratorI7is_evenIyENSC_INSA_10device_ptrIyEEEESG_SG_EENS0_5tupleIJPySJ_EEENSR_IJSJ_SJ_EEES6_PlJS6_EEE10hipError_tPvRmT3_T4_T5_T6_T7_T9_mT8_P12ihipStream_tbDpT10_ENKUlT_T0_E_clISt17integral_constantIbLb0EES1F_EEDaS1A_S1B_EUlS1A_E_NS1_11comp_targetILNS1_3genE3ELNS1_11target_archE908ELNS1_3gpuE7ELNS1_3repE0EEENS1_30default_config_static_selectorELNS0_4arch9wavefront6targetE1EEEvT1_,@function
_ZN7rocprim17ROCPRIM_400000_NS6detail17trampoline_kernelINS0_14default_configENS1_25partition_config_selectorILNS1_17partition_subalgoE2EyNS0_10empty_typeEbEEZZNS1_14partition_implILS5_2ELb0ES3_jN6thrust23THRUST_200600_302600_NS6detail15normal_iteratorINSA_7pointerIyNSA_11hip_rocprim3tagENSA_11use_defaultESG_EEEEPS6_NSA_18transform_iteratorI7is_evenIyENSC_INSA_10device_ptrIyEEEESG_SG_EENS0_5tupleIJPySJ_EEENSR_IJSJ_SJ_EEES6_PlJS6_EEE10hipError_tPvRmT3_T4_T5_T6_T7_T9_mT8_P12ihipStream_tbDpT10_ENKUlT_T0_E_clISt17integral_constantIbLb0EES1F_EEDaS1A_S1B_EUlS1A_E_NS1_11comp_targetILNS1_3genE3ELNS1_11target_archE908ELNS1_3gpuE7ELNS1_3repE0EEENS1_30default_config_static_selectorELNS0_4arch9wavefront6targetE1EEEvT1_: ; @_ZN7rocprim17ROCPRIM_400000_NS6detail17trampoline_kernelINS0_14default_configENS1_25partition_config_selectorILNS1_17partition_subalgoE2EyNS0_10empty_typeEbEEZZNS1_14partition_implILS5_2ELb0ES3_jN6thrust23THRUST_200600_302600_NS6detail15normal_iteratorINSA_7pointerIyNSA_11hip_rocprim3tagENSA_11use_defaultESG_EEEEPS6_NSA_18transform_iteratorI7is_evenIyENSC_INSA_10device_ptrIyEEEESG_SG_EENS0_5tupleIJPySJ_EEENSR_IJSJ_SJ_EEES6_PlJS6_EEE10hipError_tPvRmT3_T4_T5_T6_T7_T9_mT8_P12ihipStream_tbDpT10_ENKUlT_T0_E_clISt17integral_constantIbLb0EES1F_EEDaS1A_S1B_EUlS1A_E_NS1_11comp_targetILNS1_3genE3ELNS1_11target_archE908ELNS1_3gpuE7ELNS1_3repE0EEENS1_30default_config_static_selectorELNS0_4arch9wavefront6targetE1EEEvT1_
; %bb.0:
	.section	.rodata,"a",@progbits
	.p2align	6, 0x0
	.amdhsa_kernel _ZN7rocprim17ROCPRIM_400000_NS6detail17trampoline_kernelINS0_14default_configENS1_25partition_config_selectorILNS1_17partition_subalgoE2EyNS0_10empty_typeEbEEZZNS1_14partition_implILS5_2ELb0ES3_jN6thrust23THRUST_200600_302600_NS6detail15normal_iteratorINSA_7pointerIyNSA_11hip_rocprim3tagENSA_11use_defaultESG_EEEEPS6_NSA_18transform_iteratorI7is_evenIyENSC_INSA_10device_ptrIyEEEESG_SG_EENS0_5tupleIJPySJ_EEENSR_IJSJ_SJ_EEES6_PlJS6_EEE10hipError_tPvRmT3_T4_T5_T6_T7_T9_mT8_P12ihipStream_tbDpT10_ENKUlT_T0_E_clISt17integral_constantIbLb0EES1F_EEDaS1A_S1B_EUlS1A_E_NS1_11comp_targetILNS1_3genE3ELNS1_11target_archE908ELNS1_3gpuE7ELNS1_3repE0EEENS1_30default_config_static_selectorELNS0_4arch9wavefront6targetE1EEEvT1_
		.amdhsa_group_segment_fixed_size 0
		.amdhsa_private_segment_fixed_size 0
		.amdhsa_kernarg_size 128
		.amdhsa_user_sgpr_count 6
		.amdhsa_user_sgpr_private_segment_buffer 1
		.amdhsa_user_sgpr_dispatch_ptr 0
		.amdhsa_user_sgpr_queue_ptr 0
		.amdhsa_user_sgpr_kernarg_segment_ptr 1
		.amdhsa_user_sgpr_dispatch_id 0
		.amdhsa_user_sgpr_flat_scratch_init 0
		.amdhsa_user_sgpr_kernarg_preload_length 0
		.amdhsa_user_sgpr_kernarg_preload_offset 0
		.amdhsa_user_sgpr_private_segment_size 0
		.amdhsa_uses_dynamic_stack 0
		.amdhsa_system_sgpr_private_segment_wavefront_offset 0
		.amdhsa_system_sgpr_workgroup_id_x 1
		.amdhsa_system_sgpr_workgroup_id_y 0
		.amdhsa_system_sgpr_workgroup_id_z 0
		.amdhsa_system_sgpr_workgroup_info 0
		.amdhsa_system_vgpr_workitem_id 0
		.amdhsa_next_free_vgpr 1
		.amdhsa_next_free_sgpr 0
		.amdhsa_accum_offset 4
		.amdhsa_reserve_vcc 0
		.amdhsa_reserve_flat_scratch 0
		.amdhsa_float_round_mode_32 0
		.amdhsa_float_round_mode_16_64 0
		.amdhsa_float_denorm_mode_32 3
		.amdhsa_float_denorm_mode_16_64 3
		.amdhsa_dx10_clamp 1
		.amdhsa_ieee_mode 1
		.amdhsa_fp16_overflow 0
		.amdhsa_tg_split 0
		.amdhsa_exception_fp_ieee_invalid_op 0
		.amdhsa_exception_fp_denorm_src 0
		.amdhsa_exception_fp_ieee_div_zero 0
		.amdhsa_exception_fp_ieee_overflow 0
		.amdhsa_exception_fp_ieee_underflow 0
		.amdhsa_exception_fp_ieee_inexact 0
		.amdhsa_exception_int_div_zero 0
	.end_amdhsa_kernel
	.section	.text._ZN7rocprim17ROCPRIM_400000_NS6detail17trampoline_kernelINS0_14default_configENS1_25partition_config_selectorILNS1_17partition_subalgoE2EyNS0_10empty_typeEbEEZZNS1_14partition_implILS5_2ELb0ES3_jN6thrust23THRUST_200600_302600_NS6detail15normal_iteratorINSA_7pointerIyNSA_11hip_rocprim3tagENSA_11use_defaultESG_EEEEPS6_NSA_18transform_iteratorI7is_evenIyENSC_INSA_10device_ptrIyEEEESG_SG_EENS0_5tupleIJPySJ_EEENSR_IJSJ_SJ_EEES6_PlJS6_EEE10hipError_tPvRmT3_T4_T5_T6_T7_T9_mT8_P12ihipStream_tbDpT10_ENKUlT_T0_E_clISt17integral_constantIbLb0EES1F_EEDaS1A_S1B_EUlS1A_E_NS1_11comp_targetILNS1_3genE3ELNS1_11target_archE908ELNS1_3gpuE7ELNS1_3repE0EEENS1_30default_config_static_selectorELNS0_4arch9wavefront6targetE1EEEvT1_,"axG",@progbits,_ZN7rocprim17ROCPRIM_400000_NS6detail17trampoline_kernelINS0_14default_configENS1_25partition_config_selectorILNS1_17partition_subalgoE2EyNS0_10empty_typeEbEEZZNS1_14partition_implILS5_2ELb0ES3_jN6thrust23THRUST_200600_302600_NS6detail15normal_iteratorINSA_7pointerIyNSA_11hip_rocprim3tagENSA_11use_defaultESG_EEEEPS6_NSA_18transform_iteratorI7is_evenIyENSC_INSA_10device_ptrIyEEEESG_SG_EENS0_5tupleIJPySJ_EEENSR_IJSJ_SJ_EEES6_PlJS6_EEE10hipError_tPvRmT3_T4_T5_T6_T7_T9_mT8_P12ihipStream_tbDpT10_ENKUlT_T0_E_clISt17integral_constantIbLb0EES1F_EEDaS1A_S1B_EUlS1A_E_NS1_11comp_targetILNS1_3genE3ELNS1_11target_archE908ELNS1_3gpuE7ELNS1_3repE0EEENS1_30default_config_static_selectorELNS0_4arch9wavefront6targetE1EEEvT1_,comdat
.Lfunc_end2007:
	.size	_ZN7rocprim17ROCPRIM_400000_NS6detail17trampoline_kernelINS0_14default_configENS1_25partition_config_selectorILNS1_17partition_subalgoE2EyNS0_10empty_typeEbEEZZNS1_14partition_implILS5_2ELb0ES3_jN6thrust23THRUST_200600_302600_NS6detail15normal_iteratorINSA_7pointerIyNSA_11hip_rocprim3tagENSA_11use_defaultESG_EEEEPS6_NSA_18transform_iteratorI7is_evenIyENSC_INSA_10device_ptrIyEEEESG_SG_EENS0_5tupleIJPySJ_EEENSR_IJSJ_SJ_EEES6_PlJS6_EEE10hipError_tPvRmT3_T4_T5_T6_T7_T9_mT8_P12ihipStream_tbDpT10_ENKUlT_T0_E_clISt17integral_constantIbLb0EES1F_EEDaS1A_S1B_EUlS1A_E_NS1_11comp_targetILNS1_3genE3ELNS1_11target_archE908ELNS1_3gpuE7ELNS1_3repE0EEENS1_30default_config_static_selectorELNS0_4arch9wavefront6targetE1EEEvT1_, .Lfunc_end2007-_ZN7rocprim17ROCPRIM_400000_NS6detail17trampoline_kernelINS0_14default_configENS1_25partition_config_selectorILNS1_17partition_subalgoE2EyNS0_10empty_typeEbEEZZNS1_14partition_implILS5_2ELb0ES3_jN6thrust23THRUST_200600_302600_NS6detail15normal_iteratorINSA_7pointerIyNSA_11hip_rocprim3tagENSA_11use_defaultESG_EEEEPS6_NSA_18transform_iteratorI7is_evenIyENSC_INSA_10device_ptrIyEEEESG_SG_EENS0_5tupleIJPySJ_EEENSR_IJSJ_SJ_EEES6_PlJS6_EEE10hipError_tPvRmT3_T4_T5_T6_T7_T9_mT8_P12ihipStream_tbDpT10_ENKUlT_T0_E_clISt17integral_constantIbLb0EES1F_EEDaS1A_S1B_EUlS1A_E_NS1_11comp_targetILNS1_3genE3ELNS1_11target_archE908ELNS1_3gpuE7ELNS1_3repE0EEENS1_30default_config_static_selectorELNS0_4arch9wavefront6targetE1EEEvT1_
                                        ; -- End function
	.section	.AMDGPU.csdata,"",@progbits
; Kernel info:
; codeLenInByte = 0
; NumSgprs: 4
; NumVgprs: 0
; NumAgprs: 0
; TotalNumVgprs: 0
; ScratchSize: 0
; MemoryBound: 0
; FloatMode: 240
; IeeeMode: 1
; LDSByteSize: 0 bytes/workgroup (compile time only)
; SGPRBlocks: 0
; VGPRBlocks: 0
; NumSGPRsForWavesPerEU: 4
; NumVGPRsForWavesPerEU: 1
; AccumOffset: 4
; Occupancy: 8
; WaveLimiterHint : 0
; COMPUTE_PGM_RSRC2:SCRATCH_EN: 0
; COMPUTE_PGM_RSRC2:USER_SGPR: 6
; COMPUTE_PGM_RSRC2:TRAP_HANDLER: 0
; COMPUTE_PGM_RSRC2:TGID_X_EN: 1
; COMPUTE_PGM_RSRC2:TGID_Y_EN: 0
; COMPUTE_PGM_RSRC2:TGID_Z_EN: 0
; COMPUTE_PGM_RSRC2:TIDIG_COMP_CNT: 0
; COMPUTE_PGM_RSRC3_GFX90A:ACCUM_OFFSET: 0
; COMPUTE_PGM_RSRC3_GFX90A:TG_SPLIT: 0
	.section	.text._ZN7rocprim17ROCPRIM_400000_NS6detail17trampoline_kernelINS0_14default_configENS1_25partition_config_selectorILNS1_17partition_subalgoE2EyNS0_10empty_typeEbEEZZNS1_14partition_implILS5_2ELb0ES3_jN6thrust23THRUST_200600_302600_NS6detail15normal_iteratorINSA_7pointerIyNSA_11hip_rocprim3tagENSA_11use_defaultESG_EEEEPS6_NSA_18transform_iteratorI7is_evenIyENSC_INSA_10device_ptrIyEEEESG_SG_EENS0_5tupleIJPySJ_EEENSR_IJSJ_SJ_EEES6_PlJS6_EEE10hipError_tPvRmT3_T4_T5_T6_T7_T9_mT8_P12ihipStream_tbDpT10_ENKUlT_T0_E_clISt17integral_constantIbLb0EES1F_EEDaS1A_S1B_EUlS1A_E_NS1_11comp_targetILNS1_3genE2ELNS1_11target_archE906ELNS1_3gpuE6ELNS1_3repE0EEENS1_30default_config_static_selectorELNS0_4arch9wavefront6targetE1EEEvT1_,"axG",@progbits,_ZN7rocprim17ROCPRIM_400000_NS6detail17trampoline_kernelINS0_14default_configENS1_25partition_config_selectorILNS1_17partition_subalgoE2EyNS0_10empty_typeEbEEZZNS1_14partition_implILS5_2ELb0ES3_jN6thrust23THRUST_200600_302600_NS6detail15normal_iteratorINSA_7pointerIyNSA_11hip_rocprim3tagENSA_11use_defaultESG_EEEEPS6_NSA_18transform_iteratorI7is_evenIyENSC_INSA_10device_ptrIyEEEESG_SG_EENS0_5tupleIJPySJ_EEENSR_IJSJ_SJ_EEES6_PlJS6_EEE10hipError_tPvRmT3_T4_T5_T6_T7_T9_mT8_P12ihipStream_tbDpT10_ENKUlT_T0_E_clISt17integral_constantIbLb0EES1F_EEDaS1A_S1B_EUlS1A_E_NS1_11comp_targetILNS1_3genE2ELNS1_11target_archE906ELNS1_3gpuE6ELNS1_3repE0EEENS1_30default_config_static_selectorELNS0_4arch9wavefront6targetE1EEEvT1_,comdat
	.protected	_ZN7rocprim17ROCPRIM_400000_NS6detail17trampoline_kernelINS0_14default_configENS1_25partition_config_selectorILNS1_17partition_subalgoE2EyNS0_10empty_typeEbEEZZNS1_14partition_implILS5_2ELb0ES3_jN6thrust23THRUST_200600_302600_NS6detail15normal_iteratorINSA_7pointerIyNSA_11hip_rocprim3tagENSA_11use_defaultESG_EEEEPS6_NSA_18transform_iteratorI7is_evenIyENSC_INSA_10device_ptrIyEEEESG_SG_EENS0_5tupleIJPySJ_EEENSR_IJSJ_SJ_EEES6_PlJS6_EEE10hipError_tPvRmT3_T4_T5_T6_T7_T9_mT8_P12ihipStream_tbDpT10_ENKUlT_T0_E_clISt17integral_constantIbLb0EES1F_EEDaS1A_S1B_EUlS1A_E_NS1_11comp_targetILNS1_3genE2ELNS1_11target_archE906ELNS1_3gpuE6ELNS1_3repE0EEENS1_30default_config_static_selectorELNS0_4arch9wavefront6targetE1EEEvT1_ ; -- Begin function _ZN7rocprim17ROCPRIM_400000_NS6detail17trampoline_kernelINS0_14default_configENS1_25partition_config_selectorILNS1_17partition_subalgoE2EyNS0_10empty_typeEbEEZZNS1_14partition_implILS5_2ELb0ES3_jN6thrust23THRUST_200600_302600_NS6detail15normal_iteratorINSA_7pointerIyNSA_11hip_rocprim3tagENSA_11use_defaultESG_EEEEPS6_NSA_18transform_iteratorI7is_evenIyENSC_INSA_10device_ptrIyEEEESG_SG_EENS0_5tupleIJPySJ_EEENSR_IJSJ_SJ_EEES6_PlJS6_EEE10hipError_tPvRmT3_T4_T5_T6_T7_T9_mT8_P12ihipStream_tbDpT10_ENKUlT_T0_E_clISt17integral_constantIbLb0EES1F_EEDaS1A_S1B_EUlS1A_E_NS1_11comp_targetILNS1_3genE2ELNS1_11target_archE906ELNS1_3gpuE6ELNS1_3repE0EEENS1_30default_config_static_selectorELNS0_4arch9wavefront6targetE1EEEvT1_
	.globl	_ZN7rocprim17ROCPRIM_400000_NS6detail17trampoline_kernelINS0_14default_configENS1_25partition_config_selectorILNS1_17partition_subalgoE2EyNS0_10empty_typeEbEEZZNS1_14partition_implILS5_2ELb0ES3_jN6thrust23THRUST_200600_302600_NS6detail15normal_iteratorINSA_7pointerIyNSA_11hip_rocprim3tagENSA_11use_defaultESG_EEEEPS6_NSA_18transform_iteratorI7is_evenIyENSC_INSA_10device_ptrIyEEEESG_SG_EENS0_5tupleIJPySJ_EEENSR_IJSJ_SJ_EEES6_PlJS6_EEE10hipError_tPvRmT3_T4_T5_T6_T7_T9_mT8_P12ihipStream_tbDpT10_ENKUlT_T0_E_clISt17integral_constantIbLb0EES1F_EEDaS1A_S1B_EUlS1A_E_NS1_11comp_targetILNS1_3genE2ELNS1_11target_archE906ELNS1_3gpuE6ELNS1_3repE0EEENS1_30default_config_static_selectorELNS0_4arch9wavefront6targetE1EEEvT1_
	.p2align	8
	.type	_ZN7rocprim17ROCPRIM_400000_NS6detail17trampoline_kernelINS0_14default_configENS1_25partition_config_selectorILNS1_17partition_subalgoE2EyNS0_10empty_typeEbEEZZNS1_14partition_implILS5_2ELb0ES3_jN6thrust23THRUST_200600_302600_NS6detail15normal_iteratorINSA_7pointerIyNSA_11hip_rocprim3tagENSA_11use_defaultESG_EEEEPS6_NSA_18transform_iteratorI7is_evenIyENSC_INSA_10device_ptrIyEEEESG_SG_EENS0_5tupleIJPySJ_EEENSR_IJSJ_SJ_EEES6_PlJS6_EEE10hipError_tPvRmT3_T4_T5_T6_T7_T9_mT8_P12ihipStream_tbDpT10_ENKUlT_T0_E_clISt17integral_constantIbLb0EES1F_EEDaS1A_S1B_EUlS1A_E_NS1_11comp_targetILNS1_3genE2ELNS1_11target_archE906ELNS1_3gpuE6ELNS1_3repE0EEENS1_30default_config_static_selectorELNS0_4arch9wavefront6targetE1EEEvT1_,@function
_ZN7rocprim17ROCPRIM_400000_NS6detail17trampoline_kernelINS0_14default_configENS1_25partition_config_selectorILNS1_17partition_subalgoE2EyNS0_10empty_typeEbEEZZNS1_14partition_implILS5_2ELb0ES3_jN6thrust23THRUST_200600_302600_NS6detail15normal_iteratorINSA_7pointerIyNSA_11hip_rocprim3tagENSA_11use_defaultESG_EEEEPS6_NSA_18transform_iteratorI7is_evenIyENSC_INSA_10device_ptrIyEEEESG_SG_EENS0_5tupleIJPySJ_EEENSR_IJSJ_SJ_EEES6_PlJS6_EEE10hipError_tPvRmT3_T4_T5_T6_T7_T9_mT8_P12ihipStream_tbDpT10_ENKUlT_T0_E_clISt17integral_constantIbLb0EES1F_EEDaS1A_S1B_EUlS1A_E_NS1_11comp_targetILNS1_3genE2ELNS1_11target_archE906ELNS1_3gpuE6ELNS1_3repE0EEENS1_30default_config_static_selectorELNS0_4arch9wavefront6targetE1EEEvT1_: ; @_ZN7rocprim17ROCPRIM_400000_NS6detail17trampoline_kernelINS0_14default_configENS1_25partition_config_selectorILNS1_17partition_subalgoE2EyNS0_10empty_typeEbEEZZNS1_14partition_implILS5_2ELb0ES3_jN6thrust23THRUST_200600_302600_NS6detail15normal_iteratorINSA_7pointerIyNSA_11hip_rocprim3tagENSA_11use_defaultESG_EEEEPS6_NSA_18transform_iteratorI7is_evenIyENSC_INSA_10device_ptrIyEEEESG_SG_EENS0_5tupleIJPySJ_EEENSR_IJSJ_SJ_EEES6_PlJS6_EEE10hipError_tPvRmT3_T4_T5_T6_T7_T9_mT8_P12ihipStream_tbDpT10_ENKUlT_T0_E_clISt17integral_constantIbLb0EES1F_EEDaS1A_S1B_EUlS1A_E_NS1_11comp_targetILNS1_3genE2ELNS1_11target_archE906ELNS1_3gpuE6ELNS1_3repE0EEENS1_30default_config_static_selectorELNS0_4arch9wavefront6targetE1EEEvT1_
; %bb.0:
	.section	.rodata,"a",@progbits
	.p2align	6, 0x0
	.amdhsa_kernel _ZN7rocprim17ROCPRIM_400000_NS6detail17trampoline_kernelINS0_14default_configENS1_25partition_config_selectorILNS1_17partition_subalgoE2EyNS0_10empty_typeEbEEZZNS1_14partition_implILS5_2ELb0ES3_jN6thrust23THRUST_200600_302600_NS6detail15normal_iteratorINSA_7pointerIyNSA_11hip_rocprim3tagENSA_11use_defaultESG_EEEEPS6_NSA_18transform_iteratorI7is_evenIyENSC_INSA_10device_ptrIyEEEESG_SG_EENS0_5tupleIJPySJ_EEENSR_IJSJ_SJ_EEES6_PlJS6_EEE10hipError_tPvRmT3_T4_T5_T6_T7_T9_mT8_P12ihipStream_tbDpT10_ENKUlT_T0_E_clISt17integral_constantIbLb0EES1F_EEDaS1A_S1B_EUlS1A_E_NS1_11comp_targetILNS1_3genE2ELNS1_11target_archE906ELNS1_3gpuE6ELNS1_3repE0EEENS1_30default_config_static_selectorELNS0_4arch9wavefront6targetE1EEEvT1_
		.amdhsa_group_segment_fixed_size 0
		.amdhsa_private_segment_fixed_size 0
		.amdhsa_kernarg_size 128
		.amdhsa_user_sgpr_count 6
		.amdhsa_user_sgpr_private_segment_buffer 1
		.amdhsa_user_sgpr_dispatch_ptr 0
		.amdhsa_user_sgpr_queue_ptr 0
		.amdhsa_user_sgpr_kernarg_segment_ptr 1
		.amdhsa_user_sgpr_dispatch_id 0
		.amdhsa_user_sgpr_flat_scratch_init 0
		.amdhsa_user_sgpr_kernarg_preload_length 0
		.amdhsa_user_sgpr_kernarg_preload_offset 0
		.amdhsa_user_sgpr_private_segment_size 0
		.amdhsa_uses_dynamic_stack 0
		.amdhsa_system_sgpr_private_segment_wavefront_offset 0
		.amdhsa_system_sgpr_workgroup_id_x 1
		.amdhsa_system_sgpr_workgroup_id_y 0
		.amdhsa_system_sgpr_workgroup_id_z 0
		.amdhsa_system_sgpr_workgroup_info 0
		.amdhsa_system_vgpr_workitem_id 0
		.amdhsa_next_free_vgpr 1
		.amdhsa_next_free_sgpr 0
		.amdhsa_accum_offset 4
		.amdhsa_reserve_vcc 0
		.amdhsa_reserve_flat_scratch 0
		.amdhsa_float_round_mode_32 0
		.amdhsa_float_round_mode_16_64 0
		.amdhsa_float_denorm_mode_32 3
		.amdhsa_float_denorm_mode_16_64 3
		.amdhsa_dx10_clamp 1
		.amdhsa_ieee_mode 1
		.amdhsa_fp16_overflow 0
		.amdhsa_tg_split 0
		.amdhsa_exception_fp_ieee_invalid_op 0
		.amdhsa_exception_fp_denorm_src 0
		.amdhsa_exception_fp_ieee_div_zero 0
		.amdhsa_exception_fp_ieee_overflow 0
		.amdhsa_exception_fp_ieee_underflow 0
		.amdhsa_exception_fp_ieee_inexact 0
		.amdhsa_exception_int_div_zero 0
	.end_amdhsa_kernel
	.section	.text._ZN7rocprim17ROCPRIM_400000_NS6detail17trampoline_kernelINS0_14default_configENS1_25partition_config_selectorILNS1_17partition_subalgoE2EyNS0_10empty_typeEbEEZZNS1_14partition_implILS5_2ELb0ES3_jN6thrust23THRUST_200600_302600_NS6detail15normal_iteratorINSA_7pointerIyNSA_11hip_rocprim3tagENSA_11use_defaultESG_EEEEPS6_NSA_18transform_iteratorI7is_evenIyENSC_INSA_10device_ptrIyEEEESG_SG_EENS0_5tupleIJPySJ_EEENSR_IJSJ_SJ_EEES6_PlJS6_EEE10hipError_tPvRmT3_T4_T5_T6_T7_T9_mT8_P12ihipStream_tbDpT10_ENKUlT_T0_E_clISt17integral_constantIbLb0EES1F_EEDaS1A_S1B_EUlS1A_E_NS1_11comp_targetILNS1_3genE2ELNS1_11target_archE906ELNS1_3gpuE6ELNS1_3repE0EEENS1_30default_config_static_selectorELNS0_4arch9wavefront6targetE1EEEvT1_,"axG",@progbits,_ZN7rocprim17ROCPRIM_400000_NS6detail17trampoline_kernelINS0_14default_configENS1_25partition_config_selectorILNS1_17partition_subalgoE2EyNS0_10empty_typeEbEEZZNS1_14partition_implILS5_2ELb0ES3_jN6thrust23THRUST_200600_302600_NS6detail15normal_iteratorINSA_7pointerIyNSA_11hip_rocprim3tagENSA_11use_defaultESG_EEEEPS6_NSA_18transform_iteratorI7is_evenIyENSC_INSA_10device_ptrIyEEEESG_SG_EENS0_5tupleIJPySJ_EEENSR_IJSJ_SJ_EEES6_PlJS6_EEE10hipError_tPvRmT3_T4_T5_T6_T7_T9_mT8_P12ihipStream_tbDpT10_ENKUlT_T0_E_clISt17integral_constantIbLb0EES1F_EEDaS1A_S1B_EUlS1A_E_NS1_11comp_targetILNS1_3genE2ELNS1_11target_archE906ELNS1_3gpuE6ELNS1_3repE0EEENS1_30default_config_static_selectorELNS0_4arch9wavefront6targetE1EEEvT1_,comdat
.Lfunc_end2008:
	.size	_ZN7rocprim17ROCPRIM_400000_NS6detail17trampoline_kernelINS0_14default_configENS1_25partition_config_selectorILNS1_17partition_subalgoE2EyNS0_10empty_typeEbEEZZNS1_14partition_implILS5_2ELb0ES3_jN6thrust23THRUST_200600_302600_NS6detail15normal_iteratorINSA_7pointerIyNSA_11hip_rocprim3tagENSA_11use_defaultESG_EEEEPS6_NSA_18transform_iteratorI7is_evenIyENSC_INSA_10device_ptrIyEEEESG_SG_EENS0_5tupleIJPySJ_EEENSR_IJSJ_SJ_EEES6_PlJS6_EEE10hipError_tPvRmT3_T4_T5_T6_T7_T9_mT8_P12ihipStream_tbDpT10_ENKUlT_T0_E_clISt17integral_constantIbLb0EES1F_EEDaS1A_S1B_EUlS1A_E_NS1_11comp_targetILNS1_3genE2ELNS1_11target_archE906ELNS1_3gpuE6ELNS1_3repE0EEENS1_30default_config_static_selectorELNS0_4arch9wavefront6targetE1EEEvT1_, .Lfunc_end2008-_ZN7rocprim17ROCPRIM_400000_NS6detail17trampoline_kernelINS0_14default_configENS1_25partition_config_selectorILNS1_17partition_subalgoE2EyNS0_10empty_typeEbEEZZNS1_14partition_implILS5_2ELb0ES3_jN6thrust23THRUST_200600_302600_NS6detail15normal_iteratorINSA_7pointerIyNSA_11hip_rocprim3tagENSA_11use_defaultESG_EEEEPS6_NSA_18transform_iteratorI7is_evenIyENSC_INSA_10device_ptrIyEEEESG_SG_EENS0_5tupleIJPySJ_EEENSR_IJSJ_SJ_EEES6_PlJS6_EEE10hipError_tPvRmT3_T4_T5_T6_T7_T9_mT8_P12ihipStream_tbDpT10_ENKUlT_T0_E_clISt17integral_constantIbLb0EES1F_EEDaS1A_S1B_EUlS1A_E_NS1_11comp_targetILNS1_3genE2ELNS1_11target_archE906ELNS1_3gpuE6ELNS1_3repE0EEENS1_30default_config_static_selectorELNS0_4arch9wavefront6targetE1EEEvT1_
                                        ; -- End function
	.section	.AMDGPU.csdata,"",@progbits
; Kernel info:
; codeLenInByte = 0
; NumSgprs: 4
; NumVgprs: 0
; NumAgprs: 0
; TotalNumVgprs: 0
; ScratchSize: 0
; MemoryBound: 0
; FloatMode: 240
; IeeeMode: 1
; LDSByteSize: 0 bytes/workgroup (compile time only)
; SGPRBlocks: 0
; VGPRBlocks: 0
; NumSGPRsForWavesPerEU: 4
; NumVGPRsForWavesPerEU: 1
; AccumOffset: 4
; Occupancy: 8
; WaveLimiterHint : 0
; COMPUTE_PGM_RSRC2:SCRATCH_EN: 0
; COMPUTE_PGM_RSRC2:USER_SGPR: 6
; COMPUTE_PGM_RSRC2:TRAP_HANDLER: 0
; COMPUTE_PGM_RSRC2:TGID_X_EN: 1
; COMPUTE_PGM_RSRC2:TGID_Y_EN: 0
; COMPUTE_PGM_RSRC2:TGID_Z_EN: 0
; COMPUTE_PGM_RSRC2:TIDIG_COMP_CNT: 0
; COMPUTE_PGM_RSRC3_GFX90A:ACCUM_OFFSET: 0
; COMPUTE_PGM_RSRC3_GFX90A:TG_SPLIT: 0
	.section	.text._ZN7rocprim17ROCPRIM_400000_NS6detail17trampoline_kernelINS0_14default_configENS1_25partition_config_selectorILNS1_17partition_subalgoE2EyNS0_10empty_typeEbEEZZNS1_14partition_implILS5_2ELb0ES3_jN6thrust23THRUST_200600_302600_NS6detail15normal_iteratorINSA_7pointerIyNSA_11hip_rocprim3tagENSA_11use_defaultESG_EEEEPS6_NSA_18transform_iteratorI7is_evenIyENSC_INSA_10device_ptrIyEEEESG_SG_EENS0_5tupleIJPySJ_EEENSR_IJSJ_SJ_EEES6_PlJS6_EEE10hipError_tPvRmT3_T4_T5_T6_T7_T9_mT8_P12ihipStream_tbDpT10_ENKUlT_T0_E_clISt17integral_constantIbLb0EES1F_EEDaS1A_S1B_EUlS1A_E_NS1_11comp_targetILNS1_3genE10ELNS1_11target_archE1200ELNS1_3gpuE4ELNS1_3repE0EEENS1_30default_config_static_selectorELNS0_4arch9wavefront6targetE1EEEvT1_,"axG",@progbits,_ZN7rocprim17ROCPRIM_400000_NS6detail17trampoline_kernelINS0_14default_configENS1_25partition_config_selectorILNS1_17partition_subalgoE2EyNS0_10empty_typeEbEEZZNS1_14partition_implILS5_2ELb0ES3_jN6thrust23THRUST_200600_302600_NS6detail15normal_iteratorINSA_7pointerIyNSA_11hip_rocprim3tagENSA_11use_defaultESG_EEEEPS6_NSA_18transform_iteratorI7is_evenIyENSC_INSA_10device_ptrIyEEEESG_SG_EENS0_5tupleIJPySJ_EEENSR_IJSJ_SJ_EEES6_PlJS6_EEE10hipError_tPvRmT3_T4_T5_T6_T7_T9_mT8_P12ihipStream_tbDpT10_ENKUlT_T0_E_clISt17integral_constantIbLb0EES1F_EEDaS1A_S1B_EUlS1A_E_NS1_11comp_targetILNS1_3genE10ELNS1_11target_archE1200ELNS1_3gpuE4ELNS1_3repE0EEENS1_30default_config_static_selectorELNS0_4arch9wavefront6targetE1EEEvT1_,comdat
	.protected	_ZN7rocprim17ROCPRIM_400000_NS6detail17trampoline_kernelINS0_14default_configENS1_25partition_config_selectorILNS1_17partition_subalgoE2EyNS0_10empty_typeEbEEZZNS1_14partition_implILS5_2ELb0ES3_jN6thrust23THRUST_200600_302600_NS6detail15normal_iteratorINSA_7pointerIyNSA_11hip_rocprim3tagENSA_11use_defaultESG_EEEEPS6_NSA_18transform_iteratorI7is_evenIyENSC_INSA_10device_ptrIyEEEESG_SG_EENS0_5tupleIJPySJ_EEENSR_IJSJ_SJ_EEES6_PlJS6_EEE10hipError_tPvRmT3_T4_T5_T6_T7_T9_mT8_P12ihipStream_tbDpT10_ENKUlT_T0_E_clISt17integral_constantIbLb0EES1F_EEDaS1A_S1B_EUlS1A_E_NS1_11comp_targetILNS1_3genE10ELNS1_11target_archE1200ELNS1_3gpuE4ELNS1_3repE0EEENS1_30default_config_static_selectorELNS0_4arch9wavefront6targetE1EEEvT1_ ; -- Begin function _ZN7rocprim17ROCPRIM_400000_NS6detail17trampoline_kernelINS0_14default_configENS1_25partition_config_selectorILNS1_17partition_subalgoE2EyNS0_10empty_typeEbEEZZNS1_14partition_implILS5_2ELb0ES3_jN6thrust23THRUST_200600_302600_NS6detail15normal_iteratorINSA_7pointerIyNSA_11hip_rocprim3tagENSA_11use_defaultESG_EEEEPS6_NSA_18transform_iteratorI7is_evenIyENSC_INSA_10device_ptrIyEEEESG_SG_EENS0_5tupleIJPySJ_EEENSR_IJSJ_SJ_EEES6_PlJS6_EEE10hipError_tPvRmT3_T4_T5_T6_T7_T9_mT8_P12ihipStream_tbDpT10_ENKUlT_T0_E_clISt17integral_constantIbLb0EES1F_EEDaS1A_S1B_EUlS1A_E_NS1_11comp_targetILNS1_3genE10ELNS1_11target_archE1200ELNS1_3gpuE4ELNS1_3repE0EEENS1_30default_config_static_selectorELNS0_4arch9wavefront6targetE1EEEvT1_
	.globl	_ZN7rocprim17ROCPRIM_400000_NS6detail17trampoline_kernelINS0_14default_configENS1_25partition_config_selectorILNS1_17partition_subalgoE2EyNS0_10empty_typeEbEEZZNS1_14partition_implILS5_2ELb0ES3_jN6thrust23THRUST_200600_302600_NS6detail15normal_iteratorINSA_7pointerIyNSA_11hip_rocprim3tagENSA_11use_defaultESG_EEEEPS6_NSA_18transform_iteratorI7is_evenIyENSC_INSA_10device_ptrIyEEEESG_SG_EENS0_5tupleIJPySJ_EEENSR_IJSJ_SJ_EEES6_PlJS6_EEE10hipError_tPvRmT3_T4_T5_T6_T7_T9_mT8_P12ihipStream_tbDpT10_ENKUlT_T0_E_clISt17integral_constantIbLb0EES1F_EEDaS1A_S1B_EUlS1A_E_NS1_11comp_targetILNS1_3genE10ELNS1_11target_archE1200ELNS1_3gpuE4ELNS1_3repE0EEENS1_30default_config_static_selectorELNS0_4arch9wavefront6targetE1EEEvT1_
	.p2align	8
	.type	_ZN7rocprim17ROCPRIM_400000_NS6detail17trampoline_kernelINS0_14default_configENS1_25partition_config_selectorILNS1_17partition_subalgoE2EyNS0_10empty_typeEbEEZZNS1_14partition_implILS5_2ELb0ES3_jN6thrust23THRUST_200600_302600_NS6detail15normal_iteratorINSA_7pointerIyNSA_11hip_rocprim3tagENSA_11use_defaultESG_EEEEPS6_NSA_18transform_iteratorI7is_evenIyENSC_INSA_10device_ptrIyEEEESG_SG_EENS0_5tupleIJPySJ_EEENSR_IJSJ_SJ_EEES6_PlJS6_EEE10hipError_tPvRmT3_T4_T5_T6_T7_T9_mT8_P12ihipStream_tbDpT10_ENKUlT_T0_E_clISt17integral_constantIbLb0EES1F_EEDaS1A_S1B_EUlS1A_E_NS1_11comp_targetILNS1_3genE10ELNS1_11target_archE1200ELNS1_3gpuE4ELNS1_3repE0EEENS1_30default_config_static_selectorELNS0_4arch9wavefront6targetE1EEEvT1_,@function
_ZN7rocprim17ROCPRIM_400000_NS6detail17trampoline_kernelINS0_14default_configENS1_25partition_config_selectorILNS1_17partition_subalgoE2EyNS0_10empty_typeEbEEZZNS1_14partition_implILS5_2ELb0ES3_jN6thrust23THRUST_200600_302600_NS6detail15normal_iteratorINSA_7pointerIyNSA_11hip_rocprim3tagENSA_11use_defaultESG_EEEEPS6_NSA_18transform_iteratorI7is_evenIyENSC_INSA_10device_ptrIyEEEESG_SG_EENS0_5tupleIJPySJ_EEENSR_IJSJ_SJ_EEES6_PlJS6_EEE10hipError_tPvRmT3_T4_T5_T6_T7_T9_mT8_P12ihipStream_tbDpT10_ENKUlT_T0_E_clISt17integral_constantIbLb0EES1F_EEDaS1A_S1B_EUlS1A_E_NS1_11comp_targetILNS1_3genE10ELNS1_11target_archE1200ELNS1_3gpuE4ELNS1_3repE0EEENS1_30default_config_static_selectorELNS0_4arch9wavefront6targetE1EEEvT1_: ; @_ZN7rocprim17ROCPRIM_400000_NS6detail17trampoline_kernelINS0_14default_configENS1_25partition_config_selectorILNS1_17partition_subalgoE2EyNS0_10empty_typeEbEEZZNS1_14partition_implILS5_2ELb0ES3_jN6thrust23THRUST_200600_302600_NS6detail15normal_iteratorINSA_7pointerIyNSA_11hip_rocprim3tagENSA_11use_defaultESG_EEEEPS6_NSA_18transform_iteratorI7is_evenIyENSC_INSA_10device_ptrIyEEEESG_SG_EENS0_5tupleIJPySJ_EEENSR_IJSJ_SJ_EEES6_PlJS6_EEE10hipError_tPvRmT3_T4_T5_T6_T7_T9_mT8_P12ihipStream_tbDpT10_ENKUlT_T0_E_clISt17integral_constantIbLb0EES1F_EEDaS1A_S1B_EUlS1A_E_NS1_11comp_targetILNS1_3genE10ELNS1_11target_archE1200ELNS1_3gpuE4ELNS1_3repE0EEENS1_30default_config_static_selectorELNS0_4arch9wavefront6targetE1EEEvT1_
; %bb.0:
	.section	.rodata,"a",@progbits
	.p2align	6, 0x0
	.amdhsa_kernel _ZN7rocprim17ROCPRIM_400000_NS6detail17trampoline_kernelINS0_14default_configENS1_25partition_config_selectorILNS1_17partition_subalgoE2EyNS0_10empty_typeEbEEZZNS1_14partition_implILS5_2ELb0ES3_jN6thrust23THRUST_200600_302600_NS6detail15normal_iteratorINSA_7pointerIyNSA_11hip_rocprim3tagENSA_11use_defaultESG_EEEEPS6_NSA_18transform_iteratorI7is_evenIyENSC_INSA_10device_ptrIyEEEESG_SG_EENS0_5tupleIJPySJ_EEENSR_IJSJ_SJ_EEES6_PlJS6_EEE10hipError_tPvRmT3_T4_T5_T6_T7_T9_mT8_P12ihipStream_tbDpT10_ENKUlT_T0_E_clISt17integral_constantIbLb0EES1F_EEDaS1A_S1B_EUlS1A_E_NS1_11comp_targetILNS1_3genE10ELNS1_11target_archE1200ELNS1_3gpuE4ELNS1_3repE0EEENS1_30default_config_static_selectorELNS0_4arch9wavefront6targetE1EEEvT1_
		.amdhsa_group_segment_fixed_size 0
		.amdhsa_private_segment_fixed_size 0
		.amdhsa_kernarg_size 128
		.amdhsa_user_sgpr_count 6
		.amdhsa_user_sgpr_private_segment_buffer 1
		.amdhsa_user_sgpr_dispatch_ptr 0
		.amdhsa_user_sgpr_queue_ptr 0
		.amdhsa_user_sgpr_kernarg_segment_ptr 1
		.amdhsa_user_sgpr_dispatch_id 0
		.amdhsa_user_sgpr_flat_scratch_init 0
		.amdhsa_user_sgpr_kernarg_preload_length 0
		.amdhsa_user_sgpr_kernarg_preload_offset 0
		.amdhsa_user_sgpr_private_segment_size 0
		.amdhsa_uses_dynamic_stack 0
		.amdhsa_system_sgpr_private_segment_wavefront_offset 0
		.amdhsa_system_sgpr_workgroup_id_x 1
		.amdhsa_system_sgpr_workgroup_id_y 0
		.amdhsa_system_sgpr_workgroup_id_z 0
		.amdhsa_system_sgpr_workgroup_info 0
		.amdhsa_system_vgpr_workitem_id 0
		.amdhsa_next_free_vgpr 1
		.amdhsa_next_free_sgpr 0
		.amdhsa_accum_offset 4
		.amdhsa_reserve_vcc 0
		.amdhsa_reserve_flat_scratch 0
		.amdhsa_float_round_mode_32 0
		.amdhsa_float_round_mode_16_64 0
		.amdhsa_float_denorm_mode_32 3
		.amdhsa_float_denorm_mode_16_64 3
		.amdhsa_dx10_clamp 1
		.amdhsa_ieee_mode 1
		.amdhsa_fp16_overflow 0
		.amdhsa_tg_split 0
		.amdhsa_exception_fp_ieee_invalid_op 0
		.amdhsa_exception_fp_denorm_src 0
		.amdhsa_exception_fp_ieee_div_zero 0
		.amdhsa_exception_fp_ieee_overflow 0
		.amdhsa_exception_fp_ieee_underflow 0
		.amdhsa_exception_fp_ieee_inexact 0
		.amdhsa_exception_int_div_zero 0
	.end_amdhsa_kernel
	.section	.text._ZN7rocprim17ROCPRIM_400000_NS6detail17trampoline_kernelINS0_14default_configENS1_25partition_config_selectorILNS1_17partition_subalgoE2EyNS0_10empty_typeEbEEZZNS1_14partition_implILS5_2ELb0ES3_jN6thrust23THRUST_200600_302600_NS6detail15normal_iteratorINSA_7pointerIyNSA_11hip_rocprim3tagENSA_11use_defaultESG_EEEEPS6_NSA_18transform_iteratorI7is_evenIyENSC_INSA_10device_ptrIyEEEESG_SG_EENS0_5tupleIJPySJ_EEENSR_IJSJ_SJ_EEES6_PlJS6_EEE10hipError_tPvRmT3_T4_T5_T6_T7_T9_mT8_P12ihipStream_tbDpT10_ENKUlT_T0_E_clISt17integral_constantIbLb0EES1F_EEDaS1A_S1B_EUlS1A_E_NS1_11comp_targetILNS1_3genE10ELNS1_11target_archE1200ELNS1_3gpuE4ELNS1_3repE0EEENS1_30default_config_static_selectorELNS0_4arch9wavefront6targetE1EEEvT1_,"axG",@progbits,_ZN7rocprim17ROCPRIM_400000_NS6detail17trampoline_kernelINS0_14default_configENS1_25partition_config_selectorILNS1_17partition_subalgoE2EyNS0_10empty_typeEbEEZZNS1_14partition_implILS5_2ELb0ES3_jN6thrust23THRUST_200600_302600_NS6detail15normal_iteratorINSA_7pointerIyNSA_11hip_rocprim3tagENSA_11use_defaultESG_EEEEPS6_NSA_18transform_iteratorI7is_evenIyENSC_INSA_10device_ptrIyEEEESG_SG_EENS0_5tupleIJPySJ_EEENSR_IJSJ_SJ_EEES6_PlJS6_EEE10hipError_tPvRmT3_T4_T5_T6_T7_T9_mT8_P12ihipStream_tbDpT10_ENKUlT_T0_E_clISt17integral_constantIbLb0EES1F_EEDaS1A_S1B_EUlS1A_E_NS1_11comp_targetILNS1_3genE10ELNS1_11target_archE1200ELNS1_3gpuE4ELNS1_3repE0EEENS1_30default_config_static_selectorELNS0_4arch9wavefront6targetE1EEEvT1_,comdat
.Lfunc_end2009:
	.size	_ZN7rocprim17ROCPRIM_400000_NS6detail17trampoline_kernelINS0_14default_configENS1_25partition_config_selectorILNS1_17partition_subalgoE2EyNS0_10empty_typeEbEEZZNS1_14partition_implILS5_2ELb0ES3_jN6thrust23THRUST_200600_302600_NS6detail15normal_iteratorINSA_7pointerIyNSA_11hip_rocprim3tagENSA_11use_defaultESG_EEEEPS6_NSA_18transform_iteratorI7is_evenIyENSC_INSA_10device_ptrIyEEEESG_SG_EENS0_5tupleIJPySJ_EEENSR_IJSJ_SJ_EEES6_PlJS6_EEE10hipError_tPvRmT3_T4_T5_T6_T7_T9_mT8_P12ihipStream_tbDpT10_ENKUlT_T0_E_clISt17integral_constantIbLb0EES1F_EEDaS1A_S1B_EUlS1A_E_NS1_11comp_targetILNS1_3genE10ELNS1_11target_archE1200ELNS1_3gpuE4ELNS1_3repE0EEENS1_30default_config_static_selectorELNS0_4arch9wavefront6targetE1EEEvT1_, .Lfunc_end2009-_ZN7rocprim17ROCPRIM_400000_NS6detail17trampoline_kernelINS0_14default_configENS1_25partition_config_selectorILNS1_17partition_subalgoE2EyNS0_10empty_typeEbEEZZNS1_14partition_implILS5_2ELb0ES3_jN6thrust23THRUST_200600_302600_NS6detail15normal_iteratorINSA_7pointerIyNSA_11hip_rocprim3tagENSA_11use_defaultESG_EEEEPS6_NSA_18transform_iteratorI7is_evenIyENSC_INSA_10device_ptrIyEEEESG_SG_EENS0_5tupleIJPySJ_EEENSR_IJSJ_SJ_EEES6_PlJS6_EEE10hipError_tPvRmT3_T4_T5_T6_T7_T9_mT8_P12ihipStream_tbDpT10_ENKUlT_T0_E_clISt17integral_constantIbLb0EES1F_EEDaS1A_S1B_EUlS1A_E_NS1_11comp_targetILNS1_3genE10ELNS1_11target_archE1200ELNS1_3gpuE4ELNS1_3repE0EEENS1_30default_config_static_selectorELNS0_4arch9wavefront6targetE1EEEvT1_
                                        ; -- End function
	.section	.AMDGPU.csdata,"",@progbits
; Kernel info:
; codeLenInByte = 0
; NumSgprs: 4
; NumVgprs: 0
; NumAgprs: 0
; TotalNumVgprs: 0
; ScratchSize: 0
; MemoryBound: 0
; FloatMode: 240
; IeeeMode: 1
; LDSByteSize: 0 bytes/workgroup (compile time only)
; SGPRBlocks: 0
; VGPRBlocks: 0
; NumSGPRsForWavesPerEU: 4
; NumVGPRsForWavesPerEU: 1
; AccumOffset: 4
; Occupancy: 8
; WaveLimiterHint : 0
; COMPUTE_PGM_RSRC2:SCRATCH_EN: 0
; COMPUTE_PGM_RSRC2:USER_SGPR: 6
; COMPUTE_PGM_RSRC2:TRAP_HANDLER: 0
; COMPUTE_PGM_RSRC2:TGID_X_EN: 1
; COMPUTE_PGM_RSRC2:TGID_Y_EN: 0
; COMPUTE_PGM_RSRC2:TGID_Z_EN: 0
; COMPUTE_PGM_RSRC2:TIDIG_COMP_CNT: 0
; COMPUTE_PGM_RSRC3_GFX90A:ACCUM_OFFSET: 0
; COMPUTE_PGM_RSRC3_GFX90A:TG_SPLIT: 0
	.section	.text._ZN7rocprim17ROCPRIM_400000_NS6detail17trampoline_kernelINS0_14default_configENS1_25partition_config_selectorILNS1_17partition_subalgoE2EyNS0_10empty_typeEbEEZZNS1_14partition_implILS5_2ELb0ES3_jN6thrust23THRUST_200600_302600_NS6detail15normal_iteratorINSA_7pointerIyNSA_11hip_rocprim3tagENSA_11use_defaultESG_EEEEPS6_NSA_18transform_iteratorI7is_evenIyENSC_INSA_10device_ptrIyEEEESG_SG_EENS0_5tupleIJPySJ_EEENSR_IJSJ_SJ_EEES6_PlJS6_EEE10hipError_tPvRmT3_T4_T5_T6_T7_T9_mT8_P12ihipStream_tbDpT10_ENKUlT_T0_E_clISt17integral_constantIbLb0EES1F_EEDaS1A_S1B_EUlS1A_E_NS1_11comp_targetILNS1_3genE9ELNS1_11target_archE1100ELNS1_3gpuE3ELNS1_3repE0EEENS1_30default_config_static_selectorELNS0_4arch9wavefront6targetE1EEEvT1_,"axG",@progbits,_ZN7rocprim17ROCPRIM_400000_NS6detail17trampoline_kernelINS0_14default_configENS1_25partition_config_selectorILNS1_17partition_subalgoE2EyNS0_10empty_typeEbEEZZNS1_14partition_implILS5_2ELb0ES3_jN6thrust23THRUST_200600_302600_NS6detail15normal_iteratorINSA_7pointerIyNSA_11hip_rocprim3tagENSA_11use_defaultESG_EEEEPS6_NSA_18transform_iteratorI7is_evenIyENSC_INSA_10device_ptrIyEEEESG_SG_EENS0_5tupleIJPySJ_EEENSR_IJSJ_SJ_EEES6_PlJS6_EEE10hipError_tPvRmT3_T4_T5_T6_T7_T9_mT8_P12ihipStream_tbDpT10_ENKUlT_T0_E_clISt17integral_constantIbLb0EES1F_EEDaS1A_S1B_EUlS1A_E_NS1_11comp_targetILNS1_3genE9ELNS1_11target_archE1100ELNS1_3gpuE3ELNS1_3repE0EEENS1_30default_config_static_selectorELNS0_4arch9wavefront6targetE1EEEvT1_,comdat
	.protected	_ZN7rocprim17ROCPRIM_400000_NS6detail17trampoline_kernelINS0_14default_configENS1_25partition_config_selectorILNS1_17partition_subalgoE2EyNS0_10empty_typeEbEEZZNS1_14partition_implILS5_2ELb0ES3_jN6thrust23THRUST_200600_302600_NS6detail15normal_iteratorINSA_7pointerIyNSA_11hip_rocprim3tagENSA_11use_defaultESG_EEEEPS6_NSA_18transform_iteratorI7is_evenIyENSC_INSA_10device_ptrIyEEEESG_SG_EENS0_5tupleIJPySJ_EEENSR_IJSJ_SJ_EEES6_PlJS6_EEE10hipError_tPvRmT3_T4_T5_T6_T7_T9_mT8_P12ihipStream_tbDpT10_ENKUlT_T0_E_clISt17integral_constantIbLb0EES1F_EEDaS1A_S1B_EUlS1A_E_NS1_11comp_targetILNS1_3genE9ELNS1_11target_archE1100ELNS1_3gpuE3ELNS1_3repE0EEENS1_30default_config_static_selectorELNS0_4arch9wavefront6targetE1EEEvT1_ ; -- Begin function _ZN7rocprim17ROCPRIM_400000_NS6detail17trampoline_kernelINS0_14default_configENS1_25partition_config_selectorILNS1_17partition_subalgoE2EyNS0_10empty_typeEbEEZZNS1_14partition_implILS5_2ELb0ES3_jN6thrust23THRUST_200600_302600_NS6detail15normal_iteratorINSA_7pointerIyNSA_11hip_rocprim3tagENSA_11use_defaultESG_EEEEPS6_NSA_18transform_iteratorI7is_evenIyENSC_INSA_10device_ptrIyEEEESG_SG_EENS0_5tupleIJPySJ_EEENSR_IJSJ_SJ_EEES6_PlJS6_EEE10hipError_tPvRmT3_T4_T5_T6_T7_T9_mT8_P12ihipStream_tbDpT10_ENKUlT_T0_E_clISt17integral_constantIbLb0EES1F_EEDaS1A_S1B_EUlS1A_E_NS1_11comp_targetILNS1_3genE9ELNS1_11target_archE1100ELNS1_3gpuE3ELNS1_3repE0EEENS1_30default_config_static_selectorELNS0_4arch9wavefront6targetE1EEEvT1_
	.globl	_ZN7rocprim17ROCPRIM_400000_NS6detail17trampoline_kernelINS0_14default_configENS1_25partition_config_selectorILNS1_17partition_subalgoE2EyNS0_10empty_typeEbEEZZNS1_14partition_implILS5_2ELb0ES3_jN6thrust23THRUST_200600_302600_NS6detail15normal_iteratorINSA_7pointerIyNSA_11hip_rocprim3tagENSA_11use_defaultESG_EEEEPS6_NSA_18transform_iteratorI7is_evenIyENSC_INSA_10device_ptrIyEEEESG_SG_EENS0_5tupleIJPySJ_EEENSR_IJSJ_SJ_EEES6_PlJS6_EEE10hipError_tPvRmT3_T4_T5_T6_T7_T9_mT8_P12ihipStream_tbDpT10_ENKUlT_T0_E_clISt17integral_constantIbLb0EES1F_EEDaS1A_S1B_EUlS1A_E_NS1_11comp_targetILNS1_3genE9ELNS1_11target_archE1100ELNS1_3gpuE3ELNS1_3repE0EEENS1_30default_config_static_selectorELNS0_4arch9wavefront6targetE1EEEvT1_
	.p2align	8
	.type	_ZN7rocprim17ROCPRIM_400000_NS6detail17trampoline_kernelINS0_14default_configENS1_25partition_config_selectorILNS1_17partition_subalgoE2EyNS0_10empty_typeEbEEZZNS1_14partition_implILS5_2ELb0ES3_jN6thrust23THRUST_200600_302600_NS6detail15normal_iteratorINSA_7pointerIyNSA_11hip_rocprim3tagENSA_11use_defaultESG_EEEEPS6_NSA_18transform_iteratorI7is_evenIyENSC_INSA_10device_ptrIyEEEESG_SG_EENS0_5tupleIJPySJ_EEENSR_IJSJ_SJ_EEES6_PlJS6_EEE10hipError_tPvRmT3_T4_T5_T6_T7_T9_mT8_P12ihipStream_tbDpT10_ENKUlT_T0_E_clISt17integral_constantIbLb0EES1F_EEDaS1A_S1B_EUlS1A_E_NS1_11comp_targetILNS1_3genE9ELNS1_11target_archE1100ELNS1_3gpuE3ELNS1_3repE0EEENS1_30default_config_static_selectorELNS0_4arch9wavefront6targetE1EEEvT1_,@function
_ZN7rocprim17ROCPRIM_400000_NS6detail17trampoline_kernelINS0_14default_configENS1_25partition_config_selectorILNS1_17partition_subalgoE2EyNS0_10empty_typeEbEEZZNS1_14partition_implILS5_2ELb0ES3_jN6thrust23THRUST_200600_302600_NS6detail15normal_iteratorINSA_7pointerIyNSA_11hip_rocprim3tagENSA_11use_defaultESG_EEEEPS6_NSA_18transform_iteratorI7is_evenIyENSC_INSA_10device_ptrIyEEEESG_SG_EENS0_5tupleIJPySJ_EEENSR_IJSJ_SJ_EEES6_PlJS6_EEE10hipError_tPvRmT3_T4_T5_T6_T7_T9_mT8_P12ihipStream_tbDpT10_ENKUlT_T0_E_clISt17integral_constantIbLb0EES1F_EEDaS1A_S1B_EUlS1A_E_NS1_11comp_targetILNS1_3genE9ELNS1_11target_archE1100ELNS1_3gpuE3ELNS1_3repE0EEENS1_30default_config_static_selectorELNS0_4arch9wavefront6targetE1EEEvT1_: ; @_ZN7rocprim17ROCPRIM_400000_NS6detail17trampoline_kernelINS0_14default_configENS1_25partition_config_selectorILNS1_17partition_subalgoE2EyNS0_10empty_typeEbEEZZNS1_14partition_implILS5_2ELb0ES3_jN6thrust23THRUST_200600_302600_NS6detail15normal_iteratorINSA_7pointerIyNSA_11hip_rocprim3tagENSA_11use_defaultESG_EEEEPS6_NSA_18transform_iteratorI7is_evenIyENSC_INSA_10device_ptrIyEEEESG_SG_EENS0_5tupleIJPySJ_EEENSR_IJSJ_SJ_EEES6_PlJS6_EEE10hipError_tPvRmT3_T4_T5_T6_T7_T9_mT8_P12ihipStream_tbDpT10_ENKUlT_T0_E_clISt17integral_constantIbLb0EES1F_EEDaS1A_S1B_EUlS1A_E_NS1_11comp_targetILNS1_3genE9ELNS1_11target_archE1100ELNS1_3gpuE3ELNS1_3repE0EEENS1_30default_config_static_selectorELNS0_4arch9wavefront6targetE1EEEvT1_
; %bb.0:
	.section	.rodata,"a",@progbits
	.p2align	6, 0x0
	.amdhsa_kernel _ZN7rocprim17ROCPRIM_400000_NS6detail17trampoline_kernelINS0_14default_configENS1_25partition_config_selectorILNS1_17partition_subalgoE2EyNS0_10empty_typeEbEEZZNS1_14partition_implILS5_2ELb0ES3_jN6thrust23THRUST_200600_302600_NS6detail15normal_iteratorINSA_7pointerIyNSA_11hip_rocprim3tagENSA_11use_defaultESG_EEEEPS6_NSA_18transform_iteratorI7is_evenIyENSC_INSA_10device_ptrIyEEEESG_SG_EENS0_5tupleIJPySJ_EEENSR_IJSJ_SJ_EEES6_PlJS6_EEE10hipError_tPvRmT3_T4_T5_T6_T7_T9_mT8_P12ihipStream_tbDpT10_ENKUlT_T0_E_clISt17integral_constantIbLb0EES1F_EEDaS1A_S1B_EUlS1A_E_NS1_11comp_targetILNS1_3genE9ELNS1_11target_archE1100ELNS1_3gpuE3ELNS1_3repE0EEENS1_30default_config_static_selectorELNS0_4arch9wavefront6targetE1EEEvT1_
		.amdhsa_group_segment_fixed_size 0
		.amdhsa_private_segment_fixed_size 0
		.amdhsa_kernarg_size 128
		.amdhsa_user_sgpr_count 6
		.amdhsa_user_sgpr_private_segment_buffer 1
		.amdhsa_user_sgpr_dispatch_ptr 0
		.amdhsa_user_sgpr_queue_ptr 0
		.amdhsa_user_sgpr_kernarg_segment_ptr 1
		.amdhsa_user_sgpr_dispatch_id 0
		.amdhsa_user_sgpr_flat_scratch_init 0
		.amdhsa_user_sgpr_kernarg_preload_length 0
		.amdhsa_user_sgpr_kernarg_preload_offset 0
		.amdhsa_user_sgpr_private_segment_size 0
		.amdhsa_uses_dynamic_stack 0
		.amdhsa_system_sgpr_private_segment_wavefront_offset 0
		.amdhsa_system_sgpr_workgroup_id_x 1
		.amdhsa_system_sgpr_workgroup_id_y 0
		.amdhsa_system_sgpr_workgroup_id_z 0
		.amdhsa_system_sgpr_workgroup_info 0
		.amdhsa_system_vgpr_workitem_id 0
		.amdhsa_next_free_vgpr 1
		.amdhsa_next_free_sgpr 0
		.amdhsa_accum_offset 4
		.amdhsa_reserve_vcc 0
		.amdhsa_reserve_flat_scratch 0
		.amdhsa_float_round_mode_32 0
		.amdhsa_float_round_mode_16_64 0
		.amdhsa_float_denorm_mode_32 3
		.amdhsa_float_denorm_mode_16_64 3
		.amdhsa_dx10_clamp 1
		.amdhsa_ieee_mode 1
		.amdhsa_fp16_overflow 0
		.amdhsa_tg_split 0
		.amdhsa_exception_fp_ieee_invalid_op 0
		.amdhsa_exception_fp_denorm_src 0
		.amdhsa_exception_fp_ieee_div_zero 0
		.amdhsa_exception_fp_ieee_overflow 0
		.amdhsa_exception_fp_ieee_underflow 0
		.amdhsa_exception_fp_ieee_inexact 0
		.amdhsa_exception_int_div_zero 0
	.end_amdhsa_kernel
	.section	.text._ZN7rocprim17ROCPRIM_400000_NS6detail17trampoline_kernelINS0_14default_configENS1_25partition_config_selectorILNS1_17partition_subalgoE2EyNS0_10empty_typeEbEEZZNS1_14partition_implILS5_2ELb0ES3_jN6thrust23THRUST_200600_302600_NS6detail15normal_iteratorINSA_7pointerIyNSA_11hip_rocprim3tagENSA_11use_defaultESG_EEEEPS6_NSA_18transform_iteratorI7is_evenIyENSC_INSA_10device_ptrIyEEEESG_SG_EENS0_5tupleIJPySJ_EEENSR_IJSJ_SJ_EEES6_PlJS6_EEE10hipError_tPvRmT3_T4_T5_T6_T7_T9_mT8_P12ihipStream_tbDpT10_ENKUlT_T0_E_clISt17integral_constantIbLb0EES1F_EEDaS1A_S1B_EUlS1A_E_NS1_11comp_targetILNS1_3genE9ELNS1_11target_archE1100ELNS1_3gpuE3ELNS1_3repE0EEENS1_30default_config_static_selectorELNS0_4arch9wavefront6targetE1EEEvT1_,"axG",@progbits,_ZN7rocprim17ROCPRIM_400000_NS6detail17trampoline_kernelINS0_14default_configENS1_25partition_config_selectorILNS1_17partition_subalgoE2EyNS0_10empty_typeEbEEZZNS1_14partition_implILS5_2ELb0ES3_jN6thrust23THRUST_200600_302600_NS6detail15normal_iteratorINSA_7pointerIyNSA_11hip_rocprim3tagENSA_11use_defaultESG_EEEEPS6_NSA_18transform_iteratorI7is_evenIyENSC_INSA_10device_ptrIyEEEESG_SG_EENS0_5tupleIJPySJ_EEENSR_IJSJ_SJ_EEES6_PlJS6_EEE10hipError_tPvRmT3_T4_T5_T6_T7_T9_mT8_P12ihipStream_tbDpT10_ENKUlT_T0_E_clISt17integral_constantIbLb0EES1F_EEDaS1A_S1B_EUlS1A_E_NS1_11comp_targetILNS1_3genE9ELNS1_11target_archE1100ELNS1_3gpuE3ELNS1_3repE0EEENS1_30default_config_static_selectorELNS0_4arch9wavefront6targetE1EEEvT1_,comdat
.Lfunc_end2010:
	.size	_ZN7rocprim17ROCPRIM_400000_NS6detail17trampoline_kernelINS0_14default_configENS1_25partition_config_selectorILNS1_17partition_subalgoE2EyNS0_10empty_typeEbEEZZNS1_14partition_implILS5_2ELb0ES3_jN6thrust23THRUST_200600_302600_NS6detail15normal_iteratorINSA_7pointerIyNSA_11hip_rocprim3tagENSA_11use_defaultESG_EEEEPS6_NSA_18transform_iteratorI7is_evenIyENSC_INSA_10device_ptrIyEEEESG_SG_EENS0_5tupleIJPySJ_EEENSR_IJSJ_SJ_EEES6_PlJS6_EEE10hipError_tPvRmT3_T4_T5_T6_T7_T9_mT8_P12ihipStream_tbDpT10_ENKUlT_T0_E_clISt17integral_constantIbLb0EES1F_EEDaS1A_S1B_EUlS1A_E_NS1_11comp_targetILNS1_3genE9ELNS1_11target_archE1100ELNS1_3gpuE3ELNS1_3repE0EEENS1_30default_config_static_selectorELNS0_4arch9wavefront6targetE1EEEvT1_, .Lfunc_end2010-_ZN7rocprim17ROCPRIM_400000_NS6detail17trampoline_kernelINS0_14default_configENS1_25partition_config_selectorILNS1_17partition_subalgoE2EyNS0_10empty_typeEbEEZZNS1_14partition_implILS5_2ELb0ES3_jN6thrust23THRUST_200600_302600_NS6detail15normal_iteratorINSA_7pointerIyNSA_11hip_rocprim3tagENSA_11use_defaultESG_EEEEPS6_NSA_18transform_iteratorI7is_evenIyENSC_INSA_10device_ptrIyEEEESG_SG_EENS0_5tupleIJPySJ_EEENSR_IJSJ_SJ_EEES6_PlJS6_EEE10hipError_tPvRmT3_T4_T5_T6_T7_T9_mT8_P12ihipStream_tbDpT10_ENKUlT_T0_E_clISt17integral_constantIbLb0EES1F_EEDaS1A_S1B_EUlS1A_E_NS1_11comp_targetILNS1_3genE9ELNS1_11target_archE1100ELNS1_3gpuE3ELNS1_3repE0EEENS1_30default_config_static_selectorELNS0_4arch9wavefront6targetE1EEEvT1_
                                        ; -- End function
	.section	.AMDGPU.csdata,"",@progbits
; Kernel info:
; codeLenInByte = 0
; NumSgprs: 4
; NumVgprs: 0
; NumAgprs: 0
; TotalNumVgprs: 0
; ScratchSize: 0
; MemoryBound: 0
; FloatMode: 240
; IeeeMode: 1
; LDSByteSize: 0 bytes/workgroup (compile time only)
; SGPRBlocks: 0
; VGPRBlocks: 0
; NumSGPRsForWavesPerEU: 4
; NumVGPRsForWavesPerEU: 1
; AccumOffset: 4
; Occupancy: 8
; WaveLimiterHint : 0
; COMPUTE_PGM_RSRC2:SCRATCH_EN: 0
; COMPUTE_PGM_RSRC2:USER_SGPR: 6
; COMPUTE_PGM_RSRC2:TRAP_HANDLER: 0
; COMPUTE_PGM_RSRC2:TGID_X_EN: 1
; COMPUTE_PGM_RSRC2:TGID_Y_EN: 0
; COMPUTE_PGM_RSRC2:TGID_Z_EN: 0
; COMPUTE_PGM_RSRC2:TIDIG_COMP_CNT: 0
; COMPUTE_PGM_RSRC3_GFX90A:ACCUM_OFFSET: 0
; COMPUTE_PGM_RSRC3_GFX90A:TG_SPLIT: 0
	.section	.text._ZN7rocprim17ROCPRIM_400000_NS6detail17trampoline_kernelINS0_14default_configENS1_25partition_config_selectorILNS1_17partition_subalgoE2EyNS0_10empty_typeEbEEZZNS1_14partition_implILS5_2ELb0ES3_jN6thrust23THRUST_200600_302600_NS6detail15normal_iteratorINSA_7pointerIyNSA_11hip_rocprim3tagENSA_11use_defaultESG_EEEEPS6_NSA_18transform_iteratorI7is_evenIyENSC_INSA_10device_ptrIyEEEESG_SG_EENS0_5tupleIJPySJ_EEENSR_IJSJ_SJ_EEES6_PlJS6_EEE10hipError_tPvRmT3_T4_T5_T6_T7_T9_mT8_P12ihipStream_tbDpT10_ENKUlT_T0_E_clISt17integral_constantIbLb0EES1F_EEDaS1A_S1B_EUlS1A_E_NS1_11comp_targetILNS1_3genE8ELNS1_11target_archE1030ELNS1_3gpuE2ELNS1_3repE0EEENS1_30default_config_static_selectorELNS0_4arch9wavefront6targetE1EEEvT1_,"axG",@progbits,_ZN7rocprim17ROCPRIM_400000_NS6detail17trampoline_kernelINS0_14default_configENS1_25partition_config_selectorILNS1_17partition_subalgoE2EyNS0_10empty_typeEbEEZZNS1_14partition_implILS5_2ELb0ES3_jN6thrust23THRUST_200600_302600_NS6detail15normal_iteratorINSA_7pointerIyNSA_11hip_rocprim3tagENSA_11use_defaultESG_EEEEPS6_NSA_18transform_iteratorI7is_evenIyENSC_INSA_10device_ptrIyEEEESG_SG_EENS0_5tupleIJPySJ_EEENSR_IJSJ_SJ_EEES6_PlJS6_EEE10hipError_tPvRmT3_T4_T5_T6_T7_T9_mT8_P12ihipStream_tbDpT10_ENKUlT_T0_E_clISt17integral_constantIbLb0EES1F_EEDaS1A_S1B_EUlS1A_E_NS1_11comp_targetILNS1_3genE8ELNS1_11target_archE1030ELNS1_3gpuE2ELNS1_3repE0EEENS1_30default_config_static_selectorELNS0_4arch9wavefront6targetE1EEEvT1_,comdat
	.protected	_ZN7rocprim17ROCPRIM_400000_NS6detail17trampoline_kernelINS0_14default_configENS1_25partition_config_selectorILNS1_17partition_subalgoE2EyNS0_10empty_typeEbEEZZNS1_14partition_implILS5_2ELb0ES3_jN6thrust23THRUST_200600_302600_NS6detail15normal_iteratorINSA_7pointerIyNSA_11hip_rocprim3tagENSA_11use_defaultESG_EEEEPS6_NSA_18transform_iteratorI7is_evenIyENSC_INSA_10device_ptrIyEEEESG_SG_EENS0_5tupleIJPySJ_EEENSR_IJSJ_SJ_EEES6_PlJS6_EEE10hipError_tPvRmT3_T4_T5_T6_T7_T9_mT8_P12ihipStream_tbDpT10_ENKUlT_T0_E_clISt17integral_constantIbLb0EES1F_EEDaS1A_S1B_EUlS1A_E_NS1_11comp_targetILNS1_3genE8ELNS1_11target_archE1030ELNS1_3gpuE2ELNS1_3repE0EEENS1_30default_config_static_selectorELNS0_4arch9wavefront6targetE1EEEvT1_ ; -- Begin function _ZN7rocprim17ROCPRIM_400000_NS6detail17trampoline_kernelINS0_14default_configENS1_25partition_config_selectorILNS1_17partition_subalgoE2EyNS0_10empty_typeEbEEZZNS1_14partition_implILS5_2ELb0ES3_jN6thrust23THRUST_200600_302600_NS6detail15normal_iteratorINSA_7pointerIyNSA_11hip_rocprim3tagENSA_11use_defaultESG_EEEEPS6_NSA_18transform_iteratorI7is_evenIyENSC_INSA_10device_ptrIyEEEESG_SG_EENS0_5tupleIJPySJ_EEENSR_IJSJ_SJ_EEES6_PlJS6_EEE10hipError_tPvRmT3_T4_T5_T6_T7_T9_mT8_P12ihipStream_tbDpT10_ENKUlT_T0_E_clISt17integral_constantIbLb0EES1F_EEDaS1A_S1B_EUlS1A_E_NS1_11comp_targetILNS1_3genE8ELNS1_11target_archE1030ELNS1_3gpuE2ELNS1_3repE0EEENS1_30default_config_static_selectorELNS0_4arch9wavefront6targetE1EEEvT1_
	.globl	_ZN7rocprim17ROCPRIM_400000_NS6detail17trampoline_kernelINS0_14default_configENS1_25partition_config_selectorILNS1_17partition_subalgoE2EyNS0_10empty_typeEbEEZZNS1_14partition_implILS5_2ELb0ES3_jN6thrust23THRUST_200600_302600_NS6detail15normal_iteratorINSA_7pointerIyNSA_11hip_rocprim3tagENSA_11use_defaultESG_EEEEPS6_NSA_18transform_iteratorI7is_evenIyENSC_INSA_10device_ptrIyEEEESG_SG_EENS0_5tupleIJPySJ_EEENSR_IJSJ_SJ_EEES6_PlJS6_EEE10hipError_tPvRmT3_T4_T5_T6_T7_T9_mT8_P12ihipStream_tbDpT10_ENKUlT_T0_E_clISt17integral_constantIbLb0EES1F_EEDaS1A_S1B_EUlS1A_E_NS1_11comp_targetILNS1_3genE8ELNS1_11target_archE1030ELNS1_3gpuE2ELNS1_3repE0EEENS1_30default_config_static_selectorELNS0_4arch9wavefront6targetE1EEEvT1_
	.p2align	8
	.type	_ZN7rocprim17ROCPRIM_400000_NS6detail17trampoline_kernelINS0_14default_configENS1_25partition_config_selectorILNS1_17partition_subalgoE2EyNS0_10empty_typeEbEEZZNS1_14partition_implILS5_2ELb0ES3_jN6thrust23THRUST_200600_302600_NS6detail15normal_iteratorINSA_7pointerIyNSA_11hip_rocprim3tagENSA_11use_defaultESG_EEEEPS6_NSA_18transform_iteratorI7is_evenIyENSC_INSA_10device_ptrIyEEEESG_SG_EENS0_5tupleIJPySJ_EEENSR_IJSJ_SJ_EEES6_PlJS6_EEE10hipError_tPvRmT3_T4_T5_T6_T7_T9_mT8_P12ihipStream_tbDpT10_ENKUlT_T0_E_clISt17integral_constantIbLb0EES1F_EEDaS1A_S1B_EUlS1A_E_NS1_11comp_targetILNS1_3genE8ELNS1_11target_archE1030ELNS1_3gpuE2ELNS1_3repE0EEENS1_30default_config_static_selectorELNS0_4arch9wavefront6targetE1EEEvT1_,@function
_ZN7rocprim17ROCPRIM_400000_NS6detail17trampoline_kernelINS0_14default_configENS1_25partition_config_selectorILNS1_17partition_subalgoE2EyNS0_10empty_typeEbEEZZNS1_14partition_implILS5_2ELb0ES3_jN6thrust23THRUST_200600_302600_NS6detail15normal_iteratorINSA_7pointerIyNSA_11hip_rocprim3tagENSA_11use_defaultESG_EEEEPS6_NSA_18transform_iteratorI7is_evenIyENSC_INSA_10device_ptrIyEEEESG_SG_EENS0_5tupleIJPySJ_EEENSR_IJSJ_SJ_EEES6_PlJS6_EEE10hipError_tPvRmT3_T4_T5_T6_T7_T9_mT8_P12ihipStream_tbDpT10_ENKUlT_T0_E_clISt17integral_constantIbLb0EES1F_EEDaS1A_S1B_EUlS1A_E_NS1_11comp_targetILNS1_3genE8ELNS1_11target_archE1030ELNS1_3gpuE2ELNS1_3repE0EEENS1_30default_config_static_selectorELNS0_4arch9wavefront6targetE1EEEvT1_: ; @_ZN7rocprim17ROCPRIM_400000_NS6detail17trampoline_kernelINS0_14default_configENS1_25partition_config_selectorILNS1_17partition_subalgoE2EyNS0_10empty_typeEbEEZZNS1_14partition_implILS5_2ELb0ES3_jN6thrust23THRUST_200600_302600_NS6detail15normal_iteratorINSA_7pointerIyNSA_11hip_rocprim3tagENSA_11use_defaultESG_EEEEPS6_NSA_18transform_iteratorI7is_evenIyENSC_INSA_10device_ptrIyEEEESG_SG_EENS0_5tupleIJPySJ_EEENSR_IJSJ_SJ_EEES6_PlJS6_EEE10hipError_tPvRmT3_T4_T5_T6_T7_T9_mT8_P12ihipStream_tbDpT10_ENKUlT_T0_E_clISt17integral_constantIbLb0EES1F_EEDaS1A_S1B_EUlS1A_E_NS1_11comp_targetILNS1_3genE8ELNS1_11target_archE1030ELNS1_3gpuE2ELNS1_3repE0EEENS1_30default_config_static_selectorELNS0_4arch9wavefront6targetE1EEEvT1_
; %bb.0:
	.section	.rodata,"a",@progbits
	.p2align	6, 0x0
	.amdhsa_kernel _ZN7rocprim17ROCPRIM_400000_NS6detail17trampoline_kernelINS0_14default_configENS1_25partition_config_selectorILNS1_17partition_subalgoE2EyNS0_10empty_typeEbEEZZNS1_14partition_implILS5_2ELb0ES3_jN6thrust23THRUST_200600_302600_NS6detail15normal_iteratorINSA_7pointerIyNSA_11hip_rocprim3tagENSA_11use_defaultESG_EEEEPS6_NSA_18transform_iteratorI7is_evenIyENSC_INSA_10device_ptrIyEEEESG_SG_EENS0_5tupleIJPySJ_EEENSR_IJSJ_SJ_EEES6_PlJS6_EEE10hipError_tPvRmT3_T4_T5_T6_T7_T9_mT8_P12ihipStream_tbDpT10_ENKUlT_T0_E_clISt17integral_constantIbLb0EES1F_EEDaS1A_S1B_EUlS1A_E_NS1_11comp_targetILNS1_3genE8ELNS1_11target_archE1030ELNS1_3gpuE2ELNS1_3repE0EEENS1_30default_config_static_selectorELNS0_4arch9wavefront6targetE1EEEvT1_
		.amdhsa_group_segment_fixed_size 0
		.amdhsa_private_segment_fixed_size 0
		.amdhsa_kernarg_size 128
		.amdhsa_user_sgpr_count 6
		.amdhsa_user_sgpr_private_segment_buffer 1
		.amdhsa_user_sgpr_dispatch_ptr 0
		.amdhsa_user_sgpr_queue_ptr 0
		.amdhsa_user_sgpr_kernarg_segment_ptr 1
		.amdhsa_user_sgpr_dispatch_id 0
		.amdhsa_user_sgpr_flat_scratch_init 0
		.amdhsa_user_sgpr_kernarg_preload_length 0
		.amdhsa_user_sgpr_kernarg_preload_offset 0
		.amdhsa_user_sgpr_private_segment_size 0
		.amdhsa_uses_dynamic_stack 0
		.amdhsa_system_sgpr_private_segment_wavefront_offset 0
		.amdhsa_system_sgpr_workgroup_id_x 1
		.amdhsa_system_sgpr_workgroup_id_y 0
		.amdhsa_system_sgpr_workgroup_id_z 0
		.amdhsa_system_sgpr_workgroup_info 0
		.amdhsa_system_vgpr_workitem_id 0
		.amdhsa_next_free_vgpr 1
		.amdhsa_next_free_sgpr 0
		.amdhsa_accum_offset 4
		.amdhsa_reserve_vcc 0
		.amdhsa_reserve_flat_scratch 0
		.amdhsa_float_round_mode_32 0
		.amdhsa_float_round_mode_16_64 0
		.amdhsa_float_denorm_mode_32 3
		.amdhsa_float_denorm_mode_16_64 3
		.amdhsa_dx10_clamp 1
		.amdhsa_ieee_mode 1
		.amdhsa_fp16_overflow 0
		.amdhsa_tg_split 0
		.amdhsa_exception_fp_ieee_invalid_op 0
		.amdhsa_exception_fp_denorm_src 0
		.amdhsa_exception_fp_ieee_div_zero 0
		.amdhsa_exception_fp_ieee_overflow 0
		.amdhsa_exception_fp_ieee_underflow 0
		.amdhsa_exception_fp_ieee_inexact 0
		.amdhsa_exception_int_div_zero 0
	.end_amdhsa_kernel
	.section	.text._ZN7rocprim17ROCPRIM_400000_NS6detail17trampoline_kernelINS0_14default_configENS1_25partition_config_selectorILNS1_17partition_subalgoE2EyNS0_10empty_typeEbEEZZNS1_14partition_implILS5_2ELb0ES3_jN6thrust23THRUST_200600_302600_NS6detail15normal_iteratorINSA_7pointerIyNSA_11hip_rocprim3tagENSA_11use_defaultESG_EEEEPS6_NSA_18transform_iteratorI7is_evenIyENSC_INSA_10device_ptrIyEEEESG_SG_EENS0_5tupleIJPySJ_EEENSR_IJSJ_SJ_EEES6_PlJS6_EEE10hipError_tPvRmT3_T4_T5_T6_T7_T9_mT8_P12ihipStream_tbDpT10_ENKUlT_T0_E_clISt17integral_constantIbLb0EES1F_EEDaS1A_S1B_EUlS1A_E_NS1_11comp_targetILNS1_3genE8ELNS1_11target_archE1030ELNS1_3gpuE2ELNS1_3repE0EEENS1_30default_config_static_selectorELNS0_4arch9wavefront6targetE1EEEvT1_,"axG",@progbits,_ZN7rocprim17ROCPRIM_400000_NS6detail17trampoline_kernelINS0_14default_configENS1_25partition_config_selectorILNS1_17partition_subalgoE2EyNS0_10empty_typeEbEEZZNS1_14partition_implILS5_2ELb0ES3_jN6thrust23THRUST_200600_302600_NS6detail15normal_iteratorINSA_7pointerIyNSA_11hip_rocprim3tagENSA_11use_defaultESG_EEEEPS6_NSA_18transform_iteratorI7is_evenIyENSC_INSA_10device_ptrIyEEEESG_SG_EENS0_5tupleIJPySJ_EEENSR_IJSJ_SJ_EEES6_PlJS6_EEE10hipError_tPvRmT3_T4_T5_T6_T7_T9_mT8_P12ihipStream_tbDpT10_ENKUlT_T0_E_clISt17integral_constantIbLb0EES1F_EEDaS1A_S1B_EUlS1A_E_NS1_11comp_targetILNS1_3genE8ELNS1_11target_archE1030ELNS1_3gpuE2ELNS1_3repE0EEENS1_30default_config_static_selectorELNS0_4arch9wavefront6targetE1EEEvT1_,comdat
.Lfunc_end2011:
	.size	_ZN7rocprim17ROCPRIM_400000_NS6detail17trampoline_kernelINS0_14default_configENS1_25partition_config_selectorILNS1_17partition_subalgoE2EyNS0_10empty_typeEbEEZZNS1_14partition_implILS5_2ELb0ES3_jN6thrust23THRUST_200600_302600_NS6detail15normal_iteratorINSA_7pointerIyNSA_11hip_rocprim3tagENSA_11use_defaultESG_EEEEPS6_NSA_18transform_iteratorI7is_evenIyENSC_INSA_10device_ptrIyEEEESG_SG_EENS0_5tupleIJPySJ_EEENSR_IJSJ_SJ_EEES6_PlJS6_EEE10hipError_tPvRmT3_T4_T5_T6_T7_T9_mT8_P12ihipStream_tbDpT10_ENKUlT_T0_E_clISt17integral_constantIbLb0EES1F_EEDaS1A_S1B_EUlS1A_E_NS1_11comp_targetILNS1_3genE8ELNS1_11target_archE1030ELNS1_3gpuE2ELNS1_3repE0EEENS1_30default_config_static_selectorELNS0_4arch9wavefront6targetE1EEEvT1_, .Lfunc_end2011-_ZN7rocprim17ROCPRIM_400000_NS6detail17trampoline_kernelINS0_14default_configENS1_25partition_config_selectorILNS1_17partition_subalgoE2EyNS0_10empty_typeEbEEZZNS1_14partition_implILS5_2ELb0ES3_jN6thrust23THRUST_200600_302600_NS6detail15normal_iteratorINSA_7pointerIyNSA_11hip_rocprim3tagENSA_11use_defaultESG_EEEEPS6_NSA_18transform_iteratorI7is_evenIyENSC_INSA_10device_ptrIyEEEESG_SG_EENS0_5tupleIJPySJ_EEENSR_IJSJ_SJ_EEES6_PlJS6_EEE10hipError_tPvRmT3_T4_T5_T6_T7_T9_mT8_P12ihipStream_tbDpT10_ENKUlT_T0_E_clISt17integral_constantIbLb0EES1F_EEDaS1A_S1B_EUlS1A_E_NS1_11comp_targetILNS1_3genE8ELNS1_11target_archE1030ELNS1_3gpuE2ELNS1_3repE0EEENS1_30default_config_static_selectorELNS0_4arch9wavefront6targetE1EEEvT1_
                                        ; -- End function
	.section	.AMDGPU.csdata,"",@progbits
; Kernel info:
; codeLenInByte = 0
; NumSgprs: 4
; NumVgprs: 0
; NumAgprs: 0
; TotalNumVgprs: 0
; ScratchSize: 0
; MemoryBound: 0
; FloatMode: 240
; IeeeMode: 1
; LDSByteSize: 0 bytes/workgroup (compile time only)
; SGPRBlocks: 0
; VGPRBlocks: 0
; NumSGPRsForWavesPerEU: 4
; NumVGPRsForWavesPerEU: 1
; AccumOffset: 4
; Occupancy: 8
; WaveLimiterHint : 0
; COMPUTE_PGM_RSRC2:SCRATCH_EN: 0
; COMPUTE_PGM_RSRC2:USER_SGPR: 6
; COMPUTE_PGM_RSRC2:TRAP_HANDLER: 0
; COMPUTE_PGM_RSRC2:TGID_X_EN: 1
; COMPUTE_PGM_RSRC2:TGID_Y_EN: 0
; COMPUTE_PGM_RSRC2:TGID_Z_EN: 0
; COMPUTE_PGM_RSRC2:TIDIG_COMP_CNT: 0
; COMPUTE_PGM_RSRC3_GFX90A:ACCUM_OFFSET: 0
; COMPUTE_PGM_RSRC3_GFX90A:TG_SPLIT: 0
	.section	.text._ZN7rocprim17ROCPRIM_400000_NS6detail17trampoline_kernelINS0_14default_configENS1_25partition_config_selectorILNS1_17partition_subalgoE2EyNS0_10empty_typeEbEEZZNS1_14partition_implILS5_2ELb0ES3_jN6thrust23THRUST_200600_302600_NS6detail15normal_iteratorINSA_7pointerIyNSA_11hip_rocprim3tagENSA_11use_defaultESG_EEEEPS6_NSA_18transform_iteratorI7is_evenIyENSC_INSA_10device_ptrIyEEEESG_SG_EENS0_5tupleIJPySJ_EEENSR_IJSJ_SJ_EEES6_PlJS6_EEE10hipError_tPvRmT3_T4_T5_T6_T7_T9_mT8_P12ihipStream_tbDpT10_ENKUlT_T0_E_clISt17integral_constantIbLb1EES1F_EEDaS1A_S1B_EUlS1A_E_NS1_11comp_targetILNS1_3genE0ELNS1_11target_archE4294967295ELNS1_3gpuE0ELNS1_3repE0EEENS1_30default_config_static_selectorELNS0_4arch9wavefront6targetE1EEEvT1_,"axG",@progbits,_ZN7rocprim17ROCPRIM_400000_NS6detail17trampoline_kernelINS0_14default_configENS1_25partition_config_selectorILNS1_17partition_subalgoE2EyNS0_10empty_typeEbEEZZNS1_14partition_implILS5_2ELb0ES3_jN6thrust23THRUST_200600_302600_NS6detail15normal_iteratorINSA_7pointerIyNSA_11hip_rocprim3tagENSA_11use_defaultESG_EEEEPS6_NSA_18transform_iteratorI7is_evenIyENSC_INSA_10device_ptrIyEEEESG_SG_EENS0_5tupleIJPySJ_EEENSR_IJSJ_SJ_EEES6_PlJS6_EEE10hipError_tPvRmT3_T4_T5_T6_T7_T9_mT8_P12ihipStream_tbDpT10_ENKUlT_T0_E_clISt17integral_constantIbLb1EES1F_EEDaS1A_S1B_EUlS1A_E_NS1_11comp_targetILNS1_3genE0ELNS1_11target_archE4294967295ELNS1_3gpuE0ELNS1_3repE0EEENS1_30default_config_static_selectorELNS0_4arch9wavefront6targetE1EEEvT1_,comdat
	.protected	_ZN7rocprim17ROCPRIM_400000_NS6detail17trampoline_kernelINS0_14default_configENS1_25partition_config_selectorILNS1_17partition_subalgoE2EyNS0_10empty_typeEbEEZZNS1_14partition_implILS5_2ELb0ES3_jN6thrust23THRUST_200600_302600_NS6detail15normal_iteratorINSA_7pointerIyNSA_11hip_rocprim3tagENSA_11use_defaultESG_EEEEPS6_NSA_18transform_iteratorI7is_evenIyENSC_INSA_10device_ptrIyEEEESG_SG_EENS0_5tupleIJPySJ_EEENSR_IJSJ_SJ_EEES6_PlJS6_EEE10hipError_tPvRmT3_T4_T5_T6_T7_T9_mT8_P12ihipStream_tbDpT10_ENKUlT_T0_E_clISt17integral_constantIbLb1EES1F_EEDaS1A_S1B_EUlS1A_E_NS1_11comp_targetILNS1_3genE0ELNS1_11target_archE4294967295ELNS1_3gpuE0ELNS1_3repE0EEENS1_30default_config_static_selectorELNS0_4arch9wavefront6targetE1EEEvT1_ ; -- Begin function _ZN7rocprim17ROCPRIM_400000_NS6detail17trampoline_kernelINS0_14default_configENS1_25partition_config_selectorILNS1_17partition_subalgoE2EyNS0_10empty_typeEbEEZZNS1_14partition_implILS5_2ELb0ES3_jN6thrust23THRUST_200600_302600_NS6detail15normal_iteratorINSA_7pointerIyNSA_11hip_rocprim3tagENSA_11use_defaultESG_EEEEPS6_NSA_18transform_iteratorI7is_evenIyENSC_INSA_10device_ptrIyEEEESG_SG_EENS0_5tupleIJPySJ_EEENSR_IJSJ_SJ_EEES6_PlJS6_EEE10hipError_tPvRmT3_T4_T5_T6_T7_T9_mT8_P12ihipStream_tbDpT10_ENKUlT_T0_E_clISt17integral_constantIbLb1EES1F_EEDaS1A_S1B_EUlS1A_E_NS1_11comp_targetILNS1_3genE0ELNS1_11target_archE4294967295ELNS1_3gpuE0ELNS1_3repE0EEENS1_30default_config_static_selectorELNS0_4arch9wavefront6targetE1EEEvT1_
	.globl	_ZN7rocprim17ROCPRIM_400000_NS6detail17trampoline_kernelINS0_14default_configENS1_25partition_config_selectorILNS1_17partition_subalgoE2EyNS0_10empty_typeEbEEZZNS1_14partition_implILS5_2ELb0ES3_jN6thrust23THRUST_200600_302600_NS6detail15normal_iteratorINSA_7pointerIyNSA_11hip_rocprim3tagENSA_11use_defaultESG_EEEEPS6_NSA_18transform_iteratorI7is_evenIyENSC_INSA_10device_ptrIyEEEESG_SG_EENS0_5tupleIJPySJ_EEENSR_IJSJ_SJ_EEES6_PlJS6_EEE10hipError_tPvRmT3_T4_T5_T6_T7_T9_mT8_P12ihipStream_tbDpT10_ENKUlT_T0_E_clISt17integral_constantIbLb1EES1F_EEDaS1A_S1B_EUlS1A_E_NS1_11comp_targetILNS1_3genE0ELNS1_11target_archE4294967295ELNS1_3gpuE0ELNS1_3repE0EEENS1_30default_config_static_selectorELNS0_4arch9wavefront6targetE1EEEvT1_
	.p2align	8
	.type	_ZN7rocprim17ROCPRIM_400000_NS6detail17trampoline_kernelINS0_14default_configENS1_25partition_config_selectorILNS1_17partition_subalgoE2EyNS0_10empty_typeEbEEZZNS1_14partition_implILS5_2ELb0ES3_jN6thrust23THRUST_200600_302600_NS6detail15normal_iteratorINSA_7pointerIyNSA_11hip_rocprim3tagENSA_11use_defaultESG_EEEEPS6_NSA_18transform_iteratorI7is_evenIyENSC_INSA_10device_ptrIyEEEESG_SG_EENS0_5tupleIJPySJ_EEENSR_IJSJ_SJ_EEES6_PlJS6_EEE10hipError_tPvRmT3_T4_T5_T6_T7_T9_mT8_P12ihipStream_tbDpT10_ENKUlT_T0_E_clISt17integral_constantIbLb1EES1F_EEDaS1A_S1B_EUlS1A_E_NS1_11comp_targetILNS1_3genE0ELNS1_11target_archE4294967295ELNS1_3gpuE0ELNS1_3repE0EEENS1_30default_config_static_selectorELNS0_4arch9wavefront6targetE1EEEvT1_,@function
_ZN7rocprim17ROCPRIM_400000_NS6detail17trampoline_kernelINS0_14default_configENS1_25partition_config_selectorILNS1_17partition_subalgoE2EyNS0_10empty_typeEbEEZZNS1_14partition_implILS5_2ELb0ES3_jN6thrust23THRUST_200600_302600_NS6detail15normal_iteratorINSA_7pointerIyNSA_11hip_rocprim3tagENSA_11use_defaultESG_EEEEPS6_NSA_18transform_iteratorI7is_evenIyENSC_INSA_10device_ptrIyEEEESG_SG_EENS0_5tupleIJPySJ_EEENSR_IJSJ_SJ_EEES6_PlJS6_EEE10hipError_tPvRmT3_T4_T5_T6_T7_T9_mT8_P12ihipStream_tbDpT10_ENKUlT_T0_E_clISt17integral_constantIbLb1EES1F_EEDaS1A_S1B_EUlS1A_E_NS1_11comp_targetILNS1_3genE0ELNS1_11target_archE4294967295ELNS1_3gpuE0ELNS1_3repE0EEENS1_30default_config_static_selectorELNS0_4arch9wavefront6targetE1EEEvT1_: ; @_ZN7rocprim17ROCPRIM_400000_NS6detail17trampoline_kernelINS0_14default_configENS1_25partition_config_selectorILNS1_17partition_subalgoE2EyNS0_10empty_typeEbEEZZNS1_14partition_implILS5_2ELb0ES3_jN6thrust23THRUST_200600_302600_NS6detail15normal_iteratorINSA_7pointerIyNSA_11hip_rocprim3tagENSA_11use_defaultESG_EEEEPS6_NSA_18transform_iteratorI7is_evenIyENSC_INSA_10device_ptrIyEEEESG_SG_EENS0_5tupleIJPySJ_EEENSR_IJSJ_SJ_EEES6_PlJS6_EEE10hipError_tPvRmT3_T4_T5_T6_T7_T9_mT8_P12ihipStream_tbDpT10_ENKUlT_T0_E_clISt17integral_constantIbLb1EES1F_EEDaS1A_S1B_EUlS1A_E_NS1_11comp_targetILNS1_3genE0ELNS1_11target_archE4294967295ELNS1_3gpuE0ELNS1_3repE0EEENS1_30default_config_static_selectorELNS0_4arch9wavefront6targetE1EEEvT1_
; %bb.0:
	.section	.rodata,"a",@progbits
	.p2align	6, 0x0
	.amdhsa_kernel _ZN7rocprim17ROCPRIM_400000_NS6detail17trampoline_kernelINS0_14default_configENS1_25partition_config_selectorILNS1_17partition_subalgoE2EyNS0_10empty_typeEbEEZZNS1_14partition_implILS5_2ELb0ES3_jN6thrust23THRUST_200600_302600_NS6detail15normal_iteratorINSA_7pointerIyNSA_11hip_rocprim3tagENSA_11use_defaultESG_EEEEPS6_NSA_18transform_iteratorI7is_evenIyENSC_INSA_10device_ptrIyEEEESG_SG_EENS0_5tupleIJPySJ_EEENSR_IJSJ_SJ_EEES6_PlJS6_EEE10hipError_tPvRmT3_T4_T5_T6_T7_T9_mT8_P12ihipStream_tbDpT10_ENKUlT_T0_E_clISt17integral_constantIbLb1EES1F_EEDaS1A_S1B_EUlS1A_E_NS1_11comp_targetILNS1_3genE0ELNS1_11target_archE4294967295ELNS1_3gpuE0ELNS1_3repE0EEENS1_30default_config_static_selectorELNS0_4arch9wavefront6targetE1EEEvT1_
		.amdhsa_group_segment_fixed_size 0
		.amdhsa_private_segment_fixed_size 0
		.amdhsa_kernarg_size 144
		.amdhsa_user_sgpr_count 6
		.amdhsa_user_sgpr_private_segment_buffer 1
		.amdhsa_user_sgpr_dispatch_ptr 0
		.amdhsa_user_sgpr_queue_ptr 0
		.amdhsa_user_sgpr_kernarg_segment_ptr 1
		.amdhsa_user_sgpr_dispatch_id 0
		.amdhsa_user_sgpr_flat_scratch_init 0
		.amdhsa_user_sgpr_kernarg_preload_length 0
		.amdhsa_user_sgpr_kernarg_preload_offset 0
		.amdhsa_user_sgpr_private_segment_size 0
		.amdhsa_uses_dynamic_stack 0
		.amdhsa_system_sgpr_private_segment_wavefront_offset 0
		.amdhsa_system_sgpr_workgroup_id_x 1
		.amdhsa_system_sgpr_workgroup_id_y 0
		.amdhsa_system_sgpr_workgroup_id_z 0
		.amdhsa_system_sgpr_workgroup_info 0
		.amdhsa_system_vgpr_workitem_id 0
		.amdhsa_next_free_vgpr 1
		.amdhsa_next_free_sgpr 0
		.amdhsa_accum_offset 4
		.amdhsa_reserve_vcc 0
		.amdhsa_reserve_flat_scratch 0
		.amdhsa_float_round_mode_32 0
		.amdhsa_float_round_mode_16_64 0
		.amdhsa_float_denorm_mode_32 3
		.amdhsa_float_denorm_mode_16_64 3
		.amdhsa_dx10_clamp 1
		.amdhsa_ieee_mode 1
		.amdhsa_fp16_overflow 0
		.amdhsa_tg_split 0
		.amdhsa_exception_fp_ieee_invalid_op 0
		.amdhsa_exception_fp_denorm_src 0
		.amdhsa_exception_fp_ieee_div_zero 0
		.amdhsa_exception_fp_ieee_overflow 0
		.amdhsa_exception_fp_ieee_underflow 0
		.amdhsa_exception_fp_ieee_inexact 0
		.amdhsa_exception_int_div_zero 0
	.end_amdhsa_kernel
	.section	.text._ZN7rocprim17ROCPRIM_400000_NS6detail17trampoline_kernelINS0_14default_configENS1_25partition_config_selectorILNS1_17partition_subalgoE2EyNS0_10empty_typeEbEEZZNS1_14partition_implILS5_2ELb0ES3_jN6thrust23THRUST_200600_302600_NS6detail15normal_iteratorINSA_7pointerIyNSA_11hip_rocprim3tagENSA_11use_defaultESG_EEEEPS6_NSA_18transform_iteratorI7is_evenIyENSC_INSA_10device_ptrIyEEEESG_SG_EENS0_5tupleIJPySJ_EEENSR_IJSJ_SJ_EEES6_PlJS6_EEE10hipError_tPvRmT3_T4_T5_T6_T7_T9_mT8_P12ihipStream_tbDpT10_ENKUlT_T0_E_clISt17integral_constantIbLb1EES1F_EEDaS1A_S1B_EUlS1A_E_NS1_11comp_targetILNS1_3genE0ELNS1_11target_archE4294967295ELNS1_3gpuE0ELNS1_3repE0EEENS1_30default_config_static_selectorELNS0_4arch9wavefront6targetE1EEEvT1_,"axG",@progbits,_ZN7rocprim17ROCPRIM_400000_NS6detail17trampoline_kernelINS0_14default_configENS1_25partition_config_selectorILNS1_17partition_subalgoE2EyNS0_10empty_typeEbEEZZNS1_14partition_implILS5_2ELb0ES3_jN6thrust23THRUST_200600_302600_NS6detail15normal_iteratorINSA_7pointerIyNSA_11hip_rocprim3tagENSA_11use_defaultESG_EEEEPS6_NSA_18transform_iteratorI7is_evenIyENSC_INSA_10device_ptrIyEEEESG_SG_EENS0_5tupleIJPySJ_EEENSR_IJSJ_SJ_EEES6_PlJS6_EEE10hipError_tPvRmT3_T4_T5_T6_T7_T9_mT8_P12ihipStream_tbDpT10_ENKUlT_T0_E_clISt17integral_constantIbLb1EES1F_EEDaS1A_S1B_EUlS1A_E_NS1_11comp_targetILNS1_3genE0ELNS1_11target_archE4294967295ELNS1_3gpuE0ELNS1_3repE0EEENS1_30default_config_static_selectorELNS0_4arch9wavefront6targetE1EEEvT1_,comdat
.Lfunc_end2012:
	.size	_ZN7rocprim17ROCPRIM_400000_NS6detail17trampoline_kernelINS0_14default_configENS1_25partition_config_selectorILNS1_17partition_subalgoE2EyNS0_10empty_typeEbEEZZNS1_14partition_implILS5_2ELb0ES3_jN6thrust23THRUST_200600_302600_NS6detail15normal_iteratorINSA_7pointerIyNSA_11hip_rocprim3tagENSA_11use_defaultESG_EEEEPS6_NSA_18transform_iteratorI7is_evenIyENSC_INSA_10device_ptrIyEEEESG_SG_EENS0_5tupleIJPySJ_EEENSR_IJSJ_SJ_EEES6_PlJS6_EEE10hipError_tPvRmT3_T4_T5_T6_T7_T9_mT8_P12ihipStream_tbDpT10_ENKUlT_T0_E_clISt17integral_constantIbLb1EES1F_EEDaS1A_S1B_EUlS1A_E_NS1_11comp_targetILNS1_3genE0ELNS1_11target_archE4294967295ELNS1_3gpuE0ELNS1_3repE0EEENS1_30default_config_static_selectorELNS0_4arch9wavefront6targetE1EEEvT1_, .Lfunc_end2012-_ZN7rocprim17ROCPRIM_400000_NS6detail17trampoline_kernelINS0_14default_configENS1_25partition_config_selectorILNS1_17partition_subalgoE2EyNS0_10empty_typeEbEEZZNS1_14partition_implILS5_2ELb0ES3_jN6thrust23THRUST_200600_302600_NS6detail15normal_iteratorINSA_7pointerIyNSA_11hip_rocprim3tagENSA_11use_defaultESG_EEEEPS6_NSA_18transform_iteratorI7is_evenIyENSC_INSA_10device_ptrIyEEEESG_SG_EENS0_5tupleIJPySJ_EEENSR_IJSJ_SJ_EEES6_PlJS6_EEE10hipError_tPvRmT3_T4_T5_T6_T7_T9_mT8_P12ihipStream_tbDpT10_ENKUlT_T0_E_clISt17integral_constantIbLb1EES1F_EEDaS1A_S1B_EUlS1A_E_NS1_11comp_targetILNS1_3genE0ELNS1_11target_archE4294967295ELNS1_3gpuE0ELNS1_3repE0EEENS1_30default_config_static_selectorELNS0_4arch9wavefront6targetE1EEEvT1_
                                        ; -- End function
	.section	.AMDGPU.csdata,"",@progbits
; Kernel info:
; codeLenInByte = 0
; NumSgprs: 4
; NumVgprs: 0
; NumAgprs: 0
; TotalNumVgprs: 0
; ScratchSize: 0
; MemoryBound: 0
; FloatMode: 240
; IeeeMode: 1
; LDSByteSize: 0 bytes/workgroup (compile time only)
; SGPRBlocks: 0
; VGPRBlocks: 0
; NumSGPRsForWavesPerEU: 4
; NumVGPRsForWavesPerEU: 1
; AccumOffset: 4
; Occupancy: 8
; WaveLimiterHint : 0
; COMPUTE_PGM_RSRC2:SCRATCH_EN: 0
; COMPUTE_PGM_RSRC2:USER_SGPR: 6
; COMPUTE_PGM_RSRC2:TRAP_HANDLER: 0
; COMPUTE_PGM_RSRC2:TGID_X_EN: 1
; COMPUTE_PGM_RSRC2:TGID_Y_EN: 0
; COMPUTE_PGM_RSRC2:TGID_Z_EN: 0
; COMPUTE_PGM_RSRC2:TIDIG_COMP_CNT: 0
; COMPUTE_PGM_RSRC3_GFX90A:ACCUM_OFFSET: 0
; COMPUTE_PGM_RSRC3_GFX90A:TG_SPLIT: 0
	.section	.text._ZN7rocprim17ROCPRIM_400000_NS6detail17trampoline_kernelINS0_14default_configENS1_25partition_config_selectorILNS1_17partition_subalgoE2EyNS0_10empty_typeEbEEZZNS1_14partition_implILS5_2ELb0ES3_jN6thrust23THRUST_200600_302600_NS6detail15normal_iteratorINSA_7pointerIyNSA_11hip_rocprim3tagENSA_11use_defaultESG_EEEEPS6_NSA_18transform_iteratorI7is_evenIyENSC_INSA_10device_ptrIyEEEESG_SG_EENS0_5tupleIJPySJ_EEENSR_IJSJ_SJ_EEES6_PlJS6_EEE10hipError_tPvRmT3_T4_T5_T6_T7_T9_mT8_P12ihipStream_tbDpT10_ENKUlT_T0_E_clISt17integral_constantIbLb1EES1F_EEDaS1A_S1B_EUlS1A_E_NS1_11comp_targetILNS1_3genE5ELNS1_11target_archE942ELNS1_3gpuE9ELNS1_3repE0EEENS1_30default_config_static_selectorELNS0_4arch9wavefront6targetE1EEEvT1_,"axG",@progbits,_ZN7rocprim17ROCPRIM_400000_NS6detail17trampoline_kernelINS0_14default_configENS1_25partition_config_selectorILNS1_17partition_subalgoE2EyNS0_10empty_typeEbEEZZNS1_14partition_implILS5_2ELb0ES3_jN6thrust23THRUST_200600_302600_NS6detail15normal_iteratorINSA_7pointerIyNSA_11hip_rocprim3tagENSA_11use_defaultESG_EEEEPS6_NSA_18transform_iteratorI7is_evenIyENSC_INSA_10device_ptrIyEEEESG_SG_EENS0_5tupleIJPySJ_EEENSR_IJSJ_SJ_EEES6_PlJS6_EEE10hipError_tPvRmT3_T4_T5_T6_T7_T9_mT8_P12ihipStream_tbDpT10_ENKUlT_T0_E_clISt17integral_constantIbLb1EES1F_EEDaS1A_S1B_EUlS1A_E_NS1_11comp_targetILNS1_3genE5ELNS1_11target_archE942ELNS1_3gpuE9ELNS1_3repE0EEENS1_30default_config_static_selectorELNS0_4arch9wavefront6targetE1EEEvT1_,comdat
	.protected	_ZN7rocprim17ROCPRIM_400000_NS6detail17trampoline_kernelINS0_14default_configENS1_25partition_config_selectorILNS1_17partition_subalgoE2EyNS0_10empty_typeEbEEZZNS1_14partition_implILS5_2ELb0ES3_jN6thrust23THRUST_200600_302600_NS6detail15normal_iteratorINSA_7pointerIyNSA_11hip_rocprim3tagENSA_11use_defaultESG_EEEEPS6_NSA_18transform_iteratorI7is_evenIyENSC_INSA_10device_ptrIyEEEESG_SG_EENS0_5tupleIJPySJ_EEENSR_IJSJ_SJ_EEES6_PlJS6_EEE10hipError_tPvRmT3_T4_T5_T6_T7_T9_mT8_P12ihipStream_tbDpT10_ENKUlT_T0_E_clISt17integral_constantIbLb1EES1F_EEDaS1A_S1B_EUlS1A_E_NS1_11comp_targetILNS1_3genE5ELNS1_11target_archE942ELNS1_3gpuE9ELNS1_3repE0EEENS1_30default_config_static_selectorELNS0_4arch9wavefront6targetE1EEEvT1_ ; -- Begin function _ZN7rocprim17ROCPRIM_400000_NS6detail17trampoline_kernelINS0_14default_configENS1_25partition_config_selectorILNS1_17partition_subalgoE2EyNS0_10empty_typeEbEEZZNS1_14partition_implILS5_2ELb0ES3_jN6thrust23THRUST_200600_302600_NS6detail15normal_iteratorINSA_7pointerIyNSA_11hip_rocprim3tagENSA_11use_defaultESG_EEEEPS6_NSA_18transform_iteratorI7is_evenIyENSC_INSA_10device_ptrIyEEEESG_SG_EENS0_5tupleIJPySJ_EEENSR_IJSJ_SJ_EEES6_PlJS6_EEE10hipError_tPvRmT3_T4_T5_T6_T7_T9_mT8_P12ihipStream_tbDpT10_ENKUlT_T0_E_clISt17integral_constantIbLb1EES1F_EEDaS1A_S1B_EUlS1A_E_NS1_11comp_targetILNS1_3genE5ELNS1_11target_archE942ELNS1_3gpuE9ELNS1_3repE0EEENS1_30default_config_static_selectorELNS0_4arch9wavefront6targetE1EEEvT1_
	.globl	_ZN7rocprim17ROCPRIM_400000_NS6detail17trampoline_kernelINS0_14default_configENS1_25partition_config_selectorILNS1_17partition_subalgoE2EyNS0_10empty_typeEbEEZZNS1_14partition_implILS5_2ELb0ES3_jN6thrust23THRUST_200600_302600_NS6detail15normal_iteratorINSA_7pointerIyNSA_11hip_rocprim3tagENSA_11use_defaultESG_EEEEPS6_NSA_18transform_iteratorI7is_evenIyENSC_INSA_10device_ptrIyEEEESG_SG_EENS0_5tupleIJPySJ_EEENSR_IJSJ_SJ_EEES6_PlJS6_EEE10hipError_tPvRmT3_T4_T5_T6_T7_T9_mT8_P12ihipStream_tbDpT10_ENKUlT_T0_E_clISt17integral_constantIbLb1EES1F_EEDaS1A_S1B_EUlS1A_E_NS1_11comp_targetILNS1_3genE5ELNS1_11target_archE942ELNS1_3gpuE9ELNS1_3repE0EEENS1_30default_config_static_selectorELNS0_4arch9wavefront6targetE1EEEvT1_
	.p2align	8
	.type	_ZN7rocprim17ROCPRIM_400000_NS6detail17trampoline_kernelINS0_14default_configENS1_25partition_config_selectorILNS1_17partition_subalgoE2EyNS0_10empty_typeEbEEZZNS1_14partition_implILS5_2ELb0ES3_jN6thrust23THRUST_200600_302600_NS6detail15normal_iteratorINSA_7pointerIyNSA_11hip_rocprim3tagENSA_11use_defaultESG_EEEEPS6_NSA_18transform_iteratorI7is_evenIyENSC_INSA_10device_ptrIyEEEESG_SG_EENS0_5tupleIJPySJ_EEENSR_IJSJ_SJ_EEES6_PlJS6_EEE10hipError_tPvRmT3_T4_T5_T6_T7_T9_mT8_P12ihipStream_tbDpT10_ENKUlT_T0_E_clISt17integral_constantIbLb1EES1F_EEDaS1A_S1B_EUlS1A_E_NS1_11comp_targetILNS1_3genE5ELNS1_11target_archE942ELNS1_3gpuE9ELNS1_3repE0EEENS1_30default_config_static_selectorELNS0_4arch9wavefront6targetE1EEEvT1_,@function
_ZN7rocprim17ROCPRIM_400000_NS6detail17trampoline_kernelINS0_14default_configENS1_25partition_config_selectorILNS1_17partition_subalgoE2EyNS0_10empty_typeEbEEZZNS1_14partition_implILS5_2ELb0ES3_jN6thrust23THRUST_200600_302600_NS6detail15normal_iteratorINSA_7pointerIyNSA_11hip_rocprim3tagENSA_11use_defaultESG_EEEEPS6_NSA_18transform_iteratorI7is_evenIyENSC_INSA_10device_ptrIyEEEESG_SG_EENS0_5tupleIJPySJ_EEENSR_IJSJ_SJ_EEES6_PlJS6_EEE10hipError_tPvRmT3_T4_T5_T6_T7_T9_mT8_P12ihipStream_tbDpT10_ENKUlT_T0_E_clISt17integral_constantIbLb1EES1F_EEDaS1A_S1B_EUlS1A_E_NS1_11comp_targetILNS1_3genE5ELNS1_11target_archE942ELNS1_3gpuE9ELNS1_3repE0EEENS1_30default_config_static_selectorELNS0_4arch9wavefront6targetE1EEEvT1_: ; @_ZN7rocprim17ROCPRIM_400000_NS6detail17trampoline_kernelINS0_14default_configENS1_25partition_config_selectorILNS1_17partition_subalgoE2EyNS0_10empty_typeEbEEZZNS1_14partition_implILS5_2ELb0ES3_jN6thrust23THRUST_200600_302600_NS6detail15normal_iteratorINSA_7pointerIyNSA_11hip_rocprim3tagENSA_11use_defaultESG_EEEEPS6_NSA_18transform_iteratorI7is_evenIyENSC_INSA_10device_ptrIyEEEESG_SG_EENS0_5tupleIJPySJ_EEENSR_IJSJ_SJ_EEES6_PlJS6_EEE10hipError_tPvRmT3_T4_T5_T6_T7_T9_mT8_P12ihipStream_tbDpT10_ENKUlT_T0_E_clISt17integral_constantIbLb1EES1F_EEDaS1A_S1B_EUlS1A_E_NS1_11comp_targetILNS1_3genE5ELNS1_11target_archE942ELNS1_3gpuE9ELNS1_3repE0EEENS1_30default_config_static_selectorELNS0_4arch9wavefront6targetE1EEEvT1_
; %bb.0:
	.section	.rodata,"a",@progbits
	.p2align	6, 0x0
	.amdhsa_kernel _ZN7rocprim17ROCPRIM_400000_NS6detail17trampoline_kernelINS0_14default_configENS1_25partition_config_selectorILNS1_17partition_subalgoE2EyNS0_10empty_typeEbEEZZNS1_14partition_implILS5_2ELb0ES3_jN6thrust23THRUST_200600_302600_NS6detail15normal_iteratorINSA_7pointerIyNSA_11hip_rocprim3tagENSA_11use_defaultESG_EEEEPS6_NSA_18transform_iteratorI7is_evenIyENSC_INSA_10device_ptrIyEEEESG_SG_EENS0_5tupleIJPySJ_EEENSR_IJSJ_SJ_EEES6_PlJS6_EEE10hipError_tPvRmT3_T4_T5_T6_T7_T9_mT8_P12ihipStream_tbDpT10_ENKUlT_T0_E_clISt17integral_constantIbLb1EES1F_EEDaS1A_S1B_EUlS1A_E_NS1_11comp_targetILNS1_3genE5ELNS1_11target_archE942ELNS1_3gpuE9ELNS1_3repE0EEENS1_30default_config_static_selectorELNS0_4arch9wavefront6targetE1EEEvT1_
		.amdhsa_group_segment_fixed_size 0
		.amdhsa_private_segment_fixed_size 0
		.amdhsa_kernarg_size 144
		.amdhsa_user_sgpr_count 6
		.amdhsa_user_sgpr_private_segment_buffer 1
		.amdhsa_user_sgpr_dispatch_ptr 0
		.amdhsa_user_sgpr_queue_ptr 0
		.amdhsa_user_sgpr_kernarg_segment_ptr 1
		.amdhsa_user_sgpr_dispatch_id 0
		.amdhsa_user_sgpr_flat_scratch_init 0
		.amdhsa_user_sgpr_kernarg_preload_length 0
		.amdhsa_user_sgpr_kernarg_preload_offset 0
		.amdhsa_user_sgpr_private_segment_size 0
		.amdhsa_uses_dynamic_stack 0
		.amdhsa_system_sgpr_private_segment_wavefront_offset 0
		.amdhsa_system_sgpr_workgroup_id_x 1
		.amdhsa_system_sgpr_workgroup_id_y 0
		.amdhsa_system_sgpr_workgroup_id_z 0
		.amdhsa_system_sgpr_workgroup_info 0
		.amdhsa_system_vgpr_workitem_id 0
		.amdhsa_next_free_vgpr 1
		.amdhsa_next_free_sgpr 0
		.amdhsa_accum_offset 4
		.amdhsa_reserve_vcc 0
		.amdhsa_reserve_flat_scratch 0
		.amdhsa_float_round_mode_32 0
		.amdhsa_float_round_mode_16_64 0
		.amdhsa_float_denorm_mode_32 3
		.amdhsa_float_denorm_mode_16_64 3
		.amdhsa_dx10_clamp 1
		.amdhsa_ieee_mode 1
		.amdhsa_fp16_overflow 0
		.amdhsa_tg_split 0
		.amdhsa_exception_fp_ieee_invalid_op 0
		.amdhsa_exception_fp_denorm_src 0
		.amdhsa_exception_fp_ieee_div_zero 0
		.amdhsa_exception_fp_ieee_overflow 0
		.amdhsa_exception_fp_ieee_underflow 0
		.amdhsa_exception_fp_ieee_inexact 0
		.amdhsa_exception_int_div_zero 0
	.end_amdhsa_kernel
	.section	.text._ZN7rocprim17ROCPRIM_400000_NS6detail17trampoline_kernelINS0_14default_configENS1_25partition_config_selectorILNS1_17partition_subalgoE2EyNS0_10empty_typeEbEEZZNS1_14partition_implILS5_2ELb0ES3_jN6thrust23THRUST_200600_302600_NS6detail15normal_iteratorINSA_7pointerIyNSA_11hip_rocprim3tagENSA_11use_defaultESG_EEEEPS6_NSA_18transform_iteratorI7is_evenIyENSC_INSA_10device_ptrIyEEEESG_SG_EENS0_5tupleIJPySJ_EEENSR_IJSJ_SJ_EEES6_PlJS6_EEE10hipError_tPvRmT3_T4_T5_T6_T7_T9_mT8_P12ihipStream_tbDpT10_ENKUlT_T0_E_clISt17integral_constantIbLb1EES1F_EEDaS1A_S1B_EUlS1A_E_NS1_11comp_targetILNS1_3genE5ELNS1_11target_archE942ELNS1_3gpuE9ELNS1_3repE0EEENS1_30default_config_static_selectorELNS0_4arch9wavefront6targetE1EEEvT1_,"axG",@progbits,_ZN7rocprim17ROCPRIM_400000_NS6detail17trampoline_kernelINS0_14default_configENS1_25partition_config_selectorILNS1_17partition_subalgoE2EyNS0_10empty_typeEbEEZZNS1_14partition_implILS5_2ELb0ES3_jN6thrust23THRUST_200600_302600_NS6detail15normal_iteratorINSA_7pointerIyNSA_11hip_rocprim3tagENSA_11use_defaultESG_EEEEPS6_NSA_18transform_iteratorI7is_evenIyENSC_INSA_10device_ptrIyEEEESG_SG_EENS0_5tupleIJPySJ_EEENSR_IJSJ_SJ_EEES6_PlJS6_EEE10hipError_tPvRmT3_T4_T5_T6_T7_T9_mT8_P12ihipStream_tbDpT10_ENKUlT_T0_E_clISt17integral_constantIbLb1EES1F_EEDaS1A_S1B_EUlS1A_E_NS1_11comp_targetILNS1_3genE5ELNS1_11target_archE942ELNS1_3gpuE9ELNS1_3repE0EEENS1_30default_config_static_selectorELNS0_4arch9wavefront6targetE1EEEvT1_,comdat
.Lfunc_end2013:
	.size	_ZN7rocprim17ROCPRIM_400000_NS6detail17trampoline_kernelINS0_14default_configENS1_25partition_config_selectorILNS1_17partition_subalgoE2EyNS0_10empty_typeEbEEZZNS1_14partition_implILS5_2ELb0ES3_jN6thrust23THRUST_200600_302600_NS6detail15normal_iteratorINSA_7pointerIyNSA_11hip_rocprim3tagENSA_11use_defaultESG_EEEEPS6_NSA_18transform_iteratorI7is_evenIyENSC_INSA_10device_ptrIyEEEESG_SG_EENS0_5tupleIJPySJ_EEENSR_IJSJ_SJ_EEES6_PlJS6_EEE10hipError_tPvRmT3_T4_T5_T6_T7_T9_mT8_P12ihipStream_tbDpT10_ENKUlT_T0_E_clISt17integral_constantIbLb1EES1F_EEDaS1A_S1B_EUlS1A_E_NS1_11comp_targetILNS1_3genE5ELNS1_11target_archE942ELNS1_3gpuE9ELNS1_3repE0EEENS1_30default_config_static_selectorELNS0_4arch9wavefront6targetE1EEEvT1_, .Lfunc_end2013-_ZN7rocprim17ROCPRIM_400000_NS6detail17trampoline_kernelINS0_14default_configENS1_25partition_config_selectorILNS1_17partition_subalgoE2EyNS0_10empty_typeEbEEZZNS1_14partition_implILS5_2ELb0ES3_jN6thrust23THRUST_200600_302600_NS6detail15normal_iteratorINSA_7pointerIyNSA_11hip_rocprim3tagENSA_11use_defaultESG_EEEEPS6_NSA_18transform_iteratorI7is_evenIyENSC_INSA_10device_ptrIyEEEESG_SG_EENS0_5tupleIJPySJ_EEENSR_IJSJ_SJ_EEES6_PlJS6_EEE10hipError_tPvRmT3_T4_T5_T6_T7_T9_mT8_P12ihipStream_tbDpT10_ENKUlT_T0_E_clISt17integral_constantIbLb1EES1F_EEDaS1A_S1B_EUlS1A_E_NS1_11comp_targetILNS1_3genE5ELNS1_11target_archE942ELNS1_3gpuE9ELNS1_3repE0EEENS1_30default_config_static_selectorELNS0_4arch9wavefront6targetE1EEEvT1_
                                        ; -- End function
	.section	.AMDGPU.csdata,"",@progbits
; Kernel info:
; codeLenInByte = 0
; NumSgprs: 4
; NumVgprs: 0
; NumAgprs: 0
; TotalNumVgprs: 0
; ScratchSize: 0
; MemoryBound: 0
; FloatMode: 240
; IeeeMode: 1
; LDSByteSize: 0 bytes/workgroup (compile time only)
; SGPRBlocks: 0
; VGPRBlocks: 0
; NumSGPRsForWavesPerEU: 4
; NumVGPRsForWavesPerEU: 1
; AccumOffset: 4
; Occupancy: 8
; WaveLimiterHint : 0
; COMPUTE_PGM_RSRC2:SCRATCH_EN: 0
; COMPUTE_PGM_RSRC2:USER_SGPR: 6
; COMPUTE_PGM_RSRC2:TRAP_HANDLER: 0
; COMPUTE_PGM_RSRC2:TGID_X_EN: 1
; COMPUTE_PGM_RSRC2:TGID_Y_EN: 0
; COMPUTE_PGM_RSRC2:TGID_Z_EN: 0
; COMPUTE_PGM_RSRC2:TIDIG_COMP_CNT: 0
; COMPUTE_PGM_RSRC3_GFX90A:ACCUM_OFFSET: 0
; COMPUTE_PGM_RSRC3_GFX90A:TG_SPLIT: 0
	.section	.text._ZN7rocprim17ROCPRIM_400000_NS6detail17trampoline_kernelINS0_14default_configENS1_25partition_config_selectorILNS1_17partition_subalgoE2EyNS0_10empty_typeEbEEZZNS1_14partition_implILS5_2ELb0ES3_jN6thrust23THRUST_200600_302600_NS6detail15normal_iteratorINSA_7pointerIyNSA_11hip_rocprim3tagENSA_11use_defaultESG_EEEEPS6_NSA_18transform_iteratorI7is_evenIyENSC_INSA_10device_ptrIyEEEESG_SG_EENS0_5tupleIJPySJ_EEENSR_IJSJ_SJ_EEES6_PlJS6_EEE10hipError_tPvRmT3_T4_T5_T6_T7_T9_mT8_P12ihipStream_tbDpT10_ENKUlT_T0_E_clISt17integral_constantIbLb1EES1F_EEDaS1A_S1B_EUlS1A_E_NS1_11comp_targetILNS1_3genE4ELNS1_11target_archE910ELNS1_3gpuE8ELNS1_3repE0EEENS1_30default_config_static_selectorELNS0_4arch9wavefront6targetE1EEEvT1_,"axG",@progbits,_ZN7rocprim17ROCPRIM_400000_NS6detail17trampoline_kernelINS0_14default_configENS1_25partition_config_selectorILNS1_17partition_subalgoE2EyNS0_10empty_typeEbEEZZNS1_14partition_implILS5_2ELb0ES3_jN6thrust23THRUST_200600_302600_NS6detail15normal_iteratorINSA_7pointerIyNSA_11hip_rocprim3tagENSA_11use_defaultESG_EEEEPS6_NSA_18transform_iteratorI7is_evenIyENSC_INSA_10device_ptrIyEEEESG_SG_EENS0_5tupleIJPySJ_EEENSR_IJSJ_SJ_EEES6_PlJS6_EEE10hipError_tPvRmT3_T4_T5_T6_T7_T9_mT8_P12ihipStream_tbDpT10_ENKUlT_T0_E_clISt17integral_constantIbLb1EES1F_EEDaS1A_S1B_EUlS1A_E_NS1_11comp_targetILNS1_3genE4ELNS1_11target_archE910ELNS1_3gpuE8ELNS1_3repE0EEENS1_30default_config_static_selectorELNS0_4arch9wavefront6targetE1EEEvT1_,comdat
	.protected	_ZN7rocprim17ROCPRIM_400000_NS6detail17trampoline_kernelINS0_14default_configENS1_25partition_config_selectorILNS1_17partition_subalgoE2EyNS0_10empty_typeEbEEZZNS1_14partition_implILS5_2ELb0ES3_jN6thrust23THRUST_200600_302600_NS6detail15normal_iteratorINSA_7pointerIyNSA_11hip_rocprim3tagENSA_11use_defaultESG_EEEEPS6_NSA_18transform_iteratorI7is_evenIyENSC_INSA_10device_ptrIyEEEESG_SG_EENS0_5tupleIJPySJ_EEENSR_IJSJ_SJ_EEES6_PlJS6_EEE10hipError_tPvRmT3_T4_T5_T6_T7_T9_mT8_P12ihipStream_tbDpT10_ENKUlT_T0_E_clISt17integral_constantIbLb1EES1F_EEDaS1A_S1B_EUlS1A_E_NS1_11comp_targetILNS1_3genE4ELNS1_11target_archE910ELNS1_3gpuE8ELNS1_3repE0EEENS1_30default_config_static_selectorELNS0_4arch9wavefront6targetE1EEEvT1_ ; -- Begin function _ZN7rocprim17ROCPRIM_400000_NS6detail17trampoline_kernelINS0_14default_configENS1_25partition_config_selectorILNS1_17partition_subalgoE2EyNS0_10empty_typeEbEEZZNS1_14partition_implILS5_2ELb0ES3_jN6thrust23THRUST_200600_302600_NS6detail15normal_iteratorINSA_7pointerIyNSA_11hip_rocprim3tagENSA_11use_defaultESG_EEEEPS6_NSA_18transform_iteratorI7is_evenIyENSC_INSA_10device_ptrIyEEEESG_SG_EENS0_5tupleIJPySJ_EEENSR_IJSJ_SJ_EEES6_PlJS6_EEE10hipError_tPvRmT3_T4_T5_T6_T7_T9_mT8_P12ihipStream_tbDpT10_ENKUlT_T0_E_clISt17integral_constantIbLb1EES1F_EEDaS1A_S1B_EUlS1A_E_NS1_11comp_targetILNS1_3genE4ELNS1_11target_archE910ELNS1_3gpuE8ELNS1_3repE0EEENS1_30default_config_static_selectorELNS0_4arch9wavefront6targetE1EEEvT1_
	.globl	_ZN7rocprim17ROCPRIM_400000_NS6detail17trampoline_kernelINS0_14default_configENS1_25partition_config_selectorILNS1_17partition_subalgoE2EyNS0_10empty_typeEbEEZZNS1_14partition_implILS5_2ELb0ES3_jN6thrust23THRUST_200600_302600_NS6detail15normal_iteratorINSA_7pointerIyNSA_11hip_rocprim3tagENSA_11use_defaultESG_EEEEPS6_NSA_18transform_iteratorI7is_evenIyENSC_INSA_10device_ptrIyEEEESG_SG_EENS0_5tupleIJPySJ_EEENSR_IJSJ_SJ_EEES6_PlJS6_EEE10hipError_tPvRmT3_T4_T5_T6_T7_T9_mT8_P12ihipStream_tbDpT10_ENKUlT_T0_E_clISt17integral_constantIbLb1EES1F_EEDaS1A_S1B_EUlS1A_E_NS1_11comp_targetILNS1_3genE4ELNS1_11target_archE910ELNS1_3gpuE8ELNS1_3repE0EEENS1_30default_config_static_selectorELNS0_4arch9wavefront6targetE1EEEvT1_
	.p2align	8
	.type	_ZN7rocprim17ROCPRIM_400000_NS6detail17trampoline_kernelINS0_14default_configENS1_25partition_config_selectorILNS1_17partition_subalgoE2EyNS0_10empty_typeEbEEZZNS1_14partition_implILS5_2ELb0ES3_jN6thrust23THRUST_200600_302600_NS6detail15normal_iteratorINSA_7pointerIyNSA_11hip_rocprim3tagENSA_11use_defaultESG_EEEEPS6_NSA_18transform_iteratorI7is_evenIyENSC_INSA_10device_ptrIyEEEESG_SG_EENS0_5tupleIJPySJ_EEENSR_IJSJ_SJ_EEES6_PlJS6_EEE10hipError_tPvRmT3_T4_T5_T6_T7_T9_mT8_P12ihipStream_tbDpT10_ENKUlT_T0_E_clISt17integral_constantIbLb1EES1F_EEDaS1A_S1B_EUlS1A_E_NS1_11comp_targetILNS1_3genE4ELNS1_11target_archE910ELNS1_3gpuE8ELNS1_3repE0EEENS1_30default_config_static_selectorELNS0_4arch9wavefront6targetE1EEEvT1_,@function
_ZN7rocprim17ROCPRIM_400000_NS6detail17trampoline_kernelINS0_14default_configENS1_25partition_config_selectorILNS1_17partition_subalgoE2EyNS0_10empty_typeEbEEZZNS1_14partition_implILS5_2ELb0ES3_jN6thrust23THRUST_200600_302600_NS6detail15normal_iteratorINSA_7pointerIyNSA_11hip_rocprim3tagENSA_11use_defaultESG_EEEEPS6_NSA_18transform_iteratorI7is_evenIyENSC_INSA_10device_ptrIyEEEESG_SG_EENS0_5tupleIJPySJ_EEENSR_IJSJ_SJ_EEES6_PlJS6_EEE10hipError_tPvRmT3_T4_T5_T6_T7_T9_mT8_P12ihipStream_tbDpT10_ENKUlT_T0_E_clISt17integral_constantIbLb1EES1F_EEDaS1A_S1B_EUlS1A_E_NS1_11comp_targetILNS1_3genE4ELNS1_11target_archE910ELNS1_3gpuE8ELNS1_3repE0EEENS1_30default_config_static_selectorELNS0_4arch9wavefront6targetE1EEEvT1_: ; @_ZN7rocprim17ROCPRIM_400000_NS6detail17trampoline_kernelINS0_14default_configENS1_25partition_config_selectorILNS1_17partition_subalgoE2EyNS0_10empty_typeEbEEZZNS1_14partition_implILS5_2ELb0ES3_jN6thrust23THRUST_200600_302600_NS6detail15normal_iteratorINSA_7pointerIyNSA_11hip_rocprim3tagENSA_11use_defaultESG_EEEEPS6_NSA_18transform_iteratorI7is_evenIyENSC_INSA_10device_ptrIyEEEESG_SG_EENS0_5tupleIJPySJ_EEENSR_IJSJ_SJ_EEES6_PlJS6_EEE10hipError_tPvRmT3_T4_T5_T6_T7_T9_mT8_P12ihipStream_tbDpT10_ENKUlT_T0_E_clISt17integral_constantIbLb1EES1F_EEDaS1A_S1B_EUlS1A_E_NS1_11comp_targetILNS1_3genE4ELNS1_11target_archE910ELNS1_3gpuE8ELNS1_3repE0EEENS1_30default_config_static_selectorELNS0_4arch9wavefront6targetE1EEEvT1_
; %bb.0:
	s_load_dwordx2 s[6:7], s[4:5], 0x20
	s_load_dwordx2 s[24:25], s[4:5], 0x30
	;; [unrolled: 1-line block ×3, first 2 shown]
	s_load_dwordx4 s[20:23], s[4:5], 0x50
	s_load_dwordx2 s[34:35], s[4:5], 0x70
	v_cmp_eq_u32_e64 s[0:1], 0, v0
	s_and_saveexec_b64 s[2:3], s[0:1]
	s_cbranch_execz .LBB2014_4
; %bb.1:
	s_mov_b64 s[10:11], exec
	v_mbcnt_lo_u32_b32 v1, s10, 0
	v_mbcnt_hi_u32_b32 v1, s11, v1
	v_cmp_eq_u32_e32 vcc, 0, v1
                                        ; implicit-def: $vgpr2
	s_and_saveexec_b64 s[8:9], vcc
	s_cbranch_execz .LBB2014_3
; %bb.2:
	s_load_dwordx2 s[12:13], s[4:5], 0x80
	s_bcnt1_i32_b64 s10, s[10:11]
	v_mov_b32_e32 v2, 0
	v_mov_b32_e32 v3, s10
	s_waitcnt lgkmcnt(0)
	global_atomic_add v2, v2, v3, s[12:13] glc
.LBB2014_3:
	s_or_b64 exec, exec, s[8:9]
	s_waitcnt vmcnt(0)
	v_readfirstlane_b32 s8, v2
	v_add_u32_e32 v1, s8, v1
	v_mov_b32_e32 v2, 0
	ds_write_b32 v2, v1
.LBB2014_4:
	s_or_b64 exec, exec, s[2:3]
	v_mov_b32_e32 v1, 0
	s_load_dwordx4 s[16:19], s[4:5], 0x8
	s_load_dword s2, s[4:5], 0x78
	s_waitcnt lgkmcnt(0)
	s_barrier
	ds_read_b32 v2, v1
	s_waitcnt lgkmcnt(0)
	s_barrier
	global_load_dwordx2 v[10:11], v1, s[22:23]
	s_lshl_b64 s[4:5], s[18:19], 3
	s_add_u32 s10, s16, s4
	s_addc_u32 s11, s17, s5
	s_add_i32 s8, s2, -1
	s_mulk_i32 s2, 0x300
	s_add_i32 s3, s2, s18
	s_sub_i32 s33, s26, s3
	s_addk_i32 s33, 0x300
	s_add_u32 s2, s18, s2
	v_readfirstlane_b32 s42, v2
	s_addc_u32 s3, s19, 0
	s_cmp_eq_u32 s42, s8
	v_pk_mov_b32 v[2:3], s[26:27], s[26:27] op_sel:[0,1]
	s_cselect_b64 s[22:23], -1, 0
	s_cmp_lg_u32 s42, s8
	s_mul_i32 s28, s42, 0x300
	s_mov_b32 s29, 0
	v_cmp_lt_u64_e32 vcc, s[2:3], v[2:3]
	s_cselect_b64 s[2:3], -1, 0
	s_or_b64 s[30:31], vcc, s[2:3]
	s_lshl_b64 s[8:9], s[28:29], 3
	s_add_u32 s12, s10, s8
	s_addc_u32 s13, s11, s9
	s_mov_b64 s[2:3], -1
	s_and_b64 vcc, exec, s[30:31]
	v_lshlrev_b32_e32 v1, 3, v0
	v_lshrrev_b32_e32 v12, 2, v0
	s_cbranch_vccz .LBB2014_6
; %bb.5:
	v_mov_b32_e32 v3, s13
	v_add_co_u32_e32 v2, vcc, s12, v1
	v_addc_co_u32_e32 v3, vcc, 0, v3, vcc
	v_add_co_u32_e32 v4, vcc, 0x1000, v2
	v_addc_co_u32_e32 v5, vcc, 0, v3, vcc
	flat_load_dwordx2 v[6:7], v[2:3]
	flat_load_dwordx2 v[8:9], v[2:3] offset:1536
	flat_load_dwordx2 v[14:15], v[2:3] offset:3072
	;; [unrolled: 1-line block ×3, first 2 shown]
	v_add_u32_e32 v3, 0xc0, v0
	v_add_u32_e32 v4, 0x180, v0
	;; [unrolled: 1-line block ×3, first 2 shown]
	v_and_b32_e32 v2, 56, v12
	v_lshrrev_b32_e32 v3, 2, v3
	v_lshrrev_b32_e32 v4, 2, v4
	;; [unrolled: 1-line block ×3, first 2 shown]
	v_add_u32_e32 v2, v2, v1
	v_and_b32_e32 v3, 0x78, v3
	v_and_b32_e32 v4, 0xf8, v4
	;; [unrolled: 1-line block ×3, first 2 shown]
	v_add_u32_e32 v3, v3, v1
	v_add_u32_e32 v4, v4, v1
	;; [unrolled: 1-line block ×3, first 2 shown]
	s_mov_b64 s[2:3], 0
	s_waitcnt vmcnt(0) lgkmcnt(0)
	ds_write_b64 v2, v[6:7]
	ds_write_b64 v3, v[8:9] offset:1536
	ds_write_b64 v4, v[14:15] offset:3072
	;; [unrolled: 1-line block ×3, first 2 shown]
	s_waitcnt lgkmcnt(0)
	s_barrier
.LBB2014_6:
	s_andn2_b64 vcc, exec, s[2:3]
	v_cmp_gt_u32_e64 s[2:3], s33, v0
	s_cbranch_vccnz .LBB2014_16
; %bb.7:
                                        ; implicit-def: $vgpr2_vgpr3_vgpr4_vgpr5_vgpr6_vgpr7_vgpr8_vgpr9
	s_and_saveexec_b64 s[10:11], s[2:3]
	s_cbranch_execz .LBB2014_9
; %bb.8:
	v_mov_b32_e32 v3, s13
	v_add_co_u32_e32 v2, vcc, s12, v1
	v_addc_co_u32_e32 v3, vcc, 0, v3, vcc
	flat_load_dwordx2 v[2:3], v[2:3]
.LBB2014_9:
	s_or_b64 exec, exec, s[10:11]
	v_add_u32_e32 v13, 0xc0, v0
	v_cmp_gt_u32_e32 vcc, s33, v13
	s_and_saveexec_b64 s[2:3], vcc
	s_cbranch_execz .LBB2014_11
; %bb.10:
	v_mov_b32_e32 v5, s13
	v_add_co_u32_e32 v4, vcc, s12, v1
	v_addc_co_u32_e32 v5, vcc, 0, v5, vcc
	flat_load_dwordx2 v[4:5], v[4:5] offset:1536
.LBB2014_11:
	s_or_b64 exec, exec, s[2:3]
	v_add_u32_e32 v14, 0x180, v0
	v_cmp_gt_u32_e32 vcc, s33, v14
	s_and_saveexec_b64 s[2:3], vcc
	s_cbranch_execz .LBB2014_13
; %bb.12:
	v_mov_b32_e32 v7, s13
	v_add_co_u32_e32 v6, vcc, s12, v1
	v_addc_co_u32_e32 v7, vcc, 0, v7, vcc
	flat_load_dwordx2 v[6:7], v[6:7] offset:3072
.LBB2014_13:
	s_or_b64 exec, exec, s[2:3]
	v_add_u32_e32 v15, 0x240, v0
	v_cmp_gt_u32_e32 vcc, s33, v15
	s_and_saveexec_b64 s[2:3], vcc
	s_cbranch_execz .LBB2014_15
; %bb.14:
	v_lshlrev_b32_e32 v8, 3, v15
	v_mov_b32_e32 v9, s13
	v_add_co_u32_e32 v8, vcc, s12, v8
	v_addc_co_u32_e32 v9, vcc, 0, v9, vcc
	flat_load_dwordx2 v[8:9], v[8:9]
.LBB2014_15:
	s_or_b64 exec, exec, s[2:3]
	v_and_b32_e32 v12, 56, v12
	v_add_u32_e32 v12, v12, v1
	s_waitcnt vmcnt(0) lgkmcnt(0)
	ds_write_b64 v12, v[2:3]
	v_lshrrev_b32_e32 v2, 2, v13
	v_and_b32_e32 v2, 0x78, v2
	v_add_u32_e32 v2, v2, v1
	ds_write_b64 v2, v[4:5] offset:1536
	v_lshrrev_b32_e32 v2, 2, v14
	v_and_b32_e32 v2, 0xf8, v2
	v_add_u32_e32 v2, v2, v1
	ds_write_b64 v2, v[6:7] offset:3072
	;; [unrolled: 4-line block ×3, first 2 shown]
	s_waitcnt lgkmcnt(0)
	s_barrier
.LBB2014_16:
	v_lshlrev_b32_e32 v22, 2, v0
	v_lshrrev_b32_e32 v12, 3, v0
	v_add_lshl_u32 v2, v12, v22, 3
	ds_read2_b64 v[6:9], v2 offset1:1
	ds_read2_b64 v[2:5], v2 offset0:2 offset1:3
	s_add_u32 s2, s6, s4
	s_addc_u32 s3, s7, s5
	s_add_u32 s2, s2, s8
	s_addc_u32 s3, s3, s9
	s_mov_b64 s[4:5], -1
	s_and_b64 vcc, exec, s[30:31]
	v_lshrrev_b32_e32 v13, 5, v0
	s_waitcnt lgkmcnt(0)
	s_barrier
	s_cbranch_vccz .LBB2014_18
; %bb.17:
	global_load_dwordx2 v[14:15], v1, s[2:3]
	global_load_dwordx2 v[16:17], v1, s[2:3] offset:1536
	global_load_dwordx2 v[18:19], v1, s[2:3] offset:3072
	v_mov_b32_e32 v20, s3
	s_waitcnt vmcnt(2)
	v_add_co_u32_e32 v15, vcc, s2, v1
	s_waitcnt vmcnt(1)
	v_addc_co_u32_e32 v17, vcc, 0, v20, vcc
	v_add_co_u32_e32 v20, vcc, 0x1000, v15
	v_addc_co_u32_e32 v21, vcc, 0, v17, vcc
	global_load_dwordx2 v[20:21], v[20:21], off offset:512
	v_add_u32_e32 v17, 0xc0, v0
	s_waitcnt vmcnt(1)
	v_add_u32_e32 v19, 0x180, v0
	v_and_b32_e32 v15, 4, v13
	s_waitcnt vmcnt(0)
	v_add_u32_e32 v21, 0x240, v0
	v_lshrrev_b32_e32 v17, 5, v17
	v_lshrrev_b32_e32 v19, 5, v19
	v_add_u32_e32 v15, v15, v0
	v_lshrrev_b32_e32 v21, 5, v21
	v_and_b32_e32 v17, 12, v17
	v_and_b32_e32 v19, 28, v19
	;; [unrolled: 1-line block ×3, first 2 shown]
	v_add_u32_e32 v17, v17, v0
	v_add_u32_e32 v19, v19, v0
	;; [unrolled: 1-line block ×3, first 2 shown]
	s_mov_b64 s[4:5], 0
	v_xor_b32_e32 v14, -1, v14
	v_xor_b32_e32 v16, -1, v16
	v_xor_b32_e32 v18, -1, v18
	v_and_b32_e32 v14, 1, v14
	v_and_b32_e32 v16, 1, v16
	;; [unrolled: 1-line block ×3, first 2 shown]
	ds_write_b8 v15, v14
	ds_write_b8 v17, v16 offset:192
	ds_write_b8 v19, v18 offset:384
	v_xor_b32_e32 v14, -1, v20
	v_and_b32_e32 v14, 1, v14
	ds_write_b8 v21, v14 offset:576
	s_waitcnt lgkmcnt(0)
	s_barrier
.LBB2014_18:
	s_andn2_b64 vcc, exec, s[4:5]
	s_cbranch_vccnz .LBB2014_28
; %bb.19:
	v_cmp_gt_u32_e32 vcc, s33, v0
	v_mov_b32_e32 v14, 0
	v_mov_b32_e32 v15, 0
	s_and_saveexec_b64 s[4:5], vcc
	s_cbranch_execz .LBB2014_21
; %bb.20:
	global_load_dwordx2 v[16:17], v1, s[2:3]
	s_waitcnt vmcnt(0)
	v_xor_b32_e32 v15, -1, v16
	v_and_b32_e32 v15, 1, v15
.LBB2014_21:
	s_or_b64 exec, exec, s[4:5]
	v_add_u32_e32 v16, 0xc0, v0
	v_cmp_gt_u32_e32 vcc, s33, v16
	s_and_saveexec_b64 s[4:5], vcc
	s_cbranch_execz .LBB2014_23
; %bb.22:
	global_load_dwordx2 v[18:19], v1, s[2:3] offset:1536
	s_waitcnt vmcnt(0)
	v_xor_b32_e32 v14, -1, v18
	v_and_b32_e32 v14, 1, v14
.LBB2014_23:
	s_or_b64 exec, exec, s[4:5]
	v_add_u32_e32 v18, 0x180, v0
	v_cmp_gt_u32_e32 vcc, s33, v18
	v_mov_b32_e32 v17, 0
	v_mov_b32_e32 v19, 0
	s_and_saveexec_b64 s[4:5], vcc
	s_cbranch_execz .LBB2014_25
; %bb.24:
	global_load_dwordx2 v[20:21], v1, s[2:3] offset:3072
	s_waitcnt vmcnt(0)
	v_xor_b32_e32 v19, -1, v20
	v_and_b32_e32 v19, 1, v19
.LBB2014_25:
	s_or_b64 exec, exec, s[4:5]
	v_add_u32_e32 v20, 0x240, v0
	v_cmp_gt_u32_e32 vcc, s33, v20
	s_and_saveexec_b64 s[4:5], vcc
	s_cbranch_execz .LBB2014_27
; %bb.26:
	v_lshlrev_b32_e32 v17, 3, v20
	global_load_dwordx2 v[24:25], v17, s[2:3]
	s_waitcnt vmcnt(0)
	v_xor_b32_e32 v17, -1, v24
	v_and_b32_e32 v17, 1, v17
.LBB2014_27:
	s_or_b64 exec, exec, s[4:5]
	v_and_b32_e32 v13, 4, v13
	v_add_u32_e32 v13, v13, v0
	ds_write_b8 v13, v15
	v_lshrrev_b32_e32 v13, 5, v16
	v_and_b32_e32 v13, 12, v13
	v_add_u32_e32 v13, v13, v0
	ds_write_b8 v13, v14 offset:192
	v_lshrrev_b32_e32 v13, 5, v18
	v_and_b32_e32 v13, 28, v13
	v_add_u32_e32 v13, v13, v0
	ds_write_b8 v13, v19 offset:384
	;; [unrolled: 4-line block ×3, first 2 shown]
	s_waitcnt lgkmcnt(0)
	s_barrier
.LBB2014_28:
	v_and_b32_e32 v12, 28, v12
	v_add_u32_e32 v12, v12, v22
	ds_read_b32 v24, v12
	s_cmp_lg_u32 s42, 0
	v_lshrrev_b32_e32 v27, 6, v0
	s_waitcnt lgkmcnt(0)
	s_barrier
	v_lshrrev_b32_e32 v23, 24, v24
	v_bfe_u32 v25, v24, 16, 8
	v_add_u32_sdwa v12, v24, v24 dst_sel:DWORD dst_unused:UNUSED_PAD src0_sel:BYTE_1 src1_sel:BYTE_0
	v_add3_u32 v28, v12, v25, v23
	v_mbcnt_lo_u32_b32 v12, -1, 0
	v_mbcnt_hi_u32_b32 v26, -1, v12
	v_and_b32_e32 v12, 15, v26
	v_cmp_eq_u32_e64 s[14:15], 0, v12
	v_cmp_lt_u32_e64 s[12:13], 1, v12
	v_cmp_lt_u32_e64 s[10:11], 3, v12
	;; [unrolled: 1-line block ×3, first 2 shown]
	v_and_b32_e32 v12, 16, v26
	v_cmp_eq_u32_e64 s[4:5], 0, v12
	v_and_b32_e32 v12, 0xc0, v0
	v_min_u32_e32 v12, 0x80, v12
	v_or_b32_e32 v12, 63, v12
	v_cmp_lt_u32_e64 s[2:3], 31, v26
	v_cmp_eq_u32_e64 s[6:7], v12, v0
	s_cbranch_scc0 .LBB2014_59
; %bb.29:
	v_mov_b32_dpp v12, v28 row_shr:1 row_mask:0xf bank_mask:0xf
	v_cndmask_b32_e64 v12, v12, 0, s[14:15]
	v_add_u32_e32 v12, v12, v28
	s_nop 1
	v_mov_b32_dpp v13, v12 row_shr:2 row_mask:0xf bank_mask:0xf
	v_cndmask_b32_e64 v13, 0, v13, s[12:13]
	v_add_u32_e32 v12, v12, v13
	s_nop 1
	;; [unrolled: 4-line block ×4, first 2 shown]
	v_mov_b32_dpp v13, v12 row_bcast:15 row_mask:0xf bank_mask:0xf
	v_cndmask_b32_e64 v13, v13, 0, s[4:5]
	v_add_u32_e32 v12, v12, v13
	s_nop 1
	v_mov_b32_dpp v13, v12 row_bcast:31 row_mask:0xf bank_mask:0xf
	v_cndmask_b32_e64 v13, 0, v13, s[2:3]
	v_add_u32_e32 v12, v12, v13
	s_and_saveexec_b64 s[16:17], s[6:7]
	s_cbranch_execz .LBB2014_31
; %bb.30:
	v_lshlrev_b32_e32 v13, 2, v27
	ds_write_b32 v13, v12
.LBB2014_31:
	s_or_b64 exec, exec, s[16:17]
	v_cmp_gt_u32_e32 vcc, 3, v0
	s_waitcnt lgkmcnt(0)
	s_barrier
	s_and_saveexec_b64 s[16:17], vcc
	s_cbranch_execz .LBB2014_33
; %bb.32:
	ds_read_b32 v13, v22
	v_and_b32_e32 v14, 3, v26
	v_cmp_ne_u32_e32 vcc, 0, v14
	s_waitcnt lgkmcnt(0)
	v_mov_b32_dpp v15, v13 row_shr:1 row_mask:0xf bank_mask:0xf
	v_cndmask_b32_e32 v15, 0, v15, vcc
	v_add_u32_e32 v13, v15, v13
	v_cmp_lt_u32_e32 vcc, 1, v14
	s_nop 0
	v_mov_b32_dpp v15, v13 row_shr:2 row_mask:0xf bank_mask:0xf
	v_cndmask_b32_e32 v14, 0, v15, vcc
	v_add_u32_e32 v13, v13, v14
	ds_write_b32 v22, v13
.LBB2014_33:
	s_or_b64 exec, exec, s[16:17]
	v_cmp_gt_u32_e32 vcc, 64, v0
	v_cmp_lt_u32_e64 s[16:17], 63, v0
	s_waitcnt lgkmcnt(0)
	s_barrier
	s_waitcnt lgkmcnt(0)
                                        ; implicit-def: $vgpr29
	s_and_saveexec_b64 s[36:37], s[16:17]
	s_cbranch_execz .LBB2014_35
; %bb.34:
	v_lshl_add_u32 v13, v27, 2, -4
	ds_read_b32 v29, v13
	s_waitcnt lgkmcnt(0)
	v_add_u32_e32 v12, v29, v12
.LBB2014_35:
	s_or_b64 exec, exec, s[36:37]
	v_add_u32_e32 v13, -1, v26
	v_and_b32_e32 v14, 64, v26
	v_cmp_lt_i32_e64 s[16:17], v13, v14
	v_cndmask_b32_e64 v13, v13, v26, s[16:17]
	v_lshlrev_b32_e32 v13, 2, v13
	ds_bpermute_b32 v30, v13, v12
	v_cmp_eq_u32_e64 s[16:17], 0, v26
	s_and_saveexec_b64 s[36:37], vcc
	s_cbranch_execz .LBB2014_58
; %bb.36:
	v_mov_b32_e32 v21, 0
	ds_read_b32 v12, v21 offset:8
	s_and_saveexec_b64 s[38:39], s[16:17]
	s_cbranch_execz .LBB2014_38
; %bb.37:
	s_add_i32 s40, s42, 64
	s_mov_b32 s41, 0
	s_lshl_b64 s[40:41], s[40:41], 3
	s_add_u32 s40, s34, s40
	v_mov_b32_e32 v13, 1
	s_addc_u32 s41, s35, s41
	s_waitcnt lgkmcnt(0)
	global_store_dwordx2 v21, v[12:13], s[40:41]
.LBB2014_38:
	s_or_b64 exec, exec, s[38:39]
	v_xad_u32 v14, v26, -1, s42
	v_add_u32_e32 v20, 64, v14
	v_lshlrev_b64 v[16:17], 3, v[20:21]
	v_mov_b32_e32 v13, s35
	v_add_co_u32_e32 v16, vcc, s34, v16
	v_addc_co_u32_e32 v17, vcc, v13, v17, vcc
	global_load_dwordx2 v[18:19], v[16:17], off glc
	s_waitcnt vmcnt(0)
	v_cmp_eq_u16_sdwa s[40:41], v19, v21 src0_sel:BYTE_0 src1_sel:DWORD
	s_and_saveexec_b64 s[38:39], s[40:41]
	s_cbranch_execz .LBB2014_44
; %bb.39:
	s_mov_b32 s29, 1
	s_mov_b64 s[40:41], 0
	v_mov_b32_e32 v13, 0
.LBB2014_40:                            ; =>This Loop Header: Depth=1
                                        ;     Child Loop BB2014_41 Depth 2
	s_max_u32 s43, s29, 1
.LBB2014_41:                            ;   Parent Loop BB2014_40 Depth=1
                                        ; =>  This Inner Loop Header: Depth=2
	s_add_i32 s43, s43, -1
	s_cmp_eq_u32 s43, 0
	s_sleep 1
	s_cbranch_scc0 .LBB2014_41
; %bb.42:                               ;   in Loop: Header=BB2014_40 Depth=1
	global_load_dwordx2 v[18:19], v[16:17], off glc
	s_cmp_lt_u32 s29, 32
	s_cselect_b64 s[44:45], -1, 0
	s_cmp_lg_u64 s[44:45], 0
	s_addc_u32 s29, s29, 0
	s_waitcnt vmcnt(0)
	v_cmp_ne_u16_sdwa s[44:45], v19, v13 src0_sel:BYTE_0 src1_sel:DWORD
	s_or_b64 s[40:41], s[44:45], s[40:41]
	s_andn2_b64 exec, exec, s[40:41]
	s_cbranch_execnz .LBB2014_40
; %bb.43:
	s_or_b64 exec, exec, s[40:41]
.LBB2014_44:
	s_or_b64 exec, exec, s[38:39]
	v_and_b32_e32 v32, 63, v26
	v_mov_b32_e32 v31, 2
	v_cmp_ne_u32_e32 vcc, 63, v32
	v_cmp_eq_u16_sdwa s[38:39], v19, v31 src0_sel:BYTE_0 src1_sel:DWORD
	v_lshlrev_b64 v[16:17], v26, -1
	v_addc_co_u32_e32 v20, vcc, 0, v26, vcc
	v_and_b32_e32 v13, s39, v17
	v_lshlrev_b32_e32 v33, 2, v20
	v_or_b32_e32 v13, 0x80000000, v13
	ds_bpermute_b32 v20, v33, v18
	v_and_b32_e32 v15, s38, v16
	v_ffbl_b32_e32 v13, v13
	v_add_u32_e32 v13, 32, v13
	v_ffbl_b32_e32 v15, v15
	v_min_u32_e32 v13, v15, v13
	v_cmp_lt_u32_e32 vcc, v32, v13
	s_waitcnt lgkmcnt(0)
	v_cndmask_b32_e32 v15, 0, v20, vcc
	v_cmp_gt_u32_e32 vcc, 62, v32
	v_add_u32_e32 v15, v15, v18
	v_cndmask_b32_e64 v18, 0, 1, vcc
	v_lshlrev_b32_e32 v18, 1, v18
	v_add_lshl_u32 v34, v18, v26, 2
	ds_bpermute_b32 v18, v34, v15
	v_add_u32_e32 v35, 2, v32
	v_cmp_le_u32_e32 vcc, v35, v13
	v_add_u32_e32 v37, 4, v32
	v_add_u32_e32 v39, 8, v32
	s_waitcnt lgkmcnt(0)
	v_cndmask_b32_e32 v18, 0, v18, vcc
	v_cmp_gt_u32_e32 vcc, 60, v32
	v_add_u32_e32 v15, v15, v18
	v_cndmask_b32_e64 v18, 0, 1, vcc
	v_lshlrev_b32_e32 v18, 2, v18
	v_add_lshl_u32 v36, v18, v26, 2
	ds_bpermute_b32 v18, v36, v15
	v_cmp_le_u32_e32 vcc, v37, v13
	v_add_u32_e32 v41, 16, v32
	v_add_u32_e32 v43, 32, v32
	s_waitcnt lgkmcnt(0)
	v_cndmask_b32_e32 v18, 0, v18, vcc
	v_cmp_gt_u32_e32 vcc, 56, v32
	v_add_u32_e32 v15, v15, v18
	v_cndmask_b32_e64 v18, 0, 1, vcc
	v_lshlrev_b32_e32 v18, 3, v18
	v_add_lshl_u32 v38, v18, v26, 2
	ds_bpermute_b32 v18, v38, v15
	v_cmp_le_u32_e32 vcc, v39, v13
	s_waitcnt lgkmcnt(0)
	v_cndmask_b32_e32 v18, 0, v18, vcc
	v_cmp_gt_u32_e32 vcc, 48, v32
	v_add_u32_e32 v15, v15, v18
	v_cndmask_b32_e64 v18, 0, 1, vcc
	v_lshlrev_b32_e32 v18, 4, v18
	v_add_lshl_u32 v40, v18, v26, 2
	ds_bpermute_b32 v18, v40, v15
	v_cmp_le_u32_e32 vcc, v41, v13
	;; [unrolled: 9-line block ×3, first 2 shown]
	s_waitcnt lgkmcnt(0)
	v_cndmask_b32_e32 v13, 0, v18, vcc
	v_add_u32_e32 v18, v15, v13
	v_mov_b32_e32 v15, 0
	s_branch .LBB2014_46
.LBB2014_45:                            ;   in Loop: Header=BB2014_46 Depth=1
	s_or_b64 exec, exec, s[38:39]
	v_cmp_eq_u16_sdwa s[38:39], v19, v31 src0_sel:BYTE_0 src1_sel:DWORD
	v_and_b32_e32 v20, s39, v17
	v_or_b32_e32 v20, 0x80000000, v20
	ds_bpermute_b32 v44, v33, v18
	v_and_b32_e32 v21, s38, v16
	v_ffbl_b32_e32 v20, v20
	v_add_u32_e32 v20, 32, v20
	v_ffbl_b32_e32 v21, v21
	v_min_u32_e32 v20, v21, v20
	v_cmp_lt_u32_e32 vcc, v32, v20
	s_waitcnt lgkmcnt(0)
	v_cndmask_b32_e32 v21, 0, v44, vcc
	v_add_u32_e32 v18, v21, v18
	ds_bpermute_b32 v21, v34, v18
	v_cmp_le_u32_e32 vcc, v35, v20
	v_subrev_u32_e32 v14, 64, v14
	s_waitcnt lgkmcnt(0)
	v_cndmask_b32_e32 v21, 0, v21, vcc
	v_add_u32_e32 v18, v18, v21
	ds_bpermute_b32 v21, v36, v18
	v_cmp_le_u32_e32 vcc, v37, v20
	s_waitcnt lgkmcnt(0)
	v_cndmask_b32_e32 v21, 0, v21, vcc
	v_add_u32_e32 v18, v18, v21
	ds_bpermute_b32 v21, v38, v18
	v_cmp_le_u32_e32 vcc, v39, v20
	;; [unrolled: 5-line block ×4, first 2 shown]
	s_waitcnt lgkmcnt(0)
	v_cndmask_b32_e32 v20, 0, v21, vcc
	v_add3_u32 v18, v20, v13, v18
.LBB2014_46:                            ; =>This Loop Header: Depth=1
                                        ;     Child Loop BB2014_49 Depth 2
                                        ;       Child Loop BB2014_50 Depth 3
	v_cmp_ne_u16_sdwa s[38:39], v19, v31 src0_sel:BYTE_0 src1_sel:DWORD
	v_cndmask_b32_e64 v13, 0, 1, s[38:39]
	;;#ASMSTART
	;;#ASMEND
	v_cmp_ne_u32_e32 vcc, 0, v13
	s_cmp_lg_u64 vcc, exec
	v_mov_b32_e32 v13, v18
	s_cbranch_scc1 .LBB2014_53
; %bb.47:                               ;   in Loop: Header=BB2014_46 Depth=1
	v_lshlrev_b64 v[18:19], 3, v[14:15]
	v_mov_b32_e32 v21, s35
	v_add_co_u32_e32 v20, vcc, s34, v18
	v_addc_co_u32_e32 v21, vcc, v21, v19, vcc
	global_load_dwordx2 v[18:19], v[20:21], off glc
	s_waitcnt vmcnt(0)
	v_cmp_eq_u16_sdwa s[40:41], v19, v15 src0_sel:BYTE_0 src1_sel:DWORD
	s_and_saveexec_b64 s[38:39], s[40:41]
	s_cbranch_execz .LBB2014_45
; %bb.48:                               ;   in Loop: Header=BB2014_46 Depth=1
	s_mov_b32 s29, 1
	s_mov_b64 s[40:41], 0
.LBB2014_49:                            ;   Parent Loop BB2014_46 Depth=1
                                        ; =>  This Loop Header: Depth=2
                                        ;       Child Loop BB2014_50 Depth 3
	s_max_u32 s43, s29, 1
.LBB2014_50:                            ;   Parent Loop BB2014_46 Depth=1
                                        ;     Parent Loop BB2014_49 Depth=2
                                        ; =>    This Inner Loop Header: Depth=3
	s_add_i32 s43, s43, -1
	s_cmp_eq_u32 s43, 0
	s_sleep 1
	s_cbranch_scc0 .LBB2014_50
; %bb.51:                               ;   in Loop: Header=BB2014_49 Depth=2
	global_load_dwordx2 v[18:19], v[20:21], off glc
	s_cmp_lt_u32 s29, 32
	s_cselect_b64 s[44:45], -1, 0
	s_cmp_lg_u64 s[44:45], 0
	s_addc_u32 s29, s29, 0
	s_waitcnt vmcnt(0)
	v_cmp_ne_u16_sdwa s[44:45], v19, v15 src0_sel:BYTE_0 src1_sel:DWORD
	s_or_b64 s[40:41], s[44:45], s[40:41]
	s_andn2_b64 exec, exec, s[40:41]
	s_cbranch_execnz .LBB2014_49
; %bb.52:                               ;   in Loop: Header=BB2014_46 Depth=1
	s_or_b64 exec, exec, s[40:41]
	s_branch .LBB2014_45
.LBB2014_53:                            ;   in Loop: Header=BB2014_46 Depth=1
                                        ; implicit-def: $vgpr18
                                        ; implicit-def: $vgpr19
	s_cbranch_execz .LBB2014_46
; %bb.54:
	s_and_saveexec_b64 s[38:39], s[16:17]
	s_cbranch_execz .LBB2014_56
; %bb.55:
	s_add_i32 s40, s42, 64
	s_mov_b32 s41, 0
	s_lshl_b64 s[40:41], s[40:41], 3
	s_add_u32 s40, s34, s40
	v_add_u32_e32 v14, v13, v12
	v_mov_b32_e32 v15, 2
	s_addc_u32 s41, s35, s41
	v_mov_b32_e32 v16, 0
	global_store_dwordx2 v16, v[14:15], s[40:41]
	ds_write_b64 v16, v[12:13] offset:6336
.LBB2014_56:
	s_or_b64 exec, exec, s[38:39]
	s_and_b64 exec, exec, s[0:1]
	s_cbranch_execz .LBB2014_58
; %bb.57:
	v_mov_b32_e32 v12, 0
	ds_write_b32 v12, v13 offset:8
.LBB2014_58:
	s_or_b64 exec, exec, s[36:37]
	v_mov_b32_e32 v12, 0
	s_waitcnt lgkmcnt(0)
	s_barrier
	ds_read_b32 v13, v12 offset:8
	v_cndmask_b32_e64 v14, v30, v29, s[16:17]
	v_cndmask_b32_e64 v14, v14, 0, s[0:1]
	s_waitcnt lgkmcnt(0)
	s_barrier
	v_add_u32_e32 v16, v13, v14
	ds_read_b64 v[12:13], v12 offset:6336
	v_add_u32_sdwa v17, v16, v24 dst_sel:DWORD dst_unused:UNUSED_PAD src0_sel:DWORD src1_sel:BYTE_0
	v_add_u32_sdwa v15, v17, v24 dst_sel:DWORD dst_unused:UNUSED_PAD src0_sel:DWORD src1_sel:BYTE_1
	v_add_u32_e32 v14, v15, v25
	s_branch .LBB2014_69
.LBB2014_59:
                                        ; implicit-def: $vgpr13
                                        ; implicit-def: $vgpr14
                                        ; implicit-def: $vgpr15
                                        ; implicit-def: $vgpr17
                                        ; implicit-def: $vgpr16
	s_cbranch_execz .LBB2014_69
; %bb.60:
	s_waitcnt lgkmcnt(0)
	v_mov_b32_dpp v12, v28 row_shr:1 row_mask:0xf bank_mask:0xf
	v_cndmask_b32_e64 v12, v12, 0, s[14:15]
	v_add_u32_e32 v12, v12, v28
	s_nop 1
	v_mov_b32_dpp v13, v12 row_shr:2 row_mask:0xf bank_mask:0xf
	v_cndmask_b32_e64 v13, 0, v13, s[12:13]
	v_add_u32_e32 v12, v12, v13
	s_nop 1
	;; [unrolled: 4-line block ×4, first 2 shown]
	v_mov_b32_dpp v13, v12 row_bcast:15 row_mask:0xf bank_mask:0xf
	v_cndmask_b32_e64 v13, v13, 0, s[4:5]
	v_add_u32_e32 v12, v12, v13
	s_nop 1
	v_mov_b32_dpp v13, v12 row_bcast:31 row_mask:0xf bank_mask:0xf
	v_cndmask_b32_e64 v13, 0, v13, s[2:3]
	v_add_u32_e32 v12, v12, v13
	s_and_saveexec_b64 s[2:3], s[6:7]
	s_cbranch_execz .LBB2014_62
; %bb.61:
	v_lshlrev_b32_e32 v13, 2, v27
	ds_write_b32 v13, v12
.LBB2014_62:
	s_or_b64 exec, exec, s[2:3]
	v_cmp_gt_u32_e32 vcc, 3, v0
	s_waitcnt lgkmcnt(0)
	s_barrier
	s_and_saveexec_b64 s[2:3], vcc
	s_cbranch_execz .LBB2014_64
; %bb.63:
	ds_read_b32 v13, v22
	v_and_b32_e32 v14, 3, v26
	v_cmp_ne_u32_e32 vcc, 0, v14
	s_waitcnt lgkmcnt(0)
	v_mov_b32_dpp v15, v13 row_shr:1 row_mask:0xf bank_mask:0xf
	v_cndmask_b32_e32 v15, 0, v15, vcc
	v_add_u32_e32 v13, v15, v13
	v_cmp_lt_u32_e32 vcc, 1, v14
	s_nop 0
	v_mov_b32_dpp v15, v13 row_shr:2 row_mask:0xf bank_mask:0xf
	v_cndmask_b32_e32 v14, 0, v15, vcc
	v_add_u32_e32 v13, v13, v14
	ds_write_b32 v22, v13
.LBB2014_64:
	s_or_b64 exec, exec, s[2:3]
	v_cmp_lt_u32_e32 vcc, 63, v0
	v_mov_b32_e32 v13, 0
	v_mov_b32_e32 v14, 0
	s_waitcnt lgkmcnt(0)
	s_barrier
	s_and_saveexec_b64 s[2:3], vcc
	s_cbranch_execz .LBB2014_66
; %bb.65:
	v_lshl_add_u32 v14, v27, 2, -4
	ds_read_b32 v14, v14
.LBB2014_66:
	s_or_b64 exec, exec, s[2:3]
	v_add_u32_e32 v15, -1, v26
	v_and_b32_e32 v16, 64, v26
	v_cmp_lt_i32_e32 vcc, v15, v16
	v_cndmask_b32_e32 v15, v15, v26, vcc
	s_waitcnt lgkmcnt(0)
	v_add_u32_e32 v12, v14, v12
	v_lshlrev_b32_e32 v15, 2, v15
	ds_bpermute_b32 v15, v15, v12
	ds_read_b32 v12, v13 offset:8
	s_and_saveexec_b64 s[2:3], s[0:1]
	s_cbranch_execz .LBB2014_68
; %bb.67:
	v_mov_b32_e32 v16, 0
	v_mov_b32_e32 v13, 2
	s_waitcnt lgkmcnt(0)
	global_store_dwordx2 v16, v[12:13], s[34:35] offset:512
.LBB2014_68:
	s_or_b64 exec, exec, s[2:3]
	v_cmp_eq_u32_e32 vcc, 0, v26
	s_waitcnt lgkmcnt(1)
	v_cndmask_b32_e32 v14, v15, v14, vcc
	v_cndmask_b32_e64 v16, v14, 0, s[0:1]
	v_add_u32_sdwa v17, v16, v24 dst_sel:DWORD dst_unused:UNUSED_PAD src0_sel:DWORD src1_sel:BYTE_0
	v_add_u32_sdwa v15, v17, v24 dst_sel:DWORD dst_unused:UNUSED_PAD src0_sel:DWORD src1_sel:BYTE_1
	v_mov_b32_e32 v13, 0
	v_add_u32_e32 v14, v15, v25
	s_waitcnt lgkmcnt(0)
	s_barrier
.LBB2014_69:
	s_waitcnt lgkmcnt(0)
	v_add_u32_e32 v19, v12, v22
	v_sub_u32_e32 v16, v16, v13
	v_and_b32_e32 v21, 1, v24
	v_sub_u32_e32 v20, v19, v16
	v_cmp_eq_u32_e32 vcc, 1, v21
	v_cndmask_b32_e32 v16, v20, v16, vcc
	v_lshlrev_b32_e32 v16, 3, v16
	v_lshrrev_b32_e32 v18, 8, v24
	ds_write_b64 v16, v[6:7]
	v_sub_u32_e32 v6, v17, v13
	v_sub_u32_e32 v7, v19, v6
	v_and_b32_e32 v16, 1, v18
	v_add_u32_e32 v7, 1, v7
	v_cmp_eq_u32_e32 vcc, 1, v16
	v_cndmask_b32_e32 v6, v7, v6, vcc
	v_lshlrev_b32_e32 v6, 3, v6
	ds_write_b64 v6, v[8:9]
	v_sub_u32_e32 v6, v15, v13
	v_mov_b32_e32 v8, 1
	v_sub_u32_e32 v7, v19, v6
	v_and_b32_sdwa v8, v8, v24 dst_sel:DWORD dst_unused:UNUSED_PAD src0_sel:DWORD src1_sel:WORD_1
	v_add_u32_e32 v7, 2, v7
	v_cmp_eq_u32_e32 vcc, 1, v8
	v_cndmask_b32_e32 v6, v7, v6, vcc
	v_lshlrev_b32_e32 v6, 3, v6
	ds_write_b64 v6, v[2:3]
	v_sub_u32_e32 v2, v14, v13
	v_sub_u32_e32 v3, v19, v2
	v_and_b32_e32 v6, 1, v23
	v_add_u32_e32 v3, 3, v3
	v_cmp_eq_u32_e32 vcc, 1, v6
	v_cndmask_b32_e32 v2, v3, v2, vcc
	s_add_u32 s2, s18, s28
	v_lshlrev_b32_e32 v2, 3, v2
	s_addc_u32 s3, s19, 0
	ds_write_b64 v2, v[4:5]
	s_waitcnt lgkmcnt(0)
	s_barrier
	ds_read2st64_b64 v[6:9], v1 offset1:3
	ds_read2st64_b64 v[2:5], v1 offset0:6 offset1:9
	s_waitcnt vmcnt(0)
	v_add_co_u32_e32 v1, vcc, v10, v13
	s_sub_u32 s2, s26, s2
	v_addc_co_u32_e32 v13, vcc, 0, v11, vcc
	s_subb_u32 s3, s27, s3
	v_mov_b32_e32 v10, s3
	v_add_co_u32_e32 v11, vcc, s2, v12
	v_addc_co_u32_e32 v10, vcc, 0, v10, vcc
	v_add_co_u32_e64 v15, s[2:3], v11, v1
	v_add_u32_e32 v18, 0xc0, v0
	v_add_u32_e32 v17, 0x180, v0
	;; [unrolled: 1-line block ×3, first 2 shown]
	s_andn2_b64 vcc, exec, s[30:31]
	v_addc_co_u32_e64 v16, s[2:3], v10, v13, s[2:3]
	s_cbranch_vccnz .LBB2014_90
; %bb.70:
	v_cmp_ge_u32_e32 vcc, v0, v12
                                        ; implicit-def: $vgpr10_vgpr11
	s_and_saveexec_b64 s[2:3], vcc
	s_xor_b64 s[2:3], exec, s[2:3]
; %bb.71:
	v_not_b32_e32 v10, v0
	v_ashrrev_i32_e32 v11, 31, v10
	v_add_co_u32_e32 v10, vcc, v15, v10
	v_addc_co_u32_e32 v11, vcc, v16, v11, vcc
; %bb.72:
	s_andn2_saveexec_b64 s[2:3], s[2:3]
; %bb.73:
	v_add_co_u32_e32 v10, vcc, v1, v0
	v_addc_co_u32_e32 v11, vcc, 0, v13, vcc
; %bb.74:
	s_or_b64 exec, exec, s[2:3]
	v_lshlrev_b64 v[10:11], 3, v[10:11]
	v_mov_b32_e32 v19, s25
	v_add_co_u32_e32 v10, vcc, s24, v10
	v_addc_co_u32_e32 v11, vcc, v19, v11, vcc
	v_cmp_ge_u32_e32 vcc, v18, v12
	s_waitcnt lgkmcnt(1)
	global_store_dwordx2 v[10:11], v[6:7], off
                                        ; implicit-def: $vgpr10_vgpr11
	s_and_saveexec_b64 s[2:3], vcc
	s_xor_b64 s[2:3], exec, s[2:3]
; %bb.75:
	v_sub_u32_e32 v10, 0xffffff3f, v0
	v_ashrrev_i32_e32 v11, 31, v10
	v_add_co_u32_e32 v10, vcc, v15, v10
	v_addc_co_u32_e32 v11, vcc, v16, v11, vcc
; %bb.76:
	s_andn2_saveexec_b64 s[2:3], s[2:3]
; %bb.77:
	v_add_co_u32_e32 v10, vcc, v1, v18
	v_addc_co_u32_e32 v11, vcc, 0, v13, vcc
; %bb.78:
	s_or_b64 exec, exec, s[2:3]
	v_lshlrev_b64 v[10:11], 3, v[10:11]
	v_mov_b32_e32 v19, s25
	v_add_co_u32_e32 v10, vcc, s24, v10
	v_addc_co_u32_e32 v11, vcc, v19, v11, vcc
	v_cmp_ge_u32_e32 vcc, v17, v12
	global_store_dwordx2 v[10:11], v[8:9], off
                                        ; implicit-def: $vgpr10_vgpr11
	s_and_saveexec_b64 s[2:3], vcc
	s_xor_b64 s[2:3], exec, s[2:3]
; %bb.79:
	v_sub_u32_e32 v10, 0xfffffe7f, v0
	v_ashrrev_i32_e32 v11, 31, v10
	v_add_co_u32_e32 v10, vcc, v15, v10
	v_addc_co_u32_e32 v11, vcc, v16, v11, vcc
; %bb.80:
	s_andn2_saveexec_b64 s[2:3], s[2:3]
; %bb.81:
	v_add_co_u32_e32 v10, vcc, v1, v17
	v_addc_co_u32_e32 v11, vcc, 0, v13, vcc
; %bb.82:
	s_or_b64 exec, exec, s[2:3]
	v_lshlrev_b64 v[10:11], 3, v[10:11]
	v_mov_b32_e32 v19, s25
	v_add_co_u32_e32 v10, vcc, s24, v10
	v_addc_co_u32_e32 v11, vcc, v19, v11, vcc
	v_cmp_ge_u32_e32 vcc, v14, v12
	s_waitcnt lgkmcnt(0)
	global_store_dwordx2 v[10:11], v[2:3], off
                                        ; implicit-def: $vgpr10_vgpr11
	s_and_saveexec_b64 s[2:3], vcc
	s_xor_b64 s[2:3], exec, s[2:3]
; %bb.83:
	v_sub_u32_e32 v10, 0xfffffdbf, v0
	v_ashrrev_i32_e32 v11, 31, v10
	v_add_co_u32_e32 v10, vcc, v15, v10
	v_addc_co_u32_e32 v11, vcc, v16, v11, vcc
; %bb.84:
	s_andn2_saveexec_b64 s[2:3], s[2:3]
; %bb.85:
	v_add_co_u32_e32 v10, vcc, v1, v14
	v_addc_co_u32_e32 v11, vcc, 0, v13, vcc
; %bb.86:
	s_or_b64 exec, exec, s[2:3]
	s_mov_b64 s[2:3], -1
.LBB2014_87:
	s_and_saveexec_b64 s[4:5], s[2:3]
	s_cbranch_execz .LBB2014_100
.LBB2014_88:
	s_waitcnt lgkmcnt(0)
	v_lshlrev_b64 v[2:3], 3, v[10:11]
	v_mov_b32_e32 v0, s25
	v_add_co_u32_e32 v2, vcc, s24, v2
	v_addc_co_u32_e32 v3, vcc, v0, v3, vcc
	global_store_dwordx2 v[2:3], v[4:5], off
	s_or_b64 exec, exec, s[4:5]
	s_and_b64 s[0:1], s[0:1], s[22:23]
	s_and_saveexec_b64 s[2:3], s[0:1]
	s_cbranch_execnz .LBB2014_101
.LBB2014_89:
	s_endpgm
.LBB2014_90:
	s_mov_b64 s[2:3], 0
                                        ; implicit-def: $vgpr10_vgpr11
	s_cbranch_execz .LBB2014_87
; %bb.91:
	v_cmp_gt_u32_e32 vcc, s33, v0
	s_and_saveexec_b64 s[4:5], vcc
	s_cbranch_execz .LBB2014_102
; %bb.92:
	v_cmp_ge_u32_e32 vcc, v0, v12
                                        ; implicit-def: $vgpr10_vgpr11
	s_and_saveexec_b64 s[6:7], vcc
	s_xor_b64 s[6:7], exec, s[6:7]
; %bb.93:
	v_not_b32_e32 v10, v0
	v_ashrrev_i32_e32 v11, 31, v10
	v_add_co_u32_e32 v10, vcc, v15, v10
	v_addc_co_u32_e32 v11, vcc, v16, v11, vcc
; %bb.94:
	s_andn2_saveexec_b64 s[6:7], s[6:7]
; %bb.95:
	v_add_co_u32_e32 v10, vcc, v1, v0
	v_addc_co_u32_e32 v11, vcc, 0, v13, vcc
; %bb.96:
	s_or_b64 exec, exec, s[6:7]
	v_lshlrev_b64 v[10:11], 3, v[10:11]
	v_mov_b32_e32 v19, s25
	v_add_co_u32_e32 v10, vcc, s24, v10
	v_addc_co_u32_e32 v11, vcc, v19, v11, vcc
	s_waitcnt lgkmcnt(1)
	global_store_dwordx2 v[10:11], v[6:7], off
	s_or_b64 exec, exec, s[4:5]
	v_cmp_gt_u32_e32 vcc, s33, v18
	s_and_saveexec_b64 s[4:5], vcc
	s_cbranch_execnz .LBB2014_103
.LBB2014_97:
	s_or_b64 exec, exec, s[4:5]
	v_cmp_gt_u32_e32 vcc, s33, v17
	s_and_saveexec_b64 s[4:5], vcc
	s_cbranch_execnz .LBB2014_108
.LBB2014_98:
	s_or_b64 exec, exec, s[4:5]
	v_cmp_gt_u32_e32 vcc, s33, v14
                                        ; implicit-def: $vgpr10_vgpr11
	s_and_saveexec_b64 s[4:5], vcc
	s_cbranch_execnz .LBB2014_113
.LBB2014_99:
	s_or_b64 exec, exec, s[4:5]
	s_and_saveexec_b64 s[4:5], s[2:3]
	s_cbranch_execnz .LBB2014_88
.LBB2014_100:
	s_or_b64 exec, exec, s[4:5]
	s_and_b64 s[0:1], s[0:1], s[22:23]
	s_and_saveexec_b64 s[2:3], s[0:1]
	s_cbranch_execz .LBB2014_89
.LBB2014_101:
	v_add_co_u32_e32 v0, vcc, v1, v12
	s_waitcnt lgkmcnt(0)
	v_mov_b32_e32 v2, 0
	v_addc_co_u32_e32 v1, vcc, 0, v13, vcc
	global_store_dwordx2 v2, v[0:1], s[20:21]
	s_endpgm
.LBB2014_102:
	s_or_b64 exec, exec, s[4:5]
	v_cmp_gt_u32_e32 vcc, s33, v18
	s_and_saveexec_b64 s[4:5], vcc
	s_cbranch_execz .LBB2014_97
.LBB2014_103:
	v_cmp_ge_u32_e32 vcc, v18, v12
                                        ; implicit-def: $vgpr6_vgpr7
	s_and_saveexec_b64 s[6:7], vcc
	s_xor_b64 s[6:7], exec, s[6:7]
	s_cbranch_execz .LBB2014_105
; %bb.104:
	s_waitcnt lgkmcnt(1)
	v_sub_u32_e32 v6, 0xffffff3f, v0
	v_ashrrev_i32_e32 v7, 31, v6
	v_add_co_u32_e32 v6, vcc, v15, v6
	v_addc_co_u32_e32 v7, vcc, v16, v7, vcc
                                        ; implicit-def: $vgpr18
.LBB2014_105:
	s_andn2_saveexec_b64 s[6:7], s[6:7]
	s_cbranch_execz .LBB2014_107
; %bb.106:
	s_waitcnt lgkmcnt(1)
	v_add_co_u32_e32 v6, vcc, v1, v18
	v_addc_co_u32_e32 v7, vcc, 0, v13, vcc
.LBB2014_107:
	s_or_b64 exec, exec, s[6:7]
	s_waitcnt lgkmcnt(1)
	v_lshlrev_b64 v[6:7], 3, v[6:7]
	v_mov_b32_e32 v10, s25
	v_add_co_u32_e32 v6, vcc, s24, v6
	v_addc_co_u32_e32 v7, vcc, v10, v7, vcc
	global_store_dwordx2 v[6:7], v[8:9], off
	s_or_b64 exec, exec, s[4:5]
	v_cmp_gt_u32_e32 vcc, s33, v17
	s_and_saveexec_b64 s[4:5], vcc
	s_cbranch_execz .LBB2014_98
.LBB2014_108:
	v_cmp_ge_u32_e32 vcc, v17, v12
                                        ; implicit-def: $vgpr6_vgpr7
	s_and_saveexec_b64 s[6:7], vcc
	s_xor_b64 s[6:7], exec, s[6:7]
	s_cbranch_execz .LBB2014_110
; %bb.109:
	s_waitcnt lgkmcnt(1)
	v_sub_u32_e32 v6, 0xfffffe7f, v0
	v_ashrrev_i32_e32 v7, 31, v6
	v_add_co_u32_e32 v6, vcc, v15, v6
	v_addc_co_u32_e32 v7, vcc, v16, v7, vcc
                                        ; implicit-def: $vgpr17
.LBB2014_110:
	s_andn2_saveexec_b64 s[6:7], s[6:7]
	s_cbranch_execz .LBB2014_112
; %bb.111:
	s_waitcnt lgkmcnt(1)
	v_add_co_u32_e32 v6, vcc, v1, v17
	v_addc_co_u32_e32 v7, vcc, 0, v13, vcc
.LBB2014_112:
	s_or_b64 exec, exec, s[6:7]
	s_waitcnt lgkmcnt(1)
	v_lshlrev_b64 v[6:7], 3, v[6:7]
	v_mov_b32_e32 v8, s25
	v_add_co_u32_e32 v6, vcc, s24, v6
	v_addc_co_u32_e32 v7, vcc, v8, v7, vcc
	s_waitcnt lgkmcnt(0)
	global_store_dwordx2 v[6:7], v[2:3], off
	s_or_b64 exec, exec, s[4:5]
	v_cmp_gt_u32_e32 vcc, s33, v14
                                        ; implicit-def: $vgpr10_vgpr11
	s_and_saveexec_b64 s[4:5], vcc
	s_cbranch_execz .LBB2014_99
.LBB2014_113:
	v_cmp_ge_u32_e32 vcc, v14, v12
                                        ; implicit-def: $vgpr10_vgpr11
	s_and_saveexec_b64 s[6:7], vcc
	s_xor_b64 s[6:7], exec, s[6:7]
	s_cbranch_execz .LBB2014_115
; %bb.114:
	v_sub_u32_e32 v0, 0xfffffdbf, v0
	s_waitcnt lgkmcnt(0)
	v_ashrrev_i32_e32 v2, 31, v0
	v_add_co_u32_e32 v10, vcc, v15, v0
	v_addc_co_u32_e32 v11, vcc, v16, v2, vcc
                                        ; implicit-def: $vgpr14
.LBB2014_115:
	s_andn2_saveexec_b64 s[6:7], s[6:7]
; %bb.116:
	v_add_co_u32_e32 v10, vcc, v1, v14
	v_addc_co_u32_e32 v11, vcc, 0, v13, vcc
; %bb.117:
	s_or_b64 exec, exec, s[6:7]
	s_or_b64 s[2:3], s[2:3], exec
	s_or_b64 exec, exec, s[4:5]
	s_and_saveexec_b64 s[4:5], s[2:3]
	s_cbranch_execnz .LBB2014_88
	s_branch .LBB2014_100
	.section	.rodata,"a",@progbits
	.p2align	6, 0x0
	.amdhsa_kernel _ZN7rocprim17ROCPRIM_400000_NS6detail17trampoline_kernelINS0_14default_configENS1_25partition_config_selectorILNS1_17partition_subalgoE2EyNS0_10empty_typeEbEEZZNS1_14partition_implILS5_2ELb0ES3_jN6thrust23THRUST_200600_302600_NS6detail15normal_iteratorINSA_7pointerIyNSA_11hip_rocprim3tagENSA_11use_defaultESG_EEEEPS6_NSA_18transform_iteratorI7is_evenIyENSC_INSA_10device_ptrIyEEEESG_SG_EENS0_5tupleIJPySJ_EEENSR_IJSJ_SJ_EEES6_PlJS6_EEE10hipError_tPvRmT3_T4_T5_T6_T7_T9_mT8_P12ihipStream_tbDpT10_ENKUlT_T0_E_clISt17integral_constantIbLb1EES1F_EEDaS1A_S1B_EUlS1A_E_NS1_11comp_targetILNS1_3genE4ELNS1_11target_archE910ELNS1_3gpuE8ELNS1_3repE0EEENS1_30default_config_static_selectorELNS0_4arch9wavefront6targetE1EEEvT1_
		.amdhsa_group_segment_fixed_size 6344
		.amdhsa_private_segment_fixed_size 0
		.amdhsa_kernarg_size 144
		.amdhsa_user_sgpr_count 6
		.amdhsa_user_sgpr_private_segment_buffer 1
		.amdhsa_user_sgpr_dispatch_ptr 0
		.amdhsa_user_sgpr_queue_ptr 0
		.amdhsa_user_sgpr_kernarg_segment_ptr 1
		.amdhsa_user_sgpr_dispatch_id 0
		.amdhsa_user_sgpr_flat_scratch_init 0
		.amdhsa_user_sgpr_kernarg_preload_length 0
		.amdhsa_user_sgpr_kernarg_preload_offset 0
		.amdhsa_user_sgpr_private_segment_size 0
		.amdhsa_uses_dynamic_stack 0
		.amdhsa_system_sgpr_private_segment_wavefront_offset 0
		.amdhsa_system_sgpr_workgroup_id_x 1
		.amdhsa_system_sgpr_workgroup_id_y 0
		.amdhsa_system_sgpr_workgroup_id_z 0
		.amdhsa_system_sgpr_workgroup_info 0
		.amdhsa_system_vgpr_workitem_id 0
		.amdhsa_next_free_vgpr 45
		.amdhsa_next_free_sgpr 46
		.amdhsa_accum_offset 48
		.amdhsa_reserve_vcc 1
		.amdhsa_reserve_flat_scratch 0
		.amdhsa_float_round_mode_32 0
		.amdhsa_float_round_mode_16_64 0
		.amdhsa_float_denorm_mode_32 3
		.amdhsa_float_denorm_mode_16_64 3
		.amdhsa_dx10_clamp 1
		.amdhsa_ieee_mode 1
		.amdhsa_fp16_overflow 0
		.amdhsa_tg_split 0
		.amdhsa_exception_fp_ieee_invalid_op 0
		.amdhsa_exception_fp_denorm_src 0
		.amdhsa_exception_fp_ieee_div_zero 0
		.amdhsa_exception_fp_ieee_overflow 0
		.amdhsa_exception_fp_ieee_underflow 0
		.amdhsa_exception_fp_ieee_inexact 0
		.amdhsa_exception_int_div_zero 0
	.end_amdhsa_kernel
	.section	.text._ZN7rocprim17ROCPRIM_400000_NS6detail17trampoline_kernelINS0_14default_configENS1_25partition_config_selectorILNS1_17partition_subalgoE2EyNS0_10empty_typeEbEEZZNS1_14partition_implILS5_2ELb0ES3_jN6thrust23THRUST_200600_302600_NS6detail15normal_iteratorINSA_7pointerIyNSA_11hip_rocprim3tagENSA_11use_defaultESG_EEEEPS6_NSA_18transform_iteratorI7is_evenIyENSC_INSA_10device_ptrIyEEEESG_SG_EENS0_5tupleIJPySJ_EEENSR_IJSJ_SJ_EEES6_PlJS6_EEE10hipError_tPvRmT3_T4_T5_T6_T7_T9_mT8_P12ihipStream_tbDpT10_ENKUlT_T0_E_clISt17integral_constantIbLb1EES1F_EEDaS1A_S1B_EUlS1A_E_NS1_11comp_targetILNS1_3genE4ELNS1_11target_archE910ELNS1_3gpuE8ELNS1_3repE0EEENS1_30default_config_static_selectorELNS0_4arch9wavefront6targetE1EEEvT1_,"axG",@progbits,_ZN7rocprim17ROCPRIM_400000_NS6detail17trampoline_kernelINS0_14default_configENS1_25partition_config_selectorILNS1_17partition_subalgoE2EyNS0_10empty_typeEbEEZZNS1_14partition_implILS5_2ELb0ES3_jN6thrust23THRUST_200600_302600_NS6detail15normal_iteratorINSA_7pointerIyNSA_11hip_rocprim3tagENSA_11use_defaultESG_EEEEPS6_NSA_18transform_iteratorI7is_evenIyENSC_INSA_10device_ptrIyEEEESG_SG_EENS0_5tupleIJPySJ_EEENSR_IJSJ_SJ_EEES6_PlJS6_EEE10hipError_tPvRmT3_T4_T5_T6_T7_T9_mT8_P12ihipStream_tbDpT10_ENKUlT_T0_E_clISt17integral_constantIbLb1EES1F_EEDaS1A_S1B_EUlS1A_E_NS1_11comp_targetILNS1_3genE4ELNS1_11target_archE910ELNS1_3gpuE8ELNS1_3repE0EEENS1_30default_config_static_selectorELNS0_4arch9wavefront6targetE1EEEvT1_,comdat
.Lfunc_end2014:
	.size	_ZN7rocprim17ROCPRIM_400000_NS6detail17trampoline_kernelINS0_14default_configENS1_25partition_config_selectorILNS1_17partition_subalgoE2EyNS0_10empty_typeEbEEZZNS1_14partition_implILS5_2ELb0ES3_jN6thrust23THRUST_200600_302600_NS6detail15normal_iteratorINSA_7pointerIyNSA_11hip_rocprim3tagENSA_11use_defaultESG_EEEEPS6_NSA_18transform_iteratorI7is_evenIyENSC_INSA_10device_ptrIyEEEESG_SG_EENS0_5tupleIJPySJ_EEENSR_IJSJ_SJ_EEES6_PlJS6_EEE10hipError_tPvRmT3_T4_T5_T6_T7_T9_mT8_P12ihipStream_tbDpT10_ENKUlT_T0_E_clISt17integral_constantIbLb1EES1F_EEDaS1A_S1B_EUlS1A_E_NS1_11comp_targetILNS1_3genE4ELNS1_11target_archE910ELNS1_3gpuE8ELNS1_3repE0EEENS1_30default_config_static_selectorELNS0_4arch9wavefront6targetE1EEEvT1_, .Lfunc_end2014-_ZN7rocprim17ROCPRIM_400000_NS6detail17trampoline_kernelINS0_14default_configENS1_25partition_config_selectorILNS1_17partition_subalgoE2EyNS0_10empty_typeEbEEZZNS1_14partition_implILS5_2ELb0ES3_jN6thrust23THRUST_200600_302600_NS6detail15normal_iteratorINSA_7pointerIyNSA_11hip_rocprim3tagENSA_11use_defaultESG_EEEEPS6_NSA_18transform_iteratorI7is_evenIyENSC_INSA_10device_ptrIyEEEESG_SG_EENS0_5tupleIJPySJ_EEENSR_IJSJ_SJ_EEES6_PlJS6_EEE10hipError_tPvRmT3_T4_T5_T6_T7_T9_mT8_P12ihipStream_tbDpT10_ENKUlT_T0_E_clISt17integral_constantIbLb1EES1F_EEDaS1A_S1B_EUlS1A_E_NS1_11comp_targetILNS1_3genE4ELNS1_11target_archE910ELNS1_3gpuE8ELNS1_3repE0EEENS1_30default_config_static_selectorELNS0_4arch9wavefront6targetE1EEEvT1_
                                        ; -- End function
	.section	.AMDGPU.csdata,"",@progbits
; Kernel info:
; codeLenInByte = 4564
; NumSgprs: 50
; NumVgprs: 45
; NumAgprs: 0
; TotalNumVgprs: 45
; ScratchSize: 0
; MemoryBound: 0
; FloatMode: 240
; IeeeMode: 1
; LDSByteSize: 6344 bytes/workgroup (compile time only)
; SGPRBlocks: 6
; VGPRBlocks: 5
; NumSGPRsForWavesPerEU: 50
; NumVGPRsForWavesPerEU: 45
; AccumOffset: 48
; Occupancy: 8
; WaveLimiterHint : 1
; COMPUTE_PGM_RSRC2:SCRATCH_EN: 0
; COMPUTE_PGM_RSRC2:USER_SGPR: 6
; COMPUTE_PGM_RSRC2:TRAP_HANDLER: 0
; COMPUTE_PGM_RSRC2:TGID_X_EN: 1
; COMPUTE_PGM_RSRC2:TGID_Y_EN: 0
; COMPUTE_PGM_RSRC2:TGID_Z_EN: 0
; COMPUTE_PGM_RSRC2:TIDIG_COMP_CNT: 0
; COMPUTE_PGM_RSRC3_GFX90A:ACCUM_OFFSET: 11
; COMPUTE_PGM_RSRC3_GFX90A:TG_SPLIT: 0
	.section	.text._ZN7rocprim17ROCPRIM_400000_NS6detail17trampoline_kernelINS0_14default_configENS1_25partition_config_selectorILNS1_17partition_subalgoE2EyNS0_10empty_typeEbEEZZNS1_14partition_implILS5_2ELb0ES3_jN6thrust23THRUST_200600_302600_NS6detail15normal_iteratorINSA_7pointerIyNSA_11hip_rocprim3tagENSA_11use_defaultESG_EEEEPS6_NSA_18transform_iteratorI7is_evenIyENSC_INSA_10device_ptrIyEEEESG_SG_EENS0_5tupleIJPySJ_EEENSR_IJSJ_SJ_EEES6_PlJS6_EEE10hipError_tPvRmT3_T4_T5_T6_T7_T9_mT8_P12ihipStream_tbDpT10_ENKUlT_T0_E_clISt17integral_constantIbLb1EES1F_EEDaS1A_S1B_EUlS1A_E_NS1_11comp_targetILNS1_3genE3ELNS1_11target_archE908ELNS1_3gpuE7ELNS1_3repE0EEENS1_30default_config_static_selectorELNS0_4arch9wavefront6targetE1EEEvT1_,"axG",@progbits,_ZN7rocprim17ROCPRIM_400000_NS6detail17trampoline_kernelINS0_14default_configENS1_25partition_config_selectorILNS1_17partition_subalgoE2EyNS0_10empty_typeEbEEZZNS1_14partition_implILS5_2ELb0ES3_jN6thrust23THRUST_200600_302600_NS6detail15normal_iteratorINSA_7pointerIyNSA_11hip_rocprim3tagENSA_11use_defaultESG_EEEEPS6_NSA_18transform_iteratorI7is_evenIyENSC_INSA_10device_ptrIyEEEESG_SG_EENS0_5tupleIJPySJ_EEENSR_IJSJ_SJ_EEES6_PlJS6_EEE10hipError_tPvRmT3_T4_T5_T6_T7_T9_mT8_P12ihipStream_tbDpT10_ENKUlT_T0_E_clISt17integral_constantIbLb1EES1F_EEDaS1A_S1B_EUlS1A_E_NS1_11comp_targetILNS1_3genE3ELNS1_11target_archE908ELNS1_3gpuE7ELNS1_3repE0EEENS1_30default_config_static_selectorELNS0_4arch9wavefront6targetE1EEEvT1_,comdat
	.protected	_ZN7rocprim17ROCPRIM_400000_NS6detail17trampoline_kernelINS0_14default_configENS1_25partition_config_selectorILNS1_17partition_subalgoE2EyNS0_10empty_typeEbEEZZNS1_14partition_implILS5_2ELb0ES3_jN6thrust23THRUST_200600_302600_NS6detail15normal_iteratorINSA_7pointerIyNSA_11hip_rocprim3tagENSA_11use_defaultESG_EEEEPS6_NSA_18transform_iteratorI7is_evenIyENSC_INSA_10device_ptrIyEEEESG_SG_EENS0_5tupleIJPySJ_EEENSR_IJSJ_SJ_EEES6_PlJS6_EEE10hipError_tPvRmT3_T4_T5_T6_T7_T9_mT8_P12ihipStream_tbDpT10_ENKUlT_T0_E_clISt17integral_constantIbLb1EES1F_EEDaS1A_S1B_EUlS1A_E_NS1_11comp_targetILNS1_3genE3ELNS1_11target_archE908ELNS1_3gpuE7ELNS1_3repE0EEENS1_30default_config_static_selectorELNS0_4arch9wavefront6targetE1EEEvT1_ ; -- Begin function _ZN7rocprim17ROCPRIM_400000_NS6detail17trampoline_kernelINS0_14default_configENS1_25partition_config_selectorILNS1_17partition_subalgoE2EyNS0_10empty_typeEbEEZZNS1_14partition_implILS5_2ELb0ES3_jN6thrust23THRUST_200600_302600_NS6detail15normal_iteratorINSA_7pointerIyNSA_11hip_rocprim3tagENSA_11use_defaultESG_EEEEPS6_NSA_18transform_iteratorI7is_evenIyENSC_INSA_10device_ptrIyEEEESG_SG_EENS0_5tupleIJPySJ_EEENSR_IJSJ_SJ_EEES6_PlJS6_EEE10hipError_tPvRmT3_T4_T5_T6_T7_T9_mT8_P12ihipStream_tbDpT10_ENKUlT_T0_E_clISt17integral_constantIbLb1EES1F_EEDaS1A_S1B_EUlS1A_E_NS1_11comp_targetILNS1_3genE3ELNS1_11target_archE908ELNS1_3gpuE7ELNS1_3repE0EEENS1_30default_config_static_selectorELNS0_4arch9wavefront6targetE1EEEvT1_
	.globl	_ZN7rocprim17ROCPRIM_400000_NS6detail17trampoline_kernelINS0_14default_configENS1_25partition_config_selectorILNS1_17partition_subalgoE2EyNS0_10empty_typeEbEEZZNS1_14partition_implILS5_2ELb0ES3_jN6thrust23THRUST_200600_302600_NS6detail15normal_iteratorINSA_7pointerIyNSA_11hip_rocprim3tagENSA_11use_defaultESG_EEEEPS6_NSA_18transform_iteratorI7is_evenIyENSC_INSA_10device_ptrIyEEEESG_SG_EENS0_5tupleIJPySJ_EEENSR_IJSJ_SJ_EEES6_PlJS6_EEE10hipError_tPvRmT3_T4_T5_T6_T7_T9_mT8_P12ihipStream_tbDpT10_ENKUlT_T0_E_clISt17integral_constantIbLb1EES1F_EEDaS1A_S1B_EUlS1A_E_NS1_11comp_targetILNS1_3genE3ELNS1_11target_archE908ELNS1_3gpuE7ELNS1_3repE0EEENS1_30default_config_static_selectorELNS0_4arch9wavefront6targetE1EEEvT1_
	.p2align	8
	.type	_ZN7rocprim17ROCPRIM_400000_NS6detail17trampoline_kernelINS0_14default_configENS1_25partition_config_selectorILNS1_17partition_subalgoE2EyNS0_10empty_typeEbEEZZNS1_14partition_implILS5_2ELb0ES3_jN6thrust23THRUST_200600_302600_NS6detail15normal_iteratorINSA_7pointerIyNSA_11hip_rocprim3tagENSA_11use_defaultESG_EEEEPS6_NSA_18transform_iteratorI7is_evenIyENSC_INSA_10device_ptrIyEEEESG_SG_EENS0_5tupleIJPySJ_EEENSR_IJSJ_SJ_EEES6_PlJS6_EEE10hipError_tPvRmT3_T4_T5_T6_T7_T9_mT8_P12ihipStream_tbDpT10_ENKUlT_T0_E_clISt17integral_constantIbLb1EES1F_EEDaS1A_S1B_EUlS1A_E_NS1_11comp_targetILNS1_3genE3ELNS1_11target_archE908ELNS1_3gpuE7ELNS1_3repE0EEENS1_30default_config_static_selectorELNS0_4arch9wavefront6targetE1EEEvT1_,@function
_ZN7rocprim17ROCPRIM_400000_NS6detail17trampoline_kernelINS0_14default_configENS1_25partition_config_selectorILNS1_17partition_subalgoE2EyNS0_10empty_typeEbEEZZNS1_14partition_implILS5_2ELb0ES3_jN6thrust23THRUST_200600_302600_NS6detail15normal_iteratorINSA_7pointerIyNSA_11hip_rocprim3tagENSA_11use_defaultESG_EEEEPS6_NSA_18transform_iteratorI7is_evenIyENSC_INSA_10device_ptrIyEEEESG_SG_EENS0_5tupleIJPySJ_EEENSR_IJSJ_SJ_EEES6_PlJS6_EEE10hipError_tPvRmT3_T4_T5_T6_T7_T9_mT8_P12ihipStream_tbDpT10_ENKUlT_T0_E_clISt17integral_constantIbLb1EES1F_EEDaS1A_S1B_EUlS1A_E_NS1_11comp_targetILNS1_3genE3ELNS1_11target_archE908ELNS1_3gpuE7ELNS1_3repE0EEENS1_30default_config_static_selectorELNS0_4arch9wavefront6targetE1EEEvT1_: ; @_ZN7rocprim17ROCPRIM_400000_NS6detail17trampoline_kernelINS0_14default_configENS1_25partition_config_selectorILNS1_17partition_subalgoE2EyNS0_10empty_typeEbEEZZNS1_14partition_implILS5_2ELb0ES3_jN6thrust23THRUST_200600_302600_NS6detail15normal_iteratorINSA_7pointerIyNSA_11hip_rocprim3tagENSA_11use_defaultESG_EEEEPS6_NSA_18transform_iteratorI7is_evenIyENSC_INSA_10device_ptrIyEEEESG_SG_EENS0_5tupleIJPySJ_EEENSR_IJSJ_SJ_EEES6_PlJS6_EEE10hipError_tPvRmT3_T4_T5_T6_T7_T9_mT8_P12ihipStream_tbDpT10_ENKUlT_T0_E_clISt17integral_constantIbLb1EES1F_EEDaS1A_S1B_EUlS1A_E_NS1_11comp_targetILNS1_3genE3ELNS1_11target_archE908ELNS1_3gpuE7ELNS1_3repE0EEENS1_30default_config_static_selectorELNS0_4arch9wavefront6targetE1EEEvT1_
; %bb.0:
	.section	.rodata,"a",@progbits
	.p2align	6, 0x0
	.amdhsa_kernel _ZN7rocprim17ROCPRIM_400000_NS6detail17trampoline_kernelINS0_14default_configENS1_25partition_config_selectorILNS1_17partition_subalgoE2EyNS0_10empty_typeEbEEZZNS1_14partition_implILS5_2ELb0ES3_jN6thrust23THRUST_200600_302600_NS6detail15normal_iteratorINSA_7pointerIyNSA_11hip_rocprim3tagENSA_11use_defaultESG_EEEEPS6_NSA_18transform_iteratorI7is_evenIyENSC_INSA_10device_ptrIyEEEESG_SG_EENS0_5tupleIJPySJ_EEENSR_IJSJ_SJ_EEES6_PlJS6_EEE10hipError_tPvRmT3_T4_T5_T6_T7_T9_mT8_P12ihipStream_tbDpT10_ENKUlT_T0_E_clISt17integral_constantIbLb1EES1F_EEDaS1A_S1B_EUlS1A_E_NS1_11comp_targetILNS1_3genE3ELNS1_11target_archE908ELNS1_3gpuE7ELNS1_3repE0EEENS1_30default_config_static_selectorELNS0_4arch9wavefront6targetE1EEEvT1_
		.amdhsa_group_segment_fixed_size 0
		.amdhsa_private_segment_fixed_size 0
		.amdhsa_kernarg_size 144
		.amdhsa_user_sgpr_count 6
		.amdhsa_user_sgpr_private_segment_buffer 1
		.amdhsa_user_sgpr_dispatch_ptr 0
		.amdhsa_user_sgpr_queue_ptr 0
		.amdhsa_user_sgpr_kernarg_segment_ptr 1
		.amdhsa_user_sgpr_dispatch_id 0
		.amdhsa_user_sgpr_flat_scratch_init 0
		.amdhsa_user_sgpr_kernarg_preload_length 0
		.amdhsa_user_sgpr_kernarg_preload_offset 0
		.amdhsa_user_sgpr_private_segment_size 0
		.amdhsa_uses_dynamic_stack 0
		.amdhsa_system_sgpr_private_segment_wavefront_offset 0
		.amdhsa_system_sgpr_workgroup_id_x 1
		.amdhsa_system_sgpr_workgroup_id_y 0
		.amdhsa_system_sgpr_workgroup_id_z 0
		.amdhsa_system_sgpr_workgroup_info 0
		.amdhsa_system_vgpr_workitem_id 0
		.amdhsa_next_free_vgpr 1
		.amdhsa_next_free_sgpr 0
		.amdhsa_accum_offset 4
		.amdhsa_reserve_vcc 0
		.amdhsa_reserve_flat_scratch 0
		.amdhsa_float_round_mode_32 0
		.amdhsa_float_round_mode_16_64 0
		.amdhsa_float_denorm_mode_32 3
		.amdhsa_float_denorm_mode_16_64 3
		.amdhsa_dx10_clamp 1
		.amdhsa_ieee_mode 1
		.amdhsa_fp16_overflow 0
		.amdhsa_tg_split 0
		.amdhsa_exception_fp_ieee_invalid_op 0
		.amdhsa_exception_fp_denorm_src 0
		.amdhsa_exception_fp_ieee_div_zero 0
		.amdhsa_exception_fp_ieee_overflow 0
		.amdhsa_exception_fp_ieee_underflow 0
		.amdhsa_exception_fp_ieee_inexact 0
		.amdhsa_exception_int_div_zero 0
	.end_amdhsa_kernel
	.section	.text._ZN7rocprim17ROCPRIM_400000_NS6detail17trampoline_kernelINS0_14default_configENS1_25partition_config_selectorILNS1_17partition_subalgoE2EyNS0_10empty_typeEbEEZZNS1_14partition_implILS5_2ELb0ES3_jN6thrust23THRUST_200600_302600_NS6detail15normal_iteratorINSA_7pointerIyNSA_11hip_rocprim3tagENSA_11use_defaultESG_EEEEPS6_NSA_18transform_iteratorI7is_evenIyENSC_INSA_10device_ptrIyEEEESG_SG_EENS0_5tupleIJPySJ_EEENSR_IJSJ_SJ_EEES6_PlJS6_EEE10hipError_tPvRmT3_T4_T5_T6_T7_T9_mT8_P12ihipStream_tbDpT10_ENKUlT_T0_E_clISt17integral_constantIbLb1EES1F_EEDaS1A_S1B_EUlS1A_E_NS1_11comp_targetILNS1_3genE3ELNS1_11target_archE908ELNS1_3gpuE7ELNS1_3repE0EEENS1_30default_config_static_selectorELNS0_4arch9wavefront6targetE1EEEvT1_,"axG",@progbits,_ZN7rocprim17ROCPRIM_400000_NS6detail17trampoline_kernelINS0_14default_configENS1_25partition_config_selectorILNS1_17partition_subalgoE2EyNS0_10empty_typeEbEEZZNS1_14partition_implILS5_2ELb0ES3_jN6thrust23THRUST_200600_302600_NS6detail15normal_iteratorINSA_7pointerIyNSA_11hip_rocprim3tagENSA_11use_defaultESG_EEEEPS6_NSA_18transform_iteratorI7is_evenIyENSC_INSA_10device_ptrIyEEEESG_SG_EENS0_5tupleIJPySJ_EEENSR_IJSJ_SJ_EEES6_PlJS6_EEE10hipError_tPvRmT3_T4_T5_T6_T7_T9_mT8_P12ihipStream_tbDpT10_ENKUlT_T0_E_clISt17integral_constantIbLb1EES1F_EEDaS1A_S1B_EUlS1A_E_NS1_11comp_targetILNS1_3genE3ELNS1_11target_archE908ELNS1_3gpuE7ELNS1_3repE0EEENS1_30default_config_static_selectorELNS0_4arch9wavefront6targetE1EEEvT1_,comdat
.Lfunc_end2015:
	.size	_ZN7rocprim17ROCPRIM_400000_NS6detail17trampoline_kernelINS0_14default_configENS1_25partition_config_selectorILNS1_17partition_subalgoE2EyNS0_10empty_typeEbEEZZNS1_14partition_implILS5_2ELb0ES3_jN6thrust23THRUST_200600_302600_NS6detail15normal_iteratorINSA_7pointerIyNSA_11hip_rocprim3tagENSA_11use_defaultESG_EEEEPS6_NSA_18transform_iteratorI7is_evenIyENSC_INSA_10device_ptrIyEEEESG_SG_EENS0_5tupleIJPySJ_EEENSR_IJSJ_SJ_EEES6_PlJS6_EEE10hipError_tPvRmT3_T4_T5_T6_T7_T9_mT8_P12ihipStream_tbDpT10_ENKUlT_T0_E_clISt17integral_constantIbLb1EES1F_EEDaS1A_S1B_EUlS1A_E_NS1_11comp_targetILNS1_3genE3ELNS1_11target_archE908ELNS1_3gpuE7ELNS1_3repE0EEENS1_30default_config_static_selectorELNS0_4arch9wavefront6targetE1EEEvT1_, .Lfunc_end2015-_ZN7rocprim17ROCPRIM_400000_NS6detail17trampoline_kernelINS0_14default_configENS1_25partition_config_selectorILNS1_17partition_subalgoE2EyNS0_10empty_typeEbEEZZNS1_14partition_implILS5_2ELb0ES3_jN6thrust23THRUST_200600_302600_NS6detail15normal_iteratorINSA_7pointerIyNSA_11hip_rocprim3tagENSA_11use_defaultESG_EEEEPS6_NSA_18transform_iteratorI7is_evenIyENSC_INSA_10device_ptrIyEEEESG_SG_EENS0_5tupleIJPySJ_EEENSR_IJSJ_SJ_EEES6_PlJS6_EEE10hipError_tPvRmT3_T4_T5_T6_T7_T9_mT8_P12ihipStream_tbDpT10_ENKUlT_T0_E_clISt17integral_constantIbLb1EES1F_EEDaS1A_S1B_EUlS1A_E_NS1_11comp_targetILNS1_3genE3ELNS1_11target_archE908ELNS1_3gpuE7ELNS1_3repE0EEENS1_30default_config_static_selectorELNS0_4arch9wavefront6targetE1EEEvT1_
                                        ; -- End function
	.section	.AMDGPU.csdata,"",@progbits
; Kernel info:
; codeLenInByte = 0
; NumSgprs: 4
; NumVgprs: 0
; NumAgprs: 0
; TotalNumVgprs: 0
; ScratchSize: 0
; MemoryBound: 0
; FloatMode: 240
; IeeeMode: 1
; LDSByteSize: 0 bytes/workgroup (compile time only)
; SGPRBlocks: 0
; VGPRBlocks: 0
; NumSGPRsForWavesPerEU: 4
; NumVGPRsForWavesPerEU: 1
; AccumOffset: 4
; Occupancy: 8
; WaveLimiterHint : 0
; COMPUTE_PGM_RSRC2:SCRATCH_EN: 0
; COMPUTE_PGM_RSRC2:USER_SGPR: 6
; COMPUTE_PGM_RSRC2:TRAP_HANDLER: 0
; COMPUTE_PGM_RSRC2:TGID_X_EN: 1
; COMPUTE_PGM_RSRC2:TGID_Y_EN: 0
; COMPUTE_PGM_RSRC2:TGID_Z_EN: 0
; COMPUTE_PGM_RSRC2:TIDIG_COMP_CNT: 0
; COMPUTE_PGM_RSRC3_GFX90A:ACCUM_OFFSET: 0
; COMPUTE_PGM_RSRC3_GFX90A:TG_SPLIT: 0
	.section	.text._ZN7rocprim17ROCPRIM_400000_NS6detail17trampoline_kernelINS0_14default_configENS1_25partition_config_selectorILNS1_17partition_subalgoE2EyNS0_10empty_typeEbEEZZNS1_14partition_implILS5_2ELb0ES3_jN6thrust23THRUST_200600_302600_NS6detail15normal_iteratorINSA_7pointerIyNSA_11hip_rocprim3tagENSA_11use_defaultESG_EEEEPS6_NSA_18transform_iteratorI7is_evenIyENSC_INSA_10device_ptrIyEEEESG_SG_EENS0_5tupleIJPySJ_EEENSR_IJSJ_SJ_EEES6_PlJS6_EEE10hipError_tPvRmT3_T4_T5_T6_T7_T9_mT8_P12ihipStream_tbDpT10_ENKUlT_T0_E_clISt17integral_constantIbLb1EES1F_EEDaS1A_S1B_EUlS1A_E_NS1_11comp_targetILNS1_3genE2ELNS1_11target_archE906ELNS1_3gpuE6ELNS1_3repE0EEENS1_30default_config_static_selectorELNS0_4arch9wavefront6targetE1EEEvT1_,"axG",@progbits,_ZN7rocprim17ROCPRIM_400000_NS6detail17trampoline_kernelINS0_14default_configENS1_25partition_config_selectorILNS1_17partition_subalgoE2EyNS0_10empty_typeEbEEZZNS1_14partition_implILS5_2ELb0ES3_jN6thrust23THRUST_200600_302600_NS6detail15normal_iteratorINSA_7pointerIyNSA_11hip_rocprim3tagENSA_11use_defaultESG_EEEEPS6_NSA_18transform_iteratorI7is_evenIyENSC_INSA_10device_ptrIyEEEESG_SG_EENS0_5tupleIJPySJ_EEENSR_IJSJ_SJ_EEES6_PlJS6_EEE10hipError_tPvRmT3_T4_T5_T6_T7_T9_mT8_P12ihipStream_tbDpT10_ENKUlT_T0_E_clISt17integral_constantIbLb1EES1F_EEDaS1A_S1B_EUlS1A_E_NS1_11comp_targetILNS1_3genE2ELNS1_11target_archE906ELNS1_3gpuE6ELNS1_3repE0EEENS1_30default_config_static_selectorELNS0_4arch9wavefront6targetE1EEEvT1_,comdat
	.protected	_ZN7rocprim17ROCPRIM_400000_NS6detail17trampoline_kernelINS0_14default_configENS1_25partition_config_selectorILNS1_17partition_subalgoE2EyNS0_10empty_typeEbEEZZNS1_14partition_implILS5_2ELb0ES3_jN6thrust23THRUST_200600_302600_NS6detail15normal_iteratorINSA_7pointerIyNSA_11hip_rocprim3tagENSA_11use_defaultESG_EEEEPS6_NSA_18transform_iteratorI7is_evenIyENSC_INSA_10device_ptrIyEEEESG_SG_EENS0_5tupleIJPySJ_EEENSR_IJSJ_SJ_EEES6_PlJS6_EEE10hipError_tPvRmT3_T4_T5_T6_T7_T9_mT8_P12ihipStream_tbDpT10_ENKUlT_T0_E_clISt17integral_constantIbLb1EES1F_EEDaS1A_S1B_EUlS1A_E_NS1_11comp_targetILNS1_3genE2ELNS1_11target_archE906ELNS1_3gpuE6ELNS1_3repE0EEENS1_30default_config_static_selectorELNS0_4arch9wavefront6targetE1EEEvT1_ ; -- Begin function _ZN7rocprim17ROCPRIM_400000_NS6detail17trampoline_kernelINS0_14default_configENS1_25partition_config_selectorILNS1_17partition_subalgoE2EyNS0_10empty_typeEbEEZZNS1_14partition_implILS5_2ELb0ES3_jN6thrust23THRUST_200600_302600_NS6detail15normal_iteratorINSA_7pointerIyNSA_11hip_rocprim3tagENSA_11use_defaultESG_EEEEPS6_NSA_18transform_iteratorI7is_evenIyENSC_INSA_10device_ptrIyEEEESG_SG_EENS0_5tupleIJPySJ_EEENSR_IJSJ_SJ_EEES6_PlJS6_EEE10hipError_tPvRmT3_T4_T5_T6_T7_T9_mT8_P12ihipStream_tbDpT10_ENKUlT_T0_E_clISt17integral_constantIbLb1EES1F_EEDaS1A_S1B_EUlS1A_E_NS1_11comp_targetILNS1_3genE2ELNS1_11target_archE906ELNS1_3gpuE6ELNS1_3repE0EEENS1_30default_config_static_selectorELNS0_4arch9wavefront6targetE1EEEvT1_
	.globl	_ZN7rocprim17ROCPRIM_400000_NS6detail17trampoline_kernelINS0_14default_configENS1_25partition_config_selectorILNS1_17partition_subalgoE2EyNS0_10empty_typeEbEEZZNS1_14partition_implILS5_2ELb0ES3_jN6thrust23THRUST_200600_302600_NS6detail15normal_iteratorINSA_7pointerIyNSA_11hip_rocprim3tagENSA_11use_defaultESG_EEEEPS6_NSA_18transform_iteratorI7is_evenIyENSC_INSA_10device_ptrIyEEEESG_SG_EENS0_5tupleIJPySJ_EEENSR_IJSJ_SJ_EEES6_PlJS6_EEE10hipError_tPvRmT3_T4_T5_T6_T7_T9_mT8_P12ihipStream_tbDpT10_ENKUlT_T0_E_clISt17integral_constantIbLb1EES1F_EEDaS1A_S1B_EUlS1A_E_NS1_11comp_targetILNS1_3genE2ELNS1_11target_archE906ELNS1_3gpuE6ELNS1_3repE0EEENS1_30default_config_static_selectorELNS0_4arch9wavefront6targetE1EEEvT1_
	.p2align	8
	.type	_ZN7rocprim17ROCPRIM_400000_NS6detail17trampoline_kernelINS0_14default_configENS1_25partition_config_selectorILNS1_17partition_subalgoE2EyNS0_10empty_typeEbEEZZNS1_14partition_implILS5_2ELb0ES3_jN6thrust23THRUST_200600_302600_NS6detail15normal_iteratorINSA_7pointerIyNSA_11hip_rocprim3tagENSA_11use_defaultESG_EEEEPS6_NSA_18transform_iteratorI7is_evenIyENSC_INSA_10device_ptrIyEEEESG_SG_EENS0_5tupleIJPySJ_EEENSR_IJSJ_SJ_EEES6_PlJS6_EEE10hipError_tPvRmT3_T4_T5_T6_T7_T9_mT8_P12ihipStream_tbDpT10_ENKUlT_T0_E_clISt17integral_constantIbLb1EES1F_EEDaS1A_S1B_EUlS1A_E_NS1_11comp_targetILNS1_3genE2ELNS1_11target_archE906ELNS1_3gpuE6ELNS1_3repE0EEENS1_30default_config_static_selectorELNS0_4arch9wavefront6targetE1EEEvT1_,@function
_ZN7rocprim17ROCPRIM_400000_NS6detail17trampoline_kernelINS0_14default_configENS1_25partition_config_selectorILNS1_17partition_subalgoE2EyNS0_10empty_typeEbEEZZNS1_14partition_implILS5_2ELb0ES3_jN6thrust23THRUST_200600_302600_NS6detail15normal_iteratorINSA_7pointerIyNSA_11hip_rocprim3tagENSA_11use_defaultESG_EEEEPS6_NSA_18transform_iteratorI7is_evenIyENSC_INSA_10device_ptrIyEEEESG_SG_EENS0_5tupleIJPySJ_EEENSR_IJSJ_SJ_EEES6_PlJS6_EEE10hipError_tPvRmT3_T4_T5_T6_T7_T9_mT8_P12ihipStream_tbDpT10_ENKUlT_T0_E_clISt17integral_constantIbLb1EES1F_EEDaS1A_S1B_EUlS1A_E_NS1_11comp_targetILNS1_3genE2ELNS1_11target_archE906ELNS1_3gpuE6ELNS1_3repE0EEENS1_30default_config_static_selectorELNS0_4arch9wavefront6targetE1EEEvT1_: ; @_ZN7rocprim17ROCPRIM_400000_NS6detail17trampoline_kernelINS0_14default_configENS1_25partition_config_selectorILNS1_17partition_subalgoE2EyNS0_10empty_typeEbEEZZNS1_14partition_implILS5_2ELb0ES3_jN6thrust23THRUST_200600_302600_NS6detail15normal_iteratorINSA_7pointerIyNSA_11hip_rocprim3tagENSA_11use_defaultESG_EEEEPS6_NSA_18transform_iteratorI7is_evenIyENSC_INSA_10device_ptrIyEEEESG_SG_EENS0_5tupleIJPySJ_EEENSR_IJSJ_SJ_EEES6_PlJS6_EEE10hipError_tPvRmT3_T4_T5_T6_T7_T9_mT8_P12ihipStream_tbDpT10_ENKUlT_T0_E_clISt17integral_constantIbLb1EES1F_EEDaS1A_S1B_EUlS1A_E_NS1_11comp_targetILNS1_3genE2ELNS1_11target_archE906ELNS1_3gpuE6ELNS1_3repE0EEENS1_30default_config_static_selectorELNS0_4arch9wavefront6targetE1EEEvT1_
; %bb.0:
	.section	.rodata,"a",@progbits
	.p2align	6, 0x0
	.amdhsa_kernel _ZN7rocprim17ROCPRIM_400000_NS6detail17trampoline_kernelINS0_14default_configENS1_25partition_config_selectorILNS1_17partition_subalgoE2EyNS0_10empty_typeEbEEZZNS1_14partition_implILS5_2ELb0ES3_jN6thrust23THRUST_200600_302600_NS6detail15normal_iteratorINSA_7pointerIyNSA_11hip_rocprim3tagENSA_11use_defaultESG_EEEEPS6_NSA_18transform_iteratorI7is_evenIyENSC_INSA_10device_ptrIyEEEESG_SG_EENS0_5tupleIJPySJ_EEENSR_IJSJ_SJ_EEES6_PlJS6_EEE10hipError_tPvRmT3_T4_T5_T6_T7_T9_mT8_P12ihipStream_tbDpT10_ENKUlT_T0_E_clISt17integral_constantIbLb1EES1F_EEDaS1A_S1B_EUlS1A_E_NS1_11comp_targetILNS1_3genE2ELNS1_11target_archE906ELNS1_3gpuE6ELNS1_3repE0EEENS1_30default_config_static_selectorELNS0_4arch9wavefront6targetE1EEEvT1_
		.amdhsa_group_segment_fixed_size 0
		.amdhsa_private_segment_fixed_size 0
		.amdhsa_kernarg_size 144
		.amdhsa_user_sgpr_count 6
		.amdhsa_user_sgpr_private_segment_buffer 1
		.amdhsa_user_sgpr_dispatch_ptr 0
		.amdhsa_user_sgpr_queue_ptr 0
		.amdhsa_user_sgpr_kernarg_segment_ptr 1
		.amdhsa_user_sgpr_dispatch_id 0
		.amdhsa_user_sgpr_flat_scratch_init 0
		.amdhsa_user_sgpr_kernarg_preload_length 0
		.amdhsa_user_sgpr_kernarg_preload_offset 0
		.amdhsa_user_sgpr_private_segment_size 0
		.amdhsa_uses_dynamic_stack 0
		.amdhsa_system_sgpr_private_segment_wavefront_offset 0
		.amdhsa_system_sgpr_workgroup_id_x 1
		.amdhsa_system_sgpr_workgroup_id_y 0
		.amdhsa_system_sgpr_workgroup_id_z 0
		.amdhsa_system_sgpr_workgroup_info 0
		.amdhsa_system_vgpr_workitem_id 0
		.amdhsa_next_free_vgpr 1
		.amdhsa_next_free_sgpr 0
		.amdhsa_accum_offset 4
		.amdhsa_reserve_vcc 0
		.amdhsa_reserve_flat_scratch 0
		.amdhsa_float_round_mode_32 0
		.amdhsa_float_round_mode_16_64 0
		.amdhsa_float_denorm_mode_32 3
		.amdhsa_float_denorm_mode_16_64 3
		.amdhsa_dx10_clamp 1
		.amdhsa_ieee_mode 1
		.amdhsa_fp16_overflow 0
		.amdhsa_tg_split 0
		.amdhsa_exception_fp_ieee_invalid_op 0
		.amdhsa_exception_fp_denorm_src 0
		.amdhsa_exception_fp_ieee_div_zero 0
		.amdhsa_exception_fp_ieee_overflow 0
		.amdhsa_exception_fp_ieee_underflow 0
		.amdhsa_exception_fp_ieee_inexact 0
		.amdhsa_exception_int_div_zero 0
	.end_amdhsa_kernel
	.section	.text._ZN7rocprim17ROCPRIM_400000_NS6detail17trampoline_kernelINS0_14default_configENS1_25partition_config_selectorILNS1_17partition_subalgoE2EyNS0_10empty_typeEbEEZZNS1_14partition_implILS5_2ELb0ES3_jN6thrust23THRUST_200600_302600_NS6detail15normal_iteratorINSA_7pointerIyNSA_11hip_rocprim3tagENSA_11use_defaultESG_EEEEPS6_NSA_18transform_iteratorI7is_evenIyENSC_INSA_10device_ptrIyEEEESG_SG_EENS0_5tupleIJPySJ_EEENSR_IJSJ_SJ_EEES6_PlJS6_EEE10hipError_tPvRmT3_T4_T5_T6_T7_T9_mT8_P12ihipStream_tbDpT10_ENKUlT_T0_E_clISt17integral_constantIbLb1EES1F_EEDaS1A_S1B_EUlS1A_E_NS1_11comp_targetILNS1_3genE2ELNS1_11target_archE906ELNS1_3gpuE6ELNS1_3repE0EEENS1_30default_config_static_selectorELNS0_4arch9wavefront6targetE1EEEvT1_,"axG",@progbits,_ZN7rocprim17ROCPRIM_400000_NS6detail17trampoline_kernelINS0_14default_configENS1_25partition_config_selectorILNS1_17partition_subalgoE2EyNS0_10empty_typeEbEEZZNS1_14partition_implILS5_2ELb0ES3_jN6thrust23THRUST_200600_302600_NS6detail15normal_iteratorINSA_7pointerIyNSA_11hip_rocprim3tagENSA_11use_defaultESG_EEEEPS6_NSA_18transform_iteratorI7is_evenIyENSC_INSA_10device_ptrIyEEEESG_SG_EENS0_5tupleIJPySJ_EEENSR_IJSJ_SJ_EEES6_PlJS6_EEE10hipError_tPvRmT3_T4_T5_T6_T7_T9_mT8_P12ihipStream_tbDpT10_ENKUlT_T0_E_clISt17integral_constantIbLb1EES1F_EEDaS1A_S1B_EUlS1A_E_NS1_11comp_targetILNS1_3genE2ELNS1_11target_archE906ELNS1_3gpuE6ELNS1_3repE0EEENS1_30default_config_static_selectorELNS0_4arch9wavefront6targetE1EEEvT1_,comdat
.Lfunc_end2016:
	.size	_ZN7rocprim17ROCPRIM_400000_NS6detail17trampoline_kernelINS0_14default_configENS1_25partition_config_selectorILNS1_17partition_subalgoE2EyNS0_10empty_typeEbEEZZNS1_14partition_implILS5_2ELb0ES3_jN6thrust23THRUST_200600_302600_NS6detail15normal_iteratorINSA_7pointerIyNSA_11hip_rocprim3tagENSA_11use_defaultESG_EEEEPS6_NSA_18transform_iteratorI7is_evenIyENSC_INSA_10device_ptrIyEEEESG_SG_EENS0_5tupleIJPySJ_EEENSR_IJSJ_SJ_EEES6_PlJS6_EEE10hipError_tPvRmT3_T4_T5_T6_T7_T9_mT8_P12ihipStream_tbDpT10_ENKUlT_T0_E_clISt17integral_constantIbLb1EES1F_EEDaS1A_S1B_EUlS1A_E_NS1_11comp_targetILNS1_3genE2ELNS1_11target_archE906ELNS1_3gpuE6ELNS1_3repE0EEENS1_30default_config_static_selectorELNS0_4arch9wavefront6targetE1EEEvT1_, .Lfunc_end2016-_ZN7rocprim17ROCPRIM_400000_NS6detail17trampoline_kernelINS0_14default_configENS1_25partition_config_selectorILNS1_17partition_subalgoE2EyNS0_10empty_typeEbEEZZNS1_14partition_implILS5_2ELb0ES3_jN6thrust23THRUST_200600_302600_NS6detail15normal_iteratorINSA_7pointerIyNSA_11hip_rocprim3tagENSA_11use_defaultESG_EEEEPS6_NSA_18transform_iteratorI7is_evenIyENSC_INSA_10device_ptrIyEEEESG_SG_EENS0_5tupleIJPySJ_EEENSR_IJSJ_SJ_EEES6_PlJS6_EEE10hipError_tPvRmT3_T4_T5_T6_T7_T9_mT8_P12ihipStream_tbDpT10_ENKUlT_T0_E_clISt17integral_constantIbLb1EES1F_EEDaS1A_S1B_EUlS1A_E_NS1_11comp_targetILNS1_3genE2ELNS1_11target_archE906ELNS1_3gpuE6ELNS1_3repE0EEENS1_30default_config_static_selectorELNS0_4arch9wavefront6targetE1EEEvT1_
                                        ; -- End function
	.section	.AMDGPU.csdata,"",@progbits
; Kernel info:
; codeLenInByte = 0
; NumSgprs: 4
; NumVgprs: 0
; NumAgprs: 0
; TotalNumVgprs: 0
; ScratchSize: 0
; MemoryBound: 0
; FloatMode: 240
; IeeeMode: 1
; LDSByteSize: 0 bytes/workgroup (compile time only)
; SGPRBlocks: 0
; VGPRBlocks: 0
; NumSGPRsForWavesPerEU: 4
; NumVGPRsForWavesPerEU: 1
; AccumOffset: 4
; Occupancy: 8
; WaveLimiterHint : 0
; COMPUTE_PGM_RSRC2:SCRATCH_EN: 0
; COMPUTE_PGM_RSRC2:USER_SGPR: 6
; COMPUTE_PGM_RSRC2:TRAP_HANDLER: 0
; COMPUTE_PGM_RSRC2:TGID_X_EN: 1
; COMPUTE_PGM_RSRC2:TGID_Y_EN: 0
; COMPUTE_PGM_RSRC2:TGID_Z_EN: 0
; COMPUTE_PGM_RSRC2:TIDIG_COMP_CNT: 0
; COMPUTE_PGM_RSRC3_GFX90A:ACCUM_OFFSET: 0
; COMPUTE_PGM_RSRC3_GFX90A:TG_SPLIT: 0
	.section	.text._ZN7rocprim17ROCPRIM_400000_NS6detail17trampoline_kernelINS0_14default_configENS1_25partition_config_selectorILNS1_17partition_subalgoE2EyNS0_10empty_typeEbEEZZNS1_14partition_implILS5_2ELb0ES3_jN6thrust23THRUST_200600_302600_NS6detail15normal_iteratorINSA_7pointerIyNSA_11hip_rocprim3tagENSA_11use_defaultESG_EEEEPS6_NSA_18transform_iteratorI7is_evenIyENSC_INSA_10device_ptrIyEEEESG_SG_EENS0_5tupleIJPySJ_EEENSR_IJSJ_SJ_EEES6_PlJS6_EEE10hipError_tPvRmT3_T4_T5_T6_T7_T9_mT8_P12ihipStream_tbDpT10_ENKUlT_T0_E_clISt17integral_constantIbLb1EES1F_EEDaS1A_S1B_EUlS1A_E_NS1_11comp_targetILNS1_3genE10ELNS1_11target_archE1200ELNS1_3gpuE4ELNS1_3repE0EEENS1_30default_config_static_selectorELNS0_4arch9wavefront6targetE1EEEvT1_,"axG",@progbits,_ZN7rocprim17ROCPRIM_400000_NS6detail17trampoline_kernelINS0_14default_configENS1_25partition_config_selectorILNS1_17partition_subalgoE2EyNS0_10empty_typeEbEEZZNS1_14partition_implILS5_2ELb0ES3_jN6thrust23THRUST_200600_302600_NS6detail15normal_iteratorINSA_7pointerIyNSA_11hip_rocprim3tagENSA_11use_defaultESG_EEEEPS6_NSA_18transform_iteratorI7is_evenIyENSC_INSA_10device_ptrIyEEEESG_SG_EENS0_5tupleIJPySJ_EEENSR_IJSJ_SJ_EEES6_PlJS6_EEE10hipError_tPvRmT3_T4_T5_T6_T7_T9_mT8_P12ihipStream_tbDpT10_ENKUlT_T0_E_clISt17integral_constantIbLb1EES1F_EEDaS1A_S1B_EUlS1A_E_NS1_11comp_targetILNS1_3genE10ELNS1_11target_archE1200ELNS1_3gpuE4ELNS1_3repE0EEENS1_30default_config_static_selectorELNS0_4arch9wavefront6targetE1EEEvT1_,comdat
	.protected	_ZN7rocprim17ROCPRIM_400000_NS6detail17trampoline_kernelINS0_14default_configENS1_25partition_config_selectorILNS1_17partition_subalgoE2EyNS0_10empty_typeEbEEZZNS1_14partition_implILS5_2ELb0ES3_jN6thrust23THRUST_200600_302600_NS6detail15normal_iteratorINSA_7pointerIyNSA_11hip_rocprim3tagENSA_11use_defaultESG_EEEEPS6_NSA_18transform_iteratorI7is_evenIyENSC_INSA_10device_ptrIyEEEESG_SG_EENS0_5tupleIJPySJ_EEENSR_IJSJ_SJ_EEES6_PlJS6_EEE10hipError_tPvRmT3_T4_T5_T6_T7_T9_mT8_P12ihipStream_tbDpT10_ENKUlT_T0_E_clISt17integral_constantIbLb1EES1F_EEDaS1A_S1B_EUlS1A_E_NS1_11comp_targetILNS1_3genE10ELNS1_11target_archE1200ELNS1_3gpuE4ELNS1_3repE0EEENS1_30default_config_static_selectorELNS0_4arch9wavefront6targetE1EEEvT1_ ; -- Begin function _ZN7rocprim17ROCPRIM_400000_NS6detail17trampoline_kernelINS0_14default_configENS1_25partition_config_selectorILNS1_17partition_subalgoE2EyNS0_10empty_typeEbEEZZNS1_14partition_implILS5_2ELb0ES3_jN6thrust23THRUST_200600_302600_NS6detail15normal_iteratorINSA_7pointerIyNSA_11hip_rocprim3tagENSA_11use_defaultESG_EEEEPS6_NSA_18transform_iteratorI7is_evenIyENSC_INSA_10device_ptrIyEEEESG_SG_EENS0_5tupleIJPySJ_EEENSR_IJSJ_SJ_EEES6_PlJS6_EEE10hipError_tPvRmT3_T4_T5_T6_T7_T9_mT8_P12ihipStream_tbDpT10_ENKUlT_T0_E_clISt17integral_constantIbLb1EES1F_EEDaS1A_S1B_EUlS1A_E_NS1_11comp_targetILNS1_3genE10ELNS1_11target_archE1200ELNS1_3gpuE4ELNS1_3repE0EEENS1_30default_config_static_selectorELNS0_4arch9wavefront6targetE1EEEvT1_
	.globl	_ZN7rocprim17ROCPRIM_400000_NS6detail17trampoline_kernelINS0_14default_configENS1_25partition_config_selectorILNS1_17partition_subalgoE2EyNS0_10empty_typeEbEEZZNS1_14partition_implILS5_2ELb0ES3_jN6thrust23THRUST_200600_302600_NS6detail15normal_iteratorINSA_7pointerIyNSA_11hip_rocprim3tagENSA_11use_defaultESG_EEEEPS6_NSA_18transform_iteratorI7is_evenIyENSC_INSA_10device_ptrIyEEEESG_SG_EENS0_5tupleIJPySJ_EEENSR_IJSJ_SJ_EEES6_PlJS6_EEE10hipError_tPvRmT3_T4_T5_T6_T7_T9_mT8_P12ihipStream_tbDpT10_ENKUlT_T0_E_clISt17integral_constantIbLb1EES1F_EEDaS1A_S1B_EUlS1A_E_NS1_11comp_targetILNS1_3genE10ELNS1_11target_archE1200ELNS1_3gpuE4ELNS1_3repE0EEENS1_30default_config_static_selectorELNS0_4arch9wavefront6targetE1EEEvT1_
	.p2align	8
	.type	_ZN7rocprim17ROCPRIM_400000_NS6detail17trampoline_kernelINS0_14default_configENS1_25partition_config_selectorILNS1_17partition_subalgoE2EyNS0_10empty_typeEbEEZZNS1_14partition_implILS5_2ELb0ES3_jN6thrust23THRUST_200600_302600_NS6detail15normal_iteratorINSA_7pointerIyNSA_11hip_rocprim3tagENSA_11use_defaultESG_EEEEPS6_NSA_18transform_iteratorI7is_evenIyENSC_INSA_10device_ptrIyEEEESG_SG_EENS0_5tupleIJPySJ_EEENSR_IJSJ_SJ_EEES6_PlJS6_EEE10hipError_tPvRmT3_T4_T5_T6_T7_T9_mT8_P12ihipStream_tbDpT10_ENKUlT_T0_E_clISt17integral_constantIbLb1EES1F_EEDaS1A_S1B_EUlS1A_E_NS1_11comp_targetILNS1_3genE10ELNS1_11target_archE1200ELNS1_3gpuE4ELNS1_3repE0EEENS1_30default_config_static_selectorELNS0_4arch9wavefront6targetE1EEEvT1_,@function
_ZN7rocprim17ROCPRIM_400000_NS6detail17trampoline_kernelINS0_14default_configENS1_25partition_config_selectorILNS1_17partition_subalgoE2EyNS0_10empty_typeEbEEZZNS1_14partition_implILS5_2ELb0ES3_jN6thrust23THRUST_200600_302600_NS6detail15normal_iteratorINSA_7pointerIyNSA_11hip_rocprim3tagENSA_11use_defaultESG_EEEEPS6_NSA_18transform_iteratorI7is_evenIyENSC_INSA_10device_ptrIyEEEESG_SG_EENS0_5tupleIJPySJ_EEENSR_IJSJ_SJ_EEES6_PlJS6_EEE10hipError_tPvRmT3_T4_T5_T6_T7_T9_mT8_P12ihipStream_tbDpT10_ENKUlT_T0_E_clISt17integral_constantIbLb1EES1F_EEDaS1A_S1B_EUlS1A_E_NS1_11comp_targetILNS1_3genE10ELNS1_11target_archE1200ELNS1_3gpuE4ELNS1_3repE0EEENS1_30default_config_static_selectorELNS0_4arch9wavefront6targetE1EEEvT1_: ; @_ZN7rocprim17ROCPRIM_400000_NS6detail17trampoline_kernelINS0_14default_configENS1_25partition_config_selectorILNS1_17partition_subalgoE2EyNS0_10empty_typeEbEEZZNS1_14partition_implILS5_2ELb0ES3_jN6thrust23THRUST_200600_302600_NS6detail15normal_iteratorINSA_7pointerIyNSA_11hip_rocprim3tagENSA_11use_defaultESG_EEEEPS6_NSA_18transform_iteratorI7is_evenIyENSC_INSA_10device_ptrIyEEEESG_SG_EENS0_5tupleIJPySJ_EEENSR_IJSJ_SJ_EEES6_PlJS6_EEE10hipError_tPvRmT3_T4_T5_T6_T7_T9_mT8_P12ihipStream_tbDpT10_ENKUlT_T0_E_clISt17integral_constantIbLb1EES1F_EEDaS1A_S1B_EUlS1A_E_NS1_11comp_targetILNS1_3genE10ELNS1_11target_archE1200ELNS1_3gpuE4ELNS1_3repE0EEENS1_30default_config_static_selectorELNS0_4arch9wavefront6targetE1EEEvT1_
; %bb.0:
	.section	.rodata,"a",@progbits
	.p2align	6, 0x0
	.amdhsa_kernel _ZN7rocprim17ROCPRIM_400000_NS6detail17trampoline_kernelINS0_14default_configENS1_25partition_config_selectorILNS1_17partition_subalgoE2EyNS0_10empty_typeEbEEZZNS1_14partition_implILS5_2ELb0ES3_jN6thrust23THRUST_200600_302600_NS6detail15normal_iteratorINSA_7pointerIyNSA_11hip_rocprim3tagENSA_11use_defaultESG_EEEEPS6_NSA_18transform_iteratorI7is_evenIyENSC_INSA_10device_ptrIyEEEESG_SG_EENS0_5tupleIJPySJ_EEENSR_IJSJ_SJ_EEES6_PlJS6_EEE10hipError_tPvRmT3_T4_T5_T6_T7_T9_mT8_P12ihipStream_tbDpT10_ENKUlT_T0_E_clISt17integral_constantIbLb1EES1F_EEDaS1A_S1B_EUlS1A_E_NS1_11comp_targetILNS1_3genE10ELNS1_11target_archE1200ELNS1_3gpuE4ELNS1_3repE0EEENS1_30default_config_static_selectorELNS0_4arch9wavefront6targetE1EEEvT1_
		.amdhsa_group_segment_fixed_size 0
		.amdhsa_private_segment_fixed_size 0
		.amdhsa_kernarg_size 144
		.amdhsa_user_sgpr_count 6
		.amdhsa_user_sgpr_private_segment_buffer 1
		.amdhsa_user_sgpr_dispatch_ptr 0
		.amdhsa_user_sgpr_queue_ptr 0
		.amdhsa_user_sgpr_kernarg_segment_ptr 1
		.amdhsa_user_sgpr_dispatch_id 0
		.amdhsa_user_sgpr_flat_scratch_init 0
		.amdhsa_user_sgpr_kernarg_preload_length 0
		.amdhsa_user_sgpr_kernarg_preload_offset 0
		.amdhsa_user_sgpr_private_segment_size 0
		.amdhsa_uses_dynamic_stack 0
		.amdhsa_system_sgpr_private_segment_wavefront_offset 0
		.amdhsa_system_sgpr_workgroup_id_x 1
		.amdhsa_system_sgpr_workgroup_id_y 0
		.amdhsa_system_sgpr_workgroup_id_z 0
		.amdhsa_system_sgpr_workgroup_info 0
		.amdhsa_system_vgpr_workitem_id 0
		.amdhsa_next_free_vgpr 1
		.amdhsa_next_free_sgpr 0
		.amdhsa_accum_offset 4
		.amdhsa_reserve_vcc 0
		.amdhsa_reserve_flat_scratch 0
		.amdhsa_float_round_mode_32 0
		.amdhsa_float_round_mode_16_64 0
		.amdhsa_float_denorm_mode_32 3
		.amdhsa_float_denorm_mode_16_64 3
		.amdhsa_dx10_clamp 1
		.amdhsa_ieee_mode 1
		.amdhsa_fp16_overflow 0
		.amdhsa_tg_split 0
		.amdhsa_exception_fp_ieee_invalid_op 0
		.amdhsa_exception_fp_denorm_src 0
		.amdhsa_exception_fp_ieee_div_zero 0
		.amdhsa_exception_fp_ieee_overflow 0
		.amdhsa_exception_fp_ieee_underflow 0
		.amdhsa_exception_fp_ieee_inexact 0
		.amdhsa_exception_int_div_zero 0
	.end_amdhsa_kernel
	.section	.text._ZN7rocprim17ROCPRIM_400000_NS6detail17trampoline_kernelINS0_14default_configENS1_25partition_config_selectorILNS1_17partition_subalgoE2EyNS0_10empty_typeEbEEZZNS1_14partition_implILS5_2ELb0ES3_jN6thrust23THRUST_200600_302600_NS6detail15normal_iteratorINSA_7pointerIyNSA_11hip_rocprim3tagENSA_11use_defaultESG_EEEEPS6_NSA_18transform_iteratorI7is_evenIyENSC_INSA_10device_ptrIyEEEESG_SG_EENS0_5tupleIJPySJ_EEENSR_IJSJ_SJ_EEES6_PlJS6_EEE10hipError_tPvRmT3_T4_T5_T6_T7_T9_mT8_P12ihipStream_tbDpT10_ENKUlT_T0_E_clISt17integral_constantIbLb1EES1F_EEDaS1A_S1B_EUlS1A_E_NS1_11comp_targetILNS1_3genE10ELNS1_11target_archE1200ELNS1_3gpuE4ELNS1_3repE0EEENS1_30default_config_static_selectorELNS0_4arch9wavefront6targetE1EEEvT1_,"axG",@progbits,_ZN7rocprim17ROCPRIM_400000_NS6detail17trampoline_kernelINS0_14default_configENS1_25partition_config_selectorILNS1_17partition_subalgoE2EyNS0_10empty_typeEbEEZZNS1_14partition_implILS5_2ELb0ES3_jN6thrust23THRUST_200600_302600_NS6detail15normal_iteratorINSA_7pointerIyNSA_11hip_rocprim3tagENSA_11use_defaultESG_EEEEPS6_NSA_18transform_iteratorI7is_evenIyENSC_INSA_10device_ptrIyEEEESG_SG_EENS0_5tupleIJPySJ_EEENSR_IJSJ_SJ_EEES6_PlJS6_EEE10hipError_tPvRmT3_T4_T5_T6_T7_T9_mT8_P12ihipStream_tbDpT10_ENKUlT_T0_E_clISt17integral_constantIbLb1EES1F_EEDaS1A_S1B_EUlS1A_E_NS1_11comp_targetILNS1_3genE10ELNS1_11target_archE1200ELNS1_3gpuE4ELNS1_3repE0EEENS1_30default_config_static_selectorELNS0_4arch9wavefront6targetE1EEEvT1_,comdat
.Lfunc_end2017:
	.size	_ZN7rocprim17ROCPRIM_400000_NS6detail17trampoline_kernelINS0_14default_configENS1_25partition_config_selectorILNS1_17partition_subalgoE2EyNS0_10empty_typeEbEEZZNS1_14partition_implILS5_2ELb0ES3_jN6thrust23THRUST_200600_302600_NS6detail15normal_iteratorINSA_7pointerIyNSA_11hip_rocprim3tagENSA_11use_defaultESG_EEEEPS6_NSA_18transform_iteratorI7is_evenIyENSC_INSA_10device_ptrIyEEEESG_SG_EENS0_5tupleIJPySJ_EEENSR_IJSJ_SJ_EEES6_PlJS6_EEE10hipError_tPvRmT3_T4_T5_T6_T7_T9_mT8_P12ihipStream_tbDpT10_ENKUlT_T0_E_clISt17integral_constantIbLb1EES1F_EEDaS1A_S1B_EUlS1A_E_NS1_11comp_targetILNS1_3genE10ELNS1_11target_archE1200ELNS1_3gpuE4ELNS1_3repE0EEENS1_30default_config_static_selectorELNS0_4arch9wavefront6targetE1EEEvT1_, .Lfunc_end2017-_ZN7rocprim17ROCPRIM_400000_NS6detail17trampoline_kernelINS0_14default_configENS1_25partition_config_selectorILNS1_17partition_subalgoE2EyNS0_10empty_typeEbEEZZNS1_14partition_implILS5_2ELb0ES3_jN6thrust23THRUST_200600_302600_NS6detail15normal_iteratorINSA_7pointerIyNSA_11hip_rocprim3tagENSA_11use_defaultESG_EEEEPS6_NSA_18transform_iteratorI7is_evenIyENSC_INSA_10device_ptrIyEEEESG_SG_EENS0_5tupleIJPySJ_EEENSR_IJSJ_SJ_EEES6_PlJS6_EEE10hipError_tPvRmT3_T4_T5_T6_T7_T9_mT8_P12ihipStream_tbDpT10_ENKUlT_T0_E_clISt17integral_constantIbLb1EES1F_EEDaS1A_S1B_EUlS1A_E_NS1_11comp_targetILNS1_3genE10ELNS1_11target_archE1200ELNS1_3gpuE4ELNS1_3repE0EEENS1_30default_config_static_selectorELNS0_4arch9wavefront6targetE1EEEvT1_
                                        ; -- End function
	.section	.AMDGPU.csdata,"",@progbits
; Kernel info:
; codeLenInByte = 0
; NumSgprs: 4
; NumVgprs: 0
; NumAgprs: 0
; TotalNumVgprs: 0
; ScratchSize: 0
; MemoryBound: 0
; FloatMode: 240
; IeeeMode: 1
; LDSByteSize: 0 bytes/workgroup (compile time only)
; SGPRBlocks: 0
; VGPRBlocks: 0
; NumSGPRsForWavesPerEU: 4
; NumVGPRsForWavesPerEU: 1
; AccumOffset: 4
; Occupancy: 8
; WaveLimiterHint : 0
; COMPUTE_PGM_RSRC2:SCRATCH_EN: 0
; COMPUTE_PGM_RSRC2:USER_SGPR: 6
; COMPUTE_PGM_RSRC2:TRAP_HANDLER: 0
; COMPUTE_PGM_RSRC2:TGID_X_EN: 1
; COMPUTE_PGM_RSRC2:TGID_Y_EN: 0
; COMPUTE_PGM_RSRC2:TGID_Z_EN: 0
; COMPUTE_PGM_RSRC2:TIDIG_COMP_CNT: 0
; COMPUTE_PGM_RSRC3_GFX90A:ACCUM_OFFSET: 0
; COMPUTE_PGM_RSRC3_GFX90A:TG_SPLIT: 0
	.section	.text._ZN7rocprim17ROCPRIM_400000_NS6detail17trampoline_kernelINS0_14default_configENS1_25partition_config_selectorILNS1_17partition_subalgoE2EyNS0_10empty_typeEbEEZZNS1_14partition_implILS5_2ELb0ES3_jN6thrust23THRUST_200600_302600_NS6detail15normal_iteratorINSA_7pointerIyNSA_11hip_rocprim3tagENSA_11use_defaultESG_EEEEPS6_NSA_18transform_iteratorI7is_evenIyENSC_INSA_10device_ptrIyEEEESG_SG_EENS0_5tupleIJPySJ_EEENSR_IJSJ_SJ_EEES6_PlJS6_EEE10hipError_tPvRmT3_T4_T5_T6_T7_T9_mT8_P12ihipStream_tbDpT10_ENKUlT_T0_E_clISt17integral_constantIbLb1EES1F_EEDaS1A_S1B_EUlS1A_E_NS1_11comp_targetILNS1_3genE9ELNS1_11target_archE1100ELNS1_3gpuE3ELNS1_3repE0EEENS1_30default_config_static_selectorELNS0_4arch9wavefront6targetE1EEEvT1_,"axG",@progbits,_ZN7rocprim17ROCPRIM_400000_NS6detail17trampoline_kernelINS0_14default_configENS1_25partition_config_selectorILNS1_17partition_subalgoE2EyNS0_10empty_typeEbEEZZNS1_14partition_implILS5_2ELb0ES3_jN6thrust23THRUST_200600_302600_NS6detail15normal_iteratorINSA_7pointerIyNSA_11hip_rocprim3tagENSA_11use_defaultESG_EEEEPS6_NSA_18transform_iteratorI7is_evenIyENSC_INSA_10device_ptrIyEEEESG_SG_EENS0_5tupleIJPySJ_EEENSR_IJSJ_SJ_EEES6_PlJS6_EEE10hipError_tPvRmT3_T4_T5_T6_T7_T9_mT8_P12ihipStream_tbDpT10_ENKUlT_T0_E_clISt17integral_constantIbLb1EES1F_EEDaS1A_S1B_EUlS1A_E_NS1_11comp_targetILNS1_3genE9ELNS1_11target_archE1100ELNS1_3gpuE3ELNS1_3repE0EEENS1_30default_config_static_selectorELNS0_4arch9wavefront6targetE1EEEvT1_,comdat
	.protected	_ZN7rocprim17ROCPRIM_400000_NS6detail17trampoline_kernelINS0_14default_configENS1_25partition_config_selectorILNS1_17partition_subalgoE2EyNS0_10empty_typeEbEEZZNS1_14partition_implILS5_2ELb0ES3_jN6thrust23THRUST_200600_302600_NS6detail15normal_iteratorINSA_7pointerIyNSA_11hip_rocprim3tagENSA_11use_defaultESG_EEEEPS6_NSA_18transform_iteratorI7is_evenIyENSC_INSA_10device_ptrIyEEEESG_SG_EENS0_5tupleIJPySJ_EEENSR_IJSJ_SJ_EEES6_PlJS6_EEE10hipError_tPvRmT3_T4_T5_T6_T7_T9_mT8_P12ihipStream_tbDpT10_ENKUlT_T0_E_clISt17integral_constantIbLb1EES1F_EEDaS1A_S1B_EUlS1A_E_NS1_11comp_targetILNS1_3genE9ELNS1_11target_archE1100ELNS1_3gpuE3ELNS1_3repE0EEENS1_30default_config_static_selectorELNS0_4arch9wavefront6targetE1EEEvT1_ ; -- Begin function _ZN7rocprim17ROCPRIM_400000_NS6detail17trampoline_kernelINS0_14default_configENS1_25partition_config_selectorILNS1_17partition_subalgoE2EyNS0_10empty_typeEbEEZZNS1_14partition_implILS5_2ELb0ES3_jN6thrust23THRUST_200600_302600_NS6detail15normal_iteratorINSA_7pointerIyNSA_11hip_rocprim3tagENSA_11use_defaultESG_EEEEPS6_NSA_18transform_iteratorI7is_evenIyENSC_INSA_10device_ptrIyEEEESG_SG_EENS0_5tupleIJPySJ_EEENSR_IJSJ_SJ_EEES6_PlJS6_EEE10hipError_tPvRmT3_T4_T5_T6_T7_T9_mT8_P12ihipStream_tbDpT10_ENKUlT_T0_E_clISt17integral_constantIbLb1EES1F_EEDaS1A_S1B_EUlS1A_E_NS1_11comp_targetILNS1_3genE9ELNS1_11target_archE1100ELNS1_3gpuE3ELNS1_3repE0EEENS1_30default_config_static_selectorELNS0_4arch9wavefront6targetE1EEEvT1_
	.globl	_ZN7rocprim17ROCPRIM_400000_NS6detail17trampoline_kernelINS0_14default_configENS1_25partition_config_selectorILNS1_17partition_subalgoE2EyNS0_10empty_typeEbEEZZNS1_14partition_implILS5_2ELb0ES3_jN6thrust23THRUST_200600_302600_NS6detail15normal_iteratorINSA_7pointerIyNSA_11hip_rocprim3tagENSA_11use_defaultESG_EEEEPS6_NSA_18transform_iteratorI7is_evenIyENSC_INSA_10device_ptrIyEEEESG_SG_EENS0_5tupleIJPySJ_EEENSR_IJSJ_SJ_EEES6_PlJS6_EEE10hipError_tPvRmT3_T4_T5_T6_T7_T9_mT8_P12ihipStream_tbDpT10_ENKUlT_T0_E_clISt17integral_constantIbLb1EES1F_EEDaS1A_S1B_EUlS1A_E_NS1_11comp_targetILNS1_3genE9ELNS1_11target_archE1100ELNS1_3gpuE3ELNS1_3repE0EEENS1_30default_config_static_selectorELNS0_4arch9wavefront6targetE1EEEvT1_
	.p2align	8
	.type	_ZN7rocprim17ROCPRIM_400000_NS6detail17trampoline_kernelINS0_14default_configENS1_25partition_config_selectorILNS1_17partition_subalgoE2EyNS0_10empty_typeEbEEZZNS1_14partition_implILS5_2ELb0ES3_jN6thrust23THRUST_200600_302600_NS6detail15normal_iteratorINSA_7pointerIyNSA_11hip_rocprim3tagENSA_11use_defaultESG_EEEEPS6_NSA_18transform_iteratorI7is_evenIyENSC_INSA_10device_ptrIyEEEESG_SG_EENS0_5tupleIJPySJ_EEENSR_IJSJ_SJ_EEES6_PlJS6_EEE10hipError_tPvRmT3_T4_T5_T6_T7_T9_mT8_P12ihipStream_tbDpT10_ENKUlT_T0_E_clISt17integral_constantIbLb1EES1F_EEDaS1A_S1B_EUlS1A_E_NS1_11comp_targetILNS1_3genE9ELNS1_11target_archE1100ELNS1_3gpuE3ELNS1_3repE0EEENS1_30default_config_static_selectorELNS0_4arch9wavefront6targetE1EEEvT1_,@function
_ZN7rocprim17ROCPRIM_400000_NS6detail17trampoline_kernelINS0_14default_configENS1_25partition_config_selectorILNS1_17partition_subalgoE2EyNS0_10empty_typeEbEEZZNS1_14partition_implILS5_2ELb0ES3_jN6thrust23THRUST_200600_302600_NS6detail15normal_iteratorINSA_7pointerIyNSA_11hip_rocprim3tagENSA_11use_defaultESG_EEEEPS6_NSA_18transform_iteratorI7is_evenIyENSC_INSA_10device_ptrIyEEEESG_SG_EENS0_5tupleIJPySJ_EEENSR_IJSJ_SJ_EEES6_PlJS6_EEE10hipError_tPvRmT3_T4_T5_T6_T7_T9_mT8_P12ihipStream_tbDpT10_ENKUlT_T0_E_clISt17integral_constantIbLb1EES1F_EEDaS1A_S1B_EUlS1A_E_NS1_11comp_targetILNS1_3genE9ELNS1_11target_archE1100ELNS1_3gpuE3ELNS1_3repE0EEENS1_30default_config_static_selectorELNS0_4arch9wavefront6targetE1EEEvT1_: ; @_ZN7rocprim17ROCPRIM_400000_NS6detail17trampoline_kernelINS0_14default_configENS1_25partition_config_selectorILNS1_17partition_subalgoE2EyNS0_10empty_typeEbEEZZNS1_14partition_implILS5_2ELb0ES3_jN6thrust23THRUST_200600_302600_NS6detail15normal_iteratorINSA_7pointerIyNSA_11hip_rocprim3tagENSA_11use_defaultESG_EEEEPS6_NSA_18transform_iteratorI7is_evenIyENSC_INSA_10device_ptrIyEEEESG_SG_EENS0_5tupleIJPySJ_EEENSR_IJSJ_SJ_EEES6_PlJS6_EEE10hipError_tPvRmT3_T4_T5_T6_T7_T9_mT8_P12ihipStream_tbDpT10_ENKUlT_T0_E_clISt17integral_constantIbLb1EES1F_EEDaS1A_S1B_EUlS1A_E_NS1_11comp_targetILNS1_3genE9ELNS1_11target_archE1100ELNS1_3gpuE3ELNS1_3repE0EEENS1_30default_config_static_selectorELNS0_4arch9wavefront6targetE1EEEvT1_
; %bb.0:
	.section	.rodata,"a",@progbits
	.p2align	6, 0x0
	.amdhsa_kernel _ZN7rocprim17ROCPRIM_400000_NS6detail17trampoline_kernelINS0_14default_configENS1_25partition_config_selectorILNS1_17partition_subalgoE2EyNS0_10empty_typeEbEEZZNS1_14partition_implILS5_2ELb0ES3_jN6thrust23THRUST_200600_302600_NS6detail15normal_iteratorINSA_7pointerIyNSA_11hip_rocprim3tagENSA_11use_defaultESG_EEEEPS6_NSA_18transform_iteratorI7is_evenIyENSC_INSA_10device_ptrIyEEEESG_SG_EENS0_5tupleIJPySJ_EEENSR_IJSJ_SJ_EEES6_PlJS6_EEE10hipError_tPvRmT3_T4_T5_T6_T7_T9_mT8_P12ihipStream_tbDpT10_ENKUlT_T0_E_clISt17integral_constantIbLb1EES1F_EEDaS1A_S1B_EUlS1A_E_NS1_11comp_targetILNS1_3genE9ELNS1_11target_archE1100ELNS1_3gpuE3ELNS1_3repE0EEENS1_30default_config_static_selectorELNS0_4arch9wavefront6targetE1EEEvT1_
		.amdhsa_group_segment_fixed_size 0
		.amdhsa_private_segment_fixed_size 0
		.amdhsa_kernarg_size 144
		.amdhsa_user_sgpr_count 6
		.amdhsa_user_sgpr_private_segment_buffer 1
		.amdhsa_user_sgpr_dispatch_ptr 0
		.amdhsa_user_sgpr_queue_ptr 0
		.amdhsa_user_sgpr_kernarg_segment_ptr 1
		.amdhsa_user_sgpr_dispatch_id 0
		.amdhsa_user_sgpr_flat_scratch_init 0
		.amdhsa_user_sgpr_kernarg_preload_length 0
		.amdhsa_user_sgpr_kernarg_preload_offset 0
		.amdhsa_user_sgpr_private_segment_size 0
		.amdhsa_uses_dynamic_stack 0
		.amdhsa_system_sgpr_private_segment_wavefront_offset 0
		.amdhsa_system_sgpr_workgroup_id_x 1
		.amdhsa_system_sgpr_workgroup_id_y 0
		.amdhsa_system_sgpr_workgroup_id_z 0
		.amdhsa_system_sgpr_workgroup_info 0
		.amdhsa_system_vgpr_workitem_id 0
		.amdhsa_next_free_vgpr 1
		.amdhsa_next_free_sgpr 0
		.amdhsa_accum_offset 4
		.amdhsa_reserve_vcc 0
		.amdhsa_reserve_flat_scratch 0
		.amdhsa_float_round_mode_32 0
		.amdhsa_float_round_mode_16_64 0
		.amdhsa_float_denorm_mode_32 3
		.amdhsa_float_denorm_mode_16_64 3
		.amdhsa_dx10_clamp 1
		.amdhsa_ieee_mode 1
		.amdhsa_fp16_overflow 0
		.amdhsa_tg_split 0
		.amdhsa_exception_fp_ieee_invalid_op 0
		.amdhsa_exception_fp_denorm_src 0
		.amdhsa_exception_fp_ieee_div_zero 0
		.amdhsa_exception_fp_ieee_overflow 0
		.amdhsa_exception_fp_ieee_underflow 0
		.amdhsa_exception_fp_ieee_inexact 0
		.amdhsa_exception_int_div_zero 0
	.end_amdhsa_kernel
	.section	.text._ZN7rocprim17ROCPRIM_400000_NS6detail17trampoline_kernelINS0_14default_configENS1_25partition_config_selectorILNS1_17partition_subalgoE2EyNS0_10empty_typeEbEEZZNS1_14partition_implILS5_2ELb0ES3_jN6thrust23THRUST_200600_302600_NS6detail15normal_iteratorINSA_7pointerIyNSA_11hip_rocprim3tagENSA_11use_defaultESG_EEEEPS6_NSA_18transform_iteratorI7is_evenIyENSC_INSA_10device_ptrIyEEEESG_SG_EENS0_5tupleIJPySJ_EEENSR_IJSJ_SJ_EEES6_PlJS6_EEE10hipError_tPvRmT3_T4_T5_T6_T7_T9_mT8_P12ihipStream_tbDpT10_ENKUlT_T0_E_clISt17integral_constantIbLb1EES1F_EEDaS1A_S1B_EUlS1A_E_NS1_11comp_targetILNS1_3genE9ELNS1_11target_archE1100ELNS1_3gpuE3ELNS1_3repE0EEENS1_30default_config_static_selectorELNS0_4arch9wavefront6targetE1EEEvT1_,"axG",@progbits,_ZN7rocprim17ROCPRIM_400000_NS6detail17trampoline_kernelINS0_14default_configENS1_25partition_config_selectorILNS1_17partition_subalgoE2EyNS0_10empty_typeEbEEZZNS1_14partition_implILS5_2ELb0ES3_jN6thrust23THRUST_200600_302600_NS6detail15normal_iteratorINSA_7pointerIyNSA_11hip_rocprim3tagENSA_11use_defaultESG_EEEEPS6_NSA_18transform_iteratorI7is_evenIyENSC_INSA_10device_ptrIyEEEESG_SG_EENS0_5tupleIJPySJ_EEENSR_IJSJ_SJ_EEES6_PlJS6_EEE10hipError_tPvRmT3_T4_T5_T6_T7_T9_mT8_P12ihipStream_tbDpT10_ENKUlT_T0_E_clISt17integral_constantIbLb1EES1F_EEDaS1A_S1B_EUlS1A_E_NS1_11comp_targetILNS1_3genE9ELNS1_11target_archE1100ELNS1_3gpuE3ELNS1_3repE0EEENS1_30default_config_static_selectorELNS0_4arch9wavefront6targetE1EEEvT1_,comdat
.Lfunc_end2018:
	.size	_ZN7rocprim17ROCPRIM_400000_NS6detail17trampoline_kernelINS0_14default_configENS1_25partition_config_selectorILNS1_17partition_subalgoE2EyNS0_10empty_typeEbEEZZNS1_14partition_implILS5_2ELb0ES3_jN6thrust23THRUST_200600_302600_NS6detail15normal_iteratorINSA_7pointerIyNSA_11hip_rocprim3tagENSA_11use_defaultESG_EEEEPS6_NSA_18transform_iteratorI7is_evenIyENSC_INSA_10device_ptrIyEEEESG_SG_EENS0_5tupleIJPySJ_EEENSR_IJSJ_SJ_EEES6_PlJS6_EEE10hipError_tPvRmT3_T4_T5_T6_T7_T9_mT8_P12ihipStream_tbDpT10_ENKUlT_T0_E_clISt17integral_constantIbLb1EES1F_EEDaS1A_S1B_EUlS1A_E_NS1_11comp_targetILNS1_3genE9ELNS1_11target_archE1100ELNS1_3gpuE3ELNS1_3repE0EEENS1_30default_config_static_selectorELNS0_4arch9wavefront6targetE1EEEvT1_, .Lfunc_end2018-_ZN7rocprim17ROCPRIM_400000_NS6detail17trampoline_kernelINS0_14default_configENS1_25partition_config_selectorILNS1_17partition_subalgoE2EyNS0_10empty_typeEbEEZZNS1_14partition_implILS5_2ELb0ES3_jN6thrust23THRUST_200600_302600_NS6detail15normal_iteratorINSA_7pointerIyNSA_11hip_rocprim3tagENSA_11use_defaultESG_EEEEPS6_NSA_18transform_iteratorI7is_evenIyENSC_INSA_10device_ptrIyEEEESG_SG_EENS0_5tupleIJPySJ_EEENSR_IJSJ_SJ_EEES6_PlJS6_EEE10hipError_tPvRmT3_T4_T5_T6_T7_T9_mT8_P12ihipStream_tbDpT10_ENKUlT_T0_E_clISt17integral_constantIbLb1EES1F_EEDaS1A_S1B_EUlS1A_E_NS1_11comp_targetILNS1_3genE9ELNS1_11target_archE1100ELNS1_3gpuE3ELNS1_3repE0EEENS1_30default_config_static_selectorELNS0_4arch9wavefront6targetE1EEEvT1_
                                        ; -- End function
	.section	.AMDGPU.csdata,"",@progbits
; Kernel info:
; codeLenInByte = 0
; NumSgprs: 4
; NumVgprs: 0
; NumAgprs: 0
; TotalNumVgprs: 0
; ScratchSize: 0
; MemoryBound: 0
; FloatMode: 240
; IeeeMode: 1
; LDSByteSize: 0 bytes/workgroup (compile time only)
; SGPRBlocks: 0
; VGPRBlocks: 0
; NumSGPRsForWavesPerEU: 4
; NumVGPRsForWavesPerEU: 1
; AccumOffset: 4
; Occupancy: 8
; WaveLimiterHint : 0
; COMPUTE_PGM_RSRC2:SCRATCH_EN: 0
; COMPUTE_PGM_RSRC2:USER_SGPR: 6
; COMPUTE_PGM_RSRC2:TRAP_HANDLER: 0
; COMPUTE_PGM_RSRC2:TGID_X_EN: 1
; COMPUTE_PGM_RSRC2:TGID_Y_EN: 0
; COMPUTE_PGM_RSRC2:TGID_Z_EN: 0
; COMPUTE_PGM_RSRC2:TIDIG_COMP_CNT: 0
; COMPUTE_PGM_RSRC3_GFX90A:ACCUM_OFFSET: 0
; COMPUTE_PGM_RSRC3_GFX90A:TG_SPLIT: 0
	.section	.text._ZN7rocprim17ROCPRIM_400000_NS6detail17trampoline_kernelINS0_14default_configENS1_25partition_config_selectorILNS1_17partition_subalgoE2EyNS0_10empty_typeEbEEZZNS1_14partition_implILS5_2ELb0ES3_jN6thrust23THRUST_200600_302600_NS6detail15normal_iteratorINSA_7pointerIyNSA_11hip_rocprim3tagENSA_11use_defaultESG_EEEEPS6_NSA_18transform_iteratorI7is_evenIyENSC_INSA_10device_ptrIyEEEESG_SG_EENS0_5tupleIJPySJ_EEENSR_IJSJ_SJ_EEES6_PlJS6_EEE10hipError_tPvRmT3_T4_T5_T6_T7_T9_mT8_P12ihipStream_tbDpT10_ENKUlT_T0_E_clISt17integral_constantIbLb1EES1F_EEDaS1A_S1B_EUlS1A_E_NS1_11comp_targetILNS1_3genE8ELNS1_11target_archE1030ELNS1_3gpuE2ELNS1_3repE0EEENS1_30default_config_static_selectorELNS0_4arch9wavefront6targetE1EEEvT1_,"axG",@progbits,_ZN7rocprim17ROCPRIM_400000_NS6detail17trampoline_kernelINS0_14default_configENS1_25partition_config_selectorILNS1_17partition_subalgoE2EyNS0_10empty_typeEbEEZZNS1_14partition_implILS5_2ELb0ES3_jN6thrust23THRUST_200600_302600_NS6detail15normal_iteratorINSA_7pointerIyNSA_11hip_rocprim3tagENSA_11use_defaultESG_EEEEPS6_NSA_18transform_iteratorI7is_evenIyENSC_INSA_10device_ptrIyEEEESG_SG_EENS0_5tupleIJPySJ_EEENSR_IJSJ_SJ_EEES6_PlJS6_EEE10hipError_tPvRmT3_T4_T5_T6_T7_T9_mT8_P12ihipStream_tbDpT10_ENKUlT_T0_E_clISt17integral_constantIbLb1EES1F_EEDaS1A_S1B_EUlS1A_E_NS1_11comp_targetILNS1_3genE8ELNS1_11target_archE1030ELNS1_3gpuE2ELNS1_3repE0EEENS1_30default_config_static_selectorELNS0_4arch9wavefront6targetE1EEEvT1_,comdat
	.protected	_ZN7rocprim17ROCPRIM_400000_NS6detail17trampoline_kernelINS0_14default_configENS1_25partition_config_selectorILNS1_17partition_subalgoE2EyNS0_10empty_typeEbEEZZNS1_14partition_implILS5_2ELb0ES3_jN6thrust23THRUST_200600_302600_NS6detail15normal_iteratorINSA_7pointerIyNSA_11hip_rocprim3tagENSA_11use_defaultESG_EEEEPS6_NSA_18transform_iteratorI7is_evenIyENSC_INSA_10device_ptrIyEEEESG_SG_EENS0_5tupleIJPySJ_EEENSR_IJSJ_SJ_EEES6_PlJS6_EEE10hipError_tPvRmT3_T4_T5_T6_T7_T9_mT8_P12ihipStream_tbDpT10_ENKUlT_T0_E_clISt17integral_constantIbLb1EES1F_EEDaS1A_S1B_EUlS1A_E_NS1_11comp_targetILNS1_3genE8ELNS1_11target_archE1030ELNS1_3gpuE2ELNS1_3repE0EEENS1_30default_config_static_selectorELNS0_4arch9wavefront6targetE1EEEvT1_ ; -- Begin function _ZN7rocprim17ROCPRIM_400000_NS6detail17trampoline_kernelINS0_14default_configENS1_25partition_config_selectorILNS1_17partition_subalgoE2EyNS0_10empty_typeEbEEZZNS1_14partition_implILS5_2ELb0ES3_jN6thrust23THRUST_200600_302600_NS6detail15normal_iteratorINSA_7pointerIyNSA_11hip_rocprim3tagENSA_11use_defaultESG_EEEEPS6_NSA_18transform_iteratorI7is_evenIyENSC_INSA_10device_ptrIyEEEESG_SG_EENS0_5tupleIJPySJ_EEENSR_IJSJ_SJ_EEES6_PlJS6_EEE10hipError_tPvRmT3_T4_T5_T6_T7_T9_mT8_P12ihipStream_tbDpT10_ENKUlT_T0_E_clISt17integral_constantIbLb1EES1F_EEDaS1A_S1B_EUlS1A_E_NS1_11comp_targetILNS1_3genE8ELNS1_11target_archE1030ELNS1_3gpuE2ELNS1_3repE0EEENS1_30default_config_static_selectorELNS0_4arch9wavefront6targetE1EEEvT1_
	.globl	_ZN7rocprim17ROCPRIM_400000_NS6detail17trampoline_kernelINS0_14default_configENS1_25partition_config_selectorILNS1_17partition_subalgoE2EyNS0_10empty_typeEbEEZZNS1_14partition_implILS5_2ELb0ES3_jN6thrust23THRUST_200600_302600_NS6detail15normal_iteratorINSA_7pointerIyNSA_11hip_rocprim3tagENSA_11use_defaultESG_EEEEPS6_NSA_18transform_iteratorI7is_evenIyENSC_INSA_10device_ptrIyEEEESG_SG_EENS0_5tupleIJPySJ_EEENSR_IJSJ_SJ_EEES6_PlJS6_EEE10hipError_tPvRmT3_T4_T5_T6_T7_T9_mT8_P12ihipStream_tbDpT10_ENKUlT_T0_E_clISt17integral_constantIbLb1EES1F_EEDaS1A_S1B_EUlS1A_E_NS1_11comp_targetILNS1_3genE8ELNS1_11target_archE1030ELNS1_3gpuE2ELNS1_3repE0EEENS1_30default_config_static_selectorELNS0_4arch9wavefront6targetE1EEEvT1_
	.p2align	8
	.type	_ZN7rocprim17ROCPRIM_400000_NS6detail17trampoline_kernelINS0_14default_configENS1_25partition_config_selectorILNS1_17partition_subalgoE2EyNS0_10empty_typeEbEEZZNS1_14partition_implILS5_2ELb0ES3_jN6thrust23THRUST_200600_302600_NS6detail15normal_iteratorINSA_7pointerIyNSA_11hip_rocprim3tagENSA_11use_defaultESG_EEEEPS6_NSA_18transform_iteratorI7is_evenIyENSC_INSA_10device_ptrIyEEEESG_SG_EENS0_5tupleIJPySJ_EEENSR_IJSJ_SJ_EEES6_PlJS6_EEE10hipError_tPvRmT3_T4_T5_T6_T7_T9_mT8_P12ihipStream_tbDpT10_ENKUlT_T0_E_clISt17integral_constantIbLb1EES1F_EEDaS1A_S1B_EUlS1A_E_NS1_11comp_targetILNS1_3genE8ELNS1_11target_archE1030ELNS1_3gpuE2ELNS1_3repE0EEENS1_30default_config_static_selectorELNS0_4arch9wavefront6targetE1EEEvT1_,@function
_ZN7rocprim17ROCPRIM_400000_NS6detail17trampoline_kernelINS0_14default_configENS1_25partition_config_selectorILNS1_17partition_subalgoE2EyNS0_10empty_typeEbEEZZNS1_14partition_implILS5_2ELb0ES3_jN6thrust23THRUST_200600_302600_NS6detail15normal_iteratorINSA_7pointerIyNSA_11hip_rocprim3tagENSA_11use_defaultESG_EEEEPS6_NSA_18transform_iteratorI7is_evenIyENSC_INSA_10device_ptrIyEEEESG_SG_EENS0_5tupleIJPySJ_EEENSR_IJSJ_SJ_EEES6_PlJS6_EEE10hipError_tPvRmT3_T4_T5_T6_T7_T9_mT8_P12ihipStream_tbDpT10_ENKUlT_T0_E_clISt17integral_constantIbLb1EES1F_EEDaS1A_S1B_EUlS1A_E_NS1_11comp_targetILNS1_3genE8ELNS1_11target_archE1030ELNS1_3gpuE2ELNS1_3repE0EEENS1_30default_config_static_selectorELNS0_4arch9wavefront6targetE1EEEvT1_: ; @_ZN7rocprim17ROCPRIM_400000_NS6detail17trampoline_kernelINS0_14default_configENS1_25partition_config_selectorILNS1_17partition_subalgoE2EyNS0_10empty_typeEbEEZZNS1_14partition_implILS5_2ELb0ES3_jN6thrust23THRUST_200600_302600_NS6detail15normal_iteratorINSA_7pointerIyNSA_11hip_rocprim3tagENSA_11use_defaultESG_EEEEPS6_NSA_18transform_iteratorI7is_evenIyENSC_INSA_10device_ptrIyEEEESG_SG_EENS0_5tupleIJPySJ_EEENSR_IJSJ_SJ_EEES6_PlJS6_EEE10hipError_tPvRmT3_T4_T5_T6_T7_T9_mT8_P12ihipStream_tbDpT10_ENKUlT_T0_E_clISt17integral_constantIbLb1EES1F_EEDaS1A_S1B_EUlS1A_E_NS1_11comp_targetILNS1_3genE8ELNS1_11target_archE1030ELNS1_3gpuE2ELNS1_3repE0EEENS1_30default_config_static_selectorELNS0_4arch9wavefront6targetE1EEEvT1_
; %bb.0:
	.section	.rodata,"a",@progbits
	.p2align	6, 0x0
	.amdhsa_kernel _ZN7rocprim17ROCPRIM_400000_NS6detail17trampoline_kernelINS0_14default_configENS1_25partition_config_selectorILNS1_17partition_subalgoE2EyNS0_10empty_typeEbEEZZNS1_14partition_implILS5_2ELb0ES3_jN6thrust23THRUST_200600_302600_NS6detail15normal_iteratorINSA_7pointerIyNSA_11hip_rocprim3tagENSA_11use_defaultESG_EEEEPS6_NSA_18transform_iteratorI7is_evenIyENSC_INSA_10device_ptrIyEEEESG_SG_EENS0_5tupleIJPySJ_EEENSR_IJSJ_SJ_EEES6_PlJS6_EEE10hipError_tPvRmT3_T4_T5_T6_T7_T9_mT8_P12ihipStream_tbDpT10_ENKUlT_T0_E_clISt17integral_constantIbLb1EES1F_EEDaS1A_S1B_EUlS1A_E_NS1_11comp_targetILNS1_3genE8ELNS1_11target_archE1030ELNS1_3gpuE2ELNS1_3repE0EEENS1_30default_config_static_selectorELNS0_4arch9wavefront6targetE1EEEvT1_
		.amdhsa_group_segment_fixed_size 0
		.amdhsa_private_segment_fixed_size 0
		.amdhsa_kernarg_size 144
		.amdhsa_user_sgpr_count 6
		.amdhsa_user_sgpr_private_segment_buffer 1
		.amdhsa_user_sgpr_dispatch_ptr 0
		.amdhsa_user_sgpr_queue_ptr 0
		.amdhsa_user_sgpr_kernarg_segment_ptr 1
		.amdhsa_user_sgpr_dispatch_id 0
		.amdhsa_user_sgpr_flat_scratch_init 0
		.amdhsa_user_sgpr_kernarg_preload_length 0
		.amdhsa_user_sgpr_kernarg_preload_offset 0
		.amdhsa_user_sgpr_private_segment_size 0
		.amdhsa_uses_dynamic_stack 0
		.amdhsa_system_sgpr_private_segment_wavefront_offset 0
		.amdhsa_system_sgpr_workgroup_id_x 1
		.amdhsa_system_sgpr_workgroup_id_y 0
		.amdhsa_system_sgpr_workgroup_id_z 0
		.amdhsa_system_sgpr_workgroup_info 0
		.amdhsa_system_vgpr_workitem_id 0
		.amdhsa_next_free_vgpr 1
		.amdhsa_next_free_sgpr 0
		.amdhsa_accum_offset 4
		.amdhsa_reserve_vcc 0
		.amdhsa_reserve_flat_scratch 0
		.amdhsa_float_round_mode_32 0
		.amdhsa_float_round_mode_16_64 0
		.amdhsa_float_denorm_mode_32 3
		.amdhsa_float_denorm_mode_16_64 3
		.amdhsa_dx10_clamp 1
		.amdhsa_ieee_mode 1
		.amdhsa_fp16_overflow 0
		.amdhsa_tg_split 0
		.amdhsa_exception_fp_ieee_invalid_op 0
		.amdhsa_exception_fp_denorm_src 0
		.amdhsa_exception_fp_ieee_div_zero 0
		.amdhsa_exception_fp_ieee_overflow 0
		.amdhsa_exception_fp_ieee_underflow 0
		.amdhsa_exception_fp_ieee_inexact 0
		.amdhsa_exception_int_div_zero 0
	.end_amdhsa_kernel
	.section	.text._ZN7rocprim17ROCPRIM_400000_NS6detail17trampoline_kernelINS0_14default_configENS1_25partition_config_selectorILNS1_17partition_subalgoE2EyNS0_10empty_typeEbEEZZNS1_14partition_implILS5_2ELb0ES3_jN6thrust23THRUST_200600_302600_NS6detail15normal_iteratorINSA_7pointerIyNSA_11hip_rocprim3tagENSA_11use_defaultESG_EEEEPS6_NSA_18transform_iteratorI7is_evenIyENSC_INSA_10device_ptrIyEEEESG_SG_EENS0_5tupleIJPySJ_EEENSR_IJSJ_SJ_EEES6_PlJS6_EEE10hipError_tPvRmT3_T4_T5_T6_T7_T9_mT8_P12ihipStream_tbDpT10_ENKUlT_T0_E_clISt17integral_constantIbLb1EES1F_EEDaS1A_S1B_EUlS1A_E_NS1_11comp_targetILNS1_3genE8ELNS1_11target_archE1030ELNS1_3gpuE2ELNS1_3repE0EEENS1_30default_config_static_selectorELNS0_4arch9wavefront6targetE1EEEvT1_,"axG",@progbits,_ZN7rocprim17ROCPRIM_400000_NS6detail17trampoline_kernelINS0_14default_configENS1_25partition_config_selectorILNS1_17partition_subalgoE2EyNS0_10empty_typeEbEEZZNS1_14partition_implILS5_2ELb0ES3_jN6thrust23THRUST_200600_302600_NS6detail15normal_iteratorINSA_7pointerIyNSA_11hip_rocprim3tagENSA_11use_defaultESG_EEEEPS6_NSA_18transform_iteratorI7is_evenIyENSC_INSA_10device_ptrIyEEEESG_SG_EENS0_5tupleIJPySJ_EEENSR_IJSJ_SJ_EEES6_PlJS6_EEE10hipError_tPvRmT3_T4_T5_T6_T7_T9_mT8_P12ihipStream_tbDpT10_ENKUlT_T0_E_clISt17integral_constantIbLb1EES1F_EEDaS1A_S1B_EUlS1A_E_NS1_11comp_targetILNS1_3genE8ELNS1_11target_archE1030ELNS1_3gpuE2ELNS1_3repE0EEENS1_30default_config_static_selectorELNS0_4arch9wavefront6targetE1EEEvT1_,comdat
.Lfunc_end2019:
	.size	_ZN7rocprim17ROCPRIM_400000_NS6detail17trampoline_kernelINS0_14default_configENS1_25partition_config_selectorILNS1_17partition_subalgoE2EyNS0_10empty_typeEbEEZZNS1_14partition_implILS5_2ELb0ES3_jN6thrust23THRUST_200600_302600_NS6detail15normal_iteratorINSA_7pointerIyNSA_11hip_rocprim3tagENSA_11use_defaultESG_EEEEPS6_NSA_18transform_iteratorI7is_evenIyENSC_INSA_10device_ptrIyEEEESG_SG_EENS0_5tupleIJPySJ_EEENSR_IJSJ_SJ_EEES6_PlJS6_EEE10hipError_tPvRmT3_T4_T5_T6_T7_T9_mT8_P12ihipStream_tbDpT10_ENKUlT_T0_E_clISt17integral_constantIbLb1EES1F_EEDaS1A_S1B_EUlS1A_E_NS1_11comp_targetILNS1_3genE8ELNS1_11target_archE1030ELNS1_3gpuE2ELNS1_3repE0EEENS1_30default_config_static_selectorELNS0_4arch9wavefront6targetE1EEEvT1_, .Lfunc_end2019-_ZN7rocprim17ROCPRIM_400000_NS6detail17trampoline_kernelINS0_14default_configENS1_25partition_config_selectorILNS1_17partition_subalgoE2EyNS0_10empty_typeEbEEZZNS1_14partition_implILS5_2ELb0ES3_jN6thrust23THRUST_200600_302600_NS6detail15normal_iteratorINSA_7pointerIyNSA_11hip_rocprim3tagENSA_11use_defaultESG_EEEEPS6_NSA_18transform_iteratorI7is_evenIyENSC_INSA_10device_ptrIyEEEESG_SG_EENS0_5tupleIJPySJ_EEENSR_IJSJ_SJ_EEES6_PlJS6_EEE10hipError_tPvRmT3_T4_T5_T6_T7_T9_mT8_P12ihipStream_tbDpT10_ENKUlT_T0_E_clISt17integral_constantIbLb1EES1F_EEDaS1A_S1B_EUlS1A_E_NS1_11comp_targetILNS1_3genE8ELNS1_11target_archE1030ELNS1_3gpuE2ELNS1_3repE0EEENS1_30default_config_static_selectorELNS0_4arch9wavefront6targetE1EEEvT1_
                                        ; -- End function
	.section	.AMDGPU.csdata,"",@progbits
; Kernel info:
; codeLenInByte = 0
; NumSgprs: 4
; NumVgprs: 0
; NumAgprs: 0
; TotalNumVgprs: 0
; ScratchSize: 0
; MemoryBound: 0
; FloatMode: 240
; IeeeMode: 1
; LDSByteSize: 0 bytes/workgroup (compile time only)
; SGPRBlocks: 0
; VGPRBlocks: 0
; NumSGPRsForWavesPerEU: 4
; NumVGPRsForWavesPerEU: 1
; AccumOffset: 4
; Occupancy: 8
; WaveLimiterHint : 0
; COMPUTE_PGM_RSRC2:SCRATCH_EN: 0
; COMPUTE_PGM_RSRC2:USER_SGPR: 6
; COMPUTE_PGM_RSRC2:TRAP_HANDLER: 0
; COMPUTE_PGM_RSRC2:TGID_X_EN: 1
; COMPUTE_PGM_RSRC2:TGID_Y_EN: 0
; COMPUTE_PGM_RSRC2:TGID_Z_EN: 0
; COMPUTE_PGM_RSRC2:TIDIG_COMP_CNT: 0
; COMPUTE_PGM_RSRC3_GFX90A:ACCUM_OFFSET: 0
; COMPUTE_PGM_RSRC3_GFX90A:TG_SPLIT: 0
	.section	.text._ZN7rocprim17ROCPRIM_400000_NS6detail17trampoline_kernelINS0_14default_configENS1_25partition_config_selectorILNS1_17partition_subalgoE2EyNS0_10empty_typeEbEEZZNS1_14partition_implILS5_2ELb0ES3_jN6thrust23THRUST_200600_302600_NS6detail15normal_iteratorINSA_7pointerIyNSA_11hip_rocprim3tagENSA_11use_defaultESG_EEEEPS6_NSA_18transform_iteratorI7is_evenIyENSC_INSA_10device_ptrIyEEEESG_SG_EENS0_5tupleIJPySJ_EEENSR_IJSJ_SJ_EEES6_PlJS6_EEE10hipError_tPvRmT3_T4_T5_T6_T7_T9_mT8_P12ihipStream_tbDpT10_ENKUlT_T0_E_clISt17integral_constantIbLb1EES1E_IbLb0EEEEDaS1A_S1B_EUlS1A_E_NS1_11comp_targetILNS1_3genE0ELNS1_11target_archE4294967295ELNS1_3gpuE0ELNS1_3repE0EEENS1_30default_config_static_selectorELNS0_4arch9wavefront6targetE1EEEvT1_,"axG",@progbits,_ZN7rocprim17ROCPRIM_400000_NS6detail17trampoline_kernelINS0_14default_configENS1_25partition_config_selectorILNS1_17partition_subalgoE2EyNS0_10empty_typeEbEEZZNS1_14partition_implILS5_2ELb0ES3_jN6thrust23THRUST_200600_302600_NS6detail15normal_iteratorINSA_7pointerIyNSA_11hip_rocprim3tagENSA_11use_defaultESG_EEEEPS6_NSA_18transform_iteratorI7is_evenIyENSC_INSA_10device_ptrIyEEEESG_SG_EENS0_5tupleIJPySJ_EEENSR_IJSJ_SJ_EEES6_PlJS6_EEE10hipError_tPvRmT3_T4_T5_T6_T7_T9_mT8_P12ihipStream_tbDpT10_ENKUlT_T0_E_clISt17integral_constantIbLb1EES1E_IbLb0EEEEDaS1A_S1B_EUlS1A_E_NS1_11comp_targetILNS1_3genE0ELNS1_11target_archE4294967295ELNS1_3gpuE0ELNS1_3repE0EEENS1_30default_config_static_selectorELNS0_4arch9wavefront6targetE1EEEvT1_,comdat
	.protected	_ZN7rocprim17ROCPRIM_400000_NS6detail17trampoline_kernelINS0_14default_configENS1_25partition_config_selectorILNS1_17partition_subalgoE2EyNS0_10empty_typeEbEEZZNS1_14partition_implILS5_2ELb0ES3_jN6thrust23THRUST_200600_302600_NS6detail15normal_iteratorINSA_7pointerIyNSA_11hip_rocprim3tagENSA_11use_defaultESG_EEEEPS6_NSA_18transform_iteratorI7is_evenIyENSC_INSA_10device_ptrIyEEEESG_SG_EENS0_5tupleIJPySJ_EEENSR_IJSJ_SJ_EEES6_PlJS6_EEE10hipError_tPvRmT3_T4_T5_T6_T7_T9_mT8_P12ihipStream_tbDpT10_ENKUlT_T0_E_clISt17integral_constantIbLb1EES1E_IbLb0EEEEDaS1A_S1B_EUlS1A_E_NS1_11comp_targetILNS1_3genE0ELNS1_11target_archE4294967295ELNS1_3gpuE0ELNS1_3repE0EEENS1_30default_config_static_selectorELNS0_4arch9wavefront6targetE1EEEvT1_ ; -- Begin function _ZN7rocprim17ROCPRIM_400000_NS6detail17trampoline_kernelINS0_14default_configENS1_25partition_config_selectorILNS1_17partition_subalgoE2EyNS0_10empty_typeEbEEZZNS1_14partition_implILS5_2ELb0ES3_jN6thrust23THRUST_200600_302600_NS6detail15normal_iteratorINSA_7pointerIyNSA_11hip_rocprim3tagENSA_11use_defaultESG_EEEEPS6_NSA_18transform_iteratorI7is_evenIyENSC_INSA_10device_ptrIyEEEESG_SG_EENS0_5tupleIJPySJ_EEENSR_IJSJ_SJ_EEES6_PlJS6_EEE10hipError_tPvRmT3_T4_T5_T6_T7_T9_mT8_P12ihipStream_tbDpT10_ENKUlT_T0_E_clISt17integral_constantIbLb1EES1E_IbLb0EEEEDaS1A_S1B_EUlS1A_E_NS1_11comp_targetILNS1_3genE0ELNS1_11target_archE4294967295ELNS1_3gpuE0ELNS1_3repE0EEENS1_30default_config_static_selectorELNS0_4arch9wavefront6targetE1EEEvT1_
	.globl	_ZN7rocprim17ROCPRIM_400000_NS6detail17trampoline_kernelINS0_14default_configENS1_25partition_config_selectorILNS1_17partition_subalgoE2EyNS0_10empty_typeEbEEZZNS1_14partition_implILS5_2ELb0ES3_jN6thrust23THRUST_200600_302600_NS6detail15normal_iteratorINSA_7pointerIyNSA_11hip_rocprim3tagENSA_11use_defaultESG_EEEEPS6_NSA_18transform_iteratorI7is_evenIyENSC_INSA_10device_ptrIyEEEESG_SG_EENS0_5tupleIJPySJ_EEENSR_IJSJ_SJ_EEES6_PlJS6_EEE10hipError_tPvRmT3_T4_T5_T6_T7_T9_mT8_P12ihipStream_tbDpT10_ENKUlT_T0_E_clISt17integral_constantIbLb1EES1E_IbLb0EEEEDaS1A_S1B_EUlS1A_E_NS1_11comp_targetILNS1_3genE0ELNS1_11target_archE4294967295ELNS1_3gpuE0ELNS1_3repE0EEENS1_30default_config_static_selectorELNS0_4arch9wavefront6targetE1EEEvT1_
	.p2align	8
	.type	_ZN7rocprim17ROCPRIM_400000_NS6detail17trampoline_kernelINS0_14default_configENS1_25partition_config_selectorILNS1_17partition_subalgoE2EyNS0_10empty_typeEbEEZZNS1_14partition_implILS5_2ELb0ES3_jN6thrust23THRUST_200600_302600_NS6detail15normal_iteratorINSA_7pointerIyNSA_11hip_rocprim3tagENSA_11use_defaultESG_EEEEPS6_NSA_18transform_iteratorI7is_evenIyENSC_INSA_10device_ptrIyEEEESG_SG_EENS0_5tupleIJPySJ_EEENSR_IJSJ_SJ_EEES6_PlJS6_EEE10hipError_tPvRmT3_T4_T5_T6_T7_T9_mT8_P12ihipStream_tbDpT10_ENKUlT_T0_E_clISt17integral_constantIbLb1EES1E_IbLb0EEEEDaS1A_S1B_EUlS1A_E_NS1_11comp_targetILNS1_3genE0ELNS1_11target_archE4294967295ELNS1_3gpuE0ELNS1_3repE0EEENS1_30default_config_static_selectorELNS0_4arch9wavefront6targetE1EEEvT1_,@function
_ZN7rocprim17ROCPRIM_400000_NS6detail17trampoline_kernelINS0_14default_configENS1_25partition_config_selectorILNS1_17partition_subalgoE2EyNS0_10empty_typeEbEEZZNS1_14partition_implILS5_2ELb0ES3_jN6thrust23THRUST_200600_302600_NS6detail15normal_iteratorINSA_7pointerIyNSA_11hip_rocprim3tagENSA_11use_defaultESG_EEEEPS6_NSA_18transform_iteratorI7is_evenIyENSC_INSA_10device_ptrIyEEEESG_SG_EENS0_5tupleIJPySJ_EEENSR_IJSJ_SJ_EEES6_PlJS6_EEE10hipError_tPvRmT3_T4_T5_T6_T7_T9_mT8_P12ihipStream_tbDpT10_ENKUlT_T0_E_clISt17integral_constantIbLb1EES1E_IbLb0EEEEDaS1A_S1B_EUlS1A_E_NS1_11comp_targetILNS1_3genE0ELNS1_11target_archE4294967295ELNS1_3gpuE0ELNS1_3repE0EEENS1_30default_config_static_selectorELNS0_4arch9wavefront6targetE1EEEvT1_: ; @_ZN7rocprim17ROCPRIM_400000_NS6detail17trampoline_kernelINS0_14default_configENS1_25partition_config_selectorILNS1_17partition_subalgoE2EyNS0_10empty_typeEbEEZZNS1_14partition_implILS5_2ELb0ES3_jN6thrust23THRUST_200600_302600_NS6detail15normal_iteratorINSA_7pointerIyNSA_11hip_rocprim3tagENSA_11use_defaultESG_EEEEPS6_NSA_18transform_iteratorI7is_evenIyENSC_INSA_10device_ptrIyEEEESG_SG_EENS0_5tupleIJPySJ_EEENSR_IJSJ_SJ_EEES6_PlJS6_EEE10hipError_tPvRmT3_T4_T5_T6_T7_T9_mT8_P12ihipStream_tbDpT10_ENKUlT_T0_E_clISt17integral_constantIbLb1EES1E_IbLb0EEEEDaS1A_S1B_EUlS1A_E_NS1_11comp_targetILNS1_3genE0ELNS1_11target_archE4294967295ELNS1_3gpuE0ELNS1_3repE0EEENS1_30default_config_static_selectorELNS0_4arch9wavefront6targetE1EEEvT1_
; %bb.0:
	.section	.rodata,"a",@progbits
	.p2align	6, 0x0
	.amdhsa_kernel _ZN7rocprim17ROCPRIM_400000_NS6detail17trampoline_kernelINS0_14default_configENS1_25partition_config_selectorILNS1_17partition_subalgoE2EyNS0_10empty_typeEbEEZZNS1_14partition_implILS5_2ELb0ES3_jN6thrust23THRUST_200600_302600_NS6detail15normal_iteratorINSA_7pointerIyNSA_11hip_rocprim3tagENSA_11use_defaultESG_EEEEPS6_NSA_18transform_iteratorI7is_evenIyENSC_INSA_10device_ptrIyEEEESG_SG_EENS0_5tupleIJPySJ_EEENSR_IJSJ_SJ_EEES6_PlJS6_EEE10hipError_tPvRmT3_T4_T5_T6_T7_T9_mT8_P12ihipStream_tbDpT10_ENKUlT_T0_E_clISt17integral_constantIbLb1EES1E_IbLb0EEEEDaS1A_S1B_EUlS1A_E_NS1_11comp_targetILNS1_3genE0ELNS1_11target_archE4294967295ELNS1_3gpuE0ELNS1_3repE0EEENS1_30default_config_static_selectorELNS0_4arch9wavefront6targetE1EEEvT1_
		.amdhsa_group_segment_fixed_size 0
		.amdhsa_private_segment_fixed_size 0
		.amdhsa_kernarg_size 128
		.amdhsa_user_sgpr_count 6
		.amdhsa_user_sgpr_private_segment_buffer 1
		.amdhsa_user_sgpr_dispatch_ptr 0
		.amdhsa_user_sgpr_queue_ptr 0
		.amdhsa_user_sgpr_kernarg_segment_ptr 1
		.amdhsa_user_sgpr_dispatch_id 0
		.amdhsa_user_sgpr_flat_scratch_init 0
		.amdhsa_user_sgpr_kernarg_preload_length 0
		.amdhsa_user_sgpr_kernarg_preload_offset 0
		.amdhsa_user_sgpr_private_segment_size 0
		.amdhsa_uses_dynamic_stack 0
		.amdhsa_system_sgpr_private_segment_wavefront_offset 0
		.amdhsa_system_sgpr_workgroup_id_x 1
		.amdhsa_system_sgpr_workgroup_id_y 0
		.amdhsa_system_sgpr_workgroup_id_z 0
		.amdhsa_system_sgpr_workgroup_info 0
		.amdhsa_system_vgpr_workitem_id 0
		.amdhsa_next_free_vgpr 1
		.amdhsa_next_free_sgpr 0
		.amdhsa_accum_offset 4
		.amdhsa_reserve_vcc 0
		.amdhsa_reserve_flat_scratch 0
		.amdhsa_float_round_mode_32 0
		.amdhsa_float_round_mode_16_64 0
		.amdhsa_float_denorm_mode_32 3
		.amdhsa_float_denorm_mode_16_64 3
		.amdhsa_dx10_clamp 1
		.amdhsa_ieee_mode 1
		.amdhsa_fp16_overflow 0
		.amdhsa_tg_split 0
		.amdhsa_exception_fp_ieee_invalid_op 0
		.amdhsa_exception_fp_denorm_src 0
		.amdhsa_exception_fp_ieee_div_zero 0
		.amdhsa_exception_fp_ieee_overflow 0
		.amdhsa_exception_fp_ieee_underflow 0
		.amdhsa_exception_fp_ieee_inexact 0
		.amdhsa_exception_int_div_zero 0
	.end_amdhsa_kernel
	.section	.text._ZN7rocprim17ROCPRIM_400000_NS6detail17trampoline_kernelINS0_14default_configENS1_25partition_config_selectorILNS1_17partition_subalgoE2EyNS0_10empty_typeEbEEZZNS1_14partition_implILS5_2ELb0ES3_jN6thrust23THRUST_200600_302600_NS6detail15normal_iteratorINSA_7pointerIyNSA_11hip_rocprim3tagENSA_11use_defaultESG_EEEEPS6_NSA_18transform_iteratorI7is_evenIyENSC_INSA_10device_ptrIyEEEESG_SG_EENS0_5tupleIJPySJ_EEENSR_IJSJ_SJ_EEES6_PlJS6_EEE10hipError_tPvRmT3_T4_T5_T6_T7_T9_mT8_P12ihipStream_tbDpT10_ENKUlT_T0_E_clISt17integral_constantIbLb1EES1E_IbLb0EEEEDaS1A_S1B_EUlS1A_E_NS1_11comp_targetILNS1_3genE0ELNS1_11target_archE4294967295ELNS1_3gpuE0ELNS1_3repE0EEENS1_30default_config_static_selectorELNS0_4arch9wavefront6targetE1EEEvT1_,"axG",@progbits,_ZN7rocprim17ROCPRIM_400000_NS6detail17trampoline_kernelINS0_14default_configENS1_25partition_config_selectorILNS1_17partition_subalgoE2EyNS0_10empty_typeEbEEZZNS1_14partition_implILS5_2ELb0ES3_jN6thrust23THRUST_200600_302600_NS6detail15normal_iteratorINSA_7pointerIyNSA_11hip_rocprim3tagENSA_11use_defaultESG_EEEEPS6_NSA_18transform_iteratorI7is_evenIyENSC_INSA_10device_ptrIyEEEESG_SG_EENS0_5tupleIJPySJ_EEENSR_IJSJ_SJ_EEES6_PlJS6_EEE10hipError_tPvRmT3_T4_T5_T6_T7_T9_mT8_P12ihipStream_tbDpT10_ENKUlT_T0_E_clISt17integral_constantIbLb1EES1E_IbLb0EEEEDaS1A_S1B_EUlS1A_E_NS1_11comp_targetILNS1_3genE0ELNS1_11target_archE4294967295ELNS1_3gpuE0ELNS1_3repE0EEENS1_30default_config_static_selectorELNS0_4arch9wavefront6targetE1EEEvT1_,comdat
.Lfunc_end2020:
	.size	_ZN7rocprim17ROCPRIM_400000_NS6detail17trampoline_kernelINS0_14default_configENS1_25partition_config_selectorILNS1_17partition_subalgoE2EyNS0_10empty_typeEbEEZZNS1_14partition_implILS5_2ELb0ES3_jN6thrust23THRUST_200600_302600_NS6detail15normal_iteratorINSA_7pointerIyNSA_11hip_rocprim3tagENSA_11use_defaultESG_EEEEPS6_NSA_18transform_iteratorI7is_evenIyENSC_INSA_10device_ptrIyEEEESG_SG_EENS0_5tupleIJPySJ_EEENSR_IJSJ_SJ_EEES6_PlJS6_EEE10hipError_tPvRmT3_T4_T5_T6_T7_T9_mT8_P12ihipStream_tbDpT10_ENKUlT_T0_E_clISt17integral_constantIbLb1EES1E_IbLb0EEEEDaS1A_S1B_EUlS1A_E_NS1_11comp_targetILNS1_3genE0ELNS1_11target_archE4294967295ELNS1_3gpuE0ELNS1_3repE0EEENS1_30default_config_static_selectorELNS0_4arch9wavefront6targetE1EEEvT1_, .Lfunc_end2020-_ZN7rocprim17ROCPRIM_400000_NS6detail17trampoline_kernelINS0_14default_configENS1_25partition_config_selectorILNS1_17partition_subalgoE2EyNS0_10empty_typeEbEEZZNS1_14partition_implILS5_2ELb0ES3_jN6thrust23THRUST_200600_302600_NS6detail15normal_iteratorINSA_7pointerIyNSA_11hip_rocprim3tagENSA_11use_defaultESG_EEEEPS6_NSA_18transform_iteratorI7is_evenIyENSC_INSA_10device_ptrIyEEEESG_SG_EENS0_5tupleIJPySJ_EEENSR_IJSJ_SJ_EEES6_PlJS6_EEE10hipError_tPvRmT3_T4_T5_T6_T7_T9_mT8_P12ihipStream_tbDpT10_ENKUlT_T0_E_clISt17integral_constantIbLb1EES1E_IbLb0EEEEDaS1A_S1B_EUlS1A_E_NS1_11comp_targetILNS1_3genE0ELNS1_11target_archE4294967295ELNS1_3gpuE0ELNS1_3repE0EEENS1_30default_config_static_selectorELNS0_4arch9wavefront6targetE1EEEvT1_
                                        ; -- End function
	.section	.AMDGPU.csdata,"",@progbits
; Kernel info:
; codeLenInByte = 0
; NumSgprs: 4
; NumVgprs: 0
; NumAgprs: 0
; TotalNumVgprs: 0
; ScratchSize: 0
; MemoryBound: 0
; FloatMode: 240
; IeeeMode: 1
; LDSByteSize: 0 bytes/workgroup (compile time only)
; SGPRBlocks: 0
; VGPRBlocks: 0
; NumSGPRsForWavesPerEU: 4
; NumVGPRsForWavesPerEU: 1
; AccumOffset: 4
; Occupancy: 8
; WaveLimiterHint : 0
; COMPUTE_PGM_RSRC2:SCRATCH_EN: 0
; COMPUTE_PGM_RSRC2:USER_SGPR: 6
; COMPUTE_PGM_RSRC2:TRAP_HANDLER: 0
; COMPUTE_PGM_RSRC2:TGID_X_EN: 1
; COMPUTE_PGM_RSRC2:TGID_Y_EN: 0
; COMPUTE_PGM_RSRC2:TGID_Z_EN: 0
; COMPUTE_PGM_RSRC2:TIDIG_COMP_CNT: 0
; COMPUTE_PGM_RSRC3_GFX90A:ACCUM_OFFSET: 0
; COMPUTE_PGM_RSRC3_GFX90A:TG_SPLIT: 0
	.section	.text._ZN7rocprim17ROCPRIM_400000_NS6detail17trampoline_kernelINS0_14default_configENS1_25partition_config_selectorILNS1_17partition_subalgoE2EyNS0_10empty_typeEbEEZZNS1_14partition_implILS5_2ELb0ES3_jN6thrust23THRUST_200600_302600_NS6detail15normal_iteratorINSA_7pointerIyNSA_11hip_rocprim3tagENSA_11use_defaultESG_EEEEPS6_NSA_18transform_iteratorI7is_evenIyENSC_INSA_10device_ptrIyEEEESG_SG_EENS0_5tupleIJPySJ_EEENSR_IJSJ_SJ_EEES6_PlJS6_EEE10hipError_tPvRmT3_T4_T5_T6_T7_T9_mT8_P12ihipStream_tbDpT10_ENKUlT_T0_E_clISt17integral_constantIbLb1EES1E_IbLb0EEEEDaS1A_S1B_EUlS1A_E_NS1_11comp_targetILNS1_3genE5ELNS1_11target_archE942ELNS1_3gpuE9ELNS1_3repE0EEENS1_30default_config_static_selectorELNS0_4arch9wavefront6targetE1EEEvT1_,"axG",@progbits,_ZN7rocprim17ROCPRIM_400000_NS6detail17trampoline_kernelINS0_14default_configENS1_25partition_config_selectorILNS1_17partition_subalgoE2EyNS0_10empty_typeEbEEZZNS1_14partition_implILS5_2ELb0ES3_jN6thrust23THRUST_200600_302600_NS6detail15normal_iteratorINSA_7pointerIyNSA_11hip_rocprim3tagENSA_11use_defaultESG_EEEEPS6_NSA_18transform_iteratorI7is_evenIyENSC_INSA_10device_ptrIyEEEESG_SG_EENS0_5tupleIJPySJ_EEENSR_IJSJ_SJ_EEES6_PlJS6_EEE10hipError_tPvRmT3_T4_T5_T6_T7_T9_mT8_P12ihipStream_tbDpT10_ENKUlT_T0_E_clISt17integral_constantIbLb1EES1E_IbLb0EEEEDaS1A_S1B_EUlS1A_E_NS1_11comp_targetILNS1_3genE5ELNS1_11target_archE942ELNS1_3gpuE9ELNS1_3repE0EEENS1_30default_config_static_selectorELNS0_4arch9wavefront6targetE1EEEvT1_,comdat
	.protected	_ZN7rocprim17ROCPRIM_400000_NS6detail17trampoline_kernelINS0_14default_configENS1_25partition_config_selectorILNS1_17partition_subalgoE2EyNS0_10empty_typeEbEEZZNS1_14partition_implILS5_2ELb0ES3_jN6thrust23THRUST_200600_302600_NS6detail15normal_iteratorINSA_7pointerIyNSA_11hip_rocprim3tagENSA_11use_defaultESG_EEEEPS6_NSA_18transform_iteratorI7is_evenIyENSC_INSA_10device_ptrIyEEEESG_SG_EENS0_5tupleIJPySJ_EEENSR_IJSJ_SJ_EEES6_PlJS6_EEE10hipError_tPvRmT3_T4_T5_T6_T7_T9_mT8_P12ihipStream_tbDpT10_ENKUlT_T0_E_clISt17integral_constantIbLb1EES1E_IbLb0EEEEDaS1A_S1B_EUlS1A_E_NS1_11comp_targetILNS1_3genE5ELNS1_11target_archE942ELNS1_3gpuE9ELNS1_3repE0EEENS1_30default_config_static_selectorELNS0_4arch9wavefront6targetE1EEEvT1_ ; -- Begin function _ZN7rocprim17ROCPRIM_400000_NS6detail17trampoline_kernelINS0_14default_configENS1_25partition_config_selectorILNS1_17partition_subalgoE2EyNS0_10empty_typeEbEEZZNS1_14partition_implILS5_2ELb0ES3_jN6thrust23THRUST_200600_302600_NS6detail15normal_iteratorINSA_7pointerIyNSA_11hip_rocprim3tagENSA_11use_defaultESG_EEEEPS6_NSA_18transform_iteratorI7is_evenIyENSC_INSA_10device_ptrIyEEEESG_SG_EENS0_5tupleIJPySJ_EEENSR_IJSJ_SJ_EEES6_PlJS6_EEE10hipError_tPvRmT3_T4_T5_T6_T7_T9_mT8_P12ihipStream_tbDpT10_ENKUlT_T0_E_clISt17integral_constantIbLb1EES1E_IbLb0EEEEDaS1A_S1B_EUlS1A_E_NS1_11comp_targetILNS1_3genE5ELNS1_11target_archE942ELNS1_3gpuE9ELNS1_3repE0EEENS1_30default_config_static_selectorELNS0_4arch9wavefront6targetE1EEEvT1_
	.globl	_ZN7rocprim17ROCPRIM_400000_NS6detail17trampoline_kernelINS0_14default_configENS1_25partition_config_selectorILNS1_17partition_subalgoE2EyNS0_10empty_typeEbEEZZNS1_14partition_implILS5_2ELb0ES3_jN6thrust23THRUST_200600_302600_NS6detail15normal_iteratorINSA_7pointerIyNSA_11hip_rocprim3tagENSA_11use_defaultESG_EEEEPS6_NSA_18transform_iteratorI7is_evenIyENSC_INSA_10device_ptrIyEEEESG_SG_EENS0_5tupleIJPySJ_EEENSR_IJSJ_SJ_EEES6_PlJS6_EEE10hipError_tPvRmT3_T4_T5_T6_T7_T9_mT8_P12ihipStream_tbDpT10_ENKUlT_T0_E_clISt17integral_constantIbLb1EES1E_IbLb0EEEEDaS1A_S1B_EUlS1A_E_NS1_11comp_targetILNS1_3genE5ELNS1_11target_archE942ELNS1_3gpuE9ELNS1_3repE0EEENS1_30default_config_static_selectorELNS0_4arch9wavefront6targetE1EEEvT1_
	.p2align	8
	.type	_ZN7rocprim17ROCPRIM_400000_NS6detail17trampoline_kernelINS0_14default_configENS1_25partition_config_selectorILNS1_17partition_subalgoE2EyNS0_10empty_typeEbEEZZNS1_14partition_implILS5_2ELb0ES3_jN6thrust23THRUST_200600_302600_NS6detail15normal_iteratorINSA_7pointerIyNSA_11hip_rocprim3tagENSA_11use_defaultESG_EEEEPS6_NSA_18transform_iteratorI7is_evenIyENSC_INSA_10device_ptrIyEEEESG_SG_EENS0_5tupleIJPySJ_EEENSR_IJSJ_SJ_EEES6_PlJS6_EEE10hipError_tPvRmT3_T4_T5_T6_T7_T9_mT8_P12ihipStream_tbDpT10_ENKUlT_T0_E_clISt17integral_constantIbLb1EES1E_IbLb0EEEEDaS1A_S1B_EUlS1A_E_NS1_11comp_targetILNS1_3genE5ELNS1_11target_archE942ELNS1_3gpuE9ELNS1_3repE0EEENS1_30default_config_static_selectorELNS0_4arch9wavefront6targetE1EEEvT1_,@function
_ZN7rocprim17ROCPRIM_400000_NS6detail17trampoline_kernelINS0_14default_configENS1_25partition_config_selectorILNS1_17partition_subalgoE2EyNS0_10empty_typeEbEEZZNS1_14partition_implILS5_2ELb0ES3_jN6thrust23THRUST_200600_302600_NS6detail15normal_iteratorINSA_7pointerIyNSA_11hip_rocprim3tagENSA_11use_defaultESG_EEEEPS6_NSA_18transform_iteratorI7is_evenIyENSC_INSA_10device_ptrIyEEEESG_SG_EENS0_5tupleIJPySJ_EEENSR_IJSJ_SJ_EEES6_PlJS6_EEE10hipError_tPvRmT3_T4_T5_T6_T7_T9_mT8_P12ihipStream_tbDpT10_ENKUlT_T0_E_clISt17integral_constantIbLb1EES1E_IbLb0EEEEDaS1A_S1B_EUlS1A_E_NS1_11comp_targetILNS1_3genE5ELNS1_11target_archE942ELNS1_3gpuE9ELNS1_3repE0EEENS1_30default_config_static_selectorELNS0_4arch9wavefront6targetE1EEEvT1_: ; @_ZN7rocprim17ROCPRIM_400000_NS6detail17trampoline_kernelINS0_14default_configENS1_25partition_config_selectorILNS1_17partition_subalgoE2EyNS0_10empty_typeEbEEZZNS1_14partition_implILS5_2ELb0ES3_jN6thrust23THRUST_200600_302600_NS6detail15normal_iteratorINSA_7pointerIyNSA_11hip_rocprim3tagENSA_11use_defaultESG_EEEEPS6_NSA_18transform_iteratorI7is_evenIyENSC_INSA_10device_ptrIyEEEESG_SG_EENS0_5tupleIJPySJ_EEENSR_IJSJ_SJ_EEES6_PlJS6_EEE10hipError_tPvRmT3_T4_T5_T6_T7_T9_mT8_P12ihipStream_tbDpT10_ENKUlT_T0_E_clISt17integral_constantIbLb1EES1E_IbLb0EEEEDaS1A_S1B_EUlS1A_E_NS1_11comp_targetILNS1_3genE5ELNS1_11target_archE942ELNS1_3gpuE9ELNS1_3repE0EEENS1_30default_config_static_selectorELNS0_4arch9wavefront6targetE1EEEvT1_
; %bb.0:
	.section	.rodata,"a",@progbits
	.p2align	6, 0x0
	.amdhsa_kernel _ZN7rocprim17ROCPRIM_400000_NS6detail17trampoline_kernelINS0_14default_configENS1_25partition_config_selectorILNS1_17partition_subalgoE2EyNS0_10empty_typeEbEEZZNS1_14partition_implILS5_2ELb0ES3_jN6thrust23THRUST_200600_302600_NS6detail15normal_iteratorINSA_7pointerIyNSA_11hip_rocprim3tagENSA_11use_defaultESG_EEEEPS6_NSA_18transform_iteratorI7is_evenIyENSC_INSA_10device_ptrIyEEEESG_SG_EENS0_5tupleIJPySJ_EEENSR_IJSJ_SJ_EEES6_PlJS6_EEE10hipError_tPvRmT3_T4_T5_T6_T7_T9_mT8_P12ihipStream_tbDpT10_ENKUlT_T0_E_clISt17integral_constantIbLb1EES1E_IbLb0EEEEDaS1A_S1B_EUlS1A_E_NS1_11comp_targetILNS1_3genE5ELNS1_11target_archE942ELNS1_3gpuE9ELNS1_3repE0EEENS1_30default_config_static_selectorELNS0_4arch9wavefront6targetE1EEEvT1_
		.amdhsa_group_segment_fixed_size 0
		.amdhsa_private_segment_fixed_size 0
		.amdhsa_kernarg_size 128
		.amdhsa_user_sgpr_count 6
		.amdhsa_user_sgpr_private_segment_buffer 1
		.amdhsa_user_sgpr_dispatch_ptr 0
		.amdhsa_user_sgpr_queue_ptr 0
		.amdhsa_user_sgpr_kernarg_segment_ptr 1
		.amdhsa_user_sgpr_dispatch_id 0
		.amdhsa_user_sgpr_flat_scratch_init 0
		.amdhsa_user_sgpr_kernarg_preload_length 0
		.amdhsa_user_sgpr_kernarg_preload_offset 0
		.amdhsa_user_sgpr_private_segment_size 0
		.amdhsa_uses_dynamic_stack 0
		.amdhsa_system_sgpr_private_segment_wavefront_offset 0
		.amdhsa_system_sgpr_workgroup_id_x 1
		.amdhsa_system_sgpr_workgroup_id_y 0
		.amdhsa_system_sgpr_workgroup_id_z 0
		.amdhsa_system_sgpr_workgroup_info 0
		.amdhsa_system_vgpr_workitem_id 0
		.amdhsa_next_free_vgpr 1
		.amdhsa_next_free_sgpr 0
		.amdhsa_accum_offset 4
		.amdhsa_reserve_vcc 0
		.amdhsa_reserve_flat_scratch 0
		.amdhsa_float_round_mode_32 0
		.amdhsa_float_round_mode_16_64 0
		.amdhsa_float_denorm_mode_32 3
		.amdhsa_float_denorm_mode_16_64 3
		.amdhsa_dx10_clamp 1
		.amdhsa_ieee_mode 1
		.amdhsa_fp16_overflow 0
		.amdhsa_tg_split 0
		.amdhsa_exception_fp_ieee_invalid_op 0
		.amdhsa_exception_fp_denorm_src 0
		.amdhsa_exception_fp_ieee_div_zero 0
		.amdhsa_exception_fp_ieee_overflow 0
		.amdhsa_exception_fp_ieee_underflow 0
		.amdhsa_exception_fp_ieee_inexact 0
		.amdhsa_exception_int_div_zero 0
	.end_amdhsa_kernel
	.section	.text._ZN7rocprim17ROCPRIM_400000_NS6detail17trampoline_kernelINS0_14default_configENS1_25partition_config_selectorILNS1_17partition_subalgoE2EyNS0_10empty_typeEbEEZZNS1_14partition_implILS5_2ELb0ES3_jN6thrust23THRUST_200600_302600_NS6detail15normal_iteratorINSA_7pointerIyNSA_11hip_rocprim3tagENSA_11use_defaultESG_EEEEPS6_NSA_18transform_iteratorI7is_evenIyENSC_INSA_10device_ptrIyEEEESG_SG_EENS0_5tupleIJPySJ_EEENSR_IJSJ_SJ_EEES6_PlJS6_EEE10hipError_tPvRmT3_T4_T5_T6_T7_T9_mT8_P12ihipStream_tbDpT10_ENKUlT_T0_E_clISt17integral_constantIbLb1EES1E_IbLb0EEEEDaS1A_S1B_EUlS1A_E_NS1_11comp_targetILNS1_3genE5ELNS1_11target_archE942ELNS1_3gpuE9ELNS1_3repE0EEENS1_30default_config_static_selectorELNS0_4arch9wavefront6targetE1EEEvT1_,"axG",@progbits,_ZN7rocprim17ROCPRIM_400000_NS6detail17trampoline_kernelINS0_14default_configENS1_25partition_config_selectorILNS1_17partition_subalgoE2EyNS0_10empty_typeEbEEZZNS1_14partition_implILS5_2ELb0ES3_jN6thrust23THRUST_200600_302600_NS6detail15normal_iteratorINSA_7pointerIyNSA_11hip_rocprim3tagENSA_11use_defaultESG_EEEEPS6_NSA_18transform_iteratorI7is_evenIyENSC_INSA_10device_ptrIyEEEESG_SG_EENS0_5tupleIJPySJ_EEENSR_IJSJ_SJ_EEES6_PlJS6_EEE10hipError_tPvRmT3_T4_T5_T6_T7_T9_mT8_P12ihipStream_tbDpT10_ENKUlT_T0_E_clISt17integral_constantIbLb1EES1E_IbLb0EEEEDaS1A_S1B_EUlS1A_E_NS1_11comp_targetILNS1_3genE5ELNS1_11target_archE942ELNS1_3gpuE9ELNS1_3repE0EEENS1_30default_config_static_selectorELNS0_4arch9wavefront6targetE1EEEvT1_,comdat
.Lfunc_end2021:
	.size	_ZN7rocprim17ROCPRIM_400000_NS6detail17trampoline_kernelINS0_14default_configENS1_25partition_config_selectorILNS1_17partition_subalgoE2EyNS0_10empty_typeEbEEZZNS1_14partition_implILS5_2ELb0ES3_jN6thrust23THRUST_200600_302600_NS6detail15normal_iteratorINSA_7pointerIyNSA_11hip_rocprim3tagENSA_11use_defaultESG_EEEEPS6_NSA_18transform_iteratorI7is_evenIyENSC_INSA_10device_ptrIyEEEESG_SG_EENS0_5tupleIJPySJ_EEENSR_IJSJ_SJ_EEES6_PlJS6_EEE10hipError_tPvRmT3_T4_T5_T6_T7_T9_mT8_P12ihipStream_tbDpT10_ENKUlT_T0_E_clISt17integral_constantIbLb1EES1E_IbLb0EEEEDaS1A_S1B_EUlS1A_E_NS1_11comp_targetILNS1_3genE5ELNS1_11target_archE942ELNS1_3gpuE9ELNS1_3repE0EEENS1_30default_config_static_selectorELNS0_4arch9wavefront6targetE1EEEvT1_, .Lfunc_end2021-_ZN7rocprim17ROCPRIM_400000_NS6detail17trampoline_kernelINS0_14default_configENS1_25partition_config_selectorILNS1_17partition_subalgoE2EyNS0_10empty_typeEbEEZZNS1_14partition_implILS5_2ELb0ES3_jN6thrust23THRUST_200600_302600_NS6detail15normal_iteratorINSA_7pointerIyNSA_11hip_rocprim3tagENSA_11use_defaultESG_EEEEPS6_NSA_18transform_iteratorI7is_evenIyENSC_INSA_10device_ptrIyEEEESG_SG_EENS0_5tupleIJPySJ_EEENSR_IJSJ_SJ_EEES6_PlJS6_EEE10hipError_tPvRmT3_T4_T5_T6_T7_T9_mT8_P12ihipStream_tbDpT10_ENKUlT_T0_E_clISt17integral_constantIbLb1EES1E_IbLb0EEEEDaS1A_S1B_EUlS1A_E_NS1_11comp_targetILNS1_3genE5ELNS1_11target_archE942ELNS1_3gpuE9ELNS1_3repE0EEENS1_30default_config_static_selectorELNS0_4arch9wavefront6targetE1EEEvT1_
                                        ; -- End function
	.section	.AMDGPU.csdata,"",@progbits
; Kernel info:
; codeLenInByte = 0
; NumSgprs: 4
; NumVgprs: 0
; NumAgprs: 0
; TotalNumVgprs: 0
; ScratchSize: 0
; MemoryBound: 0
; FloatMode: 240
; IeeeMode: 1
; LDSByteSize: 0 bytes/workgroup (compile time only)
; SGPRBlocks: 0
; VGPRBlocks: 0
; NumSGPRsForWavesPerEU: 4
; NumVGPRsForWavesPerEU: 1
; AccumOffset: 4
; Occupancy: 8
; WaveLimiterHint : 0
; COMPUTE_PGM_RSRC2:SCRATCH_EN: 0
; COMPUTE_PGM_RSRC2:USER_SGPR: 6
; COMPUTE_PGM_RSRC2:TRAP_HANDLER: 0
; COMPUTE_PGM_RSRC2:TGID_X_EN: 1
; COMPUTE_PGM_RSRC2:TGID_Y_EN: 0
; COMPUTE_PGM_RSRC2:TGID_Z_EN: 0
; COMPUTE_PGM_RSRC2:TIDIG_COMP_CNT: 0
; COMPUTE_PGM_RSRC3_GFX90A:ACCUM_OFFSET: 0
; COMPUTE_PGM_RSRC3_GFX90A:TG_SPLIT: 0
	.section	.text._ZN7rocprim17ROCPRIM_400000_NS6detail17trampoline_kernelINS0_14default_configENS1_25partition_config_selectorILNS1_17partition_subalgoE2EyNS0_10empty_typeEbEEZZNS1_14partition_implILS5_2ELb0ES3_jN6thrust23THRUST_200600_302600_NS6detail15normal_iteratorINSA_7pointerIyNSA_11hip_rocprim3tagENSA_11use_defaultESG_EEEEPS6_NSA_18transform_iteratorI7is_evenIyENSC_INSA_10device_ptrIyEEEESG_SG_EENS0_5tupleIJPySJ_EEENSR_IJSJ_SJ_EEES6_PlJS6_EEE10hipError_tPvRmT3_T4_T5_T6_T7_T9_mT8_P12ihipStream_tbDpT10_ENKUlT_T0_E_clISt17integral_constantIbLb1EES1E_IbLb0EEEEDaS1A_S1B_EUlS1A_E_NS1_11comp_targetILNS1_3genE4ELNS1_11target_archE910ELNS1_3gpuE8ELNS1_3repE0EEENS1_30default_config_static_selectorELNS0_4arch9wavefront6targetE1EEEvT1_,"axG",@progbits,_ZN7rocprim17ROCPRIM_400000_NS6detail17trampoline_kernelINS0_14default_configENS1_25partition_config_selectorILNS1_17partition_subalgoE2EyNS0_10empty_typeEbEEZZNS1_14partition_implILS5_2ELb0ES3_jN6thrust23THRUST_200600_302600_NS6detail15normal_iteratorINSA_7pointerIyNSA_11hip_rocprim3tagENSA_11use_defaultESG_EEEEPS6_NSA_18transform_iteratorI7is_evenIyENSC_INSA_10device_ptrIyEEEESG_SG_EENS0_5tupleIJPySJ_EEENSR_IJSJ_SJ_EEES6_PlJS6_EEE10hipError_tPvRmT3_T4_T5_T6_T7_T9_mT8_P12ihipStream_tbDpT10_ENKUlT_T0_E_clISt17integral_constantIbLb1EES1E_IbLb0EEEEDaS1A_S1B_EUlS1A_E_NS1_11comp_targetILNS1_3genE4ELNS1_11target_archE910ELNS1_3gpuE8ELNS1_3repE0EEENS1_30default_config_static_selectorELNS0_4arch9wavefront6targetE1EEEvT1_,comdat
	.protected	_ZN7rocprim17ROCPRIM_400000_NS6detail17trampoline_kernelINS0_14default_configENS1_25partition_config_selectorILNS1_17partition_subalgoE2EyNS0_10empty_typeEbEEZZNS1_14partition_implILS5_2ELb0ES3_jN6thrust23THRUST_200600_302600_NS6detail15normal_iteratorINSA_7pointerIyNSA_11hip_rocprim3tagENSA_11use_defaultESG_EEEEPS6_NSA_18transform_iteratorI7is_evenIyENSC_INSA_10device_ptrIyEEEESG_SG_EENS0_5tupleIJPySJ_EEENSR_IJSJ_SJ_EEES6_PlJS6_EEE10hipError_tPvRmT3_T4_T5_T6_T7_T9_mT8_P12ihipStream_tbDpT10_ENKUlT_T0_E_clISt17integral_constantIbLb1EES1E_IbLb0EEEEDaS1A_S1B_EUlS1A_E_NS1_11comp_targetILNS1_3genE4ELNS1_11target_archE910ELNS1_3gpuE8ELNS1_3repE0EEENS1_30default_config_static_selectorELNS0_4arch9wavefront6targetE1EEEvT1_ ; -- Begin function _ZN7rocprim17ROCPRIM_400000_NS6detail17trampoline_kernelINS0_14default_configENS1_25partition_config_selectorILNS1_17partition_subalgoE2EyNS0_10empty_typeEbEEZZNS1_14partition_implILS5_2ELb0ES3_jN6thrust23THRUST_200600_302600_NS6detail15normal_iteratorINSA_7pointerIyNSA_11hip_rocprim3tagENSA_11use_defaultESG_EEEEPS6_NSA_18transform_iteratorI7is_evenIyENSC_INSA_10device_ptrIyEEEESG_SG_EENS0_5tupleIJPySJ_EEENSR_IJSJ_SJ_EEES6_PlJS6_EEE10hipError_tPvRmT3_T4_T5_T6_T7_T9_mT8_P12ihipStream_tbDpT10_ENKUlT_T0_E_clISt17integral_constantIbLb1EES1E_IbLb0EEEEDaS1A_S1B_EUlS1A_E_NS1_11comp_targetILNS1_3genE4ELNS1_11target_archE910ELNS1_3gpuE8ELNS1_3repE0EEENS1_30default_config_static_selectorELNS0_4arch9wavefront6targetE1EEEvT1_
	.globl	_ZN7rocprim17ROCPRIM_400000_NS6detail17trampoline_kernelINS0_14default_configENS1_25partition_config_selectorILNS1_17partition_subalgoE2EyNS0_10empty_typeEbEEZZNS1_14partition_implILS5_2ELb0ES3_jN6thrust23THRUST_200600_302600_NS6detail15normal_iteratorINSA_7pointerIyNSA_11hip_rocprim3tagENSA_11use_defaultESG_EEEEPS6_NSA_18transform_iteratorI7is_evenIyENSC_INSA_10device_ptrIyEEEESG_SG_EENS0_5tupleIJPySJ_EEENSR_IJSJ_SJ_EEES6_PlJS6_EEE10hipError_tPvRmT3_T4_T5_T6_T7_T9_mT8_P12ihipStream_tbDpT10_ENKUlT_T0_E_clISt17integral_constantIbLb1EES1E_IbLb0EEEEDaS1A_S1B_EUlS1A_E_NS1_11comp_targetILNS1_3genE4ELNS1_11target_archE910ELNS1_3gpuE8ELNS1_3repE0EEENS1_30default_config_static_selectorELNS0_4arch9wavefront6targetE1EEEvT1_
	.p2align	8
	.type	_ZN7rocprim17ROCPRIM_400000_NS6detail17trampoline_kernelINS0_14default_configENS1_25partition_config_selectorILNS1_17partition_subalgoE2EyNS0_10empty_typeEbEEZZNS1_14partition_implILS5_2ELb0ES3_jN6thrust23THRUST_200600_302600_NS6detail15normal_iteratorINSA_7pointerIyNSA_11hip_rocprim3tagENSA_11use_defaultESG_EEEEPS6_NSA_18transform_iteratorI7is_evenIyENSC_INSA_10device_ptrIyEEEESG_SG_EENS0_5tupleIJPySJ_EEENSR_IJSJ_SJ_EEES6_PlJS6_EEE10hipError_tPvRmT3_T4_T5_T6_T7_T9_mT8_P12ihipStream_tbDpT10_ENKUlT_T0_E_clISt17integral_constantIbLb1EES1E_IbLb0EEEEDaS1A_S1B_EUlS1A_E_NS1_11comp_targetILNS1_3genE4ELNS1_11target_archE910ELNS1_3gpuE8ELNS1_3repE0EEENS1_30default_config_static_selectorELNS0_4arch9wavefront6targetE1EEEvT1_,@function
_ZN7rocprim17ROCPRIM_400000_NS6detail17trampoline_kernelINS0_14default_configENS1_25partition_config_selectorILNS1_17partition_subalgoE2EyNS0_10empty_typeEbEEZZNS1_14partition_implILS5_2ELb0ES3_jN6thrust23THRUST_200600_302600_NS6detail15normal_iteratorINSA_7pointerIyNSA_11hip_rocprim3tagENSA_11use_defaultESG_EEEEPS6_NSA_18transform_iteratorI7is_evenIyENSC_INSA_10device_ptrIyEEEESG_SG_EENS0_5tupleIJPySJ_EEENSR_IJSJ_SJ_EEES6_PlJS6_EEE10hipError_tPvRmT3_T4_T5_T6_T7_T9_mT8_P12ihipStream_tbDpT10_ENKUlT_T0_E_clISt17integral_constantIbLb1EES1E_IbLb0EEEEDaS1A_S1B_EUlS1A_E_NS1_11comp_targetILNS1_3genE4ELNS1_11target_archE910ELNS1_3gpuE8ELNS1_3repE0EEENS1_30default_config_static_selectorELNS0_4arch9wavefront6targetE1EEEvT1_: ; @_ZN7rocprim17ROCPRIM_400000_NS6detail17trampoline_kernelINS0_14default_configENS1_25partition_config_selectorILNS1_17partition_subalgoE2EyNS0_10empty_typeEbEEZZNS1_14partition_implILS5_2ELb0ES3_jN6thrust23THRUST_200600_302600_NS6detail15normal_iteratorINSA_7pointerIyNSA_11hip_rocprim3tagENSA_11use_defaultESG_EEEEPS6_NSA_18transform_iteratorI7is_evenIyENSC_INSA_10device_ptrIyEEEESG_SG_EENS0_5tupleIJPySJ_EEENSR_IJSJ_SJ_EEES6_PlJS6_EEE10hipError_tPvRmT3_T4_T5_T6_T7_T9_mT8_P12ihipStream_tbDpT10_ENKUlT_T0_E_clISt17integral_constantIbLb1EES1E_IbLb0EEEEDaS1A_S1B_EUlS1A_E_NS1_11comp_targetILNS1_3genE4ELNS1_11target_archE910ELNS1_3gpuE8ELNS1_3repE0EEENS1_30default_config_static_selectorELNS0_4arch9wavefront6targetE1EEEvT1_
; %bb.0:
	s_load_dwordx4 s[24:27], s[4:5], 0x8
	s_load_dwordx2 s[2:3], s[4:5], 0x20
	s_load_dwordx2 s[28:29], s[4:5], 0x60
	s_load_dwordx4 s[20:23], s[4:5], 0x50
	s_load_dword s0, s[4:5], 0x78
	s_waitcnt lgkmcnt(0)
	s_lshl_b64 s[8:9], s[26:27], 3
	s_add_u32 s7, s24, s8
	s_addc_u32 s12, s25, s9
	s_load_dwordx2 s[30:31], s[22:23], 0x0
	s_add_i32 s10, s0, -1
	s_mulk_i32 s0, 0x300
	s_add_i32 s1, s0, s26
	s_sub_i32 s33, s28, s1
	s_addk_i32 s33, 0x300
	s_add_u32 s0, s26, s0
	s_addc_u32 s1, s27, 0
	s_cmp_eq_u32 s6, s10
	v_pk_mov_b32 v[2:3], s[28:29], s[28:29] op_sel:[0,1]
	s_cselect_b64 s[22:23], -1, 0
	s_cmp_lg_u32 s6, s10
	s_mul_i32 s24, s6, 0x300
	s_mov_b32 s25, 0
	v_cmp_lt_u64_e32 vcc, s[0:1], v[2:3]
	s_cselect_b64 s[0:1], -1, 0
	s_or_b64 s[34:35], s[0:1], vcc
	s_lshl_b64 s[10:11], s[24:25], 3
	s_add_u32 s7, s7, s10
	s_addc_u32 s14, s12, s11
	s_mov_b64 s[0:1], -1
	s_and_b64 vcc, exec, s[34:35]
	v_lshlrev_b32_e32 v1, 3, v0
	v_lshrrev_b32_e32 v10, 2, v0
	s_cbranch_vccz .LBB2022_2
; %bb.1:
	v_mov_b32_e32 v3, s14
	v_add_co_u32_e32 v2, vcc, s7, v1
	v_addc_co_u32_e32 v3, vcc, 0, v3, vcc
	v_add_co_u32_e32 v4, vcc, 0x1000, v2
	v_addc_co_u32_e32 v5, vcc, 0, v3, vcc
	flat_load_dwordx2 v[6:7], v[2:3]
	flat_load_dwordx2 v[8:9], v[2:3] offset:1536
	flat_load_dwordx2 v[12:13], v[2:3] offset:3072
	;; [unrolled: 1-line block ×3, first 2 shown]
	v_add_u32_e32 v3, 0xc0, v0
	v_add_u32_e32 v4, 0x180, v0
	;; [unrolled: 1-line block ×3, first 2 shown]
	v_and_b32_e32 v2, 56, v10
	v_lshrrev_b32_e32 v3, 2, v3
	v_lshrrev_b32_e32 v4, 2, v4
	;; [unrolled: 1-line block ×3, first 2 shown]
	v_add_u32_e32 v2, v2, v1
	v_and_b32_e32 v3, 0x78, v3
	v_and_b32_e32 v4, 0xf8, v4
	;; [unrolled: 1-line block ×3, first 2 shown]
	v_add_u32_e32 v3, v3, v1
	v_add_u32_e32 v4, v4, v1
	;; [unrolled: 1-line block ×3, first 2 shown]
	s_mov_b64 s[0:1], 0
	s_waitcnt vmcnt(0) lgkmcnt(0)
	ds_write_b64 v2, v[6:7]
	ds_write_b64 v3, v[8:9] offset:1536
	ds_write_b64 v4, v[12:13] offset:3072
	;; [unrolled: 1-line block ×3, first 2 shown]
	s_waitcnt lgkmcnt(0)
	s_barrier
.LBB2022_2:
	s_andn2_b64 vcc, exec, s[0:1]
	v_cmp_gt_u32_e64 s[0:1], s33, v0
	s_cbranch_vccnz .LBB2022_12
; %bb.3:
                                        ; implicit-def: $vgpr2_vgpr3_vgpr4_vgpr5_vgpr6_vgpr7_vgpr8_vgpr9
	s_and_saveexec_b64 s[12:13], s[0:1]
	s_cbranch_execz .LBB2022_5
; %bb.4:
	v_mov_b32_e32 v3, s14
	v_add_co_u32_e32 v2, vcc, s7, v1
	v_addc_co_u32_e32 v3, vcc, 0, v3, vcc
	flat_load_dwordx2 v[2:3], v[2:3]
.LBB2022_5:
	s_or_b64 exec, exec, s[12:13]
	v_add_u32_e32 v11, 0xc0, v0
	v_cmp_gt_u32_e32 vcc, s33, v11
	s_and_saveexec_b64 s[0:1], vcc
	s_cbranch_execz .LBB2022_7
; %bb.6:
	v_mov_b32_e32 v5, s14
	v_add_co_u32_e32 v4, vcc, s7, v1
	v_addc_co_u32_e32 v5, vcc, 0, v5, vcc
	flat_load_dwordx2 v[4:5], v[4:5] offset:1536
.LBB2022_7:
	s_or_b64 exec, exec, s[0:1]
	v_add_u32_e32 v12, 0x180, v0
	v_cmp_gt_u32_e32 vcc, s33, v12
	s_and_saveexec_b64 s[0:1], vcc
	s_cbranch_execz .LBB2022_9
; %bb.8:
	v_mov_b32_e32 v7, s14
	v_add_co_u32_e32 v6, vcc, s7, v1
	v_addc_co_u32_e32 v7, vcc, 0, v7, vcc
	flat_load_dwordx2 v[6:7], v[6:7] offset:3072
.LBB2022_9:
	s_or_b64 exec, exec, s[0:1]
	v_add_u32_e32 v13, 0x240, v0
	v_cmp_gt_u32_e32 vcc, s33, v13
	s_and_saveexec_b64 s[0:1], vcc
	s_cbranch_execz .LBB2022_11
; %bb.10:
	v_lshlrev_b32_e32 v8, 3, v13
	v_mov_b32_e32 v9, s14
	v_add_co_u32_e32 v8, vcc, s7, v8
	v_addc_co_u32_e32 v9, vcc, 0, v9, vcc
	flat_load_dwordx2 v[8:9], v[8:9]
.LBB2022_11:
	s_or_b64 exec, exec, s[0:1]
	v_and_b32_e32 v10, 56, v10
	v_add_u32_e32 v10, v10, v1
	s_waitcnt vmcnt(0) lgkmcnt(0)
	ds_write_b64 v10, v[2:3]
	v_lshrrev_b32_e32 v2, 2, v11
	v_and_b32_e32 v2, 0x78, v2
	v_add_u32_e32 v2, v2, v1
	ds_write_b64 v2, v[4:5] offset:1536
	v_lshrrev_b32_e32 v2, 2, v12
	v_and_b32_e32 v2, 0xf8, v2
	v_add_u32_e32 v2, v2, v1
	ds_write_b64 v2, v[6:7] offset:3072
	;; [unrolled: 4-line block ×3, first 2 shown]
	s_waitcnt lgkmcnt(0)
	s_barrier
.LBB2022_12:
	v_lshlrev_b32_e32 v20, 2, v0
	v_lshrrev_b32_e32 v10, 3, v0
	v_add_lshl_u32 v2, v10, v20, 3
	s_waitcnt lgkmcnt(0)
	ds_read2_b64 v[6:9], v2 offset1:1
	ds_read2_b64 v[2:5], v2 offset0:2 offset1:3
	s_add_u32 s0, s2, s8
	s_addc_u32 s1, s3, s9
	s_add_u32 s0, s0, s10
	s_addc_u32 s1, s1, s11
	s_mov_b64 s[2:3], -1
	s_and_b64 vcc, exec, s[34:35]
	v_lshrrev_b32_e32 v11, 5, v0
	s_waitcnt lgkmcnt(0)
	s_barrier
	s_cbranch_vccz .LBB2022_14
; %bb.13:
	global_load_dwordx2 v[12:13], v1, s[0:1]
	global_load_dwordx2 v[14:15], v1, s[0:1] offset:1536
	global_load_dwordx2 v[16:17], v1, s[0:1] offset:3072
	v_mov_b32_e32 v18, s1
	s_waitcnt vmcnt(2)
	v_add_co_u32_e32 v13, vcc, s0, v1
	s_waitcnt vmcnt(1)
	v_addc_co_u32_e32 v15, vcc, 0, v18, vcc
	v_add_co_u32_e32 v18, vcc, 0x1000, v13
	v_addc_co_u32_e32 v19, vcc, 0, v15, vcc
	global_load_dwordx2 v[18:19], v[18:19], off offset:512
	v_add_u32_e32 v15, 0xc0, v0
	s_waitcnt vmcnt(1)
	v_add_u32_e32 v17, 0x180, v0
	v_and_b32_e32 v13, 4, v11
	s_waitcnt vmcnt(0)
	v_add_u32_e32 v19, 0x240, v0
	v_lshrrev_b32_e32 v15, 5, v15
	v_lshrrev_b32_e32 v17, 5, v17
	v_add_u32_e32 v13, v13, v0
	v_lshrrev_b32_e32 v19, 5, v19
	v_and_b32_e32 v15, 12, v15
	v_and_b32_e32 v17, 28, v17
	;; [unrolled: 1-line block ×3, first 2 shown]
	v_add_u32_e32 v15, v15, v0
	v_add_u32_e32 v17, v17, v0
	;; [unrolled: 1-line block ×3, first 2 shown]
	s_mov_b64 s[2:3], 0
	v_xor_b32_e32 v12, -1, v12
	v_xor_b32_e32 v14, -1, v14
	;; [unrolled: 1-line block ×3, first 2 shown]
	v_and_b32_e32 v12, 1, v12
	v_and_b32_e32 v14, 1, v14
	;; [unrolled: 1-line block ×3, first 2 shown]
	ds_write_b8 v13, v12
	ds_write_b8 v15, v14 offset:192
	ds_write_b8 v17, v16 offset:384
	v_xor_b32_e32 v12, -1, v18
	v_and_b32_e32 v12, 1, v12
	ds_write_b8 v19, v12 offset:576
	s_waitcnt lgkmcnt(0)
	s_barrier
.LBB2022_14:
	s_load_dwordx2 s[36:37], s[4:5], 0x70
	s_andn2_b64 vcc, exec, s[2:3]
	s_cbranch_vccnz .LBB2022_24
; %bb.15:
	v_cmp_gt_u32_e32 vcc, s33, v0
	v_mov_b32_e32 v12, 0
	v_mov_b32_e32 v13, 0
	s_and_saveexec_b64 s[2:3], vcc
	s_cbranch_execz .LBB2022_17
; %bb.16:
	global_load_dwordx2 v[14:15], v1, s[0:1]
	s_waitcnt vmcnt(0)
	v_xor_b32_e32 v13, -1, v14
	v_and_b32_e32 v13, 1, v13
.LBB2022_17:
	s_or_b64 exec, exec, s[2:3]
	v_add_u32_e32 v14, 0xc0, v0
	v_cmp_gt_u32_e32 vcc, s33, v14
	s_and_saveexec_b64 s[2:3], vcc
	s_cbranch_execz .LBB2022_19
; %bb.18:
	global_load_dwordx2 v[16:17], v1, s[0:1] offset:1536
	s_waitcnt vmcnt(0)
	v_xor_b32_e32 v12, -1, v16
	v_and_b32_e32 v12, 1, v12
.LBB2022_19:
	s_or_b64 exec, exec, s[2:3]
	v_add_u32_e32 v16, 0x180, v0
	v_cmp_gt_u32_e32 vcc, s33, v16
	v_mov_b32_e32 v15, 0
	v_mov_b32_e32 v17, 0
	s_and_saveexec_b64 s[2:3], vcc
	s_cbranch_execz .LBB2022_21
; %bb.20:
	global_load_dwordx2 v[18:19], v1, s[0:1] offset:3072
	s_waitcnt vmcnt(0)
	v_xor_b32_e32 v17, -1, v18
	v_and_b32_e32 v17, 1, v17
.LBB2022_21:
	s_or_b64 exec, exec, s[2:3]
	v_add_u32_e32 v18, 0x240, v0
	v_cmp_gt_u32_e32 vcc, s33, v18
	s_and_saveexec_b64 s[2:3], vcc
	s_cbranch_execz .LBB2022_23
; %bb.22:
	v_lshlrev_b32_e32 v15, 3, v18
	global_load_dwordx2 v[22:23], v15, s[0:1]
	s_waitcnt vmcnt(0)
	v_xor_b32_e32 v15, -1, v22
	v_and_b32_e32 v15, 1, v15
.LBB2022_23:
	s_or_b64 exec, exec, s[2:3]
	v_and_b32_e32 v11, 4, v11
	v_add_u32_e32 v11, v11, v0
	ds_write_b8 v11, v13
	v_lshrrev_b32_e32 v11, 5, v14
	v_and_b32_e32 v11, 12, v11
	v_add_u32_e32 v11, v11, v0
	ds_write_b8 v11, v12 offset:192
	v_lshrrev_b32_e32 v11, 5, v16
	v_and_b32_e32 v11, 28, v11
	v_add_u32_e32 v11, v11, v0
	ds_write_b8 v11, v17 offset:384
	;; [unrolled: 4-line block ×3, first 2 shown]
	s_waitcnt lgkmcnt(0)
	s_barrier
.LBB2022_24:
	v_and_b32_e32 v10, 28, v10
	v_add_u32_e32 v10, v10, v20
	s_waitcnt lgkmcnt(0)
	ds_read_b32 v22, v10
	s_cmp_lg_u32 s6, 0
	v_lshrrev_b32_e32 v25, 6, v0
	s_waitcnt lgkmcnt(0)
	s_barrier
	v_lshrrev_b32_e32 v21, 24, v22
	v_bfe_u32 v23, v22, 16, 8
	v_add_u32_sdwa v10, v22, v22 dst_sel:DWORD dst_unused:UNUSED_PAD src0_sel:BYTE_1 src1_sel:BYTE_0
	v_add3_u32 v26, v10, v23, v21
	v_mbcnt_lo_u32_b32 v10, -1, 0
	v_mbcnt_hi_u32_b32 v24, -1, v10
	v_and_b32_e32 v10, 15, v24
	v_cmp_eq_u32_e64 s[14:15], 0, v10
	v_cmp_lt_u32_e64 s[12:13], 1, v10
	v_cmp_lt_u32_e64 s[10:11], 3, v10
	;; [unrolled: 1-line block ×3, first 2 shown]
	v_and_b32_e32 v10, 16, v24
	v_cmp_eq_u32_e64 s[2:3], 0, v10
	v_and_b32_e32 v10, 0xc0, v0
	v_min_u32_e32 v10, 0x80, v10
	v_or_b32_e32 v10, 63, v10
	v_cmp_lt_u32_e64 s[0:1], 31, v24
	v_cmp_eq_u32_e64 s[18:19], v10, v0
	s_cbranch_scc0 .LBB2022_55
; %bb.25:
	v_mov_b32_dpp v10, v26 row_shr:1 row_mask:0xf bank_mask:0xf
	v_cndmask_b32_e64 v10, v10, 0, s[14:15]
	v_add_u32_e32 v10, v10, v26
	s_nop 1
	v_mov_b32_dpp v11, v10 row_shr:2 row_mask:0xf bank_mask:0xf
	v_cndmask_b32_e64 v11, 0, v11, s[12:13]
	v_add_u32_e32 v10, v10, v11
	s_nop 1
	;; [unrolled: 4-line block ×4, first 2 shown]
	v_mov_b32_dpp v11, v10 row_bcast:15 row_mask:0xf bank_mask:0xf
	v_cndmask_b32_e64 v11, v11, 0, s[2:3]
	v_add_u32_e32 v10, v10, v11
	s_nop 1
	v_mov_b32_dpp v11, v10 row_bcast:31 row_mask:0xf bank_mask:0xf
	v_cndmask_b32_e64 v11, 0, v11, s[0:1]
	v_add_u32_e32 v10, v10, v11
	s_and_saveexec_b64 s[16:17], s[18:19]
	s_cbranch_execz .LBB2022_27
; %bb.26:
	v_lshlrev_b32_e32 v11, 2, v25
	ds_write_b32 v11, v10
.LBB2022_27:
	s_or_b64 exec, exec, s[16:17]
	v_cmp_gt_u32_e32 vcc, 3, v0
	s_waitcnt lgkmcnt(0)
	s_barrier
	s_and_saveexec_b64 s[16:17], vcc
	s_cbranch_execz .LBB2022_29
; %bb.28:
	ds_read_b32 v11, v20
	v_and_b32_e32 v12, 3, v24
	v_cmp_ne_u32_e32 vcc, 0, v12
	s_waitcnt lgkmcnt(0)
	v_mov_b32_dpp v13, v11 row_shr:1 row_mask:0xf bank_mask:0xf
	v_cndmask_b32_e32 v13, 0, v13, vcc
	v_add_u32_e32 v11, v13, v11
	v_cmp_lt_u32_e32 vcc, 1, v12
	s_nop 0
	v_mov_b32_dpp v13, v11 row_shr:2 row_mask:0xf bank_mask:0xf
	v_cndmask_b32_e32 v12, 0, v13, vcc
	v_add_u32_e32 v11, v11, v12
	ds_write_b32 v20, v11
.LBB2022_29:
	s_or_b64 exec, exec, s[16:17]
	v_cmp_gt_u32_e32 vcc, 64, v0
	v_cmp_lt_u32_e64 s[16:17], 63, v0
	s_waitcnt lgkmcnt(0)
	s_barrier
	s_waitcnt lgkmcnt(0)
                                        ; implicit-def: $vgpr27
	s_and_saveexec_b64 s[38:39], s[16:17]
	s_cbranch_execz .LBB2022_31
; %bb.30:
	v_lshl_add_u32 v11, v25, 2, -4
	ds_read_b32 v27, v11
	s_waitcnt lgkmcnt(0)
	v_add_u32_e32 v10, v27, v10
.LBB2022_31:
	s_or_b64 exec, exec, s[38:39]
	v_add_u32_e32 v11, -1, v24
	v_and_b32_e32 v12, 64, v24
	v_cmp_lt_i32_e64 s[16:17], v11, v12
	v_cndmask_b32_e64 v11, v11, v24, s[16:17]
	v_lshlrev_b32_e32 v11, 2, v11
	ds_bpermute_b32 v28, v11, v10
	v_cmp_eq_u32_e64 s[16:17], 0, v24
	s_and_saveexec_b64 s[38:39], vcc
	s_cbranch_execz .LBB2022_54
; %bb.32:
	v_mov_b32_e32 v19, 0
	ds_read_b32 v10, v19 offset:8
	s_and_saveexec_b64 s[40:41], s[16:17]
	s_cbranch_execz .LBB2022_34
; %bb.33:
	s_add_i32 s42, s6, 64
	s_mov_b32 s43, 0
	s_lshl_b64 s[42:43], s[42:43], 3
	s_add_u32 s42, s36, s42
	v_mov_b32_e32 v11, 1
	s_addc_u32 s43, s37, s43
	s_waitcnt lgkmcnt(0)
	global_store_dwordx2 v19, v[10:11], s[42:43]
.LBB2022_34:
	s_or_b64 exec, exec, s[40:41]
	v_xad_u32 v12, v24, -1, s6
	v_add_u32_e32 v18, 64, v12
	v_lshlrev_b64 v[14:15], 3, v[18:19]
	v_mov_b32_e32 v11, s37
	v_add_co_u32_e32 v14, vcc, s36, v14
	v_addc_co_u32_e32 v15, vcc, v11, v15, vcc
	global_load_dwordx2 v[16:17], v[14:15], off glc
	s_waitcnt vmcnt(0)
	v_cmp_eq_u16_sdwa s[42:43], v17, v19 src0_sel:BYTE_0 src1_sel:DWORD
	s_and_saveexec_b64 s[40:41], s[42:43]
	s_cbranch_execz .LBB2022_40
; %bb.35:
	s_mov_b32 s7, 1
	s_mov_b64 s[42:43], 0
	v_mov_b32_e32 v11, 0
.LBB2022_36:                            ; =>This Loop Header: Depth=1
                                        ;     Child Loop BB2022_37 Depth 2
	s_max_u32 s25, s7, 1
.LBB2022_37:                            ;   Parent Loop BB2022_36 Depth=1
                                        ; =>  This Inner Loop Header: Depth=2
	s_add_i32 s25, s25, -1
	s_cmp_eq_u32 s25, 0
	s_sleep 1
	s_cbranch_scc0 .LBB2022_37
; %bb.38:                               ;   in Loop: Header=BB2022_36 Depth=1
	global_load_dwordx2 v[16:17], v[14:15], off glc
	s_cmp_lt_u32 s7, 32
	s_cselect_b64 s[44:45], -1, 0
	s_cmp_lg_u64 s[44:45], 0
	s_addc_u32 s7, s7, 0
	s_waitcnt vmcnt(0)
	v_cmp_ne_u16_sdwa s[44:45], v17, v11 src0_sel:BYTE_0 src1_sel:DWORD
	s_or_b64 s[42:43], s[44:45], s[42:43]
	s_andn2_b64 exec, exec, s[42:43]
	s_cbranch_execnz .LBB2022_36
; %bb.39:
	s_or_b64 exec, exec, s[42:43]
.LBB2022_40:
	s_or_b64 exec, exec, s[40:41]
	v_and_b32_e32 v30, 63, v24
	v_mov_b32_e32 v29, 2
	v_cmp_ne_u32_e32 vcc, 63, v30
	v_cmp_eq_u16_sdwa s[40:41], v17, v29 src0_sel:BYTE_0 src1_sel:DWORD
	v_lshlrev_b64 v[14:15], v24, -1
	v_addc_co_u32_e32 v18, vcc, 0, v24, vcc
	v_and_b32_e32 v11, s41, v15
	v_lshlrev_b32_e32 v31, 2, v18
	v_or_b32_e32 v11, 0x80000000, v11
	ds_bpermute_b32 v18, v31, v16
	v_and_b32_e32 v13, s40, v14
	v_ffbl_b32_e32 v11, v11
	v_add_u32_e32 v11, 32, v11
	v_ffbl_b32_e32 v13, v13
	v_min_u32_e32 v11, v13, v11
	v_cmp_lt_u32_e32 vcc, v30, v11
	s_waitcnt lgkmcnt(0)
	v_cndmask_b32_e32 v13, 0, v18, vcc
	v_cmp_gt_u32_e32 vcc, 62, v30
	v_add_u32_e32 v13, v13, v16
	v_cndmask_b32_e64 v16, 0, 1, vcc
	v_lshlrev_b32_e32 v16, 1, v16
	v_add_lshl_u32 v32, v16, v24, 2
	ds_bpermute_b32 v16, v32, v13
	v_add_u32_e32 v33, 2, v30
	v_cmp_le_u32_e32 vcc, v33, v11
	v_add_u32_e32 v35, 4, v30
	v_add_u32_e32 v37, 8, v30
	s_waitcnt lgkmcnt(0)
	v_cndmask_b32_e32 v16, 0, v16, vcc
	v_cmp_gt_u32_e32 vcc, 60, v30
	v_add_u32_e32 v13, v13, v16
	v_cndmask_b32_e64 v16, 0, 1, vcc
	v_lshlrev_b32_e32 v16, 2, v16
	v_add_lshl_u32 v34, v16, v24, 2
	ds_bpermute_b32 v16, v34, v13
	v_cmp_le_u32_e32 vcc, v35, v11
	v_add_u32_e32 v39, 16, v30
	v_add_u32_e32 v41, 32, v30
	s_waitcnt lgkmcnt(0)
	v_cndmask_b32_e32 v16, 0, v16, vcc
	v_cmp_gt_u32_e32 vcc, 56, v30
	v_add_u32_e32 v13, v13, v16
	v_cndmask_b32_e64 v16, 0, 1, vcc
	v_lshlrev_b32_e32 v16, 3, v16
	v_add_lshl_u32 v36, v16, v24, 2
	ds_bpermute_b32 v16, v36, v13
	v_cmp_le_u32_e32 vcc, v37, v11
	s_waitcnt lgkmcnt(0)
	v_cndmask_b32_e32 v16, 0, v16, vcc
	v_cmp_gt_u32_e32 vcc, 48, v30
	v_add_u32_e32 v13, v13, v16
	v_cndmask_b32_e64 v16, 0, 1, vcc
	v_lshlrev_b32_e32 v16, 4, v16
	v_add_lshl_u32 v38, v16, v24, 2
	ds_bpermute_b32 v16, v38, v13
	v_cmp_le_u32_e32 vcc, v39, v11
	;; [unrolled: 9-line block ×3, first 2 shown]
	s_waitcnt lgkmcnt(0)
	v_cndmask_b32_e32 v11, 0, v16, vcc
	v_add_u32_e32 v16, v13, v11
	v_mov_b32_e32 v13, 0
	s_branch .LBB2022_42
.LBB2022_41:                            ;   in Loop: Header=BB2022_42 Depth=1
	s_or_b64 exec, exec, s[40:41]
	v_cmp_eq_u16_sdwa s[40:41], v17, v29 src0_sel:BYTE_0 src1_sel:DWORD
	v_and_b32_e32 v18, s41, v15
	v_or_b32_e32 v18, 0x80000000, v18
	ds_bpermute_b32 v42, v31, v16
	v_and_b32_e32 v19, s40, v14
	v_ffbl_b32_e32 v18, v18
	v_add_u32_e32 v18, 32, v18
	v_ffbl_b32_e32 v19, v19
	v_min_u32_e32 v18, v19, v18
	v_cmp_lt_u32_e32 vcc, v30, v18
	s_waitcnt lgkmcnt(0)
	v_cndmask_b32_e32 v19, 0, v42, vcc
	v_add_u32_e32 v16, v19, v16
	ds_bpermute_b32 v19, v32, v16
	v_cmp_le_u32_e32 vcc, v33, v18
	v_subrev_u32_e32 v12, 64, v12
	s_waitcnt lgkmcnt(0)
	v_cndmask_b32_e32 v19, 0, v19, vcc
	v_add_u32_e32 v16, v16, v19
	ds_bpermute_b32 v19, v34, v16
	v_cmp_le_u32_e32 vcc, v35, v18
	s_waitcnt lgkmcnt(0)
	v_cndmask_b32_e32 v19, 0, v19, vcc
	v_add_u32_e32 v16, v16, v19
	ds_bpermute_b32 v19, v36, v16
	v_cmp_le_u32_e32 vcc, v37, v18
	;; [unrolled: 5-line block ×4, first 2 shown]
	s_waitcnt lgkmcnt(0)
	v_cndmask_b32_e32 v18, 0, v19, vcc
	v_add3_u32 v16, v18, v11, v16
.LBB2022_42:                            ; =>This Loop Header: Depth=1
                                        ;     Child Loop BB2022_45 Depth 2
                                        ;       Child Loop BB2022_46 Depth 3
	v_cmp_ne_u16_sdwa s[40:41], v17, v29 src0_sel:BYTE_0 src1_sel:DWORD
	v_cndmask_b32_e64 v11, 0, 1, s[40:41]
	;;#ASMSTART
	;;#ASMEND
	v_cmp_ne_u32_e32 vcc, 0, v11
	s_cmp_lg_u64 vcc, exec
	v_mov_b32_e32 v11, v16
	s_cbranch_scc1 .LBB2022_49
; %bb.43:                               ;   in Loop: Header=BB2022_42 Depth=1
	v_lshlrev_b64 v[16:17], 3, v[12:13]
	v_mov_b32_e32 v19, s37
	v_add_co_u32_e32 v18, vcc, s36, v16
	v_addc_co_u32_e32 v19, vcc, v19, v17, vcc
	global_load_dwordx2 v[16:17], v[18:19], off glc
	s_waitcnt vmcnt(0)
	v_cmp_eq_u16_sdwa s[42:43], v17, v13 src0_sel:BYTE_0 src1_sel:DWORD
	s_and_saveexec_b64 s[40:41], s[42:43]
	s_cbranch_execz .LBB2022_41
; %bb.44:                               ;   in Loop: Header=BB2022_42 Depth=1
	s_mov_b32 s7, 1
	s_mov_b64 s[42:43], 0
.LBB2022_45:                            ;   Parent Loop BB2022_42 Depth=1
                                        ; =>  This Loop Header: Depth=2
                                        ;       Child Loop BB2022_46 Depth 3
	s_max_u32 s25, s7, 1
.LBB2022_46:                            ;   Parent Loop BB2022_42 Depth=1
                                        ;     Parent Loop BB2022_45 Depth=2
                                        ; =>    This Inner Loop Header: Depth=3
	s_add_i32 s25, s25, -1
	s_cmp_eq_u32 s25, 0
	s_sleep 1
	s_cbranch_scc0 .LBB2022_46
; %bb.47:                               ;   in Loop: Header=BB2022_45 Depth=2
	global_load_dwordx2 v[16:17], v[18:19], off glc
	s_cmp_lt_u32 s7, 32
	s_cselect_b64 s[44:45], -1, 0
	s_cmp_lg_u64 s[44:45], 0
	s_addc_u32 s7, s7, 0
	s_waitcnt vmcnt(0)
	v_cmp_ne_u16_sdwa s[44:45], v17, v13 src0_sel:BYTE_0 src1_sel:DWORD
	s_or_b64 s[42:43], s[44:45], s[42:43]
	s_andn2_b64 exec, exec, s[42:43]
	s_cbranch_execnz .LBB2022_45
; %bb.48:                               ;   in Loop: Header=BB2022_42 Depth=1
	s_or_b64 exec, exec, s[42:43]
	s_branch .LBB2022_41
.LBB2022_49:                            ;   in Loop: Header=BB2022_42 Depth=1
                                        ; implicit-def: $vgpr16
                                        ; implicit-def: $vgpr17
	s_cbranch_execz .LBB2022_42
; %bb.50:
	s_and_saveexec_b64 s[40:41], s[16:17]
	s_cbranch_execz .LBB2022_52
; %bb.51:
	s_add_i32 s6, s6, 64
	s_mov_b32 s7, 0
	s_lshl_b64 s[6:7], s[6:7], 3
	s_add_u32 s6, s36, s6
	v_add_u32_e32 v12, v11, v10
	v_mov_b32_e32 v13, 2
	s_addc_u32 s7, s37, s7
	v_mov_b32_e32 v14, 0
	global_store_dwordx2 v14, v[12:13], s[6:7]
	ds_write_b64 v14, v[10:11] offset:6336
.LBB2022_52:
	s_or_b64 exec, exec, s[40:41]
	v_cmp_eq_u32_e32 vcc, 0, v0
	s_and_b64 exec, exec, vcc
	s_cbranch_execz .LBB2022_54
; %bb.53:
	v_mov_b32_e32 v10, 0
	ds_write_b32 v10, v11 offset:8
.LBB2022_54:
	s_or_b64 exec, exec, s[38:39]
	v_mov_b32_e32 v10, 0
	s_waitcnt lgkmcnt(0)
	s_barrier
	ds_read_b32 v11, v10 offset:8
	v_cndmask_b32_e64 v12, v28, v27, s[16:17]
	v_cmp_ne_u32_e32 vcc, 0, v0
	v_cndmask_b32_e32 v12, 0, v12, vcc
	s_waitcnt lgkmcnt(0)
	v_add_u32_e32 v14, v11, v12
	s_barrier
	ds_read_b64 v[10:11], v10 offset:6336
	v_add_u32_sdwa v15, v14, v22 dst_sel:DWORD dst_unused:UNUSED_PAD src0_sel:DWORD src1_sel:BYTE_0
	v_add_u32_sdwa v13, v15, v22 dst_sel:DWORD dst_unused:UNUSED_PAD src0_sel:DWORD src1_sel:BYTE_1
	v_add_u32_e32 v12, v13, v23
	s_load_dwordx2 s[4:5], s[4:5], 0x30
	s_branch .LBB2022_65
.LBB2022_55:
                                        ; implicit-def: $vgpr11
                                        ; implicit-def: $vgpr12
                                        ; implicit-def: $vgpr13
                                        ; implicit-def: $vgpr15
                                        ; implicit-def: $vgpr14
	s_load_dwordx2 s[4:5], s[4:5], 0x30
	s_cbranch_execz .LBB2022_65
; %bb.56:
	s_waitcnt lgkmcnt(0)
	v_mov_b32_dpp v10, v26 row_shr:1 row_mask:0xf bank_mask:0xf
	v_cndmask_b32_e64 v10, v10, 0, s[14:15]
	v_add_u32_e32 v10, v10, v26
	s_nop 1
	v_mov_b32_dpp v11, v10 row_shr:2 row_mask:0xf bank_mask:0xf
	v_cndmask_b32_e64 v11, 0, v11, s[12:13]
	v_add_u32_e32 v10, v10, v11
	s_nop 1
	;; [unrolled: 4-line block ×4, first 2 shown]
	v_mov_b32_dpp v11, v10 row_bcast:15 row_mask:0xf bank_mask:0xf
	v_cndmask_b32_e64 v11, v11, 0, s[2:3]
	v_add_u32_e32 v10, v10, v11
	s_nop 1
	v_mov_b32_dpp v11, v10 row_bcast:31 row_mask:0xf bank_mask:0xf
	v_cndmask_b32_e64 v11, 0, v11, s[0:1]
	v_add_u32_e32 v10, v10, v11
	s_and_saveexec_b64 s[0:1], s[18:19]
	s_cbranch_execz .LBB2022_58
; %bb.57:
	v_lshlrev_b32_e32 v11, 2, v25
	ds_write_b32 v11, v10
.LBB2022_58:
	s_or_b64 exec, exec, s[0:1]
	v_cmp_gt_u32_e32 vcc, 3, v0
	s_waitcnt lgkmcnt(0)
	s_barrier
	s_and_saveexec_b64 s[0:1], vcc
	s_cbranch_execz .LBB2022_60
; %bb.59:
	ds_read_b32 v11, v20
	v_and_b32_e32 v12, 3, v24
	v_cmp_ne_u32_e32 vcc, 0, v12
	s_waitcnt lgkmcnt(0)
	v_mov_b32_dpp v13, v11 row_shr:1 row_mask:0xf bank_mask:0xf
	v_cndmask_b32_e32 v13, 0, v13, vcc
	v_add_u32_e32 v11, v13, v11
	v_cmp_lt_u32_e32 vcc, 1, v12
	s_nop 0
	v_mov_b32_dpp v13, v11 row_shr:2 row_mask:0xf bank_mask:0xf
	v_cndmask_b32_e32 v12, 0, v13, vcc
	v_add_u32_e32 v11, v11, v12
	ds_write_b32 v20, v11
.LBB2022_60:
	s_or_b64 exec, exec, s[0:1]
	v_cmp_lt_u32_e32 vcc, 63, v0
	v_mov_b32_e32 v11, 0
	v_mov_b32_e32 v12, 0
	s_waitcnt lgkmcnt(0)
	s_barrier
	s_and_saveexec_b64 s[0:1], vcc
	s_cbranch_execz .LBB2022_62
; %bb.61:
	v_lshl_add_u32 v12, v25, 2, -4
	ds_read_b32 v12, v12
.LBB2022_62:
	s_or_b64 exec, exec, s[0:1]
	v_add_u32_e32 v13, -1, v24
	v_and_b32_e32 v14, 64, v24
	v_cmp_lt_i32_e32 vcc, v13, v14
	v_cndmask_b32_e32 v13, v13, v24, vcc
	s_waitcnt lgkmcnt(0)
	v_add_u32_e32 v10, v12, v10
	v_lshlrev_b32_e32 v13, 2, v13
	ds_bpermute_b32 v13, v13, v10
	ds_read_b32 v10, v11 offset:8
	v_cmp_eq_u32_e32 vcc, 0, v0
	s_and_saveexec_b64 s[0:1], vcc
	s_cbranch_execz .LBB2022_64
; %bb.63:
	v_mov_b32_e32 v14, 0
	v_mov_b32_e32 v11, 2
	s_waitcnt lgkmcnt(0)
	global_store_dwordx2 v14, v[10:11], s[36:37] offset:512
.LBB2022_64:
	s_or_b64 exec, exec, s[0:1]
	v_cmp_eq_u32_e64 s[0:1], 0, v24
	s_waitcnt lgkmcnt(1)
	v_cndmask_b32_e64 v12, v13, v12, s[0:1]
	v_cndmask_b32_e64 v14, v12, 0, vcc
	v_add_u32_sdwa v15, v14, v22 dst_sel:DWORD dst_unused:UNUSED_PAD src0_sel:DWORD src1_sel:BYTE_0
	v_add_u32_sdwa v13, v15, v22 dst_sel:DWORD dst_unused:UNUSED_PAD src0_sel:DWORD src1_sel:BYTE_1
	v_mov_b32_e32 v11, 0
	v_add_u32_e32 v12, v13, v23
	s_waitcnt lgkmcnt(0)
	s_barrier
.LBB2022_65:
	s_waitcnt lgkmcnt(0)
	v_add_u32_e32 v17, v10, v20
	v_sub_u32_e32 v14, v14, v11
	v_and_b32_e32 v19, 1, v22
	v_sub_u32_e32 v18, v17, v14
	v_cmp_eq_u32_e32 vcc, 1, v19
	v_cndmask_b32_e32 v14, v18, v14, vcc
	v_lshlrev_b32_e32 v14, 3, v14
	v_lshrrev_b32_e32 v16, 8, v22
	ds_write_b64 v14, v[6:7]
	v_sub_u32_e32 v6, v15, v11
	v_sub_u32_e32 v7, v17, v6
	v_and_b32_e32 v14, 1, v16
	v_add_u32_e32 v7, 1, v7
	v_cmp_eq_u32_e32 vcc, 1, v14
	v_cndmask_b32_e32 v6, v7, v6, vcc
	v_lshlrev_b32_e32 v6, 3, v6
	ds_write_b64 v6, v[8:9]
	v_sub_u32_e32 v6, v13, v11
	v_mov_b32_e32 v8, 1
	v_sub_u32_e32 v7, v17, v6
	v_and_b32_sdwa v8, v8, v22 dst_sel:DWORD dst_unused:UNUSED_PAD src0_sel:DWORD src1_sel:WORD_1
	v_add_u32_e32 v7, 2, v7
	v_cmp_eq_u32_e32 vcc, 1, v8
	v_cndmask_b32_e32 v6, v7, v6, vcc
	v_lshlrev_b32_e32 v6, 3, v6
	ds_write_b64 v6, v[2:3]
	v_sub_u32_e32 v2, v12, v11
	v_sub_u32_e32 v3, v17, v2
	v_and_b32_e32 v6, 1, v21
	v_add_u32_e32 v3, 3, v3
	v_cmp_eq_u32_e32 vcc, 1, v6
	v_cndmask_b32_e32 v2, v3, v2, vcc
	s_add_u32 s0, s26, s24
	v_lshlrev_b32_e32 v2, 3, v2
	s_addc_u32 s1, s27, 0
	ds_write_b64 v2, v[4:5]
	s_waitcnt lgkmcnt(0)
	s_barrier
	ds_read2st64_b64 v[6:9], v1 offset1:3
	ds_read2st64_b64 v[2:5], v1 offset0:6 offset1:9
	v_mov_b32_e32 v12, s31
	v_add_co_u32_e32 v1, vcc, s30, v11
	s_sub_u32 s0, s28, s0
	v_addc_co_u32_e32 v11, vcc, 0, v12, vcc
	s_subb_u32 s1, s29, s1
	v_mov_b32_e32 v12, s1
	v_add_co_u32_e32 v13, vcc, s0, v10
	v_addc_co_u32_e32 v12, vcc, 0, v12, vcc
	v_add_co_u32_e64 v15, s[0:1], v13, v1
	v_add_u32_e32 v18, 0xc0, v0
	v_add_u32_e32 v17, 0x180, v0
	;; [unrolled: 1-line block ×3, first 2 shown]
	s_andn2_b64 vcc, exec, s[34:35]
	v_addc_co_u32_e64 v16, s[0:1], v12, v11, s[0:1]
	s_cbranch_vccnz .LBB2022_83
; %bb.66:
	v_cmp_ge_u32_e32 vcc, v0, v10
                                        ; implicit-def: $vgpr12_vgpr13
	s_and_saveexec_b64 s[0:1], vcc
	s_xor_b64 s[0:1], exec, s[0:1]
; %bb.67:
	v_not_b32_e32 v12, v0
	v_ashrrev_i32_e32 v13, 31, v12
	v_add_co_u32_e32 v12, vcc, v15, v12
	v_addc_co_u32_e32 v13, vcc, v16, v13, vcc
; %bb.68:
	s_andn2_saveexec_b64 s[0:1], s[0:1]
; %bb.69:
	v_add_co_u32_e32 v12, vcc, v1, v0
	v_addc_co_u32_e32 v13, vcc, 0, v11, vcc
; %bb.70:
	s_or_b64 exec, exec, s[0:1]
	v_lshlrev_b64 v[12:13], 3, v[12:13]
	v_mov_b32_e32 v19, s5
	v_add_co_u32_e32 v12, vcc, s4, v12
	v_addc_co_u32_e32 v13, vcc, v19, v13, vcc
	v_cmp_ge_u32_e32 vcc, v18, v10
	s_waitcnt lgkmcnt(1)
	global_store_dwordx2 v[12:13], v[6:7], off
                                        ; implicit-def: $vgpr12_vgpr13
	s_and_saveexec_b64 s[0:1], vcc
	s_xor_b64 s[0:1], exec, s[0:1]
; %bb.71:
	v_sub_u32_e32 v12, 0xffffff3f, v0
	v_ashrrev_i32_e32 v13, 31, v12
	v_add_co_u32_e32 v12, vcc, v15, v12
	v_addc_co_u32_e32 v13, vcc, v16, v13, vcc
; %bb.72:
	s_andn2_saveexec_b64 s[0:1], s[0:1]
; %bb.73:
	v_add_co_u32_e32 v12, vcc, v1, v18
	v_addc_co_u32_e32 v13, vcc, 0, v11, vcc
; %bb.74:
	s_or_b64 exec, exec, s[0:1]
	v_lshlrev_b64 v[12:13], 3, v[12:13]
	v_mov_b32_e32 v19, s5
	v_add_co_u32_e32 v12, vcc, s4, v12
	v_addc_co_u32_e32 v13, vcc, v19, v13, vcc
	v_cmp_ge_u32_e32 vcc, v17, v10
	global_store_dwordx2 v[12:13], v[8:9], off
                                        ; implicit-def: $vgpr12_vgpr13
	s_and_saveexec_b64 s[0:1], vcc
	s_xor_b64 s[0:1], exec, s[0:1]
; %bb.75:
	v_sub_u32_e32 v12, 0xfffffe7f, v0
	v_ashrrev_i32_e32 v13, 31, v12
	v_add_co_u32_e32 v12, vcc, v15, v12
	v_addc_co_u32_e32 v13, vcc, v16, v13, vcc
; %bb.76:
	s_andn2_saveexec_b64 s[0:1], s[0:1]
; %bb.77:
	v_add_co_u32_e32 v12, vcc, v1, v17
	v_addc_co_u32_e32 v13, vcc, 0, v11, vcc
; %bb.78:
	s_or_b64 exec, exec, s[0:1]
	v_lshlrev_b64 v[12:13], 3, v[12:13]
	v_mov_b32_e32 v19, s5
	v_add_co_u32_e32 v12, vcc, s4, v12
	v_addc_co_u32_e32 v13, vcc, v19, v13, vcc
	v_cmp_ge_u32_e32 vcc, v14, v10
	s_waitcnt lgkmcnt(0)
	global_store_dwordx2 v[12:13], v[2:3], off
                                        ; implicit-def: $vgpr12_vgpr13
	s_and_saveexec_b64 s[0:1], vcc
	s_xor_b64 s[0:1], exec, s[0:1]
; %bb.79:
	v_sub_u32_e32 v12, 0xfffffdbf, v0
	v_ashrrev_i32_e32 v13, 31, v12
	v_add_co_u32_e32 v12, vcc, v15, v12
	v_addc_co_u32_e32 v13, vcc, v16, v13, vcc
; %bb.80:
	s_andn2_saveexec_b64 s[0:1], s[0:1]
; %bb.81:
	v_add_co_u32_e32 v12, vcc, v1, v14
	v_addc_co_u32_e32 v13, vcc, 0, v11, vcc
; %bb.82:
	s_or_b64 exec, exec, s[0:1]
	s_mov_b64 s[0:1], -1
	s_branch .LBB2022_109
.LBB2022_83:
	s_mov_b64 s[0:1], 0
                                        ; implicit-def: $vgpr12_vgpr13
	s_cbranch_execz .LBB2022_109
; %bb.84:
	v_cmp_gt_u32_e32 vcc, s33, v0
	s_and_saveexec_b64 s[2:3], vcc
	s_cbranch_execz .LBB2022_92
; %bb.85:
	v_cmp_ge_u32_e32 vcc, v0, v10
                                        ; implicit-def: $vgpr12_vgpr13
	s_and_saveexec_b64 s[6:7], vcc
	s_xor_b64 s[6:7], exec, s[6:7]
; %bb.86:
	v_not_b32_e32 v12, v0
	v_ashrrev_i32_e32 v13, 31, v12
	v_add_co_u32_e32 v12, vcc, v15, v12
	v_addc_co_u32_e32 v13, vcc, v16, v13, vcc
; %bb.87:
	s_andn2_saveexec_b64 s[6:7], s[6:7]
; %bb.88:
	v_add_co_u32_e32 v12, vcc, v1, v0
	v_addc_co_u32_e32 v13, vcc, 0, v11, vcc
; %bb.89:
	s_or_b64 exec, exec, s[6:7]
	v_lshlrev_b64 v[12:13], 3, v[12:13]
	v_mov_b32_e32 v19, s5
	v_add_co_u32_e32 v12, vcc, s4, v12
	v_addc_co_u32_e32 v13, vcc, v19, v13, vcc
	s_waitcnt lgkmcnt(1)
	global_store_dwordx2 v[12:13], v[6:7], off
	s_or_b64 exec, exec, s[2:3]
	v_cmp_gt_u32_e32 vcc, s33, v18
	s_and_saveexec_b64 s[2:3], vcc
	s_cbranch_execnz .LBB2022_93
.LBB2022_90:
	s_or_b64 exec, exec, s[2:3]
	v_cmp_gt_u32_e32 vcc, s33, v17
	s_and_saveexec_b64 s[2:3], vcc
	s_cbranch_execnz .LBB2022_98
.LBB2022_91:
	s_or_b64 exec, exec, s[2:3]
	v_cmp_gt_u32_e32 vcc, s33, v14
                                        ; implicit-def: $vgpr12_vgpr13
	s_and_saveexec_b64 s[2:3], vcc
	s_cbranch_execz .LBB2022_108
	s_branch .LBB2022_103
.LBB2022_92:
	s_or_b64 exec, exec, s[2:3]
	v_cmp_gt_u32_e32 vcc, s33, v18
	s_and_saveexec_b64 s[2:3], vcc
	s_cbranch_execz .LBB2022_90
.LBB2022_93:
	v_cmp_ge_u32_e32 vcc, v18, v10
                                        ; implicit-def: $vgpr6_vgpr7
	s_and_saveexec_b64 s[6:7], vcc
	s_xor_b64 s[6:7], exec, s[6:7]
	s_cbranch_execz .LBB2022_95
; %bb.94:
	s_waitcnt lgkmcnt(1)
	v_sub_u32_e32 v6, 0xffffff3f, v0
	v_ashrrev_i32_e32 v7, 31, v6
	v_add_co_u32_e32 v6, vcc, v15, v6
	v_addc_co_u32_e32 v7, vcc, v16, v7, vcc
                                        ; implicit-def: $vgpr18
.LBB2022_95:
	s_andn2_saveexec_b64 s[6:7], s[6:7]
	s_cbranch_execz .LBB2022_97
; %bb.96:
	s_waitcnt lgkmcnt(1)
	v_add_co_u32_e32 v6, vcc, v1, v18
	v_addc_co_u32_e32 v7, vcc, 0, v11, vcc
.LBB2022_97:
	s_or_b64 exec, exec, s[6:7]
	s_waitcnt lgkmcnt(1)
	v_lshlrev_b64 v[6:7], 3, v[6:7]
	v_mov_b32_e32 v12, s5
	v_add_co_u32_e32 v6, vcc, s4, v6
	v_addc_co_u32_e32 v7, vcc, v12, v7, vcc
	global_store_dwordx2 v[6:7], v[8:9], off
	s_or_b64 exec, exec, s[2:3]
	v_cmp_gt_u32_e32 vcc, s33, v17
	s_and_saveexec_b64 s[2:3], vcc
	s_cbranch_execz .LBB2022_91
.LBB2022_98:
	v_cmp_ge_u32_e32 vcc, v17, v10
                                        ; implicit-def: $vgpr6_vgpr7
	s_and_saveexec_b64 s[6:7], vcc
	s_xor_b64 s[6:7], exec, s[6:7]
	s_cbranch_execz .LBB2022_100
; %bb.99:
	s_waitcnt lgkmcnt(1)
	v_sub_u32_e32 v6, 0xfffffe7f, v0
	v_ashrrev_i32_e32 v7, 31, v6
	v_add_co_u32_e32 v6, vcc, v15, v6
	v_addc_co_u32_e32 v7, vcc, v16, v7, vcc
                                        ; implicit-def: $vgpr17
.LBB2022_100:
	s_andn2_saveexec_b64 s[6:7], s[6:7]
	s_cbranch_execz .LBB2022_102
; %bb.101:
	s_waitcnt lgkmcnt(1)
	v_add_co_u32_e32 v6, vcc, v1, v17
	v_addc_co_u32_e32 v7, vcc, 0, v11, vcc
.LBB2022_102:
	s_or_b64 exec, exec, s[6:7]
	s_waitcnt lgkmcnt(1)
	v_lshlrev_b64 v[6:7], 3, v[6:7]
	v_mov_b32_e32 v8, s5
	v_add_co_u32_e32 v6, vcc, s4, v6
	v_addc_co_u32_e32 v7, vcc, v8, v7, vcc
	s_waitcnt lgkmcnt(0)
	global_store_dwordx2 v[6:7], v[2:3], off
	s_or_b64 exec, exec, s[2:3]
	v_cmp_gt_u32_e32 vcc, s33, v14
                                        ; implicit-def: $vgpr12_vgpr13
	s_and_saveexec_b64 s[2:3], vcc
	s_cbranch_execz .LBB2022_108
.LBB2022_103:
	v_cmp_ge_u32_e32 vcc, v14, v10
                                        ; implicit-def: $vgpr12_vgpr13
	s_and_saveexec_b64 s[6:7], vcc
	s_xor_b64 s[6:7], exec, s[6:7]
	s_cbranch_execz .LBB2022_105
; %bb.104:
	s_waitcnt lgkmcnt(0)
	v_sub_u32_e32 v2, 0xfffffdbf, v0
	v_ashrrev_i32_e32 v3, 31, v2
	v_add_co_u32_e32 v12, vcc, v15, v2
	v_addc_co_u32_e32 v13, vcc, v16, v3, vcc
                                        ; implicit-def: $vgpr14
.LBB2022_105:
	s_andn2_saveexec_b64 s[6:7], s[6:7]
; %bb.106:
	v_add_co_u32_e32 v12, vcc, v1, v14
	v_addc_co_u32_e32 v13, vcc, 0, v11, vcc
; %bb.107:
	s_or_b64 exec, exec, s[6:7]
	s_or_b64 s[0:1], s[0:1], exec
.LBB2022_108:
	s_or_b64 exec, exec, s[2:3]
.LBB2022_109:
	s_and_saveexec_b64 s[2:3], s[0:1]
	s_cbranch_execz .LBB2022_111
; %bb.110:
	s_waitcnt lgkmcnt(0)
	v_lshlrev_b64 v[2:3], 3, v[12:13]
	v_mov_b32_e32 v6, s5
	v_add_co_u32_e32 v2, vcc, s4, v2
	v_addc_co_u32_e32 v3, vcc, v6, v3, vcc
	global_store_dwordx2 v[2:3], v[4:5], off
.LBB2022_111:
	s_or_b64 exec, exec, s[2:3]
	v_cmp_eq_u32_e32 vcc, 0, v0
	s_and_b64 s[0:1], vcc, s[22:23]
	s_and_saveexec_b64 s[2:3], s[0:1]
	s_cbranch_execz .LBB2022_113
; %bb.112:
	v_add_co_u32_e32 v0, vcc, v1, v10
	s_waitcnt lgkmcnt(0)
	v_mov_b32_e32 v2, 0
	v_addc_co_u32_e32 v1, vcc, 0, v11, vcc
	global_store_dwordx2 v2, v[0:1], s[20:21]
.LBB2022_113:
	s_endpgm
	.section	.rodata,"a",@progbits
	.p2align	6, 0x0
	.amdhsa_kernel _ZN7rocprim17ROCPRIM_400000_NS6detail17trampoline_kernelINS0_14default_configENS1_25partition_config_selectorILNS1_17partition_subalgoE2EyNS0_10empty_typeEbEEZZNS1_14partition_implILS5_2ELb0ES3_jN6thrust23THRUST_200600_302600_NS6detail15normal_iteratorINSA_7pointerIyNSA_11hip_rocprim3tagENSA_11use_defaultESG_EEEEPS6_NSA_18transform_iteratorI7is_evenIyENSC_INSA_10device_ptrIyEEEESG_SG_EENS0_5tupleIJPySJ_EEENSR_IJSJ_SJ_EEES6_PlJS6_EEE10hipError_tPvRmT3_T4_T5_T6_T7_T9_mT8_P12ihipStream_tbDpT10_ENKUlT_T0_E_clISt17integral_constantIbLb1EES1E_IbLb0EEEEDaS1A_S1B_EUlS1A_E_NS1_11comp_targetILNS1_3genE4ELNS1_11target_archE910ELNS1_3gpuE8ELNS1_3repE0EEENS1_30default_config_static_selectorELNS0_4arch9wavefront6targetE1EEEvT1_
		.amdhsa_group_segment_fixed_size 6344
		.amdhsa_private_segment_fixed_size 0
		.amdhsa_kernarg_size 128
		.amdhsa_user_sgpr_count 6
		.amdhsa_user_sgpr_private_segment_buffer 1
		.amdhsa_user_sgpr_dispatch_ptr 0
		.amdhsa_user_sgpr_queue_ptr 0
		.amdhsa_user_sgpr_kernarg_segment_ptr 1
		.amdhsa_user_sgpr_dispatch_id 0
		.amdhsa_user_sgpr_flat_scratch_init 0
		.amdhsa_user_sgpr_kernarg_preload_length 0
		.amdhsa_user_sgpr_kernarg_preload_offset 0
		.amdhsa_user_sgpr_private_segment_size 0
		.amdhsa_uses_dynamic_stack 0
		.amdhsa_system_sgpr_private_segment_wavefront_offset 0
		.amdhsa_system_sgpr_workgroup_id_x 1
		.amdhsa_system_sgpr_workgroup_id_y 0
		.amdhsa_system_sgpr_workgroup_id_z 0
		.amdhsa_system_sgpr_workgroup_info 0
		.amdhsa_system_vgpr_workitem_id 0
		.amdhsa_next_free_vgpr 43
		.amdhsa_next_free_sgpr 46
		.amdhsa_accum_offset 44
		.amdhsa_reserve_vcc 1
		.amdhsa_reserve_flat_scratch 0
		.amdhsa_float_round_mode_32 0
		.amdhsa_float_round_mode_16_64 0
		.amdhsa_float_denorm_mode_32 3
		.amdhsa_float_denorm_mode_16_64 3
		.amdhsa_dx10_clamp 1
		.amdhsa_ieee_mode 1
		.amdhsa_fp16_overflow 0
		.amdhsa_tg_split 0
		.amdhsa_exception_fp_ieee_invalid_op 0
		.amdhsa_exception_fp_denorm_src 0
		.amdhsa_exception_fp_ieee_div_zero 0
		.amdhsa_exception_fp_ieee_overflow 0
		.amdhsa_exception_fp_ieee_underflow 0
		.amdhsa_exception_fp_ieee_inexact 0
		.amdhsa_exception_int_div_zero 0
	.end_amdhsa_kernel
	.section	.text._ZN7rocprim17ROCPRIM_400000_NS6detail17trampoline_kernelINS0_14default_configENS1_25partition_config_selectorILNS1_17partition_subalgoE2EyNS0_10empty_typeEbEEZZNS1_14partition_implILS5_2ELb0ES3_jN6thrust23THRUST_200600_302600_NS6detail15normal_iteratorINSA_7pointerIyNSA_11hip_rocprim3tagENSA_11use_defaultESG_EEEEPS6_NSA_18transform_iteratorI7is_evenIyENSC_INSA_10device_ptrIyEEEESG_SG_EENS0_5tupleIJPySJ_EEENSR_IJSJ_SJ_EEES6_PlJS6_EEE10hipError_tPvRmT3_T4_T5_T6_T7_T9_mT8_P12ihipStream_tbDpT10_ENKUlT_T0_E_clISt17integral_constantIbLb1EES1E_IbLb0EEEEDaS1A_S1B_EUlS1A_E_NS1_11comp_targetILNS1_3genE4ELNS1_11target_archE910ELNS1_3gpuE8ELNS1_3repE0EEENS1_30default_config_static_selectorELNS0_4arch9wavefront6targetE1EEEvT1_,"axG",@progbits,_ZN7rocprim17ROCPRIM_400000_NS6detail17trampoline_kernelINS0_14default_configENS1_25partition_config_selectorILNS1_17partition_subalgoE2EyNS0_10empty_typeEbEEZZNS1_14partition_implILS5_2ELb0ES3_jN6thrust23THRUST_200600_302600_NS6detail15normal_iteratorINSA_7pointerIyNSA_11hip_rocprim3tagENSA_11use_defaultESG_EEEEPS6_NSA_18transform_iteratorI7is_evenIyENSC_INSA_10device_ptrIyEEEESG_SG_EENS0_5tupleIJPySJ_EEENSR_IJSJ_SJ_EEES6_PlJS6_EEE10hipError_tPvRmT3_T4_T5_T6_T7_T9_mT8_P12ihipStream_tbDpT10_ENKUlT_T0_E_clISt17integral_constantIbLb1EES1E_IbLb0EEEEDaS1A_S1B_EUlS1A_E_NS1_11comp_targetILNS1_3genE4ELNS1_11target_archE910ELNS1_3gpuE8ELNS1_3repE0EEENS1_30default_config_static_selectorELNS0_4arch9wavefront6targetE1EEEvT1_,comdat
.Lfunc_end2022:
	.size	_ZN7rocprim17ROCPRIM_400000_NS6detail17trampoline_kernelINS0_14default_configENS1_25partition_config_selectorILNS1_17partition_subalgoE2EyNS0_10empty_typeEbEEZZNS1_14partition_implILS5_2ELb0ES3_jN6thrust23THRUST_200600_302600_NS6detail15normal_iteratorINSA_7pointerIyNSA_11hip_rocprim3tagENSA_11use_defaultESG_EEEEPS6_NSA_18transform_iteratorI7is_evenIyENSC_INSA_10device_ptrIyEEEESG_SG_EENS0_5tupleIJPySJ_EEENSR_IJSJ_SJ_EEES6_PlJS6_EEE10hipError_tPvRmT3_T4_T5_T6_T7_T9_mT8_P12ihipStream_tbDpT10_ENKUlT_T0_E_clISt17integral_constantIbLb1EES1E_IbLb0EEEEDaS1A_S1B_EUlS1A_E_NS1_11comp_targetILNS1_3genE4ELNS1_11target_archE910ELNS1_3gpuE8ELNS1_3repE0EEENS1_30default_config_static_selectorELNS0_4arch9wavefront6targetE1EEEvT1_, .Lfunc_end2022-_ZN7rocprim17ROCPRIM_400000_NS6detail17trampoline_kernelINS0_14default_configENS1_25partition_config_selectorILNS1_17partition_subalgoE2EyNS0_10empty_typeEbEEZZNS1_14partition_implILS5_2ELb0ES3_jN6thrust23THRUST_200600_302600_NS6detail15normal_iteratorINSA_7pointerIyNSA_11hip_rocprim3tagENSA_11use_defaultESG_EEEEPS6_NSA_18transform_iteratorI7is_evenIyENSC_INSA_10device_ptrIyEEEESG_SG_EENS0_5tupleIJPySJ_EEENSR_IJSJ_SJ_EEES6_PlJS6_EEE10hipError_tPvRmT3_T4_T5_T6_T7_T9_mT8_P12ihipStream_tbDpT10_ENKUlT_T0_E_clISt17integral_constantIbLb1EES1E_IbLb0EEEEDaS1A_S1B_EUlS1A_E_NS1_11comp_targetILNS1_3genE4ELNS1_11target_archE910ELNS1_3gpuE8ELNS1_3repE0EEENS1_30default_config_static_selectorELNS0_4arch9wavefront6targetE1EEEvT1_
                                        ; -- End function
	.section	.AMDGPU.csdata,"",@progbits
; Kernel info:
; codeLenInByte = 4424
; NumSgprs: 50
; NumVgprs: 43
; NumAgprs: 0
; TotalNumVgprs: 43
; ScratchSize: 0
; MemoryBound: 0
; FloatMode: 240
; IeeeMode: 1
; LDSByteSize: 6344 bytes/workgroup (compile time only)
; SGPRBlocks: 6
; VGPRBlocks: 5
; NumSGPRsForWavesPerEU: 50
; NumVGPRsForWavesPerEU: 43
; AccumOffset: 44
; Occupancy: 8
; WaveLimiterHint : 1
; COMPUTE_PGM_RSRC2:SCRATCH_EN: 0
; COMPUTE_PGM_RSRC2:USER_SGPR: 6
; COMPUTE_PGM_RSRC2:TRAP_HANDLER: 0
; COMPUTE_PGM_RSRC2:TGID_X_EN: 1
; COMPUTE_PGM_RSRC2:TGID_Y_EN: 0
; COMPUTE_PGM_RSRC2:TGID_Z_EN: 0
; COMPUTE_PGM_RSRC2:TIDIG_COMP_CNT: 0
; COMPUTE_PGM_RSRC3_GFX90A:ACCUM_OFFSET: 10
; COMPUTE_PGM_RSRC3_GFX90A:TG_SPLIT: 0
	.section	.text._ZN7rocprim17ROCPRIM_400000_NS6detail17trampoline_kernelINS0_14default_configENS1_25partition_config_selectorILNS1_17partition_subalgoE2EyNS0_10empty_typeEbEEZZNS1_14partition_implILS5_2ELb0ES3_jN6thrust23THRUST_200600_302600_NS6detail15normal_iteratorINSA_7pointerIyNSA_11hip_rocprim3tagENSA_11use_defaultESG_EEEEPS6_NSA_18transform_iteratorI7is_evenIyENSC_INSA_10device_ptrIyEEEESG_SG_EENS0_5tupleIJPySJ_EEENSR_IJSJ_SJ_EEES6_PlJS6_EEE10hipError_tPvRmT3_T4_T5_T6_T7_T9_mT8_P12ihipStream_tbDpT10_ENKUlT_T0_E_clISt17integral_constantIbLb1EES1E_IbLb0EEEEDaS1A_S1B_EUlS1A_E_NS1_11comp_targetILNS1_3genE3ELNS1_11target_archE908ELNS1_3gpuE7ELNS1_3repE0EEENS1_30default_config_static_selectorELNS0_4arch9wavefront6targetE1EEEvT1_,"axG",@progbits,_ZN7rocprim17ROCPRIM_400000_NS6detail17trampoline_kernelINS0_14default_configENS1_25partition_config_selectorILNS1_17partition_subalgoE2EyNS0_10empty_typeEbEEZZNS1_14partition_implILS5_2ELb0ES3_jN6thrust23THRUST_200600_302600_NS6detail15normal_iteratorINSA_7pointerIyNSA_11hip_rocprim3tagENSA_11use_defaultESG_EEEEPS6_NSA_18transform_iteratorI7is_evenIyENSC_INSA_10device_ptrIyEEEESG_SG_EENS0_5tupleIJPySJ_EEENSR_IJSJ_SJ_EEES6_PlJS6_EEE10hipError_tPvRmT3_T4_T5_T6_T7_T9_mT8_P12ihipStream_tbDpT10_ENKUlT_T0_E_clISt17integral_constantIbLb1EES1E_IbLb0EEEEDaS1A_S1B_EUlS1A_E_NS1_11comp_targetILNS1_3genE3ELNS1_11target_archE908ELNS1_3gpuE7ELNS1_3repE0EEENS1_30default_config_static_selectorELNS0_4arch9wavefront6targetE1EEEvT1_,comdat
	.protected	_ZN7rocprim17ROCPRIM_400000_NS6detail17trampoline_kernelINS0_14default_configENS1_25partition_config_selectorILNS1_17partition_subalgoE2EyNS0_10empty_typeEbEEZZNS1_14partition_implILS5_2ELb0ES3_jN6thrust23THRUST_200600_302600_NS6detail15normal_iteratorINSA_7pointerIyNSA_11hip_rocprim3tagENSA_11use_defaultESG_EEEEPS6_NSA_18transform_iteratorI7is_evenIyENSC_INSA_10device_ptrIyEEEESG_SG_EENS0_5tupleIJPySJ_EEENSR_IJSJ_SJ_EEES6_PlJS6_EEE10hipError_tPvRmT3_T4_T5_T6_T7_T9_mT8_P12ihipStream_tbDpT10_ENKUlT_T0_E_clISt17integral_constantIbLb1EES1E_IbLb0EEEEDaS1A_S1B_EUlS1A_E_NS1_11comp_targetILNS1_3genE3ELNS1_11target_archE908ELNS1_3gpuE7ELNS1_3repE0EEENS1_30default_config_static_selectorELNS0_4arch9wavefront6targetE1EEEvT1_ ; -- Begin function _ZN7rocprim17ROCPRIM_400000_NS6detail17trampoline_kernelINS0_14default_configENS1_25partition_config_selectorILNS1_17partition_subalgoE2EyNS0_10empty_typeEbEEZZNS1_14partition_implILS5_2ELb0ES3_jN6thrust23THRUST_200600_302600_NS6detail15normal_iteratorINSA_7pointerIyNSA_11hip_rocprim3tagENSA_11use_defaultESG_EEEEPS6_NSA_18transform_iteratorI7is_evenIyENSC_INSA_10device_ptrIyEEEESG_SG_EENS0_5tupleIJPySJ_EEENSR_IJSJ_SJ_EEES6_PlJS6_EEE10hipError_tPvRmT3_T4_T5_T6_T7_T9_mT8_P12ihipStream_tbDpT10_ENKUlT_T0_E_clISt17integral_constantIbLb1EES1E_IbLb0EEEEDaS1A_S1B_EUlS1A_E_NS1_11comp_targetILNS1_3genE3ELNS1_11target_archE908ELNS1_3gpuE7ELNS1_3repE0EEENS1_30default_config_static_selectorELNS0_4arch9wavefront6targetE1EEEvT1_
	.globl	_ZN7rocprim17ROCPRIM_400000_NS6detail17trampoline_kernelINS0_14default_configENS1_25partition_config_selectorILNS1_17partition_subalgoE2EyNS0_10empty_typeEbEEZZNS1_14partition_implILS5_2ELb0ES3_jN6thrust23THRUST_200600_302600_NS6detail15normal_iteratorINSA_7pointerIyNSA_11hip_rocprim3tagENSA_11use_defaultESG_EEEEPS6_NSA_18transform_iteratorI7is_evenIyENSC_INSA_10device_ptrIyEEEESG_SG_EENS0_5tupleIJPySJ_EEENSR_IJSJ_SJ_EEES6_PlJS6_EEE10hipError_tPvRmT3_T4_T5_T6_T7_T9_mT8_P12ihipStream_tbDpT10_ENKUlT_T0_E_clISt17integral_constantIbLb1EES1E_IbLb0EEEEDaS1A_S1B_EUlS1A_E_NS1_11comp_targetILNS1_3genE3ELNS1_11target_archE908ELNS1_3gpuE7ELNS1_3repE0EEENS1_30default_config_static_selectorELNS0_4arch9wavefront6targetE1EEEvT1_
	.p2align	8
	.type	_ZN7rocprim17ROCPRIM_400000_NS6detail17trampoline_kernelINS0_14default_configENS1_25partition_config_selectorILNS1_17partition_subalgoE2EyNS0_10empty_typeEbEEZZNS1_14partition_implILS5_2ELb0ES3_jN6thrust23THRUST_200600_302600_NS6detail15normal_iteratorINSA_7pointerIyNSA_11hip_rocprim3tagENSA_11use_defaultESG_EEEEPS6_NSA_18transform_iteratorI7is_evenIyENSC_INSA_10device_ptrIyEEEESG_SG_EENS0_5tupleIJPySJ_EEENSR_IJSJ_SJ_EEES6_PlJS6_EEE10hipError_tPvRmT3_T4_T5_T6_T7_T9_mT8_P12ihipStream_tbDpT10_ENKUlT_T0_E_clISt17integral_constantIbLb1EES1E_IbLb0EEEEDaS1A_S1B_EUlS1A_E_NS1_11comp_targetILNS1_3genE3ELNS1_11target_archE908ELNS1_3gpuE7ELNS1_3repE0EEENS1_30default_config_static_selectorELNS0_4arch9wavefront6targetE1EEEvT1_,@function
_ZN7rocprim17ROCPRIM_400000_NS6detail17trampoline_kernelINS0_14default_configENS1_25partition_config_selectorILNS1_17partition_subalgoE2EyNS0_10empty_typeEbEEZZNS1_14partition_implILS5_2ELb0ES3_jN6thrust23THRUST_200600_302600_NS6detail15normal_iteratorINSA_7pointerIyNSA_11hip_rocprim3tagENSA_11use_defaultESG_EEEEPS6_NSA_18transform_iteratorI7is_evenIyENSC_INSA_10device_ptrIyEEEESG_SG_EENS0_5tupleIJPySJ_EEENSR_IJSJ_SJ_EEES6_PlJS6_EEE10hipError_tPvRmT3_T4_T5_T6_T7_T9_mT8_P12ihipStream_tbDpT10_ENKUlT_T0_E_clISt17integral_constantIbLb1EES1E_IbLb0EEEEDaS1A_S1B_EUlS1A_E_NS1_11comp_targetILNS1_3genE3ELNS1_11target_archE908ELNS1_3gpuE7ELNS1_3repE0EEENS1_30default_config_static_selectorELNS0_4arch9wavefront6targetE1EEEvT1_: ; @_ZN7rocprim17ROCPRIM_400000_NS6detail17trampoline_kernelINS0_14default_configENS1_25partition_config_selectorILNS1_17partition_subalgoE2EyNS0_10empty_typeEbEEZZNS1_14partition_implILS5_2ELb0ES3_jN6thrust23THRUST_200600_302600_NS6detail15normal_iteratorINSA_7pointerIyNSA_11hip_rocprim3tagENSA_11use_defaultESG_EEEEPS6_NSA_18transform_iteratorI7is_evenIyENSC_INSA_10device_ptrIyEEEESG_SG_EENS0_5tupleIJPySJ_EEENSR_IJSJ_SJ_EEES6_PlJS6_EEE10hipError_tPvRmT3_T4_T5_T6_T7_T9_mT8_P12ihipStream_tbDpT10_ENKUlT_T0_E_clISt17integral_constantIbLb1EES1E_IbLb0EEEEDaS1A_S1B_EUlS1A_E_NS1_11comp_targetILNS1_3genE3ELNS1_11target_archE908ELNS1_3gpuE7ELNS1_3repE0EEENS1_30default_config_static_selectorELNS0_4arch9wavefront6targetE1EEEvT1_
; %bb.0:
	.section	.rodata,"a",@progbits
	.p2align	6, 0x0
	.amdhsa_kernel _ZN7rocprim17ROCPRIM_400000_NS6detail17trampoline_kernelINS0_14default_configENS1_25partition_config_selectorILNS1_17partition_subalgoE2EyNS0_10empty_typeEbEEZZNS1_14partition_implILS5_2ELb0ES3_jN6thrust23THRUST_200600_302600_NS6detail15normal_iteratorINSA_7pointerIyNSA_11hip_rocprim3tagENSA_11use_defaultESG_EEEEPS6_NSA_18transform_iteratorI7is_evenIyENSC_INSA_10device_ptrIyEEEESG_SG_EENS0_5tupleIJPySJ_EEENSR_IJSJ_SJ_EEES6_PlJS6_EEE10hipError_tPvRmT3_T4_T5_T6_T7_T9_mT8_P12ihipStream_tbDpT10_ENKUlT_T0_E_clISt17integral_constantIbLb1EES1E_IbLb0EEEEDaS1A_S1B_EUlS1A_E_NS1_11comp_targetILNS1_3genE3ELNS1_11target_archE908ELNS1_3gpuE7ELNS1_3repE0EEENS1_30default_config_static_selectorELNS0_4arch9wavefront6targetE1EEEvT1_
		.amdhsa_group_segment_fixed_size 0
		.amdhsa_private_segment_fixed_size 0
		.amdhsa_kernarg_size 128
		.amdhsa_user_sgpr_count 6
		.amdhsa_user_sgpr_private_segment_buffer 1
		.amdhsa_user_sgpr_dispatch_ptr 0
		.amdhsa_user_sgpr_queue_ptr 0
		.amdhsa_user_sgpr_kernarg_segment_ptr 1
		.amdhsa_user_sgpr_dispatch_id 0
		.amdhsa_user_sgpr_flat_scratch_init 0
		.amdhsa_user_sgpr_kernarg_preload_length 0
		.amdhsa_user_sgpr_kernarg_preload_offset 0
		.amdhsa_user_sgpr_private_segment_size 0
		.amdhsa_uses_dynamic_stack 0
		.amdhsa_system_sgpr_private_segment_wavefront_offset 0
		.amdhsa_system_sgpr_workgroup_id_x 1
		.amdhsa_system_sgpr_workgroup_id_y 0
		.amdhsa_system_sgpr_workgroup_id_z 0
		.amdhsa_system_sgpr_workgroup_info 0
		.amdhsa_system_vgpr_workitem_id 0
		.amdhsa_next_free_vgpr 1
		.amdhsa_next_free_sgpr 0
		.amdhsa_accum_offset 4
		.amdhsa_reserve_vcc 0
		.amdhsa_reserve_flat_scratch 0
		.amdhsa_float_round_mode_32 0
		.amdhsa_float_round_mode_16_64 0
		.amdhsa_float_denorm_mode_32 3
		.amdhsa_float_denorm_mode_16_64 3
		.amdhsa_dx10_clamp 1
		.amdhsa_ieee_mode 1
		.amdhsa_fp16_overflow 0
		.amdhsa_tg_split 0
		.amdhsa_exception_fp_ieee_invalid_op 0
		.amdhsa_exception_fp_denorm_src 0
		.amdhsa_exception_fp_ieee_div_zero 0
		.amdhsa_exception_fp_ieee_overflow 0
		.amdhsa_exception_fp_ieee_underflow 0
		.amdhsa_exception_fp_ieee_inexact 0
		.amdhsa_exception_int_div_zero 0
	.end_amdhsa_kernel
	.section	.text._ZN7rocprim17ROCPRIM_400000_NS6detail17trampoline_kernelINS0_14default_configENS1_25partition_config_selectorILNS1_17partition_subalgoE2EyNS0_10empty_typeEbEEZZNS1_14partition_implILS5_2ELb0ES3_jN6thrust23THRUST_200600_302600_NS6detail15normal_iteratorINSA_7pointerIyNSA_11hip_rocprim3tagENSA_11use_defaultESG_EEEEPS6_NSA_18transform_iteratorI7is_evenIyENSC_INSA_10device_ptrIyEEEESG_SG_EENS0_5tupleIJPySJ_EEENSR_IJSJ_SJ_EEES6_PlJS6_EEE10hipError_tPvRmT3_T4_T5_T6_T7_T9_mT8_P12ihipStream_tbDpT10_ENKUlT_T0_E_clISt17integral_constantIbLb1EES1E_IbLb0EEEEDaS1A_S1B_EUlS1A_E_NS1_11comp_targetILNS1_3genE3ELNS1_11target_archE908ELNS1_3gpuE7ELNS1_3repE0EEENS1_30default_config_static_selectorELNS0_4arch9wavefront6targetE1EEEvT1_,"axG",@progbits,_ZN7rocprim17ROCPRIM_400000_NS6detail17trampoline_kernelINS0_14default_configENS1_25partition_config_selectorILNS1_17partition_subalgoE2EyNS0_10empty_typeEbEEZZNS1_14partition_implILS5_2ELb0ES3_jN6thrust23THRUST_200600_302600_NS6detail15normal_iteratorINSA_7pointerIyNSA_11hip_rocprim3tagENSA_11use_defaultESG_EEEEPS6_NSA_18transform_iteratorI7is_evenIyENSC_INSA_10device_ptrIyEEEESG_SG_EENS0_5tupleIJPySJ_EEENSR_IJSJ_SJ_EEES6_PlJS6_EEE10hipError_tPvRmT3_T4_T5_T6_T7_T9_mT8_P12ihipStream_tbDpT10_ENKUlT_T0_E_clISt17integral_constantIbLb1EES1E_IbLb0EEEEDaS1A_S1B_EUlS1A_E_NS1_11comp_targetILNS1_3genE3ELNS1_11target_archE908ELNS1_3gpuE7ELNS1_3repE0EEENS1_30default_config_static_selectorELNS0_4arch9wavefront6targetE1EEEvT1_,comdat
.Lfunc_end2023:
	.size	_ZN7rocprim17ROCPRIM_400000_NS6detail17trampoline_kernelINS0_14default_configENS1_25partition_config_selectorILNS1_17partition_subalgoE2EyNS0_10empty_typeEbEEZZNS1_14partition_implILS5_2ELb0ES3_jN6thrust23THRUST_200600_302600_NS6detail15normal_iteratorINSA_7pointerIyNSA_11hip_rocprim3tagENSA_11use_defaultESG_EEEEPS6_NSA_18transform_iteratorI7is_evenIyENSC_INSA_10device_ptrIyEEEESG_SG_EENS0_5tupleIJPySJ_EEENSR_IJSJ_SJ_EEES6_PlJS6_EEE10hipError_tPvRmT3_T4_T5_T6_T7_T9_mT8_P12ihipStream_tbDpT10_ENKUlT_T0_E_clISt17integral_constantIbLb1EES1E_IbLb0EEEEDaS1A_S1B_EUlS1A_E_NS1_11comp_targetILNS1_3genE3ELNS1_11target_archE908ELNS1_3gpuE7ELNS1_3repE0EEENS1_30default_config_static_selectorELNS0_4arch9wavefront6targetE1EEEvT1_, .Lfunc_end2023-_ZN7rocprim17ROCPRIM_400000_NS6detail17trampoline_kernelINS0_14default_configENS1_25partition_config_selectorILNS1_17partition_subalgoE2EyNS0_10empty_typeEbEEZZNS1_14partition_implILS5_2ELb0ES3_jN6thrust23THRUST_200600_302600_NS6detail15normal_iteratorINSA_7pointerIyNSA_11hip_rocprim3tagENSA_11use_defaultESG_EEEEPS6_NSA_18transform_iteratorI7is_evenIyENSC_INSA_10device_ptrIyEEEESG_SG_EENS0_5tupleIJPySJ_EEENSR_IJSJ_SJ_EEES6_PlJS6_EEE10hipError_tPvRmT3_T4_T5_T6_T7_T9_mT8_P12ihipStream_tbDpT10_ENKUlT_T0_E_clISt17integral_constantIbLb1EES1E_IbLb0EEEEDaS1A_S1B_EUlS1A_E_NS1_11comp_targetILNS1_3genE3ELNS1_11target_archE908ELNS1_3gpuE7ELNS1_3repE0EEENS1_30default_config_static_selectorELNS0_4arch9wavefront6targetE1EEEvT1_
                                        ; -- End function
	.section	.AMDGPU.csdata,"",@progbits
; Kernel info:
; codeLenInByte = 0
; NumSgprs: 4
; NumVgprs: 0
; NumAgprs: 0
; TotalNumVgprs: 0
; ScratchSize: 0
; MemoryBound: 0
; FloatMode: 240
; IeeeMode: 1
; LDSByteSize: 0 bytes/workgroup (compile time only)
; SGPRBlocks: 0
; VGPRBlocks: 0
; NumSGPRsForWavesPerEU: 4
; NumVGPRsForWavesPerEU: 1
; AccumOffset: 4
; Occupancy: 8
; WaveLimiterHint : 0
; COMPUTE_PGM_RSRC2:SCRATCH_EN: 0
; COMPUTE_PGM_RSRC2:USER_SGPR: 6
; COMPUTE_PGM_RSRC2:TRAP_HANDLER: 0
; COMPUTE_PGM_RSRC2:TGID_X_EN: 1
; COMPUTE_PGM_RSRC2:TGID_Y_EN: 0
; COMPUTE_PGM_RSRC2:TGID_Z_EN: 0
; COMPUTE_PGM_RSRC2:TIDIG_COMP_CNT: 0
; COMPUTE_PGM_RSRC3_GFX90A:ACCUM_OFFSET: 0
; COMPUTE_PGM_RSRC3_GFX90A:TG_SPLIT: 0
	.section	.text._ZN7rocprim17ROCPRIM_400000_NS6detail17trampoline_kernelINS0_14default_configENS1_25partition_config_selectorILNS1_17partition_subalgoE2EyNS0_10empty_typeEbEEZZNS1_14partition_implILS5_2ELb0ES3_jN6thrust23THRUST_200600_302600_NS6detail15normal_iteratorINSA_7pointerIyNSA_11hip_rocprim3tagENSA_11use_defaultESG_EEEEPS6_NSA_18transform_iteratorI7is_evenIyENSC_INSA_10device_ptrIyEEEESG_SG_EENS0_5tupleIJPySJ_EEENSR_IJSJ_SJ_EEES6_PlJS6_EEE10hipError_tPvRmT3_T4_T5_T6_T7_T9_mT8_P12ihipStream_tbDpT10_ENKUlT_T0_E_clISt17integral_constantIbLb1EES1E_IbLb0EEEEDaS1A_S1B_EUlS1A_E_NS1_11comp_targetILNS1_3genE2ELNS1_11target_archE906ELNS1_3gpuE6ELNS1_3repE0EEENS1_30default_config_static_selectorELNS0_4arch9wavefront6targetE1EEEvT1_,"axG",@progbits,_ZN7rocprim17ROCPRIM_400000_NS6detail17trampoline_kernelINS0_14default_configENS1_25partition_config_selectorILNS1_17partition_subalgoE2EyNS0_10empty_typeEbEEZZNS1_14partition_implILS5_2ELb0ES3_jN6thrust23THRUST_200600_302600_NS6detail15normal_iteratorINSA_7pointerIyNSA_11hip_rocprim3tagENSA_11use_defaultESG_EEEEPS6_NSA_18transform_iteratorI7is_evenIyENSC_INSA_10device_ptrIyEEEESG_SG_EENS0_5tupleIJPySJ_EEENSR_IJSJ_SJ_EEES6_PlJS6_EEE10hipError_tPvRmT3_T4_T5_T6_T7_T9_mT8_P12ihipStream_tbDpT10_ENKUlT_T0_E_clISt17integral_constantIbLb1EES1E_IbLb0EEEEDaS1A_S1B_EUlS1A_E_NS1_11comp_targetILNS1_3genE2ELNS1_11target_archE906ELNS1_3gpuE6ELNS1_3repE0EEENS1_30default_config_static_selectorELNS0_4arch9wavefront6targetE1EEEvT1_,comdat
	.protected	_ZN7rocprim17ROCPRIM_400000_NS6detail17trampoline_kernelINS0_14default_configENS1_25partition_config_selectorILNS1_17partition_subalgoE2EyNS0_10empty_typeEbEEZZNS1_14partition_implILS5_2ELb0ES3_jN6thrust23THRUST_200600_302600_NS6detail15normal_iteratorINSA_7pointerIyNSA_11hip_rocprim3tagENSA_11use_defaultESG_EEEEPS6_NSA_18transform_iteratorI7is_evenIyENSC_INSA_10device_ptrIyEEEESG_SG_EENS0_5tupleIJPySJ_EEENSR_IJSJ_SJ_EEES6_PlJS6_EEE10hipError_tPvRmT3_T4_T5_T6_T7_T9_mT8_P12ihipStream_tbDpT10_ENKUlT_T0_E_clISt17integral_constantIbLb1EES1E_IbLb0EEEEDaS1A_S1B_EUlS1A_E_NS1_11comp_targetILNS1_3genE2ELNS1_11target_archE906ELNS1_3gpuE6ELNS1_3repE0EEENS1_30default_config_static_selectorELNS0_4arch9wavefront6targetE1EEEvT1_ ; -- Begin function _ZN7rocprim17ROCPRIM_400000_NS6detail17trampoline_kernelINS0_14default_configENS1_25partition_config_selectorILNS1_17partition_subalgoE2EyNS0_10empty_typeEbEEZZNS1_14partition_implILS5_2ELb0ES3_jN6thrust23THRUST_200600_302600_NS6detail15normal_iteratorINSA_7pointerIyNSA_11hip_rocprim3tagENSA_11use_defaultESG_EEEEPS6_NSA_18transform_iteratorI7is_evenIyENSC_INSA_10device_ptrIyEEEESG_SG_EENS0_5tupleIJPySJ_EEENSR_IJSJ_SJ_EEES6_PlJS6_EEE10hipError_tPvRmT3_T4_T5_T6_T7_T9_mT8_P12ihipStream_tbDpT10_ENKUlT_T0_E_clISt17integral_constantIbLb1EES1E_IbLb0EEEEDaS1A_S1B_EUlS1A_E_NS1_11comp_targetILNS1_3genE2ELNS1_11target_archE906ELNS1_3gpuE6ELNS1_3repE0EEENS1_30default_config_static_selectorELNS0_4arch9wavefront6targetE1EEEvT1_
	.globl	_ZN7rocprim17ROCPRIM_400000_NS6detail17trampoline_kernelINS0_14default_configENS1_25partition_config_selectorILNS1_17partition_subalgoE2EyNS0_10empty_typeEbEEZZNS1_14partition_implILS5_2ELb0ES3_jN6thrust23THRUST_200600_302600_NS6detail15normal_iteratorINSA_7pointerIyNSA_11hip_rocprim3tagENSA_11use_defaultESG_EEEEPS6_NSA_18transform_iteratorI7is_evenIyENSC_INSA_10device_ptrIyEEEESG_SG_EENS0_5tupleIJPySJ_EEENSR_IJSJ_SJ_EEES6_PlJS6_EEE10hipError_tPvRmT3_T4_T5_T6_T7_T9_mT8_P12ihipStream_tbDpT10_ENKUlT_T0_E_clISt17integral_constantIbLb1EES1E_IbLb0EEEEDaS1A_S1B_EUlS1A_E_NS1_11comp_targetILNS1_3genE2ELNS1_11target_archE906ELNS1_3gpuE6ELNS1_3repE0EEENS1_30default_config_static_selectorELNS0_4arch9wavefront6targetE1EEEvT1_
	.p2align	8
	.type	_ZN7rocprim17ROCPRIM_400000_NS6detail17trampoline_kernelINS0_14default_configENS1_25partition_config_selectorILNS1_17partition_subalgoE2EyNS0_10empty_typeEbEEZZNS1_14partition_implILS5_2ELb0ES3_jN6thrust23THRUST_200600_302600_NS6detail15normal_iteratorINSA_7pointerIyNSA_11hip_rocprim3tagENSA_11use_defaultESG_EEEEPS6_NSA_18transform_iteratorI7is_evenIyENSC_INSA_10device_ptrIyEEEESG_SG_EENS0_5tupleIJPySJ_EEENSR_IJSJ_SJ_EEES6_PlJS6_EEE10hipError_tPvRmT3_T4_T5_T6_T7_T9_mT8_P12ihipStream_tbDpT10_ENKUlT_T0_E_clISt17integral_constantIbLb1EES1E_IbLb0EEEEDaS1A_S1B_EUlS1A_E_NS1_11comp_targetILNS1_3genE2ELNS1_11target_archE906ELNS1_3gpuE6ELNS1_3repE0EEENS1_30default_config_static_selectorELNS0_4arch9wavefront6targetE1EEEvT1_,@function
_ZN7rocprim17ROCPRIM_400000_NS6detail17trampoline_kernelINS0_14default_configENS1_25partition_config_selectorILNS1_17partition_subalgoE2EyNS0_10empty_typeEbEEZZNS1_14partition_implILS5_2ELb0ES3_jN6thrust23THRUST_200600_302600_NS6detail15normal_iteratorINSA_7pointerIyNSA_11hip_rocprim3tagENSA_11use_defaultESG_EEEEPS6_NSA_18transform_iteratorI7is_evenIyENSC_INSA_10device_ptrIyEEEESG_SG_EENS0_5tupleIJPySJ_EEENSR_IJSJ_SJ_EEES6_PlJS6_EEE10hipError_tPvRmT3_T4_T5_T6_T7_T9_mT8_P12ihipStream_tbDpT10_ENKUlT_T0_E_clISt17integral_constantIbLb1EES1E_IbLb0EEEEDaS1A_S1B_EUlS1A_E_NS1_11comp_targetILNS1_3genE2ELNS1_11target_archE906ELNS1_3gpuE6ELNS1_3repE0EEENS1_30default_config_static_selectorELNS0_4arch9wavefront6targetE1EEEvT1_: ; @_ZN7rocprim17ROCPRIM_400000_NS6detail17trampoline_kernelINS0_14default_configENS1_25partition_config_selectorILNS1_17partition_subalgoE2EyNS0_10empty_typeEbEEZZNS1_14partition_implILS5_2ELb0ES3_jN6thrust23THRUST_200600_302600_NS6detail15normal_iteratorINSA_7pointerIyNSA_11hip_rocprim3tagENSA_11use_defaultESG_EEEEPS6_NSA_18transform_iteratorI7is_evenIyENSC_INSA_10device_ptrIyEEEESG_SG_EENS0_5tupleIJPySJ_EEENSR_IJSJ_SJ_EEES6_PlJS6_EEE10hipError_tPvRmT3_T4_T5_T6_T7_T9_mT8_P12ihipStream_tbDpT10_ENKUlT_T0_E_clISt17integral_constantIbLb1EES1E_IbLb0EEEEDaS1A_S1B_EUlS1A_E_NS1_11comp_targetILNS1_3genE2ELNS1_11target_archE906ELNS1_3gpuE6ELNS1_3repE0EEENS1_30default_config_static_selectorELNS0_4arch9wavefront6targetE1EEEvT1_
; %bb.0:
	.section	.rodata,"a",@progbits
	.p2align	6, 0x0
	.amdhsa_kernel _ZN7rocprim17ROCPRIM_400000_NS6detail17trampoline_kernelINS0_14default_configENS1_25partition_config_selectorILNS1_17partition_subalgoE2EyNS0_10empty_typeEbEEZZNS1_14partition_implILS5_2ELb0ES3_jN6thrust23THRUST_200600_302600_NS6detail15normal_iteratorINSA_7pointerIyNSA_11hip_rocprim3tagENSA_11use_defaultESG_EEEEPS6_NSA_18transform_iteratorI7is_evenIyENSC_INSA_10device_ptrIyEEEESG_SG_EENS0_5tupleIJPySJ_EEENSR_IJSJ_SJ_EEES6_PlJS6_EEE10hipError_tPvRmT3_T4_T5_T6_T7_T9_mT8_P12ihipStream_tbDpT10_ENKUlT_T0_E_clISt17integral_constantIbLb1EES1E_IbLb0EEEEDaS1A_S1B_EUlS1A_E_NS1_11comp_targetILNS1_3genE2ELNS1_11target_archE906ELNS1_3gpuE6ELNS1_3repE0EEENS1_30default_config_static_selectorELNS0_4arch9wavefront6targetE1EEEvT1_
		.amdhsa_group_segment_fixed_size 0
		.amdhsa_private_segment_fixed_size 0
		.amdhsa_kernarg_size 128
		.amdhsa_user_sgpr_count 6
		.amdhsa_user_sgpr_private_segment_buffer 1
		.amdhsa_user_sgpr_dispatch_ptr 0
		.amdhsa_user_sgpr_queue_ptr 0
		.amdhsa_user_sgpr_kernarg_segment_ptr 1
		.amdhsa_user_sgpr_dispatch_id 0
		.amdhsa_user_sgpr_flat_scratch_init 0
		.amdhsa_user_sgpr_kernarg_preload_length 0
		.amdhsa_user_sgpr_kernarg_preload_offset 0
		.amdhsa_user_sgpr_private_segment_size 0
		.amdhsa_uses_dynamic_stack 0
		.amdhsa_system_sgpr_private_segment_wavefront_offset 0
		.amdhsa_system_sgpr_workgroup_id_x 1
		.amdhsa_system_sgpr_workgroup_id_y 0
		.amdhsa_system_sgpr_workgroup_id_z 0
		.amdhsa_system_sgpr_workgroup_info 0
		.amdhsa_system_vgpr_workitem_id 0
		.amdhsa_next_free_vgpr 1
		.amdhsa_next_free_sgpr 0
		.amdhsa_accum_offset 4
		.amdhsa_reserve_vcc 0
		.amdhsa_reserve_flat_scratch 0
		.amdhsa_float_round_mode_32 0
		.amdhsa_float_round_mode_16_64 0
		.amdhsa_float_denorm_mode_32 3
		.amdhsa_float_denorm_mode_16_64 3
		.amdhsa_dx10_clamp 1
		.amdhsa_ieee_mode 1
		.amdhsa_fp16_overflow 0
		.amdhsa_tg_split 0
		.amdhsa_exception_fp_ieee_invalid_op 0
		.amdhsa_exception_fp_denorm_src 0
		.amdhsa_exception_fp_ieee_div_zero 0
		.amdhsa_exception_fp_ieee_overflow 0
		.amdhsa_exception_fp_ieee_underflow 0
		.amdhsa_exception_fp_ieee_inexact 0
		.amdhsa_exception_int_div_zero 0
	.end_amdhsa_kernel
	.section	.text._ZN7rocprim17ROCPRIM_400000_NS6detail17trampoline_kernelINS0_14default_configENS1_25partition_config_selectorILNS1_17partition_subalgoE2EyNS0_10empty_typeEbEEZZNS1_14partition_implILS5_2ELb0ES3_jN6thrust23THRUST_200600_302600_NS6detail15normal_iteratorINSA_7pointerIyNSA_11hip_rocprim3tagENSA_11use_defaultESG_EEEEPS6_NSA_18transform_iteratorI7is_evenIyENSC_INSA_10device_ptrIyEEEESG_SG_EENS0_5tupleIJPySJ_EEENSR_IJSJ_SJ_EEES6_PlJS6_EEE10hipError_tPvRmT3_T4_T5_T6_T7_T9_mT8_P12ihipStream_tbDpT10_ENKUlT_T0_E_clISt17integral_constantIbLb1EES1E_IbLb0EEEEDaS1A_S1B_EUlS1A_E_NS1_11comp_targetILNS1_3genE2ELNS1_11target_archE906ELNS1_3gpuE6ELNS1_3repE0EEENS1_30default_config_static_selectorELNS0_4arch9wavefront6targetE1EEEvT1_,"axG",@progbits,_ZN7rocprim17ROCPRIM_400000_NS6detail17trampoline_kernelINS0_14default_configENS1_25partition_config_selectorILNS1_17partition_subalgoE2EyNS0_10empty_typeEbEEZZNS1_14partition_implILS5_2ELb0ES3_jN6thrust23THRUST_200600_302600_NS6detail15normal_iteratorINSA_7pointerIyNSA_11hip_rocprim3tagENSA_11use_defaultESG_EEEEPS6_NSA_18transform_iteratorI7is_evenIyENSC_INSA_10device_ptrIyEEEESG_SG_EENS0_5tupleIJPySJ_EEENSR_IJSJ_SJ_EEES6_PlJS6_EEE10hipError_tPvRmT3_T4_T5_T6_T7_T9_mT8_P12ihipStream_tbDpT10_ENKUlT_T0_E_clISt17integral_constantIbLb1EES1E_IbLb0EEEEDaS1A_S1B_EUlS1A_E_NS1_11comp_targetILNS1_3genE2ELNS1_11target_archE906ELNS1_3gpuE6ELNS1_3repE0EEENS1_30default_config_static_selectorELNS0_4arch9wavefront6targetE1EEEvT1_,comdat
.Lfunc_end2024:
	.size	_ZN7rocprim17ROCPRIM_400000_NS6detail17trampoline_kernelINS0_14default_configENS1_25partition_config_selectorILNS1_17partition_subalgoE2EyNS0_10empty_typeEbEEZZNS1_14partition_implILS5_2ELb0ES3_jN6thrust23THRUST_200600_302600_NS6detail15normal_iteratorINSA_7pointerIyNSA_11hip_rocprim3tagENSA_11use_defaultESG_EEEEPS6_NSA_18transform_iteratorI7is_evenIyENSC_INSA_10device_ptrIyEEEESG_SG_EENS0_5tupleIJPySJ_EEENSR_IJSJ_SJ_EEES6_PlJS6_EEE10hipError_tPvRmT3_T4_T5_T6_T7_T9_mT8_P12ihipStream_tbDpT10_ENKUlT_T0_E_clISt17integral_constantIbLb1EES1E_IbLb0EEEEDaS1A_S1B_EUlS1A_E_NS1_11comp_targetILNS1_3genE2ELNS1_11target_archE906ELNS1_3gpuE6ELNS1_3repE0EEENS1_30default_config_static_selectorELNS0_4arch9wavefront6targetE1EEEvT1_, .Lfunc_end2024-_ZN7rocprim17ROCPRIM_400000_NS6detail17trampoline_kernelINS0_14default_configENS1_25partition_config_selectorILNS1_17partition_subalgoE2EyNS0_10empty_typeEbEEZZNS1_14partition_implILS5_2ELb0ES3_jN6thrust23THRUST_200600_302600_NS6detail15normal_iteratorINSA_7pointerIyNSA_11hip_rocprim3tagENSA_11use_defaultESG_EEEEPS6_NSA_18transform_iteratorI7is_evenIyENSC_INSA_10device_ptrIyEEEESG_SG_EENS0_5tupleIJPySJ_EEENSR_IJSJ_SJ_EEES6_PlJS6_EEE10hipError_tPvRmT3_T4_T5_T6_T7_T9_mT8_P12ihipStream_tbDpT10_ENKUlT_T0_E_clISt17integral_constantIbLb1EES1E_IbLb0EEEEDaS1A_S1B_EUlS1A_E_NS1_11comp_targetILNS1_3genE2ELNS1_11target_archE906ELNS1_3gpuE6ELNS1_3repE0EEENS1_30default_config_static_selectorELNS0_4arch9wavefront6targetE1EEEvT1_
                                        ; -- End function
	.section	.AMDGPU.csdata,"",@progbits
; Kernel info:
; codeLenInByte = 0
; NumSgprs: 4
; NumVgprs: 0
; NumAgprs: 0
; TotalNumVgprs: 0
; ScratchSize: 0
; MemoryBound: 0
; FloatMode: 240
; IeeeMode: 1
; LDSByteSize: 0 bytes/workgroup (compile time only)
; SGPRBlocks: 0
; VGPRBlocks: 0
; NumSGPRsForWavesPerEU: 4
; NumVGPRsForWavesPerEU: 1
; AccumOffset: 4
; Occupancy: 8
; WaveLimiterHint : 0
; COMPUTE_PGM_RSRC2:SCRATCH_EN: 0
; COMPUTE_PGM_RSRC2:USER_SGPR: 6
; COMPUTE_PGM_RSRC2:TRAP_HANDLER: 0
; COMPUTE_PGM_RSRC2:TGID_X_EN: 1
; COMPUTE_PGM_RSRC2:TGID_Y_EN: 0
; COMPUTE_PGM_RSRC2:TGID_Z_EN: 0
; COMPUTE_PGM_RSRC2:TIDIG_COMP_CNT: 0
; COMPUTE_PGM_RSRC3_GFX90A:ACCUM_OFFSET: 0
; COMPUTE_PGM_RSRC3_GFX90A:TG_SPLIT: 0
	.section	.text._ZN7rocprim17ROCPRIM_400000_NS6detail17trampoline_kernelINS0_14default_configENS1_25partition_config_selectorILNS1_17partition_subalgoE2EyNS0_10empty_typeEbEEZZNS1_14partition_implILS5_2ELb0ES3_jN6thrust23THRUST_200600_302600_NS6detail15normal_iteratorINSA_7pointerIyNSA_11hip_rocprim3tagENSA_11use_defaultESG_EEEEPS6_NSA_18transform_iteratorI7is_evenIyENSC_INSA_10device_ptrIyEEEESG_SG_EENS0_5tupleIJPySJ_EEENSR_IJSJ_SJ_EEES6_PlJS6_EEE10hipError_tPvRmT3_T4_T5_T6_T7_T9_mT8_P12ihipStream_tbDpT10_ENKUlT_T0_E_clISt17integral_constantIbLb1EES1E_IbLb0EEEEDaS1A_S1B_EUlS1A_E_NS1_11comp_targetILNS1_3genE10ELNS1_11target_archE1200ELNS1_3gpuE4ELNS1_3repE0EEENS1_30default_config_static_selectorELNS0_4arch9wavefront6targetE1EEEvT1_,"axG",@progbits,_ZN7rocprim17ROCPRIM_400000_NS6detail17trampoline_kernelINS0_14default_configENS1_25partition_config_selectorILNS1_17partition_subalgoE2EyNS0_10empty_typeEbEEZZNS1_14partition_implILS5_2ELb0ES3_jN6thrust23THRUST_200600_302600_NS6detail15normal_iteratorINSA_7pointerIyNSA_11hip_rocprim3tagENSA_11use_defaultESG_EEEEPS6_NSA_18transform_iteratorI7is_evenIyENSC_INSA_10device_ptrIyEEEESG_SG_EENS0_5tupleIJPySJ_EEENSR_IJSJ_SJ_EEES6_PlJS6_EEE10hipError_tPvRmT3_T4_T5_T6_T7_T9_mT8_P12ihipStream_tbDpT10_ENKUlT_T0_E_clISt17integral_constantIbLb1EES1E_IbLb0EEEEDaS1A_S1B_EUlS1A_E_NS1_11comp_targetILNS1_3genE10ELNS1_11target_archE1200ELNS1_3gpuE4ELNS1_3repE0EEENS1_30default_config_static_selectorELNS0_4arch9wavefront6targetE1EEEvT1_,comdat
	.protected	_ZN7rocprim17ROCPRIM_400000_NS6detail17trampoline_kernelINS0_14default_configENS1_25partition_config_selectorILNS1_17partition_subalgoE2EyNS0_10empty_typeEbEEZZNS1_14partition_implILS5_2ELb0ES3_jN6thrust23THRUST_200600_302600_NS6detail15normal_iteratorINSA_7pointerIyNSA_11hip_rocprim3tagENSA_11use_defaultESG_EEEEPS6_NSA_18transform_iteratorI7is_evenIyENSC_INSA_10device_ptrIyEEEESG_SG_EENS0_5tupleIJPySJ_EEENSR_IJSJ_SJ_EEES6_PlJS6_EEE10hipError_tPvRmT3_T4_T5_T6_T7_T9_mT8_P12ihipStream_tbDpT10_ENKUlT_T0_E_clISt17integral_constantIbLb1EES1E_IbLb0EEEEDaS1A_S1B_EUlS1A_E_NS1_11comp_targetILNS1_3genE10ELNS1_11target_archE1200ELNS1_3gpuE4ELNS1_3repE0EEENS1_30default_config_static_selectorELNS0_4arch9wavefront6targetE1EEEvT1_ ; -- Begin function _ZN7rocprim17ROCPRIM_400000_NS6detail17trampoline_kernelINS0_14default_configENS1_25partition_config_selectorILNS1_17partition_subalgoE2EyNS0_10empty_typeEbEEZZNS1_14partition_implILS5_2ELb0ES3_jN6thrust23THRUST_200600_302600_NS6detail15normal_iteratorINSA_7pointerIyNSA_11hip_rocprim3tagENSA_11use_defaultESG_EEEEPS6_NSA_18transform_iteratorI7is_evenIyENSC_INSA_10device_ptrIyEEEESG_SG_EENS0_5tupleIJPySJ_EEENSR_IJSJ_SJ_EEES6_PlJS6_EEE10hipError_tPvRmT3_T4_T5_T6_T7_T9_mT8_P12ihipStream_tbDpT10_ENKUlT_T0_E_clISt17integral_constantIbLb1EES1E_IbLb0EEEEDaS1A_S1B_EUlS1A_E_NS1_11comp_targetILNS1_3genE10ELNS1_11target_archE1200ELNS1_3gpuE4ELNS1_3repE0EEENS1_30default_config_static_selectorELNS0_4arch9wavefront6targetE1EEEvT1_
	.globl	_ZN7rocprim17ROCPRIM_400000_NS6detail17trampoline_kernelINS0_14default_configENS1_25partition_config_selectorILNS1_17partition_subalgoE2EyNS0_10empty_typeEbEEZZNS1_14partition_implILS5_2ELb0ES3_jN6thrust23THRUST_200600_302600_NS6detail15normal_iteratorINSA_7pointerIyNSA_11hip_rocprim3tagENSA_11use_defaultESG_EEEEPS6_NSA_18transform_iteratorI7is_evenIyENSC_INSA_10device_ptrIyEEEESG_SG_EENS0_5tupleIJPySJ_EEENSR_IJSJ_SJ_EEES6_PlJS6_EEE10hipError_tPvRmT3_T4_T5_T6_T7_T9_mT8_P12ihipStream_tbDpT10_ENKUlT_T0_E_clISt17integral_constantIbLb1EES1E_IbLb0EEEEDaS1A_S1B_EUlS1A_E_NS1_11comp_targetILNS1_3genE10ELNS1_11target_archE1200ELNS1_3gpuE4ELNS1_3repE0EEENS1_30default_config_static_selectorELNS0_4arch9wavefront6targetE1EEEvT1_
	.p2align	8
	.type	_ZN7rocprim17ROCPRIM_400000_NS6detail17trampoline_kernelINS0_14default_configENS1_25partition_config_selectorILNS1_17partition_subalgoE2EyNS0_10empty_typeEbEEZZNS1_14partition_implILS5_2ELb0ES3_jN6thrust23THRUST_200600_302600_NS6detail15normal_iteratorINSA_7pointerIyNSA_11hip_rocprim3tagENSA_11use_defaultESG_EEEEPS6_NSA_18transform_iteratorI7is_evenIyENSC_INSA_10device_ptrIyEEEESG_SG_EENS0_5tupleIJPySJ_EEENSR_IJSJ_SJ_EEES6_PlJS6_EEE10hipError_tPvRmT3_T4_T5_T6_T7_T9_mT8_P12ihipStream_tbDpT10_ENKUlT_T0_E_clISt17integral_constantIbLb1EES1E_IbLb0EEEEDaS1A_S1B_EUlS1A_E_NS1_11comp_targetILNS1_3genE10ELNS1_11target_archE1200ELNS1_3gpuE4ELNS1_3repE0EEENS1_30default_config_static_selectorELNS0_4arch9wavefront6targetE1EEEvT1_,@function
_ZN7rocprim17ROCPRIM_400000_NS6detail17trampoline_kernelINS0_14default_configENS1_25partition_config_selectorILNS1_17partition_subalgoE2EyNS0_10empty_typeEbEEZZNS1_14partition_implILS5_2ELb0ES3_jN6thrust23THRUST_200600_302600_NS6detail15normal_iteratorINSA_7pointerIyNSA_11hip_rocprim3tagENSA_11use_defaultESG_EEEEPS6_NSA_18transform_iteratorI7is_evenIyENSC_INSA_10device_ptrIyEEEESG_SG_EENS0_5tupleIJPySJ_EEENSR_IJSJ_SJ_EEES6_PlJS6_EEE10hipError_tPvRmT3_T4_T5_T6_T7_T9_mT8_P12ihipStream_tbDpT10_ENKUlT_T0_E_clISt17integral_constantIbLb1EES1E_IbLb0EEEEDaS1A_S1B_EUlS1A_E_NS1_11comp_targetILNS1_3genE10ELNS1_11target_archE1200ELNS1_3gpuE4ELNS1_3repE0EEENS1_30default_config_static_selectorELNS0_4arch9wavefront6targetE1EEEvT1_: ; @_ZN7rocprim17ROCPRIM_400000_NS6detail17trampoline_kernelINS0_14default_configENS1_25partition_config_selectorILNS1_17partition_subalgoE2EyNS0_10empty_typeEbEEZZNS1_14partition_implILS5_2ELb0ES3_jN6thrust23THRUST_200600_302600_NS6detail15normal_iteratorINSA_7pointerIyNSA_11hip_rocprim3tagENSA_11use_defaultESG_EEEEPS6_NSA_18transform_iteratorI7is_evenIyENSC_INSA_10device_ptrIyEEEESG_SG_EENS0_5tupleIJPySJ_EEENSR_IJSJ_SJ_EEES6_PlJS6_EEE10hipError_tPvRmT3_T4_T5_T6_T7_T9_mT8_P12ihipStream_tbDpT10_ENKUlT_T0_E_clISt17integral_constantIbLb1EES1E_IbLb0EEEEDaS1A_S1B_EUlS1A_E_NS1_11comp_targetILNS1_3genE10ELNS1_11target_archE1200ELNS1_3gpuE4ELNS1_3repE0EEENS1_30default_config_static_selectorELNS0_4arch9wavefront6targetE1EEEvT1_
; %bb.0:
	.section	.rodata,"a",@progbits
	.p2align	6, 0x0
	.amdhsa_kernel _ZN7rocprim17ROCPRIM_400000_NS6detail17trampoline_kernelINS0_14default_configENS1_25partition_config_selectorILNS1_17partition_subalgoE2EyNS0_10empty_typeEbEEZZNS1_14partition_implILS5_2ELb0ES3_jN6thrust23THRUST_200600_302600_NS6detail15normal_iteratorINSA_7pointerIyNSA_11hip_rocprim3tagENSA_11use_defaultESG_EEEEPS6_NSA_18transform_iteratorI7is_evenIyENSC_INSA_10device_ptrIyEEEESG_SG_EENS0_5tupleIJPySJ_EEENSR_IJSJ_SJ_EEES6_PlJS6_EEE10hipError_tPvRmT3_T4_T5_T6_T7_T9_mT8_P12ihipStream_tbDpT10_ENKUlT_T0_E_clISt17integral_constantIbLb1EES1E_IbLb0EEEEDaS1A_S1B_EUlS1A_E_NS1_11comp_targetILNS1_3genE10ELNS1_11target_archE1200ELNS1_3gpuE4ELNS1_3repE0EEENS1_30default_config_static_selectorELNS0_4arch9wavefront6targetE1EEEvT1_
		.amdhsa_group_segment_fixed_size 0
		.amdhsa_private_segment_fixed_size 0
		.amdhsa_kernarg_size 128
		.amdhsa_user_sgpr_count 6
		.amdhsa_user_sgpr_private_segment_buffer 1
		.amdhsa_user_sgpr_dispatch_ptr 0
		.amdhsa_user_sgpr_queue_ptr 0
		.amdhsa_user_sgpr_kernarg_segment_ptr 1
		.amdhsa_user_sgpr_dispatch_id 0
		.amdhsa_user_sgpr_flat_scratch_init 0
		.amdhsa_user_sgpr_kernarg_preload_length 0
		.amdhsa_user_sgpr_kernarg_preload_offset 0
		.amdhsa_user_sgpr_private_segment_size 0
		.amdhsa_uses_dynamic_stack 0
		.amdhsa_system_sgpr_private_segment_wavefront_offset 0
		.amdhsa_system_sgpr_workgroup_id_x 1
		.amdhsa_system_sgpr_workgroup_id_y 0
		.amdhsa_system_sgpr_workgroup_id_z 0
		.amdhsa_system_sgpr_workgroup_info 0
		.amdhsa_system_vgpr_workitem_id 0
		.amdhsa_next_free_vgpr 1
		.amdhsa_next_free_sgpr 0
		.amdhsa_accum_offset 4
		.amdhsa_reserve_vcc 0
		.amdhsa_reserve_flat_scratch 0
		.amdhsa_float_round_mode_32 0
		.amdhsa_float_round_mode_16_64 0
		.amdhsa_float_denorm_mode_32 3
		.amdhsa_float_denorm_mode_16_64 3
		.amdhsa_dx10_clamp 1
		.amdhsa_ieee_mode 1
		.amdhsa_fp16_overflow 0
		.amdhsa_tg_split 0
		.amdhsa_exception_fp_ieee_invalid_op 0
		.amdhsa_exception_fp_denorm_src 0
		.amdhsa_exception_fp_ieee_div_zero 0
		.amdhsa_exception_fp_ieee_overflow 0
		.amdhsa_exception_fp_ieee_underflow 0
		.amdhsa_exception_fp_ieee_inexact 0
		.amdhsa_exception_int_div_zero 0
	.end_amdhsa_kernel
	.section	.text._ZN7rocprim17ROCPRIM_400000_NS6detail17trampoline_kernelINS0_14default_configENS1_25partition_config_selectorILNS1_17partition_subalgoE2EyNS0_10empty_typeEbEEZZNS1_14partition_implILS5_2ELb0ES3_jN6thrust23THRUST_200600_302600_NS6detail15normal_iteratorINSA_7pointerIyNSA_11hip_rocprim3tagENSA_11use_defaultESG_EEEEPS6_NSA_18transform_iteratorI7is_evenIyENSC_INSA_10device_ptrIyEEEESG_SG_EENS0_5tupleIJPySJ_EEENSR_IJSJ_SJ_EEES6_PlJS6_EEE10hipError_tPvRmT3_T4_T5_T6_T7_T9_mT8_P12ihipStream_tbDpT10_ENKUlT_T0_E_clISt17integral_constantIbLb1EES1E_IbLb0EEEEDaS1A_S1B_EUlS1A_E_NS1_11comp_targetILNS1_3genE10ELNS1_11target_archE1200ELNS1_3gpuE4ELNS1_3repE0EEENS1_30default_config_static_selectorELNS0_4arch9wavefront6targetE1EEEvT1_,"axG",@progbits,_ZN7rocprim17ROCPRIM_400000_NS6detail17trampoline_kernelINS0_14default_configENS1_25partition_config_selectorILNS1_17partition_subalgoE2EyNS0_10empty_typeEbEEZZNS1_14partition_implILS5_2ELb0ES3_jN6thrust23THRUST_200600_302600_NS6detail15normal_iteratorINSA_7pointerIyNSA_11hip_rocprim3tagENSA_11use_defaultESG_EEEEPS6_NSA_18transform_iteratorI7is_evenIyENSC_INSA_10device_ptrIyEEEESG_SG_EENS0_5tupleIJPySJ_EEENSR_IJSJ_SJ_EEES6_PlJS6_EEE10hipError_tPvRmT3_T4_T5_T6_T7_T9_mT8_P12ihipStream_tbDpT10_ENKUlT_T0_E_clISt17integral_constantIbLb1EES1E_IbLb0EEEEDaS1A_S1B_EUlS1A_E_NS1_11comp_targetILNS1_3genE10ELNS1_11target_archE1200ELNS1_3gpuE4ELNS1_3repE0EEENS1_30default_config_static_selectorELNS0_4arch9wavefront6targetE1EEEvT1_,comdat
.Lfunc_end2025:
	.size	_ZN7rocprim17ROCPRIM_400000_NS6detail17trampoline_kernelINS0_14default_configENS1_25partition_config_selectorILNS1_17partition_subalgoE2EyNS0_10empty_typeEbEEZZNS1_14partition_implILS5_2ELb0ES3_jN6thrust23THRUST_200600_302600_NS6detail15normal_iteratorINSA_7pointerIyNSA_11hip_rocprim3tagENSA_11use_defaultESG_EEEEPS6_NSA_18transform_iteratorI7is_evenIyENSC_INSA_10device_ptrIyEEEESG_SG_EENS0_5tupleIJPySJ_EEENSR_IJSJ_SJ_EEES6_PlJS6_EEE10hipError_tPvRmT3_T4_T5_T6_T7_T9_mT8_P12ihipStream_tbDpT10_ENKUlT_T0_E_clISt17integral_constantIbLb1EES1E_IbLb0EEEEDaS1A_S1B_EUlS1A_E_NS1_11comp_targetILNS1_3genE10ELNS1_11target_archE1200ELNS1_3gpuE4ELNS1_3repE0EEENS1_30default_config_static_selectorELNS0_4arch9wavefront6targetE1EEEvT1_, .Lfunc_end2025-_ZN7rocprim17ROCPRIM_400000_NS6detail17trampoline_kernelINS0_14default_configENS1_25partition_config_selectorILNS1_17partition_subalgoE2EyNS0_10empty_typeEbEEZZNS1_14partition_implILS5_2ELb0ES3_jN6thrust23THRUST_200600_302600_NS6detail15normal_iteratorINSA_7pointerIyNSA_11hip_rocprim3tagENSA_11use_defaultESG_EEEEPS6_NSA_18transform_iteratorI7is_evenIyENSC_INSA_10device_ptrIyEEEESG_SG_EENS0_5tupleIJPySJ_EEENSR_IJSJ_SJ_EEES6_PlJS6_EEE10hipError_tPvRmT3_T4_T5_T6_T7_T9_mT8_P12ihipStream_tbDpT10_ENKUlT_T0_E_clISt17integral_constantIbLb1EES1E_IbLb0EEEEDaS1A_S1B_EUlS1A_E_NS1_11comp_targetILNS1_3genE10ELNS1_11target_archE1200ELNS1_3gpuE4ELNS1_3repE0EEENS1_30default_config_static_selectorELNS0_4arch9wavefront6targetE1EEEvT1_
                                        ; -- End function
	.section	.AMDGPU.csdata,"",@progbits
; Kernel info:
; codeLenInByte = 0
; NumSgprs: 4
; NumVgprs: 0
; NumAgprs: 0
; TotalNumVgprs: 0
; ScratchSize: 0
; MemoryBound: 0
; FloatMode: 240
; IeeeMode: 1
; LDSByteSize: 0 bytes/workgroup (compile time only)
; SGPRBlocks: 0
; VGPRBlocks: 0
; NumSGPRsForWavesPerEU: 4
; NumVGPRsForWavesPerEU: 1
; AccumOffset: 4
; Occupancy: 8
; WaveLimiterHint : 0
; COMPUTE_PGM_RSRC2:SCRATCH_EN: 0
; COMPUTE_PGM_RSRC2:USER_SGPR: 6
; COMPUTE_PGM_RSRC2:TRAP_HANDLER: 0
; COMPUTE_PGM_RSRC2:TGID_X_EN: 1
; COMPUTE_PGM_RSRC2:TGID_Y_EN: 0
; COMPUTE_PGM_RSRC2:TGID_Z_EN: 0
; COMPUTE_PGM_RSRC2:TIDIG_COMP_CNT: 0
; COMPUTE_PGM_RSRC3_GFX90A:ACCUM_OFFSET: 0
; COMPUTE_PGM_RSRC3_GFX90A:TG_SPLIT: 0
	.section	.text._ZN7rocprim17ROCPRIM_400000_NS6detail17trampoline_kernelINS0_14default_configENS1_25partition_config_selectorILNS1_17partition_subalgoE2EyNS0_10empty_typeEbEEZZNS1_14partition_implILS5_2ELb0ES3_jN6thrust23THRUST_200600_302600_NS6detail15normal_iteratorINSA_7pointerIyNSA_11hip_rocprim3tagENSA_11use_defaultESG_EEEEPS6_NSA_18transform_iteratorI7is_evenIyENSC_INSA_10device_ptrIyEEEESG_SG_EENS0_5tupleIJPySJ_EEENSR_IJSJ_SJ_EEES6_PlJS6_EEE10hipError_tPvRmT3_T4_T5_T6_T7_T9_mT8_P12ihipStream_tbDpT10_ENKUlT_T0_E_clISt17integral_constantIbLb1EES1E_IbLb0EEEEDaS1A_S1B_EUlS1A_E_NS1_11comp_targetILNS1_3genE9ELNS1_11target_archE1100ELNS1_3gpuE3ELNS1_3repE0EEENS1_30default_config_static_selectorELNS0_4arch9wavefront6targetE1EEEvT1_,"axG",@progbits,_ZN7rocprim17ROCPRIM_400000_NS6detail17trampoline_kernelINS0_14default_configENS1_25partition_config_selectorILNS1_17partition_subalgoE2EyNS0_10empty_typeEbEEZZNS1_14partition_implILS5_2ELb0ES3_jN6thrust23THRUST_200600_302600_NS6detail15normal_iteratorINSA_7pointerIyNSA_11hip_rocprim3tagENSA_11use_defaultESG_EEEEPS6_NSA_18transform_iteratorI7is_evenIyENSC_INSA_10device_ptrIyEEEESG_SG_EENS0_5tupleIJPySJ_EEENSR_IJSJ_SJ_EEES6_PlJS6_EEE10hipError_tPvRmT3_T4_T5_T6_T7_T9_mT8_P12ihipStream_tbDpT10_ENKUlT_T0_E_clISt17integral_constantIbLb1EES1E_IbLb0EEEEDaS1A_S1B_EUlS1A_E_NS1_11comp_targetILNS1_3genE9ELNS1_11target_archE1100ELNS1_3gpuE3ELNS1_3repE0EEENS1_30default_config_static_selectorELNS0_4arch9wavefront6targetE1EEEvT1_,comdat
	.protected	_ZN7rocprim17ROCPRIM_400000_NS6detail17trampoline_kernelINS0_14default_configENS1_25partition_config_selectorILNS1_17partition_subalgoE2EyNS0_10empty_typeEbEEZZNS1_14partition_implILS5_2ELb0ES3_jN6thrust23THRUST_200600_302600_NS6detail15normal_iteratorINSA_7pointerIyNSA_11hip_rocprim3tagENSA_11use_defaultESG_EEEEPS6_NSA_18transform_iteratorI7is_evenIyENSC_INSA_10device_ptrIyEEEESG_SG_EENS0_5tupleIJPySJ_EEENSR_IJSJ_SJ_EEES6_PlJS6_EEE10hipError_tPvRmT3_T4_T5_T6_T7_T9_mT8_P12ihipStream_tbDpT10_ENKUlT_T0_E_clISt17integral_constantIbLb1EES1E_IbLb0EEEEDaS1A_S1B_EUlS1A_E_NS1_11comp_targetILNS1_3genE9ELNS1_11target_archE1100ELNS1_3gpuE3ELNS1_3repE0EEENS1_30default_config_static_selectorELNS0_4arch9wavefront6targetE1EEEvT1_ ; -- Begin function _ZN7rocprim17ROCPRIM_400000_NS6detail17trampoline_kernelINS0_14default_configENS1_25partition_config_selectorILNS1_17partition_subalgoE2EyNS0_10empty_typeEbEEZZNS1_14partition_implILS5_2ELb0ES3_jN6thrust23THRUST_200600_302600_NS6detail15normal_iteratorINSA_7pointerIyNSA_11hip_rocprim3tagENSA_11use_defaultESG_EEEEPS6_NSA_18transform_iteratorI7is_evenIyENSC_INSA_10device_ptrIyEEEESG_SG_EENS0_5tupleIJPySJ_EEENSR_IJSJ_SJ_EEES6_PlJS6_EEE10hipError_tPvRmT3_T4_T5_T6_T7_T9_mT8_P12ihipStream_tbDpT10_ENKUlT_T0_E_clISt17integral_constantIbLb1EES1E_IbLb0EEEEDaS1A_S1B_EUlS1A_E_NS1_11comp_targetILNS1_3genE9ELNS1_11target_archE1100ELNS1_3gpuE3ELNS1_3repE0EEENS1_30default_config_static_selectorELNS0_4arch9wavefront6targetE1EEEvT1_
	.globl	_ZN7rocprim17ROCPRIM_400000_NS6detail17trampoline_kernelINS0_14default_configENS1_25partition_config_selectorILNS1_17partition_subalgoE2EyNS0_10empty_typeEbEEZZNS1_14partition_implILS5_2ELb0ES3_jN6thrust23THRUST_200600_302600_NS6detail15normal_iteratorINSA_7pointerIyNSA_11hip_rocprim3tagENSA_11use_defaultESG_EEEEPS6_NSA_18transform_iteratorI7is_evenIyENSC_INSA_10device_ptrIyEEEESG_SG_EENS0_5tupleIJPySJ_EEENSR_IJSJ_SJ_EEES6_PlJS6_EEE10hipError_tPvRmT3_T4_T5_T6_T7_T9_mT8_P12ihipStream_tbDpT10_ENKUlT_T0_E_clISt17integral_constantIbLb1EES1E_IbLb0EEEEDaS1A_S1B_EUlS1A_E_NS1_11comp_targetILNS1_3genE9ELNS1_11target_archE1100ELNS1_3gpuE3ELNS1_3repE0EEENS1_30default_config_static_selectorELNS0_4arch9wavefront6targetE1EEEvT1_
	.p2align	8
	.type	_ZN7rocprim17ROCPRIM_400000_NS6detail17trampoline_kernelINS0_14default_configENS1_25partition_config_selectorILNS1_17partition_subalgoE2EyNS0_10empty_typeEbEEZZNS1_14partition_implILS5_2ELb0ES3_jN6thrust23THRUST_200600_302600_NS6detail15normal_iteratorINSA_7pointerIyNSA_11hip_rocprim3tagENSA_11use_defaultESG_EEEEPS6_NSA_18transform_iteratorI7is_evenIyENSC_INSA_10device_ptrIyEEEESG_SG_EENS0_5tupleIJPySJ_EEENSR_IJSJ_SJ_EEES6_PlJS6_EEE10hipError_tPvRmT3_T4_T5_T6_T7_T9_mT8_P12ihipStream_tbDpT10_ENKUlT_T0_E_clISt17integral_constantIbLb1EES1E_IbLb0EEEEDaS1A_S1B_EUlS1A_E_NS1_11comp_targetILNS1_3genE9ELNS1_11target_archE1100ELNS1_3gpuE3ELNS1_3repE0EEENS1_30default_config_static_selectorELNS0_4arch9wavefront6targetE1EEEvT1_,@function
_ZN7rocprim17ROCPRIM_400000_NS6detail17trampoline_kernelINS0_14default_configENS1_25partition_config_selectorILNS1_17partition_subalgoE2EyNS0_10empty_typeEbEEZZNS1_14partition_implILS5_2ELb0ES3_jN6thrust23THRUST_200600_302600_NS6detail15normal_iteratorINSA_7pointerIyNSA_11hip_rocprim3tagENSA_11use_defaultESG_EEEEPS6_NSA_18transform_iteratorI7is_evenIyENSC_INSA_10device_ptrIyEEEESG_SG_EENS0_5tupleIJPySJ_EEENSR_IJSJ_SJ_EEES6_PlJS6_EEE10hipError_tPvRmT3_T4_T5_T6_T7_T9_mT8_P12ihipStream_tbDpT10_ENKUlT_T0_E_clISt17integral_constantIbLb1EES1E_IbLb0EEEEDaS1A_S1B_EUlS1A_E_NS1_11comp_targetILNS1_3genE9ELNS1_11target_archE1100ELNS1_3gpuE3ELNS1_3repE0EEENS1_30default_config_static_selectorELNS0_4arch9wavefront6targetE1EEEvT1_: ; @_ZN7rocprim17ROCPRIM_400000_NS6detail17trampoline_kernelINS0_14default_configENS1_25partition_config_selectorILNS1_17partition_subalgoE2EyNS0_10empty_typeEbEEZZNS1_14partition_implILS5_2ELb0ES3_jN6thrust23THRUST_200600_302600_NS6detail15normal_iteratorINSA_7pointerIyNSA_11hip_rocprim3tagENSA_11use_defaultESG_EEEEPS6_NSA_18transform_iteratorI7is_evenIyENSC_INSA_10device_ptrIyEEEESG_SG_EENS0_5tupleIJPySJ_EEENSR_IJSJ_SJ_EEES6_PlJS6_EEE10hipError_tPvRmT3_T4_T5_T6_T7_T9_mT8_P12ihipStream_tbDpT10_ENKUlT_T0_E_clISt17integral_constantIbLb1EES1E_IbLb0EEEEDaS1A_S1B_EUlS1A_E_NS1_11comp_targetILNS1_3genE9ELNS1_11target_archE1100ELNS1_3gpuE3ELNS1_3repE0EEENS1_30default_config_static_selectorELNS0_4arch9wavefront6targetE1EEEvT1_
; %bb.0:
	.section	.rodata,"a",@progbits
	.p2align	6, 0x0
	.amdhsa_kernel _ZN7rocprim17ROCPRIM_400000_NS6detail17trampoline_kernelINS0_14default_configENS1_25partition_config_selectorILNS1_17partition_subalgoE2EyNS0_10empty_typeEbEEZZNS1_14partition_implILS5_2ELb0ES3_jN6thrust23THRUST_200600_302600_NS6detail15normal_iteratorINSA_7pointerIyNSA_11hip_rocprim3tagENSA_11use_defaultESG_EEEEPS6_NSA_18transform_iteratorI7is_evenIyENSC_INSA_10device_ptrIyEEEESG_SG_EENS0_5tupleIJPySJ_EEENSR_IJSJ_SJ_EEES6_PlJS6_EEE10hipError_tPvRmT3_T4_T5_T6_T7_T9_mT8_P12ihipStream_tbDpT10_ENKUlT_T0_E_clISt17integral_constantIbLb1EES1E_IbLb0EEEEDaS1A_S1B_EUlS1A_E_NS1_11comp_targetILNS1_3genE9ELNS1_11target_archE1100ELNS1_3gpuE3ELNS1_3repE0EEENS1_30default_config_static_selectorELNS0_4arch9wavefront6targetE1EEEvT1_
		.amdhsa_group_segment_fixed_size 0
		.amdhsa_private_segment_fixed_size 0
		.amdhsa_kernarg_size 128
		.amdhsa_user_sgpr_count 6
		.amdhsa_user_sgpr_private_segment_buffer 1
		.amdhsa_user_sgpr_dispatch_ptr 0
		.amdhsa_user_sgpr_queue_ptr 0
		.amdhsa_user_sgpr_kernarg_segment_ptr 1
		.amdhsa_user_sgpr_dispatch_id 0
		.amdhsa_user_sgpr_flat_scratch_init 0
		.amdhsa_user_sgpr_kernarg_preload_length 0
		.amdhsa_user_sgpr_kernarg_preload_offset 0
		.amdhsa_user_sgpr_private_segment_size 0
		.amdhsa_uses_dynamic_stack 0
		.amdhsa_system_sgpr_private_segment_wavefront_offset 0
		.amdhsa_system_sgpr_workgroup_id_x 1
		.amdhsa_system_sgpr_workgroup_id_y 0
		.amdhsa_system_sgpr_workgroup_id_z 0
		.amdhsa_system_sgpr_workgroup_info 0
		.amdhsa_system_vgpr_workitem_id 0
		.amdhsa_next_free_vgpr 1
		.amdhsa_next_free_sgpr 0
		.amdhsa_accum_offset 4
		.amdhsa_reserve_vcc 0
		.amdhsa_reserve_flat_scratch 0
		.amdhsa_float_round_mode_32 0
		.amdhsa_float_round_mode_16_64 0
		.amdhsa_float_denorm_mode_32 3
		.amdhsa_float_denorm_mode_16_64 3
		.amdhsa_dx10_clamp 1
		.amdhsa_ieee_mode 1
		.amdhsa_fp16_overflow 0
		.amdhsa_tg_split 0
		.amdhsa_exception_fp_ieee_invalid_op 0
		.amdhsa_exception_fp_denorm_src 0
		.amdhsa_exception_fp_ieee_div_zero 0
		.amdhsa_exception_fp_ieee_overflow 0
		.amdhsa_exception_fp_ieee_underflow 0
		.amdhsa_exception_fp_ieee_inexact 0
		.amdhsa_exception_int_div_zero 0
	.end_amdhsa_kernel
	.section	.text._ZN7rocprim17ROCPRIM_400000_NS6detail17trampoline_kernelINS0_14default_configENS1_25partition_config_selectorILNS1_17partition_subalgoE2EyNS0_10empty_typeEbEEZZNS1_14partition_implILS5_2ELb0ES3_jN6thrust23THRUST_200600_302600_NS6detail15normal_iteratorINSA_7pointerIyNSA_11hip_rocprim3tagENSA_11use_defaultESG_EEEEPS6_NSA_18transform_iteratorI7is_evenIyENSC_INSA_10device_ptrIyEEEESG_SG_EENS0_5tupleIJPySJ_EEENSR_IJSJ_SJ_EEES6_PlJS6_EEE10hipError_tPvRmT3_T4_T5_T6_T7_T9_mT8_P12ihipStream_tbDpT10_ENKUlT_T0_E_clISt17integral_constantIbLb1EES1E_IbLb0EEEEDaS1A_S1B_EUlS1A_E_NS1_11comp_targetILNS1_3genE9ELNS1_11target_archE1100ELNS1_3gpuE3ELNS1_3repE0EEENS1_30default_config_static_selectorELNS0_4arch9wavefront6targetE1EEEvT1_,"axG",@progbits,_ZN7rocprim17ROCPRIM_400000_NS6detail17trampoline_kernelINS0_14default_configENS1_25partition_config_selectorILNS1_17partition_subalgoE2EyNS0_10empty_typeEbEEZZNS1_14partition_implILS5_2ELb0ES3_jN6thrust23THRUST_200600_302600_NS6detail15normal_iteratorINSA_7pointerIyNSA_11hip_rocprim3tagENSA_11use_defaultESG_EEEEPS6_NSA_18transform_iteratorI7is_evenIyENSC_INSA_10device_ptrIyEEEESG_SG_EENS0_5tupleIJPySJ_EEENSR_IJSJ_SJ_EEES6_PlJS6_EEE10hipError_tPvRmT3_T4_T5_T6_T7_T9_mT8_P12ihipStream_tbDpT10_ENKUlT_T0_E_clISt17integral_constantIbLb1EES1E_IbLb0EEEEDaS1A_S1B_EUlS1A_E_NS1_11comp_targetILNS1_3genE9ELNS1_11target_archE1100ELNS1_3gpuE3ELNS1_3repE0EEENS1_30default_config_static_selectorELNS0_4arch9wavefront6targetE1EEEvT1_,comdat
.Lfunc_end2026:
	.size	_ZN7rocprim17ROCPRIM_400000_NS6detail17trampoline_kernelINS0_14default_configENS1_25partition_config_selectorILNS1_17partition_subalgoE2EyNS0_10empty_typeEbEEZZNS1_14partition_implILS5_2ELb0ES3_jN6thrust23THRUST_200600_302600_NS6detail15normal_iteratorINSA_7pointerIyNSA_11hip_rocprim3tagENSA_11use_defaultESG_EEEEPS6_NSA_18transform_iteratorI7is_evenIyENSC_INSA_10device_ptrIyEEEESG_SG_EENS0_5tupleIJPySJ_EEENSR_IJSJ_SJ_EEES6_PlJS6_EEE10hipError_tPvRmT3_T4_T5_T6_T7_T9_mT8_P12ihipStream_tbDpT10_ENKUlT_T0_E_clISt17integral_constantIbLb1EES1E_IbLb0EEEEDaS1A_S1B_EUlS1A_E_NS1_11comp_targetILNS1_3genE9ELNS1_11target_archE1100ELNS1_3gpuE3ELNS1_3repE0EEENS1_30default_config_static_selectorELNS0_4arch9wavefront6targetE1EEEvT1_, .Lfunc_end2026-_ZN7rocprim17ROCPRIM_400000_NS6detail17trampoline_kernelINS0_14default_configENS1_25partition_config_selectorILNS1_17partition_subalgoE2EyNS0_10empty_typeEbEEZZNS1_14partition_implILS5_2ELb0ES3_jN6thrust23THRUST_200600_302600_NS6detail15normal_iteratorINSA_7pointerIyNSA_11hip_rocprim3tagENSA_11use_defaultESG_EEEEPS6_NSA_18transform_iteratorI7is_evenIyENSC_INSA_10device_ptrIyEEEESG_SG_EENS0_5tupleIJPySJ_EEENSR_IJSJ_SJ_EEES6_PlJS6_EEE10hipError_tPvRmT3_T4_T5_T6_T7_T9_mT8_P12ihipStream_tbDpT10_ENKUlT_T0_E_clISt17integral_constantIbLb1EES1E_IbLb0EEEEDaS1A_S1B_EUlS1A_E_NS1_11comp_targetILNS1_3genE9ELNS1_11target_archE1100ELNS1_3gpuE3ELNS1_3repE0EEENS1_30default_config_static_selectorELNS0_4arch9wavefront6targetE1EEEvT1_
                                        ; -- End function
	.section	.AMDGPU.csdata,"",@progbits
; Kernel info:
; codeLenInByte = 0
; NumSgprs: 4
; NumVgprs: 0
; NumAgprs: 0
; TotalNumVgprs: 0
; ScratchSize: 0
; MemoryBound: 0
; FloatMode: 240
; IeeeMode: 1
; LDSByteSize: 0 bytes/workgroup (compile time only)
; SGPRBlocks: 0
; VGPRBlocks: 0
; NumSGPRsForWavesPerEU: 4
; NumVGPRsForWavesPerEU: 1
; AccumOffset: 4
; Occupancy: 8
; WaveLimiterHint : 0
; COMPUTE_PGM_RSRC2:SCRATCH_EN: 0
; COMPUTE_PGM_RSRC2:USER_SGPR: 6
; COMPUTE_PGM_RSRC2:TRAP_HANDLER: 0
; COMPUTE_PGM_RSRC2:TGID_X_EN: 1
; COMPUTE_PGM_RSRC2:TGID_Y_EN: 0
; COMPUTE_PGM_RSRC2:TGID_Z_EN: 0
; COMPUTE_PGM_RSRC2:TIDIG_COMP_CNT: 0
; COMPUTE_PGM_RSRC3_GFX90A:ACCUM_OFFSET: 0
; COMPUTE_PGM_RSRC3_GFX90A:TG_SPLIT: 0
	.section	.text._ZN7rocprim17ROCPRIM_400000_NS6detail17trampoline_kernelINS0_14default_configENS1_25partition_config_selectorILNS1_17partition_subalgoE2EyNS0_10empty_typeEbEEZZNS1_14partition_implILS5_2ELb0ES3_jN6thrust23THRUST_200600_302600_NS6detail15normal_iteratorINSA_7pointerIyNSA_11hip_rocprim3tagENSA_11use_defaultESG_EEEEPS6_NSA_18transform_iteratorI7is_evenIyENSC_INSA_10device_ptrIyEEEESG_SG_EENS0_5tupleIJPySJ_EEENSR_IJSJ_SJ_EEES6_PlJS6_EEE10hipError_tPvRmT3_T4_T5_T6_T7_T9_mT8_P12ihipStream_tbDpT10_ENKUlT_T0_E_clISt17integral_constantIbLb1EES1E_IbLb0EEEEDaS1A_S1B_EUlS1A_E_NS1_11comp_targetILNS1_3genE8ELNS1_11target_archE1030ELNS1_3gpuE2ELNS1_3repE0EEENS1_30default_config_static_selectorELNS0_4arch9wavefront6targetE1EEEvT1_,"axG",@progbits,_ZN7rocprim17ROCPRIM_400000_NS6detail17trampoline_kernelINS0_14default_configENS1_25partition_config_selectorILNS1_17partition_subalgoE2EyNS0_10empty_typeEbEEZZNS1_14partition_implILS5_2ELb0ES3_jN6thrust23THRUST_200600_302600_NS6detail15normal_iteratorINSA_7pointerIyNSA_11hip_rocprim3tagENSA_11use_defaultESG_EEEEPS6_NSA_18transform_iteratorI7is_evenIyENSC_INSA_10device_ptrIyEEEESG_SG_EENS0_5tupleIJPySJ_EEENSR_IJSJ_SJ_EEES6_PlJS6_EEE10hipError_tPvRmT3_T4_T5_T6_T7_T9_mT8_P12ihipStream_tbDpT10_ENKUlT_T0_E_clISt17integral_constantIbLb1EES1E_IbLb0EEEEDaS1A_S1B_EUlS1A_E_NS1_11comp_targetILNS1_3genE8ELNS1_11target_archE1030ELNS1_3gpuE2ELNS1_3repE0EEENS1_30default_config_static_selectorELNS0_4arch9wavefront6targetE1EEEvT1_,comdat
	.protected	_ZN7rocprim17ROCPRIM_400000_NS6detail17trampoline_kernelINS0_14default_configENS1_25partition_config_selectorILNS1_17partition_subalgoE2EyNS0_10empty_typeEbEEZZNS1_14partition_implILS5_2ELb0ES3_jN6thrust23THRUST_200600_302600_NS6detail15normal_iteratorINSA_7pointerIyNSA_11hip_rocprim3tagENSA_11use_defaultESG_EEEEPS6_NSA_18transform_iteratorI7is_evenIyENSC_INSA_10device_ptrIyEEEESG_SG_EENS0_5tupleIJPySJ_EEENSR_IJSJ_SJ_EEES6_PlJS6_EEE10hipError_tPvRmT3_T4_T5_T6_T7_T9_mT8_P12ihipStream_tbDpT10_ENKUlT_T0_E_clISt17integral_constantIbLb1EES1E_IbLb0EEEEDaS1A_S1B_EUlS1A_E_NS1_11comp_targetILNS1_3genE8ELNS1_11target_archE1030ELNS1_3gpuE2ELNS1_3repE0EEENS1_30default_config_static_selectorELNS0_4arch9wavefront6targetE1EEEvT1_ ; -- Begin function _ZN7rocprim17ROCPRIM_400000_NS6detail17trampoline_kernelINS0_14default_configENS1_25partition_config_selectorILNS1_17partition_subalgoE2EyNS0_10empty_typeEbEEZZNS1_14partition_implILS5_2ELb0ES3_jN6thrust23THRUST_200600_302600_NS6detail15normal_iteratorINSA_7pointerIyNSA_11hip_rocprim3tagENSA_11use_defaultESG_EEEEPS6_NSA_18transform_iteratorI7is_evenIyENSC_INSA_10device_ptrIyEEEESG_SG_EENS0_5tupleIJPySJ_EEENSR_IJSJ_SJ_EEES6_PlJS6_EEE10hipError_tPvRmT3_T4_T5_T6_T7_T9_mT8_P12ihipStream_tbDpT10_ENKUlT_T0_E_clISt17integral_constantIbLb1EES1E_IbLb0EEEEDaS1A_S1B_EUlS1A_E_NS1_11comp_targetILNS1_3genE8ELNS1_11target_archE1030ELNS1_3gpuE2ELNS1_3repE0EEENS1_30default_config_static_selectorELNS0_4arch9wavefront6targetE1EEEvT1_
	.globl	_ZN7rocprim17ROCPRIM_400000_NS6detail17trampoline_kernelINS0_14default_configENS1_25partition_config_selectorILNS1_17partition_subalgoE2EyNS0_10empty_typeEbEEZZNS1_14partition_implILS5_2ELb0ES3_jN6thrust23THRUST_200600_302600_NS6detail15normal_iteratorINSA_7pointerIyNSA_11hip_rocprim3tagENSA_11use_defaultESG_EEEEPS6_NSA_18transform_iteratorI7is_evenIyENSC_INSA_10device_ptrIyEEEESG_SG_EENS0_5tupleIJPySJ_EEENSR_IJSJ_SJ_EEES6_PlJS6_EEE10hipError_tPvRmT3_T4_T5_T6_T7_T9_mT8_P12ihipStream_tbDpT10_ENKUlT_T0_E_clISt17integral_constantIbLb1EES1E_IbLb0EEEEDaS1A_S1B_EUlS1A_E_NS1_11comp_targetILNS1_3genE8ELNS1_11target_archE1030ELNS1_3gpuE2ELNS1_3repE0EEENS1_30default_config_static_selectorELNS0_4arch9wavefront6targetE1EEEvT1_
	.p2align	8
	.type	_ZN7rocprim17ROCPRIM_400000_NS6detail17trampoline_kernelINS0_14default_configENS1_25partition_config_selectorILNS1_17partition_subalgoE2EyNS0_10empty_typeEbEEZZNS1_14partition_implILS5_2ELb0ES3_jN6thrust23THRUST_200600_302600_NS6detail15normal_iteratorINSA_7pointerIyNSA_11hip_rocprim3tagENSA_11use_defaultESG_EEEEPS6_NSA_18transform_iteratorI7is_evenIyENSC_INSA_10device_ptrIyEEEESG_SG_EENS0_5tupleIJPySJ_EEENSR_IJSJ_SJ_EEES6_PlJS6_EEE10hipError_tPvRmT3_T4_T5_T6_T7_T9_mT8_P12ihipStream_tbDpT10_ENKUlT_T0_E_clISt17integral_constantIbLb1EES1E_IbLb0EEEEDaS1A_S1B_EUlS1A_E_NS1_11comp_targetILNS1_3genE8ELNS1_11target_archE1030ELNS1_3gpuE2ELNS1_3repE0EEENS1_30default_config_static_selectorELNS0_4arch9wavefront6targetE1EEEvT1_,@function
_ZN7rocprim17ROCPRIM_400000_NS6detail17trampoline_kernelINS0_14default_configENS1_25partition_config_selectorILNS1_17partition_subalgoE2EyNS0_10empty_typeEbEEZZNS1_14partition_implILS5_2ELb0ES3_jN6thrust23THRUST_200600_302600_NS6detail15normal_iteratorINSA_7pointerIyNSA_11hip_rocprim3tagENSA_11use_defaultESG_EEEEPS6_NSA_18transform_iteratorI7is_evenIyENSC_INSA_10device_ptrIyEEEESG_SG_EENS0_5tupleIJPySJ_EEENSR_IJSJ_SJ_EEES6_PlJS6_EEE10hipError_tPvRmT3_T4_T5_T6_T7_T9_mT8_P12ihipStream_tbDpT10_ENKUlT_T0_E_clISt17integral_constantIbLb1EES1E_IbLb0EEEEDaS1A_S1B_EUlS1A_E_NS1_11comp_targetILNS1_3genE8ELNS1_11target_archE1030ELNS1_3gpuE2ELNS1_3repE0EEENS1_30default_config_static_selectorELNS0_4arch9wavefront6targetE1EEEvT1_: ; @_ZN7rocprim17ROCPRIM_400000_NS6detail17trampoline_kernelINS0_14default_configENS1_25partition_config_selectorILNS1_17partition_subalgoE2EyNS0_10empty_typeEbEEZZNS1_14partition_implILS5_2ELb0ES3_jN6thrust23THRUST_200600_302600_NS6detail15normal_iteratorINSA_7pointerIyNSA_11hip_rocprim3tagENSA_11use_defaultESG_EEEEPS6_NSA_18transform_iteratorI7is_evenIyENSC_INSA_10device_ptrIyEEEESG_SG_EENS0_5tupleIJPySJ_EEENSR_IJSJ_SJ_EEES6_PlJS6_EEE10hipError_tPvRmT3_T4_T5_T6_T7_T9_mT8_P12ihipStream_tbDpT10_ENKUlT_T0_E_clISt17integral_constantIbLb1EES1E_IbLb0EEEEDaS1A_S1B_EUlS1A_E_NS1_11comp_targetILNS1_3genE8ELNS1_11target_archE1030ELNS1_3gpuE2ELNS1_3repE0EEENS1_30default_config_static_selectorELNS0_4arch9wavefront6targetE1EEEvT1_
; %bb.0:
	.section	.rodata,"a",@progbits
	.p2align	6, 0x0
	.amdhsa_kernel _ZN7rocprim17ROCPRIM_400000_NS6detail17trampoline_kernelINS0_14default_configENS1_25partition_config_selectorILNS1_17partition_subalgoE2EyNS0_10empty_typeEbEEZZNS1_14partition_implILS5_2ELb0ES3_jN6thrust23THRUST_200600_302600_NS6detail15normal_iteratorINSA_7pointerIyNSA_11hip_rocprim3tagENSA_11use_defaultESG_EEEEPS6_NSA_18transform_iteratorI7is_evenIyENSC_INSA_10device_ptrIyEEEESG_SG_EENS0_5tupleIJPySJ_EEENSR_IJSJ_SJ_EEES6_PlJS6_EEE10hipError_tPvRmT3_T4_T5_T6_T7_T9_mT8_P12ihipStream_tbDpT10_ENKUlT_T0_E_clISt17integral_constantIbLb1EES1E_IbLb0EEEEDaS1A_S1B_EUlS1A_E_NS1_11comp_targetILNS1_3genE8ELNS1_11target_archE1030ELNS1_3gpuE2ELNS1_3repE0EEENS1_30default_config_static_selectorELNS0_4arch9wavefront6targetE1EEEvT1_
		.amdhsa_group_segment_fixed_size 0
		.amdhsa_private_segment_fixed_size 0
		.amdhsa_kernarg_size 128
		.amdhsa_user_sgpr_count 6
		.amdhsa_user_sgpr_private_segment_buffer 1
		.amdhsa_user_sgpr_dispatch_ptr 0
		.amdhsa_user_sgpr_queue_ptr 0
		.amdhsa_user_sgpr_kernarg_segment_ptr 1
		.amdhsa_user_sgpr_dispatch_id 0
		.amdhsa_user_sgpr_flat_scratch_init 0
		.amdhsa_user_sgpr_kernarg_preload_length 0
		.amdhsa_user_sgpr_kernarg_preload_offset 0
		.amdhsa_user_sgpr_private_segment_size 0
		.amdhsa_uses_dynamic_stack 0
		.amdhsa_system_sgpr_private_segment_wavefront_offset 0
		.amdhsa_system_sgpr_workgroup_id_x 1
		.amdhsa_system_sgpr_workgroup_id_y 0
		.amdhsa_system_sgpr_workgroup_id_z 0
		.amdhsa_system_sgpr_workgroup_info 0
		.amdhsa_system_vgpr_workitem_id 0
		.amdhsa_next_free_vgpr 1
		.amdhsa_next_free_sgpr 0
		.amdhsa_accum_offset 4
		.amdhsa_reserve_vcc 0
		.amdhsa_reserve_flat_scratch 0
		.amdhsa_float_round_mode_32 0
		.amdhsa_float_round_mode_16_64 0
		.amdhsa_float_denorm_mode_32 3
		.amdhsa_float_denorm_mode_16_64 3
		.amdhsa_dx10_clamp 1
		.amdhsa_ieee_mode 1
		.amdhsa_fp16_overflow 0
		.amdhsa_tg_split 0
		.amdhsa_exception_fp_ieee_invalid_op 0
		.amdhsa_exception_fp_denorm_src 0
		.amdhsa_exception_fp_ieee_div_zero 0
		.amdhsa_exception_fp_ieee_overflow 0
		.amdhsa_exception_fp_ieee_underflow 0
		.amdhsa_exception_fp_ieee_inexact 0
		.amdhsa_exception_int_div_zero 0
	.end_amdhsa_kernel
	.section	.text._ZN7rocprim17ROCPRIM_400000_NS6detail17trampoline_kernelINS0_14default_configENS1_25partition_config_selectorILNS1_17partition_subalgoE2EyNS0_10empty_typeEbEEZZNS1_14partition_implILS5_2ELb0ES3_jN6thrust23THRUST_200600_302600_NS6detail15normal_iteratorINSA_7pointerIyNSA_11hip_rocprim3tagENSA_11use_defaultESG_EEEEPS6_NSA_18transform_iteratorI7is_evenIyENSC_INSA_10device_ptrIyEEEESG_SG_EENS0_5tupleIJPySJ_EEENSR_IJSJ_SJ_EEES6_PlJS6_EEE10hipError_tPvRmT3_T4_T5_T6_T7_T9_mT8_P12ihipStream_tbDpT10_ENKUlT_T0_E_clISt17integral_constantIbLb1EES1E_IbLb0EEEEDaS1A_S1B_EUlS1A_E_NS1_11comp_targetILNS1_3genE8ELNS1_11target_archE1030ELNS1_3gpuE2ELNS1_3repE0EEENS1_30default_config_static_selectorELNS0_4arch9wavefront6targetE1EEEvT1_,"axG",@progbits,_ZN7rocprim17ROCPRIM_400000_NS6detail17trampoline_kernelINS0_14default_configENS1_25partition_config_selectorILNS1_17partition_subalgoE2EyNS0_10empty_typeEbEEZZNS1_14partition_implILS5_2ELb0ES3_jN6thrust23THRUST_200600_302600_NS6detail15normal_iteratorINSA_7pointerIyNSA_11hip_rocprim3tagENSA_11use_defaultESG_EEEEPS6_NSA_18transform_iteratorI7is_evenIyENSC_INSA_10device_ptrIyEEEESG_SG_EENS0_5tupleIJPySJ_EEENSR_IJSJ_SJ_EEES6_PlJS6_EEE10hipError_tPvRmT3_T4_T5_T6_T7_T9_mT8_P12ihipStream_tbDpT10_ENKUlT_T0_E_clISt17integral_constantIbLb1EES1E_IbLb0EEEEDaS1A_S1B_EUlS1A_E_NS1_11comp_targetILNS1_3genE8ELNS1_11target_archE1030ELNS1_3gpuE2ELNS1_3repE0EEENS1_30default_config_static_selectorELNS0_4arch9wavefront6targetE1EEEvT1_,comdat
.Lfunc_end2027:
	.size	_ZN7rocprim17ROCPRIM_400000_NS6detail17trampoline_kernelINS0_14default_configENS1_25partition_config_selectorILNS1_17partition_subalgoE2EyNS0_10empty_typeEbEEZZNS1_14partition_implILS5_2ELb0ES3_jN6thrust23THRUST_200600_302600_NS6detail15normal_iteratorINSA_7pointerIyNSA_11hip_rocprim3tagENSA_11use_defaultESG_EEEEPS6_NSA_18transform_iteratorI7is_evenIyENSC_INSA_10device_ptrIyEEEESG_SG_EENS0_5tupleIJPySJ_EEENSR_IJSJ_SJ_EEES6_PlJS6_EEE10hipError_tPvRmT3_T4_T5_T6_T7_T9_mT8_P12ihipStream_tbDpT10_ENKUlT_T0_E_clISt17integral_constantIbLb1EES1E_IbLb0EEEEDaS1A_S1B_EUlS1A_E_NS1_11comp_targetILNS1_3genE8ELNS1_11target_archE1030ELNS1_3gpuE2ELNS1_3repE0EEENS1_30default_config_static_selectorELNS0_4arch9wavefront6targetE1EEEvT1_, .Lfunc_end2027-_ZN7rocprim17ROCPRIM_400000_NS6detail17trampoline_kernelINS0_14default_configENS1_25partition_config_selectorILNS1_17partition_subalgoE2EyNS0_10empty_typeEbEEZZNS1_14partition_implILS5_2ELb0ES3_jN6thrust23THRUST_200600_302600_NS6detail15normal_iteratorINSA_7pointerIyNSA_11hip_rocprim3tagENSA_11use_defaultESG_EEEEPS6_NSA_18transform_iteratorI7is_evenIyENSC_INSA_10device_ptrIyEEEESG_SG_EENS0_5tupleIJPySJ_EEENSR_IJSJ_SJ_EEES6_PlJS6_EEE10hipError_tPvRmT3_T4_T5_T6_T7_T9_mT8_P12ihipStream_tbDpT10_ENKUlT_T0_E_clISt17integral_constantIbLb1EES1E_IbLb0EEEEDaS1A_S1B_EUlS1A_E_NS1_11comp_targetILNS1_3genE8ELNS1_11target_archE1030ELNS1_3gpuE2ELNS1_3repE0EEENS1_30default_config_static_selectorELNS0_4arch9wavefront6targetE1EEEvT1_
                                        ; -- End function
	.section	.AMDGPU.csdata,"",@progbits
; Kernel info:
; codeLenInByte = 0
; NumSgprs: 4
; NumVgprs: 0
; NumAgprs: 0
; TotalNumVgprs: 0
; ScratchSize: 0
; MemoryBound: 0
; FloatMode: 240
; IeeeMode: 1
; LDSByteSize: 0 bytes/workgroup (compile time only)
; SGPRBlocks: 0
; VGPRBlocks: 0
; NumSGPRsForWavesPerEU: 4
; NumVGPRsForWavesPerEU: 1
; AccumOffset: 4
; Occupancy: 8
; WaveLimiterHint : 0
; COMPUTE_PGM_RSRC2:SCRATCH_EN: 0
; COMPUTE_PGM_RSRC2:USER_SGPR: 6
; COMPUTE_PGM_RSRC2:TRAP_HANDLER: 0
; COMPUTE_PGM_RSRC2:TGID_X_EN: 1
; COMPUTE_PGM_RSRC2:TGID_Y_EN: 0
; COMPUTE_PGM_RSRC2:TGID_Z_EN: 0
; COMPUTE_PGM_RSRC2:TIDIG_COMP_CNT: 0
; COMPUTE_PGM_RSRC3_GFX90A:ACCUM_OFFSET: 0
; COMPUTE_PGM_RSRC3_GFX90A:TG_SPLIT: 0
	.section	.text._ZN7rocprim17ROCPRIM_400000_NS6detail17trampoline_kernelINS0_14default_configENS1_25partition_config_selectorILNS1_17partition_subalgoE2EyNS0_10empty_typeEbEEZZNS1_14partition_implILS5_2ELb0ES3_jN6thrust23THRUST_200600_302600_NS6detail15normal_iteratorINSA_7pointerIyNSA_11hip_rocprim3tagENSA_11use_defaultESG_EEEEPS6_NSA_18transform_iteratorI7is_evenIyENSC_INSA_10device_ptrIyEEEESG_SG_EENS0_5tupleIJPySJ_EEENSR_IJSJ_SJ_EEES6_PlJS6_EEE10hipError_tPvRmT3_T4_T5_T6_T7_T9_mT8_P12ihipStream_tbDpT10_ENKUlT_T0_E_clISt17integral_constantIbLb0EES1E_IbLb1EEEEDaS1A_S1B_EUlS1A_E_NS1_11comp_targetILNS1_3genE0ELNS1_11target_archE4294967295ELNS1_3gpuE0ELNS1_3repE0EEENS1_30default_config_static_selectorELNS0_4arch9wavefront6targetE1EEEvT1_,"axG",@progbits,_ZN7rocprim17ROCPRIM_400000_NS6detail17trampoline_kernelINS0_14default_configENS1_25partition_config_selectorILNS1_17partition_subalgoE2EyNS0_10empty_typeEbEEZZNS1_14partition_implILS5_2ELb0ES3_jN6thrust23THRUST_200600_302600_NS6detail15normal_iteratorINSA_7pointerIyNSA_11hip_rocprim3tagENSA_11use_defaultESG_EEEEPS6_NSA_18transform_iteratorI7is_evenIyENSC_INSA_10device_ptrIyEEEESG_SG_EENS0_5tupleIJPySJ_EEENSR_IJSJ_SJ_EEES6_PlJS6_EEE10hipError_tPvRmT3_T4_T5_T6_T7_T9_mT8_P12ihipStream_tbDpT10_ENKUlT_T0_E_clISt17integral_constantIbLb0EES1E_IbLb1EEEEDaS1A_S1B_EUlS1A_E_NS1_11comp_targetILNS1_3genE0ELNS1_11target_archE4294967295ELNS1_3gpuE0ELNS1_3repE0EEENS1_30default_config_static_selectorELNS0_4arch9wavefront6targetE1EEEvT1_,comdat
	.protected	_ZN7rocprim17ROCPRIM_400000_NS6detail17trampoline_kernelINS0_14default_configENS1_25partition_config_selectorILNS1_17partition_subalgoE2EyNS0_10empty_typeEbEEZZNS1_14partition_implILS5_2ELb0ES3_jN6thrust23THRUST_200600_302600_NS6detail15normal_iteratorINSA_7pointerIyNSA_11hip_rocprim3tagENSA_11use_defaultESG_EEEEPS6_NSA_18transform_iteratorI7is_evenIyENSC_INSA_10device_ptrIyEEEESG_SG_EENS0_5tupleIJPySJ_EEENSR_IJSJ_SJ_EEES6_PlJS6_EEE10hipError_tPvRmT3_T4_T5_T6_T7_T9_mT8_P12ihipStream_tbDpT10_ENKUlT_T0_E_clISt17integral_constantIbLb0EES1E_IbLb1EEEEDaS1A_S1B_EUlS1A_E_NS1_11comp_targetILNS1_3genE0ELNS1_11target_archE4294967295ELNS1_3gpuE0ELNS1_3repE0EEENS1_30default_config_static_selectorELNS0_4arch9wavefront6targetE1EEEvT1_ ; -- Begin function _ZN7rocprim17ROCPRIM_400000_NS6detail17trampoline_kernelINS0_14default_configENS1_25partition_config_selectorILNS1_17partition_subalgoE2EyNS0_10empty_typeEbEEZZNS1_14partition_implILS5_2ELb0ES3_jN6thrust23THRUST_200600_302600_NS6detail15normal_iteratorINSA_7pointerIyNSA_11hip_rocprim3tagENSA_11use_defaultESG_EEEEPS6_NSA_18transform_iteratorI7is_evenIyENSC_INSA_10device_ptrIyEEEESG_SG_EENS0_5tupleIJPySJ_EEENSR_IJSJ_SJ_EEES6_PlJS6_EEE10hipError_tPvRmT3_T4_T5_T6_T7_T9_mT8_P12ihipStream_tbDpT10_ENKUlT_T0_E_clISt17integral_constantIbLb0EES1E_IbLb1EEEEDaS1A_S1B_EUlS1A_E_NS1_11comp_targetILNS1_3genE0ELNS1_11target_archE4294967295ELNS1_3gpuE0ELNS1_3repE0EEENS1_30default_config_static_selectorELNS0_4arch9wavefront6targetE1EEEvT1_
	.globl	_ZN7rocprim17ROCPRIM_400000_NS6detail17trampoline_kernelINS0_14default_configENS1_25partition_config_selectorILNS1_17partition_subalgoE2EyNS0_10empty_typeEbEEZZNS1_14partition_implILS5_2ELb0ES3_jN6thrust23THRUST_200600_302600_NS6detail15normal_iteratorINSA_7pointerIyNSA_11hip_rocprim3tagENSA_11use_defaultESG_EEEEPS6_NSA_18transform_iteratorI7is_evenIyENSC_INSA_10device_ptrIyEEEESG_SG_EENS0_5tupleIJPySJ_EEENSR_IJSJ_SJ_EEES6_PlJS6_EEE10hipError_tPvRmT3_T4_T5_T6_T7_T9_mT8_P12ihipStream_tbDpT10_ENKUlT_T0_E_clISt17integral_constantIbLb0EES1E_IbLb1EEEEDaS1A_S1B_EUlS1A_E_NS1_11comp_targetILNS1_3genE0ELNS1_11target_archE4294967295ELNS1_3gpuE0ELNS1_3repE0EEENS1_30default_config_static_selectorELNS0_4arch9wavefront6targetE1EEEvT1_
	.p2align	8
	.type	_ZN7rocprim17ROCPRIM_400000_NS6detail17trampoline_kernelINS0_14default_configENS1_25partition_config_selectorILNS1_17partition_subalgoE2EyNS0_10empty_typeEbEEZZNS1_14partition_implILS5_2ELb0ES3_jN6thrust23THRUST_200600_302600_NS6detail15normal_iteratorINSA_7pointerIyNSA_11hip_rocprim3tagENSA_11use_defaultESG_EEEEPS6_NSA_18transform_iteratorI7is_evenIyENSC_INSA_10device_ptrIyEEEESG_SG_EENS0_5tupleIJPySJ_EEENSR_IJSJ_SJ_EEES6_PlJS6_EEE10hipError_tPvRmT3_T4_T5_T6_T7_T9_mT8_P12ihipStream_tbDpT10_ENKUlT_T0_E_clISt17integral_constantIbLb0EES1E_IbLb1EEEEDaS1A_S1B_EUlS1A_E_NS1_11comp_targetILNS1_3genE0ELNS1_11target_archE4294967295ELNS1_3gpuE0ELNS1_3repE0EEENS1_30default_config_static_selectorELNS0_4arch9wavefront6targetE1EEEvT1_,@function
_ZN7rocprim17ROCPRIM_400000_NS6detail17trampoline_kernelINS0_14default_configENS1_25partition_config_selectorILNS1_17partition_subalgoE2EyNS0_10empty_typeEbEEZZNS1_14partition_implILS5_2ELb0ES3_jN6thrust23THRUST_200600_302600_NS6detail15normal_iteratorINSA_7pointerIyNSA_11hip_rocprim3tagENSA_11use_defaultESG_EEEEPS6_NSA_18transform_iteratorI7is_evenIyENSC_INSA_10device_ptrIyEEEESG_SG_EENS0_5tupleIJPySJ_EEENSR_IJSJ_SJ_EEES6_PlJS6_EEE10hipError_tPvRmT3_T4_T5_T6_T7_T9_mT8_P12ihipStream_tbDpT10_ENKUlT_T0_E_clISt17integral_constantIbLb0EES1E_IbLb1EEEEDaS1A_S1B_EUlS1A_E_NS1_11comp_targetILNS1_3genE0ELNS1_11target_archE4294967295ELNS1_3gpuE0ELNS1_3repE0EEENS1_30default_config_static_selectorELNS0_4arch9wavefront6targetE1EEEvT1_: ; @_ZN7rocprim17ROCPRIM_400000_NS6detail17trampoline_kernelINS0_14default_configENS1_25partition_config_selectorILNS1_17partition_subalgoE2EyNS0_10empty_typeEbEEZZNS1_14partition_implILS5_2ELb0ES3_jN6thrust23THRUST_200600_302600_NS6detail15normal_iteratorINSA_7pointerIyNSA_11hip_rocprim3tagENSA_11use_defaultESG_EEEEPS6_NSA_18transform_iteratorI7is_evenIyENSC_INSA_10device_ptrIyEEEESG_SG_EENS0_5tupleIJPySJ_EEENSR_IJSJ_SJ_EEES6_PlJS6_EEE10hipError_tPvRmT3_T4_T5_T6_T7_T9_mT8_P12ihipStream_tbDpT10_ENKUlT_T0_E_clISt17integral_constantIbLb0EES1E_IbLb1EEEEDaS1A_S1B_EUlS1A_E_NS1_11comp_targetILNS1_3genE0ELNS1_11target_archE4294967295ELNS1_3gpuE0ELNS1_3repE0EEENS1_30default_config_static_selectorELNS0_4arch9wavefront6targetE1EEEvT1_
; %bb.0:
	.section	.rodata,"a",@progbits
	.p2align	6, 0x0
	.amdhsa_kernel _ZN7rocprim17ROCPRIM_400000_NS6detail17trampoline_kernelINS0_14default_configENS1_25partition_config_selectorILNS1_17partition_subalgoE2EyNS0_10empty_typeEbEEZZNS1_14partition_implILS5_2ELb0ES3_jN6thrust23THRUST_200600_302600_NS6detail15normal_iteratorINSA_7pointerIyNSA_11hip_rocprim3tagENSA_11use_defaultESG_EEEEPS6_NSA_18transform_iteratorI7is_evenIyENSC_INSA_10device_ptrIyEEEESG_SG_EENS0_5tupleIJPySJ_EEENSR_IJSJ_SJ_EEES6_PlJS6_EEE10hipError_tPvRmT3_T4_T5_T6_T7_T9_mT8_P12ihipStream_tbDpT10_ENKUlT_T0_E_clISt17integral_constantIbLb0EES1E_IbLb1EEEEDaS1A_S1B_EUlS1A_E_NS1_11comp_targetILNS1_3genE0ELNS1_11target_archE4294967295ELNS1_3gpuE0ELNS1_3repE0EEENS1_30default_config_static_selectorELNS0_4arch9wavefront6targetE1EEEvT1_
		.amdhsa_group_segment_fixed_size 0
		.amdhsa_private_segment_fixed_size 0
		.amdhsa_kernarg_size 144
		.amdhsa_user_sgpr_count 6
		.amdhsa_user_sgpr_private_segment_buffer 1
		.amdhsa_user_sgpr_dispatch_ptr 0
		.amdhsa_user_sgpr_queue_ptr 0
		.amdhsa_user_sgpr_kernarg_segment_ptr 1
		.amdhsa_user_sgpr_dispatch_id 0
		.amdhsa_user_sgpr_flat_scratch_init 0
		.amdhsa_user_sgpr_kernarg_preload_length 0
		.amdhsa_user_sgpr_kernarg_preload_offset 0
		.amdhsa_user_sgpr_private_segment_size 0
		.amdhsa_uses_dynamic_stack 0
		.amdhsa_system_sgpr_private_segment_wavefront_offset 0
		.amdhsa_system_sgpr_workgroup_id_x 1
		.amdhsa_system_sgpr_workgroup_id_y 0
		.amdhsa_system_sgpr_workgroup_id_z 0
		.amdhsa_system_sgpr_workgroup_info 0
		.amdhsa_system_vgpr_workitem_id 0
		.amdhsa_next_free_vgpr 1
		.amdhsa_next_free_sgpr 0
		.amdhsa_accum_offset 4
		.amdhsa_reserve_vcc 0
		.amdhsa_reserve_flat_scratch 0
		.amdhsa_float_round_mode_32 0
		.amdhsa_float_round_mode_16_64 0
		.amdhsa_float_denorm_mode_32 3
		.amdhsa_float_denorm_mode_16_64 3
		.amdhsa_dx10_clamp 1
		.amdhsa_ieee_mode 1
		.amdhsa_fp16_overflow 0
		.amdhsa_tg_split 0
		.amdhsa_exception_fp_ieee_invalid_op 0
		.amdhsa_exception_fp_denorm_src 0
		.amdhsa_exception_fp_ieee_div_zero 0
		.amdhsa_exception_fp_ieee_overflow 0
		.amdhsa_exception_fp_ieee_underflow 0
		.amdhsa_exception_fp_ieee_inexact 0
		.amdhsa_exception_int_div_zero 0
	.end_amdhsa_kernel
	.section	.text._ZN7rocprim17ROCPRIM_400000_NS6detail17trampoline_kernelINS0_14default_configENS1_25partition_config_selectorILNS1_17partition_subalgoE2EyNS0_10empty_typeEbEEZZNS1_14partition_implILS5_2ELb0ES3_jN6thrust23THRUST_200600_302600_NS6detail15normal_iteratorINSA_7pointerIyNSA_11hip_rocprim3tagENSA_11use_defaultESG_EEEEPS6_NSA_18transform_iteratorI7is_evenIyENSC_INSA_10device_ptrIyEEEESG_SG_EENS0_5tupleIJPySJ_EEENSR_IJSJ_SJ_EEES6_PlJS6_EEE10hipError_tPvRmT3_T4_T5_T6_T7_T9_mT8_P12ihipStream_tbDpT10_ENKUlT_T0_E_clISt17integral_constantIbLb0EES1E_IbLb1EEEEDaS1A_S1B_EUlS1A_E_NS1_11comp_targetILNS1_3genE0ELNS1_11target_archE4294967295ELNS1_3gpuE0ELNS1_3repE0EEENS1_30default_config_static_selectorELNS0_4arch9wavefront6targetE1EEEvT1_,"axG",@progbits,_ZN7rocprim17ROCPRIM_400000_NS6detail17trampoline_kernelINS0_14default_configENS1_25partition_config_selectorILNS1_17partition_subalgoE2EyNS0_10empty_typeEbEEZZNS1_14partition_implILS5_2ELb0ES3_jN6thrust23THRUST_200600_302600_NS6detail15normal_iteratorINSA_7pointerIyNSA_11hip_rocprim3tagENSA_11use_defaultESG_EEEEPS6_NSA_18transform_iteratorI7is_evenIyENSC_INSA_10device_ptrIyEEEESG_SG_EENS0_5tupleIJPySJ_EEENSR_IJSJ_SJ_EEES6_PlJS6_EEE10hipError_tPvRmT3_T4_T5_T6_T7_T9_mT8_P12ihipStream_tbDpT10_ENKUlT_T0_E_clISt17integral_constantIbLb0EES1E_IbLb1EEEEDaS1A_S1B_EUlS1A_E_NS1_11comp_targetILNS1_3genE0ELNS1_11target_archE4294967295ELNS1_3gpuE0ELNS1_3repE0EEENS1_30default_config_static_selectorELNS0_4arch9wavefront6targetE1EEEvT1_,comdat
.Lfunc_end2028:
	.size	_ZN7rocprim17ROCPRIM_400000_NS6detail17trampoline_kernelINS0_14default_configENS1_25partition_config_selectorILNS1_17partition_subalgoE2EyNS0_10empty_typeEbEEZZNS1_14partition_implILS5_2ELb0ES3_jN6thrust23THRUST_200600_302600_NS6detail15normal_iteratorINSA_7pointerIyNSA_11hip_rocprim3tagENSA_11use_defaultESG_EEEEPS6_NSA_18transform_iteratorI7is_evenIyENSC_INSA_10device_ptrIyEEEESG_SG_EENS0_5tupleIJPySJ_EEENSR_IJSJ_SJ_EEES6_PlJS6_EEE10hipError_tPvRmT3_T4_T5_T6_T7_T9_mT8_P12ihipStream_tbDpT10_ENKUlT_T0_E_clISt17integral_constantIbLb0EES1E_IbLb1EEEEDaS1A_S1B_EUlS1A_E_NS1_11comp_targetILNS1_3genE0ELNS1_11target_archE4294967295ELNS1_3gpuE0ELNS1_3repE0EEENS1_30default_config_static_selectorELNS0_4arch9wavefront6targetE1EEEvT1_, .Lfunc_end2028-_ZN7rocprim17ROCPRIM_400000_NS6detail17trampoline_kernelINS0_14default_configENS1_25partition_config_selectorILNS1_17partition_subalgoE2EyNS0_10empty_typeEbEEZZNS1_14partition_implILS5_2ELb0ES3_jN6thrust23THRUST_200600_302600_NS6detail15normal_iteratorINSA_7pointerIyNSA_11hip_rocprim3tagENSA_11use_defaultESG_EEEEPS6_NSA_18transform_iteratorI7is_evenIyENSC_INSA_10device_ptrIyEEEESG_SG_EENS0_5tupleIJPySJ_EEENSR_IJSJ_SJ_EEES6_PlJS6_EEE10hipError_tPvRmT3_T4_T5_T6_T7_T9_mT8_P12ihipStream_tbDpT10_ENKUlT_T0_E_clISt17integral_constantIbLb0EES1E_IbLb1EEEEDaS1A_S1B_EUlS1A_E_NS1_11comp_targetILNS1_3genE0ELNS1_11target_archE4294967295ELNS1_3gpuE0ELNS1_3repE0EEENS1_30default_config_static_selectorELNS0_4arch9wavefront6targetE1EEEvT1_
                                        ; -- End function
	.section	.AMDGPU.csdata,"",@progbits
; Kernel info:
; codeLenInByte = 0
; NumSgprs: 4
; NumVgprs: 0
; NumAgprs: 0
; TotalNumVgprs: 0
; ScratchSize: 0
; MemoryBound: 0
; FloatMode: 240
; IeeeMode: 1
; LDSByteSize: 0 bytes/workgroup (compile time only)
; SGPRBlocks: 0
; VGPRBlocks: 0
; NumSGPRsForWavesPerEU: 4
; NumVGPRsForWavesPerEU: 1
; AccumOffset: 4
; Occupancy: 8
; WaveLimiterHint : 0
; COMPUTE_PGM_RSRC2:SCRATCH_EN: 0
; COMPUTE_PGM_RSRC2:USER_SGPR: 6
; COMPUTE_PGM_RSRC2:TRAP_HANDLER: 0
; COMPUTE_PGM_RSRC2:TGID_X_EN: 1
; COMPUTE_PGM_RSRC2:TGID_Y_EN: 0
; COMPUTE_PGM_RSRC2:TGID_Z_EN: 0
; COMPUTE_PGM_RSRC2:TIDIG_COMP_CNT: 0
; COMPUTE_PGM_RSRC3_GFX90A:ACCUM_OFFSET: 0
; COMPUTE_PGM_RSRC3_GFX90A:TG_SPLIT: 0
	.section	.text._ZN7rocprim17ROCPRIM_400000_NS6detail17trampoline_kernelINS0_14default_configENS1_25partition_config_selectorILNS1_17partition_subalgoE2EyNS0_10empty_typeEbEEZZNS1_14partition_implILS5_2ELb0ES3_jN6thrust23THRUST_200600_302600_NS6detail15normal_iteratorINSA_7pointerIyNSA_11hip_rocprim3tagENSA_11use_defaultESG_EEEEPS6_NSA_18transform_iteratorI7is_evenIyENSC_INSA_10device_ptrIyEEEESG_SG_EENS0_5tupleIJPySJ_EEENSR_IJSJ_SJ_EEES6_PlJS6_EEE10hipError_tPvRmT3_T4_T5_T6_T7_T9_mT8_P12ihipStream_tbDpT10_ENKUlT_T0_E_clISt17integral_constantIbLb0EES1E_IbLb1EEEEDaS1A_S1B_EUlS1A_E_NS1_11comp_targetILNS1_3genE5ELNS1_11target_archE942ELNS1_3gpuE9ELNS1_3repE0EEENS1_30default_config_static_selectorELNS0_4arch9wavefront6targetE1EEEvT1_,"axG",@progbits,_ZN7rocprim17ROCPRIM_400000_NS6detail17trampoline_kernelINS0_14default_configENS1_25partition_config_selectorILNS1_17partition_subalgoE2EyNS0_10empty_typeEbEEZZNS1_14partition_implILS5_2ELb0ES3_jN6thrust23THRUST_200600_302600_NS6detail15normal_iteratorINSA_7pointerIyNSA_11hip_rocprim3tagENSA_11use_defaultESG_EEEEPS6_NSA_18transform_iteratorI7is_evenIyENSC_INSA_10device_ptrIyEEEESG_SG_EENS0_5tupleIJPySJ_EEENSR_IJSJ_SJ_EEES6_PlJS6_EEE10hipError_tPvRmT3_T4_T5_T6_T7_T9_mT8_P12ihipStream_tbDpT10_ENKUlT_T0_E_clISt17integral_constantIbLb0EES1E_IbLb1EEEEDaS1A_S1B_EUlS1A_E_NS1_11comp_targetILNS1_3genE5ELNS1_11target_archE942ELNS1_3gpuE9ELNS1_3repE0EEENS1_30default_config_static_selectorELNS0_4arch9wavefront6targetE1EEEvT1_,comdat
	.protected	_ZN7rocprim17ROCPRIM_400000_NS6detail17trampoline_kernelINS0_14default_configENS1_25partition_config_selectorILNS1_17partition_subalgoE2EyNS0_10empty_typeEbEEZZNS1_14partition_implILS5_2ELb0ES3_jN6thrust23THRUST_200600_302600_NS6detail15normal_iteratorINSA_7pointerIyNSA_11hip_rocprim3tagENSA_11use_defaultESG_EEEEPS6_NSA_18transform_iteratorI7is_evenIyENSC_INSA_10device_ptrIyEEEESG_SG_EENS0_5tupleIJPySJ_EEENSR_IJSJ_SJ_EEES6_PlJS6_EEE10hipError_tPvRmT3_T4_T5_T6_T7_T9_mT8_P12ihipStream_tbDpT10_ENKUlT_T0_E_clISt17integral_constantIbLb0EES1E_IbLb1EEEEDaS1A_S1B_EUlS1A_E_NS1_11comp_targetILNS1_3genE5ELNS1_11target_archE942ELNS1_3gpuE9ELNS1_3repE0EEENS1_30default_config_static_selectorELNS0_4arch9wavefront6targetE1EEEvT1_ ; -- Begin function _ZN7rocprim17ROCPRIM_400000_NS6detail17trampoline_kernelINS0_14default_configENS1_25partition_config_selectorILNS1_17partition_subalgoE2EyNS0_10empty_typeEbEEZZNS1_14partition_implILS5_2ELb0ES3_jN6thrust23THRUST_200600_302600_NS6detail15normal_iteratorINSA_7pointerIyNSA_11hip_rocprim3tagENSA_11use_defaultESG_EEEEPS6_NSA_18transform_iteratorI7is_evenIyENSC_INSA_10device_ptrIyEEEESG_SG_EENS0_5tupleIJPySJ_EEENSR_IJSJ_SJ_EEES6_PlJS6_EEE10hipError_tPvRmT3_T4_T5_T6_T7_T9_mT8_P12ihipStream_tbDpT10_ENKUlT_T0_E_clISt17integral_constantIbLb0EES1E_IbLb1EEEEDaS1A_S1B_EUlS1A_E_NS1_11comp_targetILNS1_3genE5ELNS1_11target_archE942ELNS1_3gpuE9ELNS1_3repE0EEENS1_30default_config_static_selectorELNS0_4arch9wavefront6targetE1EEEvT1_
	.globl	_ZN7rocprim17ROCPRIM_400000_NS6detail17trampoline_kernelINS0_14default_configENS1_25partition_config_selectorILNS1_17partition_subalgoE2EyNS0_10empty_typeEbEEZZNS1_14partition_implILS5_2ELb0ES3_jN6thrust23THRUST_200600_302600_NS6detail15normal_iteratorINSA_7pointerIyNSA_11hip_rocprim3tagENSA_11use_defaultESG_EEEEPS6_NSA_18transform_iteratorI7is_evenIyENSC_INSA_10device_ptrIyEEEESG_SG_EENS0_5tupleIJPySJ_EEENSR_IJSJ_SJ_EEES6_PlJS6_EEE10hipError_tPvRmT3_T4_T5_T6_T7_T9_mT8_P12ihipStream_tbDpT10_ENKUlT_T0_E_clISt17integral_constantIbLb0EES1E_IbLb1EEEEDaS1A_S1B_EUlS1A_E_NS1_11comp_targetILNS1_3genE5ELNS1_11target_archE942ELNS1_3gpuE9ELNS1_3repE0EEENS1_30default_config_static_selectorELNS0_4arch9wavefront6targetE1EEEvT1_
	.p2align	8
	.type	_ZN7rocprim17ROCPRIM_400000_NS6detail17trampoline_kernelINS0_14default_configENS1_25partition_config_selectorILNS1_17partition_subalgoE2EyNS0_10empty_typeEbEEZZNS1_14partition_implILS5_2ELb0ES3_jN6thrust23THRUST_200600_302600_NS6detail15normal_iteratorINSA_7pointerIyNSA_11hip_rocprim3tagENSA_11use_defaultESG_EEEEPS6_NSA_18transform_iteratorI7is_evenIyENSC_INSA_10device_ptrIyEEEESG_SG_EENS0_5tupleIJPySJ_EEENSR_IJSJ_SJ_EEES6_PlJS6_EEE10hipError_tPvRmT3_T4_T5_T6_T7_T9_mT8_P12ihipStream_tbDpT10_ENKUlT_T0_E_clISt17integral_constantIbLb0EES1E_IbLb1EEEEDaS1A_S1B_EUlS1A_E_NS1_11comp_targetILNS1_3genE5ELNS1_11target_archE942ELNS1_3gpuE9ELNS1_3repE0EEENS1_30default_config_static_selectorELNS0_4arch9wavefront6targetE1EEEvT1_,@function
_ZN7rocprim17ROCPRIM_400000_NS6detail17trampoline_kernelINS0_14default_configENS1_25partition_config_selectorILNS1_17partition_subalgoE2EyNS0_10empty_typeEbEEZZNS1_14partition_implILS5_2ELb0ES3_jN6thrust23THRUST_200600_302600_NS6detail15normal_iteratorINSA_7pointerIyNSA_11hip_rocprim3tagENSA_11use_defaultESG_EEEEPS6_NSA_18transform_iteratorI7is_evenIyENSC_INSA_10device_ptrIyEEEESG_SG_EENS0_5tupleIJPySJ_EEENSR_IJSJ_SJ_EEES6_PlJS6_EEE10hipError_tPvRmT3_T4_T5_T6_T7_T9_mT8_P12ihipStream_tbDpT10_ENKUlT_T0_E_clISt17integral_constantIbLb0EES1E_IbLb1EEEEDaS1A_S1B_EUlS1A_E_NS1_11comp_targetILNS1_3genE5ELNS1_11target_archE942ELNS1_3gpuE9ELNS1_3repE0EEENS1_30default_config_static_selectorELNS0_4arch9wavefront6targetE1EEEvT1_: ; @_ZN7rocprim17ROCPRIM_400000_NS6detail17trampoline_kernelINS0_14default_configENS1_25partition_config_selectorILNS1_17partition_subalgoE2EyNS0_10empty_typeEbEEZZNS1_14partition_implILS5_2ELb0ES3_jN6thrust23THRUST_200600_302600_NS6detail15normal_iteratorINSA_7pointerIyNSA_11hip_rocprim3tagENSA_11use_defaultESG_EEEEPS6_NSA_18transform_iteratorI7is_evenIyENSC_INSA_10device_ptrIyEEEESG_SG_EENS0_5tupleIJPySJ_EEENSR_IJSJ_SJ_EEES6_PlJS6_EEE10hipError_tPvRmT3_T4_T5_T6_T7_T9_mT8_P12ihipStream_tbDpT10_ENKUlT_T0_E_clISt17integral_constantIbLb0EES1E_IbLb1EEEEDaS1A_S1B_EUlS1A_E_NS1_11comp_targetILNS1_3genE5ELNS1_11target_archE942ELNS1_3gpuE9ELNS1_3repE0EEENS1_30default_config_static_selectorELNS0_4arch9wavefront6targetE1EEEvT1_
; %bb.0:
	.section	.rodata,"a",@progbits
	.p2align	6, 0x0
	.amdhsa_kernel _ZN7rocprim17ROCPRIM_400000_NS6detail17trampoline_kernelINS0_14default_configENS1_25partition_config_selectorILNS1_17partition_subalgoE2EyNS0_10empty_typeEbEEZZNS1_14partition_implILS5_2ELb0ES3_jN6thrust23THRUST_200600_302600_NS6detail15normal_iteratorINSA_7pointerIyNSA_11hip_rocprim3tagENSA_11use_defaultESG_EEEEPS6_NSA_18transform_iteratorI7is_evenIyENSC_INSA_10device_ptrIyEEEESG_SG_EENS0_5tupleIJPySJ_EEENSR_IJSJ_SJ_EEES6_PlJS6_EEE10hipError_tPvRmT3_T4_T5_T6_T7_T9_mT8_P12ihipStream_tbDpT10_ENKUlT_T0_E_clISt17integral_constantIbLb0EES1E_IbLb1EEEEDaS1A_S1B_EUlS1A_E_NS1_11comp_targetILNS1_3genE5ELNS1_11target_archE942ELNS1_3gpuE9ELNS1_3repE0EEENS1_30default_config_static_selectorELNS0_4arch9wavefront6targetE1EEEvT1_
		.amdhsa_group_segment_fixed_size 0
		.amdhsa_private_segment_fixed_size 0
		.amdhsa_kernarg_size 144
		.amdhsa_user_sgpr_count 6
		.amdhsa_user_sgpr_private_segment_buffer 1
		.amdhsa_user_sgpr_dispatch_ptr 0
		.amdhsa_user_sgpr_queue_ptr 0
		.amdhsa_user_sgpr_kernarg_segment_ptr 1
		.amdhsa_user_sgpr_dispatch_id 0
		.amdhsa_user_sgpr_flat_scratch_init 0
		.amdhsa_user_sgpr_kernarg_preload_length 0
		.amdhsa_user_sgpr_kernarg_preload_offset 0
		.amdhsa_user_sgpr_private_segment_size 0
		.amdhsa_uses_dynamic_stack 0
		.amdhsa_system_sgpr_private_segment_wavefront_offset 0
		.amdhsa_system_sgpr_workgroup_id_x 1
		.amdhsa_system_sgpr_workgroup_id_y 0
		.amdhsa_system_sgpr_workgroup_id_z 0
		.amdhsa_system_sgpr_workgroup_info 0
		.amdhsa_system_vgpr_workitem_id 0
		.amdhsa_next_free_vgpr 1
		.amdhsa_next_free_sgpr 0
		.amdhsa_accum_offset 4
		.amdhsa_reserve_vcc 0
		.amdhsa_reserve_flat_scratch 0
		.amdhsa_float_round_mode_32 0
		.amdhsa_float_round_mode_16_64 0
		.amdhsa_float_denorm_mode_32 3
		.amdhsa_float_denorm_mode_16_64 3
		.amdhsa_dx10_clamp 1
		.amdhsa_ieee_mode 1
		.amdhsa_fp16_overflow 0
		.amdhsa_tg_split 0
		.amdhsa_exception_fp_ieee_invalid_op 0
		.amdhsa_exception_fp_denorm_src 0
		.amdhsa_exception_fp_ieee_div_zero 0
		.amdhsa_exception_fp_ieee_overflow 0
		.amdhsa_exception_fp_ieee_underflow 0
		.amdhsa_exception_fp_ieee_inexact 0
		.amdhsa_exception_int_div_zero 0
	.end_amdhsa_kernel
	.section	.text._ZN7rocprim17ROCPRIM_400000_NS6detail17trampoline_kernelINS0_14default_configENS1_25partition_config_selectorILNS1_17partition_subalgoE2EyNS0_10empty_typeEbEEZZNS1_14partition_implILS5_2ELb0ES3_jN6thrust23THRUST_200600_302600_NS6detail15normal_iteratorINSA_7pointerIyNSA_11hip_rocprim3tagENSA_11use_defaultESG_EEEEPS6_NSA_18transform_iteratorI7is_evenIyENSC_INSA_10device_ptrIyEEEESG_SG_EENS0_5tupleIJPySJ_EEENSR_IJSJ_SJ_EEES6_PlJS6_EEE10hipError_tPvRmT3_T4_T5_T6_T7_T9_mT8_P12ihipStream_tbDpT10_ENKUlT_T0_E_clISt17integral_constantIbLb0EES1E_IbLb1EEEEDaS1A_S1B_EUlS1A_E_NS1_11comp_targetILNS1_3genE5ELNS1_11target_archE942ELNS1_3gpuE9ELNS1_3repE0EEENS1_30default_config_static_selectorELNS0_4arch9wavefront6targetE1EEEvT1_,"axG",@progbits,_ZN7rocprim17ROCPRIM_400000_NS6detail17trampoline_kernelINS0_14default_configENS1_25partition_config_selectorILNS1_17partition_subalgoE2EyNS0_10empty_typeEbEEZZNS1_14partition_implILS5_2ELb0ES3_jN6thrust23THRUST_200600_302600_NS6detail15normal_iteratorINSA_7pointerIyNSA_11hip_rocprim3tagENSA_11use_defaultESG_EEEEPS6_NSA_18transform_iteratorI7is_evenIyENSC_INSA_10device_ptrIyEEEESG_SG_EENS0_5tupleIJPySJ_EEENSR_IJSJ_SJ_EEES6_PlJS6_EEE10hipError_tPvRmT3_T4_T5_T6_T7_T9_mT8_P12ihipStream_tbDpT10_ENKUlT_T0_E_clISt17integral_constantIbLb0EES1E_IbLb1EEEEDaS1A_S1B_EUlS1A_E_NS1_11comp_targetILNS1_3genE5ELNS1_11target_archE942ELNS1_3gpuE9ELNS1_3repE0EEENS1_30default_config_static_selectorELNS0_4arch9wavefront6targetE1EEEvT1_,comdat
.Lfunc_end2029:
	.size	_ZN7rocprim17ROCPRIM_400000_NS6detail17trampoline_kernelINS0_14default_configENS1_25partition_config_selectorILNS1_17partition_subalgoE2EyNS0_10empty_typeEbEEZZNS1_14partition_implILS5_2ELb0ES3_jN6thrust23THRUST_200600_302600_NS6detail15normal_iteratorINSA_7pointerIyNSA_11hip_rocprim3tagENSA_11use_defaultESG_EEEEPS6_NSA_18transform_iteratorI7is_evenIyENSC_INSA_10device_ptrIyEEEESG_SG_EENS0_5tupleIJPySJ_EEENSR_IJSJ_SJ_EEES6_PlJS6_EEE10hipError_tPvRmT3_T4_T5_T6_T7_T9_mT8_P12ihipStream_tbDpT10_ENKUlT_T0_E_clISt17integral_constantIbLb0EES1E_IbLb1EEEEDaS1A_S1B_EUlS1A_E_NS1_11comp_targetILNS1_3genE5ELNS1_11target_archE942ELNS1_3gpuE9ELNS1_3repE0EEENS1_30default_config_static_selectorELNS0_4arch9wavefront6targetE1EEEvT1_, .Lfunc_end2029-_ZN7rocprim17ROCPRIM_400000_NS6detail17trampoline_kernelINS0_14default_configENS1_25partition_config_selectorILNS1_17partition_subalgoE2EyNS0_10empty_typeEbEEZZNS1_14partition_implILS5_2ELb0ES3_jN6thrust23THRUST_200600_302600_NS6detail15normal_iteratorINSA_7pointerIyNSA_11hip_rocprim3tagENSA_11use_defaultESG_EEEEPS6_NSA_18transform_iteratorI7is_evenIyENSC_INSA_10device_ptrIyEEEESG_SG_EENS0_5tupleIJPySJ_EEENSR_IJSJ_SJ_EEES6_PlJS6_EEE10hipError_tPvRmT3_T4_T5_T6_T7_T9_mT8_P12ihipStream_tbDpT10_ENKUlT_T0_E_clISt17integral_constantIbLb0EES1E_IbLb1EEEEDaS1A_S1B_EUlS1A_E_NS1_11comp_targetILNS1_3genE5ELNS1_11target_archE942ELNS1_3gpuE9ELNS1_3repE0EEENS1_30default_config_static_selectorELNS0_4arch9wavefront6targetE1EEEvT1_
                                        ; -- End function
	.section	.AMDGPU.csdata,"",@progbits
; Kernel info:
; codeLenInByte = 0
; NumSgprs: 4
; NumVgprs: 0
; NumAgprs: 0
; TotalNumVgprs: 0
; ScratchSize: 0
; MemoryBound: 0
; FloatMode: 240
; IeeeMode: 1
; LDSByteSize: 0 bytes/workgroup (compile time only)
; SGPRBlocks: 0
; VGPRBlocks: 0
; NumSGPRsForWavesPerEU: 4
; NumVGPRsForWavesPerEU: 1
; AccumOffset: 4
; Occupancy: 8
; WaveLimiterHint : 0
; COMPUTE_PGM_RSRC2:SCRATCH_EN: 0
; COMPUTE_PGM_RSRC2:USER_SGPR: 6
; COMPUTE_PGM_RSRC2:TRAP_HANDLER: 0
; COMPUTE_PGM_RSRC2:TGID_X_EN: 1
; COMPUTE_PGM_RSRC2:TGID_Y_EN: 0
; COMPUTE_PGM_RSRC2:TGID_Z_EN: 0
; COMPUTE_PGM_RSRC2:TIDIG_COMP_CNT: 0
; COMPUTE_PGM_RSRC3_GFX90A:ACCUM_OFFSET: 0
; COMPUTE_PGM_RSRC3_GFX90A:TG_SPLIT: 0
	.section	.text._ZN7rocprim17ROCPRIM_400000_NS6detail17trampoline_kernelINS0_14default_configENS1_25partition_config_selectorILNS1_17partition_subalgoE2EyNS0_10empty_typeEbEEZZNS1_14partition_implILS5_2ELb0ES3_jN6thrust23THRUST_200600_302600_NS6detail15normal_iteratorINSA_7pointerIyNSA_11hip_rocprim3tagENSA_11use_defaultESG_EEEEPS6_NSA_18transform_iteratorI7is_evenIyENSC_INSA_10device_ptrIyEEEESG_SG_EENS0_5tupleIJPySJ_EEENSR_IJSJ_SJ_EEES6_PlJS6_EEE10hipError_tPvRmT3_T4_T5_T6_T7_T9_mT8_P12ihipStream_tbDpT10_ENKUlT_T0_E_clISt17integral_constantIbLb0EES1E_IbLb1EEEEDaS1A_S1B_EUlS1A_E_NS1_11comp_targetILNS1_3genE4ELNS1_11target_archE910ELNS1_3gpuE8ELNS1_3repE0EEENS1_30default_config_static_selectorELNS0_4arch9wavefront6targetE1EEEvT1_,"axG",@progbits,_ZN7rocprim17ROCPRIM_400000_NS6detail17trampoline_kernelINS0_14default_configENS1_25partition_config_selectorILNS1_17partition_subalgoE2EyNS0_10empty_typeEbEEZZNS1_14partition_implILS5_2ELb0ES3_jN6thrust23THRUST_200600_302600_NS6detail15normal_iteratorINSA_7pointerIyNSA_11hip_rocprim3tagENSA_11use_defaultESG_EEEEPS6_NSA_18transform_iteratorI7is_evenIyENSC_INSA_10device_ptrIyEEEESG_SG_EENS0_5tupleIJPySJ_EEENSR_IJSJ_SJ_EEES6_PlJS6_EEE10hipError_tPvRmT3_T4_T5_T6_T7_T9_mT8_P12ihipStream_tbDpT10_ENKUlT_T0_E_clISt17integral_constantIbLb0EES1E_IbLb1EEEEDaS1A_S1B_EUlS1A_E_NS1_11comp_targetILNS1_3genE4ELNS1_11target_archE910ELNS1_3gpuE8ELNS1_3repE0EEENS1_30default_config_static_selectorELNS0_4arch9wavefront6targetE1EEEvT1_,comdat
	.protected	_ZN7rocprim17ROCPRIM_400000_NS6detail17trampoline_kernelINS0_14default_configENS1_25partition_config_selectorILNS1_17partition_subalgoE2EyNS0_10empty_typeEbEEZZNS1_14partition_implILS5_2ELb0ES3_jN6thrust23THRUST_200600_302600_NS6detail15normal_iteratorINSA_7pointerIyNSA_11hip_rocprim3tagENSA_11use_defaultESG_EEEEPS6_NSA_18transform_iteratorI7is_evenIyENSC_INSA_10device_ptrIyEEEESG_SG_EENS0_5tupleIJPySJ_EEENSR_IJSJ_SJ_EEES6_PlJS6_EEE10hipError_tPvRmT3_T4_T5_T6_T7_T9_mT8_P12ihipStream_tbDpT10_ENKUlT_T0_E_clISt17integral_constantIbLb0EES1E_IbLb1EEEEDaS1A_S1B_EUlS1A_E_NS1_11comp_targetILNS1_3genE4ELNS1_11target_archE910ELNS1_3gpuE8ELNS1_3repE0EEENS1_30default_config_static_selectorELNS0_4arch9wavefront6targetE1EEEvT1_ ; -- Begin function _ZN7rocprim17ROCPRIM_400000_NS6detail17trampoline_kernelINS0_14default_configENS1_25partition_config_selectorILNS1_17partition_subalgoE2EyNS0_10empty_typeEbEEZZNS1_14partition_implILS5_2ELb0ES3_jN6thrust23THRUST_200600_302600_NS6detail15normal_iteratorINSA_7pointerIyNSA_11hip_rocprim3tagENSA_11use_defaultESG_EEEEPS6_NSA_18transform_iteratorI7is_evenIyENSC_INSA_10device_ptrIyEEEESG_SG_EENS0_5tupleIJPySJ_EEENSR_IJSJ_SJ_EEES6_PlJS6_EEE10hipError_tPvRmT3_T4_T5_T6_T7_T9_mT8_P12ihipStream_tbDpT10_ENKUlT_T0_E_clISt17integral_constantIbLb0EES1E_IbLb1EEEEDaS1A_S1B_EUlS1A_E_NS1_11comp_targetILNS1_3genE4ELNS1_11target_archE910ELNS1_3gpuE8ELNS1_3repE0EEENS1_30default_config_static_selectorELNS0_4arch9wavefront6targetE1EEEvT1_
	.globl	_ZN7rocprim17ROCPRIM_400000_NS6detail17trampoline_kernelINS0_14default_configENS1_25partition_config_selectorILNS1_17partition_subalgoE2EyNS0_10empty_typeEbEEZZNS1_14partition_implILS5_2ELb0ES3_jN6thrust23THRUST_200600_302600_NS6detail15normal_iteratorINSA_7pointerIyNSA_11hip_rocprim3tagENSA_11use_defaultESG_EEEEPS6_NSA_18transform_iteratorI7is_evenIyENSC_INSA_10device_ptrIyEEEESG_SG_EENS0_5tupleIJPySJ_EEENSR_IJSJ_SJ_EEES6_PlJS6_EEE10hipError_tPvRmT3_T4_T5_T6_T7_T9_mT8_P12ihipStream_tbDpT10_ENKUlT_T0_E_clISt17integral_constantIbLb0EES1E_IbLb1EEEEDaS1A_S1B_EUlS1A_E_NS1_11comp_targetILNS1_3genE4ELNS1_11target_archE910ELNS1_3gpuE8ELNS1_3repE0EEENS1_30default_config_static_selectorELNS0_4arch9wavefront6targetE1EEEvT1_
	.p2align	8
	.type	_ZN7rocprim17ROCPRIM_400000_NS6detail17trampoline_kernelINS0_14default_configENS1_25partition_config_selectorILNS1_17partition_subalgoE2EyNS0_10empty_typeEbEEZZNS1_14partition_implILS5_2ELb0ES3_jN6thrust23THRUST_200600_302600_NS6detail15normal_iteratorINSA_7pointerIyNSA_11hip_rocprim3tagENSA_11use_defaultESG_EEEEPS6_NSA_18transform_iteratorI7is_evenIyENSC_INSA_10device_ptrIyEEEESG_SG_EENS0_5tupleIJPySJ_EEENSR_IJSJ_SJ_EEES6_PlJS6_EEE10hipError_tPvRmT3_T4_T5_T6_T7_T9_mT8_P12ihipStream_tbDpT10_ENKUlT_T0_E_clISt17integral_constantIbLb0EES1E_IbLb1EEEEDaS1A_S1B_EUlS1A_E_NS1_11comp_targetILNS1_3genE4ELNS1_11target_archE910ELNS1_3gpuE8ELNS1_3repE0EEENS1_30default_config_static_selectorELNS0_4arch9wavefront6targetE1EEEvT1_,@function
_ZN7rocprim17ROCPRIM_400000_NS6detail17trampoline_kernelINS0_14default_configENS1_25partition_config_selectorILNS1_17partition_subalgoE2EyNS0_10empty_typeEbEEZZNS1_14partition_implILS5_2ELb0ES3_jN6thrust23THRUST_200600_302600_NS6detail15normal_iteratorINSA_7pointerIyNSA_11hip_rocprim3tagENSA_11use_defaultESG_EEEEPS6_NSA_18transform_iteratorI7is_evenIyENSC_INSA_10device_ptrIyEEEESG_SG_EENS0_5tupleIJPySJ_EEENSR_IJSJ_SJ_EEES6_PlJS6_EEE10hipError_tPvRmT3_T4_T5_T6_T7_T9_mT8_P12ihipStream_tbDpT10_ENKUlT_T0_E_clISt17integral_constantIbLb0EES1E_IbLb1EEEEDaS1A_S1B_EUlS1A_E_NS1_11comp_targetILNS1_3genE4ELNS1_11target_archE910ELNS1_3gpuE8ELNS1_3repE0EEENS1_30default_config_static_selectorELNS0_4arch9wavefront6targetE1EEEvT1_: ; @_ZN7rocprim17ROCPRIM_400000_NS6detail17trampoline_kernelINS0_14default_configENS1_25partition_config_selectorILNS1_17partition_subalgoE2EyNS0_10empty_typeEbEEZZNS1_14partition_implILS5_2ELb0ES3_jN6thrust23THRUST_200600_302600_NS6detail15normal_iteratorINSA_7pointerIyNSA_11hip_rocprim3tagENSA_11use_defaultESG_EEEEPS6_NSA_18transform_iteratorI7is_evenIyENSC_INSA_10device_ptrIyEEEESG_SG_EENS0_5tupleIJPySJ_EEENSR_IJSJ_SJ_EEES6_PlJS6_EEE10hipError_tPvRmT3_T4_T5_T6_T7_T9_mT8_P12ihipStream_tbDpT10_ENKUlT_T0_E_clISt17integral_constantIbLb0EES1E_IbLb1EEEEDaS1A_S1B_EUlS1A_E_NS1_11comp_targetILNS1_3genE4ELNS1_11target_archE910ELNS1_3gpuE8ELNS1_3repE0EEENS1_30default_config_static_selectorELNS0_4arch9wavefront6targetE1EEEvT1_
; %bb.0:
	s_load_dwordx2 s[6:7], s[4:5], 0x20
	s_load_dwordx2 s[24:25], s[4:5], 0x30
	;; [unrolled: 1-line block ×3, first 2 shown]
	s_load_dwordx4 s[20:23], s[4:5], 0x50
	s_load_dwordx2 s[34:35], s[4:5], 0x70
	v_cmp_eq_u32_e64 s[0:1], 0, v0
	s_and_saveexec_b64 s[2:3], s[0:1]
	s_cbranch_execz .LBB2030_4
; %bb.1:
	s_mov_b64 s[10:11], exec
	v_mbcnt_lo_u32_b32 v1, s10, 0
	v_mbcnt_hi_u32_b32 v1, s11, v1
	v_cmp_eq_u32_e32 vcc, 0, v1
                                        ; implicit-def: $vgpr2
	s_and_saveexec_b64 s[8:9], vcc
	s_cbranch_execz .LBB2030_3
; %bb.2:
	s_load_dwordx2 s[12:13], s[4:5], 0x80
	s_bcnt1_i32_b64 s10, s[10:11]
	v_mov_b32_e32 v2, 0
	v_mov_b32_e32 v3, s10
	s_waitcnt lgkmcnt(0)
	global_atomic_add v2, v2, v3, s[12:13] glc
.LBB2030_3:
	s_or_b64 exec, exec, s[8:9]
	s_waitcnt vmcnt(0)
	v_readfirstlane_b32 s8, v2
	v_add_u32_e32 v1, s8, v1
	v_mov_b32_e32 v2, 0
	ds_write_b32 v2, v1
.LBB2030_4:
	s_or_b64 exec, exec, s[2:3]
	v_mov_b32_e32 v1, 0
	s_load_dwordx4 s[16:19], s[4:5], 0x8
	s_load_dword s2, s[4:5], 0x78
	s_waitcnt lgkmcnt(0)
	s_barrier
	ds_read_b32 v2, v1
	s_waitcnt lgkmcnt(0)
	s_barrier
	global_load_dwordx2 v[10:11], v1, s[22:23]
	s_lshl_b64 s[4:5], s[18:19], 3
	s_add_u32 s10, s16, s4
	s_addc_u32 s11, s17, s5
	s_add_i32 s8, s2, -1
	s_mulk_i32 s2, 0x300
	s_add_i32 s3, s2, s18
	s_sub_i32 s33, s26, s3
	s_addk_i32 s33, 0x300
	s_add_u32 s2, s18, s2
	v_readfirstlane_b32 s42, v2
	s_addc_u32 s3, s19, 0
	s_cmp_eq_u32 s42, s8
	v_pk_mov_b32 v[2:3], s[26:27], s[26:27] op_sel:[0,1]
	s_cselect_b64 s[22:23], -1, 0
	s_cmp_lg_u32 s42, s8
	s_mul_i32 s28, s42, 0x300
	s_mov_b32 s29, 0
	v_cmp_lt_u64_e32 vcc, s[2:3], v[2:3]
	s_cselect_b64 s[2:3], -1, 0
	s_or_b64 s[30:31], vcc, s[2:3]
	s_lshl_b64 s[8:9], s[28:29], 3
	s_add_u32 s12, s10, s8
	s_addc_u32 s13, s11, s9
	s_mov_b64 s[2:3], -1
	s_and_b64 vcc, exec, s[30:31]
	v_lshlrev_b32_e32 v1, 3, v0
	v_lshrrev_b32_e32 v12, 2, v0
	s_cbranch_vccz .LBB2030_6
; %bb.5:
	v_mov_b32_e32 v3, s13
	v_add_co_u32_e32 v2, vcc, s12, v1
	v_addc_co_u32_e32 v3, vcc, 0, v3, vcc
	v_add_co_u32_e32 v4, vcc, 0x1000, v2
	v_addc_co_u32_e32 v5, vcc, 0, v3, vcc
	flat_load_dwordx2 v[6:7], v[2:3]
	flat_load_dwordx2 v[8:9], v[2:3] offset:1536
	flat_load_dwordx2 v[14:15], v[2:3] offset:3072
	;; [unrolled: 1-line block ×3, first 2 shown]
	v_add_u32_e32 v3, 0xc0, v0
	v_add_u32_e32 v4, 0x180, v0
	;; [unrolled: 1-line block ×3, first 2 shown]
	v_and_b32_e32 v2, 56, v12
	v_lshrrev_b32_e32 v3, 2, v3
	v_lshrrev_b32_e32 v4, 2, v4
	;; [unrolled: 1-line block ×3, first 2 shown]
	v_add_u32_e32 v2, v2, v1
	v_and_b32_e32 v3, 0x78, v3
	v_and_b32_e32 v4, 0xf8, v4
	;; [unrolled: 1-line block ×3, first 2 shown]
	v_add_u32_e32 v3, v3, v1
	v_add_u32_e32 v4, v4, v1
	;; [unrolled: 1-line block ×3, first 2 shown]
	s_mov_b64 s[2:3], 0
	s_waitcnt vmcnt(0) lgkmcnt(0)
	ds_write_b64 v2, v[6:7]
	ds_write_b64 v3, v[8:9] offset:1536
	ds_write_b64 v4, v[14:15] offset:3072
	ds_write_b64 v5, v[16:17] offset:4608
	s_waitcnt lgkmcnt(0)
	s_barrier
.LBB2030_6:
	s_andn2_b64 vcc, exec, s[2:3]
	v_cmp_gt_u32_e64 s[2:3], s33, v0
	s_cbranch_vccnz .LBB2030_16
; %bb.7:
                                        ; implicit-def: $vgpr2_vgpr3_vgpr4_vgpr5_vgpr6_vgpr7_vgpr8_vgpr9
	s_and_saveexec_b64 s[10:11], s[2:3]
	s_cbranch_execz .LBB2030_9
; %bb.8:
	v_mov_b32_e32 v3, s13
	v_add_co_u32_e32 v2, vcc, s12, v1
	v_addc_co_u32_e32 v3, vcc, 0, v3, vcc
	flat_load_dwordx2 v[2:3], v[2:3]
.LBB2030_9:
	s_or_b64 exec, exec, s[10:11]
	v_add_u32_e32 v13, 0xc0, v0
	v_cmp_gt_u32_e32 vcc, s33, v13
	s_and_saveexec_b64 s[2:3], vcc
	s_cbranch_execz .LBB2030_11
; %bb.10:
	v_mov_b32_e32 v5, s13
	v_add_co_u32_e32 v4, vcc, s12, v1
	v_addc_co_u32_e32 v5, vcc, 0, v5, vcc
	flat_load_dwordx2 v[4:5], v[4:5] offset:1536
.LBB2030_11:
	s_or_b64 exec, exec, s[2:3]
	v_add_u32_e32 v14, 0x180, v0
	v_cmp_gt_u32_e32 vcc, s33, v14
	s_and_saveexec_b64 s[2:3], vcc
	s_cbranch_execz .LBB2030_13
; %bb.12:
	v_mov_b32_e32 v7, s13
	v_add_co_u32_e32 v6, vcc, s12, v1
	v_addc_co_u32_e32 v7, vcc, 0, v7, vcc
	flat_load_dwordx2 v[6:7], v[6:7] offset:3072
.LBB2030_13:
	s_or_b64 exec, exec, s[2:3]
	v_add_u32_e32 v15, 0x240, v0
	v_cmp_gt_u32_e32 vcc, s33, v15
	s_and_saveexec_b64 s[2:3], vcc
	s_cbranch_execz .LBB2030_15
; %bb.14:
	v_lshlrev_b32_e32 v8, 3, v15
	v_mov_b32_e32 v9, s13
	v_add_co_u32_e32 v8, vcc, s12, v8
	v_addc_co_u32_e32 v9, vcc, 0, v9, vcc
	flat_load_dwordx2 v[8:9], v[8:9]
.LBB2030_15:
	s_or_b64 exec, exec, s[2:3]
	v_and_b32_e32 v12, 56, v12
	v_add_u32_e32 v12, v12, v1
	s_waitcnt vmcnt(0) lgkmcnt(0)
	ds_write_b64 v12, v[2:3]
	v_lshrrev_b32_e32 v2, 2, v13
	v_and_b32_e32 v2, 0x78, v2
	v_add_u32_e32 v2, v2, v1
	ds_write_b64 v2, v[4:5] offset:1536
	v_lshrrev_b32_e32 v2, 2, v14
	v_and_b32_e32 v2, 0xf8, v2
	v_add_u32_e32 v2, v2, v1
	ds_write_b64 v2, v[6:7] offset:3072
	;; [unrolled: 4-line block ×3, first 2 shown]
	s_waitcnt lgkmcnt(0)
	s_barrier
.LBB2030_16:
	v_lshlrev_b32_e32 v22, 2, v0
	v_lshrrev_b32_e32 v12, 3, v0
	v_add_lshl_u32 v2, v12, v22, 3
	ds_read2_b64 v[6:9], v2 offset1:1
	ds_read2_b64 v[2:5], v2 offset0:2 offset1:3
	s_add_u32 s2, s6, s4
	s_addc_u32 s3, s7, s5
	s_add_u32 s2, s2, s8
	s_addc_u32 s3, s3, s9
	s_mov_b64 s[4:5], -1
	s_and_b64 vcc, exec, s[30:31]
	v_lshrrev_b32_e32 v13, 5, v0
	s_waitcnt lgkmcnt(0)
	s_barrier
	s_cbranch_vccz .LBB2030_18
; %bb.17:
	global_load_dwordx2 v[14:15], v1, s[2:3]
	global_load_dwordx2 v[16:17], v1, s[2:3] offset:1536
	global_load_dwordx2 v[18:19], v1, s[2:3] offset:3072
	v_mov_b32_e32 v20, s3
	s_waitcnt vmcnt(2)
	v_add_co_u32_e32 v15, vcc, s2, v1
	s_waitcnt vmcnt(1)
	v_addc_co_u32_e32 v17, vcc, 0, v20, vcc
	v_add_co_u32_e32 v20, vcc, 0x1000, v15
	v_addc_co_u32_e32 v21, vcc, 0, v17, vcc
	global_load_dwordx2 v[20:21], v[20:21], off offset:512
	v_add_u32_e32 v17, 0xc0, v0
	s_waitcnt vmcnt(1)
	v_add_u32_e32 v19, 0x180, v0
	v_and_b32_e32 v15, 4, v13
	s_waitcnt vmcnt(0)
	v_add_u32_e32 v21, 0x240, v0
	v_lshrrev_b32_e32 v17, 5, v17
	v_lshrrev_b32_e32 v19, 5, v19
	v_add_u32_e32 v15, v15, v0
	v_lshrrev_b32_e32 v21, 5, v21
	v_and_b32_e32 v17, 12, v17
	v_and_b32_e32 v19, 28, v19
	;; [unrolled: 1-line block ×3, first 2 shown]
	v_add_u32_e32 v17, v17, v0
	v_add_u32_e32 v19, v19, v0
	;; [unrolled: 1-line block ×3, first 2 shown]
	s_mov_b64 s[4:5], 0
	v_xor_b32_e32 v14, -1, v14
	v_xor_b32_e32 v16, -1, v16
	;; [unrolled: 1-line block ×3, first 2 shown]
	v_and_b32_e32 v14, 1, v14
	v_and_b32_e32 v16, 1, v16
	;; [unrolled: 1-line block ×3, first 2 shown]
	ds_write_b8 v15, v14
	ds_write_b8 v17, v16 offset:192
	ds_write_b8 v19, v18 offset:384
	v_xor_b32_e32 v14, -1, v20
	v_and_b32_e32 v14, 1, v14
	ds_write_b8 v21, v14 offset:576
	s_waitcnt lgkmcnt(0)
	s_barrier
.LBB2030_18:
	s_andn2_b64 vcc, exec, s[4:5]
	s_cbranch_vccnz .LBB2030_28
; %bb.19:
	v_cmp_gt_u32_e32 vcc, s33, v0
	v_mov_b32_e32 v14, 0
	v_mov_b32_e32 v15, 0
	s_and_saveexec_b64 s[4:5], vcc
	s_cbranch_execz .LBB2030_21
; %bb.20:
	global_load_dwordx2 v[16:17], v1, s[2:3]
	s_waitcnt vmcnt(0)
	v_xor_b32_e32 v15, -1, v16
	v_and_b32_e32 v15, 1, v15
.LBB2030_21:
	s_or_b64 exec, exec, s[4:5]
	v_add_u32_e32 v16, 0xc0, v0
	v_cmp_gt_u32_e32 vcc, s33, v16
	s_and_saveexec_b64 s[4:5], vcc
	s_cbranch_execz .LBB2030_23
; %bb.22:
	global_load_dwordx2 v[18:19], v1, s[2:3] offset:1536
	s_waitcnt vmcnt(0)
	v_xor_b32_e32 v14, -1, v18
	v_and_b32_e32 v14, 1, v14
.LBB2030_23:
	s_or_b64 exec, exec, s[4:5]
	v_add_u32_e32 v18, 0x180, v0
	v_cmp_gt_u32_e32 vcc, s33, v18
	v_mov_b32_e32 v17, 0
	v_mov_b32_e32 v19, 0
	s_and_saveexec_b64 s[4:5], vcc
	s_cbranch_execz .LBB2030_25
; %bb.24:
	global_load_dwordx2 v[20:21], v1, s[2:3] offset:3072
	s_waitcnt vmcnt(0)
	v_xor_b32_e32 v19, -1, v20
	v_and_b32_e32 v19, 1, v19
.LBB2030_25:
	s_or_b64 exec, exec, s[4:5]
	v_add_u32_e32 v20, 0x240, v0
	v_cmp_gt_u32_e32 vcc, s33, v20
	s_and_saveexec_b64 s[4:5], vcc
	s_cbranch_execz .LBB2030_27
; %bb.26:
	v_lshlrev_b32_e32 v17, 3, v20
	global_load_dwordx2 v[24:25], v17, s[2:3]
	s_waitcnt vmcnt(0)
	v_xor_b32_e32 v17, -1, v24
	v_and_b32_e32 v17, 1, v17
.LBB2030_27:
	s_or_b64 exec, exec, s[4:5]
	v_and_b32_e32 v13, 4, v13
	v_add_u32_e32 v13, v13, v0
	ds_write_b8 v13, v15
	v_lshrrev_b32_e32 v13, 5, v16
	v_and_b32_e32 v13, 12, v13
	v_add_u32_e32 v13, v13, v0
	ds_write_b8 v13, v14 offset:192
	v_lshrrev_b32_e32 v13, 5, v18
	v_and_b32_e32 v13, 28, v13
	v_add_u32_e32 v13, v13, v0
	ds_write_b8 v13, v19 offset:384
	;; [unrolled: 4-line block ×3, first 2 shown]
	s_waitcnt lgkmcnt(0)
	s_barrier
.LBB2030_28:
	v_and_b32_e32 v12, 28, v12
	v_add_u32_e32 v12, v12, v22
	ds_read_b32 v24, v12
	s_cmp_lg_u32 s42, 0
	v_lshrrev_b32_e32 v27, 6, v0
	s_waitcnt lgkmcnt(0)
	s_barrier
	v_lshrrev_b32_e32 v23, 24, v24
	v_bfe_u32 v25, v24, 16, 8
	v_add_u32_sdwa v12, v24, v24 dst_sel:DWORD dst_unused:UNUSED_PAD src0_sel:BYTE_1 src1_sel:BYTE_0
	v_add3_u32 v28, v12, v25, v23
	v_mbcnt_lo_u32_b32 v12, -1, 0
	v_mbcnt_hi_u32_b32 v26, -1, v12
	v_and_b32_e32 v12, 15, v26
	v_cmp_eq_u32_e64 s[14:15], 0, v12
	v_cmp_lt_u32_e64 s[12:13], 1, v12
	v_cmp_lt_u32_e64 s[10:11], 3, v12
	;; [unrolled: 1-line block ×3, first 2 shown]
	v_and_b32_e32 v12, 16, v26
	v_cmp_eq_u32_e64 s[4:5], 0, v12
	v_and_b32_e32 v12, 0xc0, v0
	v_min_u32_e32 v12, 0x80, v12
	v_or_b32_e32 v12, 63, v12
	v_cmp_lt_u32_e64 s[2:3], 31, v26
	v_cmp_eq_u32_e64 s[6:7], v12, v0
	s_cbranch_scc0 .LBB2030_55
; %bb.29:
	v_mov_b32_dpp v12, v28 row_shr:1 row_mask:0xf bank_mask:0xf
	v_cndmask_b32_e64 v12, v12, 0, s[14:15]
	v_add_u32_e32 v12, v12, v28
	s_nop 1
	v_mov_b32_dpp v13, v12 row_shr:2 row_mask:0xf bank_mask:0xf
	v_cndmask_b32_e64 v13, 0, v13, s[12:13]
	v_add_u32_e32 v12, v12, v13
	s_nop 1
	;; [unrolled: 4-line block ×4, first 2 shown]
	v_mov_b32_dpp v13, v12 row_bcast:15 row_mask:0xf bank_mask:0xf
	v_cndmask_b32_e64 v13, v13, 0, s[4:5]
	v_add_u32_e32 v12, v12, v13
	s_nop 1
	v_mov_b32_dpp v13, v12 row_bcast:31 row_mask:0xf bank_mask:0xf
	v_cndmask_b32_e64 v13, 0, v13, s[2:3]
	v_add_u32_e32 v12, v12, v13
	s_and_saveexec_b64 s[16:17], s[6:7]
	s_cbranch_execz .LBB2030_31
; %bb.30:
	v_lshlrev_b32_e32 v13, 2, v27
	ds_write_b32 v13, v12
.LBB2030_31:
	s_or_b64 exec, exec, s[16:17]
	v_cmp_gt_u32_e32 vcc, 3, v0
	s_waitcnt lgkmcnt(0)
	s_barrier
	s_and_saveexec_b64 s[16:17], vcc
	s_cbranch_execz .LBB2030_33
; %bb.32:
	ds_read_b32 v13, v22
	v_and_b32_e32 v14, 3, v26
	v_cmp_ne_u32_e32 vcc, 0, v14
	s_waitcnt lgkmcnt(0)
	v_mov_b32_dpp v15, v13 row_shr:1 row_mask:0xf bank_mask:0xf
	v_cndmask_b32_e32 v15, 0, v15, vcc
	v_add_u32_e32 v13, v15, v13
	v_cmp_lt_u32_e32 vcc, 1, v14
	s_nop 0
	v_mov_b32_dpp v15, v13 row_shr:2 row_mask:0xf bank_mask:0xf
	v_cndmask_b32_e32 v14, 0, v15, vcc
	v_add_u32_e32 v13, v13, v14
	ds_write_b32 v22, v13
.LBB2030_33:
	s_or_b64 exec, exec, s[16:17]
	v_cmp_gt_u32_e32 vcc, 64, v0
	v_cmp_lt_u32_e64 s[16:17], 63, v0
	s_waitcnt lgkmcnt(0)
	s_barrier
	s_waitcnt lgkmcnt(0)
                                        ; implicit-def: $vgpr29
	s_and_saveexec_b64 s[36:37], s[16:17]
	s_cbranch_execz .LBB2030_35
; %bb.34:
	v_lshl_add_u32 v13, v27, 2, -4
	ds_read_b32 v29, v13
	s_waitcnt lgkmcnt(0)
	v_add_u32_e32 v12, v29, v12
.LBB2030_35:
	s_or_b64 exec, exec, s[36:37]
	v_add_u32_e32 v13, -1, v26
	v_and_b32_e32 v14, 64, v26
	v_cmp_lt_i32_e64 s[16:17], v13, v14
	v_cndmask_b32_e64 v13, v13, v26, s[16:17]
	v_lshlrev_b32_e32 v13, 2, v13
	ds_bpermute_b32 v30, v13, v12
	v_cmp_eq_u32_e64 s[16:17], 0, v26
	s_and_saveexec_b64 s[36:37], vcc
	s_cbranch_execz .LBB2030_54
; %bb.36:
	v_mov_b32_e32 v19, 0
	ds_read_b32 v12, v19 offset:8
	s_and_saveexec_b64 s[38:39], s[16:17]
	s_cbranch_execz .LBB2030_38
; %bb.37:
	s_add_i32 s40, s42, 64
	s_mov_b32 s41, 0
	s_lshl_b64 s[40:41], s[40:41], 3
	s_add_u32 s40, s34, s40
	v_mov_b32_e32 v13, 1
	s_addc_u32 s41, s35, s41
	s_waitcnt lgkmcnt(0)
	global_store_dwordx2 v19, v[12:13], s[40:41]
.LBB2030_38:
	s_or_b64 exec, exec, s[38:39]
	v_xad_u32 v14, v26, -1, s42
	v_add_u32_e32 v18, 64, v14
	v_lshlrev_b64 v[16:17], 3, v[18:19]
	v_mov_b32_e32 v13, s35
	v_add_co_u32_e32 v20, vcc, s34, v16
	v_addc_co_u32_e32 v21, vcc, v13, v17, vcc
	global_load_dwordx2 v[16:17], v[20:21], off glc
	s_waitcnt vmcnt(0)
	v_cmp_eq_u16_sdwa s[40:41], v17, v19 src0_sel:BYTE_0 src1_sel:DWORD
	s_and_saveexec_b64 s[38:39], s[40:41]
	s_cbranch_execz .LBB2030_42
; %bb.39:
	s_mov_b64 s[40:41], 0
	v_mov_b32_e32 v13, 0
.LBB2030_40:                            ; =>This Inner Loop Header: Depth=1
	global_load_dwordx2 v[16:17], v[20:21], off glc
	s_waitcnt vmcnt(0)
	v_cmp_ne_u16_sdwa s[44:45], v17, v13 src0_sel:BYTE_0 src1_sel:DWORD
	s_or_b64 s[40:41], s[44:45], s[40:41]
	s_andn2_b64 exec, exec, s[40:41]
	s_cbranch_execnz .LBB2030_40
; %bb.41:
	s_or_b64 exec, exec, s[40:41]
.LBB2030_42:
	s_or_b64 exec, exec, s[38:39]
	v_and_b32_e32 v32, 63, v26
	v_mov_b32_e32 v31, 2
	v_cmp_ne_u32_e32 vcc, 63, v32
	v_cmp_eq_u16_sdwa s[38:39], v17, v31 src0_sel:BYTE_0 src1_sel:DWORD
	v_lshlrev_b64 v[18:19], v26, -1
	v_addc_co_u32_e32 v20, vcc, 0, v26, vcc
	v_and_b32_e32 v13, s39, v19
	v_lshlrev_b32_e32 v33, 2, v20
	v_or_b32_e32 v13, 0x80000000, v13
	ds_bpermute_b32 v20, v33, v16
	v_and_b32_e32 v15, s38, v18
	v_ffbl_b32_e32 v13, v13
	v_add_u32_e32 v13, 32, v13
	v_ffbl_b32_e32 v15, v15
	v_min_u32_e32 v13, v15, v13
	v_cmp_lt_u32_e32 vcc, v32, v13
	s_waitcnt lgkmcnt(0)
	v_cndmask_b32_e32 v15, 0, v20, vcc
	v_cmp_gt_u32_e32 vcc, 62, v32
	v_add_u32_e32 v15, v15, v16
	v_cndmask_b32_e64 v16, 0, 1, vcc
	v_lshlrev_b32_e32 v16, 1, v16
	v_add_lshl_u32 v34, v16, v26, 2
	ds_bpermute_b32 v16, v34, v15
	v_add_u32_e32 v35, 2, v32
	v_cmp_le_u32_e32 vcc, v35, v13
	v_add_u32_e32 v37, 4, v32
	v_add_u32_e32 v39, 8, v32
	s_waitcnt lgkmcnt(0)
	v_cndmask_b32_e32 v16, 0, v16, vcc
	v_cmp_gt_u32_e32 vcc, 60, v32
	v_add_u32_e32 v15, v15, v16
	v_cndmask_b32_e64 v16, 0, 1, vcc
	v_lshlrev_b32_e32 v16, 2, v16
	v_add_lshl_u32 v36, v16, v26, 2
	ds_bpermute_b32 v16, v36, v15
	v_cmp_le_u32_e32 vcc, v37, v13
	v_add_u32_e32 v41, 16, v32
	v_add_u32_e32 v43, 32, v32
	s_waitcnt lgkmcnt(0)
	v_cndmask_b32_e32 v16, 0, v16, vcc
	v_cmp_gt_u32_e32 vcc, 56, v32
	v_add_u32_e32 v15, v15, v16
	v_cndmask_b32_e64 v16, 0, 1, vcc
	v_lshlrev_b32_e32 v16, 3, v16
	v_add_lshl_u32 v38, v16, v26, 2
	ds_bpermute_b32 v16, v38, v15
	v_cmp_le_u32_e32 vcc, v39, v13
	s_waitcnt lgkmcnt(0)
	v_cndmask_b32_e32 v16, 0, v16, vcc
	v_cmp_gt_u32_e32 vcc, 48, v32
	v_add_u32_e32 v15, v15, v16
	v_cndmask_b32_e64 v16, 0, 1, vcc
	v_lshlrev_b32_e32 v16, 4, v16
	v_add_lshl_u32 v40, v16, v26, 2
	ds_bpermute_b32 v16, v40, v15
	v_cmp_le_u32_e32 vcc, v41, v13
	;; [unrolled: 9-line block ×3, first 2 shown]
	s_waitcnt lgkmcnt(0)
	v_cndmask_b32_e32 v13, 0, v16, vcc
	v_add_u32_e32 v16, v15, v13
	v_mov_b32_e32 v15, 0
	s_branch .LBB2030_44
.LBB2030_43:                            ;   in Loop: Header=BB2030_44 Depth=1
	s_or_b64 exec, exec, s[38:39]
	v_cmp_eq_u16_sdwa s[38:39], v17, v31 src0_sel:BYTE_0 src1_sel:DWORD
	v_and_b32_e32 v20, s39, v19
	v_or_b32_e32 v20, 0x80000000, v20
	ds_bpermute_b32 v44, v33, v16
	v_and_b32_e32 v21, s38, v18
	v_ffbl_b32_e32 v20, v20
	v_add_u32_e32 v20, 32, v20
	v_ffbl_b32_e32 v21, v21
	v_min_u32_e32 v20, v21, v20
	v_cmp_lt_u32_e32 vcc, v32, v20
	s_waitcnt lgkmcnt(0)
	v_cndmask_b32_e32 v21, 0, v44, vcc
	v_add_u32_e32 v16, v21, v16
	ds_bpermute_b32 v21, v34, v16
	v_cmp_le_u32_e32 vcc, v35, v20
	v_subrev_u32_e32 v14, 64, v14
	s_waitcnt lgkmcnt(0)
	v_cndmask_b32_e32 v21, 0, v21, vcc
	v_add_u32_e32 v16, v16, v21
	ds_bpermute_b32 v21, v36, v16
	v_cmp_le_u32_e32 vcc, v37, v20
	s_waitcnt lgkmcnt(0)
	v_cndmask_b32_e32 v21, 0, v21, vcc
	v_add_u32_e32 v16, v16, v21
	ds_bpermute_b32 v21, v38, v16
	v_cmp_le_u32_e32 vcc, v39, v20
	;; [unrolled: 5-line block ×4, first 2 shown]
	s_waitcnt lgkmcnt(0)
	v_cndmask_b32_e32 v20, 0, v21, vcc
	v_add3_u32 v16, v20, v13, v16
.LBB2030_44:                            ; =>This Loop Header: Depth=1
                                        ;     Child Loop BB2030_47 Depth 2
	v_cmp_ne_u16_sdwa s[38:39], v17, v31 src0_sel:BYTE_0 src1_sel:DWORD
	v_cndmask_b32_e64 v13, 0, 1, s[38:39]
	;;#ASMSTART
	;;#ASMEND
	v_cmp_ne_u32_e32 vcc, 0, v13
	s_cmp_lg_u64 vcc, exec
	v_mov_b32_e32 v13, v16
	s_cbranch_scc1 .LBB2030_49
; %bb.45:                               ;   in Loop: Header=BB2030_44 Depth=1
	v_lshlrev_b64 v[16:17], 3, v[14:15]
	v_mov_b32_e32 v21, s35
	v_add_co_u32_e32 v20, vcc, s34, v16
	v_addc_co_u32_e32 v21, vcc, v21, v17, vcc
	global_load_dwordx2 v[16:17], v[20:21], off glc
	s_waitcnt vmcnt(0)
	v_cmp_eq_u16_sdwa s[40:41], v17, v15 src0_sel:BYTE_0 src1_sel:DWORD
	s_and_saveexec_b64 s[38:39], s[40:41]
	s_cbranch_execz .LBB2030_43
; %bb.46:                               ;   in Loop: Header=BB2030_44 Depth=1
	s_mov_b64 s[40:41], 0
.LBB2030_47:                            ;   Parent Loop BB2030_44 Depth=1
                                        ; =>  This Inner Loop Header: Depth=2
	global_load_dwordx2 v[16:17], v[20:21], off glc
	s_waitcnt vmcnt(0)
	v_cmp_ne_u16_sdwa s[44:45], v17, v15 src0_sel:BYTE_0 src1_sel:DWORD
	s_or_b64 s[40:41], s[44:45], s[40:41]
	s_andn2_b64 exec, exec, s[40:41]
	s_cbranch_execnz .LBB2030_47
; %bb.48:                               ;   in Loop: Header=BB2030_44 Depth=1
	s_or_b64 exec, exec, s[40:41]
	s_branch .LBB2030_43
.LBB2030_49:                            ;   in Loop: Header=BB2030_44 Depth=1
                                        ; implicit-def: $vgpr16
                                        ; implicit-def: $vgpr17
	s_cbranch_execz .LBB2030_44
; %bb.50:
	s_and_saveexec_b64 s[38:39], s[16:17]
	s_cbranch_execz .LBB2030_52
; %bb.51:
	s_add_i32 s40, s42, 64
	s_mov_b32 s41, 0
	s_lshl_b64 s[40:41], s[40:41], 3
	s_add_u32 s40, s34, s40
	v_add_u32_e32 v14, v13, v12
	v_mov_b32_e32 v15, 2
	s_addc_u32 s41, s35, s41
	v_mov_b32_e32 v16, 0
	global_store_dwordx2 v16, v[14:15], s[40:41]
	ds_write_b64 v16, v[12:13] offset:6336
.LBB2030_52:
	s_or_b64 exec, exec, s[38:39]
	s_and_b64 exec, exec, s[0:1]
	s_cbranch_execz .LBB2030_54
; %bb.53:
	v_mov_b32_e32 v12, 0
	ds_write_b32 v12, v13 offset:8
.LBB2030_54:
	s_or_b64 exec, exec, s[36:37]
	v_mov_b32_e32 v12, 0
	s_waitcnt lgkmcnt(0)
	s_barrier
	ds_read_b32 v13, v12 offset:8
	v_cndmask_b32_e64 v14, v30, v29, s[16:17]
	v_cndmask_b32_e64 v14, v14, 0, s[0:1]
	s_waitcnt lgkmcnt(0)
	s_barrier
	v_add_u32_e32 v16, v13, v14
	ds_read_b64 v[12:13], v12 offset:6336
	v_add_u32_sdwa v17, v16, v24 dst_sel:DWORD dst_unused:UNUSED_PAD src0_sel:DWORD src1_sel:BYTE_0
	v_add_u32_sdwa v15, v17, v24 dst_sel:DWORD dst_unused:UNUSED_PAD src0_sel:DWORD src1_sel:BYTE_1
	v_add_u32_e32 v14, v15, v25
	s_branch .LBB2030_65
.LBB2030_55:
                                        ; implicit-def: $vgpr13
                                        ; implicit-def: $vgpr14
                                        ; implicit-def: $vgpr15
                                        ; implicit-def: $vgpr17
                                        ; implicit-def: $vgpr16
	s_cbranch_execz .LBB2030_65
; %bb.56:
	s_waitcnt lgkmcnt(0)
	v_mov_b32_dpp v12, v28 row_shr:1 row_mask:0xf bank_mask:0xf
	v_cndmask_b32_e64 v12, v12, 0, s[14:15]
	v_add_u32_e32 v12, v12, v28
	s_nop 1
	v_mov_b32_dpp v13, v12 row_shr:2 row_mask:0xf bank_mask:0xf
	v_cndmask_b32_e64 v13, 0, v13, s[12:13]
	v_add_u32_e32 v12, v12, v13
	s_nop 1
	;; [unrolled: 4-line block ×4, first 2 shown]
	v_mov_b32_dpp v13, v12 row_bcast:15 row_mask:0xf bank_mask:0xf
	v_cndmask_b32_e64 v13, v13, 0, s[4:5]
	v_add_u32_e32 v12, v12, v13
	s_nop 1
	v_mov_b32_dpp v13, v12 row_bcast:31 row_mask:0xf bank_mask:0xf
	v_cndmask_b32_e64 v13, 0, v13, s[2:3]
	v_add_u32_e32 v12, v12, v13
	s_and_saveexec_b64 s[2:3], s[6:7]
	s_cbranch_execz .LBB2030_58
; %bb.57:
	v_lshlrev_b32_e32 v13, 2, v27
	ds_write_b32 v13, v12
.LBB2030_58:
	s_or_b64 exec, exec, s[2:3]
	v_cmp_gt_u32_e32 vcc, 3, v0
	s_waitcnt lgkmcnt(0)
	s_barrier
	s_and_saveexec_b64 s[2:3], vcc
	s_cbranch_execz .LBB2030_60
; %bb.59:
	ds_read_b32 v13, v22
	v_and_b32_e32 v14, 3, v26
	v_cmp_ne_u32_e32 vcc, 0, v14
	s_waitcnt lgkmcnt(0)
	v_mov_b32_dpp v15, v13 row_shr:1 row_mask:0xf bank_mask:0xf
	v_cndmask_b32_e32 v15, 0, v15, vcc
	v_add_u32_e32 v13, v15, v13
	v_cmp_lt_u32_e32 vcc, 1, v14
	s_nop 0
	v_mov_b32_dpp v15, v13 row_shr:2 row_mask:0xf bank_mask:0xf
	v_cndmask_b32_e32 v14, 0, v15, vcc
	v_add_u32_e32 v13, v13, v14
	ds_write_b32 v22, v13
.LBB2030_60:
	s_or_b64 exec, exec, s[2:3]
	v_cmp_lt_u32_e32 vcc, 63, v0
	v_mov_b32_e32 v13, 0
	v_mov_b32_e32 v14, 0
	s_waitcnt lgkmcnt(0)
	s_barrier
	s_and_saveexec_b64 s[2:3], vcc
	s_cbranch_execz .LBB2030_62
; %bb.61:
	v_lshl_add_u32 v14, v27, 2, -4
	ds_read_b32 v14, v14
.LBB2030_62:
	s_or_b64 exec, exec, s[2:3]
	v_add_u32_e32 v15, -1, v26
	v_and_b32_e32 v16, 64, v26
	v_cmp_lt_i32_e32 vcc, v15, v16
	v_cndmask_b32_e32 v15, v15, v26, vcc
	s_waitcnt lgkmcnt(0)
	v_add_u32_e32 v12, v14, v12
	v_lshlrev_b32_e32 v15, 2, v15
	ds_bpermute_b32 v15, v15, v12
	ds_read_b32 v12, v13 offset:8
	s_and_saveexec_b64 s[2:3], s[0:1]
	s_cbranch_execz .LBB2030_64
; %bb.63:
	v_mov_b32_e32 v16, 0
	v_mov_b32_e32 v13, 2
	s_waitcnt lgkmcnt(0)
	global_store_dwordx2 v16, v[12:13], s[34:35] offset:512
.LBB2030_64:
	s_or_b64 exec, exec, s[2:3]
	v_cmp_eq_u32_e32 vcc, 0, v26
	s_waitcnt lgkmcnt(1)
	v_cndmask_b32_e32 v14, v15, v14, vcc
	v_cndmask_b32_e64 v16, v14, 0, s[0:1]
	v_add_u32_sdwa v17, v16, v24 dst_sel:DWORD dst_unused:UNUSED_PAD src0_sel:DWORD src1_sel:BYTE_0
	v_add_u32_sdwa v15, v17, v24 dst_sel:DWORD dst_unused:UNUSED_PAD src0_sel:DWORD src1_sel:BYTE_1
	v_mov_b32_e32 v13, 0
	v_add_u32_e32 v14, v15, v25
	s_waitcnt lgkmcnt(0)
	s_barrier
.LBB2030_65:
	s_waitcnt lgkmcnt(0)
	v_add_u32_e32 v19, v12, v22
	v_sub_u32_e32 v16, v16, v13
	v_and_b32_e32 v21, 1, v24
	v_sub_u32_e32 v20, v19, v16
	v_cmp_eq_u32_e32 vcc, 1, v21
	v_cndmask_b32_e32 v16, v20, v16, vcc
	v_lshlrev_b32_e32 v16, 3, v16
	v_lshrrev_b32_e32 v18, 8, v24
	ds_write_b64 v16, v[6:7]
	v_sub_u32_e32 v6, v17, v13
	v_sub_u32_e32 v7, v19, v6
	v_and_b32_e32 v16, 1, v18
	v_add_u32_e32 v7, 1, v7
	v_cmp_eq_u32_e32 vcc, 1, v16
	v_cndmask_b32_e32 v6, v7, v6, vcc
	v_lshlrev_b32_e32 v6, 3, v6
	ds_write_b64 v6, v[8:9]
	v_sub_u32_e32 v6, v15, v13
	v_mov_b32_e32 v8, 1
	v_sub_u32_e32 v7, v19, v6
	v_and_b32_sdwa v8, v8, v24 dst_sel:DWORD dst_unused:UNUSED_PAD src0_sel:DWORD src1_sel:WORD_1
	v_add_u32_e32 v7, 2, v7
	v_cmp_eq_u32_e32 vcc, 1, v8
	v_cndmask_b32_e32 v6, v7, v6, vcc
	v_lshlrev_b32_e32 v6, 3, v6
	ds_write_b64 v6, v[2:3]
	v_sub_u32_e32 v2, v14, v13
	v_sub_u32_e32 v3, v19, v2
	v_and_b32_e32 v6, 1, v23
	v_add_u32_e32 v3, 3, v3
	v_cmp_eq_u32_e32 vcc, 1, v6
	v_cndmask_b32_e32 v2, v3, v2, vcc
	s_add_u32 s2, s18, s28
	v_lshlrev_b32_e32 v2, 3, v2
	s_addc_u32 s3, s19, 0
	ds_write_b64 v2, v[4:5]
	s_waitcnt lgkmcnt(0)
	s_barrier
	ds_read2st64_b64 v[6:9], v1 offset1:3
	ds_read2st64_b64 v[2:5], v1 offset0:6 offset1:9
	s_waitcnt vmcnt(0)
	v_add_co_u32_e32 v1, vcc, v10, v13
	s_sub_u32 s2, s26, s2
	v_addc_co_u32_e32 v13, vcc, 0, v11, vcc
	s_subb_u32 s3, s27, s3
	v_mov_b32_e32 v10, s3
	v_add_co_u32_e32 v11, vcc, s2, v12
	v_addc_co_u32_e32 v10, vcc, 0, v10, vcc
	v_add_co_u32_e64 v15, s[2:3], v11, v1
	v_add_u32_e32 v18, 0xc0, v0
	v_add_u32_e32 v17, 0x180, v0
	;; [unrolled: 1-line block ×3, first 2 shown]
	s_andn2_b64 vcc, exec, s[30:31]
	v_addc_co_u32_e64 v16, s[2:3], v10, v13, s[2:3]
	s_cbranch_vccnz .LBB2030_86
; %bb.66:
	v_cmp_ge_u32_e32 vcc, v0, v12
                                        ; implicit-def: $vgpr10_vgpr11
	s_and_saveexec_b64 s[2:3], vcc
	s_xor_b64 s[2:3], exec, s[2:3]
; %bb.67:
	v_not_b32_e32 v10, v0
	v_ashrrev_i32_e32 v11, 31, v10
	v_add_co_u32_e32 v10, vcc, v15, v10
	v_addc_co_u32_e32 v11, vcc, v16, v11, vcc
; %bb.68:
	s_andn2_saveexec_b64 s[2:3], s[2:3]
; %bb.69:
	v_add_co_u32_e32 v10, vcc, v1, v0
	v_addc_co_u32_e32 v11, vcc, 0, v13, vcc
; %bb.70:
	s_or_b64 exec, exec, s[2:3]
	v_lshlrev_b64 v[10:11], 3, v[10:11]
	v_mov_b32_e32 v19, s25
	v_add_co_u32_e32 v10, vcc, s24, v10
	v_addc_co_u32_e32 v11, vcc, v19, v11, vcc
	v_cmp_ge_u32_e32 vcc, v18, v12
	s_waitcnt lgkmcnt(1)
	global_store_dwordx2 v[10:11], v[6:7], off
                                        ; implicit-def: $vgpr10_vgpr11
	s_and_saveexec_b64 s[2:3], vcc
	s_xor_b64 s[2:3], exec, s[2:3]
; %bb.71:
	v_sub_u32_e32 v10, 0xffffff3f, v0
	v_ashrrev_i32_e32 v11, 31, v10
	v_add_co_u32_e32 v10, vcc, v15, v10
	v_addc_co_u32_e32 v11, vcc, v16, v11, vcc
; %bb.72:
	s_andn2_saveexec_b64 s[2:3], s[2:3]
; %bb.73:
	v_add_co_u32_e32 v10, vcc, v1, v18
	v_addc_co_u32_e32 v11, vcc, 0, v13, vcc
; %bb.74:
	s_or_b64 exec, exec, s[2:3]
	v_lshlrev_b64 v[10:11], 3, v[10:11]
	v_mov_b32_e32 v19, s25
	v_add_co_u32_e32 v10, vcc, s24, v10
	v_addc_co_u32_e32 v11, vcc, v19, v11, vcc
	v_cmp_ge_u32_e32 vcc, v17, v12
	global_store_dwordx2 v[10:11], v[8:9], off
                                        ; implicit-def: $vgpr10_vgpr11
	s_and_saveexec_b64 s[2:3], vcc
	s_xor_b64 s[2:3], exec, s[2:3]
; %bb.75:
	v_sub_u32_e32 v10, 0xfffffe7f, v0
	v_ashrrev_i32_e32 v11, 31, v10
	v_add_co_u32_e32 v10, vcc, v15, v10
	v_addc_co_u32_e32 v11, vcc, v16, v11, vcc
; %bb.76:
	s_andn2_saveexec_b64 s[2:3], s[2:3]
; %bb.77:
	v_add_co_u32_e32 v10, vcc, v1, v17
	v_addc_co_u32_e32 v11, vcc, 0, v13, vcc
; %bb.78:
	s_or_b64 exec, exec, s[2:3]
	v_lshlrev_b64 v[10:11], 3, v[10:11]
	v_mov_b32_e32 v19, s25
	v_add_co_u32_e32 v10, vcc, s24, v10
	v_addc_co_u32_e32 v11, vcc, v19, v11, vcc
	v_cmp_ge_u32_e32 vcc, v14, v12
	s_waitcnt lgkmcnt(0)
	global_store_dwordx2 v[10:11], v[2:3], off
                                        ; implicit-def: $vgpr10_vgpr11
	s_and_saveexec_b64 s[2:3], vcc
	s_xor_b64 s[2:3], exec, s[2:3]
; %bb.79:
	v_sub_u32_e32 v10, 0xfffffdbf, v0
	v_ashrrev_i32_e32 v11, 31, v10
	v_add_co_u32_e32 v10, vcc, v15, v10
	v_addc_co_u32_e32 v11, vcc, v16, v11, vcc
; %bb.80:
	s_andn2_saveexec_b64 s[2:3], s[2:3]
; %bb.81:
	v_add_co_u32_e32 v10, vcc, v1, v14
	v_addc_co_u32_e32 v11, vcc, 0, v13, vcc
; %bb.82:
	s_or_b64 exec, exec, s[2:3]
	s_mov_b64 s[2:3], -1
.LBB2030_83:
	s_and_saveexec_b64 s[4:5], s[2:3]
	s_cbranch_execz .LBB2030_96
.LBB2030_84:
	s_waitcnt lgkmcnt(0)
	v_lshlrev_b64 v[2:3], 3, v[10:11]
	v_mov_b32_e32 v0, s25
	v_add_co_u32_e32 v2, vcc, s24, v2
	v_addc_co_u32_e32 v3, vcc, v0, v3, vcc
	global_store_dwordx2 v[2:3], v[4:5], off
	s_or_b64 exec, exec, s[4:5]
	s_and_b64 s[0:1], s[0:1], s[22:23]
	s_and_saveexec_b64 s[2:3], s[0:1]
	s_cbranch_execnz .LBB2030_97
.LBB2030_85:
	s_endpgm
.LBB2030_86:
	s_mov_b64 s[2:3], 0
                                        ; implicit-def: $vgpr10_vgpr11
	s_cbranch_execz .LBB2030_83
; %bb.87:
	v_cmp_gt_u32_e32 vcc, s33, v0
	s_and_saveexec_b64 s[4:5], vcc
	s_cbranch_execz .LBB2030_98
; %bb.88:
	v_cmp_ge_u32_e32 vcc, v0, v12
                                        ; implicit-def: $vgpr10_vgpr11
	s_and_saveexec_b64 s[6:7], vcc
	s_xor_b64 s[6:7], exec, s[6:7]
; %bb.89:
	v_not_b32_e32 v10, v0
	v_ashrrev_i32_e32 v11, 31, v10
	v_add_co_u32_e32 v10, vcc, v15, v10
	v_addc_co_u32_e32 v11, vcc, v16, v11, vcc
; %bb.90:
	s_andn2_saveexec_b64 s[6:7], s[6:7]
; %bb.91:
	v_add_co_u32_e32 v10, vcc, v1, v0
	v_addc_co_u32_e32 v11, vcc, 0, v13, vcc
; %bb.92:
	s_or_b64 exec, exec, s[6:7]
	v_lshlrev_b64 v[10:11], 3, v[10:11]
	v_mov_b32_e32 v19, s25
	v_add_co_u32_e32 v10, vcc, s24, v10
	v_addc_co_u32_e32 v11, vcc, v19, v11, vcc
	s_waitcnt lgkmcnt(1)
	global_store_dwordx2 v[10:11], v[6:7], off
	s_or_b64 exec, exec, s[4:5]
	v_cmp_gt_u32_e32 vcc, s33, v18
	s_and_saveexec_b64 s[4:5], vcc
	s_cbranch_execnz .LBB2030_99
.LBB2030_93:
	s_or_b64 exec, exec, s[4:5]
	v_cmp_gt_u32_e32 vcc, s33, v17
	s_and_saveexec_b64 s[4:5], vcc
	s_cbranch_execnz .LBB2030_104
.LBB2030_94:
	s_or_b64 exec, exec, s[4:5]
	v_cmp_gt_u32_e32 vcc, s33, v14
                                        ; implicit-def: $vgpr10_vgpr11
	s_and_saveexec_b64 s[4:5], vcc
	s_cbranch_execnz .LBB2030_109
.LBB2030_95:
	s_or_b64 exec, exec, s[4:5]
	s_and_saveexec_b64 s[4:5], s[2:3]
	s_cbranch_execnz .LBB2030_84
.LBB2030_96:
	s_or_b64 exec, exec, s[4:5]
	s_and_b64 s[0:1], s[0:1], s[22:23]
	s_and_saveexec_b64 s[2:3], s[0:1]
	s_cbranch_execz .LBB2030_85
.LBB2030_97:
	v_add_co_u32_e32 v0, vcc, v1, v12
	s_waitcnt lgkmcnt(0)
	v_mov_b32_e32 v2, 0
	v_addc_co_u32_e32 v1, vcc, 0, v13, vcc
	global_store_dwordx2 v2, v[0:1], s[20:21]
	s_endpgm
.LBB2030_98:
	s_or_b64 exec, exec, s[4:5]
	v_cmp_gt_u32_e32 vcc, s33, v18
	s_and_saveexec_b64 s[4:5], vcc
	s_cbranch_execz .LBB2030_93
.LBB2030_99:
	v_cmp_ge_u32_e32 vcc, v18, v12
                                        ; implicit-def: $vgpr6_vgpr7
	s_and_saveexec_b64 s[6:7], vcc
	s_xor_b64 s[6:7], exec, s[6:7]
	s_cbranch_execz .LBB2030_101
; %bb.100:
	s_waitcnt lgkmcnt(1)
	v_sub_u32_e32 v6, 0xffffff3f, v0
	v_ashrrev_i32_e32 v7, 31, v6
	v_add_co_u32_e32 v6, vcc, v15, v6
	v_addc_co_u32_e32 v7, vcc, v16, v7, vcc
                                        ; implicit-def: $vgpr18
.LBB2030_101:
	s_andn2_saveexec_b64 s[6:7], s[6:7]
	s_cbranch_execz .LBB2030_103
; %bb.102:
	s_waitcnt lgkmcnt(1)
	v_add_co_u32_e32 v6, vcc, v1, v18
	v_addc_co_u32_e32 v7, vcc, 0, v13, vcc
.LBB2030_103:
	s_or_b64 exec, exec, s[6:7]
	s_waitcnt lgkmcnt(1)
	v_lshlrev_b64 v[6:7], 3, v[6:7]
	v_mov_b32_e32 v10, s25
	v_add_co_u32_e32 v6, vcc, s24, v6
	v_addc_co_u32_e32 v7, vcc, v10, v7, vcc
	global_store_dwordx2 v[6:7], v[8:9], off
	s_or_b64 exec, exec, s[4:5]
	v_cmp_gt_u32_e32 vcc, s33, v17
	s_and_saveexec_b64 s[4:5], vcc
	s_cbranch_execz .LBB2030_94
.LBB2030_104:
	v_cmp_ge_u32_e32 vcc, v17, v12
                                        ; implicit-def: $vgpr6_vgpr7
	s_and_saveexec_b64 s[6:7], vcc
	s_xor_b64 s[6:7], exec, s[6:7]
	s_cbranch_execz .LBB2030_106
; %bb.105:
	s_waitcnt lgkmcnt(1)
	v_sub_u32_e32 v6, 0xfffffe7f, v0
	v_ashrrev_i32_e32 v7, 31, v6
	v_add_co_u32_e32 v6, vcc, v15, v6
	v_addc_co_u32_e32 v7, vcc, v16, v7, vcc
                                        ; implicit-def: $vgpr17
.LBB2030_106:
	s_andn2_saveexec_b64 s[6:7], s[6:7]
	s_cbranch_execz .LBB2030_108
; %bb.107:
	s_waitcnt lgkmcnt(1)
	v_add_co_u32_e32 v6, vcc, v1, v17
	v_addc_co_u32_e32 v7, vcc, 0, v13, vcc
.LBB2030_108:
	s_or_b64 exec, exec, s[6:7]
	s_waitcnt lgkmcnt(1)
	v_lshlrev_b64 v[6:7], 3, v[6:7]
	v_mov_b32_e32 v8, s25
	v_add_co_u32_e32 v6, vcc, s24, v6
	v_addc_co_u32_e32 v7, vcc, v8, v7, vcc
	s_waitcnt lgkmcnt(0)
	global_store_dwordx2 v[6:7], v[2:3], off
	s_or_b64 exec, exec, s[4:5]
	v_cmp_gt_u32_e32 vcc, s33, v14
                                        ; implicit-def: $vgpr10_vgpr11
	s_and_saveexec_b64 s[4:5], vcc
	s_cbranch_execz .LBB2030_95
.LBB2030_109:
	v_cmp_ge_u32_e32 vcc, v14, v12
                                        ; implicit-def: $vgpr10_vgpr11
	s_and_saveexec_b64 s[6:7], vcc
	s_xor_b64 s[6:7], exec, s[6:7]
	s_cbranch_execz .LBB2030_111
; %bb.110:
	v_sub_u32_e32 v0, 0xfffffdbf, v0
	s_waitcnt lgkmcnt(0)
	v_ashrrev_i32_e32 v2, 31, v0
	v_add_co_u32_e32 v10, vcc, v15, v0
	v_addc_co_u32_e32 v11, vcc, v16, v2, vcc
                                        ; implicit-def: $vgpr14
.LBB2030_111:
	s_andn2_saveexec_b64 s[6:7], s[6:7]
; %bb.112:
	v_add_co_u32_e32 v10, vcc, v1, v14
	v_addc_co_u32_e32 v11, vcc, 0, v13, vcc
; %bb.113:
	s_or_b64 exec, exec, s[6:7]
	s_or_b64 s[2:3], s[2:3], exec
	s_or_b64 exec, exec, s[4:5]
	s_and_saveexec_b64 s[4:5], s[2:3]
	s_cbranch_execnz .LBB2030_84
	s_branch .LBB2030_96
	.section	.rodata,"a",@progbits
	.p2align	6, 0x0
	.amdhsa_kernel _ZN7rocprim17ROCPRIM_400000_NS6detail17trampoline_kernelINS0_14default_configENS1_25partition_config_selectorILNS1_17partition_subalgoE2EyNS0_10empty_typeEbEEZZNS1_14partition_implILS5_2ELb0ES3_jN6thrust23THRUST_200600_302600_NS6detail15normal_iteratorINSA_7pointerIyNSA_11hip_rocprim3tagENSA_11use_defaultESG_EEEEPS6_NSA_18transform_iteratorI7is_evenIyENSC_INSA_10device_ptrIyEEEESG_SG_EENS0_5tupleIJPySJ_EEENSR_IJSJ_SJ_EEES6_PlJS6_EEE10hipError_tPvRmT3_T4_T5_T6_T7_T9_mT8_P12ihipStream_tbDpT10_ENKUlT_T0_E_clISt17integral_constantIbLb0EES1E_IbLb1EEEEDaS1A_S1B_EUlS1A_E_NS1_11comp_targetILNS1_3genE4ELNS1_11target_archE910ELNS1_3gpuE8ELNS1_3repE0EEENS1_30default_config_static_selectorELNS0_4arch9wavefront6targetE1EEEvT1_
		.amdhsa_group_segment_fixed_size 6344
		.amdhsa_private_segment_fixed_size 0
		.amdhsa_kernarg_size 144
		.amdhsa_user_sgpr_count 6
		.amdhsa_user_sgpr_private_segment_buffer 1
		.amdhsa_user_sgpr_dispatch_ptr 0
		.amdhsa_user_sgpr_queue_ptr 0
		.amdhsa_user_sgpr_kernarg_segment_ptr 1
		.amdhsa_user_sgpr_dispatch_id 0
		.amdhsa_user_sgpr_flat_scratch_init 0
		.amdhsa_user_sgpr_kernarg_preload_length 0
		.amdhsa_user_sgpr_kernarg_preload_offset 0
		.amdhsa_user_sgpr_private_segment_size 0
		.amdhsa_uses_dynamic_stack 0
		.amdhsa_system_sgpr_private_segment_wavefront_offset 0
		.amdhsa_system_sgpr_workgroup_id_x 1
		.amdhsa_system_sgpr_workgroup_id_y 0
		.amdhsa_system_sgpr_workgroup_id_z 0
		.amdhsa_system_sgpr_workgroup_info 0
		.amdhsa_system_vgpr_workitem_id 0
		.amdhsa_next_free_vgpr 45
		.amdhsa_next_free_sgpr 46
		.amdhsa_accum_offset 48
		.amdhsa_reserve_vcc 1
		.amdhsa_reserve_flat_scratch 0
		.amdhsa_float_round_mode_32 0
		.amdhsa_float_round_mode_16_64 0
		.amdhsa_float_denorm_mode_32 3
		.amdhsa_float_denorm_mode_16_64 3
		.amdhsa_dx10_clamp 1
		.amdhsa_ieee_mode 1
		.amdhsa_fp16_overflow 0
		.amdhsa_tg_split 0
		.amdhsa_exception_fp_ieee_invalid_op 0
		.amdhsa_exception_fp_denorm_src 0
		.amdhsa_exception_fp_ieee_div_zero 0
		.amdhsa_exception_fp_ieee_overflow 0
		.amdhsa_exception_fp_ieee_underflow 0
		.amdhsa_exception_fp_ieee_inexact 0
		.amdhsa_exception_int_div_zero 0
	.end_amdhsa_kernel
	.section	.text._ZN7rocprim17ROCPRIM_400000_NS6detail17trampoline_kernelINS0_14default_configENS1_25partition_config_selectorILNS1_17partition_subalgoE2EyNS0_10empty_typeEbEEZZNS1_14partition_implILS5_2ELb0ES3_jN6thrust23THRUST_200600_302600_NS6detail15normal_iteratorINSA_7pointerIyNSA_11hip_rocprim3tagENSA_11use_defaultESG_EEEEPS6_NSA_18transform_iteratorI7is_evenIyENSC_INSA_10device_ptrIyEEEESG_SG_EENS0_5tupleIJPySJ_EEENSR_IJSJ_SJ_EEES6_PlJS6_EEE10hipError_tPvRmT3_T4_T5_T6_T7_T9_mT8_P12ihipStream_tbDpT10_ENKUlT_T0_E_clISt17integral_constantIbLb0EES1E_IbLb1EEEEDaS1A_S1B_EUlS1A_E_NS1_11comp_targetILNS1_3genE4ELNS1_11target_archE910ELNS1_3gpuE8ELNS1_3repE0EEENS1_30default_config_static_selectorELNS0_4arch9wavefront6targetE1EEEvT1_,"axG",@progbits,_ZN7rocprim17ROCPRIM_400000_NS6detail17trampoline_kernelINS0_14default_configENS1_25partition_config_selectorILNS1_17partition_subalgoE2EyNS0_10empty_typeEbEEZZNS1_14partition_implILS5_2ELb0ES3_jN6thrust23THRUST_200600_302600_NS6detail15normal_iteratorINSA_7pointerIyNSA_11hip_rocprim3tagENSA_11use_defaultESG_EEEEPS6_NSA_18transform_iteratorI7is_evenIyENSC_INSA_10device_ptrIyEEEESG_SG_EENS0_5tupleIJPySJ_EEENSR_IJSJ_SJ_EEES6_PlJS6_EEE10hipError_tPvRmT3_T4_T5_T6_T7_T9_mT8_P12ihipStream_tbDpT10_ENKUlT_T0_E_clISt17integral_constantIbLb0EES1E_IbLb1EEEEDaS1A_S1B_EUlS1A_E_NS1_11comp_targetILNS1_3genE4ELNS1_11target_archE910ELNS1_3gpuE8ELNS1_3repE0EEENS1_30default_config_static_selectorELNS0_4arch9wavefront6targetE1EEEvT1_,comdat
.Lfunc_end2030:
	.size	_ZN7rocprim17ROCPRIM_400000_NS6detail17trampoline_kernelINS0_14default_configENS1_25partition_config_selectorILNS1_17partition_subalgoE2EyNS0_10empty_typeEbEEZZNS1_14partition_implILS5_2ELb0ES3_jN6thrust23THRUST_200600_302600_NS6detail15normal_iteratorINSA_7pointerIyNSA_11hip_rocprim3tagENSA_11use_defaultESG_EEEEPS6_NSA_18transform_iteratorI7is_evenIyENSC_INSA_10device_ptrIyEEEESG_SG_EENS0_5tupleIJPySJ_EEENSR_IJSJ_SJ_EEES6_PlJS6_EEE10hipError_tPvRmT3_T4_T5_T6_T7_T9_mT8_P12ihipStream_tbDpT10_ENKUlT_T0_E_clISt17integral_constantIbLb0EES1E_IbLb1EEEEDaS1A_S1B_EUlS1A_E_NS1_11comp_targetILNS1_3genE4ELNS1_11target_archE910ELNS1_3gpuE8ELNS1_3repE0EEENS1_30default_config_static_selectorELNS0_4arch9wavefront6targetE1EEEvT1_, .Lfunc_end2030-_ZN7rocprim17ROCPRIM_400000_NS6detail17trampoline_kernelINS0_14default_configENS1_25partition_config_selectorILNS1_17partition_subalgoE2EyNS0_10empty_typeEbEEZZNS1_14partition_implILS5_2ELb0ES3_jN6thrust23THRUST_200600_302600_NS6detail15normal_iteratorINSA_7pointerIyNSA_11hip_rocprim3tagENSA_11use_defaultESG_EEEEPS6_NSA_18transform_iteratorI7is_evenIyENSC_INSA_10device_ptrIyEEEESG_SG_EENS0_5tupleIJPySJ_EEENSR_IJSJ_SJ_EEES6_PlJS6_EEE10hipError_tPvRmT3_T4_T5_T6_T7_T9_mT8_P12ihipStream_tbDpT10_ENKUlT_T0_E_clISt17integral_constantIbLb0EES1E_IbLb1EEEEDaS1A_S1B_EUlS1A_E_NS1_11comp_targetILNS1_3genE4ELNS1_11target_archE910ELNS1_3gpuE8ELNS1_3repE0EEENS1_30default_config_static_selectorELNS0_4arch9wavefront6targetE1EEEvT1_
                                        ; -- End function
	.section	.AMDGPU.csdata,"",@progbits
; Kernel info:
; codeLenInByte = 4484
; NumSgprs: 50
; NumVgprs: 45
; NumAgprs: 0
; TotalNumVgprs: 45
; ScratchSize: 0
; MemoryBound: 0
; FloatMode: 240
; IeeeMode: 1
; LDSByteSize: 6344 bytes/workgroup (compile time only)
; SGPRBlocks: 6
; VGPRBlocks: 5
; NumSGPRsForWavesPerEU: 50
; NumVGPRsForWavesPerEU: 45
; AccumOffset: 48
; Occupancy: 8
; WaveLimiterHint : 1
; COMPUTE_PGM_RSRC2:SCRATCH_EN: 0
; COMPUTE_PGM_RSRC2:USER_SGPR: 6
; COMPUTE_PGM_RSRC2:TRAP_HANDLER: 0
; COMPUTE_PGM_RSRC2:TGID_X_EN: 1
; COMPUTE_PGM_RSRC2:TGID_Y_EN: 0
; COMPUTE_PGM_RSRC2:TGID_Z_EN: 0
; COMPUTE_PGM_RSRC2:TIDIG_COMP_CNT: 0
; COMPUTE_PGM_RSRC3_GFX90A:ACCUM_OFFSET: 11
; COMPUTE_PGM_RSRC3_GFX90A:TG_SPLIT: 0
	.section	.text._ZN7rocprim17ROCPRIM_400000_NS6detail17trampoline_kernelINS0_14default_configENS1_25partition_config_selectorILNS1_17partition_subalgoE2EyNS0_10empty_typeEbEEZZNS1_14partition_implILS5_2ELb0ES3_jN6thrust23THRUST_200600_302600_NS6detail15normal_iteratorINSA_7pointerIyNSA_11hip_rocprim3tagENSA_11use_defaultESG_EEEEPS6_NSA_18transform_iteratorI7is_evenIyENSC_INSA_10device_ptrIyEEEESG_SG_EENS0_5tupleIJPySJ_EEENSR_IJSJ_SJ_EEES6_PlJS6_EEE10hipError_tPvRmT3_T4_T5_T6_T7_T9_mT8_P12ihipStream_tbDpT10_ENKUlT_T0_E_clISt17integral_constantIbLb0EES1E_IbLb1EEEEDaS1A_S1B_EUlS1A_E_NS1_11comp_targetILNS1_3genE3ELNS1_11target_archE908ELNS1_3gpuE7ELNS1_3repE0EEENS1_30default_config_static_selectorELNS0_4arch9wavefront6targetE1EEEvT1_,"axG",@progbits,_ZN7rocprim17ROCPRIM_400000_NS6detail17trampoline_kernelINS0_14default_configENS1_25partition_config_selectorILNS1_17partition_subalgoE2EyNS0_10empty_typeEbEEZZNS1_14partition_implILS5_2ELb0ES3_jN6thrust23THRUST_200600_302600_NS6detail15normal_iteratorINSA_7pointerIyNSA_11hip_rocprim3tagENSA_11use_defaultESG_EEEEPS6_NSA_18transform_iteratorI7is_evenIyENSC_INSA_10device_ptrIyEEEESG_SG_EENS0_5tupleIJPySJ_EEENSR_IJSJ_SJ_EEES6_PlJS6_EEE10hipError_tPvRmT3_T4_T5_T6_T7_T9_mT8_P12ihipStream_tbDpT10_ENKUlT_T0_E_clISt17integral_constantIbLb0EES1E_IbLb1EEEEDaS1A_S1B_EUlS1A_E_NS1_11comp_targetILNS1_3genE3ELNS1_11target_archE908ELNS1_3gpuE7ELNS1_3repE0EEENS1_30default_config_static_selectorELNS0_4arch9wavefront6targetE1EEEvT1_,comdat
	.protected	_ZN7rocprim17ROCPRIM_400000_NS6detail17trampoline_kernelINS0_14default_configENS1_25partition_config_selectorILNS1_17partition_subalgoE2EyNS0_10empty_typeEbEEZZNS1_14partition_implILS5_2ELb0ES3_jN6thrust23THRUST_200600_302600_NS6detail15normal_iteratorINSA_7pointerIyNSA_11hip_rocprim3tagENSA_11use_defaultESG_EEEEPS6_NSA_18transform_iteratorI7is_evenIyENSC_INSA_10device_ptrIyEEEESG_SG_EENS0_5tupleIJPySJ_EEENSR_IJSJ_SJ_EEES6_PlJS6_EEE10hipError_tPvRmT3_T4_T5_T6_T7_T9_mT8_P12ihipStream_tbDpT10_ENKUlT_T0_E_clISt17integral_constantIbLb0EES1E_IbLb1EEEEDaS1A_S1B_EUlS1A_E_NS1_11comp_targetILNS1_3genE3ELNS1_11target_archE908ELNS1_3gpuE7ELNS1_3repE0EEENS1_30default_config_static_selectorELNS0_4arch9wavefront6targetE1EEEvT1_ ; -- Begin function _ZN7rocprim17ROCPRIM_400000_NS6detail17trampoline_kernelINS0_14default_configENS1_25partition_config_selectorILNS1_17partition_subalgoE2EyNS0_10empty_typeEbEEZZNS1_14partition_implILS5_2ELb0ES3_jN6thrust23THRUST_200600_302600_NS6detail15normal_iteratorINSA_7pointerIyNSA_11hip_rocprim3tagENSA_11use_defaultESG_EEEEPS6_NSA_18transform_iteratorI7is_evenIyENSC_INSA_10device_ptrIyEEEESG_SG_EENS0_5tupleIJPySJ_EEENSR_IJSJ_SJ_EEES6_PlJS6_EEE10hipError_tPvRmT3_T4_T5_T6_T7_T9_mT8_P12ihipStream_tbDpT10_ENKUlT_T0_E_clISt17integral_constantIbLb0EES1E_IbLb1EEEEDaS1A_S1B_EUlS1A_E_NS1_11comp_targetILNS1_3genE3ELNS1_11target_archE908ELNS1_3gpuE7ELNS1_3repE0EEENS1_30default_config_static_selectorELNS0_4arch9wavefront6targetE1EEEvT1_
	.globl	_ZN7rocprim17ROCPRIM_400000_NS6detail17trampoline_kernelINS0_14default_configENS1_25partition_config_selectorILNS1_17partition_subalgoE2EyNS0_10empty_typeEbEEZZNS1_14partition_implILS5_2ELb0ES3_jN6thrust23THRUST_200600_302600_NS6detail15normal_iteratorINSA_7pointerIyNSA_11hip_rocprim3tagENSA_11use_defaultESG_EEEEPS6_NSA_18transform_iteratorI7is_evenIyENSC_INSA_10device_ptrIyEEEESG_SG_EENS0_5tupleIJPySJ_EEENSR_IJSJ_SJ_EEES6_PlJS6_EEE10hipError_tPvRmT3_T4_T5_T6_T7_T9_mT8_P12ihipStream_tbDpT10_ENKUlT_T0_E_clISt17integral_constantIbLb0EES1E_IbLb1EEEEDaS1A_S1B_EUlS1A_E_NS1_11comp_targetILNS1_3genE3ELNS1_11target_archE908ELNS1_3gpuE7ELNS1_3repE0EEENS1_30default_config_static_selectorELNS0_4arch9wavefront6targetE1EEEvT1_
	.p2align	8
	.type	_ZN7rocprim17ROCPRIM_400000_NS6detail17trampoline_kernelINS0_14default_configENS1_25partition_config_selectorILNS1_17partition_subalgoE2EyNS0_10empty_typeEbEEZZNS1_14partition_implILS5_2ELb0ES3_jN6thrust23THRUST_200600_302600_NS6detail15normal_iteratorINSA_7pointerIyNSA_11hip_rocprim3tagENSA_11use_defaultESG_EEEEPS6_NSA_18transform_iteratorI7is_evenIyENSC_INSA_10device_ptrIyEEEESG_SG_EENS0_5tupleIJPySJ_EEENSR_IJSJ_SJ_EEES6_PlJS6_EEE10hipError_tPvRmT3_T4_T5_T6_T7_T9_mT8_P12ihipStream_tbDpT10_ENKUlT_T0_E_clISt17integral_constantIbLb0EES1E_IbLb1EEEEDaS1A_S1B_EUlS1A_E_NS1_11comp_targetILNS1_3genE3ELNS1_11target_archE908ELNS1_3gpuE7ELNS1_3repE0EEENS1_30default_config_static_selectorELNS0_4arch9wavefront6targetE1EEEvT1_,@function
_ZN7rocprim17ROCPRIM_400000_NS6detail17trampoline_kernelINS0_14default_configENS1_25partition_config_selectorILNS1_17partition_subalgoE2EyNS0_10empty_typeEbEEZZNS1_14partition_implILS5_2ELb0ES3_jN6thrust23THRUST_200600_302600_NS6detail15normal_iteratorINSA_7pointerIyNSA_11hip_rocprim3tagENSA_11use_defaultESG_EEEEPS6_NSA_18transform_iteratorI7is_evenIyENSC_INSA_10device_ptrIyEEEESG_SG_EENS0_5tupleIJPySJ_EEENSR_IJSJ_SJ_EEES6_PlJS6_EEE10hipError_tPvRmT3_T4_T5_T6_T7_T9_mT8_P12ihipStream_tbDpT10_ENKUlT_T0_E_clISt17integral_constantIbLb0EES1E_IbLb1EEEEDaS1A_S1B_EUlS1A_E_NS1_11comp_targetILNS1_3genE3ELNS1_11target_archE908ELNS1_3gpuE7ELNS1_3repE0EEENS1_30default_config_static_selectorELNS0_4arch9wavefront6targetE1EEEvT1_: ; @_ZN7rocprim17ROCPRIM_400000_NS6detail17trampoline_kernelINS0_14default_configENS1_25partition_config_selectorILNS1_17partition_subalgoE2EyNS0_10empty_typeEbEEZZNS1_14partition_implILS5_2ELb0ES3_jN6thrust23THRUST_200600_302600_NS6detail15normal_iteratorINSA_7pointerIyNSA_11hip_rocprim3tagENSA_11use_defaultESG_EEEEPS6_NSA_18transform_iteratorI7is_evenIyENSC_INSA_10device_ptrIyEEEESG_SG_EENS0_5tupleIJPySJ_EEENSR_IJSJ_SJ_EEES6_PlJS6_EEE10hipError_tPvRmT3_T4_T5_T6_T7_T9_mT8_P12ihipStream_tbDpT10_ENKUlT_T0_E_clISt17integral_constantIbLb0EES1E_IbLb1EEEEDaS1A_S1B_EUlS1A_E_NS1_11comp_targetILNS1_3genE3ELNS1_11target_archE908ELNS1_3gpuE7ELNS1_3repE0EEENS1_30default_config_static_selectorELNS0_4arch9wavefront6targetE1EEEvT1_
; %bb.0:
	.section	.rodata,"a",@progbits
	.p2align	6, 0x0
	.amdhsa_kernel _ZN7rocprim17ROCPRIM_400000_NS6detail17trampoline_kernelINS0_14default_configENS1_25partition_config_selectorILNS1_17partition_subalgoE2EyNS0_10empty_typeEbEEZZNS1_14partition_implILS5_2ELb0ES3_jN6thrust23THRUST_200600_302600_NS6detail15normal_iteratorINSA_7pointerIyNSA_11hip_rocprim3tagENSA_11use_defaultESG_EEEEPS6_NSA_18transform_iteratorI7is_evenIyENSC_INSA_10device_ptrIyEEEESG_SG_EENS0_5tupleIJPySJ_EEENSR_IJSJ_SJ_EEES6_PlJS6_EEE10hipError_tPvRmT3_T4_T5_T6_T7_T9_mT8_P12ihipStream_tbDpT10_ENKUlT_T0_E_clISt17integral_constantIbLb0EES1E_IbLb1EEEEDaS1A_S1B_EUlS1A_E_NS1_11comp_targetILNS1_3genE3ELNS1_11target_archE908ELNS1_3gpuE7ELNS1_3repE0EEENS1_30default_config_static_selectorELNS0_4arch9wavefront6targetE1EEEvT1_
		.amdhsa_group_segment_fixed_size 0
		.amdhsa_private_segment_fixed_size 0
		.amdhsa_kernarg_size 144
		.amdhsa_user_sgpr_count 6
		.amdhsa_user_sgpr_private_segment_buffer 1
		.amdhsa_user_sgpr_dispatch_ptr 0
		.amdhsa_user_sgpr_queue_ptr 0
		.amdhsa_user_sgpr_kernarg_segment_ptr 1
		.amdhsa_user_sgpr_dispatch_id 0
		.amdhsa_user_sgpr_flat_scratch_init 0
		.amdhsa_user_sgpr_kernarg_preload_length 0
		.amdhsa_user_sgpr_kernarg_preload_offset 0
		.amdhsa_user_sgpr_private_segment_size 0
		.amdhsa_uses_dynamic_stack 0
		.amdhsa_system_sgpr_private_segment_wavefront_offset 0
		.amdhsa_system_sgpr_workgroup_id_x 1
		.amdhsa_system_sgpr_workgroup_id_y 0
		.amdhsa_system_sgpr_workgroup_id_z 0
		.amdhsa_system_sgpr_workgroup_info 0
		.amdhsa_system_vgpr_workitem_id 0
		.amdhsa_next_free_vgpr 1
		.amdhsa_next_free_sgpr 0
		.amdhsa_accum_offset 4
		.amdhsa_reserve_vcc 0
		.amdhsa_reserve_flat_scratch 0
		.amdhsa_float_round_mode_32 0
		.amdhsa_float_round_mode_16_64 0
		.amdhsa_float_denorm_mode_32 3
		.amdhsa_float_denorm_mode_16_64 3
		.amdhsa_dx10_clamp 1
		.amdhsa_ieee_mode 1
		.amdhsa_fp16_overflow 0
		.amdhsa_tg_split 0
		.amdhsa_exception_fp_ieee_invalid_op 0
		.amdhsa_exception_fp_denorm_src 0
		.amdhsa_exception_fp_ieee_div_zero 0
		.amdhsa_exception_fp_ieee_overflow 0
		.amdhsa_exception_fp_ieee_underflow 0
		.amdhsa_exception_fp_ieee_inexact 0
		.amdhsa_exception_int_div_zero 0
	.end_amdhsa_kernel
	.section	.text._ZN7rocprim17ROCPRIM_400000_NS6detail17trampoline_kernelINS0_14default_configENS1_25partition_config_selectorILNS1_17partition_subalgoE2EyNS0_10empty_typeEbEEZZNS1_14partition_implILS5_2ELb0ES3_jN6thrust23THRUST_200600_302600_NS6detail15normal_iteratorINSA_7pointerIyNSA_11hip_rocprim3tagENSA_11use_defaultESG_EEEEPS6_NSA_18transform_iteratorI7is_evenIyENSC_INSA_10device_ptrIyEEEESG_SG_EENS0_5tupleIJPySJ_EEENSR_IJSJ_SJ_EEES6_PlJS6_EEE10hipError_tPvRmT3_T4_T5_T6_T7_T9_mT8_P12ihipStream_tbDpT10_ENKUlT_T0_E_clISt17integral_constantIbLb0EES1E_IbLb1EEEEDaS1A_S1B_EUlS1A_E_NS1_11comp_targetILNS1_3genE3ELNS1_11target_archE908ELNS1_3gpuE7ELNS1_3repE0EEENS1_30default_config_static_selectorELNS0_4arch9wavefront6targetE1EEEvT1_,"axG",@progbits,_ZN7rocprim17ROCPRIM_400000_NS6detail17trampoline_kernelINS0_14default_configENS1_25partition_config_selectorILNS1_17partition_subalgoE2EyNS0_10empty_typeEbEEZZNS1_14partition_implILS5_2ELb0ES3_jN6thrust23THRUST_200600_302600_NS6detail15normal_iteratorINSA_7pointerIyNSA_11hip_rocprim3tagENSA_11use_defaultESG_EEEEPS6_NSA_18transform_iteratorI7is_evenIyENSC_INSA_10device_ptrIyEEEESG_SG_EENS0_5tupleIJPySJ_EEENSR_IJSJ_SJ_EEES6_PlJS6_EEE10hipError_tPvRmT3_T4_T5_T6_T7_T9_mT8_P12ihipStream_tbDpT10_ENKUlT_T0_E_clISt17integral_constantIbLb0EES1E_IbLb1EEEEDaS1A_S1B_EUlS1A_E_NS1_11comp_targetILNS1_3genE3ELNS1_11target_archE908ELNS1_3gpuE7ELNS1_3repE0EEENS1_30default_config_static_selectorELNS0_4arch9wavefront6targetE1EEEvT1_,comdat
.Lfunc_end2031:
	.size	_ZN7rocprim17ROCPRIM_400000_NS6detail17trampoline_kernelINS0_14default_configENS1_25partition_config_selectorILNS1_17partition_subalgoE2EyNS0_10empty_typeEbEEZZNS1_14partition_implILS5_2ELb0ES3_jN6thrust23THRUST_200600_302600_NS6detail15normal_iteratorINSA_7pointerIyNSA_11hip_rocprim3tagENSA_11use_defaultESG_EEEEPS6_NSA_18transform_iteratorI7is_evenIyENSC_INSA_10device_ptrIyEEEESG_SG_EENS0_5tupleIJPySJ_EEENSR_IJSJ_SJ_EEES6_PlJS6_EEE10hipError_tPvRmT3_T4_T5_T6_T7_T9_mT8_P12ihipStream_tbDpT10_ENKUlT_T0_E_clISt17integral_constantIbLb0EES1E_IbLb1EEEEDaS1A_S1B_EUlS1A_E_NS1_11comp_targetILNS1_3genE3ELNS1_11target_archE908ELNS1_3gpuE7ELNS1_3repE0EEENS1_30default_config_static_selectorELNS0_4arch9wavefront6targetE1EEEvT1_, .Lfunc_end2031-_ZN7rocprim17ROCPRIM_400000_NS6detail17trampoline_kernelINS0_14default_configENS1_25partition_config_selectorILNS1_17partition_subalgoE2EyNS0_10empty_typeEbEEZZNS1_14partition_implILS5_2ELb0ES3_jN6thrust23THRUST_200600_302600_NS6detail15normal_iteratorINSA_7pointerIyNSA_11hip_rocprim3tagENSA_11use_defaultESG_EEEEPS6_NSA_18transform_iteratorI7is_evenIyENSC_INSA_10device_ptrIyEEEESG_SG_EENS0_5tupleIJPySJ_EEENSR_IJSJ_SJ_EEES6_PlJS6_EEE10hipError_tPvRmT3_T4_T5_T6_T7_T9_mT8_P12ihipStream_tbDpT10_ENKUlT_T0_E_clISt17integral_constantIbLb0EES1E_IbLb1EEEEDaS1A_S1B_EUlS1A_E_NS1_11comp_targetILNS1_3genE3ELNS1_11target_archE908ELNS1_3gpuE7ELNS1_3repE0EEENS1_30default_config_static_selectorELNS0_4arch9wavefront6targetE1EEEvT1_
                                        ; -- End function
	.section	.AMDGPU.csdata,"",@progbits
; Kernel info:
; codeLenInByte = 0
; NumSgprs: 4
; NumVgprs: 0
; NumAgprs: 0
; TotalNumVgprs: 0
; ScratchSize: 0
; MemoryBound: 0
; FloatMode: 240
; IeeeMode: 1
; LDSByteSize: 0 bytes/workgroup (compile time only)
; SGPRBlocks: 0
; VGPRBlocks: 0
; NumSGPRsForWavesPerEU: 4
; NumVGPRsForWavesPerEU: 1
; AccumOffset: 4
; Occupancy: 8
; WaveLimiterHint : 0
; COMPUTE_PGM_RSRC2:SCRATCH_EN: 0
; COMPUTE_PGM_RSRC2:USER_SGPR: 6
; COMPUTE_PGM_RSRC2:TRAP_HANDLER: 0
; COMPUTE_PGM_RSRC2:TGID_X_EN: 1
; COMPUTE_PGM_RSRC2:TGID_Y_EN: 0
; COMPUTE_PGM_RSRC2:TGID_Z_EN: 0
; COMPUTE_PGM_RSRC2:TIDIG_COMP_CNT: 0
; COMPUTE_PGM_RSRC3_GFX90A:ACCUM_OFFSET: 0
; COMPUTE_PGM_RSRC3_GFX90A:TG_SPLIT: 0
	.section	.text._ZN7rocprim17ROCPRIM_400000_NS6detail17trampoline_kernelINS0_14default_configENS1_25partition_config_selectorILNS1_17partition_subalgoE2EyNS0_10empty_typeEbEEZZNS1_14partition_implILS5_2ELb0ES3_jN6thrust23THRUST_200600_302600_NS6detail15normal_iteratorINSA_7pointerIyNSA_11hip_rocprim3tagENSA_11use_defaultESG_EEEEPS6_NSA_18transform_iteratorI7is_evenIyENSC_INSA_10device_ptrIyEEEESG_SG_EENS0_5tupleIJPySJ_EEENSR_IJSJ_SJ_EEES6_PlJS6_EEE10hipError_tPvRmT3_T4_T5_T6_T7_T9_mT8_P12ihipStream_tbDpT10_ENKUlT_T0_E_clISt17integral_constantIbLb0EES1E_IbLb1EEEEDaS1A_S1B_EUlS1A_E_NS1_11comp_targetILNS1_3genE2ELNS1_11target_archE906ELNS1_3gpuE6ELNS1_3repE0EEENS1_30default_config_static_selectorELNS0_4arch9wavefront6targetE1EEEvT1_,"axG",@progbits,_ZN7rocprim17ROCPRIM_400000_NS6detail17trampoline_kernelINS0_14default_configENS1_25partition_config_selectorILNS1_17partition_subalgoE2EyNS0_10empty_typeEbEEZZNS1_14partition_implILS5_2ELb0ES3_jN6thrust23THRUST_200600_302600_NS6detail15normal_iteratorINSA_7pointerIyNSA_11hip_rocprim3tagENSA_11use_defaultESG_EEEEPS6_NSA_18transform_iteratorI7is_evenIyENSC_INSA_10device_ptrIyEEEESG_SG_EENS0_5tupleIJPySJ_EEENSR_IJSJ_SJ_EEES6_PlJS6_EEE10hipError_tPvRmT3_T4_T5_T6_T7_T9_mT8_P12ihipStream_tbDpT10_ENKUlT_T0_E_clISt17integral_constantIbLb0EES1E_IbLb1EEEEDaS1A_S1B_EUlS1A_E_NS1_11comp_targetILNS1_3genE2ELNS1_11target_archE906ELNS1_3gpuE6ELNS1_3repE0EEENS1_30default_config_static_selectorELNS0_4arch9wavefront6targetE1EEEvT1_,comdat
	.protected	_ZN7rocprim17ROCPRIM_400000_NS6detail17trampoline_kernelINS0_14default_configENS1_25partition_config_selectorILNS1_17partition_subalgoE2EyNS0_10empty_typeEbEEZZNS1_14partition_implILS5_2ELb0ES3_jN6thrust23THRUST_200600_302600_NS6detail15normal_iteratorINSA_7pointerIyNSA_11hip_rocprim3tagENSA_11use_defaultESG_EEEEPS6_NSA_18transform_iteratorI7is_evenIyENSC_INSA_10device_ptrIyEEEESG_SG_EENS0_5tupleIJPySJ_EEENSR_IJSJ_SJ_EEES6_PlJS6_EEE10hipError_tPvRmT3_T4_T5_T6_T7_T9_mT8_P12ihipStream_tbDpT10_ENKUlT_T0_E_clISt17integral_constantIbLb0EES1E_IbLb1EEEEDaS1A_S1B_EUlS1A_E_NS1_11comp_targetILNS1_3genE2ELNS1_11target_archE906ELNS1_3gpuE6ELNS1_3repE0EEENS1_30default_config_static_selectorELNS0_4arch9wavefront6targetE1EEEvT1_ ; -- Begin function _ZN7rocprim17ROCPRIM_400000_NS6detail17trampoline_kernelINS0_14default_configENS1_25partition_config_selectorILNS1_17partition_subalgoE2EyNS0_10empty_typeEbEEZZNS1_14partition_implILS5_2ELb0ES3_jN6thrust23THRUST_200600_302600_NS6detail15normal_iteratorINSA_7pointerIyNSA_11hip_rocprim3tagENSA_11use_defaultESG_EEEEPS6_NSA_18transform_iteratorI7is_evenIyENSC_INSA_10device_ptrIyEEEESG_SG_EENS0_5tupleIJPySJ_EEENSR_IJSJ_SJ_EEES6_PlJS6_EEE10hipError_tPvRmT3_T4_T5_T6_T7_T9_mT8_P12ihipStream_tbDpT10_ENKUlT_T0_E_clISt17integral_constantIbLb0EES1E_IbLb1EEEEDaS1A_S1B_EUlS1A_E_NS1_11comp_targetILNS1_3genE2ELNS1_11target_archE906ELNS1_3gpuE6ELNS1_3repE0EEENS1_30default_config_static_selectorELNS0_4arch9wavefront6targetE1EEEvT1_
	.globl	_ZN7rocprim17ROCPRIM_400000_NS6detail17trampoline_kernelINS0_14default_configENS1_25partition_config_selectorILNS1_17partition_subalgoE2EyNS0_10empty_typeEbEEZZNS1_14partition_implILS5_2ELb0ES3_jN6thrust23THRUST_200600_302600_NS6detail15normal_iteratorINSA_7pointerIyNSA_11hip_rocprim3tagENSA_11use_defaultESG_EEEEPS6_NSA_18transform_iteratorI7is_evenIyENSC_INSA_10device_ptrIyEEEESG_SG_EENS0_5tupleIJPySJ_EEENSR_IJSJ_SJ_EEES6_PlJS6_EEE10hipError_tPvRmT3_T4_T5_T6_T7_T9_mT8_P12ihipStream_tbDpT10_ENKUlT_T0_E_clISt17integral_constantIbLb0EES1E_IbLb1EEEEDaS1A_S1B_EUlS1A_E_NS1_11comp_targetILNS1_3genE2ELNS1_11target_archE906ELNS1_3gpuE6ELNS1_3repE0EEENS1_30default_config_static_selectorELNS0_4arch9wavefront6targetE1EEEvT1_
	.p2align	8
	.type	_ZN7rocprim17ROCPRIM_400000_NS6detail17trampoline_kernelINS0_14default_configENS1_25partition_config_selectorILNS1_17partition_subalgoE2EyNS0_10empty_typeEbEEZZNS1_14partition_implILS5_2ELb0ES3_jN6thrust23THRUST_200600_302600_NS6detail15normal_iteratorINSA_7pointerIyNSA_11hip_rocprim3tagENSA_11use_defaultESG_EEEEPS6_NSA_18transform_iteratorI7is_evenIyENSC_INSA_10device_ptrIyEEEESG_SG_EENS0_5tupleIJPySJ_EEENSR_IJSJ_SJ_EEES6_PlJS6_EEE10hipError_tPvRmT3_T4_T5_T6_T7_T9_mT8_P12ihipStream_tbDpT10_ENKUlT_T0_E_clISt17integral_constantIbLb0EES1E_IbLb1EEEEDaS1A_S1B_EUlS1A_E_NS1_11comp_targetILNS1_3genE2ELNS1_11target_archE906ELNS1_3gpuE6ELNS1_3repE0EEENS1_30default_config_static_selectorELNS0_4arch9wavefront6targetE1EEEvT1_,@function
_ZN7rocprim17ROCPRIM_400000_NS6detail17trampoline_kernelINS0_14default_configENS1_25partition_config_selectorILNS1_17partition_subalgoE2EyNS0_10empty_typeEbEEZZNS1_14partition_implILS5_2ELb0ES3_jN6thrust23THRUST_200600_302600_NS6detail15normal_iteratorINSA_7pointerIyNSA_11hip_rocprim3tagENSA_11use_defaultESG_EEEEPS6_NSA_18transform_iteratorI7is_evenIyENSC_INSA_10device_ptrIyEEEESG_SG_EENS0_5tupleIJPySJ_EEENSR_IJSJ_SJ_EEES6_PlJS6_EEE10hipError_tPvRmT3_T4_T5_T6_T7_T9_mT8_P12ihipStream_tbDpT10_ENKUlT_T0_E_clISt17integral_constantIbLb0EES1E_IbLb1EEEEDaS1A_S1B_EUlS1A_E_NS1_11comp_targetILNS1_3genE2ELNS1_11target_archE906ELNS1_3gpuE6ELNS1_3repE0EEENS1_30default_config_static_selectorELNS0_4arch9wavefront6targetE1EEEvT1_: ; @_ZN7rocprim17ROCPRIM_400000_NS6detail17trampoline_kernelINS0_14default_configENS1_25partition_config_selectorILNS1_17partition_subalgoE2EyNS0_10empty_typeEbEEZZNS1_14partition_implILS5_2ELb0ES3_jN6thrust23THRUST_200600_302600_NS6detail15normal_iteratorINSA_7pointerIyNSA_11hip_rocprim3tagENSA_11use_defaultESG_EEEEPS6_NSA_18transform_iteratorI7is_evenIyENSC_INSA_10device_ptrIyEEEESG_SG_EENS0_5tupleIJPySJ_EEENSR_IJSJ_SJ_EEES6_PlJS6_EEE10hipError_tPvRmT3_T4_T5_T6_T7_T9_mT8_P12ihipStream_tbDpT10_ENKUlT_T0_E_clISt17integral_constantIbLb0EES1E_IbLb1EEEEDaS1A_S1B_EUlS1A_E_NS1_11comp_targetILNS1_3genE2ELNS1_11target_archE906ELNS1_3gpuE6ELNS1_3repE0EEENS1_30default_config_static_selectorELNS0_4arch9wavefront6targetE1EEEvT1_
; %bb.0:
	.section	.rodata,"a",@progbits
	.p2align	6, 0x0
	.amdhsa_kernel _ZN7rocprim17ROCPRIM_400000_NS6detail17trampoline_kernelINS0_14default_configENS1_25partition_config_selectorILNS1_17partition_subalgoE2EyNS0_10empty_typeEbEEZZNS1_14partition_implILS5_2ELb0ES3_jN6thrust23THRUST_200600_302600_NS6detail15normal_iteratorINSA_7pointerIyNSA_11hip_rocprim3tagENSA_11use_defaultESG_EEEEPS6_NSA_18transform_iteratorI7is_evenIyENSC_INSA_10device_ptrIyEEEESG_SG_EENS0_5tupleIJPySJ_EEENSR_IJSJ_SJ_EEES6_PlJS6_EEE10hipError_tPvRmT3_T4_T5_T6_T7_T9_mT8_P12ihipStream_tbDpT10_ENKUlT_T0_E_clISt17integral_constantIbLb0EES1E_IbLb1EEEEDaS1A_S1B_EUlS1A_E_NS1_11comp_targetILNS1_3genE2ELNS1_11target_archE906ELNS1_3gpuE6ELNS1_3repE0EEENS1_30default_config_static_selectorELNS0_4arch9wavefront6targetE1EEEvT1_
		.amdhsa_group_segment_fixed_size 0
		.amdhsa_private_segment_fixed_size 0
		.amdhsa_kernarg_size 144
		.amdhsa_user_sgpr_count 6
		.amdhsa_user_sgpr_private_segment_buffer 1
		.amdhsa_user_sgpr_dispatch_ptr 0
		.amdhsa_user_sgpr_queue_ptr 0
		.amdhsa_user_sgpr_kernarg_segment_ptr 1
		.amdhsa_user_sgpr_dispatch_id 0
		.amdhsa_user_sgpr_flat_scratch_init 0
		.amdhsa_user_sgpr_kernarg_preload_length 0
		.amdhsa_user_sgpr_kernarg_preload_offset 0
		.amdhsa_user_sgpr_private_segment_size 0
		.amdhsa_uses_dynamic_stack 0
		.amdhsa_system_sgpr_private_segment_wavefront_offset 0
		.amdhsa_system_sgpr_workgroup_id_x 1
		.amdhsa_system_sgpr_workgroup_id_y 0
		.amdhsa_system_sgpr_workgroup_id_z 0
		.amdhsa_system_sgpr_workgroup_info 0
		.amdhsa_system_vgpr_workitem_id 0
		.amdhsa_next_free_vgpr 1
		.amdhsa_next_free_sgpr 0
		.amdhsa_accum_offset 4
		.amdhsa_reserve_vcc 0
		.amdhsa_reserve_flat_scratch 0
		.amdhsa_float_round_mode_32 0
		.amdhsa_float_round_mode_16_64 0
		.amdhsa_float_denorm_mode_32 3
		.amdhsa_float_denorm_mode_16_64 3
		.amdhsa_dx10_clamp 1
		.amdhsa_ieee_mode 1
		.amdhsa_fp16_overflow 0
		.amdhsa_tg_split 0
		.amdhsa_exception_fp_ieee_invalid_op 0
		.amdhsa_exception_fp_denorm_src 0
		.amdhsa_exception_fp_ieee_div_zero 0
		.amdhsa_exception_fp_ieee_overflow 0
		.amdhsa_exception_fp_ieee_underflow 0
		.amdhsa_exception_fp_ieee_inexact 0
		.amdhsa_exception_int_div_zero 0
	.end_amdhsa_kernel
	.section	.text._ZN7rocprim17ROCPRIM_400000_NS6detail17trampoline_kernelINS0_14default_configENS1_25partition_config_selectorILNS1_17partition_subalgoE2EyNS0_10empty_typeEbEEZZNS1_14partition_implILS5_2ELb0ES3_jN6thrust23THRUST_200600_302600_NS6detail15normal_iteratorINSA_7pointerIyNSA_11hip_rocprim3tagENSA_11use_defaultESG_EEEEPS6_NSA_18transform_iteratorI7is_evenIyENSC_INSA_10device_ptrIyEEEESG_SG_EENS0_5tupleIJPySJ_EEENSR_IJSJ_SJ_EEES6_PlJS6_EEE10hipError_tPvRmT3_T4_T5_T6_T7_T9_mT8_P12ihipStream_tbDpT10_ENKUlT_T0_E_clISt17integral_constantIbLb0EES1E_IbLb1EEEEDaS1A_S1B_EUlS1A_E_NS1_11comp_targetILNS1_3genE2ELNS1_11target_archE906ELNS1_3gpuE6ELNS1_3repE0EEENS1_30default_config_static_selectorELNS0_4arch9wavefront6targetE1EEEvT1_,"axG",@progbits,_ZN7rocprim17ROCPRIM_400000_NS6detail17trampoline_kernelINS0_14default_configENS1_25partition_config_selectorILNS1_17partition_subalgoE2EyNS0_10empty_typeEbEEZZNS1_14partition_implILS5_2ELb0ES3_jN6thrust23THRUST_200600_302600_NS6detail15normal_iteratorINSA_7pointerIyNSA_11hip_rocprim3tagENSA_11use_defaultESG_EEEEPS6_NSA_18transform_iteratorI7is_evenIyENSC_INSA_10device_ptrIyEEEESG_SG_EENS0_5tupleIJPySJ_EEENSR_IJSJ_SJ_EEES6_PlJS6_EEE10hipError_tPvRmT3_T4_T5_T6_T7_T9_mT8_P12ihipStream_tbDpT10_ENKUlT_T0_E_clISt17integral_constantIbLb0EES1E_IbLb1EEEEDaS1A_S1B_EUlS1A_E_NS1_11comp_targetILNS1_3genE2ELNS1_11target_archE906ELNS1_3gpuE6ELNS1_3repE0EEENS1_30default_config_static_selectorELNS0_4arch9wavefront6targetE1EEEvT1_,comdat
.Lfunc_end2032:
	.size	_ZN7rocprim17ROCPRIM_400000_NS6detail17trampoline_kernelINS0_14default_configENS1_25partition_config_selectorILNS1_17partition_subalgoE2EyNS0_10empty_typeEbEEZZNS1_14partition_implILS5_2ELb0ES3_jN6thrust23THRUST_200600_302600_NS6detail15normal_iteratorINSA_7pointerIyNSA_11hip_rocprim3tagENSA_11use_defaultESG_EEEEPS6_NSA_18transform_iteratorI7is_evenIyENSC_INSA_10device_ptrIyEEEESG_SG_EENS0_5tupleIJPySJ_EEENSR_IJSJ_SJ_EEES6_PlJS6_EEE10hipError_tPvRmT3_T4_T5_T6_T7_T9_mT8_P12ihipStream_tbDpT10_ENKUlT_T0_E_clISt17integral_constantIbLb0EES1E_IbLb1EEEEDaS1A_S1B_EUlS1A_E_NS1_11comp_targetILNS1_3genE2ELNS1_11target_archE906ELNS1_3gpuE6ELNS1_3repE0EEENS1_30default_config_static_selectorELNS0_4arch9wavefront6targetE1EEEvT1_, .Lfunc_end2032-_ZN7rocprim17ROCPRIM_400000_NS6detail17trampoline_kernelINS0_14default_configENS1_25partition_config_selectorILNS1_17partition_subalgoE2EyNS0_10empty_typeEbEEZZNS1_14partition_implILS5_2ELb0ES3_jN6thrust23THRUST_200600_302600_NS6detail15normal_iteratorINSA_7pointerIyNSA_11hip_rocprim3tagENSA_11use_defaultESG_EEEEPS6_NSA_18transform_iteratorI7is_evenIyENSC_INSA_10device_ptrIyEEEESG_SG_EENS0_5tupleIJPySJ_EEENSR_IJSJ_SJ_EEES6_PlJS6_EEE10hipError_tPvRmT3_T4_T5_T6_T7_T9_mT8_P12ihipStream_tbDpT10_ENKUlT_T0_E_clISt17integral_constantIbLb0EES1E_IbLb1EEEEDaS1A_S1B_EUlS1A_E_NS1_11comp_targetILNS1_3genE2ELNS1_11target_archE906ELNS1_3gpuE6ELNS1_3repE0EEENS1_30default_config_static_selectorELNS0_4arch9wavefront6targetE1EEEvT1_
                                        ; -- End function
	.section	.AMDGPU.csdata,"",@progbits
; Kernel info:
; codeLenInByte = 0
; NumSgprs: 4
; NumVgprs: 0
; NumAgprs: 0
; TotalNumVgprs: 0
; ScratchSize: 0
; MemoryBound: 0
; FloatMode: 240
; IeeeMode: 1
; LDSByteSize: 0 bytes/workgroup (compile time only)
; SGPRBlocks: 0
; VGPRBlocks: 0
; NumSGPRsForWavesPerEU: 4
; NumVGPRsForWavesPerEU: 1
; AccumOffset: 4
; Occupancy: 8
; WaveLimiterHint : 0
; COMPUTE_PGM_RSRC2:SCRATCH_EN: 0
; COMPUTE_PGM_RSRC2:USER_SGPR: 6
; COMPUTE_PGM_RSRC2:TRAP_HANDLER: 0
; COMPUTE_PGM_RSRC2:TGID_X_EN: 1
; COMPUTE_PGM_RSRC2:TGID_Y_EN: 0
; COMPUTE_PGM_RSRC2:TGID_Z_EN: 0
; COMPUTE_PGM_RSRC2:TIDIG_COMP_CNT: 0
; COMPUTE_PGM_RSRC3_GFX90A:ACCUM_OFFSET: 0
; COMPUTE_PGM_RSRC3_GFX90A:TG_SPLIT: 0
	.section	.text._ZN7rocprim17ROCPRIM_400000_NS6detail17trampoline_kernelINS0_14default_configENS1_25partition_config_selectorILNS1_17partition_subalgoE2EyNS0_10empty_typeEbEEZZNS1_14partition_implILS5_2ELb0ES3_jN6thrust23THRUST_200600_302600_NS6detail15normal_iteratorINSA_7pointerIyNSA_11hip_rocprim3tagENSA_11use_defaultESG_EEEEPS6_NSA_18transform_iteratorI7is_evenIyENSC_INSA_10device_ptrIyEEEESG_SG_EENS0_5tupleIJPySJ_EEENSR_IJSJ_SJ_EEES6_PlJS6_EEE10hipError_tPvRmT3_T4_T5_T6_T7_T9_mT8_P12ihipStream_tbDpT10_ENKUlT_T0_E_clISt17integral_constantIbLb0EES1E_IbLb1EEEEDaS1A_S1B_EUlS1A_E_NS1_11comp_targetILNS1_3genE10ELNS1_11target_archE1200ELNS1_3gpuE4ELNS1_3repE0EEENS1_30default_config_static_selectorELNS0_4arch9wavefront6targetE1EEEvT1_,"axG",@progbits,_ZN7rocprim17ROCPRIM_400000_NS6detail17trampoline_kernelINS0_14default_configENS1_25partition_config_selectorILNS1_17partition_subalgoE2EyNS0_10empty_typeEbEEZZNS1_14partition_implILS5_2ELb0ES3_jN6thrust23THRUST_200600_302600_NS6detail15normal_iteratorINSA_7pointerIyNSA_11hip_rocprim3tagENSA_11use_defaultESG_EEEEPS6_NSA_18transform_iteratorI7is_evenIyENSC_INSA_10device_ptrIyEEEESG_SG_EENS0_5tupleIJPySJ_EEENSR_IJSJ_SJ_EEES6_PlJS6_EEE10hipError_tPvRmT3_T4_T5_T6_T7_T9_mT8_P12ihipStream_tbDpT10_ENKUlT_T0_E_clISt17integral_constantIbLb0EES1E_IbLb1EEEEDaS1A_S1B_EUlS1A_E_NS1_11comp_targetILNS1_3genE10ELNS1_11target_archE1200ELNS1_3gpuE4ELNS1_3repE0EEENS1_30default_config_static_selectorELNS0_4arch9wavefront6targetE1EEEvT1_,comdat
	.protected	_ZN7rocprim17ROCPRIM_400000_NS6detail17trampoline_kernelINS0_14default_configENS1_25partition_config_selectorILNS1_17partition_subalgoE2EyNS0_10empty_typeEbEEZZNS1_14partition_implILS5_2ELb0ES3_jN6thrust23THRUST_200600_302600_NS6detail15normal_iteratorINSA_7pointerIyNSA_11hip_rocprim3tagENSA_11use_defaultESG_EEEEPS6_NSA_18transform_iteratorI7is_evenIyENSC_INSA_10device_ptrIyEEEESG_SG_EENS0_5tupleIJPySJ_EEENSR_IJSJ_SJ_EEES6_PlJS6_EEE10hipError_tPvRmT3_T4_T5_T6_T7_T9_mT8_P12ihipStream_tbDpT10_ENKUlT_T0_E_clISt17integral_constantIbLb0EES1E_IbLb1EEEEDaS1A_S1B_EUlS1A_E_NS1_11comp_targetILNS1_3genE10ELNS1_11target_archE1200ELNS1_3gpuE4ELNS1_3repE0EEENS1_30default_config_static_selectorELNS0_4arch9wavefront6targetE1EEEvT1_ ; -- Begin function _ZN7rocprim17ROCPRIM_400000_NS6detail17trampoline_kernelINS0_14default_configENS1_25partition_config_selectorILNS1_17partition_subalgoE2EyNS0_10empty_typeEbEEZZNS1_14partition_implILS5_2ELb0ES3_jN6thrust23THRUST_200600_302600_NS6detail15normal_iteratorINSA_7pointerIyNSA_11hip_rocprim3tagENSA_11use_defaultESG_EEEEPS6_NSA_18transform_iteratorI7is_evenIyENSC_INSA_10device_ptrIyEEEESG_SG_EENS0_5tupleIJPySJ_EEENSR_IJSJ_SJ_EEES6_PlJS6_EEE10hipError_tPvRmT3_T4_T5_T6_T7_T9_mT8_P12ihipStream_tbDpT10_ENKUlT_T0_E_clISt17integral_constantIbLb0EES1E_IbLb1EEEEDaS1A_S1B_EUlS1A_E_NS1_11comp_targetILNS1_3genE10ELNS1_11target_archE1200ELNS1_3gpuE4ELNS1_3repE0EEENS1_30default_config_static_selectorELNS0_4arch9wavefront6targetE1EEEvT1_
	.globl	_ZN7rocprim17ROCPRIM_400000_NS6detail17trampoline_kernelINS0_14default_configENS1_25partition_config_selectorILNS1_17partition_subalgoE2EyNS0_10empty_typeEbEEZZNS1_14partition_implILS5_2ELb0ES3_jN6thrust23THRUST_200600_302600_NS6detail15normal_iteratorINSA_7pointerIyNSA_11hip_rocprim3tagENSA_11use_defaultESG_EEEEPS6_NSA_18transform_iteratorI7is_evenIyENSC_INSA_10device_ptrIyEEEESG_SG_EENS0_5tupleIJPySJ_EEENSR_IJSJ_SJ_EEES6_PlJS6_EEE10hipError_tPvRmT3_T4_T5_T6_T7_T9_mT8_P12ihipStream_tbDpT10_ENKUlT_T0_E_clISt17integral_constantIbLb0EES1E_IbLb1EEEEDaS1A_S1B_EUlS1A_E_NS1_11comp_targetILNS1_3genE10ELNS1_11target_archE1200ELNS1_3gpuE4ELNS1_3repE0EEENS1_30default_config_static_selectorELNS0_4arch9wavefront6targetE1EEEvT1_
	.p2align	8
	.type	_ZN7rocprim17ROCPRIM_400000_NS6detail17trampoline_kernelINS0_14default_configENS1_25partition_config_selectorILNS1_17partition_subalgoE2EyNS0_10empty_typeEbEEZZNS1_14partition_implILS5_2ELb0ES3_jN6thrust23THRUST_200600_302600_NS6detail15normal_iteratorINSA_7pointerIyNSA_11hip_rocprim3tagENSA_11use_defaultESG_EEEEPS6_NSA_18transform_iteratorI7is_evenIyENSC_INSA_10device_ptrIyEEEESG_SG_EENS0_5tupleIJPySJ_EEENSR_IJSJ_SJ_EEES6_PlJS6_EEE10hipError_tPvRmT3_T4_T5_T6_T7_T9_mT8_P12ihipStream_tbDpT10_ENKUlT_T0_E_clISt17integral_constantIbLb0EES1E_IbLb1EEEEDaS1A_S1B_EUlS1A_E_NS1_11comp_targetILNS1_3genE10ELNS1_11target_archE1200ELNS1_3gpuE4ELNS1_3repE0EEENS1_30default_config_static_selectorELNS0_4arch9wavefront6targetE1EEEvT1_,@function
_ZN7rocprim17ROCPRIM_400000_NS6detail17trampoline_kernelINS0_14default_configENS1_25partition_config_selectorILNS1_17partition_subalgoE2EyNS0_10empty_typeEbEEZZNS1_14partition_implILS5_2ELb0ES3_jN6thrust23THRUST_200600_302600_NS6detail15normal_iteratorINSA_7pointerIyNSA_11hip_rocprim3tagENSA_11use_defaultESG_EEEEPS6_NSA_18transform_iteratorI7is_evenIyENSC_INSA_10device_ptrIyEEEESG_SG_EENS0_5tupleIJPySJ_EEENSR_IJSJ_SJ_EEES6_PlJS6_EEE10hipError_tPvRmT3_T4_T5_T6_T7_T9_mT8_P12ihipStream_tbDpT10_ENKUlT_T0_E_clISt17integral_constantIbLb0EES1E_IbLb1EEEEDaS1A_S1B_EUlS1A_E_NS1_11comp_targetILNS1_3genE10ELNS1_11target_archE1200ELNS1_3gpuE4ELNS1_3repE0EEENS1_30default_config_static_selectorELNS0_4arch9wavefront6targetE1EEEvT1_: ; @_ZN7rocprim17ROCPRIM_400000_NS6detail17trampoline_kernelINS0_14default_configENS1_25partition_config_selectorILNS1_17partition_subalgoE2EyNS0_10empty_typeEbEEZZNS1_14partition_implILS5_2ELb0ES3_jN6thrust23THRUST_200600_302600_NS6detail15normal_iteratorINSA_7pointerIyNSA_11hip_rocprim3tagENSA_11use_defaultESG_EEEEPS6_NSA_18transform_iteratorI7is_evenIyENSC_INSA_10device_ptrIyEEEESG_SG_EENS0_5tupleIJPySJ_EEENSR_IJSJ_SJ_EEES6_PlJS6_EEE10hipError_tPvRmT3_T4_T5_T6_T7_T9_mT8_P12ihipStream_tbDpT10_ENKUlT_T0_E_clISt17integral_constantIbLb0EES1E_IbLb1EEEEDaS1A_S1B_EUlS1A_E_NS1_11comp_targetILNS1_3genE10ELNS1_11target_archE1200ELNS1_3gpuE4ELNS1_3repE0EEENS1_30default_config_static_selectorELNS0_4arch9wavefront6targetE1EEEvT1_
; %bb.0:
	.section	.rodata,"a",@progbits
	.p2align	6, 0x0
	.amdhsa_kernel _ZN7rocprim17ROCPRIM_400000_NS6detail17trampoline_kernelINS0_14default_configENS1_25partition_config_selectorILNS1_17partition_subalgoE2EyNS0_10empty_typeEbEEZZNS1_14partition_implILS5_2ELb0ES3_jN6thrust23THRUST_200600_302600_NS6detail15normal_iteratorINSA_7pointerIyNSA_11hip_rocprim3tagENSA_11use_defaultESG_EEEEPS6_NSA_18transform_iteratorI7is_evenIyENSC_INSA_10device_ptrIyEEEESG_SG_EENS0_5tupleIJPySJ_EEENSR_IJSJ_SJ_EEES6_PlJS6_EEE10hipError_tPvRmT3_T4_T5_T6_T7_T9_mT8_P12ihipStream_tbDpT10_ENKUlT_T0_E_clISt17integral_constantIbLb0EES1E_IbLb1EEEEDaS1A_S1B_EUlS1A_E_NS1_11comp_targetILNS1_3genE10ELNS1_11target_archE1200ELNS1_3gpuE4ELNS1_3repE0EEENS1_30default_config_static_selectorELNS0_4arch9wavefront6targetE1EEEvT1_
		.amdhsa_group_segment_fixed_size 0
		.amdhsa_private_segment_fixed_size 0
		.amdhsa_kernarg_size 144
		.amdhsa_user_sgpr_count 6
		.amdhsa_user_sgpr_private_segment_buffer 1
		.amdhsa_user_sgpr_dispatch_ptr 0
		.amdhsa_user_sgpr_queue_ptr 0
		.amdhsa_user_sgpr_kernarg_segment_ptr 1
		.amdhsa_user_sgpr_dispatch_id 0
		.amdhsa_user_sgpr_flat_scratch_init 0
		.amdhsa_user_sgpr_kernarg_preload_length 0
		.amdhsa_user_sgpr_kernarg_preload_offset 0
		.amdhsa_user_sgpr_private_segment_size 0
		.amdhsa_uses_dynamic_stack 0
		.amdhsa_system_sgpr_private_segment_wavefront_offset 0
		.amdhsa_system_sgpr_workgroup_id_x 1
		.amdhsa_system_sgpr_workgroup_id_y 0
		.amdhsa_system_sgpr_workgroup_id_z 0
		.amdhsa_system_sgpr_workgroup_info 0
		.amdhsa_system_vgpr_workitem_id 0
		.amdhsa_next_free_vgpr 1
		.amdhsa_next_free_sgpr 0
		.amdhsa_accum_offset 4
		.amdhsa_reserve_vcc 0
		.amdhsa_reserve_flat_scratch 0
		.amdhsa_float_round_mode_32 0
		.amdhsa_float_round_mode_16_64 0
		.amdhsa_float_denorm_mode_32 3
		.amdhsa_float_denorm_mode_16_64 3
		.amdhsa_dx10_clamp 1
		.amdhsa_ieee_mode 1
		.amdhsa_fp16_overflow 0
		.amdhsa_tg_split 0
		.amdhsa_exception_fp_ieee_invalid_op 0
		.amdhsa_exception_fp_denorm_src 0
		.amdhsa_exception_fp_ieee_div_zero 0
		.amdhsa_exception_fp_ieee_overflow 0
		.amdhsa_exception_fp_ieee_underflow 0
		.amdhsa_exception_fp_ieee_inexact 0
		.amdhsa_exception_int_div_zero 0
	.end_amdhsa_kernel
	.section	.text._ZN7rocprim17ROCPRIM_400000_NS6detail17trampoline_kernelINS0_14default_configENS1_25partition_config_selectorILNS1_17partition_subalgoE2EyNS0_10empty_typeEbEEZZNS1_14partition_implILS5_2ELb0ES3_jN6thrust23THRUST_200600_302600_NS6detail15normal_iteratorINSA_7pointerIyNSA_11hip_rocprim3tagENSA_11use_defaultESG_EEEEPS6_NSA_18transform_iteratorI7is_evenIyENSC_INSA_10device_ptrIyEEEESG_SG_EENS0_5tupleIJPySJ_EEENSR_IJSJ_SJ_EEES6_PlJS6_EEE10hipError_tPvRmT3_T4_T5_T6_T7_T9_mT8_P12ihipStream_tbDpT10_ENKUlT_T0_E_clISt17integral_constantIbLb0EES1E_IbLb1EEEEDaS1A_S1B_EUlS1A_E_NS1_11comp_targetILNS1_3genE10ELNS1_11target_archE1200ELNS1_3gpuE4ELNS1_3repE0EEENS1_30default_config_static_selectorELNS0_4arch9wavefront6targetE1EEEvT1_,"axG",@progbits,_ZN7rocprim17ROCPRIM_400000_NS6detail17trampoline_kernelINS0_14default_configENS1_25partition_config_selectorILNS1_17partition_subalgoE2EyNS0_10empty_typeEbEEZZNS1_14partition_implILS5_2ELb0ES3_jN6thrust23THRUST_200600_302600_NS6detail15normal_iteratorINSA_7pointerIyNSA_11hip_rocprim3tagENSA_11use_defaultESG_EEEEPS6_NSA_18transform_iteratorI7is_evenIyENSC_INSA_10device_ptrIyEEEESG_SG_EENS0_5tupleIJPySJ_EEENSR_IJSJ_SJ_EEES6_PlJS6_EEE10hipError_tPvRmT3_T4_T5_T6_T7_T9_mT8_P12ihipStream_tbDpT10_ENKUlT_T0_E_clISt17integral_constantIbLb0EES1E_IbLb1EEEEDaS1A_S1B_EUlS1A_E_NS1_11comp_targetILNS1_3genE10ELNS1_11target_archE1200ELNS1_3gpuE4ELNS1_3repE0EEENS1_30default_config_static_selectorELNS0_4arch9wavefront6targetE1EEEvT1_,comdat
.Lfunc_end2033:
	.size	_ZN7rocprim17ROCPRIM_400000_NS6detail17trampoline_kernelINS0_14default_configENS1_25partition_config_selectorILNS1_17partition_subalgoE2EyNS0_10empty_typeEbEEZZNS1_14partition_implILS5_2ELb0ES3_jN6thrust23THRUST_200600_302600_NS6detail15normal_iteratorINSA_7pointerIyNSA_11hip_rocprim3tagENSA_11use_defaultESG_EEEEPS6_NSA_18transform_iteratorI7is_evenIyENSC_INSA_10device_ptrIyEEEESG_SG_EENS0_5tupleIJPySJ_EEENSR_IJSJ_SJ_EEES6_PlJS6_EEE10hipError_tPvRmT3_T4_T5_T6_T7_T9_mT8_P12ihipStream_tbDpT10_ENKUlT_T0_E_clISt17integral_constantIbLb0EES1E_IbLb1EEEEDaS1A_S1B_EUlS1A_E_NS1_11comp_targetILNS1_3genE10ELNS1_11target_archE1200ELNS1_3gpuE4ELNS1_3repE0EEENS1_30default_config_static_selectorELNS0_4arch9wavefront6targetE1EEEvT1_, .Lfunc_end2033-_ZN7rocprim17ROCPRIM_400000_NS6detail17trampoline_kernelINS0_14default_configENS1_25partition_config_selectorILNS1_17partition_subalgoE2EyNS0_10empty_typeEbEEZZNS1_14partition_implILS5_2ELb0ES3_jN6thrust23THRUST_200600_302600_NS6detail15normal_iteratorINSA_7pointerIyNSA_11hip_rocprim3tagENSA_11use_defaultESG_EEEEPS6_NSA_18transform_iteratorI7is_evenIyENSC_INSA_10device_ptrIyEEEESG_SG_EENS0_5tupleIJPySJ_EEENSR_IJSJ_SJ_EEES6_PlJS6_EEE10hipError_tPvRmT3_T4_T5_T6_T7_T9_mT8_P12ihipStream_tbDpT10_ENKUlT_T0_E_clISt17integral_constantIbLb0EES1E_IbLb1EEEEDaS1A_S1B_EUlS1A_E_NS1_11comp_targetILNS1_3genE10ELNS1_11target_archE1200ELNS1_3gpuE4ELNS1_3repE0EEENS1_30default_config_static_selectorELNS0_4arch9wavefront6targetE1EEEvT1_
                                        ; -- End function
	.section	.AMDGPU.csdata,"",@progbits
; Kernel info:
; codeLenInByte = 0
; NumSgprs: 4
; NumVgprs: 0
; NumAgprs: 0
; TotalNumVgprs: 0
; ScratchSize: 0
; MemoryBound: 0
; FloatMode: 240
; IeeeMode: 1
; LDSByteSize: 0 bytes/workgroup (compile time only)
; SGPRBlocks: 0
; VGPRBlocks: 0
; NumSGPRsForWavesPerEU: 4
; NumVGPRsForWavesPerEU: 1
; AccumOffset: 4
; Occupancy: 8
; WaveLimiterHint : 0
; COMPUTE_PGM_RSRC2:SCRATCH_EN: 0
; COMPUTE_PGM_RSRC2:USER_SGPR: 6
; COMPUTE_PGM_RSRC2:TRAP_HANDLER: 0
; COMPUTE_PGM_RSRC2:TGID_X_EN: 1
; COMPUTE_PGM_RSRC2:TGID_Y_EN: 0
; COMPUTE_PGM_RSRC2:TGID_Z_EN: 0
; COMPUTE_PGM_RSRC2:TIDIG_COMP_CNT: 0
; COMPUTE_PGM_RSRC3_GFX90A:ACCUM_OFFSET: 0
; COMPUTE_PGM_RSRC3_GFX90A:TG_SPLIT: 0
	.section	.text._ZN7rocprim17ROCPRIM_400000_NS6detail17trampoline_kernelINS0_14default_configENS1_25partition_config_selectorILNS1_17partition_subalgoE2EyNS0_10empty_typeEbEEZZNS1_14partition_implILS5_2ELb0ES3_jN6thrust23THRUST_200600_302600_NS6detail15normal_iteratorINSA_7pointerIyNSA_11hip_rocprim3tagENSA_11use_defaultESG_EEEEPS6_NSA_18transform_iteratorI7is_evenIyENSC_INSA_10device_ptrIyEEEESG_SG_EENS0_5tupleIJPySJ_EEENSR_IJSJ_SJ_EEES6_PlJS6_EEE10hipError_tPvRmT3_T4_T5_T6_T7_T9_mT8_P12ihipStream_tbDpT10_ENKUlT_T0_E_clISt17integral_constantIbLb0EES1E_IbLb1EEEEDaS1A_S1B_EUlS1A_E_NS1_11comp_targetILNS1_3genE9ELNS1_11target_archE1100ELNS1_3gpuE3ELNS1_3repE0EEENS1_30default_config_static_selectorELNS0_4arch9wavefront6targetE1EEEvT1_,"axG",@progbits,_ZN7rocprim17ROCPRIM_400000_NS6detail17trampoline_kernelINS0_14default_configENS1_25partition_config_selectorILNS1_17partition_subalgoE2EyNS0_10empty_typeEbEEZZNS1_14partition_implILS5_2ELb0ES3_jN6thrust23THRUST_200600_302600_NS6detail15normal_iteratorINSA_7pointerIyNSA_11hip_rocprim3tagENSA_11use_defaultESG_EEEEPS6_NSA_18transform_iteratorI7is_evenIyENSC_INSA_10device_ptrIyEEEESG_SG_EENS0_5tupleIJPySJ_EEENSR_IJSJ_SJ_EEES6_PlJS6_EEE10hipError_tPvRmT3_T4_T5_T6_T7_T9_mT8_P12ihipStream_tbDpT10_ENKUlT_T0_E_clISt17integral_constantIbLb0EES1E_IbLb1EEEEDaS1A_S1B_EUlS1A_E_NS1_11comp_targetILNS1_3genE9ELNS1_11target_archE1100ELNS1_3gpuE3ELNS1_3repE0EEENS1_30default_config_static_selectorELNS0_4arch9wavefront6targetE1EEEvT1_,comdat
	.protected	_ZN7rocprim17ROCPRIM_400000_NS6detail17trampoline_kernelINS0_14default_configENS1_25partition_config_selectorILNS1_17partition_subalgoE2EyNS0_10empty_typeEbEEZZNS1_14partition_implILS5_2ELb0ES3_jN6thrust23THRUST_200600_302600_NS6detail15normal_iteratorINSA_7pointerIyNSA_11hip_rocprim3tagENSA_11use_defaultESG_EEEEPS6_NSA_18transform_iteratorI7is_evenIyENSC_INSA_10device_ptrIyEEEESG_SG_EENS0_5tupleIJPySJ_EEENSR_IJSJ_SJ_EEES6_PlJS6_EEE10hipError_tPvRmT3_T4_T5_T6_T7_T9_mT8_P12ihipStream_tbDpT10_ENKUlT_T0_E_clISt17integral_constantIbLb0EES1E_IbLb1EEEEDaS1A_S1B_EUlS1A_E_NS1_11comp_targetILNS1_3genE9ELNS1_11target_archE1100ELNS1_3gpuE3ELNS1_3repE0EEENS1_30default_config_static_selectorELNS0_4arch9wavefront6targetE1EEEvT1_ ; -- Begin function _ZN7rocprim17ROCPRIM_400000_NS6detail17trampoline_kernelINS0_14default_configENS1_25partition_config_selectorILNS1_17partition_subalgoE2EyNS0_10empty_typeEbEEZZNS1_14partition_implILS5_2ELb0ES3_jN6thrust23THRUST_200600_302600_NS6detail15normal_iteratorINSA_7pointerIyNSA_11hip_rocprim3tagENSA_11use_defaultESG_EEEEPS6_NSA_18transform_iteratorI7is_evenIyENSC_INSA_10device_ptrIyEEEESG_SG_EENS0_5tupleIJPySJ_EEENSR_IJSJ_SJ_EEES6_PlJS6_EEE10hipError_tPvRmT3_T4_T5_T6_T7_T9_mT8_P12ihipStream_tbDpT10_ENKUlT_T0_E_clISt17integral_constantIbLb0EES1E_IbLb1EEEEDaS1A_S1B_EUlS1A_E_NS1_11comp_targetILNS1_3genE9ELNS1_11target_archE1100ELNS1_3gpuE3ELNS1_3repE0EEENS1_30default_config_static_selectorELNS0_4arch9wavefront6targetE1EEEvT1_
	.globl	_ZN7rocprim17ROCPRIM_400000_NS6detail17trampoline_kernelINS0_14default_configENS1_25partition_config_selectorILNS1_17partition_subalgoE2EyNS0_10empty_typeEbEEZZNS1_14partition_implILS5_2ELb0ES3_jN6thrust23THRUST_200600_302600_NS6detail15normal_iteratorINSA_7pointerIyNSA_11hip_rocprim3tagENSA_11use_defaultESG_EEEEPS6_NSA_18transform_iteratorI7is_evenIyENSC_INSA_10device_ptrIyEEEESG_SG_EENS0_5tupleIJPySJ_EEENSR_IJSJ_SJ_EEES6_PlJS6_EEE10hipError_tPvRmT3_T4_T5_T6_T7_T9_mT8_P12ihipStream_tbDpT10_ENKUlT_T0_E_clISt17integral_constantIbLb0EES1E_IbLb1EEEEDaS1A_S1B_EUlS1A_E_NS1_11comp_targetILNS1_3genE9ELNS1_11target_archE1100ELNS1_3gpuE3ELNS1_3repE0EEENS1_30default_config_static_selectorELNS0_4arch9wavefront6targetE1EEEvT1_
	.p2align	8
	.type	_ZN7rocprim17ROCPRIM_400000_NS6detail17trampoline_kernelINS0_14default_configENS1_25partition_config_selectorILNS1_17partition_subalgoE2EyNS0_10empty_typeEbEEZZNS1_14partition_implILS5_2ELb0ES3_jN6thrust23THRUST_200600_302600_NS6detail15normal_iteratorINSA_7pointerIyNSA_11hip_rocprim3tagENSA_11use_defaultESG_EEEEPS6_NSA_18transform_iteratorI7is_evenIyENSC_INSA_10device_ptrIyEEEESG_SG_EENS0_5tupleIJPySJ_EEENSR_IJSJ_SJ_EEES6_PlJS6_EEE10hipError_tPvRmT3_T4_T5_T6_T7_T9_mT8_P12ihipStream_tbDpT10_ENKUlT_T0_E_clISt17integral_constantIbLb0EES1E_IbLb1EEEEDaS1A_S1B_EUlS1A_E_NS1_11comp_targetILNS1_3genE9ELNS1_11target_archE1100ELNS1_3gpuE3ELNS1_3repE0EEENS1_30default_config_static_selectorELNS0_4arch9wavefront6targetE1EEEvT1_,@function
_ZN7rocprim17ROCPRIM_400000_NS6detail17trampoline_kernelINS0_14default_configENS1_25partition_config_selectorILNS1_17partition_subalgoE2EyNS0_10empty_typeEbEEZZNS1_14partition_implILS5_2ELb0ES3_jN6thrust23THRUST_200600_302600_NS6detail15normal_iteratorINSA_7pointerIyNSA_11hip_rocprim3tagENSA_11use_defaultESG_EEEEPS6_NSA_18transform_iteratorI7is_evenIyENSC_INSA_10device_ptrIyEEEESG_SG_EENS0_5tupleIJPySJ_EEENSR_IJSJ_SJ_EEES6_PlJS6_EEE10hipError_tPvRmT3_T4_T5_T6_T7_T9_mT8_P12ihipStream_tbDpT10_ENKUlT_T0_E_clISt17integral_constantIbLb0EES1E_IbLb1EEEEDaS1A_S1B_EUlS1A_E_NS1_11comp_targetILNS1_3genE9ELNS1_11target_archE1100ELNS1_3gpuE3ELNS1_3repE0EEENS1_30default_config_static_selectorELNS0_4arch9wavefront6targetE1EEEvT1_: ; @_ZN7rocprim17ROCPRIM_400000_NS6detail17trampoline_kernelINS0_14default_configENS1_25partition_config_selectorILNS1_17partition_subalgoE2EyNS0_10empty_typeEbEEZZNS1_14partition_implILS5_2ELb0ES3_jN6thrust23THRUST_200600_302600_NS6detail15normal_iteratorINSA_7pointerIyNSA_11hip_rocprim3tagENSA_11use_defaultESG_EEEEPS6_NSA_18transform_iteratorI7is_evenIyENSC_INSA_10device_ptrIyEEEESG_SG_EENS0_5tupleIJPySJ_EEENSR_IJSJ_SJ_EEES6_PlJS6_EEE10hipError_tPvRmT3_T4_T5_T6_T7_T9_mT8_P12ihipStream_tbDpT10_ENKUlT_T0_E_clISt17integral_constantIbLb0EES1E_IbLb1EEEEDaS1A_S1B_EUlS1A_E_NS1_11comp_targetILNS1_3genE9ELNS1_11target_archE1100ELNS1_3gpuE3ELNS1_3repE0EEENS1_30default_config_static_selectorELNS0_4arch9wavefront6targetE1EEEvT1_
; %bb.0:
	.section	.rodata,"a",@progbits
	.p2align	6, 0x0
	.amdhsa_kernel _ZN7rocprim17ROCPRIM_400000_NS6detail17trampoline_kernelINS0_14default_configENS1_25partition_config_selectorILNS1_17partition_subalgoE2EyNS0_10empty_typeEbEEZZNS1_14partition_implILS5_2ELb0ES3_jN6thrust23THRUST_200600_302600_NS6detail15normal_iteratorINSA_7pointerIyNSA_11hip_rocprim3tagENSA_11use_defaultESG_EEEEPS6_NSA_18transform_iteratorI7is_evenIyENSC_INSA_10device_ptrIyEEEESG_SG_EENS0_5tupleIJPySJ_EEENSR_IJSJ_SJ_EEES6_PlJS6_EEE10hipError_tPvRmT3_T4_T5_T6_T7_T9_mT8_P12ihipStream_tbDpT10_ENKUlT_T0_E_clISt17integral_constantIbLb0EES1E_IbLb1EEEEDaS1A_S1B_EUlS1A_E_NS1_11comp_targetILNS1_3genE9ELNS1_11target_archE1100ELNS1_3gpuE3ELNS1_3repE0EEENS1_30default_config_static_selectorELNS0_4arch9wavefront6targetE1EEEvT1_
		.amdhsa_group_segment_fixed_size 0
		.amdhsa_private_segment_fixed_size 0
		.amdhsa_kernarg_size 144
		.amdhsa_user_sgpr_count 6
		.amdhsa_user_sgpr_private_segment_buffer 1
		.amdhsa_user_sgpr_dispatch_ptr 0
		.amdhsa_user_sgpr_queue_ptr 0
		.amdhsa_user_sgpr_kernarg_segment_ptr 1
		.amdhsa_user_sgpr_dispatch_id 0
		.amdhsa_user_sgpr_flat_scratch_init 0
		.amdhsa_user_sgpr_kernarg_preload_length 0
		.amdhsa_user_sgpr_kernarg_preload_offset 0
		.amdhsa_user_sgpr_private_segment_size 0
		.amdhsa_uses_dynamic_stack 0
		.amdhsa_system_sgpr_private_segment_wavefront_offset 0
		.amdhsa_system_sgpr_workgroup_id_x 1
		.amdhsa_system_sgpr_workgroup_id_y 0
		.amdhsa_system_sgpr_workgroup_id_z 0
		.amdhsa_system_sgpr_workgroup_info 0
		.amdhsa_system_vgpr_workitem_id 0
		.amdhsa_next_free_vgpr 1
		.amdhsa_next_free_sgpr 0
		.amdhsa_accum_offset 4
		.amdhsa_reserve_vcc 0
		.amdhsa_reserve_flat_scratch 0
		.amdhsa_float_round_mode_32 0
		.amdhsa_float_round_mode_16_64 0
		.amdhsa_float_denorm_mode_32 3
		.amdhsa_float_denorm_mode_16_64 3
		.amdhsa_dx10_clamp 1
		.amdhsa_ieee_mode 1
		.amdhsa_fp16_overflow 0
		.amdhsa_tg_split 0
		.amdhsa_exception_fp_ieee_invalid_op 0
		.amdhsa_exception_fp_denorm_src 0
		.amdhsa_exception_fp_ieee_div_zero 0
		.amdhsa_exception_fp_ieee_overflow 0
		.amdhsa_exception_fp_ieee_underflow 0
		.amdhsa_exception_fp_ieee_inexact 0
		.amdhsa_exception_int_div_zero 0
	.end_amdhsa_kernel
	.section	.text._ZN7rocprim17ROCPRIM_400000_NS6detail17trampoline_kernelINS0_14default_configENS1_25partition_config_selectorILNS1_17partition_subalgoE2EyNS0_10empty_typeEbEEZZNS1_14partition_implILS5_2ELb0ES3_jN6thrust23THRUST_200600_302600_NS6detail15normal_iteratorINSA_7pointerIyNSA_11hip_rocprim3tagENSA_11use_defaultESG_EEEEPS6_NSA_18transform_iteratorI7is_evenIyENSC_INSA_10device_ptrIyEEEESG_SG_EENS0_5tupleIJPySJ_EEENSR_IJSJ_SJ_EEES6_PlJS6_EEE10hipError_tPvRmT3_T4_T5_T6_T7_T9_mT8_P12ihipStream_tbDpT10_ENKUlT_T0_E_clISt17integral_constantIbLb0EES1E_IbLb1EEEEDaS1A_S1B_EUlS1A_E_NS1_11comp_targetILNS1_3genE9ELNS1_11target_archE1100ELNS1_3gpuE3ELNS1_3repE0EEENS1_30default_config_static_selectorELNS0_4arch9wavefront6targetE1EEEvT1_,"axG",@progbits,_ZN7rocprim17ROCPRIM_400000_NS6detail17trampoline_kernelINS0_14default_configENS1_25partition_config_selectorILNS1_17partition_subalgoE2EyNS0_10empty_typeEbEEZZNS1_14partition_implILS5_2ELb0ES3_jN6thrust23THRUST_200600_302600_NS6detail15normal_iteratorINSA_7pointerIyNSA_11hip_rocprim3tagENSA_11use_defaultESG_EEEEPS6_NSA_18transform_iteratorI7is_evenIyENSC_INSA_10device_ptrIyEEEESG_SG_EENS0_5tupleIJPySJ_EEENSR_IJSJ_SJ_EEES6_PlJS6_EEE10hipError_tPvRmT3_T4_T5_T6_T7_T9_mT8_P12ihipStream_tbDpT10_ENKUlT_T0_E_clISt17integral_constantIbLb0EES1E_IbLb1EEEEDaS1A_S1B_EUlS1A_E_NS1_11comp_targetILNS1_3genE9ELNS1_11target_archE1100ELNS1_3gpuE3ELNS1_3repE0EEENS1_30default_config_static_selectorELNS0_4arch9wavefront6targetE1EEEvT1_,comdat
.Lfunc_end2034:
	.size	_ZN7rocprim17ROCPRIM_400000_NS6detail17trampoline_kernelINS0_14default_configENS1_25partition_config_selectorILNS1_17partition_subalgoE2EyNS0_10empty_typeEbEEZZNS1_14partition_implILS5_2ELb0ES3_jN6thrust23THRUST_200600_302600_NS6detail15normal_iteratorINSA_7pointerIyNSA_11hip_rocprim3tagENSA_11use_defaultESG_EEEEPS6_NSA_18transform_iteratorI7is_evenIyENSC_INSA_10device_ptrIyEEEESG_SG_EENS0_5tupleIJPySJ_EEENSR_IJSJ_SJ_EEES6_PlJS6_EEE10hipError_tPvRmT3_T4_T5_T6_T7_T9_mT8_P12ihipStream_tbDpT10_ENKUlT_T0_E_clISt17integral_constantIbLb0EES1E_IbLb1EEEEDaS1A_S1B_EUlS1A_E_NS1_11comp_targetILNS1_3genE9ELNS1_11target_archE1100ELNS1_3gpuE3ELNS1_3repE0EEENS1_30default_config_static_selectorELNS0_4arch9wavefront6targetE1EEEvT1_, .Lfunc_end2034-_ZN7rocprim17ROCPRIM_400000_NS6detail17trampoline_kernelINS0_14default_configENS1_25partition_config_selectorILNS1_17partition_subalgoE2EyNS0_10empty_typeEbEEZZNS1_14partition_implILS5_2ELb0ES3_jN6thrust23THRUST_200600_302600_NS6detail15normal_iteratorINSA_7pointerIyNSA_11hip_rocprim3tagENSA_11use_defaultESG_EEEEPS6_NSA_18transform_iteratorI7is_evenIyENSC_INSA_10device_ptrIyEEEESG_SG_EENS0_5tupleIJPySJ_EEENSR_IJSJ_SJ_EEES6_PlJS6_EEE10hipError_tPvRmT3_T4_T5_T6_T7_T9_mT8_P12ihipStream_tbDpT10_ENKUlT_T0_E_clISt17integral_constantIbLb0EES1E_IbLb1EEEEDaS1A_S1B_EUlS1A_E_NS1_11comp_targetILNS1_3genE9ELNS1_11target_archE1100ELNS1_3gpuE3ELNS1_3repE0EEENS1_30default_config_static_selectorELNS0_4arch9wavefront6targetE1EEEvT1_
                                        ; -- End function
	.section	.AMDGPU.csdata,"",@progbits
; Kernel info:
; codeLenInByte = 0
; NumSgprs: 4
; NumVgprs: 0
; NumAgprs: 0
; TotalNumVgprs: 0
; ScratchSize: 0
; MemoryBound: 0
; FloatMode: 240
; IeeeMode: 1
; LDSByteSize: 0 bytes/workgroup (compile time only)
; SGPRBlocks: 0
; VGPRBlocks: 0
; NumSGPRsForWavesPerEU: 4
; NumVGPRsForWavesPerEU: 1
; AccumOffset: 4
; Occupancy: 8
; WaveLimiterHint : 0
; COMPUTE_PGM_RSRC2:SCRATCH_EN: 0
; COMPUTE_PGM_RSRC2:USER_SGPR: 6
; COMPUTE_PGM_RSRC2:TRAP_HANDLER: 0
; COMPUTE_PGM_RSRC2:TGID_X_EN: 1
; COMPUTE_PGM_RSRC2:TGID_Y_EN: 0
; COMPUTE_PGM_RSRC2:TGID_Z_EN: 0
; COMPUTE_PGM_RSRC2:TIDIG_COMP_CNT: 0
; COMPUTE_PGM_RSRC3_GFX90A:ACCUM_OFFSET: 0
; COMPUTE_PGM_RSRC3_GFX90A:TG_SPLIT: 0
	.section	.text._ZN7rocprim17ROCPRIM_400000_NS6detail17trampoline_kernelINS0_14default_configENS1_25partition_config_selectorILNS1_17partition_subalgoE2EyNS0_10empty_typeEbEEZZNS1_14partition_implILS5_2ELb0ES3_jN6thrust23THRUST_200600_302600_NS6detail15normal_iteratorINSA_7pointerIyNSA_11hip_rocprim3tagENSA_11use_defaultESG_EEEEPS6_NSA_18transform_iteratorI7is_evenIyENSC_INSA_10device_ptrIyEEEESG_SG_EENS0_5tupleIJPySJ_EEENSR_IJSJ_SJ_EEES6_PlJS6_EEE10hipError_tPvRmT3_T4_T5_T6_T7_T9_mT8_P12ihipStream_tbDpT10_ENKUlT_T0_E_clISt17integral_constantIbLb0EES1E_IbLb1EEEEDaS1A_S1B_EUlS1A_E_NS1_11comp_targetILNS1_3genE8ELNS1_11target_archE1030ELNS1_3gpuE2ELNS1_3repE0EEENS1_30default_config_static_selectorELNS0_4arch9wavefront6targetE1EEEvT1_,"axG",@progbits,_ZN7rocprim17ROCPRIM_400000_NS6detail17trampoline_kernelINS0_14default_configENS1_25partition_config_selectorILNS1_17partition_subalgoE2EyNS0_10empty_typeEbEEZZNS1_14partition_implILS5_2ELb0ES3_jN6thrust23THRUST_200600_302600_NS6detail15normal_iteratorINSA_7pointerIyNSA_11hip_rocprim3tagENSA_11use_defaultESG_EEEEPS6_NSA_18transform_iteratorI7is_evenIyENSC_INSA_10device_ptrIyEEEESG_SG_EENS0_5tupleIJPySJ_EEENSR_IJSJ_SJ_EEES6_PlJS6_EEE10hipError_tPvRmT3_T4_T5_T6_T7_T9_mT8_P12ihipStream_tbDpT10_ENKUlT_T0_E_clISt17integral_constantIbLb0EES1E_IbLb1EEEEDaS1A_S1B_EUlS1A_E_NS1_11comp_targetILNS1_3genE8ELNS1_11target_archE1030ELNS1_3gpuE2ELNS1_3repE0EEENS1_30default_config_static_selectorELNS0_4arch9wavefront6targetE1EEEvT1_,comdat
	.protected	_ZN7rocprim17ROCPRIM_400000_NS6detail17trampoline_kernelINS0_14default_configENS1_25partition_config_selectorILNS1_17partition_subalgoE2EyNS0_10empty_typeEbEEZZNS1_14partition_implILS5_2ELb0ES3_jN6thrust23THRUST_200600_302600_NS6detail15normal_iteratorINSA_7pointerIyNSA_11hip_rocprim3tagENSA_11use_defaultESG_EEEEPS6_NSA_18transform_iteratorI7is_evenIyENSC_INSA_10device_ptrIyEEEESG_SG_EENS0_5tupleIJPySJ_EEENSR_IJSJ_SJ_EEES6_PlJS6_EEE10hipError_tPvRmT3_T4_T5_T6_T7_T9_mT8_P12ihipStream_tbDpT10_ENKUlT_T0_E_clISt17integral_constantIbLb0EES1E_IbLb1EEEEDaS1A_S1B_EUlS1A_E_NS1_11comp_targetILNS1_3genE8ELNS1_11target_archE1030ELNS1_3gpuE2ELNS1_3repE0EEENS1_30default_config_static_selectorELNS0_4arch9wavefront6targetE1EEEvT1_ ; -- Begin function _ZN7rocprim17ROCPRIM_400000_NS6detail17trampoline_kernelINS0_14default_configENS1_25partition_config_selectorILNS1_17partition_subalgoE2EyNS0_10empty_typeEbEEZZNS1_14partition_implILS5_2ELb0ES3_jN6thrust23THRUST_200600_302600_NS6detail15normal_iteratorINSA_7pointerIyNSA_11hip_rocprim3tagENSA_11use_defaultESG_EEEEPS6_NSA_18transform_iteratorI7is_evenIyENSC_INSA_10device_ptrIyEEEESG_SG_EENS0_5tupleIJPySJ_EEENSR_IJSJ_SJ_EEES6_PlJS6_EEE10hipError_tPvRmT3_T4_T5_T6_T7_T9_mT8_P12ihipStream_tbDpT10_ENKUlT_T0_E_clISt17integral_constantIbLb0EES1E_IbLb1EEEEDaS1A_S1B_EUlS1A_E_NS1_11comp_targetILNS1_3genE8ELNS1_11target_archE1030ELNS1_3gpuE2ELNS1_3repE0EEENS1_30default_config_static_selectorELNS0_4arch9wavefront6targetE1EEEvT1_
	.globl	_ZN7rocprim17ROCPRIM_400000_NS6detail17trampoline_kernelINS0_14default_configENS1_25partition_config_selectorILNS1_17partition_subalgoE2EyNS0_10empty_typeEbEEZZNS1_14partition_implILS5_2ELb0ES3_jN6thrust23THRUST_200600_302600_NS6detail15normal_iteratorINSA_7pointerIyNSA_11hip_rocprim3tagENSA_11use_defaultESG_EEEEPS6_NSA_18transform_iteratorI7is_evenIyENSC_INSA_10device_ptrIyEEEESG_SG_EENS0_5tupleIJPySJ_EEENSR_IJSJ_SJ_EEES6_PlJS6_EEE10hipError_tPvRmT3_T4_T5_T6_T7_T9_mT8_P12ihipStream_tbDpT10_ENKUlT_T0_E_clISt17integral_constantIbLb0EES1E_IbLb1EEEEDaS1A_S1B_EUlS1A_E_NS1_11comp_targetILNS1_3genE8ELNS1_11target_archE1030ELNS1_3gpuE2ELNS1_3repE0EEENS1_30default_config_static_selectorELNS0_4arch9wavefront6targetE1EEEvT1_
	.p2align	8
	.type	_ZN7rocprim17ROCPRIM_400000_NS6detail17trampoline_kernelINS0_14default_configENS1_25partition_config_selectorILNS1_17partition_subalgoE2EyNS0_10empty_typeEbEEZZNS1_14partition_implILS5_2ELb0ES3_jN6thrust23THRUST_200600_302600_NS6detail15normal_iteratorINSA_7pointerIyNSA_11hip_rocprim3tagENSA_11use_defaultESG_EEEEPS6_NSA_18transform_iteratorI7is_evenIyENSC_INSA_10device_ptrIyEEEESG_SG_EENS0_5tupleIJPySJ_EEENSR_IJSJ_SJ_EEES6_PlJS6_EEE10hipError_tPvRmT3_T4_T5_T6_T7_T9_mT8_P12ihipStream_tbDpT10_ENKUlT_T0_E_clISt17integral_constantIbLb0EES1E_IbLb1EEEEDaS1A_S1B_EUlS1A_E_NS1_11comp_targetILNS1_3genE8ELNS1_11target_archE1030ELNS1_3gpuE2ELNS1_3repE0EEENS1_30default_config_static_selectorELNS0_4arch9wavefront6targetE1EEEvT1_,@function
_ZN7rocprim17ROCPRIM_400000_NS6detail17trampoline_kernelINS0_14default_configENS1_25partition_config_selectorILNS1_17partition_subalgoE2EyNS0_10empty_typeEbEEZZNS1_14partition_implILS5_2ELb0ES3_jN6thrust23THRUST_200600_302600_NS6detail15normal_iteratorINSA_7pointerIyNSA_11hip_rocprim3tagENSA_11use_defaultESG_EEEEPS6_NSA_18transform_iteratorI7is_evenIyENSC_INSA_10device_ptrIyEEEESG_SG_EENS0_5tupleIJPySJ_EEENSR_IJSJ_SJ_EEES6_PlJS6_EEE10hipError_tPvRmT3_T4_T5_T6_T7_T9_mT8_P12ihipStream_tbDpT10_ENKUlT_T0_E_clISt17integral_constantIbLb0EES1E_IbLb1EEEEDaS1A_S1B_EUlS1A_E_NS1_11comp_targetILNS1_3genE8ELNS1_11target_archE1030ELNS1_3gpuE2ELNS1_3repE0EEENS1_30default_config_static_selectorELNS0_4arch9wavefront6targetE1EEEvT1_: ; @_ZN7rocprim17ROCPRIM_400000_NS6detail17trampoline_kernelINS0_14default_configENS1_25partition_config_selectorILNS1_17partition_subalgoE2EyNS0_10empty_typeEbEEZZNS1_14partition_implILS5_2ELb0ES3_jN6thrust23THRUST_200600_302600_NS6detail15normal_iteratorINSA_7pointerIyNSA_11hip_rocprim3tagENSA_11use_defaultESG_EEEEPS6_NSA_18transform_iteratorI7is_evenIyENSC_INSA_10device_ptrIyEEEESG_SG_EENS0_5tupleIJPySJ_EEENSR_IJSJ_SJ_EEES6_PlJS6_EEE10hipError_tPvRmT3_T4_T5_T6_T7_T9_mT8_P12ihipStream_tbDpT10_ENKUlT_T0_E_clISt17integral_constantIbLb0EES1E_IbLb1EEEEDaS1A_S1B_EUlS1A_E_NS1_11comp_targetILNS1_3genE8ELNS1_11target_archE1030ELNS1_3gpuE2ELNS1_3repE0EEENS1_30default_config_static_selectorELNS0_4arch9wavefront6targetE1EEEvT1_
; %bb.0:
	.section	.rodata,"a",@progbits
	.p2align	6, 0x0
	.amdhsa_kernel _ZN7rocprim17ROCPRIM_400000_NS6detail17trampoline_kernelINS0_14default_configENS1_25partition_config_selectorILNS1_17partition_subalgoE2EyNS0_10empty_typeEbEEZZNS1_14partition_implILS5_2ELb0ES3_jN6thrust23THRUST_200600_302600_NS6detail15normal_iteratorINSA_7pointerIyNSA_11hip_rocprim3tagENSA_11use_defaultESG_EEEEPS6_NSA_18transform_iteratorI7is_evenIyENSC_INSA_10device_ptrIyEEEESG_SG_EENS0_5tupleIJPySJ_EEENSR_IJSJ_SJ_EEES6_PlJS6_EEE10hipError_tPvRmT3_T4_T5_T6_T7_T9_mT8_P12ihipStream_tbDpT10_ENKUlT_T0_E_clISt17integral_constantIbLb0EES1E_IbLb1EEEEDaS1A_S1B_EUlS1A_E_NS1_11comp_targetILNS1_3genE8ELNS1_11target_archE1030ELNS1_3gpuE2ELNS1_3repE0EEENS1_30default_config_static_selectorELNS0_4arch9wavefront6targetE1EEEvT1_
		.amdhsa_group_segment_fixed_size 0
		.amdhsa_private_segment_fixed_size 0
		.amdhsa_kernarg_size 144
		.amdhsa_user_sgpr_count 6
		.amdhsa_user_sgpr_private_segment_buffer 1
		.amdhsa_user_sgpr_dispatch_ptr 0
		.amdhsa_user_sgpr_queue_ptr 0
		.amdhsa_user_sgpr_kernarg_segment_ptr 1
		.amdhsa_user_sgpr_dispatch_id 0
		.amdhsa_user_sgpr_flat_scratch_init 0
		.amdhsa_user_sgpr_kernarg_preload_length 0
		.amdhsa_user_sgpr_kernarg_preload_offset 0
		.amdhsa_user_sgpr_private_segment_size 0
		.amdhsa_uses_dynamic_stack 0
		.amdhsa_system_sgpr_private_segment_wavefront_offset 0
		.amdhsa_system_sgpr_workgroup_id_x 1
		.amdhsa_system_sgpr_workgroup_id_y 0
		.amdhsa_system_sgpr_workgroup_id_z 0
		.amdhsa_system_sgpr_workgroup_info 0
		.amdhsa_system_vgpr_workitem_id 0
		.amdhsa_next_free_vgpr 1
		.amdhsa_next_free_sgpr 0
		.amdhsa_accum_offset 4
		.amdhsa_reserve_vcc 0
		.amdhsa_reserve_flat_scratch 0
		.amdhsa_float_round_mode_32 0
		.amdhsa_float_round_mode_16_64 0
		.amdhsa_float_denorm_mode_32 3
		.amdhsa_float_denorm_mode_16_64 3
		.amdhsa_dx10_clamp 1
		.amdhsa_ieee_mode 1
		.amdhsa_fp16_overflow 0
		.amdhsa_tg_split 0
		.amdhsa_exception_fp_ieee_invalid_op 0
		.amdhsa_exception_fp_denorm_src 0
		.amdhsa_exception_fp_ieee_div_zero 0
		.amdhsa_exception_fp_ieee_overflow 0
		.amdhsa_exception_fp_ieee_underflow 0
		.amdhsa_exception_fp_ieee_inexact 0
		.amdhsa_exception_int_div_zero 0
	.end_amdhsa_kernel
	.section	.text._ZN7rocprim17ROCPRIM_400000_NS6detail17trampoline_kernelINS0_14default_configENS1_25partition_config_selectorILNS1_17partition_subalgoE2EyNS0_10empty_typeEbEEZZNS1_14partition_implILS5_2ELb0ES3_jN6thrust23THRUST_200600_302600_NS6detail15normal_iteratorINSA_7pointerIyNSA_11hip_rocprim3tagENSA_11use_defaultESG_EEEEPS6_NSA_18transform_iteratorI7is_evenIyENSC_INSA_10device_ptrIyEEEESG_SG_EENS0_5tupleIJPySJ_EEENSR_IJSJ_SJ_EEES6_PlJS6_EEE10hipError_tPvRmT3_T4_T5_T6_T7_T9_mT8_P12ihipStream_tbDpT10_ENKUlT_T0_E_clISt17integral_constantIbLb0EES1E_IbLb1EEEEDaS1A_S1B_EUlS1A_E_NS1_11comp_targetILNS1_3genE8ELNS1_11target_archE1030ELNS1_3gpuE2ELNS1_3repE0EEENS1_30default_config_static_selectorELNS0_4arch9wavefront6targetE1EEEvT1_,"axG",@progbits,_ZN7rocprim17ROCPRIM_400000_NS6detail17trampoline_kernelINS0_14default_configENS1_25partition_config_selectorILNS1_17partition_subalgoE2EyNS0_10empty_typeEbEEZZNS1_14partition_implILS5_2ELb0ES3_jN6thrust23THRUST_200600_302600_NS6detail15normal_iteratorINSA_7pointerIyNSA_11hip_rocprim3tagENSA_11use_defaultESG_EEEEPS6_NSA_18transform_iteratorI7is_evenIyENSC_INSA_10device_ptrIyEEEESG_SG_EENS0_5tupleIJPySJ_EEENSR_IJSJ_SJ_EEES6_PlJS6_EEE10hipError_tPvRmT3_T4_T5_T6_T7_T9_mT8_P12ihipStream_tbDpT10_ENKUlT_T0_E_clISt17integral_constantIbLb0EES1E_IbLb1EEEEDaS1A_S1B_EUlS1A_E_NS1_11comp_targetILNS1_3genE8ELNS1_11target_archE1030ELNS1_3gpuE2ELNS1_3repE0EEENS1_30default_config_static_selectorELNS0_4arch9wavefront6targetE1EEEvT1_,comdat
.Lfunc_end2035:
	.size	_ZN7rocprim17ROCPRIM_400000_NS6detail17trampoline_kernelINS0_14default_configENS1_25partition_config_selectorILNS1_17partition_subalgoE2EyNS0_10empty_typeEbEEZZNS1_14partition_implILS5_2ELb0ES3_jN6thrust23THRUST_200600_302600_NS6detail15normal_iteratorINSA_7pointerIyNSA_11hip_rocprim3tagENSA_11use_defaultESG_EEEEPS6_NSA_18transform_iteratorI7is_evenIyENSC_INSA_10device_ptrIyEEEESG_SG_EENS0_5tupleIJPySJ_EEENSR_IJSJ_SJ_EEES6_PlJS6_EEE10hipError_tPvRmT3_T4_T5_T6_T7_T9_mT8_P12ihipStream_tbDpT10_ENKUlT_T0_E_clISt17integral_constantIbLb0EES1E_IbLb1EEEEDaS1A_S1B_EUlS1A_E_NS1_11comp_targetILNS1_3genE8ELNS1_11target_archE1030ELNS1_3gpuE2ELNS1_3repE0EEENS1_30default_config_static_selectorELNS0_4arch9wavefront6targetE1EEEvT1_, .Lfunc_end2035-_ZN7rocprim17ROCPRIM_400000_NS6detail17trampoline_kernelINS0_14default_configENS1_25partition_config_selectorILNS1_17partition_subalgoE2EyNS0_10empty_typeEbEEZZNS1_14partition_implILS5_2ELb0ES3_jN6thrust23THRUST_200600_302600_NS6detail15normal_iteratorINSA_7pointerIyNSA_11hip_rocprim3tagENSA_11use_defaultESG_EEEEPS6_NSA_18transform_iteratorI7is_evenIyENSC_INSA_10device_ptrIyEEEESG_SG_EENS0_5tupleIJPySJ_EEENSR_IJSJ_SJ_EEES6_PlJS6_EEE10hipError_tPvRmT3_T4_T5_T6_T7_T9_mT8_P12ihipStream_tbDpT10_ENKUlT_T0_E_clISt17integral_constantIbLb0EES1E_IbLb1EEEEDaS1A_S1B_EUlS1A_E_NS1_11comp_targetILNS1_3genE8ELNS1_11target_archE1030ELNS1_3gpuE2ELNS1_3repE0EEENS1_30default_config_static_selectorELNS0_4arch9wavefront6targetE1EEEvT1_
                                        ; -- End function
	.section	.AMDGPU.csdata,"",@progbits
; Kernel info:
; codeLenInByte = 0
; NumSgprs: 4
; NumVgprs: 0
; NumAgprs: 0
; TotalNumVgprs: 0
; ScratchSize: 0
; MemoryBound: 0
; FloatMode: 240
; IeeeMode: 1
; LDSByteSize: 0 bytes/workgroup (compile time only)
; SGPRBlocks: 0
; VGPRBlocks: 0
; NumSGPRsForWavesPerEU: 4
; NumVGPRsForWavesPerEU: 1
; AccumOffset: 4
; Occupancy: 8
; WaveLimiterHint : 0
; COMPUTE_PGM_RSRC2:SCRATCH_EN: 0
; COMPUTE_PGM_RSRC2:USER_SGPR: 6
; COMPUTE_PGM_RSRC2:TRAP_HANDLER: 0
; COMPUTE_PGM_RSRC2:TGID_X_EN: 1
; COMPUTE_PGM_RSRC2:TGID_Y_EN: 0
; COMPUTE_PGM_RSRC2:TGID_Z_EN: 0
; COMPUTE_PGM_RSRC2:TIDIG_COMP_CNT: 0
; COMPUTE_PGM_RSRC3_GFX90A:ACCUM_OFFSET: 0
; COMPUTE_PGM_RSRC3_GFX90A:TG_SPLIT: 0
	.section	.text._ZN6thrust23THRUST_200600_302600_NS11hip_rocprim14__parallel_for6kernelILj256ENS1_13__swap_ranges6swap_fINS0_6detail15normal_iteratorINS0_10device_ptrIyEEEENS0_16reverse_iteratorISA_EEEElLj1EEEvT0_T1_SF_,"axG",@progbits,_ZN6thrust23THRUST_200600_302600_NS11hip_rocprim14__parallel_for6kernelILj256ENS1_13__swap_ranges6swap_fINS0_6detail15normal_iteratorINS0_10device_ptrIyEEEENS0_16reverse_iteratorISA_EEEElLj1EEEvT0_T1_SF_,comdat
	.protected	_ZN6thrust23THRUST_200600_302600_NS11hip_rocprim14__parallel_for6kernelILj256ENS1_13__swap_ranges6swap_fINS0_6detail15normal_iteratorINS0_10device_ptrIyEEEENS0_16reverse_iteratorISA_EEEElLj1EEEvT0_T1_SF_ ; -- Begin function _ZN6thrust23THRUST_200600_302600_NS11hip_rocprim14__parallel_for6kernelILj256ENS1_13__swap_ranges6swap_fINS0_6detail15normal_iteratorINS0_10device_ptrIyEEEENS0_16reverse_iteratorISA_EEEElLj1EEEvT0_T1_SF_
	.globl	_ZN6thrust23THRUST_200600_302600_NS11hip_rocprim14__parallel_for6kernelILj256ENS1_13__swap_ranges6swap_fINS0_6detail15normal_iteratorINS0_10device_ptrIyEEEENS0_16reverse_iteratorISA_EEEElLj1EEEvT0_T1_SF_
	.p2align	8
	.type	_ZN6thrust23THRUST_200600_302600_NS11hip_rocprim14__parallel_for6kernelILj256ENS1_13__swap_ranges6swap_fINS0_6detail15normal_iteratorINS0_10device_ptrIyEEEENS0_16reverse_iteratorISA_EEEElLj1EEEvT0_T1_SF_,@function
_ZN6thrust23THRUST_200600_302600_NS11hip_rocprim14__parallel_for6kernelILj256ENS1_13__swap_ranges6swap_fINS0_6detail15normal_iteratorINS0_10device_ptrIyEEEENS0_16reverse_iteratorISA_EEEElLj1EEEvT0_T1_SF_: ; @_ZN6thrust23THRUST_200600_302600_NS11hip_rocprim14__parallel_for6kernelILj256ENS1_13__swap_ranges6swap_fINS0_6detail15normal_iteratorINS0_10device_ptrIyEEEENS0_16reverse_iteratorISA_EEEElLj1EEEvT0_T1_SF_
; %bb.0:
	s_load_dwordx8 s[8:15], s[4:5], 0x0
	s_lshl_b32 s0, s6, 8
	v_mov_b32_e32 v2, 0x100
	v_mov_b32_e32 v3, 0
	s_waitcnt lgkmcnt(0)
	s_add_u32 s2, s0, s14
	s_addc_u32 s3, 0, s15
	s_sub_u32 s0, s12, s2
	s_subb_u32 s1, s13, s3
	v_cmp_lt_i64_e32 vcc, s[0:1], v[2:3]
	s_and_b64 s[4:5], vcc, exec
	s_cselect_b32 s4, s0, 0x100
	s_cmpk_lg_i32 s4, 0x100
	s_mov_b64 s[0:1], -1
	s_cbranch_scc1 .LBB2036_3
; %bb.1:
	s_andn2_b64 vcc, exec, s[0:1]
	s_cbranch_vccz .LBB2036_6
.LBB2036_2:
	s_endpgm
.LBB2036_3:
	v_cmp_gt_u32_e32 vcc, s4, v0
	s_and_saveexec_b64 s[0:1], vcc
	s_cbranch_execz .LBB2036_5
; %bb.4:
	v_mov_b32_e32 v1, s3
	v_add_co_u32_e32 v2, vcc, s2, v0
	v_addc_co_u32_e32 v3, vcc, 0, v1, vcc
	v_lshlrev_b64 v[2:3], 3, v[2:3]
	v_mov_b32_e32 v1, s11
	v_sub_co_u32_e32 v4, vcc, s10, v2
	v_subb_co_u32_e32 v1, vcc, v1, v3, vcc
	v_mov_b32_e32 v5, s9
	v_add_co_u32_e32 v2, vcc, s8, v2
	v_addc_co_u32_e32 v3, vcc, v5, v3, vcc
	v_add_co_u32_e32 v4, vcc, -8, v4
	v_addc_co_u32_e32 v5, vcc, -1, v1, vcc
	flat_load_dwordx2 v[6:7], v[4:5]
	flat_load_dwordx2 v[8:9], v[2:3]
	s_waitcnt vmcnt(0) lgkmcnt(0)
	flat_store_dwordx2 v[2:3], v[6:7]
	flat_store_dwordx2 v[4:5], v[8:9]
.LBB2036_5:
	s_or_b64 exec, exec, s[0:1]
	s_cbranch_execnz .LBB2036_2
.LBB2036_6:
	v_mov_b32_e32 v1, s3
	v_add_co_u32_e32 v0, vcc, s2, v0
	v_addc_co_u32_e32 v1, vcc, 0, v1, vcc
	v_lshlrev_b64 v[0:1], 3, v[0:1]
	v_mov_b32_e32 v3, s9
	v_add_co_u32_e32 v2, vcc, s8, v0
	v_addc_co_u32_e32 v3, vcc, v3, v1, vcc
	v_mov_b32_e32 v4, s11
	v_sub_co_u32_e32 v0, vcc, s10, v0
	v_subb_co_u32_e32 v1, vcc, v4, v1, vcc
	v_add_co_u32_e32 v0, vcc, -8, v0
	v_addc_co_u32_e32 v1, vcc, -1, v1, vcc
	flat_load_dwordx2 v[4:5], v[0:1]
	flat_load_dwordx2 v[6:7], v[2:3]
	s_waitcnt vmcnt(0) lgkmcnt(0)
	flat_store_dwordx2 v[2:3], v[4:5]
	flat_store_dwordx2 v[0:1], v[6:7]
	s_endpgm
	.section	.rodata,"a",@progbits
	.p2align	6, 0x0
	.amdhsa_kernel _ZN6thrust23THRUST_200600_302600_NS11hip_rocprim14__parallel_for6kernelILj256ENS1_13__swap_ranges6swap_fINS0_6detail15normal_iteratorINS0_10device_ptrIyEEEENS0_16reverse_iteratorISA_EEEElLj1EEEvT0_T1_SF_
		.amdhsa_group_segment_fixed_size 0
		.amdhsa_private_segment_fixed_size 0
		.amdhsa_kernarg_size 32
		.amdhsa_user_sgpr_count 6
		.amdhsa_user_sgpr_private_segment_buffer 1
		.amdhsa_user_sgpr_dispatch_ptr 0
		.amdhsa_user_sgpr_queue_ptr 0
		.amdhsa_user_sgpr_kernarg_segment_ptr 1
		.amdhsa_user_sgpr_dispatch_id 0
		.amdhsa_user_sgpr_flat_scratch_init 0
		.amdhsa_user_sgpr_kernarg_preload_length 0
		.amdhsa_user_sgpr_kernarg_preload_offset 0
		.amdhsa_user_sgpr_private_segment_size 0
		.amdhsa_uses_dynamic_stack 0
		.amdhsa_system_sgpr_private_segment_wavefront_offset 0
		.amdhsa_system_sgpr_workgroup_id_x 1
		.amdhsa_system_sgpr_workgroup_id_y 0
		.amdhsa_system_sgpr_workgroup_id_z 0
		.amdhsa_system_sgpr_workgroup_info 0
		.amdhsa_system_vgpr_workitem_id 0
		.amdhsa_next_free_vgpr 10
		.amdhsa_next_free_sgpr 16
		.amdhsa_accum_offset 12
		.amdhsa_reserve_vcc 1
		.amdhsa_reserve_flat_scratch 0
		.amdhsa_float_round_mode_32 0
		.amdhsa_float_round_mode_16_64 0
		.amdhsa_float_denorm_mode_32 3
		.amdhsa_float_denorm_mode_16_64 3
		.amdhsa_dx10_clamp 1
		.amdhsa_ieee_mode 1
		.amdhsa_fp16_overflow 0
		.amdhsa_tg_split 0
		.amdhsa_exception_fp_ieee_invalid_op 0
		.amdhsa_exception_fp_denorm_src 0
		.amdhsa_exception_fp_ieee_div_zero 0
		.amdhsa_exception_fp_ieee_overflow 0
		.amdhsa_exception_fp_ieee_underflow 0
		.amdhsa_exception_fp_ieee_inexact 0
		.amdhsa_exception_int_div_zero 0
	.end_amdhsa_kernel
	.section	.text._ZN6thrust23THRUST_200600_302600_NS11hip_rocprim14__parallel_for6kernelILj256ENS1_13__swap_ranges6swap_fINS0_6detail15normal_iteratorINS0_10device_ptrIyEEEENS0_16reverse_iteratorISA_EEEElLj1EEEvT0_T1_SF_,"axG",@progbits,_ZN6thrust23THRUST_200600_302600_NS11hip_rocprim14__parallel_for6kernelILj256ENS1_13__swap_ranges6swap_fINS0_6detail15normal_iteratorINS0_10device_ptrIyEEEENS0_16reverse_iteratorISA_EEEElLj1EEEvT0_T1_SF_,comdat
.Lfunc_end2036:
	.size	_ZN6thrust23THRUST_200600_302600_NS11hip_rocprim14__parallel_for6kernelILj256ENS1_13__swap_ranges6swap_fINS0_6detail15normal_iteratorINS0_10device_ptrIyEEEENS0_16reverse_iteratorISA_EEEElLj1EEEvT0_T1_SF_, .Lfunc_end2036-_ZN6thrust23THRUST_200600_302600_NS11hip_rocprim14__parallel_for6kernelILj256ENS1_13__swap_ranges6swap_fINS0_6detail15normal_iteratorINS0_10device_ptrIyEEEENS0_16reverse_iteratorISA_EEEElLj1EEEvT0_T1_SF_
                                        ; -- End function
	.section	.AMDGPU.csdata,"",@progbits
; Kernel info:
; codeLenInByte = 284
; NumSgprs: 20
; NumVgprs: 10
; NumAgprs: 0
; TotalNumVgprs: 10
; ScratchSize: 0
; MemoryBound: 0
; FloatMode: 240
; IeeeMode: 1
; LDSByteSize: 0 bytes/workgroup (compile time only)
; SGPRBlocks: 2
; VGPRBlocks: 1
; NumSGPRsForWavesPerEU: 20
; NumVGPRsForWavesPerEU: 10
; AccumOffset: 12
; Occupancy: 8
; WaveLimiterHint : 0
; COMPUTE_PGM_RSRC2:SCRATCH_EN: 0
; COMPUTE_PGM_RSRC2:USER_SGPR: 6
; COMPUTE_PGM_RSRC2:TRAP_HANDLER: 0
; COMPUTE_PGM_RSRC2:TGID_X_EN: 1
; COMPUTE_PGM_RSRC2:TGID_Y_EN: 0
; COMPUTE_PGM_RSRC2:TGID_Z_EN: 0
; COMPUTE_PGM_RSRC2:TIDIG_COMP_CNT: 0
; COMPUTE_PGM_RSRC3_GFX90A:ACCUM_OFFSET: 2
; COMPUTE_PGM_RSRC3_GFX90A:TG_SPLIT: 0
	.section	.text._ZN7rocprim17ROCPRIM_400000_NS6detail17trampoline_kernelINS0_14default_configENS1_25partition_config_selectorILNS1_17partition_subalgoE2EjNS0_10empty_typeEbEEZZNS1_14partition_implILS5_2ELb0ES3_jN6thrust23THRUST_200600_302600_NS6detail15normal_iteratorINSA_7pointerIjNSA_11hip_rocprim3tagENSA_11use_defaultESG_EEEEPS6_NSA_18transform_iteratorI7is_evenIjENSC_INSA_10device_ptrIjEEEESG_SG_EENS0_5tupleIJPjSJ_EEENSR_IJSJ_SJ_EEES6_PlJS6_EEE10hipError_tPvRmT3_T4_T5_T6_T7_T9_mT8_P12ihipStream_tbDpT10_ENKUlT_T0_E_clISt17integral_constantIbLb0EES1F_EEDaS1A_S1B_EUlS1A_E_NS1_11comp_targetILNS1_3genE0ELNS1_11target_archE4294967295ELNS1_3gpuE0ELNS1_3repE0EEENS1_30default_config_static_selectorELNS0_4arch9wavefront6targetE1EEEvT1_,"axG",@progbits,_ZN7rocprim17ROCPRIM_400000_NS6detail17trampoline_kernelINS0_14default_configENS1_25partition_config_selectorILNS1_17partition_subalgoE2EjNS0_10empty_typeEbEEZZNS1_14partition_implILS5_2ELb0ES3_jN6thrust23THRUST_200600_302600_NS6detail15normal_iteratorINSA_7pointerIjNSA_11hip_rocprim3tagENSA_11use_defaultESG_EEEEPS6_NSA_18transform_iteratorI7is_evenIjENSC_INSA_10device_ptrIjEEEESG_SG_EENS0_5tupleIJPjSJ_EEENSR_IJSJ_SJ_EEES6_PlJS6_EEE10hipError_tPvRmT3_T4_T5_T6_T7_T9_mT8_P12ihipStream_tbDpT10_ENKUlT_T0_E_clISt17integral_constantIbLb0EES1F_EEDaS1A_S1B_EUlS1A_E_NS1_11comp_targetILNS1_3genE0ELNS1_11target_archE4294967295ELNS1_3gpuE0ELNS1_3repE0EEENS1_30default_config_static_selectorELNS0_4arch9wavefront6targetE1EEEvT1_,comdat
	.protected	_ZN7rocprim17ROCPRIM_400000_NS6detail17trampoline_kernelINS0_14default_configENS1_25partition_config_selectorILNS1_17partition_subalgoE2EjNS0_10empty_typeEbEEZZNS1_14partition_implILS5_2ELb0ES3_jN6thrust23THRUST_200600_302600_NS6detail15normal_iteratorINSA_7pointerIjNSA_11hip_rocprim3tagENSA_11use_defaultESG_EEEEPS6_NSA_18transform_iteratorI7is_evenIjENSC_INSA_10device_ptrIjEEEESG_SG_EENS0_5tupleIJPjSJ_EEENSR_IJSJ_SJ_EEES6_PlJS6_EEE10hipError_tPvRmT3_T4_T5_T6_T7_T9_mT8_P12ihipStream_tbDpT10_ENKUlT_T0_E_clISt17integral_constantIbLb0EES1F_EEDaS1A_S1B_EUlS1A_E_NS1_11comp_targetILNS1_3genE0ELNS1_11target_archE4294967295ELNS1_3gpuE0ELNS1_3repE0EEENS1_30default_config_static_selectorELNS0_4arch9wavefront6targetE1EEEvT1_ ; -- Begin function _ZN7rocprim17ROCPRIM_400000_NS6detail17trampoline_kernelINS0_14default_configENS1_25partition_config_selectorILNS1_17partition_subalgoE2EjNS0_10empty_typeEbEEZZNS1_14partition_implILS5_2ELb0ES3_jN6thrust23THRUST_200600_302600_NS6detail15normal_iteratorINSA_7pointerIjNSA_11hip_rocprim3tagENSA_11use_defaultESG_EEEEPS6_NSA_18transform_iteratorI7is_evenIjENSC_INSA_10device_ptrIjEEEESG_SG_EENS0_5tupleIJPjSJ_EEENSR_IJSJ_SJ_EEES6_PlJS6_EEE10hipError_tPvRmT3_T4_T5_T6_T7_T9_mT8_P12ihipStream_tbDpT10_ENKUlT_T0_E_clISt17integral_constantIbLb0EES1F_EEDaS1A_S1B_EUlS1A_E_NS1_11comp_targetILNS1_3genE0ELNS1_11target_archE4294967295ELNS1_3gpuE0ELNS1_3repE0EEENS1_30default_config_static_selectorELNS0_4arch9wavefront6targetE1EEEvT1_
	.globl	_ZN7rocprim17ROCPRIM_400000_NS6detail17trampoline_kernelINS0_14default_configENS1_25partition_config_selectorILNS1_17partition_subalgoE2EjNS0_10empty_typeEbEEZZNS1_14partition_implILS5_2ELb0ES3_jN6thrust23THRUST_200600_302600_NS6detail15normal_iteratorINSA_7pointerIjNSA_11hip_rocprim3tagENSA_11use_defaultESG_EEEEPS6_NSA_18transform_iteratorI7is_evenIjENSC_INSA_10device_ptrIjEEEESG_SG_EENS0_5tupleIJPjSJ_EEENSR_IJSJ_SJ_EEES6_PlJS6_EEE10hipError_tPvRmT3_T4_T5_T6_T7_T9_mT8_P12ihipStream_tbDpT10_ENKUlT_T0_E_clISt17integral_constantIbLb0EES1F_EEDaS1A_S1B_EUlS1A_E_NS1_11comp_targetILNS1_3genE0ELNS1_11target_archE4294967295ELNS1_3gpuE0ELNS1_3repE0EEENS1_30default_config_static_selectorELNS0_4arch9wavefront6targetE1EEEvT1_
	.p2align	8
	.type	_ZN7rocprim17ROCPRIM_400000_NS6detail17trampoline_kernelINS0_14default_configENS1_25partition_config_selectorILNS1_17partition_subalgoE2EjNS0_10empty_typeEbEEZZNS1_14partition_implILS5_2ELb0ES3_jN6thrust23THRUST_200600_302600_NS6detail15normal_iteratorINSA_7pointerIjNSA_11hip_rocprim3tagENSA_11use_defaultESG_EEEEPS6_NSA_18transform_iteratorI7is_evenIjENSC_INSA_10device_ptrIjEEEESG_SG_EENS0_5tupleIJPjSJ_EEENSR_IJSJ_SJ_EEES6_PlJS6_EEE10hipError_tPvRmT3_T4_T5_T6_T7_T9_mT8_P12ihipStream_tbDpT10_ENKUlT_T0_E_clISt17integral_constantIbLb0EES1F_EEDaS1A_S1B_EUlS1A_E_NS1_11comp_targetILNS1_3genE0ELNS1_11target_archE4294967295ELNS1_3gpuE0ELNS1_3repE0EEENS1_30default_config_static_selectorELNS0_4arch9wavefront6targetE1EEEvT1_,@function
_ZN7rocprim17ROCPRIM_400000_NS6detail17trampoline_kernelINS0_14default_configENS1_25partition_config_selectorILNS1_17partition_subalgoE2EjNS0_10empty_typeEbEEZZNS1_14partition_implILS5_2ELb0ES3_jN6thrust23THRUST_200600_302600_NS6detail15normal_iteratorINSA_7pointerIjNSA_11hip_rocprim3tagENSA_11use_defaultESG_EEEEPS6_NSA_18transform_iteratorI7is_evenIjENSC_INSA_10device_ptrIjEEEESG_SG_EENS0_5tupleIJPjSJ_EEENSR_IJSJ_SJ_EEES6_PlJS6_EEE10hipError_tPvRmT3_T4_T5_T6_T7_T9_mT8_P12ihipStream_tbDpT10_ENKUlT_T0_E_clISt17integral_constantIbLb0EES1F_EEDaS1A_S1B_EUlS1A_E_NS1_11comp_targetILNS1_3genE0ELNS1_11target_archE4294967295ELNS1_3gpuE0ELNS1_3repE0EEENS1_30default_config_static_selectorELNS0_4arch9wavefront6targetE1EEEvT1_: ; @_ZN7rocprim17ROCPRIM_400000_NS6detail17trampoline_kernelINS0_14default_configENS1_25partition_config_selectorILNS1_17partition_subalgoE2EjNS0_10empty_typeEbEEZZNS1_14partition_implILS5_2ELb0ES3_jN6thrust23THRUST_200600_302600_NS6detail15normal_iteratorINSA_7pointerIjNSA_11hip_rocprim3tagENSA_11use_defaultESG_EEEEPS6_NSA_18transform_iteratorI7is_evenIjENSC_INSA_10device_ptrIjEEEESG_SG_EENS0_5tupleIJPjSJ_EEENSR_IJSJ_SJ_EEES6_PlJS6_EEE10hipError_tPvRmT3_T4_T5_T6_T7_T9_mT8_P12ihipStream_tbDpT10_ENKUlT_T0_E_clISt17integral_constantIbLb0EES1F_EEDaS1A_S1B_EUlS1A_E_NS1_11comp_targetILNS1_3genE0ELNS1_11target_archE4294967295ELNS1_3gpuE0ELNS1_3repE0EEENS1_30default_config_static_selectorELNS0_4arch9wavefront6targetE1EEEvT1_
; %bb.0:
	.section	.rodata,"a",@progbits
	.p2align	6, 0x0
	.amdhsa_kernel _ZN7rocprim17ROCPRIM_400000_NS6detail17trampoline_kernelINS0_14default_configENS1_25partition_config_selectorILNS1_17partition_subalgoE2EjNS0_10empty_typeEbEEZZNS1_14partition_implILS5_2ELb0ES3_jN6thrust23THRUST_200600_302600_NS6detail15normal_iteratorINSA_7pointerIjNSA_11hip_rocprim3tagENSA_11use_defaultESG_EEEEPS6_NSA_18transform_iteratorI7is_evenIjENSC_INSA_10device_ptrIjEEEESG_SG_EENS0_5tupleIJPjSJ_EEENSR_IJSJ_SJ_EEES6_PlJS6_EEE10hipError_tPvRmT3_T4_T5_T6_T7_T9_mT8_P12ihipStream_tbDpT10_ENKUlT_T0_E_clISt17integral_constantIbLb0EES1F_EEDaS1A_S1B_EUlS1A_E_NS1_11comp_targetILNS1_3genE0ELNS1_11target_archE4294967295ELNS1_3gpuE0ELNS1_3repE0EEENS1_30default_config_static_selectorELNS0_4arch9wavefront6targetE1EEEvT1_
		.amdhsa_group_segment_fixed_size 0
		.amdhsa_private_segment_fixed_size 0
		.amdhsa_kernarg_size 128
		.amdhsa_user_sgpr_count 6
		.amdhsa_user_sgpr_private_segment_buffer 1
		.amdhsa_user_sgpr_dispatch_ptr 0
		.amdhsa_user_sgpr_queue_ptr 0
		.amdhsa_user_sgpr_kernarg_segment_ptr 1
		.amdhsa_user_sgpr_dispatch_id 0
		.amdhsa_user_sgpr_flat_scratch_init 0
		.amdhsa_user_sgpr_kernarg_preload_length 0
		.amdhsa_user_sgpr_kernarg_preload_offset 0
		.amdhsa_user_sgpr_private_segment_size 0
		.amdhsa_uses_dynamic_stack 0
		.amdhsa_system_sgpr_private_segment_wavefront_offset 0
		.amdhsa_system_sgpr_workgroup_id_x 1
		.amdhsa_system_sgpr_workgroup_id_y 0
		.amdhsa_system_sgpr_workgroup_id_z 0
		.amdhsa_system_sgpr_workgroup_info 0
		.amdhsa_system_vgpr_workitem_id 0
		.amdhsa_next_free_vgpr 1
		.amdhsa_next_free_sgpr 0
		.amdhsa_accum_offset 4
		.amdhsa_reserve_vcc 0
		.amdhsa_reserve_flat_scratch 0
		.amdhsa_float_round_mode_32 0
		.amdhsa_float_round_mode_16_64 0
		.amdhsa_float_denorm_mode_32 3
		.amdhsa_float_denorm_mode_16_64 3
		.amdhsa_dx10_clamp 1
		.amdhsa_ieee_mode 1
		.amdhsa_fp16_overflow 0
		.amdhsa_tg_split 0
		.amdhsa_exception_fp_ieee_invalid_op 0
		.amdhsa_exception_fp_denorm_src 0
		.amdhsa_exception_fp_ieee_div_zero 0
		.amdhsa_exception_fp_ieee_overflow 0
		.amdhsa_exception_fp_ieee_underflow 0
		.amdhsa_exception_fp_ieee_inexact 0
		.amdhsa_exception_int_div_zero 0
	.end_amdhsa_kernel
	.section	.text._ZN7rocprim17ROCPRIM_400000_NS6detail17trampoline_kernelINS0_14default_configENS1_25partition_config_selectorILNS1_17partition_subalgoE2EjNS0_10empty_typeEbEEZZNS1_14partition_implILS5_2ELb0ES3_jN6thrust23THRUST_200600_302600_NS6detail15normal_iteratorINSA_7pointerIjNSA_11hip_rocprim3tagENSA_11use_defaultESG_EEEEPS6_NSA_18transform_iteratorI7is_evenIjENSC_INSA_10device_ptrIjEEEESG_SG_EENS0_5tupleIJPjSJ_EEENSR_IJSJ_SJ_EEES6_PlJS6_EEE10hipError_tPvRmT3_T4_T5_T6_T7_T9_mT8_P12ihipStream_tbDpT10_ENKUlT_T0_E_clISt17integral_constantIbLb0EES1F_EEDaS1A_S1B_EUlS1A_E_NS1_11comp_targetILNS1_3genE0ELNS1_11target_archE4294967295ELNS1_3gpuE0ELNS1_3repE0EEENS1_30default_config_static_selectorELNS0_4arch9wavefront6targetE1EEEvT1_,"axG",@progbits,_ZN7rocprim17ROCPRIM_400000_NS6detail17trampoline_kernelINS0_14default_configENS1_25partition_config_selectorILNS1_17partition_subalgoE2EjNS0_10empty_typeEbEEZZNS1_14partition_implILS5_2ELb0ES3_jN6thrust23THRUST_200600_302600_NS6detail15normal_iteratorINSA_7pointerIjNSA_11hip_rocprim3tagENSA_11use_defaultESG_EEEEPS6_NSA_18transform_iteratorI7is_evenIjENSC_INSA_10device_ptrIjEEEESG_SG_EENS0_5tupleIJPjSJ_EEENSR_IJSJ_SJ_EEES6_PlJS6_EEE10hipError_tPvRmT3_T4_T5_T6_T7_T9_mT8_P12ihipStream_tbDpT10_ENKUlT_T0_E_clISt17integral_constantIbLb0EES1F_EEDaS1A_S1B_EUlS1A_E_NS1_11comp_targetILNS1_3genE0ELNS1_11target_archE4294967295ELNS1_3gpuE0ELNS1_3repE0EEENS1_30default_config_static_selectorELNS0_4arch9wavefront6targetE1EEEvT1_,comdat
.Lfunc_end2037:
	.size	_ZN7rocprim17ROCPRIM_400000_NS6detail17trampoline_kernelINS0_14default_configENS1_25partition_config_selectorILNS1_17partition_subalgoE2EjNS0_10empty_typeEbEEZZNS1_14partition_implILS5_2ELb0ES3_jN6thrust23THRUST_200600_302600_NS6detail15normal_iteratorINSA_7pointerIjNSA_11hip_rocprim3tagENSA_11use_defaultESG_EEEEPS6_NSA_18transform_iteratorI7is_evenIjENSC_INSA_10device_ptrIjEEEESG_SG_EENS0_5tupleIJPjSJ_EEENSR_IJSJ_SJ_EEES6_PlJS6_EEE10hipError_tPvRmT3_T4_T5_T6_T7_T9_mT8_P12ihipStream_tbDpT10_ENKUlT_T0_E_clISt17integral_constantIbLb0EES1F_EEDaS1A_S1B_EUlS1A_E_NS1_11comp_targetILNS1_3genE0ELNS1_11target_archE4294967295ELNS1_3gpuE0ELNS1_3repE0EEENS1_30default_config_static_selectorELNS0_4arch9wavefront6targetE1EEEvT1_, .Lfunc_end2037-_ZN7rocprim17ROCPRIM_400000_NS6detail17trampoline_kernelINS0_14default_configENS1_25partition_config_selectorILNS1_17partition_subalgoE2EjNS0_10empty_typeEbEEZZNS1_14partition_implILS5_2ELb0ES3_jN6thrust23THRUST_200600_302600_NS6detail15normal_iteratorINSA_7pointerIjNSA_11hip_rocprim3tagENSA_11use_defaultESG_EEEEPS6_NSA_18transform_iteratorI7is_evenIjENSC_INSA_10device_ptrIjEEEESG_SG_EENS0_5tupleIJPjSJ_EEENSR_IJSJ_SJ_EEES6_PlJS6_EEE10hipError_tPvRmT3_T4_T5_T6_T7_T9_mT8_P12ihipStream_tbDpT10_ENKUlT_T0_E_clISt17integral_constantIbLb0EES1F_EEDaS1A_S1B_EUlS1A_E_NS1_11comp_targetILNS1_3genE0ELNS1_11target_archE4294967295ELNS1_3gpuE0ELNS1_3repE0EEENS1_30default_config_static_selectorELNS0_4arch9wavefront6targetE1EEEvT1_
                                        ; -- End function
	.section	.AMDGPU.csdata,"",@progbits
; Kernel info:
; codeLenInByte = 0
; NumSgprs: 4
; NumVgprs: 0
; NumAgprs: 0
; TotalNumVgprs: 0
; ScratchSize: 0
; MemoryBound: 0
; FloatMode: 240
; IeeeMode: 1
; LDSByteSize: 0 bytes/workgroup (compile time only)
; SGPRBlocks: 0
; VGPRBlocks: 0
; NumSGPRsForWavesPerEU: 4
; NumVGPRsForWavesPerEU: 1
; AccumOffset: 4
; Occupancy: 8
; WaveLimiterHint : 0
; COMPUTE_PGM_RSRC2:SCRATCH_EN: 0
; COMPUTE_PGM_RSRC2:USER_SGPR: 6
; COMPUTE_PGM_RSRC2:TRAP_HANDLER: 0
; COMPUTE_PGM_RSRC2:TGID_X_EN: 1
; COMPUTE_PGM_RSRC2:TGID_Y_EN: 0
; COMPUTE_PGM_RSRC2:TGID_Z_EN: 0
; COMPUTE_PGM_RSRC2:TIDIG_COMP_CNT: 0
; COMPUTE_PGM_RSRC3_GFX90A:ACCUM_OFFSET: 0
; COMPUTE_PGM_RSRC3_GFX90A:TG_SPLIT: 0
	.section	.text._ZN7rocprim17ROCPRIM_400000_NS6detail17trampoline_kernelINS0_14default_configENS1_25partition_config_selectorILNS1_17partition_subalgoE2EjNS0_10empty_typeEbEEZZNS1_14partition_implILS5_2ELb0ES3_jN6thrust23THRUST_200600_302600_NS6detail15normal_iteratorINSA_7pointerIjNSA_11hip_rocprim3tagENSA_11use_defaultESG_EEEEPS6_NSA_18transform_iteratorI7is_evenIjENSC_INSA_10device_ptrIjEEEESG_SG_EENS0_5tupleIJPjSJ_EEENSR_IJSJ_SJ_EEES6_PlJS6_EEE10hipError_tPvRmT3_T4_T5_T6_T7_T9_mT8_P12ihipStream_tbDpT10_ENKUlT_T0_E_clISt17integral_constantIbLb0EES1F_EEDaS1A_S1B_EUlS1A_E_NS1_11comp_targetILNS1_3genE5ELNS1_11target_archE942ELNS1_3gpuE9ELNS1_3repE0EEENS1_30default_config_static_selectorELNS0_4arch9wavefront6targetE1EEEvT1_,"axG",@progbits,_ZN7rocprim17ROCPRIM_400000_NS6detail17trampoline_kernelINS0_14default_configENS1_25partition_config_selectorILNS1_17partition_subalgoE2EjNS0_10empty_typeEbEEZZNS1_14partition_implILS5_2ELb0ES3_jN6thrust23THRUST_200600_302600_NS6detail15normal_iteratorINSA_7pointerIjNSA_11hip_rocprim3tagENSA_11use_defaultESG_EEEEPS6_NSA_18transform_iteratorI7is_evenIjENSC_INSA_10device_ptrIjEEEESG_SG_EENS0_5tupleIJPjSJ_EEENSR_IJSJ_SJ_EEES6_PlJS6_EEE10hipError_tPvRmT3_T4_T5_T6_T7_T9_mT8_P12ihipStream_tbDpT10_ENKUlT_T0_E_clISt17integral_constantIbLb0EES1F_EEDaS1A_S1B_EUlS1A_E_NS1_11comp_targetILNS1_3genE5ELNS1_11target_archE942ELNS1_3gpuE9ELNS1_3repE0EEENS1_30default_config_static_selectorELNS0_4arch9wavefront6targetE1EEEvT1_,comdat
	.protected	_ZN7rocprim17ROCPRIM_400000_NS6detail17trampoline_kernelINS0_14default_configENS1_25partition_config_selectorILNS1_17partition_subalgoE2EjNS0_10empty_typeEbEEZZNS1_14partition_implILS5_2ELb0ES3_jN6thrust23THRUST_200600_302600_NS6detail15normal_iteratorINSA_7pointerIjNSA_11hip_rocprim3tagENSA_11use_defaultESG_EEEEPS6_NSA_18transform_iteratorI7is_evenIjENSC_INSA_10device_ptrIjEEEESG_SG_EENS0_5tupleIJPjSJ_EEENSR_IJSJ_SJ_EEES6_PlJS6_EEE10hipError_tPvRmT3_T4_T5_T6_T7_T9_mT8_P12ihipStream_tbDpT10_ENKUlT_T0_E_clISt17integral_constantIbLb0EES1F_EEDaS1A_S1B_EUlS1A_E_NS1_11comp_targetILNS1_3genE5ELNS1_11target_archE942ELNS1_3gpuE9ELNS1_3repE0EEENS1_30default_config_static_selectorELNS0_4arch9wavefront6targetE1EEEvT1_ ; -- Begin function _ZN7rocprim17ROCPRIM_400000_NS6detail17trampoline_kernelINS0_14default_configENS1_25partition_config_selectorILNS1_17partition_subalgoE2EjNS0_10empty_typeEbEEZZNS1_14partition_implILS5_2ELb0ES3_jN6thrust23THRUST_200600_302600_NS6detail15normal_iteratorINSA_7pointerIjNSA_11hip_rocprim3tagENSA_11use_defaultESG_EEEEPS6_NSA_18transform_iteratorI7is_evenIjENSC_INSA_10device_ptrIjEEEESG_SG_EENS0_5tupleIJPjSJ_EEENSR_IJSJ_SJ_EEES6_PlJS6_EEE10hipError_tPvRmT3_T4_T5_T6_T7_T9_mT8_P12ihipStream_tbDpT10_ENKUlT_T0_E_clISt17integral_constantIbLb0EES1F_EEDaS1A_S1B_EUlS1A_E_NS1_11comp_targetILNS1_3genE5ELNS1_11target_archE942ELNS1_3gpuE9ELNS1_3repE0EEENS1_30default_config_static_selectorELNS0_4arch9wavefront6targetE1EEEvT1_
	.globl	_ZN7rocprim17ROCPRIM_400000_NS6detail17trampoline_kernelINS0_14default_configENS1_25partition_config_selectorILNS1_17partition_subalgoE2EjNS0_10empty_typeEbEEZZNS1_14partition_implILS5_2ELb0ES3_jN6thrust23THRUST_200600_302600_NS6detail15normal_iteratorINSA_7pointerIjNSA_11hip_rocprim3tagENSA_11use_defaultESG_EEEEPS6_NSA_18transform_iteratorI7is_evenIjENSC_INSA_10device_ptrIjEEEESG_SG_EENS0_5tupleIJPjSJ_EEENSR_IJSJ_SJ_EEES6_PlJS6_EEE10hipError_tPvRmT3_T4_T5_T6_T7_T9_mT8_P12ihipStream_tbDpT10_ENKUlT_T0_E_clISt17integral_constantIbLb0EES1F_EEDaS1A_S1B_EUlS1A_E_NS1_11comp_targetILNS1_3genE5ELNS1_11target_archE942ELNS1_3gpuE9ELNS1_3repE0EEENS1_30default_config_static_selectorELNS0_4arch9wavefront6targetE1EEEvT1_
	.p2align	8
	.type	_ZN7rocprim17ROCPRIM_400000_NS6detail17trampoline_kernelINS0_14default_configENS1_25partition_config_selectorILNS1_17partition_subalgoE2EjNS0_10empty_typeEbEEZZNS1_14partition_implILS5_2ELb0ES3_jN6thrust23THRUST_200600_302600_NS6detail15normal_iteratorINSA_7pointerIjNSA_11hip_rocprim3tagENSA_11use_defaultESG_EEEEPS6_NSA_18transform_iteratorI7is_evenIjENSC_INSA_10device_ptrIjEEEESG_SG_EENS0_5tupleIJPjSJ_EEENSR_IJSJ_SJ_EEES6_PlJS6_EEE10hipError_tPvRmT3_T4_T5_T6_T7_T9_mT8_P12ihipStream_tbDpT10_ENKUlT_T0_E_clISt17integral_constantIbLb0EES1F_EEDaS1A_S1B_EUlS1A_E_NS1_11comp_targetILNS1_3genE5ELNS1_11target_archE942ELNS1_3gpuE9ELNS1_3repE0EEENS1_30default_config_static_selectorELNS0_4arch9wavefront6targetE1EEEvT1_,@function
_ZN7rocprim17ROCPRIM_400000_NS6detail17trampoline_kernelINS0_14default_configENS1_25partition_config_selectorILNS1_17partition_subalgoE2EjNS0_10empty_typeEbEEZZNS1_14partition_implILS5_2ELb0ES3_jN6thrust23THRUST_200600_302600_NS6detail15normal_iteratorINSA_7pointerIjNSA_11hip_rocprim3tagENSA_11use_defaultESG_EEEEPS6_NSA_18transform_iteratorI7is_evenIjENSC_INSA_10device_ptrIjEEEESG_SG_EENS0_5tupleIJPjSJ_EEENSR_IJSJ_SJ_EEES6_PlJS6_EEE10hipError_tPvRmT3_T4_T5_T6_T7_T9_mT8_P12ihipStream_tbDpT10_ENKUlT_T0_E_clISt17integral_constantIbLb0EES1F_EEDaS1A_S1B_EUlS1A_E_NS1_11comp_targetILNS1_3genE5ELNS1_11target_archE942ELNS1_3gpuE9ELNS1_3repE0EEENS1_30default_config_static_selectorELNS0_4arch9wavefront6targetE1EEEvT1_: ; @_ZN7rocprim17ROCPRIM_400000_NS6detail17trampoline_kernelINS0_14default_configENS1_25partition_config_selectorILNS1_17partition_subalgoE2EjNS0_10empty_typeEbEEZZNS1_14partition_implILS5_2ELb0ES3_jN6thrust23THRUST_200600_302600_NS6detail15normal_iteratorINSA_7pointerIjNSA_11hip_rocprim3tagENSA_11use_defaultESG_EEEEPS6_NSA_18transform_iteratorI7is_evenIjENSC_INSA_10device_ptrIjEEEESG_SG_EENS0_5tupleIJPjSJ_EEENSR_IJSJ_SJ_EEES6_PlJS6_EEE10hipError_tPvRmT3_T4_T5_T6_T7_T9_mT8_P12ihipStream_tbDpT10_ENKUlT_T0_E_clISt17integral_constantIbLb0EES1F_EEDaS1A_S1B_EUlS1A_E_NS1_11comp_targetILNS1_3genE5ELNS1_11target_archE942ELNS1_3gpuE9ELNS1_3repE0EEENS1_30default_config_static_selectorELNS0_4arch9wavefront6targetE1EEEvT1_
; %bb.0:
	.section	.rodata,"a",@progbits
	.p2align	6, 0x0
	.amdhsa_kernel _ZN7rocprim17ROCPRIM_400000_NS6detail17trampoline_kernelINS0_14default_configENS1_25partition_config_selectorILNS1_17partition_subalgoE2EjNS0_10empty_typeEbEEZZNS1_14partition_implILS5_2ELb0ES3_jN6thrust23THRUST_200600_302600_NS6detail15normal_iteratorINSA_7pointerIjNSA_11hip_rocprim3tagENSA_11use_defaultESG_EEEEPS6_NSA_18transform_iteratorI7is_evenIjENSC_INSA_10device_ptrIjEEEESG_SG_EENS0_5tupleIJPjSJ_EEENSR_IJSJ_SJ_EEES6_PlJS6_EEE10hipError_tPvRmT3_T4_T5_T6_T7_T9_mT8_P12ihipStream_tbDpT10_ENKUlT_T0_E_clISt17integral_constantIbLb0EES1F_EEDaS1A_S1B_EUlS1A_E_NS1_11comp_targetILNS1_3genE5ELNS1_11target_archE942ELNS1_3gpuE9ELNS1_3repE0EEENS1_30default_config_static_selectorELNS0_4arch9wavefront6targetE1EEEvT1_
		.amdhsa_group_segment_fixed_size 0
		.amdhsa_private_segment_fixed_size 0
		.amdhsa_kernarg_size 128
		.amdhsa_user_sgpr_count 6
		.amdhsa_user_sgpr_private_segment_buffer 1
		.amdhsa_user_sgpr_dispatch_ptr 0
		.amdhsa_user_sgpr_queue_ptr 0
		.amdhsa_user_sgpr_kernarg_segment_ptr 1
		.amdhsa_user_sgpr_dispatch_id 0
		.amdhsa_user_sgpr_flat_scratch_init 0
		.amdhsa_user_sgpr_kernarg_preload_length 0
		.amdhsa_user_sgpr_kernarg_preload_offset 0
		.amdhsa_user_sgpr_private_segment_size 0
		.amdhsa_uses_dynamic_stack 0
		.amdhsa_system_sgpr_private_segment_wavefront_offset 0
		.amdhsa_system_sgpr_workgroup_id_x 1
		.amdhsa_system_sgpr_workgroup_id_y 0
		.amdhsa_system_sgpr_workgroup_id_z 0
		.amdhsa_system_sgpr_workgroup_info 0
		.amdhsa_system_vgpr_workitem_id 0
		.amdhsa_next_free_vgpr 1
		.amdhsa_next_free_sgpr 0
		.amdhsa_accum_offset 4
		.amdhsa_reserve_vcc 0
		.amdhsa_reserve_flat_scratch 0
		.amdhsa_float_round_mode_32 0
		.amdhsa_float_round_mode_16_64 0
		.amdhsa_float_denorm_mode_32 3
		.amdhsa_float_denorm_mode_16_64 3
		.amdhsa_dx10_clamp 1
		.amdhsa_ieee_mode 1
		.amdhsa_fp16_overflow 0
		.amdhsa_tg_split 0
		.amdhsa_exception_fp_ieee_invalid_op 0
		.amdhsa_exception_fp_denorm_src 0
		.amdhsa_exception_fp_ieee_div_zero 0
		.amdhsa_exception_fp_ieee_overflow 0
		.amdhsa_exception_fp_ieee_underflow 0
		.amdhsa_exception_fp_ieee_inexact 0
		.amdhsa_exception_int_div_zero 0
	.end_amdhsa_kernel
	.section	.text._ZN7rocprim17ROCPRIM_400000_NS6detail17trampoline_kernelINS0_14default_configENS1_25partition_config_selectorILNS1_17partition_subalgoE2EjNS0_10empty_typeEbEEZZNS1_14partition_implILS5_2ELb0ES3_jN6thrust23THRUST_200600_302600_NS6detail15normal_iteratorINSA_7pointerIjNSA_11hip_rocprim3tagENSA_11use_defaultESG_EEEEPS6_NSA_18transform_iteratorI7is_evenIjENSC_INSA_10device_ptrIjEEEESG_SG_EENS0_5tupleIJPjSJ_EEENSR_IJSJ_SJ_EEES6_PlJS6_EEE10hipError_tPvRmT3_T4_T5_T6_T7_T9_mT8_P12ihipStream_tbDpT10_ENKUlT_T0_E_clISt17integral_constantIbLb0EES1F_EEDaS1A_S1B_EUlS1A_E_NS1_11comp_targetILNS1_3genE5ELNS1_11target_archE942ELNS1_3gpuE9ELNS1_3repE0EEENS1_30default_config_static_selectorELNS0_4arch9wavefront6targetE1EEEvT1_,"axG",@progbits,_ZN7rocprim17ROCPRIM_400000_NS6detail17trampoline_kernelINS0_14default_configENS1_25partition_config_selectorILNS1_17partition_subalgoE2EjNS0_10empty_typeEbEEZZNS1_14partition_implILS5_2ELb0ES3_jN6thrust23THRUST_200600_302600_NS6detail15normal_iteratorINSA_7pointerIjNSA_11hip_rocprim3tagENSA_11use_defaultESG_EEEEPS6_NSA_18transform_iteratorI7is_evenIjENSC_INSA_10device_ptrIjEEEESG_SG_EENS0_5tupleIJPjSJ_EEENSR_IJSJ_SJ_EEES6_PlJS6_EEE10hipError_tPvRmT3_T4_T5_T6_T7_T9_mT8_P12ihipStream_tbDpT10_ENKUlT_T0_E_clISt17integral_constantIbLb0EES1F_EEDaS1A_S1B_EUlS1A_E_NS1_11comp_targetILNS1_3genE5ELNS1_11target_archE942ELNS1_3gpuE9ELNS1_3repE0EEENS1_30default_config_static_selectorELNS0_4arch9wavefront6targetE1EEEvT1_,comdat
.Lfunc_end2038:
	.size	_ZN7rocprim17ROCPRIM_400000_NS6detail17trampoline_kernelINS0_14default_configENS1_25partition_config_selectorILNS1_17partition_subalgoE2EjNS0_10empty_typeEbEEZZNS1_14partition_implILS5_2ELb0ES3_jN6thrust23THRUST_200600_302600_NS6detail15normal_iteratorINSA_7pointerIjNSA_11hip_rocprim3tagENSA_11use_defaultESG_EEEEPS6_NSA_18transform_iteratorI7is_evenIjENSC_INSA_10device_ptrIjEEEESG_SG_EENS0_5tupleIJPjSJ_EEENSR_IJSJ_SJ_EEES6_PlJS6_EEE10hipError_tPvRmT3_T4_T5_T6_T7_T9_mT8_P12ihipStream_tbDpT10_ENKUlT_T0_E_clISt17integral_constantIbLb0EES1F_EEDaS1A_S1B_EUlS1A_E_NS1_11comp_targetILNS1_3genE5ELNS1_11target_archE942ELNS1_3gpuE9ELNS1_3repE0EEENS1_30default_config_static_selectorELNS0_4arch9wavefront6targetE1EEEvT1_, .Lfunc_end2038-_ZN7rocprim17ROCPRIM_400000_NS6detail17trampoline_kernelINS0_14default_configENS1_25partition_config_selectorILNS1_17partition_subalgoE2EjNS0_10empty_typeEbEEZZNS1_14partition_implILS5_2ELb0ES3_jN6thrust23THRUST_200600_302600_NS6detail15normal_iteratorINSA_7pointerIjNSA_11hip_rocprim3tagENSA_11use_defaultESG_EEEEPS6_NSA_18transform_iteratorI7is_evenIjENSC_INSA_10device_ptrIjEEEESG_SG_EENS0_5tupleIJPjSJ_EEENSR_IJSJ_SJ_EEES6_PlJS6_EEE10hipError_tPvRmT3_T4_T5_T6_T7_T9_mT8_P12ihipStream_tbDpT10_ENKUlT_T0_E_clISt17integral_constantIbLb0EES1F_EEDaS1A_S1B_EUlS1A_E_NS1_11comp_targetILNS1_3genE5ELNS1_11target_archE942ELNS1_3gpuE9ELNS1_3repE0EEENS1_30default_config_static_selectorELNS0_4arch9wavefront6targetE1EEEvT1_
                                        ; -- End function
	.section	.AMDGPU.csdata,"",@progbits
; Kernel info:
; codeLenInByte = 0
; NumSgprs: 4
; NumVgprs: 0
; NumAgprs: 0
; TotalNumVgprs: 0
; ScratchSize: 0
; MemoryBound: 0
; FloatMode: 240
; IeeeMode: 1
; LDSByteSize: 0 bytes/workgroup (compile time only)
; SGPRBlocks: 0
; VGPRBlocks: 0
; NumSGPRsForWavesPerEU: 4
; NumVGPRsForWavesPerEU: 1
; AccumOffset: 4
; Occupancy: 8
; WaveLimiterHint : 0
; COMPUTE_PGM_RSRC2:SCRATCH_EN: 0
; COMPUTE_PGM_RSRC2:USER_SGPR: 6
; COMPUTE_PGM_RSRC2:TRAP_HANDLER: 0
; COMPUTE_PGM_RSRC2:TGID_X_EN: 1
; COMPUTE_PGM_RSRC2:TGID_Y_EN: 0
; COMPUTE_PGM_RSRC2:TGID_Z_EN: 0
; COMPUTE_PGM_RSRC2:TIDIG_COMP_CNT: 0
; COMPUTE_PGM_RSRC3_GFX90A:ACCUM_OFFSET: 0
; COMPUTE_PGM_RSRC3_GFX90A:TG_SPLIT: 0
	.section	.text._ZN7rocprim17ROCPRIM_400000_NS6detail17trampoline_kernelINS0_14default_configENS1_25partition_config_selectorILNS1_17partition_subalgoE2EjNS0_10empty_typeEbEEZZNS1_14partition_implILS5_2ELb0ES3_jN6thrust23THRUST_200600_302600_NS6detail15normal_iteratorINSA_7pointerIjNSA_11hip_rocprim3tagENSA_11use_defaultESG_EEEEPS6_NSA_18transform_iteratorI7is_evenIjENSC_INSA_10device_ptrIjEEEESG_SG_EENS0_5tupleIJPjSJ_EEENSR_IJSJ_SJ_EEES6_PlJS6_EEE10hipError_tPvRmT3_T4_T5_T6_T7_T9_mT8_P12ihipStream_tbDpT10_ENKUlT_T0_E_clISt17integral_constantIbLb0EES1F_EEDaS1A_S1B_EUlS1A_E_NS1_11comp_targetILNS1_3genE4ELNS1_11target_archE910ELNS1_3gpuE8ELNS1_3repE0EEENS1_30default_config_static_selectorELNS0_4arch9wavefront6targetE1EEEvT1_,"axG",@progbits,_ZN7rocprim17ROCPRIM_400000_NS6detail17trampoline_kernelINS0_14default_configENS1_25partition_config_selectorILNS1_17partition_subalgoE2EjNS0_10empty_typeEbEEZZNS1_14partition_implILS5_2ELb0ES3_jN6thrust23THRUST_200600_302600_NS6detail15normal_iteratorINSA_7pointerIjNSA_11hip_rocprim3tagENSA_11use_defaultESG_EEEEPS6_NSA_18transform_iteratorI7is_evenIjENSC_INSA_10device_ptrIjEEEESG_SG_EENS0_5tupleIJPjSJ_EEENSR_IJSJ_SJ_EEES6_PlJS6_EEE10hipError_tPvRmT3_T4_T5_T6_T7_T9_mT8_P12ihipStream_tbDpT10_ENKUlT_T0_E_clISt17integral_constantIbLb0EES1F_EEDaS1A_S1B_EUlS1A_E_NS1_11comp_targetILNS1_3genE4ELNS1_11target_archE910ELNS1_3gpuE8ELNS1_3repE0EEENS1_30default_config_static_selectorELNS0_4arch9wavefront6targetE1EEEvT1_,comdat
	.protected	_ZN7rocprim17ROCPRIM_400000_NS6detail17trampoline_kernelINS0_14default_configENS1_25partition_config_selectorILNS1_17partition_subalgoE2EjNS0_10empty_typeEbEEZZNS1_14partition_implILS5_2ELb0ES3_jN6thrust23THRUST_200600_302600_NS6detail15normal_iteratorINSA_7pointerIjNSA_11hip_rocprim3tagENSA_11use_defaultESG_EEEEPS6_NSA_18transform_iteratorI7is_evenIjENSC_INSA_10device_ptrIjEEEESG_SG_EENS0_5tupleIJPjSJ_EEENSR_IJSJ_SJ_EEES6_PlJS6_EEE10hipError_tPvRmT3_T4_T5_T6_T7_T9_mT8_P12ihipStream_tbDpT10_ENKUlT_T0_E_clISt17integral_constantIbLb0EES1F_EEDaS1A_S1B_EUlS1A_E_NS1_11comp_targetILNS1_3genE4ELNS1_11target_archE910ELNS1_3gpuE8ELNS1_3repE0EEENS1_30default_config_static_selectorELNS0_4arch9wavefront6targetE1EEEvT1_ ; -- Begin function _ZN7rocprim17ROCPRIM_400000_NS6detail17trampoline_kernelINS0_14default_configENS1_25partition_config_selectorILNS1_17partition_subalgoE2EjNS0_10empty_typeEbEEZZNS1_14partition_implILS5_2ELb0ES3_jN6thrust23THRUST_200600_302600_NS6detail15normal_iteratorINSA_7pointerIjNSA_11hip_rocprim3tagENSA_11use_defaultESG_EEEEPS6_NSA_18transform_iteratorI7is_evenIjENSC_INSA_10device_ptrIjEEEESG_SG_EENS0_5tupleIJPjSJ_EEENSR_IJSJ_SJ_EEES6_PlJS6_EEE10hipError_tPvRmT3_T4_T5_T6_T7_T9_mT8_P12ihipStream_tbDpT10_ENKUlT_T0_E_clISt17integral_constantIbLb0EES1F_EEDaS1A_S1B_EUlS1A_E_NS1_11comp_targetILNS1_3genE4ELNS1_11target_archE910ELNS1_3gpuE8ELNS1_3repE0EEENS1_30default_config_static_selectorELNS0_4arch9wavefront6targetE1EEEvT1_
	.globl	_ZN7rocprim17ROCPRIM_400000_NS6detail17trampoline_kernelINS0_14default_configENS1_25partition_config_selectorILNS1_17partition_subalgoE2EjNS0_10empty_typeEbEEZZNS1_14partition_implILS5_2ELb0ES3_jN6thrust23THRUST_200600_302600_NS6detail15normal_iteratorINSA_7pointerIjNSA_11hip_rocprim3tagENSA_11use_defaultESG_EEEEPS6_NSA_18transform_iteratorI7is_evenIjENSC_INSA_10device_ptrIjEEEESG_SG_EENS0_5tupleIJPjSJ_EEENSR_IJSJ_SJ_EEES6_PlJS6_EEE10hipError_tPvRmT3_T4_T5_T6_T7_T9_mT8_P12ihipStream_tbDpT10_ENKUlT_T0_E_clISt17integral_constantIbLb0EES1F_EEDaS1A_S1B_EUlS1A_E_NS1_11comp_targetILNS1_3genE4ELNS1_11target_archE910ELNS1_3gpuE8ELNS1_3repE0EEENS1_30default_config_static_selectorELNS0_4arch9wavefront6targetE1EEEvT1_
	.p2align	8
	.type	_ZN7rocprim17ROCPRIM_400000_NS6detail17trampoline_kernelINS0_14default_configENS1_25partition_config_selectorILNS1_17partition_subalgoE2EjNS0_10empty_typeEbEEZZNS1_14partition_implILS5_2ELb0ES3_jN6thrust23THRUST_200600_302600_NS6detail15normal_iteratorINSA_7pointerIjNSA_11hip_rocprim3tagENSA_11use_defaultESG_EEEEPS6_NSA_18transform_iteratorI7is_evenIjENSC_INSA_10device_ptrIjEEEESG_SG_EENS0_5tupleIJPjSJ_EEENSR_IJSJ_SJ_EEES6_PlJS6_EEE10hipError_tPvRmT3_T4_T5_T6_T7_T9_mT8_P12ihipStream_tbDpT10_ENKUlT_T0_E_clISt17integral_constantIbLb0EES1F_EEDaS1A_S1B_EUlS1A_E_NS1_11comp_targetILNS1_3genE4ELNS1_11target_archE910ELNS1_3gpuE8ELNS1_3repE0EEENS1_30default_config_static_selectorELNS0_4arch9wavefront6targetE1EEEvT1_,@function
_ZN7rocprim17ROCPRIM_400000_NS6detail17trampoline_kernelINS0_14default_configENS1_25partition_config_selectorILNS1_17partition_subalgoE2EjNS0_10empty_typeEbEEZZNS1_14partition_implILS5_2ELb0ES3_jN6thrust23THRUST_200600_302600_NS6detail15normal_iteratorINSA_7pointerIjNSA_11hip_rocprim3tagENSA_11use_defaultESG_EEEEPS6_NSA_18transform_iteratorI7is_evenIjENSC_INSA_10device_ptrIjEEEESG_SG_EENS0_5tupleIJPjSJ_EEENSR_IJSJ_SJ_EEES6_PlJS6_EEE10hipError_tPvRmT3_T4_T5_T6_T7_T9_mT8_P12ihipStream_tbDpT10_ENKUlT_T0_E_clISt17integral_constantIbLb0EES1F_EEDaS1A_S1B_EUlS1A_E_NS1_11comp_targetILNS1_3genE4ELNS1_11target_archE910ELNS1_3gpuE8ELNS1_3repE0EEENS1_30default_config_static_selectorELNS0_4arch9wavefront6targetE1EEEvT1_: ; @_ZN7rocprim17ROCPRIM_400000_NS6detail17trampoline_kernelINS0_14default_configENS1_25partition_config_selectorILNS1_17partition_subalgoE2EjNS0_10empty_typeEbEEZZNS1_14partition_implILS5_2ELb0ES3_jN6thrust23THRUST_200600_302600_NS6detail15normal_iteratorINSA_7pointerIjNSA_11hip_rocprim3tagENSA_11use_defaultESG_EEEEPS6_NSA_18transform_iteratorI7is_evenIjENSC_INSA_10device_ptrIjEEEESG_SG_EENS0_5tupleIJPjSJ_EEENSR_IJSJ_SJ_EEES6_PlJS6_EEE10hipError_tPvRmT3_T4_T5_T6_T7_T9_mT8_P12ihipStream_tbDpT10_ENKUlT_T0_E_clISt17integral_constantIbLb0EES1F_EEDaS1A_S1B_EUlS1A_E_NS1_11comp_targetILNS1_3genE4ELNS1_11target_archE910ELNS1_3gpuE8ELNS1_3repE0EEENS1_30default_config_static_selectorELNS0_4arch9wavefront6targetE1EEEvT1_
; %bb.0:
	s_load_dwordx4 s[24:27], s[4:5], 0x8
	s_load_dwordx2 s[2:3], s[4:5], 0x20
	s_load_dwordx2 s[28:29], s[4:5], 0x60
	s_load_dwordx4 s[20:23], s[4:5], 0x50
	s_load_dword s0, s[4:5], 0x78
	s_waitcnt lgkmcnt(0)
	s_lshl_b64 s[8:9], s[26:27], 2
	s_add_u32 s7, s24, s8
	s_addc_u32 s12, s25, s9
	s_load_dwordx2 s[30:31], s[22:23], 0x0
	s_add_i32 s10, s0, -1
	s_mulk_i32 s0, 0xa00
	s_add_i32 s1, s0, s26
	s_sub_i32 s33, s28, s1
	s_addk_i32 s33, 0xa00
	s_add_u32 s0, s26, s0
	s_addc_u32 s1, s27, 0
	s_cmp_eq_u32 s6, s10
	v_pk_mov_b32 v[2:3], s[28:29], s[28:29] op_sel:[0,1]
	s_cselect_b64 s[22:23], -1, 0
	s_cmp_lg_u32 s6, s10
	s_mul_i32 s24, s6, 0xa00
	s_mov_b32 s25, 0
	v_cmp_lt_u64_e32 vcc, s[0:1], v[2:3]
	s_cselect_b64 s[0:1], -1, 0
	s_or_b64 s[34:35], s[0:1], vcc
	s_lshl_b64 s[10:11], s[24:25], 2
	s_add_u32 s7, s7, s10
	s_addc_u32 s14, s12, s11
	s_mov_b64 s[0:1], -1
	s_and_b64 vcc, exec, s[34:35]
	v_lshlrev_b32_e32 v1, 2, v0
	s_cbranch_vccz .LBB2039_2
; %bb.1:
	v_mov_b32_e32 v3, s14
	v_add_co_u32_e32 v2, vcc, s7, v1
	v_addc_co_u32_e32 v3, vcc, 0, v3, vcc
	v_add_co_u32_e32 v4, vcc, 0x1000, v2
	v_addc_co_u32_e32 v5, vcc, 0, v3, vcc
	flat_load_dword v6, v[2:3]
	flat_load_dword v7, v[2:3] offset:1024
	flat_load_dword v8, v[2:3] offset:2048
	;; [unrolled: 1-line block ×3, first 2 shown]
	flat_load_dword v10, v[4:5]
	flat_load_dword v11, v[4:5] offset:1024
	flat_load_dword v12, v[4:5] offset:2048
	flat_load_dword v13, v[4:5] offset:3072
	v_add_co_u32_e32 v2, vcc, 0x2000, v2
	v_addc_co_u32_e32 v3, vcc, 0, v3, vcc
	flat_load_dword v4, v[2:3]
	flat_load_dword v5, v[2:3] offset:1024
	s_mov_b64 s[0:1], 0
	s_waitcnt vmcnt(0) lgkmcnt(0)
	ds_write2st64_b32 v1, v6, v7 offset1:4
	ds_write2st64_b32 v1, v8, v9 offset0:8 offset1:12
	ds_write2st64_b32 v1, v10, v11 offset0:16 offset1:20
	;; [unrolled: 1-line block ×4, first 2 shown]
	s_waitcnt lgkmcnt(0)
	s_barrier
.LBB2039_2:
	s_andn2_b64 vcc, exec, s[0:1]
	v_cmp_gt_u32_e64 s[0:1], s33, v0
	s_cbranch_vccnz .LBB2039_24
; %bb.3:
                                        ; implicit-def: $vgpr2_vgpr3_vgpr4_vgpr5_vgpr6_vgpr7_vgpr8_vgpr9_vgpr10_vgpr11
	s_and_saveexec_b64 s[12:13], s[0:1]
	s_cbranch_execz .LBB2039_5
; %bb.4:
	v_mov_b32_e32 v3, s14
	v_add_co_u32_e32 v2, vcc, s7, v1
	v_addc_co_u32_e32 v3, vcc, 0, v3, vcc
	flat_load_dword v2, v[2:3]
.LBB2039_5:
	s_or_b64 exec, exec, s[12:13]
	v_or_b32_e32 v12, 0x100, v0
	v_cmp_gt_u32_e32 vcc, s33, v12
	s_and_saveexec_b64 s[0:1], vcc
	s_cbranch_execz .LBB2039_7
; %bb.6:
	v_mov_b32_e32 v3, s14
	v_add_co_u32_e32 v12, vcc, s7, v1
	v_addc_co_u32_e32 v13, vcc, 0, v3, vcc
	flat_load_dword v3, v[12:13] offset:1024
.LBB2039_7:
	s_or_b64 exec, exec, s[0:1]
	v_or_b32_e32 v12, 0x200, v0
	v_cmp_gt_u32_e32 vcc, s33, v12
	s_and_saveexec_b64 s[0:1], vcc
	s_cbranch_execz .LBB2039_9
; %bb.8:
	v_mov_b32_e32 v4, s14
	v_add_co_u32_e32 v12, vcc, s7, v1
	v_addc_co_u32_e32 v13, vcc, 0, v4, vcc
	flat_load_dword v4, v[12:13] offset:2048
.LBB2039_9:
	;; [unrolled: 11-line block ×3, first 2 shown]
	s_or_b64 exec, exec, s[0:1]
	v_or_b32_e32 v12, 0x400, v0
	v_cmp_gt_u32_e32 vcc, s33, v12
	s_and_saveexec_b64 s[0:1], vcc
	s_cbranch_execz .LBB2039_13
; %bb.12:
	v_lshlrev_b32_e32 v6, 2, v12
	v_mov_b32_e32 v13, s14
	v_add_co_u32_e32 v12, vcc, s7, v6
	v_addc_co_u32_e32 v13, vcc, 0, v13, vcc
	flat_load_dword v6, v[12:13]
.LBB2039_13:
	s_or_b64 exec, exec, s[0:1]
	v_or_b32_e32 v12, 0x500, v0
	v_cmp_gt_u32_e32 vcc, s33, v12
	s_and_saveexec_b64 s[0:1], vcc
	s_cbranch_execz .LBB2039_15
; %bb.14:
	v_lshlrev_b32_e32 v7, 2, v12
	v_mov_b32_e32 v13, s14
	v_add_co_u32_e32 v12, vcc, s7, v7
	v_addc_co_u32_e32 v13, vcc, 0, v13, vcc
	flat_load_dword v7, v[12:13]
.LBB2039_15:
	s_or_b64 exec, exec, s[0:1]
	v_or_b32_e32 v12, 0x600, v0
	v_cmp_gt_u32_e32 vcc, s33, v12
	s_and_saveexec_b64 s[0:1], vcc
	s_cbranch_execz .LBB2039_17
; %bb.16:
	v_lshlrev_b32_e32 v8, 2, v12
	v_mov_b32_e32 v13, s14
	v_add_co_u32_e32 v12, vcc, s7, v8
	v_addc_co_u32_e32 v13, vcc, 0, v13, vcc
	flat_load_dword v8, v[12:13]
.LBB2039_17:
	s_or_b64 exec, exec, s[0:1]
	v_or_b32_e32 v12, 0x700, v0
	v_cmp_gt_u32_e32 vcc, s33, v12
	s_and_saveexec_b64 s[0:1], vcc
	s_cbranch_execz .LBB2039_19
; %bb.18:
	v_lshlrev_b32_e32 v9, 2, v12
	v_mov_b32_e32 v13, s14
	v_add_co_u32_e32 v12, vcc, s7, v9
	v_addc_co_u32_e32 v13, vcc, 0, v13, vcc
	flat_load_dword v9, v[12:13]
.LBB2039_19:
	s_or_b64 exec, exec, s[0:1]
	v_or_b32_e32 v12, 0x800, v0
	v_cmp_gt_u32_e32 vcc, s33, v12
	s_and_saveexec_b64 s[0:1], vcc
	s_cbranch_execz .LBB2039_21
; %bb.20:
	v_lshlrev_b32_e32 v10, 2, v12
	v_mov_b32_e32 v13, s14
	v_add_co_u32_e32 v12, vcc, s7, v10
	v_addc_co_u32_e32 v13, vcc, 0, v13, vcc
	flat_load_dword v10, v[12:13]
.LBB2039_21:
	s_or_b64 exec, exec, s[0:1]
	v_or_b32_e32 v12, 0x900, v0
	v_cmp_gt_u32_e32 vcc, s33, v12
	s_and_saveexec_b64 s[0:1], vcc
	s_cbranch_execz .LBB2039_23
; %bb.22:
	v_lshlrev_b32_e32 v11, 2, v12
	v_mov_b32_e32 v13, s14
	v_add_co_u32_e32 v12, vcc, s7, v11
	v_addc_co_u32_e32 v13, vcc, 0, v13, vcc
	flat_load_dword v11, v[12:13]
.LBB2039_23:
	s_or_b64 exec, exec, s[0:1]
	s_waitcnt vmcnt(0) lgkmcnt(0)
	ds_write2st64_b32 v1, v2, v3 offset1:4
	ds_write2st64_b32 v1, v4, v5 offset0:8 offset1:12
	ds_write2st64_b32 v1, v6, v7 offset0:16 offset1:20
	;; [unrolled: 1-line block ×4, first 2 shown]
	s_waitcnt lgkmcnt(0)
	s_barrier
.LBB2039_24:
	v_mul_u32_u24_e32 v24, 10, v0
	v_lshlrev_b32_e32 v10, 2, v24
	s_waitcnt lgkmcnt(0)
	ds_read2_b64 v[6:9], v10 offset1:1
	ds_read2_b64 v[2:5], v10 offset0:2 offset1:3
	ds_read_b64 v[12:13], v10 offset:32
	s_add_u32 s0, s2, s8
	s_addc_u32 s1, s3, s9
	s_add_u32 s0, s0, s10
	s_addc_u32 s1, s1, s11
	s_mov_b64 s[2:3], -1
	s_and_b64 vcc, exec, s[34:35]
	s_waitcnt lgkmcnt(0)
	s_barrier
	s_cbranch_vccz .LBB2039_26
; %bb.25:
	v_mov_b32_e32 v11, s1
	v_add_co_u32_e32 v16, vcc, s0, v1
	v_addc_co_u32_e32 v11, vcc, 0, v11, vcc
	s_movk_i32 s2, 0x1000
	v_add_co_u32_e32 v14, vcc, s2, v16
	global_load_dword v18, v1, s[0:1]
	global_load_dword v19, v1, s[0:1] offset:1024
	global_load_dword v20, v1, s[0:1] offset:2048
	;; [unrolled: 1-line block ×3, first 2 shown]
	v_addc_co_u32_e32 v15, vcc, 0, v11, vcc
	s_movk_i32 s2, 0x2000
	v_add_co_u32_e32 v16, vcc, s2, v16
	v_addc_co_u32_e32 v17, vcc, 0, v11, vcc
	global_load_dword v11, v[14:15], off offset:1024
	global_load_dword v22, v[14:15], off offset:2048
	global_load_dword v23, v[16:17], off offset:-4096
	global_load_dword v25, v[16:17], off
	global_load_dword v26, v[16:17], off offset:1024
	global_load_dword v27, v[14:15], off offset:3072
	s_mov_b64 s[2:3], 0
	s_waitcnt vmcnt(9)
	v_xor_b32_e32 v14, -1, v18
	s_waitcnt vmcnt(8)
	v_xor_b32_e32 v15, -1, v19
	;; [unrolled: 2-line block ×4, first 2 shown]
	v_and_b32_e32 v14, 1, v14
	v_and_b32_e32 v15, 1, v15
	;; [unrolled: 1-line block ×4, first 2 shown]
	s_waitcnt vmcnt(5)
	v_xor_b32_e32 v11, -1, v11
	ds_write_b8 v0, v14
	ds_write_b8 v0, v15 offset:256
	ds_write_b8 v0, v16 offset:512
	;; [unrolled: 1-line block ×3, first 2 shown]
	s_waitcnt vmcnt(4)
	v_xor_b32_e32 v14, -1, v22
	s_waitcnt vmcnt(3)
	v_xor_b32_e32 v15, -1, v23
	v_and_b32_e32 v11, 1, v11
	s_waitcnt vmcnt(0)
	v_xor_b32_e32 v16, -1, v27
	v_xor_b32_e32 v17, -1, v25
	;; [unrolled: 1-line block ×3, first 2 shown]
	v_and_b32_e32 v14, 1, v14
	v_and_b32_e32 v15, 1, v15
	;; [unrolled: 1-line block ×5, first 2 shown]
	ds_write_b8 v0, v11 offset:1280
	ds_write_b8 v0, v14 offset:1536
	;; [unrolled: 1-line block ×6, first 2 shown]
	s_waitcnt lgkmcnt(0)
	s_barrier
.LBB2039_26:
	s_load_dwordx2 s[36:37], s[4:5], 0x70
	s_andn2_b64 vcc, exec, s[2:3]
	s_cbranch_vccnz .LBB2039_48
; %bb.27:
	v_cmp_gt_u32_e32 vcc, s33, v0
	v_mov_b32_e32 v11, 0
	v_mov_b32_e32 v14, 0
	s_and_saveexec_b64 s[2:3], vcc
	s_cbranch_execz .LBB2039_29
; %bb.28:
	global_load_dword v14, v1, s[0:1]
	s_waitcnt vmcnt(0)
	v_xor_b32_e32 v14, -1, v14
	v_and_b32_e32 v14, 1, v14
.LBB2039_29:
	s_or_b64 exec, exec, s[2:3]
	v_or_b32_e32 v15, 0x100, v0
	v_cmp_gt_u32_e32 vcc, s33, v15
	s_and_saveexec_b64 s[2:3], vcc
	s_cbranch_execz .LBB2039_31
; %bb.30:
	global_load_dword v11, v1, s[0:1] offset:1024
	s_waitcnt vmcnt(0)
	v_xor_b32_e32 v11, -1, v11
	v_and_b32_e32 v11, 1, v11
.LBB2039_31:
	s_or_b64 exec, exec, s[2:3]
	v_or_b32_e32 v15, 0x200, v0
	v_cmp_gt_u32_e32 vcc, s33, v15
	v_mov_b32_e32 v15, 0
	v_mov_b32_e32 v16, 0
	s_and_saveexec_b64 s[2:3], vcc
	s_cbranch_execz .LBB2039_33
; %bb.32:
	global_load_dword v16, v1, s[0:1] offset:2048
	s_waitcnt vmcnt(0)
	v_xor_b32_e32 v16, -1, v16
	v_and_b32_e32 v16, 1, v16
.LBB2039_33:
	s_or_b64 exec, exec, s[2:3]
	v_or_b32_e32 v17, 0x300, v0
	v_cmp_gt_u32_e32 vcc, s33, v17
	s_and_saveexec_b64 s[2:3], vcc
	s_cbranch_execz .LBB2039_35
; %bb.34:
	global_load_dword v15, v1, s[0:1] offset:3072
	s_waitcnt vmcnt(0)
	v_xor_b32_e32 v15, -1, v15
	v_and_b32_e32 v15, 1, v15
.LBB2039_35:
	s_or_b64 exec, exec, s[2:3]
	v_or_b32_e32 v19, 0x400, v0
	v_cmp_gt_u32_e32 vcc, s33, v19
	v_mov_b32_e32 v17, 0
	v_mov_b32_e32 v18, 0
	s_and_saveexec_b64 s[2:3], vcc
	s_cbranch_execz .LBB2039_37
; %bb.36:
	v_lshlrev_b32_e32 v18, 2, v19
	global_load_dword v18, v18, s[0:1]
	s_waitcnt vmcnt(0)
	v_xor_b32_e32 v18, -1, v18
	v_and_b32_e32 v18, 1, v18
.LBB2039_37:
	s_or_b64 exec, exec, s[2:3]
	v_or_b32_e32 v19, 0x500, v0
	v_cmp_gt_u32_e32 vcc, s33, v19
	s_and_saveexec_b64 s[2:3], vcc
	s_cbranch_execz .LBB2039_39
; %bb.38:
	v_lshlrev_b32_e32 v17, 2, v19
	global_load_dword v17, v17, s[0:1]
	s_waitcnt vmcnt(0)
	v_xor_b32_e32 v17, -1, v17
	v_and_b32_e32 v17, 1, v17
.LBB2039_39:
	s_or_b64 exec, exec, s[2:3]
	v_or_b32_e32 v21, 0x600, v0
	v_cmp_gt_u32_e32 vcc, s33, v21
	v_mov_b32_e32 v19, 0
	v_mov_b32_e32 v20, 0
	s_and_saveexec_b64 s[2:3], vcc
	s_cbranch_execz .LBB2039_41
; %bb.40:
	v_lshlrev_b32_e32 v20, 2, v21
	global_load_dword v20, v20, s[0:1]
	s_waitcnt vmcnt(0)
	v_xor_b32_e32 v20, -1, v20
	v_and_b32_e32 v20, 1, v20
.LBB2039_41:
	s_or_b64 exec, exec, s[2:3]
	v_or_b32_e32 v21, 0x700, v0
	v_cmp_gt_u32_e32 vcc, s33, v21
	s_and_saveexec_b64 s[2:3], vcc
	s_cbranch_execz .LBB2039_43
; %bb.42:
	v_lshlrev_b32_e32 v19, 2, v21
	global_load_dword v19, v19, s[0:1]
	s_waitcnt vmcnt(0)
	v_xor_b32_e32 v19, -1, v19
	v_and_b32_e32 v19, 1, v19
.LBB2039_43:
	;; [unrolled: 26-line block ×3, first 2 shown]
	s_or_b64 exec, exec, s[2:3]
	ds_write_b8 v0, v14
	ds_write_b8 v0, v11 offset:256
	ds_write_b8 v0, v16 offset:512
	;; [unrolled: 1-line block ×9, first 2 shown]
	s_waitcnt lgkmcnt(0)
	s_barrier
.LBB2039_48:
	s_movk_i32 s0, 0xffe2
	v_mad_i32_i24 v35, v0, s0, v10
	s_waitcnt lgkmcnt(0)
	ds_read_b64 v[14:15], v35
	ds_read_u16 v26, v35 offset:8
	s_cmp_lg_u32 s6, 0
	v_lshrrev_b32_e32 v36, 6, v0
	s_waitcnt lgkmcnt(0)
	v_lshrrev_b32_e32 v28, 24, v14
	v_bfe_u32 v33, v14, 16, 8
	v_add_u32_sdwa v10, v14, v14 dst_sel:DWORD dst_unused:UNUSED_PAD src0_sel:BYTE_1 src1_sel:BYTE_0
	v_and_b32_e32 v30, 0xff, v15
	v_bfe_u32 v31, v15, 8, 8
	v_add3_u32 v10, v10, v33, v28
	v_lshrrev_b32_e32 v27, 24, v15
	v_bfe_u32 v32, v15, 16, 8
	v_add3_u32 v10, v10, v30, v31
	v_lshrrev_b16_e32 v25, 8, v26
	v_and_b32_e32 v29, 0xff, v26
	v_add3_u32 v10, v10, v32, v27
	v_add3_u32 v37, v10, v29, v25
	v_mbcnt_lo_u32_b32 v10, -1, 0
	v_mbcnt_hi_u32_b32 v34, -1, v10
	v_and_b32_e32 v10, 15, v34
	v_cmp_eq_u32_e64 s[14:15], 0, v10
	v_cmp_lt_u32_e64 s[12:13], 1, v10
	v_cmp_lt_u32_e64 s[10:11], 3, v10
	;; [unrolled: 1-line block ×3, first 2 shown]
	v_and_b32_e32 v10, 16, v34
	v_cmp_eq_u32_e64 s[18:19], 0, v10
	v_or_b32_e32 v10, 63, v0
	v_cmp_lt_u32_e64 s[0:1], 31, v34
	v_cmp_eq_u32_e64 s[2:3], v10, v0
	s_barrier
	s_cbranch_scc0 .LBB2039_75
; %bb.49:
	v_mov_b32_dpp v10, v37 row_shr:1 row_mask:0xf bank_mask:0xf
	v_cndmask_b32_e64 v10, v10, 0, s[14:15]
	v_add_u32_e32 v10, v10, v37
	s_nop 1
	v_mov_b32_dpp v11, v10 row_shr:2 row_mask:0xf bank_mask:0xf
	v_cndmask_b32_e64 v11, 0, v11, s[12:13]
	v_add_u32_e32 v10, v10, v11
	s_nop 1
	;; [unrolled: 4-line block ×4, first 2 shown]
	v_mov_b32_dpp v11, v10 row_bcast:15 row_mask:0xf bank_mask:0xf
	v_cndmask_b32_e64 v11, v11, 0, s[18:19]
	v_add_u32_e32 v10, v10, v11
	s_nop 1
	v_mov_b32_dpp v11, v10 row_bcast:31 row_mask:0xf bank_mask:0xf
	v_cndmask_b32_e64 v11, 0, v11, s[0:1]
	v_add_u32_e32 v10, v10, v11
	s_and_saveexec_b64 s[16:17], s[2:3]
	s_cbranch_execz .LBB2039_51
; %bb.50:
	v_lshlrev_b32_e32 v11, 2, v36
	ds_write_b32 v11, v10
.LBB2039_51:
	s_or_b64 exec, exec, s[16:17]
	v_cmp_gt_u32_e32 vcc, 4, v0
	s_waitcnt lgkmcnt(0)
	s_barrier
	s_and_saveexec_b64 s[16:17], vcc
	s_cbranch_execz .LBB2039_53
; %bb.52:
	ds_read_b32 v11, v1
	v_and_b32_e32 v16, 3, v34
	v_cmp_ne_u32_e32 vcc, 0, v16
	s_waitcnt lgkmcnt(0)
	v_mov_b32_dpp v17, v11 row_shr:1 row_mask:0xf bank_mask:0xf
	v_cndmask_b32_e32 v17, 0, v17, vcc
	v_add_u32_e32 v11, v17, v11
	v_cmp_lt_u32_e32 vcc, 1, v16
	s_nop 0
	v_mov_b32_dpp v17, v11 row_shr:2 row_mask:0xf bank_mask:0xf
	v_cndmask_b32_e32 v16, 0, v17, vcc
	v_add_u32_e32 v11, v11, v16
	ds_write_b32 v1, v11
.LBB2039_53:
	s_or_b64 exec, exec, s[16:17]
	v_cmp_gt_u32_e32 vcc, 64, v0
	v_cmp_lt_u32_e64 s[16:17], 63, v0
	s_waitcnt lgkmcnt(0)
	s_barrier
	s_waitcnt lgkmcnt(0)
                                        ; implicit-def: $vgpr38
	s_and_saveexec_b64 s[38:39], s[16:17]
	s_cbranch_execz .LBB2039_55
; %bb.54:
	v_lshl_add_u32 v11, v36, 2, -4
	ds_read_b32 v38, v11
	s_waitcnt lgkmcnt(0)
	v_add_u32_e32 v10, v38, v10
.LBB2039_55:
	s_or_b64 exec, exec, s[38:39]
	v_add_u32_e32 v11, -1, v34
	v_and_b32_e32 v16, 64, v34
	v_cmp_lt_i32_e64 s[16:17], v11, v16
	v_cndmask_b32_e64 v11, v11, v34, s[16:17]
	v_lshlrev_b32_e32 v11, 2, v11
	ds_bpermute_b32 v39, v11, v10
	v_cmp_eq_u32_e64 s[16:17], 0, v34
	s_and_saveexec_b64 s[38:39], vcc
	s_cbranch_execz .LBB2039_74
; %bb.56:
	v_mov_b32_e32 v21, 0
	ds_read_b32 v10, v21 offset:12
	s_and_saveexec_b64 s[40:41], s[16:17]
	s_cbranch_execz .LBB2039_58
; %bb.57:
	s_add_i32 s42, s6, 64
	s_mov_b32 s43, 0
	s_lshl_b64 s[42:43], s[42:43], 3
	s_add_u32 s42, s36, s42
	v_mov_b32_e32 v11, 1
	s_addc_u32 s43, s37, s43
	s_waitcnt lgkmcnt(0)
	global_store_dwordx2 v21, v[10:11], s[42:43]
.LBB2039_58:
	s_or_b64 exec, exec, s[40:41]
	v_xad_u32 v16, v34, -1, s6
	v_add_u32_e32 v20, 64, v16
	v_lshlrev_b64 v[18:19], 3, v[20:21]
	v_mov_b32_e32 v11, s37
	v_add_co_u32_e32 v22, vcc, s36, v18
	v_addc_co_u32_e32 v23, vcc, v11, v19, vcc
	global_load_dwordx2 v[18:19], v[22:23], off glc
	s_waitcnt vmcnt(0)
	v_cmp_eq_u16_sdwa s[42:43], v19, v21 src0_sel:BYTE_0 src1_sel:DWORD
	s_and_saveexec_b64 s[40:41], s[42:43]
	s_cbranch_execz .LBB2039_62
; %bb.59:
	s_mov_b64 s[42:43], 0
	v_mov_b32_e32 v11, 0
.LBB2039_60:                            ; =>This Inner Loop Header: Depth=1
	global_load_dwordx2 v[18:19], v[22:23], off glc
	s_waitcnt vmcnt(0)
	v_cmp_ne_u16_sdwa s[44:45], v19, v11 src0_sel:BYTE_0 src1_sel:DWORD
	s_or_b64 s[42:43], s[44:45], s[42:43]
	s_andn2_b64 exec, exec, s[42:43]
	s_cbranch_execnz .LBB2039_60
; %bb.61:
	s_or_b64 exec, exec, s[42:43]
.LBB2039_62:
	s_or_b64 exec, exec, s[40:41]
	v_and_b32_e32 v41, 63, v34
	v_mov_b32_e32 v40, 2
	v_cmp_ne_u32_e32 vcc, 63, v41
	v_cmp_eq_u16_sdwa s[40:41], v19, v40 src0_sel:BYTE_0 src1_sel:DWORD
	v_lshlrev_b64 v[20:21], v34, -1
	v_addc_co_u32_e32 v22, vcc, 0, v34, vcc
	v_and_b32_e32 v11, s41, v21
	v_lshlrev_b32_e32 v42, 2, v22
	v_or_b32_e32 v11, 0x80000000, v11
	ds_bpermute_b32 v22, v42, v18
	v_and_b32_e32 v17, s40, v20
	v_ffbl_b32_e32 v11, v11
	v_add_u32_e32 v11, 32, v11
	v_ffbl_b32_e32 v17, v17
	v_min_u32_e32 v11, v17, v11
	v_cmp_lt_u32_e32 vcc, v41, v11
	s_waitcnt lgkmcnt(0)
	v_cndmask_b32_e32 v17, 0, v22, vcc
	v_cmp_gt_u32_e32 vcc, 62, v41
	v_add_u32_e32 v17, v17, v18
	v_cndmask_b32_e64 v18, 0, 1, vcc
	v_lshlrev_b32_e32 v18, 1, v18
	v_add_lshl_u32 v43, v18, v34, 2
	ds_bpermute_b32 v18, v43, v17
	v_add_u32_e32 v44, 2, v41
	v_cmp_le_u32_e32 vcc, v44, v11
	v_add_u32_e32 v46, 4, v41
	v_add_u32_e32 v48, 8, v41
	s_waitcnt lgkmcnt(0)
	v_cndmask_b32_e32 v18, 0, v18, vcc
	v_cmp_gt_u32_e32 vcc, 60, v41
	v_add_u32_e32 v17, v17, v18
	v_cndmask_b32_e64 v18, 0, 1, vcc
	v_lshlrev_b32_e32 v18, 2, v18
	v_add_lshl_u32 v45, v18, v34, 2
	ds_bpermute_b32 v18, v45, v17
	v_cmp_le_u32_e32 vcc, v46, v11
	v_add_u32_e32 v50, 16, v41
	v_add_u32_e32 v52, 32, v41
	s_waitcnt lgkmcnt(0)
	v_cndmask_b32_e32 v18, 0, v18, vcc
	v_cmp_gt_u32_e32 vcc, 56, v41
	v_add_u32_e32 v17, v17, v18
	v_cndmask_b32_e64 v18, 0, 1, vcc
	v_lshlrev_b32_e32 v18, 3, v18
	v_add_lshl_u32 v47, v18, v34, 2
	ds_bpermute_b32 v18, v47, v17
	v_cmp_le_u32_e32 vcc, v48, v11
	s_waitcnt lgkmcnt(0)
	v_cndmask_b32_e32 v18, 0, v18, vcc
	v_cmp_gt_u32_e32 vcc, 48, v41
	v_add_u32_e32 v17, v17, v18
	v_cndmask_b32_e64 v18, 0, 1, vcc
	v_lshlrev_b32_e32 v18, 4, v18
	v_add_lshl_u32 v49, v18, v34, 2
	ds_bpermute_b32 v18, v49, v17
	v_cmp_le_u32_e32 vcc, v50, v11
	;; [unrolled: 9-line block ×3, first 2 shown]
	s_waitcnt lgkmcnt(0)
	v_cndmask_b32_e32 v11, 0, v18, vcc
	v_add_u32_e32 v18, v17, v11
	v_mov_b32_e32 v17, 0
	s_branch .LBB2039_64
.LBB2039_63:                            ;   in Loop: Header=BB2039_64 Depth=1
	s_or_b64 exec, exec, s[40:41]
	v_cmp_eq_u16_sdwa s[40:41], v19, v40 src0_sel:BYTE_0 src1_sel:DWORD
	v_and_b32_e32 v22, s41, v21
	v_or_b32_e32 v22, 0x80000000, v22
	ds_bpermute_b32 v53, v42, v18
	v_and_b32_e32 v23, s40, v20
	v_ffbl_b32_e32 v22, v22
	v_add_u32_e32 v22, 32, v22
	v_ffbl_b32_e32 v23, v23
	v_min_u32_e32 v22, v23, v22
	v_cmp_lt_u32_e32 vcc, v41, v22
	s_waitcnt lgkmcnt(0)
	v_cndmask_b32_e32 v23, 0, v53, vcc
	v_add_u32_e32 v18, v23, v18
	ds_bpermute_b32 v23, v43, v18
	v_cmp_le_u32_e32 vcc, v44, v22
	v_subrev_u32_e32 v16, 64, v16
	s_waitcnt lgkmcnt(0)
	v_cndmask_b32_e32 v23, 0, v23, vcc
	v_add_u32_e32 v18, v18, v23
	ds_bpermute_b32 v23, v45, v18
	v_cmp_le_u32_e32 vcc, v46, v22
	s_waitcnt lgkmcnt(0)
	v_cndmask_b32_e32 v23, 0, v23, vcc
	v_add_u32_e32 v18, v18, v23
	ds_bpermute_b32 v23, v47, v18
	v_cmp_le_u32_e32 vcc, v48, v22
	s_waitcnt lgkmcnt(0)
	v_cndmask_b32_e32 v23, 0, v23, vcc
	v_add_u32_e32 v18, v18, v23
	ds_bpermute_b32 v23, v49, v18
	v_cmp_le_u32_e32 vcc, v50, v22
	s_waitcnt lgkmcnt(0)
	v_cndmask_b32_e32 v23, 0, v23, vcc
	v_add_u32_e32 v18, v18, v23
	ds_bpermute_b32 v23, v51, v18
	v_cmp_le_u32_e32 vcc, v52, v22
	s_waitcnt lgkmcnt(0)
	v_cndmask_b32_e32 v22, 0, v23, vcc
	v_add3_u32 v18, v22, v11, v18
.LBB2039_64:                            ; =>This Loop Header: Depth=1
                                        ;     Child Loop BB2039_67 Depth 2
	v_cmp_ne_u16_sdwa s[40:41], v19, v40 src0_sel:BYTE_0 src1_sel:DWORD
	v_cndmask_b32_e64 v11, 0, 1, s[40:41]
	;;#ASMSTART
	;;#ASMEND
	v_cmp_ne_u32_e32 vcc, 0, v11
	s_cmp_lg_u64 vcc, exec
	v_mov_b32_e32 v11, v18
	s_cbranch_scc1 .LBB2039_69
; %bb.65:                               ;   in Loop: Header=BB2039_64 Depth=1
	v_lshlrev_b64 v[18:19], 3, v[16:17]
	v_mov_b32_e32 v23, s37
	v_add_co_u32_e32 v22, vcc, s36, v18
	v_addc_co_u32_e32 v23, vcc, v23, v19, vcc
	global_load_dwordx2 v[18:19], v[22:23], off glc
	s_waitcnt vmcnt(0)
	v_cmp_eq_u16_sdwa s[42:43], v19, v17 src0_sel:BYTE_0 src1_sel:DWORD
	s_and_saveexec_b64 s[40:41], s[42:43]
	s_cbranch_execz .LBB2039_63
; %bb.66:                               ;   in Loop: Header=BB2039_64 Depth=1
	s_mov_b64 s[42:43], 0
.LBB2039_67:                            ;   Parent Loop BB2039_64 Depth=1
                                        ; =>  This Inner Loop Header: Depth=2
	global_load_dwordx2 v[18:19], v[22:23], off glc
	s_waitcnt vmcnt(0)
	v_cmp_ne_u16_sdwa s[44:45], v19, v17 src0_sel:BYTE_0 src1_sel:DWORD
	s_or_b64 s[42:43], s[44:45], s[42:43]
	s_andn2_b64 exec, exec, s[42:43]
	s_cbranch_execnz .LBB2039_67
; %bb.68:                               ;   in Loop: Header=BB2039_64 Depth=1
	s_or_b64 exec, exec, s[42:43]
	s_branch .LBB2039_63
.LBB2039_69:                            ;   in Loop: Header=BB2039_64 Depth=1
                                        ; implicit-def: $vgpr18
                                        ; implicit-def: $vgpr19
	s_cbranch_execz .LBB2039_64
; %bb.70:
	s_and_saveexec_b64 s[40:41], s[16:17]
	s_cbranch_execz .LBB2039_72
; %bb.71:
	s_add_i32 s6, s6, 64
	s_mov_b32 s7, 0
	s_lshl_b64 s[6:7], s[6:7], 3
	s_add_u32 s6, s36, s6
	v_add_u32_e32 v16, v11, v10
	v_mov_b32_e32 v17, 2
	s_addc_u32 s7, s37, s7
	v_mov_b32_e32 v18, 0
	global_store_dwordx2 v18, v[16:17], s[6:7]
	ds_write_b64 v18, v[10:11] offset:10240
.LBB2039_72:
	s_or_b64 exec, exec, s[40:41]
	v_cmp_eq_u32_e32 vcc, 0, v0
	s_and_b64 exec, exec, vcc
	s_cbranch_execz .LBB2039_74
; %bb.73:
	v_mov_b32_e32 v10, 0
	ds_write_b32 v10, v11 offset:12
.LBB2039_74:
	s_or_b64 exec, exec, s[38:39]
	v_mov_b32_e32 v10, 0
	s_waitcnt lgkmcnt(0)
	s_barrier
	ds_read_b32 v11, v10 offset:12
	v_cndmask_b32_e64 v16, v39, v38, s[16:17]
	v_cmp_ne_u32_e32 vcc, 0, v0
	v_cndmask_b32_e32 v16, 0, v16, vcc
	s_waitcnt lgkmcnt(0)
	v_add_u32_e32 v39, v11, v16
	v_add_u32_sdwa v38, v39, v14 dst_sel:DWORD dst_unused:UNUSED_PAD src0_sel:DWORD src1_sel:BYTE_0
	v_add_u32_sdwa v23, v38, v14 dst_sel:DWORD dst_unused:UNUSED_PAD src0_sel:DWORD src1_sel:BYTE_1
	v_add_u32_e32 v22, v23, v33
	v_add_u32_e32 v21, v22, v28
	;; [unrolled: 1-line block ×3, first 2 shown]
	s_barrier
	ds_read_b64 v[10:11], v10 offset:10240
	v_add_u32_e32 v19, v20, v31
	v_add_u32_e32 v18, v19, v32
	;; [unrolled: 1-line block ×4, first 2 shown]
	s_load_dwordx2 s[4:5], s[4:5], 0x30
	s_branch .LBB2039_85
.LBB2039_75:
                                        ; implicit-def: $vgpr11
                                        ; implicit-def: $vgpr16
                                        ; implicit-def: $vgpr17
                                        ; implicit-def: $vgpr18
                                        ; implicit-def: $vgpr19
                                        ; implicit-def: $vgpr20
                                        ; implicit-def: $vgpr21
                                        ; implicit-def: $vgpr22
                                        ; implicit-def: $vgpr23
                                        ; implicit-def: $vgpr38
                                        ; implicit-def: $vgpr39
	s_load_dwordx2 s[4:5], s[4:5], 0x30
	s_cbranch_execz .LBB2039_85
; %bb.76:
	s_waitcnt lgkmcnt(0)
	v_mov_b32_dpp v10, v37 row_shr:1 row_mask:0xf bank_mask:0xf
	v_cndmask_b32_e64 v10, v10, 0, s[14:15]
	v_add_u32_e32 v10, v10, v37
	s_nop 1
	v_mov_b32_dpp v11, v10 row_shr:2 row_mask:0xf bank_mask:0xf
	v_cndmask_b32_e64 v11, 0, v11, s[12:13]
	v_add_u32_e32 v10, v10, v11
	s_nop 1
	;; [unrolled: 4-line block ×4, first 2 shown]
	v_mov_b32_dpp v11, v10 row_bcast:15 row_mask:0xf bank_mask:0xf
	v_cndmask_b32_e64 v11, v11, 0, s[18:19]
	v_add_u32_e32 v10, v10, v11
	s_nop 1
	v_mov_b32_dpp v11, v10 row_bcast:31 row_mask:0xf bank_mask:0xf
	v_cndmask_b32_e64 v11, 0, v11, s[0:1]
	v_add_u32_e32 v10, v10, v11
	s_and_saveexec_b64 s[0:1], s[2:3]
	s_cbranch_execz .LBB2039_78
; %bb.77:
	v_lshlrev_b32_e32 v11, 2, v36
	ds_write_b32 v11, v10
.LBB2039_78:
	s_or_b64 exec, exec, s[0:1]
	v_cmp_gt_u32_e32 vcc, 4, v0
	s_waitcnt lgkmcnt(0)
	s_barrier
	s_and_saveexec_b64 s[0:1], vcc
	s_cbranch_execz .LBB2039_80
; %bb.79:
	v_mad_i32_i24 v11, v0, -6, v35
	ds_read_b32 v16, v11
	v_and_b32_e32 v17, 3, v34
	v_cmp_ne_u32_e32 vcc, 0, v17
	s_waitcnt lgkmcnt(0)
	v_mov_b32_dpp v18, v16 row_shr:1 row_mask:0xf bank_mask:0xf
	v_cndmask_b32_e32 v18, 0, v18, vcc
	v_add_u32_e32 v16, v18, v16
	v_cmp_lt_u32_e32 vcc, 1, v17
	s_nop 0
	v_mov_b32_dpp v18, v16 row_shr:2 row_mask:0xf bank_mask:0xf
	v_cndmask_b32_e32 v17, 0, v18, vcc
	v_add_u32_e32 v16, v16, v17
	ds_write_b32 v11, v16
.LBB2039_80:
	s_or_b64 exec, exec, s[0:1]
	v_cmp_lt_u32_e32 vcc, 63, v0
	v_mov_b32_e32 v11, 0
	v_mov_b32_e32 v16, 0
	s_waitcnt lgkmcnt(0)
	s_barrier
	s_and_saveexec_b64 s[0:1], vcc
	s_cbranch_execz .LBB2039_82
; %bb.81:
	v_lshl_add_u32 v16, v36, 2, -4
	ds_read_b32 v16, v16
.LBB2039_82:
	s_or_b64 exec, exec, s[0:1]
	v_add_u32_e32 v17, -1, v34
	v_and_b32_e32 v18, 64, v34
	v_cmp_lt_i32_e32 vcc, v17, v18
	v_cndmask_b32_e32 v17, v17, v34, vcc
	s_waitcnt lgkmcnt(0)
	v_add_u32_e32 v10, v16, v10
	v_lshlrev_b32_e32 v17, 2, v17
	ds_bpermute_b32 v17, v17, v10
	ds_read_b32 v10, v11 offset:12
	v_cmp_eq_u32_e32 vcc, 0, v0
	s_and_saveexec_b64 s[0:1], vcc
	s_cbranch_execz .LBB2039_84
; %bb.83:
	v_mov_b32_e32 v18, 0
	v_mov_b32_e32 v11, 2
	s_waitcnt lgkmcnt(0)
	global_store_dwordx2 v18, v[10:11], s[36:37] offset:512
.LBB2039_84:
	s_or_b64 exec, exec, s[0:1]
	v_cmp_eq_u32_e64 s[0:1], 0, v34
	s_waitcnt lgkmcnt(1)
	v_cndmask_b32_e64 v16, v17, v16, s[0:1]
	v_cndmask_b32_e64 v39, v16, 0, vcc
	v_add_u32_sdwa v38, v39, v14 dst_sel:DWORD dst_unused:UNUSED_PAD src0_sel:DWORD src1_sel:BYTE_0
	v_add_u32_sdwa v23, v38, v14 dst_sel:DWORD dst_unused:UNUSED_PAD src0_sel:DWORD src1_sel:BYTE_1
	v_add_u32_e32 v22, v23, v33
	v_add_u32_e32 v21, v22, v28
	;; [unrolled: 1-line block ×6, first 2 shown]
	v_mov_b32_e32 v11, 0
	v_add_u32_e32 v16, v17, v29
	s_waitcnt lgkmcnt(0)
	s_barrier
.LBB2039_85:
	s_waitcnt lgkmcnt(0)
	v_add_u32_e32 v24, v10, v24
	v_sub_u32_e32 v31, v39, v11
	v_and_b32_e32 v33, 1, v14
	v_sub_u32_e32 v32, v24, v31
	v_cmp_eq_u32_e32 vcc, 1, v33
	v_cndmask_b32_e32 v31, v32, v31, vcc
	v_lshlrev_b32_e32 v31, 2, v31
	v_lshrrev_b32_e32 v30, 8, v14
	ds_write_b32 v31, v6
	v_sub_u32_e32 v6, v38, v11
	v_sub_u32_e32 v31, v24, v6
	v_and_b32_e32 v30, 1, v30
	v_add_u32_e32 v31, 1, v31
	v_cmp_eq_u32_e32 vcc, 1, v30
	v_cndmask_b32_e32 v6, v31, v6, vcc
	v_lshlrev_b32_e32 v6, 2, v6
	ds_write_b32 v6, v7
	v_sub_u32_e32 v6, v23, v11
	v_mov_b32_e32 v23, 1
	v_sub_u32_e32 v7, v24, v6
	v_and_b32_sdwa v14, v23, v14 dst_sel:DWORD dst_unused:UNUSED_PAD src0_sel:DWORD src1_sel:WORD_1
	v_add_u32_e32 v7, 2, v7
	v_cmp_eq_u32_e32 vcc, 1, v14
	v_cndmask_b32_e32 v6, v7, v6, vcc
	v_lshlrev_b32_e32 v6, 2, v6
	ds_write_b32 v6, v8
	v_sub_u32_e32 v6, v22, v11
	v_sub_u32_e32 v7, v24, v6
	v_and_b32_e32 v8, 1, v28
	v_add_u32_e32 v7, 3, v7
	v_cmp_eq_u32_e32 vcc, 1, v8
	v_cndmask_b32_e32 v6, v7, v6, vcc
	v_lshlrev_b32_e32 v6, 2, v6
	ds_write_b32 v6, v9
	v_sub_u32_e32 v6, v21, v11
	v_sub_u32_e32 v7, v24, v6
	v_and_b32_e32 v8, 1, v15
	v_add_u32_e32 v7, 4, v7
	v_cmp_eq_u32_e32 vcc, 1, v8
	v_cndmask_b32_e32 v6, v7, v6, vcc
	v_lshlrev_b32_e32 v6, 2, v6
	v_lshrrev_b32_e32 v29, 8, v15
	ds_write_b32 v6, v2
	v_sub_u32_e32 v2, v20, v11
	v_sub_u32_e32 v6, v24, v2
	v_and_b32_e32 v7, 1, v29
	v_add_u32_e32 v6, 5, v6
	v_cmp_eq_u32_e32 vcc, 1, v7
	v_cndmask_b32_e32 v2, v6, v2, vcc
	v_lshlrev_b32_e32 v2, 2, v2
	ds_write_b32 v2, v3
	v_sub_u32_e32 v2, v19, v11
	v_sub_u32_e32 v3, v24, v2
	v_and_b32_sdwa v6, v23, v15 dst_sel:DWORD dst_unused:UNUSED_PAD src0_sel:DWORD src1_sel:WORD_1
	v_add_u32_e32 v3, 6, v3
	v_cmp_eq_u32_e32 vcc, 1, v6
	v_cndmask_b32_e32 v2, v3, v2, vcc
	v_lshlrev_b32_e32 v2, 2, v2
	ds_write_b32 v2, v4
	v_sub_u32_e32 v2, v18, v11
	v_sub_u32_e32 v3, v24, v2
	v_and_b32_e32 v4, 1, v27
	v_add_u32_e32 v3, 7, v3
	v_cmp_eq_u32_e32 vcc, 1, v4
	v_cndmask_b32_e32 v2, v3, v2, vcc
	v_lshlrev_b32_e32 v2, 2, v2
	ds_write_b32 v2, v5
	v_sub_u32_e32 v2, v17, v11
	v_sub_u32_e32 v3, v24, v2
	v_and_b32_e32 v4, 1, v26
	;; [unrolled: 8-line block ×3, first 2 shown]
	v_add_u32_e32 v3, 9, v3
	v_cmp_eq_u32_e32 vcc, 1, v4
	v_cndmask_b32_e32 v2, v3, v2, vcc
	s_add_u32 s0, s26, s24
	v_lshlrev_b32_e32 v2, 2, v2
	s_addc_u32 s1, s27, 0
	ds_write_b32 v2, v13
	s_waitcnt lgkmcnt(0)
	s_barrier
	ds_read2st64_b32 v[12:13], v1 offset1:4
	ds_read2st64_b32 v[8:9], v1 offset0:8 offset1:12
	ds_read2st64_b32 v[6:7], v1 offset0:16 offset1:20
	;; [unrolled: 1-line block ×4, first 2 shown]
	v_mov_b32_e32 v14, s31
	v_add_co_u32_e32 v1, vcc, s30, v11
	s_sub_u32 s0, s28, s0
	v_addc_co_u32_e32 v11, vcc, 0, v14, vcc
	s_subb_u32 s1, s29, s1
	v_mov_b32_e32 v14, s1
	v_add_co_u32_e32 v15, vcc, s0, v10
	v_addc_co_u32_e32 v14, vcc, 0, v14, vcc
	v_add_co_u32_e64 v17, s[0:1], v15, v1
	v_or_b32_e32 v26, 0x100, v0
	v_or_b32_e32 v25, 0x200, v0
	;; [unrolled: 1-line block ×9, first 2 shown]
	s_andn2_b64 vcc, exec, s[34:35]
	v_addc_co_u32_e64 v18, s[0:1], v14, v11, s[0:1]
	s_cbranch_vccnz .LBB2039_127
; %bb.86:
	v_cmp_ge_u32_e32 vcc, v0, v10
                                        ; implicit-def: $vgpr14_vgpr15
	s_and_saveexec_b64 s[0:1], vcc
	s_xor_b64 s[0:1], exec, s[0:1]
; %bb.87:
	v_not_b32_e32 v14, v0
	v_ashrrev_i32_e32 v15, 31, v14
	v_add_co_u32_e32 v14, vcc, v17, v14
	v_addc_co_u32_e32 v15, vcc, v18, v15, vcc
; %bb.88:
	s_andn2_saveexec_b64 s[0:1], s[0:1]
; %bb.89:
	v_add_co_u32_e32 v14, vcc, v1, v0
	v_addc_co_u32_e32 v15, vcc, 0, v11, vcc
; %bb.90:
	s_or_b64 exec, exec, s[0:1]
	v_lshlrev_b64 v[14:15], 2, v[14:15]
	v_mov_b32_e32 v27, s5
	v_add_co_u32_e32 v14, vcc, s4, v14
	v_addc_co_u32_e32 v15, vcc, v27, v15, vcc
	v_cmp_ge_u32_e32 vcc, v26, v10
	s_waitcnt lgkmcnt(4)
	global_store_dword v[14:15], v12, off
                                        ; implicit-def: $vgpr14_vgpr15
	s_and_saveexec_b64 s[0:1], vcc
	s_xor_b64 s[0:1], exec, s[0:1]
; %bb.91:
	v_xor_b32_e32 v14, 0xfffffeff, v0
	v_ashrrev_i32_e32 v15, 31, v14
	v_add_co_u32_e32 v14, vcc, v17, v14
	v_addc_co_u32_e32 v15, vcc, v18, v15, vcc
; %bb.92:
	s_andn2_saveexec_b64 s[0:1], s[0:1]
; %bb.93:
	v_add_co_u32_e32 v14, vcc, v1, v26
	v_addc_co_u32_e32 v15, vcc, 0, v11, vcc
; %bb.94:
	s_or_b64 exec, exec, s[0:1]
	v_lshlrev_b64 v[14:15], 2, v[14:15]
	v_mov_b32_e32 v27, s5
	v_add_co_u32_e32 v14, vcc, s4, v14
	v_addc_co_u32_e32 v15, vcc, v27, v15, vcc
	v_cmp_ge_u32_e32 vcc, v25, v10
	global_store_dword v[14:15], v13, off
                                        ; implicit-def: $vgpr14_vgpr15
	s_and_saveexec_b64 s[0:1], vcc
	s_xor_b64 s[0:1], exec, s[0:1]
; %bb.95:
	v_xor_b32_e32 v14, 0xfffffdff, v0
	v_ashrrev_i32_e32 v15, 31, v14
	v_add_co_u32_e32 v14, vcc, v17, v14
	v_addc_co_u32_e32 v15, vcc, v18, v15, vcc
; %bb.96:
	s_andn2_saveexec_b64 s[0:1], s[0:1]
; %bb.97:
	v_add_co_u32_e32 v14, vcc, v1, v25
	v_addc_co_u32_e32 v15, vcc, 0, v11, vcc
; %bb.98:
	s_or_b64 exec, exec, s[0:1]
	v_lshlrev_b64 v[14:15], 2, v[14:15]
	v_mov_b32_e32 v27, s5
	v_add_co_u32_e32 v14, vcc, s4, v14
	v_addc_co_u32_e32 v15, vcc, v27, v15, vcc
	v_cmp_ge_u32_e32 vcc, v24, v10
	s_waitcnt lgkmcnt(3)
	global_store_dword v[14:15], v8, off
                                        ; implicit-def: $vgpr14_vgpr15
	s_and_saveexec_b64 s[0:1], vcc
	s_xor_b64 s[0:1], exec, s[0:1]
; %bb.99:
	v_xor_b32_e32 v14, 0xfffffcff, v0
	v_ashrrev_i32_e32 v15, 31, v14
	v_add_co_u32_e32 v14, vcc, v17, v14
	v_addc_co_u32_e32 v15, vcc, v18, v15, vcc
; %bb.100:
	s_andn2_saveexec_b64 s[0:1], s[0:1]
; %bb.101:
	v_add_co_u32_e32 v14, vcc, v1, v24
	v_addc_co_u32_e32 v15, vcc, 0, v11, vcc
; %bb.102:
	s_or_b64 exec, exec, s[0:1]
	v_lshlrev_b64 v[14:15], 2, v[14:15]
	v_mov_b32_e32 v27, s5
	v_add_co_u32_e32 v14, vcc, s4, v14
	v_addc_co_u32_e32 v15, vcc, v27, v15, vcc
	v_cmp_ge_u32_e32 vcc, v23, v10
	global_store_dword v[14:15], v9, off
                                        ; implicit-def: $vgpr14_vgpr15
	s_and_saveexec_b64 s[0:1], vcc
	s_xor_b64 s[0:1], exec, s[0:1]
; %bb.103:
	v_xor_b32_e32 v14, 0xfffffbff, v0
	;; [unrolled: 43-line block ×4, first 2 shown]
	v_ashrrev_i32_e32 v15, 31, v14
	v_add_co_u32_e32 v14, vcc, v17, v14
	v_addc_co_u32_e32 v15, vcc, v18, v15, vcc
; %bb.120:
	s_andn2_saveexec_b64 s[0:1], s[0:1]
; %bb.121:
	v_add_co_u32_e32 v14, vcc, v1, v19
	v_addc_co_u32_e32 v15, vcc, 0, v11, vcc
; %bb.122:
	s_or_b64 exec, exec, s[0:1]
	v_lshlrev_b64 v[14:15], 2, v[14:15]
	v_mov_b32_e32 v27, s5
	v_add_co_u32_e32 v14, vcc, s4, v14
	v_addc_co_u32_e32 v15, vcc, v27, v15, vcc
	v_cmp_ge_u32_e32 vcc, v16, v10
	s_waitcnt lgkmcnt(0)
	global_store_dword v[14:15], v2, off
                                        ; implicit-def: $vgpr14_vgpr15
	s_and_saveexec_b64 s[0:1], vcc
	s_xor_b64 s[0:1], exec, s[0:1]
; %bb.123:
	v_xor_b32_e32 v14, 0xfffff6ff, v0
	v_ashrrev_i32_e32 v15, 31, v14
	v_add_co_u32_e32 v14, vcc, v17, v14
	v_addc_co_u32_e32 v15, vcc, v18, v15, vcc
; %bb.124:
	s_andn2_saveexec_b64 s[0:1], s[0:1]
; %bb.125:
	v_add_co_u32_e32 v14, vcc, v1, v16
	v_addc_co_u32_e32 v15, vcc, 0, v11, vcc
; %bb.126:
	s_or_b64 exec, exec, s[0:1]
	s_mov_b64 s[0:1], -1
	s_branch .LBB2039_189
.LBB2039_127:
	s_mov_b64 s[0:1], 0
                                        ; implicit-def: $vgpr14_vgpr15
	s_cbranch_execz .LBB2039_189
; %bb.128:
	v_cmp_gt_u32_e32 vcc, s33, v0
	s_and_saveexec_b64 s[2:3], vcc
	s_cbranch_execz .LBB2039_154
; %bb.129:
	v_cmp_ge_u32_e32 vcc, v0, v10
                                        ; implicit-def: $vgpr14_vgpr15
	s_and_saveexec_b64 s[6:7], vcc
	s_xor_b64 s[6:7], exec, s[6:7]
; %bb.130:
	v_not_b32_e32 v14, v0
	v_ashrrev_i32_e32 v15, 31, v14
	v_add_co_u32_e32 v14, vcc, v17, v14
	v_addc_co_u32_e32 v15, vcc, v18, v15, vcc
; %bb.131:
	s_andn2_saveexec_b64 s[6:7], s[6:7]
; %bb.132:
	v_add_co_u32_e32 v14, vcc, v1, v0
	v_addc_co_u32_e32 v15, vcc, 0, v11, vcc
; %bb.133:
	s_or_b64 exec, exec, s[6:7]
	v_lshlrev_b64 v[14:15], 2, v[14:15]
	v_mov_b32_e32 v27, s5
	v_add_co_u32_e32 v14, vcc, s4, v14
	v_addc_co_u32_e32 v15, vcc, v27, v15, vcc
	s_waitcnt lgkmcnt(4)
	global_store_dword v[14:15], v12, off
	s_or_b64 exec, exec, s[2:3]
	v_cmp_gt_u32_e32 vcc, s33, v26
	s_and_saveexec_b64 s[2:3], vcc
	s_cbranch_execnz .LBB2039_155
.LBB2039_134:
	s_or_b64 exec, exec, s[2:3]
	v_cmp_gt_u32_e32 vcc, s33, v25
	s_and_saveexec_b64 s[2:3], vcc
	s_cbranch_execz .LBB2039_160
.LBB2039_135:
	v_cmp_ge_u32_e32 vcc, v25, v10
                                        ; implicit-def: $vgpr12_vgpr13
	s_and_saveexec_b64 s[6:7], vcc
	s_xor_b64 s[6:7], exec, s[6:7]
	s_cbranch_execz .LBB2039_137
; %bb.136:
	s_waitcnt lgkmcnt(4)
	v_xor_b32_e32 v12, 0xfffffdff, v0
	v_ashrrev_i32_e32 v13, 31, v12
	v_add_co_u32_e32 v12, vcc, v17, v12
	v_addc_co_u32_e32 v13, vcc, v18, v13, vcc
                                        ; implicit-def: $vgpr25
.LBB2039_137:
	s_andn2_saveexec_b64 s[6:7], s[6:7]
	s_cbranch_execz .LBB2039_139
; %bb.138:
	s_waitcnt lgkmcnt(4)
	v_add_co_u32_e32 v12, vcc, v1, v25
	v_addc_co_u32_e32 v13, vcc, 0, v11, vcc
.LBB2039_139:
	s_or_b64 exec, exec, s[6:7]
	s_waitcnt lgkmcnt(4)
	v_lshlrev_b64 v[12:13], 2, v[12:13]
	v_mov_b32_e32 v14, s5
	v_add_co_u32_e32 v12, vcc, s4, v12
	v_addc_co_u32_e32 v13, vcc, v14, v13, vcc
	s_waitcnt lgkmcnt(3)
	global_store_dword v[12:13], v8, off
	s_or_b64 exec, exec, s[2:3]
	v_cmp_gt_u32_e32 vcc, s33, v24
	s_and_saveexec_b64 s[2:3], vcc
	s_cbranch_execnz .LBB2039_161
.LBB2039_140:
	s_or_b64 exec, exec, s[2:3]
	v_cmp_gt_u32_e32 vcc, s33, v23
	s_and_saveexec_b64 s[2:3], vcc
	s_cbranch_execz .LBB2039_166
.LBB2039_141:
	v_cmp_ge_u32_e32 vcc, v23, v10
                                        ; implicit-def: $vgpr8_vgpr9
	s_and_saveexec_b64 s[6:7], vcc
	s_xor_b64 s[6:7], exec, s[6:7]
	s_cbranch_execz .LBB2039_143
; %bb.142:
	s_waitcnt lgkmcnt(3)
	v_xor_b32_e32 v8, 0xfffffbff, v0
	v_ashrrev_i32_e32 v9, 31, v8
	v_add_co_u32_e32 v8, vcc, v17, v8
	v_addc_co_u32_e32 v9, vcc, v18, v9, vcc
                                        ; implicit-def: $vgpr23
.LBB2039_143:
	s_andn2_saveexec_b64 s[6:7], s[6:7]
	s_cbranch_execz .LBB2039_145
; %bb.144:
	s_waitcnt lgkmcnt(3)
	v_add_co_u32_e32 v8, vcc, v1, v23
	v_addc_co_u32_e32 v9, vcc, 0, v11, vcc
.LBB2039_145:
	s_or_b64 exec, exec, s[6:7]
	s_waitcnt lgkmcnt(3)
	v_lshlrev_b64 v[8:9], 2, v[8:9]
	v_mov_b32_e32 v12, s5
	v_add_co_u32_e32 v8, vcc, s4, v8
	v_addc_co_u32_e32 v9, vcc, v12, v9, vcc
	s_waitcnt lgkmcnt(2)
	global_store_dword v[8:9], v6, off
	s_or_b64 exec, exec, s[2:3]
	v_cmp_gt_u32_e32 vcc, s33, v22
	s_and_saveexec_b64 s[2:3], vcc
	s_cbranch_execnz .LBB2039_167
.LBB2039_146:
	s_or_b64 exec, exec, s[2:3]
	v_cmp_gt_u32_e32 vcc, s33, v21
	s_and_saveexec_b64 s[2:3], vcc
	s_cbranch_execz .LBB2039_172
.LBB2039_147:
	v_cmp_ge_u32_e32 vcc, v21, v10
                                        ; implicit-def: $vgpr6_vgpr7
	s_and_saveexec_b64 s[6:7], vcc
	s_xor_b64 s[6:7], exec, s[6:7]
	s_cbranch_execz .LBB2039_149
; %bb.148:
	s_waitcnt lgkmcnt(2)
	v_xor_b32_e32 v6, 0xfffff9ff, v0
	v_ashrrev_i32_e32 v7, 31, v6
	v_add_co_u32_e32 v6, vcc, v17, v6
	v_addc_co_u32_e32 v7, vcc, v18, v7, vcc
                                        ; implicit-def: $vgpr21
.LBB2039_149:
	s_andn2_saveexec_b64 s[6:7], s[6:7]
	s_cbranch_execz .LBB2039_151
; %bb.150:
	s_waitcnt lgkmcnt(2)
	v_add_co_u32_e32 v6, vcc, v1, v21
	v_addc_co_u32_e32 v7, vcc, 0, v11, vcc
.LBB2039_151:
	s_or_b64 exec, exec, s[6:7]
	s_waitcnt lgkmcnt(2)
	v_lshlrev_b64 v[6:7], 2, v[6:7]
	v_mov_b32_e32 v8, s5
	v_add_co_u32_e32 v6, vcc, s4, v6
	v_addc_co_u32_e32 v7, vcc, v8, v7, vcc
	s_waitcnt lgkmcnt(1)
	global_store_dword v[6:7], v4, off
	s_or_b64 exec, exec, s[2:3]
	v_cmp_gt_u32_e32 vcc, s33, v20
	s_and_saveexec_b64 s[2:3], vcc
	s_cbranch_execnz .LBB2039_173
.LBB2039_152:
	s_or_b64 exec, exec, s[2:3]
	v_cmp_gt_u32_e32 vcc, s33, v19
	s_and_saveexec_b64 s[2:3], vcc
	s_cbranch_execnz .LBB2039_178
.LBB2039_153:
	s_or_b64 exec, exec, s[2:3]
	v_cmp_gt_u32_e32 vcc, s33, v16
                                        ; implicit-def: $vgpr14_vgpr15
	s_and_saveexec_b64 s[2:3], vcc
	s_cbranch_execz .LBB2039_188
	s_branch .LBB2039_183
.LBB2039_154:
	s_or_b64 exec, exec, s[2:3]
	v_cmp_gt_u32_e32 vcc, s33, v26
	s_and_saveexec_b64 s[2:3], vcc
	s_cbranch_execz .LBB2039_134
.LBB2039_155:
	v_cmp_ge_u32_e32 vcc, v26, v10
                                        ; implicit-def: $vgpr14_vgpr15
	s_and_saveexec_b64 s[6:7], vcc
	s_xor_b64 s[6:7], exec, s[6:7]
	s_cbranch_execz .LBB2039_157
; %bb.156:
	s_waitcnt lgkmcnt(4)
	v_xor_b32_e32 v12, 0xfffffeff, v0
	v_ashrrev_i32_e32 v15, 31, v12
	v_add_co_u32_e32 v14, vcc, v17, v12
	v_addc_co_u32_e32 v15, vcc, v18, v15, vcc
                                        ; implicit-def: $vgpr26
.LBB2039_157:
	s_andn2_saveexec_b64 s[6:7], s[6:7]
; %bb.158:
	v_add_co_u32_e32 v14, vcc, v1, v26
	v_addc_co_u32_e32 v15, vcc, 0, v11, vcc
; %bb.159:
	s_or_b64 exec, exec, s[6:7]
	v_lshlrev_b64 v[14:15], 2, v[14:15]
	s_waitcnt lgkmcnt(4)
	v_mov_b32_e32 v12, s5
	v_add_co_u32_e32 v14, vcc, s4, v14
	v_addc_co_u32_e32 v15, vcc, v12, v15, vcc
	global_store_dword v[14:15], v13, off
	s_or_b64 exec, exec, s[2:3]
	v_cmp_gt_u32_e32 vcc, s33, v25
	s_and_saveexec_b64 s[2:3], vcc
	s_cbranch_execnz .LBB2039_135
.LBB2039_160:
	s_or_b64 exec, exec, s[2:3]
	v_cmp_gt_u32_e32 vcc, s33, v24
	s_and_saveexec_b64 s[2:3], vcc
	s_cbranch_execz .LBB2039_140
.LBB2039_161:
	v_cmp_ge_u32_e32 vcc, v24, v10
                                        ; implicit-def: $vgpr12_vgpr13
	s_and_saveexec_b64 s[6:7], vcc
	s_xor_b64 s[6:7], exec, s[6:7]
	s_cbranch_execz .LBB2039_163
; %bb.162:
	s_waitcnt lgkmcnt(3)
	v_xor_b32_e32 v8, 0xfffffcff, v0
	v_ashrrev_i32_e32 v13, 31, v8
	v_add_co_u32_e32 v12, vcc, v17, v8
	v_addc_co_u32_e32 v13, vcc, v18, v13, vcc
                                        ; implicit-def: $vgpr24
.LBB2039_163:
	s_andn2_saveexec_b64 s[6:7], s[6:7]
	s_cbranch_execz .LBB2039_165
; %bb.164:
	s_waitcnt lgkmcnt(4)
	v_add_co_u32_e32 v12, vcc, v1, v24
	v_addc_co_u32_e32 v13, vcc, 0, v11, vcc
.LBB2039_165:
	s_or_b64 exec, exec, s[6:7]
	s_waitcnt lgkmcnt(4)
	v_lshlrev_b64 v[12:13], 2, v[12:13]
	s_waitcnt lgkmcnt(3)
	v_mov_b32_e32 v8, s5
	v_add_co_u32_e32 v12, vcc, s4, v12
	v_addc_co_u32_e32 v13, vcc, v8, v13, vcc
	global_store_dword v[12:13], v9, off
	s_or_b64 exec, exec, s[2:3]
	v_cmp_gt_u32_e32 vcc, s33, v23
	s_and_saveexec_b64 s[2:3], vcc
	s_cbranch_execnz .LBB2039_141
.LBB2039_166:
	s_or_b64 exec, exec, s[2:3]
	v_cmp_gt_u32_e32 vcc, s33, v22
	s_and_saveexec_b64 s[2:3], vcc
	s_cbranch_execz .LBB2039_146
.LBB2039_167:
	v_cmp_ge_u32_e32 vcc, v22, v10
                                        ; implicit-def: $vgpr8_vgpr9
	s_and_saveexec_b64 s[6:7], vcc
	s_xor_b64 s[6:7], exec, s[6:7]
	s_cbranch_execz .LBB2039_169
; %bb.168:
	s_waitcnt lgkmcnt(2)
	v_xor_b32_e32 v6, 0xfffffaff, v0
	v_ashrrev_i32_e32 v9, 31, v6
	v_add_co_u32_e32 v8, vcc, v17, v6
	v_addc_co_u32_e32 v9, vcc, v18, v9, vcc
                                        ; implicit-def: $vgpr22
.LBB2039_169:
	s_andn2_saveexec_b64 s[6:7], s[6:7]
	s_cbranch_execz .LBB2039_171
; %bb.170:
	s_waitcnt lgkmcnt(3)
	v_add_co_u32_e32 v8, vcc, v1, v22
	v_addc_co_u32_e32 v9, vcc, 0, v11, vcc
.LBB2039_171:
	s_or_b64 exec, exec, s[6:7]
	s_waitcnt lgkmcnt(3)
	v_lshlrev_b64 v[8:9], 2, v[8:9]
	s_waitcnt lgkmcnt(2)
	v_mov_b32_e32 v6, s5
	v_add_co_u32_e32 v8, vcc, s4, v8
	v_addc_co_u32_e32 v9, vcc, v6, v9, vcc
	global_store_dword v[8:9], v7, off
	s_or_b64 exec, exec, s[2:3]
	v_cmp_gt_u32_e32 vcc, s33, v21
	s_and_saveexec_b64 s[2:3], vcc
	s_cbranch_execnz .LBB2039_147
.LBB2039_172:
	s_or_b64 exec, exec, s[2:3]
	v_cmp_gt_u32_e32 vcc, s33, v20
	s_and_saveexec_b64 s[2:3], vcc
	s_cbranch_execz .LBB2039_152
.LBB2039_173:
	v_cmp_ge_u32_e32 vcc, v20, v10
                                        ; implicit-def: $vgpr6_vgpr7
	s_and_saveexec_b64 s[6:7], vcc
	s_xor_b64 s[6:7], exec, s[6:7]
	s_cbranch_execz .LBB2039_175
; %bb.174:
	s_waitcnt lgkmcnt(1)
	v_xor_b32_e32 v4, 0xfffff8ff, v0
	v_ashrrev_i32_e32 v7, 31, v4
	v_add_co_u32_e32 v6, vcc, v17, v4
	v_addc_co_u32_e32 v7, vcc, v18, v7, vcc
                                        ; implicit-def: $vgpr20
.LBB2039_175:
	s_andn2_saveexec_b64 s[6:7], s[6:7]
	s_cbranch_execz .LBB2039_177
; %bb.176:
	s_waitcnt lgkmcnt(2)
	v_add_co_u32_e32 v6, vcc, v1, v20
	v_addc_co_u32_e32 v7, vcc, 0, v11, vcc
.LBB2039_177:
	s_or_b64 exec, exec, s[6:7]
	s_waitcnt lgkmcnt(2)
	v_lshlrev_b64 v[6:7], 2, v[6:7]
	s_waitcnt lgkmcnt(1)
	v_mov_b32_e32 v4, s5
	v_add_co_u32_e32 v6, vcc, s4, v6
	v_addc_co_u32_e32 v7, vcc, v4, v7, vcc
	global_store_dword v[6:7], v5, off
	s_or_b64 exec, exec, s[2:3]
	v_cmp_gt_u32_e32 vcc, s33, v19
	s_and_saveexec_b64 s[2:3], vcc
	s_cbranch_execz .LBB2039_153
.LBB2039_178:
	v_cmp_ge_u32_e32 vcc, v19, v10
                                        ; implicit-def: $vgpr4_vgpr5
	s_and_saveexec_b64 s[6:7], vcc
	s_xor_b64 s[6:7], exec, s[6:7]
	s_cbranch_execz .LBB2039_180
; %bb.179:
	s_waitcnt lgkmcnt(1)
	v_xor_b32_e32 v4, 0xfffff7ff, v0
	v_ashrrev_i32_e32 v5, 31, v4
	v_add_co_u32_e32 v4, vcc, v17, v4
	v_addc_co_u32_e32 v5, vcc, v18, v5, vcc
                                        ; implicit-def: $vgpr19
.LBB2039_180:
	s_andn2_saveexec_b64 s[6:7], s[6:7]
	s_cbranch_execz .LBB2039_182
; %bb.181:
	s_waitcnt lgkmcnt(1)
	v_add_co_u32_e32 v4, vcc, v1, v19
	v_addc_co_u32_e32 v5, vcc, 0, v11, vcc
.LBB2039_182:
	s_or_b64 exec, exec, s[6:7]
	s_waitcnt lgkmcnt(1)
	v_lshlrev_b64 v[4:5], 2, v[4:5]
	v_mov_b32_e32 v6, s5
	v_add_co_u32_e32 v4, vcc, s4, v4
	v_addc_co_u32_e32 v5, vcc, v6, v5, vcc
	s_waitcnt lgkmcnt(0)
	global_store_dword v[4:5], v2, off
	s_or_b64 exec, exec, s[2:3]
	v_cmp_gt_u32_e32 vcc, s33, v16
                                        ; implicit-def: $vgpr14_vgpr15
	s_and_saveexec_b64 s[2:3], vcc
	s_cbranch_execz .LBB2039_188
.LBB2039_183:
	v_cmp_ge_u32_e32 vcc, v16, v10
                                        ; implicit-def: $vgpr14_vgpr15
	s_and_saveexec_b64 s[6:7], vcc
	s_xor_b64 s[6:7], exec, s[6:7]
	s_cbranch_execz .LBB2039_185
; %bb.184:
	s_waitcnt lgkmcnt(0)
	v_xor_b32_e32 v2, 0xfffff6ff, v0
	v_ashrrev_i32_e32 v4, 31, v2
	v_add_co_u32_e32 v14, vcc, v17, v2
	v_addc_co_u32_e32 v15, vcc, v18, v4, vcc
                                        ; implicit-def: $vgpr16
.LBB2039_185:
	s_andn2_saveexec_b64 s[6:7], s[6:7]
; %bb.186:
	v_add_co_u32_e32 v14, vcc, v1, v16
	v_addc_co_u32_e32 v15, vcc, 0, v11, vcc
; %bb.187:
	s_or_b64 exec, exec, s[6:7]
	s_or_b64 s[0:1], s[0:1], exec
.LBB2039_188:
	s_or_b64 exec, exec, s[2:3]
.LBB2039_189:
	s_and_saveexec_b64 s[2:3], s[0:1]
	s_cbranch_execz .LBB2039_191
; %bb.190:
	s_waitcnt lgkmcnt(1)
	v_lshlrev_b64 v[4:5], 2, v[14:15]
	s_waitcnt lgkmcnt(0)
	v_mov_b32_e32 v2, s5
	v_add_co_u32_e32 v4, vcc, s4, v4
	v_addc_co_u32_e32 v5, vcc, v2, v5, vcc
	global_store_dword v[4:5], v3, off
.LBB2039_191:
	s_or_b64 exec, exec, s[2:3]
	v_cmp_eq_u32_e32 vcc, 0, v0
	s_and_b64 s[0:1], vcc, s[22:23]
	s_and_saveexec_b64 s[2:3], s[0:1]
	s_cbranch_execz .LBB2039_193
; %bb.192:
	v_add_co_u32_e32 v0, vcc, v1, v10
	s_waitcnt lgkmcnt(0)
	v_mov_b32_e32 v2, 0
	v_addc_co_u32_e32 v1, vcc, 0, v11, vcc
	global_store_dwordx2 v2, v[0:1], s[20:21]
.LBB2039_193:
	s_endpgm
	.section	.rodata,"a",@progbits
	.p2align	6, 0x0
	.amdhsa_kernel _ZN7rocprim17ROCPRIM_400000_NS6detail17trampoline_kernelINS0_14default_configENS1_25partition_config_selectorILNS1_17partition_subalgoE2EjNS0_10empty_typeEbEEZZNS1_14partition_implILS5_2ELb0ES3_jN6thrust23THRUST_200600_302600_NS6detail15normal_iteratorINSA_7pointerIjNSA_11hip_rocprim3tagENSA_11use_defaultESG_EEEEPS6_NSA_18transform_iteratorI7is_evenIjENSC_INSA_10device_ptrIjEEEESG_SG_EENS0_5tupleIJPjSJ_EEENSR_IJSJ_SJ_EEES6_PlJS6_EEE10hipError_tPvRmT3_T4_T5_T6_T7_T9_mT8_P12ihipStream_tbDpT10_ENKUlT_T0_E_clISt17integral_constantIbLb0EES1F_EEDaS1A_S1B_EUlS1A_E_NS1_11comp_targetILNS1_3genE4ELNS1_11target_archE910ELNS1_3gpuE8ELNS1_3repE0EEENS1_30default_config_static_selectorELNS0_4arch9wavefront6targetE1EEEvT1_
		.amdhsa_group_segment_fixed_size 10248
		.amdhsa_private_segment_fixed_size 0
		.amdhsa_kernarg_size 128
		.amdhsa_user_sgpr_count 6
		.amdhsa_user_sgpr_private_segment_buffer 1
		.amdhsa_user_sgpr_dispatch_ptr 0
		.amdhsa_user_sgpr_queue_ptr 0
		.amdhsa_user_sgpr_kernarg_segment_ptr 1
		.amdhsa_user_sgpr_dispatch_id 0
		.amdhsa_user_sgpr_flat_scratch_init 0
		.amdhsa_user_sgpr_kernarg_preload_length 0
		.amdhsa_user_sgpr_kernarg_preload_offset 0
		.amdhsa_user_sgpr_private_segment_size 0
		.amdhsa_uses_dynamic_stack 0
		.amdhsa_system_sgpr_private_segment_wavefront_offset 0
		.amdhsa_system_sgpr_workgroup_id_x 1
		.amdhsa_system_sgpr_workgroup_id_y 0
		.amdhsa_system_sgpr_workgroup_id_z 0
		.amdhsa_system_sgpr_workgroup_info 0
		.amdhsa_system_vgpr_workitem_id 0
		.amdhsa_next_free_vgpr 54
		.amdhsa_next_free_sgpr 46
		.amdhsa_accum_offset 56
		.amdhsa_reserve_vcc 1
		.amdhsa_reserve_flat_scratch 0
		.amdhsa_float_round_mode_32 0
		.amdhsa_float_round_mode_16_64 0
		.amdhsa_float_denorm_mode_32 3
		.amdhsa_float_denorm_mode_16_64 3
		.amdhsa_dx10_clamp 1
		.amdhsa_ieee_mode 1
		.amdhsa_fp16_overflow 0
		.amdhsa_tg_split 0
		.amdhsa_exception_fp_ieee_invalid_op 0
		.amdhsa_exception_fp_denorm_src 0
		.amdhsa_exception_fp_ieee_div_zero 0
		.amdhsa_exception_fp_ieee_overflow 0
		.amdhsa_exception_fp_ieee_underflow 0
		.amdhsa_exception_fp_ieee_inexact 0
		.amdhsa_exception_int_div_zero 0
	.end_amdhsa_kernel
	.section	.text._ZN7rocprim17ROCPRIM_400000_NS6detail17trampoline_kernelINS0_14default_configENS1_25partition_config_selectorILNS1_17partition_subalgoE2EjNS0_10empty_typeEbEEZZNS1_14partition_implILS5_2ELb0ES3_jN6thrust23THRUST_200600_302600_NS6detail15normal_iteratorINSA_7pointerIjNSA_11hip_rocprim3tagENSA_11use_defaultESG_EEEEPS6_NSA_18transform_iteratorI7is_evenIjENSC_INSA_10device_ptrIjEEEESG_SG_EENS0_5tupleIJPjSJ_EEENSR_IJSJ_SJ_EEES6_PlJS6_EEE10hipError_tPvRmT3_T4_T5_T6_T7_T9_mT8_P12ihipStream_tbDpT10_ENKUlT_T0_E_clISt17integral_constantIbLb0EES1F_EEDaS1A_S1B_EUlS1A_E_NS1_11comp_targetILNS1_3genE4ELNS1_11target_archE910ELNS1_3gpuE8ELNS1_3repE0EEENS1_30default_config_static_selectorELNS0_4arch9wavefront6targetE1EEEvT1_,"axG",@progbits,_ZN7rocprim17ROCPRIM_400000_NS6detail17trampoline_kernelINS0_14default_configENS1_25partition_config_selectorILNS1_17partition_subalgoE2EjNS0_10empty_typeEbEEZZNS1_14partition_implILS5_2ELb0ES3_jN6thrust23THRUST_200600_302600_NS6detail15normal_iteratorINSA_7pointerIjNSA_11hip_rocprim3tagENSA_11use_defaultESG_EEEEPS6_NSA_18transform_iteratorI7is_evenIjENSC_INSA_10device_ptrIjEEEESG_SG_EENS0_5tupleIJPjSJ_EEENSR_IJSJ_SJ_EEES6_PlJS6_EEE10hipError_tPvRmT3_T4_T5_T6_T7_T9_mT8_P12ihipStream_tbDpT10_ENKUlT_T0_E_clISt17integral_constantIbLb0EES1F_EEDaS1A_S1B_EUlS1A_E_NS1_11comp_targetILNS1_3genE4ELNS1_11target_archE910ELNS1_3gpuE8ELNS1_3repE0EEENS1_30default_config_static_selectorELNS0_4arch9wavefront6targetE1EEEvT1_,comdat
.Lfunc_end2039:
	.size	_ZN7rocprim17ROCPRIM_400000_NS6detail17trampoline_kernelINS0_14default_configENS1_25partition_config_selectorILNS1_17partition_subalgoE2EjNS0_10empty_typeEbEEZZNS1_14partition_implILS5_2ELb0ES3_jN6thrust23THRUST_200600_302600_NS6detail15normal_iteratorINSA_7pointerIjNSA_11hip_rocprim3tagENSA_11use_defaultESG_EEEEPS6_NSA_18transform_iteratorI7is_evenIjENSC_INSA_10device_ptrIjEEEESG_SG_EENS0_5tupleIJPjSJ_EEENSR_IJSJ_SJ_EEES6_PlJS6_EEE10hipError_tPvRmT3_T4_T5_T6_T7_T9_mT8_P12ihipStream_tbDpT10_ENKUlT_T0_E_clISt17integral_constantIbLb0EES1F_EEDaS1A_S1B_EUlS1A_E_NS1_11comp_targetILNS1_3genE4ELNS1_11target_archE910ELNS1_3gpuE8ELNS1_3repE0EEENS1_30default_config_static_selectorELNS0_4arch9wavefront6targetE1EEEvT1_, .Lfunc_end2039-_ZN7rocprim17ROCPRIM_400000_NS6detail17trampoline_kernelINS0_14default_configENS1_25partition_config_selectorILNS1_17partition_subalgoE2EjNS0_10empty_typeEbEEZZNS1_14partition_implILS5_2ELb0ES3_jN6thrust23THRUST_200600_302600_NS6detail15normal_iteratorINSA_7pointerIjNSA_11hip_rocprim3tagENSA_11use_defaultESG_EEEEPS6_NSA_18transform_iteratorI7is_evenIjENSC_INSA_10device_ptrIjEEEESG_SG_EENS0_5tupleIJPjSJ_EEENSR_IJSJ_SJ_EEES6_PlJS6_EEE10hipError_tPvRmT3_T4_T5_T6_T7_T9_mT8_P12ihipStream_tbDpT10_ENKUlT_T0_E_clISt17integral_constantIbLb0EES1F_EEDaS1A_S1B_EUlS1A_E_NS1_11comp_targetILNS1_3genE4ELNS1_11target_archE910ELNS1_3gpuE8ELNS1_3repE0EEENS1_30default_config_static_selectorELNS0_4arch9wavefront6targetE1EEEvT1_
                                        ; -- End function
	.section	.AMDGPU.csdata,"",@progbits
; Kernel info:
; codeLenInByte = 6644
; NumSgprs: 50
; NumVgprs: 54
; NumAgprs: 0
; TotalNumVgprs: 54
; ScratchSize: 0
; MemoryBound: 0
; FloatMode: 240
; IeeeMode: 1
; LDSByteSize: 10248 bytes/workgroup (compile time only)
; SGPRBlocks: 6
; VGPRBlocks: 6
; NumSGPRsForWavesPerEU: 50
; NumVGPRsForWavesPerEU: 54
; AccumOffset: 56
; Occupancy: 6
; WaveLimiterHint : 1
; COMPUTE_PGM_RSRC2:SCRATCH_EN: 0
; COMPUTE_PGM_RSRC2:USER_SGPR: 6
; COMPUTE_PGM_RSRC2:TRAP_HANDLER: 0
; COMPUTE_PGM_RSRC2:TGID_X_EN: 1
; COMPUTE_PGM_RSRC2:TGID_Y_EN: 0
; COMPUTE_PGM_RSRC2:TGID_Z_EN: 0
; COMPUTE_PGM_RSRC2:TIDIG_COMP_CNT: 0
; COMPUTE_PGM_RSRC3_GFX90A:ACCUM_OFFSET: 13
; COMPUTE_PGM_RSRC3_GFX90A:TG_SPLIT: 0
	.section	.text._ZN7rocprim17ROCPRIM_400000_NS6detail17trampoline_kernelINS0_14default_configENS1_25partition_config_selectorILNS1_17partition_subalgoE2EjNS0_10empty_typeEbEEZZNS1_14partition_implILS5_2ELb0ES3_jN6thrust23THRUST_200600_302600_NS6detail15normal_iteratorINSA_7pointerIjNSA_11hip_rocprim3tagENSA_11use_defaultESG_EEEEPS6_NSA_18transform_iteratorI7is_evenIjENSC_INSA_10device_ptrIjEEEESG_SG_EENS0_5tupleIJPjSJ_EEENSR_IJSJ_SJ_EEES6_PlJS6_EEE10hipError_tPvRmT3_T4_T5_T6_T7_T9_mT8_P12ihipStream_tbDpT10_ENKUlT_T0_E_clISt17integral_constantIbLb0EES1F_EEDaS1A_S1B_EUlS1A_E_NS1_11comp_targetILNS1_3genE3ELNS1_11target_archE908ELNS1_3gpuE7ELNS1_3repE0EEENS1_30default_config_static_selectorELNS0_4arch9wavefront6targetE1EEEvT1_,"axG",@progbits,_ZN7rocprim17ROCPRIM_400000_NS6detail17trampoline_kernelINS0_14default_configENS1_25partition_config_selectorILNS1_17partition_subalgoE2EjNS0_10empty_typeEbEEZZNS1_14partition_implILS5_2ELb0ES3_jN6thrust23THRUST_200600_302600_NS6detail15normal_iteratorINSA_7pointerIjNSA_11hip_rocprim3tagENSA_11use_defaultESG_EEEEPS6_NSA_18transform_iteratorI7is_evenIjENSC_INSA_10device_ptrIjEEEESG_SG_EENS0_5tupleIJPjSJ_EEENSR_IJSJ_SJ_EEES6_PlJS6_EEE10hipError_tPvRmT3_T4_T5_T6_T7_T9_mT8_P12ihipStream_tbDpT10_ENKUlT_T0_E_clISt17integral_constantIbLb0EES1F_EEDaS1A_S1B_EUlS1A_E_NS1_11comp_targetILNS1_3genE3ELNS1_11target_archE908ELNS1_3gpuE7ELNS1_3repE0EEENS1_30default_config_static_selectorELNS0_4arch9wavefront6targetE1EEEvT1_,comdat
	.protected	_ZN7rocprim17ROCPRIM_400000_NS6detail17trampoline_kernelINS0_14default_configENS1_25partition_config_selectorILNS1_17partition_subalgoE2EjNS0_10empty_typeEbEEZZNS1_14partition_implILS5_2ELb0ES3_jN6thrust23THRUST_200600_302600_NS6detail15normal_iteratorINSA_7pointerIjNSA_11hip_rocprim3tagENSA_11use_defaultESG_EEEEPS6_NSA_18transform_iteratorI7is_evenIjENSC_INSA_10device_ptrIjEEEESG_SG_EENS0_5tupleIJPjSJ_EEENSR_IJSJ_SJ_EEES6_PlJS6_EEE10hipError_tPvRmT3_T4_T5_T6_T7_T9_mT8_P12ihipStream_tbDpT10_ENKUlT_T0_E_clISt17integral_constantIbLb0EES1F_EEDaS1A_S1B_EUlS1A_E_NS1_11comp_targetILNS1_3genE3ELNS1_11target_archE908ELNS1_3gpuE7ELNS1_3repE0EEENS1_30default_config_static_selectorELNS0_4arch9wavefront6targetE1EEEvT1_ ; -- Begin function _ZN7rocprim17ROCPRIM_400000_NS6detail17trampoline_kernelINS0_14default_configENS1_25partition_config_selectorILNS1_17partition_subalgoE2EjNS0_10empty_typeEbEEZZNS1_14partition_implILS5_2ELb0ES3_jN6thrust23THRUST_200600_302600_NS6detail15normal_iteratorINSA_7pointerIjNSA_11hip_rocprim3tagENSA_11use_defaultESG_EEEEPS6_NSA_18transform_iteratorI7is_evenIjENSC_INSA_10device_ptrIjEEEESG_SG_EENS0_5tupleIJPjSJ_EEENSR_IJSJ_SJ_EEES6_PlJS6_EEE10hipError_tPvRmT3_T4_T5_T6_T7_T9_mT8_P12ihipStream_tbDpT10_ENKUlT_T0_E_clISt17integral_constantIbLb0EES1F_EEDaS1A_S1B_EUlS1A_E_NS1_11comp_targetILNS1_3genE3ELNS1_11target_archE908ELNS1_3gpuE7ELNS1_3repE0EEENS1_30default_config_static_selectorELNS0_4arch9wavefront6targetE1EEEvT1_
	.globl	_ZN7rocprim17ROCPRIM_400000_NS6detail17trampoline_kernelINS0_14default_configENS1_25partition_config_selectorILNS1_17partition_subalgoE2EjNS0_10empty_typeEbEEZZNS1_14partition_implILS5_2ELb0ES3_jN6thrust23THRUST_200600_302600_NS6detail15normal_iteratorINSA_7pointerIjNSA_11hip_rocprim3tagENSA_11use_defaultESG_EEEEPS6_NSA_18transform_iteratorI7is_evenIjENSC_INSA_10device_ptrIjEEEESG_SG_EENS0_5tupleIJPjSJ_EEENSR_IJSJ_SJ_EEES6_PlJS6_EEE10hipError_tPvRmT3_T4_T5_T6_T7_T9_mT8_P12ihipStream_tbDpT10_ENKUlT_T0_E_clISt17integral_constantIbLb0EES1F_EEDaS1A_S1B_EUlS1A_E_NS1_11comp_targetILNS1_3genE3ELNS1_11target_archE908ELNS1_3gpuE7ELNS1_3repE0EEENS1_30default_config_static_selectorELNS0_4arch9wavefront6targetE1EEEvT1_
	.p2align	8
	.type	_ZN7rocprim17ROCPRIM_400000_NS6detail17trampoline_kernelINS0_14default_configENS1_25partition_config_selectorILNS1_17partition_subalgoE2EjNS0_10empty_typeEbEEZZNS1_14partition_implILS5_2ELb0ES3_jN6thrust23THRUST_200600_302600_NS6detail15normal_iteratorINSA_7pointerIjNSA_11hip_rocprim3tagENSA_11use_defaultESG_EEEEPS6_NSA_18transform_iteratorI7is_evenIjENSC_INSA_10device_ptrIjEEEESG_SG_EENS0_5tupleIJPjSJ_EEENSR_IJSJ_SJ_EEES6_PlJS6_EEE10hipError_tPvRmT3_T4_T5_T6_T7_T9_mT8_P12ihipStream_tbDpT10_ENKUlT_T0_E_clISt17integral_constantIbLb0EES1F_EEDaS1A_S1B_EUlS1A_E_NS1_11comp_targetILNS1_3genE3ELNS1_11target_archE908ELNS1_3gpuE7ELNS1_3repE0EEENS1_30default_config_static_selectorELNS0_4arch9wavefront6targetE1EEEvT1_,@function
_ZN7rocprim17ROCPRIM_400000_NS6detail17trampoline_kernelINS0_14default_configENS1_25partition_config_selectorILNS1_17partition_subalgoE2EjNS0_10empty_typeEbEEZZNS1_14partition_implILS5_2ELb0ES3_jN6thrust23THRUST_200600_302600_NS6detail15normal_iteratorINSA_7pointerIjNSA_11hip_rocprim3tagENSA_11use_defaultESG_EEEEPS6_NSA_18transform_iteratorI7is_evenIjENSC_INSA_10device_ptrIjEEEESG_SG_EENS0_5tupleIJPjSJ_EEENSR_IJSJ_SJ_EEES6_PlJS6_EEE10hipError_tPvRmT3_T4_T5_T6_T7_T9_mT8_P12ihipStream_tbDpT10_ENKUlT_T0_E_clISt17integral_constantIbLb0EES1F_EEDaS1A_S1B_EUlS1A_E_NS1_11comp_targetILNS1_3genE3ELNS1_11target_archE908ELNS1_3gpuE7ELNS1_3repE0EEENS1_30default_config_static_selectorELNS0_4arch9wavefront6targetE1EEEvT1_: ; @_ZN7rocprim17ROCPRIM_400000_NS6detail17trampoline_kernelINS0_14default_configENS1_25partition_config_selectorILNS1_17partition_subalgoE2EjNS0_10empty_typeEbEEZZNS1_14partition_implILS5_2ELb0ES3_jN6thrust23THRUST_200600_302600_NS6detail15normal_iteratorINSA_7pointerIjNSA_11hip_rocprim3tagENSA_11use_defaultESG_EEEEPS6_NSA_18transform_iteratorI7is_evenIjENSC_INSA_10device_ptrIjEEEESG_SG_EENS0_5tupleIJPjSJ_EEENSR_IJSJ_SJ_EEES6_PlJS6_EEE10hipError_tPvRmT3_T4_T5_T6_T7_T9_mT8_P12ihipStream_tbDpT10_ENKUlT_T0_E_clISt17integral_constantIbLb0EES1F_EEDaS1A_S1B_EUlS1A_E_NS1_11comp_targetILNS1_3genE3ELNS1_11target_archE908ELNS1_3gpuE7ELNS1_3repE0EEENS1_30default_config_static_selectorELNS0_4arch9wavefront6targetE1EEEvT1_
; %bb.0:
	.section	.rodata,"a",@progbits
	.p2align	6, 0x0
	.amdhsa_kernel _ZN7rocprim17ROCPRIM_400000_NS6detail17trampoline_kernelINS0_14default_configENS1_25partition_config_selectorILNS1_17partition_subalgoE2EjNS0_10empty_typeEbEEZZNS1_14partition_implILS5_2ELb0ES3_jN6thrust23THRUST_200600_302600_NS6detail15normal_iteratorINSA_7pointerIjNSA_11hip_rocprim3tagENSA_11use_defaultESG_EEEEPS6_NSA_18transform_iteratorI7is_evenIjENSC_INSA_10device_ptrIjEEEESG_SG_EENS0_5tupleIJPjSJ_EEENSR_IJSJ_SJ_EEES6_PlJS6_EEE10hipError_tPvRmT3_T4_T5_T6_T7_T9_mT8_P12ihipStream_tbDpT10_ENKUlT_T0_E_clISt17integral_constantIbLb0EES1F_EEDaS1A_S1B_EUlS1A_E_NS1_11comp_targetILNS1_3genE3ELNS1_11target_archE908ELNS1_3gpuE7ELNS1_3repE0EEENS1_30default_config_static_selectorELNS0_4arch9wavefront6targetE1EEEvT1_
		.amdhsa_group_segment_fixed_size 0
		.amdhsa_private_segment_fixed_size 0
		.amdhsa_kernarg_size 128
		.amdhsa_user_sgpr_count 6
		.amdhsa_user_sgpr_private_segment_buffer 1
		.amdhsa_user_sgpr_dispatch_ptr 0
		.amdhsa_user_sgpr_queue_ptr 0
		.amdhsa_user_sgpr_kernarg_segment_ptr 1
		.amdhsa_user_sgpr_dispatch_id 0
		.amdhsa_user_sgpr_flat_scratch_init 0
		.amdhsa_user_sgpr_kernarg_preload_length 0
		.amdhsa_user_sgpr_kernarg_preload_offset 0
		.amdhsa_user_sgpr_private_segment_size 0
		.amdhsa_uses_dynamic_stack 0
		.amdhsa_system_sgpr_private_segment_wavefront_offset 0
		.amdhsa_system_sgpr_workgroup_id_x 1
		.amdhsa_system_sgpr_workgroup_id_y 0
		.amdhsa_system_sgpr_workgroup_id_z 0
		.amdhsa_system_sgpr_workgroup_info 0
		.amdhsa_system_vgpr_workitem_id 0
		.amdhsa_next_free_vgpr 1
		.amdhsa_next_free_sgpr 0
		.amdhsa_accum_offset 4
		.amdhsa_reserve_vcc 0
		.amdhsa_reserve_flat_scratch 0
		.amdhsa_float_round_mode_32 0
		.amdhsa_float_round_mode_16_64 0
		.amdhsa_float_denorm_mode_32 3
		.amdhsa_float_denorm_mode_16_64 3
		.amdhsa_dx10_clamp 1
		.amdhsa_ieee_mode 1
		.amdhsa_fp16_overflow 0
		.amdhsa_tg_split 0
		.amdhsa_exception_fp_ieee_invalid_op 0
		.amdhsa_exception_fp_denorm_src 0
		.amdhsa_exception_fp_ieee_div_zero 0
		.amdhsa_exception_fp_ieee_overflow 0
		.amdhsa_exception_fp_ieee_underflow 0
		.amdhsa_exception_fp_ieee_inexact 0
		.amdhsa_exception_int_div_zero 0
	.end_amdhsa_kernel
	.section	.text._ZN7rocprim17ROCPRIM_400000_NS6detail17trampoline_kernelINS0_14default_configENS1_25partition_config_selectorILNS1_17partition_subalgoE2EjNS0_10empty_typeEbEEZZNS1_14partition_implILS5_2ELb0ES3_jN6thrust23THRUST_200600_302600_NS6detail15normal_iteratorINSA_7pointerIjNSA_11hip_rocprim3tagENSA_11use_defaultESG_EEEEPS6_NSA_18transform_iteratorI7is_evenIjENSC_INSA_10device_ptrIjEEEESG_SG_EENS0_5tupleIJPjSJ_EEENSR_IJSJ_SJ_EEES6_PlJS6_EEE10hipError_tPvRmT3_T4_T5_T6_T7_T9_mT8_P12ihipStream_tbDpT10_ENKUlT_T0_E_clISt17integral_constantIbLb0EES1F_EEDaS1A_S1B_EUlS1A_E_NS1_11comp_targetILNS1_3genE3ELNS1_11target_archE908ELNS1_3gpuE7ELNS1_3repE0EEENS1_30default_config_static_selectorELNS0_4arch9wavefront6targetE1EEEvT1_,"axG",@progbits,_ZN7rocprim17ROCPRIM_400000_NS6detail17trampoline_kernelINS0_14default_configENS1_25partition_config_selectorILNS1_17partition_subalgoE2EjNS0_10empty_typeEbEEZZNS1_14partition_implILS5_2ELb0ES3_jN6thrust23THRUST_200600_302600_NS6detail15normal_iteratorINSA_7pointerIjNSA_11hip_rocprim3tagENSA_11use_defaultESG_EEEEPS6_NSA_18transform_iteratorI7is_evenIjENSC_INSA_10device_ptrIjEEEESG_SG_EENS0_5tupleIJPjSJ_EEENSR_IJSJ_SJ_EEES6_PlJS6_EEE10hipError_tPvRmT3_T4_T5_T6_T7_T9_mT8_P12ihipStream_tbDpT10_ENKUlT_T0_E_clISt17integral_constantIbLb0EES1F_EEDaS1A_S1B_EUlS1A_E_NS1_11comp_targetILNS1_3genE3ELNS1_11target_archE908ELNS1_3gpuE7ELNS1_3repE0EEENS1_30default_config_static_selectorELNS0_4arch9wavefront6targetE1EEEvT1_,comdat
.Lfunc_end2040:
	.size	_ZN7rocprim17ROCPRIM_400000_NS6detail17trampoline_kernelINS0_14default_configENS1_25partition_config_selectorILNS1_17partition_subalgoE2EjNS0_10empty_typeEbEEZZNS1_14partition_implILS5_2ELb0ES3_jN6thrust23THRUST_200600_302600_NS6detail15normal_iteratorINSA_7pointerIjNSA_11hip_rocprim3tagENSA_11use_defaultESG_EEEEPS6_NSA_18transform_iteratorI7is_evenIjENSC_INSA_10device_ptrIjEEEESG_SG_EENS0_5tupleIJPjSJ_EEENSR_IJSJ_SJ_EEES6_PlJS6_EEE10hipError_tPvRmT3_T4_T5_T6_T7_T9_mT8_P12ihipStream_tbDpT10_ENKUlT_T0_E_clISt17integral_constantIbLb0EES1F_EEDaS1A_S1B_EUlS1A_E_NS1_11comp_targetILNS1_3genE3ELNS1_11target_archE908ELNS1_3gpuE7ELNS1_3repE0EEENS1_30default_config_static_selectorELNS0_4arch9wavefront6targetE1EEEvT1_, .Lfunc_end2040-_ZN7rocprim17ROCPRIM_400000_NS6detail17trampoline_kernelINS0_14default_configENS1_25partition_config_selectorILNS1_17partition_subalgoE2EjNS0_10empty_typeEbEEZZNS1_14partition_implILS5_2ELb0ES3_jN6thrust23THRUST_200600_302600_NS6detail15normal_iteratorINSA_7pointerIjNSA_11hip_rocprim3tagENSA_11use_defaultESG_EEEEPS6_NSA_18transform_iteratorI7is_evenIjENSC_INSA_10device_ptrIjEEEESG_SG_EENS0_5tupleIJPjSJ_EEENSR_IJSJ_SJ_EEES6_PlJS6_EEE10hipError_tPvRmT3_T4_T5_T6_T7_T9_mT8_P12ihipStream_tbDpT10_ENKUlT_T0_E_clISt17integral_constantIbLb0EES1F_EEDaS1A_S1B_EUlS1A_E_NS1_11comp_targetILNS1_3genE3ELNS1_11target_archE908ELNS1_3gpuE7ELNS1_3repE0EEENS1_30default_config_static_selectorELNS0_4arch9wavefront6targetE1EEEvT1_
                                        ; -- End function
	.section	.AMDGPU.csdata,"",@progbits
; Kernel info:
; codeLenInByte = 0
; NumSgprs: 4
; NumVgprs: 0
; NumAgprs: 0
; TotalNumVgprs: 0
; ScratchSize: 0
; MemoryBound: 0
; FloatMode: 240
; IeeeMode: 1
; LDSByteSize: 0 bytes/workgroup (compile time only)
; SGPRBlocks: 0
; VGPRBlocks: 0
; NumSGPRsForWavesPerEU: 4
; NumVGPRsForWavesPerEU: 1
; AccumOffset: 4
; Occupancy: 8
; WaveLimiterHint : 0
; COMPUTE_PGM_RSRC2:SCRATCH_EN: 0
; COMPUTE_PGM_RSRC2:USER_SGPR: 6
; COMPUTE_PGM_RSRC2:TRAP_HANDLER: 0
; COMPUTE_PGM_RSRC2:TGID_X_EN: 1
; COMPUTE_PGM_RSRC2:TGID_Y_EN: 0
; COMPUTE_PGM_RSRC2:TGID_Z_EN: 0
; COMPUTE_PGM_RSRC2:TIDIG_COMP_CNT: 0
; COMPUTE_PGM_RSRC3_GFX90A:ACCUM_OFFSET: 0
; COMPUTE_PGM_RSRC3_GFX90A:TG_SPLIT: 0
	.section	.text._ZN7rocprim17ROCPRIM_400000_NS6detail17trampoline_kernelINS0_14default_configENS1_25partition_config_selectorILNS1_17partition_subalgoE2EjNS0_10empty_typeEbEEZZNS1_14partition_implILS5_2ELb0ES3_jN6thrust23THRUST_200600_302600_NS6detail15normal_iteratorINSA_7pointerIjNSA_11hip_rocprim3tagENSA_11use_defaultESG_EEEEPS6_NSA_18transform_iteratorI7is_evenIjENSC_INSA_10device_ptrIjEEEESG_SG_EENS0_5tupleIJPjSJ_EEENSR_IJSJ_SJ_EEES6_PlJS6_EEE10hipError_tPvRmT3_T4_T5_T6_T7_T9_mT8_P12ihipStream_tbDpT10_ENKUlT_T0_E_clISt17integral_constantIbLb0EES1F_EEDaS1A_S1B_EUlS1A_E_NS1_11comp_targetILNS1_3genE2ELNS1_11target_archE906ELNS1_3gpuE6ELNS1_3repE0EEENS1_30default_config_static_selectorELNS0_4arch9wavefront6targetE1EEEvT1_,"axG",@progbits,_ZN7rocprim17ROCPRIM_400000_NS6detail17trampoline_kernelINS0_14default_configENS1_25partition_config_selectorILNS1_17partition_subalgoE2EjNS0_10empty_typeEbEEZZNS1_14partition_implILS5_2ELb0ES3_jN6thrust23THRUST_200600_302600_NS6detail15normal_iteratorINSA_7pointerIjNSA_11hip_rocprim3tagENSA_11use_defaultESG_EEEEPS6_NSA_18transform_iteratorI7is_evenIjENSC_INSA_10device_ptrIjEEEESG_SG_EENS0_5tupleIJPjSJ_EEENSR_IJSJ_SJ_EEES6_PlJS6_EEE10hipError_tPvRmT3_T4_T5_T6_T7_T9_mT8_P12ihipStream_tbDpT10_ENKUlT_T0_E_clISt17integral_constantIbLb0EES1F_EEDaS1A_S1B_EUlS1A_E_NS1_11comp_targetILNS1_3genE2ELNS1_11target_archE906ELNS1_3gpuE6ELNS1_3repE0EEENS1_30default_config_static_selectorELNS0_4arch9wavefront6targetE1EEEvT1_,comdat
	.protected	_ZN7rocprim17ROCPRIM_400000_NS6detail17trampoline_kernelINS0_14default_configENS1_25partition_config_selectorILNS1_17partition_subalgoE2EjNS0_10empty_typeEbEEZZNS1_14partition_implILS5_2ELb0ES3_jN6thrust23THRUST_200600_302600_NS6detail15normal_iteratorINSA_7pointerIjNSA_11hip_rocprim3tagENSA_11use_defaultESG_EEEEPS6_NSA_18transform_iteratorI7is_evenIjENSC_INSA_10device_ptrIjEEEESG_SG_EENS0_5tupleIJPjSJ_EEENSR_IJSJ_SJ_EEES6_PlJS6_EEE10hipError_tPvRmT3_T4_T5_T6_T7_T9_mT8_P12ihipStream_tbDpT10_ENKUlT_T0_E_clISt17integral_constantIbLb0EES1F_EEDaS1A_S1B_EUlS1A_E_NS1_11comp_targetILNS1_3genE2ELNS1_11target_archE906ELNS1_3gpuE6ELNS1_3repE0EEENS1_30default_config_static_selectorELNS0_4arch9wavefront6targetE1EEEvT1_ ; -- Begin function _ZN7rocprim17ROCPRIM_400000_NS6detail17trampoline_kernelINS0_14default_configENS1_25partition_config_selectorILNS1_17partition_subalgoE2EjNS0_10empty_typeEbEEZZNS1_14partition_implILS5_2ELb0ES3_jN6thrust23THRUST_200600_302600_NS6detail15normal_iteratorINSA_7pointerIjNSA_11hip_rocprim3tagENSA_11use_defaultESG_EEEEPS6_NSA_18transform_iteratorI7is_evenIjENSC_INSA_10device_ptrIjEEEESG_SG_EENS0_5tupleIJPjSJ_EEENSR_IJSJ_SJ_EEES6_PlJS6_EEE10hipError_tPvRmT3_T4_T5_T6_T7_T9_mT8_P12ihipStream_tbDpT10_ENKUlT_T0_E_clISt17integral_constantIbLb0EES1F_EEDaS1A_S1B_EUlS1A_E_NS1_11comp_targetILNS1_3genE2ELNS1_11target_archE906ELNS1_3gpuE6ELNS1_3repE0EEENS1_30default_config_static_selectorELNS0_4arch9wavefront6targetE1EEEvT1_
	.globl	_ZN7rocprim17ROCPRIM_400000_NS6detail17trampoline_kernelINS0_14default_configENS1_25partition_config_selectorILNS1_17partition_subalgoE2EjNS0_10empty_typeEbEEZZNS1_14partition_implILS5_2ELb0ES3_jN6thrust23THRUST_200600_302600_NS6detail15normal_iteratorINSA_7pointerIjNSA_11hip_rocprim3tagENSA_11use_defaultESG_EEEEPS6_NSA_18transform_iteratorI7is_evenIjENSC_INSA_10device_ptrIjEEEESG_SG_EENS0_5tupleIJPjSJ_EEENSR_IJSJ_SJ_EEES6_PlJS6_EEE10hipError_tPvRmT3_T4_T5_T6_T7_T9_mT8_P12ihipStream_tbDpT10_ENKUlT_T0_E_clISt17integral_constantIbLb0EES1F_EEDaS1A_S1B_EUlS1A_E_NS1_11comp_targetILNS1_3genE2ELNS1_11target_archE906ELNS1_3gpuE6ELNS1_3repE0EEENS1_30default_config_static_selectorELNS0_4arch9wavefront6targetE1EEEvT1_
	.p2align	8
	.type	_ZN7rocprim17ROCPRIM_400000_NS6detail17trampoline_kernelINS0_14default_configENS1_25partition_config_selectorILNS1_17partition_subalgoE2EjNS0_10empty_typeEbEEZZNS1_14partition_implILS5_2ELb0ES3_jN6thrust23THRUST_200600_302600_NS6detail15normal_iteratorINSA_7pointerIjNSA_11hip_rocprim3tagENSA_11use_defaultESG_EEEEPS6_NSA_18transform_iteratorI7is_evenIjENSC_INSA_10device_ptrIjEEEESG_SG_EENS0_5tupleIJPjSJ_EEENSR_IJSJ_SJ_EEES6_PlJS6_EEE10hipError_tPvRmT3_T4_T5_T6_T7_T9_mT8_P12ihipStream_tbDpT10_ENKUlT_T0_E_clISt17integral_constantIbLb0EES1F_EEDaS1A_S1B_EUlS1A_E_NS1_11comp_targetILNS1_3genE2ELNS1_11target_archE906ELNS1_3gpuE6ELNS1_3repE0EEENS1_30default_config_static_selectorELNS0_4arch9wavefront6targetE1EEEvT1_,@function
_ZN7rocprim17ROCPRIM_400000_NS6detail17trampoline_kernelINS0_14default_configENS1_25partition_config_selectorILNS1_17partition_subalgoE2EjNS0_10empty_typeEbEEZZNS1_14partition_implILS5_2ELb0ES3_jN6thrust23THRUST_200600_302600_NS6detail15normal_iteratorINSA_7pointerIjNSA_11hip_rocprim3tagENSA_11use_defaultESG_EEEEPS6_NSA_18transform_iteratorI7is_evenIjENSC_INSA_10device_ptrIjEEEESG_SG_EENS0_5tupleIJPjSJ_EEENSR_IJSJ_SJ_EEES6_PlJS6_EEE10hipError_tPvRmT3_T4_T5_T6_T7_T9_mT8_P12ihipStream_tbDpT10_ENKUlT_T0_E_clISt17integral_constantIbLb0EES1F_EEDaS1A_S1B_EUlS1A_E_NS1_11comp_targetILNS1_3genE2ELNS1_11target_archE906ELNS1_3gpuE6ELNS1_3repE0EEENS1_30default_config_static_selectorELNS0_4arch9wavefront6targetE1EEEvT1_: ; @_ZN7rocprim17ROCPRIM_400000_NS6detail17trampoline_kernelINS0_14default_configENS1_25partition_config_selectorILNS1_17partition_subalgoE2EjNS0_10empty_typeEbEEZZNS1_14partition_implILS5_2ELb0ES3_jN6thrust23THRUST_200600_302600_NS6detail15normal_iteratorINSA_7pointerIjNSA_11hip_rocprim3tagENSA_11use_defaultESG_EEEEPS6_NSA_18transform_iteratorI7is_evenIjENSC_INSA_10device_ptrIjEEEESG_SG_EENS0_5tupleIJPjSJ_EEENSR_IJSJ_SJ_EEES6_PlJS6_EEE10hipError_tPvRmT3_T4_T5_T6_T7_T9_mT8_P12ihipStream_tbDpT10_ENKUlT_T0_E_clISt17integral_constantIbLb0EES1F_EEDaS1A_S1B_EUlS1A_E_NS1_11comp_targetILNS1_3genE2ELNS1_11target_archE906ELNS1_3gpuE6ELNS1_3repE0EEENS1_30default_config_static_selectorELNS0_4arch9wavefront6targetE1EEEvT1_
; %bb.0:
	.section	.rodata,"a",@progbits
	.p2align	6, 0x0
	.amdhsa_kernel _ZN7rocprim17ROCPRIM_400000_NS6detail17trampoline_kernelINS0_14default_configENS1_25partition_config_selectorILNS1_17partition_subalgoE2EjNS0_10empty_typeEbEEZZNS1_14partition_implILS5_2ELb0ES3_jN6thrust23THRUST_200600_302600_NS6detail15normal_iteratorINSA_7pointerIjNSA_11hip_rocprim3tagENSA_11use_defaultESG_EEEEPS6_NSA_18transform_iteratorI7is_evenIjENSC_INSA_10device_ptrIjEEEESG_SG_EENS0_5tupleIJPjSJ_EEENSR_IJSJ_SJ_EEES6_PlJS6_EEE10hipError_tPvRmT3_T4_T5_T6_T7_T9_mT8_P12ihipStream_tbDpT10_ENKUlT_T0_E_clISt17integral_constantIbLb0EES1F_EEDaS1A_S1B_EUlS1A_E_NS1_11comp_targetILNS1_3genE2ELNS1_11target_archE906ELNS1_3gpuE6ELNS1_3repE0EEENS1_30default_config_static_selectorELNS0_4arch9wavefront6targetE1EEEvT1_
		.amdhsa_group_segment_fixed_size 0
		.amdhsa_private_segment_fixed_size 0
		.amdhsa_kernarg_size 128
		.amdhsa_user_sgpr_count 6
		.amdhsa_user_sgpr_private_segment_buffer 1
		.amdhsa_user_sgpr_dispatch_ptr 0
		.amdhsa_user_sgpr_queue_ptr 0
		.amdhsa_user_sgpr_kernarg_segment_ptr 1
		.amdhsa_user_sgpr_dispatch_id 0
		.amdhsa_user_sgpr_flat_scratch_init 0
		.amdhsa_user_sgpr_kernarg_preload_length 0
		.amdhsa_user_sgpr_kernarg_preload_offset 0
		.amdhsa_user_sgpr_private_segment_size 0
		.amdhsa_uses_dynamic_stack 0
		.amdhsa_system_sgpr_private_segment_wavefront_offset 0
		.amdhsa_system_sgpr_workgroup_id_x 1
		.amdhsa_system_sgpr_workgroup_id_y 0
		.amdhsa_system_sgpr_workgroup_id_z 0
		.amdhsa_system_sgpr_workgroup_info 0
		.amdhsa_system_vgpr_workitem_id 0
		.amdhsa_next_free_vgpr 1
		.amdhsa_next_free_sgpr 0
		.amdhsa_accum_offset 4
		.amdhsa_reserve_vcc 0
		.amdhsa_reserve_flat_scratch 0
		.amdhsa_float_round_mode_32 0
		.amdhsa_float_round_mode_16_64 0
		.amdhsa_float_denorm_mode_32 3
		.amdhsa_float_denorm_mode_16_64 3
		.amdhsa_dx10_clamp 1
		.amdhsa_ieee_mode 1
		.amdhsa_fp16_overflow 0
		.amdhsa_tg_split 0
		.amdhsa_exception_fp_ieee_invalid_op 0
		.amdhsa_exception_fp_denorm_src 0
		.amdhsa_exception_fp_ieee_div_zero 0
		.amdhsa_exception_fp_ieee_overflow 0
		.amdhsa_exception_fp_ieee_underflow 0
		.amdhsa_exception_fp_ieee_inexact 0
		.amdhsa_exception_int_div_zero 0
	.end_amdhsa_kernel
	.section	.text._ZN7rocprim17ROCPRIM_400000_NS6detail17trampoline_kernelINS0_14default_configENS1_25partition_config_selectorILNS1_17partition_subalgoE2EjNS0_10empty_typeEbEEZZNS1_14partition_implILS5_2ELb0ES3_jN6thrust23THRUST_200600_302600_NS6detail15normal_iteratorINSA_7pointerIjNSA_11hip_rocprim3tagENSA_11use_defaultESG_EEEEPS6_NSA_18transform_iteratorI7is_evenIjENSC_INSA_10device_ptrIjEEEESG_SG_EENS0_5tupleIJPjSJ_EEENSR_IJSJ_SJ_EEES6_PlJS6_EEE10hipError_tPvRmT3_T4_T5_T6_T7_T9_mT8_P12ihipStream_tbDpT10_ENKUlT_T0_E_clISt17integral_constantIbLb0EES1F_EEDaS1A_S1B_EUlS1A_E_NS1_11comp_targetILNS1_3genE2ELNS1_11target_archE906ELNS1_3gpuE6ELNS1_3repE0EEENS1_30default_config_static_selectorELNS0_4arch9wavefront6targetE1EEEvT1_,"axG",@progbits,_ZN7rocprim17ROCPRIM_400000_NS6detail17trampoline_kernelINS0_14default_configENS1_25partition_config_selectorILNS1_17partition_subalgoE2EjNS0_10empty_typeEbEEZZNS1_14partition_implILS5_2ELb0ES3_jN6thrust23THRUST_200600_302600_NS6detail15normal_iteratorINSA_7pointerIjNSA_11hip_rocprim3tagENSA_11use_defaultESG_EEEEPS6_NSA_18transform_iteratorI7is_evenIjENSC_INSA_10device_ptrIjEEEESG_SG_EENS0_5tupleIJPjSJ_EEENSR_IJSJ_SJ_EEES6_PlJS6_EEE10hipError_tPvRmT3_T4_T5_T6_T7_T9_mT8_P12ihipStream_tbDpT10_ENKUlT_T0_E_clISt17integral_constantIbLb0EES1F_EEDaS1A_S1B_EUlS1A_E_NS1_11comp_targetILNS1_3genE2ELNS1_11target_archE906ELNS1_3gpuE6ELNS1_3repE0EEENS1_30default_config_static_selectorELNS0_4arch9wavefront6targetE1EEEvT1_,comdat
.Lfunc_end2041:
	.size	_ZN7rocprim17ROCPRIM_400000_NS6detail17trampoline_kernelINS0_14default_configENS1_25partition_config_selectorILNS1_17partition_subalgoE2EjNS0_10empty_typeEbEEZZNS1_14partition_implILS5_2ELb0ES3_jN6thrust23THRUST_200600_302600_NS6detail15normal_iteratorINSA_7pointerIjNSA_11hip_rocprim3tagENSA_11use_defaultESG_EEEEPS6_NSA_18transform_iteratorI7is_evenIjENSC_INSA_10device_ptrIjEEEESG_SG_EENS0_5tupleIJPjSJ_EEENSR_IJSJ_SJ_EEES6_PlJS6_EEE10hipError_tPvRmT3_T4_T5_T6_T7_T9_mT8_P12ihipStream_tbDpT10_ENKUlT_T0_E_clISt17integral_constantIbLb0EES1F_EEDaS1A_S1B_EUlS1A_E_NS1_11comp_targetILNS1_3genE2ELNS1_11target_archE906ELNS1_3gpuE6ELNS1_3repE0EEENS1_30default_config_static_selectorELNS0_4arch9wavefront6targetE1EEEvT1_, .Lfunc_end2041-_ZN7rocprim17ROCPRIM_400000_NS6detail17trampoline_kernelINS0_14default_configENS1_25partition_config_selectorILNS1_17partition_subalgoE2EjNS0_10empty_typeEbEEZZNS1_14partition_implILS5_2ELb0ES3_jN6thrust23THRUST_200600_302600_NS6detail15normal_iteratorINSA_7pointerIjNSA_11hip_rocprim3tagENSA_11use_defaultESG_EEEEPS6_NSA_18transform_iteratorI7is_evenIjENSC_INSA_10device_ptrIjEEEESG_SG_EENS0_5tupleIJPjSJ_EEENSR_IJSJ_SJ_EEES6_PlJS6_EEE10hipError_tPvRmT3_T4_T5_T6_T7_T9_mT8_P12ihipStream_tbDpT10_ENKUlT_T0_E_clISt17integral_constantIbLb0EES1F_EEDaS1A_S1B_EUlS1A_E_NS1_11comp_targetILNS1_3genE2ELNS1_11target_archE906ELNS1_3gpuE6ELNS1_3repE0EEENS1_30default_config_static_selectorELNS0_4arch9wavefront6targetE1EEEvT1_
                                        ; -- End function
	.section	.AMDGPU.csdata,"",@progbits
; Kernel info:
; codeLenInByte = 0
; NumSgprs: 4
; NumVgprs: 0
; NumAgprs: 0
; TotalNumVgprs: 0
; ScratchSize: 0
; MemoryBound: 0
; FloatMode: 240
; IeeeMode: 1
; LDSByteSize: 0 bytes/workgroup (compile time only)
; SGPRBlocks: 0
; VGPRBlocks: 0
; NumSGPRsForWavesPerEU: 4
; NumVGPRsForWavesPerEU: 1
; AccumOffset: 4
; Occupancy: 8
; WaveLimiterHint : 0
; COMPUTE_PGM_RSRC2:SCRATCH_EN: 0
; COMPUTE_PGM_RSRC2:USER_SGPR: 6
; COMPUTE_PGM_RSRC2:TRAP_HANDLER: 0
; COMPUTE_PGM_RSRC2:TGID_X_EN: 1
; COMPUTE_PGM_RSRC2:TGID_Y_EN: 0
; COMPUTE_PGM_RSRC2:TGID_Z_EN: 0
; COMPUTE_PGM_RSRC2:TIDIG_COMP_CNT: 0
; COMPUTE_PGM_RSRC3_GFX90A:ACCUM_OFFSET: 0
; COMPUTE_PGM_RSRC3_GFX90A:TG_SPLIT: 0
	.section	.text._ZN7rocprim17ROCPRIM_400000_NS6detail17trampoline_kernelINS0_14default_configENS1_25partition_config_selectorILNS1_17partition_subalgoE2EjNS0_10empty_typeEbEEZZNS1_14partition_implILS5_2ELb0ES3_jN6thrust23THRUST_200600_302600_NS6detail15normal_iteratorINSA_7pointerIjNSA_11hip_rocprim3tagENSA_11use_defaultESG_EEEEPS6_NSA_18transform_iteratorI7is_evenIjENSC_INSA_10device_ptrIjEEEESG_SG_EENS0_5tupleIJPjSJ_EEENSR_IJSJ_SJ_EEES6_PlJS6_EEE10hipError_tPvRmT3_T4_T5_T6_T7_T9_mT8_P12ihipStream_tbDpT10_ENKUlT_T0_E_clISt17integral_constantIbLb0EES1F_EEDaS1A_S1B_EUlS1A_E_NS1_11comp_targetILNS1_3genE10ELNS1_11target_archE1200ELNS1_3gpuE4ELNS1_3repE0EEENS1_30default_config_static_selectorELNS0_4arch9wavefront6targetE1EEEvT1_,"axG",@progbits,_ZN7rocprim17ROCPRIM_400000_NS6detail17trampoline_kernelINS0_14default_configENS1_25partition_config_selectorILNS1_17partition_subalgoE2EjNS0_10empty_typeEbEEZZNS1_14partition_implILS5_2ELb0ES3_jN6thrust23THRUST_200600_302600_NS6detail15normal_iteratorINSA_7pointerIjNSA_11hip_rocprim3tagENSA_11use_defaultESG_EEEEPS6_NSA_18transform_iteratorI7is_evenIjENSC_INSA_10device_ptrIjEEEESG_SG_EENS0_5tupleIJPjSJ_EEENSR_IJSJ_SJ_EEES6_PlJS6_EEE10hipError_tPvRmT3_T4_T5_T6_T7_T9_mT8_P12ihipStream_tbDpT10_ENKUlT_T0_E_clISt17integral_constantIbLb0EES1F_EEDaS1A_S1B_EUlS1A_E_NS1_11comp_targetILNS1_3genE10ELNS1_11target_archE1200ELNS1_3gpuE4ELNS1_3repE0EEENS1_30default_config_static_selectorELNS0_4arch9wavefront6targetE1EEEvT1_,comdat
	.protected	_ZN7rocprim17ROCPRIM_400000_NS6detail17trampoline_kernelINS0_14default_configENS1_25partition_config_selectorILNS1_17partition_subalgoE2EjNS0_10empty_typeEbEEZZNS1_14partition_implILS5_2ELb0ES3_jN6thrust23THRUST_200600_302600_NS6detail15normal_iteratorINSA_7pointerIjNSA_11hip_rocprim3tagENSA_11use_defaultESG_EEEEPS6_NSA_18transform_iteratorI7is_evenIjENSC_INSA_10device_ptrIjEEEESG_SG_EENS0_5tupleIJPjSJ_EEENSR_IJSJ_SJ_EEES6_PlJS6_EEE10hipError_tPvRmT3_T4_T5_T6_T7_T9_mT8_P12ihipStream_tbDpT10_ENKUlT_T0_E_clISt17integral_constantIbLb0EES1F_EEDaS1A_S1B_EUlS1A_E_NS1_11comp_targetILNS1_3genE10ELNS1_11target_archE1200ELNS1_3gpuE4ELNS1_3repE0EEENS1_30default_config_static_selectorELNS0_4arch9wavefront6targetE1EEEvT1_ ; -- Begin function _ZN7rocprim17ROCPRIM_400000_NS6detail17trampoline_kernelINS0_14default_configENS1_25partition_config_selectorILNS1_17partition_subalgoE2EjNS0_10empty_typeEbEEZZNS1_14partition_implILS5_2ELb0ES3_jN6thrust23THRUST_200600_302600_NS6detail15normal_iteratorINSA_7pointerIjNSA_11hip_rocprim3tagENSA_11use_defaultESG_EEEEPS6_NSA_18transform_iteratorI7is_evenIjENSC_INSA_10device_ptrIjEEEESG_SG_EENS0_5tupleIJPjSJ_EEENSR_IJSJ_SJ_EEES6_PlJS6_EEE10hipError_tPvRmT3_T4_T5_T6_T7_T9_mT8_P12ihipStream_tbDpT10_ENKUlT_T0_E_clISt17integral_constantIbLb0EES1F_EEDaS1A_S1B_EUlS1A_E_NS1_11comp_targetILNS1_3genE10ELNS1_11target_archE1200ELNS1_3gpuE4ELNS1_3repE0EEENS1_30default_config_static_selectorELNS0_4arch9wavefront6targetE1EEEvT1_
	.globl	_ZN7rocprim17ROCPRIM_400000_NS6detail17trampoline_kernelINS0_14default_configENS1_25partition_config_selectorILNS1_17partition_subalgoE2EjNS0_10empty_typeEbEEZZNS1_14partition_implILS5_2ELb0ES3_jN6thrust23THRUST_200600_302600_NS6detail15normal_iteratorINSA_7pointerIjNSA_11hip_rocprim3tagENSA_11use_defaultESG_EEEEPS6_NSA_18transform_iteratorI7is_evenIjENSC_INSA_10device_ptrIjEEEESG_SG_EENS0_5tupleIJPjSJ_EEENSR_IJSJ_SJ_EEES6_PlJS6_EEE10hipError_tPvRmT3_T4_T5_T6_T7_T9_mT8_P12ihipStream_tbDpT10_ENKUlT_T0_E_clISt17integral_constantIbLb0EES1F_EEDaS1A_S1B_EUlS1A_E_NS1_11comp_targetILNS1_3genE10ELNS1_11target_archE1200ELNS1_3gpuE4ELNS1_3repE0EEENS1_30default_config_static_selectorELNS0_4arch9wavefront6targetE1EEEvT1_
	.p2align	8
	.type	_ZN7rocprim17ROCPRIM_400000_NS6detail17trampoline_kernelINS0_14default_configENS1_25partition_config_selectorILNS1_17partition_subalgoE2EjNS0_10empty_typeEbEEZZNS1_14partition_implILS5_2ELb0ES3_jN6thrust23THRUST_200600_302600_NS6detail15normal_iteratorINSA_7pointerIjNSA_11hip_rocprim3tagENSA_11use_defaultESG_EEEEPS6_NSA_18transform_iteratorI7is_evenIjENSC_INSA_10device_ptrIjEEEESG_SG_EENS0_5tupleIJPjSJ_EEENSR_IJSJ_SJ_EEES6_PlJS6_EEE10hipError_tPvRmT3_T4_T5_T6_T7_T9_mT8_P12ihipStream_tbDpT10_ENKUlT_T0_E_clISt17integral_constantIbLb0EES1F_EEDaS1A_S1B_EUlS1A_E_NS1_11comp_targetILNS1_3genE10ELNS1_11target_archE1200ELNS1_3gpuE4ELNS1_3repE0EEENS1_30default_config_static_selectorELNS0_4arch9wavefront6targetE1EEEvT1_,@function
_ZN7rocprim17ROCPRIM_400000_NS6detail17trampoline_kernelINS0_14default_configENS1_25partition_config_selectorILNS1_17partition_subalgoE2EjNS0_10empty_typeEbEEZZNS1_14partition_implILS5_2ELb0ES3_jN6thrust23THRUST_200600_302600_NS6detail15normal_iteratorINSA_7pointerIjNSA_11hip_rocprim3tagENSA_11use_defaultESG_EEEEPS6_NSA_18transform_iteratorI7is_evenIjENSC_INSA_10device_ptrIjEEEESG_SG_EENS0_5tupleIJPjSJ_EEENSR_IJSJ_SJ_EEES6_PlJS6_EEE10hipError_tPvRmT3_T4_T5_T6_T7_T9_mT8_P12ihipStream_tbDpT10_ENKUlT_T0_E_clISt17integral_constantIbLb0EES1F_EEDaS1A_S1B_EUlS1A_E_NS1_11comp_targetILNS1_3genE10ELNS1_11target_archE1200ELNS1_3gpuE4ELNS1_3repE0EEENS1_30default_config_static_selectorELNS0_4arch9wavefront6targetE1EEEvT1_: ; @_ZN7rocprim17ROCPRIM_400000_NS6detail17trampoline_kernelINS0_14default_configENS1_25partition_config_selectorILNS1_17partition_subalgoE2EjNS0_10empty_typeEbEEZZNS1_14partition_implILS5_2ELb0ES3_jN6thrust23THRUST_200600_302600_NS6detail15normal_iteratorINSA_7pointerIjNSA_11hip_rocprim3tagENSA_11use_defaultESG_EEEEPS6_NSA_18transform_iteratorI7is_evenIjENSC_INSA_10device_ptrIjEEEESG_SG_EENS0_5tupleIJPjSJ_EEENSR_IJSJ_SJ_EEES6_PlJS6_EEE10hipError_tPvRmT3_T4_T5_T6_T7_T9_mT8_P12ihipStream_tbDpT10_ENKUlT_T0_E_clISt17integral_constantIbLb0EES1F_EEDaS1A_S1B_EUlS1A_E_NS1_11comp_targetILNS1_3genE10ELNS1_11target_archE1200ELNS1_3gpuE4ELNS1_3repE0EEENS1_30default_config_static_selectorELNS0_4arch9wavefront6targetE1EEEvT1_
; %bb.0:
	.section	.rodata,"a",@progbits
	.p2align	6, 0x0
	.amdhsa_kernel _ZN7rocprim17ROCPRIM_400000_NS6detail17trampoline_kernelINS0_14default_configENS1_25partition_config_selectorILNS1_17partition_subalgoE2EjNS0_10empty_typeEbEEZZNS1_14partition_implILS5_2ELb0ES3_jN6thrust23THRUST_200600_302600_NS6detail15normal_iteratorINSA_7pointerIjNSA_11hip_rocprim3tagENSA_11use_defaultESG_EEEEPS6_NSA_18transform_iteratorI7is_evenIjENSC_INSA_10device_ptrIjEEEESG_SG_EENS0_5tupleIJPjSJ_EEENSR_IJSJ_SJ_EEES6_PlJS6_EEE10hipError_tPvRmT3_T4_T5_T6_T7_T9_mT8_P12ihipStream_tbDpT10_ENKUlT_T0_E_clISt17integral_constantIbLb0EES1F_EEDaS1A_S1B_EUlS1A_E_NS1_11comp_targetILNS1_3genE10ELNS1_11target_archE1200ELNS1_3gpuE4ELNS1_3repE0EEENS1_30default_config_static_selectorELNS0_4arch9wavefront6targetE1EEEvT1_
		.amdhsa_group_segment_fixed_size 0
		.amdhsa_private_segment_fixed_size 0
		.amdhsa_kernarg_size 128
		.amdhsa_user_sgpr_count 6
		.amdhsa_user_sgpr_private_segment_buffer 1
		.amdhsa_user_sgpr_dispatch_ptr 0
		.amdhsa_user_sgpr_queue_ptr 0
		.amdhsa_user_sgpr_kernarg_segment_ptr 1
		.amdhsa_user_sgpr_dispatch_id 0
		.amdhsa_user_sgpr_flat_scratch_init 0
		.amdhsa_user_sgpr_kernarg_preload_length 0
		.amdhsa_user_sgpr_kernarg_preload_offset 0
		.amdhsa_user_sgpr_private_segment_size 0
		.amdhsa_uses_dynamic_stack 0
		.amdhsa_system_sgpr_private_segment_wavefront_offset 0
		.amdhsa_system_sgpr_workgroup_id_x 1
		.amdhsa_system_sgpr_workgroup_id_y 0
		.amdhsa_system_sgpr_workgroup_id_z 0
		.amdhsa_system_sgpr_workgroup_info 0
		.amdhsa_system_vgpr_workitem_id 0
		.amdhsa_next_free_vgpr 1
		.amdhsa_next_free_sgpr 0
		.amdhsa_accum_offset 4
		.amdhsa_reserve_vcc 0
		.amdhsa_reserve_flat_scratch 0
		.amdhsa_float_round_mode_32 0
		.amdhsa_float_round_mode_16_64 0
		.amdhsa_float_denorm_mode_32 3
		.amdhsa_float_denorm_mode_16_64 3
		.amdhsa_dx10_clamp 1
		.amdhsa_ieee_mode 1
		.amdhsa_fp16_overflow 0
		.amdhsa_tg_split 0
		.amdhsa_exception_fp_ieee_invalid_op 0
		.amdhsa_exception_fp_denorm_src 0
		.amdhsa_exception_fp_ieee_div_zero 0
		.amdhsa_exception_fp_ieee_overflow 0
		.amdhsa_exception_fp_ieee_underflow 0
		.amdhsa_exception_fp_ieee_inexact 0
		.amdhsa_exception_int_div_zero 0
	.end_amdhsa_kernel
	.section	.text._ZN7rocprim17ROCPRIM_400000_NS6detail17trampoline_kernelINS0_14default_configENS1_25partition_config_selectorILNS1_17partition_subalgoE2EjNS0_10empty_typeEbEEZZNS1_14partition_implILS5_2ELb0ES3_jN6thrust23THRUST_200600_302600_NS6detail15normal_iteratorINSA_7pointerIjNSA_11hip_rocprim3tagENSA_11use_defaultESG_EEEEPS6_NSA_18transform_iteratorI7is_evenIjENSC_INSA_10device_ptrIjEEEESG_SG_EENS0_5tupleIJPjSJ_EEENSR_IJSJ_SJ_EEES6_PlJS6_EEE10hipError_tPvRmT3_T4_T5_T6_T7_T9_mT8_P12ihipStream_tbDpT10_ENKUlT_T0_E_clISt17integral_constantIbLb0EES1F_EEDaS1A_S1B_EUlS1A_E_NS1_11comp_targetILNS1_3genE10ELNS1_11target_archE1200ELNS1_3gpuE4ELNS1_3repE0EEENS1_30default_config_static_selectorELNS0_4arch9wavefront6targetE1EEEvT1_,"axG",@progbits,_ZN7rocprim17ROCPRIM_400000_NS6detail17trampoline_kernelINS0_14default_configENS1_25partition_config_selectorILNS1_17partition_subalgoE2EjNS0_10empty_typeEbEEZZNS1_14partition_implILS5_2ELb0ES3_jN6thrust23THRUST_200600_302600_NS6detail15normal_iteratorINSA_7pointerIjNSA_11hip_rocprim3tagENSA_11use_defaultESG_EEEEPS6_NSA_18transform_iteratorI7is_evenIjENSC_INSA_10device_ptrIjEEEESG_SG_EENS0_5tupleIJPjSJ_EEENSR_IJSJ_SJ_EEES6_PlJS6_EEE10hipError_tPvRmT3_T4_T5_T6_T7_T9_mT8_P12ihipStream_tbDpT10_ENKUlT_T0_E_clISt17integral_constantIbLb0EES1F_EEDaS1A_S1B_EUlS1A_E_NS1_11comp_targetILNS1_3genE10ELNS1_11target_archE1200ELNS1_3gpuE4ELNS1_3repE0EEENS1_30default_config_static_selectorELNS0_4arch9wavefront6targetE1EEEvT1_,comdat
.Lfunc_end2042:
	.size	_ZN7rocprim17ROCPRIM_400000_NS6detail17trampoline_kernelINS0_14default_configENS1_25partition_config_selectorILNS1_17partition_subalgoE2EjNS0_10empty_typeEbEEZZNS1_14partition_implILS5_2ELb0ES3_jN6thrust23THRUST_200600_302600_NS6detail15normal_iteratorINSA_7pointerIjNSA_11hip_rocprim3tagENSA_11use_defaultESG_EEEEPS6_NSA_18transform_iteratorI7is_evenIjENSC_INSA_10device_ptrIjEEEESG_SG_EENS0_5tupleIJPjSJ_EEENSR_IJSJ_SJ_EEES6_PlJS6_EEE10hipError_tPvRmT3_T4_T5_T6_T7_T9_mT8_P12ihipStream_tbDpT10_ENKUlT_T0_E_clISt17integral_constantIbLb0EES1F_EEDaS1A_S1B_EUlS1A_E_NS1_11comp_targetILNS1_3genE10ELNS1_11target_archE1200ELNS1_3gpuE4ELNS1_3repE0EEENS1_30default_config_static_selectorELNS0_4arch9wavefront6targetE1EEEvT1_, .Lfunc_end2042-_ZN7rocprim17ROCPRIM_400000_NS6detail17trampoline_kernelINS0_14default_configENS1_25partition_config_selectorILNS1_17partition_subalgoE2EjNS0_10empty_typeEbEEZZNS1_14partition_implILS5_2ELb0ES3_jN6thrust23THRUST_200600_302600_NS6detail15normal_iteratorINSA_7pointerIjNSA_11hip_rocprim3tagENSA_11use_defaultESG_EEEEPS6_NSA_18transform_iteratorI7is_evenIjENSC_INSA_10device_ptrIjEEEESG_SG_EENS0_5tupleIJPjSJ_EEENSR_IJSJ_SJ_EEES6_PlJS6_EEE10hipError_tPvRmT3_T4_T5_T6_T7_T9_mT8_P12ihipStream_tbDpT10_ENKUlT_T0_E_clISt17integral_constantIbLb0EES1F_EEDaS1A_S1B_EUlS1A_E_NS1_11comp_targetILNS1_3genE10ELNS1_11target_archE1200ELNS1_3gpuE4ELNS1_3repE0EEENS1_30default_config_static_selectorELNS0_4arch9wavefront6targetE1EEEvT1_
                                        ; -- End function
	.section	.AMDGPU.csdata,"",@progbits
; Kernel info:
; codeLenInByte = 0
; NumSgprs: 4
; NumVgprs: 0
; NumAgprs: 0
; TotalNumVgprs: 0
; ScratchSize: 0
; MemoryBound: 0
; FloatMode: 240
; IeeeMode: 1
; LDSByteSize: 0 bytes/workgroup (compile time only)
; SGPRBlocks: 0
; VGPRBlocks: 0
; NumSGPRsForWavesPerEU: 4
; NumVGPRsForWavesPerEU: 1
; AccumOffset: 4
; Occupancy: 8
; WaveLimiterHint : 0
; COMPUTE_PGM_RSRC2:SCRATCH_EN: 0
; COMPUTE_PGM_RSRC2:USER_SGPR: 6
; COMPUTE_PGM_RSRC2:TRAP_HANDLER: 0
; COMPUTE_PGM_RSRC2:TGID_X_EN: 1
; COMPUTE_PGM_RSRC2:TGID_Y_EN: 0
; COMPUTE_PGM_RSRC2:TGID_Z_EN: 0
; COMPUTE_PGM_RSRC2:TIDIG_COMP_CNT: 0
; COMPUTE_PGM_RSRC3_GFX90A:ACCUM_OFFSET: 0
; COMPUTE_PGM_RSRC3_GFX90A:TG_SPLIT: 0
	.section	.text._ZN7rocprim17ROCPRIM_400000_NS6detail17trampoline_kernelINS0_14default_configENS1_25partition_config_selectorILNS1_17partition_subalgoE2EjNS0_10empty_typeEbEEZZNS1_14partition_implILS5_2ELb0ES3_jN6thrust23THRUST_200600_302600_NS6detail15normal_iteratorINSA_7pointerIjNSA_11hip_rocprim3tagENSA_11use_defaultESG_EEEEPS6_NSA_18transform_iteratorI7is_evenIjENSC_INSA_10device_ptrIjEEEESG_SG_EENS0_5tupleIJPjSJ_EEENSR_IJSJ_SJ_EEES6_PlJS6_EEE10hipError_tPvRmT3_T4_T5_T6_T7_T9_mT8_P12ihipStream_tbDpT10_ENKUlT_T0_E_clISt17integral_constantIbLb0EES1F_EEDaS1A_S1B_EUlS1A_E_NS1_11comp_targetILNS1_3genE9ELNS1_11target_archE1100ELNS1_3gpuE3ELNS1_3repE0EEENS1_30default_config_static_selectorELNS0_4arch9wavefront6targetE1EEEvT1_,"axG",@progbits,_ZN7rocprim17ROCPRIM_400000_NS6detail17trampoline_kernelINS0_14default_configENS1_25partition_config_selectorILNS1_17partition_subalgoE2EjNS0_10empty_typeEbEEZZNS1_14partition_implILS5_2ELb0ES3_jN6thrust23THRUST_200600_302600_NS6detail15normal_iteratorINSA_7pointerIjNSA_11hip_rocprim3tagENSA_11use_defaultESG_EEEEPS6_NSA_18transform_iteratorI7is_evenIjENSC_INSA_10device_ptrIjEEEESG_SG_EENS0_5tupleIJPjSJ_EEENSR_IJSJ_SJ_EEES6_PlJS6_EEE10hipError_tPvRmT3_T4_T5_T6_T7_T9_mT8_P12ihipStream_tbDpT10_ENKUlT_T0_E_clISt17integral_constantIbLb0EES1F_EEDaS1A_S1B_EUlS1A_E_NS1_11comp_targetILNS1_3genE9ELNS1_11target_archE1100ELNS1_3gpuE3ELNS1_3repE0EEENS1_30default_config_static_selectorELNS0_4arch9wavefront6targetE1EEEvT1_,comdat
	.protected	_ZN7rocprim17ROCPRIM_400000_NS6detail17trampoline_kernelINS0_14default_configENS1_25partition_config_selectorILNS1_17partition_subalgoE2EjNS0_10empty_typeEbEEZZNS1_14partition_implILS5_2ELb0ES3_jN6thrust23THRUST_200600_302600_NS6detail15normal_iteratorINSA_7pointerIjNSA_11hip_rocprim3tagENSA_11use_defaultESG_EEEEPS6_NSA_18transform_iteratorI7is_evenIjENSC_INSA_10device_ptrIjEEEESG_SG_EENS0_5tupleIJPjSJ_EEENSR_IJSJ_SJ_EEES6_PlJS6_EEE10hipError_tPvRmT3_T4_T5_T6_T7_T9_mT8_P12ihipStream_tbDpT10_ENKUlT_T0_E_clISt17integral_constantIbLb0EES1F_EEDaS1A_S1B_EUlS1A_E_NS1_11comp_targetILNS1_3genE9ELNS1_11target_archE1100ELNS1_3gpuE3ELNS1_3repE0EEENS1_30default_config_static_selectorELNS0_4arch9wavefront6targetE1EEEvT1_ ; -- Begin function _ZN7rocprim17ROCPRIM_400000_NS6detail17trampoline_kernelINS0_14default_configENS1_25partition_config_selectorILNS1_17partition_subalgoE2EjNS0_10empty_typeEbEEZZNS1_14partition_implILS5_2ELb0ES3_jN6thrust23THRUST_200600_302600_NS6detail15normal_iteratorINSA_7pointerIjNSA_11hip_rocprim3tagENSA_11use_defaultESG_EEEEPS6_NSA_18transform_iteratorI7is_evenIjENSC_INSA_10device_ptrIjEEEESG_SG_EENS0_5tupleIJPjSJ_EEENSR_IJSJ_SJ_EEES6_PlJS6_EEE10hipError_tPvRmT3_T4_T5_T6_T7_T9_mT8_P12ihipStream_tbDpT10_ENKUlT_T0_E_clISt17integral_constantIbLb0EES1F_EEDaS1A_S1B_EUlS1A_E_NS1_11comp_targetILNS1_3genE9ELNS1_11target_archE1100ELNS1_3gpuE3ELNS1_3repE0EEENS1_30default_config_static_selectorELNS0_4arch9wavefront6targetE1EEEvT1_
	.globl	_ZN7rocprim17ROCPRIM_400000_NS6detail17trampoline_kernelINS0_14default_configENS1_25partition_config_selectorILNS1_17partition_subalgoE2EjNS0_10empty_typeEbEEZZNS1_14partition_implILS5_2ELb0ES3_jN6thrust23THRUST_200600_302600_NS6detail15normal_iteratorINSA_7pointerIjNSA_11hip_rocprim3tagENSA_11use_defaultESG_EEEEPS6_NSA_18transform_iteratorI7is_evenIjENSC_INSA_10device_ptrIjEEEESG_SG_EENS0_5tupleIJPjSJ_EEENSR_IJSJ_SJ_EEES6_PlJS6_EEE10hipError_tPvRmT3_T4_T5_T6_T7_T9_mT8_P12ihipStream_tbDpT10_ENKUlT_T0_E_clISt17integral_constantIbLb0EES1F_EEDaS1A_S1B_EUlS1A_E_NS1_11comp_targetILNS1_3genE9ELNS1_11target_archE1100ELNS1_3gpuE3ELNS1_3repE0EEENS1_30default_config_static_selectorELNS0_4arch9wavefront6targetE1EEEvT1_
	.p2align	8
	.type	_ZN7rocprim17ROCPRIM_400000_NS6detail17trampoline_kernelINS0_14default_configENS1_25partition_config_selectorILNS1_17partition_subalgoE2EjNS0_10empty_typeEbEEZZNS1_14partition_implILS5_2ELb0ES3_jN6thrust23THRUST_200600_302600_NS6detail15normal_iteratorINSA_7pointerIjNSA_11hip_rocprim3tagENSA_11use_defaultESG_EEEEPS6_NSA_18transform_iteratorI7is_evenIjENSC_INSA_10device_ptrIjEEEESG_SG_EENS0_5tupleIJPjSJ_EEENSR_IJSJ_SJ_EEES6_PlJS6_EEE10hipError_tPvRmT3_T4_T5_T6_T7_T9_mT8_P12ihipStream_tbDpT10_ENKUlT_T0_E_clISt17integral_constantIbLb0EES1F_EEDaS1A_S1B_EUlS1A_E_NS1_11comp_targetILNS1_3genE9ELNS1_11target_archE1100ELNS1_3gpuE3ELNS1_3repE0EEENS1_30default_config_static_selectorELNS0_4arch9wavefront6targetE1EEEvT1_,@function
_ZN7rocprim17ROCPRIM_400000_NS6detail17trampoline_kernelINS0_14default_configENS1_25partition_config_selectorILNS1_17partition_subalgoE2EjNS0_10empty_typeEbEEZZNS1_14partition_implILS5_2ELb0ES3_jN6thrust23THRUST_200600_302600_NS6detail15normal_iteratorINSA_7pointerIjNSA_11hip_rocprim3tagENSA_11use_defaultESG_EEEEPS6_NSA_18transform_iteratorI7is_evenIjENSC_INSA_10device_ptrIjEEEESG_SG_EENS0_5tupleIJPjSJ_EEENSR_IJSJ_SJ_EEES6_PlJS6_EEE10hipError_tPvRmT3_T4_T5_T6_T7_T9_mT8_P12ihipStream_tbDpT10_ENKUlT_T0_E_clISt17integral_constantIbLb0EES1F_EEDaS1A_S1B_EUlS1A_E_NS1_11comp_targetILNS1_3genE9ELNS1_11target_archE1100ELNS1_3gpuE3ELNS1_3repE0EEENS1_30default_config_static_selectorELNS0_4arch9wavefront6targetE1EEEvT1_: ; @_ZN7rocprim17ROCPRIM_400000_NS6detail17trampoline_kernelINS0_14default_configENS1_25partition_config_selectorILNS1_17partition_subalgoE2EjNS0_10empty_typeEbEEZZNS1_14partition_implILS5_2ELb0ES3_jN6thrust23THRUST_200600_302600_NS6detail15normal_iteratorINSA_7pointerIjNSA_11hip_rocprim3tagENSA_11use_defaultESG_EEEEPS6_NSA_18transform_iteratorI7is_evenIjENSC_INSA_10device_ptrIjEEEESG_SG_EENS0_5tupleIJPjSJ_EEENSR_IJSJ_SJ_EEES6_PlJS6_EEE10hipError_tPvRmT3_T4_T5_T6_T7_T9_mT8_P12ihipStream_tbDpT10_ENKUlT_T0_E_clISt17integral_constantIbLb0EES1F_EEDaS1A_S1B_EUlS1A_E_NS1_11comp_targetILNS1_3genE9ELNS1_11target_archE1100ELNS1_3gpuE3ELNS1_3repE0EEENS1_30default_config_static_selectorELNS0_4arch9wavefront6targetE1EEEvT1_
; %bb.0:
	.section	.rodata,"a",@progbits
	.p2align	6, 0x0
	.amdhsa_kernel _ZN7rocprim17ROCPRIM_400000_NS6detail17trampoline_kernelINS0_14default_configENS1_25partition_config_selectorILNS1_17partition_subalgoE2EjNS0_10empty_typeEbEEZZNS1_14partition_implILS5_2ELb0ES3_jN6thrust23THRUST_200600_302600_NS6detail15normal_iteratorINSA_7pointerIjNSA_11hip_rocprim3tagENSA_11use_defaultESG_EEEEPS6_NSA_18transform_iteratorI7is_evenIjENSC_INSA_10device_ptrIjEEEESG_SG_EENS0_5tupleIJPjSJ_EEENSR_IJSJ_SJ_EEES6_PlJS6_EEE10hipError_tPvRmT3_T4_T5_T6_T7_T9_mT8_P12ihipStream_tbDpT10_ENKUlT_T0_E_clISt17integral_constantIbLb0EES1F_EEDaS1A_S1B_EUlS1A_E_NS1_11comp_targetILNS1_3genE9ELNS1_11target_archE1100ELNS1_3gpuE3ELNS1_3repE0EEENS1_30default_config_static_selectorELNS0_4arch9wavefront6targetE1EEEvT1_
		.amdhsa_group_segment_fixed_size 0
		.amdhsa_private_segment_fixed_size 0
		.amdhsa_kernarg_size 128
		.amdhsa_user_sgpr_count 6
		.amdhsa_user_sgpr_private_segment_buffer 1
		.amdhsa_user_sgpr_dispatch_ptr 0
		.amdhsa_user_sgpr_queue_ptr 0
		.amdhsa_user_sgpr_kernarg_segment_ptr 1
		.amdhsa_user_sgpr_dispatch_id 0
		.amdhsa_user_sgpr_flat_scratch_init 0
		.amdhsa_user_sgpr_kernarg_preload_length 0
		.amdhsa_user_sgpr_kernarg_preload_offset 0
		.amdhsa_user_sgpr_private_segment_size 0
		.amdhsa_uses_dynamic_stack 0
		.amdhsa_system_sgpr_private_segment_wavefront_offset 0
		.amdhsa_system_sgpr_workgroup_id_x 1
		.amdhsa_system_sgpr_workgroup_id_y 0
		.amdhsa_system_sgpr_workgroup_id_z 0
		.amdhsa_system_sgpr_workgroup_info 0
		.amdhsa_system_vgpr_workitem_id 0
		.amdhsa_next_free_vgpr 1
		.amdhsa_next_free_sgpr 0
		.amdhsa_accum_offset 4
		.amdhsa_reserve_vcc 0
		.amdhsa_reserve_flat_scratch 0
		.amdhsa_float_round_mode_32 0
		.amdhsa_float_round_mode_16_64 0
		.amdhsa_float_denorm_mode_32 3
		.amdhsa_float_denorm_mode_16_64 3
		.amdhsa_dx10_clamp 1
		.amdhsa_ieee_mode 1
		.amdhsa_fp16_overflow 0
		.amdhsa_tg_split 0
		.amdhsa_exception_fp_ieee_invalid_op 0
		.amdhsa_exception_fp_denorm_src 0
		.amdhsa_exception_fp_ieee_div_zero 0
		.amdhsa_exception_fp_ieee_overflow 0
		.amdhsa_exception_fp_ieee_underflow 0
		.amdhsa_exception_fp_ieee_inexact 0
		.amdhsa_exception_int_div_zero 0
	.end_amdhsa_kernel
	.section	.text._ZN7rocprim17ROCPRIM_400000_NS6detail17trampoline_kernelINS0_14default_configENS1_25partition_config_selectorILNS1_17partition_subalgoE2EjNS0_10empty_typeEbEEZZNS1_14partition_implILS5_2ELb0ES3_jN6thrust23THRUST_200600_302600_NS6detail15normal_iteratorINSA_7pointerIjNSA_11hip_rocprim3tagENSA_11use_defaultESG_EEEEPS6_NSA_18transform_iteratorI7is_evenIjENSC_INSA_10device_ptrIjEEEESG_SG_EENS0_5tupleIJPjSJ_EEENSR_IJSJ_SJ_EEES6_PlJS6_EEE10hipError_tPvRmT3_T4_T5_T6_T7_T9_mT8_P12ihipStream_tbDpT10_ENKUlT_T0_E_clISt17integral_constantIbLb0EES1F_EEDaS1A_S1B_EUlS1A_E_NS1_11comp_targetILNS1_3genE9ELNS1_11target_archE1100ELNS1_3gpuE3ELNS1_3repE0EEENS1_30default_config_static_selectorELNS0_4arch9wavefront6targetE1EEEvT1_,"axG",@progbits,_ZN7rocprim17ROCPRIM_400000_NS6detail17trampoline_kernelINS0_14default_configENS1_25partition_config_selectorILNS1_17partition_subalgoE2EjNS0_10empty_typeEbEEZZNS1_14partition_implILS5_2ELb0ES3_jN6thrust23THRUST_200600_302600_NS6detail15normal_iteratorINSA_7pointerIjNSA_11hip_rocprim3tagENSA_11use_defaultESG_EEEEPS6_NSA_18transform_iteratorI7is_evenIjENSC_INSA_10device_ptrIjEEEESG_SG_EENS0_5tupleIJPjSJ_EEENSR_IJSJ_SJ_EEES6_PlJS6_EEE10hipError_tPvRmT3_T4_T5_T6_T7_T9_mT8_P12ihipStream_tbDpT10_ENKUlT_T0_E_clISt17integral_constantIbLb0EES1F_EEDaS1A_S1B_EUlS1A_E_NS1_11comp_targetILNS1_3genE9ELNS1_11target_archE1100ELNS1_3gpuE3ELNS1_3repE0EEENS1_30default_config_static_selectorELNS0_4arch9wavefront6targetE1EEEvT1_,comdat
.Lfunc_end2043:
	.size	_ZN7rocprim17ROCPRIM_400000_NS6detail17trampoline_kernelINS0_14default_configENS1_25partition_config_selectorILNS1_17partition_subalgoE2EjNS0_10empty_typeEbEEZZNS1_14partition_implILS5_2ELb0ES3_jN6thrust23THRUST_200600_302600_NS6detail15normal_iteratorINSA_7pointerIjNSA_11hip_rocprim3tagENSA_11use_defaultESG_EEEEPS6_NSA_18transform_iteratorI7is_evenIjENSC_INSA_10device_ptrIjEEEESG_SG_EENS0_5tupleIJPjSJ_EEENSR_IJSJ_SJ_EEES6_PlJS6_EEE10hipError_tPvRmT3_T4_T5_T6_T7_T9_mT8_P12ihipStream_tbDpT10_ENKUlT_T0_E_clISt17integral_constantIbLb0EES1F_EEDaS1A_S1B_EUlS1A_E_NS1_11comp_targetILNS1_3genE9ELNS1_11target_archE1100ELNS1_3gpuE3ELNS1_3repE0EEENS1_30default_config_static_selectorELNS0_4arch9wavefront6targetE1EEEvT1_, .Lfunc_end2043-_ZN7rocprim17ROCPRIM_400000_NS6detail17trampoline_kernelINS0_14default_configENS1_25partition_config_selectorILNS1_17partition_subalgoE2EjNS0_10empty_typeEbEEZZNS1_14partition_implILS5_2ELb0ES3_jN6thrust23THRUST_200600_302600_NS6detail15normal_iteratorINSA_7pointerIjNSA_11hip_rocprim3tagENSA_11use_defaultESG_EEEEPS6_NSA_18transform_iteratorI7is_evenIjENSC_INSA_10device_ptrIjEEEESG_SG_EENS0_5tupleIJPjSJ_EEENSR_IJSJ_SJ_EEES6_PlJS6_EEE10hipError_tPvRmT3_T4_T5_T6_T7_T9_mT8_P12ihipStream_tbDpT10_ENKUlT_T0_E_clISt17integral_constantIbLb0EES1F_EEDaS1A_S1B_EUlS1A_E_NS1_11comp_targetILNS1_3genE9ELNS1_11target_archE1100ELNS1_3gpuE3ELNS1_3repE0EEENS1_30default_config_static_selectorELNS0_4arch9wavefront6targetE1EEEvT1_
                                        ; -- End function
	.section	.AMDGPU.csdata,"",@progbits
; Kernel info:
; codeLenInByte = 0
; NumSgprs: 4
; NumVgprs: 0
; NumAgprs: 0
; TotalNumVgprs: 0
; ScratchSize: 0
; MemoryBound: 0
; FloatMode: 240
; IeeeMode: 1
; LDSByteSize: 0 bytes/workgroup (compile time only)
; SGPRBlocks: 0
; VGPRBlocks: 0
; NumSGPRsForWavesPerEU: 4
; NumVGPRsForWavesPerEU: 1
; AccumOffset: 4
; Occupancy: 8
; WaveLimiterHint : 0
; COMPUTE_PGM_RSRC2:SCRATCH_EN: 0
; COMPUTE_PGM_RSRC2:USER_SGPR: 6
; COMPUTE_PGM_RSRC2:TRAP_HANDLER: 0
; COMPUTE_PGM_RSRC2:TGID_X_EN: 1
; COMPUTE_PGM_RSRC2:TGID_Y_EN: 0
; COMPUTE_PGM_RSRC2:TGID_Z_EN: 0
; COMPUTE_PGM_RSRC2:TIDIG_COMP_CNT: 0
; COMPUTE_PGM_RSRC3_GFX90A:ACCUM_OFFSET: 0
; COMPUTE_PGM_RSRC3_GFX90A:TG_SPLIT: 0
	.section	.text._ZN7rocprim17ROCPRIM_400000_NS6detail17trampoline_kernelINS0_14default_configENS1_25partition_config_selectorILNS1_17partition_subalgoE2EjNS0_10empty_typeEbEEZZNS1_14partition_implILS5_2ELb0ES3_jN6thrust23THRUST_200600_302600_NS6detail15normal_iteratorINSA_7pointerIjNSA_11hip_rocprim3tagENSA_11use_defaultESG_EEEEPS6_NSA_18transform_iteratorI7is_evenIjENSC_INSA_10device_ptrIjEEEESG_SG_EENS0_5tupleIJPjSJ_EEENSR_IJSJ_SJ_EEES6_PlJS6_EEE10hipError_tPvRmT3_T4_T5_T6_T7_T9_mT8_P12ihipStream_tbDpT10_ENKUlT_T0_E_clISt17integral_constantIbLb0EES1F_EEDaS1A_S1B_EUlS1A_E_NS1_11comp_targetILNS1_3genE8ELNS1_11target_archE1030ELNS1_3gpuE2ELNS1_3repE0EEENS1_30default_config_static_selectorELNS0_4arch9wavefront6targetE1EEEvT1_,"axG",@progbits,_ZN7rocprim17ROCPRIM_400000_NS6detail17trampoline_kernelINS0_14default_configENS1_25partition_config_selectorILNS1_17partition_subalgoE2EjNS0_10empty_typeEbEEZZNS1_14partition_implILS5_2ELb0ES3_jN6thrust23THRUST_200600_302600_NS6detail15normal_iteratorINSA_7pointerIjNSA_11hip_rocprim3tagENSA_11use_defaultESG_EEEEPS6_NSA_18transform_iteratorI7is_evenIjENSC_INSA_10device_ptrIjEEEESG_SG_EENS0_5tupleIJPjSJ_EEENSR_IJSJ_SJ_EEES6_PlJS6_EEE10hipError_tPvRmT3_T4_T5_T6_T7_T9_mT8_P12ihipStream_tbDpT10_ENKUlT_T0_E_clISt17integral_constantIbLb0EES1F_EEDaS1A_S1B_EUlS1A_E_NS1_11comp_targetILNS1_3genE8ELNS1_11target_archE1030ELNS1_3gpuE2ELNS1_3repE0EEENS1_30default_config_static_selectorELNS0_4arch9wavefront6targetE1EEEvT1_,comdat
	.protected	_ZN7rocprim17ROCPRIM_400000_NS6detail17trampoline_kernelINS0_14default_configENS1_25partition_config_selectorILNS1_17partition_subalgoE2EjNS0_10empty_typeEbEEZZNS1_14partition_implILS5_2ELb0ES3_jN6thrust23THRUST_200600_302600_NS6detail15normal_iteratorINSA_7pointerIjNSA_11hip_rocprim3tagENSA_11use_defaultESG_EEEEPS6_NSA_18transform_iteratorI7is_evenIjENSC_INSA_10device_ptrIjEEEESG_SG_EENS0_5tupleIJPjSJ_EEENSR_IJSJ_SJ_EEES6_PlJS6_EEE10hipError_tPvRmT3_T4_T5_T6_T7_T9_mT8_P12ihipStream_tbDpT10_ENKUlT_T0_E_clISt17integral_constantIbLb0EES1F_EEDaS1A_S1B_EUlS1A_E_NS1_11comp_targetILNS1_3genE8ELNS1_11target_archE1030ELNS1_3gpuE2ELNS1_3repE0EEENS1_30default_config_static_selectorELNS0_4arch9wavefront6targetE1EEEvT1_ ; -- Begin function _ZN7rocprim17ROCPRIM_400000_NS6detail17trampoline_kernelINS0_14default_configENS1_25partition_config_selectorILNS1_17partition_subalgoE2EjNS0_10empty_typeEbEEZZNS1_14partition_implILS5_2ELb0ES3_jN6thrust23THRUST_200600_302600_NS6detail15normal_iteratorINSA_7pointerIjNSA_11hip_rocprim3tagENSA_11use_defaultESG_EEEEPS6_NSA_18transform_iteratorI7is_evenIjENSC_INSA_10device_ptrIjEEEESG_SG_EENS0_5tupleIJPjSJ_EEENSR_IJSJ_SJ_EEES6_PlJS6_EEE10hipError_tPvRmT3_T4_T5_T6_T7_T9_mT8_P12ihipStream_tbDpT10_ENKUlT_T0_E_clISt17integral_constantIbLb0EES1F_EEDaS1A_S1B_EUlS1A_E_NS1_11comp_targetILNS1_3genE8ELNS1_11target_archE1030ELNS1_3gpuE2ELNS1_3repE0EEENS1_30default_config_static_selectorELNS0_4arch9wavefront6targetE1EEEvT1_
	.globl	_ZN7rocprim17ROCPRIM_400000_NS6detail17trampoline_kernelINS0_14default_configENS1_25partition_config_selectorILNS1_17partition_subalgoE2EjNS0_10empty_typeEbEEZZNS1_14partition_implILS5_2ELb0ES3_jN6thrust23THRUST_200600_302600_NS6detail15normal_iteratorINSA_7pointerIjNSA_11hip_rocprim3tagENSA_11use_defaultESG_EEEEPS6_NSA_18transform_iteratorI7is_evenIjENSC_INSA_10device_ptrIjEEEESG_SG_EENS0_5tupleIJPjSJ_EEENSR_IJSJ_SJ_EEES6_PlJS6_EEE10hipError_tPvRmT3_T4_T5_T6_T7_T9_mT8_P12ihipStream_tbDpT10_ENKUlT_T0_E_clISt17integral_constantIbLb0EES1F_EEDaS1A_S1B_EUlS1A_E_NS1_11comp_targetILNS1_3genE8ELNS1_11target_archE1030ELNS1_3gpuE2ELNS1_3repE0EEENS1_30default_config_static_selectorELNS0_4arch9wavefront6targetE1EEEvT1_
	.p2align	8
	.type	_ZN7rocprim17ROCPRIM_400000_NS6detail17trampoline_kernelINS0_14default_configENS1_25partition_config_selectorILNS1_17partition_subalgoE2EjNS0_10empty_typeEbEEZZNS1_14partition_implILS5_2ELb0ES3_jN6thrust23THRUST_200600_302600_NS6detail15normal_iteratorINSA_7pointerIjNSA_11hip_rocprim3tagENSA_11use_defaultESG_EEEEPS6_NSA_18transform_iteratorI7is_evenIjENSC_INSA_10device_ptrIjEEEESG_SG_EENS0_5tupleIJPjSJ_EEENSR_IJSJ_SJ_EEES6_PlJS6_EEE10hipError_tPvRmT3_T4_T5_T6_T7_T9_mT8_P12ihipStream_tbDpT10_ENKUlT_T0_E_clISt17integral_constantIbLb0EES1F_EEDaS1A_S1B_EUlS1A_E_NS1_11comp_targetILNS1_3genE8ELNS1_11target_archE1030ELNS1_3gpuE2ELNS1_3repE0EEENS1_30default_config_static_selectorELNS0_4arch9wavefront6targetE1EEEvT1_,@function
_ZN7rocprim17ROCPRIM_400000_NS6detail17trampoline_kernelINS0_14default_configENS1_25partition_config_selectorILNS1_17partition_subalgoE2EjNS0_10empty_typeEbEEZZNS1_14partition_implILS5_2ELb0ES3_jN6thrust23THRUST_200600_302600_NS6detail15normal_iteratorINSA_7pointerIjNSA_11hip_rocprim3tagENSA_11use_defaultESG_EEEEPS6_NSA_18transform_iteratorI7is_evenIjENSC_INSA_10device_ptrIjEEEESG_SG_EENS0_5tupleIJPjSJ_EEENSR_IJSJ_SJ_EEES6_PlJS6_EEE10hipError_tPvRmT3_T4_T5_T6_T7_T9_mT8_P12ihipStream_tbDpT10_ENKUlT_T0_E_clISt17integral_constantIbLb0EES1F_EEDaS1A_S1B_EUlS1A_E_NS1_11comp_targetILNS1_3genE8ELNS1_11target_archE1030ELNS1_3gpuE2ELNS1_3repE0EEENS1_30default_config_static_selectorELNS0_4arch9wavefront6targetE1EEEvT1_: ; @_ZN7rocprim17ROCPRIM_400000_NS6detail17trampoline_kernelINS0_14default_configENS1_25partition_config_selectorILNS1_17partition_subalgoE2EjNS0_10empty_typeEbEEZZNS1_14partition_implILS5_2ELb0ES3_jN6thrust23THRUST_200600_302600_NS6detail15normal_iteratorINSA_7pointerIjNSA_11hip_rocprim3tagENSA_11use_defaultESG_EEEEPS6_NSA_18transform_iteratorI7is_evenIjENSC_INSA_10device_ptrIjEEEESG_SG_EENS0_5tupleIJPjSJ_EEENSR_IJSJ_SJ_EEES6_PlJS6_EEE10hipError_tPvRmT3_T4_T5_T6_T7_T9_mT8_P12ihipStream_tbDpT10_ENKUlT_T0_E_clISt17integral_constantIbLb0EES1F_EEDaS1A_S1B_EUlS1A_E_NS1_11comp_targetILNS1_3genE8ELNS1_11target_archE1030ELNS1_3gpuE2ELNS1_3repE0EEENS1_30default_config_static_selectorELNS0_4arch9wavefront6targetE1EEEvT1_
; %bb.0:
	.section	.rodata,"a",@progbits
	.p2align	6, 0x0
	.amdhsa_kernel _ZN7rocprim17ROCPRIM_400000_NS6detail17trampoline_kernelINS0_14default_configENS1_25partition_config_selectorILNS1_17partition_subalgoE2EjNS0_10empty_typeEbEEZZNS1_14partition_implILS5_2ELb0ES3_jN6thrust23THRUST_200600_302600_NS6detail15normal_iteratorINSA_7pointerIjNSA_11hip_rocprim3tagENSA_11use_defaultESG_EEEEPS6_NSA_18transform_iteratorI7is_evenIjENSC_INSA_10device_ptrIjEEEESG_SG_EENS0_5tupleIJPjSJ_EEENSR_IJSJ_SJ_EEES6_PlJS6_EEE10hipError_tPvRmT3_T4_T5_T6_T7_T9_mT8_P12ihipStream_tbDpT10_ENKUlT_T0_E_clISt17integral_constantIbLb0EES1F_EEDaS1A_S1B_EUlS1A_E_NS1_11comp_targetILNS1_3genE8ELNS1_11target_archE1030ELNS1_3gpuE2ELNS1_3repE0EEENS1_30default_config_static_selectorELNS0_4arch9wavefront6targetE1EEEvT1_
		.amdhsa_group_segment_fixed_size 0
		.amdhsa_private_segment_fixed_size 0
		.amdhsa_kernarg_size 128
		.amdhsa_user_sgpr_count 6
		.amdhsa_user_sgpr_private_segment_buffer 1
		.amdhsa_user_sgpr_dispatch_ptr 0
		.amdhsa_user_sgpr_queue_ptr 0
		.amdhsa_user_sgpr_kernarg_segment_ptr 1
		.amdhsa_user_sgpr_dispatch_id 0
		.amdhsa_user_sgpr_flat_scratch_init 0
		.amdhsa_user_sgpr_kernarg_preload_length 0
		.amdhsa_user_sgpr_kernarg_preload_offset 0
		.amdhsa_user_sgpr_private_segment_size 0
		.amdhsa_uses_dynamic_stack 0
		.amdhsa_system_sgpr_private_segment_wavefront_offset 0
		.amdhsa_system_sgpr_workgroup_id_x 1
		.amdhsa_system_sgpr_workgroup_id_y 0
		.amdhsa_system_sgpr_workgroup_id_z 0
		.amdhsa_system_sgpr_workgroup_info 0
		.amdhsa_system_vgpr_workitem_id 0
		.amdhsa_next_free_vgpr 1
		.amdhsa_next_free_sgpr 0
		.amdhsa_accum_offset 4
		.amdhsa_reserve_vcc 0
		.amdhsa_reserve_flat_scratch 0
		.amdhsa_float_round_mode_32 0
		.amdhsa_float_round_mode_16_64 0
		.amdhsa_float_denorm_mode_32 3
		.amdhsa_float_denorm_mode_16_64 3
		.amdhsa_dx10_clamp 1
		.amdhsa_ieee_mode 1
		.amdhsa_fp16_overflow 0
		.amdhsa_tg_split 0
		.amdhsa_exception_fp_ieee_invalid_op 0
		.amdhsa_exception_fp_denorm_src 0
		.amdhsa_exception_fp_ieee_div_zero 0
		.amdhsa_exception_fp_ieee_overflow 0
		.amdhsa_exception_fp_ieee_underflow 0
		.amdhsa_exception_fp_ieee_inexact 0
		.amdhsa_exception_int_div_zero 0
	.end_amdhsa_kernel
	.section	.text._ZN7rocprim17ROCPRIM_400000_NS6detail17trampoline_kernelINS0_14default_configENS1_25partition_config_selectorILNS1_17partition_subalgoE2EjNS0_10empty_typeEbEEZZNS1_14partition_implILS5_2ELb0ES3_jN6thrust23THRUST_200600_302600_NS6detail15normal_iteratorINSA_7pointerIjNSA_11hip_rocprim3tagENSA_11use_defaultESG_EEEEPS6_NSA_18transform_iteratorI7is_evenIjENSC_INSA_10device_ptrIjEEEESG_SG_EENS0_5tupleIJPjSJ_EEENSR_IJSJ_SJ_EEES6_PlJS6_EEE10hipError_tPvRmT3_T4_T5_T6_T7_T9_mT8_P12ihipStream_tbDpT10_ENKUlT_T0_E_clISt17integral_constantIbLb0EES1F_EEDaS1A_S1B_EUlS1A_E_NS1_11comp_targetILNS1_3genE8ELNS1_11target_archE1030ELNS1_3gpuE2ELNS1_3repE0EEENS1_30default_config_static_selectorELNS0_4arch9wavefront6targetE1EEEvT1_,"axG",@progbits,_ZN7rocprim17ROCPRIM_400000_NS6detail17trampoline_kernelINS0_14default_configENS1_25partition_config_selectorILNS1_17partition_subalgoE2EjNS0_10empty_typeEbEEZZNS1_14partition_implILS5_2ELb0ES3_jN6thrust23THRUST_200600_302600_NS6detail15normal_iteratorINSA_7pointerIjNSA_11hip_rocprim3tagENSA_11use_defaultESG_EEEEPS6_NSA_18transform_iteratorI7is_evenIjENSC_INSA_10device_ptrIjEEEESG_SG_EENS0_5tupleIJPjSJ_EEENSR_IJSJ_SJ_EEES6_PlJS6_EEE10hipError_tPvRmT3_T4_T5_T6_T7_T9_mT8_P12ihipStream_tbDpT10_ENKUlT_T0_E_clISt17integral_constantIbLb0EES1F_EEDaS1A_S1B_EUlS1A_E_NS1_11comp_targetILNS1_3genE8ELNS1_11target_archE1030ELNS1_3gpuE2ELNS1_3repE0EEENS1_30default_config_static_selectorELNS0_4arch9wavefront6targetE1EEEvT1_,comdat
.Lfunc_end2044:
	.size	_ZN7rocprim17ROCPRIM_400000_NS6detail17trampoline_kernelINS0_14default_configENS1_25partition_config_selectorILNS1_17partition_subalgoE2EjNS0_10empty_typeEbEEZZNS1_14partition_implILS5_2ELb0ES3_jN6thrust23THRUST_200600_302600_NS6detail15normal_iteratorINSA_7pointerIjNSA_11hip_rocprim3tagENSA_11use_defaultESG_EEEEPS6_NSA_18transform_iteratorI7is_evenIjENSC_INSA_10device_ptrIjEEEESG_SG_EENS0_5tupleIJPjSJ_EEENSR_IJSJ_SJ_EEES6_PlJS6_EEE10hipError_tPvRmT3_T4_T5_T6_T7_T9_mT8_P12ihipStream_tbDpT10_ENKUlT_T0_E_clISt17integral_constantIbLb0EES1F_EEDaS1A_S1B_EUlS1A_E_NS1_11comp_targetILNS1_3genE8ELNS1_11target_archE1030ELNS1_3gpuE2ELNS1_3repE0EEENS1_30default_config_static_selectorELNS0_4arch9wavefront6targetE1EEEvT1_, .Lfunc_end2044-_ZN7rocprim17ROCPRIM_400000_NS6detail17trampoline_kernelINS0_14default_configENS1_25partition_config_selectorILNS1_17partition_subalgoE2EjNS0_10empty_typeEbEEZZNS1_14partition_implILS5_2ELb0ES3_jN6thrust23THRUST_200600_302600_NS6detail15normal_iteratorINSA_7pointerIjNSA_11hip_rocprim3tagENSA_11use_defaultESG_EEEEPS6_NSA_18transform_iteratorI7is_evenIjENSC_INSA_10device_ptrIjEEEESG_SG_EENS0_5tupleIJPjSJ_EEENSR_IJSJ_SJ_EEES6_PlJS6_EEE10hipError_tPvRmT3_T4_T5_T6_T7_T9_mT8_P12ihipStream_tbDpT10_ENKUlT_T0_E_clISt17integral_constantIbLb0EES1F_EEDaS1A_S1B_EUlS1A_E_NS1_11comp_targetILNS1_3genE8ELNS1_11target_archE1030ELNS1_3gpuE2ELNS1_3repE0EEENS1_30default_config_static_selectorELNS0_4arch9wavefront6targetE1EEEvT1_
                                        ; -- End function
	.section	.AMDGPU.csdata,"",@progbits
; Kernel info:
; codeLenInByte = 0
; NumSgprs: 4
; NumVgprs: 0
; NumAgprs: 0
; TotalNumVgprs: 0
; ScratchSize: 0
; MemoryBound: 0
; FloatMode: 240
; IeeeMode: 1
; LDSByteSize: 0 bytes/workgroup (compile time only)
; SGPRBlocks: 0
; VGPRBlocks: 0
; NumSGPRsForWavesPerEU: 4
; NumVGPRsForWavesPerEU: 1
; AccumOffset: 4
; Occupancy: 8
; WaveLimiterHint : 0
; COMPUTE_PGM_RSRC2:SCRATCH_EN: 0
; COMPUTE_PGM_RSRC2:USER_SGPR: 6
; COMPUTE_PGM_RSRC2:TRAP_HANDLER: 0
; COMPUTE_PGM_RSRC2:TGID_X_EN: 1
; COMPUTE_PGM_RSRC2:TGID_Y_EN: 0
; COMPUTE_PGM_RSRC2:TGID_Z_EN: 0
; COMPUTE_PGM_RSRC2:TIDIG_COMP_CNT: 0
; COMPUTE_PGM_RSRC3_GFX90A:ACCUM_OFFSET: 0
; COMPUTE_PGM_RSRC3_GFX90A:TG_SPLIT: 0
	.section	.text._ZN7rocprim17ROCPRIM_400000_NS6detail17trampoline_kernelINS0_14default_configENS1_25partition_config_selectorILNS1_17partition_subalgoE2EjNS0_10empty_typeEbEEZZNS1_14partition_implILS5_2ELb0ES3_jN6thrust23THRUST_200600_302600_NS6detail15normal_iteratorINSA_7pointerIjNSA_11hip_rocprim3tagENSA_11use_defaultESG_EEEEPS6_NSA_18transform_iteratorI7is_evenIjENSC_INSA_10device_ptrIjEEEESG_SG_EENS0_5tupleIJPjSJ_EEENSR_IJSJ_SJ_EEES6_PlJS6_EEE10hipError_tPvRmT3_T4_T5_T6_T7_T9_mT8_P12ihipStream_tbDpT10_ENKUlT_T0_E_clISt17integral_constantIbLb1EES1F_EEDaS1A_S1B_EUlS1A_E_NS1_11comp_targetILNS1_3genE0ELNS1_11target_archE4294967295ELNS1_3gpuE0ELNS1_3repE0EEENS1_30default_config_static_selectorELNS0_4arch9wavefront6targetE1EEEvT1_,"axG",@progbits,_ZN7rocprim17ROCPRIM_400000_NS6detail17trampoline_kernelINS0_14default_configENS1_25partition_config_selectorILNS1_17partition_subalgoE2EjNS0_10empty_typeEbEEZZNS1_14partition_implILS5_2ELb0ES3_jN6thrust23THRUST_200600_302600_NS6detail15normal_iteratorINSA_7pointerIjNSA_11hip_rocprim3tagENSA_11use_defaultESG_EEEEPS6_NSA_18transform_iteratorI7is_evenIjENSC_INSA_10device_ptrIjEEEESG_SG_EENS0_5tupleIJPjSJ_EEENSR_IJSJ_SJ_EEES6_PlJS6_EEE10hipError_tPvRmT3_T4_T5_T6_T7_T9_mT8_P12ihipStream_tbDpT10_ENKUlT_T0_E_clISt17integral_constantIbLb1EES1F_EEDaS1A_S1B_EUlS1A_E_NS1_11comp_targetILNS1_3genE0ELNS1_11target_archE4294967295ELNS1_3gpuE0ELNS1_3repE0EEENS1_30default_config_static_selectorELNS0_4arch9wavefront6targetE1EEEvT1_,comdat
	.protected	_ZN7rocprim17ROCPRIM_400000_NS6detail17trampoline_kernelINS0_14default_configENS1_25partition_config_selectorILNS1_17partition_subalgoE2EjNS0_10empty_typeEbEEZZNS1_14partition_implILS5_2ELb0ES3_jN6thrust23THRUST_200600_302600_NS6detail15normal_iteratorINSA_7pointerIjNSA_11hip_rocprim3tagENSA_11use_defaultESG_EEEEPS6_NSA_18transform_iteratorI7is_evenIjENSC_INSA_10device_ptrIjEEEESG_SG_EENS0_5tupleIJPjSJ_EEENSR_IJSJ_SJ_EEES6_PlJS6_EEE10hipError_tPvRmT3_T4_T5_T6_T7_T9_mT8_P12ihipStream_tbDpT10_ENKUlT_T0_E_clISt17integral_constantIbLb1EES1F_EEDaS1A_S1B_EUlS1A_E_NS1_11comp_targetILNS1_3genE0ELNS1_11target_archE4294967295ELNS1_3gpuE0ELNS1_3repE0EEENS1_30default_config_static_selectorELNS0_4arch9wavefront6targetE1EEEvT1_ ; -- Begin function _ZN7rocprim17ROCPRIM_400000_NS6detail17trampoline_kernelINS0_14default_configENS1_25partition_config_selectorILNS1_17partition_subalgoE2EjNS0_10empty_typeEbEEZZNS1_14partition_implILS5_2ELb0ES3_jN6thrust23THRUST_200600_302600_NS6detail15normal_iteratorINSA_7pointerIjNSA_11hip_rocprim3tagENSA_11use_defaultESG_EEEEPS6_NSA_18transform_iteratorI7is_evenIjENSC_INSA_10device_ptrIjEEEESG_SG_EENS0_5tupleIJPjSJ_EEENSR_IJSJ_SJ_EEES6_PlJS6_EEE10hipError_tPvRmT3_T4_T5_T6_T7_T9_mT8_P12ihipStream_tbDpT10_ENKUlT_T0_E_clISt17integral_constantIbLb1EES1F_EEDaS1A_S1B_EUlS1A_E_NS1_11comp_targetILNS1_3genE0ELNS1_11target_archE4294967295ELNS1_3gpuE0ELNS1_3repE0EEENS1_30default_config_static_selectorELNS0_4arch9wavefront6targetE1EEEvT1_
	.globl	_ZN7rocprim17ROCPRIM_400000_NS6detail17trampoline_kernelINS0_14default_configENS1_25partition_config_selectorILNS1_17partition_subalgoE2EjNS0_10empty_typeEbEEZZNS1_14partition_implILS5_2ELb0ES3_jN6thrust23THRUST_200600_302600_NS6detail15normal_iteratorINSA_7pointerIjNSA_11hip_rocprim3tagENSA_11use_defaultESG_EEEEPS6_NSA_18transform_iteratorI7is_evenIjENSC_INSA_10device_ptrIjEEEESG_SG_EENS0_5tupleIJPjSJ_EEENSR_IJSJ_SJ_EEES6_PlJS6_EEE10hipError_tPvRmT3_T4_T5_T6_T7_T9_mT8_P12ihipStream_tbDpT10_ENKUlT_T0_E_clISt17integral_constantIbLb1EES1F_EEDaS1A_S1B_EUlS1A_E_NS1_11comp_targetILNS1_3genE0ELNS1_11target_archE4294967295ELNS1_3gpuE0ELNS1_3repE0EEENS1_30default_config_static_selectorELNS0_4arch9wavefront6targetE1EEEvT1_
	.p2align	8
	.type	_ZN7rocprim17ROCPRIM_400000_NS6detail17trampoline_kernelINS0_14default_configENS1_25partition_config_selectorILNS1_17partition_subalgoE2EjNS0_10empty_typeEbEEZZNS1_14partition_implILS5_2ELb0ES3_jN6thrust23THRUST_200600_302600_NS6detail15normal_iteratorINSA_7pointerIjNSA_11hip_rocprim3tagENSA_11use_defaultESG_EEEEPS6_NSA_18transform_iteratorI7is_evenIjENSC_INSA_10device_ptrIjEEEESG_SG_EENS0_5tupleIJPjSJ_EEENSR_IJSJ_SJ_EEES6_PlJS6_EEE10hipError_tPvRmT3_T4_T5_T6_T7_T9_mT8_P12ihipStream_tbDpT10_ENKUlT_T0_E_clISt17integral_constantIbLb1EES1F_EEDaS1A_S1B_EUlS1A_E_NS1_11comp_targetILNS1_3genE0ELNS1_11target_archE4294967295ELNS1_3gpuE0ELNS1_3repE0EEENS1_30default_config_static_selectorELNS0_4arch9wavefront6targetE1EEEvT1_,@function
_ZN7rocprim17ROCPRIM_400000_NS6detail17trampoline_kernelINS0_14default_configENS1_25partition_config_selectorILNS1_17partition_subalgoE2EjNS0_10empty_typeEbEEZZNS1_14partition_implILS5_2ELb0ES3_jN6thrust23THRUST_200600_302600_NS6detail15normal_iteratorINSA_7pointerIjNSA_11hip_rocprim3tagENSA_11use_defaultESG_EEEEPS6_NSA_18transform_iteratorI7is_evenIjENSC_INSA_10device_ptrIjEEEESG_SG_EENS0_5tupleIJPjSJ_EEENSR_IJSJ_SJ_EEES6_PlJS6_EEE10hipError_tPvRmT3_T4_T5_T6_T7_T9_mT8_P12ihipStream_tbDpT10_ENKUlT_T0_E_clISt17integral_constantIbLb1EES1F_EEDaS1A_S1B_EUlS1A_E_NS1_11comp_targetILNS1_3genE0ELNS1_11target_archE4294967295ELNS1_3gpuE0ELNS1_3repE0EEENS1_30default_config_static_selectorELNS0_4arch9wavefront6targetE1EEEvT1_: ; @_ZN7rocprim17ROCPRIM_400000_NS6detail17trampoline_kernelINS0_14default_configENS1_25partition_config_selectorILNS1_17partition_subalgoE2EjNS0_10empty_typeEbEEZZNS1_14partition_implILS5_2ELb0ES3_jN6thrust23THRUST_200600_302600_NS6detail15normal_iteratorINSA_7pointerIjNSA_11hip_rocprim3tagENSA_11use_defaultESG_EEEEPS6_NSA_18transform_iteratorI7is_evenIjENSC_INSA_10device_ptrIjEEEESG_SG_EENS0_5tupleIJPjSJ_EEENSR_IJSJ_SJ_EEES6_PlJS6_EEE10hipError_tPvRmT3_T4_T5_T6_T7_T9_mT8_P12ihipStream_tbDpT10_ENKUlT_T0_E_clISt17integral_constantIbLb1EES1F_EEDaS1A_S1B_EUlS1A_E_NS1_11comp_targetILNS1_3genE0ELNS1_11target_archE4294967295ELNS1_3gpuE0ELNS1_3repE0EEENS1_30default_config_static_selectorELNS0_4arch9wavefront6targetE1EEEvT1_
; %bb.0:
	.section	.rodata,"a",@progbits
	.p2align	6, 0x0
	.amdhsa_kernel _ZN7rocprim17ROCPRIM_400000_NS6detail17trampoline_kernelINS0_14default_configENS1_25partition_config_selectorILNS1_17partition_subalgoE2EjNS0_10empty_typeEbEEZZNS1_14partition_implILS5_2ELb0ES3_jN6thrust23THRUST_200600_302600_NS6detail15normal_iteratorINSA_7pointerIjNSA_11hip_rocprim3tagENSA_11use_defaultESG_EEEEPS6_NSA_18transform_iteratorI7is_evenIjENSC_INSA_10device_ptrIjEEEESG_SG_EENS0_5tupleIJPjSJ_EEENSR_IJSJ_SJ_EEES6_PlJS6_EEE10hipError_tPvRmT3_T4_T5_T6_T7_T9_mT8_P12ihipStream_tbDpT10_ENKUlT_T0_E_clISt17integral_constantIbLb1EES1F_EEDaS1A_S1B_EUlS1A_E_NS1_11comp_targetILNS1_3genE0ELNS1_11target_archE4294967295ELNS1_3gpuE0ELNS1_3repE0EEENS1_30default_config_static_selectorELNS0_4arch9wavefront6targetE1EEEvT1_
		.amdhsa_group_segment_fixed_size 0
		.amdhsa_private_segment_fixed_size 0
		.amdhsa_kernarg_size 144
		.amdhsa_user_sgpr_count 6
		.amdhsa_user_sgpr_private_segment_buffer 1
		.amdhsa_user_sgpr_dispatch_ptr 0
		.amdhsa_user_sgpr_queue_ptr 0
		.amdhsa_user_sgpr_kernarg_segment_ptr 1
		.amdhsa_user_sgpr_dispatch_id 0
		.amdhsa_user_sgpr_flat_scratch_init 0
		.amdhsa_user_sgpr_kernarg_preload_length 0
		.amdhsa_user_sgpr_kernarg_preload_offset 0
		.amdhsa_user_sgpr_private_segment_size 0
		.amdhsa_uses_dynamic_stack 0
		.amdhsa_system_sgpr_private_segment_wavefront_offset 0
		.amdhsa_system_sgpr_workgroup_id_x 1
		.amdhsa_system_sgpr_workgroup_id_y 0
		.amdhsa_system_sgpr_workgroup_id_z 0
		.amdhsa_system_sgpr_workgroup_info 0
		.amdhsa_system_vgpr_workitem_id 0
		.amdhsa_next_free_vgpr 1
		.amdhsa_next_free_sgpr 0
		.amdhsa_accum_offset 4
		.amdhsa_reserve_vcc 0
		.amdhsa_reserve_flat_scratch 0
		.amdhsa_float_round_mode_32 0
		.amdhsa_float_round_mode_16_64 0
		.amdhsa_float_denorm_mode_32 3
		.amdhsa_float_denorm_mode_16_64 3
		.amdhsa_dx10_clamp 1
		.amdhsa_ieee_mode 1
		.amdhsa_fp16_overflow 0
		.amdhsa_tg_split 0
		.amdhsa_exception_fp_ieee_invalid_op 0
		.amdhsa_exception_fp_denorm_src 0
		.amdhsa_exception_fp_ieee_div_zero 0
		.amdhsa_exception_fp_ieee_overflow 0
		.amdhsa_exception_fp_ieee_underflow 0
		.amdhsa_exception_fp_ieee_inexact 0
		.amdhsa_exception_int_div_zero 0
	.end_amdhsa_kernel
	.section	.text._ZN7rocprim17ROCPRIM_400000_NS6detail17trampoline_kernelINS0_14default_configENS1_25partition_config_selectorILNS1_17partition_subalgoE2EjNS0_10empty_typeEbEEZZNS1_14partition_implILS5_2ELb0ES3_jN6thrust23THRUST_200600_302600_NS6detail15normal_iteratorINSA_7pointerIjNSA_11hip_rocprim3tagENSA_11use_defaultESG_EEEEPS6_NSA_18transform_iteratorI7is_evenIjENSC_INSA_10device_ptrIjEEEESG_SG_EENS0_5tupleIJPjSJ_EEENSR_IJSJ_SJ_EEES6_PlJS6_EEE10hipError_tPvRmT3_T4_T5_T6_T7_T9_mT8_P12ihipStream_tbDpT10_ENKUlT_T0_E_clISt17integral_constantIbLb1EES1F_EEDaS1A_S1B_EUlS1A_E_NS1_11comp_targetILNS1_3genE0ELNS1_11target_archE4294967295ELNS1_3gpuE0ELNS1_3repE0EEENS1_30default_config_static_selectorELNS0_4arch9wavefront6targetE1EEEvT1_,"axG",@progbits,_ZN7rocprim17ROCPRIM_400000_NS6detail17trampoline_kernelINS0_14default_configENS1_25partition_config_selectorILNS1_17partition_subalgoE2EjNS0_10empty_typeEbEEZZNS1_14partition_implILS5_2ELb0ES3_jN6thrust23THRUST_200600_302600_NS6detail15normal_iteratorINSA_7pointerIjNSA_11hip_rocprim3tagENSA_11use_defaultESG_EEEEPS6_NSA_18transform_iteratorI7is_evenIjENSC_INSA_10device_ptrIjEEEESG_SG_EENS0_5tupleIJPjSJ_EEENSR_IJSJ_SJ_EEES6_PlJS6_EEE10hipError_tPvRmT3_T4_T5_T6_T7_T9_mT8_P12ihipStream_tbDpT10_ENKUlT_T0_E_clISt17integral_constantIbLb1EES1F_EEDaS1A_S1B_EUlS1A_E_NS1_11comp_targetILNS1_3genE0ELNS1_11target_archE4294967295ELNS1_3gpuE0ELNS1_3repE0EEENS1_30default_config_static_selectorELNS0_4arch9wavefront6targetE1EEEvT1_,comdat
.Lfunc_end2045:
	.size	_ZN7rocprim17ROCPRIM_400000_NS6detail17trampoline_kernelINS0_14default_configENS1_25partition_config_selectorILNS1_17partition_subalgoE2EjNS0_10empty_typeEbEEZZNS1_14partition_implILS5_2ELb0ES3_jN6thrust23THRUST_200600_302600_NS6detail15normal_iteratorINSA_7pointerIjNSA_11hip_rocprim3tagENSA_11use_defaultESG_EEEEPS6_NSA_18transform_iteratorI7is_evenIjENSC_INSA_10device_ptrIjEEEESG_SG_EENS0_5tupleIJPjSJ_EEENSR_IJSJ_SJ_EEES6_PlJS6_EEE10hipError_tPvRmT3_T4_T5_T6_T7_T9_mT8_P12ihipStream_tbDpT10_ENKUlT_T0_E_clISt17integral_constantIbLb1EES1F_EEDaS1A_S1B_EUlS1A_E_NS1_11comp_targetILNS1_3genE0ELNS1_11target_archE4294967295ELNS1_3gpuE0ELNS1_3repE0EEENS1_30default_config_static_selectorELNS0_4arch9wavefront6targetE1EEEvT1_, .Lfunc_end2045-_ZN7rocprim17ROCPRIM_400000_NS6detail17trampoline_kernelINS0_14default_configENS1_25partition_config_selectorILNS1_17partition_subalgoE2EjNS0_10empty_typeEbEEZZNS1_14partition_implILS5_2ELb0ES3_jN6thrust23THRUST_200600_302600_NS6detail15normal_iteratorINSA_7pointerIjNSA_11hip_rocprim3tagENSA_11use_defaultESG_EEEEPS6_NSA_18transform_iteratorI7is_evenIjENSC_INSA_10device_ptrIjEEEESG_SG_EENS0_5tupleIJPjSJ_EEENSR_IJSJ_SJ_EEES6_PlJS6_EEE10hipError_tPvRmT3_T4_T5_T6_T7_T9_mT8_P12ihipStream_tbDpT10_ENKUlT_T0_E_clISt17integral_constantIbLb1EES1F_EEDaS1A_S1B_EUlS1A_E_NS1_11comp_targetILNS1_3genE0ELNS1_11target_archE4294967295ELNS1_3gpuE0ELNS1_3repE0EEENS1_30default_config_static_selectorELNS0_4arch9wavefront6targetE1EEEvT1_
                                        ; -- End function
	.section	.AMDGPU.csdata,"",@progbits
; Kernel info:
; codeLenInByte = 0
; NumSgprs: 4
; NumVgprs: 0
; NumAgprs: 0
; TotalNumVgprs: 0
; ScratchSize: 0
; MemoryBound: 0
; FloatMode: 240
; IeeeMode: 1
; LDSByteSize: 0 bytes/workgroup (compile time only)
; SGPRBlocks: 0
; VGPRBlocks: 0
; NumSGPRsForWavesPerEU: 4
; NumVGPRsForWavesPerEU: 1
; AccumOffset: 4
; Occupancy: 8
; WaveLimiterHint : 0
; COMPUTE_PGM_RSRC2:SCRATCH_EN: 0
; COMPUTE_PGM_RSRC2:USER_SGPR: 6
; COMPUTE_PGM_RSRC2:TRAP_HANDLER: 0
; COMPUTE_PGM_RSRC2:TGID_X_EN: 1
; COMPUTE_PGM_RSRC2:TGID_Y_EN: 0
; COMPUTE_PGM_RSRC2:TGID_Z_EN: 0
; COMPUTE_PGM_RSRC2:TIDIG_COMP_CNT: 0
; COMPUTE_PGM_RSRC3_GFX90A:ACCUM_OFFSET: 0
; COMPUTE_PGM_RSRC3_GFX90A:TG_SPLIT: 0
	.section	.text._ZN7rocprim17ROCPRIM_400000_NS6detail17trampoline_kernelINS0_14default_configENS1_25partition_config_selectorILNS1_17partition_subalgoE2EjNS0_10empty_typeEbEEZZNS1_14partition_implILS5_2ELb0ES3_jN6thrust23THRUST_200600_302600_NS6detail15normal_iteratorINSA_7pointerIjNSA_11hip_rocprim3tagENSA_11use_defaultESG_EEEEPS6_NSA_18transform_iteratorI7is_evenIjENSC_INSA_10device_ptrIjEEEESG_SG_EENS0_5tupleIJPjSJ_EEENSR_IJSJ_SJ_EEES6_PlJS6_EEE10hipError_tPvRmT3_T4_T5_T6_T7_T9_mT8_P12ihipStream_tbDpT10_ENKUlT_T0_E_clISt17integral_constantIbLb1EES1F_EEDaS1A_S1B_EUlS1A_E_NS1_11comp_targetILNS1_3genE5ELNS1_11target_archE942ELNS1_3gpuE9ELNS1_3repE0EEENS1_30default_config_static_selectorELNS0_4arch9wavefront6targetE1EEEvT1_,"axG",@progbits,_ZN7rocprim17ROCPRIM_400000_NS6detail17trampoline_kernelINS0_14default_configENS1_25partition_config_selectorILNS1_17partition_subalgoE2EjNS0_10empty_typeEbEEZZNS1_14partition_implILS5_2ELb0ES3_jN6thrust23THRUST_200600_302600_NS6detail15normal_iteratorINSA_7pointerIjNSA_11hip_rocprim3tagENSA_11use_defaultESG_EEEEPS6_NSA_18transform_iteratorI7is_evenIjENSC_INSA_10device_ptrIjEEEESG_SG_EENS0_5tupleIJPjSJ_EEENSR_IJSJ_SJ_EEES6_PlJS6_EEE10hipError_tPvRmT3_T4_T5_T6_T7_T9_mT8_P12ihipStream_tbDpT10_ENKUlT_T0_E_clISt17integral_constantIbLb1EES1F_EEDaS1A_S1B_EUlS1A_E_NS1_11comp_targetILNS1_3genE5ELNS1_11target_archE942ELNS1_3gpuE9ELNS1_3repE0EEENS1_30default_config_static_selectorELNS0_4arch9wavefront6targetE1EEEvT1_,comdat
	.protected	_ZN7rocprim17ROCPRIM_400000_NS6detail17trampoline_kernelINS0_14default_configENS1_25partition_config_selectorILNS1_17partition_subalgoE2EjNS0_10empty_typeEbEEZZNS1_14partition_implILS5_2ELb0ES3_jN6thrust23THRUST_200600_302600_NS6detail15normal_iteratorINSA_7pointerIjNSA_11hip_rocprim3tagENSA_11use_defaultESG_EEEEPS6_NSA_18transform_iteratorI7is_evenIjENSC_INSA_10device_ptrIjEEEESG_SG_EENS0_5tupleIJPjSJ_EEENSR_IJSJ_SJ_EEES6_PlJS6_EEE10hipError_tPvRmT3_T4_T5_T6_T7_T9_mT8_P12ihipStream_tbDpT10_ENKUlT_T0_E_clISt17integral_constantIbLb1EES1F_EEDaS1A_S1B_EUlS1A_E_NS1_11comp_targetILNS1_3genE5ELNS1_11target_archE942ELNS1_3gpuE9ELNS1_3repE0EEENS1_30default_config_static_selectorELNS0_4arch9wavefront6targetE1EEEvT1_ ; -- Begin function _ZN7rocprim17ROCPRIM_400000_NS6detail17trampoline_kernelINS0_14default_configENS1_25partition_config_selectorILNS1_17partition_subalgoE2EjNS0_10empty_typeEbEEZZNS1_14partition_implILS5_2ELb0ES3_jN6thrust23THRUST_200600_302600_NS6detail15normal_iteratorINSA_7pointerIjNSA_11hip_rocprim3tagENSA_11use_defaultESG_EEEEPS6_NSA_18transform_iteratorI7is_evenIjENSC_INSA_10device_ptrIjEEEESG_SG_EENS0_5tupleIJPjSJ_EEENSR_IJSJ_SJ_EEES6_PlJS6_EEE10hipError_tPvRmT3_T4_T5_T6_T7_T9_mT8_P12ihipStream_tbDpT10_ENKUlT_T0_E_clISt17integral_constantIbLb1EES1F_EEDaS1A_S1B_EUlS1A_E_NS1_11comp_targetILNS1_3genE5ELNS1_11target_archE942ELNS1_3gpuE9ELNS1_3repE0EEENS1_30default_config_static_selectorELNS0_4arch9wavefront6targetE1EEEvT1_
	.globl	_ZN7rocprim17ROCPRIM_400000_NS6detail17trampoline_kernelINS0_14default_configENS1_25partition_config_selectorILNS1_17partition_subalgoE2EjNS0_10empty_typeEbEEZZNS1_14partition_implILS5_2ELb0ES3_jN6thrust23THRUST_200600_302600_NS6detail15normal_iteratorINSA_7pointerIjNSA_11hip_rocprim3tagENSA_11use_defaultESG_EEEEPS6_NSA_18transform_iteratorI7is_evenIjENSC_INSA_10device_ptrIjEEEESG_SG_EENS0_5tupleIJPjSJ_EEENSR_IJSJ_SJ_EEES6_PlJS6_EEE10hipError_tPvRmT3_T4_T5_T6_T7_T9_mT8_P12ihipStream_tbDpT10_ENKUlT_T0_E_clISt17integral_constantIbLb1EES1F_EEDaS1A_S1B_EUlS1A_E_NS1_11comp_targetILNS1_3genE5ELNS1_11target_archE942ELNS1_3gpuE9ELNS1_3repE0EEENS1_30default_config_static_selectorELNS0_4arch9wavefront6targetE1EEEvT1_
	.p2align	8
	.type	_ZN7rocprim17ROCPRIM_400000_NS6detail17trampoline_kernelINS0_14default_configENS1_25partition_config_selectorILNS1_17partition_subalgoE2EjNS0_10empty_typeEbEEZZNS1_14partition_implILS5_2ELb0ES3_jN6thrust23THRUST_200600_302600_NS6detail15normal_iteratorINSA_7pointerIjNSA_11hip_rocprim3tagENSA_11use_defaultESG_EEEEPS6_NSA_18transform_iteratorI7is_evenIjENSC_INSA_10device_ptrIjEEEESG_SG_EENS0_5tupleIJPjSJ_EEENSR_IJSJ_SJ_EEES6_PlJS6_EEE10hipError_tPvRmT3_T4_T5_T6_T7_T9_mT8_P12ihipStream_tbDpT10_ENKUlT_T0_E_clISt17integral_constantIbLb1EES1F_EEDaS1A_S1B_EUlS1A_E_NS1_11comp_targetILNS1_3genE5ELNS1_11target_archE942ELNS1_3gpuE9ELNS1_3repE0EEENS1_30default_config_static_selectorELNS0_4arch9wavefront6targetE1EEEvT1_,@function
_ZN7rocprim17ROCPRIM_400000_NS6detail17trampoline_kernelINS0_14default_configENS1_25partition_config_selectorILNS1_17partition_subalgoE2EjNS0_10empty_typeEbEEZZNS1_14partition_implILS5_2ELb0ES3_jN6thrust23THRUST_200600_302600_NS6detail15normal_iteratorINSA_7pointerIjNSA_11hip_rocprim3tagENSA_11use_defaultESG_EEEEPS6_NSA_18transform_iteratorI7is_evenIjENSC_INSA_10device_ptrIjEEEESG_SG_EENS0_5tupleIJPjSJ_EEENSR_IJSJ_SJ_EEES6_PlJS6_EEE10hipError_tPvRmT3_T4_T5_T6_T7_T9_mT8_P12ihipStream_tbDpT10_ENKUlT_T0_E_clISt17integral_constantIbLb1EES1F_EEDaS1A_S1B_EUlS1A_E_NS1_11comp_targetILNS1_3genE5ELNS1_11target_archE942ELNS1_3gpuE9ELNS1_3repE0EEENS1_30default_config_static_selectorELNS0_4arch9wavefront6targetE1EEEvT1_: ; @_ZN7rocprim17ROCPRIM_400000_NS6detail17trampoline_kernelINS0_14default_configENS1_25partition_config_selectorILNS1_17partition_subalgoE2EjNS0_10empty_typeEbEEZZNS1_14partition_implILS5_2ELb0ES3_jN6thrust23THRUST_200600_302600_NS6detail15normal_iteratorINSA_7pointerIjNSA_11hip_rocprim3tagENSA_11use_defaultESG_EEEEPS6_NSA_18transform_iteratorI7is_evenIjENSC_INSA_10device_ptrIjEEEESG_SG_EENS0_5tupleIJPjSJ_EEENSR_IJSJ_SJ_EEES6_PlJS6_EEE10hipError_tPvRmT3_T4_T5_T6_T7_T9_mT8_P12ihipStream_tbDpT10_ENKUlT_T0_E_clISt17integral_constantIbLb1EES1F_EEDaS1A_S1B_EUlS1A_E_NS1_11comp_targetILNS1_3genE5ELNS1_11target_archE942ELNS1_3gpuE9ELNS1_3repE0EEENS1_30default_config_static_selectorELNS0_4arch9wavefront6targetE1EEEvT1_
; %bb.0:
	.section	.rodata,"a",@progbits
	.p2align	6, 0x0
	.amdhsa_kernel _ZN7rocprim17ROCPRIM_400000_NS6detail17trampoline_kernelINS0_14default_configENS1_25partition_config_selectorILNS1_17partition_subalgoE2EjNS0_10empty_typeEbEEZZNS1_14partition_implILS5_2ELb0ES3_jN6thrust23THRUST_200600_302600_NS6detail15normal_iteratorINSA_7pointerIjNSA_11hip_rocprim3tagENSA_11use_defaultESG_EEEEPS6_NSA_18transform_iteratorI7is_evenIjENSC_INSA_10device_ptrIjEEEESG_SG_EENS0_5tupleIJPjSJ_EEENSR_IJSJ_SJ_EEES6_PlJS6_EEE10hipError_tPvRmT3_T4_T5_T6_T7_T9_mT8_P12ihipStream_tbDpT10_ENKUlT_T0_E_clISt17integral_constantIbLb1EES1F_EEDaS1A_S1B_EUlS1A_E_NS1_11comp_targetILNS1_3genE5ELNS1_11target_archE942ELNS1_3gpuE9ELNS1_3repE0EEENS1_30default_config_static_selectorELNS0_4arch9wavefront6targetE1EEEvT1_
		.amdhsa_group_segment_fixed_size 0
		.amdhsa_private_segment_fixed_size 0
		.amdhsa_kernarg_size 144
		.amdhsa_user_sgpr_count 6
		.amdhsa_user_sgpr_private_segment_buffer 1
		.amdhsa_user_sgpr_dispatch_ptr 0
		.amdhsa_user_sgpr_queue_ptr 0
		.amdhsa_user_sgpr_kernarg_segment_ptr 1
		.amdhsa_user_sgpr_dispatch_id 0
		.amdhsa_user_sgpr_flat_scratch_init 0
		.amdhsa_user_sgpr_kernarg_preload_length 0
		.amdhsa_user_sgpr_kernarg_preload_offset 0
		.amdhsa_user_sgpr_private_segment_size 0
		.amdhsa_uses_dynamic_stack 0
		.amdhsa_system_sgpr_private_segment_wavefront_offset 0
		.amdhsa_system_sgpr_workgroup_id_x 1
		.amdhsa_system_sgpr_workgroup_id_y 0
		.amdhsa_system_sgpr_workgroup_id_z 0
		.amdhsa_system_sgpr_workgroup_info 0
		.amdhsa_system_vgpr_workitem_id 0
		.amdhsa_next_free_vgpr 1
		.amdhsa_next_free_sgpr 0
		.amdhsa_accum_offset 4
		.amdhsa_reserve_vcc 0
		.amdhsa_reserve_flat_scratch 0
		.amdhsa_float_round_mode_32 0
		.amdhsa_float_round_mode_16_64 0
		.amdhsa_float_denorm_mode_32 3
		.amdhsa_float_denorm_mode_16_64 3
		.amdhsa_dx10_clamp 1
		.amdhsa_ieee_mode 1
		.amdhsa_fp16_overflow 0
		.amdhsa_tg_split 0
		.amdhsa_exception_fp_ieee_invalid_op 0
		.amdhsa_exception_fp_denorm_src 0
		.amdhsa_exception_fp_ieee_div_zero 0
		.amdhsa_exception_fp_ieee_overflow 0
		.amdhsa_exception_fp_ieee_underflow 0
		.amdhsa_exception_fp_ieee_inexact 0
		.amdhsa_exception_int_div_zero 0
	.end_amdhsa_kernel
	.section	.text._ZN7rocprim17ROCPRIM_400000_NS6detail17trampoline_kernelINS0_14default_configENS1_25partition_config_selectorILNS1_17partition_subalgoE2EjNS0_10empty_typeEbEEZZNS1_14partition_implILS5_2ELb0ES3_jN6thrust23THRUST_200600_302600_NS6detail15normal_iteratorINSA_7pointerIjNSA_11hip_rocprim3tagENSA_11use_defaultESG_EEEEPS6_NSA_18transform_iteratorI7is_evenIjENSC_INSA_10device_ptrIjEEEESG_SG_EENS0_5tupleIJPjSJ_EEENSR_IJSJ_SJ_EEES6_PlJS6_EEE10hipError_tPvRmT3_T4_T5_T6_T7_T9_mT8_P12ihipStream_tbDpT10_ENKUlT_T0_E_clISt17integral_constantIbLb1EES1F_EEDaS1A_S1B_EUlS1A_E_NS1_11comp_targetILNS1_3genE5ELNS1_11target_archE942ELNS1_3gpuE9ELNS1_3repE0EEENS1_30default_config_static_selectorELNS0_4arch9wavefront6targetE1EEEvT1_,"axG",@progbits,_ZN7rocprim17ROCPRIM_400000_NS6detail17trampoline_kernelINS0_14default_configENS1_25partition_config_selectorILNS1_17partition_subalgoE2EjNS0_10empty_typeEbEEZZNS1_14partition_implILS5_2ELb0ES3_jN6thrust23THRUST_200600_302600_NS6detail15normal_iteratorINSA_7pointerIjNSA_11hip_rocprim3tagENSA_11use_defaultESG_EEEEPS6_NSA_18transform_iteratorI7is_evenIjENSC_INSA_10device_ptrIjEEEESG_SG_EENS0_5tupleIJPjSJ_EEENSR_IJSJ_SJ_EEES6_PlJS6_EEE10hipError_tPvRmT3_T4_T5_T6_T7_T9_mT8_P12ihipStream_tbDpT10_ENKUlT_T0_E_clISt17integral_constantIbLb1EES1F_EEDaS1A_S1B_EUlS1A_E_NS1_11comp_targetILNS1_3genE5ELNS1_11target_archE942ELNS1_3gpuE9ELNS1_3repE0EEENS1_30default_config_static_selectorELNS0_4arch9wavefront6targetE1EEEvT1_,comdat
.Lfunc_end2046:
	.size	_ZN7rocprim17ROCPRIM_400000_NS6detail17trampoline_kernelINS0_14default_configENS1_25partition_config_selectorILNS1_17partition_subalgoE2EjNS0_10empty_typeEbEEZZNS1_14partition_implILS5_2ELb0ES3_jN6thrust23THRUST_200600_302600_NS6detail15normal_iteratorINSA_7pointerIjNSA_11hip_rocprim3tagENSA_11use_defaultESG_EEEEPS6_NSA_18transform_iteratorI7is_evenIjENSC_INSA_10device_ptrIjEEEESG_SG_EENS0_5tupleIJPjSJ_EEENSR_IJSJ_SJ_EEES6_PlJS6_EEE10hipError_tPvRmT3_T4_T5_T6_T7_T9_mT8_P12ihipStream_tbDpT10_ENKUlT_T0_E_clISt17integral_constantIbLb1EES1F_EEDaS1A_S1B_EUlS1A_E_NS1_11comp_targetILNS1_3genE5ELNS1_11target_archE942ELNS1_3gpuE9ELNS1_3repE0EEENS1_30default_config_static_selectorELNS0_4arch9wavefront6targetE1EEEvT1_, .Lfunc_end2046-_ZN7rocprim17ROCPRIM_400000_NS6detail17trampoline_kernelINS0_14default_configENS1_25partition_config_selectorILNS1_17partition_subalgoE2EjNS0_10empty_typeEbEEZZNS1_14partition_implILS5_2ELb0ES3_jN6thrust23THRUST_200600_302600_NS6detail15normal_iteratorINSA_7pointerIjNSA_11hip_rocprim3tagENSA_11use_defaultESG_EEEEPS6_NSA_18transform_iteratorI7is_evenIjENSC_INSA_10device_ptrIjEEEESG_SG_EENS0_5tupleIJPjSJ_EEENSR_IJSJ_SJ_EEES6_PlJS6_EEE10hipError_tPvRmT3_T4_T5_T6_T7_T9_mT8_P12ihipStream_tbDpT10_ENKUlT_T0_E_clISt17integral_constantIbLb1EES1F_EEDaS1A_S1B_EUlS1A_E_NS1_11comp_targetILNS1_3genE5ELNS1_11target_archE942ELNS1_3gpuE9ELNS1_3repE0EEENS1_30default_config_static_selectorELNS0_4arch9wavefront6targetE1EEEvT1_
                                        ; -- End function
	.section	.AMDGPU.csdata,"",@progbits
; Kernel info:
; codeLenInByte = 0
; NumSgprs: 4
; NumVgprs: 0
; NumAgprs: 0
; TotalNumVgprs: 0
; ScratchSize: 0
; MemoryBound: 0
; FloatMode: 240
; IeeeMode: 1
; LDSByteSize: 0 bytes/workgroup (compile time only)
; SGPRBlocks: 0
; VGPRBlocks: 0
; NumSGPRsForWavesPerEU: 4
; NumVGPRsForWavesPerEU: 1
; AccumOffset: 4
; Occupancy: 8
; WaveLimiterHint : 0
; COMPUTE_PGM_RSRC2:SCRATCH_EN: 0
; COMPUTE_PGM_RSRC2:USER_SGPR: 6
; COMPUTE_PGM_RSRC2:TRAP_HANDLER: 0
; COMPUTE_PGM_RSRC2:TGID_X_EN: 1
; COMPUTE_PGM_RSRC2:TGID_Y_EN: 0
; COMPUTE_PGM_RSRC2:TGID_Z_EN: 0
; COMPUTE_PGM_RSRC2:TIDIG_COMP_CNT: 0
; COMPUTE_PGM_RSRC3_GFX90A:ACCUM_OFFSET: 0
; COMPUTE_PGM_RSRC3_GFX90A:TG_SPLIT: 0
	.section	.text._ZN7rocprim17ROCPRIM_400000_NS6detail17trampoline_kernelINS0_14default_configENS1_25partition_config_selectorILNS1_17partition_subalgoE2EjNS0_10empty_typeEbEEZZNS1_14partition_implILS5_2ELb0ES3_jN6thrust23THRUST_200600_302600_NS6detail15normal_iteratorINSA_7pointerIjNSA_11hip_rocprim3tagENSA_11use_defaultESG_EEEEPS6_NSA_18transform_iteratorI7is_evenIjENSC_INSA_10device_ptrIjEEEESG_SG_EENS0_5tupleIJPjSJ_EEENSR_IJSJ_SJ_EEES6_PlJS6_EEE10hipError_tPvRmT3_T4_T5_T6_T7_T9_mT8_P12ihipStream_tbDpT10_ENKUlT_T0_E_clISt17integral_constantIbLb1EES1F_EEDaS1A_S1B_EUlS1A_E_NS1_11comp_targetILNS1_3genE4ELNS1_11target_archE910ELNS1_3gpuE8ELNS1_3repE0EEENS1_30default_config_static_selectorELNS0_4arch9wavefront6targetE1EEEvT1_,"axG",@progbits,_ZN7rocprim17ROCPRIM_400000_NS6detail17trampoline_kernelINS0_14default_configENS1_25partition_config_selectorILNS1_17partition_subalgoE2EjNS0_10empty_typeEbEEZZNS1_14partition_implILS5_2ELb0ES3_jN6thrust23THRUST_200600_302600_NS6detail15normal_iteratorINSA_7pointerIjNSA_11hip_rocprim3tagENSA_11use_defaultESG_EEEEPS6_NSA_18transform_iteratorI7is_evenIjENSC_INSA_10device_ptrIjEEEESG_SG_EENS0_5tupleIJPjSJ_EEENSR_IJSJ_SJ_EEES6_PlJS6_EEE10hipError_tPvRmT3_T4_T5_T6_T7_T9_mT8_P12ihipStream_tbDpT10_ENKUlT_T0_E_clISt17integral_constantIbLb1EES1F_EEDaS1A_S1B_EUlS1A_E_NS1_11comp_targetILNS1_3genE4ELNS1_11target_archE910ELNS1_3gpuE8ELNS1_3repE0EEENS1_30default_config_static_selectorELNS0_4arch9wavefront6targetE1EEEvT1_,comdat
	.protected	_ZN7rocprim17ROCPRIM_400000_NS6detail17trampoline_kernelINS0_14default_configENS1_25partition_config_selectorILNS1_17partition_subalgoE2EjNS0_10empty_typeEbEEZZNS1_14partition_implILS5_2ELb0ES3_jN6thrust23THRUST_200600_302600_NS6detail15normal_iteratorINSA_7pointerIjNSA_11hip_rocprim3tagENSA_11use_defaultESG_EEEEPS6_NSA_18transform_iteratorI7is_evenIjENSC_INSA_10device_ptrIjEEEESG_SG_EENS0_5tupleIJPjSJ_EEENSR_IJSJ_SJ_EEES6_PlJS6_EEE10hipError_tPvRmT3_T4_T5_T6_T7_T9_mT8_P12ihipStream_tbDpT10_ENKUlT_T0_E_clISt17integral_constantIbLb1EES1F_EEDaS1A_S1B_EUlS1A_E_NS1_11comp_targetILNS1_3genE4ELNS1_11target_archE910ELNS1_3gpuE8ELNS1_3repE0EEENS1_30default_config_static_selectorELNS0_4arch9wavefront6targetE1EEEvT1_ ; -- Begin function _ZN7rocprim17ROCPRIM_400000_NS6detail17trampoline_kernelINS0_14default_configENS1_25partition_config_selectorILNS1_17partition_subalgoE2EjNS0_10empty_typeEbEEZZNS1_14partition_implILS5_2ELb0ES3_jN6thrust23THRUST_200600_302600_NS6detail15normal_iteratorINSA_7pointerIjNSA_11hip_rocprim3tagENSA_11use_defaultESG_EEEEPS6_NSA_18transform_iteratorI7is_evenIjENSC_INSA_10device_ptrIjEEEESG_SG_EENS0_5tupleIJPjSJ_EEENSR_IJSJ_SJ_EEES6_PlJS6_EEE10hipError_tPvRmT3_T4_T5_T6_T7_T9_mT8_P12ihipStream_tbDpT10_ENKUlT_T0_E_clISt17integral_constantIbLb1EES1F_EEDaS1A_S1B_EUlS1A_E_NS1_11comp_targetILNS1_3genE4ELNS1_11target_archE910ELNS1_3gpuE8ELNS1_3repE0EEENS1_30default_config_static_selectorELNS0_4arch9wavefront6targetE1EEEvT1_
	.globl	_ZN7rocprim17ROCPRIM_400000_NS6detail17trampoline_kernelINS0_14default_configENS1_25partition_config_selectorILNS1_17partition_subalgoE2EjNS0_10empty_typeEbEEZZNS1_14partition_implILS5_2ELb0ES3_jN6thrust23THRUST_200600_302600_NS6detail15normal_iteratorINSA_7pointerIjNSA_11hip_rocprim3tagENSA_11use_defaultESG_EEEEPS6_NSA_18transform_iteratorI7is_evenIjENSC_INSA_10device_ptrIjEEEESG_SG_EENS0_5tupleIJPjSJ_EEENSR_IJSJ_SJ_EEES6_PlJS6_EEE10hipError_tPvRmT3_T4_T5_T6_T7_T9_mT8_P12ihipStream_tbDpT10_ENKUlT_T0_E_clISt17integral_constantIbLb1EES1F_EEDaS1A_S1B_EUlS1A_E_NS1_11comp_targetILNS1_3genE4ELNS1_11target_archE910ELNS1_3gpuE8ELNS1_3repE0EEENS1_30default_config_static_selectorELNS0_4arch9wavefront6targetE1EEEvT1_
	.p2align	8
	.type	_ZN7rocprim17ROCPRIM_400000_NS6detail17trampoline_kernelINS0_14default_configENS1_25partition_config_selectorILNS1_17partition_subalgoE2EjNS0_10empty_typeEbEEZZNS1_14partition_implILS5_2ELb0ES3_jN6thrust23THRUST_200600_302600_NS6detail15normal_iteratorINSA_7pointerIjNSA_11hip_rocprim3tagENSA_11use_defaultESG_EEEEPS6_NSA_18transform_iteratorI7is_evenIjENSC_INSA_10device_ptrIjEEEESG_SG_EENS0_5tupleIJPjSJ_EEENSR_IJSJ_SJ_EEES6_PlJS6_EEE10hipError_tPvRmT3_T4_T5_T6_T7_T9_mT8_P12ihipStream_tbDpT10_ENKUlT_T0_E_clISt17integral_constantIbLb1EES1F_EEDaS1A_S1B_EUlS1A_E_NS1_11comp_targetILNS1_3genE4ELNS1_11target_archE910ELNS1_3gpuE8ELNS1_3repE0EEENS1_30default_config_static_selectorELNS0_4arch9wavefront6targetE1EEEvT1_,@function
_ZN7rocprim17ROCPRIM_400000_NS6detail17trampoline_kernelINS0_14default_configENS1_25partition_config_selectorILNS1_17partition_subalgoE2EjNS0_10empty_typeEbEEZZNS1_14partition_implILS5_2ELb0ES3_jN6thrust23THRUST_200600_302600_NS6detail15normal_iteratorINSA_7pointerIjNSA_11hip_rocprim3tagENSA_11use_defaultESG_EEEEPS6_NSA_18transform_iteratorI7is_evenIjENSC_INSA_10device_ptrIjEEEESG_SG_EENS0_5tupleIJPjSJ_EEENSR_IJSJ_SJ_EEES6_PlJS6_EEE10hipError_tPvRmT3_T4_T5_T6_T7_T9_mT8_P12ihipStream_tbDpT10_ENKUlT_T0_E_clISt17integral_constantIbLb1EES1F_EEDaS1A_S1B_EUlS1A_E_NS1_11comp_targetILNS1_3genE4ELNS1_11target_archE910ELNS1_3gpuE8ELNS1_3repE0EEENS1_30default_config_static_selectorELNS0_4arch9wavefront6targetE1EEEvT1_: ; @_ZN7rocprim17ROCPRIM_400000_NS6detail17trampoline_kernelINS0_14default_configENS1_25partition_config_selectorILNS1_17partition_subalgoE2EjNS0_10empty_typeEbEEZZNS1_14partition_implILS5_2ELb0ES3_jN6thrust23THRUST_200600_302600_NS6detail15normal_iteratorINSA_7pointerIjNSA_11hip_rocprim3tagENSA_11use_defaultESG_EEEEPS6_NSA_18transform_iteratorI7is_evenIjENSC_INSA_10device_ptrIjEEEESG_SG_EENS0_5tupleIJPjSJ_EEENSR_IJSJ_SJ_EEES6_PlJS6_EEE10hipError_tPvRmT3_T4_T5_T6_T7_T9_mT8_P12ihipStream_tbDpT10_ENKUlT_T0_E_clISt17integral_constantIbLb1EES1F_EEDaS1A_S1B_EUlS1A_E_NS1_11comp_targetILNS1_3genE4ELNS1_11target_archE910ELNS1_3gpuE8ELNS1_3repE0EEENS1_30default_config_static_selectorELNS0_4arch9wavefront6targetE1EEEvT1_
; %bb.0:
	s_load_dwordx2 s[6:7], s[4:5], 0x20
	s_load_dwordx2 s[24:25], s[4:5], 0x30
	;; [unrolled: 1-line block ×3, first 2 shown]
	s_load_dwordx4 s[20:23], s[4:5], 0x50
	s_load_dwordx2 s[34:35], s[4:5], 0x70
	v_cmp_eq_u32_e64 s[0:1], 0, v0
	s_and_saveexec_b64 s[2:3], s[0:1]
	s_cbranch_execz .LBB2047_4
; %bb.1:
	s_mov_b64 s[10:11], exec
	v_mbcnt_lo_u32_b32 v1, s10, 0
	v_mbcnt_hi_u32_b32 v1, s11, v1
	v_cmp_eq_u32_e32 vcc, 0, v1
                                        ; implicit-def: $vgpr2
	s_and_saveexec_b64 s[8:9], vcc
	s_cbranch_execz .LBB2047_3
; %bb.2:
	s_load_dwordx2 s[12:13], s[4:5], 0x80
	s_bcnt1_i32_b64 s10, s[10:11]
	v_mov_b32_e32 v2, 0
	v_mov_b32_e32 v3, s10
	s_waitcnt lgkmcnt(0)
	global_atomic_add v2, v2, v3, s[12:13] glc
.LBB2047_3:
	s_or_b64 exec, exec, s[8:9]
	s_waitcnt vmcnt(0)
	v_readfirstlane_b32 s8, v2
	v_add_u32_e32 v1, s8, v1
	v_mov_b32_e32 v2, 0
	ds_write_b32 v2, v1
.LBB2047_4:
	s_or_b64 exec, exec, s[2:3]
	v_mov_b32_e32 v1, 0
	s_load_dwordx4 s[16:19], s[4:5], 0x8
	s_load_dword s2, s[4:5], 0x78
	s_waitcnt lgkmcnt(0)
	s_barrier
	ds_read_b32 v2, v1
	s_waitcnt lgkmcnt(0)
	s_barrier
	global_load_dwordx2 v[12:13], v1, s[22:23]
	s_lshl_b64 s[4:5], s[18:19], 2
	s_add_u32 s10, s16, s4
	s_addc_u32 s11, s17, s5
	s_add_i32 s8, s2, -1
	s_mulk_i32 s2, 0xa00
	s_add_i32 s3, s2, s18
	s_sub_i32 s33, s26, s3
	s_addk_i32 s33, 0xa00
	s_add_u32 s2, s18, s2
	v_readfirstlane_b32 s42, v2
	s_addc_u32 s3, s19, 0
	s_cmp_eq_u32 s42, s8
	v_pk_mov_b32 v[2:3], s[26:27], s[26:27] op_sel:[0,1]
	s_cselect_b64 s[22:23], -1, 0
	s_cmp_lg_u32 s42, s8
	s_mul_i32 s28, s42, 0xa00
	s_mov_b32 s29, 0
	v_cmp_lt_u64_e32 vcc, s[2:3], v[2:3]
	s_cselect_b64 s[2:3], -1, 0
	s_or_b64 s[30:31], vcc, s[2:3]
	s_lshl_b64 s[8:9], s[28:29], 2
	s_add_u32 s12, s10, s8
	s_addc_u32 s13, s11, s9
	s_mov_b64 s[2:3], -1
	s_and_b64 vcc, exec, s[30:31]
	v_lshlrev_b32_e32 v1, 2, v0
	s_cbranch_vccz .LBB2047_6
; %bb.5:
	v_mov_b32_e32 v3, s13
	v_add_co_u32_e32 v2, vcc, s12, v1
	v_addc_co_u32_e32 v3, vcc, 0, v3, vcc
	v_add_co_u32_e32 v4, vcc, 0x1000, v2
	v_addc_co_u32_e32 v5, vcc, 0, v3, vcc
	flat_load_dword v6, v[2:3]
	flat_load_dword v7, v[2:3] offset:1024
	flat_load_dword v8, v[2:3] offset:2048
	flat_load_dword v9, v[2:3] offset:3072
	flat_load_dword v10, v[4:5]
	flat_load_dword v11, v[4:5] offset:1024
	flat_load_dword v14, v[4:5] offset:2048
	;; [unrolled: 1-line block ×3, first 2 shown]
	v_add_co_u32_e32 v2, vcc, 0x2000, v2
	v_addc_co_u32_e32 v3, vcc, 0, v3, vcc
	flat_load_dword v4, v[2:3]
	flat_load_dword v5, v[2:3] offset:1024
	s_mov_b64 s[2:3], 0
	s_waitcnt vmcnt(0) lgkmcnt(0)
	ds_write2st64_b32 v1, v6, v7 offset1:4
	ds_write2st64_b32 v1, v8, v9 offset0:8 offset1:12
	ds_write2st64_b32 v1, v10, v11 offset0:16 offset1:20
	;; [unrolled: 1-line block ×4, first 2 shown]
	s_waitcnt lgkmcnt(0)
	s_barrier
.LBB2047_6:
	s_andn2_b64 vcc, exec, s[2:3]
	v_cmp_gt_u32_e64 s[2:3], s33, v0
	s_cbranch_vccnz .LBB2047_28
; %bb.7:
                                        ; implicit-def: $vgpr2_vgpr3_vgpr4_vgpr5_vgpr6_vgpr7_vgpr8_vgpr9_vgpr10_vgpr11
	s_and_saveexec_b64 s[10:11], s[2:3]
	s_cbranch_execz .LBB2047_9
; %bb.8:
	v_mov_b32_e32 v3, s13
	v_add_co_u32_e32 v2, vcc, s12, v1
	v_addc_co_u32_e32 v3, vcc, 0, v3, vcc
	flat_load_dword v2, v[2:3]
.LBB2047_9:
	s_or_b64 exec, exec, s[10:11]
	v_or_b32_e32 v14, 0x100, v0
	v_cmp_gt_u32_e32 vcc, s33, v14
	s_and_saveexec_b64 s[2:3], vcc
	s_cbranch_execz .LBB2047_11
; %bb.10:
	v_mov_b32_e32 v3, s13
	v_add_co_u32_e32 v14, vcc, s12, v1
	v_addc_co_u32_e32 v15, vcc, 0, v3, vcc
	flat_load_dword v3, v[14:15] offset:1024
.LBB2047_11:
	s_or_b64 exec, exec, s[2:3]
	v_or_b32_e32 v14, 0x200, v0
	v_cmp_gt_u32_e32 vcc, s33, v14
	s_and_saveexec_b64 s[2:3], vcc
	s_cbranch_execz .LBB2047_13
; %bb.12:
	v_mov_b32_e32 v4, s13
	v_add_co_u32_e32 v14, vcc, s12, v1
	v_addc_co_u32_e32 v15, vcc, 0, v4, vcc
	flat_load_dword v4, v[14:15] offset:2048
.LBB2047_13:
	;; [unrolled: 11-line block ×3, first 2 shown]
	s_or_b64 exec, exec, s[2:3]
	v_or_b32_e32 v14, 0x400, v0
	v_cmp_gt_u32_e32 vcc, s33, v14
	s_and_saveexec_b64 s[2:3], vcc
	s_cbranch_execz .LBB2047_17
; %bb.16:
	v_lshlrev_b32_e32 v6, 2, v14
	v_mov_b32_e32 v15, s13
	v_add_co_u32_e32 v14, vcc, s12, v6
	v_addc_co_u32_e32 v15, vcc, 0, v15, vcc
	flat_load_dword v6, v[14:15]
.LBB2047_17:
	s_or_b64 exec, exec, s[2:3]
	v_or_b32_e32 v14, 0x500, v0
	v_cmp_gt_u32_e32 vcc, s33, v14
	s_and_saveexec_b64 s[2:3], vcc
	s_cbranch_execz .LBB2047_19
; %bb.18:
	v_lshlrev_b32_e32 v7, 2, v14
	v_mov_b32_e32 v15, s13
	v_add_co_u32_e32 v14, vcc, s12, v7
	v_addc_co_u32_e32 v15, vcc, 0, v15, vcc
	flat_load_dword v7, v[14:15]
.LBB2047_19:
	;; [unrolled: 12-line block ×6, first 2 shown]
	s_or_b64 exec, exec, s[2:3]
	s_waitcnt vmcnt(0) lgkmcnt(0)
	ds_write2st64_b32 v1, v2, v3 offset1:4
	ds_write2st64_b32 v1, v4, v5 offset0:8 offset1:12
	ds_write2st64_b32 v1, v6, v7 offset0:16 offset1:20
	;; [unrolled: 1-line block ×4, first 2 shown]
	s_waitcnt lgkmcnt(0)
	s_barrier
.LBB2047_28:
	v_mul_u32_u24_e32 v26, 10, v0
	v_lshlrev_b32_e32 v10, 2, v26
	ds_read2_b64 v[6:9], v10 offset1:1
	ds_read2_b64 v[2:5], v10 offset0:2 offset1:3
	ds_read_b64 v[14:15], v10 offset:32
	s_add_u32 s2, s6, s4
	s_addc_u32 s3, s7, s5
	s_add_u32 s2, s2, s8
	s_addc_u32 s3, s3, s9
	s_mov_b64 s[4:5], -1
	s_and_b64 vcc, exec, s[30:31]
	s_waitcnt lgkmcnt(0)
	s_barrier
	s_cbranch_vccz .LBB2047_30
; %bb.29:
	v_mov_b32_e32 v11, s3
	v_add_co_u32_e32 v18, vcc, s2, v1
	v_addc_co_u32_e32 v11, vcc, 0, v11, vcc
	s_movk_i32 s4, 0x1000
	v_add_co_u32_e32 v16, vcc, s4, v18
	global_load_dword v20, v1, s[2:3]
	global_load_dword v21, v1, s[2:3] offset:1024
	global_load_dword v22, v1, s[2:3] offset:2048
	global_load_dword v23, v1, s[2:3] offset:3072
	v_addc_co_u32_e32 v17, vcc, 0, v11, vcc
	s_movk_i32 s4, 0x2000
	v_add_co_u32_e32 v18, vcc, s4, v18
	v_addc_co_u32_e32 v19, vcc, 0, v11, vcc
	global_load_dword v11, v[16:17], off offset:1024
	global_load_dword v24, v[16:17], off offset:2048
	global_load_dword v25, v[18:19], off offset:-4096
	global_load_dword v27, v[18:19], off
	global_load_dword v28, v[18:19], off offset:1024
	global_load_dword v29, v[16:17], off offset:3072
	s_mov_b64 s[4:5], 0
	s_waitcnt vmcnt(9)
	v_xor_b32_e32 v16, -1, v20
	s_waitcnt vmcnt(8)
	v_xor_b32_e32 v17, -1, v21
	s_waitcnt vmcnt(7)
	v_xor_b32_e32 v18, -1, v22
	s_waitcnt vmcnt(6)
	v_xor_b32_e32 v19, -1, v23
	v_and_b32_e32 v16, 1, v16
	v_and_b32_e32 v17, 1, v17
	;; [unrolled: 1-line block ×4, first 2 shown]
	s_waitcnt vmcnt(5)
	v_xor_b32_e32 v11, -1, v11
	ds_write_b8 v0, v16
	ds_write_b8 v0, v17 offset:256
	ds_write_b8 v0, v18 offset:512
	;; [unrolled: 1-line block ×3, first 2 shown]
	s_waitcnt vmcnt(4)
	v_xor_b32_e32 v16, -1, v24
	s_waitcnt vmcnt(3)
	v_xor_b32_e32 v17, -1, v25
	v_and_b32_e32 v11, 1, v11
	s_waitcnt vmcnt(0)
	v_xor_b32_e32 v18, -1, v29
	v_xor_b32_e32 v19, -1, v27
	;; [unrolled: 1-line block ×3, first 2 shown]
	v_and_b32_e32 v16, 1, v16
	v_and_b32_e32 v17, 1, v17
	;; [unrolled: 1-line block ×5, first 2 shown]
	ds_write_b8 v0, v11 offset:1280
	ds_write_b8 v0, v16 offset:1536
	;; [unrolled: 1-line block ×6, first 2 shown]
	s_waitcnt lgkmcnt(0)
	s_barrier
.LBB2047_30:
	s_andn2_b64 vcc, exec, s[4:5]
	s_cbranch_vccnz .LBB2047_52
; %bb.31:
	v_cmp_gt_u32_e32 vcc, s33, v0
	v_mov_b32_e32 v11, 0
	v_mov_b32_e32 v16, 0
	s_and_saveexec_b64 s[4:5], vcc
	s_cbranch_execz .LBB2047_33
; %bb.32:
	global_load_dword v16, v1, s[2:3]
	s_waitcnt vmcnt(0)
	v_xor_b32_e32 v16, -1, v16
	v_and_b32_e32 v16, 1, v16
.LBB2047_33:
	s_or_b64 exec, exec, s[4:5]
	v_or_b32_e32 v17, 0x100, v0
	v_cmp_gt_u32_e32 vcc, s33, v17
	s_and_saveexec_b64 s[4:5], vcc
	s_cbranch_execz .LBB2047_35
; %bb.34:
	global_load_dword v11, v1, s[2:3] offset:1024
	s_waitcnt vmcnt(0)
	v_xor_b32_e32 v11, -1, v11
	v_and_b32_e32 v11, 1, v11
.LBB2047_35:
	s_or_b64 exec, exec, s[4:5]
	v_or_b32_e32 v17, 0x200, v0
	v_cmp_gt_u32_e32 vcc, s33, v17
	v_mov_b32_e32 v17, 0
	v_mov_b32_e32 v18, 0
	s_and_saveexec_b64 s[4:5], vcc
	s_cbranch_execz .LBB2047_37
; %bb.36:
	global_load_dword v18, v1, s[2:3] offset:2048
	s_waitcnt vmcnt(0)
	v_xor_b32_e32 v18, -1, v18
	v_and_b32_e32 v18, 1, v18
.LBB2047_37:
	s_or_b64 exec, exec, s[4:5]
	v_or_b32_e32 v19, 0x300, v0
	v_cmp_gt_u32_e32 vcc, s33, v19
	s_and_saveexec_b64 s[4:5], vcc
	s_cbranch_execz .LBB2047_39
; %bb.38:
	global_load_dword v17, v1, s[2:3] offset:3072
	s_waitcnt vmcnt(0)
	v_xor_b32_e32 v17, -1, v17
	v_and_b32_e32 v17, 1, v17
.LBB2047_39:
	s_or_b64 exec, exec, s[4:5]
	v_or_b32_e32 v21, 0x400, v0
	v_cmp_gt_u32_e32 vcc, s33, v21
	v_mov_b32_e32 v19, 0
	v_mov_b32_e32 v20, 0
	s_and_saveexec_b64 s[4:5], vcc
	s_cbranch_execz .LBB2047_41
; %bb.40:
	v_lshlrev_b32_e32 v20, 2, v21
	global_load_dword v20, v20, s[2:3]
	s_waitcnt vmcnt(0)
	v_xor_b32_e32 v20, -1, v20
	v_and_b32_e32 v20, 1, v20
.LBB2047_41:
	s_or_b64 exec, exec, s[4:5]
	v_or_b32_e32 v21, 0x500, v0
	v_cmp_gt_u32_e32 vcc, s33, v21
	s_and_saveexec_b64 s[4:5], vcc
	s_cbranch_execz .LBB2047_43
; %bb.42:
	v_lshlrev_b32_e32 v19, 2, v21
	global_load_dword v19, v19, s[2:3]
	s_waitcnt vmcnt(0)
	v_xor_b32_e32 v19, -1, v19
	v_and_b32_e32 v19, 1, v19
.LBB2047_43:
	s_or_b64 exec, exec, s[4:5]
	v_or_b32_e32 v23, 0x600, v0
	v_cmp_gt_u32_e32 vcc, s33, v23
	v_mov_b32_e32 v21, 0
	v_mov_b32_e32 v22, 0
	s_and_saveexec_b64 s[4:5], vcc
	s_cbranch_execz .LBB2047_45
; %bb.44:
	v_lshlrev_b32_e32 v22, 2, v23
	global_load_dword v22, v22, s[2:3]
	s_waitcnt vmcnt(0)
	v_xor_b32_e32 v22, -1, v22
	v_and_b32_e32 v22, 1, v22
.LBB2047_45:
	s_or_b64 exec, exec, s[4:5]
	v_or_b32_e32 v23, 0x700, v0
	v_cmp_gt_u32_e32 vcc, s33, v23
	s_and_saveexec_b64 s[4:5], vcc
	s_cbranch_execz .LBB2047_47
; %bb.46:
	v_lshlrev_b32_e32 v21, 2, v23
	global_load_dword v21, v21, s[2:3]
	s_waitcnt vmcnt(0)
	v_xor_b32_e32 v21, -1, v21
	v_and_b32_e32 v21, 1, v21
.LBB2047_47:
	;; [unrolled: 26-line block ×3, first 2 shown]
	s_or_b64 exec, exec, s[4:5]
	ds_write_b8 v0, v16
	ds_write_b8 v0, v11 offset:256
	ds_write_b8 v0, v18 offset:512
	;; [unrolled: 1-line block ×9, first 2 shown]
	s_waitcnt lgkmcnt(0)
	s_barrier
.LBB2047_52:
	s_movk_i32 s2, 0xffe2
	v_mad_i32_i24 v37, v0, s2, v10
	ds_read_b64 v[16:17], v37
	ds_read_u16 v28, v37 offset:8
	s_cmp_lg_u32 s42, 0
	v_lshrrev_b32_e32 v38, 6, v0
	s_waitcnt lgkmcnt(0)
	v_lshrrev_b32_e32 v30, 24, v16
	v_bfe_u32 v35, v16, 16, 8
	v_add_u32_sdwa v10, v16, v16 dst_sel:DWORD dst_unused:UNUSED_PAD src0_sel:BYTE_1 src1_sel:BYTE_0
	v_and_b32_e32 v32, 0xff, v17
	v_bfe_u32 v33, v17, 8, 8
	v_add3_u32 v10, v10, v35, v30
	v_lshrrev_b32_e32 v29, 24, v17
	v_bfe_u32 v34, v17, 16, 8
	v_add3_u32 v10, v10, v32, v33
	v_lshrrev_b16_e32 v27, 8, v28
	v_and_b32_e32 v31, 0xff, v28
	v_add3_u32 v10, v10, v34, v29
	v_add3_u32 v39, v10, v31, v27
	v_mbcnt_lo_u32_b32 v10, -1, 0
	v_mbcnt_hi_u32_b32 v36, -1, v10
	v_and_b32_e32 v10, 15, v36
	v_cmp_eq_u32_e64 s[14:15], 0, v10
	v_cmp_lt_u32_e64 s[12:13], 1, v10
	v_cmp_lt_u32_e64 s[10:11], 3, v10
	;; [unrolled: 1-line block ×3, first 2 shown]
	v_and_b32_e32 v10, 16, v36
	v_cmp_eq_u32_e64 s[6:7], 0, v10
	v_or_b32_e32 v10, 63, v0
	v_cmp_lt_u32_e64 s[2:3], 31, v36
	v_cmp_eq_u32_e64 s[4:5], v10, v0
	s_barrier
	s_cbranch_scc0 .LBB2047_83
; %bb.53:
	v_mov_b32_dpp v10, v39 row_shr:1 row_mask:0xf bank_mask:0xf
	v_cndmask_b32_e64 v10, v10, 0, s[14:15]
	v_add_u32_e32 v10, v10, v39
	s_nop 1
	v_mov_b32_dpp v11, v10 row_shr:2 row_mask:0xf bank_mask:0xf
	v_cndmask_b32_e64 v11, 0, v11, s[12:13]
	v_add_u32_e32 v10, v10, v11
	s_nop 1
	;; [unrolled: 4-line block ×4, first 2 shown]
	v_mov_b32_dpp v11, v10 row_bcast:15 row_mask:0xf bank_mask:0xf
	v_cndmask_b32_e64 v11, v11, 0, s[6:7]
	v_add_u32_e32 v10, v10, v11
	s_nop 1
	v_mov_b32_dpp v11, v10 row_bcast:31 row_mask:0xf bank_mask:0xf
	v_cndmask_b32_e64 v11, 0, v11, s[2:3]
	v_add_u32_e32 v10, v10, v11
	s_and_saveexec_b64 s[16:17], s[4:5]
	s_cbranch_execz .LBB2047_55
; %bb.54:
	v_lshlrev_b32_e32 v11, 2, v38
	ds_write_b32 v11, v10
.LBB2047_55:
	s_or_b64 exec, exec, s[16:17]
	v_cmp_gt_u32_e32 vcc, 4, v0
	s_waitcnt lgkmcnt(0)
	s_barrier
	s_and_saveexec_b64 s[16:17], vcc
	s_cbranch_execz .LBB2047_57
; %bb.56:
	ds_read_b32 v11, v1
	v_and_b32_e32 v18, 3, v36
	v_cmp_ne_u32_e32 vcc, 0, v18
	s_waitcnt lgkmcnt(0)
	v_mov_b32_dpp v19, v11 row_shr:1 row_mask:0xf bank_mask:0xf
	v_cndmask_b32_e32 v19, 0, v19, vcc
	v_add_u32_e32 v11, v19, v11
	v_cmp_lt_u32_e32 vcc, 1, v18
	s_nop 0
	v_mov_b32_dpp v19, v11 row_shr:2 row_mask:0xf bank_mask:0xf
	v_cndmask_b32_e32 v18, 0, v19, vcc
	v_add_u32_e32 v11, v11, v18
	ds_write_b32 v1, v11
.LBB2047_57:
	s_or_b64 exec, exec, s[16:17]
	v_cmp_gt_u32_e32 vcc, 64, v0
	v_cmp_lt_u32_e64 s[16:17], 63, v0
	s_waitcnt lgkmcnt(0)
	s_barrier
	s_waitcnt lgkmcnt(0)
                                        ; implicit-def: $vgpr40
	s_and_saveexec_b64 s[36:37], s[16:17]
	s_cbranch_execz .LBB2047_59
; %bb.58:
	v_lshl_add_u32 v11, v38, 2, -4
	ds_read_b32 v40, v11
	s_waitcnt lgkmcnt(0)
	v_add_u32_e32 v10, v40, v10
.LBB2047_59:
	s_or_b64 exec, exec, s[36:37]
	v_add_u32_e32 v11, -1, v36
	v_and_b32_e32 v18, 64, v36
	v_cmp_lt_i32_e64 s[16:17], v11, v18
	v_cndmask_b32_e64 v11, v11, v36, s[16:17]
	v_lshlrev_b32_e32 v11, 2, v11
	ds_bpermute_b32 v41, v11, v10
	v_cmp_eq_u32_e64 s[16:17], 0, v36
	s_and_saveexec_b64 s[36:37], vcc
	s_cbranch_execz .LBB2047_82
; %bb.60:
	v_mov_b32_e32 v25, 0
	ds_read_b32 v10, v25 offset:12
	s_and_saveexec_b64 s[38:39], s[16:17]
	s_cbranch_execz .LBB2047_62
; %bb.61:
	s_add_i32 s40, s42, 64
	s_mov_b32 s41, 0
	s_lshl_b64 s[40:41], s[40:41], 3
	s_add_u32 s40, s34, s40
	v_mov_b32_e32 v11, 1
	s_addc_u32 s41, s35, s41
	s_waitcnt lgkmcnt(0)
	global_store_dwordx2 v25, v[10:11], s[40:41]
.LBB2047_62:
	s_or_b64 exec, exec, s[38:39]
	v_xad_u32 v18, v36, -1, s42
	v_add_u32_e32 v24, 64, v18
	v_lshlrev_b64 v[20:21], 3, v[24:25]
	v_mov_b32_e32 v11, s35
	v_add_co_u32_e32 v20, vcc, s34, v20
	v_addc_co_u32_e32 v21, vcc, v11, v21, vcc
	global_load_dwordx2 v[22:23], v[20:21], off glc
	s_waitcnt vmcnt(0)
	v_cmp_eq_u16_sdwa s[40:41], v23, v25 src0_sel:BYTE_0 src1_sel:DWORD
	s_and_saveexec_b64 s[38:39], s[40:41]
	s_cbranch_execz .LBB2047_68
; %bb.63:
	s_mov_b32 s29, 1
	s_mov_b64 s[40:41], 0
	v_mov_b32_e32 v11, 0
.LBB2047_64:                            ; =>This Loop Header: Depth=1
                                        ;     Child Loop BB2047_65 Depth 2
	s_max_u32 s43, s29, 1
.LBB2047_65:                            ;   Parent Loop BB2047_64 Depth=1
                                        ; =>  This Inner Loop Header: Depth=2
	s_add_i32 s43, s43, -1
	s_cmp_eq_u32 s43, 0
	s_sleep 1
	s_cbranch_scc0 .LBB2047_65
; %bb.66:                               ;   in Loop: Header=BB2047_64 Depth=1
	global_load_dwordx2 v[22:23], v[20:21], off glc
	s_cmp_lt_u32 s29, 32
	s_cselect_b64 s[44:45], -1, 0
	s_cmp_lg_u64 s[44:45], 0
	s_addc_u32 s29, s29, 0
	s_waitcnt vmcnt(0)
	v_cmp_ne_u16_sdwa s[44:45], v23, v11 src0_sel:BYTE_0 src1_sel:DWORD
	s_or_b64 s[40:41], s[44:45], s[40:41]
	s_andn2_b64 exec, exec, s[40:41]
	s_cbranch_execnz .LBB2047_64
; %bb.67:
	s_or_b64 exec, exec, s[40:41]
.LBB2047_68:
	s_or_b64 exec, exec, s[38:39]
	v_and_b32_e32 v43, 63, v36
	v_mov_b32_e32 v42, 2
	v_cmp_ne_u32_e32 vcc, 63, v43
	v_cmp_eq_u16_sdwa s[38:39], v23, v42 src0_sel:BYTE_0 src1_sel:DWORD
	v_lshlrev_b64 v[20:21], v36, -1
	v_addc_co_u32_e32 v24, vcc, 0, v36, vcc
	v_and_b32_e32 v11, s39, v21
	v_lshlrev_b32_e32 v44, 2, v24
	v_or_b32_e32 v11, 0x80000000, v11
	ds_bpermute_b32 v24, v44, v22
	v_and_b32_e32 v19, s38, v20
	v_ffbl_b32_e32 v11, v11
	v_add_u32_e32 v11, 32, v11
	v_ffbl_b32_e32 v19, v19
	v_min_u32_e32 v11, v19, v11
	v_cmp_lt_u32_e32 vcc, v43, v11
	s_waitcnt lgkmcnt(0)
	v_cndmask_b32_e32 v19, 0, v24, vcc
	v_cmp_gt_u32_e32 vcc, 62, v43
	v_add_u32_e32 v19, v19, v22
	v_cndmask_b32_e64 v22, 0, 1, vcc
	v_lshlrev_b32_e32 v22, 1, v22
	v_add_lshl_u32 v45, v22, v36, 2
	ds_bpermute_b32 v22, v45, v19
	v_add_u32_e32 v46, 2, v43
	v_cmp_le_u32_e32 vcc, v46, v11
	v_add_u32_e32 v48, 4, v43
	v_add_u32_e32 v50, 8, v43
	s_waitcnt lgkmcnt(0)
	v_cndmask_b32_e32 v22, 0, v22, vcc
	v_cmp_gt_u32_e32 vcc, 60, v43
	v_add_u32_e32 v19, v19, v22
	v_cndmask_b32_e64 v22, 0, 1, vcc
	v_lshlrev_b32_e32 v22, 2, v22
	v_add_lshl_u32 v47, v22, v36, 2
	ds_bpermute_b32 v22, v47, v19
	v_cmp_le_u32_e32 vcc, v48, v11
	v_add_u32_e32 v52, 16, v43
	v_add_u32_e32 v54, 32, v43
	s_waitcnt lgkmcnt(0)
	v_cndmask_b32_e32 v22, 0, v22, vcc
	v_cmp_gt_u32_e32 vcc, 56, v43
	v_add_u32_e32 v19, v19, v22
	v_cndmask_b32_e64 v22, 0, 1, vcc
	v_lshlrev_b32_e32 v22, 3, v22
	v_add_lshl_u32 v49, v22, v36, 2
	ds_bpermute_b32 v22, v49, v19
	v_cmp_le_u32_e32 vcc, v50, v11
	s_waitcnt lgkmcnt(0)
	v_cndmask_b32_e32 v22, 0, v22, vcc
	v_cmp_gt_u32_e32 vcc, 48, v43
	v_add_u32_e32 v19, v19, v22
	v_cndmask_b32_e64 v22, 0, 1, vcc
	v_lshlrev_b32_e32 v22, 4, v22
	v_add_lshl_u32 v51, v22, v36, 2
	ds_bpermute_b32 v22, v51, v19
	v_cmp_le_u32_e32 vcc, v52, v11
	;; [unrolled: 9-line block ×3, first 2 shown]
	s_waitcnt lgkmcnt(0)
	v_cndmask_b32_e32 v11, 0, v22, vcc
	v_add_u32_e32 v22, v19, v11
	v_mov_b32_e32 v19, 0
	s_branch .LBB2047_70
.LBB2047_69:                            ;   in Loop: Header=BB2047_70 Depth=1
	s_or_b64 exec, exec, s[38:39]
	v_cmp_eq_u16_sdwa s[38:39], v23, v42 src0_sel:BYTE_0 src1_sel:DWORD
	v_and_b32_e32 v24, s39, v21
	v_or_b32_e32 v24, 0x80000000, v24
	ds_bpermute_b32 v55, v44, v22
	v_and_b32_e32 v25, s38, v20
	v_ffbl_b32_e32 v24, v24
	v_add_u32_e32 v24, 32, v24
	v_ffbl_b32_e32 v25, v25
	v_min_u32_e32 v24, v25, v24
	v_cmp_lt_u32_e32 vcc, v43, v24
	s_waitcnt lgkmcnt(0)
	v_cndmask_b32_e32 v25, 0, v55, vcc
	v_add_u32_e32 v22, v25, v22
	ds_bpermute_b32 v25, v45, v22
	v_cmp_le_u32_e32 vcc, v46, v24
	v_subrev_u32_e32 v18, 64, v18
	s_waitcnt lgkmcnt(0)
	v_cndmask_b32_e32 v25, 0, v25, vcc
	v_add_u32_e32 v22, v22, v25
	ds_bpermute_b32 v25, v47, v22
	v_cmp_le_u32_e32 vcc, v48, v24
	s_waitcnt lgkmcnt(0)
	v_cndmask_b32_e32 v25, 0, v25, vcc
	v_add_u32_e32 v22, v22, v25
	ds_bpermute_b32 v25, v49, v22
	v_cmp_le_u32_e32 vcc, v50, v24
	;; [unrolled: 5-line block ×4, first 2 shown]
	s_waitcnt lgkmcnt(0)
	v_cndmask_b32_e32 v24, 0, v25, vcc
	v_add3_u32 v22, v24, v11, v22
.LBB2047_70:                            ; =>This Loop Header: Depth=1
                                        ;     Child Loop BB2047_73 Depth 2
                                        ;       Child Loop BB2047_74 Depth 3
	v_cmp_ne_u16_sdwa s[38:39], v23, v42 src0_sel:BYTE_0 src1_sel:DWORD
	v_cndmask_b32_e64 v11, 0, 1, s[38:39]
	;;#ASMSTART
	;;#ASMEND
	v_cmp_ne_u32_e32 vcc, 0, v11
	s_cmp_lg_u64 vcc, exec
	v_mov_b32_e32 v11, v22
	s_cbranch_scc1 .LBB2047_77
; %bb.71:                               ;   in Loop: Header=BB2047_70 Depth=1
	v_lshlrev_b64 v[22:23], 3, v[18:19]
	v_mov_b32_e32 v25, s35
	v_add_co_u32_e32 v24, vcc, s34, v22
	v_addc_co_u32_e32 v25, vcc, v25, v23, vcc
	global_load_dwordx2 v[22:23], v[24:25], off glc
	s_waitcnt vmcnt(0)
	v_cmp_eq_u16_sdwa s[40:41], v23, v19 src0_sel:BYTE_0 src1_sel:DWORD
	s_and_saveexec_b64 s[38:39], s[40:41]
	s_cbranch_execz .LBB2047_69
; %bb.72:                               ;   in Loop: Header=BB2047_70 Depth=1
	s_mov_b32 s29, 1
	s_mov_b64 s[40:41], 0
.LBB2047_73:                            ;   Parent Loop BB2047_70 Depth=1
                                        ; =>  This Loop Header: Depth=2
                                        ;       Child Loop BB2047_74 Depth 3
	s_max_u32 s43, s29, 1
.LBB2047_74:                            ;   Parent Loop BB2047_70 Depth=1
                                        ;     Parent Loop BB2047_73 Depth=2
                                        ; =>    This Inner Loop Header: Depth=3
	s_add_i32 s43, s43, -1
	s_cmp_eq_u32 s43, 0
	s_sleep 1
	s_cbranch_scc0 .LBB2047_74
; %bb.75:                               ;   in Loop: Header=BB2047_73 Depth=2
	global_load_dwordx2 v[22:23], v[24:25], off glc
	s_cmp_lt_u32 s29, 32
	s_cselect_b64 s[44:45], -1, 0
	s_cmp_lg_u64 s[44:45], 0
	s_addc_u32 s29, s29, 0
	s_waitcnt vmcnt(0)
	v_cmp_ne_u16_sdwa s[44:45], v23, v19 src0_sel:BYTE_0 src1_sel:DWORD
	s_or_b64 s[40:41], s[44:45], s[40:41]
	s_andn2_b64 exec, exec, s[40:41]
	s_cbranch_execnz .LBB2047_73
; %bb.76:                               ;   in Loop: Header=BB2047_70 Depth=1
	s_or_b64 exec, exec, s[40:41]
	s_branch .LBB2047_69
.LBB2047_77:                            ;   in Loop: Header=BB2047_70 Depth=1
                                        ; implicit-def: $vgpr22
                                        ; implicit-def: $vgpr23
	s_cbranch_execz .LBB2047_70
; %bb.78:
	s_and_saveexec_b64 s[38:39], s[16:17]
	s_cbranch_execz .LBB2047_80
; %bb.79:
	s_add_i32 s40, s42, 64
	s_mov_b32 s41, 0
	s_lshl_b64 s[40:41], s[40:41], 3
	s_add_u32 s40, s34, s40
	v_add_u32_e32 v18, v11, v10
	v_mov_b32_e32 v19, 2
	s_addc_u32 s41, s35, s41
	v_mov_b32_e32 v20, 0
	global_store_dwordx2 v20, v[18:19], s[40:41]
	ds_write_b64 v20, v[10:11] offset:10240
.LBB2047_80:
	s_or_b64 exec, exec, s[38:39]
	s_and_b64 exec, exec, s[0:1]
	s_cbranch_execz .LBB2047_82
; %bb.81:
	v_mov_b32_e32 v10, 0
	ds_write_b32 v10, v11 offset:12
.LBB2047_82:
	s_or_b64 exec, exec, s[36:37]
	v_mov_b32_e32 v10, 0
	s_waitcnt lgkmcnt(0)
	s_barrier
	ds_read_b32 v11, v10 offset:12
	v_cndmask_b32_e64 v18, v41, v40, s[16:17]
	v_cndmask_b32_e64 v18, v18, 0, s[0:1]
	s_waitcnt lgkmcnt(0)
	s_barrier
	v_add_u32_e32 v41, v11, v18
	v_add_u32_sdwa v40, v41, v16 dst_sel:DWORD dst_unused:UNUSED_PAD src0_sel:DWORD src1_sel:BYTE_0
	v_add_u32_sdwa v25, v40, v16 dst_sel:DWORD dst_unused:UNUSED_PAD src0_sel:DWORD src1_sel:BYTE_1
	v_add_u32_e32 v24, v25, v35
	v_add_u32_e32 v23, v24, v30
	;; [unrolled: 1-line block ×3, first 2 shown]
	ds_read_b64 v[10:11], v10 offset:10240
	v_add_u32_e32 v21, v22, v33
	v_add_u32_e32 v20, v21, v34
	v_add_u32_e32 v19, v20, v29
	v_add_u32_e32 v18, v19, v31
	s_branch .LBB2047_93
.LBB2047_83:
                                        ; implicit-def: $vgpr11
                                        ; implicit-def: $vgpr18
                                        ; implicit-def: $vgpr19
                                        ; implicit-def: $vgpr20
                                        ; implicit-def: $vgpr21
                                        ; implicit-def: $vgpr22
                                        ; implicit-def: $vgpr23
                                        ; implicit-def: $vgpr24
                                        ; implicit-def: $vgpr25
                                        ; implicit-def: $vgpr40
                                        ; implicit-def: $vgpr41
	s_cbranch_execz .LBB2047_93
; %bb.84:
	s_waitcnt lgkmcnt(0)
	v_mov_b32_dpp v10, v39 row_shr:1 row_mask:0xf bank_mask:0xf
	v_cndmask_b32_e64 v10, v10, 0, s[14:15]
	v_add_u32_e32 v10, v10, v39
	s_nop 1
	v_mov_b32_dpp v11, v10 row_shr:2 row_mask:0xf bank_mask:0xf
	v_cndmask_b32_e64 v11, 0, v11, s[12:13]
	v_add_u32_e32 v10, v10, v11
	s_nop 1
	;; [unrolled: 4-line block ×4, first 2 shown]
	v_mov_b32_dpp v11, v10 row_bcast:15 row_mask:0xf bank_mask:0xf
	v_cndmask_b32_e64 v11, v11, 0, s[6:7]
	v_add_u32_e32 v10, v10, v11
	s_nop 1
	v_mov_b32_dpp v11, v10 row_bcast:31 row_mask:0xf bank_mask:0xf
	v_cndmask_b32_e64 v11, 0, v11, s[2:3]
	v_add_u32_e32 v10, v10, v11
	s_and_saveexec_b64 s[2:3], s[4:5]
	s_cbranch_execz .LBB2047_86
; %bb.85:
	v_lshlrev_b32_e32 v11, 2, v38
	ds_write_b32 v11, v10
.LBB2047_86:
	s_or_b64 exec, exec, s[2:3]
	v_cmp_gt_u32_e32 vcc, 4, v0
	s_waitcnt lgkmcnt(0)
	s_barrier
	s_and_saveexec_b64 s[2:3], vcc
	s_cbranch_execz .LBB2047_88
; %bb.87:
	v_mad_i32_i24 v11, v0, -6, v37
	ds_read_b32 v18, v11
	v_and_b32_e32 v19, 3, v36
	v_cmp_ne_u32_e32 vcc, 0, v19
	s_waitcnt lgkmcnt(0)
	v_mov_b32_dpp v20, v18 row_shr:1 row_mask:0xf bank_mask:0xf
	v_cndmask_b32_e32 v20, 0, v20, vcc
	v_add_u32_e32 v18, v20, v18
	v_cmp_lt_u32_e32 vcc, 1, v19
	s_nop 0
	v_mov_b32_dpp v20, v18 row_shr:2 row_mask:0xf bank_mask:0xf
	v_cndmask_b32_e32 v19, 0, v20, vcc
	v_add_u32_e32 v18, v18, v19
	ds_write_b32 v11, v18
.LBB2047_88:
	s_or_b64 exec, exec, s[2:3]
	v_cmp_lt_u32_e32 vcc, 63, v0
	v_mov_b32_e32 v11, 0
	v_mov_b32_e32 v18, 0
	s_waitcnt lgkmcnt(0)
	s_barrier
	s_and_saveexec_b64 s[2:3], vcc
	s_cbranch_execz .LBB2047_90
; %bb.89:
	v_lshl_add_u32 v18, v38, 2, -4
	ds_read_b32 v18, v18
.LBB2047_90:
	s_or_b64 exec, exec, s[2:3]
	v_add_u32_e32 v19, -1, v36
	v_and_b32_e32 v20, 64, v36
	v_cmp_lt_i32_e32 vcc, v19, v20
	v_cndmask_b32_e32 v19, v19, v36, vcc
	s_waitcnt lgkmcnt(0)
	v_add_u32_e32 v10, v18, v10
	v_lshlrev_b32_e32 v19, 2, v19
	ds_bpermute_b32 v19, v19, v10
	ds_read_b32 v10, v11 offset:12
	s_and_saveexec_b64 s[2:3], s[0:1]
	s_cbranch_execz .LBB2047_92
; %bb.91:
	v_mov_b32_e32 v20, 0
	v_mov_b32_e32 v11, 2
	s_waitcnt lgkmcnt(0)
	global_store_dwordx2 v20, v[10:11], s[34:35] offset:512
.LBB2047_92:
	s_or_b64 exec, exec, s[2:3]
	v_cmp_eq_u32_e32 vcc, 0, v36
	s_waitcnt lgkmcnt(1)
	v_cndmask_b32_e32 v18, v19, v18, vcc
	v_cndmask_b32_e64 v41, v18, 0, s[0:1]
	v_add_u32_sdwa v40, v41, v16 dst_sel:DWORD dst_unused:UNUSED_PAD src0_sel:DWORD src1_sel:BYTE_0
	v_add_u32_sdwa v25, v40, v16 dst_sel:DWORD dst_unused:UNUSED_PAD src0_sel:DWORD src1_sel:BYTE_1
	v_add_u32_e32 v24, v25, v35
	v_add_u32_e32 v23, v24, v30
	v_add_u32_e32 v22, v23, v32
	v_add_u32_e32 v21, v22, v33
	v_add_u32_e32 v20, v21, v34
	v_add_u32_e32 v19, v20, v29
	v_mov_b32_e32 v11, 0
	v_add_u32_e32 v18, v19, v31
	s_waitcnt lgkmcnt(0)
	s_barrier
.LBB2047_93:
	s_waitcnt lgkmcnt(0)
	v_add_u32_e32 v26, v10, v26
	v_sub_u32_e32 v33, v41, v11
	v_and_b32_e32 v35, 1, v16
	v_sub_u32_e32 v34, v26, v33
	v_cmp_eq_u32_e32 vcc, 1, v35
	v_cndmask_b32_e32 v33, v34, v33, vcc
	v_lshlrev_b32_e32 v33, 2, v33
	v_lshrrev_b32_e32 v32, 8, v16
	ds_write_b32 v33, v6
	v_sub_u32_e32 v6, v40, v11
	v_sub_u32_e32 v33, v26, v6
	v_and_b32_e32 v32, 1, v32
	v_add_u32_e32 v33, 1, v33
	v_cmp_eq_u32_e32 vcc, 1, v32
	v_cndmask_b32_e32 v6, v33, v6, vcc
	v_lshlrev_b32_e32 v6, 2, v6
	ds_write_b32 v6, v7
	v_sub_u32_e32 v6, v25, v11
	v_mov_b32_e32 v25, 1
	v_sub_u32_e32 v7, v26, v6
	v_and_b32_sdwa v16, v25, v16 dst_sel:DWORD dst_unused:UNUSED_PAD src0_sel:DWORD src1_sel:WORD_1
	v_add_u32_e32 v7, 2, v7
	v_cmp_eq_u32_e32 vcc, 1, v16
	v_cndmask_b32_e32 v6, v7, v6, vcc
	v_lshlrev_b32_e32 v6, 2, v6
	ds_write_b32 v6, v8
	v_sub_u32_e32 v6, v24, v11
	v_sub_u32_e32 v7, v26, v6
	v_and_b32_e32 v8, 1, v30
	v_add_u32_e32 v7, 3, v7
	v_cmp_eq_u32_e32 vcc, 1, v8
	v_cndmask_b32_e32 v6, v7, v6, vcc
	v_lshlrev_b32_e32 v6, 2, v6
	ds_write_b32 v6, v9
	v_sub_u32_e32 v6, v23, v11
	v_sub_u32_e32 v7, v26, v6
	v_and_b32_e32 v8, 1, v17
	v_add_u32_e32 v7, 4, v7
	v_cmp_eq_u32_e32 vcc, 1, v8
	v_cndmask_b32_e32 v6, v7, v6, vcc
	v_lshlrev_b32_e32 v6, 2, v6
	v_lshrrev_b32_e32 v31, 8, v17
	ds_write_b32 v6, v2
	v_sub_u32_e32 v2, v22, v11
	v_sub_u32_e32 v6, v26, v2
	v_and_b32_e32 v7, 1, v31
	v_add_u32_e32 v6, 5, v6
	v_cmp_eq_u32_e32 vcc, 1, v7
	v_cndmask_b32_e32 v2, v6, v2, vcc
	v_lshlrev_b32_e32 v2, 2, v2
	ds_write_b32 v2, v3
	v_sub_u32_e32 v2, v21, v11
	v_sub_u32_e32 v3, v26, v2
	v_and_b32_sdwa v6, v25, v17 dst_sel:DWORD dst_unused:UNUSED_PAD src0_sel:DWORD src1_sel:WORD_1
	v_add_u32_e32 v3, 6, v3
	v_cmp_eq_u32_e32 vcc, 1, v6
	v_cndmask_b32_e32 v2, v3, v2, vcc
	v_lshlrev_b32_e32 v2, 2, v2
	ds_write_b32 v2, v4
	v_sub_u32_e32 v2, v20, v11
	v_sub_u32_e32 v3, v26, v2
	v_and_b32_e32 v4, 1, v29
	v_add_u32_e32 v3, 7, v3
	v_cmp_eq_u32_e32 vcc, 1, v4
	v_cndmask_b32_e32 v2, v3, v2, vcc
	v_lshlrev_b32_e32 v2, 2, v2
	ds_write_b32 v2, v5
	v_sub_u32_e32 v2, v19, v11
	v_sub_u32_e32 v3, v26, v2
	v_and_b32_e32 v4, 1, v28
	;; [unrolled: 8-line block ×3, first 2 shown]
	v_add_u32_e32 v3, 9, v3
	v_cmp_eq_u32_e32 vcc, 1, v4
	v_cndmask_b32_e32 v2, v3, v2, vcc
	s_add_u32 s2, s18, s28
	v_lshlrev_b32_e32 v2, 2, v2
	s_addc_u32 s3, s19, 0
	ds_write_b32 v2, v15
	s_waitcnt lgkmcnt(0)
	s_barrier
	ds_read2st64_b32 v[14:15], v1 offset1:4
	ds_read2st64_b32 v[8:9], v1 offset0:8 offset1:12
	ds_read2st64_b32 v[6:7], v1 offset0:16 offset1:20
	;; [unrolled: 1-line block ×4, first 2 shown]
	s_waitcnt vmcnt(0)
	v_add_co_u32_e32 v1, vcc, v12, v11
	s_sub_u32 s2, s26, s2
	v_addc_co_u32_e32 v11, vcc, 0, v13, vcc
	s_subb_u32 s3, s27, s3
	v_mov_b32_e32 v12, s3
	v_add_co_u32_e32 v13, vcc, s2, v10
	v_addc_co_u32_e32 v12, vcc, 0, v12, vcc
	v_add_co_u32_e64 v17, s[2:3], v13, v1
	v_or_b32_e32 v26, 0x100, v0
	v_or_b32_e32 v25, 0x200, v0
	v_or_b32_e32 v24, 0x300, v0
	v_or_b32_e32 v23, 0x400, v0
	v_or_b32_e32 v22, 0x500, v0
	v_or_b32_e32 v21, 0x600, v0
	v_or_b32_e32 v20, 0x700, v0
	v_or_b32_e32 v19, 0x800, v0
	v_or_b32_e32 v16, 0x900, v0
	s_andn2_b64 vcc, exec, s[30:31]
	v_addc_co_u32_e64 v18, s[2:3], v12, v11, s[2:3]
	s_cbranch_vccnz .LBB2047_138
; %bb.94:
	v_cmp_ge_u32_e32 vcc, v0, v10
                                        ; implicit-def: $vgpr12_vgpr13
	s_and_saveexec_b64 s[2:3], vcc
	s_xor_b64 s[2:3], exec, s[2:3]
; %bb.95:
	v_not_b32_e32 v12, v0
	v_ashrrev_i32_e32 v13, 31, v12
	v_add_co_u32_e32 v12, vcc, v17, v12
	v_addc_co_u32_e32 v13, vcc, v18, v13, vcc
; %bb.96:
	s_andn2_saveexec_b64 s[2:3], s[2:3]
; %bb.97:
	v_add_co_u32_e32 v12, vcc, v1, v0
	v_addc_co_u32_e32 v13, vcc, 0, v11, vcc
; %bb.98:
	s_or_b64 exec, exec, s[2:3]
	v_lshlrev_b64 v[12:13], 2, v[12:13]
	v_mov_b32_e32 v27, s25
	v_add_co_u32_e32 v12, vcc, s24, v12
	v_addc_co_u32_e32 v13, vcc, v27, v13, vcc
	v_cmp_ge_u32_e32 vcc, v26, v10
	s_waitcnt lgkmcnt(4)
	global_store_dword v[12:13], v14, off
                                        ; implicit-def: $vgpr12_vgpr13
	s_and_saveexec_b64 s[2:3], vcc
	s_xor_b64 s[2:3], exec, s[2:3]
; %bb.99:
	v_xor_b32_e32 v12, 0xfffffeff, v0
	v_ashrrev_i32_e32 v13, 31, v12
	v_add_co_u32_e32 v12, vcc, v17, v12
	v_addc_co_u32_e32 v13, vcc, v18, v13, vcc
; %bb.100:
	s_andn2_saveexec_b64 s[2:3], s[2:3]
; %bb.101:
	v_add_co_u32_e32 v12, vcc, v1, v26
	v_addc_co_u32_e32 v13, vcc, 0, v11, vcc
; %bb.102:
	s_or_b64 exec, exec, s[2:3]
	v_lshlrev_b64 v[12:13], 2, v[12:13]
	v_mov_b32_e32 v27, s25
	v_add_co_u32_e32 v12, vcc, s24, v12
	v_addc_co_u32_e32 v13, vcc, v27, v13, vcc
	v_cmp_ge_u32_e32 vcc, v25, v10
	global_store_dword v[12:13], v15, off
                                        ; implicit-def: $vgpr12_vgpr13
	s_and_saveexec_b64 s[2:3], vcc
	s_xor_b64 s[2:3], exec, s[2:3]
; %bb.103:
	v_xor_b32_e32 v12, 0xfffffdff, v0
	v_ashrrev_i32_e32 v13, 31, v12
	v_add_co_u32_e32 v12, vcc, v17, v12
	v_addc_co_u32_e32 v13, vcc, v18, v13, vcc
; %bb.104:
	s_andn2_saveexec_b64 s[2:3], s[2:3]
; %bb.105:
	v_add_co_u32_e32 v12, vcc, v1, v25
	v_addc_co_u32_e32 v13, vcc, 0, v11, vcc
; %bb.106:
	s_or_b64 exec, exec, s[2:3]
	v_lshlrev_b64 v[12:13], 2, v[12:13]
	v_mov_b32_e32 v27, s25
	v_add_co_u32_e32 v12, vcc, s24, v12
	v_addc_co_u32_e32 v13, vcc, v27, v13, vcc
	v_cmp_ge_u32_e32 vcc, v24, v10
	s_waitcnt lgkmcnt(3)
	global_store_dword v[12:13], v8, off
                                        ; implicit-def: $vgpr12_vgpr13
	s_and_saveexec_b64 s[2:3], vcc
	s_xor_b64 s[2:3], exec, s[2:3]
; %bb.107:
	v_xor_b32_e32 v12, 0xfffffcff, v0
	v_ashrrev_i32_e32 v13, 31, v12
	v_add_co_u32_e32 v12, vcc, v17, v12
	v_addc_co_u32_e32 v13, vcc, v18, v13, vcc
; %bb.108:
	s_andn2_saveexec_b64 s[2:3], s[2:3]
; %bb.109:
	v_add_co_u32_e32 v12, vcc, v1, v24
	v_addc_co_u32_e32 v13, vcc, 0, v11, vcc
; %bb.110:
	s_or_b64 exec, exec, s[2:3]
	v_lshlrev_b64 v[12:13], 2, v[12:13]
	v_mov_b32_e32 v27, s25
	v_add_co_u32_e32 v12, vcc, s24, v12
	v_addc_co_u32_e32 v13, vcc, v27, v13, vcc
	v_cmp_ge_u32_e32 vcc, v23, v10
	global_store_dword v[12:13], v9, off
                                        ; implicit-def: $vgpr12_vgpr13
	s_and_saveexec_b64 s[2:3], vcc
	s_xor_b64 s[2:3], exec, s[2:3]
; %bb.111:
	v_xor_b32_e32 v12, 0xfffffbff, v0
	;; [unrolled: 43-line block ×4, first 2 shown]
	v_ashrrev_i32_e32 v13, 31, v12
	v_add_co_u32_e32 v12, vcc, v17, v12
	v_addc_co_u32_e32 v13, vcc, v18, v13, vcc
; %bb.128:
	s_andn2_saveexec_b64 s[2:3], s[2:3]
; %bb.129:
	v_add_co_u32_e32 v12, vcc, v1, v19
	v_addc_co_u32_e32 v13, vcc, 0, v11, vcc
; %bb.130:
	s_or_b64 exec, exec, s[2:3]
	v_lshlrev_b64 v[12:13], 2, v[12:13]
	v_mov_b32_e32 v27, s25
	v_add_co_u32_e32 v12, vcc, s24, v12
	v_addc_co_u32_e32 v13, vcc, v27, v13, vcc
	v_cmp_ge_u32_e32 vcc, v16, v10
	s_waitcnt lgkmcnt(0)
	global_store_dword v[12:13], v2, off
                                        ; implicit-def: $vgpr12_vgpr13
	s_and_saveexec_b64 s[2:3], vcc
	s_xor_b64 s[2:3], exec, s[2:3]
; %bb.131:
	v_xor_b32_e32 v12, 0xfffff6ff, v0
	v_ashrrev_i32_e32 v13, 31, v12
	v_add_co_u32_e32 v12, vcc, v17, v12
	v_addc_co_u32_e32 v13, vcc, v18, v13, vcc
; %bb.132:
	s_andn2_saveexec_b64 s[2:3], s[2:3]
; %bb.133:
	v_add_co_u32_e32 v12, vcc, v1, v16
	v_addc_co_u32_e32 v13, vcc, 0, v11, vcc
; %bb.134:
	s_or_b64 exec, exec, s[2:3]
	s_mov_b64 s[2:3], -1
.LBB2047_135:
	s_and_saveexec_b64 s[4:5], s[2:3]
	s_cbranch_execz .LBB2047_166
.LBB2047_136:
	s_waitcnt lgkmcnt(1)
	v_lshlrev_b64 v[4:5], 2, v[12:13]
	v_mov_b32_e32 v0, s25
	v_add_co_u32_e32 v4, vcc, s24, v4
	v_addc_co_u32_e32 v5, vcc, v0, v5, vcc
	s_waitcnt lgkmcnt(0)
	global_store_dword v[4:5], v3, off
	s_or_b64 exec, exec, s[4:5]
	s_and_b64 s[0:1], s[0:1], s[22:23]
	s_and_saveexec_b64 s[2:3], s[0:1]
	s_cbranch_execnz .LBB2047_167
.LBB2047_137:
	s_endpgm
.LBB2047_138:
	s_mov_b64 s[2:3], 0
                                        ; implicit-def: $vgpr12_vgpr13
	s_cbranch_execz .LBB2047_135
; %bb.139:
	v_cmp_gt_u32_e32 vcc, s33, v0
	s_and_saveexec_b64 s[4:5], vcc
	s_cbranch_execz .LBB2047_168
; %bb.140:
	v_cmp_ge_u32_e32 vcc, v0, v10
                                        ; implicit-def: $vgpr12_vgpr13
	s_and_saveexec_b64 s[6:7], vcc
	s_xor_b64 s[6:7], exec, s[6:7]
; %bb.141:
	v_not_b32_e32 v12, v0
	v_ashrrev_i32_e32 v13, 31, v12
	v_add_co_u32_e32 v12, vcc, v17, v12
	v_addc_co_u32_e32 v13, vcc, v18, v13, vcc
; %bb.142:
	s_andn2_saveexec_b64 s[6:7], s[6:7]
; %bb.143:
	v_add_co_u32_e32 v12, vcc, v1, v0
	v_addc_co_u32_e32 v13, vcc, 0, v11, vcc
; %bb.144:
	s_or_b64 exec, exec, s[6:7]
	v_lshlrev_b64 v[12:13], 2, v[12:13]
	v_mov_b32_e32 v27, s25
	v_add_co_u32_e32 v12, vcc, s24, v12
	v_addc_co_u32_e32 v13, vcc, v27, v13, vcc
	s_waitcnt lgkmcnt(4)
	global_store_dword v[12:13], v14, off
	s_or_b64 exec, exec, s[4:5]
	v_cmp_gt_u32_e32 vcc, s33, v26
	s_and_saveexec_b64 s[4:5], vcc
	s_cbranch_execnz .LBB2047_169
.LBB2047_145:
	s_or_b64 exec, exec, s[4:5]
	v_cmp_gt_u32_e32 vcc, s33, v25
	s_and_saveexec_b64 s[4:5], vcc
	s_cbranch_execz .LBB2047_174
.LBB2047_146:
	v_cmp_ge_u32_e32 vcc, v25, v10
                                        ; implicit-def: $vgpr12_vgpr13
	s_and_saveexec_b64 s[6:7], vcc
	s_xor_b64 s[6:7], exec, s[6:7]
; %bb.147:
	v_xor_b32_e32 v12, 0xfffffdff, v0
	v_ashrrev_i32_e32 v13, 31, v12
	v_add_co_u32_e32 v12, vcc, v17, v12
	v_addc_co_u32_e32 v13, vcc, v18, v13, vcc
                                        ; implicit-def: $vgpr25
; %bb.148:
	s_andn2_saveexec_b64 s[6:7], s[6:7]
; %bb.149:
	v_add_co_u32_e32 v12, vcc, v1, v25
	v_addc_co_u32_e32 v13, vcc, 0, v11, vcc
; %bb.150:
	s_or_b64 exec, exec, s[6:7]
	v_lshlrev_b64 v[12:13], 2, v[12:13]
	s_waitcnt lgkmcnt(4)
	v_mov_b32_e32 v14, s25
	v_add_co_u32_e32 v12, vcc, s24, v12
	v_addc_co_u32_e32 v13, vcc, v14, v13, vcc
	s_waitcnt lgkmcnt(3)
	global_store_dword v[12:13], v8, off
	s_or_b64 exec, exec, s[4:5]
	v_cmp_gt_u32_e32 vcc, s33, v24
	s_and_saveexec_b64 s[4:5], vcc
	s_cbranch_execnz .LBB2047_175
.LBB2047_151:
	s_or_b64 exec, exec, s[4:5]
	v_cmp_gt_u32_e32 vcc, s33, v23
	s_and_saveexec_b64 s[4:5], vcc
	s_cbranch_execz .LBB2047_180
.LBB2047_152:
	v_cmp_ge_u32_e32 vcc, v23, v10
                                        ; implicit-def: $vgpr8_vgpr9
	s_and_saveexec_b64 s[6:7], vcc
	s_xor_b64 s[6:7], exec, s[6:7]
	s_cbranch_execz .LBB2047_154
; %bb.153:
	s_waitcnt lgkmcnt(3)
	v_xor_b32_e32 v8, 0xfffffbff, v0
	v_ashrrev_i32_e32 v9, 31, v8
	v_add_co_u32_e32 v8, vcc, v17, v8
	v_addc_co_u32_e32 v9, vcc, v18, v9, vcc
                                        ; implicit-def: $vgpr23
.LBB2047_154:
	s_andn2_saveexec_b64 s[6:7], s[6:7]
	s_cbranch_execz .LBB2047_156
; %bb.155:
	s_waitcnt lgkmcnt(3)
	v_add_co_u32_e32 v8, vcc, v1, v23
	v_addc_co_u32_e32 v9, vcc, 0, v11, vcc
.LBB2047_156:
	s_or_b64 exec, exec, s[6:7]
	s_waitcnt lgkmcnt(3)
	v_lshlrev_b64 v[8:9], 2, v[8:9]
	v_mov_b32_e32 v12, s25
	v_add_co_u32_e32 v8, vcc, s24, v8
	v_addc_co_u32_e32 v9, vcc, v12, v9, vcc
	s_waitcnt lgkmcnt(2)
	global_store_dword v[8:9], v6, off
	s_or_b64 exec, exec, s[4:5]
	v_cmp_gt_u32_e32 vcc, s33, v22
	s_and_saveexec_b64 s[4:5], vcc
	s_cbranch_execnz .LBB2047_181
.LBB2047_157:
	s_or_b64 exec, exec, s[4:5]
	v_cmp_gt_u32_e32 vcc, s33, v21
	s_and_saveexec_b64 s[4:5], vcc
	s_cbranch_execz .LBB2047_186
.LBB2047_158:
	v_cmp_ge_u32_e32 vcc, v21, v10
                                        ; implicit-def: $vgpr6_vgpr7
	s_and_saveexec_b64 s[6:7], vcc
	s_xor_b64 s[6:7], exec, s[6:7]
	s_cbranch_execz .LBB2047_160
; %bb.159:
	s_waitcnt lgkmcnt(2)
	v_xor_b32_e32 v6, 0xfffff9ff, v0
	v_ashrrev_i32_e32 v7, 31, v6
	v_add_co_u32_e32 v6, vcc, v17, v6
	v_addc_co_u32_e32 v7, vcc, v18, v7, vcc
                                        ; implicit-def: $vgpr21
.LBB2047_160:
	s_andn2_saveexec_b64 s[6:7], s[6:7]
	s_cbranch_execz .LBB2047_162
; %bb.161:
	s_waitcnt lgkmcnt(2)
	v_add_co_u32_e32 v6, vcc, v1, v21
	v_addc_co_u32_e32 v7, vcc, 0, v11, vcc
.LBB2047_162:
	s_or_b64 exec, exec, s[6:7]
	s_waitcnt lgkmcnt(2)
	v_lshlrev_b64 v[6:7], 2, v[6:7]
	v_mov_b32_e32 v8, s25
	v_add_co_u32_e32 v6, vcc, s24, v6
	v_addc_co_u32_e32 v7, vcc, v8, v7, vcc
	s_waitcnt lgkmcnt(1)
	global_store_dword v[6:7], v4, off
	s_or_b64 exec, exec, s[4:5]
	v_cmp_gt_u32_e32 vcc, s33, v20
	s_and_saveexec_b64 s[4:5], vcc
	s_cbranch_execnz .LBB2047_187
.LBB2047_163:
	s_or_b64 exec, exec, s[4:5]
	v_cmp_gt_u32_e32 vcc, s33, v19
	s_and_saveexec_b64 s[4:5], vcc
	s_cbranch_execnz .LBB2047_192
.LBB2047_164:
	s_or_b64 exec, exec, s[4:5]
	v_cmp_gt_u32_e32 vcc, s33, v16
                                        ; implicit-def: $vgpr12_vgpr13
	s_and_saveexec_b64 s[4:5], vcc
	s_cbranch_execnz .LBB2047_197
.LBB2047_165:
	s_or_b64 exec, exec, s[4:5]
	s_and_saveexec_b64 s[4:5], s[2:3]
	s_cbranch_execnz .LBB2047_136
.LBB2047_166:
	s_or_b64 exec, exec, s[4:5]
	s_and_b64 s[0:1], s[0:1], s[22:23]
	s_and_saveexec_b64 s[2:3], s[0:1]
	s_cbranch_execz .LBB2047_137
.LBB2047_167:
	v_add_co_u32_e32 v0, vcc, v1, v10
	s_waitcnt lgkmcnt(0)
	v_mov_b32_e32 v2, 0
	v_addc_co_u32_e32 v1, vcc, 0, v11, vcc
	global_store_dwordx2 v2, v[0:1], s[20:21]
	s_endpgm
.LBB2047_168:
	s_or_b64 exec, exec, s[4:5]
	v_cmp_gt_u32_e32 vcc, s33, v26
	s_and_saveexec_b64 s[4:5], vcc
	s_cbranch_execz .LBB2047_145
.LBB2047_169:
	v_cmp_ge_u32_e32 vcc, v26, v10
                                        ; implicit-def: $vgpr12_vgpr13
	s_and_saveexec_b64 s[6:7], vcc
	s_xor_b64 s[6:7], exec, s[6:7]
; %bb.170:
	v_xor_b32_e32 v12, 0xfffffeff, v0
	v_ashrrev_i32_e32 v13, 31, v12
	v_add_co_u32_e32 v12, vcc, v17, v12
	v_addc_co_u32_e32 v13, vcc, v18, v13, vcc
                                        ; implicit-def: $vgpr26
; %bb.171:
	s_andn2_saveexec_b64 s[6:7], s[6:7]
; %bb.172:
	v_add_co_u32_e32 v12, vcc, v1, v26
	v_addc_co_u32_e32 v13, vcc, 0, v11, vcc
; %bb.173:
	s_or_b64 exec, exec, s[6:7]
	v_lshlrev_b64 v[12:13], 2, v[12:13]
	s_waitcnt lgkmcnt(4)
	v_mov_b32_e32 v14, s25
	v_add_co_u32_e32 v12, vcc, s24, v12
	v_addc_co_u32_e32 v13, vcc, v14, v13, vcc
	global_store_dword v[12:13], v15, off
	s_or_b64 exec, exec, s[4:5]
	v_cmp_gt_u32_e32 vcc, s33, v25
	s_and_saveexec_b64 s[4:5], vcc
	s_cbranch_execnz .LBB2047_146
.LBB2047_174:
	s_or_b64 exec, exec, s[4:5]
	v_cmp_gt_u32_e32 vcc, s33, v24
	s_and_saveexec_b64 s[4:5], vcc
	s_cbranch_execz .LBB2047_151
.LBB2047_175:
	v_cmp_ge_u32_e32 vcc, v24, v10
                                        ; implicit-def: $vgpr12_vgpr13
	s_and_saveexec_b64 s[6:7], vcc
	s_xor_b64 s[6:7], exec, s[6:7]
	s_cbranch_execz .LBB2047_177
; %bb.176:
	s_waitcnt lgkmcnt(3)
	v_xor_b32_e32 v8, 0xfffffcff, v0
	v_ashrrev_i32_e32 v13, 31, v8
	v_add_co_u32_e32 v12, vcc, v17, v8
	v_addc_co_u32_e32 v13, vcc, v18, v13, vcc
                                        ; implicit-def: $vgpr24
.LBB2047_177:
	s_andn2_saveexec_b64 s[6:7], s[6:7]
; %bb.178:
	v_add_co_u32_e32 v12, vcc, v1, v24
	v_addc_co_u32_e32 v13, vcc, 0, v11, vcc
; %bb.179:
	s_or_b64 exec, exec, s[6:7]
	v_lshlrev_b64 v[12:13], 2, v[12:13]
	s_waitcnt lgkmcnt(3)
	v_mov_b32_e32 v8, s25
	v_add_co_u32_e32 v12, vcc, s24, v12
	v_addc_co_u32_e32 v13, vcc, v8, v13, vcc
	global_store_dword v[12:13], v9, off
	s_or_b64 exec, exec, s[4:5]
	v_cmp_gt_u32_e32 vcc, s33, v23
	s_and_saveexec_b64 s[4:5], vcc
	s_cbranch_execnz .LBB2047_152
.LBB2047_180:
	s_or_b64 exec, exec, s[4:5]
	v_cmp_gt_u32_e32 vcc, s33, v22
	s_and_saveexec_b64 s[4:5], vcc
	s_cbranch_execz .LBB2047_157
.LBB2047_181:
	v_cmp_ge_u32_e32 vcc, v22, v10
                                        ; implicit-def: $vgpr8_vgpr9
	s_and_saveexec_b64 s[6:7], vcc
	s_xor_b64 s[6:7], exec, s[6:7]
	s_cbranch_execz .LBB2047_183
; %bb.182:
	s_waitcnt lgkmcnt(2)
	v_xor_b32_e32 v6, 0xfffffaff, v0
	v_ashrrev_i32_e32 v9, 31, v6
	v_add_co_u32_e32 v8, vcc, v17, v6
	v_addc_co_u32_e32 v9, vcc, v18, v9, vcc
                                        ; implicit-def: $vgpr22
.LBB2047_183:
	s_andn2_saveexec_b64 s[6:7], s[6:7]
	s_cbranch_execz .LBB2047_185
; %bb.184:
	s_waitcnt lgkmcnt(3)
	v_add_co_u32_e32 v8, vcc, v1, v22
	v_addc_co_u32_e32 v9, vcc, 0, v11, vcc
.LBB2047_185:
	s_or_b64 exec, exec, s[6:7]
	s_waitcnt lgkmcnt(3)
	v_lshlrev_b64 v[8:9], 2, v[8:9]
	s_waitcnt lgkmcnt(2)
	v_mov_b32_e32 v6, s25
	v_add_co_u32_e32 v8, vcc, s24, v8
	v_addc_co_u32_e32 v9, vcc, v6, v9, vcc
	global_store_dword v[8:9], v7, off
	s_or_b64 exec, exec, s[4:5]
	v_cmp_gt_u32_e32 vcc, s33, v21
	s_and_saveexec_b64 s[4:5], vcc
	s_cbranch_execnz .LBB2047_158
.LBB2047_186:
	s_or_b64 exec, exec, s[4:5]
	v_cmp_gt_u32_e32 vcc, s33, v20
	s_and_saveexec_b64 s[4:5], vcc
	s_cbranch_execz .LBB2047_163
.LBB2047_187:
	v_cmp_ge_u32_e32 vcc, v20, v10
                                        ; implicit-def: $vgpr6_vgpr7
	s_and_saveexec_b64 s[6:7], vcc
	s_xor_b64 s[6:7], exec, s[6:7]
	s_cbranch_execz .LBB2047_189
; %bb.188:
	s_waitcnt lgkmcnt(1)
	v_xor_b32_e32 v4, 0xfffff8ff, v0
	v_ashrrev_i32_e32 v7, 31, v4
	v_add_co_u32_e32 v6, vcc, v17, v4
	v_addc_co_u32_e32 v7, vcc, v18, v7, vcc
                                        ; implicit-def: $vgpr20
.LBB2047_189:
	s_andn2_saveexec_b64 s[6:7], s[6:7]
	s_cbranch_execz .LBB2047_191
; %bb.190:
	s_waitcnt lgkmcnt(2)
	v_add_co_u32_e32 v6, vcc, v1, v20
	v_addc_co_u32_e32 v7, vcc, 0, v11, vcc
.LBB2047_191:
	s_or_b64 exec, exec, s[6:7]
	s_waitcnt lgkmcnt(2)
	v_lshlrev_b64 v[6:7], 2, v[6:7]
	s_waitcnt lgkmcnt(1)
	v_mov_b32_e32 v4, s25
	v_add_co_u32_e32 v6, vcc, s24, v6
	v_addc_co_u32_e32 v7, vcc, v4, v7, vcc
	global_store_dword v[6:7], v5, off
	s_or_b64 exec, exec, s[4:5]
	v_cmp_gt_u32_e32 vcc, s33, v19
	s_and_saveexec_b64 s[4:5], vcc
	s_cbranch_execz .LBB2047_164
.LBB2047_192:
	v_cmp_ge_u32_e32 vcc, v19, v10
                                        ; implicit-def: $vgpr4_vgpr5
	s_and_saveexec_b64 s[6:7], vcc
	s_xor_b64 s[6:7], exec, s[6:7]
	s_cbranch_execz .LBB2047_194
; %bb.193:
	s_waitcnt lgkmcnt(1)
	v_xor_b32_e32 v4, 0xfffff7ff, v0
	v_ashrrev_i32_e32 v5, 31, v4
	v_add_co_u32_e32 v4, vcc, v17, v4
	v_addc_co_u32_e32 v5, vcc, v18, v5, vcc
                                        ; implicit-def: $vgpr19
.LBB2047_194:
	s_andn2_saveexec_b64 s[6:7], s[6:7]
	s_cbranch_execz .LBB2047_196
; %bb.195:
	s_waitcnt lgkmcnt(1)
	v_add_co_u32_e32 v4, vcc, v1, v19
	v_addc_co_u32_e32 v5, vcc, 0, v11, vcc
.LBB2047_196:
	s_or_b64 exec, exec, s[6:7]
	s_waitcnt lgkmcnt(1)
	v_lshlrev_b64 v[4:5], 2, v[4:5]
	v_mov_b32_e32 v6, s25
	v_add_co_u32_e32 v4, vcc, s24, v4
	v_addc_co_u32_e32 v5, vcc, v6, v5, vcc
	s_waitcnt lgkmcnt(0)
	global_store_dword v[4:5], v2, off
	s_or_b64 exec, exec, s[4:5]
	v_cmp_gt_u32_e32 vcc, s33, v16
                                        ; implicit-def: $vgpr12_vgpr13
	s_and_saveexec_b64 s[4:5], vcc
	s_cbranch_execz .LBB2047_165
.LBB2047_197:
	v_cmp_ge_u32_e32 vcc, v16, v10
                                        ; implicit-def: $vgpr12_vgpr13
	s_and_saveexec_b64 s[6:7], vcc
	s_xor_b64 s[6:7], exec, s[6:7]
	s_cbranch_execz .LBB2047_199
; %bb.198:
	v_xor_b32_e32 v0, 0xfffff6ff, v0
	s_waitcnt lgkmcnt(0)
	v_ashrrev_i32_e32 v2, 31, v0
	v_add_co_u32_e32 v12, vcc, v17, v0
	v_addc_co_u32_e32 v13, vcc, v18, v2, vcc
                                        ; implicit-def: $vgpr16
.LBB2047_199:
	s_andn2_saveexec_b64 s[6:7], s[6:7]
; %bb.200:
	v_add_co_u32_e32 v12, vcc, v1, v16
	v_addc_co_u32_e32 v13, vcc, 0, v11, vcc
; %bb.201:
	s_or_b64 exec, exec, s[6:7]
	s_or_b64 s[2:3], s[2:3], exec
	s_or_b64 exec, exec, s[4:5]
	s_and_saveexec_b64 s[4:5], s[2:3]
	s_cbranch_execnz .LBB2047_136
	s_branch .LBB2047_166
	.section	.rodata,"a",@progbits
	.p2align	6, 0x0
	.amdhsa_kernel _ZN7rocprim17ROCPRIM_400000_NS6detail17trampoline_kernelINS0_14default_configENS1_25partition_config_selectorILNS1_17partition_subalgoE2EjNS0_10empty_typeEbEEZZNS1_14partition_implILS5_2ELb0ES3_jN6thrust23THRUST_200600_302600_NS6detail15normal_iteratorINSA_7pointerIjNSA_11hip_rocprim3tagENSA_11use_defaultESG_EEEEPS6_NSA_18transform_iteratorI7is_evenIjENSC_INSA_10device_ptrIjEEEESG_SG_EENS0_5tupleIJPjSJ_EEENSR_IJSJ_SJ_EEES6_PlJS6_EEE10hipError_tPvRmT3_T4_T5_T6_T7_T9_mT8_P12ihipStream_tbDpT10_ENKUlT_T0_E_clISt17integral_constantIbLb1EES1F_EEDaS1A_S1B_EUlS1A_E_NS1_11comp_targetILNS1_3genE4ELNS1_11target_archE910ELNS1_3gpuE8ELNS1_3repE0EEENS1_30default_config_static_selectorELNS0_4arch9wavefront6targetE1EEEvT1_
		.amdhsa_group_segment_fixed_size 10248
		.amdhsa_private_segment_fixed_size 0
		.amdhsa_kernarg_size 144
		.amdhsa_user_sgpr_count 6
		.amdhsa_user_sgpr_private_segment_buffer 1
		.amdhsa_user_sgpr_dispatch_ptr 0
		.amdhsa_user_sgpr_queue_ptr 0
		.amdhsa_user_sgpr_kernarg_segment_ptr 1
		.amdhsa_user_sgpr_dispatch_id 0
		.amdhsa_user_sgpr_flat_scratch_init 0
		.amdhsa_user_sgpr_kernarg_preload_length 0
		.amdhsa_user_sgpr_kernarg_preload_offset 0
		.amdhsa_user_sgpr_private_segment_size 0
		.amdhsa_uses_dynamic_stack 0
		.amdhsa_system_sgpr_private_segment_wavefront_offset 0
		.amdhsa_system_sgpr_workgroup_id_x 1
		.amdhsa_system_sgpr_workgroup_id_y 0
		.amdhsa_system_sgpr_workgroup_id_z 0
		.amdhsa_system_sgpr_workgroup_info 0
		.amdhsa_system_vgpr_workitem_id 0
		.amdhsa_next_free_vgpr 56
		.amdhsa_next_free_sgpr 46
		.amdhsa_accum_offset 56
		.amdhsa_reserve_vcc 1
		.amdhsa_reserve_flat_scratch 0
		.amdhsa_float_round_mode_32 0
		.amdhsa_float_round_mode_16_64 0
		.amdhsa_float_denorm_mode_32 3
		.amdhsa_float_denorm_mode_16_64 3
		.amdhsa_dx10_clamp 1
		.amdhsa_ieee_mode 1
		.amdhsa_fp16_overflow 0
		.amdhsa_tg_split 0
		.amdhsa_exception_fp_ieee_invalid_op 0
		.amdhsa_exception_fp_denorm_src 0
		.amdhsa_exception_fp_ieee_div_zero 0
		.amdhsa_exception_fp_ieee_overflow 0
		.amdhsa_exception_fp_ieee_underflow 0
		.amdhsa_exception_fp_ieee_inexact 0
		.amdhsa_exception_int_div_zero 0
	.end_amdhsa_kernel
	.section	.text._ZN7rocprim17ROCPRIM_400000_NS6detail17trampoline_kernelINS0_14default_configENS1_25partition_config_selectorILNS1_17partition_subalgoE2EjNS0_10empty_typeEbEEZZNS1_14partition_implILS5_2ELb0ES3_jN6thrust23THRUST_200600_302600_NS6detail15normal_iteratorINSA_7pointerIjNSA_11hip_rocprim3tagENSA_11use_defaultESG_EEEEPS6_NSA_18transform_iteratorI7is_evenIjENSC_INSA_10device_ptrIjEEEESG_SG_EENS0_5tupleIJPjSJ_EEENSR_IJSJ_SJ_EEES6_PlJS6_EEE10hipError_tPvRmT3_T4_T5_T6_T7_T9_mT8_P12ihipStream_tbDpT10_ENKUlT_T0_E_clISt17integral_constantIbLb1EES1F_EEDaS1A_S1B_EUlS1A_E_NS1_11comp_targetILNS1_3genE4ELNS1_11target_archE910ELNS1_3gpuE8ELNS1_3repE0EEENS1_30default_config_static_selectorELNS0_4arch9wavefront6targetE1EEEvT1_,"axG",@progbits,_ZN7rocprim17ROCPRIM_400000_NS6detail17trampoline_kernelINS0_14default_configENS1_25partition_config_selectorILNS1_17partition_subalgoE2EjNS0_10empty_typeEbEEZZNS1_14partition_implILS5_2ELb0ES3_jN6thrust23THRUST_200600_302600_NS6detail15normal_iteratorINSA_7pointerIjNSA_11hip_rocprim3tagENSA_11use_defaultESG_EEEEPS6_NSA_18transform_iteratorI7is_evenIjENSC_INSA_10device_ptrIjEEEESG_SG_EENS0_5tupleIJPjSJ_EEENSR_IJSJ_SJ_EEES6_PlJS6_EEE10hipError_tPvRmT3_T4_T5_T6_T7_T9_mT8_P12ihipStream_tbDpT10_ENKUlT_T0_E_clISt17integral_constantIbLb1EES1F_EEDaS1A_S1B_EUlS1A_E_NS1_11comp_targetILNS1_3genE4ELNS1_11target_archE910ELNS1_3gpuE8ELNS1_3repE0EEENS1_30default_config_static_selectorELNS0_4arch9wavefront6targetE1EEEvT1_,comdat
.Lfunc_end2047:
	.size	_ZN7rocprim17ROCPRIM_400000_NS6detail17trampoline_kernelINS0_14default_configENS1_25partition_config_selectorILNS1_17partition_subalgoE2EjNS0_10empty_typeEbEEZZNS1_14partition_implILS5_2ELb0ES3_jN6thrust23THRUST_200600_302600_NS6detail15normal_iteratorINSA_7pointerIjNSA_11hip_rocprim3tagENSA_11use_defaultESG_EEEEPS6_NSA_18transform_iteratorI7is_evenIjENSC_INSA_10device_ptrIjEEEESG_SG_EENS0_5tupleIJPjSJ_EEENSR_IJSJ_SJ_EEES6_PlJS6_EEE10hipError_tPvRmT3_T4_T5_T6_T7_T9_mT8_P12ihipStream_tbDpT10_ENKUlT_T0_E_clISt17integral_constantIbLb1EES1F_EEDaS1A_S1B_EUlS1A_E_NS1_11comp_targetILNS1_3genE4ELNS1_11target_archE910ELNS1_3gpuE8ELNS1_3repE0EEENS1_30default_config_static_selectorELNS0_4arch9wavefront6targetE1EEEvT1_, .Lfunc_end2047-_ZN7rocprim17ROCPRIM_400000_NS6detail17trampoline_kernelINS0_14default_configENS1_25partition_config_selectorILNS1_17partition_subalgoE2EjNS0_10empty_typeEbEEZZNS1_14partition_implILS5_2ELb0ES3_jN6thrust23THRUST_200600_302600_NS6detail15normal_iteratorINSA_7pointerIjNSA_11hip_rocprim3tagENSA_11use_defaultESG_EEEEPS6_NSA_18transform_iteratorI7is_evenIjENSC_INSA_10device_ptrIjEEEESG_SG_EENS0_5tupleIJPjSJ_EEENSR_IJSJ_SJ_EEES6_PlJS6_EEE10hipError_tPvRmT3_T4_T5_T6_T7_T9_mT8_P12ihipStream_tbDpT10_ENKUlT_T0_E_clISt17integral_constantIbLb1EES1F_EEDaS1A_S1B_EUlS1A_E_NS1_11comp_targetILNS1_3genE4ELNS1_11target_archE910ELNS1_3gpuE8ELNS1_3repE0EEENS1_30default_config_static_selectorELNS0_4arch9wavefront6targetE1EEEvT1_
                                        ; -- End function
	.section	.AMDGPU.csdata,"",@progbits
; Kernel info:
; codeLenInByte = 6828
; NumSgprs: 50
; NumVgprs: 56
; NumAgprs: 0
; TotalNumVgprs: 56
; ScratchSize: 0
; MemoryBound: 0
; FloatMode: 240
; IeeeMode: 1
; LDSByteSize: 10248 bytes/workgroup (compile time only)
; SGPRBlocks: 6
; VGPRBlocks: 6
; NumSGPRsForWavesPerEU: 50
; NumVGPRsForWavesPerEU: 56
; AccumOffset: 56
; Occupancy: 6
; WaveLimiterHint : 1
; COMPUTE_PGM_RSRC2:SCRATCH_EN: 0
; COMPUTE_PGM_RSRC2:USER_SGPR: 6
; COMPUTE_PGM_RSRC2:TRAP_HANDLER: 0
; COMPUTE_PGM_RSRC2:TGID_X_EN: 1
; COMPUTE_PGM_RSRC2:TGID_Y_EN: 0
; COMPUTE_PGM_RSRC2:TGID_Z_EN: 0
; COMPUTE_PGM_RSRC2:TIDIG_COMP_CNT: 0
; COMPUTE_PGM_RSRC3_GFX90A:ACCUM_OFFSET: 13
; COMPUTE_PGM_RSRC3_GFX90A:TG_SPLIT: 0
	.section	.text._ZN7rocprim17ROCPRIM_400000_NS6detail17trampoline_kernelINS0_14default_configENS1_25partition_config_selectorILNS1_17partition_subalgoE2EjNS0_10empty_typeEbEEZZNS1_14partition_implILS5_2ELb0ES3_jN6thrust23THRUST_200600_302600_NS6detail15normal_iteratorINSA_7pointerIjNSA_11hip_rocprim3tagENSA_11use_defaultESG_EEEEPS6_NSA_18transform_iteratorI7is_evenIjENSC_INSA_10device_ptrIjEEEESG_SG_EENS0_5tupleIJPjSJ_EEENSR_IJSJ_SJ_EEES6_PlJS6_EEE10hipError_tPvRmT3_T4_T5_T6_T7_T9_mT8_P12ihipStream_tbDpT10_ENKUlT_T0_E_clISt17integral_constantIbLb1EES1F_EEDaS1A_S1B_EUlS1A_E_NS1_11comp_targetILNS1_3genE3ELNS1_11target_archE908ELNS1_3gpuE7ELNS1_3repE0EEENS1_30default_config_static_selectorELNS0_4arch9wavefront6targetE1EEEvT1_,"axG",@progbits,_ZN7rocprim17ROCPRIM_400000_NS6detail17trampoline_kernelINS0_14default_configENS1_25partition_config_selectorILNS1_17partition_subalgoE2EjNS0_10empty_typeEbEEZZNS1_14partition_implILS5_2ELb0ES3_jN6thrust23THRUST_200600_302600_NS6detail15normal_iteratorINSA_7pointerIjNSA_11hip_rocprim3tagENSA_11use_defaultESG_EEEEPS6_NSA_18transform_iteratorI7is_evenIjENSC_INSA_10device_ptrIjEEEESG_SG_EENS0_5tupleIJPjSJ_EEENSR_IJSJ_SJ_EEES6_PlJS6_EEE10hipError_tPvRmT3_T4_T5_T6_T7_T9_mT8_P12ihipStream_tbDpT10_ENKUlT_T0_E_clISt17integral_constantIbLb1EES1F_EEDaS1A_S1B_EUlS1A_E_NS1_11comp_targetILNS1_3genE3ELNS1_11target_archE908ELNS1_3gpuE7ELNS1_3repE0EEENS1_30default_config_static_selectorELNS0_4arch9wavefront6targetE1EEEvT1_,comdat
	.protected	_ZN7rocprim17ROCPRIM_400000_NS6detail17trampoline_kernelINS0_14default_configENS1_25partition_config_selectorILNS1_17partition_subalgoE2EjNS0_10empty_typeEbEEZZNS1_14partition_implILS5_2ELb0ES3_jN6thrust23THRUST_200600_302600_NS6detail15normal_iteratorINSA_7pointerIjNSA_11hip_rocprim3tagENSA_11use_defaultESG_EEEEPS6_NSA_18transform_iteratorI7is_evenIjENSC_INSA_10device_ptrIjEEEESG_SG_EENS0_5tupleIJPjSJ_EEENSR_IJSJ_SJ_EEES6_PlJS6_EEE10hipError_tPvRmT3_T4_T5_T6_T7_T9_mT8_P12ihipStream_tbDpT10_ENKUlT_T0_E_clISt17integral_constantIbLb1EES1F_EEDaS1A_S1B_EUlS1A_E_NS1_11comp_targetILNS1_3genE3ELNS1_11target_archE908ELNS1_3gpuE7ELNS1_3repE0EEENS1_30default_config_static_selectorELNS0_4arch9wavefront6targetE1EEEvT1_ ; -- Begin function _ZN7rocprim17ROCPRIM_400000_NS6detail17trampoline_kernelINS0_14default_configENS1_25partition_config_selectorILNS1_17partition_subalgoE2EjNS0_10empty_typeEbEEZZNS1_14partition_implILS5_2ELb0ES3_jN6thrust23THRUST_200600_302600_NS6detail15normal_iteratorINSA_7pointerIjNSA_11hip_rocprim3tagENSA_11use_defaultESG_EEEEPS6_NSA_18transform_iteratorI7is_evenIjENSC_INSA_10device_ptrIjEEEESG_SG_EENS0_5tupleIJPjSJ_EEENSR_IJSJ_SJ_EEES6_PlJS6_EEE10hipError_tPvRmT3_T4_T5_T6_T7_T9_mT8_P12ihipStream_tbDpT10_ENKUlT_T0_E_clISt17integral_constantIbLb1EES1F_EEDaS1A_S1B_EUlS1A_E_NS1_11comp_targetILNS1_3genE3ELNS1_11target_archE908ELNS1_3gpuE7ELNS1_3repE0EEENS1_30default_config_static_selectorELNS0_4arch9wavefront6targetE1EEEvT1_
	.globl	_ZN7rocprim17ROCPRIM_400000_NS6detail17trampoline_kernelINS0_14default_configENS1_25partition_config_selectorILNS1_17partition_subalgoE2EjNS0_10empty_typeEbEEZZNS1_14partition_implILS5_2ELb0ES3_jN6thrust23THRUST_200600_302600_NS6detail15normal_iteratorINSA_7pointerIjNSA_11hip_rocprim3tagENSA_11use_defaultESG_EEEEPS6_NSA_18transform_iteratorI7is_evenIjENSC_INSA_10device_ptrIjEEEESG_SG_EENS0_5tupleIJPjSJ_EEENSR_IJSJ_SJ_EEES6_PlJS6_EEE10hipError_tPvRmT3_T4_T5_T6_T7_T9_mT8_P12ihipStream_tbDpT10_ENKUlT_T0_E_clISt17integral_constantIbLb1EES1F_EEDaS1A_S1B_EUlS1A_E_NS1_11comp_targetILNS1_3genE3ELNS1_11target_archE908ELNS1_3gpuE7ELNS1_3repE0EEENS1_30default_config_static_selectorELNS0_4arch9wavefront6targetE1EEEvT1_
	.p2align	8
	.type	_ZN7rocprim17ROCPRIM_400000_NS6detail17trampoline_kernelINS0_14default_configENS1_25partition_config_selectorILNS1_17partition_subalgoE2EjNS0_10empty_typeEbEEZZNS1_14partition_implILS5_2ELb0ES3_jN6thrust23THRUST_200600_302600_NS6detail15normal_iteratorINSA_7pointerIjNSA_11hip_rocprim3tagENSA_11use_defaultESG_EEEEPS6_NSA_18transform_iteratorI7is_evenIjENSC_INSA_10device_ptrIjEEEESG_SG_EENS0_5tupleIJPjSJ_EEENSR_IJSJ_SJ_EEES6_PlJS6_EEE10hipError_tPvRmT3_T4_T5_T6_T7_T9_mT8_P12ihipStream_tbDpT10_ENKUlT_T0_E_clISt17integral_constantIbLb1EES1F_EEDaS1A_S1B_EUlS1A_E_NS1_11comp_targetILNS1_3genE3ELNS1_11target_archE908ELNS1_3gpuE7ELNS1_3repE0EEENS1_30default_config_static_selectorELNS0_4arch9wavefront6targetE1EEEvT1_,@function
_ZN7rocprim17ROCPRIM_400000_NS6detail17trampoline_kernelINS0_14default_configENS1_25partition_config_selectorILNS1_17partition_subalgoE2EjNS0_10empty_typeEbEEZZNS1_14partition_implILS5_2ELb0ES3_jN6thrust23THRUST_200600_302600_NS6detail15normal_iteratorINSA_7pointerIjNSA_11hip_rocprim3tagENSA_11use_defaultESG_EEEEPS6_NSA_18transform_iteratorI7is_evenIjENSC_INSA_10device_ptrIjEEEESG_SG_EENS0_5tupleIJPjSJ_EEENSR_IJSJ_SJ_EEES6_PlJS6_EEE10hipError_tPvRmT3_T4_T5_T6_T7_T9_mT8_P12ihipStream_tbDpT10_ENKUlT_T0_E_clISt17integral_constantIbLb1EES1F_EEDaS1A_S1B_EUlS1A_E_NS1_11comp_targetILNS1_3genE3ELNS1_11target_archE908ELNS1_3gpuE7ELNS1_3repE0EEENS1_30default_config_static_selectorELNS0_4arch9wavefront6targetE1EEEvT1_: ; @_ZN7rocprim17ROCPRIM_400000_NS6detail17trampoline_kernelINS0_14default_configENS1_25partition_config_selectorILNS1_17partition_subalgoE2EjNS0_10empty_typeEbEEZZNS1_14partition_implILS5_2ELb0ES3_jN6thrust23THRUST_200600_302600_NS6detail15normal_iteratorINSA_7pointerIjNSA_11hip_rocprim3tagENSA_11use_defaultESG_EEEEPS6_NSA_18transform_iteratorI7is_evenIjENSC_INSA_10device_ptrIjEEEESG_SG_EENS0_5tupleIJPjSJ_EEENSR_IJSJ_SJ_EEES6_PlJS6_EEE10hipError_tPvRmT3_T4_T5_T6_T7_T9_mT8_P12ihipStream_tbDpT10_ENKUlT_T0_E_clISt17integral_constantIbLb1EES1F_EEDaS1A_S1B_EUlS1A_E_NS1_11comp_targetILNS1_3genE3ELNS1_11target_archE908ELNS1_3gpuE7ELNS1_3repE0EEENS1_30default_config_static_selectorELNS0_4arch9wavefront6targetE1EEEvT1_
; %bb.0:
	.section	.rodata,"a",@progbits
	.p2align	6, 0x0
	.amdhsa_kernel _ZN7rocprim17ROCPRIM_400000_NS6detail17trampoline_kernelINS0_14default_configENS1_25partition_config_selectorILNS1_17partition_subalgoE2EjNS0_10empty_typeEbEEZZNS1_14partition_implILS5_2ELb0ES3_jN6thrust23THRUST_200600_302600_NS6detail15normal_iteratorINSA_7pointerIjNSA_11hip_rocprim3tagENSA_11use_defaultESG_EEEEPS6_NSA_18transform_iteratorI7is_evenIjENSC_INSA_10device_ptrIjEEEESG_SG_EENS0_5tupleIJPjSJ_EEENSR_IJSJ_SJ_EEES6_PlJS6_EEE10hipError_tPvRmT3_T4_T5_T6_T7_T9_mT8_P12ihipStream_tbDpT10_ENKUlT_T0_E_clISt17integral_constantIbLb1EES1F_EEDaS1A_S1B_EUlS1A_E_NS1_11comp_targetILNS1_3genE3ELNS1_11target_archE908ELNS1_3gpuE7ELNS1_3repE0EEENS1_30default_config_static_selectorELNS0_4arch9wavefront6targetE1EEEvT1_
		.amdhsa_group_segment_fixed_size 0
		.amdhsa_private_segment_fixed_size 0
		.amdhsa_kernarg_size 144
		.amdhsa_user_sgpr_count 6
		.amdhsa_user_sgpr_private_segment_buffer 1
		.amdhsa_user_sgpr_dispatch_ptr 0
		.amdhsa_user_sgpr_queue_ptr 0
		.amdhsa_user_sgpr_kernarg_segment_ptr 1
		.amdhsa_user_sgpr_dispatch_id 0
		.amdhsa_user_sgpr_flat_scratch_init 0
		.amdhsa_user_sgpr_kernarg_preload_length 0
		.amdhsa_user_sgpr_kernarg_preload_offset 0
		.amdhsa_user_sgpr_private_segment_size 0
		.amdhsa_uses_dynamic_stack 0
		.amdhsa_system_sgpr_private_segment_wavefront_offset 0
		.amdhsa_system_sgpr_workgroup_id_x 1
		.amdhsa_system_sgpr_workgroup_id_y 0
		.amdhsa_system_sgpr_workgroup_id_z 0
		.amdhsa_system_sgpr_workgroup_info 0
		.amdhsa_system_vgpr_workitem_id 0
		.amdhsa_next_free_vgpr 1
		.amdhsa_next_free_sgpr 0
		.amdhsa_accum_offset 4
		.amdhsa_reserve_vcc 0
		.amdhsa_reserve_flat_scratch 0
		.amdhsa_float_round_mode_32 0
		.amdhsa_float_round_mode_16_64 0
		.amdhsa_float_denorm_mode_32 3
		.amdhsa_float_denorm_mode_16_64 3
		.amdhsa_dx10_clamp 1
		.amdhsa_ieee_mode 1
		.amdhsa_fp16_overflow 0
		.amdhsa_tg_split 0
		.amdhsa_exception_fp_ieee_invalid_op 0
		.amdhsa_exception_fp_denorm_src 0
		.amdhsa_exception_fp_ieee_div_zero 0
		.amdhsa_exception_fp_ieee_overflow 0
		.amdhsa_exception_fp_ieee_underflow 0
		.amdhsa_exception_fp_ieee_inexact 0
		.amdhsa_exception_int_div_zero 0
	.end_amdhsa_kernel
	.section	.text._ZN7rocprim17ROCPRIM_400000_NS6detail17trampoline_kernelINS0_14default_configENS1_25partition_config_selectorILNS1_17partition_subalgoE2EjNS0_10empty_typeEbEEZZNS1_14partition_implILS5_2ELb0ES3_jN6thrust23THRUST_200600_302600_NS6detail15normal_iteratorINSA_7pointerIjNSA_11hip_rocprim3tagENSA_11use_defaultESG_EEEEPS6_NSA_18transform_iteratorI7is_evenIjENSC_INSA_10device_ptrIjEEEESG_SG_EENS0_5tupleIJPjSJ_EEENSR_IJSJ_SJ_EEES6_PlJS6_EEE10hipError_tPvRmT3_T4_T5_T6_T7_T9_mT8_P12ihipStream_tbDpT10_ENKUlT_T0_E_clISt17integral_constantIbLb1EES1F_EEDaS1A_S1B_EUlS1A_E_NS1_11comp_targetILNS1_3genE3ELNS1_11target_archE908ELNS1_3gpuE7ELNS1_3repE0EEENS1_30default_config_static_selectorELNS0_4arch9wavefront6targetE1EEEvT1_,"axG",@progbits,_ZN7rocprim17ROCPRIM_400000_NS6detail17trampoline_kernelINS0_14default_configENS1_25partition_config_selectorILNS1_17partition_subalgoE2EjNS0_10empty_typeEbEEZZNS1_14partition_implILS5_2ELb0ES3_jN6thrust23THRUST_200600_302600_NS6detail15normal_iteratorINSA_7pointerIjNSA_11hip_rocprim3tagENSA_11use_defaultESG_EEEEPS6_NSA_18transform_iteratorI7is_evenIjENSC_INSA_10device_ptrIjEEEESG_SG_EENS0_5tupleIJPjSJ_EEENSR_IJSJ_SJ_EEES6_PlJS6_EEE10hipError_tPvRmT3_T4_T5_T6_T7_T9_mT8_P12ihipStream_tbDpT10_ENKUlT_T0_E_clISt17integral_constantIbLb1EES1F_EEDaS1A_S1B_EUlS1A_E_NS1_11comp_targetILNS1_3genE3ELNS1_11target_archE908ELNS1_3gpuE7ELNS1_3repE0EEENS1_30default_config_static_selectorELNS0_4arch9wavefront6targetE1EEEvT1_,comdat
.Lfunc_end2048:
	.size	_ZN7rocprim17ROCPRIM_400000_NS6detail17trampoline_kernelINS0_14default_configENS1_25partition_config_selectorILNS1_17partition_subalgoE2EjNS0_10empty_typeEbEEZZNS1_14partition_implILS5_2ELb0ES3_jN6thrust23THRUST_200600_302600_NS6detail15normal_iteratorINSA_7pointerIjNSA_11hip_rocprim3tagENSA_11use_defaultESG_EEEEPS6_NSA_18transform_iteratorI7is_evenIjENSC_INSA_10device_ptrIjEEEESG_SG_EENS0_5tupleIJPjSJ_EEENSR_IJSJ_SJ_EEES6_PlJS6_EEE10hipError_tPvRmT3_T4_T5_T6_T7_T9_mT8_P12ihipStream_tbDpT10_ENKUlT_T0_E_clISt17integral_constantIbLb1EES1F_EEDaS1A_S1B_EUlS1A_E_NS1_11comp_targetILNS1_3genE3ELNS1_11target_archE908ELNS1_3gpuE7ELNS1_3repE0EEENS1_30default_config_static_selectorELNS0_4arch9wavefront6targetE1EEEvT1_, .Lfunc_end2048-_ZN7rocprim17ROCPRIM_400000_NS6detail17trampoline_kernelINS0_14default_configENS1_25partition_config_selectorILNS1_17partition_subalgoE2EjNS0_10empty_typeEbEEZZNS1_14partition_implILS5_2ELb0ES3_jN6thrust23THRUST_200600_302600_NS6detail15normal_iteratorINSA_7pointerIjNSA_11hip_rocprim3tagENSA_11use_defaultESG_EEEEPS6_NSA_18transform_iteratorI7is_evenIjENSC_INSA_10device_ptrIjEEEESG_SG_EENS0_5tupleIJPjSJ_EEENSR_IJSJ_SJ_EEES6_PlJS6_EEE10hipError_tPvRmT3_T4_T5_T6_T7_T9_mT8_P12ihipStream_tbDpT10_ENKUlT_T0_E_clISt17integral_constantIbLb1EES1F_EEDaS1A_S1B_EUlS1A_E_NS1_11comp_targetILNS1_3genE3ELNS1_11target_archE908ELNS1_3gpuE7ELNS1_3repE0EEENS1_30default_config_static_selectorELNS0_4arch9wavefront6targetE1EEEvT1_
                                        ; -- End function
	.section	.AMDGPU.csdata,"",@progbits
; Kernel info:
; codeLenInByte = 0
; NumSgprs: 4
; NumVgprs: 0
; NumAgprs: 0
; TotalNumVgprs: 0
; ScratchSize: 0
; MemoryBound: 0
; FloatMode: 240
; IeeeMode: 1
; LDSByteSize: 0 bytes/workgroup (compile time only)
; SGPRBlocks: 0
; VGPRBlocks: 0
; NumSGPRsForWavesPerEU: 4
; NumVGPRsForWavesPerEU: 1
; AccumOffset: 4
; Occupancy: 8
; WaveLimiterHint : 0
; COMPUTE_PGM_RSRC2:SCRATCH_EN: 0
; COMPUTE_PGM_RSRC2:USER_SGPR: 6
; COMPUTE_PGM_RSRC2:TRAP_HANDLER: 0
; COMPUTE_PGM_RSRC2:TGID_X_EN: 1
; COMPUTE_PGM_RSRC2:TGID_Y_EN: 0
; COMPUTE_PGM_RSRC2:TGID_Z_EN: 0
; COMPUTE_PGM_RSRC2:TIDIG_COMP_CNT: 0
; COMPUTE_PGM_RSRC3_GFX90A:ACCUM_OFFSET: 0
; COMPUTE_PGM_RSRC3_GFX90A:TG_SPLIT: 0
	.section	.text._ZN7rocprim17ROCPRIM_400000_NS6detail17trampoline_kernelINS0_14default_configENS1_25partition_config_selectorILNS1_17partition_subalgoE2EjNS0_10empty_typeEbEEZZNS1_14partition_implILS5_2ELb0ES3_jN6thrust23THRUST_200600_302600_NS6detail15normal_iteratorINSA_7pointerIjNSA_11hip_rocprim3tagENSA_11use_defaultESG_EEEEPS6_NSA_18transform_iteratorI7is_evenIjENSC_INSA_10device_ptrIjEEEESG_SG_EENS0_5tupleIJPjSJ_EEENSR_IJSJ_SJ_EEES6_PlJS6_EEE10hipError_tPvRmT3_T4_T5_T6_T7_T9_mT8_P12ihipStream_tbDpT10_ENKUlT_T0_E_clISt17integral_constantIbLb1EES1F_EEDaS1A_S1B_EUlS1A_E_NS1_11comp_targetILNS1_3genE2ELNS1_11target_archE906ELNS1_3gpuE6ELNS1_3repE0EEENS1_30default_config_static_selectorELNS0_4arch9wavefront6targetE1EEEvT1_,"axG",@progbits,_ZN7rocprim17ROCPRIM_400000_NS6detail17trampoline_kernelINS0_14default_configENS1_25partition_config_selectorILNS1_17partition_subalgoE2EjNS0_10empty_typeEbEEZZNS1_14partition_implILS5_2ELb0ES3_jN6thrust23THRUST_200600_302600_NS6detail15normal_iteratorINSA_7pointerIjNSA_11hip_rocprim3tagENSA_11use_defaultESG_EEEEPS6_NSA_18transform_iteratorI7is_evenIjENSC_INSA_10device_ptrIjEEEESG_SG_EENS0_5tupleIJPjSJ_EEENSR_IJSJ_SJ_EEES6_PlJS6_EEE10hipError_tPvRmT3_T4_T5_T6_T7_T9_mT8_P12ihipStream_tbDpT10_ENKUlT_T0_E_clISt17integral_constantIbLb1EES1F_EEDaS1A_S1B_EUlS1A_E_NS1_11comp_targetILNS1_3genE2ELNS1_11target_archE906ELNS1_3gpuE6ELNS1_3repE0EEENS1_30default_config_static_selectorELNS0_4arch9wavefront6targetE1EEEvT1_,comdat
	.protected	_ZN7rocprim17ROCPRIM_400000_NS6detail17trampoline_kernelINS0_14default_configENS1_25partition_config_selectorILNS1_17partition_subalgoE2EjNS0_10empty_typeEbEEZZNS1_14partition_implILS5_2ELb0ES3_jN6thrust23THRUST_200600_302600_NS6detail15normal_iteratorINSA_7pointerIjNSA_11hip_rocprim3tagENSA_11use_defaultESG_EEEEPS6_NSA_18transform_iteratorI7is_evenIjENSC_INSA_10device_ptrIjEEEESG_SG_EENS0_5tupleIJPjSJ_EEENSR_IJSJ_SJ_EEES6_PlJS6_EEE10hipError_tPvRmT3_T4_T5_T6_T7_T9_mT8_P12ihipStream_tbDpT10_ENKUlT_T0_E_clISt17integral_constantIbLb1EES1F_EEDaS1A_S1B_EUlS1A_E_NS1_11comp_targetILNS1_3genE2ELNS1_11target_archE906ELNS1_3gpuE6ELNS1_3repE0EEENS1_30default_config_static_selectorELNS0_4arch9wavefront6targetE1EEEvT1_ ; -- Begin function _ZN7rocprim17ROCPRIM_400000_NS6detail17trampoline_kernelINS0_14default_configENS1_25partition_config_selectorILNS1_17partition_subalgoE2EjNS0_10empty_typeEbEEZZNS1_14partition_implILS5_2ELb0ES3_jN6thrust23THRUST_200600_302600_NS6detail15normal_iteratorINSA_7pointerIjNSA_11hip_rocprim3tagENSA_11use_defaultESG_EEEEPS6_NSA_18transform_iteratorI7is_evenIjENSC_INSA_10device_ptrIjEEEESG_SG_EENS0_5tupleIJPjSJ_EEENSR_IJSJ_SJ_EEES6_PlJS6_EEE10hipError_tPvRmT3_T4_T5_T6_T7_T9_mT8_P12ihipStream_tbDpT10_ENKUlT_T0_E_clISt17integral_constantIbLb1EES1F_EEDaS1A_S1B_EUlS1A_E_NS1_11comp_targetILNS1_3genE2ELNS1_11target_archE906ELNS1_3gpuE6ELNS1_3repE0EEENS1_30default_config_static_selectorELNS0_4arch9wavefront6targetE1EEEvT1_
	.globl	_ZN7rocprim17ROCPRIM_400000_NS6detail17trampoline_kernelINS0_14default_configENS1_25partition_config_selectorILNS1_17partition_subalgoE2EjNS0_10empty_typeEbEEZZNS1_14partition_implILS5_2ELb0ES3_jN6thrust23THRUST_200600_302600_NS6detail15normal_iteratorINSA_7pointerIjNSA_11hip_rocprim3tagENSA_11use_defaultESG_EEEEPS6_NSA_18transform_iteratorI7is_evenIjENSC_INSA_10device_ptrIjEEEESG_SG_EENS0_5tupleIJPjSJ_EEENSR_IJSJ_SJ_EEES6_PlJS6_EEE10hipError_tPvRmT3_T4_T5_T6_T7_T9_mT8_P12ihipStream_tbDpT10_ENKUlT_T0_E_clISt17integral_constantIbLb1EES1F_EEDaS1A_S1B_EUlS1A_E_NS1_11comp_targetILNS1_3genE2ELNS1_11target_archE906ELNS1_3gpuE6ELNS1_3repE0EEENS1_30default_config_static_selectorELNS0_4arch9wavefront6targetE1EEEvT1_
	.p2align	8
	.type	_ZN7rocprim17ROCPRIM_400000_NS6detail17trampoline_kernelINS0_14default_configENS1_25partition_config_selectorILNS1_17partition_subalgoE2EjNS0_10empty_typeEbEEZZNS1_14partition_implILS5_2ELb0ES3_jN6thrust23THRUST_200600_302600_NS6detail15normal_iteratorINSA_7pointerIjNSA_11hip_rocprim3tagENSA_11use_defaultESG_EEEEPS6_NSA_18transform_iteratorI7is_evenIjENSC_INSA_10device_ptrIjEEEESG_SG_EENS0_5tupleIJPjSJ_EEENSR_IJSJ_SJ_EEES6_PlJS6_EEE10hipError_tPvRmT3_T4_T5_T6_T7_T9_mT8_P12ihipStream_tbDpT10_ENKUlT_T0_E_clISt17integral_constantIbLb1EES1F_EEDaS1A_S1B_EUlS1A_E_NS1_11comp_targetILNS1_3genE2ELNS1_11target_archE906ELNS1_3gpuE6ELNS1_3repE0EEENS1_30default_config_static_selectorELNS0_4arch9wavefront6targetE1EEEvT1_,@function
_ZN7rocprim17ROCPRIM_400000_NS6detail17trampoline_kernelINS0_14default_configENS1_25partition_config_selectorILNS1_17partition_subalgoE2EjNS0_10empty_typeEbEEZZNS1_14partition_implILS5_2ELb0ES3_jN6thrust23THRUST_200600_302600_NS6detail15normal_iteratorINSA_7pointerIjNSA_11hip_rocprim3tagENSA_11use_defaultESG_EEEEPS6_NSA_18transform_iteratorI7is_evenIjENSC_INSA_10device_ptrIjEEEESG_SG_EENS0_5tupleIJPjSJ_EEENSR_IJSJ_SJ_EEES6_PlJS6_EEE10hipError_tPvRmT3_T4_T5_T6_T7_T9_mT8_P12ihipStream_tbDpT10_ENKUlT_T0_E_clISt17integral_constantIbLb1EES1F_EEDaS1A_S1B_EUlS1A_E_NS1_11comp_targetILNS1_3genE2ELNS1_11target_archE906ELNS1_3gpuE6ELNS1_3repE0EEENS1_30default_config_static_selectorELNS0_4arch9wavefront6targetE1EEEvT1_: ; @_ZN7rocprim17ROCPRIM_400000_NS6detail17trampoline_kernelINS0_14default_configENS1_25partition_config_selectorILNS1_17partition_subalgoE2EjNS0_10empty_typeEbEEZZNS1_14partition_implILS5_2ELb0ES3_jN6thrust23THRUST_200600_302600_NS6detail15normal_iteratorINSA_7pointerIjNSA_11hip_rocprim3tagENSA_11use_defaultESG_EEEEPS6_NSA_18transform_iteratorI7is_evenIjENSC_INSA_10device_ptrIjEEEESG_SG_EENS0_5tupleIJPjSJ_EEENSR_IJSJ_SJ_EEES6_PlJS6_EEE10hipError_tPvRmT3_T4_T5_T6_T7_T9_mT8_P12ihipStream_tbDpT10_ENKUlT_T0_E_clISt17integral_constantIbLb1EES1F_EEDaS1A_S1B_EUlS1A_E_NS1_11comp_targetILNS1_3genE2ELNS1_11target_archE906ELNS1_3gpuE6ELNS1_3repE0EEENS1_30default_config_static_selectorELNS0_4arch9wavefront6targetE1EEEvT1_
; %bb.0:
	.section	.rodata,"a",@progbits
	.p2align	6, 0x0
	.amdhsa_kernel _ZN7rocprim17ROCPRIM_400000_NS6detail17trampoline_kernelINS0_14default_configENS1_25partition_config_selectorILNS1_17partition_subalgoE2EjNS0_10empty_typeEbEEZZNS1_14partition_implILS5_2ELb0ES3_jN6thrust23THRUST_200600_302600_NS6detail15normal_iteratorINSA_7pointerIjNSA_11hip_rocprim3tagENSA_11use_defaultESG_EEEEPS6_NSA_18transform_iteratorI7is_evenIjENSC_INSA_10device_ptrIjEEEESG_SG_EENS0_5tupleIJPjSJ_EEENSR_IJSJ_SJ_EEES6_PlJS6_EEE10hipError_tPvRmT3_T4_T5_T6_T7_T9_mT8_P12ihipStream_tbDpT10_ENKUlT_T0_E_clISt17integral_constantIbLb1EES1F_EEDaS1A_S1B_EUlS1A_E_NS1_11comp_targetILNS1_3genE2ELNS1_11target_archE906ELNS1_3gpuE6ELNS1_3repE0EEENS1_30default_config_static_selectorELNS0_4arch9wavefront6targetE1EEEvT1_
		.amdhsa_group_segment_fixed_size 0
		.amdhsa_private_segment_fixed_size 0
		.amdhsa_kernarg_size 144
		.amdhsa_user_sgpr_count 6
		.amdhsa_user_sgpr_private_segment_buffer 1
		.amdhsa_user_sgpr_dispatch_ptr 0
		.amdhsa_user_sgpr_queue_ptr 0
		.amdhsa_user_sgpr_kernarg_segment_ptr 1
		.amdhsa_user_sgpr_dispatch_id 0
		.amdhsa_user_sgpr_flat_scratch_init 0
		.amdhsa_user_sgpr_kernarg_preload_length 0
		.amdhsa_user_sgpr_kernarg_preload_offset 0
		.amdhsa_user_sgpr_private_segment_size 0
		.amdhsa_uses_dynamic_stack 0
		.amdhsa_system_sgpr_private_segment_wavefront_offset 0
		.amdhsa_system_sgpr_workgroup_id_x 1
		.amdhsa_system_sgpr_workgroup_id_y 0
		.amdhsa_system_sgpr_workgroup_id_z 0
		.amdhsa_system_sgpr_workgroup_info 0
		.amdhsa_system_vgpr_workitem_id 0
		.amdhsa_next_free_vgpr 1
		.amdhsa_next_free_sgpr 0
		.amdhsa_accum_offset 4
		.amdhsa_reserve_vcc 0
		.amdhsa_reserve_flat_scratch 0
		.amdhsa_float_round_mode_32 0
		.amdhsa_float_round_mode_16_64 0
		.amdhsa_float_denorm_mode_32 3
		.amdhsa_float_denorm_mode_16_64 3
		.amdhsa_dx10_clamp 1
		.amdhsa_ieee_mode 1
		.amdhsa_fp16_overflow 0
		.amdhsa_tg_split 0
		.amdhsa_exception_fp_ieee_invalid_op 0
		.amdhsa_exception_fp_denorm_src 0
		.amdhsa_exception_fp_ieee_div_zero 0
		.amdhsa_exception_fp_ieee_overflow 0
		.amdhsa_exception_fp_ieee_underflow 0
		.amdhsa_exception_fp_ieee_inexact 0
		.amdhsa_exception_int_div_zero 0
	.end_amdhsa_kernel
	.section	.text._ZN7rocprim17ROCPRIM_400000_NS6detail17trampoline_kernelINS0_14default_configENS1_25partition_config_selectorILNS1_17partition_subalgoE2EjNS0_10empty_typeEbEEZZNS1_14partition_implILS5_2ELb0ES3_jN6thrust23THRUST_200600_302600_NS6detail15normal_iteratorINSA_7pointerIjNSA_11hip_rocprim3tagENSA_11use_defaultESG_EEEEPS6_NSA_18transform_iteratorI7is_evenIjENSC_INSA_10device_ptrIjEEEESG_SG_EENS0_5tupleIJPjSJ_EEENSR_IJSJ_SJ_EEES6_PlJS6_EEE10hipError_tPvRmT3_T4_T5_T6_T7_T9_mT8_P12ihipStream_tbDpT10_ENKUlT_T0_E_clISt17integral_constantIbLb1EES1F_EEDaS1A_S1B_EUlS1A_E_NS1_11comp_targetILNS1_3genE2ELNS1_11target_archE906ELNS1_3gpuE6ELNS1_3repE0EEENS1_30default_config_static_selectorELNS0_4arch9wavefront6targetE1EEEvT1_,"axG",@progbits,_ZN7rocprim17ROCPRIM_400000_NS6detail17trampoline_kernelINS0_14default_configENS1_25partition_config_selectorILNS1_17partition_subalgoE2EjNS0_10empty_typeEbEEZZNS1_14partition_implILS5_2ELb0ES3_jN6thrust23THRUST_200600_302600_NS6detail15normal_iteratorINSA_7pointerIjNSA_11hip_rocprim3tagENSA_11use_defaultESG_EEEEPS6_NSA_18transform_iteratorI7is_evenIjENSC_INSA_10device_ptrIjEEEESG_SG_EENS0_5tupleIJPjSJ_EEENSR_IJSJ_SJ_EEES6_PlJS6_EEE10hipError_tPvRmT3_T4_T5_T6_T7_T9_mT8_P12ihipStream_tbDpT10_ENKUlT_T0_E_clISt17integral_constantIbLb1EES1F_EEDaS1A_S1B_EUlS1A_E_NS1_11comp_targetILNS1_3genE2ELNS1_11target_archE906ELNS1_3gpuE6ELNS1_3repE0EEENS1_30default_config_static_selectorELNS0_4arch9wavefront6targetE1EEEvT1_,comdat
.Lfunc_end2049:
	.size	_ZN7rocprim17ROCPRIM_400000_NS6detail17trampoline_kernelINS0_14default_configENS1_25partition_config_selectorILNS1_17partition_subalgoE2EjNS0_10empty_typeEbEEZZNS1_14partition_implILS5_2ELb0ES3_jN6thrust23THRUST_200600_302600_NS6detail15normal_iteratorINSA_7pointerIjNSA_11hip_rocprim3tagENSA_11use_defaultESG_EEEEPS6_NSA_18transform_iteratorI7is_evenIjENSC_INSA_10device_ptrIjEEEESG_SG_EENS0_5tupleIJPjSJ_EEENSR_IJSJ_SJ_EEES6_PlJS6_EEE10hipError_tPvRmT3_T4_T5_T6_T7_T9_mT8_P12ihipStream_tbDpT10_ENKUlT_T0_E_clISt17integral_constantIbLb1EES1F_EEDaS1A_S1B_EUlS1A_E_NS1_11comp_targetILNS1_3genE2ELNS1_11target_archE906ELNS1_3gpuE6ELNS1_3repE0EEENS1_30default_config_static_selectorELNS0_4arch9wavefront6targetE1EEEvT1_, .Lfunc_end2049-_ZN7rocprim17ROCPRIM_400000_NS6detail17trampoline_kernelINS0_14default_configENS1_25partition_config_selectorILNS1_17partition_subalgoE2EjNS0_10empty_typeEbEEZZNS1_14partition_implILS5_2ELb0ES3_jN6thrust23THRUST_200600_302600_NS6detail15normal_iteratorINSA_7pointerIjNSA_11hip_rocprim3tagENSA_11use_defaultESG_EEEEPS6_NSA_18transform_iteratorI7is_evenIjENSC_INSA_10device_ptrIjEEEESG_SG_EENS0_5tupleIJPjSJ_EEENSR_IJSJ_SJ_EEES6_PlJS6_EEE10hipError_tPvRmT3_T4_T5_T6_T7_T9_mT8_P12ihipStream_tbDpT10_ENKUlT_T0_E_clISt17integral_constantIbLb1EES1F_EEDaS1A_S1B_EUlS1A_E_NS1_11comp_targetILNS1_3genE2ELNS1_11target_archE906ELNS1_3gpuE6ELNS1_3repE0EEENS1_30default_config_static_selectorELNS0_4arch9wavefront6targetE1EEEvT1_
                                        ; -- End function
	.section	.AMDGPU.csdata,"",@progbits
; Kernel info:
; codeLenInByte = 0
; NumSgprs: 4
; NumVgprs: 0
; NumAgprs: 0
; TotalNumVgprs: 0
; ScratchSize: 0
; MemoryBound: 0
; FloatMode: 240
; IeeeMode: 1
; LDSByteSize: 0 bytes/workgroup (compile time only)
; SGPRBlocks: 0
; VGPRBlocks: 0
; NumSGPRsForWavesPerEU: 4
; NumVGPRsForWavesPerEU: 1
; AccumOffset: 4
; Occupancy: 8
; WaveLimiterHint : 0
; COMPUTE_PGM_RSRC2:SCRATCH_EN: 0
; COMPUTE_PGM_RSRC2:USER_SGPR: 6
; COMPUTE_PGM_RSRC2:TRAP_HANDLER: 0
; COMPUTE_PGM_RSRC2:TGID_X_EN: 1
; COMPUTE_PGM_RSRC2:TGID_Y_EN: 0
; COMPUTE_PGM_RSRC2:TGID_Z_EN: 0
; COMPUTE_PGM_RSRC2:TIDIG_COMP_CNT: 0
; COMPUTE_PGM_RSRC3_GFX90A:ACCUM_OFFSET: 0
; COMPUTE_PGM_RSRC3_GFX90A:TG_SPLIT: 0
	.section	.text._ZN7rocprim17ROCPRIM_400000_NS6detail17trampoline_kernelINS0_14default_configENS1_25partition_config_selectorILNS1_17partition_subalgoE2EjNS0_10empty_typeEbEEZZNS1_14partition_implILS5_2ELb0ES3_jN6thrust23THRUST_200600_302600_NS6detail15normal_iteratorINSA_7pointerIjNSA_11hip_rocprim3tagENSA_11use_defaultESG_EEEEPS6_NSA_18transform_iteratorI7is_evenIjENSC_INSA_10device_ptrIjEEEESG_SG_EENS0_5tupleIJPjSJ_EEENSR_IJSJ_SJ_EEES6_PlJS6_EEE10hipError_tPvRmT3_T4_T5_T6_T7_T9_mT8_P12ihipStream_tbDpT10_ENKUlT_T0_E_clISt17integral_constantIbLb1EES1F_EEDaS1A_S1B_EUlS1A_E_NS1_11comp_targetILNS1_3genE10ELNS1_11target_archE1200ELNS1_3gpuE4ELNS1_3repE0EEENS1_30default_config_static_selectorELNS0_4arch9wavefront6targetE1EEEvT1_,"axG",@progbits,_ZN7rocprim17ROCPRIM_400000_NS6detail17trampoline_kernelINS0_14default_configENS1_25partition_config_selectorILNS1_17partition_subalgoE2EjNS0_10empty_typeEbEEZZNS1_14partition_implILS5_2ELb0ES3_jN6thrust23THRUST_200600_302600_NS6detail15normal_iteratorINSA_7pointerIjNSA_11hip_rocprim3tagENSA_11use_defaultESG_EEEEPS6_NSA_18transform_iteratorI7is_evenIjENSC_INSA_10device_ptrIjEEEESG_SG_EENS0_5tupleIJPjSJ_EEENSR_IJSJ_SJ_EEES6_PlJS6_EEE10hipError_tPvRmT3_T4_T5_T6_T7_T9_mT8_P12ihipStream_tbDpT10_ENKUlT_T0_E_clISt17integral_constantIbLb1EES1F_EEDaS1A_S1B_EUlS1A_E_NS1_11comp_targetILNS1_3genE10ELNS1_11target_archE1200ELNS1_3gpuE4ELNS1_3repE0EEENS1_30default_config_static_selectorELNS0_4arch9wavefront6targetE1EEEvT1_,comdat
	.protected	_ZN7rocprim17ROCPRIM_400000_NS6detail17trampoline_kernelINS0_14default_configENS1_25partition_config_selectorILNS1_17partition_subalgoE2EjNS0_10empty_typeEbEEZZNS1_14partition_implILS5_2ELb0ES3_jN6thrust23THRUST_200600_302600_NS6detail15normal_iteratorINSA_7pointerIjNSA_11hip_rocprim3tagENSA_11use_defaultESG_EEEEPS6_NSA_18transform_iteratorI7is_evenIjENSC_INSA_10device_ptrIjEEEESG_SG_EENS0_5tupleIJPjSJ_EEENSR_IJSJ_SJ_EEES6_PlJS6_EEE10hipError_tPvRmT3_T4_T5_T6_T7_T9_mT8_P12ihipStream_tbDpT10_ENKUlT_T0_E_clISt17integral_constantIbLb1EES1F_EEDaS1A_S1B_EUlS1A_E_NS1_11comp_targetILNS1_3genE10ELNS1_11target_archE1200ELNS1_3gpuE4ELNS1_3repE0EEENS1_30default_config_static_selectorELNS0_4arch9wavefront6targetE1EEEvT1_ ; -- Begin function _ZN7rocprim17ROCPRIM_400000_NS6detail17trampoline_kernelINS0_14default_configENS1_25partition_config_selectorILNS1_17partition_subalgoE2EjNS0_10empty_typeEbEEZZNS1_14partition_implILS5_2ELb0ES3_jN6thrust23THRUST_200600_302600_NS6detail15normal_iteratorINSA_7pointerIjNSA_11hip_rocprim3tagENSA_11use_defaultESG_EEEEPS6_NSA_18transform_iteratorI7is_evenIjENSC_INSA_10device_ptrIjEEEESG_SG_EENS0_5tupleIJPjSJ_EEENSR_IJSJ_SJ_EEES6_PlJS6_EEE10hipError_tPvRmT3_T4_T5_T6_T7_T9_mT8_P12ihipStream_tbDpT10_ENKUlT_T0_E_clISt17integral_constantIbLb1EES1F_EEDaS1A_S1B_EUlS1A_E_NS1_11comp_targetILNS1_3genE10ELNS1_11target_archE1200ELNS1_3gpuE4ELNS1_3repE0EEENS1_30default_config_static_selectorELNS0_4arch9wavefront6targetE1EEEvT1_
	.globl	_ZN7rocprim17ROCPRIM_400000_NS6detail17trampoline_kernelINS0_14default_configENS1_25partition_config_selectorILNS1_17partition_subalgoE2EjNS0_10empty_typeEbEEZZNS1_14partition_implILS5_2ELb0ES3_jN6thrust23THRUST_200600_302600_NS6detail15normal_iteratorINSA_7pointerIjNSA_11hip_rocprim3tagENSA_11use_defaultESG_EEEEPS6_NSA_18transform_iteratorI7is_evenIjENSC_INSA_10device_ptrIjEEEESG_SG_EENS0_5tupleIJPjSJ_EEENSR_IJSJ_SJ_EEES6_PlJS6_EEE10hipError_tPvRmT3_T4_T5_T6_T7_T9_mT8_P12ihipStream_tbDpT10_ENKUlT_T0_E_clISt17integral_constantIbLb1EES1F_EEDaS1A_S1B_EUlS1A_E_NS1_11comp_targetILNS1_3genE10ELNS1_11target_archE1200ELNS1_3gpuE4ELNS1_3repE0EEENS1_30default_config_static_selectorELNS0_4arch9wavefront6targetE1EEEvT1_
	.p2align	8
	.type	_ZN7rocprim17ROCPRIM_400000_NS6detail17trampoline_kernelINS0_14default_configENS1_25partition_config_selectorILNS1_17partition_subalgoE2EjNS0_10empty_typeEbEEZZNS1_14partition_implILS5_2ELb0ES3_jN6thrust23THRUST_200600_302600_NS6detail15normal_iteratorINSA_7pointerIjNSA_11hip_rocprim3tagENSA_11use_defaultESG_EEEEPS6_NSA_18transform_iteratorI7is_evenIjENSC_INSA_10device_ptrIjEEEESG_SG_EENS0_5tupleIJPjSJ_EEENSR_IJSJ_SJ_EEES6_PlJS6_EEE10hipError_tPvRmT3_T4_T5_T6_T7_T9_mT8_P12ihipStream_tbDpT10_ENKUlT_T0_E_clISt17integral_constantIbLb1EES1F_EEDaS1A_S1B_EUlS1A_E_NS1_11comp_targetILNS1_3genE10ELNS1_11target_archE1200ELNS1_3gpuE4ELNS1_3repE0EEENS1_30default_config_static_selectorELNS0_4arch9wavefront6targetE1EEEvT1_,@function
_ZN7rocprim17ROCPRIM_400000_NS6detail17trampoline_kernelINS0_14default_configENS1_25partition_config_selectorILNS1_17partition_subalgoE2EjNS0_10empty_typeEbEEZZNS1_14partition_implILS5_2ELb0ES3_jN6thrust23THRUST_200600_302600_NS6detail15normal_iteratorINSA_7pointerIjNSA_11hip_rocprim3tagENSA_11use_defaultESG_EEEEPS6_NSA_18transform_iteratorI7is_evenIjENSC_INSA_10device_ptrIjEEEESG_SG_EENS0_5tupleIJPjSJ_EEENSR_IJSJ_SJ_EEES6_PlJS6_EEE10hipError_tPvRmT3_T4_T5_T6_T7_T9_mT8_P12ihipStream_tbDpT10_ENKUlT_T0_E_clISt17integral_constantIbLb1EES1F_EEDaS1A_S1B_EUlS1A_E_NS1_11comp_targetILNS1_3genE10ELNS1_11target_archE1200ELNS1_3gpuE4ELNS1_3repE0EEENS1_30default_config_static_selectorELNS0_4arch9wavefront6targetE1EEEvT1_: ; @_ZN7rocprim17ROCPRIM_400000_NS6detail17trampoline_kernelINS0_14default_configENS1_25partition_config_selectorILNS1_17partition_subalgoE2EjNS0_10empty_typeEbEEZZNS1_14partition_implILS5_2ELb0ES3_jN6thrust23THRUST_200600_302600_NS6detail15normal_iteratorINSA_7pointerIjNSA_11hip_rocprim3tagENSA_11use_defaultESG_EEEEPS6_NSA_18transform_iteratorI7is_evenIjENSC_INSA_10device_ptrIjEEEESG_SG_EENS0_5tupleIJPjSJ_EEENSR_IJSJ_SJ_EEES6_PlJS6_EEE10hipError_tPvRmT3_T4_T5_T6_T7_T9_mT8_P12ihipStream_tbDpT10_ENKUlT_T0_E_clISt17integral_constantIbLb1EES1F_EEDaS1A_S1B_EUlS1A_E_NS1_11comp_targetILNS1_3genE10ELNS1_11target_archE1200ELNS1_3gpuE4ELNS1_3repE0EEENS1_30default_config_static_selectorELNS0_4arch9wavefront6targetE1EEEvT1_
; %bb.0:
	.section	.rodata,"a",@progbits
	.p2align	6, 0x0
	.amdhsa_kernel _ZN7rocprim17ROCPRIM_400000_NS6detail17trampoline_kernelINS0_14default_configENS1_25partition_config_selectorILNS1_17partition_subalgoE2EjNS0_10empty_typeEbEEZZNS1_14partition_implILS5_2ELb0ES3_jN6thrust23THRUST_200600_302600_NS6detail15normal_iteratorINSA_7pointerIjNSA_11hip_rocprim3tagENSA_11use_defaultESG_EEEEPS6_NSA_18transform_iteratorI7is_evenIjENSC_INSA_10device_ptrIjEEEESG_SG_EENS0_5tupleIJPjSJ_EEENSR_IJSJ_SJ_EEES6_PlJS6_EEE10hipError_tPvRmT3_T4_T5_T6_T7_T9_mT8_P12ihipStream_tbDpT10_ENKUlT_T0_E_clISt17integral_constantIbLb1EES1F_EEDaS1A_S1B_EUlS1A_E_NS1_11comp_targetILNS1_3genE10ELNS1_11target_archE1200ELNS1_3gpuE4ELNS1_3repE0EEENS1_30default_config_static_selectorELNS0_4arch9wavefront6targetE1EEEvT1_
		.amdhsa_group_segment_fixed_size 0
		.amdhsa_private_segment_fixed_size 0
		.amdhsa_kernarg_size 144
		.amdhsa_user_sgpr_count 6
		.amdhsa_user_sgpr_private_segment_buffer 1
		.amdhsa_user_sgpr_dispatch_ptr 0
		.amdhsa_user_sgpr_queue_ptr 0
		.amdhsa_user_sgpr_kernarg_segment_ptr 1
		.amdhsa_user_sgpr_dispatch_id 0
		.amdhsa_user_sgpr_flat_scratch_init 0
		.amdhsa_user_sgpr_kernarg_preload_length 0
		.amdhsa_user_sgpr_kernarg_preload_offset 0
		.amdhsa_user_sgpr_private_segment_size 0
		.amdhsa_uses_dynamic_stack 0
		.amdhsa_system_sgpr_private_segment_wavefront_offset 0
		.amdhsa_system_sgpr_workgroup_id_x 1
		.amdhsa_system_sgpr_workgroup_id_y 0
		.amdhsa_system_sgpr_workgroup_id_z 0
		.amdhsa_system_sgpr_workgroup_info 0
		.amdhsa_system_vgpr_workitem_id 0
		.amdhsa_next_free_vgpr 1
		.amdhsa_next_free_sgpr 0
		.amdhsa_accum_offset 4
		.amdhsa_reserve_vcc 0
		.amdhsa_reserve_flat_scratch 0
		.amdhsa_float_round_mode_32 0
		.amdhsa_float_round_mode_16_64 0
		.amdhsa_float_denorm_mode_32 3
		.amdhsa_float_denorm_mode_16_64 3
		.amdhsa_dx10_clamp 1
		.amdhsa_ieee_mode 1
		.amdhsa_fp16_overflow 0
		.amdhsa_tg_split 0
		.amdhsa_exception_fp_ieee_invalid_op 0
		.amdhsa_exception_fp_denorm_src 0
		.amdhsa_exception_fp_ieee_div_zero 0
		.amdhsa_exception_fp_ieee_overflow 0
		.amdhsa_exception_fp_ieee_underflow 0
		.amdhsa_exception_fp_ieee_inexact 0
		.amdhsa_exception_int_div_zero 0
	.end_amdhsa_kernel
	.section	.text._ZN7rocprim17ROCPRIM_400000_NS6detail17trampoline_kernelINS0_14default_configENS1_25partition_config_selectorILNS1_17partition_subalgoE2EjNS0_10empty_typeEbEEZZNS1_14partition_implILS5_2ELb0ES3_jN6thrust23THRUST_200600_302600_NS6detail15normal_iteratorINSA_7pointerIjNSA_11hip_rocprim3tagENSA_11use_defaultESG_EEEEPS6_NSA_18transform_iteratorI7is_evenIjENSC_INSA_10device_ptrIjEEEESG_SG_EENS0_5tupleIJPjSJ_EEENSR_IJSJ_SJ_EEES6_PlJS6_EEE10hipError_tPvRmT3_T4_T5_T6_T7_T9_mT8_P12ihipStream_tbDpT10_ENKUlT_T0_E_clISt17integral_constantIbLb1EES1F_EEDaS1A_S1B_EUlS1A_E_NS1_11comp_targetILNS1_3genE10ELNS1_11target_archE1200ELNS1_3gpuE4ELNS1_3repE0EEENS1_30default_config_static_selectorELNS0_4arch9wavefront6targetE1EEEvT1_,"axG",@progbits,_ZN7rocprim17ROCPRIM_400000_NS6detail17trampoline_kernelINS0_14default_configENS1_25partition_config_selectorILNS1_17partition_subalgoE2EjNS0_10empty_typeEbEEZZNS1_14partition_implILS5_2ELb0ES3_jN6thrust23THRUST_200600_302600_NS6detail15normal_iteratorINSA_7pointerIjNSA_11hip_rocprim3tagENSA_11use_defaultESG_EEEEPS6_NSA_18transform_iteratorI7is_evenIjENSC_INSA_10device_ptrIjEEEESG_SG_EENS0_5tupleIJPjSJ_EEENSR_IJSJ_SJ_EEES6_PlJS6_EEE10hipError_tPvRmT3_T4_T5_T6_T7_T9_mT8_P12ihipStream_tbDpT10_ENKUlT_T0_E_clISt17integral_constantIbLb1EES1F_EEDaS1A_S1B_EUlS1A_E_NS1_11comp_targetILNS1_3genE10ELNS1_11target_archE1200ELNS1_3gpuE4ELNS1_3repE0EEENS1_30default_config_static_selectorELNS0_4arch9wavefront6targetE1EEEvT1_,comdat
.Lfunc_end2050:
	.size	_ZN7rocprim17ROCPRIM_400000_NS6detail17trampoline_kernelINS0_14default_configENS1_25partition_config_selectorILNS1_17partition_subalgoE2EjNS0_10empty_typeEbEEZZNS1_14partition_implILS5_2ELb0ES3_jN6thrust23THRUST_200600_302600_NS6detail15normal_iteratorINSA_7pointerIjNSA_11hip_rocprim3tagENSA_11use_defaultESG_EEEEPS6_NSA_18transform_iteratorI7is_evenIjENSC_INSA_10device_ptrIjEEEESG_SG_EENS0_5tupleIJPjSJ_EEENSR_IJSJ_SJ_EEES6_PlJS6_EEE10hipError_tPvRmT3_T4_T5_T6_T7_T9_mT8_P12ihipStream_tbDpT10_ENKUlT_T0_E_clISt17integral_constantIbLb1EES1F_EEDaS1A_S1B_EUlS1A_E_NS1_11comp_targetILNS1_3genE10ELNS1_11target_archE1200ELNS1_3gpuE4ELNS1_3repE0EEENS1_30default_config_static_selectorELNS0_4arch9wavefront6targetE1EEEvT1_, .Lfunc_end2050-_ZN7rocprim17ROCPRIM_400000_NS6detail17trampoline_kernelINS0_14default_configENS1_25partition_config_selectorILNS1_17partition_subalgoE2EjNS0_10empty_typeEbEEZZNS1_14partition_implILS5_2ELb0ES3_jN6thrust23THRUST_200600_302600_NS6detail15normal_iteratorINSA_7pointerIjNSA_11hip_rocprim3tagENSA_11use_defaultESG_EEEEPS6_NSA_18transform_iteratorI7is_evenIjENSC_INSA_10device_ptrIjEEEESG_SG_EENS0_5tupleIJPjSJ_EEENSR_IJSJ_SJ_EEES6_PlJS6_EEE10hipError_tPvRmT3_T4_T5_T6_T7_T9_mT8_P12ihipStream_tbDpT10_ENKUlT_T0_E_clISt17integral_constantIbLb1EES1F_EEDaS1A_S1B_EUlS1A_E_NS1_11comp_targetILNS1_3genE10ELNS1_11target_archE1200ELNS1_3gpuE4ELNS1_3repE0EEENS1_30default_config_static_selectorELNS0_4arch9wavefront6targetE1EEEvT1_
                                        ; -- End function
	.section	.AMDGPU.csdata,"",@progbits
; Kernel info:
; codeLenInByte = 0
; NumSgprs: 4
; NumVgprs: 0
; NumAgprs: 0
; TotalNumVgprs: 0
; ScratchSize: 0
; MemoryBound: 0
; FloatMode: 240
; IeeeMode: 1
; LDSByteSize: 0 bytes/workgroup (compile time only)
; SGPRBlocks: 0
; VGPRBlocks: 0
; NumSGPRsForWavesPerEU: 4
; NumVGPRsForWavesPerEU: 1
; AccumOffset: 4
; Occupancy: 8
; WaveLimiterHint : 0
; COMPUTE_PGM_RSRC2:SCRATCH_EN: 0
; COMPUTE_PGM_RSRC2:USER_SGPR: 6
; COMPUTE_PGM_RSRC2:TRAP_HANDLER: 0
; COMPUTE_PGM_RSRC2:TGID_X_EN: 1
; COMPUTE_PGM_RSRC2:TGID_Y_EN: 0
; COMPUTE_PGM_RSRC2:TGID_Z_EN: 0
; COMPUTE_PGM_RSRC2:TIDIG_COMP_CNT: 0
; COMPUTE_PGM_RSRC3_GFX90A:ACCUM_OFFSET: 0
; COMPUTE_PGM_RSRC3_GFX90A:TG_SPLIT: 0
	.section	.text._ZN7rocprim17ROCPRIM_400000_NS6detail17trampoline_kernelINS0_14default_configENS1_25partition_config_selectorILNS1_17partition_subalgoE2EjNS0_10empty_typeEbEEZZNS1_14partition_implILS5_2ELb0ES3_jN6thrust23THRUST_200600_302600_NS6detail15normal_iteratorINSA_7pointerIjNSA_11hip_rocprim3tagENSA_11use_defaultESG_EEEEPS6_NSA_18transform_iteratorI7is_evenIjENSC_INSA_10device_ptrIjEEEESG_SG_EENS0_5tupleIJPjSJ_EEENSR_IJSJ_SJ_EEES6_PlJS6_EEE10hipError_tPvRmT3_T4_T5_T6_T7_T9_mT8_P12ihipStream_tbDpT10_ENKUlT_T0_E_clISt17integral_constantIbLb1EES1F_EEDaS1A_S1B_EUlS1A_E_NS1_11comp_targetILNS1_3genE9ELNS1_11target_archE1100ELNS1_3gpuE3ELNS1_3repE0EEENS1_30default_config_static_selectorELNS0_4arch9wavefront6targetE1EEEvT1_,"axG",@progbits,_ZN7rocprim17ROCPRIM_400000_NS6detail17trampoline_kernelINS0_14default_configENS1_25partition_config_selectorILNS1_17partition_subalgoE2EjNS0_10empty_typeEbEEZZNS1_14partition_implILS5_2ELb0ES3_jN6thrust23THRUST_200600_302600_NS6detail15normal_iteratorINSA_7pointerIjNSA_11hip_rocprim3tagENSA_11use_defaultESG_EEEEPS6_NSA_18transform_iteratorI7is_evenIjENSC_INSA_10device_ptrIjEEEESG_SG_EENS0_5tupleIJPjSJ_EEENSR_IJSJ_SJ_EEES6_PlJS6_EEE10hipError_tPvRmT3_T4_T5_T6_T7_T9_mT8_P12ihipStream_tbDpT10_ENKUlT_T0_E_clISt17integral_constantIbLb1EES1F_EEDaS1A_S1B_EUlS1A_E_NS1_11comp_targetILNS1_3genE9ELNS1_11target_archE1100ELNS1_3gpuE3ELNS1_3repE0EEENS1_30default_config_static_selectorELNS0_4arch9wavefront6targetE1EEEvT1_,comdat
	.protected	_ZN7rocprim17ROCPRIM_400000_NS6detail17trampoline_kernelINS0_14default_configENS1_25partition_config_selectorILNS1_17partition_subalgoE2EjNS0_10empty_typeEbEEZZNS1_14partition_implILS5_2ELb0ES3_jN6thrust23THRUST_200600_302600_NS6detail15normal_iteratorINSA_7pointerIjNSA_11hip_rocprim3tagENSA_11use_defaultESG_EEEEPS6_NSA_18transform_iteratorI7is_evenIjENSC_INSA_10device_ptrIjEEEESG_SG_EENS0_5tupleIJPjSJ_EEENSR_IJSJ_SJ_EEES6_PlJS6_EEE10hipError_tPvRmT3_T4_T5_T6_T7_T9_mT8_P12ihipStream_tbDpT10_ENKUlT_T0_E_clISt17integral_constantIbLb1EES1F_EEDaS1A_S1B_EUlS1A_E_NS1_11comp_targetILNS1_3genE9ELNS1_11target_archE1100ELNS1_3gpuE3ELNS1_3repE0EEENS1_30default_config_static_selectorELNS0_4arch9wavefront6targetE1EEEvT1_ ; -- Begin function _ZN7rocprim17ROCPRIM_400000_NS6detail17trampoline_kernelINS0_14default_configENS1_25partition_config_selectorILNS1_17partition_subalgoE2EjNS0_10empty_typeEbEEZZNS1_14partition_implILS5_2ELb0ES3_jN6thrust23THRUST_200600_302600_NS6detail15normal_iteratorINSA_7pointerIjNSA_11hip_rocprim3tagENSA_11use_defaultESG_EEEEPS6_NSA_18transform_iteratorI7is_evenIjENSC_INSA_10device_ptrIjEEEESG_SG_EENS0_5tupleIJPjSJ_EEENSR_IJSJ_SJ_EEES6_PlJS6_EEE10hipError_tPvRmT3_T4_T5_T6_T7_T9_mT8_P12ihipStream_tbDpT10_ENKUlT_T0_E_clISt17integral_constantIbLb1EES1F_EEDaS1A_S1B_EUlS1A_E_NS1_11comp_targetILNS1_3genE9ELNS1_11target_archE1100ELNS1_3gpuE3ELNS1_3repE0EEENS1_30default_config_static_selectorELNS0_4arch9wavefront6targetE1EEEvT1_
	.globl	_ZN7rocprim17ROCPRIM_400000_NS6detail17trampoline_kernelINS0_14default_configENS1_25partition_config_selectorILNS1_17partition_subalgoE2EjNS0_10empty_typeEbEEZZNS1_14partition_implILS5_2ELb0ES3_jN6thrust23THRUST_200600_302600_NS6detail15normal_iteratorINSA_7pointerIjNSA_11hip_rocprim3tagENSA_11use_defaultESG_EEEEPS6_NSA_18transform_iteratorI7is_evenIjENSC_INSA_10device_ptrIjEEEESG_SG_EENS0_5tupleIJPjSJ_EEENSR_IJSJ_SJ_EEES6_PlJS6_EEE10hipError_tPvRmT3_T4_T5_T6_T7_T9_mT8_P12ihipStream_tbDpT10_ENKUlT_T0_E_clISt17integral_constantIbLb1EES1F_EEDaS1A_S1B_EUlS1A_E_NS1_11comp_targetILNS1_3genE9ELNS1_11target_archE1100ELNS1_3gpuE3ELNS1_3repE0EEENS1_30default_config_static_selectorELNS0_4arch9wavefront6targetE1EEEvT1_
	.p2align	8
	.type	_ZN7rocprim17ROCPRIM_400000_NS6detail17trampoline_kernelINS0_14default_configENS1_25partition_config_selectorILNS1_17partition_subalgoE2EjNS0_10empty_typeEbEEZZNS1_14partition_implILS5_2ELb0ES3_jN6thrust23THRUST_200600_302600_NS6detail15normal_iteratorINSA_7pointerIjNSA_11hip_rocprim3tagENSA_11use_defaultESG_EEEEPS6_NSA_18transform_iteratorI7is_evenIjENSC_INSA_10device_ptrIjEEEESG_SG_EENS0_5tupleIJPjSJ_EEENSR_IJSJ_SJ_EEES6_PlJS6_EEE10hipError_tPvRmT3_T4_T5_T6_T7_T9_mT8_P12ihipStream_tbDpT10_ENKUlT_T0_E_clISt17integral_constantIbLb1EES1F_EEDaS1A_S1B_EUlS1A_E_NS1_11comp_targetILNS1_3genE9ELNS1_11target_archE1100ELNS1_3gpuE3ELNS1_3repE0EEENS1_30default_config_static_selectorELNS0_4arch9wavefront6targetE1EEEvT1_,@function
_ZN7rocprim17ROCPRIM_400000_NS6detail17trampoline_kernelINS0_14default_configENS1_25partition_config_selectorILNS1_17partition_subalgoE2EjNS0_10empty_typeEbEEZZNS1_14partition_implILS5_2ELb0ES3_jN6thrust23THRUST_200600_302600_NS6detail15normal_iteratorINSA_7pointerIjNSA_11hip_rocprim3tagENSA_11use_defaultESG_EEEEPS6_NSA_18transform_iteratorI7is_evenIjENSC_INSA_10device_ptrIjEEEESG_SG_EENS0_5tupleIJPjSJ_EEENSR_IJSJ_SJ_EEES6_PlJS6_EEE10hipError_tPvRmT3_T4_T5_T6_T7_T9_mT8_P12ihipStream_tbDpT10_ENKUlT_T0_E_clISt17integral_constantIbLb1EES1F_EEDaS1A_S1B_EUlS1A_E_NS1_11comp_targetILNS1_3genE9ELNS1_11target_archE1100ELNS1_3gpuE3ELNS1_3repE0EEENS1_30default_config_static_selectorELNS0_4arch9wavefront6targetE1EEEvT1_: ; @_ZN7rocprim17ROCPRIM_400000_NS6detail17trampoline_kernelINS0_14default_configENS1_25partition_config_selectorILNS1_17partition_subalgoE2EjNS0_10empty_typeEbEEZZNS1_14partition_implILS5_2ELb0ES3_jN6thrust23THRUST_200600_302600_NS6detail15normal_iteratorINSA_7pointerIjNSA_11hip_rocprim3tagENSA_11use_defaultESG_EEEEPS6_NSA_18transform_iteratorI7is_evenIjENSC_INSA_10device_ptrIjEEEESG_SG_EENS0_5tupleIJPjSJ_EEENSR_IJSJ_SJ_EEES6_PlJS6_EEE10hipError_tPvRmT3_T4_T5_T6_T7_T9_mT8_P12ihipStream_tbDpT10_ENKUlT_T0_E_clISt17integral_constantIbLb1EES1F_EEDaS1A_S1B_EUlS1A_E_NS1_11comp_targetILNS1_3genE9ELNS1_11target_archE1100ELNS1_3gpuE3ELNS1_3repE0EEENS1_30default_config_static_selectorELNS0_4arch9wavefront6targetE1EEEvT1_
; %bb.0:
	.section	.rodata,"a",@progbits
	.p2align	6, 0x0
	.amdhsa_kernel _ZN7rocprim17ROCPRIM_400000_NS6detail17trampoline_kernelINS0_14default_configENS1_25partition_config_selectorILNS1_17partition_subalgoE2EjNS0_10empty_typeEbEEZZNS1_14partition_implILS5_2ELb0ES3_jN6thrust23THRUST_200600_302600_NS6detail15normal_iteratorINSA_7pointerIjNSA_11hip_rocprim3tagENSA_11use_defaultESG_EEEEPS6_NSA_18transform_iteratorI7is_evenIjENSC_INSA_10device_ptrIjEEEESG_SG_EENS0_5tupleIJPjSJ_EEENSR_IJSJ_SJ_EEES6_PlJS6_EEE10hipError_tPvRmT3_T4_T5_T6_T7_T9_mT8_P12ihipStream_tbDpT10_ENKUlT_T0_E_clISt17integral_constantIbLb1EES1F_EEDaS1A_S1B_EUlS1A_E_NS1_11comp_targetILNS1_3genE9ELNS1_11target_archE1100ELNS1_3gpuE3ELNS1_3repE0EEENS1_30default_config_static_selectorELNS0_4arch9wavefront6targetE1EEEvT1_
		.amdhsa_group_segment_fixed_size 0
		.amdhsa_private_segment_fixed_size 0
		.amdhsa_kernarg_size 144
		.amdhsa_user_sgpr_count 6
		.amdhsa_user_sgpr_private_segment_buffer 1
		.amdhsa_user_sgpr_dispatch_ptr 0
		.amdhsa_user_sgpr_queue_ptr 0
		.amdhsa_user_sgpr_kernarg_segment_ptr 1
		.amdhsa_user_sgpr_dispatch_id 0
		.amdhsa_user_sgpr_flat_scratch_init 0
		.amdhsa_user_sgpr_kernarg_preload_length 0
		.amdhsa_user_sgpr_kernarg_preload_offset 0
		.amdhsa_user_sgpr_private_segment_size 0
		.amdhsa_uses_dynamic_stack 0
		.amdhsa_system_sgpr_private_segment_wavefront_offset 0
		.amdhsa_system_sgpr_workgroup_id_x 1
		.amdhsa_system_sgpr_workgroup_id_y 0
		.amdhsa_system_sgpr_workgroup_id_z 0
		.amdhsa_system_sgpr_workgroup_info 0
		.amdhsa_system_vgpr_workitem_id 0
		.amdhsa_next_free_vgpr 1
		.amdhsa_next_free_sgpr 0
		.amdhsa_accum_offset 4
		.amdhsa_reserve_vcc 0
		.amdhsa_reserve_flat_scratch 0
		.amdhsa_float_round_mode_32 0
		.amdhsa_float_round_mode_16_64 0
		.amdhsa_float_denorm_mode_32 3
		.amdhsa_float_denorm_mode_16_64 3
		.amdhsa_dx10_clamp 1
		.amdhsa_ieee_mode 1
		.amdhsa_fp16_overflow 0
		.amdhsa_tg_split 0
		.amdhsa_exception_fp_ieee_invalid_op 0
		.amdhsa_exception_fp_denorm_src 0
		.amdhsa_exception_fp_ieee_div_zero 0
		.amdhsa_exception_fp_ieee_overflow 0
		.amdhsa_exception_fp_ieee_underflow 0
		.amdhsa_exception_fp_ieee_inexact 0
		.amdhsa_exception_int_div_zero 0
	.end_amdhsa_kernel
	.section	.text._ZN7rocprim17ROCPRIM_400000_NS6detail17trampoline_kernelINS0_14default_configENS1_25partition_config_selectorILNS1_17partition_subalgoE2EjNS0_10empty_typeEbEEZZNS1_14partition_implILS5_2ELb0ES3_jN6thrust23THRUST_200600_302600_NS6detail15normal_iteratorINSA_7pointerIjNSA_11hip_rocprim3tagENSA_11use_defaultESG_EEEEPS6_NSA_18transform_iteratorI7is_evenIjENSC_INSA_10device_ptrIjEEEESG_SG_EENS0_5tupleIJPjSJ_EEENSR_IJSJ_SJ_EEES6_PlJS6_EEE10hipError_tPvRmT3_T4_T5_T6_T7_T9_mT8_P12ihipStream_tbDpT10_ENKUlT_T0_E_clISt17integral_constantIbLb1EES1F_EEDaS1A_S1B_EUlS1A_E_NS1_11comp_targetILNS1_3genE9ELNS1_11target_archE1100ELNS1_3gpuE3ELNS1_3repE0EEENS1_30default_config_static_selectorELNS0_4arch9wavefront6targetE1EEEvT1_,"axG",@progbits,_ZN7rocprim17ROCPRIM_400000_NS6detail17trampoline_kernelINS0_14default_configENS1_25partition_config_selectorILNS1_17partition_subalgoE2EjNS0_10empty_typeEbEEZZNS1_14partition_implILS5_2ELb0ES3_jN6thrust23THRUST_200600_302600_NS6detail15normal_iteratorINSA_7pointerIjNSA_11hip_rocprim3tagENSA_11use_defaultESG_EEEEPS6_NSA_18transform_iteratorI7is_evenIjENSC_INSA_10device_ptrIjEEEESG_SG_EENS0_5tupleIJPjSJ_EEENSR_IJSJ_SJ_EEES6_PlJS6_EEE10hipError_tPvRmT3_T4_T5_T6_T7_T9_mT8_P12ihipStream_tbDpT10_ENKUlT_T0_E_clISt17integral_constantIbLb1EES1F_EEDaS1A_S1B_EUlS1A_E_NS1_11comp_targetILNS1_3genE9ELNS1_11target_archE1100ELNS1_3gpuE3ELNS1_3repE0EEENS1_30default_config_static_selectorELNS0_4arch9wavefront6targetE1EEEvT1_,comdat
.Lfunc_end2051:
	.size	_ZN7rocprim17ROCPRIM_400000_NS6detail17trampoline_kernelINS0_14default_configENS1_25partition_config_selectorILNS1_17partition_subalgoE2EjNS0_10empty_typeEbEEZZNS1_14partition_implILS5_2ELb0ES3_jN6thrust23THRUST_200600_302600_NS6detail15normal_iteratorINSA_7pointerIjNSA_11hip_rocprim3tagENSA_11use_defaultESG_EEEEPS6_NSA_18transform_iteratorI7is_evenIjENSC_INSA_10device_ptrIjEEEESG_SG_EENS0_5tupleIJPjSJ_EEENSR_IJSJ_SJ_EEES6_PlJS6_EEE10hipError_tPvRmT3_T4_T5_T6_T7_T9_mT8_P12ihipStream_tbDpT10_ENKUlT_T0_E_clISt17integral_constantIbLb1EES1F_EEDaS1A_S1B_EUlS1A_E_NS1_11comp_targetILNS1_3genE9ELNS1_11target_archE1100ELNS1_3gpuE3ELNS1_3repE0EEENS1_30default_config_static_selectorELNS0_4arch9wavefront6targetE1EEEvT1_, .Lfunc_end2051-_ZN7rocprim17ROCPRIM_400000_NS6detail17trampoline_kernelINS0_14default_configENS1_25partition_config_selectorILNS1_17partition_subalgoE2EjNS0_10empty_typeEbEEZZNS1_14partition_implILS5_2ELb0ES3_jN6thrust23THRUST_200600_302600_NS6detail15normal_iteratorINSA_7pointerIjNSA_11hip_rocprim3tagENSA_11use_defaultESG_EEEEPS6_NSA_18transform_iteratorI7is_evenIjENSC_INSA_10device_ptrIjEEEESG_SG_EENS0_5tupleIJPjSJ_EEENSR_IJSJ_SJ_EEES6_PlJS6_EEE10hipError_tPvRmT3_T4_T5_T6_T7_T9_mT8_P12ihipStream_tbDpT10_ENKUlT_T0_E_clISt17integral_constantIbLb1EES1F_EEDaS1A_S1B_EUlS1A_E_NS1_11comp_targetILNS1_3genE9ELNS1_11target_archE1100ELNS1_3gpuE3ELNS1_3repE0EEENS1_30default_config_static_selectorELNS0_4arch9wavefront6targetE1EEEvT1_
                                        ; -- End function
	.section	.AMDGPU.csdata,"",@progbits
; Kernel info:
; codeLenInByte = 0
; NumSgprs: 4
; NumVgprs: 0
; NumAgprs: 0
; TotalNumVgprs: 0
; ScratchSize: 0
; MemoryBound: 0
; FloatMode: 240
; IeeeMode: 1
; LDSByteSize: 0 bytes/workgroup (compile time only)
; SGPRBlocks: 0
; VGPRBlocks: 0
; NumSGPRsForWavesPerEU: 4
; NumVGPRsForWavesPerEU: 1
; AccumOffset: 4
; Occupancy: 8
; WaveLimiterHint : 0
; COMPUTE_PGM_RSRC2:SCRATCH_EN: 0
; COMPUTE_PGM_RSRC2:USER_SGPR: 6
; COMPUTE_PGM_RSRC2:TRAP_HANDLER: 0
; COMPUTE_PGM_RSRC2:TGID_X_EN: 1
; COMPUTE_PGM_RSRC2:TGID_Y_EN: 0
; COMPUTE_PGM_RSRC2:TGID_Z_EN: 0
; COMPUTE_PGM_RSRC2:TIDIG_COMP_CNT: 0
; COMPUTE_PGM_RSRC3_GFX90A:ACCUM_OFFSET: 0
; COMPUTE_PGM_RSRC3_GFX90A:TG_SPLIT: 0
	.section	.text._ZN7rocprim17ROCPRIM_400000_NS6detail17trampoline_kernelINS0_14default_configENS1_25partition_config_selectorILNS1_17partition_subalgoE2EjNS0_10empty_typeEbEEZZNS1_14partition_implILS5_2ELb0ES3_jN6thrust23THRUST_200600_302600_NS6detail15normal_iteratorINSA_7pointerIjNSA_11hip_rocprim3tagENSA_11use_defaultESG_EEEEPS6_NSA_18transform_iteratorI7is_evenIjENSC_INSA_10device_ptrIjEEEESG_SG_EENS0_5tupleIJPjSJ_EEENSR_IJSJ_SJ_EEES6_PlJS6_EEE10hipError_tPvRmT3_T4_T5_T6_T7_T9_mT8_P12ihipStream_tbDpT10_ENKUlT_T0_E_clISt17integral_constantIbLb1EES1F_EEDaS1A_S1B_EUlS1A_E_NS1_11comp_targetILNS1_3genE8ELNS1_11target_archE1030ELNS1_3gpuE2ELNS1_3repE0EEENS1_30default_config_static_selectorELNS0_4arch9wavefront6targetE1EEEvT1_,"axG",@progbits,_ZN7rocprim17ROCPRIM_400000_NS6detail17trampoline_kernelINS0_14default_configENS1_25partition_config_selectorILNS1_17partition_subalgoE2EjNS0_10empty_typeEbEEZZNS1_14partition_implILS5_2ELb0ES3_jN6thrust23THRUST_200600_302600_NS6detail15normal_iteratorINSA_7pointerIjNSA_11hip_rocprim3tagENSA_11use_defaultESG_EEEEPS6_NSA_18transform_iteratorI7is_evenIjENSC_INSA_10device_ptrIjEEEESG_SG_EENS0_5tupleIJPjSJ_EEENSR_IJSJ_SJ_EEES6_PlJS6_EEE10hipError_tPvRmT3_T4_T5_T6_T7_T9_mT8_P12ihipStream_tbDpT10_ENKUlT_T0_E_clISt17integral_constantIbLb1EES1F_EEDaS1A_S1B_EUlS1A_E_NS1_11comp_targetILNS1_3genE8ELNS1_11target_archE1030ELNS1_3gpuE2ELNS1_3repE0EEENS1_30default_config_static_selectorELNS0_4arch9wavefront6targetE1EEEvT1_,comdat
	.protected	_ZN7rocprim17ROCPRIM_400000_NS6detail17trampoline_kernelINS0_14default_configENS1_25partition_config_selectorILNS1_17partition_subalgoE2EjNS0_10empty_typeEbEEZZNS1_14partition_implILS5_2ELb0ES3_jN6thrust23THRUST_200600_302600_NS6detail15normal_iteratorINSA_7pointerIjNSA_11hip_rocprim3tagENSA_11use_defaultESG_EEEEPS6_NSA_18transform_iteratorI7is_evenIjENSC_INSA_10device_ptrIjEEEESG_SG_EENS0_5tupleIJPjSJ_EEENSR_IJSJ_SJ_EEES6_PlJS6_EEE10hipError_tPvRmT3_T4_T5_T6_T7_T9_mT8_P12ihipStream_tbDpT10_ENKUlT_T0_E_clISt17integral_constantIbLb1EES1F_EEDaS1A_S1B_EUlS1A_E_NS1_11comp_targetILNS1_3genE8ELNS1_11target_archE1030ELNS1_3gpuE2ELNS1_3repE0EEENS1_30default_config_static_selectorELNS0_4arch9wavefront6targetE1EEEvT1_ ; -- Begin function _ZN7rocprim17ROCPRIM_400000_NS6detail17trampoline_kernelINS0_14default_configENS1_25partition_config_selectorILNS1_17partition_subalgoE2EjNS0_10empty_typeEbEEZZNS1_14partition_implILS5_2ELb0ES3_jN6thrust23THRUST_200600_302600_NS6detail15normal_iteratorINSA_7pointerIjNSA_11hip_rocprim3tagENSA_11use_defaultESG_EEEEPS6_NSA_18transform_iteratorI7is_evenIjENSC_INSA_10device_ptrIjEEEESG_SG_EENS0_5tupleIJPjSJ_EEENSR_IJSJ_SJ_EEES6_PlJS6_EEE10hipError_tPvRmT3_T4_T5_T6_T7_T9_mT8_P12ihipStream_tbDpT10_ENKUlT_T0_E_clISt17integral_constantIbLb1EES1F_EEDaS1A_S1B_EUlS1A_E_NS1_11comp_targetILNS1_3genE8ELNS1_11target_archE1030ELNS1_3gpuE2ELNS1_3repE0EEENS1_30default_config_static_selectorELNS0_4arch9wavefront6targetE1EEEvT1_
	.globl	_ZN7rocprim17ROCPRIM_400000_NS6detail17trampoline_kernelINS0_14default_configENS1_25partition_config_selectorILNS1_17partition_subalgoE2EjNS0_10empty_typeEbEEZZNS1_14partition_implILS5_2ELb0ES3_jN6thrust23THRUST_200600_302600_NS6detail15normal_iteratorINSA_7pointerIjNSA_11hip_rocprim3tagENSA_11use_defaultESG_EEEEPS6_NSA_18transform_iteratorI7is_evenIjENSC_INSA_10device_ptrIjEEEESG_SG_EENS0_5tupleIJPjSJ_EEENSR_IJSJ_SJ_EEES6_PlJS6_EEE10hipError_tPvRmT3_T4_T5_T6_T7_T9_mT8_P12ihipStream_tbDpT10_ENKUlT_T0_E_clISt17integral_constantIbLb1EES1F_EEDaS1A_S1B_EUlS1A_E_NS1_11comp_targetILNS1_3genE8ELNS1_11target_archE1030ELNS1_3gpuE2ELNS1_3repE0EEENS1_30default_config_static_selectorELNS0_4arch9wavefront6targetE1EEEvT1_
	.p2align	8
	.type	_ZN7rocprim17ROCPRIM_400000_NS6detail17trampoline_kernelINS0_14default_configENS1_25partition_config_selectorILNS1_17partition_subalgoE2EjNS0_10empty_typeEbEEZZNS1_14partition_implILS5_2ELb0ES3_jN6thrust23THRUST_200600_302600_NS6detail15normal_iteratorINSA_7pointerIjNSA_11hip_rocprim3tagENSA_11use_defaultESG_EEEEPS6_NSA_18transform_iteratorI7is_evenIjENSC_INSA_10device_ptrIjEEEESG_SG_EENS0_5tupleIJPjSJ_EEENSR_IJSJ_SJ_EEES6_PlJS6_EEE10hipError_tPvRmT3_T4_T5_T6_T7_T9_mT8_P12ihipStream_tbDpT10_ENKUlT_T0_E_clISt17integral_constantIbLb1EES1F_EEDaS1A_S1B_EUlS1A_E_NS1_11comp_targetILNS1_3genE8ELNS1_11target_archE1030ELNS1_3gpuE2ELNS1_3repE0EEENS1_30default_config_static_selectorELNS0_4arch9wavefront6targetE1EEEvT1_,@function
_ZN7rocprim17ROCPRIM_400000_NS6detail17trampoline_kernelINS0_14default_configENS1_25partition_config_selectorILNS1_17partition_subalgoE2EjNS0_10empty_typeEbEEZZNS1_14partition_implILS5_2ELb0ES3_jN6thrust23THRUST_200600_302600_NS6detail15normal_iteratorINSA_7pointerIjNSA_11hip_rocprim3tagENSA_11use_defaultESG_EEEEPS6_NSA_18transform_iteratorI7is_evenIjENSC_INSA_10device_ptrIjEEEESG_SG_EENS0_5tupleIJPjSJ_EEENSR_IJSJ_SJ_EEES6_PlJS6_EEE10hipError_tPvRmT3_T4_T5_T6_T7_T9_mT8_P12ihipStream_tbDpT10_ENKUlT_T0_E_clISt17integral_constantIbLb1EES1F_EEDaS1A_S1B_EUlS1A_E_NS1_11comp_targetILNS1_3genE8ELNS1_11target_archE1030ELNS1_3gpuE2ELNS1_3repE0EEENS1_30default_config_static_selectorELNS0_4arch9wavefront6targetE1EEEvT1_: ; @_ZN7rocprim17ROCPRIM_400000_NS6detail17trampoline_kernelINS0_14default_configENS1_25partition_config_selectorILNS1_17partition_subalgoE2EjNS0_10empty_typeEbEEZZNS1_14partition_implILS5_2ELb0ES3_jN6thrust23THRUST_200600_302600_NS6detail15normal_iteratorINSA_7pointerIjNSA_11hip_rocprim3tagENSA_11use_defaultESG_EEEEPS6_NSA_18transform_iteratorI7is_evenIjENSC_INSA_10device_ptrIjEEEESG_SG_EENS0_5tupleIJPjSJ_EEENSR_IJSJ_SJ_EEES6_PlJS6_EEE10hipError_tPvRmT3_T4_T5_T6_T7_T9_mT8_P12ihipStream_tbDpT10_ENKUlT_T0_E_clISt17integral_constantIbLb1EES1F_EEDaS1A_S1B_EUlS1A_E_NS1_11comp_targetILNS1_3genE8ELNS1_11target_archE1030ELNS1_3gpuE2ELNS1_3repE0EEENS1_30default_config_static_selectorELNS0_4arch9wavefront6targetE1EEEvT1_
; %bb.0:
	.section	.rodata,"a",@progbits
	.p2align	6, 0x0
	.amdhsa_kernel _ZN7rocprim17ROCPRIM_400000_NS6detail17trampoline_kernelINS0_14default_configENS1_25partition_config_selectorILNS1_17partition_subalgoE2EjNS0_10empty_typeEbEEZZNS1_14partition_implILS5_2ELb0ES3_jN6thrust23THRUST_200600_302600_NS6detail15normal_iteratorINSA_7pointerIjNSA_11hip_rocprim3tagENSA_11use_defaultESG_EEEEPS6_NSA_18transform_iteratorI7is_evenIjENSC_INSA_10device_ptrIjEEEESG_SG_EENS0_5tupleIJPjSJ_EEENSR_IJSJ_SJ_EEES6_PlJS6_EEE10hipError_tPvRmT3_T4_T5_T6_T7_T9_mT8_P12ihipStream_tbDpT10_ENKUlT_T0_E_clISt17integral_constantIbLb1EES1F_EEDaS1A_S1B_EUlS1A_E_NS1_11comp_targetILNS1_3genE8ELNS1_11target_archE1030ELNS1_3gpuE2ELNS1_3repE0EEENS1_30default_config_static_selectorELNS0_4arch9wavefront6targetE1EEEvT1_
		.amdhsa_group_segment_fixed_size 0
		.amdhsa_private_segment_fixed_size 0
		.amdhsa_kernarg_size 144
		.amdhsa_user_sgpr_count 6
		.amdhsa_user_sgpr_private_segment_buffer 1
		.amdhsa_user_sgpr_dispatch_ptr 0
		.amdhsa_user_sgpr_queue_ptr 0
		.amdhsa_user_sgpr_kernarg_segment_ptr 1
		.amdhsa_user_sgpr_dispatch_id 0
		.amdhsa_user_sgpr_flat_scratch_init 0
		.amdhsa_user_sgpr_kernarg_preload_length 0
		.amdhsa_user_sgpr_kernarg_preload_offset 0
		.amdhsa_user_sgpr_private_segment_size 0
		.amdhsa_uses_dynamic_stack 0
		.amdhsa_system_sgpr_private_segment_wavefront_offset 0
		.amdhsa_system_sgpr_workgroup_id_x 1
		.amdhsa_system_sgpr_workgroup_id_y 0
		.amdhsa_system_sgpr_workgroup_id_z 0
		.amdhsa_system_sgpr_workgroup_info 0
		.amdhsa_system_vgpr_workitem_id 0
		.amdhsa_next_free_vgpr 1
		.amdhsa_next_free_sgpr 0
		.amdhsa_accum_offset 4
		.amdhsa_reserve_vcc 0
		.amdhsa_reserve_flat_scratch 0
		.amdhsa_float_round_mode_32 0
		.amdhsa_float_round_mode_16_64 0
		.amdhsa_float_denorm_mode_32 3
		.amdhsa_float_denorm_mode_16_64 3
		.amdhsa_dx10_clamp 1
		.amdhsa_ieee_mode 1
		.amdhsa_fp16_overflow 0
		.amdhsa_tg_split 0
		.amdhsa_exception_fp_ieee_invalid_op 0
		.amdhsa_exception_fp_denorm_src 0
		.amdhsa_exception_fp_ieee_div_zero 0
		.amdhsa_exception_fp_ieee_overflow 0
		.amdhsa_exception_fp_ieee_underflow 0
		.amdhsa_exception_fp_ieee_inexact 0
		.amdhsa_exception_int_div_zero 0
	.end_amdhsa_kernel
	.section	.text._ZN7rocprim17ROCPRIM_400000_NS6detail17trampoline_kernelINS0_14default_configENS1_25partition_config_selectorILNS1_17partition_subalgoE2EjNS0_10empty_typeEbEEZZNS1_14partition_implILS5_2ELb0ES3_jN6thrust23THRUST_200600_302600_NS6detail15normal_iteratorINSA_7pointerIjNSA_11hip_rocprim3tagENSA_11use_defaultESG_EEEEPS6_NSA_18transform_iteratorI7is_evenIjENSC_INSA_10device_ptrIjEEEESG_SG_EENS0_5tupleIJPjSJ_EEENSR_IJSJ_SJ_EEES6_PlJS6_EEE10hipError_tPvRmT3_T4_T5_T6_T7_T9_mT8_P12ihipStream_tbDpT10_ENKUlT_T0_E_clISt17integral_constantIbLb1EES1F_EEDaS1A_S1B_EUlS1A_E_NS1_11comp_targetILNS1_3genE8ELNS1_11target_archE1030ELNS1_3gpuE2ELNS1_3repE0EEENS1_30default_config_static_selectorELNS0_4arch9wavefront6targetE1EEEvT1_,"axG",@progbits,_ZN7rocprim17ROCPRIM_400000_NS6detail17trampoline_kernelINS0_14default_configENS1_25partition_config_selectorILNS1_17partition_subalgoE2EjNS0_10empty_typeEbEEZZNS1_14partition_implILS5_2ELb0ES3_jN6thrust23THRUST_200600_302600_NS6detail15normal_iteratorINSA_7pointerIjNSA_11hip_rocprim3tagENSA_11use_defaultESG_EEEEPS6_NSA_18transform_iteratorI7is_evenIjENSC_INSA_10device_ptrIjEEEESG_SG_EENS0_5tupleIJPjSJ_EEENSR_IJSJ_SJ_EEES6_PlJS6_EEE10hipError_tPvRmT3_T4_T5_T6_T7_T9_mT8_P12ihipStream_tbDpT10_ENKUlT_T0_E_clISt17integral_constantIbLb1EES1F_EEDaS1A_S1B_EUlS1A_E_NS1_11comp_targetILNS1_3genE8ELNS1_11target_archE1030ELNS1_3gpuE2ELNS1_3repE0EEENS1_30default_config_static_selectorELNS0_4arch9wavefront6targetE1EEEvT1_,comdat
.Lfunc_end2052:
	.size	_ZN7rocprim17ROCPRIM_400000_NS6detail17trampoline_kernelINS0_14default_configENS1_25partition_config_selectorILNS1_17partition_subalgoE2EjNS0_10empty_typeEbEEZZNS1_14partition_implILS5_2ELb0ES3_jN6thrust23THRUST_200600_302600_NS6detail15normal_iteratorINSA_7pointerIjNSA_11hip_rocprim3tagENSA_11use_defaultESG_EEEEPS6_NSA_18transform_iteratorI7is_evenIjENSC_INSA_10device_ptrIjEEEESG_SG_EENS0_5tupleIJPjSJ_EEENSR_IJSJ_SJ_EEES6_PlJS6_EEE10hipError_tPvRmT3_T4_T5_T6_T7_T9_mT8_P12ihipStream_tbDpT10_ENKUlT_T0_E_clISt17integral_constantIbLb1EES1F_EEDaS1A_S1B_EUlS1A_E_NS1_11comp_targetILNS1_3genE8ELNS1_11target_archE1030ELNS1_3gpuE2ELNS1_3repE0EEENS1_30default_config_static_selectorELNS0_4arch9wavefront6targetE1EEEvT1_, .Lfunc_end2052-_ZN7rocprim17ROCPRIM_400000_NS6detail17trampoline_kernelINS0_14default_configENS1_25partition_config_selectorILNS1_17partition_subalgoE2EjNS0_10empty_typeEbEEZZNS1_14partition_implILS5_2ELb0ES3_jN6thrust23THRUST_200600_302600_NS6detail15normal_iteratorINSA_7pointerIjNSA_11hip_rocprim3tagENSA_11use_defaultESG_EEEEPS6_NSA_18transform_iteratorI7is_evenIjENSC_INSA_10device_ptrIjEEEESG_SG_EENS0_5tupleIJPjSJ_EEENSR_IJSJ_SJ_EEES6_PlJS6_EEE10hipError_tPvRmT3_T4_T5_T6_T7_T9_mT8_P12ihipStream_tbDpT10_ENKUlT_T0_E_clISt17integral_constantIbLb1EES1F_EEDaS1A_S1B_EUlS1A_E_NS1_11comp_targetILNS1_3genE8ELNS1_11target_archE1030ELNS1_3gpuE2ELNS1_3repE0EEENS1_30default_config_static_selectorELNS0_4arch9wavefront6targetE1EEEvT1_
                                        ; -- End function
	.section	.AMDGPU.csdata,"",@progbits
; Kernel info:
; codeLenInByte = 0
; NumSgprs: 4
; NumVgprs: 0
; NumAgprs: 0
; TotalNumVgprs: 0
; ScratchSize: 0
; MemoryBound: 0
; FloatMode: 240
; IeeeMode: 1
; LDSByteSize: 0 bytes/workgroup (compile time only)
; SGPRBlocks: 0
; VGPRBlocks: 0
; NumSGPRsForWavesPerEU: 4
; NumVGPRsForWavesPerEU: 1
; AccumOffset: 4
; Occupancy: 8
; WaveLimiterHint : 0
; COMPUTE_PGM_RSRC2:SCRATCH_EN: 0
; COMPUTE_PGM_RSRC2:USER_SGPR: 6
; COMPUTE_PGM_RSRC2:TRAP_HANDLER: 0
; COMPUTE_PGM_RSRC2:TGID_X_EN: 1
; COMPUTE_PGM_RSRC2:TGID_Y_EN: 0
; COMPUTE_PGM_RSRC2:TGID_Z_EN: 0
; COMPUTE_PGM_RSRC2:TIDIG_COMP_CNT: 0
; COMPUTE_PGM_RSRC3_GFX90A:ACCUM_OFFSET: 0
; COMPUTE_PGM_RSRC3_GFX90A:TG_SPLIT: 0
	.section	.text._ZN7rocprim17ROCPRIM_400000_NS6detail17trampoline_kernelINS0_14default_configENS1_25partition_config_selectorILNS1_17partition_subalgoE2EjNS0_10empty_typeEbEEZZNS1_14partition_implILS5_2ELb0ES3_jN6thrust23THRUST_200600_302600_NS6detail15normal_iteratorINSA_7pointerIjNSA_11hip_rocprim3tagENSA_11use_defaultESG_EEEEPS6_NSA_18transform_iteratorI7is_evenIjENSC_INSA_10device_ptrIjEEEESG_SG_EENS0_5tupleIJPjSJ_EEENSR_IJSJ_SJ_EEES6_PlJS6_EEE10hipError_tPvRmT3_T4_T5_T6_T7_T9_mT8_P12ihipStream_tbDpT10_ENKUlT_T0_E_clISt17integral_constantIbLb1EES1E_IbLb0EEEEDaS1A_S1B_EUlS1A_E_NS1_11comp_targetILNS1_3genE0ELNS1_11target_archE4294967295ELNS1_3gpuE0ELNS1_3repE0EEENS1_30default_config_static_selectorELNS0_4arch9wavefront6targetE1EEEvT1_,"axG",@progbits,_ZN7rocprim17ROCPRIM_400000_NS6detail17trampoline_kernelINS0_14default_configENS1_25partition_config_selectorILNS1_17partition_subalgoE2EjNS0_10empty_typeEbEEZZNS1_14partition_implILS5_2ELb0ES3_jN6thrust23THRUST_200600_302600_NS6detail15normal_iteratorINSA_7pointerIjNSA_11hip_rocprim3tagENSA_11use_defaultESG_EEEEPS6_NSA_18transform_iteratorI7is_evenIjENSC_INSA_10device_ptrIjEEEESG_SG_EENS0_5tupleIJPjSJ_EEENSR_IJSJ_SJ_EEES6_PlJS6_EEE10hipError_tPvRmT3_T4_T5_T6_T7_T9_mT8_P12ihipStream_tbDpT10_ENKUlT_T0_E_clISt17integral_constantIbLb1EES1E_IbLb0EEEEDaS1A_S1B_EUlS1A_E_NS1_11comp_targetILNS1_3genE0ELNS1_11target_archE4294967295ELNS1_3gpuE0ELNS1_3repE0EEENS1_30default_config_static_selectorELNS0_4arch9wavefront6targetE1EEEvT1_,comdat
	.protected	_ZN7rocprim17ROCPRIM_400000_NS6detail17trampoline_kernelINS0_14default_configENS1_25partition_config_selectorILNS1_17partition_subalgoE2EjNS0_10empty_typeEbEEZZNS1_14partition_implILS5_2ELb0ES3_jN6thrust23THRUST_200600_302600_NS6detail15normal_iteratorINSA_7pointerIjNSA_11hip_rocprim3tagENSA_11use_defaultESG_EEEEPS6_NSA_18transform_iteratorI7is_evenIjENSC_INSA_10device_ptrIjEEEESG_SG_EENS0_5tupleIJPjSJ_EEENSR_IJSJ_SJ_EEES6_PlJS6_EEE10hipError_tPvRmT3_T4_T5_T6_T7_T9_mT8_P12ihipStream_tbDpT10_ENKUlT_T0_E_clISt17integral_constantIbLb1EES1E_IbLb0EEEEDaS1A_S1B_EUlS1A_E_NS1_11comp_targetILNS1_3genE0ELNS1_11target_archE4294967295ELNS1_3gpuE0ELNS1_3repE0EEENS1_30default_config_static_selectorELNS0_4arch9wavefront6targetE1EEEvT1_ ; -- Begin function _ZN7rocprim17ROCPRIM_400000_NS6detail17trampoline_kernelINS0_14default_configENS1_25partition_config_selectorILNS1_17partition_subalgoE2EjNS0_10empty_typeEbEEZZNS1_14partition_implILS5_2ELb0ES3_jN6thrust23THRUST_200600_302600_NS6detail15normal_iteratorINSA_7pointerIjNSA_11hip_rocprim3tagENSA_11use_defaultESG_EEEEPS6_NSA_18transform_iteratorI7is_evenIjENSC_INSA_10device_ptrIjEEEESG_SG_EENS0_5tupleIJPjSJ_EEENSR_IJSJ_SJ_EEES6_PlJS6_EEE10hipError_tPvRmT3_T4_T5_T6_T7_T9_mT8_P12ihipStream_tbDpT10_ENKUlT_T0_E_clISt17integral_constantIbLb1EES1E_IbLb0EEEEDaS1A_S1B_EUlS1A_E_NS1_11comp_targetILNS1_3genE0ELNS1_11target_archE4294967295ELNS1_3gpuE0ELNS1_3repE0EEENS1_30default_config_static_selectorELNS0_4arch9wavefront6targetE1EEEvT1_
	.globl	_ZN7rocprim17ROCPRIM_400000_NS6detail17trampoline_kernelINS0_14default_configENS1_25partition_config_selectorILNS1_17partition_subalgoE2EjNS0_10empty_typeEbEEZZNS1_14partition_implILS5_2ELb0ES3_jN6thrust23THRUST_200600_302600_NS6detail15normal_iteratorINSA_7pointerIjNSA_11hip_rocprim3tagENSA_11use_defaultESG_EEEEPS6_NSA_18transform_iteratorI7is_evenIjENSC_INSA_10device_ptrIjEEEESG_SG_EENS0_5tupleIJPjSJ_EEENSR_IJSJ_SJ_EEES6_PlJS6_EEE10hipError_tPvRmT3_T4_T5_T6_T7_T9_mT8_P12ihipStream_tbDpT10_ENKUlT_T0_E_clISt17integral_constantIbLb1EES1E_IbLb0EEEEDaS1A_S1B_EUlS1A_E_NS1_11comp_targetILNS1_3genE0ELNS1_11target_archE4294967295ELNS1_3gpuE0ELNS1_3repE0EEENS1_30default_config_static_selectorELNS0_4arch9wavefront6targetE1EEEvT1_
	.p2align	8
	.type	_ZN7rocprim17ROCPRIM_400000_NS6detail17trampoline_kernelINS0_14default_configENS1_25partition_config_selectorILNS1_17partition_subalgoE2EjNS0_10empty_typeEbEEZZNS1_14partition_implILS5_2ELb0ES3_jN6thrust23THRUST_200600_302600_NS6detail15normal_iteratorINSA_7pointerIjNSA_11hip_rocprim3tagENSA_11use_defaultESG_EEEEPS6_NSA_18transform_iteratorI7is_evenIjENSC_INSA_10device_ptrIjEEEESG_SG_EENS0_5tupleIJPjSJ_EEENSR_IJSJ_SJ_EEES6_PlJS6_EEE10hipError_tPvRmT3_T4_T5_T6_T7_T9_mT8_P12ihipStream_tbDpT10_ENKUlT_T0_E_clISt17integral_constantIbLb1EES1E_IbLb0EEEEDaS1A_S1B_EUlS1A_E_NS1_11comp_targetILNS1_3genE0ELNS1_11target_archE4294967295ELNS1_3gpuE0ELNS1_3repE0EEENS1_30default_config_static_selectorELNS0_4arch9wavefront6targetE1EEEvT1_,@function
_ZN7rocprim17ROCPRIM_400000_NS6detail17trampoline_kernelINS0_14default_configENS1_25partition_config_selectorILNS1_17partition_subalgoE2EjNS0_10empty_typeEbEEZZNS1_14partition_implILS5_2ELb0ES3_jN6thrust23THRUST_200600_302600_NS6detail15normal_iteratorINSA_7pointerIjNSA_11hip_rocprim3tagENSA_11use_defaultESG_EEEEPS6_NSA_18transform_iteratorI7is_evenIjENSC_INSA_10device_ptrIjEEEESG_SG_EENS0_5tupleIJPjSJ_EEENSR_IJSJ_SJ_EEES6_PlJS6_EEE10hipError_tPvRmT3_T4_T5_T6_T7_T9_mT8_P12ihipStream_tbDpT10_ENKUlT_T0_E_clISt17integral_constantIbLb1EES1E_IbLb0EEEEDaS1A_S1B_EUlS1A_E_NS1_11comp_targetILNS1_3genE0ELNS1_11target_archE4294967295ELNS1_3gpuE0ELNS1_3repE0EEENS1_30default_config_static_selectorELNS0_4arch9wavefront6targetE1EEEvT1_: ; @_ZN7rocprim17ROCPRIM_400000_NS6detail17trampoline_kernelINS0_14default_configENS1_25partition_config_selectorILNS1_17partition_subalgoE2EjNS0_10empty_typeEbEEZZNS1_14partition_implILS5_2ELb0ES3_jN6thrust23THRUST_200600_302600_NS6detail15normal_iteratorINSA_7pointerIjNSA_11hip_rocprim3tagENSA_11use_defaultESG_EEEEPS6_NSA_18transform_iteratorI7is_evenIjENSC_INSA_10device_ptrIjEEEESG_SG_EENS0_5tupleIJPjSJ_EEENSR_IJSJ_SJ_EEES6_PlJS6_EEE10hipError_tPvRmT3_T4_T5_T6_T7_T9_mT8_P12ihipStream_tbDpT10_ENKUlT_T0_E_clISt17integral_constantIbLb1EES1E_IbLb0EEEEDaS1A_S1B_EUlS1A_E_NS1_11comp_targetILNS1_3genE0ELNS1_11target_archE4294967295ELNS1_3gpuE0ELNS1_3repE0EEENS1_30default_config_static_selectorELNS0_4arch9wavefront6targetE1EEEvT1_
; %bb.0:
	.section	.rodata,"a",@progbits
	.p2align	6, 0x0
	.amdhsa_kernel _ZN7rocprim17ROCPRIM_400000_NS6detail17trampoline_kernelINS0_14default_configENS1_25partition_config_selectorILNS1_17partition_subalgoE2EjNS0_10empty_typeEbEEZZNS1_14partition_implILS5_2ELb0ES3_jN6thrust23THRUST_200600_302600_NS6detail15normal_iteratorINSA_7pointerIjNSA_11hip_rocprim3tagENSA_11use_defaultESG_EEEEPS6_NSA_18transform_iteratorI7is_evenIjENSC_INSA_10device_ptrIjEEEESG_SG_EENS0_5tupleIJPjSJ_EEENSR_IJSJ_SJ_EEES6_PlJS6_EEE10hipError_tPvRmT3_T4_T5_T6_T7_T9_mT8_P12ihipStream_tbDpT10_ENKUlT_T0_E_clISt17integral_constantIbLb1EES1E_IbLb0EEEEDaS1A_S1B_EUlS1A_E_NS1_11comp_targetILNS1_3genE0ELNS1_11target_archE4294967295ELNS1_3gpuE0ELNS1_3repE0EEENS1_30default_config_static_selectorELNS0_4arch9wavefront6targetE1EEEvT1_
		.amdhsa_group_segment_fixed_size 0
		.amdhsa_private_segment_fixed_size 0
		.amdhsa_kernarg_size 128
		.amdhsa_user_sgpr_count 6
		.amdhsa_user_sgpr_private_segment_buffer 1
		.amdhsa_user_sgpr_dispatch_ptr 0
		.amdhsa_user_sgpr_queue_ptr 0
		.amdhsa_user_sgpr_kernarg_segment_ptr 1
		.amdhsa_user_sgpr_dispatch_id 0
		.amdhsa_user_sgpr_flat_scratch_init 0
		.amdhsa_user_sgpr_kernarg_preload_length 0
		.amdhsa_user_sgpr_kernarg_preload_offset 0
		.amdhsa_user_sgpr_private_segment_size 0
		.amdhsa_uses_dynamic_stack 0
		.amdhsa_system_sgpr_private_segment_wavefront_offset 0
		.amdhsa_system_sgpr_workgroup_id_x 1
		.amdhsa_system_sgpr_workgroup_id_y 0
		.amdhsa_system_sgpr_workgroup_id_z 0
		.amdhsa_system_sgpr_workgroup_info 0
		.amdhsa_system_vgpr_workitem_id 0
		.amdhsa_next_free_vgpr 1
		.amdhsa_next_free_sgpr 0
		.amdhsa_accum_offset 4
		.amdhsa_reserve_vcc 0
		.amdhsa_reserve_flat_scratch 0
		.amdhsa_float_round_mode_32 0
		.amdhsa_float_round_mode_16_64 0
		.amdhsa_float_denorm_mode_32 3
		.amdhsa_float_denorm_mode_16_64 3
		.amdhsa_dx10_clamp 1
		.amdhsa_ieee_mode 1
		.amdhsa_fp16_overflow 0
		.amdhsa_tg_split 0
		.amdhsa_exception_fp_ieee_invalid_op 0
		.amdhsa_exception_fp_denorm_src 0
		.amdhsa_exception_fp_ieee_div_zero 0
		.amdhsa_exception_fp_ieee_overflow 0
		.amdhsa_exception_fp_ieee_underflow 0
		.amdhsa_exception_fp_ieee_inexact 0
		.amdhsa_exception_int_div_zero 0
	.end_amdhsa_kernel
	.section	.text._ZN7rocprim17ROCPRIM_400000_NS6detail17trampoline_kernelINS0_14default_configENS1_25partition_config_selectorILNS1_17partition_subalgoE2EjNS0_10empty_typeEbEEZZNS1_14partition_implILS5_2ELb0ES3_jN6thrust23THRUST_200600_302600_NS6detail15normal_iteratorINSA_7pointerIjNSA_11hip_rocprim3tagENSA_11use_defaultESG_EEEEPS6_NSA_18transform_iteratorI7is_evenIjENSC_INSA_10device_ptrIjEEEESG_SG_EENS0_5tupleIJPjSJ_EEENSR_IJSJ_SJ_EEES6_PlJS6_EEE10hipError_tPvRmT3_T4_T5_T6_T7_T9_mT8_P12ihipStream_tbDpT10_ENKUlT_T0_E_clISt17integral_constantIbLb1EES1E_IbLb0EEEEDaS1A_S1B_EUlS1A_E_NS1_11comp_targetILNS1_3genE0ELNS1_11target_archE4294967295ELNS1_3gpuE0ELNS1_3repE0EEENS1_30default_config_static_selectorELNS0_4arch9wavefront6targetE1EEEvT1_,"axG",@progbits,_ZN7rocprim17ROCPRIM_400000_NS6detail17trampoline_kernelINS0_14default_configENS1_25partition_config_selectorILNS1_17partition_subalgoE2EjNS0_10empty_typeEbEEZZNS1_14partition_implILS5_2ELb0ES3_jN6thrust23THRUST_200600_302600_NS6detail15normal_iteratorINSA_7pointerIjNSA_11hip_rocprim3tagENSA_11use_defaultESG_EEEEPS6_NSA_18transform_iteratorI7is_evenIjENSC_INSA_10device_ptrIjEEEESG_SG_EENS0_5tupleIJPjSJ_EEENSR_IJSJ_SJ_EEES6_PlJS6_EEE10hipError_tPvRmT3_T4_T5_T6_T7_T9_mT8_P12ihipStream_tbDpT10_ENKUlT_T0_E_clISt17integral_constantIbLb1EES1E_IbLb0EEEEDaS1A_S1B_EUlS1A_E_NS1_11comp_targetILNS1_3genE0ELNS1_11target_archE4294967295ELNS1_3gpuE0ELNS1_3repE0EEENS1_30default_config_static_selectorELNS0_4arch9wavefront6targetE1EEEvT1_,comdat
.Lfunc_end2053:
	.size	_ZN7rocprim17ROCPRIM_400000_NS6detail17trampoline_kernelINS0_14default_configENS1_25partition_config_selectorILNS1_17partition_subalgoE2EjNS0_10empty_typeEbEEZZNS1_14partition_implILS5_2ELb0ES3_jN6thrust23THRUST_200600_302600_NS6detail15normal_iteratorINSA_7pointerIjNSA_11hip_rocprim3tagENSA_11use_defaultESG_EEEEPS6_NSA_18transform_iteratorI7is_evenIjENSC_INSA_10device_ptrIjEEEESG_SG_EENS0_5tupleIJPjSJ_EEENSR_IJSJ_SJ_EEES6_PlJS6_EEE10hipError_tPvRmT3_T4_T5_T6_T7_T9_mT8_P12ihipStream_tbDpT10_ENKUlT_T0_E_clISt17integral_constantIbLb1EES1E_IbLb0EEEEDaS1A_S1B_EUlS1A_E_NS1_11comp_targetILNS1_3genE0ELNS1_11target_archE4294967295ELNS1_3gpuE0ELNS1_3repE0EEENS1_30default_config_static_selectorELNS0_4arch9wavefront6targetE1EEEvT1_, .Lfunc_end2053-_ZN7rocprim17ROCPRIM_400000_NS6detail17trampoline_kernelINS0_14default_configENS1_25partition_config_selectorILNS1_17partition_subalgoE2EjNS0_10empty_typeEbEEZZNS1_14partition_implILS5_2ELb0ES3_jN6thrust23THRUST_200600_302600_NS6detail15normal_iteratorINSA_7pointerIjNSA_11hip_rocprim3tagENSA_11use_defaultESG_EEEEPS6_NSA_18transform_iteratorI7is_evenIjENSC_INSA_10device_ptrIjEEEESG_SG_EENS0_5tupleIJPjSJ_EEENSR_IJSJ_SJ_EEES6_PlJS6_EEE10hipError_tPvRmT3_T4_T5_T6_T7_T9_mT8_P12ihipStream_tbDpT10_ENKUlT_T0_E_clISt17integral_constantIbLb1EES1E_IbLb0EEEEDaS1A_S1B_EUlS1A_E_NS1_11comp_targetILNS1_3genE0ELNS1_11target_archE4294967295ELNS1_3gpuE0ELNS1_3repE0EEENS1_30default_config_static_selectorELNS0_4arch9wavefront6targetE1EEEvT1_
                                        ; -- End function
	.section	.AMDGPU.csdata,"",@progbits
; Kernel info:
; codeLenInByte = 0
; NumSgprs: 4
; NumVgprs: 0
; NumAgprs: 0
; TotalNumVgprs: 0
; ScratchSize: 0
; MemoryBound: 0
; FloatMode: 240
; IeeeMode: 1
; LDSByteSize: 0 bytes/workgroup (compile time only)
; SGPRBlocks: 0
; VGPRBlocks: 0
; NumSGPRsForWavesPerEU: 4
; NumVGPRsForWavesPerEU: 1
; AccumOffset: 4
; Occupancy: 8
; WaveLimiterHint : 0
; COMPUTE_PGM_RSRC2:SCRATCH_EN: 0
; COMPUTE_PGM_RSRC2:USER_SGPR: 6
; COMPUTE_PGM_RSRC2:TRAP_HANDLER: 0
; COMPUTE_PGM_RSRC2:TGID_X_EN: 1
; COMPUTE_PGM_RSRC2:TGID_Y_EN: 0
; COMPUTE_PGM_RSRC2:TGID_Z_EN: 0
; COMPUTE_PGM_RSRC2:TIDIG_COMP_CNT: 0
; COMPUTE_PGM_RSRC3_GFX90A:ACCUM_OFFSET: 0
; COMPUTE_PGM_RSRC3_GFX90A:TG_SPLIT: 0
	.section	.text._ZN7rocprim17ROCPRIM_400000_NS6detail17trampoline_kernelINS0_14default_configENS1_25partition_config_selectorILNS1_17partition_subalgoE2EjNS0_10empty_typeEbEEZZNS1_14partition_implILS5_2ELb0ES3_jN6thrust23THRUST_200600_302600_NS6detail15normal_iteratorINSA_7pointerIjNSA_11hip_rocprim3tagENSA_11use_defaultESG_EEEEPS6_NSA_18transform_iteratorI7is_evenIjENSC_INSA_10device_ptrIjEEEESG_SG_EENS0_5tupleIJPjSJ_EEENSR_IJSJ_SJ_EEES6_PlJS6_EEE10hipError_tPvRmT3_T4_T5_T6_T7_T9_mT8_P12ihipStream_tbDpT10_ENKUlT_T0_E_clISt17integral_constantIbLb1EES1E_IbLb0EEEEDaS1A_S1B_EUlS1A_E_NS1_11comp_targetILNS1_3genE5ELNS1_11target_archE942ELNS1_3gpuE9ELNS1_3repE0EEENS1_30default_config_static_selectorELNS0_4arch9wavefront6targetE1EEEvT1_,"axG",@progbits,_ZN7rocprim17ROCPRIM_400000_NS6detail17trampoline_kernelINS0_14default_configENS1_25partition_config_selectorILNS1_17partition_subalgoE2EjNS0_10empty_typeEbEEZZNS1_14partition_implILS5_2ELb0ES3_jN6thrust23THRUST_200600_302600_NS6detail15normal_iteratorINSA_7pointerIjNSA_11hip_rocprim3tagENSA_11use_defaultESG_EEEEPS6_NSA_18transform_iteratorI7is_evenIjENSC_INSA_10device_ptrIjEEEESG_SG_EENS0_5tupleIJPjSJ_EEENSR_IJSJ_SJ_EEES6_PlJS6_EEE10hipError_tPvRmT3_T4_T5_T6_T7_T9_mT8_P12ihipStream_tbDpT10_ENKUlT_T0_E_clISt17integral_constantIbLb1EES1E_IbLb0EEEEDaS1A_S1B_EUlS1A_E_NS1_11comp_targetILNS1_3genE5ELNS1_11target_archE942ELNS1_3gpuE9ELNS1_3repE0EEENS1_30default_config_static_selectorELNS0_4arch9wavefront6targetE1EEEvT1_,comdat
	.protected	_ZN7rocprim17ROCPRIM_400000_NS6detail17trampoline_kernelINS0_14default_configENS1_25partition_config_selectorILNS1_17partition_subalgoE2EjNS0_10empty_typeEbEEZZNS1_14partition_implILS5_2ELb0ES3_jN6thrust23THRUST_200600_302600_NS6detail15normal_iteratorINSA_7pointerIjNSA_11hip_rocprim3tagENSA_11use_defaultESG_EEEEPS6_NSA_18transform_iteratorI7is_evenIjENSC_INSA_10device_ptrIjEEEESG_SG_EENS0_5tupleIJPjSJ_EEENSR_IJSJ_SJ_EEES6_PlJS6_EEE10hipError_tPvRmT3_T4_T5_T6_T7_T9_mT8_P12ihipStream_tbDpT10_ENKUlT_T0_E_clISt17integral_constantIbLb1EES1E_IbLb0EEEEDaS1A_S1B_EUlS1A_E_NS1_11comp_targetILNS1_3genE5ELNS1_11target_archE942ELNS1_3gpuE9ELNS1_3repE0EEENS1_30default_config_static_selectorELNS0_4arch9wavefront6targetE1EEEvT1_ ; -- Begin function _ZN7rocprim17ROCPRIM_400000_NS6detail17trampoline_kernelINS0_14default_configENS1_25partition_config_selectorILNS1_17partition_subalgoE2EjNS0_10empty_typeEbEEZZNS1_14partition_implILS5_2ELb0ES3_jN6thrust23THRUST_200600_302600_NS6detail15normal_iteratorINSA_7pointerIjNSA_11hip_rocprim3tagENSA_11use_defaultESG_EEEEPS6_NSA_18transform_iteratorI7is_evenIjENSC_INSA_10device_ptrIjEEEESG_SG_EENS0_5tupleIJPjSJ_EEENSR_IJSJ_SJ_EEES6_PlJS6_EEE10hipError_tPvRmT3_T4_T5_T6_T7_T9_mT8_P12ihipStream_tbDpT10_ENKUlT_T0_E_clISt17integral_constantIbLb1EES1E_IbLb0EEEEDaS1A_S1B_EUlS1A_E_NS1_11comp_targetILNS1_3genE5ELNS1_11target_archE942ELNS1_3gpuE9ELNS1_3repE0EEENS1_30default_config_static_selectorELNS0_4arch9wavefront6targetE1EEEvT1_
	.globl	_ZN7rocprim17ROCPRIM_400000_NS6detail17trampoline_kernelINS0_14default_configENS1_25partition_config_selectorILNS1_17partition_subalgoE2EjNS0_10empty_typeEbEEZZNS1_14partition_implILS5_2ELb0ES3_jN6thrust23THRUST_200600_302600_NS6detail15normal_iteratorINSA_7pointerIjNSA_11hip_rocprim3tagENSA_11use_defaultESG_EEEEPS6_NSA_18transform_iteratorI7is_evenIjENSC_INSA_10device_ptrIjEEEESG_SG_EENS0_5tupleIJPjSJ_EEENSR_IJSJ_SJ_EEES6_PlJS6_EEE10hipError_tPvRmT3_T4_T5_T6_T7_T9_mT8_P12ihipStream_tbDpT10_ENKUlT_T0_E_clISt17integral_constantIbLb1EES1E_IbLb0EEEEDaS1A_S1B_EUlS1A_E_NS1_11comp_targetILNS1_3genE5ELNS1_11target_archE942ELNS1_3gpuE9ELNS1_3repE0EEENS1_30default_config_static_selectorELNS0_4arch9wavefront6targetE1EEEvT1_
	.p2align	8
	.type	_ZN7rocprim17ROCPRIM_400000_NS6detail17trampoline_kernelINS0_14default_configENS1_25partition_config_selectorILNS1_17partition_subalgoE2EjNS0_10empty_typeEbEEZZNS1_14partition_implILS5_2ELb0ES3_jN6thrust23THRUST_200600_302600_NS6detail15normal_iteratorINSA_7pointerIjNSA_11hip_rocprim3tagENSA_11use_defaultESG_EEEEPS6_NSA_18transform_iteratorI7is_evenIjENSC_INSA_10device_ptrIjEEEESG_SG_EENS0_5tupleIJPjSJ_EEENSR_IJSJ_SJ_EEES6_PlJS6_EEE10hipError_tPvRmT3_T4_T5_T6_T7_T9_mT8_P12ihipStream_tbDpT10_ENKUlT_T0_E_clISt17integral_constantIbLb1EES1E_IbLb0EEEEDaS1A_S1B_EUlS1A_E_NS1_11comp_targetILNS1_3genE5ELNS1_11target_archE942ELNS1_3gpuE9ELNS1_3repE0EEENS1_30default_config_static_selectorELNS0_4arch9wavefront6targetE1EEEvT1_,@function
_ZN7rocprim17ROCPRIM_400000_NS6detail17trampoline_kernelINS0_14default_configENS1_25partition_config_selectorILNS1_17partition_subalgoE2EjNS0_10empty_typeEbEEZZNS1_14partition_implILS5_2ELb0ES3_jN6thrust23THRUST_200600_302600_NS6detail15normal_iteratorINSA_7pointerIjNSA_11hip_rocprim3tagENSA_11use_defaultESG_EEEEPS6_NSA_18transform_iteratorI7is_evenIjENSC_INSA_10device_ptrIjEEEESG_SG_EENS0_5tupleIJPjSJ_EEENSR_IJSJ_SJ_EEES6_PlJS6_EEE10hipError_tPvRmT3_T4_T5_T6_T7_T9_mT8_P12ihipStream_tbDpT10_ENKUlT_T0_E_clISt17integral_constantIbLb1EES1E_IbLb0EEEEDaS1A_S1B_EUlS1A_E_NS1_11comp_targetILNS1_3genE5ELNS1_11target_archE942ELNS1_3gpuE9ELNS1_3repE0EEENS1_30default_config_static_selectorELNS0_4arch9wavefront6targetE1EEEvT1_: ; @_ZN7rocprim17ROCPRIM_400000_NS6detail17trampoline_kernelINS0_14default_configENS1_25partition_config_selectorILNS1_17partition_subalgoE2EjNS0_10empty_typeEbEEZZNS1_14partition_implILS5_2ELb0ES3_jN6thrust23THRUST_200600_302600_NS6detail15normal_iteratorINSA_7pointerIjNSA_11hip_rocprim3tagENSA_11use_defaultESG_EEEEPS6_NSA_18transform_iteratorI7is_evenIjENSC_INSA_10device_ptrIjEEEESG_SG_EENS0_5tupleIJPjSJ_EEENSR_IJSJ_SJ_EEES6_PlJS6_EEE10hipError_tPvRmT3_T4_T5_T6_T7_T9_mT8_P12ihipStream_tbDpT10_ENKUlT_T0_E_clISt17integral_constantIbLb1EES1E_IbLb0EEEEDaS1A_S1B_EUlS1A_E_NS1_11comp_targetILNS1_3genE5ELNS1_11target_archE942ELNS1_3gpuE9ELNS1_3repE0EEENS1_30default_config_static_selectorELNS0_4arch9wavefront6targetE1EEEvT1_
; %bb.0:
	.section	.rodata,"a",@progbits
	.p2align	6, 0x0
	.amdhsa_kernel _ZN7rocprim17ROCPRIM_400000_NS6detail17trampoline_kernelINS0_14default_configENS1_25partition_config_selectorILNS1_17partition_subalgoE2EjNS0_10empty_typeEbEEZZNS1_14partition_implILS5_2ELb0ES3_jN6thrust23THRUST_200600_302600_NS6detail15normal_iteratorINSA_7pointerIjNSA_11hip_rocprim3tagENSA_11use_defaultESG_EEEEPS6_NSA_18transform_iteratorI7is_evenIjENSC_INSA_10device_ptrIjEEEESG_SG_EENS0_5tupleIJPjSJ_EEENSR_IJSJ_SJ_EEES6_PlJS6_EEE10hipError_tPvRmT3_T4_T5_T6_T7_T9_mT8_P12ihipStream_tbDpT10_ENKUlT_T0_E_clISt17integral_constantIbLb1EES1E_IbLb0EEEEDaS1A_S1B_EUlS1A_E_NS1_11comp_targetILNS1_3genE5ELNS1_11target_archE942ELNS1_3gpuE9ELNS1_3repE0EEENS1_30default_config_static_selectorELNS0_4arch9wavefront6targetE1EEEvT1_
		.amdhsa_group_segment_fixed_size 0
		.amdhsa_private_segment_fixed_size 0
		.amdhsa_kernarg_size 128
		.amdhsa_user_sgpr_count 6
		.amdhsa_user_sgpr_private_segment_buffer 1
		.amdhsa_user_sgpr_dispatch_ptr 0
		.amdhsa_user_sgpr_queue_ptr 0
		.amdhsa_user_sgpr_kernarg_segment_ptr 1
		.amdhsa_user_sgpr_dispatch_id 0
		.amdhsa_user_sgpr_flat_scratch_init 0
		.amdhsa_user_sgpr_kernarg_preload_length 0
		.amdhsa_user_sgpr_kernarg_preload_offset 0
		.amdhsa_user_sgpr_private_segment_size 0
		.amdhsa_uses_dynamic_stack 0
		.amdhsa_system_sgpr_private_segment_wavefront_offset 0
		.amdhsa_system_sgpr_workgroup_id_x 1
		.amdhsa_system_sgpr_workgroup_id_y 0
		.amdhsa_system_sgpr_workgroup_id_z 0
		.amdhsa_system_sgpr_workgroup_info 0
		.amdhsa_system_vgpr_workitem_id 0
		.amdhsa_next_free_vgpr 1
		.amdhsa_next_free_sgpr 0
		.amdhsa_accum_offset 4
		.amdhsa_reserve_vcc 0
		.amdhsa_reserve_flat_scratch 0
		.amdhsa_float_round_mode_32 0
		.amdhsa_float_round_mode_16_64 0
		.amdhsa_float_denorm_mode_32 3
		.amdhsa_float_denorm_mode_16_64 3
		.amdhsa_dx10_clamp 1
		.amdhsa_ieee_mode 1
		.amdhsa_fp16_overflow 0
		.amdhsa_tg_split 0
		.amdhsa_exception_fp_ieee_invalid_op 0
		.amdhsa_exception_fp_denorm_src 0
		.amdhsa_exception_fp_ieee_div_zero 0
		.amdhsa_exception_fp_ieee_overflow 0
		.amdhsa_exception_fp_ieee_underflow 0
		.amdhsa_exception_fp_ieee_inexact 0
		.amdhsa_exception_int_div_zero 0
	.end_amdhsa_kernel
	.section	.text._ZN7rocprim17ROCPRIM_400000_NS6detail17trampoline_kernelINS0_14default_configENS1_25partition_config_selectorILNS1_17partition_subalgoE2EjNS0_10empty_typeEbEEZZNS1_14partition_implILS5_2ELb0ES3_jN6thrust23THRUST_200600_302600_NS6detail15normal_iteratorINSA_7pointerIjNSA_11hip_rocprim3tagENSA_11use_defaultESG_EEEEPS6_NSA_18transform_iteratorI7is_evenIjENSC_INSA_10device_ptrIjEEEESG_SG_EENS0_5tupleIJPjSJ_EEENSR_IJSJ_SJ_EEES6_PlJS6_EEE10hipError_tPvRmT3_T4_T5_T6_T7_T9_mT8_P12ihipStream_tbDpT10_ENKUlT_T0_E_clISt17integral_constantIbLb1EES1E_IbLb0EEEEDaS1A_S1B_EUlS1A_E_NS1_11comp_targetILNS1_3genE5ELNS1_11target_archE942ELNS1_3gpuE9ELNS1_3repE0EEENS1_30default_config_static_selectorELNS0_4arch9wavefront6targetE1EEEvT1_,"axG",@progbits,_ZN7rocprim17ROCPRIM_400000_NS6detail17trampoline_kernelINS0_14default_configENS1_25partition_config_selectorILNS1_17partition_subalgoE2EjNS0_10empty_typeEbEEZZNS1_14partition_implILS5_2ELb0ES3_jN6thrust23THRUST_200600_302600_NS6detail15normal_iteratorINSA_7pointerIjNSA_11hip_rocprim3tagENSA_11use_defaultESG_EEEEPS6_NSA_18transform_iteratorI7is_evenIjENSC_INSA_10device_ptrIjEEEESG_SG_EENS0_5tupleIJPjSJ_EEENSR_IJSJ_SJ_EEES6_PlJS6_EEE10hipError_tPvRmT3_T4_T5_T6_T7_T9_mT8_P12ihipStream_tbDpT10_ENKUlT_T0_E_clISt17integral_constantIbLb1EES1E_IbLb0EEEEDaS1A_S1B_EUlS1A_E_NS1_11comp_targetILNS1_3genE5ELNS1_11target_archE942ELNS1_3gpuE9ELNS1_3repE0EEENS1_30default_config_static_selectorELNS0_4arch9wavefront6targetE1EEEvT1_,comdat
.Lfunc_end2054:
	.size	_ZN7rocprim17ROCPRIM_400000_NS6detail17trampoline_kernelINS0_14default_configENS1_25partition_config_selectorILNS1_17partition_subalgoE2EjNS0_10empty_typeEbEEZZNS1_14partition_implILS5_2ELb0ES3_jN6thrust23THRUST_200600_302600_NS6detail15normal_iteratorINSA_7pointerIjNSA_11hip_rocprim3tagENSA_11use_defaultESG_EEEEPS6_NSA_18transform_iteratorI7is_evenIjENSC_INSA_10device_ptrIjEEEESG_SG_EENS0_5tupleIJPjSJ_EEENSR_IJSJ_SJ_EEES6_PlJS6_EEE10hipError_tPvRmT3_T4_T5_T6_T7_T9_mT8_P12ihipStream_tbDpT10_ENKUlT_T0_E_clISt17integral_constantIbLb1EES1E_IbLb0EEEEDaS1A_S1B_EUlS1A_E_NS1_11comp_targetILNS1_3genE5ELNS1_11target_archE942ELNS1_3gpuE9ELNS1_3repE0EEENS1_30default_config_static_selectorELNS0_4arch9wavefront6targetE1EEEvT1_, .Lfunc_end2054-_ZN7rocprim17ROCPRIM_400000_NS6detail17trampoline_kernelINS0_14default_configENS1_25partition_config_selectorILNS1_17partition_subalgoE2EjNS0_10empty_typeEbEEZZNS1_14partition_implILS5_2ELb0ES3_jN6thrust23THRUST_200600_302600_NS6detail15normal_iteratorINSA_7pointerIjNSA_11hip_rocprim3tagENSA_11use_defaultESG_EEEEPS6_NSA_18transform_iteratorI7is_evenIjENSC_INSA_10device_ptrIjEEEESG_SG_EENS0_5tupleIJPjSJ_EEENSR_IJSJ_SJ_EEES6_PlJS6_EEE10hipError_tPvRmT3_T4_T5_T6_T7_T9_mT8_P12ihipStream_tbDpT10_ENKUlT_T0_E_clISt17integral_constantIbLb1EES1E_IbLb0EEEEDaS1A_S1B_EUlS1A_E_NS1_11comp_targetILNS1_3genE5ELNS1_11target_archE942ELNS1_3gpuE9ELNS1_3repE0EEENS1_30default_config_static_selectorELNS0_4arch9wavefront6targetE1EEEvT1_
                                        ; -- End function
	.section	.AMDGPU.csdata,"",@progbits
; Kernel info:
; codeLenInByte = 0
; NumSgprs: 4
; NumVgprs: 0
; NumAgprs: 0
; TotalNumVgprs: 0
; ScratchSize: 0
; MemoryBound: 0
; FloatMode: 240
; IeeeMode: 1
; LDSByteSize: 0 bytes/workgroup (compile time only)
; SGPRBlocks: 0
; VGPRBlocks: 0
; NumSGPRsForWavesPerEU: 4
; NumVGPRsForWavesPerEU: 1
; AccumOffset: 4
; Occupancy: 8
; WaveLimiterHint : 0
; COMPUTE_PGM_RSRC2:SCRATCH_EN: 0
; COMPUTE_PGM_RSRC2:USER_SGPR: 6
; COMPUTE_PGM_RSRC2:TRAP_HANDLER: 0
; COMPUTE_PGM_RSRC2:TGID_X_EN: 1
; COMPUTE_PGM_RSRC2:TGID_Y_EN: 0
; COMPUTE_PGM_RSRC2:TGID_Z_EN: 0
; COMPUTE_PGM_RSRC2:TIDIG_COMP_CNT: 0
; COMPUTE_PGM_RSRC3_GFX90A:ACCUM_OFFSET: 0
; COMPUTE_PGM_RSRC3_GFX90A:TG_SPLIT: 0
	.section	.text._ZN7rocprim17ROCPRIM_400000_NS6detail17trampoline_kernelINS0_14default_configENS1_25partition_config_selectorILNS1_17partition_subalgoE2EjNS0_10empty_typeEbEEZZNS1_14partition_implILS5_2ELb0ES3_jN6thrust23THRUST_200600_302600_NS6detail15normal_iteratorINSA_7pointerIjNSA_11hip_rocprim3tagENSA_11use_defaultESG_EEEEPS6_NSA_18transform_iteratorI7is_evenIjENSC_INSA_10device_ptrIjEEEESG_SG_EENS0_5tupleIJPjSJ_EEENSR_IJSJ_SJ_EEES6_PlJS6_EEE10hipError_tPvRmT3_T4_T5_T6_T7_T9_mT8_P12ihipStream_tbDpT10_ENKUlT_T0_E_clISt17integral_constantIbLb1EES1E_IbLb0EEEEDaS1A_S1B_EUlS1A_E_NS1_11comp_targetILNS1_3genE4ELNS1_11target_archE910ELNS1_3gpuE8ELNS1_3repE0EEENS1_30default_config_static_selectorELNS0_4arch9wavefront6targetE1EEEvT1_,"axG",@progbits,_ZN7rocprim17ROCPRIM_400000_NS6detail17trampoline_kernelINS0_14default_configENS1_25partition_config_selectorILNS1_17partition_subalgoE2EjNS0_10empty_typeEbEEZZNS1_14partition_implILS5_2ELb0ES3_jN6thrust23THRUST_200600_302600_NS6detail15normal_iteratorINSA_7pointerIjNSA_11hip_rocprim3tagENSA_11use_defaultESG_EEEEPS6_NSA_18transform_iteratorI7is_evenIjENSC_INSA_10device_ptrIjEEEESG_SG_EENS0_5tupleIJPjSJ_EEENSR_IJSJ_SJ_EEES6_PlJS6_EEE10hipError_tPvRmT3_T4_T5_T6_T7_T9_mT8_P12ihipStream_tbDpT10_ENKUlT_T0_E_clISt17integral_constantIbLb1EES1E_IbLb0EEEEDaS1A_S1B_EUlS1A_E_NS1_11comp_targetILNS1_3genE4ELNS1_11target_archE910ELNS1_3gpuE8ELNS1_3repE0EEENS1_30default_config_static_selectorELNS0_4arch9wavefront6targetE1EEEvT1_,comdat
	.protected	_ZN7rocprim17ROCPRIM_400000_NS6detail17trampoline_kernelINS0_14default_configENS1_25partition_config_selectorILNS1_17partition_subalgoE2EjNS0_10empty_typeEbEEZZNS1_14partition_implILS5_2ELb0ES3_jN6thrust23THRUST_200600_302600_NS6detail15normal_iteratorINSA_7pointerIjNSA_11hip_rocprim3tagENSA_11use_defaultESG_EEEEPS6_NSA_18transform_iteratorI7is_evenIjENSC_INSA_10device_ptrIjEEEESG_SG_EENS0_5tupleIJPjSJ_EEENSR_IJSJ_SJ_EEES6_PlJS6_EEE10hipError_tPvRmT3_T4_T5_T6_T7_T9_mT8_P12ihipStream_tbDpT10_ENKUlT_T0_E_clISt17integral_constantIbLb1EES1E_IbLb0EEEEDaS1A_S1B_EUlS1A_E_NS1_11comp_targetILNS1_3genE4ELNS1_11target_archE910ELNS1_3gpuE8ELNS1_3repE0EEENS1_30default_config_static_selectorELNS0_4arch9wavefront6targetE1EEEvT1_ ; -- Begin function _ZN7rocprim17ROCPRIM_400000_NS6detail17trampoline_kernelINS0_14default_configENS1_25partition_config_selectorILNS1_17partition_subalgoE2EjNS0_10empty_typeEbEEZZNS1_14partition_implILS5_2ELb0ES3_jN6thrust23THRUST_200600_302600_NS6detail15normal_iteratorINSA_7pointerIjNSA_11hip_rocprim3tagENSA_11use_defaultESG_EEEEPS6_NSA_18transform_iteratorI7is_evenIjENSC_INSA_10device_ptrIjEEEESG_SG_EENS0_5tupleIJPjSJ_EEENSR_IJSJ_SJ_EEES6_PlJS6_EEE10hipError_tPvRmT3_T4_T5_T6_T7_T9_mT8_P12ihipStream_tbDpT10_ENKUlT_T0_E_clISt17integral_constantIbLb1EES1E_IbLb0EEEEDaS1A_S1B_EUlS1A_E_NS1_11comp_targetILNS1_3genE4ELNS1_11target_archE910ELNS1_3gpuE8ELNS1_3repE0EEENS1_30default_config_static_selectorELNS0_4arch9wavefront6targetE1EEEvT1_
	.globl	_ZN7rocprim17ROCPRIM_400000_NS6detail17trampoline_kernelINS0_14default_configENS1_25partition_config_selectorILNS1_17partition_subalgoE2EjNS0_10empty_typeEbEEZZNS1_14partition_implILS5_2ELb0ES3_jN6thrust23THRUST_200600_302600_NS6detail15normal_iteratorINSA_7pointerIjNSA_11hip_rocprim3tagENSA_11use_defaultESG_EEEEPS6_NSA_18transform_iteratorI7is_evenIjENSC_INSA_10device_ptrIjEEEESG_SG_EENS0_5tupleIJPjSJ_EEENSR_IJSJ_SJ_EEES6_PlJS6_EEE10hipError_tPvRmT3_T4_T5_T6_T7_T9_mT8_P12ihipStream_tbDpT10_ENKUlT_T0_E_clISt17integral_constantIbLb1EES1E_IbLb0EEEEDaS1A_S1B_EUlS1A_E_NS1_11comp_targetILNS1_3genE4ELNS1_11target_archE910ELNS1_3gpuE8ELNS1_3repE0EEENS1_30default_config_static_selectorELNS0_4arch9wavefront6targetE1EEEvT1_
	.p2align	8
	.type	_ZN7rocprim17ROCPRIM_400000_NS6detail17trampoline_kernelINS0_14default_configENS1_25partition_config_selectorILNS1_17partition_subalgoE2EjNS0_10empty_typeEbEEZZNS1_14partition_implILS5_2ELb0ES3_jN6thrust23THRUST_200600_302600_NS6detail15normal_iteratorINSA_7pointerIjNSA_11hip_rocprim3tagENSA_11use_defaultESG_EEEEPS6_NSA_18transform_iteratorI7is_evenIjENSC_INSA_10device_ptrIjEEEESG_SG_EENS0_5tupleIJPjSJ_EEENSR_IJSJ_SJ_EEES6_PlJS6_EEE10hipError_tPvRmT3_T4_T5_T6_T7_T9_mT8_P12ihipStream_tbDpT10_ENKUlT_T0_E_clISt17integral_constantIbLb1EES1E_IbLb0EEEEDaS1A_S1B_EUlS1A_E_NS1_11comp_targetILNS1_3genE4ELNS1_11target_archE910ELNS1_3gpuE8ELNS1_3repE0EEENS1_30default_config_static_selectorELNS0_4arch9wavefront6targetE1EEEvT1_,@function
_ZN7rocprim17ROCPRIM_400000_NS6detail17trampoline_kernelINS0_14default_configENS1_25partition_config_selectorILNS1_17partition_subalgoE2EjNS0_10empty_typeEbEEZZNS1_14partition_implILS5_2ELb0ES3_jN6thrust23THRUST_200600_302600_NS6detail15normal_iteratorINSA_7pointerIjNSA_11hip_rocprim3tagENSA_11use_defaultESG_EEEEPS6_NSA_18transform_iteratorI7is_evenIjENSC_INSA_10device_ptrIjEEEESG_SG_EENS0_5tupleIJPjSJ_EEENSR_IJSJ_SJ_EEES6_PlJS6_EEE10hipError_tPvRmT3_T4_T5_T6_T7_T9_mT8_P12ihipStream_tbDpT10_ENKUlT_T0_E_clISt17integral_constantIbLb1EES1E_IbLb0EEEEDaS1A_S1B_EUlS1A_E_NS1_11comp_targetILNS1_3genE4ELNS1_11target_archE910ELNS1_3gpuE8ELNS1_3repE0EEENS1_30default_config_static_selectorELNS0_4arch9wavefront6targetE1EEEvT1_: ; @_ZN7rocprim17ROCPRIM_400000_NS6detail17trampoline_kernelINS0_14default_configENS1_25partition_config_selectorILNS1_17partition_subalgoE2EjNS0_10empty_typeEbEEZZNS1_14partition_implILS5_2ELb0ES3_jN6thrust23THRUST_200600_302600_NS6detail15normal_iteratorINSA_7pointerIjNSA_11hip_rocprim3tagENSA_11use_defaultESG_EEEEPS6_NSA_18transform_iteratorI7is_evenIjENSC_INSA_10device_ptrIjEEEESG_SG_EENS0_5tupleIJPjSJ_EEENSR_IJSJ_SJ_EEES6_PlJS6_EEE10hipError_tPvRmT3_T4_T5_T6_T7_T9_mT8_P12ihipStream_tbDpT10_ENKUlT_T0_E_clISt17integral_constantIbLb1EES1E_IbLb0EEEEDaS1A_S1B_EUlS1A_E_NS1_11comp_targetILNS1_3genE4ELNS1_11target_archE910ELNS1_3gpuE8ELNS1_3repE0EEENS1_30default_config_static_selectorELNS0_4arch9wavefront6targetE1EEEvT1_
; %bb.0:
	s_load_dwordx4 s[24:27], s[4:5], 0x8
	s_load_dwordx2 s[2:3], s[4:5], 0x20
	s_load_dwordx2 s[28:29], s[4:5], 0x60
	s_load_dwordx4 s[20:23], s[4:5], 0x50
	s_load_dword s0, s[4:5], 0x78
	s_waitcnt lgkmcnt(0)
	s_lshl_b64 s[8:9], s[26:27], 2
	s_add_u32 s7, s24, s8
	s_addc_u32 s12, s25, s9
	s_load_dwordx2 s[30:31], s[22:23], 0x0
	s_add_i32 s10, s0, -1
	s_mulk_i32 s0, 0xa00
	s_add_i32 s1, s0, s26
	s_sub_i32 s33, s28, s1
	s_addk_i32 s33, 0xa00
	s_add_u32 s0, s26, s0
	s_addc_u32 s1, s27, 0
	s_cmp_eq_u32 s6, s10
	v_pk_mov_b32 v[2:3], s[28:29], s[28:29] op_sel:[0,1]
	s_cselect_b64 s[22:23], -1, 0
	s_cmp_lg_u32 s6, s10
	s_mul_i32 s24, s6, 0xa00
	s_mov_b32 s25, 0
	v_cmp_lt_u64_e32 vcc, s[0:1], v[2:3]
	s_cselect_b64 s[0:1], -1, 0
	s_or_b64 s[34:35], s[0:1], vcc
	s_lshl_b64 s[10:11], s[24:25], 2
	s_add_u32 s7, s7, s10
	s_addc_u32 s14, s12, s11
	s_mov_b64 s[0:1], -1
	s_and_b64 vcc, exec, s[34:35]
	v_lshlrev_b32_e32 v1, 2, v0
	s_cbranch_vccz .LBB2055_2
; %bb.1:
	v_mov_b32_e32 v3, s14
	v_add_co_u32_e32 v2, vcc, s7, v1
	v_addc_co_u32_e32 v3, vcc, 0, v3, vcc
	v_add_co_u32_e32 v4, vcc, 0x1000, v2
	v_addc_co_u32_e32 v5, vcc, 0, v3, vcc
	flat_load_dword v6, v[2:3]
	flat_load_dword v7, v[2:3] offset:1024
	flat_load_dword v8, v[2:3] offset:2048
	;; [unrolled: 1-line block ×3, first 2 shown]
	flat_load_dword v10, v[4:5]
	flat_load_dword v11, v[4:5] offset:1024
	flat_load_dword v12, v[4:5] offset:2048
	;; [unrolled: 1-line block ×3, first 2 shown]
	v_add_co_u32_e32 v2, vcc, 0x2000, v2
	v_addc_co_u32_e32 v3, vcc, 0, v3, vcc
	flat_load_dword v4, v[2:3]
	flat_load_dword v5, v[2:3] offset:1024
	s_mov_b64 s[0:1], 0
	s_waitcnt vmcnt(0) lgkmcnt(0)
	ds_write2st64_b32 v1, v6, v7 offset1:4
	ds_write2st64_b32 v1, v8, v9 offset0:8 offset1:12
	ds_write2st64_b32 v1, v10, v11 offset0:16 offset1:20
	ds_write2st64_b32 v1, v12, v13 offset0:24 offset1:28
	ds_write2st64_b32 v1, v4, v5 offset0:32 offset1:36
	s_waitcnt lgkmcnt(0)
	s_barrier
.LBB2055_2:
	s_andn2_b64 vcc, exec, s[0:1]
	v_cmp_gt_u32_e64 s[0:1], s33, v0
	s_cbranch_vccnz .LBB2055_24
; %bb.3:
                                        ; implicit-def: $vgpr2_vgpr3_vgpr4_vgpr5_vgpr6_vgpr7_vgpr8_vgpr9_vgpr10_vgpr11
	s_and_saveexec_b64 s[12:13], s[0:1]
	s_cbranch_execz .LBB2055_5
; %bb.4:
	v_mov_b32_e32 v3, s14
	v_add_co_u32_e32 v2, vcc, s7, v1
	v_addc_co_u32_e32 v3, vcc, 0, v3, vcc
	flat_load_dword v2, v[2:3]
.LBB2055_5:
	s_or_b64 exec, exec, s[12:13]
	v_or_b32_e32 v12, 0x100, v0
	v_cmp_gt_u32_e32 vcc, s33, v12
	s_and_saveexec_b64 s[0:1], vcc
	s_cbranch_execz .LBB2055_7
; %bb.6:
	v_mov_b32_e32 v3, s14
	v_add_co_u32_e32 v12, vcc, s7, v1
	v_addc_co_u32_e32 v13, vcc, 0, v3, vcc
	flat_load_dword v3, v[12:13] offset:1024
.LBB2055_7:
	s_or_b64 exec, exec, s[0:1]
	v_or_b32_e32 v12, 0x200, v0
	v_cmp_gt_u32_e32 vcc, s33, v12
	s_and_saveexec_b64 s[0:1], vcc
	s_cbranch_execz .LBB2055_9
; %bb.8:
	v_mov_b32_e32 v4, s14
	v_add_co_u32_e32 v12, vcc, s7, v1
	v_addc_co_u32_e32 v13, vcc, 0, v4, vcc
	flat_load_dword v4, v[12:13] offset:2048
.LBB2055_9:
	;; [unrolled: 11-line block ×3, first 2 shown]
	s_or_b64 exec, exec, s[0:1]
	v_or_b32_e32 v12, 0x400, v0
	v_cmp_gt_u32_e32 vcc, s33, v12
	s_and_saveexec_b64 s[0:1], vcc
	s_cbranch_execz .LBB2055_13
; %bb.12:
	v_lshlrev_b32_e32 v6, 2, v12
	v_mov_b32_e32 v13, s14
	v_add_co_u32_e32 v12, vcc, s7, v6
	v_addc_co_u32_e32 v13, vcc, 0, v13, vcc
	flat_load_dword v6, v[12:13]
.LBB2055_13:
	s_or_b64 exec, exec, s[0:1]
	v_or_b32_e32 v12, 0x500, v0
	v_cmp_gt_u32_e32 vcc, s33, v12
	s_and_saveexec_b64 s[0:1], vcc
	s_cbranch_execz .LBB2055_15
; %bb.14:
	v_lshlrev_b32_e32 v7, 2, v12
	v_mov_b32_e32 v13, s14
	v_add_co_u32_e32 v12, vcc, s7, v7
	v_addc_co_u32_e32 v13, vcc, 0, v13, vcc
	flat_load_dword v7, v[12:13]
.LBB2055_15:
	;; [unrolled: 12-line block ×6, first 2 shown]
	s_or_b64 exec, exec, s[0:1]
	s_waitcnt vmcnt(0) lgkmcnt(0)
	ds_write2st64_b32 v1, v2, v3 offset1:4
	ds_write2st64_b32 v1, v4, v5 offset0:8 offset1:12
	ds_write2st64_b32 v1, v6, v7 offset0:16 offset1:20
	;; [unrolled: 1-line block ×4, first 2 shown]
	s_waitcnt lgkmcnt(0)
	s_barrier
.LBB2055_24:
	v_mul_u32_u24_e32 v24, 10, v0
	v_lshlrev_b32_e32 v10, 2, v24
	s_waitcnt lgkmcnt(0)
	ds_read2_b64 v[6:9], v10 offset1:1
	ds_read2_b64 v[2:5], v10 offset0:2 offset1:3
	ds_read_b64 v[12:13], v10 offset:32
	s_add_u32 s0, s2, s8
	s_addc_u32 s1, s3, s9
	s_add_u32 s0, s0, s10
	s_addc_u32 s1, s1, s11
	s_mov_b64 s[2:3], -1
	s_and_b64 vcc, exec, s[34:35]
	s_waitcnt lgkmcnt(0)
	s_barrier
	s_cbranch_vccz .LBB2055_26
; %bb.25:
	v_mov_b32_e32 v11, s1
	v_add_co_u32_e32 v16, vcc, s0, v1
	v_addc_co_u32_e32 v11, vcc, 0, v11, vcc
	s_movk_i32 s2, 0x1000
	v_add_co_u32_e32 v14, vcc, s2, v16
	global_load_dword v18, v1, s[0:1]
	global_load_dword v19, v1, s[0:1] offset:1024
	global_load_dword v20, v1, s[0:1] offset:2048
	;; [unrolled: 1-line block ×3, first 2 shown]
	v_addc_co_u32_e32 v15, vcc, 0, v11, vcc
	s_movk_i32 s2, 0x2000
	v_add_co_u32_e32 v16, vcc, s2, v16
	v_addc_co_u32_e32 v17, vcc, 0, v11, vcc
	global_load_dword v11, v[14:15], off offset:1024
	global_load_dword v22, v[14:15], off offset:2048
	global_load_dword v23, v[16:17], off offset:-4096
	global_load_dword v25, v[16:17], off
	global_load_dword v26, v[16:17], off offset:1024
	global_load_dword v27, v[14:15], off offset:3072
	s_mov_b64 s[2:3], 0
	s_waitcnt vmcnt(9)
	v_xor_b32_e32 v14, -1, v18
	s_waitcnt vmcnt(8)
	v_xor_b32_e32 v15, -1, v19
	;; [unrolled: 2-line block ×4, first 2 shown]
	v_and_b32_e32 v14, 1, v14
	v_and_b32_e32 v15, 1, v15
	;; [unrolled: 1-line block ×4, first 2 shown]
	s_waitcnt vmcnt(5)
	v_xor_b32_e32 v11, -1, v11
	ds_write_b8 v0, v14
	ds_write_b8 v0, v15 offset:256
	ds_write_b8 v0, v16 offset:512
	;; [unrolled: 1-line block ×3, first 2 shown]
	s_waitcnt vmcnt(4)
	v_xor_b32_e32 v14, -1, v22
	s_waitcnt vmcnt(3)
	v_xor_b32_e32 v15, -1, v23
	v_and_b32_e32 v11, 1, v11
	s_waitcnt vmcnt(0)
	v_xor_b32_e32 v16, -1, v27
	v_xor_b32_e32 v17, -1, v25
	;; [unrolled: 1-line block ×3, first 2 shown]
	v_and_b32_e32 v14, 1, v14
	v_and_b32_e32 v15, 1, v15
	;; [unrolled: 1-line block ×5, first 2 shown]
	ds_write_b8 v0, v11 offset:1280
	ds_write_b8 v0, v14 offset:1536
	;; [unrolled: 1-line block ×6, first 2 shown]
	s_waitcnt lgkmcnt(0)
	s_barrier
.LBB2055_26:
	s_load_dwordx2 s[36:37], s[4:5], 0x70
	s_andn2_b64 vcc, exec, s[2:3]
	s_cbranch_vccnz .LBB2055_48
; %bb.27:
	v_cmp_gt_u32_e32 vcc, s33, v0
	v_mov_b32_e32 v11, 0
	v_mov_b32_e32 v14, 0
	s_and_saveexec_b64 s[2:3], vcc
	s_cbranch_execz .LBB2055_29
; %bb.28:
	global_load_dword v14, v1, s[0:1]
	s_waitcnt vmcnt(0)
	v_xor_b32_e32 v14, -1, v14
	v_and_b32_e32 v14, 1, v14
.LBB2055_29:
	s_or_b64 exec, exec, s[2:3]
	v_or_b32_e32 v15, 0x100, v0
	v_cmp_gt_u32_e32 vcc, s33, v15
	s_and_saveexec_b64 s[2:3], vcc
	s_cbranch_execz .LBB2055_31
; %bb.30:
	global_load_dword v11, v1, s[0:1] offset:1024
	s_waitcnt vmcnt(0)
	v_xor_b32_e32 v11, -1, v11
	v_and_b32_e32 v11, 1, v11
.LBB2055_31:
	s_or_b64 exec, exec, s[2:3]
	v_or_b32_e32 v15, 0x200, v0
	v_cmp_gt_u32_e32 vcc, s33, v15
	v_mov_b32_e32 v15, 0
	v_mov_b32_e32 v16, 0
	s_and_saveexec_b64 s[2:3], vcc
	s_cbranch_execz .LBB2055_33
; %bb.32:
	global_load_dword v16, v1, s[0:1] offset:2048
	s_waitcnt vmcnt(0)
	v_xor_b32_e32 v16, -1, v16
	v_and_b32_e32 v16, 1, v16
.LBB2055_33:
	s_or_b64 exec, exec, s[2:3]
	v_or_b32_e32 v17, 0x300, v0
	v_cmp_gt_u32_e32 vcc, s33, v17
	s_and_saveexec_b64 s[2:3], vcc
	s_cbranch_execz .LBB2055_35
; %bb.34:
	global_load_dword v15, v1, s[0:1] offset:3072
	s_waitcnt vmcnt(0)
	v_xor_b32_e32 v15, -1, v15
	v_and_b32_e32 v15, 1, v15
.LBB2055_35:
	s_or_b64 exec, exec, s[2:3]
	v_or_b32_e32 v19, 0x400, v0
	v_cmp_gt_u32_e32 vcc, s33, v19
	v_mov_b32_e32 v17, 0
	v_mov_b32_e32 v18, 0
	s_and_saveexec_b64 s[2:3], vcc
	s_cbranch_execz .LBB2055_37
; %bb.36:
	v_lshlrev_b32_e32 v18, 2, v19
	global_load_dword v18, v18, s[0:1]
	s_waitcnt vmcnt(0)
	v_xor_b32_e32 v18, -1, v18
	v_and_b32_e32 v18, 1, v18
.LBB2055_37:
	s_or_b64 exec, exec, s[2:3]
	v_or_b32_e32 v19, 0x500, v0
	v_cmp_gt_u32_e32 vcc, s33, v19
	s_and_saveexec_b64 s[2:3], vcc
	s_cbranch_execz .LBB2055_39
; %bb.38:
	v_lshlrev_b32_e32 v17, 2, v19
	global_load_dword v17, v17, s[0:1]
	s_waitcnt vmcnt(0)
	v_xor_b32_e32 v17, -1, v17
	v_and_b32_e32 v17, 1, v17
.LBB2055_39:
	s_or_b64 exec, exec, s[2:3]
	v_or_b32_e32 v21, 0x600, v0
	v_cmp_gt_u32_e32 vcc, s33, v21
	v_mov_b32_e32 v19, 0
	v_mov_b32_e32 v20, 0
	s_and_saveexec_b64 s[2:3], vcc
	s_cbranch_execz .LBB2055_41
; %bb.40:
	v_lshlrev_b32_e32 v20, 2, v21
	global_load_dword v20, v20, s[0:1]
	s_waitcnt vmcnt(0)
	v_xor_b32_e32 v20, -1, v20
	v_and_b32_e32 v20, 1, v20
.LBB2055_41:
	s_or_b64 exec, exec, s[2:3]
	v_or_b32_e32 v21, 0x700, v0
	v_cmp_gt_u32_e32 vcc, s33, v21
	s_and_saveexec_b64 s[2:3], vcc
	s_cbranch_execz .LBB2055_43
; %bb.42:
	v_lshlrev_b32_e32 v19, 2, v21
	global_load_dword v19, v19, s[0:1]
	s_waitcnt vmcnt(0)
	v_xor_b32_e32 v19, -1, v19
	v_and_b32_e32 v19, 1, v19
.LBB2055_43:
	;; [unrolled: 26-line block ×3, first 2 shown]
	s_or_b64 exec, exec, s[2:3]
	ds_write_b8 v0, v14
	ds_write_b8 v0, v11 offset:256
	ds_write_b8 v0, v16 offset:512
	ds_write_b8 v0, v15 offset:768
	ds_write_b8 v0, v18 offset:1024
	ds_write_b8 v0, v17 offset:1280
	ds_write_b8 v0, v20 offset:1536
	ds_write_b8 v0, v19 offset:1792
	ds_write_b8 v0, v22 offset:2048
	ds_write_b8 v0, v21 offset:2304
	s_waitcnt lgkmcnt(0)
	s_barrier
.LBB2055_48:
	s_movk_i32 s0, 0xffe2
	v_mad_i32_i24 v35, v0, s0, v10
	s_waitcnt lgkmcnt(0)
	ds_read_b64 v[14:15], v35
	ds_read_u16 v26, v35 offset:8
	s_cmp_lg_u32 s6, 0
	v_lshrrev_b32_e32 v36, 6, v0
	s_waitcnt lgkmcnt(0)
	v_lshrrev_b32_e32 v28, 24, v14
	v_bfe_u32 v33, v14, 16, 8
	v_add_u32_sdwa v10, v14, v14 dst_sel:DWORD dst_unused:UNUSED_PAD src0_sel:BYTE_1 src1_sel:BYTE_0
	v_and_b32_e32 v30, 0xff, v15
	v_bfe_u32 v31, v15, 8, 8
	v_add3_u32 v10, v10, v33, v28
	v_lshrrev_b32_e32 v27, 24, v15
	v_bfe_u32 v32, v15, 16, 8
	v_add3_u32 v10, v10, v30, v31
	v_lshrrev_b16_e32 v25, 8, v26
	v_and_b32_e32 v29, 0xff, v26
	v_add3_u32 v10, v10, v32, v27
	v_add3_u32 v37, v10, v29, v25
	v_mbcnt_lo_u32_b32 v10, -1, 0
	v_mbcnt_hi_u32_b32 v34, -1, v10
	v_and_b32_e32 v10, 15, v34
	v_cmp_eq_u32_e64 s[14:15], 0, v10
	v_cmp_lt_u32_e64 s[12:13], 1, v10
	v_cmp_lt_u32_e64 s[10:11], 3, v10
	;; [unrolled: 1-line block ×3, first 2 shown]
	v_and_b32_e32 v10, 16, v34
	v_cmp_eq_u32_e64 s[18:19], 0, v10
	v_or_b32_e32 v10, 63, v0
	v_cmp_lt_u32_e64 s[0:1], 31, v34
	v_cmp_eq_u32_e64 s[2:3], v10, v0
	s_barrier
	s_cbranch_scc0 .LBB2055_79
; %bb.49:
	v_mov_b32_dpp v10, v37 row_shr:1 row_mask:0xf bank_mask:0xf
	v_cndmask_b32_e64 v10, v10, 0, s[14:15]
	v_add_u32_e32 v10, v10, v37
	s_nop 1
	v_mov_b32_dpp v11, v10 row_shr:2 row_mask:0xf bank_mask:0xf
	v_cndmask_b32_e64 v11, 0, v11, s[12:13]
	v_add_u32_e32 v10, v10, v11
	s_nop 1
	;; [unrolled: 4-line block ×4, first 2 shown]
	v_mov_b32_dpp v11, v10 row_bcast:15 row_mask:0xf bank_mask:0xf
	v_cndmask_b32_e64 v11, v11, 0, s[18:19]
	v_add_u32_e32 v10, v10, v11
	s_nop 1
	v_mov_b32_dpp v11, v10 row_bcast:31 row_mask:0xf bank_mask:0xf
	v_cndmask_b32_e64 v11, 0, v11, s[0:1]
	v_add_u32_e32 v10, v10, v11
	s_and_saveexec_b64 s[16:17], s[2:3]
	s_cbranch_execz .LBB2055_51
; %bb.50:
	v_lshlrev_b32_e32 v11, 2, v36
	ds_write_b32 v11, v10
.LBB2055_51:
	s_or_b64 exec, exec, s[16:17]
	v_cmp_gt_u32_e32 vcc, 4, v0
	s_waitcnt lgkmcnt(0)
	s_barrier
	s_and_saveexec_b64 s[16:17], vcc
	s_cbranch_execz .LBB2055_53
; %bb.52:
	ds_read_b32 v11, v1
	v_and_b32_e32 v16, 3, v34
	v_cmp_ne_u32_e32 vcc, 0, v16
	s_waitcnt lgkmcnt(0)
	v_mov_b32_dpp v17, v11 row_shr:1 row_mask:0xf bank_mask:0xf
	v_cndmask_b32_e32 v17, 0, v17, vcc
	v_add_u32_e32 v11, v17, v11
	v_cmp_lt_u32_e32 vcc, 1, v16
	s_nop 0
	v_mov_b32_dpp v17, v11 row_shr:2 row_mask:0xf bank_mask:0xf
	v_cndmask_b32_e32 v16, 0, v17, vcc
	v_add_u32_e32 v11, v11, v16
	ds_write_b32 v1, v11
.LBB2055_53:
	s_or_b64 exec, exec, s[16:17]
	v_cmp_gt_u32_e32 vcc, 64, v0
	v_cmp_lt_u32_e64 s[16:17], 63, v0
	s_waitcnt lgkmcnt(0)
	s_barrier
	s_waitcnt lgkmcnt(0)
                                        ; implicit-def: $vgpr38
	s_and_saveexec_b64 s[38:39], s[16:17]
	s_cbranch_execz .LBB2055_55
; %bb.54:
	v_lshl_add_u32 v11, v36, 2, -4
	ds_read_b32 v38, v11
	s_waitcnt lgkmcnt(0)
	v_add_u32_e32 v10, v38, v10
.LBB2055_55:
	s_or_b64 exec, exec, s[38:39]
	v_add_u32_e32 v11, -1, v34
	v_and_b32_e32 v16, 64, v34
	v_cmp_lt_i32_e64 s[16:17], v11, v16
	v_cndmask_b32_e64 v11, v11, v34, s[16:17]
	v_lshlrev_b32_e32 v11, 2, v11
	ds_bpermute_b32 v39, v11, v10
	v_cmp_eq_u32_e64 s[16:17], 0, v34
	s_and_saveexec_b64 s[38:39], vcc
	s_cbranch_execz .LBB2055_78
; %bb.56:
	v_mov_b32_e32 v23, 0
	ds_read_b32 v10, v23 offset:12
	s_and_saveexec_b64 s[40:41], s[16:17]
	s_cbranch_execz .LBB2055_58
; %bb.57:
	s_add_i32 s42, s6, 64
	s_mov_b32 s43, 0
	s_lshl_b64 s[42:43], s[42:43], 3
	s_add_u32 s42, s36, s42
	v_mov_b32_e32 v11, 1
	s_addc_u32 s43, s37, s43
	s_waitcnt lgkmcnt(0)
	global_store_dwordx2 v23, v[10:11], s[42:43]
.LBB2055_58:
	s_or_b64 exec, exec, s[40:41]
	v_xad_u32 v16, v34, -1, s6
	v_add_u32_e32 v22, 64, v16
	v_lshlrev_b64 v[18:19], 3, v[22:23]
	v_mov_b32_e32 v11, s37
	v_add_co_u32_e32 v18, vcc, s36, v18
	v_addc_co_u32_e32 v19, vcc, v11, v19, vcc
	global_load_dwordx2 v[20:21], v[18:19], off glc
	s_waitcnt vmcnt(0)
	v_cmp_eq_u16_sdwa s[42:43], v21, v23 src0_sel:BYTE_0 src1_sel:DWORD
	s_and_saveexec_b64 s[40:41], s[42:43]
	s_cbranch_execz .LBB2055_64
; %bb.59:
	s_mov_b32 s7, 1
	s_mov_b64 s[42:43], 0
	v_mov_b32_e32 v11, 0
.LBB2055_60:                            ; =>This Loop Header: Depth=1
                                        ;     Child Loop BB2055_61 Depth 2
	s_max_u32 s25, s7, 1
.LBB2055_61:                            ;   Parent Loop BB2055_60 Depth=1
                                        ; =>  This Inner Loop Header: Depth=2
	s_add_i32 s25, s25, -1
	s_cmp_eq_u32 s25, 0
	s_sleep 1
	s_cbranch_scc0 .LBB2055_61
; %bb.62:                               ;   in Loop: Header=BB2055_60 Depth=1
	global_load_dwordx2 v[20:21], v[18:19], off glc
	s_cmp_lt_u32 s7, 32
	s_cselect_b64 s[44:45], -1, 0
	s_cmp_lg_u64 s[44:45], 0
	s_addc_u32 s7, s7, 0
	s_waitcnt vmcnt(0)
	v_cmp_ne_u16_sdwa s[44:45], v21, v11 src0_sel:BYTE_0 src1_sel:DWORD
	s_or_b64 s[42:43], s[44:45], s[42:43]
	s_andn2_b64 exec, exec, s[42:43]
	s_cbranch_execnz .LBB2055_60
; %bb.63:
	s_or_b64 exec, exec, s[42:43]
.LBB2055_64:
	s_or_b64 exec, exec, s[40:41]
	v_and_b32_e32 v41, 63, v34
	v_mov_b32_e32 v40, 2
	v_cmp_ne_u32_e32 vcc, 63, v41
	v_cmp_eq_u16_sdwa s[40:41], v21, v40 src0_sel:BYTE_0 src1_sel:DWORD
	v_lshlrev_b64 v[18:19], v34, -1
	v_addc_co_u32_e32 v22, vcc, 0, v34, vcc
	v_and_b32_e32 v11, s41, v19
	v_lshlrev_b32_e32 v42, 2, v22
	v_or_b32_e32 v11, 0x80000000, v11
	ds_bpermute_b32 v22, v42, v20
	v_and_b32_e32 v17, s40, v18
	v_ffbl_b32_e32 v11, v11
	v_add_u32_e32 v11, 32, v11
	v_ffbl_b32_e32 v17, v17
	v_min_u32_e32 v11, v17, v11
	v_cmp_lt_u32_e32 vcc, v41, v11
	s_waitcnt lgkmcnt(0)
	v_cndmask_b32_e32 v17, 0, v22, vcc
	v_cmp_gt_u32_e32 vcc, 62, v41
	v_add_u32_e32 v17, v17, v20
	v_cndmask_b32_e64 v20, 0, 1, vcc
	v_lshlrev_b32_e32 v20, 1, v20
	v_add_lshl_u32 v43, v20, v34, 2
	ds_bpermute_b32 v20, v43, v17
	v_add_u32_e32 v44, 2, v41
	v_cmp_le_u32_e32 vcc, v44, v11
	v_add_u32_e32 v46, 4, v41
	v_add_u32_e32 v48, 8, v41
	s_waitcnt lgkmcnt(0)
	v_cndmask_b32_e32 v20, 0, v20, vcc
	v_cmp_gt_u32_e32 vcc, 60, v41
	v_add_u32_e32 v17, v17, v20
	v_cndmask_b32_e64 v20, 0, 1, vcc
	v_lshlrev_b32_e32 v20, 2, v20
	v_add_lshl_u32 v45, v20, v34, 2
	ds_bpermute_b32 v20, v45, v17
	v_cmp_le_u32_e32 vcc, v46, v11
	v_add_u32_e32 v50, 16, v41
	v_add_u32_e32 v52, 32, v41
	s_waitcnt lgkmcnt(0)
	v_cndmask_b32_e32 v20, 0, v20, vcc
	v_cmp_gt_u32_e32 vcc, 56, v41
	v_add_u32_e32 v17, v17, v20
	v_cndmask_b32_e64 v20, 0, 1, vcc
	v_lshlrev_b32_e32 v20, 3, v20
	v_add_lshl_u32 v47, v20, v34, 2
	ds_bpermute_b32 v20, v47, v17
	v_cmp_le_u32_e32 vcc, v48, v11
	s_waitcnt lgkmcnt(0)
	v_cndmask_b32_e32 v20, 0, v20, vcc
	v_cmp_gt_u32_e32 vcc, 48, v41
	v_add_u32_e32 v17, v17, v20
	v_cndmask_b32_e64 v20, 0, 1, vcc
	v_lshlrev_b32_e32 v20, 4, v20
	v_add_lshl_u32 v49, v20, v34, 2
	ds_bpermute_b32 v20, v49, v17
	v_cmp_le_u32_e32 vcc, v50, v11
	;; [unrolled: 9-line block ×3, first 2 shown]
	s_waitcnt lgkmcnt(0)
	v_cndmask_b32_e32 v11, 0, v20, vcc
	v_add_u32_e32 v20, v17, v11
	v_mov_b32_e32 v17, 0
	s_branch .LBB2055_66
.LBB2055_65:                            ;   in Loop: Header=BB2055_66 Depth=1
	s_or_b64 exec, exec, s[40:41]
	v_cmp_eq_u16_sdwa s[40:41], v21, v40 src0_sel:BYTE_0 src1_sel:DWORD
	v_and_b32_e32 v22, s41, v19
	v_or_b32_e32 v22, 0x80000000, v22
	ds_bpermute_b32 v53, v42, v20
	v_and_b32_e32 v23, s40, v18
	v_ffbl_b32_e32 v22, v22
	v_add_u32_e32 v22, 32, v22
	v_ffbl_b32_e32 v23, v23
	v_min_u32_e32 v22, v23, v22
	v_cmp_lt_u32_e32 vcc, v41, v22
	s_waitcnt lgkmcnt(0)
	v_cndmask_b32_e32 v23, 0, v53, vcc
	v_add_u32_e32 v20, v23, v20
	ds_bpermute_b32 v23, v43, v20
	v_cmp_le_u32_e32 vcc, v44, v22
	v_subrev_u32_e32 v16, 64, v16
	s_waitcnt lgkmcnt(0)
	v_cndmask_b32_e32 v23, 0, v23, vcc
	v_add_u32_e32 v20, v20, v23
	ds_bpermute_b32 v23, v45, v20
	v_cmp_le_u32_e32 vcc, v46, v22
	s_waitcnt lgkmcnt(0)
	v_cndmask_b32_e32 v23, 0, v23, vcc
	v_add_u32_e32 v20, v20, v23
	ds_bpermute_b32 v23, v47, v20
	v_cmp_le_u32_e32 vcc, v48, v22
	;; [unrolled: 5-line block ×4, first 2 shown]
	s_waitcnt lgkmcnt(0)
	v_cndmask_b32_e32 v22, 0, v23, vcc
	v_add3_u32 v20, v22, v11, v20
.LBB2055_66:                            ; =>This Loop Header: Depth=1
                                        ;     Child Loop BB2055_69 Depth 2
                                        ;       Child Loop BB2055_70 Depth 3
	v_cmp_ne_u16_sdwa s[40:41], v21, v40 src0_sel:BYTE_0 src1_sel:DWORD
	v_cndmask_b32_e64 v11, 0, 1, s[40:41]
	;;#ASMSTART
	;;#ASMEND
	v_cmp_ne_u32_e32 vcc, 0, v11
	s_cmp_lg_u64 vcc, exec
	v_mov_b32_e32 v11, v20
	s_cbranch_scc1 .LBB2055_73
; %bb.67:                               ;   in Loop: Header=BB2055_66 Depth=1
	v_lshlrev_b64 v[20:21], 3, v[16:17]
	v_mov_b32_e32 v23, s37
	v_add_co_u32_e32 v22, vcc, s36, v20
	v_addc_co_u32_e32 v23, vcc, v23, v21, vcc
	global_load_dwordx2 v[20:21], v[22:23], off glc
	s_waitcnt vmcnt(0)
	v_cmp_eq_u16_sdwa s[42:43], v21, v17 src0_sel:BYTE_0 src1_sel:DWORD
	s_and_saveexec_b64 s[40:41], s[42:43]
	s_cbranch_execz .LBB2055_65
; %bb.68:                               ;   in Loop: Header=BB2055_66 Depth=1
	s_mov_b32 s7, 1
	s_mov_b64 s[42:43], 0
.LBB2055_69:                            ;   Parent Loop BB2055_66 Depth=1
                                        ; =>  This Loop Header: Depth=2
                                        ;       Child Loop BB2055_70 Depth 3
	s_max_u32 s25, s7, 1
.LBB2055_70:                            ;   Parent Loop BB2055_66 Depth=1
                                        ;     Parent Loop BB2055_69 Depth=2
                                        ; =>    This Inner Loop Header: Depth=3
	s_add_i32 s25, s25, -1
	s_cmp_eq_u32 s25, 0
	s_sleep 1
	s_cbranch_scc0 .LBB2055_70
; %bb.71:                               ;   in Loop: Header=BB2055_69 Depth=2
	global_load_dwordx2 v[20:21], v[22:23], off glc
	s_cmp_lt_u32 s7, 32
	s_cselect_b64 s[44:45], -1, 0
	s_cmp_lg_u64 s[44:45], 0
	s_addc_u32 s7, s7, 0
	s_waitcnt vmcnt(0)
	v_cmp_ne_u16_sdwa s[44:45], v21, v17 src0_sel:BYTE_0 src1_sel:DWORD
	s_or_b64 s[42:43], s[44:45], s[42:43]
	s_andn2_b64 exec, exec, s[42:43]
	s_cbranch_execnz .LBB2055_69
; %bb.72:                               ;   in Loop: Header=BB2055_66 Depth=1
	s_or_b64 exec, exec, s[42:43]
	s_branch .LBB2055_65
.LBB2055_73:                            ;   in Loop: Header=BB2055_66 Depth=1
                                        ; implicit-def: $vgpr20
                                        ; implicit-def: $vgpr21
	s_cbranch_execz .LBB2055_66
; %bb.74:
	s_and_saveexec_b64 s[40:41], s[16:17]
	s_cbranch_execz .LBB2055_76
; %bb.75:
	s_add_i32 s6, s6, 64
	s_mov_b32 s7, 0
	s_lshl_b64 s[6:7], s[6:7], 3
	s_add_u32 s6, s36, s6
	v_add_u32_e32 v16, v11, v10
	v_mov_b32_e32 v17, 2
	s_addc_u32 s7, s37, s7
	v_mov_b32_e32 v18, 0
	global_store_dwordx2 v18, v[16:17], s[6:7]
	ds_write_b64 v18, v[10:11] offset:10240
.LBB2055_76:
	s_or_b64 exec, exec, s[40:41]
	v_cmp_eq_u32_e32 vcc, 0, v0
	s_and_b64 exec, exec, vcc
	s_cbranch_execz .LBB2055_78
; %bb.77:
	v_mov_b32_e32 v10, 0
	ds_write_b32 v10, v11 offset:12
.LBB2055_78:
	s_or_b64 exec, exec, s[38:39]
	v_mov_b32_e32 v10, 0
	s_waitcnt lgkmcnt(0)
	s_barrier
	ds_read_b32 v11, v10 offset:12
	v_cndmask_b32_e64 v16, v39, v38, s[16:17]
	v_cmp_ne_u32_e32 vcc, 0, v0
	v_cndmask_b32_e32 v16, 0, v16, vcc
	s_waitcnt lgkmcnt(0)
	v_add_u32_e32 v39, v11, v16
	v_add_u32_sdwa v38, v39, v14 dst_sel:DWORD dst_unused:UNUSED_PAD src0_sel:DWORD src1_sel:BYTE_0
	v_add_u32_sdwa v23, v38, v14 dst_sel:DWORD dst_unused:UNUSED_PAD src0_sel:DWORD src1_sel:BYTE_1
	v_add_u32_e32 v22, v23, v33
	v_add_u32_e32 v21, v22, v28
	;; [unrolled: 1-line block ×3, first 2 shown]
	s_barrier
	ds_read_b64 v[10:11], v10 offset:10240
	v_add_u32_e32 v19, v20, v31
	v_add_u32_e32 v18, v19, v32
	;; [unrolled: 1-line block ×4, first 2 shown]
	s_load_dwordx2 s[4:5], s[4:5], 0x30
	s_branch .LBB2055_89
.LBB2055_79:
                                        ; implicit-def: $vgpr11
                                        ; implicit-def: $vgpr16
                                        ; implicit-def: $vgpr17
                                        ; implicit-def: $vgpr18
                                        ; implicit-def: $vgpr19
                                        ; implicit-def: $vgpr20
                                        ; implicit-def: $vgpr21
                                        ; implicit-def: $vgpr22
                                        ; implicit-def: $vgpr23
                                        ; implicit-def: $vgpr38
                                        ; implicit-def: $vgpr39
	s_load_dwordx2 s[4:5], s[4:5], 0x30
	s_cbranch_execz .LBB2055_89
; %bb.80:
	s_waitcnt lgkmcnt(0)
	v_mov_b32_dpp v10, v37 row_shr:1 row_mask:0xf bank_mask:0xf
	v_cndmask_b32_e64 v10, v10, 0, s[14:15]
	v_add_u32_e32 v10, v10, v37
	s_nop 1
	v_mov_b32_dpp v11, v10 row_shr:2 row_mask:0xf bank_mask:0xf
	v_cndmask_b32_e64 v11, 0, v11, s[12:13]
	v_add_u32_e32 v10, v10, v11
	s_nop 1
	;; [unrolled: 4-line block ×4, first 2 shown]
	v_mov_b32_dpp v11, v10 row_bcast:15 row_mask:0xf bank_mask:0xf
	v_cndmask_b32_e64 v11, v11, 0, s[18:19]
	v_add_u32_e32 v10, v10, v11
	s_nop 1
	v_mov_b32_dpp v11, v10 row_bcast:31 row_mask:0xf bank_mask:0xf
	v_cndmask_b32_e64 v11, 0, v11, s[0:1]
	v_add_u32_e32 v10, v10, v11
	s_and_saveexec_b64 s[0:1], s[2:3]
	s_cbranch_execz .LBB2055_82
; %bb.81:
	v_lshlrev_b32_e32 v11, 2, v36
	ds_write_b32 v11, v10
.LBB2055_82:
	s_or_b64 exec, exec, s[0:1]
	v_cmp_gt_u32_e32 vcc, 4, v0
	s_waitcnt lgkmcnt(0)
	s_barrier
	s_and_saveexec_b64 s[0:1], vcc
	s_cbranch_execz .LBB2055_84
; %bb.83:
	v_mad_i32_i24 v11, v0, -6, v35
	ds_read_b32 v16, v11
	v_and_b32_e32 v17, 3, v34
	v_cmp_ne_u32_e32 vcc, 0, v17
	s_waitcnt lgkmcnt(0)
	v_mov_b32_dpp v18, v16 row_shr:1 row_mask:0xf bank_mask:0xf
	v_cndmask_b32_e32 v18, 0, v18, vcc
	v_add_u32_e32 v16, v18, v16
	v_cmp_lt_u32_e32 vcc, 1, v17
	s_nop 0
	v_mov_b32_dpp v18, v16 row_shr:2 row_mask:0xf bank_mask:0xf
	v_cndmask_b32_e32 v17, 0, v18, vcc
	v_add_u32_e32 v16, v16, v17
	ds_write_b32 v11, v16
.LBB2055_84:
	s_or_b64 exec, exec, s[0:1]
	v_cmp_lt_u32_e32 vcc, 63, v0
	v_mov_b32_e32 v11, 0
	v_mov_b32_e32 v16, 0
	s_waitcnt lgkmcnt(0)
	s_barrier
	s_and_saveexec_b64 s[0:1], vcc
	s_cbranch_execz .LBB2055_86
; %bb.85:
	v_lshl_add_u32 v16, v36, 2, -4
	ds_read_b32 v16, v16
.LBB2055_86:
	s_or_b64 exec, exec, s[0:1]
	v_add_u32_e32 v17, -1, v34
	v_and_b32_e32 v18, 64, v34
	v_cmp_lt_i32_e32 vcc, v17, v18
	v_cndmask_b32_e32 v17, v17, v34, vcc
	s_waitcnt lgkmcnt(0)
	v_add_u32_e32 v10, v16, v10
	v_lshlrev_b32_e32 v17, 2, v17
	ds_bpermute_b32 v17, v17, v10
	ds_read_b32 v10, v11 offset:12
	v_cmp_eq_u32_e32 vcc, 0, v0
	s_and_saveexec_b64 s[0:1], vcc
	s_cbranch_execz .LBB2055_88
; %bb.87:
	v_mov_b32_e32 v18, 0
	v_mov_b32_e32 v11, 2
	s_waitcnt lgkmcnt(0)
	global_store_dwordx2 v18, v[10:11], s[36:37] offset:512
.LBB2055_88:
	s_or_b64 exec, exec, s[0:1]
	v_cmp_eq_u32_e64 s[0:1], 0, v34
	s_waitcnt lgkmcnt(1)
	v_cndmask_b32_e64 v16, v17, v16, s[0:1]
	v_cndmask_b32_e64 v39, v16, 0, vcc
	v_add_u32_sdwa v38, v39, v14 dst_sel:DWORD dst_unused:UNUSED_PAD src0_sel:DWORD src1_sel:BYTE_0
	v_add_u32_sdwa v23, v38, v14 dst_sel:DWORD dst_unused:UNUSED_PAD src0_sel:DWORD src1_sel:BYTE_1
	v_add_u32_e32 v22, v23, v33
	v_add_u32_e32 v21, v22, v28
	;; [unrolled: 1-line block ×6, first 2 shown]
	v_mov_b32_e32 v11, 0
	v_add_u32_e32 v16, v17, v29
	s_waitcnt lgkmcnt(0)
	s_barrier
.LBB2055_89:
	s_waitcnt lgkmcnt(0)
	v_add_u32_e32 v24, v10, v24
	v_sub_u32_e32 v31, v39, v11
	v_and_b32_e32 v33, 1, v14
	v_sub_u32_e32 v32, v24, v31
	v_cmp_eq_u32_e32 vcc, 1, v33
	v_cndmask_b32_e32 v31, v32, v31, vcc
	v_lshlrev_b32_e32 v31, 2, v31
	v_lshrrev_b32_e32 v30, 8, v14
	ds_write_b32 v31, v6
	v_sub_u32_e32 v6, v38, v11
	v_sub_u32_e32 v31, v24, v6
	v_and_b32_e32 v30, 1, v30
	v_add_u32_e32 v31, 1, v31
	v_cmp_eq_u32_e32 vcc, 1, v30
	v_cndmask_b32_e32 v6, v31, v6, vcc
	v_lshlrev_b32_e32 v6, 2, v6
	ds_write_b32 v6, v7
	v_sub_u32_e32 v6, v23, v11
	v_mov_b32_e32 v23, 1
	v_sub_u32_e32 v7, v24, v6
	v_and_b32_sdwa v14, v23, v14 dst_sel:DWORD dst_unused:UNUSED_PAD src0_sel:DWORD src1_sel:WORD_1
	v_add_u32_e32 v7, 2, v7
	v_cmp_eq_u32_e32 vcc, 1, v14
	v_cndmask_b32_e32 v6, v7, v6, vcc
	v_lshlrev_b32_e32 v6, 2, v6
	ds_write_b32 v6, v8
	v_sub_u32_e32 v6, v22, v11
	v_sub_u32_e32 v7, v24, v6
	v_and_b32_e32 v8, 1, v28
	v_add_u32_e32 v7, 3, v7
	v_cmp_eq_u32_e32 vcc, 1, v8
	v_cndmask_b32_e32 v6, v7, v6, vcc
	v_lshlrev_b32_e32 v6, 2, v6
	ds_write_b32 v6, v9
	v_sub_u32_e32 v6, v21, v11
	v_sub_u32_e32 v7, v24, v6
	v_and_b32_e32 v8, 1, v15
	v_add_u32_e32 v7, 4, v7
	v_cmp_eq_u32_e32 vcc, 1, v8
	v_cndmask_b32_e32 v6, v7, v6, vcc
	v_lshlrev_b32_e32 v6, 2, v6
	v_lshrrev_b32_e32 v29, 8, v15
	ds_write_b32 v6, v2
	v_sub_u32_e32 v2, v20, v11
	v_sub_u32_e32 v6, v24, v2
	v_and_b32_e32 v7, 1, v29
	v_add_u32_e32 v6, 5, v6
	v_cmp_eq_u32_e32 vcc, 1, v7
	v_cndmask_b32_e32 v2, v6, v2, vcc
	v_lshlrev_b32_e32 v2, 2, v2
	ds_write_b32 v2, v3
	v_sub_u32_e32 v2, v19, v11
	v_sub_u32_e32 v3, v24, v2
	v_and_b32_sdwa v6, v23, v15 dst_sel:DWORD dst_unused:UNUSED_PAD src0_sel:DWORD src1_sel:WORD_1
	v_add_u32_e32 v3, 6, v3
	v_cmp_eq_u32_e32 vcc, 1, v6
	v_cndmask_b32_e32 v2, v3, v2, vcc
	v_lshlrev_b32_e32 v2, 2, v2
	ds_write_b32 v2, v4
	v_sub_u32_e32 v2, v18, v11
	v_sub_u32_e32 v3, v24, v2
	v_and_b32_e32 v4, 1, v27
	v_add_u32_e32 v3, 7, v3
	v_cmp_eq_u32_e32 vcc, 1, v4
	v_cndmask_b32_e32 v2, v3, v2, vcc
	v_lshlrev_b32_e32 v2, 2, v2
	ds_write_b32 v2, v5
	v_sub_u32_e32 v2, v17, v11
	v_sub_u32_e32 v3, v24, v2
	v_and_b32_e32 v4, 1, v26
	;; [unrolled: 8-line block ×3, first 2 shown]
	v_add_u32_e32 v3, 9, v3
	v_cmp_eq_u32_e32 vcc, 1, v4
	v_cndmask_b32_e32 v2, v3, v2, vcc
	s_add_u32 s0, s26, s24
	v_lshlrev_b32_e32 v2, 2, v2
	s_addc_u32 s1, s27, 0
	ds_write_b32 v2, v13
	s_waitcnt lgkmcnt(0)
	s_barrier
	ds_read2st64_b32 v[12:13], v1 offset1:4
	ds_read2st64_b32 v[8:9], v1 offset0:8 offset1:12
	ds_read2st64_b32 v[6:7], v1 offset0:16 offset1:20
	ds_read2st64_b32 v[4:5], v1 offset0:24 offset1:28
	ds_read2st64_b32 v[2:3], v1 offset0:32 offset1:36
	v_mov_b32_e32 v14, s31
	v_add_co_u32_e32 v1, vcc, s30, v11
	s_sub_u32 s0, s28, s0
	v_addc_co_u32_e32 v11, vcc, 0, v14, vcc
	s_subb_u32 s1, s29, s1
	v_mov_b32_e32 v14, s1
	v_add_co_u32_e32 v15, vcc, s0, v10
	v_addc_co_u32_e32 v14, vcc, 0, v14, vcc
	v_add_co_u32_e64 v17, s[0:1], v15, v1
	v_or_b32_e32 v26, 0x100, v0
	v_or_b32_e32 v25, 0x200, v0
	;; [unrolled: 1-line block ×9, first 2 shown]
	s_andn2_b64 vcc, exec, s[34:35]
	v_addc_co_u32_e64 v18, s[0:1], v14, v11, s[0:1]
	s_cbranch_vccnz .LBB2055_131
; %bb.90:
	v_cmp_ge_u32_e32 vcc, v0, v10
                                        ; implicit-def: $vgpr14_vgpr15
	s_and_saveexec_b64 s[0:1], vcc
	s_xor_b64 s[0:1], exec, s[0:1]
; %bb.91:
	v_not_b32_e32 v14, v0
	v_ashrrev_i32_e32 v15, 31, v14
	v_add_co_u32_e32 v14, vcc, v17, v14
	v_addc_co_u32_e32 v15, vcc, v18, v15, vcc
; %bb.92:
	s_andn2_saveexec_b64 s[0:1], s[0:1]
; %bb.93:
	v_add_co_u32_e32 v14, vcc, v1, v0
	v_addc_co_u32_e32 v15, vcc, 0, v11, vcc
; %bb.94:
	s_or_b64 exec, exec, s[0:1]
	v_lshlrev_b64 v[14:15], 2, v[14:15]
	v_mov_b32_e32 v27, s5
	v_add_co_u32_e32 v14, vcc, s4, v14
	v_addc_co_u32_e32 v15, vcc, v27, v15, vcc
	v_cmp_ge_u32_e32 vcc, v26, v10
	s_waitcnt lgkmcnt(4)
	global_store_dword v[14:15], v12, off
                                        ; implicit-def: $vgpr14_vgpr15
	s_and_saveexec_b64 s[0:1], vcc
	s_xor_b64 s[0:1], exec, s[0:1]
; %bb.95:
	v_xor_b32_e32 v14, 0xfffffeff, v0
	v_ashrrev_i32_e32 v15, 31, v14
	v_add_co_u32_e32 v14, vcc, v17, v14
	v_addc_co_u32_e32 v15, vcc, v18, v15, vcc
; %bb.96:
	s_andn2_saveexec_b64 s[0:1], s[0:1]
; %bb.97:
	v_add_co_u32_e32 v14, vcc, v1, v26
	v_addc_co_u32_e32 v15, vcc, 0, v11, vcc
; %bb.98:
	s_or_b64 exec, exec, s[0:1]
	v_lshlrev_b64 v[14:15], 2, v[14:15]
	v_mov_b32_e32 v27, s5
	v_add_co_u32_e32 v14, vcc, s4, v14
	v_addc_co_u32_e32 v15, vcc, v27, v15, vcc
	v_cmp_ge_u32_e32 vcc, v25, v10
	global_store_dword v[14:15], v13, off
                                        ; implicit-def: $vgpr14_vgpr15
	s_and_saveexec_b64 s[0:1], vcc
	s_xor_b64 s[0:1], exec, s[0:1]
; %bb.99:
	v_xor_b32_e32 v14, 0xfffffdff, v0
	v_ashrrev_i32_e32 v15, 31, v14
	v_add_co_u32_e32 v14, vcc, v17, v14
	v_addc_co_u32_e32 v15, vcc, v18, v15, vcc
; %bb.100:
	s_andn2_saveexec_b64 s[0:1], s[0:1]
; %bb.101:
	v_add_co_u32_e32 v14, vcc, v1, v25
	v_addc_co_u32_e32 v15, vcc, 0, v11, vcc
; %bb.102:
	s_or_b64 exec, exec, s[0:1]
	v_lshlrev_b64 v[14:15], 2, v[14:15]
	v_mov_b32_e32 v27, s5
	v_add_co_u32_e32 v14, vcc, s4, v14
	v_addc_co_u32_e32 v15, vcc, v27, v15, vcc
	v_cmp_ge_u32_e32 vcc, v24, v10
	s_waitcnt lgkmcnt(3)
	global_store_dword v[14:15], v8, off
                                        ; implicit-def: $vgpr14_vgpr15
	s_and_saveexec_b64 s[0:1], vcc
	s_xor_b64 s[0:1], exec, s[0:1]
; %bb.103:
	v_xor_b32_e32 v14, 0xfffffcff, v0
	v_ashrrev_i32_e32 v15, 31, v14
	v_add_co_u32_e32 v14, vcc, v17, v14
	v_addc_co_u32_e32 v15, vcc, v18, v15, vcc
; %bb.104:
	s_andn2_saveexec_b64 s[0:1], s[0:1]
; %bb.105:
	v_add_co_u32_e32 v14, vcc, v1, v24
	v_addc_co_u32_e32 v15, vcc, 0, v11, vcc
; %bb.106:
	s_or_b64 exec, exec, s[0:1]
	v_lshlrev_b64 v[14:15], 2, v[14:15]
	v_mov_b32_e32 v27, s5
	v_add_co_u32_e32 v14, vcc, s4, v14
	v_addc_co_u32_e32 v15, vcc, v27, v15, vcc
	v_cmp_ge_u32_e32 vcc, v23, v10
	global_store_dword v[14:15], v9, off
                                        ; implicit-def: $vgpr14_vgpr15
	s_and_saveexec_b64 s[0:1], vcc
	s_xor_b64 s[0:1], exec, s[0:1]
; %bb.107:
	v_xor_b32_e32 v14, 0xfffffbff, v0
	;; [unrolled: 43-line block ×4, first 2 shown]
	v_ashrrev_i32_e32 v15, 31, v14
	v_add_co_u32_e32 v14, vcc, v17, v14
	v_addc_co_u32_e32 v15, vcc, v18, v15, vcc
; %bb.124:
	s_andn2_saveexec_b64 s[0:1], s[0:1]
; %bb.125:
	v_add_co_u32_e32 v14, vcc, v1, v19
	v_addc_co_u32_e32 v15, vcc, 0, v11, vcc
; %bb.126:
	s_or_b64 exec, exec, s[0:1]
	v_lshlrev_b64 v[14:15], 2, v[14:15]
	v_mov_b32_e32 v27, s5
	v_add_co_u32_e32 v14, vcc, s4, v14
	v_addc_co_u32_e32 v15, vcc, v27, v15, vcc
	v_cmp_ge_u32_e32 vcc, v16, v10
	s_waitcnt lgkmcnt(0)
	global_store_dword v[14:15], v2, off
                                        ; implicit-def: $vgpr14_vgpr15
	s_and_saveexec_b64 s[0:1], vcc
	s_xor_b64 s[0:1], exec, s[0:1]
; %bb.127:
	v_xor_b32_e32 v14, 0xfffff6ff, v0
	v_ashrrev_i32_e32 v15, 31, v14
	v_add_co_u32_e32 v14, vcc, v17, v14
	v_addc_co_u32_e32 v15, vcc, v18, v15, vcc
; %bb.128:
	s_andn2_saveexec_b64 s[0:1], s[0:1]
; %bb.129:
	v_add_co_u32_e32 v14, vcc, v1, v16
	v_addc_co_u32_e32 v15, vcc, 0, v11, vcc
; %bb.130:
	s_or_b64 exec, exec, s[0:1]
	s_mov_b64 s[0:1], -1
	s_branch .LBB2055_193
.LBB2055_131:
	s_mov_b64 s[0:1], 0
                                        ; implicit-def: $vgpr14_vgpr15
	s_cbranch_execz .LBB2055_193
; %bb.132:
	v_cmp_gt_u32_e32 vcc, s33, v0
	s_and_saveexec_b64 s[2:3], vcc
	s_cbranch_execz .LBB2055_158
; %bb.133:
	v_cmp_ge_u32_e32 vcc, v0, v10
                                        ; implicit-def: $vgpr14_vgpr15
	s_and_saveexec_b64 s[6:7], vcc
	s_xor_b64 s[6:7], exec, s[6:7]
; %bb.134:
	v_not_b32_e32 v14, v0
	v_ashrrev_i32_e32 v15, 31, v14
	v_add_co_u32_e32 v14, vcc, v17, v14
	v_addc_co_u32_e32 v15, vcc, v18, v15, vcc
; %bb.135:
	s_andn2_saveexec_b64 s[6:7], s[6:7]
; %bb.136:
	v_add_co_u32_e32 v14, vcc, v1, v0
	v_addc_co_u32_e32 v15, vcc, 0, v11, vcc
; %bb.137:
	s_or_b64 exec, exec, s[6:7]
	v_lshlrev_b64 v[14:15], 2, v[14:15]
	v_mov_b32_e32 v27, s5
	v_add_co_u32_e32 v14, vcc, s4, v14
	v_addc_co_u32_e32 v15, vcc, v27, v15, vcc
	s_waitcnt lgkmcnt(4)
	global_store_dword v[14:15], v12, off
	s_or_b64 exec, exec, s[2:3]
	v_cmp_gt_u32_e32 vcc, s33, v26
	s_and_saveexec_b64 s[2:3], vcc
	s_cbranch_execnz .LBB2055_159
.LBB2055_138:
	s_or_b64 exec, exec, s[2:3]
	v_cmp_gt_u32_e32 vcc, s33, v25
	s_and_saveexec_b64 s[2:3], vcc
	s_cbranch_execz .LBB2055_164
.LBB2055_139:
	v_cmp_ge_u32_e32 vcc, v25, v10
                                        ; implicit-def: $vgpr12_vgpr13
	s_and_saveexec_b64 s[6:7], vcc
	s_xor_b64 s[6:7], exec, s[6:7]
	s_cbranch_execz .LBB2055_141
; %bb.140:
	s_waitcnt lgkmcnt(4)
	v_xor_b32_e32 v12, 0xfffffdff, v0
	v_ashrrev_i32_e32 v13, 31, v12
	v_add_co_u32_e32 v12, vcc, v17, v12
	v_addc_co_u32_e32 v13, vcc, v18, v13, vcc
                                        ; implicit-def: $vgpr25
.LBB2055_141:
	s_andn2_saveexec_b64 s[6:7], s[6:7]
	s_cbranch_execz .LBB2055_143
; %bb.142:
	s_waitcnt lgkmcnt(4)
	v_add_co_u32_e32 v12, vcc, v1, v25
	v_addc_co_u32_e32 v13, vcc, 0, v11, vcc
.LBB2055_143:
	s_or_b64 exec, exec, s[6:7]
	s_waitcnt lgkmcnt(4)
	v_lshlrev_b64 v[12:13], 2, v[12:13]
	v_mov_b32_e32 v14, s5
	v_add_co_u32_e32 v12, vcc, s4, v12
	v_addc_co_u32_e32 v13, vcc, v14, v13, vcc
	s_waitcnt lgkmcnt(3)
	global_store_dword v[12:13], v8, off
	s_or_b64 exec, exec, s[2:3]
	v_cmp_gt_u32_e32 vcc, s33, v24
	s_and_saveexec_b64 s[2:3], vcc
	s_cbranch_execnz .LBB2055_165
.LBB2055_144:
	s_or_b64 exec, exec, s[2:3]
	v_cmp_gt_u32_e32 vcc, s33, v23
	s_and_saveexec_b64 s[2:3], vcc
	s_cbranch_execz .LBB2055_170
.LBB2055_145:
	v_cmp_ge_u32_e32 vcc, v23, v10
                                        ; implicit-def: $vgpr8_vgpr9
	s_and_saveexec_b64 s[6:7], vcc
	s_xor_b64 s[6:7], exec, s[6:7]
	s_cbranch_execz .LBB2055_147
; %bb.146:
	s_waitcnt lgkmcnt(3)
	v_xor_b32_e32 v8, 0xfffffbff, v0
	v_ashrrev_i32_e32 v9, 31, v8
	v_add_co_u32_e32 v8, vcc, v17, v8
	v_addc_co_u32_e32 v9, vcc, v18, v9, vcc
                                        ; implicit-def: $vgpr23
.LBB2055_147:
	s_andn2_saveexec_b64 s[6:7], s[6:7]
	s_cbranch_execz .LBB2055_149
; %bb.148:
	s_waitcnt lgkmcnt(3)
	v_add_co_u32_e32 v8, vcc, v1, v23
	v_addc_co_u32_e32 v9, vcc, 0, v11, vcc
.LBB2055_149:
	s_or_b64 exec, exec, s[6:7]
	s_waitcnt lgkmcnt(3)
	v_lshlrev_b64 v[8:9], 2, v[8:9]
	v_mov_b32_e32 v12, s5
	v_add_co_u32_e32 v8, vcc, s4, v8
	v_addc_co_u32_e32 v9, vcc, v12, v9, vcc
	s_waitcnt lgkmcnt(2)
	global_store_dword v[8:9], v6, off
	s_or_b64 exec, exec, s[2:3]
	v_cmp_gt_u32_e32 vcc, s33, v22
	s_and_saveexec_b64 s[2:3], vcc
	s_cbranch_execnz .LBB2055_171
.LBB2055_150:
	s_or_b64 exec, exec, s[2:3]
	v_cmp_gt_u32_e32 vcc, s33, v21
	s_and_saveexec_b64 s[2:3], vcc
	s_cbranch_execz .LBB2055_176
.LBB2055_151:
	v_cmp_ge_u32_e32 vcc, v21, v10
                                        ; implicit-def: $vgpr6_vgpr7
	s_and_saveexec_b64 s[6:7], vcc
	s_xor_b64 s[6:7], exec, s[6:7]
	s_cbranch_execz .LBB2055_153
; %bb.152:
	s_waitcnt lgkmcnt(2)
	v_xor_b32_e32 v6, 0xfffff9ff, v0
	v_ashrrev_i32_e32 v7, 31, v6
	v_add_co_u32_e32 v6, vcc, v17, v6
	v_addc_co_u32_e32 v7, vcc, v18, v7, vcc
                                        ; implicit-def: $vgpr21
.LBB2055_153:
	s_andn2_saveexec_b64 s[6:7], s[6:7]
	s_cbranch_execz .LBB2055_155
; %bb.154:
	s_waitcnt lgkmcnt(2)
	v_add_co_u32_e32 v6, vcc, v1, v21
	v_addc_co_u32_e32 v7, vcc, 0, v11, vcc
.LBB2055_155:
	s_or_b64 exec, exec, s[6:7]
	s_waitcnt lgkmcnt(2)
	v_lshlrev_b64 v[6:7], 2, v[6:7]
	v_mov_b32_e32 v8, s5
	v_add_co_u32_e32 v6, vcc, s4, v6
	v_addc_co_u32_e32 v7, vcc, v8, v7, vcc
	s_waitcnt lgkmcnt(1)
	global_store_dword v[6:7], v4, off
	s_or_b64 exec, exec, s[2:3]
	v_cmp_gt_u32_e32 vcc, s33, v20
	s_and_saveexec_b64 s[2:3], vcc
	s_cbranch_execnz .LBB2055_177
.LBB2055_156:
	s_or_b64 exec, exec, s[2:3]
	v_cmp_gt_u32_e32 vcc, s33, v19
	s_and_saveexec_b64 s[2:3], vcc
	s_cbranch_execnz .LBB2055_182
.LBB2055_157:
	s_or_b64 exec, exec, s[2:3]
	v_cmp_gt_u32_e32 vcc, s33, v16
                                        ; implicit-def: $vgpr14_vgpr15
	s_and_saveexec_b64 s[2:3], vcc
	s_cbranch_execz .LBB2055_192
	s_branch .LBB2055_187
.LBB2055_158:
	s_or_b64 exec, exec, s[2:3]
	v_cmp_gt_u32_e32 vcc, s33, v26
	s_and_saveexec_b64 s[2:3], vcc
	s_cbranch_execz .LBB2055_138
.LBB2055_159:
	v_cmp_ge_u32_e32 vcc, v26, v10
                                        ; implicit-def: $vgpr14_vgpr15
	s_and_saveexec_b64 s[6:7], vcc
	s_xor_b64 s[6:7], exec, s[6:7]
	s_cbranch_execz .LBB2055_161
; %bb.160:
	s_waitcnt lgkmcnt(4)
	v_xor_b32_e32 v12, 0xfffffeff, v0
	v_ashrrev_i32_e32 v15, 31, v12
	v_add_co_u32_e32 v14, vcc, v17, v12
	v_addc_co_u32_e32 v15, vcc, v18, v15, vcc
                                        ; implicit-def: $vgpr26
.LBB2055_161:
	s_andn2_saveexec_b64 s[6:7], s[6:7]
; %bb.162:
	v_add_co_u32_e32 v14, vcc, v1, v26
	v_addc_co_u32_e32 v15, vcc, 0, v11, vcc
; %bb.163:
	s_or_b64 exec, exec, s[6:7]
	v_lshlrev_b64 v[14:15], 2, v[14:15]
	s_waitcnt lgkmcnt(4)
	v_mov_b32_e32 v12, s5
	v_add_co_u32_e32 v14, vcc, s4, v14
	v_addc_co_u32_e32 v15, vcc, v12, v15, vcc
	global_store_dword v[14:15], v13, off
	s_or_b64 exec, exec, s[2:3]
	v_cmp_gt_u32_e32 vcc, s33, v25
	s_and_saveexec_b64 s[2:3], vcc
	s_cbranch_execnz .LBB2055_139
.LBB2055_164:
	s_or_b64 exec, exec, s[2:3]
	v_cmp_gt_u32_e32 vcc, s33, v24
	s_and_saveexec_b64 s[2:3], vcc
	s_cbranch_execz .LBB2055_144
.LBB2055_165:
	v_cmp_ge_u32_e32 vcc, v24, v10
                                        ; implicit-def: $vgpr12_vgpr13
	s_and_saveexec_b64 s[6:7], vcc
	s_xor_b64 s[6:7], exec, s[6:7]
	s_cbranch_execz .LBB2055_167
; %bb.166:
	s_waitcnt lgkmcnt(3)
	v_xor_b32_e32 v8, 0xfffffcff, v0
	v_ashrrev_i32_e32 v13, 31, v8
	v_add_co_u32_e32 v12, vcc, v17, v8
	v_addc_co_u32_e32 v13, vcc, v18, v13, vcc
                                        ; implicit-def: $vgpr24
.LBB2055_167:
	s_andn2_saveexec_b64 s[6:7], s[6:7]
	s_cbranch_execz .LBB2055_169
; %bb.168:
	s_waitcnt lgkmcnt(4)
	v_add_co_u32_e32 v12, vcc, v1, v24
	v_addc_co_u32_e32 v13, vcc, 0, v11, vcc
.LBB2055_169:
	s_or_b64 exec, exec, s[6:7]
	s_waitcnt lgkmcnt(4)
	v_lshlrev_b64 v[12:13], 2, v[12:13]
	s_waitcnt lgkmcnt(3)
	v_mov_b32_e32 v8, s5
	v_add_co_u32_e32 v12, vcc, s4, v12
	v_addc_co_u32_e32 v13, vcc, v8, v13, vcc
	global_store_dword v[12:13], v9, off
	s_or_b64 exec, exec, s[2:3]
	v_cmp_gt_u32_e32 vcc, s33, v23
	s_and_saveexec_b64 s[2:3], vcc
	s_cbranch_execnz .LBB2055_145
.LBB2055_170:
	s_or_b64 exec, exec, s[2:3]
	v_cmp_gt_u32_e32 vcc, s33, v22
	s_and_saveexec_b64 s[2:3], vcc
	s_cbranch_execz .LBB2055_150
.LBB2055_171:
	v_cmp_ge_u32_e32 vcc, v22, v10
                                        ; implicit-def: $vgpr8_vgpr9
	s_and_saveexec_b64 s[6:7], vcc
	s_xor_b64 s[6:7], exec, s[6:7]
	s_cbranch_execz .LBB2055_173
; %bb.172:
	s_waitcnt lgkmcnt(2)
	v_xor_b32_e32 v6, 0xfffffaff, v0
	v_ashrrev_i32_e32 v9, 31, v6
	v_add_co_u32_e32 v8, vcc, v17, v6
	v_addc_co_u32_e32 v9, vcc, v18, v9, vcc
                                        ; implicit-def: $vgpr22
.LBB2055_173:
	s_andn2_saveexec_b64 s[6:7], s[6:7]
	s_cbranch_execz .LBB2055_175
; %bb.174:
	s_waitcnt lgkmcnt(3)
	v_add_co_u32_e32 v8, vcc, v1, v22
	v_addc_co_u32_e32 v9, vcc, 0, v11, vcc
.LBB2055_175:
	s_or_b64 exec, exec, s[6:7]
	s_waitcnt lgkmcnt(3)
	v_lshlrev_b64 v[8:9], 2, v[8:9]
	s_waitcnt lgkmcnt(2)
	v_mov_b32_e32 v6, s5
	v_add_co_u32_e32 v8, vcc, s4, v8
	v_addc_co_u32_e32 v9, vcc, v6, v9, vcc
	global_store_dword v[8:9], v7, off
	s_or_b64 exec, exec, s[2:3]
	v_cmp_gt_u32_e32 vcc, s33, v21
	s_and_saveexec_b64 s[2:3], vcc
	s_cbranch_execnz .LBB2055_151
.LBB2055_176:
	s_or_b64 exec, exec, s[2:3]
	v_cmp_gt_u32_e32 vcc, s33, v20
	s_and_saveexec_b64 s[2:3], vcc
	s_cbranch_execz .LBB2055_156
.LBB2055_177:
	v_cmp_ge_u32_e32 vcc, v20, v10
                                        ; implicit-def: $vgpr6_vgpr7
	s_and_saveexec_b64 s[6:7], vcc
	s_xor_b64 s[6:7], exec, s[6:7]
	s_cbranch_execz .LBB2055_179
; %bb.178:
	s_waitcnt lgkmcnt(1)
	v_xor_b32_e32 v4, 0xfffff8ff, v0
	v_ashrrev_i32_e32 v7, 31, v4
	v_add_co_u32_e32 v6, vcc, v17, v4
	v_addc_co_u32_e32 v7, vcc, v18, v7, vcc
                                        ; implicit-def: $vgpr20
.LBB2055_179:
	s_andn2_saveexec_b64 s[6:7], s[6:7]
	s_cbranch_execz .LBB2055_181
; %bb.180:
	s_waitcnt lgkmcnt(2)
	v_add_co_u32_e32 v6, vcc, v1, v20
	v_addc_co_u32_e32 v7, vcc, 0, v11, vcc
.LBB2055_181:
	s_or_b64 exec, exec, s[6:7]
	s_waitcnt lgkmcnt(2)
	v_lshlrev_b64 v[6:7], 2, v[6:7]
	s_waitcnt lgkmcnt(1)
	v_mov_b32_e32 v4, s5
	v_add_co_u32_e32 v6, vcc, s4, v6
	v_addc_co_u32_e32 v7, vcc, v4, v7, vcc
	global_store_dword v[6:7], v5, off
	s_or_b64 exec, exec, s[2:3]
	v_cmp_gt_u32_e32 vcc, s33, v19
	s_and_saveexec_b64 s[2:3], vcc
	s_cbranch_execz .LBB2055_157
.LBB2055_182:
	v_cmp_ge_u32_e32 vcc, v19, v10
                                        ; implicit-def: $vgpr4_vgpr5
	s_and_saveexec_b64 s[6:7], vcc
	s_xor_b64 s[6:7], exec, s[6:7]
	s_cbranch_execz .LBB2055_184
; %bb.183:
	s_waitcnt lgkmcnt(1)
	v_xor_b32_e32 v4, 0xfffff7ff, v0
	v_ashrrev_i32_e32 v5, 31, v4
	v_add_co_u32_e32 v4, vcc, v17, v4
	v_addc_co_u32_e32 v5, vcc, v18, v5, vcc
                                        ; implicit-def: $vgpr19
.LBB2055_184:
	s_andn2_saveexec_b64 s[6:7], s[6:7]
	s_cbranch_execz .LBB2055_186
; %bb.185:
	s_waitcnt lgkmcnt(1)
	v_add_co_u32_e32 v4, vcc, v1, v19
	v_addc_co_u32_e32 v5, vcc, 0, v11, vcc
.LBB2055_186:
	s_or_b64 exec, exec, s[6:7]
	s_waitcnt lgkmcnt(1)
	v_lshlrev_b64 v[4:5], 2, v[4:5]
	v_mov_b32_e32 v6, s5
	v_add_co_u32_e32 v4, vcc, s4, v4
	v_addc_co_u32_e32 v5, vcc, v6, v5, vcc
	s_waitcnt lgkmcnt(0)
	global_store_dword v[4:5], v2, off
	s_or_b64 exec, exec, s[2:3]
	v_cmp_gt_u32_e32 vcc, s33, v16
                                        ; implicit-def: $vgpr14_vgpr15
	s_and_saveexec_b64 s[2:3], vcc
	s_cbranch_execz .LBB2055_192
.LBB2055_187:
	v_cmp_ge_u32_e32 vcc, v16, v10
                                        ; implicit-def: $vgpr14_vgpr15
	s_and_saveexec_b64 s[6:7], vcc
	s_xor_b64 s[6:7], exec, s[6:7]
	s_cbranch_execz .LBB2055_189
; %bb.188:
	s_waitcnt lgkmcnt(0)
	v_xor_b32_e32 v2, 0xfffff6ff, v0
	v_ashrrev_i32_e32 v4, 31, v2
	v_add_co_u32_e32 v14, vcc, v17, v2
	v_addc_co_u32_e32 v15, vcc, v18, v4, vcc
                                        ; implicit-def: $vgpr16
.LBB2055_189:
	s_andn2_saveexec_b64 s[6:7], s[6:7]
; %bb.190:
	v_add_co_u32_e32 v14, vcc, v1, v16
	v_addc_co_u32_e32 v15, vcc, 0, v11, vcc
; %bb.191:
	s_or_b64 exec, exec, s[6:7]
	s_or_b64 s[0:1], s[0:1], exec
.LBB2055_192:
	s_or_b64 exec, exec, s[2:3]
.LBB2055_193:
	s_and_saveexec_b64 s[2:3], s[0:1]
	s_cbranch_execz .LBB2055_195
; %bb.194:
	s_waitcnt lgkmcnt(1)
	v_lshlrev_b64 v[4:5], 2, v[14:15]
	s_waitcnt lgkmcnt(0)
	v_mov_b32_e32 v2, s5
	v_add_co_u32_e32 v4, vcc, s4, v4
	v_addc_co_u32_e32 v5, vcc, v2, v5, vcc
	global_store_dword v[4:5], v3, off
.LBB2055_195:
	s_or_b64 exec, exec, s[2:3]
	v_cmp_eq_u32_e32 vcc, 0, v0
	s_and_b64 s[0:1], vcc, s[22:23]
	s_and_saveexec_b64 s[2:3], s[0:1]
	s_cbranch_execz .LBB2055_197
; %bb.196:
	v_add_co_u32_e32 v0, vcc, v1, v10
	s_waitcnt lgkmcnt(0)
	v_mov_b32_e32 v2, 0
	v_addc_co_u32_e32 v1, vcc, 0, v11, vcc
	global_store_dwordx2 v2, v[0:1], s[20:21]
.LBB2055_197:
	s_endpgm
	.section	.rodata,"a",@progbits
	.p2align	6, 0x0
	.amdhsa_kernel _ZN7rocprim17ROCPRIM_400000_NS6detail17trampoline_kernelINS0_14default_configENS1_25partition_config_selectorILNS1_17partition_subalgoE2EjNS0_10empty_typeEbEEZZNS1_14partition_implILS5_2ELb0ES3_jN6thrust23THRUST_200600_302600_NS6detail15normal_iteratorINSA_7pointerIjNSA_11hip_rocprim3tagENSA_11use_defaultESG_EEEEPS6_NSA_18transform_iteratorI7is_evenIjENSC_INSA_10device_ptrIjEEEESG_SG_EENS0_5tupleIJPjSJ_EEENSR_IJSJ_SJ_EEES6_PlJS6_EEE10hipError_tPvRmT3_T4_T5_T6_T7_T9_mT8_P12ihipStream_tbDpT10_ENKUlT_T0_E_clISt17integral_constantIbLb1EES1E_IbLb0EEEEDaS1A_S1B_EUlS1A_E_NS1_11comp_targetILNS1_3genE4ELNS1_11target_archE910ELNS1_3gpuE8ELNS1_3repE0EEENS1_30default_config_static_selectorELNS0_4arch9wavefront6targetE1EEEvT1_
		.amdhsa_group_segment_fixed_size 10248
		.amdhsa_private_segment_fixed_size 0
		.amdhsa_kernarg_size 128
		.amdhsa_user_sgpr_count 6
		.amdhsa_user_sgpr_private_segment_buffer 1
		.amdhsa_user_sgpr_dispatch_ptr 0
		.amdhsa_user_sgpr_queue_ptr 0
		.amdhsa_user_sgpr_kernarg_segment_ptr 1
		.amdhsa_user_sgpr_dispatch_id 0
		.amdhsa_user_sgpr_flat_scratch_init 0
		.amdhsa_user_sgpr_kernarg_preload_length 0
		.amdhsa_user_sgpr_kernarg_preload_offset 0
		.amdhsa_user_sgpr_private_segment_size 0
		.amdhsa_uses_dynamic_stack 0
		.amdhsa_system_sgpr_private_segment_wavefront_offset 0
		.amdhsa_system_sgpr_workgroup_id_x 1
		.amdhsa_system_sgpr_workgroup_id_y 0
		.amdhsa_system_sgpr_workgroup_id_z 0
		.amdhsa_system_sgpr_workgroup_info 0
		.amdhsa_system_vgpr_workitem_id 0
		.amdhsa_next_free_vgpr 54
		.amdhsa_next_free_sgpr 46
		.amdhsa_accum_offset 56
		.amdhsa_reserve_vcc 1
		.amdhsa_reserve_flat_scratch 0
		.amdhsa_float_round_mode_32 0
		.amdhsa_float_round_mode_16_64 0
		.amdhsa_float_denorm_mode_32 3
		.amdhsa_float_denorm_mode_16_64 3
		.amdhsa_dx10_clamp 1
		.amdhsa_ieee_mode 1
		.amdhsa_fp16_overflow 0
		.amdhsa_tg_split 0
		.amdhsa_exception_fp_ieee_invalid_op 0
		.amdhsa_exception_fp_denorm_src 0
		.amdhsa_exception_fp_ieee_div_zero 0
		.amdhsa_exception_fp_ieee_overflow 0
		.amdhsa_exception_fp_ieee_underflow 0
		.amdhsa_exception_fp_ieee_inexact 0
		.amdhsa_exception_int_div_zero 0
	.end_amdhsa_kernel
	.section	.text._ZN7rocprim17ROCPRIM_400000_NS6detail17trampoline_kernelINS0_14default_configENS1_25partition_config_selectorILNS1_17partition_subalgoE2EjNS0_10empty_typeEbEEZZNS1_14partition_implILS5_2ELb0ES3_jN6thrust23THRUST_200600_302600_NS6detail15normal_iteratorINSA_7pointerIjNSA_11hip_rocprim3tagENSA_11use_defaultESG_EEEEPS6_NSA_18transform_iteratorI7is_evenIjENSC_INSA_10device_ptrIjEEEESG_SG_EENS0_5tupleIJPjSJ_EEENSR_IJSJ_SJ_EEES6_PlJS6_EEE10hipError_tPvRmT3_T4_T5_T6_T7_T9_mT8_P12ihipStream_tbDpT10_ENKUlT_T0_E_clISt17integral_constantIbLb1EES1E_IbLb0EEEEDaS1A_S1B_EUlS1A_E_NS1_11comp_targetILNS1_3genE4ELNS1_11target_archE910ELNS1_3gpuE8ELNS1_3repE0EEENS1_30default_config_static_selectorELNS0_4arch9wavefront6targetE1EEEvT1_,"axG",@progbits,_ZN7rocprim17ROCPRIM_400000_NS6detail17trampoline_kernelINS0_14default_configENS1_25partition_config_selectorILNS1_17partition_subalgoE2EjNS0_10empty_typeEbEEZZNS1_14partition_implILS5_2ELb0ES3_jN6thrust23THRUST_200600_302600_NS6detail15normal_iteratorINSA_7pointerIjNSA_11hip_rocprim3tagENSA_11use_defaultESG_EEEEPS6_NSA_18transform_iteratorI7is_evenIjENSC_INSA_10device_ptrIjEEEESG_SG_EENS0_5tupleIJPjSJ_EEENSR_IJSJ_SJ_EEES6_PlJS6_EEE10hipError_tPvRmT3_T4_T5_T6_T7_T9_mT8_P12ihipStream_tbDpT10_ENKUlT_T0_E_clISt17integral_constantIbLb1EES1E_IbLb0EEEEDaS1A_S1B_EUlS1A_E_NS1_11comp_targetILNS1_3genE4ELNS1_11target_archE910ELNS1_3gpuE8ELNS1_3repE0EEENS1_30default_config_static_selectorELNS0_4arch9wavefront6targetE1EEEvT1_,comdat
.Lfunc_end2055:
	.size	_ZN7rocprim17ROCPRIM_400000_NS6detail17trampoline_kernelINS0_14default_configENS1_25partition_config_selectorILNS1_17partition_subalgoE2EjNS0_10empty_typeEbEEZZNS1_14partition_implILS5_2ELb0ES3_jN6thrust23THRUST_200600_302600_NS6detail15normal_iteratorINSA_7pointerIjNSA_11hip_rocprim3tagENSA_11use_defaultESG_EEEEPS6_NSA_18transform_iteratorI7is_evenIjENSC_INSA_10device_ptrIjEEEESG_SG_EENS0_5tupleIJPjSJ_EEENSR_IJSJ_SJ_EEES6_PlJS6_EEE10hipError_tPvRmT3_T4_T5_T6_T7_T9_mT8_P12ihipStream_tbDpT10_ENKUlT_T0_E_clISt17integral_constantIbLb1EES1E_IbLb0EEEEDaS1A_S1B_EUlS1A_E_NS1_11comp_targetILNS1_3genE4ELNS1_11target_archE910ELNS1_3gpuE8ELNS1_3repE0EEENS1_30default_config_static_selectorELNS0_4arch9wavefront6targetE1EEEvT1_, .Lfunc_end2055-_ZN7rocprim17ROCPRIM_400000_NS6detail17trampoline_kernelINS0_14default_configENS1_25partition_config_selectorILNS1_17partition_subalgoE2EjNS0_10empty_typeEbEEZZNS1_14partition_implILS5_2ELb0ES3_jN6thrust23THRUST_200600_302600_NS6detail15normal_iteratorINSA_7pointerIjNSA_11hip_rocprim3tagENSA_11use_defaultESG_EEEEPS6_NSA_18transform_iteratorI7is_evenIjENSC_INSA_10device_ptrIjEEEESG_SG_EENS0_5tupleIJPjSJ_EEENSR_IJSJ_SJ_EEES6_PlJS6_EEE10hipError_tPvRmT3_T4_T5_T6_T7_T9_mT8_P12ihipStream_tbDpT10_ENKUlT_T0_E_clISt17integral_constantIbLb1EES1E_IbLb0EEEEDaS1A_S1B_EUlS1A_E_NS1_11comp_targetILNS1_3genE4ELNS1_11target_archE910ELNS1_3gpuE8ELNS1_3repE0EEENS1_30default_config_static_selectorELNS0_4arch9wavefront6targetE1EEEvT1_
                                        ; -- End function
	.section	.AMDGPU.csdata,"",@progbits
; Kernel info:
; codeLenInByte = 6724
; NumSgprs: 50
; NumVgprs: 54
; NumAgprs: 0
; TotalNumVgprs: 54
; ScratchSize: 0
; MemoryBound: 0
; FloatMode: 240
; IeeeMode: 1
; LDSByteSize: 10248 bytes/workgroup (compile time only)
; SGPRBlocks: 6
; VGPRBlocks: 6
; NumSGPRsForWavesPerEU: 50
; NumVGPRsForWavesPerEU: 54
; AccumOffset: 56
; Occupancy: 6
; WaveLimiterHint : 1
; COMPUTE_PGM_RSRC2:SCRATCH_EN: 0
; COMPUTE_PGM_RSRC2:USER_SGPR: 6
; COMPUTE_PGM_RSRC2:TRAP_HANDLER: 0
; COMPUTE_PGM_RSRC2:TGID_X_EN: 1
; COMPUTE_PGM_RSRC2:TGID_Y_EN: 0
; COMPUTE_PGM_RSRC2:TGID_Z_EN: 0
; COMPUTE_PGM_RSRC2:TIDIG_COMP_CNT: 0
; COMPUTE_PGM_RSRC3_GFX90A:ACCUM_OFFSET: 13
; COMPUTE_PGM_RSRC3_GFX90A:TG_SPLIT: 0
	.section	.text._ZN7rocprim17ROCPRIM_400000_NS6detail17trampoline_kernelINS0_14default_configENS1_25partition_config_selectorILNS1_17partition_subalgoE2EjNS0_10empty_typeEbEEZZNS1_14partition_implILS5_2ELb0ES3_jN6thrust23THRUST_200600_302600_NS6detail15normal_iteratorINSA_7pointerIjNSA_11hip_rocprim3tagENSA_11use_defaultESG_EEEEPS6_NSA_18transform_iteratorI7is_evenIjENSC_INSA_10device_ptrIjEEEESG_SG_EENS0_5tupleIJPjSJ_EEENSR_IJSJ_SJ_EEES6_PlJS6_EEE10hipError_tPvRmT3_T4_T5_T6_T7_T9_mT8_P12ihipStream_tbDpT10_ENKUlT_T0_E_clISt17integral_constantIbLb1EES1E_IbLb0EEEEDaS1A_S1B_EUlS1A_E_NS1_11comp_targetILNS1_3genE3ELNS1_11target_archE908ELNS1_3gpuE7ELNS1_3repE0EEENS1_30default_config_static_selectorELNS0_4arch9wavefront6targetE1EEEvT1_,"axG",@progbits,_ZN7rocprim17ROCPRIM_400000_NS6detail17trampoline_kernelINS0_14default_configENS1_25partition_config_selectorILNS1_17partition_subalgoE2EjNS0_10empty_typeEbEEZZNS1_14partition_implILS5_2ELb0ES3_jN6thrust23THRUST_200600_302600_NS6detail15normal_iteratorINSA_7pointerIjNSA_11hip_rocprim3tagENSA_11use_defaultESG_EEEEPS6_NSA_18transform_iteratorI7is_evenIjENSC_INSA_10device_ptrIjEEEESG_SG_EENS0_5tupleIJPjSJ_EEENSR_IJSJ_SJ_EEES6_PlJS6_EEE10hipError_tPvRmT3_T4_T5_T6_T7_T9_mT8_P12ihipStream_tbDpT10_ENKUlT_T0_E_clISt17integral_constantIbLb1EES1E_IbLb0EEEEDaS1A_S1B_EUlS1A_E_NS1_11comp_targetILNS1_3genE3ELNS1_11target_archE908ELNS1_3gpuE7ELNS1_3repE0EEENS1_30default_config_static_selectorELNS0_4arch9wavefront6targetE1EEEvT1_,comdat
	.protected	_ZN7rocprim17ROCPRIM_400000_NS6detail17trampoline_kernelINS0_14default_configENS1_25partition_config_selectorILNS1_17partition_subalgoE2EjNS0_10empty_typeEbEEZZNS1_14partition_implILS5_2ELb0ES3_jN6thrust23THRUST_200600_302600_NS6detail15normal_iteratorINSA_7pointerIjNSA_11hip_rocprim3tagENSA_11use_defaultESG_EEEEPS6_NSA_18transform_iteratorI7is_evenIjENSC_INSA_10device_ptrIjEEEESG_SG_EENS0_5tupleIJPjSJ_EEENSR_IJSJ_SJ_EEES6_PlJS6_EEE10hipError_tPvRmT3_T4_T5_T6_T7_T9_mT8_P12ihipStream_tbDpT10_ENKUlT_T0_E_clISt17integral_constantIbLb1EES1E_IbLb0EEEEDaS1A_S1B_EUlS1A_E_NS1_11comp_targetILNS1_3genE3ELNS1_11target_archE908ELNS1_3gpuE7ELNS1_3repE0EEENS1_30default_config_static_selectorELNS0_4arch9wavefront6targetE1EEEvT1_ ; -- Begin function _ZN7rocprim17ROCPRIM_400000_NS6detail17trampoline_kernelINS0_14default_configENS1_25partition_config_selectorILNS1_17partition_subalgoE2EjNS0_10empty_typeEbEEZZNS1_14partition_implILS5_2ELb0ES3_jN6thrust23THRUST_200600_302600_NS6detail15normal_iteratorINSA_7pointerIjNSA_11hip_rocprim3tagENSA_11use_defaultESG_EEEEPS6_NSA_18transform_iteratorI7is_evenIjENSC_INSA_10device_ptrIjEEEESG_SG_EENS0_5tupleIJPjSJ_EEENSR_IJSJ_SJ_EEES6_PlJS6_EEE10hipError_tPvRmT3_T4_T5_T6_T7_T9_mT8_P12ihipStream_tbDpT10_ENKUlT_T0_E_clISt17integral_constantIbLb1EES1E_IbLb0EEEEDaS1A_S1B_EUlS1A_E_NS1_11comp_targetILNS1_3genE3ELNS1_11target_archE908ELNS1_3gpuE7ELNS1_3repE0EEENS1_30default_config_static_selectorELNS0_4arch9wavefront6targetE1EEEvT1_
	.globl	_ZN7rocprim17ROCPRIM_400000_NS6detail17trampoline_kernelINS0_14default_configENS1_25partition_config_selectorILNS1_17partition_subalgoE2EjNS0_10empty_typeEbEEZZNS1_14partition_implILS5_2ELb0ES3_jN6thrust23THRUST_200600_302600_NS6detail15normal_iteratorINSA_7pointerIjNSA_11hip_rocprim3tagENSA_11use_defaultESG_EEEEPS6_NSA_18transform_iteratorI7is_evenIjENSC_INSA_10device_ptrIjEEEESG_SG_EENS0_5tupleIJPjSJ_EEENSR_IJSJ_SJ_EEES6_PlJS6_EEE10hipError_tPvRmT3_T4_T5_T6_T7_T9_mT8_P12ihipStream_tbDpT10_ENKUlT_T0_E_clISt17integral_constantIbLb1EES1E_IbLb0EEEEDaS1A_S1B_EUlS1A_E_NS1_11comp_targetILNS1_3genE3ELNS1_11target_archE908ELNS1_3gpuE7ELNS1_3repE0EEENS1_30default_config_static_selectorELNS0_4arch9wavefront6targetE1EEEvT1_
	.p2align	8
	.type	_ZN7rocprim17ROCPRIM_400000_NS6detail17trampoline_kernelINS0_14default_configENS1_25partition_config_selectorILNS1_17partition_subalgoE2EjNS0_10empty_typeEbEEZZNS1_14partition_implILS5_2ELb0ES3_jN6thrust23THRUST_200600_302600_NS6detail15normal_iteratorINSA_7pointerIjNSA_11hip_rocprim3tagENSA_11use_defaultESG_EEEEPS6_NSA_18transform_iteratorI7is_evenIjENSC_INSA_10device_ptrIjEEEESG_SG_EENS0_5tupleIJPjSJ_EEENSR_IJSJ_SJ_EEES6_PlJS6_EEE10hipError_tPvRmT3_T4_T5_T6_T7_T9_mT8_P12ihipStream_tbDpT10_ENKUlT_T0_E_clISt17integral_constantIbLb1EES1E_IbLb0EEEEDaS1A_S1B_EUlS1A_E_NS1_11comp_targetILNS1_3genE3ELNS1_11target_archE908ELNS1_3gpuE7ELNS1_3repE0EEENS1_30default_config_static_selectorELNS0_4arch9wavefront6targetE1EEEvT1_,@function
_ZN7rocprim17ROCPRIM_400000_NS6detail17trampoline_kernelINS0_14default_configENS1_25partition_config_selectorILNS1_17partition_subalgoE2EjNS0_10empty_typeEbEEZZNS1_14partition_implILS5_2ELb0ES3_jN6thrust23THRUST_200600_302600_NS6detail15normal_iteratorINSA_7pointerIjNSA_11hip_rocprim3tagENSA_11use_defaultESG_EEEEPS6_NSA_18transform_iteratorI7is_evenIjENSC_INSA_10device_ptrIjEEEESG_SG_EENS0_5tupleIJPjSJ_EEENSR_IJSJ_SJ_EEES6_PlJS6_EEE10hipError_tPvRmT3_T4_T5_T6_T7_T9_mT8_P12ihipStream_tbDpT10_ENKUlT_T0_E_clISt17integral_constantIbLb1EES1E_IbLb0EEEEDaS1A_S1B_EUlS1A_E_NS1_11comp_targetILNS1_3genE3ELNS1_11target_archE908ELNS1_3gpuE7ELNS1_3repE0EEENS1_30default_config_static_selectorELNS0_4arch9wavefront6targetE1EEEvT1_: ; @_ZN7rocprim17ROCPRIM_400000_NS6detail17trampoline_kernelINS0_14default_configENS1_25partition_config_selectorILNS1_17partition_subalgoE2EjNS0_10empty_typeEbEEZZNS1_14partition_implILS5_2ELb0ES3_jN6thrust23THRUST_200600_302600_NS6detail15normal_iteratorINSA_7pointerIjNSA_11hip_rocprim3tagENSA_11use_defaultESG_EEEEPS6_NSA_18transform_iteratorI7is_evenIjENSC_INSA_10device_ptrIjEEEESG_SG_EENS0_5tupleIJPjSJ_EEENSR_IJSJ_SJ_EEES6_PlJS6_EEE10hipError_tPvRmT3_T4_T5_T6_T7_T9_mT8_P12ihipStream_tbDpT10_ENKUlT_T0_E_clISt17integral_constantIbLb1EES1E_IbLb0EEEEDaS1A_S1B_EUlS1A_E_NS1_11comp_targetILNS1_3genE3ELNS1_11target_archE908ELNS1_3gpuE7ELNS1_3repE0EEENS1_30default_config_static_selectorELNS0_4arch9wavefront6targetE1EEEvT1_
; %bb.0:
	.section	.rodata,"a",@progbits
	.p2align	6, 0x0
	.amdhsa_kernel _ZN7rocprim17ROCPRIM_400000_NS6detail17trampoline_kernelINS0_14default_configENS1_25partition_config_selectorILNS1_17partition_subalgoE2EjNS0_10empty_typeEbEEZZNS1_14partition_implILS5_2ELb0ES3_jN6thrust23THRUST_200600_302600_NS6detail15normal_iteratorINSA_7pointerIjNSA_11hip_rocprim3tagENSA_11use_defaultESG_EEEEPS6_NSA_18transform_iteratorI7is_evenIjENSC_INSA_10device_ptrIjEEEESG_SG_EENS0_5tupleIJPjSJ_EEENSR_IJSJ_SJ_EEES6_PlJS6_EEE10hipError_tPvRmT3_T4_T5_T6_T7_T9_mT8_P12ihipStream_tbDpT10_ENKUlT_T0_E_clISt17integral_constantIbLb1EES1E_IbLb0EEEEDaS1A_S1B_EUlS1A_E_NS1_11comp_targetILNS1_3genE3ELNS1_11target_archE908ELNS1_3gpuE7ELNS1_3repE0EEENS1_30default_config_static_selectorELNS0_4arch9wavefront6targetE1EEEvT1_
		.amdhsa_group_segment_fixed_size 0
		.amdhsa_private_segment_fixed_size 0
		.amdhsa_kernarg_size 128
		.amdhsa_user_sgpr_count 6
		.amdhsa_user_sgpr_private_segment_buffer 1
		.amdhsa_user_sgpr_dispatch_ptr 0
		.amdhsa_user_sgpr_queue_ptr 0
		.amdhsa_user_sgpr_kernarg_segment_ptr 1
		.amdhsa_user_sgpr_dispatch_id 0
		.amdhsa_user_sgpr_flat_scratch_init 0
		.amdhsa_user_sgpr_kernarg_preload_length 0
		.amdhsa_user_sgpr_kernarg_preload_offset 0
		.amdhsa_user_sgpr_private_segment_size 0
		.amdhsa_uses_dynamic_stack 0
		.amdhsa_system_sgpr_private_segment_wavefront_offset 0
		.amdhsa_system_sgpr_workgroup_id_x 1
		.amdhsa_system_sgpr_workgroup_id_y 0
		.amdhsa_system_sgpr_workgroup_id_z 0
		.amdhsa_system_sgpr_workgroup_info 0
		.amdhsa_system_vgpr_workitem_id 0
		.amdhsa_next_free_vgpr 1
		.amdhsa_next_free_sgpr 0
		.amdhsa_accum_offset 4
		.amdhsa_reserve_vcc 0
		.amdhsa_reserve_flat_scratch 0
		.amdhsa_float_round_mode_32 0
		.amdhsa_float_round_mode_16_64 0
		.amdhsa_float_denorm_mode_32 3
		.amdhsa_float_denorm_mode_16_64 3
		.amdhsa_dx10_clamp 1
		.amdhsa_ieee_mode 1
		.amdhsa_fp16_overflow 0
		.amdhsa_tg_split 0
		.amdhsa_exception_fp_ieee_invalid_op 0
		.amdhsa_exception_fp_denorm_src 0
		.amdhsa_exception_fp_ieee_div_zero 0
		.amdhsa_exception_fp_ieee_overflow 0
		.amdhsa_exception_fp_ieee_underflow 0
		.amdhsa_exception_fp_ieee_inexact 0
		.amdhsa_exception_int_div_zero 0
	.end_amdhsa_kernel
	.section	.text._ZN7rocprim17ROCPRIM_400000_NS6detail17trampoline_kernelINS0_14default_configENS1_25partition_config_selectorILNS1_17partition_subalgoE2EjNS0_10empty_typeEbEEZZNS1_14partition_implILS5_2ELb0ES3_jN6thrust23THRUST_200600_302600_NS6detail15normal_iteratorINSA_7pointerIjNSA_11hip_rocprim3tagENSA_11use_defaultESG_EEEEPS6_NSA_18transform_iteratorI7is_evenIjENSC_INSA_10device_ptrIjEEEESG_SG_EENS0_5tupleIJPjSJ_EEENSR_IJSJ_SJ_EEES6_PlJS6_EEE10hipError_tPvRmT3_T4_T5_T6_T7_T9_mT8_P12ihipStream_tbDpT10_ENKUlT_T0_E_clISt17integral_constantIbLb1EES1E_IbLb0EEEEDaS1A_S1B_EUlS1A_E_NS1_11comp_targetILNS1_3genE3ELNS1_11target_archE908ELNS1_3gpuE7ELNS1_3repE0EEENS1_30default_config_static_selectorELNS0_4arch9wavefront6targetE1EEEvT1_,"axG",@progbits,_ZN7rocprim17ROCPRIM_400000_NS6detail17trampoline_kernelINS0_14default_configENS1_25partition_config_selectorILNS1_17partition_subalgoE2EjNS0_10empty_typeEbEEZZNS1_14partition_implILS5_2ELb0ES3_jN6thrust23THRUST_200600_302600_NS6detail15normal_iteratorINSA_7pointerIjNSA_11hip_rocprim3tagENSA_11use_defaultESG_EEEEPS6_NSA_18transform_iteratorI7is_evenIjENSC_INSA_10device_ptrIjEEEESG_SG_EENS0_5tupleIJPjSJ_EEENSR_IJSJ_SJ_EEES6_PlJS6_EEE10hipError_tPvRmT3_T4_T5_T6_T7_T9_mT8_P12ihipStream_tbDpT10_ENKUlT_T0_E_clISt17integral_constantIbLb1EES1E_IbLb0EEEEDaS1A_S1B_EUlS1A_E_NS1_11comp_targetILNS1_3genE3ELNS1_11target_archE908ELNS1_3gpuE7ELNS1_3repE0EEENS1_30default_config_static_selectorELNS0_4arch9wavefront6targetE1EEEvT1_,comdat
.Lfunc_end2056:
	.size	_ZN7rocprim17ROCPRIM_400000_NS6detail17trampoline_kernelINS0_14default_configENS1_25partition_config_selectorILNS1_17partition_subalgoE2EjNS0_10empty_typeEbEEZZNS1_14partition_implILS5_2ELb0ES3_jN6thrust23THRUST_200600_302600_NS6detail15normal_iteratorINSA_7pointerIjNSA_11hip_rocprim3tagENSA_11use_defaultESG_EEEEPS6_NSA_18transform_iteratorI7is_evenIjENSC_INSA_10device_ptrIjEEEESG_SG_EENS0_5tupleIJPjSJ_EEENSR_IJSJ_SJ_EEES6_PlJS6_EEE10hipError_tPvRmT3_T4_T5_T6_T7_T9_mT8_P12ihipStream_tbDpT10_ENKUlT_T0_E_clISt17integral_constantIbLb1EES1E_IbLb0EEEEDaS1A_S1B_EUlS1A_E_NS1_11comp_targetILNS1_3genE3ELNS1_11target_archE908ELNS1_3gpuE7ELNS1_3repE0EEENS1_30default_config_static_selectorELNS0_4arch9wavefront6targetE1EEEvT1_, .Lfunc_end2056-_ZN7rocprim17ROCPRIM_400000_NS6detail17trampoline_kernelINS0_14default_configENS1_25partition_config_selectorILNS1_17partition_subalgoE2EjNS0_10empty_typeEbEEZZNS1_14partition_implILS5_2ELb0ES3_jN6thrust23THRUST_200600_302600_NS6detail15normal_iteratorINSA_7pointerIjNSA_11hip_rocprim3tagENSA_11use_defaultESG_EEEEPS6_NSA_18transform_iteratorI7is_evenIjENSC_INSA_10device_ptrIjEEEESG_SG_EENS0_5tupleIJPjSJ_EEENSR_IJSJ_SJ_EEES6_PlJS6_EEE10hipError_tPvRmT3_T4_T5_T6_T7_T9_mT8_P12ihipStream_tbDpT10_ENKUlT_T0_E_clISt17integral_constantIbLb1EES1E_IbLb0EEEEDaS1A_S1B_EUlS1A_E_NS1_11comp_targetILNS1_3genE3ELNS1_11target_archE908ELNS1_3gpuE7ELNS1_3repE0EEENS1_30default_config_static_selectorELNS0_4arch9wavefront6targetE1EEEvT1_
                                        ; -- End function
	.section	.AMDGPU.csdata,"",@progbits
; Kernel info:
; codeLenInByte = 0
; NumSgprs: 4
; NumVgprs: 0
; NumAgprs: 0
; TotalNumVgprs: 0
; ScratchSize: 0
; MemoryBound: 0
; FloatMode: 240
; IeeeMode: 1
; LDSByteSize: 0 bytes/workgroup (compile time only)
; SGPRBlocks: 0
; VGPRBlocks: 0
; NumSGPRsForWavesPerEU: 4
; NumVGPRsForWavesPerEU: 1
; AccumOffset: 4
; Occupancy: 8
; WaveLimiterHint : 0
; COMPUTE_PGM_RSRC2:SCRATCH_EN: 0
; COMPUTE_PGM_RSRC2:USER_SGPR: 6
; COMPUTE_PGM_RSRC2:TRAP_HANDLER: 0
; COMPUTE_PGM_RSRC2:TGID_X_EN: 1
; COMPUTE_PGM_RSRC2:TGID_Y_EN: 0
; COMPUTE_PGM_RSRC2:TGID_Z_EN: 0
; COMPUTE_PGM_RSRC2:TIDIG_COMP_CNT: 0
; COMPUTE_PGM_RSRC3_GFX90A:ACCUM_OFFSET: 0
; COMPUTE_PGM_RSRC3_GFX90A:TG_SPLIT: 0
	.section	.text._ZN7rocprim17ROCPRIM_400000_NS6detail17trampoline_kernelINS0_14default_configENS1_25partition_config_selectorILNS1_17partition_subalgoE2EjNS0_10empty_typeEbEEZZNS1_14partition_implILS5_2ELb0ES3_jN6thrust23THRUST_200600_302600_NS6detail15normal_iteratorINSA_7pointerIjNSA_11hip_rocprim3tagENSA_11use_defaultESG_EEEEPS6_NSA_18transform_iteratorI7is_evenIjENSC_INSA_10device_ptrIjEEEESG_SG_EENS0_5tupleIJPjSJ_EEENSR_IJSJ_SJ_EEES6_PlJS6_EEE10hipError_tPvRmT3_T4_T5_T6_T7_T9_mT8_P12ihipStream_tbDpT10_ENKUlT_T0_E_clISt17integral_constantIbLb1EES1E_IbLb0EEEEDaS1A_S1B_EUlS1A_E_NS1_11comp_targetILNS1_3genE2ELNS1_11target_archE906ELNS1_3gpuE6ELNS1_3repE0EEENS1_30default_config_static_selectorELNS0_4arch9wavefront6targetE1EEEvT1_,"axG",@progbits,_ZN7rocprim17ROCPRIM_400000_NS6detail17trampoline_kernelINS0_14default_configENS1_25partition_config_selectorILNS1_17partition_subalgoE2EjNS0_10empty_typeEbEEZZNS1_14partition_implILS5_2ELb0ES3_jN6thrust23THRUST_200600_302600_NS6detail15normal_iteratorINSA_7pointerIjNSA_11hip_rocprim3tagENSA_11use_defaultESG_EEEEPS6_NSA_18transform_iteratorI7is_evenIjENSC_INSA_10device_ptrIjEEEESG_SG_EENS0_5tupleIJPjSJ_EEENSR_IJSJ_SJ_EEES6_PlJS6_EEE10hipError_tPvRmT3_T4_T5_T6_T7_T9_mT8_P12ihipStream_tbDpT10_ENKUlT_T0_E_clISt17integral_constantIbLb1EES1E_IbLb0EEEEDaS1A_S1B_EUlS1A_E_NS1_11comp_targetILNS1_3genE2ELNS1_11target_archE906ELNS1_3gpuE6ELNS1_3repE0EEENS1_30default_config_static_selectorELNS0_4arch9wavefront6targetE1EEEvT1_,comdat
	.protected	_ZN7rocprim17ROCPRIM_400000_NS6detail17trampoline_kernelINS0_14default_configENS1_25partition_config_selectorILNS1_17partition_subalgoE2EjNS0_10empty_typeEbEEZZNS1_14partition_implILS5_2ELb0ES3_jN6thrust23THRUST_200600_302600_NS6detail15normal_iteratorINSA_7pointerIjNSA_11hip_rocprim3tagENSA_11use_defaultESG_EEEEPS6_NSA_18transform_iteratorI7is_evenIjENSC_INSA_10device_ptrIjEEEESG_SG_EENS0_5tupleIJPjSJ_EEENSR_IJSJ_SJ_EEES6_PlJS6_EEE10hipError_tPvRmT3_T4_T5_T6_T7_T9_mT8_P12ihipStream_tbDpT10_ENKUlT_T0_E_clISt17integral_constantIbLb1EES1E_IbLb0EEEEDaS1A_S1B_EUlS1A_E_NS1_11comp_targetILNS1_3genE2ELNS1_11target_archE906ELNS1_3gpuE6ELNS1_3repE0EEENS1_30default_config_static_selectorELNS0_4arch9wavefront6targetE1EEEvT1_ ; -- Begin function _ZN7rocprim17ROCPRIM_400000_NS6detail17trampoline_kernelINS0_14default_configENS1_25partition_config_selectorILNS1_17partition_subalgoE2EjNS0_10empty_typeEbEEZZNS1_14partition_implILS5_2ELb0ES3_jN6thrust23THRUST_200600_302600_NS6detail15normal_iteratorINSA_7pointerIjNSA_11hip_rocprim3tagENSA_11use_defaultESG_EEEEPS6_NSA_18transform_iteratorI7is_evenIjENSC_INSA_10device_ptrIjEEEESG_SG_EENS0_5tupleIJPjSJ_EEENSR_IJSJ_SJ_EEES6_PlJS6_EEE10hipError_tPvRmT3_T4_T5_T6_T7_T9_mT8_P12ihipStream_tbDpT10_ENKUlT_T0_E_clISt17integral_constantIbLb1EES1E_IbLb0EEEEDaS1A_S1B_EUlS1A_E_NS1_11comp_targetILNS1_3genE2ELNS1_11target_archE906ELNS1_3gpuE6ELNS1_3repE0EEENS1_30default_config_static_selectorELNS0_4arch9wavefront6targetE1EEEvT1_
	.globl	_ZN7rocprim17ROCPRIM_400000_NS6detail17trampoline_kernelINS0_14default_configENS1_25partition_config_selectorILNS1_17partition_subalgoE2EjNS0_10empty_typeEbEEZZNS1_14partition_implILS5_2ELb0ES3_jN6thrust23THRUST_200600_302600_NS6detail15normal_iteratorINSA_7pointerIjNSA_11hip_rocprim3tagENSA_11use_defaultESG_EEEEPS6_NSA_18transform_iteratorI7is_evenIjENSC_INSA_10device_ptrIjEEEESG_SG_EENS0_5tupleIJPjSJ_EEENSR_IJSJ_SJ_EEES6_PlJS6_EEE10hipError_tPvRmT3_T4_T5_T6_T7_T9_mT8_P12ihipStream_tbDpT10_ENKUlT_T0_E_clISt17integral_constantIbLb1EES1E_IbLb0EEEEDaS1A_S1B_EUlS1A_E_NS1_11comp_targetILNS1_3genE2ELNS1_11target_archE906ELNS1_3gpuE6ELNS1_3repE0EEENS1_30default_config_static_selectorELNS0_4arch9wavefront6targetE1EEEvT1_
	.p2align	8
	.type	_ZN7rocprim17ROCPRIM_400000_NS6detail17trampoline_kernelINS0_14default_configENS1_25partition_config_selectorILNS1_17partition_subalgoE2EjNS0_10empty_typeEbEEZZNS1_14partition_implILS5_2ELb0ES3_jN6thrust23THRUST_200600_302600_NS6detail15normal_iteratorINSA_7pointerIjNSA_11hip_rocprim3tagENSA_11use_defaultESG_EEEEPS6_NSA_18transform_iteratorI7is_evenIjENSC_INSA_10device_ptrIjEEEESG_SG_EENS0_5tupleIJPjSJ_EEENSR_IJSJ_SJ_EEES6_PlJS6_EEE10hipError_tPvRmT3_T4_T5_T6_T7_T9_mT8_P12ihipStream_tbDpT10_ENKUlT_T0_E_clISt17integral_constantIbLb1EES1E_IbLb0EEEEDaS1A_S1B_EUlS1A_E_NS1_11comp_targetILNS1_3genE2ELNS1_11target_archE906ELNS1_3gpuE6ELNS1_3repE0EEENS1_30default_config_static_selectorELNS0_4arch9wavefront6targetE1EEEvT1_,@function
_ZN7rocprim17ROCPRIM_400000_NS6detail17trampoline_kernelINS0_14default_configENS1_25partition_config_selectorILNS1_17partition_subalgoE2EjNS0_10empty_typeEbEEZZNS1_14partition_implILS5_2ELb0ES3_jN6thrust23THRUST_200600_302600_NS6detail15normal_iteratorINSA_7pointerIjNSA_11hip_rocprim3tagENSA_11use_defaultESG_EEEEPS6_NSA_18transform_iteratorI7is_evenIjENSC_INSA_10device_ptrIjEEEESG_SG_EENS0_5tupleIJPjSJ_EEENSR_IJSJ_SJ_EEES6_PlJS6_EEE10hipError_tPvRmT3_T4_T5_T6_T7_T9_mT8_P12ihipStream_tbDpT10_ENKUlT_T0_E_clISt17integral_constantIbLb1EES1E_IbLb0EEEEDaS1A_S1B_EUlS1A_E_NS1_11comp_targetILNS1_3genE2ELNS1_11target_archE906ELNS1_3gpuE6ELNS1_3repE0EEENS1_30default_config_static_selectorELNS0_4arch9wavefront6targetE1EEEvT1_: ; @_ZN7rocprim17ROCPRIM_400000_NS6detail17trampoline_kernelINS0_14default_configENS1_25partition_config_selectorILNS1_17partition_subalgoE2EjNS0_10empty_typeEbEEZZNS1_14partition_implILS5_2ELb0ES3_jN6thrust23THRUST_200600_302600_NS6detail15normal_iteratorINSA_7pointerIjNSA_11hip_rocprim3tagENSA_11use_defaultESG_EEEEPS6_NSA_18transform_iteratorI7is_evenIjENSC_INSA_10device_ptrIjEEEESG_SG_EENS0_5tupleIJPjSJ_EEENSR_IJSJ_SJ_EEES6_PlJS6_EEE10hipError_tPvRmT3_T4_T5_T6_T7_T9_mT8_P12ihipStream_tbDpT10_ENKUlT_T0_E_clISt17integral_constantIbLb1EES1E_IbLb0EEEEDaS1A_S1B_EUlS1A_E_NS1_11comp_targetILNS1_3genE2ELNS1_11target_archE906ELNS1_3gpuE6ELNS1_3repE0EEENS1_30default_config_static_selectorELNS0_4arch9wavefront6targetE1EEEvT1_
; %bb.0:
	.section	.rodata,"a",@progbits
	.p2align	6, 0x0
	.amdhsa_kernel _ZN7rocprim17ROCPRIM_400000_NS6detail17trampoline_kernelINS0_14default_configENS1_25partition_config_selectorILNS1_17partition_subalgoE2EjNS0_10empty_typeEbEEZZNS1_14partition_implILS5_2ELb0ES3_jN6thrust23THRUST_200600_302600_NS6detail15normal_iteratorINSA_7pointerIjNSA_11hip_rocprim3tagENSA_11use_defaultESG_EEEEPS6_NSA_18transform_iteratorI7is_evenIjENSC_INSA_10device_ptrIjEEEESG_SG_EENS0_5tupleIJPjSJ_EEENSR_IJSJ_SJ_EEES6_PlJS6_EEE10hipError_tPvRmT3_T4_T5_T6_T7_T9_mT8_P12ihipStream_tbDpT10_ENKUlT_T0_E_clISt17integral_constantIbLb1EES1E_IbLb0EEEEDaS1A_S1B_EUlS1A_E_NS1_11comp_targetILNS1_3genE2ELNS1_11target_archE906ELNS1_3gpuE6ELNS1_3repE0EEENS1_30default_config_static_selectorELNS0_4arch9wavefront6targetE1EEEvT1_
		.amdhsa_group_segment_fixed_size 0
		.amdhsa_private_segment_fixed_size 0
		.amdhsa_kernarg_size 128
		.amdhsa_user_sgpr_count 6
		.amdhsa_user_sgpr_private_segment_buffer 1
		.amdhsa_user_sgpr_dispatch_ptr 0
		.amdhsa_user_sgpr_queue_ptr 0
		.amdhsa_user_sgpr_kernarg_segment_ptr 1
		.amdhsa_user_sgpr_dispatch_id 0
		.amdhsa_user_sgpr_flat_scratch_init 0
		.amdhsa_user_sgpr_kernarg_preload_length 0
		.amdhsa_user_sgpr_kernarg_preload_offset 0
		.amdhsa_user_sgpr_private_segment_size 0
		.amdhsa_uses_dynamic_stack 0
		.amdhsa_system_sgpr_private_segment_wavefront_offset 0
		.amdhsa_system_sgpr_workgroup_id_x 1
		.amdhsa_system_sgpr_workgroup_id_y 0
		.amdhsa_system_sgpr_workgroup_id_z 0
		.amdhsa_system_sgpr_workgroup_info 0
		.amdhsa_system_vgpr_workitem_id 0
		.amdhsa_next_free_vgpr 1
		.amdhsa_next_free_sgpr 0
		.amdhsa_accum_offset 4
		.amdhsa_reserve_vcc 0
		.amdhsa_reserve_flat_scratch 0
		.amdhsa_float_round_mode_32 0
		.amdhsa_float_round_mode_16_64 0
		.amdhsa_float_denorm_mode_32 3
		.amdhsa_float_denorm_mode_16_64 3
		.amdhsa_dx10_clamp 1
		.amdhsa_ieee_mode 1
		.amdhsa_fp16_overflow 0
		.amdhsa_tg_split 0
		.amdhsa_exception_fp_ieee_invalid_op 0
		.amdhsa_exception_fp_denorm_src 0
		.amdhsa_exception_fp_ieee_div_zero 0
		.amdhsa_exception_fp_ieee_overflow 0
		.amdhsa_exception_fp_ieee_underflow 0
		.amdhsa_exception_fp_ieee_inexact 0
		.amdhsa_exception_int_div_zero 0
	.end_amdhsa_kernel
	.section	.text._ZN7rocprim17ROCPRIM_400000_NS6detail17trampoline_kernelINS0_14default_configENS1_25partition_config_selectorILNS1_17partition_subalgoE2EjNS0_10empty_typeEbEEZZNS1_14partition_implILS5_2ELb0ES3_jN6thrust23THRUST_200600_302600_NS6detail15normal_iteratorINSA_7pointerIjNSA_11hip_rocprim3tagENSA_11use_defaultESG_EEEEPS6_NSA_18transform_iteratorI7is_evenIjENSC_INSA_10device_ptrIjEEEESG_SG_EENS0_5tupleIJPjSJ_EEENSR_IJSJ_SJ_EEES6_PlJS6_EEE10hipError_tPvRmT3_T4_T5_T6_T7_T9_mT8_P12ihipStream_tbDpT10_ENKUlT_T0_E_clISt17integral_constantIbLb1EES1E_IbLb0EEEEDaS1A_S1B_EUlS1A_E_NS1_11comp_targetILNS1_3genE2ELNS1_11target_archE906ELNS1_3gpuE6ELNS1_3repE0EEENS1_30default_config_static_selectorELNS0_4arch9wavefront6targetE1EEEvT1_,"axG",@progbits,_ZN7rocprim17ROCPRIM_400000_NS6detail17trampoline_kernelINS0_14default_configENS1_25partition_config_selectorILNS1_17partition_subalgoE2EjNS0_10empty_typeEbEEZZNS1_14partition_implILS5_2ELb0ES3_jN6thrust23THRUST_200600_302600_NS6detail15normal_iteratorINSA_7pointerIjNSA_11hip_rocprim3tagENSA_11use_defaultESG_EEEEPS6_NSA_18transform_iteratorI7is_evenIjENSC_INSA_10device_ptrIjEEEESG_SG_EENS0_5tupleIJPjSJ_EEENSR_IJSJ_SJ_EEES6_PlJS6_EEE10hipError_tPvRmT3_T4_T5_T6_T7_T9_mT8_P12ihipStream_tbDpT10_ENKUlT_T0_E_clISt17integral_constantIbLb1EES1E_IbLb0EEEEDaS1A_S1B_EUlS1A_E_NS1_11comp_targetILNS1_3genE2ELNS1_11target_archE906ELNS1_3gpuE6ELNS1_3repE0EEENS1_30default_config_static_selectorELNS0_4arch9wavefront6targetE1EEEvT1_,comdat
.Lfunc_end2057:
	.size	_ZN7rocprim17ROCPRIM_400000_NS6detail17trampoline_kernelINS0_14default_configENS1_25partition_config_selectorILNS1_17partition_subalgoE2EjNS0_10empty_typeEbEEZZNS1_14partition_implILS5_2ELb0ES3_jN6thrust23THRUST_200600_302600_NS6detail15normal_iteratorINSA_7pointerIjNSA_11hip_rocprim3tagENSA_11use_defaultESG_EEEEPS6_NSA_18transform_iteratorI7is_evenIjENSC_INSA_10device_ptrIjEEEESG_SG_EENS0_5tupleIJPjSJ_EEENSR_IJSJ_SJ_EEES6_PlJS6_EEE10hipError_tPvRmT3_T4_T5_T6_T7_T9_mT8_P12ihipStream_tbDpT10_ENKUlT_T0_E_clISt17integral_constantIbLb1EES1E_IbLb0EEEEDaS1A_S1B_EUlS1A_E_NS1_11comp_targetILNS1_3genE2ELNS1_11target_archE906ELNS1_3gpuE6ELNS1_3repE0EEENS1_30default_config_static_selectorELNS0_4arch9wavefront6targetE1EEEvT1_, .Lfunc_end2057-_ZN7rocprim17ROCPRIM_400000_NS6detail17trampoline_kernelINS0_14default_configENS1_25partition_config_selectorILNS1_17partition_subalgoE2EjNS0_10empty_typeEbEEZZNS1_14partition_implILS5_2ELb0ES3_jN6thrust23THRUST_200600_302600_NS6detail15normal_iteratorINSA_7pointerIjNSA_11hip_rocprim3tagENSA_11use_defaultESG_EEEEPS6_NSA_18transform_iteratorI7is_evenIjENSC_INSA_10device_ptrIjEEEESG_SG_EENS0_5tupleIJPjSJ_EEENSR_IJSJ_SJ_EEES6_PlJS6_EEE10hipError_tPvRmT3_T4_T5_T6_T7_T9_mT8_P12ihipStream_tbDpT10_ENKUlT_T0_E_clISt17integral_constantIbLb1EES1E_IbLb0EEEEDaS1A_S1B_EUlS1A_E_NS1_11comp_targetILNS1_3genE2ELNS1_11target_archE906ELNS1_3gpuE6ELNS1_3repE0EEENS1_30default_config_static_selectorELNS0_4arch9wavefront6targetE1EEEvT1_
                                        ; -- End function
	.section	.AMDGPU.csdata,"",@progbits
; Kernel info:
; codeLenInByte = 0
; NumSgprs: 4
; NumVgprs: 0
; NumAgprs: 0
; TotalNumVgprs: 0
; ScratchSize: 0
; MemoryBound: 0
; FloatMode: 240
; IeeeMode: 1
; LDSByteSize: 0 bytes/workgroup (compile time only)
; SGPRBlocks: 0
; VGPRBlocks: 0
; NumSGPRsForWavesPerEU: 4
; NumVGPRsForWavesPerEU: 1
; AccumOffset: 4
; Occupancy: 8
; WaveLimiterHint : 0
; COMPUTE_PGM_RSRC2:SCRATCH_EN: 0
; COMPUTE_PGM_RSRC2:USER_SGPR: 6
; COMPUTE_PGM_RSRC2:TRAP_HANDLER: 0
; COMPUTE_PGM_RSRC2:TGID_X_EN: 1
; COMPUTE_PGM_RSRC2:TGID_Y_EN: 0
; COMPUTE_PGM_RSRC2:TGID_Z_EN: 0
; COMPUTE_PGM_RSRC2:TIDIG_COMP_CNT: 0
; COMPUTE_PGM_RSRC3_GFX90A:ACCUM_OFFSET: 0
; COMPUTE_PGM_RSRC3_GFX90A:TG_SPLIT: 0
	.section	.text._ZN7rocprim17ROCPRIM_400000_NS6detail17trampoline_kernelINS0_14default_configENS1_25partition_config_selectorILNS1_17partition_subalgoE2EjNS0_10empty_typeEbEEZZNS1_14partition_implILS5_2ELb0ES3_jN6thrust23THRUST_200600_302600_NS6detail15normal_iteratorINSA_7pointerIjNSA_11hip_rocprim3tagENSA_11use_defaultESG_EEEEPS6_NSA_18transform_iteratorI7is_evenIjENSC_INSA_10device_ptrIjEEEESG_SG_EENS0_5tupleIJPjSJ_EEENSR_IJSJ_SJ_EEES6_PlJS6_EEE10hipError_tPvRmT3_T4_T5_T6_T7_T9_mT8_P12ihipStream_tbDpT10_ENKUlT_T0_E_clISt17integral_constantIbLb1EES1E_IbLb0EEEEDaS1A_S1B_EUlS1A_E_NS1_11comp_targetILNS1_3genE10ELNS1_11target_archE1200ELNS1_3gpuE4ELNS1_3repE0EEENS1_30default_config_static_selectorELNS0_4arch9wavefront6targetE1EEEvT1_,"axG",@progbits,_ZN7rocprim17ROCPRIM_400000_NS6detail17trampoline_kernelINS0_14default_configENS1_25partition_config_selectorILNS1_17partition_subalgoE2EjNS0_10empty_typeEbEEZZNS1_14partition_implILS5_2ELb0ES3_jN6thrust23THRUST_200600_302600_NS6detail15normal_iteratorINSA_7pointerIjNSA_11hip_rocprim3tagENSA_11use_defaultESG_EEEEPS6_NSA_18transform_iteratorI7is_evenIjENSC_INSA_10device_ptrIjEEEESG_SG_EENS0_5tupleIJPjSJ_EEENSR_IJSJ_SJ_EEES6_PlJS6_EEE10hipError_tPvRmT3_T4_T5_T6_T7_T9_mT8_P12ihipStream_tbDpT10_ENKUlT_T0_E_clISt17integral_constantIbLb1EES1E_IbLb0EEEEDaS1A_S1B_EUlS1A_E_NS1_11comp_targetILNS1_3genE10ELNS1_11target_archE1200ELNS1_3gpuE4ELNS1_3repE0EEENS1_30default_config_static_selectorELNS0_4arch9wavefront6targetE1EEEvT1_,comdat
	.protected	_ZN7rocprim17ROCPRIM_400000_NS6detail17trampoline_kernelINS0_14default_configENS1_25partition_config_selectorILNS1_17partition_subalgoE2EjNS0_10empty_typeEbEEZZNS1_14partition_implILS5_2ELb0ES3_jN6thrust23THRUST_200600_302600_NS6detail15normal_iteratorINSA_7pointerIjNSA_11hip_rocprim3tagENSA_11use_defaultESG_EEEEPS6_NSA_18transform_iteratorI7is_evenIjENSC_INSA_10device_ptrIjEEEESG_SG_EENS0_5tupleIJPjSJ_EEENSR_IJSJ_SJ_EEES6_PlJS6_EEE10hipError_tPvRmT3_T4_T5_T6_T7_T9_mT8_P12ihipStream_tbDpT10_ENKUlT_T0_E_clISt17integral_constantIbLb1EES1E_IbLb0EEEEDaS1A_S1B_EUlS1A_E_NS1_11comp_targetILNS1_3genE10ELNS1_11target_archE1200ELNS1_3gpuE4ELNS1_3repE0EEENS1_30default_config_static_selectorELNS0_4arch9wavefront6targetE1EEEvT1_ ; -- Begin function _ZN7rocprim17ROCPRIM_400000_NS6detail17trampoline_kernelINS0_14default_configENS1_25partition_config_selectorILNS1_17partition_subalgoE2EjNS0_10empty_typeEbEEZZNS1_14partition_implILS5_2ELb0ES3_jN6thrust23THRUST_200600_302600_NS6detail15normal_iteratorINSA_7pointerIjNSA_11hip_rocprim3tagENSA_11use_defaultESG_EEEEPS6_NSA_18transform_iteratorI7is_evenIjENSC_INSA_10device_ptrIjEEEESG_SG_EENS0_5tupleIJPjSJ_EEENSR_IJSJ_SJ_EEES6_PlJS6_EEE10hipError_tPvRmT3_T4_T5_T6_T7_T9_mT8_P12ihipStream_tbDpT10_ENKUlT_T0_E_clISt17integral_constantIbLb1EES1E_IbLb0EEEEDaS1A_S1B_EUlS1A_E_NS1_11comp_targetILNS1_3genE10ELNS1_11target_archE1200ELNS1_3gpuE4ELNS1_3repE0EEENS1_30default_config_static_selectorELNS0_4arch9wavefront6targetE1EEEvT1_
	.globl	_ZN7rocprim17ROCPRIM_400000_NS6detail17trampoline_kernelINS0_14default_configENS1_25partition_config_selectorILNS1_17partition_subalgoE2EjNS0_10empty_typeEbEEZZNS1_14partition_implILS5_2ELb0ES3_jN6thrust23THRUST_200600_302600_NS6detail15normal_iteratorINSA_7pointerIjNSA_11hip_rocprim3tagENSA_11use_defaultESG_EEEEPS6_NSA_18transform_iteratorI7is_evenIjENSC_INSA_10device_ptrIjEEEESG_SG_EENS0_5tupleIJPjSJ_EEENSR_IJSJ_SJ_EEES6_PlJS6_EEE10hipError_tPvRmT3_T4_T5_T6_T7_T9_mT8_P12ihipStream_tbDpT10_ENKUlT_T0_E_clISt17integral_constantIbLb1EES1E_IbLb0EEEEDaS1A_S1B_EUlS1A_E_NS1_11comp_targetILNS1_3genE10ELNS1_11target_archE1200ELNS1_3gpuE4ELNS1_3repE0EEENS1_30default_config_static_selectorELNS0_4arch9wavefront6targetE1EEEvT1_
	.p2align	8
	.type	_ZN7rocprim17ROCPRIM_400000_NS6detail17trampoline_kernelINS0_14default_configENS1_25partition_config_selectorILNS1_17partition_subalgoE2EjNS0_10empty_typeEbEEZZNS1_14partition_implILS5_2ELb0ES3_jN6thrust23THRUST_200600_302600_NS6detail15normal_iteratorINSA_7pointerIjNSA_11hip_rocprim3tagENSA_11use_defaultESG_EEEEPS6_NSA_18transform_iteratorI7is_evenIjENSC_INSA_10device_ptrIjEEEESG_SG_EENS0_5tupleIJPjSJ_EEENSR_IJSJ_SJ_EEES6_PlJS6_EEE10hipError_tPvRmT3_T4_T5_T6_T7_T9_mT8_P12ihipStream_tbDpT10_ENKUlT_T0_E_clISt17integral_constantIbLb1EES1E_IbLb0EEEEDaS1A_S1B_EUlS1A_E_NS1_11comp_targetILNS1_3genE10ELNS1_11target_archE1200ELNS1_3gpuE4ELNS1_3repE0EEENS1_30default_config_static_selectorELNS0_4arch9wavefront6targetE1EEEvT1_,@function
_ZN7rocprim17ROCPRIM_400000_NS6detail17trampoline_kernelINS0_14default_configENS1_25partition_config_selectorILNS1_17partition_subalgoE2EjNS0_10empty_typeEbEEZZNS1_14partition_implILS5_2ELb0ES3_jN6thrust23THRUST_200600_302600_NS6detail15normal_iteratorINSA_7pointerIjNSA_11hip_rocprim3tagENSA_11use_defaultESG_EEEEPS6_NSA_18transform_iteratorI7is_evenIjENSC_INSA_10device_ptrIjEEEESG_SG_EENS0_5tupleIJPjSJ_EEENSR_IJSJ_SJ_EEES6_PlJS6_EEE10hipError_tPvRmT3_T4_T5_T6_T7_T9_mT8_P12ihipStream_tbDpT10_ENKUlT_T0_E_clISt17integral_constantIbLb1EES1E_IbLb0EEEEDaS1A_S1B_EUlS1A_E_NS1_11comp_targetILNS1_3genE10ELNS1_11target_archE1200ELNS1_3gpuE4ELNS1_3repE0EEENS1_30default_config_static_selectorELNS0_4arch9wavefront6targetE1EEEvT1_: ; @_ZN7rocprim17ROCPRIM_400000_NS6detail17trampoline_kernelINS0_14default_configENS1_25partition_config_selectorILNS1_17partition_subalgoE2EjNS0_10empty_typeEbEEZZNS1_14partition_implILS5_2ELb0ES3_jN6thrust23THRUST_200600_302600_NS6detail15normal_iteratorINSA_7pointerIjNSA_11hip_rocprim3tagENSA_11use_defaultESG_EEEEPS6_NSA_18transform_iteratorI7is_evenIjENSC_INSA_10device_ptrIjEEEESG_SG_EENS0_5tupleIJPjSJ_EEENSR_IJSJ_SJ_EEES6_PlJS6_EEE10hipError_tPvRmT3_T4_T5_T6_T7_T9_mT8_P12ihipStream_tbDpT10_ENKUlT_T0_E_clISt17integral_constantIbLb1EES1E_IbLb0EEEEDaS1A_S1B_EUlS1A_E_NS1_11comp_targetILNS1_3genE10ELNS1_11target_archE1200ELNS1_3gpuE4ELNS1_3repE0EEENS1_30default_config_static_selectorELNS0_4arch9wavefront6targetE1EEEvT1_
; %bb.0:
	.section	.rodata,"a",@progbits
	.p2align	6, 0x0
	.amdhsa_kernel _ZN7rocprim17ROCPRIM_400000_NS6detail17trampoline_kernelINS0_14default_configENS1_25partition_config_selectorILNS1_17partition_subalgoE2EjNS0_10empty_typeEbEEZZNS1_14partition_implILS5_2ELb0ES3_jN6thrust23THRUST_200600_302600_NS6detail15normal_iteratorINSA_7pointerIjNSA_11hip_rocprim3tagENSA_11use_defaultESG_EEEEPS6_NSA_18transform_iteratorI7is_evenIjENSC_INSA_10device_ptrIjEEEESG_SG_EENS0_5tupleIJPjSJ_EEENSR_IJSJ_SJ_EEES6_PlJS6_EEE10hipError_tPvRmT3_T4_T5_T6_T7_T9_mT8_P12ihipStream_tbDpT10_ENKUlT_T0_E_clISt17integral_constantIbLb1EES1E_IbLb0EEEEDaS1A_S1B_EUlS1A_E_NS1_11comp_targetILNS1_3genE10ELNS1_11target_archE1200ELNS1_3gpuE4ELNS1_3repE0EEENS1_30default_config_static_selectorELNS0_4arch9wavefront6targetE1EEEvT1_
		.amdhsa_group_segment_fixed_size 0
		.amdhsa_private_segment_fixed_size 0
		.amdhsa_kernarg_size 128
		.amdhsa_user_sgpr_count 6
		.amdhsa_user_sgpr_private_segment_buffer 1
		.amdhsa_user_sgpr_dispatch_ptr 0
		.amdhsa_user_sgpr_queue_ptr 0
		.amdhsa_user_sgpr_kernarg_segment_ptr 1
		.amdhsa_user_sgpr_dispatch_id 0
		.amdhsa_user_sgpr_flat_scratch_init 0
		.amdhsa_user_sgpr_kernarg_preload_length 0
		.amdhsa_user_sgpr_kernarg_preload_offset 0
		.amdhsa_user_sgpr_private_segment_size 0
		.amdhsa_uses_dynamic_stack 0
		.amdhsa_system_sgpr_private_segment_wavefront_offset 0
		.amdhsa_system_sgpr_workgroup_id_x 1
		.amdhsa_system_sgpr_workgroup_id_y 0
		.amdhsa_system_sgpr_workgroup_id_z 0
		.amdhsa_system_sgpr_workgroup_info 0
		.amdhsa_system_vgpr_workitem_id 0
		.amdhsa_next_free_vgpr 1
		.amdhsa_next_free_sgpr 0
		.amdhsa_accum_offset 4
		.amdhsa_reserve_vcc 0
		.amdhsa_reserve_flat_scratch 0
		.amdhsa_float_round_mode_32 0
		.amdhsa_float_round_mode_16_64 0
		.amdhsa_float_denorm_mode_32 3
		.amdhsa_float_denorm_mode_16_64 3
		.amdhsa_dx10_clamp 1
		.amdhsa_ieee_mode 1
		.amdhsa_fp16_overflow 0
		.amdhsa_tg_split 0
		.amdhsa_exception_fp_ieee_invalid_op 0
		.amdhsa_exception_fp_denorm_src 0
		.amdhsa_exception_fp_ieee_div_zero 0
		.amdhsa_exception_fp_ieee_overflow 0
		.amdhsa_exception_fp_ieee_underflow 0
		.amdhsa_exception_fp_ieee_inexact 0
		.amdhsa_exception_int_div_zero 0
	.end_amdhsa_kernel
	.section	.text._ZN7rocprim17ROCPRIM_400000_NS6detail17trampoline_kernelINS0_14default_configENS1_25partition_config_selectorILNS1_17partition_subalgoE2EjNS0_10empty_typeEbEEZZNS1_14partition_implILS5_2ELb0ES3_jN6thrust23THRUST_200600_302600_NS6detail15normal_iteratorINSA_7pointerIjNSA_11hip_rocprim3tagENSA_11use_defaultESG_EEEEPS6_NSA_18transform_iteratorI7is_evenIjENSC_INSA_10device_ptrIjEEEESG_SG_EENS0_5tupleIJPjSJ_EEENSR_IJSJ_SJ_EEES6_PlJS6_EEE10hipError_tPvRmT3_T4_T5_T6_T7_T9_mT8_P12ihipStream_tbDpT10_ENKUlT_T0_E_clISt17integral_constantIbLb1EES1E_IbLb0EEEEDaS1A_S1B_EUlS1A_E_NS1_11comp_targetILNS1_3genE10ELNS1_11target_archE1200ELNS1_3gpuE4ELNS1_3repE0EEENS1_30default_config_static_selectorELNS0_4arch9wavefront6targetE1EEEvT1_,"axG",@progbits,_ZN7rocprim17ROCPRIM_400000_NS6detail17trampoline_kernelINS0_14default_configENS1_25partition_config_selectorILNS1_17partition_subalgoE2EjNS0_10empty_typeEbEEZZNS1_14partition_implILS5_2ELb0ES3_jN6thrust23THRUST_200600_302600_NS6detail15normal_iteratorINSA_7pointerIjNSA_11hip_rocprim3tagENSA_11use_defaultESG_EEEEPS6_NSA_18transform_iteratorI7is_evenIjENSC_INSA_10device_ptrIjEEEESG_SG_EENS0_5tupleIJPjSJ_EEENSR_IJSJ_SJ_EEES6_PlJS6_EEE10hipError_tPvRmT3_T4_T5_T6_T7_T9_mT8_P12ihipStream_tbDpT10_ENKUlT_T0_E_clISt17integral_constantIbLb1EES1E_IbLb0EEEEDaS1A_S1B_EUlS1A_E_NS1_11comp_targetILNS1_3genE10ELNS1_11target_archE1200ELNS1_3gpuE4ELNS1_3repE0EEENS1_30default_config_static_selectorELNS0_4arch9wavefront6targetE1EEEvT1_,comdat
.Lfunc_end2058:
	.size	_ZN7rocprim17ROCPRIM_400000_NS6detail17trampoline_kernelINS0_14default_configENS1_25partition_config_selectorILNS1_17partition_subalgoE2EjNS0_10empty_typeEbEEZZNS1_14partition_implILS5_2ELb0ES3_jN6thrust23THRUST_200600_302600_NS6detail15normal_iteratorINSA_7pointerIjNSA_11hip_rocprim3tagENSA_11use_defaultESG_EEEEPS6_NSA_18transform_iteratorI7is_evenIjENSC_INSA_10device_ptrIjEEEESG_SG_EENS0_5tupleIJPjSJ_EEENSR_IJSJ_SJ_EEES6_PlJS6_EEE10hipError_tPvRmT3_T4_T5_T6_T7_T9_mT8_P12ihipStream_tbDpT10_ENKUlT_T0_E_clISt17integral_constantIbLb1EES1E_IbLb0EEEEDaS1A_S1B_EUlS1A_E_NS1_11comp_targetILNS1_3genE10ELNS1_11target_archE1200ELNS1_3gpuE4ELNS1_3repE0EEENS1_30default_config_static_selectorELNS0_4arch9wavefront6targetE1EEEvT1_, .Lfunc_end2058-_ZN7rocprim17ROCPRIM_400000_NS6detail17trampoline_kernelINS0_14default_configENS1_25partition_config_selectorILNS1_17partition_subalgoE2EjNS0_10empty_typeEbEEZZNS1_14partition_implILS5_2ELb0ES3_jN6thrust23THRUST_200600_302600_NS6detail15normal_iteratorINSA_7pointerIjNSA_11hip_rocprim3tagENSA_11use_defaultESG_EEEEPS6_NSA_18transform_iteratorI7is_evenIjENSC_INSA_10device_ptrIjEEEESG_SG_EENS0_5tupleIJPjSJ_EEENSR_IJSJ_SJ_EEES6_PlJS6_EEE10hipError_tPvRmT3_T4_T5_T6_T7_T9_mT8_P12ihipStream_tbDpT10_ENKUlT_T0_E_clISt17integral_constantIbLb1EES1E_IbLb0EEEEDaS1A_S1B_EUlS1A_E_NS1_11comp_targetILNS1_3genE10ELNS1_11target_archE1200ELNS1_3gpuE4ELNS1_3repE0EEENS1_30default_config_static_selectorELNS0_4arch9wavefront6targetE1EEEvT1_
                                        ; -- End function
	.section	.AMDGPU.csdata,"",@progbits
; Kernel info:
; codeLenInByte = 0
; NumSgprs: 4
; NumVgprs: 0
; NumAgprs: 0
; TotalNumVgprs: 0
; ScratchSize: 0
; MemoryBound: 0
; FloatMode: 240
; IeeeMode: 1
; LDSByteSize: 0 bytes/workgroup (compile time only)
; SGPRBlocks: 0
; VGPRBlocks: 0
; NumSGPRsForWavesPerEU: 4
; NumVGPRsForWavesPerEU: 1
; AccumOffset: 4
; Occupancy: 8
; WaveLimiterHint : 0
; COMPUTE_PGM_RSRC2:SCRATCH_EN: 0
; COMPUTE_PGM_RSRC2:USER_SGPR: 6
; COMPUTE_PGM_RSRC2:TRAP_HANDLER: 0
; COMPUTE_PGM_RSRC2:TGID_X_EN: 1
; COMPUTE_PGM_RSRC2:TGID_Y_EN: 0
; COMPUTE_PGM_RSRC2:TGID_Z_EN: 0
; COMPUTE_PGM_RSRC2:TIDIG_COMP_CNT: 0
; COMPUTE_PGM_RSRC3_GFX90A:ACCUM_OFFSET: 0
; COMPUTE_PGM_RSRC3_GFX90A:TG_SPLIT: 0
	.section	.text._ZN7rocprim17ROCPRIM_400000_NS6detail17trampoline_kernelINS0_14default_configENS1_25partition_config_selectorILNS1_17partition_subalgoE2EjNS0_10empty_typeEbEEZZNS1_14partition_implILS5_2ELb0ES3_jN6thrust23THRUST_200600_302600_NS6detail15normal_iteratorINSA_7pointerIjNSA_11hip_rocprim3tagENSA_11use_defaultESG_EEEEPS6_NSA_18transform_iteratorI7is_evenIjENSC_INSA_10device_ptrIjEEEESG_SG_EENS0_5tupleIJPjSJ_EEENSR_IJSJ_SJ_EEES6_PlJS6_EEE10hipError_tPvRmT3_T4_T5_T6_T7_T9_mT8_P12ihipStream_tbDpT10_ENKUlT_T0_E_clISt17integral_constantIbLb1EES1E_IbLb0EEEEDaS1A_S1B_EUlS1A_E_NS1_11comp_targetILNS1_3genE9ELNS1_11target_archE1100ELNS1_3gpuE3ELNS1_3repE0EEENS1_30default_config_static_selectorELNS0_4arch9wavefront6targetE1EEEvT1_,"axG",@progbits,_ZN7rocprim17ROCPRIM_400000_NS6detail17trampoline_kernelINS0_14default_configENS1_25partition_config_selectorILNS1_17partition_subalgoE2EjNS0_10empty_typeEbEEZZNS1_14partition_implILS5_2ELb0ES3_jN6thrust23THRUST_200600_302600_NS6detail15normal_iteratorINSA_7pointerIjNSA_11hip_rocprim3tagENSA_11use_defaultESG_EEEEPS6_NSA_18transform_iteratorI7is_evenIjENSC_INSA_10device_ptrIjEEEESG_SG_EENS0_5tupleIJPjSJ_EEENSR_IJSJ_SJ_EEES6_PlJS6_EEE10hipError_tPvRmT3_T4_T5_T6_T7_T9_mT8_P12ihipStream_tbDpT10_ENKUlT_T0_E_clISt17integral_constantIbLb1EES1E_IbLb0EEEEDaS1A_S1B_EUlS1A_E_NS1_11comp_targetILNS1_3genE9ELNS1_11target_archE1100ELNS1_3gpuE3ELNS1_3repE0EEENS1_30default_config_static_selectorELNS0_4arch9wavefront6targetE1EEEvT1_,comdat
	.protected	_ZN7rocprim17ROCPRIM_400000_NS6detail17trampoline_kernelINS0_14default_configENS1_25partition_config_selectorILNS1_17partition_subalgoE2EjNS0_10empty_typeEbEEZZNS1_14partition_implILS5_2ELb0ES3_jN6thrust23THRUST_200600_302600_NS6detail15normal_iteratorINSA_7pointerIjNSA_11hip_rocprim3tagENSA_11use_defaultESG_EEEEPS6_NSA_18transform_iteratorI7is_evenIjENSC_INSA_10device_ptrIjEEEESG_SG_EENS0_5tupleIJPjSJ_EEENSR_IJSJ_SJ_EEES6_PlJS6_EEE10hipError_tPvRmT3_T4_T5_T6_T7_T9_mT8_P12ihipStream_tbDpT10_ENKUlT_T0_E_clISt17integral_constantIbLb1EES1E_IbLb0EEEEDaS1A_S1B_EUlS1A_E_NS1_11comp_targetILNS1_3genE9ELNS1_11target_archE1100ELNS1_3gpuE3ELNS1_3repE0EEENS1_30default_config_static_selectorELNS0_4arch9wavefront6targetE1EEEvT1_ ; -- Begin function _ZN7rocprim17ROCPRIM_400000_NS6detail17trampoline_kernelINS0_14default_configENS1_25partition_config_selectorILNS1_17partition_subalgoE2EjNS0_10empty_typeEbEEZZNS1_14partition_implILS5_2ELb0ES3_jN6thrust23THRUST_200600_302600_NS6detail15normal_iteratorINSA_7pointerIjNSA_11hip_rocprim3tagENSA_11use_defaultESG_EEEEPS6_NSA_18transform_iteratorI7is_evenIjENSC_INSA_10device_ptrIjEEEESG_SG_EENS0_5tupleIJPjSJ_EEENSR_IJSJ_SJ_EEES6_PlJS6_EEE10hipError_tPvRmT3_T4_T5_T6_T7_T9_mT8_P12ihipStream_tbDpT10_ENKUlT_T0_E_clISt17integral_constantIbLb1EES1E_IbLb0EEEEDaS1A_S1B_EUlS1A_E_NS1_11comp_targetILNS1_3genE9ELNS1_11target_archE1100ELNS1_3gpuE3ELNS1_3repE0EEENS1_30default_config_static_selectorELNS0_4arch9wavefront6targetE1EEEvT1_
	.globl	_ZN7rocprim17ROCPRIM_400000_NS6detail17trampoline_kernelINS0_14default_configENS1_25partition_config_selectorILNS1_17partition_subalgoE2EjNS0_10empty_typeEbEEZZNS1_14partition_implILS5_2ELb0ES3_jN6thrust23THRUST_200600_302600_NS6detail15normal_iteratorINSA_7pointerIjNSA_11hip_rocprim3tagENSA_11use_defaultESG_EEEEPS6_NSA_18transform_iteratorI7is_evenIjENSC_INSA_10device_ptrIjEEEESG_SG_EENS0_5tupleIJPjSJ_EEENSR_IJSJ_SJ_EEES6_PlJS6_EEE10hipError_tPvRmT3_T4_T5_T6_T7_T9_mT8_P12ihipStream_tbDpT10_ENKUlT_T0_E_clISt17integral_constantIbLb1EES1E_IbLb0EEEEDaS1A_S1B_EUlS1A_E_NS1_11comp_targetILNS1_3genE9ELNS1_11target_archE1100ELNS1_3gpuE3ELNS1_3repE0EEENS1_30default_config_static_selectorELNS0_4arch9wavefront6targetE1EEEvT1_
	.p2align	8
	.type	_ZN7rocprim17ROCPRIM_400000_NS6detail17trampoline_kernelINS0_14default_configENS1_25partition_config_selectorILNS1_17partition_subalgoE2EjNS0_10empty_typeEbEEZZNS1_14partition_implILS5_2ELb0ES3_jN6thrust23THRUST_200600_302600_NS6detail15normal_iteratorINSA_7pointerIjNSA_11hip_rocprim3tagENSA_11use_defaultESG_EEEEPS6_NSA_18transform_iteratorI7is_evenIjENSC_INSA_10device_ptrIjEEEESG_SG_EENS0_5tupleIJPjSJ_EEENSR_IJSJ_SJ_EEES6_PlJS6_EEE10hipError_tPvRmT3_T4_T5_T6_T7_T9_mT8_P12ihipStream_tbDpT10_ENKUlT_T0_E_clISt17integral_constantIbLb1EES1E_IbLb0EEEEDaS1A_S1B_EUlS1A_E_NS1_11comp_targetILNS1_3genE9ELNS1_11target_archE1100ELNS1_3gpuE3ELNS1_3repE0EEENS1_30default_config_static_selectorELNS0_4arch9wavefront6targetE1EEEvT1_,@function
_ZN7rocprim17ROCPRIM_400000_NS6detail17trampoline_kernelINS0_14default_configENS1_25partition_config_selectorILNS1_17partition_subalgoE2EjNS0_10empty_typeEbEEZZNS1_14partition_implILS5_2ELb0ES3_jN6thrust23THRUST_200600_302600_NS6detail15normal_iteratorINSA_7pointerIjNSA_11hip_rocprim3tagENSA_11use_defaultESG_EEEEPS6_NSA_18transform_iteratorI7is_evenIjENSC_INSA_10device_ptrIjEEEESG_SG_EENS0_5tupleIJPjSJ_EEENSR_IJSJ_SJ_EEES6_PlJS6_EEE10hipError_tPvRmT3_T4_T5_T6_T7_T9_mT8_P12ihipStream_tbDpT10_ENKUlT_T0_E_clISt17integral_constantIbLb1EES1E_IbLb0EEEEDaS1A_S1B_EUlS1A_E_NS1_11comp_targetILNS1_3genE9ELNS1_11target_archE1100ELNS1_3gpuE3ELNS1_3repE0EEENS1_30default_config_static_selectorELNS0_4arch9wavefront6targetE1EEEvT1_: ; @_ZN7rocprim17ROCPRIM_400000_NS6detail17trampoline_kernelINS0_14default_configENS1_25partition_config_selectorILNS1_17partition_subalgoE2EjNS0_10empty_typeEbEEZZNS1_14partition_implILS5_2ELb0ES3_jN6thrust23THRUST_200600_302600_NS6detail15normal_iteratorINSA_7pointerIjNSA_11hip_rocprim3tagENSA_11use_defaultESG_EEEEPS6_NSA_18transform_iteratorI7is_evenIjENSC_INSA_10device_ptrIjEEEESG_SG_EENS0_5tupleIJPjSJ_EEENSR_IJSJ_SJ_EEES6_PlJS6_EEE10hipError_tPvRmT3_T4_T5_T6_T7_T9_mT8_P12ihipStream_tbDpT10_ENKUlT_T0_E_clISt17integral_constantIbLb1EES1E_IbLb0EEEEDaS1A_S1B_EUlS1A_E_NS1_11comp_targetILNS1_3genE9ELNS1_11target_archE1100ELNS1_3gpuE3ELNS1_3repE0EEENS1_30default_config_static_selectorELNS0_4arch9wavefront6targetE1EEEvT1_
; %bb.0:
	.section	.rodata,"a",@progbits
	.p2align	6, 0x0
	.amdhsa_kernel _ZN7rocprim17ROCPRIM_400000_NS6detail17trampoline_kernelINS0_14default_configENS1_25partition_config_selectorILNS1_17partition_subalgoE2EjNS0_10empty_typeEbEEZZNS1_14partition_implILS5_2ELb0ES3_jN6thrust23THRUST_200600_302600_NS6detail15normal_iteratorINSA_7pointerIjNSA_11hip_rocprim3tagENSA_11use_defaultESG_EEEEPS6_NSA_18transform_iteratorI7is_evenIjENSC_INSA_10device_ptrIjEEEESG_SG_EENS0_5tupleIJPjSJ_EEENSR_IJSJ_SJ_EEES6_PlJS6_EEE10hipError_tPvRmT3_T4_T5_T6_T7_T9_mT8_P12ihipStream_tbDpT10_ENKUlT_T0_E_clISt17integral_constantIbLb1EES1E_IbLb0EEEEDaS1A_S1B_EUlS1A_E_NS1_11comp_targetILNS1_3genE9ELNS1_11target_archE1100ELNS1_3gpuE3ELNS1_3repE0EEENS1_30default_config_static_selectorELNS0_4arch9wavefront6targetE1EEEvT1_
		.amdhsa_group_segment_fixed_size 0
		.amdhsa_private_segment_fixed_size 0
		.amdhsa_kernarg_size 128
		.amdhsa_user_sgpr_count 6
		.amdhsa_user_sgpr_private_segment_buffer 1
		.amdhsa_user_sgpr_dispatch_ptr 0
		.amdhsa_user_sgpr_queue_ptr 0
		.amdhsa_user_sgpr_kernarg_segment_ptr 1
		.amdhsa_user_sgpr_dispatch_id 0
		.amdhsa_user_sgpr_flat_scratch_init 0
		.amdhsa_user_sgpr_kernarg_preload_length 0
		.amdhsa_user_sgpr_kernarg_preload_offset 0
		.amdhsa_user_sgpr_private_segment_size 0
		.amdhsa_uses_dynamic_stack 0
		.amdhsa_system_sgpr_private_segment_wavefront_offset 0
		.amdhsa_system_sgpr_workgroup_id_x 1
		.amdhsa_system_sgpr_workgroup_id_y 0
		.amdhsa_system_sgpr_workgroup_id_z 0
		.amdhsa_system_sgpr_workgroup_info 0
		.amdhsa_system_vgpr_workitem_id 0
		.amdhsa_next_free_vgpr 1
		.amdhsa_next_free_sgpr 0
		.amdhsa_accum_offset 4
		.amdhsa_reserve_vcc 0
		.amdhsa_reserve_flat_scratch 0
		.amdhsa_float_round_mode_32 0
		.amdhsa_float_round_mode_16_64 0
		.amdhsa_float_denorm_mode_32 3
		.amdhsa_float_denorm_mode_16_64 3
		.amdhsa_dx10_clamp 1
		.amdhsa_ieee_mode 1
		.amdhsa_fp16_overflow 0
		.amdhsa_tg_split 0
		.amdhsa_exception_fp_ieee_invalid_op 0
		.amdhsa_exception_fp_denorm_src 0
		.amdhsa_exception_fp_ieee_div_zero 0
		.amdhsa_exception_fp_ieee_overflow 0
		.amdhsa_exception_fp_ieee_underflow 0
		.amdhsa_exception_fp_ieee_inexact 0
		.amdhsa_exception_int_div_zero 0
	.end_amdhsa_kernel
	.section	.text._ZN7rocprim17ROCPRIM_400000_NS6detail17trampoline_kernelINS0_14default_configENS1_25partition_config_selectorILNS1_17partition_subalgoE2EjNS0_10empty_typeEbEEZZNS1_14partition_implILS5_2ELb0ES3_jN6thrust23THRUST_200600_302600_NS6detail15normal_iteratorINSA_7pointerIjNSA_11hip_rocprim3tagENSA_11use_defaultESG_EEEEPS6_NSA_18transform_iteratorI7is_evenIjENSC_INSA_10device_ptrIjEEEESG_SG_EENS0_5tupleIJPjSJ_EEENSR_IJSJ_SJ_EEES6_PlJS6_EEE10hipError_tPvRmT3_T4_T5_T6_T7_T9_mT8_P12ihipStream_tbDpT10_ENKUlT_T0_E_clISt17integral_constantIbLb1EES1E_IbLb0EEEEDaS1A_S1B_EUlS1A_E_NS1_11comp_targetILNS1_3genE9ELNS1_11target_archE1100ELNS1_3gpuE3ELNS1_3repE0EEENS1_30default_config_static_selectorELNS0_4arch9wavefront6targetE1EEEvT1_,"axG",@progbits,_ZN7rocprim17ROCPRIM_400000_NS6detail17trampoline_kernelINS0_14default_configENS1_25partition_config_selectorILNS1_17partition_subalgoE2EjNS0_10empty_typeEbEEZZNS1_14partition_implILS5_2ELb0ES3_jN6thrust23THRUST_200600_302600_NS6detail15normal_iteratorINSA_7pointerIjNSA_11hip_rocprim3tagENSA_11use_defaultESG_EEEEPS6_NSA_18transform_iteratorI7is_evenIjENSC_INSA_10device_ptrIjEEEESG_SG_EENS0_5tupleIJPjSJ_EEENSR_IJSJ_SJ_EEES6_PlJS6_EEE10hipError_tPvRmT3_T4_T5_T6_T7_T9_mT8_P12ihipStream_tbDpT10_ENKUlT_T0_E_clISt17integral_constantIbLb1EES1E_IbLb0EEEEDaS1A_S1B_EUlS1A_E_NS1_11comp_targetILNS1_3genE9ELNS1_11target_archE1100ELNS1_3gpuE3ELNS1_3repE0EEENS1_30default_config_static_selectorELNS0_4arch9wavefront6targetE1EEEvT1_,comdat
.Lfunc_end2059:
	.size	_ZN7rocprim17ROCPRIM_400000_NS6detail17trampoline_kernelINS0_14default_configENS1_25partition_config_selectorILNS1_17partition_subalgoE2EjNS0_10empty_typeEbEEZZNS1_14partition_implILS5_2ELb0ES3_jN6thrust23THRUST_200600_302600_NS6detail15normal_iteratorINSA_7pointerIjNSA_11hip_rocprim3tagENSA_11use_defaultESG_EEEEPS6_NSA_18transform_iteratorI7is_evenIjENSC_INSA_10device_ptrIjEEEESG_SG_EENS0_5tupleIJPjSJ_EEENSR_IJSJ_SJ_EEES6_PlJS6_EEE10hipError_tPvRmT3_T4_T5_T6_T7_T9_mT8_P12ihipStream_tbDpT10_ENKUlT_T0_E_clISt17integral_constantIbLb1EES1E_IbLb0EEEEDaS1A_S1B_EUlS1A_E_NS1_11comp_targetILNS1_3genE9ELNS1_11target_archE1100ELNS1_3gpuE3ELNS1_3repE0EEENS1_30default_config_static_selectorELNS0_4arch9wavefront6targetE1EEEvT1_, .Lfunc_end2059-_ZN7rocprim17ROCPRIM_400000_NS6detail17trampoline_kernelINS0_14default_configENS1_25partition_config_selectorILNS1_17partition_subalgoE2EjNS0_10empty_typeEbEEZZNS1_14partition_implILS5_2ELb0ES3_jN6thrust23THRUST_200600_302600_NS6detail15normal_iteratorINSA_7pointerIjNSA_11hip_rocprim3tagENSA_11use_defaultESG_EEEEPS6_NSA_18transform_iteratorI7is_evenIjENSC_INSA_10device_ptrIjEEEESG_SG_EENS0_5tupleIJPjSJ_EEENSR_IJSJ_SJ_EEES6_PlJS6_EEE10hipError_tPvRmT3_T4_T5_T6_T7_T9_mT8_P12ihipStream_tbDpT10_ENKUlT_T0_E_clISt17integral_constantIbLb1EES1E_IbLb0EEEEDaS1A_S1B_EUlS1A_E_NS1_11comp_targetILNS1_3genE9ELNS1_11target_archE1100ELNS1_3gpuE3ELNS1_3repE0EEENS1_30default_config_static_selectorELNS0_4arch9wavefront6targetE1EEEvT1_
                                        ; -- End function
	.section	.AMDGPU.csdata,"",@progbits
; Kernel info:
; codeLenInByte = 0
; NumSgprs: 4
; NumVgprs: 0
; NumAgprs: 0
; TotalNumVgprs: 0
; ScratchSize: 0
; MemoryBound: 0
; FloatMode: 240
; IeeeMode: 1
; LDSByteSize: 0 bytes/workgroup (compile time only)
; SGPRBlocks: 0
; VGPRBlocks: 0
; NumSGPRsForWavesPerEU: 4
; NumVGPRsForWavesPerEU: 1
; AccumOffset: 4
; Occupancy: 8
; WaveLimiterHint : 0
; COMPUTE_PGM_RSRC2:SCRATCH_EN: 0
; COMPUTE_PGM_RSRC2:USER_SGPR: 6
; COMPUTE_PGM_RSRC2:TRAP_HANDLER: 0
; COMPUTE_PGM_RSRC2:TGID_X_EN: 1
; COMPUTE_PGM_RSRC2:TGID_Y_EN: 0
; COMPUTE_PGM_RSRC2:TGID_Z_EN: 0
; COMPUTE_PGM_RSRC2:TIDIG_COMP_CNT: 0
; COMPUTE_PGM_RSRC3_GFX90A:ACCUM_OFFSET: 0
; COMPUTE_PGM_RSRC3_GFX90A:TG_SPLIT: 0
	.section	.text._ZN7rocprim17ROCPRIM_400000_NS6detail17trampoline_kernelINS0_14default_configENS1_25partition_config_selectorILNS1_17partition_subalgoE2EjNS0_10empty_typeEbEEZZNS1_14partition_implILS5_2ELb0ES3_jN6thrust23THRUST_200600_302600_NS6detail15normal_iteratorINSA_7pointerIjNSA_11hip_rocprim3tagENSA_11use_defaultESG_EEEEPS6_NSA_18transform_iteratorI7is_evenIjENSC_INSA_10device_ptrIjEEEESG_SG_EENS0_5tupleIJPjSJ_EEENSR_IJSJ_SJ_EEES6_PlJS6_EEE10hipError_tPvRmT3_T4_T5_T6_T7_T9_mT8_P12ihipStream_tbDpT10_ENKUlT_T0_E_clISt17integral_constantIbLb1EES1E_IbLb0EEEEDaS1A_S1B_EUlS1A_E_NS1_11comp_targetILNS1_3genE8ELNS1_11target_archE1030ELNS1_3gpuE2ELNS1_3repE0EEENS1_30default_config_static_selectorELNS0_4arch9wavefront6targetE1EEEvT1_,"axG",@progbits,_ZN7rocprim17ROCPRIM_400000_NS6detail17trampoline_kernelINS0_14default_configENS1_25partition_config_selectorILNS1_17partition_subalgoE2EjNS0_10empty_typeEbEEZZNS1_14partition_implILS5_2ELb0ES3_jN6thrust23THRUST_200600_302600_NS6detail15normal_iteratorINSA_7pointerIjNSA_11hip_rocprim3tagENSA_11use_defaultESG_EEEEPS6_NSA_18transform_iteratorI7is_evenIjENSC_INSA_10device_ptrIjEEEESG_SG_EENS0_5tupleIJPjSJ_EEENSR_IJSJ_SJ_EEES6_PlJS6_EEE10hipError_tPvRmT3_T4_T5_T6_T7_T9_mT8_P12ihipStream_tbDpT10_ENKUlT_T0_E_clISt17integral_constantIbLb1EES1E_IbLb0EEEEDaS1A_S1B_EUlS1A_E_NS1_11comp_targetILNS1_3genE8ELNS1_11target_archE1030ELNS1_3gpuE2ELNS1_3repE0EEENS1_30default_config_static_selectorELNS0_4arch9wavefront6targetE1EEEvT1_,comdat
	.protected	_ZN7rocprim17ROCPRIM_400000_NS6detail17trampoline_kernelINS0_14default_configENS1_25partition_config_selectorILNS1_17partition_subalgoE2EjNS0_10empty_typeEbEEZZNS1_14partition_implILS5_2ELb0ES3_jN6thrust23THRUST_200600_302600_NS6detail15normal_iteratorINSA_7pointerIjNSA_11hip_rocprim3tagENSA_11use_defaultESG_EEEEPS6_NSA_18transform_iteratorI7is_evenIjENSC_INSA_10device_ptrIjEEEESG_SG_EENS0_5tupleIJPjSJ_EEENSR_IJSJ_SJ_EEES6_PlJS6_EEE10hipError_tPvRmT3_T4_T5_T6_T7_T9_mT8_P12ihipStream_tbDpT10_ENKUlT_T0_E_clISt17integral_constantIbLb1EES1E_IbLb0EEEEDaS1A_S1B_EUlS1A_E_NS1_11comp_targetILNS1_3genE8ELNS1_11target_archE1030ELNS1_3gpuE2ELNS1_3repE0EEENS1_30default_config_static_selectorELNS0_4arch9wavefront6targetE1EEEvT1_ ; -- Begin function _ZN7rocprim17ROCPRIM_400000_NS6detail17trampoline_kernelINS0_14default_configENS1_25partition_config_selectorILNS1_17partition_subalgoE2EjNS0_10empty_typeEbEEZZNS1_14partition_implILS5_2ELb0ES3_jN6thrust23THRUST_200600_302600_NS6detail15normal_iteratorINSA_7pointerIjNSA_11hip_rocprim3tagENSA_11use_defaultESG_EEEEPS6_NSA_18transform_iteratorI7is_evenIjENSC_INSA_10device_ptrIjEEEESG_SG_EENS0_5tupleIJPjSJ_EEENSR_IJSJ_SJ_EEES6_PlJS6_EEE10hipError_tPvRmT3_T4_T5_T6_T7_T9_mT8_P12ihipStream_tbDpT10_ENKUlT_T0_E_clISt17integral_constantIbLb1EES1E_IbLb0EEEEDaS1A_S1B_EUlS1A_E_NS1_11comp_targetILNS1_3genE8ELNS1_11target_archE1030ELNS1_3gpuE2ELNS1_3repE0EEENS1_30default_config_static_selectorELNS0_4arch9wavefront6targetE1EEEvT1_
	.globl	_ZN7rocprim17ROCPRIM_400000_NS6detail17trampoline_kernelINS0_14default_configENS1_25partition_config_selectorILNS1_17partition_subalgoE2EjNS0_10empty_typeEbEEZZNS1_14partition_implILS5_2ELb0ES3_jN6thrust23THRUST_200600_302600_NS6detail15normal_iteratorINSA_7pointerIjNSA_11hip_rocprim3tagENSA_11use_defaultESG_EEEEPS6_NSA_18transform_iteratorI7is_evenIjENSC_INSA_10device_ptrIjEEEESG_SG_EENS0_5tupleIJPjSJ_EEENSR_IJSJ_SJ_EEES6_PlJS6_EEE10hipError_tPvRmT3_T4_T5_T6_T7_T9_mT8_P12ihipStream_tbDpT10_ENKUlT_T0_E_clISt17integral_constantIbLb1EES1E_IbLb0EEEEDaS1A_S1B_EUlS1A_E_NS1_11comp_targetILNS1_3genE8ELNS1_11target_archE1030ELNS1_3gpuE2ELNS1_3repE0EEENS1_30default_config_static_selectorELNS0_4arch9wavefront6targetE1EEEvT1_
	.p2align	8
	.type	_ZN7rocprim17ROCPRIM_400000_NS6detail17trampoline_kernelINS0_14default_configENS1_25partition_config_selectorILNS1_17partition_subalgoE2EjNS0_10empty_typeEbEEZZNS1_14partition_implILS5_2ELb0ES3_jN6thrust23THRUST_200600_302600_NS6detail15normal_iteratorINSA_7pointerIjNSA_11hip_rocprim3tagENSA_11use_defaultESG_EEEEPS6_NSA_18transform_iteratorI7is_evenIjENSC_INSA_10device_ptrIjEEEESG_SG_EENS0_5tupleIJPjSJ_EEENSR_IJSJ_SJ_EEES6_PlJS6_EEE10hipError_tPvRmT3_T4_T5_T6_T7_T9_mT8_P12ihipStream_tbDpT10_ENKUlT_T0_E_clISt17integral_constantIbLb1EES1E_IbLb0EEEEDaS1A_S1B_EUlS1A_E_NS1_11comp_targetILNS1_3genE8ELNS1_11target_archE1030ELNS1_3gpuE2ELNS1_3repE0EEENS1_30default_config_static_selectorELNS0_4arch9wavefront6targetE1EEEvT1_,@function
_ZN7rocprim17ROCPRIM_400000_NS6detail17trampoline_kernelINS0_14default_configENS1_25partition_config_selectorILNS1_17partition_subalgoE2EjNS0_10empty_typeEbEEZZNS1_14partition_implILS5_2ELb0ES3_jN6thrust23THRUST_200600_302600_NS6detail15normal_iteratorINSA_7pointerIjNSA_11hip_rocprim3tagENSA_11use_defaultESG_EEEEPS6_NSA_18transform_iteratorI7is_evenIjENSC_INSA_10device_ptrIjEEEESG_SG_EENS0_5tupleIJPjSJ_EEENSR_IJSJ_SJ_EEES6_PlJS6_EEE10hipError_tPvRmT3_T4_T5_T6_T7_T9_mT8_P12ihipStream_tbDpT10_ENKUlT_T0_E_clISt17integral_constantIbLb1EES1E_IbLb0EEEEDaS1A_S1B_EUlS1A_E_NS1_11comp_targetILNS1_3genE8ELNS1_11target_archE1030ELNS1_3gpuE2ELNS1_3repE0EEENS1_30default_config_static_selectorELNS0_4arch9wavefront6targetE1EEEvT1_: ; @_ZN7rocprim17ROCPRIM_400000_NS6detail17trampoline_kernelINS0_14default_configENS1_25partition_config_selectorILNS1_17partition_subalgoE2EjNS0_10empty_typeEbEEZZNS1_14partition_implILS5_2ELb0ES3_jN6thrust23THRUST_200600_302600_NS6detail15normal_iteratorINSA_7pointerIjNSA_11hip_rocprim3tagENSA_11use_defaultESG_EEEEPS6_NSA_18transform_iteratorI7is_evenIjENSC_INSA_10device_ptrIjEEEESG_SG_EENS0_5tupleIJPjSJ_EEENSR_IJSJ_SJ_EEES6_PlJS6_EEE10hipError_tPvRmT3_T4_T5_T6_T7_T9_mT8_P12ihipStream_tbDpT10_ENKUlT_T0_E_clISt17integral_constantIbLb1EES1E_IbLb0EEEEDaS1A_S1B_EUlS1A_E_NS1_11comp_targetILNS1_3genE8ELNS1_11target_archE1030ELNS1_3gpuE2ELNS1_3repE0EEENS1_30default_config_static_selectorELNS0_4arch9wavefront6targetE1EEEvT1_
; %bb.0:
	.section	.rodata,"a",@progbits
	.p2align	6, 0x0
	.amdhsa_kernel _ZN7rocprim17ROCPRIM_400000_NS6detail17trampoline_kernelINS0_14default_configENS1_25partition_config_selectorILNS1_17partition_subalgoE2EjNS0_10empty_typeEbEEZZNS1_14partition_implILS5_2ELb0ES3_jN6thrust23THRUST_200600_302600_NS6detail15normal_iteratorINSA_7pointerIjNSA_11hip_rocprim3tagENSA_11use_defaultESG_EEEEPS6_NSA_18transform_iteratorI7is_evenIjENSC_INSA_10device_ptrIjEEEESG_SG_EENS0_5tupleIJPjSJ_EEENSR_IJSJ_SJ_EEES6_PlJS6_EEE10hipError_tPvRmT3_T4_T5_T6_T7_T9_mT8_P12ihipStream_tbDpT10_ENKUlT_T0_E_clISt17integral_constantIbLb1EES1E_IbLb0EEEEDaS1A_S1B_EUlS1A_E_NS1_11comp_targetILNS1_3genE8ELNS1_11target_archE1030ELNS1_3gpuE2ELNS1_3repE0EEENS1_30default_config_static_selectorELNS0_4arch9wavefront6targetE1EEEvT1_
		.amdhsa_group_segment_fixed_size 0
		.amdhsa_private_segment_fixed_size 0
		.amdhsa_kernarg_size 128
		.amdhsa_user_sgpr_count 6
		.amdhsa_user_sgpr_private_segment_buffer 1
		.amdhsa_user_sgpr_dispatch_ptr 0
		.amdhsa_user_sgpr_queue_ptr 0
		.amdhsa_user_sgpr_kernarg_segment_ptr 1
		.amdhsa_user_sgpr_dispatch_id 0
		.amdhsa_user_sgpr_flat_scratch_init 0
		.amdhsa_user_sgpr_kernarg_preload_length 0
		.amdhsa_user_sgpr_kernarg_preload_offset 0
		.amdhsa_user_sgpr_private_segment_size 0
		.amdhsa_uses_dynamic_stack 0
		.amdhsa_system_sgpr_private_segment_wavefront_offset 0
		.amdhsa_system_sgpr_workgroup_id_x 1
		.amdhsa_system_sgpr_workgroup_id_y 0
		.amdhsa_system_sgpr_workgroup_id_z 0
		.amdhsa_system_sgpr_workgroup_info 0
		.amdhsa_system_vgpr_workitem_id 0
		.amdhsa_next_free_vgpr 1
		.amdhsa_next_free_sgpr 0
		.amdhsa_accum_offset 4
		.amdhsa_reserve_vcc 0
		.amdhsa_reserve_flat_scratch 0
		.amdhsa_float_round_mode_32 0
		.amdhsa_float_round_mode_16_64 0
		.amdhsa_float_denorm_mode_32 3
		.amdhsa_float_denorm_mode_16_64 3
		.amdhsa_dx10_clamp 1
		.amdhsa_ieee_mode 1
		.amdhsa_fp16_overflow 0
		.amdhsa_tg_split 0
		.amdhsa_exception_fp_ieee_invalid_op 0
		.amdhsa_exception_fp_denorm_src 0
		.amdhsa_exception_fp_ieee_div_zero 0
		.amdhsa_exception_fp_ieee_overflow 0
		.amdhsa_exception_fp_ieee_underflow 0
		.amdhsa_exception_fp_ieee_inexact 0
		.amdhsa_exception_int_div_zero 0
	.end_amdhsa_kernel
	.section	.text._ZN7rocprim17ROCPRIM_400000_NS6detail17trampoline_kernelINS0_14default_configENS1_25partition_config_selectorILNS1_17partition_subalgoE2EjNS0_10empty_typeEbEEZZNS1_14partition_implILS5_2ELb0ES3_jN6thrust23THRUST_200600_302600_NS6detail15normal_iteratorINSA_7pointerIjNSA_11hip_rocprim3tagENSA_11use_defaultESG_EEEEPS6_NSA_18transform_iteratorI7is_evenIjENSC_INSA_10device_ptrIjEEEESG_SG_EENS0_5tupleIJPjSJ_EEENSR_IJSJ_SJ_EEES6_PlJS6_EEE10hipError_tPvRmT3_T4_T5_T6_T7_T9_mT8_P12ihipStream_tbDpT10_ENKUlT_T0_E_clISt17integral_constantIbLb1EES1E_IbLb0EEEEDaS1A_S1B_EUlS1A_E_NS1_11comp_targetILNS1_3genE8ELNS1_11target_archE1030ELNS1_3gpuE2ELNS1_3repE0EEENS1_30default_config_static_selectorELNS0_4arch9wavefront6targetE1EEEvT1_,"axG",@progbits,_ZN7rocprim17ROCPRIM_400000_NS6detail17trampoline_kernelINS0_14default_configENS1_25partition_config_selectorILNS1_17partition_subalgoE2EjNS0_10empty_typeEbEEZZNS1_14partition_implILS5_2ELb0ES3_jN6thrust23THRUST_200600_302600_NS6detail15normal_iteratorINSA_7pointerIjNSA_11hip_rocprim3tagENSA_11use_defaultESG_EEEEPS6_NSA_18transform_iteratorI7is_evenIjENSC_INSA_10device_ptrIjEEEESG_SG_EENS0_5tupleIJPjSJ_EEENSR_IJSJ_SJ_EEES6_PlJS6_EEE10hipError_tPvRmT3_T4_T5_T6_T7_T9_mT8_P12ihipStream_tbDpT10_ENKUlT_T0_E_clISt17integral_constantIbLb1EES1E_IbLb0EEEEDaS1A_S1B_EUlS1A_E_NS1_11comp_targetILNS1_3genE8ELNS1_11target_archE1030ELNS1_3gpuE2ELNS1_3repE0EEENS1_30default_config_static_selectorELNS0_4arch9wavefront6targetE1EEEvT1_,comdat
.Lfunc_end2060:
	.size	_ZN7rocprim17ROCPRIM_400000_NS6detail17trampoline_kernelINS0_14default_configENS1_25partition_config_selectorILNS1_17partition_subalgoE2EjNS0_10empty_typeEbEEZZNS1_14partition_implILS5_2ELb0ES3_jN6thrust23THRUST_200600_302600_NS6detail15normal_iteratorINSA_7pointerIjNSA_11hip_rocprim3tagENSA_11use_defaultESG_EEEEPS6_NSA_18transform_iteratorI7is_evenIjENSC_INSA_10device_ptrIjEEEESG_SG_EENS0_5tupleIJPjSJ_EEENSR_IJSJ_SJ_EEES6_PlJS6_EEE10hipError_tPvRmT3_T4_T5_T6_T7_T9_mT8_P12ihipStream_tbDpT10_ENKUlT_T0_E_clISt17integral_constantIbLb1EES1E_IbLb0EEEEDaS1A_S1B_EUlS1A_E_NS1_11comp_targetILNS1_3genE8ELNS1_11target_archE1030ELNS1_3gpuE2ELNS1_3repE0EEENS1_30default_config_static_selectorELNS0_4arch9wavefront6targetE1EEEvT1_, .Lfunc_end2060-_ZN7rocprim17ROCPRIM_400000_NS6detail17trampoline_kernelINS0_14default_configENS1_25partition_config_selectorILNS1_17partition_subalgoE2EjNS0_10empty_typeEbEEZZNS1_14partition_implILS5_2ELb0ES3_jN6thrust23THRUST_200600_302600_NS6detail15normal_iteratorINSA_7pointerIjNSA_11hip_rocprim3tagENSA_11use_defaultESG_EEEEPS6_NSA_18transform_iteratorI7is_evenIjENSC_INSA_10device_ptrIjEEEESG_SG_EENS0_5tupleIJPjSJ_EEENSR_IJSJ_SJ_EEES6_PlJS6_EEE10hipError_tPvRmT3_T4_T5_T6_T7_T9_mT8_P12ihipStream_tbDpT10_ENKUlT_T0_E_clISt17integral_constantIbLb1EES1E_IbLb0EEEEDaS1A_S1B_EUlS1A_E_NS1_11comp_targetILNS1_3genE8ELNS1_11target_archE1030ELNS1_3gpuE2ELNS1_3repE0EEENS1_30default_config_static_selectorELNS0_4arch9wavefront6targetE1EEEvT1_
                                        ; -- End function
	.section	.AMDGPU.csdata,"",@progbits
; Kernel info:
; codeLenInByte = 0
; NumSgprs: 4
; NumVgprs: 0
; NumAgprs: 0
; TotalNumVgprs: 0
; ScratchSize: 0
; MemoryBound: 0
; FloatMode: 240
; IeeeMode: 1
; LDSByteSize: 0 bytes/workgroup (compile time only)
; SGPRBlocks: 0
; VGPRBlocks: 0
; NumSGPRsForWavesPerEU: 4
; NumVGPRsForWavesPerEU: 1
; AccumOffset: 4
; Occupancy: 8
; WaveLimiterHint : 0
; COMPUTE_PGM_RSRC2:SCRATCH_EN: 0
; COMPUTE_PGM_RSRC2:USER_SGPR: 6
; COMPUTE_PGM_RSRC2:TRAP_HANDLER: 0
; COMPUTE_PGM_RSRC2:TGID_X_EN: 1
; COMPUTE_PGM_RSRC2:TGID_Y_EN: 0
; COMPUTE_PGM_RSRC2:TGID_Z_EN: 0
; COMPUTE_PGM_RSRC2:TIDIG_COMP_CNT: 0
; COMPUTE_PGM_RSRC3_GFX90A:ACCUM_OFFSET: 0
; COMPUTE_PGM_RSRC3_GFX90A:TG_SPLIT: 0
	.section	.text._ZN7rocprim17ROCPRIM_400000_NS6detail17trampoline_kernelINS0_14default_configENS1_25partition_config_selectorILNS1_17partition_subalgoE2EjNS0_10empty_typeEbEEZZNS1_14partition_implILS5_2ELb0ES3_jN6thrust23THRUST_200600_302600_NS6detail15normal_iteratorINSA_7pointerIjNSA_11hip_rocprim3tagENSA_11use_defaultESG_EEEEPS6_NSA_18transform_iteratorI7is_evenIjENSC_INSA_10device_ptrIjEEEESG_SG_EENS0_5tupleIJPjSJ_EEENSR_IJSJ_SJ_EEES6_PlJS6_EEE10hipError_tPvRmT3_T4_T5_T6_T7_T9_mT8_P12ihipStream_tbDpT10_ENKUlT_T0_E_clISt17integral_constantIbLb0EES1E_IbLb1EEEEDaS1A_S1B_EUlS1A_E_NS1_11comp_targetILNS1_3genE0ELNS1_11target_archE4294967295ELNS1_3gpuE0ELNS1_3repE0EEENS1_30default_config_static_selectorELNS0_4arch9wavefront6targetE1EEEvT1_,"axG",@progbits,_ZN7rocprim17ROCPRIM_400000_NS6detail17trampoline_kernelINS0_14default_configENS1_25partition_config_selectorILNS1_17partition_subalgoE2EjNS0_10empty_typeEbEEZZNS1_14partition_implILS5_2ELb0ES3_jN6thrust23THRUST_200600_302600_NS6detail15normal_iteratorINSA_7pointerIjNSA_11hip_rocprim3tagENSA_11use_defaultESG_EEEEPS6_NSA_18transform_iteratorI7is_evenIjENSC_INSA_10device_ptrIjEEEESG_SG_EENS0_5tupleIJPjSJ_EEENSR_IJSJ_SJ_EEES6_PlJS6_EEE10hipError_tPvRmT3_T4_T5_T6_T7_T9_mT8_P12ihipStream_tbDpT10_ENKUlT_T0_E_clISt17integral_constantIbLb0EES1E_IbLb1EEEEDaS1A_S1B_EUlS1A_E_NS1_11comp_targetILNS1_3genE0ELNS1_11target_archE4294967295ELNS1_3gpuE0ELNS1_3repE0EEENS1_30default_config_static_selectorELNS0_4arch9wavefront6targetE1EEEvT1_,comdat
	.protected	_ZN7rocprim17ROCPRIM_400000_NS6detail17trampoline_kernelINS0_14default_configENS1_25partition_config_selectorILNS1_17partition_subalgoE2EjNS0_10empty_typeEbEEZZNS1_14partition_implILS5_2ELb0ES3_jN6thrust23THRUST_200600_302600_NS6detail15normal_iteratorINSA_7pointerIjNSA_11hip_rocprim3tagENSA_11use_defaultESG_EEEEPS6_NSA_18transform_iteratorI7is_evenIjENSC_INSA_10device_ptrIjEEEESG_SG_EENS0_5tupleIJPjSJ_EEENSR_IJSJ_SJ_EEES6_PlJS6_EEE10hipError_tPvRmT3_T4_T5_T6_T7_T9_mT8_P12ihipStream_tbDpT10_ENKUlT_T0_E_clISt17integral_constantIbLb0EES1E_IbLb1EEEEDaS1A_S1B_EUlS1A_E_NS1_11comp_targetILNS1_3genE0ELNS1_11target_archE4294967295ELNS1_3gpuE0ELNS1_3repE0EEENS1_30default_config_static_selectorELNS0_4arch9wavefront6targetE1EEEvT1_ ; -- Begin function _ZN7rocprim17ROCPRIM_400000_NS6detail17trampoline_kernelINS0_14default_configENS1_25partition_config_selectorILNS1_17partition_subalgoE2EjNS0_10empty_typeEbEEZZNS1_14partition_implILS5_2ELb0ES3_jN6thrust23THRUST_200600_302600_NS6detail15normal_iteratorINSA_7pointerIjNSA_11hip_rocprim3tagENSA_11use_defaultESG_EEEEPS6_NSA_18transform_iteratorI7is_evenIjENSC_INSA_10device_ptrIjEEEESG_SG_EENS0_5tupleIJPjSJ_EEENSR_IJSJ_SJ_EEES6_PlJS6_EEE10hipError_tPvRmT3_T4_T5_T6_T7_T9_mT8_P12ihipStream_tbDpT10_ENKUlT_T0_E_clISt17integral_constantIbLb0EES1E_IbLb1EEEEDaS1A_S1B_EUlS1A_E_NS1_11comp_targetILNS1_3genE0ELNS1_11target_archE4294967295ELNS1_3gpuE0ELNS1_3repE0EEENS1_30default_config_static_selectorELNS0_4arch9wavefront6targetE1EEEvT1_
	.globl	_ZN7rocprim17ROCPRIM_400000_NS6detail17trampoline_kernelINS0_14default_configENS1_25partition_config_selectorILNS1_17partition_subalgoE2EjNS0_10empty_typeEbEEZZNS1_14partition_implILS5_2ELb0ES3_jN6thrust23THRUST_200600_302600_NS6detail15normal_iteratorINSA_7pointerIjNSA_11hip_rocprim3tagENSA_11use_defaultESG_EEEEPS6_NSA_18transform_iteratorI7is_evenIjENSC_INSA_10device_ptrIjEEEESG_SG_EENS0_5tupleIJPjSJ_EEENSR_IJSJ_SJ_EEES6_PlJS6_EEE10hipError_tPvRmT3_T4_T5_T6_T7_T9_mT8_P12ihipStream_tbDpT10_ENKUlT_T0_E_clISt17integral_constantIbLb0EES1E_IbLb1EEEEDaS1A_S1B_EUlS1A_E_NS1_11comp_targetILNS1_3genE0ELNS1_11target_archE4294967295ELNS1_3gpuE0ELNS1_3repE0EEENS1_30default_config_static_selectorELNS0_4arch9wavefront6targetE1EEEvT1_
	.p2align	8
	.type	_ZN7rocprim17ROCPRIM_400000_NS6detail17trampoline_kernelINS0_14default_configENS1_25partition_config_selectorILNS1_17partition_subalgoE2EjNS0_10empty_typeEbEEZZNS1_14partition_implILS5_2ELb0ES3_jN6thrust23THRUST_200600_302600_NS6detail15normal_iteratorINSA_7pointerIjNSA_11hip_rocprim3tagENSA_11use_defaultESG_EEEEPS6_NSA_18transform_iteratorI7is_evenIjENSC_INSA_10device_ptrIjEEEESG_SG_EENS0_5tupleIJPjSJ_EEENSR_IJSJ_SJ_EEES6_PlJS6_EEE10hipError_tPvRmT3_T4_T5_T6_T7_T9_mT8_P12ihipStream_tbDpT10_ENKUlT_T0_E_clISt17integral_constantIbLb0EES1E_IbLb1EEEEDaS1A_S1B_EUlS1A_E_NS1_11comp_targetILNS1_3genE0ELNS1_11target_archE4294967295ELNS1_3gpuE0ELNS1_3repE0EEENS1_30default_config_static_selectorELNS0_4arch9wavefront6targetE1EEEvT1_,@function
_ZN7rocprim17ROCPRIM_400000_NS6detail17trampoline_kernelINS0_14default_configENS1_25partition_config_selectorILNS1_17partition_subalgoE2EjNS0_10empty_typeEbEEZZNS1_14partition_implILS5_2ELb0ES3_jN6thrust23THRUST_200600_302600_NS6detail15normal_iteratorINSA_7pointerIjNSA_11hip_rocprim3tagENSA_11use_defaultESG_EEEEPS6_NSA_18transform_iteratorI7is_evenIjENSC_INSA_10device_ptrIjEEEESG_SG_EENS0_5tupleIJPjSJ_EEENSR_IJSJ_SJ_EEES6_PlJS6_EEE10hipError_tPvRmT3_T4_T5_T6_T7_T9_mT8_P12ihipStream_tbDpT10_ENKUlT_T0_E_clISt17integral_constantIbLb0EES1E_IbLb1EEEEDaS1A_S1B_EUlS1A_E_NS1_11comp_targetILNS1_3genE0ELNS1_11target_archE4294967295ELNS1_3gpuE0ELNS1_3repE0EEENS1_30default_config_static_selectorELNS0_4arch9wavefront6targetE1EEEvT1_: ; @_ZN7rocprim17ROCPRIM_400000_NS6detail17trampoline_kernelINS0_14default_configENS1_25partition_config_selectorILNS1_17partition_subalgoE2EjNS0_10empty_typeEbEEZZNS1_14partition_implILS5_2ELb0ES3_jN6thrust23THRUST_200600_302600_NS6detail15normal_iteratorINSA_7pointerIjNSA_11hip_rocprim3tagENSA_11use_defaultESG_EEEEPS6_NSA_18transform_iteratorI7is_evenIjENSC_INSA_10device_ptrIjEEEESG_SG_EENS0_5tupleIJPjSJ_EEENSR_IJSJ_SJ_EEES6_PlJS6_EEE10hipError_tPvRmT3_T4_T5_T6_T7_T9_mT8_P12ihipStream_tbDpT10_ENKUlT_T0_E_clISt17integral_constantIbLb0EES1E_IbLb1EEEEDaS1A_S1B_EUlS1A_E_NS1_11comp_targetILNS1_3genE0ELNS1_11target_archE4294967295ELNS1_3gpuE0ELNS1_3repE0EEENS1_30default_config_static_selectorELNS0_4arch9wavefront6targetE1EEEvT1_
; %bb.0:
	.section	.rodata,"a",@progbits
	.p2align	6, 0x0
	.amdhsa_kernel _ZN7rocprim17ROCPRIM_400000_NS6detail17trampoline_kernelINS0_14default_configENS1_25partition_config_selectorILNS1_17partition_subalgoE2EjNS0_10empty_typeEbEEZZNS1_14partition_implILS5_2ELb0ES3_jN6thrust23THRUST_200600_302600_NS6detail15normal_iteratorINSA_7pointerIjNSA_11hip_rocprim3tagENSA_11use_defaultESG_EEEEPS6_NSA_18transform_iteratorI7is_evenIjENSC_INSA_10device_ptrIjEEEESG_SG_EENS0_5tupleIJPjSJ_EEENSR_IJSJ_SJ_EEES6_PlJS6_EEE10hipError_tPvRmT3_T4_T5_T6_T7_T9_mT8_P12ihipStream_tbDpT10_ENKUlT_T0_E_clISt17integral_constantIbLb0EES1E_IbLb1EEEEDaS1A_S1B_EUlS1A_E_NS1_11comp_targetILNS1_3genE0ELNS1_11target_archE4294967295ELNS1_3gpuE0ELNS1_3repE0EEENS1_30default_config_static_selectorELNS0_4arch9wavefront6targetE1EEEvT1_
		.amdhsa_group_segment_fixed_size 0
		.amdhsa_private_segment_fixed_size 0
		.amdhsa_kernarg_size 144
		.amdhsa_user_sgpr_count 6
		.amdhsa_user_sgpr_private_segment_buffer 1
		.amdhsa_user_sgpr_dispatch_ptr 0
		.amdhsa_user_sgpr_queue_ptr 0
		.amdhsa_user_sgpr_kernarg_segment_ptr 1
		.amdhsa_user_sgpr_dispatch_id 0
		.amdhsa_user_sgpr_flat_scratch_init 0
		.amdhsa_user_sgpr_kernarg_preload_length 0
		.amdhsa_user_sgpr_kernarg_preload_offset 0
		.amdhsa_user_sgpr_private_segment_size 0
		.amdhsa_uses_dynamic_stack 0
		.amdhsa_system_sgpr_private_segment_wavefront_offset 0
		.amdhsa_system_sgpr_workgroup_id_x 1
		.amdhsa_system_sgpr_workgroup_id_y 0
		.amdhsa_system_sgpr_workgroup_id_z 0
		.amdhsa_system_sgpr_workgroup_info 0
		.amdhsa_system_vgpr_workitem_id 0
		.amdhsa_next_free_vgpr 1
		.amdhsa_next_free_sgpr 0
		.amdhsa_accum_offset 4
		.amdhsa_reserve_vcc 0
		.amdhsa_reserve_flat_scratch 0
		.amdhsa_float_round_mode_32 0
		.amdhsa_float_round_mode_16_64 0
		.amdhsa_float_denorm_mode_32 3
		.amdhsa_float_denorm_mode_16_64 3
		.amdhsa_dx10_clamp 1
		.amdhsa_ieee_mode 1
		.amdhsa_fp16_overflow 0
		.amdhsa_tg_split 0
		.amdhsa_exception_fp_ieee_invalid_op 0
		.amdhsa_exception_fp_denorm_src 0
		.amdhsa_exception_fp_ieee_div_zero 0
		.amdhsa_exception_fp_ieee_overflow 0
		.amdhsa_exception_fp_ieee_underflow 0
		.amdhsa_exception_fp_ieee_inexact 0
		.amdhsa_exception_int_div_zero 0
	.end_amdhsa_kernel
	.section	.text._ZN7rocprim17ROCPRIM_400000_NS6detail17trampoline_kernelINS0_14default_configENS1_25partition_config_selectorILNS1_17partition_subalgoE2EjNS0_10empty_typeEbEEZZNS1_14partition_implILS5_2ELb0ES3_jN6thrust23THRUST_200600_302600_NS6detail15normal_iteratorINSA_7pointerIjNSA_11hip_rocprim3tagENSA_11use_defaultESG_EEEEPS6_NSA_18transform_iteratorI7is_evenIjENSC_INSA_10device_ptrIjEEEESG_SG_EENS0_5tupleIJPjSJ_EEENSR_IJSJ_SJ_EEES6_PlJS6_EEE10hipError_tPvRmT3_T4_T5_T6_T7_T9_mT8_P12ihipStream_tbDpT10_ENKUlT_T0_E_clISt17integral_constantIbLb0EES1E_IbLb1EEEEDaS1A_S1B_EUlS1A_E_NS1_11comp_targetILNS1_3genE0ELNS1_11target_archE4294967295ELNS1_3gpuE0ELNS1_3repE0EEENS1_30default_config_static_selectorELNS0_4arch9wavefront6targetE1EEEvT1_,"axG",@progbits,_ZN7rocprim17ROCPRIM_400000_NS6detail17trampoline_kernelINS0_14default_configENS1_25partition_config_selectorILNS1_17partition_subalgoE2EjNS0_10empty_typeEbEEZZNS1_14partition_implILS5_2ELb0ES3_jN6thrust23THRUST_200600_302600_NS6detail15normal_iteratorINSA_7pointerIjNSA_11hip_rocprim3tagENSA_11use_defaultESG_EEEEPS6_NSA_18transform_iteratorI7is_evenIjENSC_INSA_10device_ptrIjEEEESG_SG_EENS0_5tupleIJPjSJ_EEENSR_IJSJ_SJ_EEES6_PlJS6_EEE10hipError_tPvRmT3_T4_T5_T6_T7_T9_mT8_P12ihipStream_tbDpT10_ENKUlT_T0_E_clISt17integral_constantIbLb0EES1E_IbLb1EEEEDaS1A_S1B_EUlS1A_E_NS1_11comp_targetILNS1_3genE0ELNS1_11target_archE4294967295ELNS1_3gpuE0ELNS1_3repE0EEENS1_30default_config_static_selectorELNS0_4arch9wavefront6targetE1EEEvT1_,comdat
.Lfunc_end2061:
	.size	_ZN7rocprim17ROCPRIM_400000_NS6detail17trampoline_kernelINS0_14default_configENS1_25partition_config_selectorILNS1_17partition_subalgoE2EjNS0_10empty_typeEbEEZZNS1_14partition_implILS5_2ELb0ES3_jN6thrust23THRUST_200600_302600_NS6detail15normal_iteratorINSA_7pointerIjNSA_11hip_rocprim3tagENSA_11use_defaultESG_EEEEPS6_NSA_18transform_iteratorI7is_evenIjENSC_INSA_10device_ptrIjEEEESG_SG_EENS0_5tupleIJPjSJ_EEENSR_IJSJ_SJ_EEES6_PlJS6_EEE10hipError_tPvRmT3_T4_T5_T6_T7_T9_mT8_P12ihipStream_tbDpT10_ENKUlT_T0_E_clISt17integral_constantIbLb0EES1E_IbLb1EEEEDaS1A_S1B_EUlS1A_E_NS1_11comp_targetILNS1_3genE0ELNS1_11target_archE4294967295ELNS1_3gpuE0ELNS1_3repE0EEENS1_30default_config_static_selectorELNS0_4arch9wavefront6targetE1EEEvT1_, .Lfunc_end2061-_ZN7rocprim17ROCPRIM_400000_NS6detail17trampoline_kernelINS0_14default_configENS1_25partition_config_selectorILNS1_17partition_subalgoE2EjNS0_10empty_typeEbEEZZNS1_14partition_implILS5_2ELb0ES3_jN6thrust23THRUST_200600_302600_NS6detail15normal_iteratorINSA_7pointerIjNSA_11hip_rocprim3tagENSA_11use_defaultESG_EEEEPS6_NSA_18transform_iteratorI7is_evenIjENSC_INSA_10device_ptrIjEEEESG_SG_EENS0_5tupleIJPjSJ_EEENSR_IJSJ_SJ_EEES6_PlJS6_EEE10hipError_tPvRmT3_T4_T5_T6_T7_T9_mT8_P12ihipStream_tbDpT10_ENKUlT_T0_E_clISt17integral_constantIbLb0EES1E_IbLb1EEEEDaS1A_S1B_EUlS1A_E_NS1_11comp_targetILNS1_3genE0ELNS1_11target_archE4294967295ELNS1_3gpuE0ELNS1_3repE0EEENS1_30default_config_static_selectorELNS0_4arch9wavefront6targetE1EEEvT1_
                                        ; -- End function
	.section	.AMDGPU.csdata,"",@progbits
; Kernel info:
; codeLenInByte = 0
; NumSgprs: 4
; NumVgprs: 0
; NumAgprs: 0
; TotalNumVgprs: 0
; ScratchSize: 0
; MemoryBound: 0
; FloatMode: 240
; IeeeMode: 1
; LDSByteSize: 0 bytes/workgroup (compile time only)
; SGPRBlocks: 0
; VGPRBlocks: 0
; NumSGPRsForWavesPerEU: 4
; NumVGPRsForWavesPerEU: 1
; AccumOffset: 4
; Occupancy: 8
; WaveLimiterHint : 0
; COMPUTE_PGM_RSRC2:SCRATCH_EN: 0
; COMPUTE_PGM_RSRC2:USER_SGPR: 6
; COMPUTE_PGM_RSRC2:TRAP_HANDLER: 0
; COMPUTE_PGM_RSRC2:TGID_X_EN: 1
; COMPUTE_PGM_RSRC2:TGID_Y_EN: 0
; COMPUTE_PGM_RSRC2:TGID_Z_EN: 0
; COMPUTE_PGM_RSRC2:TIDIG_COMP_CNT: 0
; COMPUTE_PGM_RSRC3_GFX90A:ACCUM_OFFSET: 0
; COMPUTE_PGM_RSRC3_GFX90A:TG_SPLIT: 0
	.section	.text._ZN7rocprim17ROCPRIM_400000_NS6detail17trampoline_kernelINS0_14default_configENS1_25partition_config_selectorILNS1_17partition_subalgoE2EjNS0_10empty_typeEbEEZZNS1_14partition_implILS5_2ELb0ES3_jN6thrust23THRUST_200600_302600_NS6detail15normal_iteratorINSA_7pointerIjNSA_11hip_rocprim3tagENSA_11use_defaultESG_EEEEPS6_NSA_18transform_iteratorI7is_evenIjENSC_INSA_10device_ptrIjEEEESG_SG_EENS0_5tupleIJPjSJ_EEENSR_IJSJ_SJ_EEES6_PlJS6_EEE10hipError_tPvRmT3_T4_T5_T6_T7_T9_mT8_P12ihipStream_tbDpT10_ENKUlT_T0_E_clISt17integral_constantIbLb0EES1E_IbLb1EEEEDaS1A_S1B_EUlS1A_E_NS1_11comp_targetILNS1_3genE5ELNS1_11target_archE942ELNS1_3gpuE9ELNS1_3repE0EEENS1_30default_config_static_selectorELNS0_4arch9wavefront6targetE1EEEvT1_,"axG",@progbits,_ZN7rocprim17ROCPRIM_400000_NS6detail17trampoline_kernelINS0_14default_configENS1_25partition_config_selectorILNS1_17partition_subalgoE2EjNS0_10empty_typeEbEEZZNS1_14partition_implILS5_2ELb0ES3_jN6thrust23THRUST_200600_302600_NS6detail15normal_iteratorINSA_7pointerIjNSA_11hip_rocprim3tagENSA_11use_defaultESG_EEEEPS6_NSA_18transform_iteratorI7is_evenIjENSC_INSA_10device_ptrIjEEEESG_SG_EENS0_5tupleIJPjSJ_EEENSR_IJSJ_SJ_EEES6_PlJS6_EEE10hipError_tPvRmT3_T4_T5_T6_T7_T9_mT8_P12ihipStream_tbDpT10_ENKUlT_T0_E_clISt17integral_constantIbLb0EES1E_IbLb1EEEEDaS1A_S1B_EUlS1A_E_NS1_11comp_targetILNS1_3genE5ELNS1_11target_archE942ELNS1_3gpuE9ELNS1_3repE0EEENS1_30default_config_static_selectorELNS0_4arch9wavefront6targetE1EEEvT1_,comdat
	.protected	_ZN7rocprim17ROCPRIM_400000_NS6detail17trampoline_kernelINS0_14default_configENS1_25partition_config_selectorILNS1_17partition_subalgoE2EjNS0_10empty_typeEbEEZZNS1_14partition_implILS5_2ELb0ES3_jN6thrust23THRUST_200600_302600_NS6detail15normal_iteratorINSA_7pointerIjNSA_11hip_rocprim3tagENSA_11use_defaultESG_EEEEPS6_NSA_18transform_iteratorI7is_evenIjENSC_INSA_10device_ptrIjEEEESG_SG_EENS0_5tupleIJPjSJ_EEENSR_IJSJ_SJ_EEES6_PlJS6_EEE10hipError_tPvRmT3_T4_T5_T6_T7_T9_mT8_P12ihipStream_tbDpT10_ENKUlT_T0_E_clISt17integral_constantIbLb0EES1E_IbLb1EEEEDaS1A_S1B_EUlS1A_E_NS1_11comp_targetILNS1_3genE5ELNS1_11target_archE942ELNS1_3gpuE9ELNS1_3repE0EEENS1_30default_config_static_selectorELNS0_4arch9wavefront6targetE1EEEvT1_ ; -- Begin function _ZN7rocprim17ROCPRIM_400000_NS6detail17trampoline_kernelINS0_14default_configENS1_25partition_config_selectorILNS1_17partition_subalgoE2EjNS0_10empty_typeEbEEZZNS1_14partition_implILS5_2ELb0ES3_jN6thrust23THRUST_200600_302600_NS6detail15normal_iteratorINSA_7pointerIjNSA_11hip_rocprim3tagENSA_11use_defaultESG_EEEEPS6_NSA_18transform_iteratorI7is_evenIjENSC_INSA_10device_ptrIjEEEESG_SG_EENS0_5tupleIJPjSJ_EEENSR_IJSJ_SJ_EEES6_PlJS6_EEE10hipError_tPvRmT3_T4_T5_T6_T7_T9_mT8_P12ihipStream_tbDpT10_ENKUlT_T0_E_clISt17integral_constantIbLb0EES1E_IbLb1EEEEDaS1A_S1B_EUlS1A_E_NS1_11comp_targetILNS1_3genE5ELNS1_11target_archE942ELNS1_3gpuE9ELNS1_3repE0EEENS1_30default_config_static_selectorELNS0_4arch9wavefront6targetE1EEEvT1_
	.globl	_ZN7rocprim17ROCPRIM_400000_NS6detail17trampoline_kernelINS0_14default_configENS1_25partition_config_selectorILNS1_17partition_subalgoE2EjNS0_10empty_typeEbEEZZNS1_14partition_implILS5_2ELb0ES3_jN6thrust23THRUST_200600_302600_NS6detail15normal_iteratorINSA_7pointerIjNSA_11hip_rocprim3tagENSA_11use_defaultESG_EEEEPS6_NSA_18transform_iteratorI7is_evenIjENSC_INSA_10device_ptrIjEEEESG_SG_EENS0_5tupleIJPjSJ_EEENSR_IJSJ_SJ_EEES6_PlJS6_EEE10hipError_tPvRmT3_T4_T5_T6_T7_T9_mT8_P12ihipStream_tbDpT10_ENKUlT_T0_E_clISt17integral_constantIbLb0EES1E_IbLb1EEEEDaS1A_S1B_EUlS1A_E_NS1_11comp_targetILNS1_3genE5ELNS1_11target_archE942ELNS1_3gpuE9ELNS1_3repE0EEENS1_30default_config_static_selectorELNS0_4arch9wavefront6targetE1EEEvT1_
	.p2align	8
	.type	_ZN7rocprim17ROCPRIM_400000_NS6detail17trampoline_kernelINS0_14default_configENS1_25partition_config_selectorILNS1_17partition_subalgoE2EjNS0_10empty_typeEbEEZZNS1_14partition_implILS5_2ELb0ES3_jN6thrust23THRUST_200600_302600_NS6detail15normal_iteratorINSA_7pointerIjNSA_11hip_rocprim3tagENSA_11use_defaultESG_EEEEPS6_NSA_18transform_iteratorI7is_evenIjENSC_INSA_10device_ptrIjEEEESG_SG_EENS0_5tupleIJPjSJ_EEENSR_IJSJ_SJ_EEES6_PlJS6_EEE10hipError_tPvRmT3_T4_T5_T6_T7_T9_mT8_P12ihipStream_tbDpT10_ENKUlT_T0_E_clISt17integral_constantIbLb0EES1E_IbLb1EEEEDaS1A_S1B_EUlS1A_E_NS1_11comp_targetILNS1_3genE5ELNS1_11target_archE942ELNS1_3gpuE9ELNS1_3repE0EEENS1_30default_config_static_selectorELNS0_4arch9wavefront6targetE1EEEvT1_,@function
_ZN7rocprim17ROCPRIM_400000_NS6detail17trampoline_kernelINS0_14default_configENS1_25partition_config_selectorILNS1_17partition_subalgoE2EjNS0_10empty_typeEbEEZZNS1_14partition_implILS5_2ELb0ES3_jN6thrust23THRUST_200600_302600_NS6detail15normal_iteratorINSA_7pointerIjNSA_11hip_rocprim3tagENSA_11use_defaultESG_EEEEPS6_NSA_18transform_iteratorI7is_evenIjENSC_INSA_10device_ptrIjEEEESG_SG_EENS0_5tupleIJPjSJ_EEENSR_IJSJ_SJ_EEES6_PlJS6_EEE10hipError_tPvRmT3_T4_T5_T6_T7_T9_mT8_P12ihipStream_tbDpT10_ENKUlT_T0_E_clISt17integral_constantIbLb0EES1E_IbLb1EEEEDaS1A_S1B_EUlS1A_E_NS1_11comp_targetILNS1_3genE5ELNS1_11target_archE942ELNS1_3gpuE9ELNS1_3repE0EEENS1_30default_config_static_selectorELNS0_4arch9wavefront6targetE1EEEvT1_: ; @_ZN7rocprim17ROCPRIM_400000_NS6detail17trampoline_kernelINS0_14default_configENS1_25partition_config_selectorILNS1_17partition_subalgoE2EjNS0_10empty_typeEbEEZZNS1_14partition_implILS5_2ELb0ES3_jN6thrust23THRUST_200600_302600_NS6detail15normal_iteratorINSA_7pointerIjNSA_11hip_rocprim3tagENSA_11use_defaultESG_EEEEPS6_NSA_18transform_iteratorI7is_evenIjENSC_INSA_10device_ptrIjEEEESG_SG_EENS0_5tupleIJPjSJ_EEENSR_IJSJ_SJ_EEES6_PlJS6_EEE10hipError_tPvRmT3_T4_T5_T6_T7_T9_mT8_P12ihipStream_tbDpT10_ENKUlT_T0_E_clISt17integral_constantIbLb0EES1E_IbLb1EEEEDaS1A_S1B_EUlS1A_E_NS1_11comp_targetILNS1_3genE5ELNS1_11target_archE942ELNS1_3gpuE9ELNS1_3repE0EEENS1_30default_config_static_selectorELNS0_4arch9wavefront6targetE1EEEvT1_
; %bb.0:
	.section	.rodata,"a",@progbits
	.p2align	6, 0x0
	.amdhsa_kernel _ZN7rocprim17ROCPRIM_400000_NS6detail17trampoline_kernelINS0_14default_configENS1_25partition_config_selectorILNS1_17partition_subalgoE2EjNS0_10empty_typeEbEEZZNS1_14partition_implILS5_2ELb0ES3_jN6thrust23THRUST_200600_302600_NS6detail15normal_iteratorINSA_7pointerIjNSA_11hip_rocprim3tagENSA_11use_defaultESG_EEEEPS6_NSA_18transform_iteratorI7is_evenIjENSC_INSA_10device_ptrIjEEEESG_SG_EENS0_5tupleIJPjSJ_EEENSR_IJSJ_SJ_EEES6_PlJS6_EEE10hipError_tPvRmT3_T4_T5_T6_T7_T9_mT8_P12ihipStream_tbDpT10_ENKUlT_T0_E_clISt17integral_constantIbLb0EES1E_IbLb1EEEEDaS1A_S1B_EUlS1A_E_NS1_11comp_targetILNS1_3genE5ELNS1_11target_archE942ELNS1_3gpuE9ELNS1_3repE0EEENS1_30default_config_static_selectorELNS0_4arch9wavefront6targetE1EEEvT1_
		.amdhsa_group_segment_fixed_size 0
		.amdhsa_private_segment_fixed_size 0
		.amdhsa_kernarg_size 144
		.amdhsa_user_sgpr_count 6
		.amdhsa_user_sgpr_private_segment_buffer 1
		.amdhsa_user_sgpr_dispatch_ptr 0
		.amdhsa_user_sgpr_queue_ptr 0
		.amdhsa_user_sgpr_kernarg_segment_ptr 1
		.amdhsa_user_sgpr_dispatch_id 0
		.amdhsa_user_sgpr_flat_scratch_init 0
		.amdhsa_user_sgpr_kernarg_preload_length 0
		.amdhsa_user_sgpr_kernarg_preload_offset 0
		.amdhsa_user_sgpr_private_segment_size 0
		.amdhsa_uses_dynamic_stack 0
		.amdhsa_system_sgpr_private_segment_wavefront_offset 0
		.amdhsa_system_sgpr_workgroup_id_x 1
		.amdhsa_system_sgpr_workgroup_id_y 0
		.amdhsa_system_sgpr_workgroup_id_z 0
		.amdhsa_system_sgpr_workgroup_info 0
		.amdhsa_system_vgpr_workitem_id 0
		.amdhsa_next_free_vgpr 1
		.amdhsa_next_free_sgpr 0
		.amdhsa_accum_offset 4
		.amdhsa_reserve_vcc 0
		.amdhsa_reserve_flat_scratch 0
		.amdhsa_float_round_mode_32 0
		.amdhsa_float_round_mode_16_64 0
		.amdhsa_float_denorm_mode_32 3
		.amdhsa_float_denorm_mode_16_64 3
		.amdhsa_dx10_clamp 1
		.amdhsa_ieee_mode 1
		.amdhsa_fp16_overflow 0
		.amdhsa_tg_split 0
		.amdhsa_exception_fp_ieee_invalid_op 0
		.amdhsa_exception_fp_denorm_src 0
		.amdhsa_exception_fp_ieee_div_zero 0
		.amdhsa_exception_fp_ieee_overflow 0
		.amdhsa_exception_fp_ieee_underflow 0
		.amdhsa_exception_fp_ieee_inexact 0
		.amdhsa_exception_int_div_zero 0
	.end_amdhsa_kernel
	.section	.text._ZN7rocprim17ROCPRIM_400000_NS6detail17trampoline_kernelINS0_14default_configENS1_25partition_config_selectorILNS1_17partition_subalgoE2EjNS0_10empty_typeEbEEZZNS1_14partition_implILS5_2ELb0ES3_jN6thrust23THRUST_200600_302600_NS6detail15normal_iteratorINSA_7pointerIjNSA_11hip_rocprim3tagENSA_11use_defaultESG_EEEEPS6_NSA_18transform_iteratorI7is_evenIjENSC_INSA_10device_ptrIjEEEESG_SG_EENS0_5tupleIJPjSJ_EEENSR_IJSJ_SJ_EEES6_PlJS6_EEE10hipError_tPvRmT3_T4_T5_T6_T7_T9_mT8_P12ihipStream_tbDpT10_ENKUlT_T0_E_clISt17integral_constantIbLb0EES1E_IbLb1EEEEDaS1A_S1B_EUlS1A_E_NS1_11comp_targetILNS1_3genE5ELNS1_11target_archE942ELNS1_3gpuE9ELNS1_3repE0EEENS1_30default_config_static_selectorELNS0_4arch9wavefront6targetE1EEEvT1_,"axG",@progbits,_ZN7rocprim17ROCPRIM_400000_NS6detail17trampoline_kernelINS0_14default_configENS1_25partition_config_selectorILNS1_17partition_subalgoE2EjNS0_10empty_typeEbEEZZNS1_14partition_implILS5_2ELb0ES3_jN6thrust23THRUST_200600_302600_NS6detail15normal_iteratorINSA_7pointerIjNSA_11hip_rocprim3tagENSA_11use_defaultESG_EEEEPS6_NSA_18transform_iteratorI7is_evenIjENSC_INSA_10device_ptrIjEEEESG_SG_EENS0_5tupleIJPjSJ_EEENSR_IJSJ_SJ_EEES6_PlJS6_EEE10hipError_tPvRmT3_T4_T5_T6_T7_T9_mT8_P12ihipStream_tbDpT10_ENKUlT_T0_E_clISt17integral_constantIbLb0EES1E_IbLb1EEEEDaS1A_S1B_EUlS1A_E_NS1_11comp_targetILNS1_3genE5ELNS1_11target_archE942ELNS1_3gpuE9ELNS1_3repE0EEENS1_30default_config_static_selectorELNS0_4arch9wavefront6targetE1EEEvT1_,comdat
.Lfunc_end2062:
	.size	_ZN7rocprim17ROCPRIM_400000_NS6detail17trampoline_kernelINS0_14default_configENS1_25partition_config_selectorILNS1_17partition_subalgoE2EjNS0_10empty_typeEbEEZZNS1_14partition_implILS5_2ELb0ES3_jN6thrust23THRUST_200600_302600_NS6detail15normal_iteratorINSA_7pointerIjNSA_11hip_rocprim3tagENSA_11use_defaultESG_EEEEPS6_NSA_18transform_iteratorI7is_evenIjENSC_INSA_10device_ptrIjEEEESG_SG_EENS0_5tupleIJPjSJ_EEENSR_IJSJ_SJ_EEES6_PlJS6_EEE10hipError_tPvRmT3_T4_T5_T6_T7_T9_mT8_P12ihipStream_tbDpT10_ENKUlT_T0_E_clISt17integral_constantIbLb0EES1E_IbLb1EEEEDaS1A_S1B_EUlS1A_E_NS1_11comp_targetILNS1_3genE5ELNS1_11target_archE942ELNS1_3gpuE9ELNS1_3repE0EEENS1_30default_config_static_selectorELNS0_4arch9wavefront6targetE1EEEvT1_, .Lfunc_end2062-_ZN7rocprim17ROCPRIM_400000_NS6detail17trampoline_kernelINS0_14default_configENS1_25partition_config_selectorILNS1_17partition_subalgoE2EjNS0_10empty_typeEbEEZZNS1_14partition_implILS5_2ELb0ES3_jN6thrust23THRUST_200600_302600_NS6detail15normal_iteratorINSA_7pointerIjNSA_11hip_rocprim3tagENSA_11use_defaultESG_EEEEPS6_NSA_18transform_iteratorI7is_evenIjENSC_INSA_10device_ptrIjEEEESG_SG_EENS0_5tupleIJPjSJ_EEENSR_IJSJ_SJ_EEES6_PlJS6_EEE10hipError_tPvRmT3_T4_T5_T6_T7_T9_mT8_P12ihipStream_tbDpT10_ENKUlT_T0_E_clISt17integral_constantIbLb0EES1E_IbLb1EEEEDaS1A_S1B_EUlS1A_E_NS1_11comp_targetILNS1_3genE5ELNS1_11target_archE942ELNS1_3gpuE9ELNS1_3repE0EEENS1_30default_config_static_selectorELNS0_4arch9wavefront6targetE1EEEvT1_
                                        ; -- End function
	.section	.AMDGPU.csdata,"",@progbits
; Kernel info:
; codeLenInByte = 0
; NumSgprs: 4
; NumVgprs: 0
; NumAgprs: 0
; TotalNumVgprs: 0
; ScratchSize: 0
; MemoryBound: 0
; FloatMode: 240
; IeeeMode: 1
; LDSByteSize: 0 bytes/workgroup (compile time only)
; SGPRBlocks: 0
; VGPRBlocks: 0
; NumSGPRsForWavesPerEU: 4
; NumVGPRsForWavesPerEU: 1
; AccumOffset: 4
; Occupancy: 8
; WaveLimiterHint : 0
; COMPUTE_PGM_RSRC2:SCRATCH_EN: 0
; COMPUTE_PGM_RSRC2:USER_SGPR: 6
; COMPUTE_PGM_RSRC2:TRAP_HANDLER: 0
; COMPUTE_PGM_RSRC2:TGID_X_EN: 1
; COMPUTE_PGM_RSRC2:TGID_Y_EN: 0
; COMPUTE_PGM_RSRC2:TGID_Z_EN: 0
; COMPUTE_PGM_RSRC2:TIDIG_COMP_CNT: 0
; COMPUTE_PGM_RSRC3_GFX90A:ACCUM_OFFSET: 0
; COMPUTE_PGM_RSRC3_GFX90A:TG_SPLIT: 0
	.section	.text._ZN7rocprim17ROCPRIM_400000_NS6detail17trampoline_kernelINS0_14default_configENS1_25partition_config_selectorILNS1_17partition_subalgoE2EjNS0_10empty_typeEbEEZZNS1_14partition_implILS5_2ELb0ES3_jN6thrust23THRUST_200600_302600_NS6detail15normal_iteratorINSA_7pointerIjNSA_11hip_rocprim3tagENSA_11use_defaultESG_EEEEPS6_NSA_18transform_iteratorI7is_evenIjENSC_INSA_10device_ptrIjEEEESG_SG_EENS0_5tupleIJPjSJ_EEENSR_IJSJ_SJ_EEES6_PlJS6_EEE10hipError_tPvRmT3_T4_T5_T6_T7_T9_mT8_P12ihipStream_tbDpT10_ENKUlT_T0_E_clISt17integral_constantIbLb0EES1E_IbLb1EEEEDaS1A_S1B_EUlS1A_E_NS1_11comp_targetILNS1_3genE4ELNS1_11target_archE910ELNS1_3gpuE8ELNS1_3repE0EEENS1_30default_config_static_selectorELNS0_4arch9wavefront6targetE1EEEvT1_,"axG",@progbits,_ZN7rocprim17ROCPRIM_400000_NS6detail17trampoline_kernelINS0_14default_configENS1_25partition_config_selectorILNS1_17partition_subalgoE2EjNS0_10empty_typeEbEEZZNS1_14partition_implILS5_2ELb0ES3_jN6thrust23THRUST_200600_302600_NS6detail15normal_iteratorINSA_7pointerIjNSA_11hip_rocprim3tagENSA_11use_defaultESG_EEEEPS6_NSA_18transform_iteratorI7is_evenIjENSC_INSA_10device_ptrIjEEEESG_SG_EENS0_5tupleIJPjSJ_EEENSR_IJSJ_SJ_EEES6_PlJS6_EEE10hipError_tPvRmT3_T4_T5_T6_T7_T9_mT8_P12ihipStream_tbDpT10_ENKUlT_T0_E_clISt17integral_constantIbLb0EES1E_IbLb1EEEEDaS1A_S1B_EUlS1A_E_NS1_11comp_targetILNS1_3genE4ELNS1_11target_archE910ELNS1_3gpuE8ELNS1_3repE0EEENS1_30default_config_static_selectorELNS0_4arch9wavefront6targetE1EEEvT1_,comdat
	.protected	_ZN7rocprim17ROCPRIM_400000_NS6detail17trampoline_kernelINS0_14default_configENS1_25partition_config_selectorILNS1_17partition_subalgoE2EjNS0_10empty_typeEbEEZZNS1_14partition_implILS5_2ELb0ES3_jN6thrust23THRUST_200600_302600_NS6detail15normal_iteratorINSA_7pointerIjNSA_11hip_rocprim3tagENSA_11use_defaultESG_EEEEPS6_NSA_18transform_iteratorI7is_evenIjENSC_INSA_10device_ptrIjEEEESG_SG_EENS0_5tupleIJPjSJ_EEENSR_IJSJ_SJ_EEES6_PlJS6_EEE10hipError_tPvRmT3_T4_T5_T6_T7_T9_mT8_P12ihipStream_tbDpT10_ENKUlT_T0_E_clISt17integral_constantIbLb0EES1E_IbLb1EEEEDaS1A_S1B_EUlS1A_E_NS1_11comp_targetILNS1_3genE4ELNS1_11target_archE910ELNS1_3gpuE8ELNS1_3repE0EEENS1_30default_config_static_selectorELNS0_4arch9wavefront6targetE1EEEvT1_ ; -- Begin function _ZN7rocprim17ROCPRIM_400000_NS6detail17trampoline_kernelINS0_14default_configENS1_25partition_config_selectorILNS1_17partition_subalgoE2EjNS0_10empty_typeEbEEZZNS1_14partition_implILS5_2ELb0ES3_jN6thrust23THRUST_200600_302600_NS6detail15normal_iteratorINSA_7pointerIjNSA_11hip_rocprim3tagENSA_11use_defaultESG_EEEEPS6_NSA_18transform_iteratorI7is_evenIjENSC_INSA_10device_ptrIjEEEESG_SG_EENS0_5tupleIJPjSJ_EEENSR_IJSJ_SJ_EEES6_PlJS6_EEE10hipError_tPvRmT3_T4_T5_T6_T7_T9_mT8_P12ihipStream_tbDpT10_ENKUlT_T0_E_clISt17integral_constantIbLb0EES1E_IbLb1EEEEDaS1A_S1B_EUlS1A_E_NS1_11comp_targetILNS1_3genE4ELNS1_11target_archE910ELNS1_3gpuE8ELNS1_3repE0EEENS1_30default_config_static_selectorELNS0_4arch9wavefront6targetE1EEEvT1_
	.globl	_ZN7rocprim17ROCPRIM_400000_NS6detail17trampoline_kernelINS0_14default_configENS1_25partition_config_selectorILNS1_17partition_subalgoE2EjNS0_10empty_typeEbEEZZNS1_14partition_implILS5_2ELb0ES3_jN6thrust23THRUST_200600_302600_NS6detail15normal_iteratorINSA_7pointerIjNSA_11hip_rocprim3tagENSA_11use_defaultESG_EEEEPS6_NSA_18transform_iteratorI7is_evenIjENSC_INSA_10device_ptrIjEEEESG_SG_EENS0_5tupleIJPjSJ_EEENSR_IJSJ_SJ_EEES6_PlJS6_EEE10hipError_tPvRmT3_T4_T5_T6_T7_T9_mT8_P12ihipStream_tbDpT10_ENKUlT_T0_E_clISt17integral_constantIbLb0EES1E_IbLb1EEEEDaS1A_S1B_EUlS1A_E_NS1_11comp_targetILNS1_3genE4ELNS1_11target_archE910ELNS1_3gpuE8ELNS1_3repE0EEENS1_30default_config_static_selectorELNS0_4arch9wavefront6targetE1EEEvT1_
	.p2align	8
	.type	_ZN7rocprim17ROCPRIM_400000_NS6detail17trampoline_kernelINS0_14default_configENS1_25partition_config_selectorILNS1_17partition_subalgoE2EjNS0_10empty_typeEbEEZZNS1_14partition_implILS5_2ELb0ES3_jN6thrust23THRUST_200600_302600_NS6detail15normal_iteratorINSA_7pointerIjNSA_11hip_rocprim3tagENSA_11use_defaultESG_EEEEPS6_NSA_18transform_iteratorI7is_evenIjENSC_INSA_10device_ptrIjEEEESG_SG_EENS0_5tupleIJPjSJ_EEENSR_IJSJ_SJ_EEES6_PlJS6_EEE10hipError_tPvRmT3_T4_T5_T6_T7_T9_mT8_P12ihipStream_tbDpT10_ENKUlT_T0_E_clISt17integral_constantIbLb0EES1E_IbLb1EEEEDaS1A_S1B_EUlS1A_E_NS1_11comp_targetILNS1_3genE4ELNS1_11target_archE910ELNS1_3gpuE8ELNS1_3repE0EEENS1_30default_config_static_selectorELNS0_4arch9wavefront6targetE1EEEvT1_,@function
_ZN7rocprim17ROCPRIM_400000_NS6detail17trampoline_kernelINS0_14default_configENS1_25partition_config_selectorILNS1_17partition_subalgoE2EjNS0_10empty_typeEbEEZZNS1_14partition_implILS5_2ELb0ES3_jN6thrust23THRUST_200600_302600_NS6detail15normal_iteratorINSA_7pointerIjNSA_11hip_rocprim3tagENSA_11use_defaultESG_EEEEPS6_NSA_18transform_iteratorI7is_evenIjENSC_INSA_10device_ptrIjEEEESG_SG_EENS0_5tupleIJPjSJ_EEENSR_IJSJ_SJ_EEES6_PlJS6_EEE10hipError_tPvRmT3_T4_T5_T6_T7_T9_mT8_P12ihipStream_tbDpT10_ENKUlT_T0_E_clISt17integral_constantIbLb0EES1E_IbLb1EEEEDaS1A_S1B_EUlS1A_E_NS1_11comp_targetILNS1_3genE4ELNS1_11target_archE910ELNS1_3gpuE8ELNS1_3repE0EEENS1_30default_config_static_selectorELNS0_4arch9wavefront6targetE1EEEvT1_: ; @_ZN7rocprim17ROCPRIM_400000_NS6detail17trampoline_kernelINS0_14default_configENS1_25partition_config_selectorILNS1_17partition_subalgoE2EjNS0_10empty_typeEbEEZZNS1_14partition_implILS5_2ELb0ES3_jN6thrust23THRUST_200600_302600_NS6detail15normal_iteratorINSA_7pointerIjNSA_11hip_rocprim3tagENSA_11use_defaultESG_EEEEPS6_NSA_18transform_iteratorI7is_evenIjENSC_INSA_10device_ptrIjEEEESG_SG_EENS0_5tupleIJPjSJ_EEENSR_IJSJ_SJ_EEES6_PlJS6_EEE10hipError_tPvRmT3_T4_T5_T6_T7_T9_mT8_P12ihipStream_tbDpT10_ENKUlT_T0_E_clISt17integral_constantIbLb0EES1E_IbLb1EEEEDaS1A_S1B_EUlS1A_E_NS1_11comp_targetILNS1_3genE4ELNS1_11target_archE910ELNS1_3gpuE8ELNS1_3repE0EEENS1_30default_config_static_selectorELNS0_4arch9wavefront6targetE1EEEvT1_
; %bb.0:
	s_load_dwordx2 s[6:7], s[4:5], 0x20
	s_load_dwordx2 s[24:25], s[4:5], 0x30
	;; [unrolled: 1-line block ×3, first 2 shown]
	s_load_dwordx4 s[20:23], s[4:5], 0x50
	s_load_dwordx2 s[34:35], s[4:5], 0x70
	v_cmp_eq_u32_e64 s[0:1], 0, v0
	s_and_saveexec_b64 s[2:3], s[0:1]
	s_cbranch_execz .LBB2063_4
; %bb.1:
	s_mov_b64 s[10:11], exec
	v_mbcnt_lo_u32_b32 v1, s10, 0
	v_mbcnt_hi_u32_b32 v1, s11, v1
	v_cmp_eq_u32_e32 vcc, 0, v1
                                        ; implicit-def: $vgpr2
	s_and_saveexec_b64 s[8:9], vcc
	s_cbranch_execz .LBB2063_3
; %bb.2:
	s_load_dwordx2 s[12:13], s[4:5], 0x80
	s_bcnt1_i32_b64 s10, s[10:11]
	v_mov_b32_e32 v2, 0
	v_mov_b32_e32 v3, s10
	s_waitcnt lgkmcnt(0)
	global_atomic_add v2, v2, v3, s[12:13] glc
.LBB2063_3:
	s_or_b64 exec, exec, s[8:9]
	s_waitcnt vmcnt(0)
	v_readfirstlane_b32 s8, v2
	v_add_u32_e32 v1, s8, v1
	v_mov_b32_e32 v2, 0
	ds_write_b32 v2, v1
.LBB2063_4:
	s_or_b64 exec, exec, s[2:3]
	v_mov_b32_e32 v1, 0
	s_load_dwordx4 s[16:19], s[4:5], 0x8
	s_load_dword s2, s[4:5], 0x78
	s_waitcnt lgkmcnt(0)
	s_barrier
	ds_read_b32 v2, v1
	s_waitcnt lgkmcnt(0)
	s_barrier
	global_load_dwordx2 v[12:13], v1, s[22:23]
	s_lshl_b64 s[4:5], s[18:19], 2
	s_add_u32 s10, s16, s4
	s_addc_u32 s11, s17, s5
	s_add_i32 s8, s2, -1
	s_mulk_i32 s2, 0xa00
	s_add_i32 s3, s2, s18
	s_sub_i32 s33, s26, s3
	s_addk_i32 s33, 0xa00
	s_add_u32 s2, s18, s2
	v_readfirstlane_b32 s42, v2
	s_addc_u32 s3, s19, 0
	s_cmp_eq_u32 s42, s8
	v_pk_mov_b32 v[2:3], s[26:27], s[26:27] op_sel:[0,1]
	s_cselect_b64 s[22:23], -1, 0
	s_cmp_lg_u32 s42, s8
	s_mul_i32 s28, s42, 0xa00
	s_mov_b32 s29, 0
	v_cmp_lt_u64_e32 vcc, s[2:3], v[2:3]
	s_cselect_b64 s[2:3], -1, 0
	s_or_b64 s[30:31], vcc, s[2:3]
	s_lshl_b64 s[8:9], s[28:29], 2
	s_add_u32 s12, s10, s8
	s_addc_u32 s13, s11, s9
	s_mov_b64 s[2:3], -1
	s_and_b64 vcc, exec, s[30:31]
	v_lshlrev_b32_e32 v1, 2, v0
	s_cbranch_vccz .LBB2063_6
; %bb.5:
	v_mov_b32_e32 v3, s13
	v_add_co_u32_e32 v2, vcc, s12, v1
	v_addc_co_u32_e32 v3, vcc, 0, v3, vcc
	v_add_co_u32_e32 v4, vcc, 0x1000, v2
	v_addc_co_u32_e32 v5, vcc, 0, v3, vcc
	flat_load_dword v6, v[2:3]
	flat_load_dword v7, v[2:3] offset:1024
	flat_load_dword v8, v[2:3] offset:2048
	flat_load_dword v9, v[2:3] offset:3072
	flat_load_dword v10, v[4:5]
	flat_load_dword v11, v[4:5] offset:1024
	flat_load_dword v14, v[4:5] offset:2048
	;; [unrolled: 1-line block ×3, first 2 shown]
	v_add_co_u32_e32 v2, vcc, 0x2000, v2
	v_addc_co_u32_e32 v3, vcc, 0, v3, vcc
	flat_load_dword v4, v[2:3]
	flat_load_dword v5, v[2:3] offset:1024
	s_mov_b64 s[2:3], 0
	s_waitcnt vmcnt(0) lgkmcnt(0)
	ds_write2st64_b32 v1, v6, v7 offset1:4
	ds_write2st64_b32 v1, v8, v9 offset0:8 offset1:12
	ds_write2st64_b32 v1, v10, v11 offset0:16 offset1:20
	;; [unrolled: 1-line block ×4, first 2 shown]
	s_waitcnt lgkmcnt(0)
	s_barrier
.LBB2063_6:
	s_andn2_b64 vcc, exec, s[2:3]
	v_cmp_gt_u32_e64 s[2:3], s33, v0
	s_cbranch_vccnz .LBB2063_28
; %bb.7:
                                        ; implicit-def: $vgpr2_vgpr3_vgpr4_vgpr5_vgpr6_vgpr7_vgpr8_vgpr9_vgpr10_vgpr11
	s_and_saveexec_b64 s[10:11], s[2:3]
	s_cbranch_execz .LBB2063_9
; %bb.8:
	v_mov_b32_e32 v3, s13
	v_add_co_u32_e32 v2, vcc, s12, v1
	v_addc_co_u32_e32 v3, vcc, 0, v3, vcc
	flat_load_dword v2, v[2:3]
.LBB2063_9:
	s_or_b64 exec, exec, s[10:11]
	v_or_b32_e32 v14, 0x100, v0
	v_cmp_gt_u32_e32 vcc, s33, v14
	s_and_saveexec_b64 s[2:3], vcc
	s_cbranch_execz .LBB2063_11
; %bb.10:
	v_mov_b32_e32 v3, s13
	v_add_co_u32_e32 v14, vcc, s12, v1
	v_addc_co_u32_e32 v15, vcc, 0, v3, vcc
	flat_load_dword v3, v[14:15] offset:1024
.LBB2063_11:
	s_or_b64 exec, exec, s[2:3]
	v_or_b32_e32 v14, 0x200, v0
	v_cmp_gt_u32_e32 vcc, s33, v14
	s_and_saveexec_b64 s[2:3], vcc
	s_cbranch_execz .LBB2063_13
; %bb.12:
	v_mov_b32_e32 v4, s13
	v_add_co_u32_e32 v14, vcc, s12, v1
	v_addc_co_u32_e32 v15, vcc, 0, v4, vcc
	flat_load_dword v4, v[14:15] offset:2048
.LBB2063_13:
	;; [unrolled: 11-line block ×3, first 2 shown]
	s_or_b64 exec, exec, s[2:3]
	v_or_b32_e32 v14, 0x400, v0
	v_cmp_gt_u32_e32 vcc, s33, v14
	s_and_saveexec_b64 s[2:3], vcc
	s_cbranch_execz .LBB2063_17
; %bb.16:
	v_lshlrev_b32_e32 v6, 2, v14
	v_mov_b32_e32 v15, s13
	v_add_co_u32_e32 v14, vcc, s12, v6
	v_addc_co_u32_e32 v15, vcc, 0, v15, vcc
	flat_load_dword v6, v[14:15]
.LBB2063_17:
	s_or_b64 exec, exec, s[2:3]
	v_or_b32_e32 v14, 0x500, v0
	v_cmp_gt_u32_e32 vcc, s33, v14
	s_and_saveexec_b64 s[2:3], vcc
	s_cbranch_execz .LBB2063_19
; %bb.18:
	v_lshlrev_b32_e32 v7, 2, v14
	v_mov_b32_e32 v15, s13
	v_add_co_u32_e32 v14, vcc, s12, v7
	v_addc_co_u32_e32 v15, vcc, 0, v15, vcc
	flat_load_dword v7, v[14:15]
.LBB2063_19:
	;; [unrolled: 12-line block ×6, first 2 shown]
	s_or_b64 exec, exec, s[2:3]
	s_waitcnt vmcnt(0) lgkmcnt(0)
	ds_write2st64_b32 v1, v2, v3 offset1:4
	ds_write2st64_b32 v1, v4, v5 offset0:8 offset1:12
	ds_write2st64_b32 v1, v6, v7 offset0:16 offset1:20
	;; [unrolled: 1-line block ×4, first 2 shown]
	s_waitcnt lgkmcnt(0)
	s_barrier
.LBB2063_28:
	v_mul_u32_u24_e32 v26, 10, v0
	v_lshlrev_b32_e32 v10, 2, v26
	ds_read2_b64 v[6:9], v10 offset1:1
	ds_read2_b64 v[2:5], v10 offset0:2 offset1:3
	ds_read_b64 v[14:15], v10 offset:32
	s_add_u32 s2, s6, s4
	s_addc_u32 s3, s7, s5
	s_add_u32 s2, s2, s8
	s_addc_u32 s3, s3, s9
	s_mov_b64 s[4:5], -1
	s_and_b64 vcc, exec, s[30:31]
	s_waitcnt lgkmcnt(0)
	s_barrier
	s_cbranch_vccz .LBB2063_30
; %bb.29:
	v_mov_b32_e32 v11, s3
	v_add_co_u32_e32 v18, vcc, s2, v1
	v_addc_co_u32_e32 v11, vcc, 0, v11, vcc
	s_movk_i32 s4, 0x1000
	v_add_co_u32_e32 v16, vcc, s4, v18
	global_load_dword v20, v1, s[2:3]
	global_load_dword v21, v1, s[2:3] offset:1024
	global_load_dword v22, v1, s[2:3] offset:2048
	;; [unrolled: 1-line block ×3, first 2 shown]
	v_addc_co_u32_e32 v17, vcc, 0, v11, vcc
	s_movk_i32 s4, 0x2000
	v_add_co_u32_e32 v18, vcc, s4, v18
	v_addc_co_u32_e32 v19, vcc, 0, v11, vcc
	global_load_dword v11, v[16:17], off offset:1024
	global_load_dword v24, v[16:17], off offset:2048
	global_load_dword v25, v[18:19], off offset:-4096
	global_load_dword v27, v[18:19], off
	global_load_dword v28, v[18:19], off offset:1024
	global_load_dword v29, v[16:17], off offset:3072
	s_mov_b64 s[4:5], 0
	s_waitcnt vmcnt(9)
	v_xor_b32_e32 v16, -1, v20
	s_waitcnt vmcnt(8)
	v_xor_b32_e32 v17, -1, v21
	;; [unrolled: 2-line block ×4, first 2 shown]
	v_and_b32_e32 v16, 1, v16
	v_and_b32_e32 v17, 1, v17
	;; [unrolled: 1-line block ×4, first 2 shown]
	s_waitcnt vmcnt(5)
	v_xor_b32_e32 v11, -1, v11
	ds_write_b8 v0, v16
	ds_write_b8 v0, v17 offset:256
	ds_write_b8 v0, v18 offset:512
	;; [unrolled: 1-line block ×3, first 2 shown]
	s_waitcnt vmcnt(4)
	v_xor_b32_e32 v16, -1, v24
	s_waitcnt vmcnt(3)
	v_xor_b32_e32 v17, -1, v25
	v_and_b32_e32 v11, 1, v11
	s_waitcnt vmcnt(0)
	v_xor_b32_e32 v18, -1, v29
	v_xor_b32_e32 v19, -1, v27
	v_xor_b32_e32 v20, -1, v28
	v_and_b32_e32 v16, 1, v16
	v_and_b32_e32 v17, 1, v17
	v_and_b32_e32 v18, 1, v18
	v_and_b32_e32 v19, 1, v19
	v_and_b32_e32 v20, 1, v20
	ds_write_b8 v0, v11 offset:1280
	ds_write_b8 v0, v16 offset:1536
	;; [unrolled: 1-line block ×6, first 2 shown]
	s_waitcnt lgkmcnt(0)
	s_barrier
.LBB2063_30:
	s_andn2_b64 vcc, exec, s[4:5]
	s_cbranch_vccnz .LBB2063_52
; %bb.31:
	v_cmp_gt_u32_e32 vcc, s33, v0
	v_mov_b32_e32 v11, 0
	v_mov_b32_e32 v16, 0
	s_and_saveexec_b64 s[4:5], vcc
	s_cbranch_execz .LBB2063_33
; %bb.32:
	global_load_dword v16, v1, s[2:3]
	s_waitcnt vmcnt(0)
	v_xor_b32_e32 v16, -1, v16
	v_and_b32_e32 v16, 1, v16
.LBB2063_33:
	s_or_b64 exec, exec, s[4:5]
	v_or_b32_e32 v17, 0x100, v0
	v_cmp_gt_u32_e32 vcc, s33, v17
	s_and_saveexec_b64 s[4:5], vcc
	s_cbranch_execz .LBB2063_35
; %bb.34:
	global_load_dword v11, v1, s[2:3] offset:1024
	s_waitcnt vmcnt(0)
	v_xor_b32_e32 v11, -1, v11
	v_and_b32_e32 v11, 1, v11
.LBB2063_35:
	s_or_b64 exec, exec, s[4:5]
	v_or_b32_e32 v17, 0x200, v0
	v_cmp_gt_u32_e32 vcc, s33, v17
	v_mov_b32_e32 v17, 0
	v_mov_b32_e32 v18, 0
	s_and_saveexec_b64 s[4:5], vcc
	s_cbranch_execz .LBB2063_37
; %bb.36:
	global_load_dword v18, v1, s[2:3] offset:2048
	s_waitcnt vmcnt(0)
	v_xor_b32_e32 v18, -1, v18
	v_and_b32_e32 v18, 1, v18
.LBB2063_37:
	s_or_b64 exec, exec, s[4:5]
	v_or_b32_e32 v19, 0x300, v0
	v_cmp_gt_u32_e32 vcc, s33, v19
	s_and_saveexec_b64 s[4:5], vcc
	s_cbranch_execz .LBB2063_39
; %bb.38:
	global_load_dword v17, v1, s[2:3] offset:3072
	s_waitcnt vmcnt(0)
	v_xor_b32_e32 v17, -1, v17
	v_and_b32_e32 v17, 1, v17
.LBB2063_39:
	s_or_b64 exec, exec, s[4:5]
	v_or_b32_e32 v21, 0x400, v0
	v_cmp_gt_u32_e32 vcc, s33, v21
	v_mov_b32_e32 v19, 0
	v_mov_b32_e32 v20, 0
	s_and_saveexec_b64 s[4:5], vcc
	s_cbranch_execz .LBB2063_41
; %bb.40:
	v_lshlrev_b32_e32 v20, 2, v21
	global_load_dword v20, v20, s[2:3]
	s_waitcnt vmcnt(0)
	v_xor_b32_e32 v20, -1, v20
	v_and_b32_e32 v20, 1, v20
.LBB2063_41:
	s_or_b64 exec, exec, s[4:5]
	v_or_b32_e32 v21, 0x500, v0
	v_cmp_gt_u32_e32 vcc, s33, v21
	s_and_saveexec_b64 s[4:5], vcc
	s_cbranch_execz .LBB2063_43
; %bb.42:
	v_lshlrev_b32_e32 v19, 2, v21
	global_load_dword v19, v19, s[2:3]
	s_waitcnt vmcnt(0)
	v_xor_b32_e32 v19, -1, v19
	v_and_b32_e32 v19, 1, v19
.LBB2063_43:
	s_or_b64 exec, exec, s[4:5]
	v_or_b32_e32 v23, 0x600, v0
	v_cmp_gt_u32_e32 vcc, s33, v23
	v_mov_b32_e32 v21, 0
	v_mov_b32_e32 v22, 0
	s_and_saveexec_b64 s[4:5], vcc
	s_cbranch_execz .LBB2063_45
; %bb.44:
	v_lshlrev_b32_e32 v22, 2, v23
	global_load_dword v22, v22, s[2:3]
	s_waitcnt vmcnt(0)
	v_xor_b32_e32 v22, -1, v22
	v_and_b32_e32 v22, 1, v22
.LBB2063_45:
	s_or_b64 exec, exec, s[4:5]
	v_or_b32_e32 v23, 0x700, v0
	v_cmp_gt_u32_e32 vcc, s33, v23
	s_and_saveexec_b64 s[4:5], vcc
	s_cbranch_execz .LBB2063_47
; %bb.46:
	v_lshlrev_b32_e32 v21, 2, v23
	global_load_dword v21, v21, s[2:3]
	s_waitcnt vmcnt(0)
	v_xor_b32_e32 v21, -1, v21
	v_and_b32_e32 v21, 1, v21
.LBB2063_47:
	;; [unrolled: 26-line block ×3, first 2 shown]
	s_or_b64 exec, exec, s[4:5]
	ds_write_b8 v0, v16
	ds_write_b8 v0, v11 offset:256
	ds_write_b8 v0, v18 offset:512
	;; [unrolled: 1-line block ×9, first 2 shown]
	s_waitcnt lgkmcnt(0)
	s_barrier
.LBB2063_52:
	s_movk_i32 s2, 0xffe2
	v_mad_i32_i24 v37, v0, s2, v10
	ds_read_b64 v[16:17], v37
	ds_read_u16 v28, v37 offset:8
	s_cmp_lg_u32 s42, 0
	v_lshrrev_b32_e32 v38, 6, v0
	s_waitcnt lgkmcnt(0)
	v_lshrrev_b32_e32 v30, 24, v16
	v_bfe_u32 v35, v16, 16, 8
	v_add_u32_sdwa v10, v16, v16 dst_sel:DWORD dst_unused:UNUSED_PAD src0_sel:BYTE_1 src1_sel:BYTE_0
	v_and_b32_e32 v32, 0xff, v17
	v_bfe_u32 v33, v17, 8, 8
	v_add3_u32 v10, v10, v35, v30
	v_lshrrev_b32_e32 v29, 24, v17
	v_bfe_u32 v34, v17, 16, 8
	v_add3_u32 v10, v10, v32, v33
	v_lshrrev_b16_e32 v27, 8, v28
	v_and_b32_e32 v31, 0xff, v28
	v_add3_u32 v10, v10, v34, v29
	v_add3_u32 v39, v10, v31, v27
	v_mbcnt_lo_u32_b32 v10, -1, 0
	v_mbcnt_hi_u32_b32 v36, -1, v10
	v_and_b32_e32 v10, 15, v36
	v_cmp_eq_u32_e64 s[14:15], 0, v10
	v_cmp_lt_u32_e64 s[12:13], 1, v10
	v_cmp_lt_u32_e64 s[10:11], 3, v10
	;; [unrolled: 1-line block ×3, first 2 shown]
	v_and_b32_e32 v10, 16, v36
	v_cmp_eq_u32_e64 s[6:7], 0, v10
	v_or_b32_e32 v10, 63, v0
	v_cmp_lt_u32_e64 s[2:3], 31, v36
	v_cmp_eq_u32_e64 s[4:5], v10, v0
	s_barrier
	s_cbranch_scc0 .LBB2063_79
; %bb.53:
	v_mov_b32_dpp v10, v39 row_shr:1 row_mask:0xf bank_mask:0xf
	v_cndmask_b32_e64 v10, v10, 0, s[14:15]
	v_add_u32_e32 v10, v10, v39
	s_nop 1
	v_mov_b32_dpp v11, v10 row_shr:2 row_mask:0xf bank_mask:0xf
	v_cndmask_b32_e64 v11, 0, v11, s[12:13]
	v_add_u32_e32 v10, v10, v11
	s_nop 1
	;; [unrolled: 4-line block ×4, first 2 shown]
	v_mov_b32_dpp v11, v10 row_bcast:15 row_mask:0xf bank_mask:0xf
	v_cndmask_b32_e64 v11, v11, 0, s[6:7]
	v_add_u32_e32 v10, v10, v11
	s_nop 1
	v_mov_b32_dpp v11, v10 row_bcast:31 row_mask:0xf bank_mask:0xf
	v_cndmask_b32_e64 v11, 0, v11, s[2:3]
	v_add_u32_e32 v10, v10, v11
	s_and_saveexec_b64 s[16:17], s[4:5]
	s_cbranch_execz .LBB2063_55
; %bb.54:
	v_lshlrev_b32_e32 v11, 2, v38
	ds_write_b32 v11, v10
.LBB2063_55:
	s_or_b64 exec, exec, s[16:17]
	v_cmp_gt_u32_e32 vcc, 4, v0
	s_waitcnt lgkmcnt(0)
	s_barrier
	s_and_saveexec_b64 s[16:17], vcc
	s_cbranch_execz .LBB2063_57
; %bb.56:
	ds_read_b32 v11, v1
	v_and_b32_e32 v18, 3, v36
	v_cmp_ne_u32_e32 vcc, 0, v18
	s_waitcnt lgkmcnt(0)
	v_mov_b32_dpp v19, v11 row_shr:1 row_mask:0xf bank_mask:0xf
	v_cndmask_b32_e32 v19, 0, v19, vcc
	v_add_u32_e32 v11, v19, v11
	v_cmp_lt_u32_e32 vcc, 1, v18
	s_nop 0
	v_mov_b32_dpp v19, v11 row_shr:2 row_mask:0xf bank_mask:0xf
	v_cndmask_b32_e32 v18, 0, v19, vcc
	v_add_u32_e32 v11, v11, v18
	ds_write_b32 v1, v11
.LBB2063_57:
	s_or_b64 exec, exec, s[16:17]
	v_cmp_gt_u32_e32 vcc, 64, v0
	v_cmp_lt_u32_e64 s[16:17], 63, v0
	s_waitcnt lgkmcnt(0)
	s_barrier
	s_waitcnt lgkmcnt(0)
                                        ; implicit-def: $vgpr40
	s_and_saveexec_b64 s[36:37], s[16:17]
	s_cbranch_execz .LBB2063_59
; %bb.58:
	v_lshl_add_u32 v11, v38, 2, -4
	ds_read_b32 v40, v11
	s_waitcnt lgkmcnt(0)
	v_add_u32_e32 v10, v40, v10
.LBB2063_59:
	s_or_b64 exec, exec, s[36:37]
	v_add_u32_e32 v11, -1, v36
	v_and_b32_e32 v18, 64, v36
	v_cmp_lt_i32_e64 s[16:17], v11, v18
	v_cndmask_b32_e64 v11, v11, v36, s[16:17]
	v_lshlrev_b32_e32 v11, 2, v11
	ds_bpermute_b32 v41, v11, v10
	v_cmp_eq_u32_e64 s[16:17], 0, v36
	s_and_saveexec_b64 s[36:37], vcc
	s_cbranch_execz .LBB2063_78
; %bb.60:
	v_mov_b32_e32 v23, 0
	ds_read_b32 v10, v23 offset:12
	s_and_saveexec_b64 s[38:39], s[16:17]
	s_cbranch_execz .LBB2063_62
; %bb.61:
	s_add_i32 s40, s42, 64
	s_mov_b32 s41, 0
	s_lshl_b64 s[40:41], s[40:41], 3
	s_add_u32 s40, s34, s40
	v_mov_b32_e32 v11, 1
	s_addc_u32 s41, s35, s41
	s_waitcnt lgkmcnt(0)
	global_store_dwordx2 v23, v[10:11], s[40:41]
.LBB2063_62:
	s_or_b64 exec, exec, s[38:39]
	v_xad_u32 v18, v36, -1, s42
	v_add_u32_e32 v22, 64, v18
	v_lshlrev_b64 v[20:21], 3, v[22:23]
	v_mov_b32_e32 v11, s35
	v_add_co_u32_e32 v24, vcc, s34, v20
	v_addc_co_u32_e32 v25, vcc, v11, v21, vcc
	global_load_dwordx2 v[20:21], v[24:25], off glc
	s_waitcnt vmcnt(0)
	v_cmp_eq_u16_sdwa s[40:41], v21, v23 src0_sel:BYTE_0 src1_sel:DWORD
	s_and_saveexec_b64 s[38:39], s[40:41]
	s_cbranch_execz .LBB2063_66
; %bb.63:
	s_mov_b64 s[40:41], 0
	v_mov_b32_e32 v11, 0
.LBB2063_64:                            ; =>This Inner Loop Header: Depth=1
	global_load_dwordx2 v[20:21], v[24:25], off glc
	s_waitcnt vmcnt(0)
	v_cmp_ne_u16_sdwa s[44:45], v21, v11 src0_sel:BYTE_0 src1_sel:DWORD
	s_or_b64 s[40:41], s[44:45], s[40:41]
	s_andn2_b64 exec, exec, s[40:41]
	s_cbranch_execnz .LBB2063_64
; %bb.65:
	s_or_b64 exec, exec, s[40:41]
.LBB2063_66:
	s_or_b64 exec, exec, s[38:39]
	v_and_b32_e32 v43, 63, v36
	v_mov_b32_e32 v42, 2
	v_cmp_ne_u32_e32 vcc, 63, v43
	v_cmp_eq_u16_sdwa s[38:39], v21, v42 src0_sel:BYTE_0 src1_sel:DWORD
	v_lshlrev_b64 v[22:23], v36, -1
	v_addc_co_u32_e32 v24, vcc, 0, v36, vcc
	v_and_b32_e32 v11, s39, v23
	v_lshlrev_b32_e32 v44, 2, v24
	v_or_b32_e32 v11, 0x80000000, v11
	ds_bpermute_b32 v24, v44, v20
	v_and_b32_e32 v19, s38, v22
	v_ffbl_b32_e32 v11, v11
	v_add_u32_e32 v11, 32, v11
	v_ffbl_b32_e32 v19, v19
	v_min_u32_e32 v11, v19, v11
	v_cmp_lt_u32_e32 vcc, v43, v11
	s_waitcnt lgkmcnt(0)
	v_cndmask_b32_e32 v19, 0, v24, vcc
	v_cmp_gt_u32_e32 vcc, 62, v43
	v_add_u32_e32 v19, v19, v20
	v_cndmask_b32_e64 v20, 0, 1, vcc
	v_lshlrev_b32_e32 v20, 1, v20
	v_add_lshl_u32 v45, v20, v36, 2
	ds_bpermute_b32 v20, v45, v19
	v_add_u32_e32 v46, 2, v43
	v_cmp_le_u32_e32 vcc, v46, v11
	v_add_u32_e32 v48, 4, v43
	v_add_u32_e32 v50, 8, v43
	s_waitcnt lgkmcnt(0)
	v_cndmask_b32_e32 v20, 0, v20, vcc
	v_cmp_gt_u32_e32 vcc, 60, v43
	v_add_u32_e32 v19, v19, v20
	v_cndmask_b32_e64 v20, 0, 1, vcc
	v_lshlrev_b32_e32 v20, 2, v20
	v_add_lshl_u32 v47, v20, v36, 2
	ds_bpermute_b32 v20, v47, v19
	v_cmp_le_u32_e32 vcc, v48, v11
	v_add_u32_e32 v52, 16, v43
	v_add_u32_e32 v54, 32, v43
	s_waitcnt lgkmcnt(0)
	v_cndmask_b32_e32 v20, 0, v20, vcc
	v_cmp_gt_u32_e32 vcc, 56, v43
	v_add_u32_e32 v19, v19, v20
	v_cndmask_b32_e64 v20, 0, 1, vcc
	v_lshlrev_b32_e32 v20, 3, v20
	v_add_lshl_u32 v49, v20, v36, 2
	ds_bpermute_b32 v20, v49, v19
	v_cmp_le_u32_e32 vcc, v50, v11
	s_waitcnt lgkmcnt(0)
	v_cndmask_b32_e32 v20, 0, v20, vcc
	v_cmp_gt_u32_e32 vcc, 48, v43
	v_add_u32_e32 v19, v19, v20
	v_cndmask_b32_e64 v20, 0, 1, vcc
	v_lshlrev_b32_e32 v20, 4, v20
	v_add_lshl_u32 v51, v20, v36, 2
	ds_bpermute_b32 v20, v51, v19
	v_cmp_le_u32_e32 vcc, v52, v11
	;; [unrolled: 9-line block ×3, first 2 shown]
	s_waitcnt lgkmcnt(0)
	v_cndmask_b32_e32 v11, 0, v20, vcc
	v_add_u32_e32 v20, v19, v11
	v_mov_b32_e32 v19, 0
	s_branch .LBB2063_68
.LBB2063_67:                            ;   in Loop: Header=BB2063_68 Depth=1
	s_or_b64 exec, exec, s[38:39]
	v_cmp_eq_u16_sdwa s[38:39], v21, v42 src0_sel:BYTE_0 src1_sel:DWORD
	v_and_b32_e32 v24, s39, v23
	v_or_b32_e32 v24, 0x80000000, v24
	ds_bpermute_b32 v55, v44, v20
	v_and_b32_e32 v25, s38, v22
	v_ffbl_b32_e32 v24, v24
	v_add_u32_e32 v24, 32, v24
	v_ffbl_b32_e32 v25, v25
	v_min_u32_e32 v24, v25, v24
	v_cmp_lt_u32_e32 vcc, v43, v24
	s_waitcnt lgkmcnt(0)
	v_cndmask_b32_e32 v25, 0, v55, vcc
	v_add_u32_e32 v20, v25, v20
	ds_bpermute_b32 v25, v45, v20
	v_cmp_le_u32_e32 vcc, v46, v24
	v_subrev_u32_e32 v18, 64, v18
	s_waitcnt lgkmcnt(0)
	v_cndmask_b32_e32 v25, 0, v25, vcc
	v_add_u32_e32 v20, v20, v25
	ds_bpermute_b32 v25, v47, v20
	v_cmp_le_u32_e32 vcc, v48, v24
	s_waitcnt lgkmcnt(0)
	v_cndmask_b32_e32 v25, 0, v25, vcc
	v_add_u32_e32 v20, v20, v25
	ds_bpermute_b32 v25, v49, v20
	v_cmp_le_u32_e32 vcc, v50, v24
	;; [unrolled: 5-line block ×4, first 2 shown]
	s_waitcnt lgkmcnt(0)
	v_cndmask_b32_e32 v24, 0, v25, vcc
	v_add3_u32 v20, v24, v11, v20
.LBB2063_68:                            ; =>This Loop Header: Depth=1
                                        ;     Child Loop BB2063_71 Depth 2
	v_cmp_ne_u16_sdwa s[38:39], v21, v42 src0_sel:BYTE_0 src1_sel:DWORD
	v_cndmask_b32_e64 v11, 0, 1, s[38:39]
	;;#ASMSTART
	;;#ASMEND
	v_cmp_ne_u32_e32 vcc, 0, v11
	s_cmp_lg_u64 vcc, exec
	v_mov_b32_e32 v11, v20
	s_cbranch_scc1 .LBB2063_73
; %bb.69:                               ;   in Loop: Header=BB2063_68 Depth=1
	v_lshlrev_b64 v[20:21], 3, v[18:19]
	v_mov_b32_e32 v25, s35
	v_add_co_u32_e32 v24, vcc, s34, v20
	v_addc_co_u32_e32 v25, vcc, v25, v21, vcc
	global_load_dwordx2 v[20:21], v[24:25], off glc
	s_waitcnt vmcnt(0)
	v_cmp_eq_u16_sdwa s[40:41], v21, v19 src0_sel:BYTE_0 src1_sel:DWORD
	s_and_saveexec_b64 s[38:39], s[40:41]
	s_cbranch_execz .LBB2063_67
; %bb.70:                               ;   in Loop: Header=BB2063_68 Depth=1
	s_mov_b64 s[40:41], 0
.LBB2063_71:                            ;   Parent Loop BB2063_68 Depth=1
                                        ; =>  This Inner Loop Header: Depth=2
	global_load_dwordx2 v[20:21], v[24:25], off glc
	s_waitcnt vmcnt(0)
	v_cmp_ne_u16_sdwa s[44:45], v21, v19 src0_sel:BYTE_0 src1_sel:DWORD
	s_or_b64 s[40:41], s[44:45], s[40:41]
	s_andn2_b64 exec, exec, s[40:41]
	s_cbranch_execnz .LBB2063_71
; %bb.72:                               ;   in Loop: Header=BB2063_68 Depth=1
	s_or_b64 exec, exec, s[40:41]
	s_branch .LBB2063_67
.LBB2063_73:                            ;   in Loop: Header=BB2063_68 Depth=1
                                        ; implicit-def: $vgpr20
                                        ; implicit-def: $vgpr21
	s_cbranch_execz .LBB2063_68
; %bb.74:
	s_and_saveexec_b64 s[38:39], s[16:17]
	s_cbranch_execz .LBB2063_76
; %bb.75:
	s_add_i32 s40, s42, 64
	s_mov_b32 s41, 0
	s_lshl_b64 s[40:41], s[40:41], 3
	s_add_u32 s40, s34, s40
	v_add_u32_e32 v18, v11, v10
	v_mov_b32_e32 v19, 2
	s_addc_u32 s41, s35, s41
	v_mov_b32_e32 v20, 0
	global_store_dwordx2 v20, v[18:19], s[40:41]
	ds_write_b64 v20, v[10:11] offset:10240
.LBB2063_76:
	s_or_b64 exec, exec, s[38:39]
	s_and_b64 exec, exec, s[0:1]
	s_cbranch_execz .LBB2063_78
; %bb.77:
	v_mov_b32_e32 v10, 0
	ds_write_b32 v10, v11 offset:12
.LBB2063_78:
	s_or_b64 exec, exec, s[36:37]
	v_mov_b32_e32 v10, 0
	s_waitcnt lgkmcnt(0)
	s_barrier
	ds_read_b32 v11, v10 offset:12
	v_cndmask_b32_e64 v18, v41, v40, s[16:17]
	v_cndmask_b32_e64 v18, v18, 0, s[0:1]
	s_waitcnt lgkmcnt(0)
	s_barrier
	v_add_u32_e32 v41, v11, v18
	v_add_u32_sdwa v40, v41, v16 dst_sel:DWORD dst_unused:UNUSED_PAD src0_sel:DWORD src1_sel:BYTE_0
	v_add_u32_sdwa v25, v40, v16 dst_sel:DWORD dst_unused:UNUSED_PAD src0_sel:DWORD src1_sel:BYTE_1
	v_add_u32_e32 v24, v25, v35
	v_add_u32_e32 v23, v24, v30
	;; [unrolled: 1-line block ×3, first 2 shown]
	ds_read_b64 v[10:11], v10 offset:10240
	v_add_u32_e32 v21, v22, v33
	v_add_u32_e32 v20, v21, v34
	;; [unrolled: 1-line block ×4, first 2 shown]
	s_branch .LBB2063_89
.LBB2063_79:
                                        ; implicit-def: $vgpr11
                                        ; implicit-def: $vgpr18
                                        ; implicit-def: $vgpr19
                                        ; implicit-def: $vgpr20
                                        ; implicit-def: $vgpr21
                                        ; implicit-def: $vgpr22
                                        ; implicit-def: $vgpr23
                                        ; implicit-def: $vgpr24
                                        ; implicit-def: $vgpr25
                                        ; implicit-def: $vgpr40
                                        ; implicit-def: $vgpr41
	s_cbranch_execz .LBB2063_89
; %bb.80:
	s_waitcnt lgkmcnt(0)
	v_mov_b32_dpp v10, v39 row_shr:1 row_mask:0xf bank_mask:0xf
	v_cndmask_b32_e64 v10, v10, 0, s[14:15]
	v_add_u32_e32 v10, v10, v39
	s_nop 1
	v_mov_b32_dpp v11, v10 row_shr:2 row_mask:0xf bank_mask:0xf
	v_cndmask_b32_e64 v11, 0, v11, s[12:13]
	v_add_u32_e32 v10, v10, v11
	s_nop 1
	;; [unrolled: 4-line block ×4, first 2 shown]
	v_mov_b32_dpp v11, v10 row_bcast:15 row_mask:0xf bank_mask:0xf
	v_cndmask_b32_e64 v11, v11, 0, s[6:7]
	v_add_u32_e32 v10, v10, v11
	s_nop 1
	v_mov_b32_dpp v11, v10 row_bcast:31 row_mask:0xf bank_mask:0xf
	v_cndmask_b32_e64 v11, 0, v11, s[2:3]
	v_add_u32_e32 v10, v10, v11
	s_and_saveexec_b64 s[2:3], s[4:5]
	s_cbranch_execz .LBB2063_82
; %bb.81:
	v_lshlrev_b32_e32 v11, 2, v38
	ds_write_b32 v11, v10
.LBB2063_82:
	s_or_b64 exec, exec, s[2:3]
	v_cmp_gt_u32_e32 vcc, 4, v0
	s_waitcnt lgkmcnt(0)
	s_barrier
	s_and_saveexec_b64 s[2:3], vcc
	s_cbranch_execz .LBB2063_84
; %bb.83:
	v_mad_i32_i24 v11, v0, -6, v37
	ds_read_b32 v18, v11
	v_and_b32_e32 v19, 3, v36
	v_cmp_ne_u32_e32 vcc, 0, v19
	s_waitcnt lgkmcnt(0)
	v_mov_b32_dpp v20, v18 row_shr:1 row_mask:0xf bank_mask:0xf
	v_cndmask_b32_e32 v20, 0, v20, vcc
	v_add_u32_e32 v18, v20, v18
	v_cmp_lt_u32_e32 vcc, 1, v19
	s_nop 0
	v_mov_b32_dpp v20, v18 row_shr:2 row_mask:0xf bank_mask:0xf
	v_cndmask_b32_e32 v19, 0, v20, vcc
	v_add_u32_e32 v18, v18, v19
	ds_write_b32 v11, v18
.LBB2063_84:
	s_or_b64 exec, exec, s[2:3]
	v_cmp_lt_u32_e32 vcc, 63, v0
	v_mov_b32_e32 v11, 0
	v_mov_b32_e32 v18, 0
	s_waitcnt lgkmcnt(0)
	s_barrier
	s_and_saveexec_b64 s[2:3], vcc
	s_cbranch_execz .LBB2063_86
; %bb.85:
	v_lshl_add_u32 v18, v38, 2, -4
	ds_read_b32 v18, v18
.LBB2063_86:
	s_or_b64 exec, exec, s[2:3]
	v_add_u32_e32 v19, -1, v36
	v_and_b32_e32 v20, 64, v36
	v_cmp_lt_i32_e32 vcc, v19, v20
	v_cndmask_b32_e32 v19, v19, v36, vcc
	s_waitcnt lgkmcnt(0)
	v_add_u32_e32 v10, v18, v10
	v_lshlrev_b32_e32 v19, 2, v19
	ds_bpermute_b32 v19, v19, v10
	ds_read_b32 v10, v11 offset:12
	s_and_saveexec_b64 s[2:3], s[0:1]
	s_cbranch_execz .LBB2063_88
; %bb.87:
	v_mov_b32_e32 v20, 0
	v_mov_b32_e32 v11, 2
	s_waitcnt lgkmcnt(0)
	global_store_dwordx2 v20, v[10:11], s[34:35] offset:512
.LBB2063_88:
	s_or_b64 exec, exec, s[2:3]
	v_cmp_eq_u32_e32 vcc, 0, v36
	s_waitcnt lgkmcnt(1)
	v_cndmask_b32_e32 v18, v19, v18, vcc
	v_cndmask_b32_e64 v41, v18, 0, s[0:1]
	v_add_u32_sdwa v40, v41, v16 dst_sel:DWORD dst_unused:UNUSED_PAD src0_sel:DWORD src1_sel:BYTE_0
	v_add_u32_sdwa v25, v40, v16 dst_sel:DWORD dst_unused:UNUSED_PAD src0_sel:DWORD src1_sel:BYTE_1
	v_add_u32_e32 v24, v25, v35
	v_add_u32_e32 v23, v24, v30
	;; [unrolled: 1-line block ×6, first 2 shown]
	v_mov_b32_e32 v11, 0
	v_add_u32_e32 v18, v19, v31
	s_waitcnt lgkmcnt(0)
	s_barrier
.LBB2063_89:
	s_waitcnt lgkmcnt(0)
	v_add_u32_e32 v26, v10, v26
	v_sub_u32_e32 v33, v41, v11
	v_and_b32_e32 v35, 1, v16
	v_sub_u32_e32 v34, v26, v33
	v_cmp_eq_u32_e32 vcc, 1, v35
	v_cndmask_b32_e32 v33, v34, v33, vcc
	v_lshlrev_b32_e32 v33, 2, v33
	v_lshrrev_b32_e32 v32, 8, v16
	ds_write_b32 v33, v6
	v_sub_u32_e32 v6, v40, v11
	v_sub_u32_e32 v33, v26, v6
	v_and_b32_e32 v32, 1, v32
	v_add_u32_e32 v33, 1, v33
	v_cmp_eq_u32_e32 vcc, 1, v32
	v_cndmask_b32_e32 v6, v33, v6, vcc
	v_lshlrev_b32_e32 v6, 2, v6
	ds_write_b32 v6, v7
	v_sub_u32_e32 v6, v25, v11
	v_mov_b32_e32 v25, 1
	v_sub_u32_e32 v7, v26, v6
	v_and_b32_sdwa v16, v25, v16 dst_sel:DWORD dst_unused:UNUSED_PAD src0_sel:DWORD src1_sel:WORD_1
	v_add_u32_e32 v7, 2, v7
	v_cmp_eq_u32_e32 vcc, 1, v16
	v_cndmask_b32_e32 v6, v7, v6, vcc
	v_lshlrev_b32_e32 v6, 2, v6
	ds_write_b32 v6, v8
	v_sub_u32_e32 v6, v24, v11
	v_sub_u32_e32 v7, v26, v6
	v_and_b32_e32 v8, 1, v30
	v_add_u32_e32 v7, 3, v7
	v_cmp_eq_u32_e32 vcc, 1, v8
	v_cndmask_b32_e32 v6, v7, v6, vcc
	v_lshlrev_b32_e32 v6, 2, v6
	ds_write_b32 v6, v9
	v_sub_u32_e32 v6, v23, v11
	v_sub_u32_e32 v7, v26, v6
	v_and_b32_e32 v8, 1, v17
	v_add_u32_e32 v7, 4, v7
	v_cmp_eq_u32_e32 vcc, 1, v8
	v_cndmask_b32_e32 v6, v7, v6, vcc
	v_lshlrev_b32_e32 v6, 2, v6
	v_lshrrev_b32_e32 v31, 8, v17
	ds_write_b32 v6, v2
	v_sub_u32_e32 v2, v22, v11
	v_sub_u32_e32 v6, v26, v2
	v_and_b32_e32 v7, 1, v31
	v_add_u32_e32 v6, 5, v6
	v_cmp_eq_u32_e32 vcc, 1, v7
	v_cndmask_b32_e32 v2, v6, v2, vcc
	v_lshlrev_b32_e32 v2, 2, v2
	ds_write_b32 v2, v3
	v_sub_u32_e32 v2, v21, v11
	v_sub_u32_e32 v3, v26, v2
	v_and_b32_sdwa v6, v25, v17 dst_sel:DWORD dst_unused:UNUSED_PAD src0_sel:DWORD src1_sel:WORD_1
	v_add_u32_e32 v3, 6, v3
	v_cmp_eq_u32_e32 vcc, 1, v6
	v_cndmask_b32_e32 v2, v3, v2, vcc
	v_lshlrev_b32_e32 v2, 2, v2
	ds_write_b32 v2, v4
	v_sub_u32_e32 v2, v20, v11
	v_sub_u32_e32 v3, v26, v2
	v_and_b32_e32 v4, 1, v29
	v_add_u32_e32 v3, 7, v3
	v_cmp_eq_u32_e32 vcc, 1, v4
	v_cndmask_b32_e32 v2, v3, v2, vcc
	v_lshlrev_b32_e32 v2, 2, v2
	ds_write_b32 v2, v5
	v_sub_u32_e32 v2, v19, v11
	v_sub_u32_e32 v3, v26, v2
	v_and_b32_e32 v4, 1, v28
	;; [unrolled: 8-line block ×3, first 2 shown]
	v_add_u32_e32 v3, 9, v3
	v_cmp_eq_u32_e32 vcc, 1, v4
	v_cndmask_b32_e32 v2, v3, v2, vcc
	s_add_u32 s2, s18, s28
	v_lshlrev_b32_e32 v2, 2, v2
	s_addc_u32 s3, s19, 0
	ds_write_b32 v2, v15
	s_waitcnt lgkmcnt(0)
	s_barrier
	ds_read2st64_b32 v[14:15], v1 offset1:4
	ds_read2st64_b32 v[8:9], v1 offset0:8 offset1:12
	ds_read2st64_b32 v[6:7], v1 offset0:16 offset1:20
	;; [unrolled: 1-line block ×4, first 2 shown]
	s_waitcnt vmcnt(0)
	v_add_co_u32_e32 v1, vcc, v12, v11
	s_sub_u32 s2, s26, s2
	v_addc_co_u32_e32 v11, vcc, 0, v13, vcc
	s_subb_u32 s3, s27, s3
	v_mov_b32_e32 v12, s3
	v_add_co_u32_e32 v13, vcc, s2, v10
	v_addc_co_u32_e32 v12, vcc, 0, v12, vcc
	v_add_co_u32_e64 v17, s[2:3], v13, v1
	v_or_b32_e32 v26, 0x100, v0
	v_or_b32_e32 v25, 0x200, v0
	;; [unrolled: 1-line block ×9, first 2 shown]
	s_andn2_b64 vcc, exec, s[30:31]
	v_addc_co_u32_e64 v18, s[2:3], v12, v11, s[2:3]
	s_cbranch_vccnz .LBB2063_134
; %bb.90:
	v_cmp_ge_u32_e32 vcc, v0, v10
                                        ; implicit-def: $vgpr12_vgpr13
	s_and_saveexec_b64 s[2:3], vcc
	s_xor_b64 s[2:3], exec, s[2:3]
; %bb.91:
	v_not_b32_e32 v12, v0
	v_ashrrev_i32_e32 v13, 31, v12
	v_add_co_u32_e32 v12, vcc, v17, v12
	v_addc_co_u32_e32 v13, vcc, v18, v13, vcc
; %bb.92:
	s_andn2_saveexec_b64 s[2:3], s[2:3]
; %bb.93:
	v_add_co_u32_e32 v12, vcc, v1, v0
	v_addc_co_u32_e32 v13, vcc, 0, v11, vcc
; %bb.94:
	s_or_b64 exec, exec, s[2:3]
	v_lshlrev_b64 v[12:13], 2, v[12:13]
	v_mov_b32_e32 v27, s25
	v_add_co_u32_e32 v12, vcc, s24, v12
	v_addc_co_u32_e32 v13, vcc, v27, v13, vcc
	v_cmp_ge_u32_e32 vcc, v26, v10
	s_waitcnt lgkmcnt(4)
	global_store_dword v[12:13], v14, off
                                        ; implicit-def: $vgpr12_vgpr13
	s_and_saveexec_b64 s[2:3], vcc
	s_xor_b64 s[2:3], exec, s[2:3]
; %bb.95:
	v_xor_b32_e32 v12, 0xfffffeff, v0
	v_ashrrev_i32_e32 v13, 31, v12
	v_add_co_u32_e32 v12, vcc, v17, v12
	v_addc_co_u32_e32 v13, vcc, v18, v13, vcc
; %bb.96:
	s_andn2_saveexec_b64 s[2:3], s[2:3]
; %bb.97:
	v_add_co_u32_e32 v12, vcc, v1, v26
	v_addc_co_u32_e32 v13, vcc, 0, v11, vcc
; %bb.98:
	s_or_b64 exec, exec, s[2:3]
	v_lshlrev_b64 v[12:13], 2, v[12:13]
	v_mov_b32_e32 v27, s25
	v_add_co_u32_e32 v12, vcc, s24, v12
	v_addc_co_u32_e32 v13, vcc, v27, v13, vcc
	v_cmp_ge_u32_e32 vcc, v25, v10
	global_store_dword v[12:13], v15, off
                                        ; implicit-def: $vgpr12_vgpr13
	s_and_saveexec_b64 s[2:3], vcc
	s_xor_b64 s[2:3], exec, s[2:3]
; %bb.99:
	v_xor_b32_e32 v12, 0xfffffdff, v0
	v_ashrrev_i32_e32 v13, 31, v12
	v_add_co_u32_e32 v12, vcc, v17, v12
	v_addc_co_u32_e32 v13, vcc, v18, v13, vcc
; %bb.100:
	s_andn2_saveexec_b64 s[2:3], s[2:3]
; %bb.101:
	v_add_co_u32_e32 v12, vcc, v1, v25
	v_addc_co_u32_e32 v13, vcc, 0, v11, vcc
; %bb.102:
	s_or_b64 exec, exec, s[2:3]
	v_lshlrev_b64 v[12:13], 2, v[12:13]
	v_mov_b32_e32 v27, s25
	v_add_co_u32_e32 v12, vcc, s24, v12
	v_addc_co_u32_e32 v13, vcc, v27, v13, vcc
	v_cmp_ge_u32_e32 vcc, v24, v10
	s_waitcnt lgkmcnt(3)
	global_store_dword v[12:13], v8, off
                                        ; implicit-def: $vgpr12_vgpr13
	s_and_saveexec_b64 s[2:3], vcc
	s_xor_b64 s[2:3], exec, s[2:3]
; %bb.103:
	v_xor_b32_e32 v12, 0xfffffcff, v0
	v_ashrrev_i32_e32 v13, 31, v12
	v_add_co_u32_e32 v12, vcc, v17, v12
	v_addc_co_u32_e32 v13, vcc, v18, v13, vcc
; %bb.104:
	s_andn2_saveexec_b64 s[2:3], s[2:3]
; %bb.105:
	v_add_co_u32_e32 v12, vcc, v1, v24
	v_addc_co_u32_e32 v13, vcc, 0, v11, vcc
; %bb.106:
	s_or_b64 exec, exec, s[2:3]
	v_lshlrev_b64 v[12:13], 2, v[12:13]
	v_mov_b32_e32 v27, s25
	v_add_co_u32_e32 v12, vcc, s24, v12
	v_addc_co_u32_e32 v13, vcc, v27, v13, vcc
	v_cmp_ge_u32_e32 vcc, v23, v10
	global_store_dword v[12:13], v9, off
                                        ; implicit-def: $vgpr12_vgpr13
	s_and_saveexec_b64 s[2:3], vcc
	s_xor_b64 s[2:3], exec, s[2:3]
; %bb.107:
	v_xor_b32_e32 v12, 0xfffffbff, v0
	v_ashrrev_i32_e32 v13, 31, v12
	v_add_co_u32_e32 v12, vcc, v17, v12
	v_addc_co_u32_e32 v13, vcc, v18, v13, vcc
; %bb.108:
	s_andn2_saveexec_b64 s[2:3], s[2:3]
; %bb.109:
	v_add_co_u32_e32 v12, vcc, v1, v23
	v_addc_co_u32_e32 v13, vcc, 0, v11, vcc
; %bb.110:
	s_or_b64 exec, exec, s[2:3]
	v_lshlrev_b64 v[12:13], 2, v[12:13]
	v_mov_b32_e32 v27, s25
	v_add_co_u32_e32 v12, vcc, s24, v12
	v_addc_co_u32_e32 v13, vcc, v27, v13, vcc
	v_cmp_ge_u32_e32 vcc, v22, v10
	s_waitcnt lgkmcnt(2)
	global_store_dword v[12:13], v6, off
                                        ; implicit-def: $vgpr12_vgpr13
	s_and_saveexec_b64 s[2:3], vcc
	s_xor_b64 s[2:3], exec, s[2:3]
; %bb.111:
	v_xor_b32_e32 v12, 0xfffffaff, v0
	v_ashrrev_i32_e32 v13, 31, v12
	v_add_co_u32_e32 v12, vcc, v17, v12
	v_addc_co_u32_e32 v13, vcc, v18, v13, vcc
; %bb.112:
	s_andn2_saveexec_b64 s[2:3], s[2:3]
; %bb.113:
	v_add_co_u32_e32 v12, vcc, v1, v22
	v_addc_co_u32_e32 v13, vcc, 0, v11, vcc
; %bb.114:
	s_or_b64 exec, exec, s[2:3]
	v_lshlrev_b64 v[12:13], 2, v[12:13]
	v_mov_b32_e32 v27, s25
	v_add_co_u32_e32 v12, vcc, s24, v12
	v_addc_co_u32_e32 v13, vcc, v27, v13, vcc
	v_cmp_ge_u32_e32 vcc, v21, v10
	global_store_dword v[12:13], v7, off
                                        ; implicit-def: $vgpr12_vgpr13
	s_and_saveexec_b64 s[2:3], vcc
	s_xor_b64 s[2:3], exec, s[2:3]
; %bb.115:
	v_xor_b32_e32 v12, 0xfffff9ff, v0
	v_ashrrev_i32_e32 v13, 31, v12
	v_add_co_u32_e32 v12, vcc, v17, v12
	v_addc_co_u32_e32 v13, vcc, v18, v13, vcc
; %bb.116:
	s_andn2_saveexec_b64 s[2:3], s[2:3]
; %bb.117:
	v_add_co_u32_e32 v12, vcc, v1, v21
	v_addc_co_u32_e32 v13, vcc, 0, v11, vcc
; %bb.118:
	s_or_b64 exec, exec, s[2:3]
	v_lshlrev_b64 v[12:13], 2, v[12:13]
	v_mov_b32_e32 v27, s25
	v_add_co_u32_e32 v12, vcc, s24, v12
	v_addc_co_u32_e32 v13, vcc, v27, v13, vcc
	v_cmp_ge_u32_e32 vcc, v20, v10
	s_waitcnt lgkmcnt(1)
	global_store_dword v[12:13], v4, off
                                        ; implicit-def: $vgpr12_vgpr13
	s_and_saveexec_b64 s[2:3], vcc
	s_xor_b64 s[2:3], exec, s[2:3]
; %bb.119:
	v_xor_b32_e32 v12, 0xfffff8ff, v0
	v_ashrrev_i32_e32 v13, 31, v12
	v_add_co_u32_e32 v12, vcc, v17, v12
	v_addc_co_u32_e32 v13, vcc, v18, v13, vcc
; %bb.120:
	s_andn2_saveexec_b64 s[2:3], s[2:3]
; %bb.121:
	v_add_co_u32_e32 v12, vcc, v1, v20
	v_addc_co_u32_e32 v13, vcc, 0, v11, vcc
; %bb.122:
	s_or_b64 exec, exec, s[2:3]
	v_lshlrev_b64 v[12:13], 2, v[12:13]
	v_mov_b32_e32 v27, s25
	v_add_co_u32_e32 v12, vcc, s24, v12
	v_addc_co_u32_e32 v13, vcc, v27, v13, vcc
	v_cmp_ge_u32_e32 vcc, v19, v10
	global_store_dword v[12:13], v5, off
                                        ; implicit-def: $vgpr12_vgpr13
	s_and_saveexec_b64 s[2:3], vcc
	s_xor_b64 s[2:3], exec, s[2:3]
; %bb.123:
	v_xor_b32_e32 v12, 0xfffff7ff, v0
	v_ashrrev_i32_e32 v13, 31, v12
	v_add_co_u32_e32 v12, vcc, v17, v12
	v_addc_co_u32_e32 v13, vcc, v18, v13, vcc
; %bb.124:
	s_andn2_saveexec_b64 s[2:3], s[2:3]
; %bb.125:
	v_add_co_u32_e32 v12, vcc, v1, v19
	v_addc_co_u32_e32 v13, vcc, 0, v11, vcc
; %bb.126:
	s_or_b64 exec, exec, s[2:3]
	v_lshlrev_b64 v[12:13], 2, v[12:13]
	v_mov_b32_e32 v27, s25
	v_add_co_u32_e32 v12, vcc, s24, v12
	v_addc_co_u32_e32 v13, vcc, v27, v13, vcc
	v_cmp_ge_u32_e32 vcc, v16, v10
	s_waitcnt lgkmcnt(0)
	global_store_dword v[12:13], v2, off
                                        ; implicit-def: $vgpr12_vgpr13
	s_and_saveexec_b64 s[2:3], vcc
	s_xor_b64 s[2:3], exec, s[2:3]
; %bb.127:
	v_xor_b32_e32 v12, 0xfffff6ff, v0
	v_ashrrev_i32_e32 v13, 31, v12
	v_add_co_u32_e32 v12, vcc, v17, v12
	v_addc_co_u32_e32 v13, vcc, v18, v13, vcc
; %bb.128:
	s_andn2_saveexec_b64 s[2:3], s[2:3]
; %bb.129:
	v_add_co_u32_e32 v12, vcc, v1, v16
	v_addc_co_u32_e32 v13, vcc, 0, v11, vcc
; %bb.130:
	s_or_b64 exec, exec, s[2:3]
	s_mov_b64 s[2:3], -1
.LBB2063_131:
	s_and_saveexec_b64 s[4:5], s[2:3]
	s_cbranch_execz .LBB2063_162
.LBB2063_132:
	s_waitcnt lgkmcnt(1)
	v_lshlrev_b64 v[4:5], 2, v[12:13]
	v_mov_b32_e32 v0, s25
	v_add_co_u32_e32 v4, vcc, s24, v4
	v_addc_co_u32_e32 v5, vcc, v0, v5, vcc
	s_waitcnt lgkmcnt(0)
	global_store_dword v[4:5], v3, off
	s_or_b64 exec, exec, s[4:5]
	s_and_b64 s[0:1], s[0:1], s[22:23]
	s_and_saveexec_b64 s[2:3], s[0:1]
	s_cbranch_execnz .LBB2063_163
.LBB2063_133:
	s_endpgm
.LBB2063_134:
	s_mov_b64 s[2:3], 0
                                        ; implicit-def: $vgpr12_vgpr13
	s_cbranch_execz .LBB2063_131
; %bb.135:
	v_cmp_gt_u32_e32 vcc, s33, v0
	s_and_saveexec_b64 s[4:5], vcc
	s_cbranch_execz .LBB2063_164
; %bb.136:
	v_cmp_ge_u32_e32 vcc, v0, v10
                                        ; implicit-def: $vgpr12_vgpr13
	s_and_saveexec_b64 s[6:7], vcc
	s_xor_b64 s[6:7], exec, s[6:7]
; %bb.137:
	v_not_b32_e32 v12, v0
	v_ashrrev_i32_e32 v13, 31, v12
	v_add_co_u32_e32 v12, vcc, v17, v12
	v_addc_co_u32_e32 v13, vcc, v18, v13, vcc
; %bb.138:
	s_andn2_saveexec_b64 s[6:7], s[6:7]
; %bb.139:
	v_add_co_u32_e32 v12, vcc, v1, v0
	v_addc_co_u32_e32 v13, vcc, 0, v11, vcc
; %bb.140:
	s_or_b64 exec, exec, s[6:7]
	v_lshlrev_b64 v[12:13], 2, v[12:13]
	v_mov_b32_e32 v27, s25
	v_add_co_u32_e32 v12, vcc, s24, v12
	v_addc_co_u32_e32 v13, vcc, v27, v13, vcc
	s_waitcnt lgkmcnt(4)
	global_store_dword v[12:13], v14, off
	s_or_b64 exec, exec, s[4:5]
	v_cmp_gt_u32_e32 vcc, s33, v26
	s_and_saveexec_b64 s[4:5], vcc
	s_cbranch_execnz .LBB2063_165
.LBB2063_141:
	s_or_b64 exec, exec, s[4:5]
	v_cmp_gt_u32_e32 vcc, s33, v25
	s_and_saveexec_b64 s[4:5], vcc
	s_cbranch_execz .LBB2063_170
.LBB2063_142:
	v_cmp_ge_u32_e32 vcc, v25, v10
                                        ; implicit-def: $vgpr12_vgpr13
	s_and_saveexec_b64 s[6:7], vcc
	s_xor_b64 s[6:7], exec, s[6:7]
; %bb.143:
	v_xor_b32_e32 v12, 0xfffffdff, v0
	v_ashrrev_i32_e32 v13, 31, v12
	v_add_co_u32_e32 v12, vcc, v17, v12
	v_addc_co_u32_e32 v13, vcc, v18, v13, vcc
                                        ; implicit-def: $vgpr25
; %bb.144:
	s_andn2_saveexec_b64 s[6:7], s[6:7]
; %bb.145:
	v_add_co_u32_e32 v12, vcc, v1, v25
	v_addc_co_u32_e32 v13, vcc, 0, v11, vcc
; %bb.146:
	s_or_b64 exec, exec, s[6:7]
	v_lshlrev_b64 v[12:13], 2, v[12:13]
	s_waitcnt lgkmcnt(4)
	v_mov_b32_e32 v14, s25
	v_add_co_u32_e32 v12, vcc, s24, v12
	v_addc_co_u32_e32 v13, vcc, v14, v13, vcc
	s_waitcnt lgkmcnt(3)
	global_store_dword v[12:13], v8, off
	s_or_b64 exec, exec, s[4:5]
	v_cmp_gt_u32_e32 vcc, s33, v24
	s_and_saveexec_b64 s[4:5], vcc
	s_cbranch_execnz .LBB2063_171
.LBB2063_147:
	s_or_b64 exec, exec, s[4:5]
	v_cmp_gt_u32_e32 vcc, s33, v23
	s_and_saveexec_b64 s[4:5], vcc
	s_cbranch_execz .LBB2063_176
.LBB2063_148:
	v_cmp_ge_u32_e32 vcc, v23, v10
                                        ; implicit-def: $vgpr8_vgpr9
	s_and_saveexec_b64 s[6:7], vcc
	s_xor_b64 s[6:7], exec, s[6:7]
	s_cbranch_execz .LBB2063_150
; %bb.149:
	s_waitcnt lgkmcnt(3)
	v_xor_b32_e32 v8, 0xfffffbff, v0
	v_ashrrev_i32_e32 v9, 31, v8
	v_add_co_u32_e32 v8, vcc, v17, v8
	v_addc_co_u32_e32 v9, vcc, v18, v9, vcc
                                        ; implicit-def: $vgpr23
.LBB2063_150:
	s_andn2_saveexec_b64 s[6:7], s[6:7]
	s_cbranch_execz .LBB2063_152
; %bb.151:
	s_waitcnt lgkmcnt(3)
	v_add_co_u32_e32 v8, vcc, v1, v23
	v_addc_co_u32_e32 v9, vcc, 0, v11, vcc
.LBB2063_152:
	s_or_b64 exec, exec, s[6:7]
	s_waitcnt lgkmcnt(3)
	v_lshlrev_b64 v[8:9], 2, v[8:9]
	v_mov_b32_e32 v12, s25
	v_add_co_u32_e32 v8, vcc, s24, v8
	v_addc_co_u32_e32 v9, vcc, v12, v9, vcc
	s_waitcnt lgkmcnt(2)
	global_store_dword v[8:9], v6, off
	s_or_b64 exec, exec, s[4:5]
	v_cmp_gt_u32_e32 vcc, s33, v22
	s_and_saveexec_b64 s[4:5], vcc
	s_cbranch_execnz .LBB2063_177
.LBB2063_153:
	s_or_b64 exec, exec, s[4:5]
	v_cmp_gt_u32_e32 vcc, s33, v21
	s_and_saveexec_b64 s[4:5], vcc
	s_cbranch_execz .LBB2063_182
.LBB2063_154:
	v_cmp_ge_u32_e32 vcc, v21, v10
                                        ; implicit-def: $vgpr6_vgpr7
	s_and_saveexec_b64 s[6:7], vcc
	s_xor_b64 s[6:7], exec, s[6:7]
	s_cbranch_execz .LBB2063_156
; %bb.155:
	s_waitcnt lgkmcnt(2)
	v_xor_b32_e32 v6, 0xfffff9ff, v0
	v_ashrrev_i32_e32 v7, 31, v6
	v_add_co_u32_e32 v6, vcc, v17, v6
	v_addc_co_u32_e32 v7, vcc, v18, v7, vcc
                                        ; implicit-def: $vgpr21
.LBB2063_156:
	s_andn2_saveexec_b64 s[6:7], s[6:7]
	s_cbranch_execz .LBB2063_158
; %bb.157:
	s_waitcnt lgkmcnt(2)
	v_add_co_u32_e32 v6, vcc, v1, v21
	v_addc_co_u32_e32 v7, vcc, 0, v11, vcc
.LBB2063_158:
	s_or_b64 exec, exec, s[6:7]
	s_waitcnt lgkmcnt(2)
	v_lshlrev_b64 v[6:7], 2, v[6:7]
	v_mov_b32_e32 v8, s25
	v_add_co_u32_e32 v6, vcc, s24, v6
	v_addc_co_u32_e32 v7, vcc, v8, v7, vcc
	s_waitcnt lgkmcnt(1)
	global_store_dword v[6:7], v4, off
	s_or_b64 exec, exec, s[4:5]
	v_cmp_gt_u32_e32 vcc, s33, v20
	s_and_saveexec_b64 s[4:5], vcc
	s_cbranch_execnz .LBB2063_183
.LBB2063_159:
	s_or_b64 exec, exec, s[4:5]
	v_cmp_gt_u32_e32 vcc, s33, v19
	s_and_saveexec_b64 s[4:5], vcc
	s_cbranch_execnz .LBB2063_188
.LBB2063_160:
	s_or_b64 exec, exec, s[4:5]
	v_cmp_gt_u32_e32 vcc, s33, v16
                                        ; implicit-def: $vgpr12_vgpr13
	s_and_saveexec_b64 s[4:5], vcc
	s_cbranch_execnz .LBB2063_193
.LBB2063_161:
	s_or_b64 exec, exec, s[4:5]
	s_and_saveexec_b64 s[4:5], s[2:3]
	s_cbranch_execnz .LBB2063_132
.LBB2063_162:
	s_or_b64 exec, exec, s[4:5]
	s_and_b64 s[0:1], s[0:1], s[22:23]
	s_and_saveexec_b64 s[2:3], s[0:1]
	s_cbranch_execz .LBB2063_133
.LBB2063_163:
	v_add_co_u32_e32 v0, vcc, v1, v10
	s_waitcnt lgkmcnt(0)
	v_mov_b32_e32 v2, 0
	v_addc_co_u32_e32 v1, vcc, 0, v11, vcc
	global_store_dwordx2 v2, v[0:1], s[20:21]
	s_endpgm
.LBB2063_164:
	s_or_b64 exec, exec, s[4:5]
	v_cmp_gt_u32_e32 vcc, s33, v26
	s_and_saveexec_b64 s[4:5], vcc
	s_cbranch_execz .LBB2063_141
.LBB2063_165:
	v_cmp_ge_u32_e32 vcc, v26, v10
                                        ; implicit-def: $vgpr12_vgpr13
	s_and_saveexec_b64 s[6:7], vcc
	s_xor_b64 s[6:7], exec, s[6:7]
; %bb.166:
	v_xor_b32_e32 v12, 0xfffffeff, v0
	v_ashrrev_i32_e32 v13, 31, v12
	v_add_co_u32_e32 v12, vcc, v17, v12
	v_addc_co_u32_e32 v13, vcc, v18, v13, vcc
                                        ; implicit-def: $vgpr26
; %bb.167:
	s_andn2_saveexec_b64 s[6:7], s[6:7]
; %bb.168:
	v_add_co_u32_e32 v12, vcc, v1, v26
	v_addc_co_u32_e32 v13, vcc, 0, v11, vcc
; %bb.169:
	s_or_b64 exec, exec, s[6:7]
	v_lshlrev_b64 v[12:13], 2, v[12:13]
	s_waitcnt lgkmcnt(4)
	v_mov_b32_e32 v14, s25
	v_add_co_u32_e32 v12, vcc, s24, v12
	v_addc_co_u32_e32 v13, vcc, v14, v13, vcc
	global_store_dword v[12:13], v15, off
	s_or_b64 exec, exec, s[4:5]
	v_cmp_gt_u32_e32 vcc, s33, v25
	s_and_saveexec_b64 s[4:5], vcc
	s_cbranch_execnz .LBB2063_142
.LBB2063_170:
	s_or_b64 exec, exec, s[4:5]
	v_cmp_gt_u32_e32 vcc, s33, v24
	s_and_saveexec_b64 s[4:5], vcc
	s_cbranch_execz .LBB2063_147
.LBB2063_171:
	v_cmp_ge_u32_e32 vcc, v24, v10
                                        ; implicit-def: $vgpr12_vgpr13
	s_and_saveexec_b64 s[6:7], vcc
	s_xor_b64 s[6:7], exec, s[6:7]
	s_cbranch_execz .LBB2063_173
; %bb.172:
	s_waitcnt lgkmcnt(3)
	v_xor_b32_e32 v8, 0xfffffcff, v0
	v_ashrrev_i32_e32 v13, 31, v8
	v_add_co_u32_e32 v12, vcc, v17, v8
	v_addc_co_u32_e32 v13, vcc, v18, v13, vcc
                                        ; implicit-def: $vgpr24
.LBB2063_173:
	s_andn2_saveexec_b64 s[6:7], s[6:7]
; %bb.174:
	v_add_co_u32_e32 v12, vcc, v1, v24
	v_addc_co_u32_e32 v13, vcc, 0, v11, vcc
; %bb.175:
	s_or_b64 exec, exec, s[6:7]
	v_lshlrev_b64 v[12:13], 2, v[12:13]
	s_waitcnt lgkmcnt(3)
	v_mov_b32_e32 v8, s25
	v_add_co_u32_e32 v12, vcc, s24, v12
	v_addc_co_u32_e32 v13, vcc, v8, v13, vcc
	global_store_dword v[12:13], v9, off
	s_or_b64 exec, exec, s[4:5]
	v_cmp_gt_u32_e32 vcc, s33, v23
	s_and_saveexec_b64 s[4:5], vcc
	s_cbranch_execnz .LBB2063_148
.LBB2063_176:
	s_or_b64 exec, exec, s[4:5]
	v_cmp_gt_u32_e32 vcc, s33, v22
	s_and_saveexec_b64 s[4:5], vcc
	s_cbranch_execz .LBB2063_153
.LBB2063_177:
	v_cmp_ge_u32_e32 vcc, v22, v10
                                        ; implicit-def: $vgpr8_vgpr9
	s_and_saveexec_b64 s[6:7], vcc
	s_xor_b64 s[6:7], exec, s[6:7]
	s_cbranch_execz .LBB2063_179
; %bb.178:
	s_waitcnt lgkmcnt(2)
	v_xor_b32_e32 v6, 0xfffffaff, v0
	v_ashrrev_i32_e32 v9, 31, v6
	v_add_co_u32_e32 v8, vcc, v17, v6
	v_addc_co_u32_e32 v9, vcc, v18, v9, vcc
                                        ; implicit-def: $vgpr22
.LBB2063_179:
	s_andn2_saveexec_b64 s[6:7], s[6:7]
	s_cbranch_execz .LBB2063_181
; %bb.180:
	s_waitcnt lgkmcnt(3)
	v_add_co_u32_e32 v8, vcc, v1, v22
	v_addc_co_u32_e32 v9, vcc, 0, v11, vcc
.LBB2063_181:
	s_or_b64 exec, exec, s[6:7]
	s_waitcnt lgkmcnt(3)
	v_lshlrev_b64 v[8:9], 2, v[8:9]
	s_waitcnt lgkmcnt(2)
	v_mov_b32_e32 v6, s25
	v_add_co_u32_e32 v8, vcc, s24, v8
	v_addc_co_u32_e32 v9, vcc, v6, v9, vcc
	global_store_dword v[8:9], v7, off
	s_or_b64 exec, exec, s[4:5]
	v_cmp_gt_u32_e32 vcc, s33, v21
	s_and_saveexec_b64 s[4:5], vcc
	s_cbranch_execnz .LBB2063_154
.LBB2063_182:
	s_or_b64 exec, exec, s[4:5]
	v_cmp_gt_u32_e32 vcc, s33, v20
	s_and_saveexec_b64 s[4:5], vcc
	s_cbranch_execz .LBB2063_159
.LBB2063_183:
	v_cmp_ge_u32_e32 vcc, v20, v10
                                        ; implicit-def: $vgpr6_vgpr7
	s_and_saveexec_b64 s[6:7], vcc
	s_xor_b64 s[6:7], exec, s[6:7]
	s_cbranch_execz .LBB2063_185
; %bb.184:
	s_waitcnt lgkmcnt(1)
	v_xor_b32_e32 v4, 0xfffff8ff, v0
	v_ashrrev_i32_e32 v7, 31, v4
	v_add_co_u32_e32 v6, vcc, v17, v4
	v_addc_co_u32_e32 v7, vcc, v18, v7, vcc
                                        ; implicit-def: $vgpr20
.LBB2063_185:
	s_andn2_saveexec_b64 s[6:7], s[6:7]
	s_cbranch_execz .LBB2063_187
; %bb.186:
	s_waitcnt lgkmcnt(2)
	v_add_co_u32_e32 v6, vcc, v1, v20
	v_addc_co_u32_e32 v7, vcc, 0, v11, vcc
.LBB2063_187:
	s_or_b64 exec, exec, s[6:7]
	s_waitcnt lgkmcnt(2)
	v_lshlrev_b64 v[6:7], 2, v[6:7]
	s_waitcnt lgkmcnt(1)
	v_mov_b32_e32 v4, s25
	v_add_co_u32_e32 v6, vcc, s24, v6
	v_addc_co_u32_e32 v7, vcc, v4, v7, vcc
	global_store_dword v[6:7], v5, off
	s_or_b64 exec, exec, s[4:5]
	v_cmp_gt_u32_e32 vcc, s33, v19
	s_and_saveexec_b64 s[4:5], vcc
	s_cbranch_execz .LBB2063_160
.LBB2063_188:
	v_cmp_ge_u32_e32 vcc, v19, v10
                                        ; implicit-def: $vgpr4_vgpr5
	s_and_saveexec_b64 s[6:7], vcc
	s_xor_b64 s[6:7], exec, s[6:7]
	s_cbranch_execz .LBB2063_190
; %bb.189:
	s_waitcnt lgkmcnt(1)
	v_xor_b32_e32 v4, 0xfffff7ff, v0
	v_ashrrev_i32_e32 v5, 31, v4
	v_add_co_u32_e32 v4, vcc, v17, v4
	v_addc_co_u32_e32 v5, vcc, v18, v5, vcc
                                        ; implicit-def: $vgpr19
.LBB2063_190:
	s_andn2_saveexec_b64 s[6:7], s[6:7]
	s_cbranch_execz .LBB2063_192
; %bb.191:
	s_waitcnt lgkmcnt(1)
	v_add_co_u32_e32 v4, vcc, v1, v19
	v_addc_co_u32_e32 v5, vcc, 0, v11, vcc
.LBB2063_192:
	s_or_b64 exec, exec, s[6:7]
	s_waitcnt lgkmcnt(1)
	v_lshlrev_b64 v[4:5], 2, v[4:5]
	v_mov_b32_e32 v6, s25
	v_add_co_u32_e32 v4, vcc, s24, v4
	v_addc_co_u32_e32 v5, vcc, v6, v5, vcc
	s_waitcnt lgkmcnt(0)
	global_store_dword v[4:5], v2, off
	s_or_b64 exec, exec, s[4:5]
	v_cmp_gt_u32_e32 vcc, s33, v16
                                        ; implicit-def: $vgpr12_vgpr13
	s_and_saveexec_b64 s[4:5], vcc
	s_cbranch_execz .LBB2063_161
.LBB2063_193:
	v_cmp_ge_u32_e32 vcc, v16, v10
                                        ; implicit-def: $vgpr12_vgpr13
	s_and_saveexec_b64 s[6:7], vcc
	s_xor_b64 s[6:7], exec, s[6:7]
	s_cbranch_execz .LBB2063_195
; %bb.194:
	v_xor_b32_e32 v0, 0xfffff6ff, v0
	s_waitcnt lgkmcnt(0)
	v_ashrrev_i32_e32 v2, 31, v0
	v_add_co_u32_e32 v12, vcc, v17, v0
	v_addc_co_u32_e32 v13, vcc, v18, v2, vcc
                                        ; implicit-def: $vgpr16
.LBB2063_195:
	s_andn2_saveexec_b64 s[6:7], s[6:7]
; %bb.196:
	v_add_co_u32_e32 v12, vcc, v1, v16
	v_addc_co_u32_e32 v13, vcc, 0, v11, vcc
; %bb.197:
	s_or_b64 exec, exec, s[6:7]
	s_or_b64 s[2:3], s[2:3], exec
	s_or_b64 exec, exec, s[4:5]
	s_and_saveexec_b64 s[4:5], s[2:3]
	s_cbranch_execnz .LBB2063_132
	s_branch .LBB2063_162
	.section	.rodata,"a",@progbits
	.p2align	6, 0x0
	.amdhsa_kernel _ZN7rocprim17ROCPRIM_400000_NS6detail17trampoline_kernelINS0_14default_configENS1_25partition_config_selectorILNS1_17partition_subalgoE2EjNS0_10empty_typeEbEEZZNS1_14partition_implILS5_2ELb0ES3_jN6thrust23THRUST_200600_302600_NS6detail15normal_iteratorINSA_7pointerIjNSA_11hip_rocprim3tagENSA_11use_defaultESG_EEEEPS6_NSA_18transform_iteratorI7is_evenIjENSC_INSA_10device_ptrIjEEEESG_SG_EENS0_5tupleIJPjSJ_EEENSR_IJSJ_SJ_EEES6_PlJS6_EEE10hipError_tPvRmT3_T4_T5_T6_T7_T9_mT8_P12ihipStream_tbDpT10_ENKUlT_T0_E_clISt17integral_constantIbLb0EES1E_IbLb1EEEEDaS1A_S1B_EUlS1A_E_NS1_11comp_targetILNS1_3genE4ELNS1_11target_archE910ELNS1_3gpuE8ELNS1_3repE0EEENS1_30default_config_static_selectorELNS0_4arch9wavefront6targetE1EEEvT1_
		.amdhsa_group_segment_fixed_size 10248
		.amdhsa_private_segment_fixed_size 0
		.amdhsa_kernarg_size 144
		.amdhsa_user_sgpr_count 6
		.amdhsa_user_sgpr_private_segment_buffer 1
		.amdhsa_user_sgpr_dispatch_ptr 0
		.amdhsa_user_sgpr_queue_ptr 0
		.amdhsa_user_sgpr_kernarg_segment_ptr 1
		.amdhsa_user_sgpr_dispatch_id 0
		.amdhsa_user_sgpr_flat_scratch_init 0
		.amdhsa_user_sgpr_kernarg_preload_length 0
		.amdhsa_user_sgpr_kernarg_preload_offset 0
		.amdhsa_user_sgpr_private_segment_size 0
		.amdhsa_uses_dynamic_stack 0
		.amdhsa_system_sgpr_private_segment_wavefront_offset 0
		.amdhsa_system_sgpr_workgroup_id_x 1
		.amdhsa_system_sgpr_workgroup_id_y 0
		.amdhsa_system_sgpr_workgroup_id_z 0
		.amdhsa_system_sgpr_workgroup_info 0
		.amdhsa_system_vgpr_workitem_id 0
		.amdhsa_next_free_vgpr 56
		.amdhsa_next_free_sgpr 46
		.amdhsa_accum_offset 56
		.amdhsa_reserve_vcc 1
		.amdhsa_reserve_flat_scratch 0
		.amdhsa_float_round_mode_32 0
		.amdhsa_float_round_mode_16_64 0
		.amdhsa_float_denorm_mode_32 3
		.amdhsa_float_denorm_mode_16_64 3
		.amdhsa_dx10_clamp 1
		.amdhsa_ieee_mode 1
		.amdhsa_fp16_overflow 0
		.amdhsa_tg_split 0
		.amdhsa_exception_fp_ieee_invalid_op 0
		.amdhsa_exception_fp_denorm_src 0
		.amdhsa_exception_fp_ieee_div_zero 0
		.amdhsa_exception_fp_ieee_overflow 0
		.amdhsa_exception_fp_ieee_underflow 0
		.amdhsa_exception_fp_ieee_inexact 0
		.amdhsa_exception_int_div_zero 0
	.end_amdhsa_kernel
	.section	.text._ZN7rocprim17ROCPRIM_400000_NS6detail17trampoline_kernelINS0_14default_configENS1_25partition_config_selectorILNS1_17partition_subalgoE2EjNS0_10empty_typeEbEEZZNS1_14partition_implILS5_2ELb0ES3_jN6thrust23THRUST_200600_302600_NS6detail15normal_iteratorINSA_7pointerIjNSA_11hip_rocprim3tagENSA_11use_defaultESG_EEEEPS6_NSA_18transform_iteratorI7is_evenIjENSC_INSA_10device_ptrIjEEEESG_SG_EENS0_5tupleIJPjSJ_EEENSR_IJSJ_SJ_EEES6_PlJS6_EEE10hipError_tPvRmT3_T4_T5_T6_T7_T9_mT8_P12ihipStream_tbDpT10_ENKUlT_T0_E_clISt17integral_constantIbLb0EES1E_IbLb1EEEEDaS1A_S1B_EUlS1A_E_NS1_11comp_targetILNS1_3genE4ELNS1_11target_archE910ELNS1_3gpuE8ELNS1_3repE0EEENS1_30default_config_static_selectorELNS0_4arch9wavefront6targetE1EEEvT1_,"axG",@progbits,_ZN7rocprim17ROCPRIM_400000_NS6detail17trampoline_kernelINS0_14default_configENS1_25partition_config_selectorILNS1_17partition_subalgoE2EjNS0_10empty_typeEbEEZZNS1_14partition_implILS5_2ELb0ES3_jN6thrust23THRUST_200600_302600_NS6detail15normal_iteratorINSA_7pointerIjNSA_11hip_rocprim3tagENSA_11use_defaultESG_EEEEPS6_NSA_18transform_iteratorI7is_evenIjENSC_INSA_10device_ptrIjEEEESG_SG_EENS0_5tupleIJPjSJ_EEENSR_IJSJ_SJ_EEES6_PlJS6_EEE10hipError_tPvRmT3_T4_T5_T6_T7_T9_mT8_P12ihipStream_tbDpT10_ENKUlT_T0_E_clISt17integral_constantIbLb0EES1E_IbLb1EEEEDaS1A_S1B_EUlS1A_E_NS1_11comp_targetILNS1_3genE4ELNS1_11target_archE910ELNS1_3gpuE8ELNS1_3repE0EEENS1_30default_config_static_selectorELNS0_4arch9wavefront6targetE1EEEvT1_,comdat
.Lfunc_end2063:
	.size	_ZN7rocprim17ROCPRIM_400000_NS6detail17trampoline_kernelINS0_14default_configENS1_25partition_config_selectorILNS1_17partition_subalgoE2EjNS0_10empty_typeEbEEZZNS1_14partition_implILS5_2ELb0ES3_jN6thrust23THRUST_200600_302600_NS6detail15normal_iteratorINSA_7pointerIjNSA_11hip_rocprim3tagENSA_11use_defaultESG_EEEEPS6_NSA_18transform_iteratorI7is_evenIjENSC_INSA_10device_ptrIjEEEESG_SG_EENS0_5tupleIJPjSJ_EEENSR_IJSJ_SJ_EEES6_PlJS6_EEE10hipError_tPvRmT3_T4_T5_T6_T7_T9_mT8_P12ihipStream_tbDpT10_ENKUlT_T0_E_clISt17integral_constantIbLb0EES1E_IbLb1EEEEDaS1A_S1B_EUlS1A_E_NS1_11comp_targetILNS1_3genE4ELNS1_11target_archE910ELNS1_3gpuE8ELNS1_3repE0EEENS1_30default_config_static_selectorELNS0_4arch9wavefront6targetE1EEEvT1_, .Lfunc_end2063-_ZN7rocprim17ROCPRIM_400000_NS6detail17trampoline_kernelINS0_14default_configENS1_25partition_config_selectorILNS1_17partition_subalgoE2EjNS0_10empty_typeEbEEZZNS1_14partition_implILS5_2ELb0ES3_jN6thrust23THRUST_200600_302600_NS6detail15normal_iteratorINSA_7pointerIjNSA_11hip_rocprim3tagENSA_11use_defaultESG_EEEEPS6_NSA_18transform_iteratorI7is_evenIjENSC_INSA_10device_ptrIjEEEESG_SG_EENS0_5tupleIJPjSJ_EEENSR_IJSJ_SJ_EEES6_PlJS6_EEE10hipError_tPvRmT3_T4_T5_T6_T7_T9_mT8_P12ihipStream_tbDpT10_ENKUlT_T0_E_clISt17integral_constantIbLb0EES1E_IbLb1EEEEDaS1A_S1B_EUlS1A_E_NS1_11comp_targetILNS1_3genE4ELNS1_11target_archE910ELNS1_3gpuE8ELNS1_3repE0EEENS1_30default_config_static_selectorELNS0_4arch9wavefront6targetE1EEEvT1_
                                        ; -- End function
	.section	.AMDGPU.csdata,"",@progbits
; Kernel info:
; codeLenInByte = 6748
; NumSgprs: 50
; NumVgprs: 56
; NumAgprs: 0
; TotalNumVgprs: 56
; ScratchSize: 0
; MemoryBound: 0
; FloatMode: 240
; IeeeMode: 1
; LDSByteSize: 10248 bytes/workgroup (compile time only)
; SGPRBlocks: 6
; VGPRBlocks: 6
; NumSGPRsForWavesPerEU: 50
; NumVGPRsForWavesPerEU: 56
; AccumOffset: 56
; Occupancy: 6
; WaveLimiterHint : 1
; COMPUTE_PGM_RSRC2:SCRATCH_EN: 0
; COMPUTE_PGM_RSRC2:USER_SGPR: 6
; COMPUTE_PGM_RSRC2:TRAP_HANDLER: 0
; COMPUTE_PGM_RSRC2:TGID_X_EN: 1
; COMPUTE_PGM_RSRC2:TGID_Y_EN: 0
; COMPUTE_PGM_RSRC2:TGID_Z_EN: 0
; COMPUTE_PGM_RSRC2:TIDIG_COMP_CNT: 0
; COMPUTE_PGM_RSRC3_GFX90A:ACCUM_OFFSET: 13
; COMPUTE_PGM_RSRC3_GFX90A:TG_SPLIT: 0
	.section	.text._ZN7rocprim17ROCPRIM_400000_NS6detail17trampoline_kernelINS0_14default_configENS1_25partition_config_selectorILNS1_17partition_subalgoE2EjNS0_10empty_typeEbEEZZNS1_14partition_implILS5_2ELb0ES3_jN6thrust23THRUST_200600_302600_NS6detail15normal_iteratorINSA_7pointerIjNSA_11hip_rocprim3tagENSA_11use_defaultESG_EEEEPS6_NSA_18transform_iteratorI7is_evenIjENSC_INSA_10device_ptrIjEEEESG_SG_EENS0_5tupleIJPjSJ_EEENSR_IJSJ_SJ_EEES6_PlJS6_EEE10hipError_tPvRmT3_T4_T5_T6_T7_T9_mT8_P12ihipStream_tbDpT10_ENKUlT_T0_E_clISt17integral_constantIbLb0EES1E_IbLb1EEEEDaS1A_S1B_EUlS1A_E_NS1_11comp_targetILNS1_3genE3ELNS1_11target_archE908ELNS1_3gpuE7ELNS1_3repE0EEENS1_30default_config_static_selectorELNS0_4arch9wavefront6targetE1EEEvT1_,"axG",@progbits,_ZN7rocprim17ROCPRIM_400000_NS6detail17trampoline_kernelINS0_14default_configENS1_25partition_config_selectorILNS1_17partition_subalgoE2EjNS0_10empty_typeEbEEZZNS1_14partition_implILS5_2ELb0ES3_jN6thrust23THRUST_200600_302600_NS6detail15normal_iteratorINSA_7pointerIjNSA_11hip_rocprim3tagENSA_11use_defaultESG_EEEEPS6_NSA_18transform_iteratorI7is_evenIjENSC_INSA_10device_ptrIjEEEESG_SG_EENS0_5tupleIJPjSJ_EEENSR_IJSJ_SJ_EEES6_PlJS6_EEE10hipError_tPvRmT3_T4_T5_T6_T7_T9_mT8_P12ihipStream_tbDpT10_ENKUlT_T0_E_clISt17integral_constantIbLb0EES1E_IbLb1EEEEDaS1A_S1B_EUlS1A_E_NS1_11comp_targetILNS1_3genE3ELNS1_11target_archE908ELNS1_3gpuE7ELNS1_3repE0EEENS1_30default_config_static_selectorELNS0_4arch9wavefront6targetE1EEEvT1_,comdat
	.protected	_ZN7rocprim17ROCPRIM_400000_NS6detail17trampoline_kernelINS0_14default_configENS1_25partition_config_selectorILNS1_17partition_subalgoE2EjNS0_10empty_typeEbEEZZNS1_14partition_implILS5_2ELb0ES3_jN6thrust23THRUST_200600_302600_NS6detail15normal_iteratorINSA_7pointerIjNSA_11hip_rocprim3tagENSA_11use_defaultESG_EEEEPS6_NSA_18transform_iteratorI7is_evenIjENSC_INSA_10device_ptrIjEEEESG_SG_EENS0_5tupleIJPjSJ_EEENSR_IJSJ_SJ_EEES6_PlJS6_EEE10hipError_tPvRmT3_T4_T5_T6_T7_T9_mT8_P12ihipStream_tbDpT10_ENKUlT_T0_E_clISt17integral_constantIbLb0EES1E_IbLb1EEEEDaS1A_S1B_EUlS1A_E_NS1_11comp_targetILNS1_3genE3ELNS1_11target_archE908ELNS1_3gpuE7ELNS1_3repE0EEENS1_30default_config_static_selectorELNS0_4arch9wavefront6targetE1EEEvT1_ ; -- Begin function _ZN7rocprim17ROCPRIM_400000_NS6detail17trampoline_kernelINS0_14default_configENS1_25partition_config_selectorILNS1_17partition_subalgoE2EjNS0_10empty_typeEbEEZZNS1_14partition_implILS5_2ELb0ES3_jN6thrust23THRUST_200600_302600_NS6detail15normal_iteratorINSA_7pointerIjNSA_11hip_rocprim3tagENSA_11use_defaultESG_EEEEPS6_NSA_18transform_iteratorI7is_evenIjENSC_INSA_10device_ptrIjEEEESG_SG_EENS0_5tupleIJPjSJ_EEENSR_IJSJ_SJ_EEES6_PlJS6_EEE10hipError_tPvRmT3_T4_T5_T6_T7_T9_mT8_P12ihipStream_tbDpT10_ENKUlT_T0_E_clISt17integral_constantIbLb0EES1E_IbLb1EEEEDaS1A_S1B_EUlS1A_E_NS1_11comp_targetILNS1_3genE3ELNS1_11target_archE908ELNS1_3gpuE7ELNS1_3repE0EEENS1_30default_config_static_selectorELNS0_4arch9wavefront6targetE1EEEvT1_
	.globl	_ZN7rocprim17ROCPRIM_400000_NS6detail17trampoline_kernelINS0_14default_configENS1_25partition_config_selectorILNS1_17partition_subalgoE2EjNS0_10empty_typeEbEEZZNS1_14partition_implILS5_2ELb0ES3_jN6thrust23THRUST_200600_302600_NS6detail15normal_iteratorINSA_7pointerIjNSA_11hip_rocprim3tagENSA_11use_defaultESG_EEEEPS6_NSA_18transform_iteratorI7is_evenIjENSC_INSA_10device_ptrIjEEEESG_SG_EENS0_5tupleIJPjSJ_EEENSR_IJSJ_SJ_EEES6_PlJS6_EEE10hipError_tPvRmT3_T4_T5_T6_T7_T9_mT8_P12ihipStream_tbDpT10_ENKUlT_T0_E_clISt17integral_constantIbLb0EES1E_IbLb1EEEEDaS1A_S1B_EUlS1A_E_NS1_11comp_targetILNS1_3genE3ELNS1_11target_archE908ELNS1_3gpuE7ELNS1_3repE0EEENS1_30default_config_static_selectorELNS0_4arch9wavefront6targetE1EEEvT1_
	.p2align	8
	.type	_ZN7rocprim17ROCPRIM_400000_NS6detail17trampoline_kernelINS0_14default_configENS1_25partition_config_selectorILNS1_17partition_subalgoE2EjNS0_10empty_typeEbEEZZNS1_14partition_implILS5_2ELb0ES3_jN6thrust23THRUST_200600_302600_NS6detail15normal_iteratorINSA_7pointerIjNSA_11hip_rocprim3tagENSA_11use_defaultESG_EEEEPS6_NSA_18transform_iteratorI7is_evenIjENSC_INSA_10device_ptrIjEEEESG_SG_EENS0_5tupleIJPjSJ_EEENSR_IJSJ_SJ_EEES6_PlJS6_EEE10hipError_tPvRmT3_T4_T5_T6_T7_T9_mT8_P12ihipStream_tbDpT10_ENKUlT_T0_E_clISt17integral_constantIbLb0EES1E_IbLb1EEEEDaS1A_S1B_EUlS1A_E_NS1_11comp_targetILNS1_3genE3ELNS1_11target_archE908ELNS1_3gpuE7ELNS1_3repE0EEENS1_30default_config_static_selectorELNS0_4arch9wavefront6targetE1EEEvT1_,@function
_ZN7rocprim17ROCPRIM_400000_NS6detail17trampoline_kernelINS0_14default_configENS1_25partition_config_selectorILNS1_17partition_subalgoE2EjNS0_10empty_typeEbEEZZNS1_14partition_implILS5_2ELb0ES3_jN6thrust23THRUST_200600_302600_NS6detail15normal_iteratorINSA_7pointerIjNSA_11hip_rocprim3tagENSA_11use_defaultESG_EEEEPS6_NSA_18transform_iteratorI7is_evenIjENSC_INSA_10device_ptrIjEEEESG_SG_EENS0_5tupleIJPjSJ_EEENSR_IJSJ_SJ_EEES6_PlJS6_EEE10hipError_tPvRmT3_T4_T5_T6_T7_T9_mT8_P12ihipStream_tbDpT10_ENKUlT_T0_E_clISt17integral_constantIbLb0EES1E_IbLb1EEEEDaS1A_S1B_EUlS1A_E_NS1_11comp_targetILNS1_3genE3ELNS1_11target_archE908ELNS1_3gpuE7ELNS1_3repE0EEENS1_30default_config_static_selectorELNS0_4arch9wavefront6targetE1EEEvT1_: ; @_ZN7rocprim17ROCPRIM_400000_NS6detail17trampoline_kernelINS0_14default_configENS1_25partition_config_selectorILNS1_17partition_subalgoE2EjNS0_10empty_typeEbEEZZNS1_14partition_implILS5_2ELb0ES3_jN6thrust23THRUST_200600_302600_NS6detail15normal_iteratorINSA_7pointerIjNSA_11hip_rocprim3tagENSA_11use_defaultESG_EEEEPS6_NSA_18transform_iteratorI7is_evenIjENSC_INSA_10device_ptrIjEEEESG_SG_EENS0_5tupleIJPjSJ_EEENSR_IJSJ_SJ_EEES6_PlJS6_EEE10hipError_tPvRmT3_T4_T5_T6_T7_T9_mT8_P12ihipStream_tbDpT10_ENKUlT_T0_E_clISt17integral_constantIbLb0EES1E_IbLb1EEEEDaS1A_S1B_EUlS1A_E_NS1_11comp_targetILNS1_3genE3ELNS1_11target_archE908ELNS1_3gpuE7ELNS1_3repE0EEENS1_30default_config_static_selectorELNS0_4arch9wavefront6targetE1EEEvT1_
; %bb.0:
	.section	.rodata,"a",@progbits
	.p2align	6, 0x0
	.amdhsa_kernel _ZN7rocprim17ROCPRIM_400000_NS6detail17trampoline_kernelINS0_14default_configENS1_25partition_config_selectorILNS1_17partition_subalgoE2EjNS0_10empty_typeEbEEZZNS1_14partition_implILS5_2ELb0ES3_jN6thrust23THRUST_200600_302600_NS6detail15normal_iteratorINSA_7pointerIjNSA_11hip_rocprim3tagENSA_11use_defaultESG_EEEEPS6_NSA_18transform_iteratorI7is_evenIjENSC_INSA_10device_ptrIjEEEESG_SG_EENS0_5tupleIJPjSJ_EEENSR_IJSJ_SJ_EEES6_PlJS6_EEE10hipError_tPvRmT3_T4_T5_T6_T7_T9_mT8_P12ihipStream_tbDpT10_ENKUlT_T0_E_clISt17integral_constantIbLb0EES1E_IbLb1EEEEDaS1A_S1B_EUlS1A_E_NS1_11comp_targetILNS1_3genE3ELNS1_11target_archE908ELNS1_3gpuE7ELNS1_3repE0EEENS1_30default_config_static_selectorELNS0_4arch9wavefront6targetE1EEEvT1_
		.amdhsa_group_segment_fixed_size 0
		.amdhsa_private_segment_fixed_size 0
		.amdhsa_kernarg_size 144
		.amdhsa_user_sgpr_count 6
		.amdhsa_user_sgpr_private_segment_buffer 1
		.amdhsa_user_sgpr_dispatch_ptr 0
		.amdhsa_user_sgpr_queue_ptr 0
		.amdhsa_user_sgpr_kernarg_segment_ptr 1
		.amdhsa_user_sgpr_dispatch_id 0
		.amdhsa_user_sgpr_flat_scratch_init 0
		.amdhsa_user_sgpr_kernarg_preload_length 0
		.amdhsa_user_sgpr_kernarg_preload_offset 0
		.amdhsa_user_sgpr_private_segment_size 0
		.amdhsa_uses_dynamic_stack 0
		.amdhsa_system_sgpr_private_segment_wavefront_offset 0
		.amdhsa_system_sgpr_workgroup_id_x 1
		.amdhsa_system_sgpr_workgroup_id_y 0
		.amdhsa_system_sgpr_workgroup_id_z 0
		.amdhsa_system_sgpr_workgroup_info 0
		.amdhsa_system_vgpr_workitem_id 0
		.amdhsa_next_free_vgpr 1
		.amdhsa_next_free_sgpr 0
		.amdhsa_accum_offset 4
		.amdhsa_reserve_vcc 0
		.amdhsa_reserve_flat_scratch 0
		.amdhsa_float_round_mode_32 0
		.amdhsa_float_round_mode_16_64 0
		.amdhsa_float_denorm_mode_32 3
		.amdhsa_float_denorm_mode_16_64 3
		.amdhsa_dx10_clamp 1
		.amdhsa_ieee_mode 1
		.amdhsa_fp16_overflow 0
		.amdhsa_tg_split 0
		.amdhsa_exception_fp_ieee_invalid_op 0
		.amdhsa_exception_fp_denorm_src 0
		.amdhsa_exception_fp_ieee_div_zero 0
		.amdhsa_exception_fp_ieee_overflow 0
		.amdhsa_exception_fp_ieee_underflow 0
		.amdhsa_exception_fp_ieee_inexact 0
		.amdhsa_exception_int_div_zero 0
	.end_amdhsa_kernel
	.section	.text._ZN7rocprim17ROCPRIM_400000_NS6detail17trampoline_kernelINS0_14default_configENS1_25partition_config_selectorILNS1_17partition_subalgoE2EjNS0_10empty_typeEbEEZZNS1_14partition_implILS5_2ELb0ES3_jN6thrust23THRUST_200600_302600_NS6detail15normal_iteratorINSA_7pointerIjNSA_11hip_rocprim3tagENSA_11use_defaultESG_EEEEPS6_NSA_18transform_iteratorI7is_evenIjENSC_INSA_10device_ptrIjEEEESG_SG_EENS0_5tupleIJPjSJ_EEENSR_IJSJ_SJ_EEES6_PlJS6_EEE10hipError_tPvRmT3_T4_T5_T6_T7_T9_mT8_P12ihipStream_tbDpT10_ENKUlT_T0_E_clISt17integral_constantIbLb0EES1E_IbLb1EEEEDaS1A_S1B_EUlS1A_E_NS1_11comp_targetILNS1_3genE3ELNS1_11target_archE908ELNS1_3gpuE7ELNS1_3repE0EEENS1_30default_config_static_selectorELNS0_4arch9wavefront6targetE1EEEvT1_,"axG",@progbits,_ZN7rocprim17ROCPRIM_400000_NS6detail17trampoline_kernelINS0_14default_configENS1_25partition_config_selectorILNS1_17partition_subalgoE2EjNS0_10empty_typeEbEEZZNS1_14partition_implILS5_2ELb0ES3_jN6thrust23THRUST_200600_302600_NS6detail15normal_iteratorINSA_7pointerIjNSA_11hip_rocprim3tagENSA_11use_defaultESG_EEEEPS6_NSA_18transform_iteratorI7is_evenIjENSC_INSA_10device_ptrIjEEEESG_SG_EENS0_5tupleIJPjSJ_EEENSR_IJSJ_SJ_EEES6_PlJS6_EEE10hipError_tPvRmT3_T4_T5_T6_T7_T9_mT8_P12ihipStream_tbDpT10_ENKUlT_T0_E_clISt17integral_constantIbLb0EES1E_IbLb1EEEEDaS1A_S1B_EUlS1A_E_NS1_11comp_targetILNS1_3genE3ELNS1_11target_archE908ELNS1_3gpuE7ELNS1_3repE0EEENS1_30default_config_static_selectorELNS0_4arch9wavefront6targetE1EEEvT1_,comdat
.Lfunc_end2064:
	.size	_ZN7rocprim17ROCPRIM_400000_NS6detail17trampoline_kernelINS0_14default_configENS1_25partition_config_selectorILNS1_17partition_subalgoE2EjNS0_10empty_typeEbEEZZNS1_14partition_implILS5_2ELb0ES3_jN6thrust23THRUST_200600_302600_NS6detail15normal_iteratorINSA_7pointerIjNSA_11hip_rocprim3tagENSA_11use_defaultESG_EEEEPS6_NSA_18transform_iteratorI7is_evenIjENSC_INSA_10device_ptrIjEEEESG_SG_EENS0_5tupleIJPjSJ_EEENSR_IJSJ_SJ_EEES6_PlJS6_EEE10hipError_tPvRmT3_T4_T5_T6_T7_T9_mT8_P12ihipStream_tbDpT10_ENKUlT_T0_E_clISt17integral_constantIbLb0EES1E_IbLb1EEEEDaS1A_S1B_EUlS1A_E_NS1_11comp_targetILNS1_3genE3ELNS1_11target_archE908ELNS1_3gpuE7ELNS1_3repE0EEENS1_30default_config_static_selectorELNS0_4arch9wavefront6targetE1EEEvT1_, .Lfunc_end2064-_ZN7rocprim17ROCPRIM_400000_NS6detail17trampoline_kernelINS0_14default_configENS1_25partition_config_selectorILNS1_17partition_subalgoE2EjNS0_10empty_typeEbEEZZNS1_14partition_implILS5_2ELb0ES3_jN6thrust23THRUST_200600_302600_NS6detail15normal_iteratorINSA_7pointerIjNSA_11hip_rocprim3tagENSA_11use_defaultESG_EEEEPS6_NSA_18transform_iteratorI7is_evenIjENSC_INSA_10device_ptrIjEEEESG_SG_EENS0_5tupleIJPjSJ_EEENSR_IJSJ_SJ_EEES6_PlJS6_EEE10hipError_tPvRmT3_T4_T5_T6_T7_T9_mT8_P12ihipStream_tbDpT10_ENKUlT_T0_E_clISt17integral_constantIbLb0EES1E_IbLb1EEEEDaS1A_S1B_EUlS1A_E_NS1_11comp_targetILNS1_3genE3ELNS1_11target_archE908ELNS1_3gpuE7ELNS1_3repE0EEENS1_30default_config_static_selectorELNS0_4arch9wavefront6targetE1EEEvT1_
                                        ; -- End function
	.section	.AMDGPU.csdata,"",@progbits
; Kernel info:
; codeLenInByte = 0
; NumSgprs: 4
; NumVgprs: 0
; NumAgprs: 0
; TotalNumVgprs: 0
; ScratchSize: 0
; MemoryBound: 0
; FloatMode: 240
; IeeeMode: 1
; LDSByteSize: 0 bytes/workgroup (compile time only)
; SGPRBlocks: 0
; VGPRBlocks: 0
; NumSGPRsForWavesPerEU: 4
; NumVGPRsForWavesPerEU: 1
; AccumOffset: 4
; Occupancy: 8
; WaveLimiterHint : 0
; COMPUTE_PGM_RSRC2:SCRATCH_EN: 0
; COMPUTE_PGM_RSRC2:USER_SGPR: 6
; COMPUTE_PGM_RSRC2:TRAP_HANDLER: 0
; COMPUTE_PGM_RSRC2:TGID_X_EN: 1
; COMPUTE_PGM_RSRC2:TGID_Y_EN: 0
; COMPUTE_PGM_RSRC2:TGID_Z_EN: 0
; COMPUTE_PGM_RSRC2:TIDIG_COMP_CNT: 0
; COMPUTE_PGM_RSRC3_GFX90A:ACCUM_OFFSET: 0
; COMPUTE_PGM_RSRC3_GFX90A:TG_SPLIT: 0
	.section	.text._ZN7rocprim17ROCPRIM_400000_NS6detail17trampoline_kernelINS0_14default_configENS1_25partition_config_selectorILNS1_17partition_subalgoE2EjNS0_10empty_typeEbEEZZNS1_14partition_implILS5_2ELb0ES3_jN6thrust23THRUST_200600_302600_NS6detail15normal_iteratorINSA_7pointerIjNSA_11hip_rocprim3tagENSA_11use_defaultESG_EEEEPS6_NSA_18transform_iteratorI7is_evenIjENSC_INSA_10device_ptrIjEEEESG_SG_EENS0_5tupleIJPjSJ_EEENSR_IJSJ_SJ_EEES6_PlJS6_EEE10hipError_tPvRmT3_T4_T5_T6_T7_T9_mT8_P12ihipStream_tbDpT10_ENKUlT_T0_E_clISt17integral_constantIbLb0EES1E_IbLb1EEEEDaS1A_S1B_EUlS1A_E_NS1_11comp_targetILNS1_3genE2ELNS1_11target_archE906ELNS1_3gpuE6ELNS1_3repE0EEENS1_30default_config_static_selectorELNS0_4arch9wavefront6targetE1EEEvT1_,"axG",@progbits,_ZN7rocprim17ROCPRIM_400000_NS6detail17trampoline_kernelINS0_14default_configENS1_25partition_config_selectorILNS1_17partition_subalgoE2EjNS0_10empty_typeEbEEZZNS1_14partition_implILS5_2ELb0ES3_jN6thrust23THRUST_200600_302600_NS6detail15normal_iteratorINSA_7pointerIjNSA_11hip_rocprim3tagENSA_11use_defaultESG_EEEEPS6_NSA_18transform_iteratorI7is_evenIjENSC_INSA_10device_ptrIjEEEESG_SG_EENS0_5tupleIJPjSJ_EEENSR_IJSJ_SJ_EEES6_PlJS6_EEE10hipError_tPvRmT3_T4_T5_T6_T7_T9_mT8_P12ihipStream_tbDpT10_ENKUlT_T0_E_clISt17integral_constantIbLb0EES1E_IbLb1EEEEDaS1A_S1B_EUlS1A_E_NS1_11comp_targetILNS1_3genE2ELNS1_11target_archE906ELNS1_3gpuE6ELNS1_3repE0EEENS1_30default_config_static_selectorELNS0_4arch9wavefront6targetE1EEEvT1_,comdat
	.protected	_ZN7rocprim17ROCPRIM_400000_NS6detail17trampoline_kernelINS0_14default_configENS1_25partition_config_selectorILNS1_17partition_subalgoE2EjNS0_10empty_typeEbEEZZNS1_14partition_implILS5_2ELb0ES3_jN6thrust23THRUST_200600_302600_NS6detail15normal_iteratorINSA_7pointerIjNSA_11hip_rocprim3tagENSA_11use_defaultESG_EEEEPS6_NSA_18transform_iteratorI7is_evenIjENSC_INSA_10device_ptrIjEEEESG_SG_EENS0_5tupleIJPjSJ_EEENSR_IJSJ_SJ_EEES6_PlJS6_EEE10hipError_tPvRmT3_T4_T5_T6_T7_T9_mT8_P12ihipStream_tbDpT10_ENKUlT_T0_E_clISt17integral_constantIbLb0EES1E_IbLb1EEEEDaS1A_S1B_EUlS1A_E_NS1_11comp_targetILNS1_3genE2ELNS1_11target_archE906ELNS1_3gpuE6ELNS1_3repE0EEENS1_30default_config_static_selectorELNS0_4arch9wavefront6targetE1EEEvT1_ ; -- Begin function _ZN7rocprim17ROCPRIM_400000_NS6detail17trampoline_kernelINS0_14default_configENS1_25partition_config_selectorILNS1_17partition_subalgoE2EjNS0_10empty_typeEbEEZZNS1_14partition_implILS5_2ELb0ES3_jN6thrust23THRUST_200600_302600_NS6detail15normal_iteratorINSA_7pointerIjNSA_11hip_rocprim3tagENSA_11use_defaultESG_EEEEPS6_NSA_18transform_iteratorI7is_evenIjENSC_INSA_10device_ptrIjEEEESG_SG_EENS0_5tupleIJPjSJ_EEENSR_IJSJ_SJ_EEES6_PlJS6_EEE10hipError_tPvRmT3_T4_T5_T6_T7_T9_mT8_P12ihipStream_tbDpT10_ENKUlT_T0_E_clISt17integral_constantIbLb0EES1E_IbLb1EEEEDaS1A_S1B_EUlS1A_E_NS1_11comp_targetILNS1_3genE2ELNS1_11target_archE906ELNS1_3gpuE6ELNS1_3repE0EEENS1_30default_config_static_selectorELNS0_4arch9wavefront6targetE1EEEvT1_
	.globl	_ZN7rocprim17ROCPRIM_400000_NS6detail17trampoline_kernelINS0_14default_configENS1_25partition_config_selectorILNS1_17partition_subalgoE2EjNS0_10empty_typeEbEEZZNS1_14partition_implILS5_2ELb0ES3_jN6thrust23THRUST_200600_302600_NS6detail15normal_iteratorINSA_7pointerIjNSA_11hip_rocprim3tagENSA_11use_defaultESG_EEEEPS6_NSA_18transform_iteratorI7is_evenIjENSC_INSA_10device_ptrIjEEEESG_SG_EENS0_5tupleIJPjSJ_EEENSR_IJSJ_SJ_EEES6_PlJS6_EEE10hipError_tPvRmT3_T4_T5_T6_T7_T9_mT8_P12ihipStream_tbDpT10_ENKUlT_T0_E_clISt17integral_constantIbLb0EES1E_IbLb1EEEEDaS1A_S1B_EUlS1A_E_NS1_11comp_targetILNS1_3genE2ELNS1_11target_archE906ELNS1_3gpuE6ELNS1_3repE0EEENS1_30default_config_static_selectorELNS0_4arch9wavefront6targetE1EEEvT1_
	.p2align	8
	.type	_ZN7rocprim17ROCPRIM_400000_NS6detail17trampoline_kernelINS0_14default_configENS1_25partition_config_selectorILNS1_17partition_subalgoE2EjNS0_10empty_typeEbEEZZNS1_14partition_implILS5_2ELb0ES3_jN6thrust23THRUST_200600_302600_NS6detail15normal_iteratorINSA_7pointerIjNSA_11hip_rocprim3tagENSA_11use_defaultESG_EEEEPS6_NSA_18transform_iteratorI7is_evenIjENSC_INSA_10device_ptrIjEEEESG_SG_EENS0_5tupleIJPjSJ_EEENSR_IJSJ_SJ_EEES6_PlJS6_EEE10hipError_tPvRmT3_T4_T5_T6_T7_T9_mT8_P12ihipStream_tbDpT10_ENKUlT_T0_E_clISt17integral_constantIbLb0EES1E_IbLb1EEEEDaS1A_S1B_EUlS1A_E_NS1_11comp_targetILNS1_3genE2ELNS1_11target_archE906ELNS1_3gpuE6ELNS1_3repE0EEENS1_30default_config_static_selectorELNS0_4arch9wavefront6targetE1EEEvT1_,@function
_ZN7rocprim17ROCPRIM_400000_NS6detail17trampoline_kernelINS0_14default_configENS1_25partition_config_selectorILNS1_17partition_subalgoE2EjNS0_10empty_typeEbEEZZNS1_14partition_implILS5_2ELb0ES3_jN6thrust23THRUST_200600_302600_NS6detail15normal_iteratorINSA_7pointerIjNSA_11hip_rocprim3tagENSA_11use_defaultESG_EEEEPS6_NSA_18transform_iteratorI7is_evenIjENSC_INSA_10device_ptrIjEEEESG_SG_EENS0_5tupleIJPjSJ_EEENSR_IJSJ_SJ_EEES6_PlJS6_EEE10hipError_tPvRmT3_T4_T5_T6_T7_T9_mT8_P12ihipStream_tbDpT10_ENKUlT_T0_E_clISt17integral_constantIbLb0EES1E_IbLb1EEEEDaS1A_S1B_EUlS1A_E_NS1_11comp_targetILNS1_3genE2ELNS1_11target_archE906ELNS1_3gpuE6ELNS1_3repE0EEENS1_30default_config_static_selectorELNS0_4arch9wavefront6targetE1EEEvT1_: ; @_ZN7rocprim17ROCPRIM_400000_NS6detail17trampoline_kernelINS0_14default_configENS1_25partition_config_selectorILNS1_17partition_subalgoE2EjNS0_10empty_typeEbEEZZNS1_14partition_implILS5_2ELb0ES3_jN6thrust23THRUST_200600_302600_NS6detail15normal_iteratorINSA_7pointerIjNSA_11hip_rocprim3tagENSA_11use_defaultESG_EEEEPS6_NSA_18transform_iteratorI7is_evenIjENSC_INSA_10device_ptrIjEEEESG_SG_EENS0_5tupleIJPjSJ_EEENSR_IJSJ_SJ_EEES6_PlJS6_EEE10hipError_tPvRmT3_T4_T5_T6_T7_T9_mT8_P12ihipStream_tbDpT10_ENKUlT_T0_E_clISt17integral_constantIbLb0EES1E_IbLb1EEEEDaS1A_S1B_EUlS1A_E_NS1_11comp_targetILNS1_3genE2ELNS1_11target_archE906ELNS1_3gpuE6ELNS1_3repE0EEENS1_30default_config_static_selectorELNS0_4arch9wavefront6targetE1EEEvT1_
; %bb.0:
	.section	.rodata,"a",@progbits
	.p2align	6, 0x0
	.amdhsa_kernel _ZN7rocprim17ROCPRIM_400000_NS6detail17trampoline_kernelINS0_14default_configENS1_25partition_config_selectorILNS1_17partition_subalgoE2EjNS0_10empty_typeEbEEZZNS1_14partition_implILS5_2ELb0ES3_jN6thrust23THRUST_200600_302600_NS6detail15normal_iteratorINSA_7pointerIjNSA_11hip_rocprim3tagENSA_11use_defaultESG_EEEEPS6_NSA_18transform_iteratorI7is_evenIjENSC_INSA_10device_ptrIjEEEESG_SG_EENS0_5tupleIJPjSJ_EEENSR_IJSJ_SJ_EEES6_PlJS6_EEE10hipError_tPvRmT3_T4_T5_T6_T7_T9_mT8_P12ihipStream_tbDpT10_ENKUlT_T0_E_clISt17integral_constantIbLb0EES1E_IbLb1EEEEDaS1A_S1B_EUlS1A_E_NS1_11comp_targetILNS1_3genE2ELNS1_11target_archE906ELNS1_3gpuE6ELNS1_3repE0EEENS1_30default_config_static_selectorELNS0_4arch9wavefront6targetE1EEEvT1_
		.amdhsa_group_segment_fixed_size 0
		.amdhsa_private_segment_fixed_size 0
		.amdhsa_kernarg_size 144
		.amdhsa_user_sgpr_count 6
		.amdhsa_user_sgpr_private_segment_buffer 1
		.amdhsa_user_sgpr_dispatch_ptr 0
		.amdhsa_user_sgpr_queue_ptr 0
		.amdhsa_user_sgpr_kernarg_segment_ptr 1
		.amdhsa_user_sgpr_dispatch_id 0
		.amdhsa_user_sgpr_flat_scratch_init 0
		.amdhsa_user_sgpr_kernarg_preload_length 0
		.amdhsa_user_sgpr_kernarg_preload_offset 0
		.amdhsa_user_sgpr_private_segment_size 0
		.amdhsa_uses_dynamic_stack 0
		.amdhsa_system_sgpr_private_segment_wavefront_offset 0
		.amdhsa_system_sgpr_workgroup_id_x 1
		.amdhsa_system_sgpr_workgroup_id_y 0
		.amdhsa_system_sgpr_workgroup_id_z 0
		.amdhsa_system_sgpr_workgroup_info 0
		.amdhsa_system_vgpr_workitem_id 0
		.amdhsa_next_free_vgpr 1
		.amdhsa_next_free_sgpr 0
		.amdhsa_accum_offset 4
		.amdhsa_reserve_vcc 0
		.amdhsa_reserve_flat_scratch 0
		.amdhsa_float_round_mode_32 0
		.amdhsa_float_round_mode_16_64 0
		.amdhsa_float_denorm_mode_32 3
		.amdhsa_float_denorm_mode_16_64 3
		.amdhsa_dx10_clamp 1
		.amdhsa_ieee_mode 1
		.amdhsa_fp16_overflow 0
		.amdhsa_tg_split 0
		.amdhsa_exception_fp_ieee_invalid_op 0
		.amdhsa_exception_fp_denorm_src 0
		.amdhsa_exception_fp_ieee_div_zero 0
		.amdhsa_exception_fp_ieee_overflow 0
		.amdhsa_exception_fp_ieee_underflow 0
		.amdhsa_exception_fp_ieee_inexact 0
		.amdhsa_exception_int_div_zero 0
	.end_amdhsa_kernel
	.section	.text._ZN7rocprim17ROCPRIM_400000_NS6detail17trampoline_kernelINS0_14default_configENS1_25partition_config_selectorILNS1_17partition_subalgoE2EjNS0_10empty_typeEbEEZZNS1_14partition_implILS5_2ELb0ES3_jN6thrust23THRUST_200600_302600_NS6detail15normal_iteratorINSA_7pointerIjNSA_11hip_rocprim3tagENSA_11use_defaultESG_EEEEPS6_NSA_18transform_iteratorI7is_evenIjENSC_INSA_10device_ptrIjEEEESG_SG_EENS0_5tupleIJPjSJ_EEENSR_IJSJ_SJ_EEES6_PlJS6_EEE10hipError_tPvRmT3_T4_T5_T6_T7_T9_mT8_P12ihipStream_tbDpT10_ENKUlT_T0_E_clISt17integral_constantIbLb0EES1E_IbLb1EEEEDaS1A_S1B_EUlS1A_E_NS1_11comp_targetILNS1_3genE2ELNS1_11target_archE906ELNS1_3gpuE6ELNS1_3repE0EEENS1_30default_config_static_selectorELNS0_4arch9wavefront6targetE1EEEvT1_,"axG",@progbits,_ZN7rocprim17ROCPRIM_400000_NS6detail17trampoline_kernelINS0_14default_configENS1_25partition_config_selectorILNS1_17partition_subalgoE2EjNS0_10empty_typeEbEEZZNS1_14partition_implILS5_2ELb0ES3_jN6thrust23THRUST_200600_302600_NS6detail15normal_iteratorINSA_7pointerIjNSA_11hip_rocprim3tagENSA_11use_defaultESG_EEEEPS6_NSA_18transform_iteratorI7is_evenIjENSC_INSA_10device_ptrIjEEEESG_SG_EENS0_5tupleIJPjSJ_EEENSR_IJSJ_SJ_EEES6_PlJS6_EEE10hipError_tPvRmT3_T4_T5_T6_T7_T9_mT8_P12ihipStream_tbDpT10_ENKUlT_T0_E_clISt17integral_constantIbLb0EES1E_IbLb1EEEEDaS1A_S1B_EUlS1A_E_NS1_11comp_targetILNS1_3genE2ELNS1_11target_archE906ELNS1_3gpuE6ELNS1_3repE0EEENS1_30default_config_static_selectorELNS0_4arch9wavefront6targetE1EEEvT1_,comdat
.Lfunc_end2065:
	.size	_ZN7rocprim17ROCPRIM_400000_NS6detail17trampoline_kernelINS0_14default_configENS1_25partition_config_selectorILNS1_17partition_subalgoE2EjNS0_10empty_typeEbEEZZNS1_14partition_implILS5_2ELb0ES3_jN6thrust23THRUST_200600_302600_NS6detail15normal_iteratorINSA_7pointerIjNSA_11hip_rocprim3tagENSA_11use_defaultESG_EEEEPS6_NSA_18transform_iteratorI7is_evenIjENSC_INSA_10device_ptrIjEEEESG_SG_EENS0_5tupleIJPjSJ_EEENSR_IJSJ_SJ_EEES6_PlJS6_EEE10hipError_tPvRmT3_T4_T5_T6_T7_T9_mT8_P12ihipStream_tbDpT10_ENKUlT_T0_E_clISt17integral_constantIbLb0EES1E_IbLb1EEEEDaS1A_S1B_EUlS1A_E_NS1_11comp_targetILNS1_3genE2ELNS1_11target_archE906ELNS1_3gpuE6ELNS1_3repE0EEENS1_30default_config_static_selectorELNS0_4arch9wavefront6targetE1EEEvT1_, .Lfunc_end2065-_ZN7rocprim17ROCPRIM_400000_NS6detail17trampoline_kernelINS0_14default_configENS1_25partition_config_selectorILNS1_17partition_subalgoE2EjNS0_10empty_typeEbEEZZNS1_14partition_implILS5_2ELb0ES3_jN6thrust23THRUST_200600_302600_NS6detail15normal_iteratorINSA_7pointerIjNSA_11hip_rocprim3tagENSA_11use_defaultESG_EEEEPS6_NSA_18transform_iteratorI7is_evenIjENSC_INSA_10device_ptrIjEEEESG_SG_EENS0_5tupleIJPjSJ_EEENSR_IJSJ_SJ_EEES6_PlJS6_EEE10hipError_tPvRmT3_T4_T5_T6_T7_T9_mT8_P12ihipStream_tbDpT10_ENKUlT_T0_E_clISt17integral_constantIbLb0EES1E_IbLb1EEEEDaS1A_S1B_EUlS1A_E_NS1_11comp_targetILNS1_3genE2ELNS1_11target_archE906ELNS1_3gpuE6ELNS1_3repE0EEENS1_30default_config_static_selectorELNS0_4arch9wavefront6targetE1EEEvT1_
                                        ; -- End function
	.section	.AMDGPU.csdata,"",@progbits
; Kernel info:
; codeLenInByte = 0
; NumSgprs: 4
; NumVgprs: 0
; NumAgprs: 0
; TotalNumVgprs: 0
; ScratchSize: 0
; MemoryBound: 0
; FloatMode: 240
; IeeeMode: 1
; LDSByteSize: 0 bytes/workgroup (compile time only)
; SGPRBlocks: 0
; VGPRBlocks: 0
; NumSGPRsForWavesPerEU: 4
; NumVGPRsForWavesPerEU: 1
; AccumOffset: 4
; Occupancy: 8
; WaveLimiterHint : 0
; COMPUTE_PGM_RSRC2:SCRATCH_EN: 0
; COMPUTE_PGM_RSRC2:USER_SGPR: 6
; COMPUTE_PGM_RSRC2:TRAP_HANDLER: 0
; COMPUTE_PGM_RSRC2:TGID_X_EN: 1
; COMPUTE_PGM_RSRC2:TGID_Y_EN: 0
; COMPUTE_PGM_RSRC2:TGID_Z_EN: 0
; COMPUTE_PGM_RSRC2:TIDIG_COMP_CNT: 0
; COMPUTE_PGM_RSRC3_GFX90A:ACCUM_OFFSET: 0
; COMPUTE_PGM_RSRC3_GFX90A:TG_SPLIT: 0
	.section	.text._ZN7rocprim17ROCPRIM_400000_NS6detail17trampoline_kernelINS0_14default_configENS1_25partition_config_selectorILNS1_17partition_subalgoE2EjNS0_10empty_typeEbEEZZNS1_14partition_implILS5_2ELb0ES3_jN6thrust23THRUST_200600_302600_NS6detail15normal_iteratorINSA_7pointerIjNSA_11hip_rocprim3tagENSA_11use_defaultESG_EEEEPS6_NSA_18transform_iteratorI7is_evenIjENSC_INSA_10device_ptrIjEEEESG_SG_EENS0_5tupleIJPjSJ_EEENSR_IJSJ_SJ_EEES6_PlJS6_EEE10hipError_tPvRmT3_T4_T5_T6_T7_T9_mT8_P12ihipStream_tbDpT10_ENKUlT_T0_E_clISt17integral_constantIbLb0EES1E_IbLb1EEEEDaS1A_S1B_EUlS1A_E_NS1_11comp_targetILNS1_3genE10ELNS1_11target_archE1200ELNS1_3gpuE4ELNS1_3repE0EEENS1_30default_config_static_selectorELNS0_4arch9wavefront6targetE1EEEvT1_,"axG",@progbits,_ZN7rocprim17ROCPRIM_400000_NS6detail17trampoline_kernelINS0_14default_configENS1_25partition_config_selectorILNS1_17partition_subalgoE2EjNS0_10empty_typeEbEEZZNS1_14partition_implILS5_2ELb0ES3_jN6thrust23THRUST_200600_302600_NS6detail15normal_iteratorINSA_7pointerIjNSA_11hip_rocprim3tagENSA_11use_defaultESG_EEEEPS6_NSA_18transform_iteratorI7is_evenIjENSC_INSA_10device_ptrIjEEEESG_SG_EENS0_5tupleIJPjSJ_EEENSR_IJSJ_SJ_EEES6_PlJS6_EEE10hipError_tPvRmT3_T4_T5_T6_T7_T9_mT8_P12ihipStream_tbDpT10_ENKUlT_T0_E_clISt17integral_constantIbLb0EES1E_IbLb1EEEEDaS1A_S1B_EUlS1A_E_NS1_11comp_targetILNS1_3genE10ELNS1_11target_archE1200ELNS1_3gpuE4ELNS1_3repE0EEENS1_30default_config_static_selectorELNS0_4arch9wavefront6targetE1EEEvT1_,comdat
	.protected	_ZN7rocprim17ROCPRIM_400000_NS6detail17trampoline_kernelINS0_14default_configENS1_25partition_config_selectorILNS1_17partition_subalgoE2EjNS0_10empty_typeEbEEZZNS1_14partition_implILS5_2ELb0ES3_jN6thrust23THRUST_200600_302600_NS6detail15normal_iteratorINSA_7pointerIjNSA_11hip_rocprim3tagENSA_11use_defaultESG_EEEEPS6_NSA_18transform_iteratorI7is_evenIjENSC_INSA_10device_ptrIjEEEESG_SG_EENS0_5tupleIJPjSJ_EEENSR_IJSJ_SJ_EEES6_PlJS6_EEE10hipError_tPvRmT3_T4_T5_T6_T7_T9_mT8_P12ihipStream_tbDpT10_ENKUlT_T0_E_clISt17integral_constantIbLb0EES1E_IbLb1EEEEDaS1A_S1B_EUlS1A_E_NS1_11comp_targetILNS1_3genE10ELNS1_11target_archE1200ELNS1_3gpuE4ELNS1_3repE0EEENS1_30default_config_static_selectorELNS0_4arch9wavefront6targetE1EEEvT1_ ; -- Begin function _ZN7rocprim17ROCPRIM_400000_NS6detail17trampoline_kernelINS0_14default_configENS1_25partition_config_selectorILNS1_17partition_subalgoE2EjNS0_10empty_typeEbEEZZNS1_14partition_implILS5_2ELb0ES3_jN6thrust23THRUST_200600_302600_NS6detail15normal_iteratorINSA_7pointerIjNSA_11hip_rocprim3tagENSA_11use_defaultESG_EEEEPS6_NSA_18transform_iteratorI7is_evenIjENSC_INSA_10device_ptrIjEEEESG_SG_EENS0_5tupleIJPjSJ_EEENSR_IJSJ_SJ_EEES6_PlJS6_EEE10hipError_tPvRmT3_T4_T5_T6_T7_T9_mT8_P12ihipStream_tbDpT10_ENKUlT_T0_E_clISt17integral_constantIbLb0EES1E_IbLb1EEEEDaS1A_S1B_EUlS1A_E_NS1_11comp_targetILNS1_3genE10ELNS1_11target_archE1200ELNS1_3gpuE4ELNS1_3repE0EEENS1_30default_config_static_selectorELNS0_4arch9wavefront6targetE1EEEvT1_
	.globl	_ZN7rocprim17ROCPRIM_400000_NS6detail17trampoline_kernelINS0_14default_configENS1_25partition_config_selectorILNS1_17partition_subalgoE2EjNS0_10empty_typeEbEEZZNS1_14partition_implILS5_2ELb0ES3_jN6thrust23THRUST_200600_302600_NS6detail15normal_iteratorINSA_7pointerIjNSA_11hip_rocprim3tagENSA_11use_defaultESG_EEEEPS6_NSA_18transform_iteratorI7is_evenIjENSC_INSA_10device_ptrIjEEEESG_SG_EENS0_5tupleIJPjSJ_EEENSR_IJSJ_SJ_EEES6_PlJS6_EEE10hipError_tPvRmT3_T4_T5_T6_T7_T9_mT8_P12ihipStream_tbDpT10_ENKUlT_T0_E_clISt17integral_constantIbLb0EES1E_IbLb1EEEEDaS1A_S1B_EUlS1A_E_NS1_11comp_targetILNS1_3genE10ELNS1_11target_archE1200ELNS1_3gpuE4ELNS1_3repE0EEENS1_30default_config_static_selectorELNS0_4arch9wavefront6targetE1EEEvT1_
	.p2align	8
	.type	_ZN7rocprim17ROCPRIM_400000_NS6detail17trampoline_kernelINS0_14default_configENS1_25partition_config_selectorILNS1_17partition_subalgoE2EjNS0_10empty_typeEbEEZZNS1_14partition_implILS5_2ELb0ES3_jN6thrust23THRUST_200600_302600_NS6detail15normal_iteratorINSA_7pointerIjNSA_11hip_rocprim3tagENSA_11use_defaultESG_EEEEPS6_NSA_18transform_iteratorI7is_evenIjENSC_INSA_10device_ptrIjEEEESG_SG_EENS0_5tupleIJPjSJ_EEENSR_IJSJ_SJ_EEES6_PlJS6_EEE10hipError_tPvRmT3_T4_T5_T6_T7_T9_mT8_P12ihipStream_tbDpT10_ENKUlT_T0_E_clISt17integral_constantIbLb0EES1E_IbLb1EEEEDaS1A_S1B_EUlS1A_E_NS1_11comp_targetILNS1_3genE10ELNS1_11target_archE1200ELNS1_3gpuE4ELNS1_3repE0EEENS1_30default_config_static_selectorELNS0_4arch9wavefront6targetE1EEEvT1_,@function
_ZN7rocprim17ROCPRIM_400000_NS6detail17trampoline_kernelINS0_14default_configENS1_25partition_config_selectorILNS1_17partition_subalgoE2EjNS0_10empty_typeEbEEZZNS1_14partition_implILS5_2ELb0ES3_jN6thrust23THRUST_200600_302600_NS6detail15normal_iteratorINSA_7pointerIjNSA_11hip_rocprim3tagENSA_11use_defaultESG_EEEEPS6_NSA_18transform_iteratorI7is_evenIjENSC_INSA_10device_ptrIjEEEESG_SG_EENS0_5tupleIJPjSJ_EEENSR_IJSJ_SJ_EEES6_PlJS6_EEE10hipError_tPvRmT3_T4_T5_T6_T7_T9_mT8_P12ihipStream_tbDpT10_ENKUlT_T0_E_clISt17integral_constantIbLb0EES1E_IbLb1EEEEDaS1A_S1B_EUlS1A_E_NS1_11comp_targetILNS1_3genE10ELNS1_11target_archE1200ELNS1_3gpuE4ELNS1_3repE0EEENS1_30default_config_static_selectorELNS0_4arch9wavefront6targetE1EEEvT1_: ; @_ZN7rocprim17ROCPRIM_400000_NS6detail17trampoline_kernelINS0_14default_configENS1_25partition_config_selectorILNS1_17partition_subalgoE2EjNS0_10empty_typeEbEEZZNS1_14partition_implILS5_2ELb0ES3_jN6thrust23THRUST_200600_302600_NS6detail15normal_iteratorINSA_7pointerIjNSA_11hip_rocprim3tagENSA_11use_defaultESG_EEEEPS6_NSA_18transform_iteratorI7is_evenIjENSC_INSA_10device_ptrIjEEEESG_SG_EENS0_5tupleIJPjSJ_EEENSR_IJSJ_SJ_EEES6_PlJS6_EEE10hipError_tPvRmT3_T4_T5_T6_T7_T9_mT8_P12ihipStream_tbDpT10_ENKUlT_T0_E_clISt17integral_constantIbLb0EES1E_IbLb1EEEEDaS1A_S1B_EUlS1A_E_NS1_11comp_targetILNS1_3genE10ELNS1_11target_archE1200ELNS1_3gpuE4ELNS1_3repE0EEENS1_30default_config_static_selectorELNS0_4arch9wavefront6targetE1EEEvT1_
; %bb.0:
	.section	.rodata,"a",@progbits
	.p2align	6, 0x0
	.amdhsa_kernel _ZN7rocprim17ROCPRIM_400000_NS6detail17trampoline_kernelINS0_14default_configENS1_25partition_config_selectorILNS1_17partition_subalgoE2EjNS0_10empty_typeEbEEZZNS1_14partition_implILS5_2ELb0ES3_jN6thrust23THRUST_200600_302600_NS6detail15normal_iteratorINSA_7pointerIjNSA_11hip_rocprim3tagENSA_11use_defaultESG_EEEEPS6_NSA_18transform_iteratorI7is_evenIjENSC_INSA_10device_ptrIjEEEESG_SG_EENS0_5tupleIJPjSJ_EEENSR_IJSJ_SJ_EEES6_PlJS6_EEE10hipError_tPvRmT3_T4_T5_T6_T7_T9_mT8_P12ihipStream_tbDpT10_ENKUlT_T0_E_clISt17integral_constantIbLb0EES1E_IbLb1EEEEDaS1A_S1B_EUlS1A_E_NS1_11comp_targetILNS1_3genE10ELNS1_11target_archE1200ELNS1_3gpuE4ELNS1_3repE0EEENS1_30default_config_static_selectorELNS0_4arch9wavefront6targetE1EEEvT1_
		.amdhsa_group_segment_fixed_size 0
		.amdhsa_private_segment_fixed_size 0
		.amdhsa_kernarg_size 144
		.amdhsa_user_sgpr_count 6
		.amdhsa_user_sgpr_private_segment_buffer 1
		.amdhsa_user_sgpr_dispatch_ptr 0
		.amdhsa_user_sgpr_queue_ptr 0
		.amdhsa_user_sgpr_kernarg_segment_ptr 1
		.amdhsa_user_sgpr_dispatch_id 0
		.amdhsa_user_sgpr_flat_scratch_init 0
		.amdhsa_user_sgpr_kernarg_preload_length 0
		.amdhsa_user_sgpr_kernarg_preload_offset 0
		.amdhsa_user_sgpr_private_segment_size 0
		.amdhsa_uses_dynamic_stack 0
		.amdhsa_system_sgpr_private_segment_wavefront_offset 0
		.amdhsa_system_sgpr_workgroup_id_x 1
		.amdhsa_system_sgpr_workgroup_id_y 0
		.amdhsa_system_sgpr_workgroup_id_z 0
		.amdhsa_system_sgpr_workgroup_info 0
		.amdhsa_system_vgpr_workitem_id 0
		.amdhsa_next_free_vgpr 1
		.amdhsa_next_free_sgpr 0
		.amdhsa_accum_offset 4
		.amdhsa_reserve_vcc 0
		.amdhsa_reserve_flat_scratch 0
		.amdhsa_float_round_mode_32 0
		.amdhsa_float_round_mode_16_64 0
		.amdhsa_float_denorm_mode_32 3
		.amdhsa_float_denorm_mode_16_64 3
		.amdhsa_dx10_clamp 1
		.amdhsa_ieee_mode 1
		.amdhsa_fp16_overflow 0
		.amdhsa_tg_split 0
		.amdhsa_exception_fp_ieee_invalid_op 0
		.amdhsa_exception_fp_denorm_src 0
		.amdhsa_exception_fp_ieee_div_zero 0
		.amdhsa_exception_fp_ieee_overflow 0
		.amdhsa_exception_fp_ieee_underflow 0
		.amdhsa_exception_fp_ieee_inexact 0
		.amdhsa_exception_int_div_zero 0
	.end_amdhsa_kernel
	.section	.text._ZN7rocprim17ROCPRIM_400000_NS6detail17trampoline_kernelINS0_14default_configENS1_25partition_config_selectorILNS1_17partition_subalgoE2EjNS0_10empty_typeEbEEZZNS1_14partition_implILS5_2ELb0ES3_jN6thrust23THRUST_200600_302600_NS6detail15normal_iteratorINSA_7pointerIjNSA_11hip_rocprim3tagENSA_11use_defaultESG_EEEEPS6_NSA_18transform_iteratorI7is_evenIjENSC_INSA_10device_ptrIjEEEESG_SG_EENS0_5tupleIJPjSJ_EEENSR_IJSJ_SJ_EEES6_PlJS6_EEE10hipError_tPvRmT3_T4_T5_T6_T7_T9_mT8_P12ihipStream_tbDpT10_ENKUlT_T0_E_clISt17integral_constantIbLb0EES1E_IbLb1EEEEDaS1A_S1B_EUlS1A_E_NS1_11comp_targetILNS1_3genE10ELNS1_11target_archE1200ELNS1_3gpuE4ELNS1_3repE0EEENS1_30default_config_static_selectorELNS0_4arch9wavefront6targetE1EEEvT1_,"axG",@progbits,_ZN7rocprim17ROCPRIM_400000_NS6detail17trampoline_kernelINS0_14default_configENS1_25partition_config_selectorILNS1_17partition_subalgoE2EjNS0_10empty_typeEbEEZZNS1_14partition_implILS5_2ELb0ES3_jN6thrust23THRUST_200600_302600_NS6detail15normal_iteratorINSA_7pointerIjNSA_11hip_rocprim3tagENSA_11use_defaultESG_EEEEPS6_NSA_18transform_iteratorI7is_evenIjENSC_INSA_10device_ptrIjEEEESG_SG_EENS0_5tupleIJPjSJ_EEENSR_IJSJ_SJ_EEES6_PlJS6_EEE10hipError_tPvRmT3_T4_T5_T6_T7_T9_mT8_P12ihipStream_tbDpT10_ENKUlT_T0_E_clISt17integral_constantIbLb0EES1E_IbLb1EEEEDaS1A_S1B_EUlS1A_E_NS1_11comp_targetILNS1_3genE10ELNS1_11target_archE1200ELNS1_3gpuE4ELNS1_3repE0EEENS1_30default_config_static_selectorELNS0_4arch9wavefront6targetE1EEEvT1_,comdat
.Lfunc_end2066:
	.size	_ZN7rocprim17ROCPRIM_400000_NS6detail17trampoline_kernelINS0_14default_configENS1_25partition_config_selectorILNS1_17partition_subalgoE2EjNS0_10empty_typeEbEEZZNS1_14partition_implILS5_2ELb0ES3_jN6thrust23THRUST_200600_302600_NS6detail15normal_iteratorINSA_7pointerIjNSA_11hip_rocprim3tagENSA_11use_defaultESG_EEEEPS6_NSA_18transform_iteratorI7is_evenIjENSC_INSA_10device_ptrIjEEEESG_SG_EENS0_5tupleIJPjSJ_EEENSR_IJSJ_SJ_EEES6_PlJS6_EEE10hipError_tPvRmT3_T4_T5_T6_T7_T9_mT8_P12ihipStream_tbDpT10_ENKUlT_T0_E_clISt17integral_constantIbLb0EES1E_IbLb1EEEEDaS1A_S1B_EUlS1A_E_NS1_11comp_targetILNS1_3genE10ELNS1_11target_archE1200ELNS1_3gpuE4ELNS1_3repE0EEENS1_30default_config_static_selectorELNS0_4arch9wavefront6targetE1EEEvT1_, .Lfunc_end2066-_ZN7rocprim17ROCPRIM_400000_NS6detail17trampoline_kernelINS0_14default_configENS1_25partition_config_selectorILNS1_17partition_subalgoE2EjNS0_10empty_typeEbEEZZNS1_14partition_implILS5_2ELb0ES3_jN6thrust23THRUST_200600_302600_NS6detail15normal_iteratorINSA_7pointerIjNSA_11hip_rocprim3tagENSA_11use_defaultESG_EEEEPS6_NSA_18transform_iteratorI7is_evenIjENSC_INSA_10device_ptrIjEEEESG_SG_EENS0_5tupleIJPjSJ_EEENSR_IJSJ_SJ_EEES6_PlJS6_EEE10hipError_tPvRmT3_T4_T5_T6_T7_T9_mT8_P12ihipStream_tbDpT10_ENKUlT_T0_E_clISt17integral_constantIbLb0EES1E_IbLb1EEEEDaS1A_S1B_EUlS1A_E_NS1_11comp_targetILNS1_3genE10ELNS1_11target_archE1200ELNS1_3gpuE4ELNS1_3repE0EEENS1_30default_config_static_selectorELNS0_4arch9wavefront6targetE1EEEvT1_
                                        ; -- End function
	.section	.AMDGPU.csdata,"",@progbits
; Kernel info:
; codeLenInByte = 0
; NumSgprs: 4
; NumVgprs: 0
; NumAgprs: 0
; TotalNumVgprs: 0
; ScratchSize: 0
; MemoryBound: 0
; FloatMode: 240
; IeeeMode: 1
; LDSByteSize: 0 bytes/workgroup (compile time only)
; SGPRBlocks: 0
; VGPRBlocks: 0
; NumSGPRsForWavesPerEU: 4
; NumVGPRsForWavesPerEU: 1
; AccumOffset: 4
; Occupancy: 8
; WaveLimiterHint : 0
; COMPUTE_PGM_RSRC2:SCRATCH_EN: 0
; COMPUTE_PGM_RSRC2:USER_SGPR: 6
; COMPUTE_PGM_RSRC2:TRAP_HANDLER: 0
; COMPUTE_PGM_RSRC2:TGID_X_EN: 1
; COMPUTE_PGM_RSRC2:TGID_Y_EN: 0
; COMPUTE_PGM_RSRC2:TGID_Z_EN: 0
; COMPUTE_PGM_RSRC2:TIDIG_COMP_CNT: 0
; COMPUTE_PGM_RSRC3_GFX90A:ACCUM_OFFSET: 0
; COMPUTE_PGM_RSRC3_GFX90A:TG_SPLIT: 0
	.section	.text._ZN7rocprim17ROCPRIM_400000_NS6detail17trampoline_kernelINS0_14default_configENS1_25partition_config_selectorILNS1_17partition_subalgoE2EjNS0_10empty_typeEbEEZZNS1_14partition_implILS5_2ELb0ES3_jN6thrust23THRUST_200600_302600_NS6detail15normal_iteratorINSA_7pointerIjNSA_11hip_rocprim3tagENSA_11use_defaultESG_EEEEPS6_NSA_18transform_iteratorI7is_evenIjENSC_INSA_10device_ptrIjEEEESG_SG_EENS0_5tupleIJPjSJ_EEENSR_IJSJ_SJ_EEES6_PlJS6_EEE10hipError_tPvRmT3_T4_T5_T6_T7_T9_mT8_P12ihipStream_tbDpT10_ENKUlT_T0_E_clISt17integral_constantIbLb0EES1E_IbLb1EEEEDaS1A_S1B_EUlS1A_E_NS1_11comp_targetILNS1_3genE9ELNS1_11target_archE1100ELNS1_3gpuE3ELNS1_3repE0EEENS1_30default_config_static_selectorELNS0_4arch9wavefront6targetE1EEEvT1_,"axG",@progbits,_ZN7rocprim17ROCPRIM_400000_NS6detail17trampoline_kernelINS0_14default_configENS1_25partition_config_selectorILNS1_17partition_subalgoE2EjNS0_10empty_typeEbEEZZNS1_14partition_implILS5_2ELb0ES3_jN6thrust23THRUST_200600_302600_NS6detail15normal_iteratorINSA_7pointerIjNSA_11hip_rocprim3tagENSA_11use_defaultESG_EEEEPS6_NSA_18transform_iteratorI7is_evenIjENSC_INSA_10device_ptrIjEEEESG_SG_EENS0_5tupleIJPjSJ_EEENSR_IJSJ_SJ_EEES6_PlJS6_EEE10hipError_tPvRmT3_T4_T5_T6_T7_T9_mT8_P12ihipStream_tbDpT10_ENKUlT_T0_E_clISt17integral_constantIbLb0EES1E_IbLb1EEEEDaS1A_S1B_EUlS1A_E_NS1_11comp_targetILNS1_3genE9ELNS1_11target_archE1100ELNS1_3gpuE3ELNS1_3repE0EEENS1_30default_config_static_selectorELNS0_4arch9wavefront6targetE1EEEvT1_,comdat
	.protected	_ZN7rocprim17ROCPRIM_400000_NS6detail17trampoline_kernelINS0_14default_configENS1_25partition_config_selectorILNS1_17partition_subalgoE2EjNS0_10empty_typeEbEEZZNS1_14partition_implILS5_2ELb0ES3_jN6thrust23THRUST_200600_302600_NS6detail15normal_iteratorINSA_7pointerIjNSA_11hip_rocprim3tagENSA_11use_defaultESG_EEEEPS6_NSA_18transform_iteratorI7is_evenIjENSC_INSA_10device_ptrIjEEEESG_SG_EENS0_5tupleIJPjSJ_EEENSR_IJSJ_SJ_EEES6_PlJS6_EEE10hipError_tPvRmT3_T4_T5_T6_T7_T9_mT8_P12ihipStream_tbDpT10_ENKUlT_T0_E_clISt17integral_constantIbLb0EES1E_IbLb1EEEEDaS1A_S1B_EUlS1A_E_NS1_11comp_targetILNS1_3genE9ELNS1_11target_archE1100ELNS1_3gpuE3ELNS1_3repE0EEENS1_30default_config_static_selectorELNS0_4arch9wavefront6targetE1EEEvT1_ ; -- Begin function _ZN7rocprim17ROCPRIM_400000_NS6detail17trampoline_kernelINS0_14default_configENS1_25partition_config_selectorILNS1_17partition_subalgoE2EjNS0_10empty_typeEbEEZZNS1_14partition_implILS5_2ELb0ES3_jN6thrust23THRUST_200600_302600_NS6detail15normal_iteratorINSA_7pointerIjNSA_11hip_rocprim3tagENSA_11use_defaultESG_EEEEPS6_NSA_18transform_iteratorI7is_evenIjENSC_INSA_10device_ptrIjEEEESG_SG_EENS0_5tupleIJPjSJ_EEENSR_IJSJ_SJ_EEES6_PlJS6_EEE10hipError_tPvRmT3_T4_T5_T6_T7_T9_mT8_P12ihipStream_tbDpT10_ENKUlT_T0_E_clISt17integral_constantIbLb0EES1E_IbLb1EEEEDaS1A_S1B_EUlS1A_E_NS1_11comp_targetILNS1_3genE9ELNS1_11target_archE1100ELNS1_3gpuE3ELNS1_3repE0EEENS1_30default_config_static_selectorELNS0_4arch9wavefront6targetE1EEEvT1_
	.globl	_ZN7rocprim17ROCPRIM_400000_NS6detail17trampoline_kernelINS0_14default_configENS1_25partition_config_selectorILNS1_17partition_subalgoE2EjNS0_10empty_typeEbEEZZNS1_14partition_implILS5_2ELb0ES3_jN6thrust23THRUST_200600_302600_NS6detail15normal_iteratorINSA_7pointerIjNSA_11hip_rocprim3tagENSA_11use_defaultESG_EEEEPS6_NSA_18transform_iteratorI7is_evenIjENSC_INSA_10device_ptrIjEEEESG_SG_EENS0_5tupleIJPjSJ_EEENSR_IJSJ_SJ_EEES6_PlJS6_EEE10hipError_tPvRmT3_T4_T5_T6_T7_T9_mT8_P12ihipStream_tbDpT10_ENKUlT_T0_E_clISt17integral_constantIbLb0EES1E_IbLb1EEEEDaS1A_S1B_EUlS1A_E_NS1_11comp_targetILNS1_3genE9ELNS1_11target_archE1100ELNS1_3gpuE3ELNS1_3repE0EEENS1_30default_config_static_selectorELNS0_4arch9wavefront6targetE1EEEvT1_
	.p2align	8
	.type	_ZN7rocprim17ROCPRIM_400000_NS6detail17trampoline_kernelINS0_14default_configENS1_25partition_config_selectorILNS1_17partition_subalgoE2EjNS0_10empty_typeEbEEZZNS1_14partition_implILS5_2ELb0ES3_jN6thrust23THRUST_200600_302600_NS6detail15normal_iteratorINSA_7pointerIjNSA_11hip_rocprim3tagENSA_11use_defaultESG_EEEEPS6_NSA_18transform_iteratorI7is_evenIjENSC_INSA_10device_ptrIjEEEESG_SG_EENS0_5tupleIJPjSJ_EEENSR_IJSJ_SJ_EEES6_PlJS6_EEE10hipError_tPvRmT3_T4_T5_T6_T7_T9_mT8_P12ihipStream_tbDpT10_ENKUlT_T0_E_clISt17integral_constantIbLb0EES1E_IbLb1EEEEDaS1A_S1B_EUlS1A_E_NS1_11comp_targetILNS1_3genE9ELNS1_11target_archE1100ELNS1_3gpuE3ELNS1_3repE0EEENS1_30default_config_static_selectorELNS0_4arch9wavefront6targetE1EEEvT1_,@function
_ZN7rocprim17ROCPRIM_400000_NS6detail17trampoline_kernelINS0_14default_configENS1_25partition_config_selectorILNS1_17partition_subalgoE2EjNS0_10empty_typeEbEEZZNS1_14partition_implILS5_2ELb0ES3_jN6thrust23THRUST_200600_302600_NS6detail15normal_iteratorINSA_7pointerIjNSA_11hip_rocprim3tagENSA_11use_defaultESG_EEEEPS6_NSA_18transform_iteratorI7is_evenIjENSC_INSA_10device_ptrIjEEEESG_SG_EENS0_5tupleIJPjSJ_EEENSR_IJSJ_SJ_EEES6_PlJS6_EEE10hipError_tPvRmT3_T4_T5_T6_T7_T9_mT8_P12ihipStream_tbDpT10_ENKUlT_T0_E_clISt17integral_constantIbLb0EES1E_IbLb1EEEEDaS1A_S1B_EUlS1A_E_NS1_11comp_targetILNS1_3genE9ELNS1_11target_archE1100ELNS1_3gpuE3ELNS1_3repE0EEENS1_30default_config_static_selectorELNS0_4arch9wavefront6targetE1EEEvT1_: ; @_ZN7rocprim17ROCPRIM_400000_NS6detail17trampoline_kernelINS0_14default_configENS1_25partition_config_selectorILNS1_17partition_subalgoE2EjNS0_10empty_typeEbEEZZNS1_14partition_implILS5_2ELb0ES3_jN6thrust23THRUST_200600_302600_NS6detail15normal_iteratorINSA_7pointerIjNSA_11hip_rocprim3tagENSA_11use_defaultESG_EEEEPS6_NSA_18transform_iteratorI7is_evenIjENSC_INSA_10device_ptrIjEEEESG_SG_EENS0_5tupleIJPjSJ_EEENSR_IJSJ_SJ_EEES6_PlJS6_EEE10hipError_tPvRmT3_T4_T5_T6_T7_T9_mT8_P12ihipStream_tbDpT10_ENKUlT_T0_E_clISt17integral_constantIbLb0EES1E_IbLb1EEEEDaS1A_S1B_EUlS1A_E_NS1_11comp_targetILNS1_3genE9ELNS1_11target_archE1100ELNS1_3gpuE3ELNS1_3repE0EEENS1_30default_config_static_selectorELNS0_4arch9wavefront6targetE1EEEvT1_
; %bb.0:
	.section	.rodata,"a",@progbits
	.p2align	6, 0x0
	.amdhsa_kernel _ZN7rocprim17ROCPRIM_400000_NS6detail17trampoline_kernelINS0_14default_configENS1_25partition_config_selectorILNS1_17partition_subalgoE2EjNS0_10empty_typeEbEEZZNS1_14partition_implILS5_2ELb0ES3_jN6thrust23THRUST_200600_302600_NS6detail15normal_iteratorINSA_7pointerIjNSA_11hip_rocprim3tagENSA_11use_defaultESG_EEEEPS6_NSA_18transform_iteratorI7is_evenIjENSC_INSA_10device_ptrIjEEEESG_SG_EENS0_5tupleIJPjSJ_EEENSR_IJSJ_SJ_EEES6_PlJS6_EEE10hipError_tPvRmT3_T4_T5_T6_T7_T9_mT8_P12ihipStream_tbDpT10_ENKUlT_T0_E_clISt17integral_constantIbLb0EES1E_IbLb1EEEEDaS1A_S1B_EUlS1A_E_NS1_11comp_targetILNS1_3genE9ELNS1_11target_archE1100ELNS1_3gpuE3ELNS1_3repE0EEENS1_30default_config_static_selectorELNS0_4arch9wavefront6targetE1EEEvT1_
		.amdhsa_group_segment_fixed_size 0
		.amdhsa_private_segment_fixed_size 0
		.amdhsa_kernarg_size 144
		.amdhsa_user_sgpr_count 6
		.amdhsa_user_sgpr_private_segment_buffer 1
		.amdhsa_user_sgpr_dispatch_ptr 0
		.amdhsa_user_sgpr_queue_ptr 0
		.amdhsa_user_sgpr_kernarg_segment_ptr 1
		.amdhsa_user_sgpr_dispatch_id 0
		.amdhsa_user_sgpr_flat_scratch_init 0
		.amdhsa_user_sgpr_kernarg_preload_length 0
		.amdhsa_user_sgpr_kernarg_preload_offset 0
		.amdhsa_user_sgpr_private_segment_size 0
		.amdhsa_uses_dynamic_stack 0
		.amdhsa_system_sgpr_private_segment_wavefront_offset 0
		.amdhsa_system_sgpr_workgroup_id_x 1
		.amdhsa_system_sgpr_workgroup_id_y 0
		.amdhsa_system_sgpr_workgroup_id_z 0
		.amdhsa_system_sgpr_workgroup_info 0
		.amdhsa_system_vgpr_workitem_id 0
		.amdhsa_next_free_vgpr 1
		.amdhsa_next_free_sgpr 0
		.amdhsa_accum_offset 4
		.amdhsa_reserve_vcc 0
		.amdhsa_reserve_flat_scratch 0
		.amdhsa_float_round_mode_32 0
		.amdhsa_float_round_mode_16_64 0
		.amdhsa_float_denorm_mode_32 3
		.amdhsa_float_denorm_mode_16_64 3
		.amdhsa_dx10_clamp 1
		.amdhsa_ieee_mode 1
		.amdhsa_fp16_overflow 0
		.amdhsa_tg_split 0
		.amdhsa_exception_fp_ieee_invalid_op 0
		.amdhsa_exception_fp_denorm_src 0
		.amdhsa_exception_fp_ieee_div_zero 0
		.amdhsa_exception_fp_ieee_overflow 0
		.amdhsa_exception_fp_ieee_underflow 0
		.amdhsa_exception_fp_ieee_inexact 0
		.amdhsa_exception_int_div_zero 0
	.end_amdhsa_kernel
	.section	.text._ZN7rocprim17ROCPRIM_400000_NS6detail17trampoline_kernelINS0_14default_configENS1_25partition_config_selectorILNS1_17partition_subalgoE2EjNS0_10empty_typeEbEEZZNS1_14partition_implILS5_2ELb0ES3_jN6thrust23THRUST_200600_302600_NS6detail15normal_iteratorINSA_7pointerIjNSA_11hip_rocprim3tagENSA_11use_defaultESG_EEEEPS6_NSA_18transform_iteratorI7is_evenIjENSC_INSA_10device_ptrIjEEEESG_SG_EENS0_5tupleIJPjSJ_EEENSR_IJSJ_SJ_EEES6_PlJS6_EEE10hipError_tPvRmT3_T4_T5_T6_T7_T9_mT8_P12ihipStream_tbDpT10_ENKUlT_T0_E_clISt17integral_constantIbLb0EES1E_IbLb1EEEEDaS1A_S1B_EUlS1A_E_NS1_11comp_targetILNS1_3genE9ELNS1_11target_archE1100ELNS1_3gpuE3ELNS1_3repE0EEENS1_30default_config_static_selectorELNS0_4arch9wavefront6targetE1EEEvT1_,"axG",@progbits,_ZN7rocprim17ROCPRIM_400000_NS6detail17trampoline_kernelINS0_14default_configENS1_25partition_config_selectorILNS1_17partition_subalgoE2EjNS0_10empty_typeEbEEZZNS1_14partition_implILS5_2ELb0ES3_jN6thrust23THRUST_200600_302600_NS6detail15normal_iteratorINSA_7pointerIjNSA_11hip_rocprim3tagENSA_11use_defaultESG_EEEEPS6_NSA_18transform_iteratorI7is_evenIjENSC_INSA_10device_ptrIjEEEESG_SG_EENS0_5tupleIJPjSJ_EEENSR_IJSJ_SJ_EEES6_PlJS6_EEE10hipError_tPvRmT3_T4_T5_T6_T7_T9_mT8_P12ihipStream_tbDpT10_ENKUlT_T0_E_clISt17integral_constantIbLb0EES1E_IbLb1EEEEDaS1A_S1B_EUlS1A_E_NS1_11comp_targetILNS1_3genE9ELNS1_11target_archE1100ELNS1_3gpuE3ELNS1_3repE0EEENS1_30default_config_static_selectorELNS0_4arch9wavefront6targetE1EEEvT1_,comdat
.Lfunc_end2067:
	.size	_ZN7rocprim17ROCPRIM_400000_NS6detail17trampoline_kernelINS0_14default_configENS1_25partition_config_selectorILNS1_17partition_subalgoE2EjNS0_10empty_typeEbEEZZNS1_14partition_implILS5_2ELb0ES3_jN6thrust23THRUST_200600_302600_NS6detail15normal_iteratorINSA_7pointerIjNSA_11hip_rocprim3tagENSA_11use_defaultESG_EEEEPS6_NSA_18transform_iteratorI7is_evenIjENSC_INSA_10device_ptrIjEEEESG_SG_EENS0_5tupleIJPjSJ_EEENSR_IJSJ_SJ_EEES6_PlJS6_EEE10hipError_tPvRmT3_T4_T5_T6_T7_T9_mT8_P12ihipStream_tbDpT10_ENKUlT_T0_E_clISt17integral_constantIbLb0EES1E_IbLb1EEEEDaS1A_S1B_EUlS1A_E_NS1_11comp_targetILNS1_3genE9ELNS1_11target_archE1100ELNS1_3gpuE3ELNS1_3repE0EEENS1_30default_config_static_selectorELNS0_4arch9wavefront6targetE1EEEvT1_, .Lfunc_end2067-_ZN7rocprim17ROCPRIM_400000_NS6detail17trampoline_kernelINS0_14default_configENS1_25partition_config_selectorILNS1_17partition_subalgoE2EjNS0_10empty_typeEbEEZZNS1_14partition_implILS5_2ELb0ES3_jN6thrust23THRUST_200600_302600_NS6detail15normal_iteratorINSA_7pointerIjNSA_11hip_rocprim3tagENSA_11use_defaultESG_EEEEPS6_NSA_18transform_iteratorI7is_evenIjENSC_INSA_10device_ptrIjEEEESG_SG_EENS0_5tupleIJPjSJ_EEENSR_IJSJ_SJ_EEES6_PlJS6_EEE10hipError_tPvRmT3_T4_T5_T6_T7_T9_mT8_P12ihipStream_tbDpT10_ENKUlT_T0_E_clISt17integral_constantIbLb0EES1E_IbLb1EEEEDaS1A_S1B_EUlS1A_E_NS1_11comp_targetILNS1_3genE9ELNS1_11target_archE1100ELNS1_3gpuE3ELNS1_3repE0EEENS1_30default_config_static_selectorELNS0_4arch9wavefront6targetE1EEEvT1_
                                        ; -- End function
	.section	.AMDGPU.csdata,"",@progbits
; Kernel info:
; codeLenInByte = 0
; NumSgprs: 4
; NumVgprs: 0
; NumAgprs: 0
; TotalNumVgprs: 0
; ScratchSize: 0
; MemoryBound: 0
; FloatMode: 240
; IeeeMode: 1
; LDSByteSize: 0 bytes/workgroup (compile time only)
; SGPRBlocks: 0
; VGPRBlocks: 0
; NumSGPRsForWavesPerEU: 4
; NumVGPRsForWavesPerEU: 1
; AccumOffset: 4
; Occupancy: 8
; WaveLimiterHint : 0
; COMPUTE_PGM_RSRC2:SCRATCH_EN: 0
; COMPUTE_PGM_RSRC2:USER_SGPR: 6
; COMPUTE_PGM_RSRC2:TRAP_HANDLER: 0
; COMPUTE_PGM_RSRC2:TGID_X_EN: 1
; COMPUTE_PGM_RSRC2:TGID_Y_EN: 0
; COMPUTE_PGM_RSRC2:TGID_Z_EN: 0
; COMPUTE_PGM_RSRC2:TIDIG_COMP_CNT: 0
; COMPUTE_PGM_RSRC3_GFX90A:ACCUM_OFFSET: 0
; COMPUTE_PGM_RSRC3_GFX90A:TG_SPLIT: 0
	.section	.text._ZN7rocprim17ROCPRIM_400000_NS6detail17trampoline_kernelINS0_14default_configENS1_25partition_config_selectorILNS1_17partition_subalgoE2EjNS0_10empty_typeEbEEZZNS1_14partition_implILS5_2ELb0ES3_jN6thrust23THRUST_200600_302600_NS6detail15normal_iteratorINSA_7pointerIjNSA_11hip_rocprim3tagENSA_11use_defaultESG_EEEEPS6_NSA_18transform_iteratorI7is_evenIjENSC_INSA_10device_ptrIjEEEESG_SG_EENS0_5tupleIJPjSJ_EEENSR_IJSJ_SJ_EEES6_PlJS6_EEE10hipError_tPvRmT3_T4_T5_T6_T7_T9_mT8_P12ihipStream_tbDpT10_ENKUlT_T0_E_clISt17integral_constantIbLb0EES1E_IbLb1EEEEDaS1A_S1B_EUlS1A_E_NS1_11comp_targetILNS1_3genE8ELNS1_11target_archE1030ELNS1_3gpuE2ELNS1_3repE0EEENS1_30default_config_static_selectorELNS0_4arch9wavefront6targetE1EEEvT1_,"axG",@progbits,_ZN7rocprim17ROCPRIM_400000_NS6detail17trampoline_kernelINS0_14default_configENS1_25partition_config_selectorILNS1_17partition_subalgoE2EjNS0_10empty_typeEbEEZZNS1_14partition_implILS5_2ELb0ES3_jN6thrust23THRUST_200600_302600_NS6detail15normal_iteratorINSA_7pointerIjNSA_11hip_rocprim3tagENSA_11use_defaultESG_EEEEPS6_NSA_18transform_iteratorI7is_evenIjENSC_INSA_10device_ptrIjEEEESG_SG_EENS0_5tupleIJPjSJ_EEENSR_IJSJ_SJ_EEES6_PlJS6_EEE10hipError_tPvRmT3_T4_T5_T6_T7_T9_mT8_P12ihipStream_tbDpT10_ENKUlT_T0_E_clISt17integral_constantIbLb0EES1E_IbLb1EEEEDaS1A_S1B_EUlS1A_E_NS1_11comp_targetILNS1_3genE8ELNS1_11target_archE1030ELNS1_3gpuE2ELNS1_3repE0EEENS1_30default_config_static_selectorELNS0_4arch9wavefront6targetE1EEEvT1_,comdat
	.protected	_ZN7rocprim17ROCPRIM_400000_NS6detail17trampoline_kernelINS0_14default_configENS1_25partition_config_selectorILNS1_17partition_subalgoE2EjNS0_10empty_typeEbEEZZNS1_14partition_implILS5_2ELb0ES3_jN6thrust23THRUST_200600_302600_NS6detail15normal_iteratorINSA_7pointerIjNSA_11hip_rocprim3tagENSA_11use_defaultESG_EEEEPS6_NSA_18transform_iteratorI7is_evenIjENSC_INSA_10device_ptrIjEEEESG_SG_EENS0_5tupleIJPjSJ_EEENSR_IJSJ_SJ_EEES6_PlJS6_EEE10hipError_tPvRmT3_T4_T5_T6_T7_T9_mT8_P12ihipStream_tbDpT10_ENKUlT_T0_E_clISt17integral_constantIbLb0EES1E_IbLb1EEEEDaS1A_S1B_EUlS1A_E_NS1_11comp_targetILNS1_3genE8ELNS1_11target_archE1030ELNS1_3gpuE2ELNS1_3repE0EEENS1_30default_config_static_selectorELNS0_4arch9wavefront6targetE1EEEvT1_ ; -- Begin function _ZN7rocprim17ROCPRIM_400000_NS6detail17trampoline_kernelINS0_14default_configENS1_25partition_config_selectorILNS1_17partition_subalgoE2EjNS0_10empty_typeEbEEZZNS1_14partition_implILS5_2ELb0ES3_jN6thrust23THRUST_200600_302600_NS6detail15normal_iteratorINSA_7pointerIjNSA_11hip_rocprim3tagENSA_11use_defaultESG_EEEEPS6_NSA_18transform_iteratorI7is_evenIjENSC_INSA_10device_ptrIjEEEESG_SG_EENS0_5tupleIJPjSJ_EEENSR_IJSJ_SJ_EEES6_PlJS6_EEE10hipError_tPvRmT3_T4_T5_T6_T7_T9_mT8_P12ihipStream_tbDpT10_ENKUlT_T0_E_clISt17integral_constantIbLb0EES1E_IbLb1EEEEDaS1A_S1B_EUlS1A_E_NS1_11comp_targetILNS1_3genE8ELNS1_11target_archE1030ELNS1_3gpuE2ELNS1_3repE0EEENS1_30default_config_static_selectorELNS0_4arch9wavefront6targetE1EEEvT1_
	.globl	_ZN7rocprim17ROCPRIM_400000_NS6detail17trampoline_kernelINS0_14default_configENS1_25partition_config_selectorILNS1_17partition_subalgoE2EjNS0_10empty_typeEbEEZZNS1_14partition_implILS5_2ELb0ES3_jN6thrust23THRUST_200600_302600_NS6detail15normal_iteratorINSA_7pointerIjNSA_11hip_rocprim3tagENSA_11use_defaultESG_EEEEPS6_NSA_18transform_iteratorI7is_evenIjENSC_INSA_10device_ptrIjEEEESG_SG_EENS0_5tupleIJPjSJ_EEENSR_IJSJ_SJ_EEES6_PlJS6_EEE10hipError_tPvRmT3_T4_T5_T6_T7_T9_mT8_P12ihipStream_tbDpT10_ENKUlT_T0_E_clISt17integral_constantIbLb0EES1E_IbLb1EEEEDaS1A_S1B_EUlS1A_E_NS1_11comp_targetILNS1_3genE8ELNS1_11target_archE1030ELNS1_3gpuE2ELNS1_3repE0EEENS1_30default_config_static_selectorELNS0_4arch9wavefront6targetE1EEEvT1_
	.p2align	8
	.type	_ZN7rocprim17ROCPRIM_400000_NS6detail17trampoline_kernelINS0_14default_configENS1_25partition_config_selectorILNS1_17partition_subalgoE2EjNS0_10empty_typeEbEEZZNS1_14partition_implILS5_2ELb0ES3_jN6thrust23THRUST_200600_302600_NS6detail15normal_iteratorINSA_7pointerIjNSA_11hip_rocprim3tagENSA_11use_defaultESG_EEEEPS6_NSA_18transform_iteratorI7is_evenIjENSC_INSA_10device_ptrIjEEEESG_SG_EENS0_5tupleIJPjSJ_EEENSR_IJSJ_SJ_EEES6_PlJS6_EEE10hipError_tPvRmT3_T4_T5_T6_T7_T9_mT8_P12ihipStream_tbDpT10_ENKUlT_T0_E_clISt17integral_constantIbLb0EES1E_IbLb1EEEEDaS1A_S1B_EUlS1A_E_NS1_11comp_targetILNS1_3genE8ELNS1_11target_archE1030ELNS1_3gpuE2ELNS1_3repE0EEENS1_30default_config_static_selectorELNS0_4arch9wavefront6targetE1EEEvT1_,@function
_ZN7rocprim17ROCPRIM_400000_NS6detail17trampoline_kernelINS0_14default_configENS1_25partition_config_selectorILNS1_17partition_subalgoE2EjNS0_10empty_typeEbEEZZNS1_14partition_implILS5_2ELb0ES3_jN6thrust23THRUST_200600_302600_NS6detail15normal_iteratorINSA_7pointerIjNSA_11hip_rocprim3tagENSA_11use_defaultESG_EEEEPS6_NSA_18transform_iteratorI7is_evenIjENSC_INSA_10device_ptrIjEEEESG_SG_EENS0_5tupleIJPjSJ_EEENSR_IJSJ_SJ_EEES6_PlJS6_EEE10hipError_tPvRmT3_T4_T5_T6_T7_T9_mT8_P12ihipStream_tbDpT10_ENKUlT_T0_E_clISt17integral_constantIbLb0EES1E_IbLb1EEEEDaS1A_S1B_EUlS1A_E_NS1_11comp_targetILNS1_3genE8ELNS1_11target_archE1030ELNS1_3gpuE2ELNS1_3repE0EEENS1_30default_config_static_selectorELNS0_4arch9wavefront6targetE1EEEvT1_: ; @_ZN7rocprim17ROCPRIM_400000_NS6detail17trampoline_kernelINS0_14default_configENS1_25partition_config_selectorILNS1_17partition_subalgoE2EjNS0_10empty_typeEbEEZZNS1_14partition_implILS5_2ELb0ES3_jN6thrust23THRUST_200600_302600_NS6detail15normal_iteratorINSA_7pointerIjNSA_11hip_rocprim3tagENSA_11use_defaultESG_EEEEPS6_NSA_18transform_iteratorI7is_evenIjENSC_INSA_10device_ptrIjEEEESG_SG_EENS0_5tupleIJPjSJ_EEENSR_IJSJ_SJ_EEES6_PlJS6_EEE10hipError_tPvRmT3_T4_T5_T6_T7_T9_mT8_P12ihipStream_tbDpT10_ENKUlT_T0_E_clISt17integral_constantIbLb0EES1E_IbLb1EEEEDaS1A_S1B_EUlS1A_E_NS1_11comp_targetILNS1_3genE8ELNS1_11target_archE1030ELNS1_3gpuE2ELNS1_3repE0EEENS1_30default_config_static_selectorELNS0_4arch9wavefront6targetE1EEEvT1_
; %bb.0:
	.section	.rodata,"a",@progbits
	.p2align	6, 0x0
	.amdhsa_kernel _ZN7rocprim17ROCPRIM_400000_NS6detail17trampoline_kernelINS0_14default_configENS1_25partition_config_selectorILNS1_17partition_subalgoE2EjNS0_10empty_typeEbEEZZNS1_14partition_implILS5_2ELb0ES3_jN6thrust23THRUST_200600_302600_NS6detail15normal_iteratorINSA_7pointerIjNSA_11hip_rocprim3tagENSA_11use_defaultESG_EEEEPS6_NSA_18transform_iteratorI7is_evenIjENSC_INSA_10device_ptrIjEEEESG_SG_EENS0_5tupleIJPjSJ_EEENSR_IJSJ_SJ_EEES6_PlJS6_EEE10hipError_tPvRmT3_T4_T5_T6_T7_T9_mT8_P12ihipStream_tbDpT10_ENKUlT_T0_E_clISt17integral_constantIbLb0EES1E_IbLb1EEEEDaS1A_S1B_EUlS1A_E_NS1_11comp_targetILNS1_3genE8ELNS1_11target_archE1030ELNS1_3gpuE2ELNS1_3repE0EEENS1_30default_config_static_selectorELNS0_4arch9wavefront6targetE1EEEvT1_
		.amdhsa_group_segment_fixed_size 0
		.amdhsa_private_segment_fixed_size 0
		.amdhsa_kernarg_size 144
		.amdhsa_user_sgpr_count 6
		.amdhsa_user_sgpr_private_segment_buffer 1
		.amdhsa_user_sgpr_dispatch_ptr 0
		.amdhsa_user_sgpr_queue_ptr 0
		.amdhsa_user_sgpr_kernarg_segment_ptr 1
		.amdhsa_user_sgpr_dispatch_id 0
		.amdhsa_user_sgpr_flat_scratch_init 0
		.amdhsa_user_sgpr_kernarg_preload_length 0
		.amdhsa_user_sgpr_kernarg_preload_offset 0
		.amdhsa_user_sgpr_private_segment_size 0
		.amdhsa_uses_dynamic_stack 0
		.amdhsa_system_sgpr_private_segment_wavefront_offset 0
		.amdhsa_system_sgpr_workgroup_id_x 1
		.amdhsa_system_sgpr_workgroup_id_y 0
		.amdhsa_system_sgpr_workgroup_id_z 0
		.amdhsa_system_sgpr_workgroup_info 0
		.amdhsa_system_vgpr_workitem_id 0
		.amdhsa_next_free_vgpr 1
		.amdhsa_next_free_sgpr 0
		.amdhsa_accum_offset 4
		.amdhsa_reserve_vcc 0
		.amdhsa_reserve_flat_scratch 0
		.amdhsa_float_round_mode_32 0
		.amdhsa_float_round_mode_16_64 0
		.amdhsa_float_denorm_mode_32 3
		.amdhsa_float_denorm_mode_16_64 3
		.amdhsa_dx10_clamp 1
		.amdhsa_ieee_mode 1
		.amdhsa_fp16_overflow 0
		.amdhsa_tg_split 0
		.amdhsa_exception_fp_ieee_invalid_op 0
		.amdhsa_exception_fp_denorm_src 0
		.amdhsa_exception_fp_ieee_div_zero 0
		.amdhsa_exception_fp_ieee_overflow 0
		.amdhsa_exception_fp_ieee_underflow 0
		.amdhsa_exception_fp_ieee_inexact 0
		.amdhsa_exception_int_div_zero 0
	.end_amdhsa_kernel
	.section	.text._ZN7rocprim17ROCPRIM_400000_NS6detail17trampoline_kernelINS0_14default_configENS1_25partition_config_selectorILNS1_17partition_subalgoE2EjNS0_10empty_typeEbEEZZNS1_14partition_implILS5_2ELb0ES3_jN6thrust23THRUST_200600_302600_NS6detail15normal_iteratorINSA_7pointerIjNSA_11hip_rocprim3tagENSA_11use_defaultESG_EEEEPS6_NSA_18transform_iteratorI7is_evenIjENSC_INSA_10device_ptrIjEEEESG_SG_EENS0_5tupleIJPjSJ_EEENSR_IJSJ_SJ_EEES6_PlJS6_EEE10hipError_tPvRmT3_T4_T5_T6_T7_T9_mT8_P12ihipStream_tbDpT10_ENKUlT_T0_E_clISt17integral_constantIbLb0EES1E_IbLb1EEEEDaS1A_S1B_EUlS1A_E_NS1_11comp_targetILNS1_3genE8ELNS1_11target_archE1030ELNS1_3gpuE2ELNS1_3repE0EEENS1_30default_config_static_selectorELNS0_4arch9wavefront6targetE1EEEvT1_,"axG",@progbits,_ZN7rocprim17ROCPRIM_400000_NS6detail17trampoline_kernelINS0_14default_configENS1_25partition_config_selectorILNS1_17partition_subalgoE2EjNS0_10empty_typeEbEEZZNS1_14partition_implILS5_2ELb0ES3_jN6thrust23THRUST_200600_302600_NS6detail15normal_iteratorINSA_7pointerIjNSA_11hip_rocprim3tagENSA_11use_defaultESG_EEEEPS6_NSA_18transform_iteratorI7is_evenIjENSC_INSA_10device_ptrIjEEEESG_SG_EENS0_5tupleIJPjSJ_EEENSR_IJSJ_SJ_EEES6_PlJS6_EEE10hipError_tPvRmT3_T4_T5_T6_T7_T9_mT8_P12ihipStream_tbDpT10_ENKUlT_T0_E_clISt17integral_constantIbLb0EES1E_IbLb1EEEEDaS1A_S1B_EUlS1A_E_NS1_11comp_targetILNS1_3genE8ELNS1_11target_archE1030ELNS1_3gpuE2ELNS1_3repE0EEENS1_30default_config_static_selectorELNS0_4arch9wavefront6targetE1EEEvT1_,comdat
.Lfunc_end2068:
	.size	_ZN7rocprim17ROCPRIM_400000_NS6detail17trampoline_kernelINS0_14default_configENS1_25partition_config_selectorILNS1_17partition_subalgoE2EjNS0_10empty_typeEbEEZZNS1_14partition_implILS5_2ELb0ES3_jN6thrust23THRUST_200600_302600_NS6detail15normal_iteratorINSA_7pointerIjNSA_11hip_rocprim3tagENSA_11use_defaultESG_EEEEPS6_NSA_18transform_iteratorI7is_evenIjENSC_INSA_10device_ptrIjEEEESG_SG_EENS0_5tupleIJPjSJ_EEENSR_IJSJ_SJ_EEES6_PlJS6_EEE10hipError_tPvRmT3_T4_T5_T6_T7_T9_mT8_P12ihipStream_tbDpT10_ENKUlT_T0_E_clISt17integral_constantIbLb0EES1E_IbLb1EEEEDaS1A_S1B_EUlS1A_E_NS1_11comp_targetILNS1_3genE8ELNS1_11target_archE1030ELNS1_3gpuE2ELNS1_3repE0EEENS1_30default_config_static_selectorELNS0_4arch9wavefront6targetE1EEEvT1_, .Lfunc_end2068-_ZN7rocprim17ROCPRIM_400000_NS6detail17trampoline_kernelINS0_14default_configENS1_25partition_config_selectorILNS1_17partition_subalgoE2EjNS0_10empty_typeEbEEZZNS1_14partition_implILS5_2ELb0ES3_jN6thrust23THRUST_200600_302600_NS6detail15normal_iteratorINSA_7pointerIjNSA_11hip_rocprim3tagENSA_11use_defaultESG_EEEEPS6_NSA_18transform_iteratorI7is_evenIjENSC_INSA_10device_ptrIjEEEESG_SG_EENS0_5tupleIJPjSJ_EEENSR_IJSJ_SJ_EEES6_PlJS6_EEE10hipError_tPvRmT3_T4_T5_T6_T7_T9_mT8_P12ihipStream_tbDpT10_ENKUlT_T0_E_clISt17integral_constantIbLb0EES1E_IbLb1EEEEDaS1A_S1B_EUlS1A_E_NS1_11comp_targetILNS1_3genE8ELNS1_11target_archE1030ELNS1_3gpuE2ELNS1_3repE0EEENS1_30default_config_static_selectorELNS0_4arch9wavefront6targetE1EEEvT1_
                                        ; -- End function
	.section	.AMDGPU.csdata,"",@progbits
; Kernel info:
; codeLenInByte = 0
; NumSgprs: 4
; NumVgprs: 0
; NumAgprs: 0
; TotalNumVgprs: 0
; ScratchSize: 0
; MemoryBound: 0
; FloatMode: 240
; IeeeMode: 1
; LDSByteSize: 0 bytes/workgroup (compile time only)
; SGPRBlocks: 0
; VGPRBlocks: 0
; NumSGPRsForWavesPerEU: 4
; NumVGPRsForWavesPerEU: 1
; AccumOffset: 4
; Occupancy: 8
; WaveLimiterHint : 0
; COMPUTE_PGM_RSRC2:SCRATCH_EN: 0
; COMPUTE_PGM_RSRC2:USER_SGPR: 6
; COMPUTE_PGM_RSRC2:TRAP_HANDLER: 0
; COMPUTE_PGM_RSRC2:TGID_X_EN: 1
; COMPUTE_PGM_RSRC2:TGID_Y_EN: 0
; COMPUTE_PGM_RSRC2:TGID_Z_EN: 0
; COMPUTE_PGM_RSRC2:TIDIG_COMP_CNT: 0
; COMPUTE_PGM_RSRC3_GFX90A:ACCUM_OFFSET: 0
; COMPUTE_PGM_RSRC3_GFX90A:TG_SPLIT: 0
	.section	.text._ZN6thrust23THRUST_200600_302600_NS11hip_rocprim14__parallel_for6kernelILj256ENS1_13__swap_ranges6swap_fINS0_6detail15normal_iteratorINS0_10device_ptrIjEEEENS0_16reverse_iteratorISA_EEEElLj1EEEvT0_T1_SF_,"axG",@progbits,_ZN6thrust23THRUST_200600_302600_NS11hip_rocprim14__parallel_for6kernelILj256ENS1_13__swap_ranges6swap_fINS0_6detail15normal_iteratorINS0_10device_ptrIjEEEENS0_16reverse_iteratorISA_EEEElLj1EEEvT0_T1_SF_,comdat
	.protected	_ZN6thrust23THRUST_200600_302600_NS11hip_rocprim14__parallel_for6kernelILj256ENS1_13__swap_ranges6swap_fINS0_6detail15normal_iteratorINS0_10device_ptrIjEEEENS0_16reverse_iteratorISA_EEEElLj1EEEvT0_T1_SF_ ; -- Begin function _ZN6thrust23THRUST_200600_302600_NS11hip_rocprim14__parallel_for6kernelILj256ENS1_13__swap_ranges6swap_fINS0_6detail15normal_iteratorINS0_10device_ptrIjEEEENS0_16reverse_iteratorISA_EEEElLj1EEEvT0_T1_SF_
	.globl	_ZN6thrust23THRUST_200600_302600_NS11hip_rocprim14__parallel_for6kernelILj256ENS1_13__swap_ranges6swap_fINS0_6detail15normal_iteratorINS0_10device_ptrIjEEEENS0_16reverse_iteratorISA_EEEElLj1EEEvT0_T1_SF_
	.p2align	8
	.type	_ZN6thrust23THRUST_200600_302600_NS11hip_rocprim14__parallel_for6kernelILj256ENS1_13__swap_ranges6swap_fINS0_6detail15normal_iteratorINS0_10device_ptrIjEEEENS0_16reverse_iteratorISA_EEEElLj1EEEvT0_T1_SF_,@function
_ZN6thrust23THRUST_200600_302600_NS11hip_rocprim14__parallel_for6kernelILj256ENS1_13__swap_ranges6swap_fINS0_6detail15normal_iteratorINS0_10device_ptrIjEEEENS0_16reverse_iteratorISA_EEEElLj1EEEvT0_T1_SF_: ; @_ZN6thrust23THRUST_200600_302600_NS11hip_rocprim14__parallel_for6kernelILj256ENS1_13__swap_ranges6swap_fINS0_6detail15normal_iteratorINS0_10device_ptrIjEEEENS0_16reverse_iteratorISA_EEEElLj1EEEvT0_T1_SF_
; %bb.0:
	s_load_dwordx8 s[8:15], s[4:5], 0x0
	s_lshl_b32 s0, s6, 8
	v_mov_b32_e32 v2, 0x100
	v_mov_b32_e32 v3, 0
	s_waitcnt lgkmcnt(0)
	s_add_u32 s2, s0, s14
	s_addc_u32 s3, 0, s15
	s_sub_u32 s0, s12, s2
	s_subb_u32 s1, s13, s3
	v_cmp_lt_i64_e32 vcc, s[0:1], v[2:3]
	s_and_b64 s[4:5], vcc, exec
	s_cselect_b32 s4, s0, 0x100
	s_cmpk_lg_i32 s4, 0x100
	s_mov_b64 s[0:1], -1
	s_cbranch_scc1 .LBB2069_3
; %bb.1:
	s_andn2_b64 vcc, exec, s[0:1]
	s_cbranch_vccz .LBB2069_6
.LBB2069_2:
	s_endpgm
.LBB2069_3:
	v_cmp_gt_u32_e32 vcc, s4, v0
	s_and_saveexec_b64 s[0:1], vcc
	s_cbranch_execz .LBB2069_5
; %bb.4:
	v_mov_b32_e32 v1, s3
	v_add_co_u32_e32 v2, vcc, s2, v0
	v_addc_co_u32_e32 v3, vcc, 0, v1, vcc
	v_lshlrev_b64 v[2:3], 2, v[2:3]
	v_mov_b32_e32 v1, s11
	v_sub_co_u32_e32 v4, vcc, s10, v2
	v_subb_co_u32_e32 v1, vcc, v1, v3, vcc
	v_mov_b32_e32 v5, s9
	v_add_co_u32_e32 v2, vcc, s8, v2
	v_addc_co_u32_e32 v3, vcc, v5, v3, vcc
	v_add_co_u32_e32 v4, vcc, -4, v4
	v_addc_co_u32_e32 v5, vcc, -1, v1, vcc
	flat_load_dword v1, v[4:5]
	flat_load_dword v6, v[2:3]
	s_waitcnt vmcnt(0) lgkmcnt(0)
	flat_store_dword v[2:3], v1
	flat_store_dword v[4:5], v6
.LBB2069_5:
	s_or_b64 exec, exec, s[0:1]
	s_cbranch_execnz .LBB2069_2
.LBB2069_6:
	v_mov_b32_e32 v1, s3
	v_add_co_u32_e32 v0, vcc, s2, v0
	v_addc_co_u32_e32 v1, vcc, 0, v1, vcc
	v_lshlrev_b64 v[0:1], 2, v[0:1]
	v_mov_b32_e32 v3, s9
	v_add_co_u32_e32 v2, vcc, s8, v0
	v_addc_co_u32_e32 v3, vcc, v3, v1, vcc
	v_mov_b32_e32 v4, s11
	v_sub_co_u32_e32 v0, vcc, s10, v0
	v_subb_co_u32_e32 v1, vcc, v4, v1, vcc
	v_add_co_u32_e32 v0, vcc, -4, v0
	v_addc_co_u32_e32 v1, vcc, -1, v1, vcc
	flat_load_dword v4, v[0:1]
	flat_load_dword v5, v[2:3]
	s_waitcnt vmcnt(0) lgkmcnt(0)
	flat_store_dword v[2:3], v4
	flat_store_dword v[0:1], v5
	s_endpgm
	.section	.rodata,"a",@progbits
	.p2align	6, 0x0
	.amdhsa_kernel _ZN6thrust23THRUST_200600_302600_NS11hip_rocprim14__parallel_for6kernelILj256ENS1_13__swap_ranges6swap_fINS0_6detail15normal_iteratorINS0_10device_ptrIjEEEENS0_16reverse_iteratorISA_EEEElLj1EEEvT0_T1_SF_
		.amdhsa_group_segment_fixed_size 0
		.amdhsa_private_segment_fixed_size 0
		.amdhsa_kernarg_size 32
		.amdhsa_user_sgpr_count 6
		.amdhsa_user_sgpr_private_segment_buffer 1
		.amdhsa_user_sgpr_dispatch_ptr 0
		.amdhsa_user_sgpr_queue_ptr 0
		.amdhsa_user_sgpr_kernarg_segment_ptr 1
		.amdhsa_user_sgpr_dispatch_id 0
		.amdhsa_user_sgpr_flat_scratch_init 0
		.amdhsa_user_sgpr_kernarg_preload_length 0
		.amdhsa_user_sgpr_kernarg_preload_offset 0
		.amdhsa_user_sgpr_private_segment_size 0
		.amdhsa_uses_dynamic_stack 0
		.amdhsa_system_sgpr_private_segment_wavefront_offset 0
		.amdhsa_system_sgpr_workgroup_id_x 1
		.amdhsa_system_sgpr_workgroup_id_y 0
		.amdhsa_system_sgpr_workgroup_id_z 0
		.amdhsa_system_sgpr_workgroup_info 0
		.amdhsa_system_vgpr_workitem_id 0
		.amdhsa_next_free_vgpr 7
		.amdhsa_next_free_sgpr 16
		.amdhsa_accum_offset 8
		.amdhsa_reserve_vcc 1
		.amdhsa_reserve_flat_scratch 0
		.amdhsa_float_round_mode_32 0
		.amdhsa_float_round_mode_16_64 0
		.amdhsa_float_denorm_mode_32 3
		.amdhsa_float_denorm_mode_16_64 3
		.amdhsa_dx10_clamp 1
		.amdhsa_ieee_mode 1
		.amdhsa_fp16_overflow 0
		.amdhsa_tg_split 0
		.amdhsa_exception_fp_ieee_invalid_op 0
		.amdhsa_exception_fp_denorm_src 0
		.amdhsa_exception_fp_ieee_div_zero 0
		.amdhsa_exception_fp_ieee_overflow 0
		.amdhsa_exception_fp_ieee_underflow 0
		.amdhsa_exception_fp_ieee_inexact 0
		.amdhsa_exception_int_div_zero 0
	.end_amdhsa_kernel
	.section	.text._ZN6thrust23THRUST_200600_302600_NS11hip_rocprim14__parallel_for6kernelILj256ENS1_13__swap_ranges6swap_fINS0_6detail15normal_iteratorINS0_10device_ptrIjEEEENS0_16reverse_iteratorISA_EEEElLj1EEEvT0_T1_SF_,"axG",@progbits,_ZN6thrust23THRUST_200600_302600_NS11hip_rocprim14__parallel_for6kernelILj256ENS1_13__swap_ranges6swap_fINS0_6detail15normal_iteratorINS0_10device_ptrIjEEEENS0_16reverse_iteratorISA_EEEElLj1EEEvT0_T1_SF_,comdat
.Lfunc_end2069:
	.size	_ZN6thrust23THRUST_200600_302600_NS11hip_rocprim14__parallel_for6kernelILj256ENS1_13__swap_ranges6swap_fINS0_6detail15normal_iteratorINS0_10device_ptrIjEEEENS0_16reverse_iteratorISA_EEEElLj1EEEvT0_T1_SF_, .Lfunc_end2069-_ZN6thrust23THRUST_200600_302600_NS11hip_rocprim14__parallel_for6kernelILj256ENS1_13__swap_ranges6swap_fINS0_6detail15normal_iteratorINS0_10device_ptrIjEEEENS0_16reverse_iteratorISA_EEEElLj1EEEvT0_T1_SF_
                                        ; -- End function
	.section	.AMDGPU.csdata,"",@progbits
; Kernel info:
; codeLenInByte = 284
; NumSgprs: 20
; NumVgprs: 7
; NumAgprs: 0
; TotalNumVgprs: 7
; ScratchSize: 0
; MemoryBound: 0
; FloatMode: 240
; IeeeMode: 1
; LDSByteSize: 0 bytes/workgroup (compile time only)
; SGPRBlocks: 2
; VGPRBlocks: 0
; NumSGPRsForWavesPerEU: 20
; NumVGPRsForWavesPerEU: 7
; AccumOffset: 8
; Occupancy: 8
; WaveLimiterHint : 0
; COMPUTE_PGM_RSRC2:SCRATCH_EN: 0
; COMPUTE_PGM_RSRC2:USER_SGPR: 6
; COMPUTE_PGM_RSRC2:TRAP_HANDLER: 0
; COMPUTE_PGM_RSRC2:TGID_X_EN: 1
; COMPUTE_PGM_RSRC2:TGID_Y_EN: 0
; COMPUTE_PGM_RSRC2:TGID_Z_EN: 0
; COMPUTE_PGM_RSRC2:TIDIG_COMP_CNT: 0
; COMPUTE_PGM_RSRC3_GFX90A:ACCUM_OFFSET: 1
; COMPUTE_PGM_RSRC3_GFX90A:TG_SPLIT: 0
	.section	.text._ZN7rocprim17ROCPRIM_400000_NS6detail17trampoline_kernelINS0_14default_configENS1_25partition_config_selectorILNS1_17partition_subalgoE2EtNS0_10empty_typeEbEEZZNS1_14partition_implILS5_2ELb0ES3_jN6thrust23THRUST_200600_302600_NS6detail15normal_iteratorINSA_7pointerItNSA_11hip_rocprim3tagENSA_11use_defaultESG_EEEEPS6_NSA_18transform_iteratorI7is_evenItENSC_INSA_10device_ptrItEEEESG_SG_EENS0_5tupleIJPtSJ_EEENSR_IJSJ_SJ_EEES6_PlJS6_EEE10hipError_tPvRmT3_T4_T5_T6_T7_T9_mT8_P12ihipStream_tbDpT10_ENKUlT_T0_E_clISt17integral_constantIbLb0EES1F_EEDaS1A_S1B_EUlS1A_E_NS1_11comp_targetILNS1_3genE0ELNS1_11target_archE4294967295ELNS1_3gpuE0ELNS1_3repE0EEENS1_30default_config_static_selectorELNS0_4arch9wavefront6targetE1EEEvT1_,"axG",@progbits,_ZN7rocprim17ROCPRIM_400000_NS6detail17trampoline_kernelINS0_14default_configENS1_25partition_config_selectorILNS1_17partition_subalgoE2EtNS0_10empty_typeEbEEZZNS1_14partition_implILS5_2ELb0ES3_jN6thrust23THRUST_200600_302600_NS6detail15normal_iteratorINSA_7pointerItNSA_11hip_rocprim3tagENSA_11use_defaultESG_EEEEPS6_NSA_18transform_iteratorI7is_evenItENSC_INSA_10device_ptrItEEEESG_SG_EENS0_5tupleIJPtSJ_EEENSR_IJSJ_SJ_EEES6_PlJS6_EEE10hipError_tPvRmT3_T4_T5_T6_T7_T9_mT8_P12ihipStream_tbDpT10_ENKUlT_T0_E_clISt17integral_constantIbLb0EES1F_EEDaS1A_S1B_EUlS1A_E_NS1_11comp_targetILNS1_3genE0ELNS1_11target_archE4294967295ELNS1_3gpuE0ELNS1_3repE0EEENS1_30default_config_static_selectorELNS0_4arch9wavefront6targetE1EEEvT1_,comdat
	.protected	_ZN7rocprim17ROCPRIM_400000_NS6detail17trampoline_kernelINS0_14default_configENS1_25partition_config_selectorILNS1_17partition_subalgoE2EtNS0_10empty_typeEbEEZZNS1_14partition_implILS5_2ELb0ES3_jN6thrust23THRUST_200600_302600_NS6detail15normal_iteratorINSA_7pointerItNSA_11hip_rocprim3tagENSA_11use_defaultESG_EEEEPS6_NSA_18transform_iteratorI7is_evenItENSC_INSA_10device_ptrItEEEESG_SG_EENS0_5tupleIJPtSJ_EEENSR_IJSJ_SJ_EEES6_PlJS6_EEE10hipError_tPvRmT3_T4_T5_T6_T7_T9_mT8_P12ihipStream_tbDpT10_ENKUlT_T0_E_clISt17integral_constantIbLb0EES1F_EEDaS1A_S1B_EUlS1A_E_NS1_11comp_targetILNS1_3genE0ELNS1_11target_archE4294967295ELNS1_3gpuE0ELNS1_3repE0EEENS1_30default_config_static_selectorELNS0_4arch9wavefront6targetE1EEEvT1_ ; -- Begin function _ZN7rocprim17ROCPRIM_400000_NS6detail17trampoline_kernelINS0_14default_configENS1_25partition_config_selectorILNS1_17partition_subalgoE2EtNS0_10empty_typeEbEEZZNS1_14partition_implILS5_2ELb0ES3_jN6thrust23THRUST_200600_302600_NS6detail15normal_iteratorINSA_7pointerItNSA_11hip_rocprim3tagENSA_11use_defaultESG_EEEEPS6_NSA_18transform_iteratorI7is_evenItENSC_INSA_10device_ptrItEEEESG_SG_EENS0_5tupleIJPtSJ_EEENSR_IJSJ_SJ_EEES6_PlJS6_EEE10hipError_tPvRmT3_T4_T5_T6_T7_T9_mT8_P12ihipStream_tbDpT10_ENKUlT_T0_E_clISt17integral_constantIbLb0EES1F_EEDaS1A_S1B_EUlS1A_E_NS1_11comp_targetILNS1_3genE0ELNS1_11target_archE4294967295ELNS1_3gpuE0ELNS1_3repE0EEENS1_30default_config_static_selectorELNS0_4arch9wavefront6targetE1EEEvT1_
	.globl	_ZN7rocprim17ROCPRIM_400000_NS6detail17trampoline_kernelINS0_14default_configENS1_25partition_config_selectorILNS1_17partition_subalgoE2EtNS0_10empty_typeEbEEZZNS1_14partition_implILS5_2ELb0ES3_jN6thrust23THRUST_200600_302600_NS6detail15normal_iteratorINSA_7pointerItNSA_11hip_rocprim3tagENSA_11use_defaultESG_EEEEPS6_NSA_18transform_iteratorI7is_evenItENSC_INSA_10device_ptrItEEEESG_SG_EENS0_5tupleIJPtSJ_EEENSR_IJSJ_SJ_EEES6_PlJS6_EEE10hipError_tPvRmT3_T4_T5_T6_T7_T9_mT8_P12ihipStream_tbDpT10_ENKUlT_T0_E_clISt17integral_constantIbLb0EES1F_EEDaS1A_S1B_EUlS1A_E_NS1_11comp_targetILNS1_3genE0ELNS1_11target_archE4294967295ELNS1_3gpuE0ELNS1_3repE0EEENS1_30default_config_static_selectorELNS0_4arch9wavefront6targetE1EEEvT1_
	.p2align	8
	.type	_ZN7rocprim17ROCPRIM_400000_NS6detail17trampoline_kernelINS0_14default_configENS1_25partition_config_selectorILNS1_17partition_subalgoE2EtNS0_10empty_typeEbEEZZNS1_14partition_implILS5_2ELb0ES3_jN6thrust23THRUST_200600_302600_NS6detail15normal_iteratorINSA_7pointerItNSA_11hip_rocprim3tagENSA_11use_defaultESG_EEEEPS6_NSA_18transform_iteratorI7is_evenItENSC_INSA_10device_ptrItEEEESG_SG_EENS0_5tupleIJPtSJ_EEENSR_IJSJ_SJ_EEES6_PlJS6_EEE10hipError_tPvRmT3_T4_T5_T6_T7_T9_mT8_P12ihipStream_tbDpT10_ENKUlT_T0_E_clISt17integral_constantIbLb0EES1F_EEDaS1A_S1B_EUlS1A_E_NS1_11comp_targetILNS1_3genE0ELNS1_11target_archE4294967295ELNS1_3gpuE0ELNS1_3repE0EEENS1_30default_config_static_selectorELNS0_4arch9wavefront6targetE1EEEvT1_,@function
_ZN7rocprim17ROCPRIM_400000_NS6detail17trampoline_kernelINS0_14default_configENS1_25partition_config_selectorILNS1_17partition_subalgoE2EtNS0_10empty_typeEbEEZZNS1_14partition_implILS5_2ELb0ES3_jN6thrust23THRUST_200600_302600_NS6detail15normal_iteratorINSA_7pointerItNSA_11hip_rocprim3tagENSA_11use_defaultESG_EEEEPS6_NSA_18transform_iteratorI7is_evenItENSC_INSA_10device_ptrItEEEESG_SG_EENS0_5tupleIJPtSJ_EEENSR_IJSJ_SJ_EEES6_PlJS6_EEE10hipError_tPvRmT3_T4_T5_T6_T7_T9_mT8_P12ihipStream_tbDpT10_ENKUlT_T0_E_clISt17integral_constantIbLb0EES1F_EEDaS1A_S1B_EUlS1A_E_NS1_11comp_targetILNS1_3genE0ELNS1_11target_archE4294967295ELNS1_3gpuE0ELNS1_3repE0EEENS1_30default_config_static_selectorELNS0_4arch9wavefront6targetE1EEEvT1_: ; @_ZN7rocprim17ROCPRIM_400000_NS6detail17trampoline_kernelINS0_14default_configENS1_25partition_config_selectorILNS1_17partition_subalgoE2EtNS0_10empty_typeEbEEZZNS1_14partition_implILS5_2ELb0ES3_jN6thrust23THRUST_200600_302600_NS6detail15normal_iteratorINSA_7pointerItNSA_11hip_rocprim3tagENSA_11use_defaultESG_EEEEPS6_NSA_18transform_iteratorI7is_evenItENSC_INSA_10device_ptrItEEEESG_SG_EENS0_5tupleIJPtSJ_EEENSR_IJSJ_SJ_EEES6_PlJS6_EEE10hipError_tPvRmT3_T4_T5_T6_T7_T9_mT8_P12ihipStream_tbDpT10_ENKUlT_T0_E_clISt17integral_constantIbLb0EES1F_EEDaS1A_S1B_EUlS1A_E_NS1_11comp_targetILNS1_3genE0ELNS1_11target_archE4294967295ELNS1_3gpuE0ELNS1_3repE0EEENS1_30default_config_static_selectorELNS0_4arch9wavefront6targetE1EEEvT1_
; %bb.0:
	.section	.rodata,"a",@progbits
	.p2align	6, 0x0
	.amdhsa_kernel _ZN7rocprim17ROCPRIM_400000_NS6detail17trampoline_kernelINS0_14default_configENS1_25partition_config_selectorILNS1_17partition_subalgoE2EtNS0_10empty_typeEbEEZZNS1_14partition_implILS5_2ELb0ES3_jN6thrust23THRUST_200600_302600_NS6detail15normal_iteratorINSA_7pointerItNSA_11hip_rocprim3tagENSA_11use_defaultESG_EEEEPS6_NSA_18transform_iteratorI7is_evenItENSC_INSA_10device_ptrItEEEESG_SG_EENS0_5tupleIJPtSJ_EEENSR_IJSJ_SJ_EEES6_PlJS6_EEE10hipError_tPvRmT3_T4_T5_T6_T7_T9_mT8_P12ihipStream_tbDpT10_ENKUlT_T0_E_clISt17integral_constantIbLb0EES1F_EEDaS1A_S1B_EUlS1A_E_NS1_11comp_targetILNS1_3genE0ELNS1_11target_archE4294967295ELNS1_3gpuE0ELNS1_3repE0EEENS1_30default_config_static_selectorELNS0_4arch9wavefront6targetE1EEEvT1_
		.amdhsa_group_segment_fixed_size 0
		.amdhsa_private_segment_fixed_size 0
		.amdhsa_kernarg_size 128
		.amdhsa_user_sgpr_count 6
		.amdhsa_user_sgpr_private_segment_buffer 1
		.amdhsa_user_sgpr_dispatch_ptr 0
		.amdhsa_user_sgpr_queue_ptr 0
		.amdhsa_user_sgpr_kernarg_segment_ptr 1
		.amdhsa_user_sgpr_dispatch_id 0
		.amdhsa_user_sgpr_flat_scratch_init 0
		.amdhsa_user_sgpr_kernarg_preload_length 0
		.amdhsa_user_sgpr_kernarg_preload_offset 0
		.amdhsa_user_sgpr_private_segment_size 0
		.amdhsa_uses_dynamic_stack 0
		.amdhsa_system_sgpr_private_segment_wavefront_offset 0
		.amdhsa_system_sgpr_workgroup_id_x 1
		.amdhsa_system_sgpr_workgroup_id_y 0
		.amdhsa_system_sgpr_workgroup_id_z 0
		.amdhsa_system_sgpr_workgroup_info 0
		.amdhsa_system_vgpr_workitem_id 0
		.amdhsa_next_free_vgpr 1
		.amdhsa_next_free_sgpr 0
		.amdhsa_accum_offset 4
		.amdhsa_reserve_vcc 0
		.amdhsa_reserve_flat_scratch 0
		.amdhsa_float_round_mode_32 0
		.amdhsa_float_round_mode_16_64 0
		.amdhsa_float_denorm_mode_32 3
		.amdhsa_float_denorm_mode_16_64 3
		.amdhsa_dx10_clamp 1
		.amdhsa_ieee_mode 1
		.amdhsa_fp16_overflow 0
		.amdhsa_tg_split 0
		.amdhsa_exception_fp_ieee_invalid_op 0
		.amdhsa_exception_fp_denorm_src 0
		.amdhsa_exception_fp_ieee_div_zero 0
		.amdhsa_exception_fp_ieee_overflow 0
		.amdhsa_exception_fp_ieee_underflow 0
		.amdhsa_exception_fp_ieee_inexact 0
		.amdhsa_exception_int_div_zero 0
	.end_amdhsa_kernel
	.section	.text._ZN7rocprim17ROCPRIM_400000_NS6detail17trampoline_kernelINS0_14default_configENS1_25partition_config_selectorILNS1_17partition_subalgoE2EtNS0_10empty_typeEbEEZZNS1_14partition_implILS5_2ELb0ES3_jN6thrust23THRUST_200600_302600_NS6detail15normal_iteratorINSA_7pointerItNSA_11hip_rocprim3tagENSA_11use_defaultESG_EEEEPS6_NSA_18transform_iteratorI7is_evenItENSC_INSA_10device_ptrItEEEESG_SG_EENS0_5tupleIJPtSJ_EEENSR_IJSJ_SJ_EEES6_PlJS6_EEE10hipError_tPvRmT3_T4_T5_T6_T7_T9_mT8_P12ihipStream_tbDpT10_ENKUlT_T0_E_clISt17integral_constantIbLb0EES1F_EEDaS1A_S1B_EUlS1A_E_NS1_11comp_targetILNS1_3genE0ELNS1_11target_archE4294967295ELNS1_3gpuE0ELNS1_3repE0EEENS1_30default_config_static_selectorELNS0_4arch9wavefront6targetE1EEEvT1_,"axG",@progbits,_ZN7rocprim17ROCPRIM_400000_NS6detail17trampoline_kernelINS0_14default_configENS1_25partition_config_selectorILNS1_17partition_subalgoE2EtNS0_10empty_typeEbEEZZNS1_14partition_implILS5_2ELb0ES3_jN6thrust23THRUST_200600_302600_NS6detail15normal_iteratorINSA_7pointerItNSA_11hip_rocprim3tagENSA_11use_defaultESG_EEEEPS6_NSA_18transform_iteratorI7is_evenItENSC_INSA_10device_ptrItEEEESG_SG_EENS0_5tupleIJPtSJ_EEENSR_IJSJ_SJ_EEES6_PlJS6_EEE10hipError_tPvRmT3_T4_T5_T6_T7_T9_mT8_P12ihipStream_tbDpT10_ENKUlT_T0_E_clISt17integral_constantIbLb0EES1F_EEDaS1A_S1B_EUlS1A_E_NS1_11comp_targetILNS1_3genE0ELNS1_11target_archE4294967295ELNS1_3gpuE0ELNS1_3repE0EEENS1_30default_config_static_selectorELNS0_4arch9wavefront6targetE1EEEvT1_,comdat
.Lfunc_end2070:
	.size	_ZN7rocprim17ROCPRIM_400000_NS6detail17trampoline_kernelINS0_14default_configENS1_25partition_config_selectorILNS1_17partition_subalgoE2EtNS0_10empty_typeEbEEZZNS1_14partition_implILS5_2ELb0ES3_jN6thrust23THRUST_200600_302600_NS6detail15normal_iteratorINSA_7pointerItNSA_11hip_rocprim3tagENSA_11use_defaultESG_EEEEPS6_NSA_18transform_iteratorI7is_evenItENSC_INSA_10device_ptrItEEEESG_SG_EENS0_5tupleIJPtSJ_EEENSR_IJSJ_SJ_EEES6_PlJS6_EEE10hipError_tPvRmT3_T4_T5_T6_T7_T9_mT8_P12ihipStream_tbDpT10_ENKUlT_T0_E_clISt17integral_constantIbLb0EES1F_EEDaS1A_S1B_EUlS1A_E_NS1_11comp_targetILNS1_3genE0ELNS1_11target_archE4294967295ELNS1_3gpuE0ELNS1_3repE0EEENS1_30default_config_static_selectorELNS0_4arch9wavefront6targetE1EEEvT1_, .Lfunc_end2070-_ZN7rocprim17ROCPRIM_400000_NS6detail17trampoline_kernelINS0_14default_configENS1_25partition_config_selectorILNS1_17partition_subalgoE2EtNS0_10empty_typeEbEEZZNS1_14partition_implILS5_2ELb0ES3_jN6thrust23THRUST_200600_302600_NS6detail15normal_iteratorINSA_7pointerItNSA_11hip_rocprim3tagENSA_11use_defaultESG_EEEEPS6_NSA_18transform_iteratorI7is_evenItENSC_INSA_10device_ptrItEEEESG_SG_EENS0_5tupleIJPtSJ_EEENSR_IJSJ_SJ_EEES6_PlJS6_EEE10hipError_tPvRmT3_T4_T5_T6_T7_T9_mT8_P12ihipStream_tbDpT10_ENKUlT_T0_E_clISt17integral_constantIbLb0EES1F_EEDaS1A_S1B_EUlS1A_E_NS1_11comp_targetILNS1_3genE0ELNS1_11target_archE4294967295ELNS1_3gpuE0ELNS1_3repE0EEENS1_30default_config_static_selectorELNS0_4arch9wavefront6targetE1EEEvT1_
                                        ; -- End function
	.section	.AMDGPU.csdata,"",@progbits
; Kernel info:
; codeLenInByte = 0
; NumSgprs: 4
; NumVgprs: 0
; NumAgprs: 0
; TotalNumVgprs: 0
; ScratchSize: 0
; MemoryBound: 0
; FloatMode: 240
; IeeeMode: 1
; LDSByteSize: 0 bytes/workgroup (compile time only)
; SGPRBlocks: 0
; VGPRBlocks: 0
; NumSGPRsForWavesPerEU: 4
; NumVGPRsForWavesPerEU: 1
; AccumOffset: 4
; Occupancy: 8
; WaveLimiterHint : 0
; COMPUTE_PGM_RSRC2:SCRATCH_EN: 0
; COMPUTE_PGM_RSRC2:USER_SGPR: 6
; COMPUTE_PGM_RSRC2:TRAP_HANDLER: 0
; COMPUTE_PGM_RSRC2:TGID_X_EN: 1
; COMPUTE_PGM_RSRC2:TGID_Y_EN: 0
; COMPUTE_PGM_RSRC2:TGID_Z_EN: 0
; COMPUTE_PGM_RSRC2:TIDIG_COMP_CNT: 0
; COMPUTE_PGM_RSRC3_GFX90A:ACCUM_OFFSET: 0
; COMPUTE_PGM_RSRC3_GFX90A:TG_SPLIT: 0
	.section	.text._ZN7rocprim17ROCPRIM_400000_NS6detail17trampoline_kernelINS0_14default_configENS1_25partition_config_selectorILNS1_17partition_subalgoE2EtNS0_10empty_typeEbEEZZNS1_14partition_implILS5_2ELb0ES3_jN6thrust23THRUST_200600_302600_NS6detail15normal_iteratorINSA_7pointerItNSA_11hip_rocprim3tagENSA_11use_defaultESG_EEEEPS6_NSA_18transform_iteratorI7is_evenItENSC_INSA_10device_ptrItEEEESG_SG_EENS0_5tupleIJPtSJ_EEENSR_IJSJ_SJ_EEES6_PlJS6_EEE10hipError_tPvRmT3_T4_T5_T6_T7_T9_mT8_P12ihipStream_tbDpT10_ENKUlT_T0_E_clISt17integral_constantIbLb0EES1F_EEDaS1A_S1B_EUlS1A_E_NS1_11comp_targetILNS1_3genE5ELNS1_11target_archE942ELNS1_3gpuE9ELNS1_3repE0EEENS1_30default_config_static_selectorELNS0_4arch9wavefront6targetE1EEEvT1_,"axG",@progbits,_ZN7rocprim17ROCPRIM_400000_NS6detail17trampoline_kernelINS0_14default_configENS1_25partition_config_selectorILNS1_17partition_subalgoE2EtNS0_10empty_typeEbEEZZNS1_14partition_implILS5_2ELb0ES3_jN6thrust23THRUST_200600_302600_NS6detail15normal_iteratorINSA_7pointerItNSA_11hip_rocprim3tagENSA_11use_defaultESG_EEEEPS6_NSA_18transform_iteratorI7is_evenItENSC_INSA_10device_ptrItEEEESG_SG_EENS0_5tupleIJPtSJ_EEENSR_IJSJ_SJ_EEES6_PlJS6_EEE10hipError_tPvRmT3_T4_T5_T6_T7_T9_mT8_P12ihipStream_tbDpT10_ENKUlT_T0_E_clISt17integral_constantIbLb0EES1F_EEDaS1A_S1B_EUlS1A_E_NS1_11comp_targetILNS1_3genE5ELNS1_11target_archE942ELNS1_3gpuE9ELNS1_3repE0EEENS1_30default_config_static_selectorELNS0_4arch9wavefront6targetE1EEEvT1_,comdat
	.protected	_ZN7rocprim17ROCPRIM_400000_NS6detail17trampoline_kernelINS0_14default_configENS1_25partition_config_selectorILNS1_17partition_subalgoE2EtNS0_10empty_typeEbEEZZNS1_14partition_implILS5_2ELb0ES3_jN6thrust23THRUST_200600_302600_NS6detail15normal_iteratorINSA_7pointerItNSA_11hip_rocprim3tagENSA_11use_defaultESG_EEEEPS6_NSA_18transform_iteratorI7is_evenItENSC_INSA_10device_ptrItEEEESG_SG_EENS0_5tupleIJPtSJ_EEENSR_IJSJ_SJ_EEES6_PlJS6_EEE10hipError_tPvRmT3_T4_T5_T6_T7_T9_mT8_P12ihipStream_tbDpT10_ENKUlT_T0_E_clISt17integral_constantIbLb0EES1F_EEDaS1A_S1B_EUlS1A_E_NS1_11comp_targetILNS1_3genE5ELNS1_11target_archE942ELNS1_3gpuE9ELNS1_3repE0EEENS1_30default_config_static_selectorELNS0_4arch9wavefront6targetE1EEEvT1_ ; -- Begin function _ZN7rocprim17ROCPRIM_400000_NS6detail17trampoline_kernelINS0_14default_configENS1_25partition_config_selectorILNS1_17partition_subalgoE2EtNS0_10empty_typeEbEEZZNS1_14partition_implILS5_2ELb0ES3_jN6thrust23THRUST_200600_302600_NS6detail15normal_iteratorINSA_7pointerItNSA_11hip_rocprim3tagENSA_11use_defaultESG_EEEEPS6_NSA_18transform_iteratorI7is_evenItENSC_INSA_10device_ptrItEEEESG_SG_EENS0_5tupleIJPtSJ_EEENSR_IJSJ_SJ_EEES6_PlJS6_EEE10hipError_tPvRmT3_T4_T5_T6_T7_T9_mT8_P12ihipStream_tbDpT10_ENKUlT_T0_E_clISt17integral_constantIbLb0EES1F_EEDaS1A_S1B_EUlS1A_E_NS1_11comp_targetILNS1_3genE5ELNS1_11target_archE942ELNS1_3gpuE9ELNS1_3repE0EEENS1_30default_config_static_selectorELNS0_4arch9wavefront6targetE1EEEvT1_
	.globl	_ZN7rocprim17ROCPRIM_400000_NS6detail17trampoline_kernelINS0_14default_configENS1_25partition_config_selectorILNS1_17partition_subalgoE2EtNS0_10empty_typeEbEEZZNS1_14partition_implILS5_2ELb0ES3_jN6thrust23THRUST_200600_302600_NS6detail15normal_iteratorINSA_7pointerItNSA_11hip_rocprim3tagENSA_11use_defaultESG_EEEEPS6_NSA_18transform_iteratorI7is_evenItENSC_INSA_10device_ptrItEEEESG_SG_EENS0_5tupleIJPtSJ_EEENSR_IJSJ_SJ_EEES6_PlJS6_EEE10hipError_tPvRmT3_T4_T5_T6_T7_T9_mT8_P12ihipStream_tbDpT10_ENKUlT_T0_E_clISt17integral_constantIbLb0EES1F_EEDaS1A_S1B_EUlS1A_E_NS1_11comp_targetILNS1_3genE5ELNS1_11target_archE942ELNS1_3gpuE9ELNS1_3repE0EEENS1_30default_config_static_selectorELNS0_4arch9wavefront6targetE1EEEvT1_
	.p2align	8
	.type	_ZN7rocprim17ROCPRIM_400000_NS6detail17trampoline_kernelINS0_14default_configENS1_25partition_config_selectorILNS1_17partition_subalgoE2EtNS0_10empty_typeEbEEZZNS1_14partition_implILS5_2ELb0ES3_jN6thrust23THRUST_200600_302600_NS6detail15normal_iteratorINSA_7pointerItNSA_11hip_rocprim3tagENSA_11use_defaultESG_EEEEPS6_NSA_18transform_iteratorI7is_evenItENSC_INSA_10device_ptrItEEEESG_SG_EENS0_5tupleIJPtSJ_EEENSR_IJSJ_SJ_EEES6_PlJS6_EEE10hipError_tPvRmT3_T4_T5_T6_T7_T9_mT8_P12ihipStream_tbDpT10_ENKUlT_T0_E_clISt17integral_constantIbLb0EES1F_EEDaS1A_S1B_EUlS1A_E_NS1_11comp_targetILNS1_3genE5ELNS1_11target_archE942ELNS1_3gpuE9ELNS1_3repE0EEENS1_30default_config_static_selectorELNS0_4arch9wavefront6targetE1EEEvT1_,@function
_ZN7rocprim17ROCPRIM_400000_NS6detail17trampoline_kernelINS0_14default_configENS1_25partition_config_selectorILNS1_17partition_subalgoE2EtNS0_10empty_typeEbEEZZNS1_14partition_implILS5_2ELb0ES3_jN6thrust23THRUST_200600_302600_NS6detail15normal_iteratorINSA_7pointerItNSA_11hip_rocprim3tagENSA_11use_defaultESG_EEEEPS6_NSA_18transform_iteratorI7is_evenItENSC_INSA_10device_ptrItEEEESG_SG_EENS0_5tupleIJPtSJ_EEENSR_IJSJ_SJ_EEES6_PlJS6_EEE10hipError_tPvRmT3_T4_T5_T6_T7_T9_mT8_P12ihipStream_tbDpT10_ENKUlT_T0_E_clISt17integral_constantIbLb0EES1F_EEDaS1A_S1B_EUlS1A_E_NS1_11comp_targetILNS1_3genE5ELNS1_11target_archE942ELNS1_3gpuE9ELNS1_3repE0EEENS1_30default_config_static_selectorELNS0_4arch9wavefront6targetE1EEEvT1_: ; @_ZN7rocprim17ROCPRIM_400000_NS6detail17trampoline_kernelINS0_14default_configENS1_25partition_config_selectorILNS1_17partition_subalgoE2EtNS0_10empty_typeEbEEZZNS1_14partition_implILS5_2ELb0ES3_jN6thrust23THRUST_200600_302600_NS6detail15normal_iteratorINSA_7pointerItNSA_11hip_rocprim3tagENSA_11use_defaultESG_EEEEPS6_NSA_18transform_iteratorI7is_evenItENSC_INSA_10device_ptrItEEEESG_SG_EENS0_5tupleIJPtSJ_EEENSR_IJSJ_SJ_EEES6_PlJS6_EEE10hipError_tPvRmT3_T4_T5_T6_T7_T9_mT8_P12ihipStream_tbDpT10_ENKUlT_T0_E_clISt17integral_constantIbLb0EES1F_EEDaS1A_S1B_EUlS1A_E_NS1_11comp_targetILNS1_3genE5ELNS1_11target_archE942ELNS1_3gpuE9ELNS1_3repE0EEENS1_30default_config_static_selectorELNS0_4arch9wavefront6targetE1EEEvT1_
; %bb.0:
	.section	.rodata,"a",@progbits
	.p2align	6, 0x0
	.amdhsa_kernel _ZN7rocprim17ROCPRIM_400000_NS6detail17trampoline_kernelINS0_14default_configENS1_25partition_config_selectorILNS1_17partition_subalgoE2EtNS0_10empty_typeEbEEZZNS1_14partition_implILS5_2ELb0ES3_jN6thrust23THRUST_200600_302600_NS6detail15normal_iteratorINSA_7pointerItNSA_11hip_rocprim3tagENSA_11use_defaultESG_EEEEPS6_NSA_18transform_iteratorI7is_evenItENSC_INSA_10device_ptrItEEEESG_SG_EENS0_5tupleIJPtSJ_EEENSR_IJSJ_SJ_EEES6_PlJS6_EEE10hipError_tPvRmT3_T4_T5_T6_T7_T9_mT8_P12ihipStream_tbDpT10_ENKUlT_T0_E_clISt17integral_constantIbLb0EES1F_EEDaS1A_S1B_EUlS1A_E_NS1_11comp_targetILNS1_3genE5ELNS1_11target_archE942ELNS1_3gpuE9ELNS1_3repE0EEENS1_30default_config_static_selectorELNS0_4arch9wavefront6targetE1EEEvT1_
		.amdhsa_group_segment_fixed_size 0
		.amdhsa_private_segment_fixed_size 0
		.amdhsa_kernarg_size 128
		.amdhsa_user_sgpr_count 6
		.amdhsa_user_sgpr_private_segment_buffer 1
		.amdhsa_user_sgpr_dispatch_ptr 0
		.amdhsa_user_sgpr_queue_ptr 0
		.amdhsa_user_sgpr_kernarg_segment_ptr 1
		.amdhsa_user_sgpr_dispatch_id 0
		.amdhsa_user_sgpr_flat_scratch_init 0
		.amdhsa_user_sgpr_kernarg_preload_length 0
		.amdhsa_user_sgpr_kernarg_preload_offset 0
		.amdhsa_user_sgpr_private_segment_size 0
		.amdhsa_uses_dynamic_stack 0
		.amdhsa_system_sgpr_private_segment_wavefront_offset 0
		.amdhsa_system_sgpr_workgroup_id_x 1
		.amdhsa_system_sgpr_workgroup_id_y 0
		.amdhsa_system_sgpr_workgroup_id_z 0
		.amdhsa_system_sgpr_workgroup_info 0
		.amdhsa_system_vgpr_workitem_id 0
		.amdhsa_next_free_vgpr 1
		.amdhsa_next_free_sgpr 0
		.amdhsa_accum_offset 4
		.amdhsa_reserve_vcc 0
		.amdhsa_reserve_flat_scratch 0
		.amdhsa_float_round_mode_32 0
		.amdhsa_float_round_mode_16_64 0
		.amdhsa_float_denorm_mode_32 3
		.amdhsa_float_denorm_mode_16_64 3
		.amdhsa_dx10_clamp 1
		.amdhsa_ieee_mode 1
		.amdhsa_fp16_overflow 0
		.amdhsa_tg_split 0
		.amdhsa_exception_fp_ieee_invalid_op 0
		.amdhsa_exception_fp_denorm_src 0
		.amdhsa_exception_fp_ieee_div_zero 0
		.amdhsa_exception_fp_ieee_overflow 0
		.amdhsa_exception_fp_ieee_underflow 0
		.amdhsa_exception_fp_ieee_inexact 0
		.amdhsa_exception_int_div_zero 0
	.end_amdhsa_kernel
	.section	.text._ZN7rocprim17ROCPRIM_400000_NS6detail17trampoline_kernelINS0_14default_configENS1_25partition_config_selectorILNS1_17partition_subalgoE2EtNS0_10empty_typeEbEEZZNS1_14partition_implILS5_2ELb0ES3_jN6thrust23THRUST_200600_302600_NS6detail15normal_iteratorINSA_7pointerItNSA_11hip_rocprim3tagENSA_11use_defaultESG_EEEEPS6_NSA_18transform_iteratorI7is_evenItENSC_INSA_10device_ptrItEEEESG_SG_EENS0_5tupleIJPtSJ_EEENSR_IJSJ_SJ_EEES6_PlJS6_EEE10hipError_tPvRmT3_T4_T5_T6_T7_T9_mT8_P12ihipStream_tbDpT10_ENKUlT_T0_E_clISt17integral_constantIbLb0EES1F_EEDaS1A_S1B_EUlS1A_E_NS1_11comp_targetILNS1_3genE5ELNS1_11target_archE942ELNS1_3gpuE9ELNS1_3repE0EEENS1_30default_config_static_selectorELNS0_4arch9wavefront6targetE1EEEvT1_,"axG",@progbits,_ZN7rocprim17ROCPRIM_400000_NS6detail17trampoline_kernelINS0_14default_configENS1_25partition_config_selectorILNS1_17partition_subalgoE2EtNS0_10empty_typeEbEEZZNS1_14partition_implILS5_2ELb0ES3_jN6thrust23THRUST_200600_302600_NS6detail15normal_iteratorINSA_7pointerItNSA_11hip_rocprim3tagENSA_11use_defaultESG_EEEEPS6_NSA_18transform_iteratorI7is_evenItENSC_INSA_10device_ptrItEEEESG_SG_EENS0_5tupleIJPtSJ_EEENSR_IJSJ_SJ_EEES6_PlJS6_EEE10hipError_tPvRmT3_T4_T5_T6_T7_T9_mT8_P12ihipStream_tbDpT10_ENKUlT_T0_E_clISt17integral_constantIbLb0EES1F_EEDaS1A_S1B_EUlS1A_E_NS1_11comp_targetILNS1_3genE5ELNS1_11target_archE942ELNS1_3gpuE9ELNS1_3repE0EEENS1_30default_config_static_selectorELNS0_4arch9wavefront6targetE1EEEvT1_,comdat
.Lfunc_end2071:
	.size	_ZN7rocprim17ROCPRIM_400000_NS6detail17trampoline_kernelINS0_14default_configENS1_25partition_config_selectorILNS1_17partition_subalgoE2EtNS0_10empty_typeEbEEZZNS1_14partition_implILS5_2ELb0ES3_jN6thrust23THRUST_200600_302600_NS6detail15normal_iteratorINSA_7pointerItNSA_11hip_rocprim3tagENSA_11use_defaultESG_EEEEPS6_NSA_18transform_iteratorI7is_evenItENSC_INSA_10device_ptrItEEEESG_SG_EENS0_5tupleIJPtSJ_EEENSR_IJSJ_SJ_EEES6_PlJS6_EEE10hipError_tPvRmT3_T4_T5_T6_T7_T9_mT8_P12ihipStream_tbDpT10_ENKUlT_T0_E_clISt17integral_constantIbLb0EES1F_EEDaS1A_S1B_EUlS1A_E_NS1_11comp_targetILNS1_3genE5ELNS1_11target_archE942ELNS1_3gpuE9ELNS1_3repE0EEENS1_30default_config_static_selectorELNS0_4arch9wavefront6targetE1EEEvT1_, .Lfunc_end2071-_ZN7rocprim17ROCPRIM_400000_NS6detail17trampoline_kernelINS0_14default_configENS1_25partition_config_selectorILNS1_17partition_subalgoE2EtNS0_10empty_typeEbEEZZNS1_14partition_implILS5_2ELb0ES3_jN6thrust23THRUST_200600_302600_NS6detail15normal_iteratorINSA_7pointerItNSA_11hip_rocprim3tagENSA_11use_defaultESG_EEEEPS6_NSA_18transform_iteratorI7is_evenItENSC_INSA_10device_ptrItEEEESG_SG_EENS0_5tupleIJPtSJ_EEENSR_IJSJ_SJ_EEES6_PlJS6_EEE10hipError_tPvRmT3_T4_T5_T6_T7_T9_mT8_P12ihipStream_tbDpT10_ENKUlT_T0_E_clISt17integral_constantIbLb0EES1F_EEDaS1A_S1B_EUlS1A_E_NS1_11comp_targetILNS1_3genE5ELNS1_11target_archE942ELNS1_3gpuE9ELNS1_3repE0EEENS1_30default_config_static_selectorELNS0_4arch9wavefront6targetE1EEEvT1_
                                        ; -- End function
	.section	.AMDGPU.csdata,"",@progbits
; Kernel info:
; codeLenInByte = 0
; NumSgprs: 4
; NumVgprs: 0
; NumAgprs: 0
; TotalNumVgprs: 0
; ScratchSize: 0
; MemoryBound: 0
; FloatMode: 240
; IeeeMode: 1
; LDSByteSize: 0 bytes/workgroup (compile time only)
; SGPRBlocks: 0
; VGPRBlocks: 0
; NumSGPRsForWavesPerEU: 4
; NumVGPRsForWavesPerEU: 1
; AccumOffset: 4
; Occupancy: 8
; WaveLimiterHint : 0
; COMPUTE_PGM_RSRC2:SCRATCH_EN: 0
; COMPUTE_PGM_RSRC2:USER_SGPR: 6
; COMPUTE_PGM_RSRC2:TRAP_HANDLER: 0
; COMPUTE_PGM_RSRC2:TGID_X_EN: 1
; COMPUTE_PGM_RSRC2:TGID_Y_EN: 0
; COMPUTE_PGM_RSRC2:TGID_Z_EN: 0
; COMPUTE_PGM_RSRC2:TIDIG_COMP_CNT: 0
; COMPUTE_PGM_RSRC3_GFX90A:ACCUM_OFFSET: 0
; COMPUTE_PGM_RSRC3_GFX90A:TG_SPLIT: 0
	.section	.text._ZN7rocprim17ROCPRIM_400000_NS6detail17trampoline_kernelINS0_14default_configENS1_25partition_config_selectorILNS1_17partition_subalgoE2EtNS0_10empty_typeEbEEZZNS1_14partition_implILS5_2ELb0ES3_jN6thrust23THRUST_200600_302600_NS6detail15normal_iteratorINSA_7pointerItNSA_11hip_rocprim3tagENSA_11use_defaultESG_EEEEPS6_NSA_18transform_iteratorI7is_evenItENSC_INSA_10device_ptrItEEEESG_SG_EENS0_5tupleIJPtSJ_EEENSR_IJSJ_SJ_EEES6_PlJS6_EEE10hipError_tPvRmT3_T4_T5_T6_T7_T9_mT8_P12ihipStream_tbDpT10_ENKUlT_T0_E_clISt17integral_constantIbLb0EES1F_EEDaS1A_S1B_EUlS1A_E_NS1_11comp_targetILNS1_3genE4ELNS1_11target_archE910ELNS1_3gpuE8ELNS1_3repE0EEENS1_30default_config_static_selectorELNS0_4arch9wavefront6targetE1EEEvT1_,"axG",@progbits,_ZN7rocprim17ROCPRIM_400000_NS6detail17trampoline_kernelINS0_14default_configENS1_25partition_config_selectorILNS1_17partition_subalgoE2EtNS0_10empty_typeEbEEZZNS1_14partition_implILS5_2ELb0ES3_jN6thrust23THRUST_200600_302600_NS6detail15normal_iteratorINSA_7pointerItNSA_11hip_rocprim3tagENSA_11use_defaultESG_EEEEPS6_NSA_18transform_iteratorI7is_evenItENSC_INSA_10device_ptrItEEEESG_SG_EENS0_5tupleIJPtSJ_EEENSR_IJSJ_SJ_EEES6_PlJS6_EEE10hipError_tPvRmT3_T4_T5_T6_T7_T9_mT8_P12ihipStream_tbDpT10_ENKUlT_T0_E_clISt17integral_constantIbLb0EES1F_EEDaS1A_S1B_EUlS1A_E_NS1_11comp_targetILNS1_3genE4ELNS1_11target_archE910ELNS1_3gpuE8ELNS1_3repE0EEENS1_30default_config_static_selectorELNS0_4arch9wavefront6targetE1EEEvT1_,comdat
	.protected	_ZN7rocprim17ROCPRIM_400000_NS6detail17trampoline_kernelINS0_14default_configENS1_25partition_config_selectorILNS1_17partition_subalgoE2EtNS0_10empty_typeEbEEZZNS1_14partition_implILS5_2ELb0ES3_jN6thrust23THRUST_200600_302600_NS6detail15normal_iteratorINSA_7pointerItNSA_11hip_rocprim3tagENSA_11use_defaultESG_EEEEPS6_NSA_18transform_iteratorI7is_evenItENSC_INSA_10device_ptrItEEEESG_SG_EENS0_5tupleIJPtSJ_EEENSR_IJSJ_SJ_EEES6_PlJS6_EEE10hipError_tPvRmT3_T4_T5_T6_T7_T9_mT8_P12ihipStream_tbDpT10_ENKUlT_T0_E_clISt17integral_constantIbLb0EES1F_EEDaS1A_S1B_EUlS1A_E_NS1_11comp_targetILNS1_3genE4ELNS1_11target_archE910ELNS1_3gpuE8ELNS1_3repE0EEENS1_30default_config_static_selectorELNS0_4arch9wavefront6targetE1EEEvT1_ ; -- Begin function _ZN7rocprim17ROCPRIM_400000_NS6detail17trampoline_kernelINS0_14default_configENS1_25partition_config_selectorILNS1_17partition_subalgoE2EtNS0_10empty_typeEbEEZZNS1_14partition_implILS5_2ELb0ES3_jN6thrust23THRUST_200600_302600_NS6detail15normal_iteratorINSA_7pointerItNSA_11hip_rocprim3tagENSA_11use_defaultESG_EEEEPS6_NSA_18transform_iteratorI7is_evenItENSC_INSA_10device_ptrItEEEESG_SG_EENS0_5tupleIJPtSJ_EEENSR_IJSJ_SJ_EEES6_PlJS6_EEE10hipError_tPvRmT3_T4_T5_T6_T7_T9_mT8_P12ihipStream_tbDpT10_ENKUlT_T0_E_clISt17integral_constantIbLb0EES1F_EEDaS1A_S1B_EUlS1A_E_NS1_11comp_targetILNS1_3genE4ELNS1_11target_archE910ELNS1_3gpuE8ELNS1_3repE0EEENS1_30default_config_static_selectorELNS0_4arch9wavefront6targetE1EEEvT1_
	.globl	_ZN7rocprim17ROCPRIM_400000_NS6detail17trampoline_kernelINS0_14default_configENS1_25partition_config_selectorILNS1_17partition_subalgoE2EtNS0_10empty_typeEbEEZZNS1_14partition_implILS5_2ELb0ES3_jN6thrust23THRUST_200600_302600_NS6detail15normal_iteratorINSA_7pointerItNSA_11hip_rocprim3tagENSA_11use_defaultESG_EEEEPS6_NSA_18transform_iteratorI7is_evenItENSC_INSA_10device_ptrItEEEESG_SG_EENS0_5tupleIJPtSJ_EEENSR_IJSJ_SJ_EEES6_PlJS6_EEE10hipError_tPvRmT3_T4_T5_T6_T7_T9_mT8_P12ihipStream_tbDpT10_ENKUlT_T0_E_clISt17integral_constantIbLb0EES1F_EEDaS1A_S1B_EUlS1A_E_NS1_11comp_targetILNS1_3genE4ELNS1_11target_archE910ELNS1_3gpuE8ELNS1_3repE0EEENS1_30default_config_static_selectorELNS0_4arch9wavefront6targetE1EEEvT1_
	.p2align	8
	.type	_ZN7rocprim17ROCPRIM_400000_NS6detail17trampoline_kernelINS0_14default_configENS1_25partition_config_selectorILNS1_17partition_subalgoE2EtNS0_10empty_typeEbEEZZNS1_14partition_implILS5_2ELb0ES3_jN6thrust23THRUST_200600_302600_NS6detail15normal_iteratorINSA_7pointerItNSA_11hip_rocprim3tagENSA_11use_defaultESG_EEEEPS6_NSA_18transform_iteratorI7is_evenItENSC_INSA_10device_ptrItEEEESG_SG_EENS0_5tupleIJPtSJ_EEENSR_IJSJ_SJ_EEES6_PlJS6_EEE10hipError_tPvRmT3_T4_T5_T6_T7_T9_mT8_P12ihipStream_tbDpT10_ENKUlT_T0_E_clISt17integral_constantIbLb0EES1F_EEDaS1A_S1B_EUlS1A_E_NS1_11comp_targetILNS1_3genE4ELNS1_11target_archE910ELNS1_3gpuE8ELNS1_3repE0EEENS1_30default_config_static_selectorELNS0_4arch9wavefront6targetE1EEEvT1_,@function
_ZN7rocprim17ROCPRIM_400000_NS6detail17trampoline_kernelINS0_14default_configENS1_25partition_config_selectorILNS1_17partition_subalgoE2EtNS0_10empty_typeEbEEZZNS1_14partition_implILS5_2ELb0ES3_jN6thrust23THRUST_200600_302600_NS6detail15normal_iteratorINSA_7pointerItNSA_11hip_rocprim3tagENSA_11use_defaultESG_EEEEPS6_NSA_18transform_iteratorI7is_evenItENSC_INSA_10device_ptrItEEEESG_SG_EENS0_5tupleIJPtSJ_EEENSR_IJSJ_SJ_EEES6_PlJS6_EEE10hipError_tPvRmT3_T4_T5_T6_T7_T9_mT8_P12ihipStream_tbDpT10_ENKUlT_T0_E_clISt17integral_constantIbLb0EES1F_EEDaS1A_S1B_EUlS1A_E_NS1_11comp_targetILNS1_3genE4ELNS1_11target_archE910ELNS1_3gpuE8ELNS1_3repE0EEENS1_30default_config_static_selectorELNS0_4arch9wavefront6targetE1EEEvT1_: ; @_ZN7rocprim17ROCPRIM_400000_NS6detail17trampoline_kernelINS0_14default_configENS1_25partition_config_selectorILNS1_17partition_subalgoE2EtNS0_10empty_typeEbEEZZNS1_14partition_implILS5_2ELb0ES3_jN6thrust23THRUST_200600_302600_NS6detail15normal_iteratorINSA_7pointerItNSA_11hip_rocprim3tagENSA_11use_defaultESG_EEEEPS6_NSA_18transform_iteratorI7is_evenItENSC_INSA_10device_ptrItEEEESG_SG_EENS0_5tupleIJPtSJ_EEENSR_IJSJ_SJ_EEES6_PlJS6_EEE10hipError_tPvRmT3_T4_T5_T6_T7_T9_mT8_P12ihipStream_tbDpT10_ENKUlT_T0_E_clISt17integral_constantIbLb0EES1F_EEDaS1A_S1B_EUlS1A_E_NS1_11comp_targetILNS1_3genE4ELNS1_11target_archE910ELNS1_3gpuE8ELNS1_3repE0EEENS1_30default_config_static_selectorELNS0_4arch9wavefront6targetE1EEEvT1_
; %bb.0:
	s_load_dwordx4 s[24:27], s[4:5], 0x8
	s_load_dwordx2 s[2:3], s[4:5], 0x20
	s_load_dwordx2 s[28:29], s[4:5], 0x60
	s_load_dwordx4 s[20:23], s[4:5], 0x50
	s_load_dword s0, s[4:5], 0x78
	s_waitcnt lgkmcnt(0)
	s_lshl_b64 s[8:9], s[26:27], 1
	s_add_u32 s7, s24, s8
	s_addc_u32 s12, s25, s9
	s_load_dwordx2 s[30:31], s[22:23], 0x0
	s_add_i32 s10, s0, -1
	s_mulk_i32 s0, 0x1400
	s_add_i32 s1, s0, s26
	s_sub_i32 s33, s28, s1
	s_addk_i32 s33, 0x1400
	s_add_u32 s0, s26, s0
	s_addc_u32 s1, s27, 0
	s_cmp_eq_u32 s6, s10
	v_pk_mov_b32 v[2:3], s[28:29], s[28:29] op_sel:[0,1]
	s_cselect_b64 s[22:23], -1, 0
	s_cmp_lg_u32 s6, s10
	s_mul_i32 s24, s6, 0x1400
	s_mov_b32 s25, 0
	v_cmp_lt_u64_e32 vcc, s[0:1], v[2:3]
	s_cselect_b64 s[0:1], -1, 0
	s_or_b64 s[34:35], s[0:1], vcc
	s_lshl_b64 s[10:11], s[24:25], 1
	s_add_u32 s7, s7, s10
	s_addc_u32 s14, s12, s11
	s_mov_b64 s[0:1], -1
	s_and_b64 vcc, exec, s[34:35]
	v_lshlrev_b32_e32 v1, 1, v0
	s_cbranch_vccz .LBB2072_2
; %bb.1:
	v_mov_b32_e32 v3, s14
	v_add_co_u32_e32 v2, vcc, s7, v1
	v_addc_co_u32_e32 v3, vcc, 0, v3, vcc
	v_add_co_u32_e32 v4, vcc, 0x1000, v2
	v_addc_co_u32_e32 v5, vcc, 0, v3, vcc
	flat_load_ushort v6, v[2:3]
	flat_load_ushort v7, v[2:3] offset:512
	flat_load_ushort v8, v[2:3] offset:1024
	;; [unrolled: 1-line block ×7, first 2 shown]
	v_add_co_u32_e32 v2, vcc, 0x2000, v2
	v_addc_co_u32_e32 v3, vcc, 0, v3, vcc
	flat_load_ushort v14, v[4:5]
	flat_load_ushort v15, v[4:5] offset:512
	flat_load_ushort v16, v[4:5] offset:1024
	;; [unrolled: 1-line block ×7, first 2 shown]
	s_nop 0
	flat_load_ushort v4, v[2:3]
	flat_load_ushort v5, v[2:3] offset:512
	flat_load_ushort v22, v[2:3] offset:1024
	;; [unrolled: 1-line block ×3, first 2 shown]
	s_mov_b64 s[0:1], 0
	s_waitcnt vmcnt(0) lgkmcnt(0)
	ds_write_b16 v1, v6
	ds_write_b16 v1, v7 offset:512
	ds_write_b16 v1, v8 offset:1024
	ds_write_b16 v1, v9 offset:1536
	ds_write_b16 v1, v10 offset:2048
	ds_write_b16 v1, v11 offset:2560
	ds_write_b16 v1, v12 offset:3072
	ds_write_b16 v1, v13 offset:3584
	ds_write_b16 v1, v14 offset:4096
	ds_write_b16 v1, v15 offset:4608
	ds_write_b16 v1, v16 offset:5120
	ds_write_b16 v1, v17 offset:5632
	ds_write_b16 v1, v18 offset:6144
	ds_write_b16 v1, v19 offset:6656
	ds_write_b16 v1, v20 offset:7168
	ds_write_b16 v1, v21 offset:7680
	ds_write_b16 v1, v4 offset:8192
	ds_write_b16 v1, v5 offset:8704
	ds_write_b16 v1, v22 offset:9216
	ds_write_b16 v1, v23 offset:9728
	s_waitcnt lgkmcnt(0)
	s_barrier
.LBB2072_2:
	s_andn2_b64 vcc, exec, s[0:1]
	v_cmp_gt_u32_e64 s[0:1], s33, v0
	s_cbranch_vccnz .LBB2072_44
; %bb.3:
                                        ; implicit-def: $vgpr2
	s_and_saveexec_b64 s[12:13], s[0:1]
	s_cbranch_execz .LBB2072_5
; %bb.4:
	v_mov_b32_e32 v3, s14
	v_add_co_u32_e32 v2, vcc, s7, v1
	v_addc_co_u32_e32 v3, vcc, 0, v3, vcc
	flat_load_ushort v2, v[2:3]
.LBB2072_5:
	s_or_b64 exec, exec, s[12:13]
	v_or_b32_e32 v3, 0x100, v0
	v_cmp_gt_u32_e32 vcc, s33, v3
                                        ; implicit-def: $vgpr3
	s_and_saveexec_b64 s[0:1], vcc
	s_cbranch_execz .LBB2072_7
; %bb.6:
	v_mov_b32_e32 v3, s14
	v_add_co_u32_e32 v4, vcc, s7, v1
	v_addc_co_u32_e32 v5, vcc, 0, v3, vcc
	flat_load_ushort v3, v[4:5] offset:512
.LBB2072_7:
	s_or_b64 exec, exec, s[0:1]
	v_or_b32_e32 v4, 0x200, v0
	v_cmp_gt_u32_e32 vcc, s33, v4
                                        ; implicit-def: $vgpr4
	s_and_saveexec_b64 s[0:1], vcc
	s_cbranch_execz .LBB2072_9
; %bb.8:
	v_mov_b32_e32 v5, s14
	v_add_co_u32_e32 v4, vcc, s7, v1
	v_addc_co_u32_e32 v5, vcc, 0, v5, vcc
	flat_load_ushort v4, v[4:5] offset:1024
.LBB2072_9:
	s_or_b64 exec, exec, s[0:1]
	v_or_b32_e32 v5, 0x300, v0
	v_cmp_gt_u32_e32 vcc, s33, v5
                                        ; implicit-def: $vgpr5
	s_and_saveexec_b64 s[0:1], vcc
	s_cbranch_execz .LBB2072_11
; %bb.10:
	v_mov_b32_e32 v5, s14
	v_add_co_u32_e32 v6, vcc, s7, v1
	v_addc_co_u32_e32 v7, vcc, 0, v5, vcc
	flat_load_ushort v5, v[6:7] offset:1536
.LBB2072_11:
	s_or_b64 exec, exec, s[0:1]
	v_or_b32_e32 v6, 0x400, v0
	v_cmp_gt_u32_e32 vcc, s33, v6
                                        ; implicit-def: $vgpr6
	s_and_saveexec_b64 s[0:1], vcc
	s_cbranch_execz .LBB2072_13
; %bb.12:
	v_mov_b32_e32 v7, s14
	v_add_co_u32_e32 v6, vcc, s7, v1
	v_addc_co_u32_e32 v7, vcc, 0, v7, vcc
	flat_load_ushort v6, v[6:7] offset:2048
.LBB2072_13:
	s_or_b64 exec, exec, s[0:1]
	v_or_b32_e32 v7, 0x500, v0
	v_cmp_gt_u32_e32 vcc, s33, v7
                                        ; implicit-def: $vgpr7
	s_and_saveexec_b64 s[0:1], vcc
	s_cbranch_execz .LBB2072_15
; %bb.14:
	v_mov_b32_e32 v7, s14
	v_add_co_u32_e32 v8, vcc, s7, v1
	v_addc_co_u32_e32 v9, vcc, 0, v7, vcc
	flat_load_ushort v7, v[8:9] offset:2560
.LBB2072_15:
	s_or_b64 exec, exec, s[0:1]
	v_or_b32_e32 v8, 0x600, v0
	v_cmp_gt_u32_e32 vcc, s33, v8
                                        ; implicit-def: $vgpr8
	s_and_saveexec_b64 s[0:1], vcc
	s_cbranch_execz .LBB2072_17
; %bb.16:
	v_mov_b32_e32 v9, s14
	v_add_co_u32_e32 v8, vcc, s7, v1
	v_addc_co_u32_e32 v9, vcc, 0, v9, vcc
	flat_load_ushort v8, v[8:9] offset:3072
.LBB2072_17:
	s_or_b64 exec, exec, s[0:1]
	v_or_b32_e32 v9, 0x700, v0
	v_cmp_gt_u32_e32 vcc, s33, v9
                                        ; implicit-def: $vgpr9
	s_and_saveexec_b64 s[0:1], vcc
	s_cbranch_execz .LBB2072_19
; %bb.18:
	v_mov_b32_e32 v9, s14
	v_add_co_u32_e32 v10, vcc, s7, v1
	v_addc_co_u32_e32 v11, vcc, 0, v9, vcc
	flat_load_ushort v9, v[10:11] offset:3584
.LBB2072_19:
	s_or_b64 exec, exec, s[0:1]
	v_or_b32_e32 v11, 0x800, v0
	v_cmp_gt_u32_e32 vcc, s33, v11
                                        ; implicit-def: $vgpr10
	s_and_saveexec_b64 s[0:1], vcc
	s_cbranch_execz .LBB2072_21
; %bb.20:
	v_lshlrev_b32_e32 v10, 1, v11
	v_mov_b32_e32 v11, s14
	v_add_co_u32_e32 v10, vcc, s7, v10
	v_addc_co_u32_e32 v11, vcc, 0, v11, vcc
	flat_load_ushort v10, v[10:11]
.LBB2072_21:
	s_or_b64 exec, exec, s[0:1]
	v_or_b32_e32 v12, 0x900, v0
	v_cmp_gt_u32_e32 vcc, s33, v12
                                        ; implicit-def: $vgpr11
	s_and_saveexec_b64 s[0:1], vcc
	s_cbranch_execz .LBB2072_23
; %bb.22:
	v_lshlrev_b32_e32 v11, 1, v12
	v_mov_b32_e32 v13, s14
	v_add_co_u32_e32 v12, vcc, s7, v11
	v_addc_co_u32_e32 v13, vcc, 0, v13, vcc
	flat_load_ushort v11, v[12:13]
.LBB2072_23:
	s_or_b64 exec, exec, s[0:1]
	v_or_b32_e32 v13, 0xa00, v0
	v_cmp_gt_u32_e32 vcc, s33, v13
                                        ; implicit-def: $vgpr12
	s_and_saveexec_b64 s[0:1], vcc
	s_cbranch_execz .LBB2072_25
; %bb.24:
	v_lshlrev_b32_e32 v12, 1, v13
	v_mov_b32_e32 v13, s14
	v_add_co_u32_e32 v12, vcc, s7, v12
	v_addc_co_u32_e32 v13, vcc, 0, v13, vcc
	flat_load_ushort v12, v[12:13]
.LBB2072_25:
	s_or_b64 exec, exec, s[0:1]
	v_or_b32_e32 v14, 0xb00, v0
	v_cmp_gt_u32_e32 vcc, s33, v14
                                        ; implicit-def: $vgpr13
	s_and_saveexec_b64 s[0:1], vcc
	s_cbranch_execz .LBB2072_27
; %bb.26:
	v_lshlrev_b32_e32 v13, 1, v14
	v_mov_b32_e32 v15, s14
	v_add_co_u32_e32 v14, vcc, s7, v13
	v_addc_co_u32_e32 v15, vcc, 0, v15, vcc
	flat_load_ushort v13, v[14:15]
.LBB2072_27:
	s_or_b64 exec, exec, s[0:1]
	v_or_b32_e32 v15, 0xc00, v0
	v_cmp_gt_u32_e32 vcc, s33, v15
                                        ; implicit-def: $vgpr14
	s_and_saveexec_b64 s[0:1], vcc
	s_cbranch_execz .LBB2072_29
; %bb.28:
	v_lshlrev_b32_e32 v14, 1, v15
	v_mov_b32_e32 v15, s14
	v_add_co_u32_e32 v14, vcc, s7, v14
	v_addc_co_u32_e32 v15, vcc, 0, v15, vcc
	flat_load_ushort v14, v[14:15]
.LBB2072_29:
	s_or_b64 exec, exec, s[0:1]
	v_or_b32_e32 v16, 0xd00, v0
	v_cmp_gt_u32_e32 vcc, s33, v16
                                        ; implicit-def: $vgpr15
	s_and_saveexec_b64 s[0:1], vcc
	s_cbranch_execz .LBB2072_31
; %bb.30:
	v_lshlrev_b32_e32 v15, 1, v16
	v_mov_b32_e32 v17, s14
	v_add_co_u32_e32 v16, vcc, s7, v15
	v_addc_co_u32_e32 v17, vcc, 0, v17, vcc
	flat_load_ushort v15, v[16:17]
.LBB2072_31:
	s_or_b64 exec, exec, s[0:1]
	v_or_b32_e32 v17, 0xe00, v0
	v_cmp_gt_u32_e32 vcc, s33, v17
                                        ; implicit-def: $vgpr16
	s_and_saveexec_b64 s[0:1], vcc
	s_cbranch_execz .LBB2072_33
; %bb.32:
	v_lshlrev_b32_e32 v16, 1, v17
	v_mov_b32_e32 v17, s14
	v_add_co_u32_e32 v16, vcc, s7, v16
	v_addc_co_u32_e32 v17, vcc, 0, v17, vcc
	flat_load_ushort v16, v[16:17]
.LBB2072_33:
	s_or_b64 exec, exec, s[0:1]
	v_or_b32_e32 v18, 0xf00, v0
	v_cmp_gt_u32_e32 vcc, s33, v18
                                        ; implicit-def: $vgpr17
	s_and_saveexec_b64 s[0:1], vcc
	s_cbranch_execz .LBB2072_35
; %bb.34:
	v_lshlrev_b32_e32 v17, 1, v18
	v_mov_b32_e32 v19, s14
	v_add_co_u32_e32 v18, vcc, s7, v17
	v_addc_co_u32_e32 v19, vcc, 0, v19, vcc
	flat_load_ushort v17, v[18:19]
.LBB2072_35:
	s_or_b64 exec, exec, s[0:1]
	v_or_b32_e32 v19, 0x1000, v0
	v_cmp_gt_u32_e32 vcc, s33, v19
                                        ; implicit-def: $vgpr18
	s_and_saveexec_b64 s[0:1], vcc
	s_cbranch_execz .LBB2072_37
; %bb.36:
	v_lshlrev_b32_e32 v18, 1, v19
	v_mov_b32_e32 v19, s14
	v_add_co_u32_e32 v18, vcc, s7, v18
	v_addc_co_u32_e32 v19, vcc, 0, v19, vcc
	flat_load_ushort v18, v[18:19]
.LBB2072_37:
	s_or_b64 exec, exec, s[0:1]
	v_or_b32_e32 v20, 0x1100, v0
	v_cmp_gt_u32_e32 vcc, s33, v20
                                        ; implicit-def: $vgpr19
	s_and_saveexec_b64 s[0:1], vcc
	s_cbranch_execz .LBB2072_39
; %bb.38:
	v_lshlrev_b32_e32 v19, 1, v20
	v_mov_b32_e32 v21, s14
	v_add_co_u32_e32 v20, vcc, s7, v19
	v_addc_co_u32_e32 v21, vcc, 0, v21, vcc
	flat_load_ushort v19, v[20:21]
.LBB2072_39:
	s_or_b64 exec, exec, s[0:1]
	v_or_b32_e32 v21, 0x1200, v0
	v_cmp_gt_u32_e32 vcc, s33, v21
                                        ; implicit-def: $vgpr20
	s_and_saveexec_b64 s[0:1], vcc
	s_cbranch_execz .LBB2072_41
; %bb.40:
	v_lshlrev_b32_e32 v20, 1, v21
	v_mov_b32_e32 v21, s14
	v_add_co_u32_e32 v20, vcc, s7, v20
	v_addc_co_u32_e32 v21, vcc, 0, v21, vcc
	flat_load_ushort v20, v[20:21]
.LBB2072_41:
	s_or_b64 exec, exec, s[0:1]
	v_or_b32_e32 v22, 0x1300, v0
	v_cmp_gt_u32_e32 vcc, s33, v22
                                        ; implicit-def: $vgpr21
	s_and_saveexec_b64 s[0:1], vcc
	s_cbranch_execz .LBB2072_43
; %bb.42:
	v_lshlrev_b32_e32 v21, 1, v22
	v_mov_b32_e32 v23, s14
	v_add_co_u32_e32 v22, vcc, s7, v21
	v_addc_co_u32_e32 v23, vcc, 0, v23, vcc
	flat_load_ushort v21, v[22:23]
.LBB2072_43:
	s_or_b64 exec, exec, s[0:1]
	s_waitcnt vmcnt(0) lgkmcnt(0)
	ds_write_b16 v1, v2
	ds_write_b16 v1, v3 offset:512
	ds_write_b16 v1, v4 offset:1024
	ds_write_b16 v1, v5 offset:1536
	ds_write_b16 v1, v6 offset:2048
	ds_write_b16 v1, v7 offset:2560
	ds_write_b16 v1, v8 offset:3072
	ds_write_b16 v1, v9 offset:3584
	ds_write_b16 v1, v10 offset:4096
	ds_write_b16 v1, v11 offset:4608
	ds_write_b16 v1, v12 offset:5120
	ds_write_b16 v1, v13 offset:5632
	ds_write_b16 v1, v14 offset:6144
	ds_write_b16 v1, v15 offset:6656
	ds_write_b16 v1, v16 offset:7168
	ds_write_b16 v1, v17 offset:7680
	ds_write_b16 v1, v18 offset:8192
	ds_write_b16 v1, v19 offset:8704
	ds_write_b16 v1, v20 offset:9216
	ds_write_b16 v1, v21 offset:9728
	s_waitcnt lgkmcnt(0)
	s_barrier
.LBB2072_44:
	v_mul_u32_u24_e32 v26, 20, v0
	v_lshlrev_b32_e32 v6, 1, v26
	s_waitcnt lgkmcnt(0)
	ds_read_b64 v[12:13], v6 offset:32
	ds_read2_b64 v[2:5], v6 offset0:2 offset1:3
	ds_read2_b64 v[6:9], v6 offset1:1
	s_add_u32 s0, s2, s8
	s_addc_u32 s1, s3, s9
	s_add_u32 s0, s0, s10
	s_addc_u32 s1, s1, s11
	s_mov_b64 s[2:3], -1
	s_and_b64 vcc, exec, s[34:35]
	s_waitcnt lgkmcnt(0)
	s_barrier
	s_cbranch_vccz .LBB2072_46
; %bb.45:
	v_mov_b32_e32 v10, s1
	v_add_co_u32_e32 v14, vcc, s0, v1
	s_movk_i32 s2, 0x1000
	v_addc_co_u32_e32 v15, vcc, 0, v10, vcc
	v_add_co_u32_e32 v10, vcc, s2, v14
	s_movk_i32 s3, 0x2000
	v_addc_co_u32_e32 v11, vcc, 0, v15, vcc
	global_load_ubyte v16, v1, s[0:1]
	global_load_ubyte v17, v1, s[0:1] offset:512
	global_load_ubyte v18, v1, s[0:1] offset:1024
	;; [unrolled: 1-line block ×7, first 2 shown]
	v_add_co_u32_e32 v14, vcc, s3, v14
	v_addc_co_u32_e32 v15, vcc, 0, v15, vcc
	global_load_ubyte v24, v[14:15], off offset:-4096
	global_load_ubyte v25, v[10:11], off offset:512
	global_load_ubyte v27, v[10:11], off offset:1024
	;; [unrolled: 1-line block ×7, first 2 shown]
	global_load_ubyte v33, v[14:15], off
	global_load_ubyte v34, v[14:15], off offset:512
	global_load_ubyte v35, v[14:15], off offset:1024
	;; [unrolled: 1-line block ×3, first 2 shown]
	s_mov_b64 s[2:3], 0
	s_waitcnt vmcnt(19)
	v_xor_b32_e32 v10, -1, v16
	s_waitcnt vmcnt(18)
	v_xor_b32_e32 v11, -1, v17
	;; [unrolled: 2-line block ×8, first 2 shown]
	v_and_b32_e32 v10, 1, v10
	v_and_b32_e32 v11, 1, v11
	;; [unrolled: 1-line block ×8, first 2 shown]
	ds_write_b8 v0, v10
	ds_write_b8 v0, v11 offset:256
	ds_write_b8 v0, v14 offset:512
	;; [unrolled: 1-line block ×7, first 2 shown]
	s_waitcnt vmcnt(11)
	v_xor_b32_e32 v10, -1, v24
	s_waitcnt vmcnt(10)
	v_xor_b32_e32 v11, -1, v25
	;; [unrolled: 2-line block ×12, first 2 shown]
	v_and_b32_e32 v10, 1, v10
	v_and_b32_e32 v11, 1, v11
	;; [unrolled: 1-line block ×12, first 2 shown]
	ds_write_b8 v0, v10 offset:2048
	ds_write_b8 v0, v11 offset:2304
	;; [unrolled: 1-line block ×12, first 2 shown]
	s_waitcnt lgkmcnt(0)
	s_barrier
.LBB2072_46:
	s_load_dwordx2 s[36:37], s[4:5], 0x70
	s_andn2_b64 vcc, exec, s[2:3]
	s_cbranch_vccnz .LBB2072_88
; %bb.47:
	v_cmp_gt_u32_e32 vcc, s33, v0
	v_mov_b32_e32 v10, 0
	v_mov_b32_e32 v11, 0
	s_and_saveexec_b64 s[2:3], vcc
	s_cbranch_execz .LBB2072_49
; %bb.48:
	global_load_ubyte v11, v1, s[0:1]
	s_waitcnt vmcnt(0)
	v_xor_b32_e32 v11, -1, v11
	v_and_b32_e32 v11, 1, v11
.LBB2072_49:
	s_or_b64 exec, exec, s[2:3]
	v_or_b32_e32 v14, 0x100, v0
	v_cmp_gt_u32_e32 vcc, s33, v14
	s_and_saveexec_b64 s[2:3], vcc
	s_cbranch_execz .LBB2072_51
; %bb.50:
	global_load_ubyte v10, v1, s[0:1] offset:512
	s_waitcnt vmcnt(0)
	v_xor_b32_e32 v10, -1, v10
	v_and_b32_e32 v10, 1, v10
.LBB2072_51:
	s_or_b64 exec, exec, s[2:3]
	v_or_b32_e32 v14, 0x200, v0
	v_cmp_gt_u32_e32 vcc, s33, v14
	v_mov_b32_e32 v14, 0
	v_mov_b32_e32 v15, 0
	s_and_saveexec_b64 s[2:3], vcc
	s_cbranch_execz .LBB2072_53
; %bb.52:
	global_load_ubyte v15, v1, s[0:1] offset:1024
	s_waitcnt vmcnt(0)
	v_xor_b32_e32 v15, -1, v15
	v_and_b32_e32 v15, 1, v15
.LBB2072_53:
	s_or_b64 exec, exec, s[2:3]
	v_or_b32_e32 v16, 0x300, v0
	v_cmp_gt_u32_e32 vcc, s33, v16
	s_and_saveexec_b64 s[2:3], vcc
	s_cbranch_execz .LBB2072_55
; %bb.54:
	global_load_ubyte v14, v1, s[0:1] offset:1536
	s_waitcnt vmcnt(0)
	v_xor_b32_e32 v14, -1, v14
	v_and_b32_e32 v14, 1, v14
.LBB2072_55:
	s_or_b64 exec, exec, s[2:3]
	v_or_b32_e32 v16, 0x400, v0
	v_cmp_gt_u32_e32 vcc, s33, v16
	v_mov_b32_e32 v16, 0
	v_mov_b32_e32 v17, 0
	s_and_saveexec_b64 s[2:3], vcc
	s_cbranch_execz .LBB2072_57
; %bb.56:
	global_load_ubyte v17, v1, s[0:1] offset:2048
	s_waitcnt vmcnt(0)
	v_xor_b32_e32 v17, -1, v17
	v_and_b32_e32 v17, 1, v17
.LBB2072_57:
	;; [unrolled: 24-line block ×3, first 2 shown]
	s_or_b64 exec, exec, s[2:3]
	v_or_b32_e32 v20, 0x700, v0
	v_cmp_gt_u32_e32 vcc, s33, v20
	s_and_saveexec_b64 s[2:3], vcc
	s_cbranch_execz .LBB2072_63
; %bb.62:
	global_load_ubyte v18, v1, s[0:1] offset:3584
	s_waitcnt vmcnt(0)
	v_xor_b32_e32 v18, -1, v18
	v_and_b32_e32 v18, 1, v18
.LBB2072_63:
	s_or_b64 exec, exec, s[2:3]
	v_or_b32_e32 v22, 0x800, v0
	v_cmp_gt_u32_e32 vcc, s33, v22
	v_mov_b32_e32 v20, 0
	v_mov_b32_e32 v21, 0
	s_and_saveexec_b64 s[2:3], vcc
	s_cbranch_execz .LBB2072_65
; %bb.64:
	v_lshlrev_b32_e32 v21, 1, v22
	global_load_ubyte v21, v21, s[0:1]
	s_waitcnt vmcnt(0)
	v_xor_b32_e32 v21, -1, v21
	v_and_b32_e32 v21, 1, v21
.LBB2072_65:
	s_or_b64 exec, exec, s[2:3]
	v_or_b32_e32 v22, 0x900, v0
	v_cmp_gt_u32_e32 vcc, s33, v22
	s_and_saveexec_b64 s[2:3], vcc
	s_cbranch_execz .LBB2072_67
; %bb.66:
	v_lshlrev_b32_e32 v20, 1, v22
	global_load_ubyte v20, v20, s[0:1]
	s_waitcnt vmcnt(0)
	v_xor_b32_e32 v20, -1, v20
	v_and_b32_e32 v20, 1, v20
.LBB2072_67:
	s_or_b64 exec, exec, s[2:3]
	v_or_b32_e32 v24, 0xa00, v0
	v_cmp_gt_u32_e32 vcc, s33, v24
	v_mov_b32_e32 v22, 0
	v_mov_b32_e32 v23, 0
	s_and_saveexec_b64 s[2:3], vcc
	s_cbranch_execz .LBB2072_69
; %bb.68:
	v_lshlrev_b32_e32 v23, 1, v24
	global_load_ubyte v23, v23, s[0:1]
	s_waitcnt vmcnt(0)
	v_xor_b32_e32 v23, -1, v23
	v_and_b32_e32 v23, 1, v23
.LBB2072_69:
	s_or_b64 exec, exec, s[2:3]
	v_or_b32_e32 v24, 0xb00, v0
	v_cmp_gt_u32_e32 vcc, s33, v24
	s_and_saveexec_b64 s[2:3], vcc
	s_cbranch_execz .LBB2072_71
; %bb.70:
	v_lshlrev_b32_e32 v22, 1, v24
	global_load_ubyte v22, v22, s[0:1]
	s_waitcnt vmcnt(0)
	v_xor_b32_e32 v22, -1, v22
	v_and_b32_e32 v22, 1, v22
.LBB2072_71:
	;; [unrolled: 26-line block ×6, first 2 shown]
	s_or_b64 exec, exec, s[2:3]
	ds_write_b8 v0, v11
	ds_write_b8 v0, v10 offset:256
	ds_write_b8 v0, v15 offset:512
	;; [unrolled: 1-line block ×19, first 2 shown]
	s_waitcnt lgkmcnt(0)
	s_barrier
.LBB2072_88:
	s_waitcnt lgkmcnt(0)
	ds_read2_b32 v[16:17], v26 offset1:1
	ds_read2_b32 v[14:15], v26 offset0:2 offset1:3
	ds_read_b32 v28, v26 offset:16
	s_cmp_lg_u32 s6, 0
	v_lshrrev_b32_e32 v47, 6, v0
	s_waitcnt lgkmcnt(2)
	v_lshrrev_b32_e32 v33, 24, v16
	v_bfe_u32 v45, v16, 16, 8
	v_add_u32_sdwa v10, v16, v16 dst_sel:DWORD dst_unused:UNUSED_PAD src0_sel:BYTE_1 src1_sel:BYTE_0
	v_and_b32_e32 v42, 0xff, v17
	v_bfe_u32 v43, v17, 8, 8
	v_add3_u32 v10, v10, v45, v33
	v_lshrrev_b32_e32 v32, 24, v17
	v_bfe_u32 v44, v17, 16, 8
	v_add3_u32 v10, v10, v42, v43
	s_waitcnt lgkmcnt(1)
	v_and_b32_e32 v39, 0xff, v14
	v_bfe_u32 v40, v14, 8, 8
	v_add3_u32 v10, v10, v44, v32
	v_lshrrev_b32_e32 v31, 24, v14
	v_bfe_u32 v41, v14, 16, 8
	v_add3_u32 v10, v10, v39, v40
	v_and_b32_e32 v36, 0xff, v15
	v_bfe_u32 v37, v15, 8, 8
	v_add3_u32 v10, v10, v41, v31
	v_lshrrev_b32_e32 v30, 24, v15
	v_bfe_u32 v38, v15, 16, 8
	v_add3_u32 v10, v10, v36, v37
	s_waitcnt lgkmcnt(0)
	v_and_b32_e32 v34, 0xff, v28
	v_bfe_u32 v35, v28, 8, 8
	v_add3_u32 v10, v10, v38, v30
	v_lshrrev_b32_e32 v27, 24, v28
	v_bfe_u32 v29, v28, 16, 8
	v_add3_u32 v10, v10, v34, v35
	v_add3_u32 v48, v10, v29, v27
	v_mbcnt_lo_u32_b32 v10, -1, 0
	v_mbcnt_hi_u32_b32 v46, -1, v10
	v_and_b32_e32 v10, 15, v46
	v_cmp_eq_u32_e64 s[14:15], 0, v10
	v_cmp_lt_u32_e64 s[12:13], 1, v10
	v_cmp_lt_u32_e64 s[10:11], 3, v10
	;; [unrolled: 1-line block ×3, first 2 shown]
	v_and_b32_e32 v10, 16, v46
	v_cmp_eq_u32_e64 s[18:19], 0, v10
	v_or_b32_e32 v10, 63, v0
	v_cmp_lt_u32_e64 s[0:1], 31, v46
	v_cmp_eq_u32_e64 s[2:3], v10, v0
	s_barrier
	s_cbranch_scc0 .LBB2072_115
; %bb.89:
	v_mov_b32_dpp v10, v48 row_shr:1 row_mask:0xf bank_mask:0xf
	v_cndmask_b32_e64 v10, v10, 0, s[14:15]
	v_add_u32_e32 v10, v10, v48
	s_nop 1
	v_mov_b32_dpp v11, v10 row_shr:2 row_mask:0xf bank_mask:0xf
	v_cndmask_b32_e64 v11, 0, v11, s[12:13]
	v_add_u32_e32 v10, v10, v11
	s_nop 1
	;; [unrolled: 4-line block ×4, first 2 shown]
	v_mov_b32_dpp v11, v10 row_bcast:15 row_mask:0xf bank_mask:0xf
	v_cndmask_b32_e64 v11, v11, 0, s[18:19]
	v_add_u32_e32 v10, v10, v11
	s_nop 1
	v_mov_b32_dpp v11, v10 row_bcast:31 row_mask:0xf bank_mask:0xf
	v_cndmask_b32_e64 v11, 0, v11, s[0:1]
	v_add_u32_e32 v10, v10, v11
	s_and_saveexec_b64 s[16:17], s[2:3]
	s_cbranch_execz .LBB2072_91
; %bb.90:
	v_lshlrev_b32_e32 v11, 2, v47
	ds_write_b32 v11, v10
.LBB2072_91:
	s_or_b64 exec, exec, s[16:17]
	v_cmp_gt_u32_e32 vcc, 4, v0
	s_waitcnt lgkmcnt(0)
	s_barrier
	s_and_saveexec_b64 s[16:17], vcc
	s_cbranch_execz .LBB2072_93
; %bb.92:
	v_lshlrev_b32_e32 v11, 2, v0
	ds_read_b32 v18, v11
	v_and_b32_e32 v19, 3, v46
	v_cmp_ne_u32_e32 vcc, 0, v19
	s_waitcnt lgkmcnt(0)
	v_mov_b32_dpp v20, v18 row_shr:1 row_mask:0xf bank_mask:0xf
	v_cndmask_b32_e32 v20, 0, v20, vcc
	v_add_u32_e32 v18, v20, v18
	v_cmp_lt_u32_e32 vcc, 1, v19
	s_nop 0
	v_mov_b32_dpp v20, v18 row_shr:2 row_mask:0xf bank_mask:0xf
	v_cndmask_b32_e32 v19, 0, v20, vcc
	v_add_u32_e32 v18, v18, v19
	ds_write_b32 v11, v18
.LBB2072_93:
	s_or_b64 exec, exec, s[16:17]
	v_cmp_gt_u32_e32 vcc, 64, v0
	v_cmp_lt_u32_e64 s[16:17], 63, v0
	s_waitcnt lgkmcnt(0)
	s_barrier
	s_waitcnt lgkmcnt(0)
                                        ; implicit-def: $vgpr49
	s_and_saveexec_b64 s[38:39], s[16:17]
	s_cbranch_execz .LBB2072_95
; %bb.94:
	v_lshl_add_u32 v11, v47, 2, -4
	ds_read_b32 v49, v11
	s_waitcnt lgkmcnt(0)
	v_add_u32_e32 v10, v49, v10
.LBB2072_95:
	s_or_b64 exec, exec, s[38:39]
	v_add_u32_e32 v11, -1, v46
	v_and_b32_e32 v18, 64, v46
	v_cmp_lt_i32_e64 s[16:17], v11, v18
	v_cndmask_b32_e64 v11, v11, v46, s[16:17]
	v_lshlrev_b32_e32 v11, 2, v11
	ds_bpermute_b32 v50, v11, v10
	v_cmp_eq_u32_e64 s[16:17], 0, v46
	s_and_saveexec_b64 s[38:39], vcc
	s_cbranch_execz .LBB2072_114
; %bb.96:
	v_mov_b32_e32 v23, 0
	ds_read_b32 v10, v23 offset:12
	s_and_saveexec_b64 s[40:41], s[16:17]
	s_cbranch_execz .LBB2072_98
; %bb.97:
	s_add_i32 s42, s6, 64
	s_mov_b32 s43, 0
	s_lshl_b64 s[42:43], s[42:43], 3
	s_add_u32 s42, s36, s42
	v_mov_b32_e32 v11, 1
	s_addc_u32 s43, s37, s43
	s_waitcnt lgkmcnt(0)
	global_store_dwordx2 v23, v[10:11], s[42:43]
.LBB2072_98:
	s_or_b64 exec, exec, s[40:41]
	v_xad_u32 v18, v46, -1, s6
	v_add_u32_e32 v22, 64, v18
	v_lshlrev_b64 v[20:21], 3, v[22:23]
	v_mov_b32_e32 v11, s37
	v_add_co_u32_e32 v24, vcc, s36, v20
	v_addc_co_u32_e32 v25, vcc, v11, v21, vcc
	global_load_dwordx2 v[20:21], v[24:25], off glc
	s_waitcnt vmcnt(0)
	v_cmp_eq_u16_sdwa s[42:43], v21, v23 src0_sel:BYTE_0 src1_sel:DWORD
	s_and_saveexec_b64 s[40:41], s[42:43]
	s_cbranch_execz .LBB2072_102
; %bb.99:
	s_mov_b64 s[42:43], 0
	v_mov_b32_e32 v11, 0
.LBB2072_100:                           ; =>This Inner Loop Header: Depth=1
	global_load_dwordx2 v[20:21], v[24:25], off glc
	s_waitcnt vmcnt(0)
	v_cmp_ne_u16_sdwa s[44:45], v21, v11 src0_sel:BYTE_0 src1_sel:DWORD
	s_or_b64 s[42:43], s[44:45], s[42:43]
	s_andn2_b64 exec, exec, s[42:43]
	s_cbranch_execnz .LBB2072_100
; %bb.101:
	s_or_b64 exec, exec, s[42:43]
.LBB2072_102:
	s_or_b64 exec, exec, s[40:41]
	v_and_b32_e32 v52, 63, v46
	v_mov_b32_e32 v51, 2
	v_cmp_ne_u32_e32 vcc, 63, v52
	v_cmp_eq_u16_sdwa s[40:41], v21, v51 src0_sel:BYTE_0 src1_sel:DWORD
	v_lshlrev_b64 v[22:23], v46, -1
	v_addc_co_u32_e32 v24, vcc, 0, v46, vcc
	v_and_b32_e32 v11, s41, v23
	v_lshlrev_b32_e32 v53, 2, v24
	v_or_b32_e32 v11, 0x80000000, v11
	ds_bpermute_b32 v24, v53, v20
	v_and_b32_e32 v19, s40, v22
	v_ffbl_b32_e32 v11, v11
	v_add_u32_e32 v11, 32, v11
	v_ffbl_b32_e32 v19, v19
	v_min_u32_e32 v11, v19, v11
	v_cmp_lt_u32_e32 vcc, v52, v11
	s_waitcnt lgkmcnt(0)
	v_cndmask_b32_e32 v19, 0, v24, vcc
	v_cmp_gt_u32_e32 vcc, 62, v52
	v_add_u32_e32 v19, v19, v20
	v_cndmask_b32_e64 v20, 0, 1, vcc
	v_lshlrev_b32_e32 v20, 1, v20
	v_add_lshl_u32 v54, v20, v46, 2
	ds_bpermute_b32 v20, v54, v19
	v_add_u32_e32 v55, 2, v52
	v_cmp_le_u32_e32 vcc, v55, v11
	v_add_u32_e32 v57, 4, v52
	v_add_u32_e32 v59, 8, v52
	s_waitcnt lgkmcnt(0)
	v_cndmask_b32_e32 v20, 0, v20, vcc
	v_cmp_gt_u32_e32 vcc, 60, v52
	v_add_u32_e32 v19, v19, v20
	v_cndmask_b32_e64 v20, 0, 1, vcc
	v_lshlrev_b32_e32 v20, 2, v20
	v_add_lshl_u32 v56, v20, v46, 2
	ds_bpermute_b32 v20, v56, v19
	v_cmp_le_u32_e32 vcc, v57, v11
	v_add_u32_e32 v61, 16, v52
	v_add_u32_e32 v63, 32, v52
	s_waitcnt lgkmcnt(0)
	v_cndmask_b32_e32 v20, 0, v20, vcc
	v_cmp_gt_u32_e32 vcc, 56, v52
	v_add_u32_e32 v19, v19, v20
	v_cndmask_b32_e64 v20, 0, 1, vcc
	v_lshlrev_b32_e32 v20, 3, v20
	v_add_lshl_u32 v58, v20, v46, 2
	ds_bpermute_b32 v20, v58, v19
	v_cmp_le_u32_e32 vcc, v59, v11
	s_waitcnt lgkmcnt(0)
	v_cndmask_b32_e32 v20, 0, v20, vcc
	v_cmp_gt_u32_e32 vcc, 48, v52
	v_add_u32_e32 v19, v19, v20
	v_cndmask_b32_e64 v20, 0, 1, vcc
	v_lshlrev_b32_e32 v20, 4, v20
	v_add_lshl_u32 v60, v20, v46, 2
	ds_bpermute_b32 v20, v60, v19
	v_cmp_le_u32_e32 vcc, v61, v11
	;; [unrolled: 9-line block ×3, first 2 shown]
	s_waitcnt lgkmcnt(0)
	v_cndmask_b32_e32 v11, 0, v20, vcc
	v_add_u32_e32 v20, v19, v11
	v_mov_b32_e32 v19, 0
	s_branch .LBB2072_104
.LBB2072_103:                           ;   in Loop: Header=BB2072_104 Depth=1
	s_or_b64 exec, exec, s[40:41]
	v_cmp_eq_u16_sdwa s[40:41], v21, v51 src0_sel:BYTE_0 src1_sel:DWORD
	v_and_b32_e32 v24, s41, v23
	v_or_b32_e32 v24, 0x80000000, v24
	ds_bpermute_b32 v64, v53, v20
	v_and_b32_e32 v25, s40, v22
	v_ffbl_b32_e32 v24, v24
	v_add_u32_e32 v24, 32, v24
	v_ffbl_b32_e32 v25, v25
	v_min_u32_e32 v24, v25, v24
	v_cmp_lt_u32_e32 vcc, v52, v24
	s_waitcnt lgkmcnt(0)
	v_cndmask_b32_e32 v25, 0, v64, vcc
	v_add_u32_e32 v20, v25, v20
	ds_bpermute_b32 v25, v54, v20
	v_cmp_le_u32_e32 vcc, v55, v24
	v_subrev_u32_e32 v18, 64, v18
	s_waitcnt lgkmcnt(0)
	v_cndmask_b32_e32 v25, 0, v25, vcc
	v_add_u32_e32 v20, v20, v25
	ds_bpermute_b32 v25, v56, v20
	v_cmp_le_u32_e32 vcc, v57, v24
	s_waitcnt lgkmcnt(0)
	v_cndmask_b32_e32 v25, 0, v25, vcc
	v_add_u32_e32 v20, v20, v25
	ds_bpermute_b32 v25, v58, v20
	v_cmp_le_u32_e32 vcc, v59, v24
	;; [unrolled: 5-line block ×4, first 2 shown]
	s_waitcnt lgkmcnt(0)
	v_cndmask_b32_e32 v24, 0, v25, vcc
	v_add3_u32 v20, v24, v11, v20
.LBB2072_104:                           ; =>This Loop Header: Depth=1
                                        ;     Child Loop BB2072_107 Depth 2
	v_cmp_ne_u16_sdwa s[40:41], v21, v51 src0_sel:BYTE_0 src1_sel:DWORD
	v_cndmask_b32_e64 v11, 0, 1, s[40:41]
	;;#ASMSTART
	;;#ASMEND
	v_cmp_ne_u32_e32 vcc, 0, v11
	s_cmp_lg_u64 vcc, exec
	v_mov_b32_e32 v11, v20
	s_cbranch_scc1 .LBB2072_109
; %bb.105:                              ;   in Loop: Header=BB2072_104 Depth=1
	v_lshlrev_b64 v[20:21], 3, v[18:19]
	v_mov_b32_e32 v25, s37
	v_add_co_u32_e32 v24, vcc, s36, v20
	v_addc_co_u32_e32 v25, vcc, v25, v21, vcc
	global_load_dwordx2 v[20:21], v[24:25], off glc
	s_waitcnt vmcnt(0)
	v_cmp_eq_u16_sdwa s[42:43], v21, v19 src0_sel:BYTE_0 src1_sel:DWORD
	s_and_saveexec_b64 s[40:41], s[42:43]
	s_cbranch_execz .LBB2072_103
; %bb.106:                              ;   in Loop: Header=BB2072_104 Depth=1
	s_mov_b64 s[42:43], 0
.LBB2072_107:                           ;   Parent Loop BB2072_104 Depth=1
                                        ; =>  This Inner Loop Header: Depth=2
	global_load_dwordx2 v[20:21], v[24:25], off glc
	s_waitcnt vmcnt(0)
	v_cmp_ne_u16_sdwa s[44:45], v21, v19 src0_sel:BYTE_0 src1_sel:DWORD
	s_or_b64 s[42:43], s[44:45], s[42:43]
	s_andn2_b64 exec, exec, s[42:43]
	s_cbranch_execnz .LBB2072_107
; %bb.108:                              ;   in Loop: Header=BB2072_104 Depth=1
	s_or_b64 exec, exec, s[42:43]
	s_branch .LBB2072_103
.LBB2072_109:                           ;   in Loop: Header=BB2072_104 Depth=1
                                        ; implicit-def: $vgpr20
                                        ; implicit-def: $vgpr21
	s_cbranch_execz .LBB2072_104
; %bb.110:
	s_and_saveexec_b64 s[40:41], s[16:17]
	s_cbranch_execz .LBB2072_112
; %bb.111:
	s_add_i32 s6, s6, 64
	s_mov_b32 s7, 0
	s_lshl_b64 s[6:7], s[6:7], 3
	s_add_u32 s6, s36, s6
	v_add_u32_e32 v18, v11, v10
	v_mov_b32_e32 v19, 2
	s_addc_u32 s7, s37, s7
	v_mov_b32_e32 v20, 0
	global_store_dwordx2 v20, v[18:19], s[6:7]
	ds_write_b64 v20, v[10:11] offset:10240
.LBB2072_112:
	s_or_b64 exec, exec, s[40:41]
	v_cmp_eq_u32_e32 vcc, 0, v0
	s_and_b64 exec, exec, vcc
	s_cbranch_execz .LBB2072_114
; %bb.113:
	v_mov_b32_e32 v10, 0
	ds_write_b32 v10, v11 offset:12
.LBB2072_114:
	s_or_b64 exec, exec, s[38:39]
	v_mov_b32_e32 v10, 0
	s_waitcnt lgkmcnt(0)
	s_barrier
	ds_read_b32 v19, v10 offset:12
	s_waitcnt lgkmcnt(0)
	s_barrier
	ds_read_b64 v[10:11], v10 offset:10240
	v_cndmask_b32_e64 v18, v50, v49, s[16:17]
	v_cmp_ne_u32_e32 vcc, 0, v0
	v_cndmask_b32_e32 v18, 0, v18, vcc
	v_add_u32_e32 v22, v19, v18
	s_load_dwordx2 s[4:5], s[4:5], 0x30
	s_branch .LBB2072_125
.LBB2072_115:
                                        ; implicit-def: $vgpr11
                                        ; implicit-def: $vgpr22
	s_load_dwordx2 s[4:5], s[4:5], 0x30
	s_cbranch_execz .LBB2072_125
; %bb.116:
	s_waitcnt lgkmcnt(0)
	v_mov_b32_dpp v10, v48 row_shr:1 row_mask:0xf bank_mask:0xf
	v_cndmask_b32_e64 v10, v10, 0, s[14:15]
	v_add_u32_e32 v10, v10, v48
	s_nop 1
	v_mov_b32_dpp v11, v10 row_shr:2 row_mask:0xf bank_mask:0xf
	v_cndmask_b32_e64 v11, 0, v11, s[12:13]
	v_add_u32_e32 v10, v10, v11
	s_nop 1
	;; [unrolled: 4-line block ×4, first 2 shown]
	v_mov_b32_dpp v11, v10 row_bcast:15 row_mask:0xf bank_mask:0xf
	v_cndmask_b32_e64 v11, v11, 0, s[18:19]
	v_add_u32_e32 v10, v10, v11
	s_nop 1
	v_mov_b32_dpp v11, v10 row_bcast:31 row_mask:0xf bank_mask:0xf
	v_cndmask_b32_e64 v11, 0, v11, s[0:1]
	v_add_u32_e32 v10, v10, v11
	s_and_saveexec_b64 s[0:1], s[2:3]
	s_cbranch_execz .LBB2072_118
; %bb.117:
	v_lshlrev_b32_e32 v11, 2, v47
	ds_write_b32 v11, v10
.LBB2072_118:
	s_or_b64 exec, exec, s[0:1]
	v_cmp_gt_u32_e32 vcc, 4, v0
	s_waitcnt lgkmcnt(0)
	s_barrier
	s_and_saveexec_b64 s[0:1], vcc
	s_cbranch_execz .LBB2072_120
; %bb.119:
	v_lshlrev_b32_e32 v11, 2, v0
	ds_read_b32 v18, v11
	v_and_b32_e32 v19, 3, v46
	v_cmp_ne_u32_e32 vcc, 0, v19
	s_waitcnt lgkmcnt(0)
	v_mov_b32_dpp v20, v18 row_shr:1 row_mask:0xf bank_mask:0xf
	v_cndmask_b32_e32 v20, 0, v20, vcc
	v_add_u32_e32 v18, v20, v18
	v_cmp_lt_u32_e32 vcc, 1, v19
	s_nop 0
	v_mov_b32_dpp v20, v18 row_shr:2 row_mask:0xf bank_mask:0xf
	v_cndmask_b32_e32 v19, 0, v20, vcc
	v_add_u32_e32 v18, v18, v19
	ds_write_b32 v11, v18
.LBB2072_120:
	s_or_b64 exec, exec, s[0:1]
	v_cmp_lt_u32_e32 vcc, 63, v0
	v_mov_b32_e32 v11, 0
	v_mov_b32_e32 v18, 0
	s_waitcnt lgkmcnt(0)
	s_barrier
	s_and_saveexec_b64 s[0:1], vcc
	s_cbranch_execz .LBB2072_122
; %bb.121:
	v_lshl_add_u32 v18, v47, 2, -4
	ds_read_b32 v18, v18
.LBB2072_122:
	s_or_b64 exec, exec, s[0:1]
	v_add_u32_e32 v19, -1, v46
	v_and_b32_e32 v20, 64, v46
	v_cmp_lt_i32_e32 vcc, v19, v20
	v_cndmask_b32_e32 v19, v19, v46, vcc
	s_waitcnt lgkmcnt(0)
	v_add_u32_e32 v10, v18, v10
	v_lshlrev_b32_e32 v19, 2, v19
	ds_bpermute_b32 v19, v19, v10
	ds_read_b32 v10, v11 offset:12
	v_cmp_eq_u32_e32 vcc, 0, v0
	s_and_saveexec_b64 s[0:1], vcc
	s_cbranch_execz .LBB2072_124
; %bb.123:
	v_mov_b32_e32 v20, 0
	v_mov_b32_e32 v11, 2
	s_waitcnt lgkmcnt(0)
	global_store_dwordx2 v20, v[10:11], s[36:37] offset:512
.LBB2072_124:
	s_or_b64 exec, exec, s[0:1]
	v_cmp_eq_u32_e64 s[0:1], 0, v46
	s_waitcnt lgkmcnt(1)
	v_cndmask_b32_e64 v18, v19, v18, s[0:1]
	v_mov_b32_e32 v11, 0
	v_cndmask_b32_e64 v22, v18, 0, vcc
	s_waitcnt lgkmcnt(0)
	s_barrier
.LBB2072_125:
	v_add_u32_sdwa v24, v22, v16 dst_sel:DWORD dst_unused:UNUSED_PAD src0_sel:DWORD src1_sel:BYTE_0
	s_waitcnt lgkmcnt(0)
	v_add_u32_e32 v26, v10, v26
	v_sub_u32_e32 v22, v22, v11
	v_and_b32_e32 v51, 1, v16
	v_sub_u32_e32 v50, v26, v22
	v_cmp_eq_u32_e32 vcc, 1, v51
	v_cndmask_b32_e32 v22, v50, v22, vcc
	v_lshlrev_b32_e32 v22, 1, v22
	v_lshrrev_b32_e32 v23, 8, v16
	ds_write_b16 v22, v6
	v_sub_u32_e32 v22, v24, v11
	v_add_u32_sdwa v25, v24, v16 dst_sel:DWORD dst_unused:UNUSED_PAD src0_sel:DWORD src1_sel:BYTE_1
	v_sub_u32_e32 v24, v26, v22
	v_and_b32_e32 v23, 1, v23
	v_add_u32_e32 v24, 1, v24
	v_cmp_eq_u32_e32 vcc, 1, v23
	v_cndmask_b32_e32 v22, v24, v22, vcc
	v_lshlrev_b32_e32 v22, 1, v22
	ds_write_b16_d16_hi v22, v6
	v_sub_u32_e32 v6, v25, v11
	v_mov_b32_e32 v23, 1
	v_sub_u32_e32 v22, v26, v6
	v_and_b32_sdwa v16, v23, v16 dst_sel:DWORD dst_unused:UNUSED_PAD src0_sel:DWORD src1_sel:WORD_1
	v_add_u32_e32 v22, 2, v22
	v_cmp_eq_u32_e32 vcc, 1, v16
	v_cndmask_b32_e32 v6, v22, v6, vcc
	v_add_u32_e32 v45, v25, v45
	v_lshlrev_b32_e32 v6, 1, v6
	ds_write_b16 v6, v7
	v_sub_u32_e32 v6, v45, v11
	v_sub_u32_e32 v16, v26, v6
	v_and_b32_e32 v22, 1, v33
	v_add_u32_e32 v16, 3, v16
	v_cmp_eq_u32_e32 vcc, 1, v22
	v_cndmask_b32_e32 v6, v16, v6, vcc
	v_add_u32_e32 v46, v45, v33
	v_lshlrev_b32_e32 v6, 1, v6
	ds_write_b16_d16_hi v6, v7
	v_sub_u32_e32 v6, v46, v11
	v_sub_u32_e32 v7, v26, v6
	v_and_b32_e32 v16, 1, v17
	v_add_u32_e32 v7, 4, v7
	v_cmp_eq_u32_e32 vcc, 1, v16
	v_cndmask_b32_e32 v6, v7, v6, vcc
	v_add_u32_e32 v42, v46, v42
	v_lshlrev_b32_e32 v6, 1, v6
	v_lshrrev_b32_e32 v21, 8, v17
	ds_write_b16 v6, v8
	v_sub_u32_e32 v6, v42, v11
	v_sub_u32_e32 v7, v26, v6
	v_and_b32_e32 v16, 1, v21
	v_add_u32_e32 v7, 5, v7
	v_cmp_eq_u32_e32 vcc, 1, v16
	v_cndmask_b32_e32 v6, v7, v6, vcc
	v_add_u32_e32 v43, v42, v43
	v_lshlrev_b32_e32 v6, 1, v6
	ds_write_b16_d16_hi v6, v8
	v_sub_u32_e32 v6, v43, v11
	v_sub_u32_e32 v7, v26, v6
	v_and_b32_sdwa v8, v23, v17 dst_sel:DWORD dst_unused:UNUSED_PAD src0_sel:DWORD src1_sel:WORD_1
	v_add_u32_e32 v7, 6, v7
	v_cmp_eq_u32_e32 vcc, 1, v8
	v_cndmask_b32_e32 v6, v7, v6, vcc
	v_add_u32_e32 v44, v43, v44
	v_lshlrev_b32_e32 v6, 1, v6
	ds_write_b16 v6, v9
	v_sub_u32_e32 v6, v44, v11
	v_sub_u32_e32 v7, v26, v6
	v_and_b32_e32 v8, 1, v32
	v_add_u32_e32 v7, 7, v7
	v_cmp_eq_u32_e32 vcc, 1, v8
	v_cndmask_b32_e32 v6, v7, v6, vcc
	v_add_u32_e32 v47, v44, v32
	v_lshlrev_b32_e32 v6, 1, v6
	ds_write_b16_d16_hi v6, v9
	v_sub_u32_e32 v6, v47, v11
	v_sub_u32_e32 v7, v26, v6
	v_and_b32_e32 v8, 1, v14
	v_add_u32_e32 v7, 8, v7
	v_cmp_eq_u32_e32 vcc, 1, v8
	v_cndmask_b32_e32 v6, v7, v6, vcc
	v_add_u32_e32 v39, v47, v39
	v_lshlrev_b32_e32 v6, 1, v6
	v_lshrrev_b32_e32 v20, 8, v14
	ds_write_b16 v6, v2
	v_sub_u32_e32 v6, v39, v11
	v_sub_u32_e32 v7, v26, v6
	v_and_b32_e32 v8, 1, v20
	v_add_u32_e32 v7, 9, v7
	v_cmp_eq_u32_e32 vcc, 1, v8
	v_cndmask_b32_e32 v6, v7, v6, vcc
	v_add_u32_e32 v40, v39, v40
	v_lshlrev_b32_e32 v6, 1, v6
	ds_write_b16_d16_hi v6, v2
	v_sub_u32_e32 v2, v40, v11
	;; [unrolled: 37-line block ×4, first 2 shown]
	v_sub_u32_e32 v3, v26, v2
	v_and_b32_sdwa v4, v23, v28 dst_sel:DWORD dst_unused:UNUSED_PAD src0_sel:DWORD src1_sel:WORD_1
	v_add_u32_e32 v3, 18, v3
	v_cmp_eq_u32_e32 vcc, 1, v4
	v_cndmask_b32_e32 v2, v3, v2, vcc
	v_lshlrev_b32_e32 v2, 1, v2
	ds_write_b16 v2, v13
	v_sub_u32_e32 v2, v29, v11
	v_add_u32_e32 v2, v35, v2
	v_sub_u32_e32 v3, v26, v2
	v_and_b32_e32 v4, 1, v27
	v_add_u32_e32 v3, 19, v3
	v_cmp_eq_u32_e32 vcc, 1, v4
	v_cndmask_b32_e32 v2, v3, v2, vcc
	v_lshlrev_b32_e32 v2, 1, v2
	ds_write_b16_d16_hi v2, v13
	s_waitcnt lgkmcnt(0)
	s_barrier
	ds_read_u16 v47, v1
	ds_read_u16 v45, v1 offset:512
	ds_read_u16 v43, v1 offset:1024
	;; [unrolled: 1-line block ×19, first 2 shown]
	s_add_u32 s0, s26, s24
	s_addc_u32 s1, s27, 0
	v_mov_b32_e32 v2, s31
	v_add_co_u32_e32 v1, vcc, s30, v11
	s_sub_u32 s0, s28, s0
	v_addc_co_u32_e32 v4, vcc, 0, v2, vcc
	s_subb_u32 s1, s29, s1
	v_mov_b32_e32 v2, s1
	v_add_co_u32_e32 v3, vcc, s0, v10
	v_addc_co_u32_e32 v2, vcc, 0, v2, vcc
	v_add_co_u32_e64 v7, s[0:1], v3, v1
	v_or_b32_e32 v46, 0x100, v0
	v_or_b32_e32 v44, 0x200, v0
	;; [unrolled: 1-line block ×19, first 2 shown]
	s_andn2_b64 vcc, exec, s[34:35]
	v_addc_co_u32_e64 v8, s[0:1], v2, v4, s[0:1]
	s_cbranch_vccnz .LBB2072_207
; %bb.126:
	v_cmp_ge_u32_e32 vcc, v0, v10
                                        ; implicit-def: $vgpr2_vgpr3
	s_and_saveexec_b64 s[0:1], vcc
	s_xor_b64 s[0:1], exec, s[0:1]
; %bb.127:
	v_not_b32_e32 v2, v0
	v_ashrrev_i32_e32 v3, 31, v2
	v_add_co_u32_e32 v2, vcc, v7, v2
	v_addc_co_u32_e32 v3, vcc, v8, v3, vcc
; %bb.128:
	s_andn2_saveexec_b64 s[0:1], s[0:1]
; %bb.129:
	v_add_co_u32_e32 v2, vcc, v1, v0
	v_addc_co_u32_e32 v3, vcc, 0, v4, vcc
; %bb.130:
	s_or_b64 exec, exec, s[0:1]
	v_lshlrev_b64 v[2:3], 1, v[2:3]
	v_mov_b32_e32 v11, s5
	v_add_co_u32_e32 v2, vcc, s4, v2
	v_addc_co_u32_e32 v3, vcc, v11, v3, vcc
	v_cmp_ge_u32_e32 vcc, v46, v10
	s_waitcnt lgkmcnt(14)
	global_store_short v[2:3], v47, off
                                        ; implicit-def: $vgpr2_vgpr3
	s_and_saveexec_b64 s[0:1], vcc
	s_xor_b64 s[0:1], exec, s[0:1]
; %bb.131:
	v_xor_b32_e32 v2, 0xfffffeff, v0
	v_ashrrev_i32_e32 v3, 31, v2
	v_add_co_u32_e32 v2, vcc, v7, v2
	v_addc_co_u32_e32 v3, vcc, v8, v3, vcc
; %bb.132:
	s_andn2_saveexec_b64 s[0:1], s[0:1]
; %bb.133:
	v_add_co_u32_e32 v2, vcc, v1, v46
	v_addc_co_u32_e32 v3, vcc, 0, v4, vcc
; %bb.134:
	s_or_b64 exec, exec, s[0:1]
	v_lshlrev_b64 v[2:3], 1, v[2:3]
	v_mov_b32_e32 v11, s5
	v_add_co_u32_e32 v2, vcc, s4, v2
	v_addc_co_u32_e32 v3, vcc, v11, v3, vcc
	v_cmp_ge_u32_e32 vcc, v44, v10
	global_store_short v[2:3], v45, off
                                        ; implicit-def: $vgpr2_vgpr3
	s_and_saveexec_b64 s[0:1], vcc
	s_xor_b64 s[0:1], exec, s[0:1]
; %bb.135:
	v_xor_b32_e32 v2, 0xfffffdff, v0
	v_ashrrev_i32_e32 v3, 31, v2
	v_add_co_u32_e32 v2, vcc, v7, v2
	v_addc_co_u32_e32 v3, vcc, v8, v3, vcc
; %bb.136:
	s_andn2_saveexec_b64 s[0:1], s[0:1]
; %bb.137:
	v_add_co_u32_e32 v2, vcc, v1, v44
	v_addc_co_u32_e32 v3, vcc, 0, v4, vcc
; %bb.138:
	s_or_b64 exec, exec, s[0:1]
	v_lshlrev_b64 v[2:3], 1, v[2:3]
	v_mov_b32_e32 v11, s5
	v_add_co_u32_e32 v2, vcc, s4, v2
	v_addc_co_u32_e32 v3, vcc, v11, v3, vcc
	v_cmp_ge_u32_e32 vcc, v42, v10
	;; [unrolled: 21-line block ×6, first 2 shown]
	s_waitcnt lgkmcnt(13)
	global_store_short v[2:3], v35, off
                                        ; implicit-def: $vgpr2_vgpr3
	s_and_saveexec_b64 s[0:1], vcc
	s_xor_b64 s[0:1], exec, s[0:1]
; %bb.155:
	v_xor_b32_e32 v2, 0xfffff8ff, v0
	v_ashrrev_i32_e32 v3, 31, v2
	v_add_co_u32_e32 v2, vcc, v7, v2
	v_addc_co_u32_e32 v3, vcc, v8, v3, vcc
; %bb.156:
	s_andn2_saveexec_b64 s[0:1], s[0:1]
; %bb.157:
	v_add_co_u32_e32 v2, vcc, v1, v34
	v_addc_co_u32_e32 v3, vcc, 0, v4, vcc
; %bb.158:
	s_or_b64 exec, exec, s[0:1]
	v_lshlrev_b64 v[2:3], 1, v[2:3]
	v_mov_b32_e32 v11, s5
	v_add_co_u32_e32 v2, vcc, s4, v2
	v_addc_co_u32_e32 v3, vcc, v11, v3, vcc
	v_cmp_ge_u32_e32 vcc, v32, v10
	s_waitcnt lgkmcnt(12)
	global_store_short v[2:3], v33, off
                                        ; implicit-def: $vgpr2_vgpr3
	s_and_saveexec_b64 s[0:1], vcc
	s_xor_b64 s[0:1], exec, s[0:1]
; %bb.159:
	v_xor_b32_e32 v2, 0xfffff7ff, v0
	v_ashrrev_i32_e32 v3, 31, v2
	v_add_co_u32_e32 v2, vcc, v7, v2
	v_addc_co_u32_e32 v3, vcc, v8, v3, vcc
; %bb.160:
	s_andn2_saveexec_b64 s[0:1], s[0:1]
; %bb.161:
	v_add_co_u32_e32 v2, vcc, v1, v32
	v_addc_co_u32_e32 v3, vcc, 0, v4, vcc
; %bb.162:
	s_or_b64 exec, exec, s[0:1]
	v_lshlrev_b64 v[2:3], 1, v[2:3]
	v_mov_b32_e32 v11, s5
	v_add_co_u32_e32 v2, vcc, s4, v2
	v_addc_co_u32_e32 v3, vcc, v11, v3, vcc
	v_cmp_ge_u32_e32 vcc, v30, v10
	;; [unrolled: 22-line block ×12, first 2 shown]
	s_waitcnt lgkmcnt(1)
	global_store_short v[2:3], v9, off
                                        ; implicit-def: $vgpr2_vgpr3
	s_and_saveexec_b64 s[0:1], vcc
	s_xor_b64 s[0:1], exec, s[0:1]
; %bb.203:
	v_xor_b32_e32 v2, 0xffffecff, v0
	v_ashrrev_i32_e32 v3, 31, v2
	v_add_co_u32_e32 v2, vcc, v7, v2
	v_addc_co_u32_e32 v3, vcc, v8, v3, vcc
; %bb.204:
	s_andn2_saveexec_b64 s[0:1], s[0:1]
; %bb.205:
	v_add_co_u32_e32 v2, vcc, v1, v6
	v_addc_co_u32_e32 v3, vcc, 0, v4, vcc
; %bb.206:
	s_or_b64 exec, exec, s[0:1]
	s_mov_b64 s[0:1], -1
	s_branch .LBB2072_329
.LBB2072_207:
	s_mov_b64 s[0:1], 0
                                        ; implicit-def: $vgpr2_vgpr3
	s_cbranch_execz .LBB2072_329
; %bb.208:
	v_cmp_gt_u32_e32 vcc, s33, v0
	s_and_saveexec_b64 s[2:3], vcc
	s_cbranch_execz .LBB2072_264
; %bb.209:
	v_cmp_ge_u32_e32 vcc, v0, v10
                                        ; implicit-def: $vgpr2_vgpr3
	s_and_saveexec_b64 s[6:7], vcc
	s_xor_b64 s[6:7], exec, s[6:7]
; %bb.210:
	v_not_b32_e32 v2, v0
	v_ashrrev_i32_e32 v3, 31, v2
	v_add_co_u32_e32 v2, vcc, v7, v2
	v_addc_co_u32_e32 v3, vcc, v8, v3, vcc
; %bb.211:
	s_andn2_saveexec_b64 s[6:7], s[6:7]
; %bb.212:
	v_add_co_u32_e32 v2, vcc, v1, v0
	v_addc_co_u32_e32 v3, vcc, 0, v4, vcc
; %bb.213:
	s_or_b64 exec, exec, s[6:7]
	v_lshlrev_b64 v[2:3], 1, v[2:3]
	v_mov_b32_e32 v11, s5
	v_add_co_u32_e32 v2, vcc, s4, v2
	v_addc_co_u32_e32 v3, vcc, v11, v3, vcc
	s_waitcnt lgkmcnt(14)
	global_store_short v[2:3], v47, off
	s_or_b64 exec, exec, s[2:3]
	v_cmp_gt_u32_e32 vcc, s33, v46
	s_and_saveexec_b64 s[2:3], vcc
	s_cbranch_execnz .LBB2072_265
.LBB2072_214:
	s_or_b64 exec, exec, s[2:3]
	v_cmp_gt_u32_e32 vcc, s33, v44
	s_and_saveexec_b64 s[2:3], vcc
	s_cbranch_execz .LBB2072_270
.LBB2072_215:
	v_cmp_ge_u32_e32 vcc, v44, v10
                                        ; implicit-def: $vgpr2_vgpr3
	s_and_saveexec_b64 s[6:7], vcc
	s_xor_b64 s[6:7], exec, s[6:7]
; %bb.216:
	v_xor_b32_e32 v2, 0xfffffdff, v0
	v_ashrrev_i32_e32 v3, 31, v2
	v_add_co_u32_e32 v2, vcc, v7, v2
	v_addc_co_u32_e32 v3, vcc, v8, v3, vcc
                                        ; implicit-def: $vgpr44
; %bb.217:
	s_andn2_saveexec_b64 s[6:7], s[6:7]
; %bb.218:
	v_add_co_u32_e32 v2, vcc, v1, v44
	v_addc_co_u32_e32 v3, vcc, 0, v4, vcc
; %bb.219:
	s_or_b64 exec, exec, s[6:7]
	v_lshlrev_b64 v[2:3], 1, v[2:3]
	v_mov_b32_e32 v11, s5
	v_add_co_u32_e32 v2, vcc, s4, v2
	v_addc_co_u32_e32 v3, vcc, v11, v3, vcc
	s_waitcnt lgkmcnt(14)
	global_store_short v[2:3], v43, off
	s_or_b64 exec, exec, s[2:3]
	v_cmp_gt_u32_e32 vcc, s33, v42
	s_and_saveexec_b64 s[2:3], vcc
	s_cbranch_execnz .LBB2072_271
.LBB2072_220:
	s_or_b64 exec, exec, s[2:3]
	v_cmp_gt_u32_e32 vcc, s33, v40
	s_and_saveexec_b64 s[2:3], vcc
	s_cbranch_execz .LBB2072_276
.LBB2072_221:
	v_cmp_ge_u32_e32 vcc, v40, v10
                                        ; implicit-def: $vgpr2_vgpr3
	s_and_saveexec_b64 s[6:7], vcc
	s_xor_b64 s[6:7], exec, s[6:7]
; %bb.222:
	v_xor_b32_e32 v2, 0xfffffbff, v0
	v_ashrrev_i32_e32 v3, 31, v2
	v_add_co_u32_e32 v2, vcc, v7, v2
	v_addc_co_u32_e32 v3, vcc, v8, v3, vcc
                                        ; implicit-def: $vgpr40
; %bb.223:
	s_andn2_saveexec_b64 s[6:7], s[6:7]
; %bb.224:
	v_add_co_u32_e32 v2, vcc, v1, v40
	v_addc_co_u32_e32 v3, vcc, 0, v4, vcc
; %bb.225:
	s_or_b64 exec, exec, s[6:7]
	v_lshlrev_b64 v[2:3], 1, v[2:3]
	v_mov_b32_e32 v11, s5
	v_add_co_u32_e32 v2, vcc, s4, v2
	v_addc_co_u32_e32 v3, vcc, v11, v3, vcc
	s_waitcnt lgkmcnt(14)
	global_store_short v[2:3], v39, off
	s_or_b64 exec, exec, s[2:3]
	v_cmp_gt_u32_e32 vcc, s33, v38
	s_and_saveexec_b64 s[2:3], vcc
	s_cbranch_execnz .LBB2072_277
.LBB2072_226:
	s_or_b64 exec, exec, s[2:3]
	v_cmp_gt_u32_e32 vcc, s33, v36
	s_and_saveexec_b64 s[2:3], vcc
	s_cbranch_execz .LBB2072_282
.LBB2072_227:
	v_cmp_ge_u32_e32 vcc, v36, v10
                                        ; implicit-def: $vgpr2_vgpr3
	s_and_saveexec_b64 s[6:7], vcc
	s_xor_b64 s[6:7], exec, s[6:7]
; %bb.228:
	v_xor_b32_e32 v2, 0xfffff9ff, v0
	v_ashrrev_i32_e32 v3, 31, v2
	v_add_co_u32_e32 v2, vcc, v7, v2
	v_addc_co_u32_e32 v3, vcc, v8, v3, vcc
                                        ; implicit-def: $vgpr36
; %bb.229:
	s_andn2_saveexec_b64 s[6:7], s[6:7]
; %bb.230:
	v_add_co_u32_e32 v2, vcc, v1, v36
	v_addc_co_u32_e32 v3, vcc, 0, v4, vcc
; %bb.231:
	s_or_b64 exec, exec, s[6:7]
	v_lshlrev_b64 v[2:3], 1, v[2:3]
	v_mov_b32_e32 v11, s5
	v_add_co_u32_e32 v2, vcc, s4, v2
	v_addc_co_u32_e32 v3, vcc, v11, v3, vcc
	s_waitcnt lgkmcnt(13)
	global_store_short v[2:3], v35, off
	s_or_b64 exec, exec, s[2:3]
	v_cmp_gt_u32_e32 vcc, s33, v34
	s_and_saveexec_b64 s[2:3], vcc
	s_cbranch_execnz .LBB2072_283
.LBB2072_232:
	s_or_b64 exec, exec, s[2:3]
	v_cmp_gt_u32_e32 vcc, s33, v32
	s_and_saveexec_b64 s[2:3], vcc
	s_cbranch_execz .LBB2072_288
.LBB2072_233:
	v_cmp_ge_u32_e32 vcc, v32, v10
                                        ; implicit-def: $vgpr2_vgpr3
	s_and_saveexec_b64 s[6:7], vcc
	s_xor_b64 s[6:7], exec, s[6:7]
; %bb.234:
	v_xor_b32_e32 v2, 0xfffff7ff, v0
	v_ashrrev_i32_e32 v3, 31, v2
	v_add_co_u32_e32 v2, vcc, v7, v2
	v_addc_co_u32_e32 v3, vcc, v8, v3, vcc
                                        ; implicit-def: $vgpr32
; %bb.235:
	s_andn2_saveexec_b64 s[6:7], s[6:7]
; %bb.236:
	v_add_co_u32_e32 v2, vcc, v1, v32
	v_addc_co_u32_e32 v3, vcc, 0, v4, vcc
; %bb.237:
	s_or_b64 exec, exec, s[6:7]
	v_lshlrev_b64 v[2:3], 1, v[2:3]
	v_mov_b32_e32 v11, s5
	v_add_co_u32_e32 v2, vcc, s4, v2
	v_addc_co_u32_e32 v3, vcc, v11, v3, vcc
	s_waitcnt lgkmcnt(11)
	global_store_short v[2:3], v31, off
	s_or_b64 exec, exec, s[2:3]
	v_cmp_gt_u32_e32 vcc, s33, v30
	s_and_saveexec_b64 s[2:3], vcc
	s_cbranch_execnz .LBB2072_289
.LBB2072_238:
	s_or_b64 exec, exec, s[2:3]
	v_cmp_gt_u32_e32 vcc, s33, v28
	s_and_saveexec_b64 s[2:3], vcc
	s_cbranch_execz .LBB2072_294
.LBB2072_239:
	v_cmp_ge_u32_e32 vcc, v28, v10
                                        ; implicit-def: $vgpr2_vgpr3
	s_and_saveexec_b64 s[6:7], vcc
	s_xor_b64 s[6:7], exec, s[6:7]
; %bb.240:
	v_xor_b32_e32 v2, 0xfffff5ff, v0
	v_ashrrev_i32_e32 v3, 31, v2
	v_add_co_u32_e32 v2, vcc, v7, v2
	v_addc_co_u32_e32 v3, vcc, v8, v3, vcc
                                        ; implicit-def: $vgpr28
; %bb.241:
	s_andn2_saveexec_b64 s[6:7], s[6:7]
; %bb.242:
	v_add_co_u32_e32 v2, vcc, v1, v28
	v_addc_co_u32_e32 v3, vcc, 0, v4, vcc
; %bb.243:
	s_or_b64 exec, exec, s[6:7]
	v_lshlrev_b64 v[2:3], 1, v[2:3]
	v_mov_b32_e32 v11, s5
	v_add_co_u32_e32 v2, vcc, s4, v2
	v_addc_co_u32_e32 v3, vcc, v11, v3, vcc
	s_waitcnt lgkmcnt(9)
	global_store_short v[2:3], v27, off
	s_or_b64 exec, exec, s[2:3]
	v_cmp_gt_u32_e32 vcc, s33, v26
	s_and_saveexec_b64 s[2:3], vcc
	s_cbranch_execnz .LBB2072_295
.LBB2072_244:
	s_or_b64 exec, exec, s[2:3]
	v_cmp_gt_u32_e32 vcc, s33, v24
	s_and_saveexec_b64 s[2:3], vcc
	s_cbranch_execz .LBB2072_300
.LBB2072_245:
	v_cmp_ge_u32_e32 vcc, v24, v10
                                        ; implicit-def: $vgpr2_vgpr3
	s_and_saveexec_b64 s[6:7], vcc
	s_xor_b64 s[6:7], exec, s[6:7]
; %bb.246:
	v_xor_b32_e32 v2, 0xfffff3ff, v0
	v_ashrrev_i32_e32 v3, 31, v2
	v_add_co_u32_e32 v2, vcc, v7, v2
	v_addc_co_u32_e32 v3, vcc, v8, v3, vcc
                                        ; implicit-def: $vgpr24
; %bb.247:
	s_andn2_saveexec_b64 s[6:7], s[6:7]
; %bb.248:
	v_add_co_u32_e32 v2, vcc, v1, v24
	v_addc_co_u32_e32 v3, vcc, 0, v4, vcc
; %bb.249:
	s_or_b64 exec, exec, s[6:7]
	v_lshlrev_b64 v[2:3], 1, v[2:3]
	v_mov_b32_e32 v11, s5
	v_add_co_u32_e32 v2, vcc, s4, v2
	v_addc_co_u32_e32 v3, vcc, v11, v3, vcc
	s_waitcnt lgkmcnt(7)
	global_store_short v[2:3], v23, off
	s_or_b64 exec, exec, s[2:3]
	v_cmp_gt_u32_e32 vcc, s33, v22
	s_and_saveexec_b64 s[2:3], vcc
	s_cbranch_execnz .LBB2072_301
.LBB2072_250:
	s_or_b64 exec, exec, s[2:3]
	v_cmp_gt_u32_e32 vcc, s33, v20
	s_and_saveexec_b64 s[2:3], vcc
	s_cbranch_execz .LBB2072_306
.LBB2072_251:
	v_cmp_ge_u32_e32 vcc, v20, v10
                                        ; implicit-def: $vgpr2_vgpr3
	s_and_saveexec_b64 s[6:7], vcc
	s_xor_b64 s[6:7], exec, s[6:7]
; %bb.252:
	v_xor_b32_e32 v2, 0xfffff1ff, v0
	v_ashrrev_i32_e32 v3, 31, v2
	v_add_co_u32_e32 v2, vcc, v7, v2
	v_addc_co_u32_e32 v3, vcc, v8, v3, vcc
                                        ; implicit-def: $vgpr20
; %bb.253:
	s_andn2_saveexec_b64 s[6:7], s[6:7]
; %bb.254:
	v_add_co_u32_e32 v2, vcc, v1, v20
	v_addc_co_u32_e32 v3, vcc, 0, v4, vcc
; %bb.255:
	s_or_b64 exec, exec, s[6:7]
	v_lshlrev_b64 v[2:3], 1, v[2:3]
	v_mov_b32_e32 v11, s5
	v_add_co_u32_e32 v2, vcc, s4, v2
	v_addc_co_u32_e32 v3, vcc, v11, v3, vcc
	s_waitcnt lgkmcnt(5)
	global_store_short v[2:3], v19, off
	s_or_b64 exec, exec, s[2:3]
	v_cmp_gt_u32_e32 vcc, s33, v18
	s_and_saveexec_b64 s[2:3], vcc
	s_cbranch_execnz .LBB2072_307
.LBB2072_256:
	s_or_b64 exec, exec, s[2:3]
	v_cmp_gt_u32_e32 vcc, s33, v16
	s_and_saveexec_b64 s[2:3], vcc
	s_cbranch_execz .LBB2072_312
.LBB2072_257:
	v_cmp_ge_u32_e32 vcc, v16, v10
                                        ; implicit-def: $vgpr2_vgpr3
	s_and_saveexec_b64 s[6:7], vcc
	s_xor_b64 s[6:7], exec, s[6:7]
; %bb.258:
	v_xor_b32_e32 v2, 0xffffefff, v0
	v_ashrrev_i32_e32 v3, 31, v2
	v_add_co_u32_e32 v2, vcc, v7, v2
	v_addc_co_u32_e32 v3, vcc, v8, v3, vcc
                                        ; implicit-def: $vgpr16
; %bb.259:
	s_andn2_saveexec_b64 s[6:7], s[6:7]
; %bb.260:
	v_add_co_u32_e32 v2, vcc, v1, v16
	v_addc_co_u32_e32 v3, vcc, 0, v4, vcc
; %bb.261:
	s_or_b64 exec, exec, s[6:7]
	v_lshlrev_b64 v[2:3], 1, v[2:3]
	v_mov_b32_e32 v11, s5
	v_add_co_u32_e32 v2, vcc, s4, v2
	v_addc_co_u32_e32 v3, vcc, v11, v3, vcc
	s_waitcnt lgkmcnt(3)
	global_store_short v[2:3], v15, off
	s_or_b64 exec, exec, s[2:3]
	v_cmp_gt_u32_e32 vcc, s33, v14
	s_and_saveexec_b64 s[2:3], vcc
	s_cbranch_execnz .LBB2072_313
.LBB2072_262:
	s_or_b64 exec, exec, s[2:3]
	v_cmp_gt_u32_e32 vcc, s33, v12
	s_and_saveexec_b64 s[2:3], vcc
	s_cbranch_execnz .LBB2072_318
.LBB2072_263:
	s_or_b64 exec, exec, s[2:3]
	v_cmp_gt_u32_e32 vcc, s33, v6
                                        ; implicit-def: $vgpr2_vgpr3
	s_and_saveexec_b64 s[2:3], vcc
	s_cbranch_execz .LBB2072_328
	s_branch .LBB2072_323
.LBB2072_264:
	s_or_b64 exec, exec, s[2:3]
	v_cmp_gt_u32_e32 vcc, s33, v46
	s_and_saveexec_b64 s[2:3], vcc
	s_cbranch_execz .LBB2072_214
.LBB2072_265:
	v_cmp_ge_u32_e32 vcc, v46, v10
                                        ; implicit-def: $vgpr2_vgpr3
	s_and_saveexec_b64 s[6:7], vcc
	s_xor_b64 s[6:7], exec, s[6:7]
; %bb.266:
	v_xor_b32_e32 v2, 0xfffffeff, v0
	v_ashrrev_i32_e32 v3, 31, v2
	v_add_co_u32_e32 v2, vcc, v7, v2
	v_addc_co_u32_e32 v3, vcc, v8, v3, vcc
                                        ; implicit-def: $vgpr46
; %bb.267:
	s_andn2_saveexec_b64 s[6:7], s[6:7]
; %bb.268:
	v_add_co_u32_e32 v2, vcc, v1, v46
	v_addc_co_u32_e32 v3, vcc, 0, v4, vcc
; %bb.269:
	s_or_b64 exec, exec, s[6:7]
	v_lshlrev_b64 v[2:3], 1, v[2:3]
	v_mov_b32_e32 v11, s5
	v_add_co_u32_e32 v2, vcc, s4, v2
	v_addc_co_u32_e32 v3, vcc, v11, v3, vcc
	s_waitcnt lgkmcnt(14)
	global_store_short v[2:3], v45, off
	s_or_b64 exec, exec, s[2:3]
	v_cmp_gt_u32_e32 vcc, s33, v44
	s_and_saveexec_b64 s[2:3], vcc
	s_cbranch_execnz .LBB2072_215
.LBB2072_270:
	s_or_b64 exec, exec, s[2:3]
	v_cmp_gt_u32_e32 vcc, s33, v42
	s_and_saveexec_b64 s[2:3], vcc
	s_cbranch_execz .LBB2072_220
.LBB2072_271:
	v_cmp_ge_u32_e32 vcc, v42, v10
                                        ; implicit-def: $vgpr2_vgpr3
	s_and_saveexec_b64 s[6:7], vcc
	s_xor_b64 s[6:7], exec, s[6:7]
; %bb.272:
	v_xor_b32_e32 v2, 0xfffffcff, v0
	v_ashrrev_i32_e32 v3, 31, v2
	v_add_co_u32_e32 v2, vcc, v7, v2
	v_addc_co_u32_e32 v3, vcc, v8, v3, vcc
                                        ; implicit-def: $vgpr42
; %bb.273:
	s_andn2_saveexec_b64 s[6:7], s[6:7]
; %bb.274:
	v_add_co_u32_e32 v2, vcc, v1, v42
	v_addc_co_u32_e32 v3, vcc, 0, v4, vcc
; %bb.275:
	s_or_b64 exec, exec, s[6:7]
	v_lshlrev_b64 v[2:3], 1, v[2:3]
	v_mov_b32_e32 v11, s5
	v_add_co_u32_e32 v2, vcc, s4, v2
	v_addc_co_u32_e32 v3, vcc, v11, v3, vcc
	s_waitcnt lgkmcnt(14)
	global_store_short v[2:3], v41, off
	s_or_b64 exec, exec, s[2:3]
	v_cmp_gt_u32_e32 vcc, s33, v40
	s_and_saveexec_b64 s[2:3], vcc
	s_cbranch_execnz .LBB2072_221
.LBB2072_276:
	s_or_b64 exec, exec, s[2:3]
	v_cmp_gt_u32_e32 vcc, s33, v38
	s_and_saveexec_b64 s[2:3], vcc
	s_cbranch_execz .LBB2072_226
.LBB2072_277:
	v_cmp_ge_u32_e32 vcc, v38, v10
                                        ; implicit-def: $vgpr2_vgpr3
	s_and_saveexec_b64 s[6:7], vcc
	s_xor_b64 s[6:7], exec, s[6:7]
; %bb.278:
	v_xor_b32_e32 v2, 0xfffffaff, v0
	v_ashrrev_i32_e32 v3, 31, v2
	v_add_co_u32_e32 v2, vcc, v7, v2
	v_addc_co_u32_e32 v3, vcc, v8, v3, vcc
                                        ; implicit-def: $vgpr38
; %bb.279:
	s_andn2_saveexec_b64 s[6:7], s[6:7]
; %bb.280:
	v_add_co_u32_e32 v2, vcc, v1, v38
	v_addc_co_u32_e32 v3, vcc, 0, v4, vcc
; %bb.281:
	s_or_b64 exec, exec, s[6:7]
	v_lshlrev_b64 v[2:3], 1, v[2:3]
	v_mov_b32_e32 v11, s5
	v_add_co_u32_e32 v2, vcc, s4, v2
	v_addc_co_u32_e32 v3, vcc, v11, v3, vcc
	s_waitcnt lgkmcnt(14)
	global_store_short v[2:3], v37, off
	s_or_b64 exec, exec, s[2:3]
	v_cmp_gt_u32_e32 vcc, s33, v36
	s_and_saveexec_b64 s[2:3], vcc
	s_cbranch_execnz .LBB2072_227
.LBB2072_282:
	s_or_b64 exec, exec, s[2:3]
	v_cmp_gt_u32_e32 vcc, s33, v34
	s_and_saveexec_b64 s[2:3], vcc
	s_cbranch_execz .LBB2072_232
.LBB2072_283:
	v_cmp_ge_u32_e32 vcc, v34, v10
                                        ; implicit-def: $vgpr2_vgpr3
	s_and_saveexec_b64 s[6:7], vcc
	s_xor_b64 s[6:7], exec, s[6:7]
; %bb.284:
	v_xor_b32_e32 v2, 0xfffff8ff, v0
	v_ashrrev_i32_e32 v3, 31, v2
	v_add_co_u32_e32 v2, vcc, v7, v2
	v_addc_co_u32_e32 v3, vcc, v8, v3, vcc
                                        ; implicit-def: $vgpr34
; %bb.285:
	s_andn2_saveexec_b64 s[6:7], s[6:7]
; %bb.286:
	v_add_co_u32_e32 v2, vcc, v1, v34
	v_addc_co_u32_e32 v3, vcc, 0, v4, vcc
; %bb.287:
	s_or_b64 exec, exec, s[6:7]
	v_lshlrev_b64 v[2:3], 1, v[2:3]
	v_mov_b32_e32 v11, s5
	v_add_co_u32_e32 v2, vcc, s4, v2
	v_addc_co_u32_e32 v3, vcc, v11, v3, vcc
	s_waitcnt lgkmcnt(12)
	global_store_short v[2:3], v33, off
	s_or_b64 exec, exec, s[2:3]
	v_cmp_gt_u32_e32 vcc, s33, v32
	s_and_saveexec_b64 s[2:3], vcc
	s_cbranch_execnz .LBB2072_233
.LBB2072_288:
	s_or_b64 exec, exec, s[2:3]
	v_cmp_gt_u32_e32 vcc, s33, v30
	s_and_saveexec_b64 s[2:3], vcc
	s_cbranch_execz .LBB2072_238
.LBB2072_289:
	v_cmp_ge_u32_e32 vcc, v30, v10
                                        ; implicit-def: $vgpr2_vgpr3
	s_and_saveexec_b64 s[6:7], vcc
	s_xor_b64 s[6:7], exec, s[6:7]
; %bb.290:
	v_xor_b32_e32 v2, 0xfffff6ff, v0
	v_ashrrev_i32_e32 v3, 31, v2
	v_add_co_u32_e32 v2, vcc, v7, v2
	v_addc_co_u32_e32 v3, vcc, v8, v3, vcc
                                        ; implicit-def: $vgpr30
; %bb.291:
	s_andn2_saveexec_b64 s[6:7], s[6:7]
; %bb.292:
	v_add_co_u32_e32 v2, vcc, v1, v30
	v_addc_co_u32_e32 v3, vcc, 0, v4, vcc
; %bb.293:
	s_or_b64 exec, exec, s[6:7]
	v_lshlrev_b64 v[2:3], 1, v[2:3]
	v_mov_b32_e32 v11, s5
	v_add_co_u32_e32 v2, vcc, s4, v2
	v_addc_co_u32_e32 v3, vcc, v11, v3, vcc
	s_waitcnt lgkmcnt(10)
	global_store_short v[2:3], v29, off
	s_or_b64 exec, exec, s[2:3]
	v_cmp_gt_u32_e32 vcc, s33, v28
	s_and_saveexec_b64 s[2:3], vcc
	s_cbranch_execnz .LBB2072_239
.LBB2072_294:
	s_or_b64 exec, exec, s[2:3]
	v_cmp_gt_u32_e32 vcc, s33, v26
	s_and_saveexec_b64 s[2:3], vcc
	s_cbranch_execz .LBB2072_244
.LBB2072_295:
	v_cmp_ge_u32_e32 vcc, v26, v10
                                        ; implicit-def: $vgpr2_vgpr3
	s_and_saveexec_b64 s[6:7], vcc
	s_xor_b64 s[6:7], exec, s[6:7]
; %bb.296:
	v_xor_b32_e32 v2, 0xfffff4ff, v0
	v_ashrrev_i32_e32 v3, 31, v2
	v_add_co_u32_e32 v2, vcc, v7, v2
	v_addc_co_u32_e32 v3, vcc, v8, v3, vcc
                                        ; implicit-def: $vgpr26
; %bb.297:
	s_andn2_saveexec_b64 s[6:7], s[6:7]
; %bb.298:
	v_add_co_u32_e32 v2, vcc, v1, v26
	v_addc_co_u32_e32 v3, vcc, 0, v4, vcc
; %bb.299:
	s_or_b64 exec, exec, s[6:7]
	v_lshlrev_b64 v[2:3], 1, v[2:3]
	v_mov_b32_e32 v11, s5
	v_add_co_u32_e32 v2, vcc, s4, v2
	v_addc_co_u32_e32 v3, vcc, v11, v3, vcc
	s_waitcnt lgkmcnt(8)
	global_store_short v[2:3], v25, off
	s_or_b64 exec, exec, s[2:3]
	v_cmp_gt_u32_e32 vcc, s33, v24
	s_and_saveexec_b64 s[2:3], vcc
	s_cbranch_execnz .LBB2072_245
.LBB2072_300:
	s_or_b64 exec, exec, s[2:3]
	v_cmp_gt_u32_e32 vcc, s33, v22
	s_and_saveexec_b64 s[2:3], vcc
	s_cbranch_execz .LBB2072_250
.LBB2072_301:
	v_cmp_ge_u32_e32 vcc, v22, v10
                                        ; implicit-def: $vgpr2_vgpr3
	s_and_saveexec_b64 s[6:7], vcc
	s_xor_b64 s[6:7], exec, s[6:7]
; %bb.302:
	v_xor_b32_e32 v2, 0xfffff2ff, v0
	v_ashrrev_i32_e32 v3, 31, v2
	v_add_co_u32_e32 v2, vcc, v7, v2
	v_addc_co_u32_e32 v3, vcc, v8, v3, vcc
                                        ; implicit-def: $vgpr22
; %bb.303:
	s_andn2_saveexec_b64 s[6:7], s[6:7]
; %bb.304:
	v_add_co_u32_e32 v2, vcc, v1, v22
	v_addc_co_u32_e32 v3, vcc, 0, v4, vcc
; %bb.305:
	s_or_b64 exec, exec, s[6:7]
	v_lshlrev_b64 v[2:3], 1, v[2:3]
	v_mov_b32_e32 v11, s5
	v_add_co_u32_e32 v2, vcc, s4, v2
	v_addc_co_u32_e32 v3, vcc, v11, v3, vcc
	s_waitcnt lgkmcnt(6)
	global_store_short v[2:3], v21, off
	s_or_b64 exec, exec, s[2:3]
	v_cmp_gt_u32_e32 vcc, s33, v20
	s_and_saveexec_b64 s[2:3], vcc
	s_cbranch_execnz .LBB2072_251
.LBB2072_306:
	s_or_b64 exec, exec, s[2:3]
	v_cmp_gt_u32_e32 vcc, s33, v18
	s_and_saveexec_b64 s[2:3], vcc
	s_cbranch_execz .LBB2072_256
.LBB2072_307:
	v_cmp_ge_u32_e32 vcc, v18, v10
                                        ; implicit-def: $vgpr2_vgpr3
	s_and_saveexec_b64 s[6:7], vcc
	s_xor_b64 s[6:7], exec, s[6:7]
; %bb.308:
	v_xor_b32_e32 v2, 0xfffff0ff, v0
	v_ashrrev_i32_e32 v3, 31, v2
	v_add_co_u32_e32 v2, vcc, v7, v2
	v_addc_co_u32_e32 v3, vcc, v8, v3, vcc
                                        ; implicit-def: $vgpr18
; %bb.309:
	s_andn2_saveexec_b64 s[6:7], s[6:7]
; %bb.310:
	v_add_co_u32_e32 v2, vcc, v1, v18
	v_addc_co_u32_e32 v3, vcc, 0, v4, vcc
; %bb.311:
	s_or_b64 exec, exec, s[6:7]
	v_lshlrev_b64 v[2:3], 1, v[2:3]
	v_mov_b32_e32 v11, s5
	v_add_co_u32_e32 v2, vcc, s4, v2
	v_addc_co_u32_e32 v3, vcc, v11, v3, vcc
	s_waitcnt lgkmcnt(4)
	global_store_short v[2:3], v17, off
	s_or_b64 exec, exec, s[2:3]
	v_cmp_gt_u32_e32 vcc, s33, v16
	s_and_saveexec_b64 s[2:3], vcc
	s_cbranch_execnz .LBB2072_257
.LBB2072_312:
	s_or_b64 exec, exec, s[2:3]
	v_cmp_gt_u32_e32 vcc, s33, v14
	s_and_saveexec_b64 s[2:3], vcc
	s_cbranch_execz .LBB2072_262
.LBB2072_313:
	v_cmp_ge_u32_e32 vcc, v14, v10
                                        ; implicit-def: $vgpr2_vgpr3
	s_and_saveexec_b64 s[6:7], vcc
	s_xor_b64 s[6:7], exec, s[6:7]
; %bb.314:
	v_xor_b32_e32 v2, 0xffffeeff, v0
	v_ashrrev_i32_e32 v3, 31, v2
	v_add_co_u32_e32 v2, vcc, v7, v2
	v_addc_co_u32_e32 v3, vcc, v8, v3, vcc
                                        ; implicit-def: $vgpr14
; %bb.315:
	s_andn2_saveexec_b64 s[6:7], s[6:7]
; %bb.316:
	v_add_co_u32_e32 v2, vcc, v1, v14
	v_addc_co_u32_e32 v3, vcc, 0, v4, vcc
; %bb.317:
	s_or_b64 exec, exec, s[6:7]
	v_lshlrev_b64 v[2:3], 1, v[2:3]
	v_mov_b32_e32 v11, s5
	v_add_co_u32_e32 v2, vcc, s4, v2
	v_addc_co_u32_e32 v3, vcc, v11, v3, vcc
	s_waitcnt lgkmcnt(2)
	global_store_short v[2:3], v13, off
	s_or_b64 exec, exec, s[2:3]
	v_cmp_gt_u32_e32 vcc, s33, v12
	s_and_saveexec_b64 s[2:3], vcc
	s_cbranch_execz .LBB2072_263
.LBB2072_318:
	v_cmp_ge_u32_e32 vcc, v12, v10
                                        ; implicit-def: $vgpr2_vgpr3
	s_and_saveexec_b64 s[6:7], vcc
	s_xor_b64 s[6:7], exec, s[6:7]
; %bb.319:
	v_xor_b32_e32 v2, 0xffffedff, v0
	v_ashrrev_i32_e32 v3, 31, v2
	v_add_co_u32_e32 v2, vcc, v7, v2
	v_addc_co_u32_e32 v3, vcc, v8, v3, vcc
                                        ; implicit-def: $vgpr12
; %bb.320:
	s_andn2_saveexec_b64 s[6:7], s[6:7]
; %bb.321:
	v_add_co_u32_e32 v2, vcc, v1, v12
	v_addc_co_u32_e32 v3, vcc, 0, v4, vcc
; %bb.322:
	s_or_b64 exec, exec, s[6:7]
	v_lshlrev_b64 v[2:3], 1, v[2:3]
	v_mov_b32_e32 v11, s5
	v_add_co_u32_e32 v2, vcc, s4, v2
	v_addc_co_u32_e32 v3, vcc, v11, v3, vcc
	s_waitcnt lgkmcnt(1)
	global_store_short v[2:3], v9, off
	s_or_b64 exec, exec, s[2:3]
	v_cmp_gt_u32_e32 vcc, s33, v6
                                        ; implicit-def: $vgpr2_vgpr3
	s_and_saveexec_b64 s[2:3], vcc
	s_cbranch_execz .LBB2072_328
.LBB2072_323:
	v_cmp_ge_u32_e32 vcc, v6, v10
                                        ; implicit-def: $vgpr2_vgpr3
	s_and_saveexec_b64 s[6:7], vcc
	s_xor_b64 s[6:7], exec, s[6:7]
; %bb.324:
	v_xor_b32_e32 v2, 0xffffecff, v0
	v_ashrrev_i32_e32 v3, 31, v2
	v_add_co_u32_e32 v2, vcc, v7, v2
	v_addc_co_u32_e32 v3, vcc, v8, v3, vcc
                                        ; implicit-def: $vgpr6
; %bb.325:
	s_andn2_saveexec_b64 s[6:7], s[6:7]
; %bb.326:
	v_add_co_u32_e32 v2, vcc, v1, v6
	v_addc_co_u32_e32 v3, vcc, 0, v4, vcc
; %bb.327:
	s_or_b64 exec, exec, s[6:7]
	s_or_b64 s[0:1], s[0:1], exec
.LBB2072_328:
	s_or_b64 exec, exec, s[2:3]
.LBB2072_329:
	s_and_saveexec_b64 s[2:3], s[0:1]
	s_cbranch_execz .LBB2072_331
; %bb.330:
	v_lshlrev_b64 v[2:3], 1, v[2:3]
	v_mov_b32_e32 v6, s5
	v_add_co_u32_e32 v2, vcc, s4, v2
	v_addc_co_u32_e32 v3, vcc, v6, v3, vcc
	s_waitcnt lgkmcnt(0)
	global_store_short v[2:3], v5, off
.LBB2072_331:
	s_or_b64 exec, exec, s[2:3]
	v_cmp_eq_u32_e32 vcc, 0, v0
	s_and_b64 s[0:1], vcc, s[22:23]
	s_and_saveexec_b64 s[2:3], s[0:1]
	s_cbranch_execz .LBB2072_333
; %bb.332:
	v_add_co_u32_e32 v0, vcc, v1, v10
	v_mov_b32_e32 v2, 0
	v_addc_co_u32_e32 v1, vcc, 0, v4, vcc
	global_store_dwordx2 v2, v[0:1], s[20:21]
.LBB2072_333:
	s_endpgm
	.section	.rodata,"a",@progbits
	.p2align	6, 0x0
	.amdhsa_kernel _ZN7rocprim17ROCPRIM_400000_NS6detail17trampoline_kernelINS0_14default_configENS1_25partition_config_selectorILNS1_17partition_subalgoE2EtNS0_10empty_typeEbEEZZNS1_14partition_implILS5_2ELb0ES3_jN6thrust23THRUST_200600_302600_NS6detail15normal_iteratorINSA_7pointerItNSA_11hip_rocprim3tagENSA_11use_defaultESG_EEEEPS6_NSA_18transform_iteratorI7is_evenItENSC_INSA_10device_ptrItEEEESG_SG_EENS0_5tupleIJPtSJ_EEENSR_IJSJ_SJ_EEES6_PlJS6_EEE10hipError_tPvRmT3_T4_T5_T6_T7_T9_mT8_P12ihipStream_tbDpT10_ENKUlT_T0_E_clISt17integral_constantIbLb0EES1F_EEDaS1A_S1B_EUlS1A_E_NS1_11comp_targetILNS1_3genE4ELNS1_11target_archE910ELNS1_3gpuE8ELNS1_3repE0EEENS1_30default_config_static_selectorELNS0_4arch9wavefront6targetE1EEEvT1_
		.amdhsa_group_segment_fixed_size 10248
		.amdhsa_private_segment_fixed_size 0
		.amdhsa_kernarg_size 128
		.amdhsa_user_sgpr_count 6
		.amdhsa_user_sgpr_private_segment_buffer 1
		.amdhsa_user_sgpr_dispatch_ptr 0
		.amdhsa_user_sgpr_queue_ptr 0
		.amdhsa_user_sgpr_kernarg_segment_ptr 1
		.amdhsa_user_sgpr_dispatch_id 0
		.amdhsa_user_sgpr_flat_scratch_init 0
		.amdhsa_user_sgpr_kernarg_preload_length 0
		.amdhsa_user_sgpr_kernarg_preload_offset 0
		.amdhsa_user_sgpr_private_segment_size 0
		.amdhsa_uses_dynamic_stack 0
		.amdhsa_system_sgpr_private_segment_wavefront_offset 0
		.amdhsa_system_sgpr_workgroup_id_x 1
		.amdhsa_system_sgpr_workgroup_id_y 0
		.amdhsa_system_sgpr_workgroup_id_z 0
		.amdhsa_system_sgpr_workgroup_info 0
		.amdhsa_system_vgpr_workitem_id 0
		.amdhsa_next_free_vgpr 65
		.amdhsa_next_free_sgpr 46
		.amdhsa_accum_offset 68
		.amdhsa_reserve_vcc 1
		.amdhsa_reserve_flat_scratch 0
		.amdhsa_float_round_mode_32 0
		.amdhsa_float_round_mode_16_64 0
		.amdhsa_float_denorm_mode_32 3
		.amdhsa_float_denorm_mode_16_64 3
		.amdhsa_dx10_clamp 1
		.amdhsa_ieee_mode 1
		.amdhsa_fp16_overflow 0
		.amdhsa_tg_split 0
		.amdhsa_exception_fp_ieee_invalid_op 0
		.amdhsa_exception_fp_denorm_src 0
		.amdhsa_exception_fp_ieee_div_zero 0
		.amdhsa_exception_fp_ieee_overflow 0
		.amdhsa_exception_fp_ieee_underflow 0
		.amdhsa_exception_fp_ieee_inexact 0
		.amdhsa_exception_int_div_zero 0
	.end_amdhsa_kernel
	.section	.text._ZN7rocprim17ROCPRIM_400000_NS6detail17trampoline_kernelINS0_14default_configENS1_25partition_config_selectorILNS1_17partition_subalgoE2EtNS0_10empty_typeEbEEZZNS1_14partition_implILS5_2ELb0ES3_jN6thrust23THRUST_200600_302600_NS6detail15normal_iteratorINSA_7pointerItNSA_11hip_rocprim3tagENSA_11use_defaultESG_EEEEPS6_NSA_18transform_iteratorI7is_evenItENSC_INSA_10device_ptrItEEEESG_SG_EENS0_5tupleIJPtSJ_EEENSR_IJSJ_SJ_EEES6_PlJS6_EEE10hipError_tPvRmT3_T4_T5_T6_T7_T9_mT8_P12ihipStream_tbDpT10_ENKUlT_T0_E_clISt17integral_constantIbLb0EES1F_EEDaS1A_S1B_EUlS1A_E_NS1_11comp_targetILNS1_3genE4ELNS1_11target_archE910ELNS1_3gpuE8ELNS1_3repE0EEENS1_30default_config_static_selectorELNS0_4arch9wavefront6targetE1EEEvT1_,"axG",@progbits,_ZN7rocprim17ROCPRIM_400000_NS6detail17trampoline_kernelINS0_14default_configENS1_25partition_config_selectorILNS1_17partition_subalgoE2EtNS0_10empty_typeEbEEZZNS1_14partition_implILS5_2ELb0ES3_jN6thrust23THRUST_200600_302600_NS6detail15normal_iteratorINSA_7pointerItNSA_11hip_rocprim3tagENSA_11use_defaultESG_EEEEPS6_NSA_18transform_iteratorI7is_evenItENSC_INSA_10device_ptrItEEEESG_SG_EENS0_5tupleIJPtSJ_EEENSR_IJSJ_SJ_EEES6_PlJS6_EEE10hipError_tPvRmT3_T4_T5_T6_T7_T9_mT8_P12ihipStream_tbDpT10_ENKUlT_T0_E_clISt17integral_constantIbLb0EES1F_EEDaS1A_S1B_EUlS1A_E_NS1_11comp_targetILNS1_3genE4ELNS1_11target_archE910ELNS1_3gpuE8ELNS1_3repE0EEENS1_30default_config_static_selectorELNS0_4arch9wavefront6targetE1EEEvT1_,comdat
.Lfunc_end2072:
	.size	_ZN7rocprim17ROCPRIM_400000_NS6detail17trampoline_kernelINS0_14default_configENS1_25partition_config_selectorILNS1_17partition_subalgoE2EtNS0_10empty_typeEbEEZZNS1_14partition_implILS5_2ELb0ES3_jN6thrust23THRUST_200600_302600_NS6detail15normal_iteratorINSA_7pointerItNSA_11hip_rocprim3tagENSA_11use_defaultESG_EEEEPS6_NSA_18transform_iteratorI7is_evenItENSC_INSA_10device_ptrItEEEESG_SG_EENS0_5tupleIJPtSJ_EEENSR_IJSJ_SJ_EEES6_PlJS6_EEE10hipError_tPvRmT3_T4_T5_T6_T7_T9_mT8_P12ihipStream_tbDpT10_ENKUlT_T0_E_clISt17integral_constantIbLb0EES1F_EEDaS1A_S1B_EUlS1A_E_NS1_11comp_targetILNS1_3genE4ELNS1_11target_archE910ELNS1_3gpuE8ELNS1_3repE0EEENS1_30default_config_static_selectorELNS0_4arch9wavefront6targetE1EEEvT1_, .Lfunc_end2072-_ZN7rocprim17ROCPRIM_400000_NS6detail17trampoline_kernelINS0_14default_configENS1_25partition_config_selectorILNS1_17partition_subalgoE2EtNS0_10empty_typeEbEEZZNS1_14partition_implILS5_2ELb0ES3_jN6thrust23THRUST_200600_302600_NS6detail15normal_iteratorINSA_7pointerItNSA_11hip_rocprim3tagENSA_11use_defaultESG_EEEEPS6_NSA_18transform_iteratorI7is_evenItENSC_INSA_10device_ptrItEEEESG_SG_EENS0_5tupleIJPtSJ_EEENSR_IJSJ_SJ_EEES6_PlJS6_EEE10hipError_tPvRmT3_T4_T5_T6_T7_T9_mT8_P12ihipStream_tbDpT10_ENKUlT_T0_E_clISt17integral_constantIbLb0EES1F_EEDaS1A_S1B_EUlS1A_E_NS1_11comp_targetILNS1_3genE4ELNS1_11target_archE910ELNS1_3gpuE8ELNS1_3repE0EEENS1_30default_config_static_selectorELNS0_4arch9wavefront6targetE1EEEvT1_
                                        ; -- End function
	.section	.AMDGPU.csdata,"",@progbits
; Kernel info:
; codeLenInByte = 10752
; NumSgprs: 50
; NumVgprs: 65
; NumAgprs: 0
; TotalNumVgprs: 65
; ScratchSize: 0
; MemoryBound: 0
; FloatMode: 240
; IeeeMode: 1
; LDSByteSize: 10248 bytes/workgroup (compile time only)
; SGPRBlocks: 6
; VGPRBlocks: 8
; NumSGPRsForWavesPerEU: 50
; NumVGPRsForWavesPerEU: 65
; AccumOffset: 68
; Occupancy: 6
; WaveLimiterHint : 1
; COMPUTE_PGM_RSRC2:SCRATCH_EN: 0
; COMPUTE_PGM_RSRC2:USER_SGPR: 6
; COMPUTE_PGM_RSRC2:TRAP_HANDLER: 0
; COMPUTE_PGM_RSRC2:TGID_X_EN: 1
; COMPUTE_PGM_RSRC2:TGID_Y_EN: 0
; COMPUTE_PGM_RSRC2:TGID_Z_EN: 0
; COMPUTE_PGM_RSRC2:TIDIG_COMP_CNT: 0
; COMPUTE_PGM_RSRC3_GFX90A:ACCUM_OFFSET: 16
; COMPUTE_PGM_RSRC3_GFX90A:TG_SPLIT: 0
	.section	.text._ZN7rocprim17ROCPRIM_400000_NS6detail17trampoline_kernelINS0_14default_configENS1_25partition_config_selectorILNS1_17partition_subalgoE2EtNS0_10empty_typeEbEEZZNS1_14partition_implILS5_2ELb0ES3_jN6thrust23THRUST_200600_302600_NS6detail15normal_iteratorINSA_7pointerItNSA_11hip_rocprim3tagENSA_11use_defaultESG_EEEEPS6_NSA_18transform_iteratorI7is_evenItENSC_INSA_10device_ptrItEEEESG_SG_EENS0_5tupleIJPtSJ_EEENSR_IJSJ_SJ_EEES6_PlJS6_EEE10hipError_tPvRmT3_T4_T5_T6_T7_T9_mT8_P12ihipStream_tbDpT10_ENKUlT_T0_E_clISt17integral_constantIbLb0EES1F_EEDaS1A_S1B_EUlS1A_E_NS1_11comp_targetILNS1_3genE3ELNS1_11target_archE908ELNS1_3gpuE7ELNS1_3repE0EEENS1_30default_config_static_selectorELNS0_4arch9wavefront6targetE1EEEvT1_,"axG",@progbits,_ZN7rocprim17ROCPRIM_400000_NS6detail17trampoline_kernelINS0_14default_configENS1_25partition_config_selectorILNS1_17partition_subalgoE2EtNS0_10empty_typeEbEEZZNS1_14partition_implILS5_2ELb0ES3_jN6thrust23THRUST_200600_302600_NS6detail15normal_iteratorINSA_7pointerItNSA_11hip_rocprim3tagENSA_11use_defaultESG_EEEEPS6_NSA_18transform_iteratorI7is_evenItENSC_INSA_10device_ptrItEEEESG_SG_EENS0_5tupleIJPtSJ_EEENSR_IJSJ_SJ_EEES6_PlJS6_EEE10hipError_tPvRmT3_T4_T5_T6_T7_T9_mT8_P12ihipStream_tbDpT10_ENKUlT_T0_E_clISt17integral_constantIbLb0EES1F_EEDaS1A_S1B_EUlS1A_E_NS1_11comp_targetILNS1_3genE3ELNS1_11target_archE908ELNS1_3gpuE7ELNS1_3repE0EEENS1_30default_config_static_selectorELNS0_4arch9wavefront6targetE1EEEvT1_,comdat
	.protected	_ZN7rocprim17ROCPRIM_400000_NS6detail17trampoline_kernelINS0_14default_configENS1_25partition_config_selectorILNS1_17partition_subalgoE2EtNS0_10empty_typeEbEEZZNS1_14partition_implILS5_2ELb0ES3_jN6thrust23THRUST_200600_302600_NS6detail15normal_iteratorINSA_7pointerItNSA_11hip_rocprim3tagENSA_11use_defaultESG_EEEEPS6_NSA_18transform_iteratorI7is_evenItENSC_INSA_10device_ptrItEEEESG_SG_EENS0_5tupleIJPtSJ_EEENSR_IJSJ_SJ_EEES6_PlJS6_EEE10hipError_tPvRmT3_T4_T5_T6_T7_T9_mT8_P12ihipStream_tbDpT10_ENKUlT_T0_E_clISt17integral_constantIbLb0EES1F_EEDaS1A_S1B_EUlS1A_E_NS1_11comp_targetILNS1_3genE3ELNS1_11target_archE908ELNS1_3gpuE7ELNS1_3repE0EEENS1_30default_config_static_selectorELNS0_4arch9wavefront6targetE1EEEvT1_ ; -- Begin function _ZN7rocprim17ROCPRIM_400000_NS6detail17trampoline_kernelINS0_14default_configENS1_25partition_config_selectorILNS1_17partition_subalgoE2EtNS0_10empty_typeEbEEZZNS1_14partition_implILS5_2ELb0ES3_jN6thrust23THRUST_200600_302600_NS6detail15normal_iteratorINSA_7pointerItNSA_11hip_rocprim3tagENSA_11use_defaultESG_EEEEPS6_NSA_18transform_iteratorI7is_evenItENSC_INSA_10device_ptrItEEEESG_SG_EENS0_5tupleIJPtSJ_EEENSR_IJSJ_SJ_EEES6_PlJS6_EEE10hipError_tPvRmT3_T4_T5_T6_T7_T9_mT8_P12ihipStream_tbDpT10_ENKUlT_T0_E_clISt17integral_constantIbLb0EES1F_EEDaS1A_S1B_EUlS1A_E_NS1_11comp_targetILNS1_3genE3ELNS1_11target_archE908ELNS1_3gpuE7ELNS1_3repE0EEENS1_30default_config_static_selectorELNS0_4arch9wavefront6targetE1EEEvT1_
	.globl	_ZN7rocprim17ROCPRIM_400000_NS6detail17trampoline_kernelINS0_14default_configENS1_25partition_config_selectorILNS1_17partition_subalgoE2EtNS0_10empty_typeEbEEZZNS1_14partition_implILS5_2ELb0ES3_jN6thrust23THRUST_200600_302600_NS6detail15normal_iteratorINSA_7pointerItNSA_11hip_rocprim3tagENSA_11use_defaultESG_EEEEPS6_NSA_18transform_iteratorI7is_evenItENSC_INSA_10device_ptrItEEEESG_SG_EENS0_5tupleIJPtSJ_EEENSR_IJSJ_SJ_EEES6_PlJS6_EEE10hipError_tPvRmT3_T4_T5_T6_T7_T9_mT8_P12ihipStream_tbDpT10_ENKUlT_T0_E_clISt17integral_constantIbLb0EES1F_EEDaS1A_S1B_EUlS1A_E_NS1_11comp_targetILNS1_3genE3ELNS1_11target_archE908ELNS1_3gpuE7ELNS1_3repE0EEENS1_30default_config_static_selectorELNS0_4arch9wavefront6targetE1EEEvT1_
	.p2align	8
	.type	_ZN7rocprim17ROCPRIM_400000_NS6detail17trampoline_kernelINS0_14default_configENS1_25partition_config_selectorILNS1_17partition_subalgoE2EtNS0_10empty_typeEbEEZZNS1_14partition_implILS5_2ELb0ES3_jN6thrust23THRUST_200600_302600_NS6detail15normal_iteratorINSA_7pointerItNSA_11hip_rocprim3tagENSA_11use_defaultESG_EEEEPS6_NSA_18transform_iteratorI7is_evenItENSC_INSA_10device_ptrItEEEESG_SG_EENS0_5tupleIJPtSJ_EEENSR_IJSJ_SJ_EEES6_PlJS6_EEE10hipError_tPvRmT3_T4_T5_T6_T7_T9_mT8_P12ihipStream_tbDpT10_ENKUlT_T0_E_clISt17integral_constantIbLb0EES1F_EEDaS1A_S1B_EUlS1A_E_NS1_11comp_targetILNS1_3genE3ELNS1_11target_archE908ELNS1_3gpuE7ELNS1_3repE0EEENS1_30default_config_static_selectorELNS0_4arch9wavefront6targetE1EEEvT1_,@function
_ZN7rocprim17ROCPRIM_400000_NS6detail17trampoline_kernelINS0_14default_configENS1_25partition_config_selectorILNS1_17partition_subalgoE2EtNS0_10empty_typeEbEEZZNS1_14partition_implILS5_2ELb0ES3_jN6thrust23THRUST_200600_302600_NS6detail15normal_iteratorINSA_7pointerItNSA_11hip_rocprim3tagENSA_11use_defaultESG_EEEEPS6_NSA_18transform_iteratorI7is_evenItENSC_INSA_10device_ptrItEEEESG_SG_EENS0_5tupleIJPtSJ_EEENSR_IJSJ_SJ_EEES6_PlJS6_EEE10hipError_tPvRmT3_T4_T5_T6_T7_T9_mT8_P12ihipStream_tbDpT10_ENKUlT_T0_E_clISt17integral_constantIbLb0EES1F_EEDaS1A_S1B_EUlS1A_E_NS1_11comp_targetILNS1_3genE3ELNS1_11target_archE908ELNS1_3gpuE7ELNS1_3repE0EEENS1_30default_config_static_selectorELNS0_4arch9wavefront6targetE1EEEvT1_: ; @_ZN7rocprim17ROCPRIM_400000_NS6detail17trampoline_kernelINS0_14default_configENS1_25partition_config_selectorILNS1_17partition_subalgoE2EtNS0_10empty_typeEbEEZZNS1_14partition_implILS5_2ELb0ES3_jN6thrust23THRUST_200600_302600_NS6detail15normal_iteratorINSA_7pointerItNSA_11hip_rocprim3tagENSA_11use_defaultESG_EEEEPS6_NSA_18transform_iteratorI7is_evenItENSC_INSA_10device_ptrItEEEESG_SG_EENS0_5tupleIJPtSJ_EEENSR_IJSJ_SJ_EEES6_PlJS6_EEE10hipError_tPvRmT3_T4_T5_T6_T7_T9_mT8_P12ihipStream_tbDpT10_ENKUlT_T0_E_clISt17integral_constantIbLb0EES1F_EEDaS1A_S1B_EUlS1A_E_NS1_11comp_targetILNS1_3genE3ELNS1_11target_archE908ELNS1_3gpuE7ELNS1_3repE0EEENS1_30default_config_static_selectorELNS0_4arch9wavefront6targetE1EEEvT1_
; %bb.0:
	.section	.rodata,"a",@progbits
	.p2align	6, 0x0
	.amdhsa_kernel _ZN7rocprim17ROCPRIM_400000_NS6detail17trampoline_kernelINS0_14default_configENS1_25partition_config_selectorILNS1_17partition_subalgoE2EtNS0_10empty_typeEbEEZZNS1_14partition_implILS5_2ELb0ES3_jN6thrust23THRUST_200600_302600_NS6detail15normal_iteratorINSA_7pointerItNSA_11hip_rocprim3tagENSA_11use_defaultESG_EEEEPS6_NSA_18transform_iteratorI7is_evenItENSC_INSA_10device_ptrItEEEESG_SG_EENS0_5tupleIJPtSJ_EEENSR_IJSJ_SJ_EEES6_PlJS6_EEE10hipError_tPvRmT3_T4_T5_T6_T7_T9_mT8_P12ihipStream_tbDpT10_ENKUlT_T0_E_clISt17integral_constantIbLb0EES1F_EEDaS1A_S1B_EUlS1A_E_NS1_11comp_targetILNS1_3genE3ELNS1_11target_archE908ELNS1_3gpuE7ELNS1_3repE0EEENS1_30default_config_static_selectorELNS0_4arch9wavefront6targetE1EEEvT1_
		.amdhsa_group_segment_fixed_size 0
		.amdhsa_private_segment_fixed_size 0
		.amdhsa_kernarg_size 128
		.amdhsa_user_sgpr_count 6
		.amdhsa_user_sgpr_private_segment_buffer 1
		.amdhsa_user_sgpr_dispatch_ptr 0
		.amdhsa_user_sgpr_queue_ptr 0
		.amdhsa_user_sgpr_kernarg_segment_ptr 1
		.amdhsa_user_sgpr_dispatch_id 0
		.amdhsa_user_sgpr_flat_scratch_init 0
		.amdhsa_user_sgpr_kernarg_preload_length 0
		.amdhsa_user_sgpr_kernarg_preload_offset 0
		.amdhsa_user_sgpr_private_segment_size 0
		.amdhsa_uses_dynamic_stack 0
		.amdhsa_system_sgpr_private_segment_wavefront_offset 0
		.amdhsa_system_sgpr_workgroup_id_x 1
		.amdhsa_system_sgpr_workgroup_id_y 0
		.amdhsa_system_sgpr_workgroup_id_z 0
		.amdhsa_system_sgpr_workgroup_info 0
		.amdhsa_system_vgpr_workitem_id 0
		.amdhsa_next_free_vgpr 1
		.amdhsa_next_free_sgpr 0
		.amdhsa_accum_offset 4
		.amdhsa_reserve_vcc 0
		.amdhsa_reserve_flat_scratch 0
		.amdhsa_float_round_mode_32 0
		.amdhsa_float_round_mode_16_64 0
		.amdhsa_float_denorm_mode_32 3
		.amdhsa_float_denorm_mode_16_64 3
		.amdhsa_dx10_clamp 1
		.amdhsa_ieee_mode 1
		.amdhsa_fp16_overflow 0
		.amdhsa_tg_split 0
		.amdhsa_exception_fp_ieee_invalid_op 0
		.amdhsa_exception_fp_denorm_src 0
		.amdhsa_exception_fp_ieee_div_zero 0
		.amdhsa_exception_fp_ieee_overflow 0
		.amdhsa_exception_fp_ieee_underflow 0
		.amdhsa_exception_fp_ieee_inexact 0
		.amdhsa_exception_int_div_zero 0
	.end_amdhsa_kernel
	.section	.text._ZN7rocprim17ROCPRIM_400000_NS6detail17trampoline_kernelINS0_14default_configENS1_25partition_config_selectorILNS1_17partition_subalgoE2EtNS0_10empty_typeEbEEZZNS1_14partition_implILS5_2ELb0ES3_jN6thrust23THRUST_200600_302600_NS6detail15normal_iteratorINSA_7pointerItNSA_11hip_rocprim3tagENSA_11use_defaultESG_EEEEPS6_NSA_18transform_iteratorI7is_evenItENSC_INSA_10device_ptrItEEEESG_SG_EENS0_5tupleIJPtSJ_EEENSR_IJSJ_SJ_EEES6_PlJS6_EEE10hipError_tPvRmT3_T4_T5_T6_T7_T9_mT8_P12ihipStream_tbDpT10_ENKUlT_T0_E_clISt17integral_constantIbLb0EES1F_EEDaS1A_S1B_EUlS1A_E_NS1_11comp_targetILNS1_3genE3ELNS1_11target_archE908ELNS1_3gpuE7ELNS1_3repE0EEENS1_30default_config_static_selectorELNS0_4arch9wavefront6targetE1EEEvT1_,"axG",@progbits,_ZN7rocprim17ROCPRIM_400000_NS6detail17trampoline_kernelINS0_14default_configENS1_25partition_config_selectorILNS1_17partition_subalgoE2EtNS0_10empty_typeEbEEZZNS1_14partition_implILS5_2ELb0ES3_jN6thrust23THRUST_200600_302600_NS6detail15normal_iteratorINSA_7pointerItNSA_11hip_rocprim3tagENSA_11use_defaultESG_EEEEPS6_NSA_18transform_iteratorI7is_evenItENSC_INSA_10device_ptrItEEEESG_SG_EENS0_5tupleIJPtSJ_EEENSR_IJSJ_SJ_EEES6_PlJS6_EEE10hipError_tPvRmT3_T4_T5_T6_T7_T9_mT8_P12ihipStream_tbDpT10_ENKUlT_T0_E_clISt17integral_constantIbLb0EES1F_EEDaS1A_S1B_EUlS1A_E_NS1_11comp_targetILNS1_3genE3ELNS1_11target_archE908ELNS1_3gpuE7ELNS1_3repE0EEENS1_30default_config_static_selectorELNS0_4arch9wavefront6targetE1EEEvT1_,comdat
.Lfunc_end2073:
	.size	_ZN7rocprim17ROCPRIM_400000_NS6detail17trampoline_kernelINS0_14default_configENS1_25partition_config_selectorILNS1_17partition_subalgoE2EtNS0_10empty_typeEbEEZZNS1_14partition_implILS5_2ELb0ES3_jN6thrust23THRUST_200600_302600_NS6detail15normal_iteratorINSA_7pointerItNSA_11hip_rocprim3tagENSA_11use_defaultESG_EEEEPS6_NSA_18transform_iteratorI7is_evenItENSC_INSA_10device_ptrItEEEESG_SG_EENS0_5tupleIJPtSJ_EEENSR_IJSJ_SJ_EEES6_PlJS6_EEE10hipError_tPvRmT3_T4_T5_T6_T7_T9_mT8_P12ihipStream_tbDpT10_ENKUlT_T0_E_clISt17integral_constantIbLb0EES1F_EEDaS1A_S1B_EUlS1A_E_NS1_11comp_targetILNS1_3genE3ELNS1_11target_archE908ELNS1_3gpuE7ELNS1_3repE0EEENS1_30default_config_static_selectorELNS0_4arch9wavefront6targetE1EEEvT1_, .Lfunc_end2073-_ZN7rocprim17ROCPRIM_400000_NS6detail17trampoline_kernelINS0_14default_configENS1_25partition_config_selectorILNS1_17partition_subalgoE2EtNS0_10empty_typeEbEEZZNS1_14partition_implILS5_2ELb0ES3_jN6thrust23THRUST_200600_302600_NS6detail15normal_iteratorINSA_7pointerItNSA_11hip_rocprim3tagENSA_11use_defaultESG_EEEEPS6_NSA_18transform_iteratorI7is_evenItENSC_INSA_10device_ptrItEEEESG_SG_EENS0_5tupleIJPtSJ_EEENSR_IJSJ_SJ_EEES6_PlJS6_EEE10hipError_tPvRmT3_T4_T5_T6_T7_T9_mT8_P12ihipStream_tbDpT10_ENKUlT_T0_E_clISt17integral_constantIbLb0EES1F_EEDaS1A_S1B_EUlS1A_E_NS1_11comp_targetILNS1_3genE3ELNS1_11target_archE908ELNS1_3gpuE7ELNS1_3repE0EEENS1_30default_config_static_selectorELNS0_4arch9wavefront6targetE1EEEvT1_
                                        ; -- End function
	.section	.AMDGPU.csdata,"",@progbits
; Kernel info:
; codeLenInByte = 0
; NumSgprs: 4
; NumVgprs: 0
; NumAgprs: 0
; TotalNumVgprs: 0
; ScratchSize: 0
; MemoryBound: 0
; FloatMode: 240
; IeeeMode: 1
; LDSByteSize: 0 bytes/workgroup (compile time only)
; SGPRBlocks: 0
; VGPRBlocks: 0
; NumSGPRsForWavesPerEU: 4
; NumVGPRsForWavesPerEU: 1
; AccumOffset: 4
; Occupancy: 8
; WaveLimiterHint : 0
; COMPUTE_PGM_RSRC2:SCRATCH_EN: 0
; COMPUTE_PGM_RSRC2:USER_SGPR: 6
; COMPUTE_PGM_RSRC2:TRAP_HANDLER: 0
; COMPUTE_PGM_RSRC2:TGID_X_EN: 1
; COMPUTE_PGM_RSRC2:TGID_Y_EN: 0
; COMPUTE_PGM_RSRC2:TGID_Z_EN: 0
; COMPUTE_PGM_RSRC2:TIDIG_COMP_CNT: 0
; COMPUTE_PGM_RSRC3_GFX90A:ACCUM_OFFSET: 0
; COMPUTE_PGM_RSRC3_GFX90A:TG_SPLIT: 0
	.section	.text._ZN7rocprim17ROCPRIM_400000_NS6detail17trampoline_kernelINS0_14default_configENS1_25partition_config_selectorILNS1_17partition_subalgoE2EtNS0_10empty_typeEbEEZZNS1_14partition_implILS5_2ELb0ES3_jN6thrust23THRUST_200600_302600_NS6detail15normal_iteratorINSA_7pointerItNSA_11hip_rocprim3tagENSA_11use_defaultESG_EEEEPS6_NSA_18transform_iteratorI7is_evenItENSC_INSA_10device_ptrItEEEESG_SG_EENS0_5tupleIJPtSJ_EEENSR_IJSJ_SJ_EEES6_PlJS6_EEE10hipError_tPvRmT3_T4_T5_T6_T7_T9_mT8_P12ihipStream_tbDpT10_ENKUlT_T0_E_clISt17integral_constantIbLb0EES1F_EEDaS1A_S1B_EUlS1A_E_NS1_11comp_targetILNS1_3genE2ELNS1_11target_archE906ELNS1_3gpuE6ELNS1_3repE0EEENS1_30default_config_static_selectorELNS0_4arch9wavefront6targetE1EEEvT1_,"axG",@progbits,_ZN7rocprim17ROCPRIM_400000_NS6detail17trampoline_kernelINS0_14default_configENS1_25partition_config_selectorILNS1_17partition_subalgoE2EtNS0_10empty_typeEbEEZZNS1_14partition_implILS5_2ELb0ES3_jN6thrust23THRUST_200600_302600_NS6detail15normal_iteratorINSA_7pointerItNSA_11hip_rocprim3tagENSA_11use_defaultESG_EEEEPS6_NSA_18transform_iteratorI7is_evenItENSC_INSA_10device_ptrItEEEESG_SG_EENS0_5tupleIJPtSJ_EEENSR_IJSJ_SJ_EEES6_PlJS6_EEE10hipError_tPvRmT3_T4_T5_T6_T7_T9_mT8_P12ihipStream_tbDpT10_ENKUlT_T0_E_clISt17integral_constantIbLb0EES1F_EEDaS1A_S1B_EUlS1A_E_NS1_11comp_targetILNS1_3genE2ELNS1_11target_archE906ELNS1_3gpuE6ELNS1_3repE0EEENS1_30default_config_static_selectorELNS0_4arch9wavefront6targetE1EEEvT1_,comdat
	.protected	_ZN7rocprim17ROCPRIM_400000_NS6detail17trampoline_kernelINS0_14default_configENS1_25partition_config_selectorILNS1_17partition_subalgoE2EtNS0_10empty_typeEbEEZZNS1_14partition_implILS5_2ELb0ES3_jN6thrust23THRUST_200600_302600_NS6detail15normal_iteratorINSA_7pointerItNSA_11hip_rocprim3tagENSA_11use_defaultESG_EEEEPS6_NSA_18transform_iteratorI7is_evenItENSC_INSA_10device_ptrItEEEESG_SG_EENS0_5tupleIJPtSJ_EEENSR_IJSJ_SJ_EEES6_PlJS6_EEE10hipError_tPvRmT3_T4_T5_T6_T7_T9_mT8_P12ihipStream_tbDpT10_ENKUlT_T0_E_clISt17integral_constantIbLb0EES1F_EEDaS1A_S1B_EUlS1A_E_NS1_11comp_targetILNS1_3genE2ELNS1_11target_archE906ELNS1_3gpuE6ELNS1_3repE0EEENS1_30default_config_static_selectorELNS0_4arch9wavefront6targetE1EEEvT1_ ; -- Begin function _ZN7rocprim17ROCPRIM_400000_NS6detail17trampoline_kernelINS0_14default_configENS1_25partition_config_selectorILNS1_17partition_subalgoE2EtNS0_10empty_typeEbEEZZNS1_14partition_implILS5_2ELb0ES3_jN6thrust23THRUST_200600_302600_NS6detail15normal_iteratorINSA_7pointerItNSA_11hip_rocprim3tagENSA_11use_defaultESG_EEEEPS6_NSA_18transform_iteratorI7is_evenItENSC_INSA_10device_ptrItEEEESG_SG_EENS0_5tupleIJPtSJ_EEENSR_IJSJ_SJ_EEES6_PlJS6_EEE10hipError_tPvRmT3_T4_T5_T6_T7_T9_mT8_P12ihipStream_tbDpT10_ENKUlT_T0_E_clISt17integral_constantIbLb0EES1F_EEDaS1A_S1B_EUlS1A_E_NS1_11comp_targetILNS1_3genE2ELNS1_11target_archE906ELNS1_3gpuE6ELNS1_3repE0EEENS1_30default_config_static_selectorELNS0_4arch9wavefront6targetE1EEEvT1_
	.globl	_ZN7rocprim17ROCPRIM_400000_NS6detail17trampoline_kernelINS0_14default_configENS1_25partition_config_selectorILNS1_17partition_subalgoE2EtNS0_10empty_typeEbEEZZNS1_14partition_implILS5_2ELb0ES3_jN6thrust23THRUST_200600_302600_NS6detail15normal_iteratorINSA_7pointerItNSA_11hip_rocprim3tagENSA_11use_defaultESG_EEEEPS6_NSA_18transform_iteratorI7is_evenItENSC_INSA_10device_ptrItEEEESG_SG_EENS0_5tupleIJPtSJ_EEENSR_IJSJ_SJ_EEES6_PlJS6_EEE10hipError_tPvRmT3_T4_T5_T6_T7_T9_mT8_P12ihipStream_tbDpT10_ENKUlT_T0_E_clISt17integral_constantIbLb0EES1F_EEDaS1A_S1B_EUlS1A_E_NS1_11comp_targetILNS1_3genE2ELNS1_11target_archE906ELNS1_3gpuE6ELNS1_3repE0EEENS1_30default_config_static_selectorELNS0_4arch9wavefront6targetE1EEEvT1_
	.p2align	8
	.type	_ZN7rocprim17ROCPRIM_400000_NS6detail17trampoline_kernelINS0_14default_configENS1_25partition_config_selectorILNS1_17partition_subalgoE2EtNS0_10empty_typeEbEEZZNS1_14partition_implILS5_2ELb0ES3_jN6thrust23THRUST_200600_302600_NS6detail15normal_iteratorINSA_7pointerItNSA_11hip_rocprim3tagENSA_11use_defaultESG_EEEEPS6_NSA_18transform_iteratorI7is_evenItENSC_INSA_10device_ptrItEEEESG_SG_EENS0_5tupleIJPtSJ_EEENSR_IJSJ_SJ_EEES6_PlJS6_EEE10hipError_tPvRmT3_T4_T5_T6_T7_T9_mT8_P12ihipStream_tbDpT10_ENKUlT_T0_E_clISt17integral_constantIbLb0EES1F_EEDaS1A_S1B_EUlS1A_E_NS1_11comp_targetILNS1_3genE2ELNS1_11target_archE906ELNS1_3gpuE6ELNS1_3repE0EEENS1_30default_config_static_selectorELNS0_4arch9wavefront6targetE1EEEvT1_,@function
_ZN7rocprim17ROCPRIM_400000_NS6detail17trampoline_kernelINS0_14default_configENS1_25partition_config_selectorILNS1_17partition_subalgoE2EtNS0_10empty_typeEbEEZZNS1_14partition_implILS5_2ELb0ES3_jN6thrust23THRUST_200600_302600_NS6detail15normal_iteratorINSA_7pointerItNSA_11hip_rocprim3tagENSA_11use_defaultESG_EEEEPS6_NSA_18transform_iteratorI7is_evenItENSC_INSA_10device_ptrItEEEESG_SG_EENS0_5tupleIJPtSJ_EEENSR_IJSJ_SJ_EEES6_PlJS6_EEE10hipError_tPvRmT3_T4_T5_T6_T7_T9_mT8_P12ihipStream_tbDpT10_ENKUlT_T0_E_clISt17integral_constantIbLb0EES1F_EEDaS1A_S1B_EUlS1A_E_NS1_11comp_targetILNS1_3genE2ELNS1_11target_archE906ELNS1_3gpuE6ELNS1_3repE0EEENS1_30default_config_static_selectorELNS0_4arch9wavefront6targetE1EEEvT1_: ; @_ZN7rocprim17ROCPRIM_400000_NS6detail17trampoline_kernelINS0_14default_configENS1_25partition_config_selectorILNS1_17partition_subalgoE2EtNS0_10empty_typeEbEEZZNS1_14partition_implILS5_2ELb0ES3_jN6thrust23THRUST_200600_302600_NS6detail15normal_iteratorINSA_7pointerItNSA_11hip_rocprim3tagENSA_11use_defaultESG_EEEEPS6_NSA_18transform_iteratorI7is_evenItENSC_INSA_10device_ptrItEEEESG_SG_EENS0_5tupleIJPtSJ_EEENSR_IJSJ_SJ_EEES6_PlJS6_EEE10hipError_tPvRmT3_T4_T5_T6_T7_T9_mT8_P12ihipStream_tbDpT10_ENKUlT_T0_E_clISt17integral_constantIbLb0EES1F_EEDaS1A_S1B_EUlS1A_E_NS1_11comp_targetILNS1_3genE2ELNS1_11target_archE906ELNS1_3gpuE6ELNS1_3repE0EEENS1_30default_config_static_selectorELNS0_4arch9wavefront6targetE1EEEvT1_
; %bb.0:
	.section	.rodata,"a",@progbits
	.p2align	6, 0x0
	.amdhsa_kernel _ZN7rocprim17ROCPRIM_400000_NS6detail17trampoline_kernelINS0_14default_configENS1_25partition_config_selectorILNS1_17partition_subalgoE2EtNS0_10empty_typeEbEEZZNS1_14partition_implILS5_2ELb0ES3_jN6thrust23THRUST_200600_302600_NS6detail15normal_iteratorINSA_7pointerItNSA_11hip_rocprim3tagENSA_11use_defaultESG_EEEEPS6_NSA_18transform_iteratorI7is_evenItENSC_INSA_10device_ptrItEEEESG_SG_EENS0_5tupleIJPtSJ_EEENSR_IJSJ_SJ_EEES6_PlJS6_EEE10hipError_tPvRmT3_T4_T5_T6_T7_T9_mT8_P12ihipStream_tbDpT10_ENKUlT_T0_E_clISt17integral_constantIbLb0EES1F_EEDaS1A_S1B_EUlS1A_E_NS1_11comp_targetILNS1_3genE2ELNS1_11target_archE906ELNS1_3gpuE6ELNS1_3repE0EEENS1_30default_config_static_selectorELNS0_4arch9wavefront6targetE1EEEvT1_
		.amdhsa_group_segment_fixed_size 0
		.amdhsa_private_segment_fixed_size 0
		.amdhsa_kernarg_size 128
		.amdhsa_user_sgpr_count 6
		.amdhsa_user_sgpr_private_segment_buffer 1
		.amdhsa_user_sgpr_dispatch_ptr 0
		.amdhsa_user_sgpr_queue_ptr 0
		.amdhsa_user_sgpr_kernarg_segment_ptr 1
		.amdhsa_user_sgpr_dispatch_id 0
		.amdhsa_user_sgpr_flat_scratch_init 0
		.amdhsa_user_sgpr_kernarg_preload_length 0
		.amdhsa_user_sgpr_kernarg_preload_offset 0
		.amdhsa_user_sgpr_private_segment_size 0
		.amdhsa_uses_dynamic_stack 0
		.amdhsa_system_sgpr_private_segment_wavefront_offset 0
		.amdhsa_system_sgpr_workgroup_id_x 1
		.amdhsa_system_sgpr_workgroup_id_y 0
		.amdhsa_system_sgpr_workgroup_id_z 0
		.amdhsa_system_sgpr_workgroup_info 0
		.amdhsa_system_vgpr_workitem_id 0
		.amdhsa_next_free_vgpr 1
		.amdhsa_next_free_sgpr 0
		.amdhsa_accum_offset 4
		.amdhsa_reserve_vcc 0
		.amdhsa_reserve_flat_scratch 0
		.amdhsa_float_round_mode_32 0
		.amdhsa_float_round_mode_16_64 0
		.amdhsa_float_denorm_mode_32 3
		.amdhsa_float_denorm_mode_16_64 3
		.amdhsa_dx10_clamp 1
		.amdhsa_ieee_mode 1
		.amdhsa_fp16_overflow 0
		.amdhsa_tg_split 0
		.amdhsa_exception_fp_ieee_invalid_op 0
		.amdhsa_exception_fp_denorm_src 0
		.amdhsa_exception_fp_ieee_div_zero 0
		.amdhsa_exception_fp_ieee_overflow 0
		.amdhsa_exception_fp_ieee_underflow 0
		.amdhsa_exception_fp_ieee_inexact 0
		.amdhsa_exception_int_div_zero 0
	.end_amdhsa_kernel
	.section	.text._ZN7rocprim17ROCPRIM_400000_NS6detail17trampoline_kernelINS0_14default_configENS1_25partition_config_selectorILNS1_17partition_subalgoE2EtNS0_10empty_typeEbEEZZNS1_14partition_implILS5_2ELb0ES3_jN6thrust23THRUST_200600_302600_NS6detail15normal_iteratorINSA_7pointerItNSA_11hip_rocprim3tagENSA_11use_defaultESG_EEEEPS6_NSA_18transform_iteratorI7is_evenItENSC_INSA_10device_ptrItEEEESG_SG_EENS0_5tupleIJPtSJ_EEENSR_IJSJ_SJ_EEES6_PlJS6_EEE10hipError_tPvRmT3_T4_T5_T6_T7_T9_mT8_P12ihipStream_tbDpT10_ENKUlT_T0_E_clISt17integral_constantIbLb0EES1F_EEDaS1A_S1B_EUlS1A_E_NS1_11comp_targetILNS1_3genE2ELNS1_11target_archE906ELNS1_3gpuE6ELNS1_3repE0EEENS1_30default_config_static_selectorELNS0_4arch9wavefront6targetE1EEEvT1_,"axG",@progbits,_ZN7rocprim17ROCPRIM_400000_NS6detail17trampoline_kernelINS0_14default_configENS1_25partition_config_selectorILNS1_17partition_subalgoE2EtNS0_10empty_typeEbEEZZNS1_14partition_implILS5_2ELb0ES3_jN6thrust23THRUST_200600_302600_NS6detail15normal_iteratorINSA_7pointerItNSA_11hip_rocprim3tagENSA_11use_defaultESG_EEEEPS6_NSA_18transform_iteratorI7is_evenItENSC_INSA_10device_ptrItEEEESG_SG_EENS0_5tupleIJPtSJ_EEENSR_IJSJ_SJ_EEES6_PlJS6_EEE10hipError_tPvRmT3_T4_T5_T6_T7_T9_mT8_P12ihipStream_tbDpT10_ENKUlT_T0_E_clISt17integral_constantIbLb0EES1F_EEDaS1A_S1B_EUlS1A_E_NS1_11comp_targetILNS1_3genE2ELNS1_11target_archE906ELNS1_3gpuE6ELNS1_3repE0EEENS1_30default_config_static_selectorELNS0_4arch9wavefront6targetE1EEEvT1_,comdat
.Lfunc_end2074:
	.size	_ZN7rocprim17ROCPRIM_400000_NS6detail17trampoline_kernelINS0_14default_configENS1_25partition_config_selectorILNS1_17partition_subalgoE2EtNS0_10empty_typeEbEEZZNS1_14partition_implILS5_2ELb0ES3_jN6thrust23THRUST_200600_302600_NS6detail15normal_iteratorINSA_7pointerItNSA_11hip_rocprim3tagENSA_11use_defaultESG_EEEEPS6_NSA_18transform_iteratorI7is_evenItENSC_INSA_10device_ptrItEEEESG_SG_EENS0_5tupleIJPtSJ_EEENSR_IJSJ_SJ_EEES6_PlJS6_EEE10hipError_tPvRmT3_T4_T5_T6_T7_T9_mT8_P12ihipStream_tbDpT10_ENKUlT_T0_E_clISt17integral_constantIbLb0EES1F_EEDaS1A_S1B_EUlS1A_E_NS1_11comp_targetILNS1_3genE2ELNS1_11target_archE906ELNS1_3gpuE6ELNS1_3repE0EEENS1_30default_config_static_selectorELNS0_4arch9wavefront6targetE1EEEvT1_, .Lfunc_end2074-_ZN7rocprim17ROCPRIM_400000_NS6detail17trampoline_kernelINS0_14default_configENS1_25partition_config_selectorILNS1_17partition_subalgoE2EtNS0_10empty_typeEbEEZZNS1_14partition_implILS5_2ELb0ES3_jN6thrust23THRUST_200600_302600_NS6detail15normal_iteratorINSA_7pointerItNSA_11hip_rocprim3tagENSA_11use_defaultESG_EEEEPS6_NSA_18transform_iteratorI7is_evenItENSC_INSA_10device_ptrItEEEESG_SG_EENS0_5tupleIJPtSJ_EEENSR_IJSJ_SJ_EEES6_PlJS6_EEE10hipError_tPvRmT3_T4_T5_T6_T7_T9_mT8_P12ihipStream_tbDpT10_ENKUlT_T0_E_clISt17integral_constantIbLb0EES1F_EEDaS1A_S1B_EUlS1A_E_NS1_11comp_targetILNS1_3genE2ELNS1_11target_archE906ELNS1_3gpuE6ELNS1_3repE0EEENS1_30default_config_static_selectorELNS0_4arch9wavefront6targetE1EEEvT1_
                                        ; -- End function
	.section	.AMDGPU.csdata,"",@progbits
; Kernel info:
; codeLenInByte = 0
; NumSgprs: 4
; NumVgprs: 0
; NumAgprs: 0
; TotalNumVgprs: 0
; ScratchSize: 0
; MemoryBound: 0
; FloatMode: 240
; IeeeMode: 1
; LDSByteSize: 0 bytes/workgroup (compile time only)
; SGPRBlocks: 0
; VGPRBlocks: 0
; NumSGPRsForWavesPerEU: 4
; NumVGPRsForWavesPerEU: 1
; AccumOffset: 4
; Occupancy: 8
; WaveLimiterHint : 0
; COMPUTE_PGM_RSRC2:SCRATCH_EN: 0
; COMPUTE_PGM_RSRC2:USER_SGPR: 6
; COMPUTE_PGM_RSRC2:TRAP_HANDLER: 0
; COMPUTE_PGM_RSRC2:TGID_X_EN: 1
; COMPUTE_PGM_RSRC2:TGID_Y_EN: 0
; COMPUTE_PGM_RSRC2:TGID_Z_EN: 0
; COMPUTE_PGM_RSRC2:TIDIG_COMP_CNT: 0
; COMPUTE_PGM_RSRC3_GFX90A:ACCUM_OFFSET: 0
; COMPUTE_PGM_RSRC3_GFX90A:TG_SPLIT: 0
	.section	.text._ZN7rocprim17ROCPRIM_400000_NS6detail17trampoline_kernelINS0_14default_configENS1_25partition_config_selectorILNS1_17partition_subalgoE2EtNS0_10empty_typeEbEEZZNS1_14partition_implILS5_2ELb0ES3_jN6thrust23THRUST_200600_302600_NS6detail15normal_iteratorINSA_7pointerItNSA_11hip_rocprim3tagENSA_11use_defaultESG_EEEEPS6_NSA_18transform_iteratorI7is_evenItENSC_INSA_10device_ptrItEEEESG_SG_EENS0_5tupleIJPtSJ_EEENSR_IJSJ_SJ_EEES6_PlJS6_EEE10hipError_tPvRmT3_T4_T5_T6_T7_T9_mT8_P12ihipStream_tbDpT10_ENKUlT_T0_E_clISt17integral_constantIbLb0EES1F_EEDaS1A_S1B_EUlS1A_E_NS1_11comp_targetILNS1_3genE10ELNS1_11target_archE1200ELNS1_3gpuE4ELNS1_3repE0EEENS1_30default_config_static_selectorELNS0_4arch9wavefront6targetE1EEEvT1_,"axG",@progbits,_ZN7rocprim17ROCPRIM_400000_NS6detail17trampoline_kernelINS0_14default_configENS1_25partition_config_selectorILNS1_17partition_subalgoE2EtNS0_10empty_typeEbEEZZNS1_14partition_implILS5_2ELb0ES3_jN6thrust23THRUST_200600_302600_NS6detail15normal_iteratorINSA_7pointerItNSA_11hip_rocprim3tagENSA_11use_defaultESG_EEEEPS6_NSA_18transform_iteratorI7is_evenItENSC_INSA_10device_ptrItEEEESG_SG_EENS0_5tupleIJPtSJ_EEENSR_IJSJ_SJ_EEES6_PlJS6_EEE10hipError_tPvRmT3_T4_T5_T6_T7_T9_mT8_P12ihipStream_tbDpT10_ENKUlT_T0_E_clISt17integral_constantIbLb0EES1F_EEDaS1A_S1B_EUlS1A_E_NS1_11comp_targetILNS1_3genE10ELNS1_11target_archE1200ELNS1_3gpuE4ELNS1_3repE0EEENS1_30default_config_static_selectorELNS0_4arch9wavefront6targetE1EEEvT1_,comdat
	.protected	_ZN7rocprim17ROCPRIM_400000_NS6detail17trampoline_kernelINS0_14default_configENS1_25partition_config_selectorILNS1_17partition_subalgoE2EtNS0_10empty_typeEbEEZZNS1_14partition_implILS5_2ELb0ES3_jN6thrust23THRUST_200600_302600_NS6detail15normal_iteratorINSA_7pointerItNSA_11hip_rocprim3tagENSA_11use_defaultESG_EEEEPS6_NSA_18transform_iteratorI7is_evenItENSC_INSA_10device_ptrItEEEESG_SG_EENS0_5tupleIJPtSJ_EEENSR_IJSJ_SJ_EEES6_PlJS6_EEE10hipError_tPvRmT3_T4_T5_T6_T7_T9_mT8_P12ihipStream_tbDpT10_ENKUlT_T0_E_clISt17integral_constantIbLb0EES1F_EEDaS1A_S1B_EUlS1A_E_NS1_11comp_targetILNS1_3genE10ELNS1_11target_archE1200ELNS1_3gpuE4ELNS1_3repE0EEENS1_30default_config_static_selectorELNS0_4arch9wavefront6targetE1EEEvT1_ ; -- Begin function _ZN7rocprim17ROCPRIM_400000_NS6detail17trampoline_kernelINS0_14default_configENS1_25partition_config_selectorILNS1_17partition_subalgoE2EtNS0_10empty_typeEbEEZZNS1_14partition_implILS5_2ELb0ES3_jN6thrust23THRUST_200600_302600_NS6detail15normal_iteratorINSA_7pointerItNSA_11hip_rocprim3tagENSA_11use_defaultESG_EEEEPS6_NSA_18transform_iteratorI7is_evenItENSC_INSA_10device_ptrItEEEESG_SG_EENS0_5tupleIJPtSJ_EEENSR_IJSJ_SJ_EEES6_PlJS6_EEE10hipError_tPvRmT3_T4_T5_T6_T7_T9_mT8_P12ihipStream_tbDpT10_ENKUlT_T0_E_clISt17integral_constantIbLb0EES1F_EEDaS1A_S1B_EUlS1A_E_NS1_11comp_targetILNS1_3genE10ELNS1_11target_archE1200ELNS1_3gpuE4ELNS1_3repE0EEENS1_30default_config_static_selectorELNS0_4arch9wavefront6targetE1EEEvT1_
	.globl	_ZN7rocprim17ROCPRIM_400000_NS6detail17trampoline_kernelINS0_14default_configENS1_25partition_config_selectorILNS1_17partition_subalgoE2EtNS0_10empty_typeEbEEZZNS1_14partition_implILS5_2ELb0ES3_jN6thrust23THRUST_200600_302600_NS6detail15normal_iteratorINSA_7pointerItNSA_11hip_rocprim3tagENSA_11use_defaultESG_EEEEPS6_NSA_18transform_iteratorI7is_evenItENSC_INSA_10device_ptrItEEEESG_SG_EENS0_5tupleIJPtSJ_EEENSR_IJSJ_SJ_EEES6_PlJS6_EEE10hipError_tPvRmT3_T4_T5_T6_T7_T9_mT8_P12ihipStream_tbDpT10_ENKUlT_T0_E_clISt17integral_constantIbLb0EES1F_EEDaS1A_S1B_EUlS1A_E_NS1_11comp_targetILNS1_3genE10ELNS1_11target_archE1200ELNS1_3gpuE4ELNS1_3repE0EEENS1_30default_config_static_selectorELNS0_4arch9wavefront6targetE1EEEvT1_
	.p2align	8
	.type	_ZN7rocprim17ROCPRIM_400000_NS6detail17trampoline_kernelINS0_14default_configENS1_25partition_config_selectorILNS1_17partition_subalgoE2EtNS0_10empty_typeEbEEZZNS1_14partition_implILS5_2ELb0ES3_jN6thrust23THRUST_200600_302600_NS6detail15normal_iteratorINSA_7pointerItNSA_11hip_rocprim3tagENSA_11use_defaultESG_EEEEPS6_NSA_18transform_iteratorI7is_evenItENSC_INSA_10device_ptrItEEEESG_SG_EENS0_5tupleIJPtSJ_EEENSR_IJSJ_SJ_EEES6_PlJS6_EEE10hipError_tPvRmT3_T4_T5_T6_T7_T9_mT8_P12ihipStream_tbDpT10_ENKUlT_T0_E_clISt17integral_constantIbLb0EES1F_EEDaS1A_S1B_EUlS1A_E_NS1_11comp_targetILNS1_3genE10ELNS1_11target_archE1200ELNS1_3gpuE4ELNS1_3repE0EEENS1_30default_config_static_selectorELNS0_4arch9wavefront6targetE1EEEvT1_,@function
_ZN7rocprim17ROCPRIM_400000_NS6detail17trampoline_kernelINS0_14default_configENS1_25partition_config_selectorILNS1_17partition_subalgoE2EtNS0_10empty_typeEbEEZZNS1_14partition_implILS5_2ELb0ES3_jN6thrust23THRUST_200600_302600_NS6detail15normal_iteratorINSA_7pointerItNSA_11hip_rocprim3tagENSA_11use_defaultESG_EEEEPS6_NSA_18transform_iteratorI7is_evenItENSC_INSA_10device_ptrItEEEESG_SG_EENS0_5tupleIJPtSJ_EEENSR_IJSJ_SJ_EEES6_PlJS6_EEE10hipError_tPvRmT3_T4_T5_T6_T7_T9_mT8_P12ihipStream_tbDpT10_ENKUlT_T0_E_clISt17integral_constantIbLb0EES1F_EEDaS1A_S1B_EUlS1A_E_NS1_11comp_targetILNS1_3genE10ELNS1_11target_archE1200ELNS1_3gpuE4ELNS1_3repE0EEENS1_30default_config_static_selectorELNS0_4arch9wavefront6targetE1EEEvT1_: ; @_ZN7rocprim17ROCPRIM_400000_NS6detail17trampoline_kernelINS0_14default_configENS1_25partition_config_selectorILNS1_17partition_subalgoE2EtNS0_10empty_typeEbEEZZNS1_14partition_implILS5_2ELb0ES3_jN6thrust23THRUST_200600_302600_NS6detail15normal_iteratorINSA_7pointerItNSA_11hip_rocprim3tagENSA_11use_defaultESG_EEEEPS6_NSA_18transform_iteratorI7is_evenItENSC_INSA_10device_ptrItEEEESG_SG_EENS0_5tupleIJPtSJ_EEENSR_IJSJ_SJ_EEES6_PlJS6_EEE10hipError_tPvRmT3_T4_T5_T6_T7_T9_mT8_P12ihipStream_tbDpT10_ENKUlT_T0_E_clISt17integral_constantIbLb0EES1F_EEDaS1A_S1B_EUlS1A_E_NS1_11comp_targetILNS1_3genE10ELNS1_11target_archE1200ELNS1_3gpuE4ELNS1_3repE0EEENS1_30default_config_static_selectorELNS0_4arch9wavefront6targetE1EEEvT1_
; %bb.0:
	.section	.rodata,"a",@progbits
	.p2align	6, 0x0
	.amdhsa_kernel _ZN7rocprim17ROCPRIM_400000_NS6detail17trampoline_kernelINS0_14default_configENS1_25partition_config_selectorILNS1_17partition_subalgoE2EtNS0_10empty_typeEbEEZZNS1_14partition_implILS5_2ELb0ES3_jN6thrust23THRUST_200600_302600_NS6detail15normal_iteratorINSA_7pointerItNSA_11hip_rocprim3tagENSA_11use_defaultESG_EEEEPS6_NSA_18transform_iteratorI7is_evenItENSC_INSA_10device_ptrItEEEESG_SG_EENS0_5tupleIJPtSJ_EEENSR_IJSJ_SJ_EEES6_PlJS6_EEE10hipError_tPvRmT3_T4_T5_T6_T7_T9_mT8_P12ihipStream_tbDpT10_ENKUlT_T0_E_clISt17integral_constantIbLb0EES1F_EEDaS1A_S1B_EUlS1A_E_NS1_11comp_targetILNS1_3genE10ELNS1_11target_archE1200ELNS1_3gpuE4ELNS1_3repE0EEENS1_30default_config_static_selectorELNS0_4arch9wavefront6targetE1EEEvT1_
		.amdhsa_group_segment_fixed_size 0
		.amdhsa_private_segment_fixed_size 0
		.amdhsa_kernarg_size 128
		.amdhsa_user_sgpr_count 6
		.amdhsa_user_sgpr_private_segment_buffer 1
		.amdhsa_user_sgpr_dispatch_ptr 0
		.amdhsa_user_sgpr_queue_ptr 0
		.amdhsa_user_sgpr_kernarg_segment_ptr 1
		.amdhsa_user_sgpr_dispatch_id 0
		.amdhsa_user_sgpr_flat_scratch_init 0
		.amdhsa_user_sgpr_kernarg_preload_length 0
		.amdhsa_user_sgpr_kernarg_preload_offset 0
		.amdhsa_user_sgpr_private_segment_size 0
		.amdhsa_uses_dynamic_stack 0
		.amdhsa_system_sgpr_private_segment_wavefront_offset 0
		.amdhsa_system_sgpr_workgroup_id_x 1
		.amdhsa_system_sgpr_workgroup_id_y 0
		.amdhsa_system_sgpr_workgroup_id_z 0
		.amdhsa_system_sgpr_workgroup_info 0
		.amdhsa_system_vgpr_workitem_id 0
		.amdhsa_next_free_vgpr 1
		.amdhsa_next_free_sgpr 0
		.amdhsa_accum_offset 4
		.amdhsa_reserve_vcc 0
		.amdhsa_reserve_flat_scratch 0
		.amdhsa_float_round_mode_32 0
		.amdhsa_float_round_mode_16_64 0
		.amdhsa_float_denorm_mode_32 3
		.amdhsa_float_denorm_mode_16_64 3
		.amdhsa_dx10_clamp 1
		.amdhsa_ieee_mode 1
		.amdhsa_fp16_overflow 0
		.amdhsa_tg_split 0
		.amdhsa_exception_fp_ieee_invalid_op 0
		.amdhsa_exception_fp_denorm_src 0
		.amdhsa_exception_fp_ieee_div_zero 0
		.amdhsa_exception_fp_ieee_overflow 0
		.amdhsa_exception_fp_ieee_underflow 0
		.amdhsa_exception_fp_ieee_inexact 0
		.amdhsa_exception_int_div_zero 0
	.end_amdhsa_kernel
	.section	.text._ZN7rocprim17ROCPRIM_400000_NS6detail17trampoline_kernelINS0_14default_configENS1_25partition_config_selectorILNS1_17partition_subalgoE2EtNS0_10empty_typeEbEEZZNS1_14partition_implILS5_2ELb0ES3_jN6thrust23THRUST_200600_302600_NS6detail15normal_iteratorINSA_7pointerItNSA_11hip_rocprim3tagENSA_11use_defaultESG_EEEEPS6_NSA_18transform_iteratorI7is_evenItENSC_INSA_10device_ptrItEEEESG_SG_EENS0_5tupleIJPtSJ_EEENSR_IJSJ_SJ_EEES6_PlJS6_EEE10hipError_tPvRmT3_T4_T5_T6_T7_T9_mT8_P12ihipStream_tbDpT10_ENKUlT_T0_E_clISt17integral_constantIbLb0EES1F_EEDaS1A_S1B_EUlS1A_E_NS1_11comp_targetILNS1_3genE10ELNS1_11target_archE1200ELNS1_3gpuE4ELNS1_3repE0EEENS1_30default_config_static_selectorELNS0_4arch9wavefront6targetE1EEEvT1_,"axG",@progbits,_ZN7rocprim17ROCPRIM_400000_NS6detail17trampoline_kernelINS0_14default_configENS1_25partition_config_selectorILNS1_17partition_subalgoE2EtNS0_10empty_typeEbEEZZNS1_14partition_implILS5_2ELb0ES3_jN6thrust23THRUST_200600_302600_NS6detail15normal_iteratorINSA_7pointerItNSA_11hip_rocprim3tagENSA_11use_defaultESG_EEEEPS6_NSA_18transform_iteratorI7is_evenItENSC_INSA_10device_ptrItEEEESG_SG_EENS0_5tupleIJPtSJ_EEENSR_IJSJ_SJ_EEES6_PlJS6_EEE10hipError_tPvRmT3_T4_T5_T6_T7_T9_mT8_P12ihipStream_tbDpT10_ENKUlT_T0_E_clISt17integral_constantIbLb0EES1F_EEDaS1A_S1B_EUlS1A_E_NS1_11comp_targetILNS1_3genE10ELNS1_11target_archE1200ELNS1_3gpuE4ELNS1_3repE0EEENS1_30default_config_static_selectorELNS0_4arch9wavefront6targetE1EEEvT1_,comdat
.Lfunc_end2075:
	.size	_ZN7rocprim17ROCPRIM_400000_NS6detail17trampoline_kernelINS0_14default_configENS1_25partition_config_selectorILNS1_17partition_subalgoE2EtNS0_10empty_typeEbEEZZNS1_14partition_implILS5_2ELb0ES3_jN6thrust23THRUST_200600_302600_NS6detail15normal_iteratorINSA_7pointerItNSA_11hip_rocprim3tagENSA_11use_defaultESG_EEEEPS6_NSA_18transform_iteratorI7is_evenItENSC_INSA_10device_ptrItEEEESG_SG_EENS0_5tupleIJPtSJ_EEENSR_IJSJ_SJ_EEES6_PlJS6_EEE10hipError_tPvRmT3_T4_T5_T6_T7_T9_mT8_P12ihipStream_tbDpT10_ENKUlT_T0_E_clISt17integral_constantIbLb0EES1F_EEDaS1A_S1B_EUlS1A_E_NS1_11comp_targetILNS1_3genE10ELNS1_11target_archE1200ELNS1_3gpuE4ELNS1_3repE0EEENS1_30default_config_static_selectorELNS0_4arch9wavefront6targetE1EEEvT1_, .Lfunc_end2075-_ZN7rocprim17ROCPRIM_400000_NS6detail17trampoline_kernelINS0_14default_configENS1_25partition_config_selectorILNS1_17partition_subalgoE2EtNS0_10empty_typeEbEEZZNS1_14partition_implILS5_2ELb0ES3_jN6thrust23THRUST_200600_302600_NS6detail15normal_iteratorINSA_7pointerItNSA_11hip_rocprim3tagENSA_11use_defaultESG_EEEEPS6_NSA_18transform_iteratorI7is_evenItENSC_INSA_10device_ptrItEEEESG_SG_EENS0_5tupleIJPtSJ_EEENSR_IJSJ_SJ_EEES6_PlJS6_EEE10hipError_tPvRmT3_T4_T5_T6_T7_T9_mT8_P12ihipStream_tbDpT10_ENKUlT_T0_E_clISt17integral_constantIbLb0EES1F_EEDaS1A_S1B_EUlS1A_E_NS1_11comp_targetILNS1_3genE10ELNS1_11target_archE1200ELNS1_3gpuE4ELNS1_3repE0EEENS1_30default_config_static_selectorELNS0_4arch9wavefront6targetE1EEEvT1_
                                        ; -- End function
	.section	.AMDGPU.csdata,"",@progbits
; Kernel info:
; codeLenInByte = 0
; NumSgprs: 4
; NumVgprs: 0
; NumAgprs: 0
; TotalNumVgprs: 0
; ScratchSize: 0
; MemoryBound: 0
; FloatMode: 240
; IeeeMode: 1
; LDSByteSize: 0 bytes/workgroup (compile time only)
; SGPRBlocks: 0
; VGPRBlocks: 0
; NumSGPRsForWavesPerEU: 4
; NumVGPRsForWavesPerEU: 1
; AccumOffset: 4
; Occupancy: 8
; WaveLimiterHint : 0
; COMPUTE_PGM_RSRC2:SCRATCH_EN: 0
; COMPUTE_PGM_RSRC2:USER_SGPR: 6
; COMPUTE_PGM_RSRC2:TRAP_HANDLER: 0
; COMPUTE_PGM_RSRC2:TGID_X_EN: 1
; COMPUTE_PGM_RSRC2:TGID_Y_EN: 0
; COMPUTE_PGM_RSRC2:TGID_Z_EN: 0
; COMPUTE_PGM_RSRC2:TIDIG_COMP_CNT: 0
; COMPUTE_PGM_RSRC3_GFX90A:ACCUM_OFFSET: 0
; COMPUTE_PGM_RSRC3_GFX90A:TG_SPLIT: 0
	.section	.text._ZN7rocprim17ROCPRIM_400000_NS6detail17trampoline_kernelINS0_14default_configENS1_25partition_config_selectorILNS1_17partition_subalgoE2EtNS0_10empty_typeEbEEZZNS1_14partition_implILS5_2ELb0ES3_jN6thrust23THRUST_200600_302600_NS6detail15normal_iteratorINSA_7pointerItNSA_11hip_rocprim3tagENSA_11use_defaultESG_EEEEPS6_NSA_18transform_iteratorI7is_evenItENSC_INSA_10device_ptrItEEEESG_SG_EENS0_5tupleIJPtSJ_EEENSR_IJSJ_SJ_EEES6_PlJS6_EEE10hipError_tPvRmT3_T4_T5_T6_T7_T9_mT8_P12ihipStream_tbDpT10_ENKUlT_T0_E_clISt17integral_constantIbLb0EES1F_EEDaS1A_S1B_EUlS1A_E_NS1_11comp_targetILNS1_3genE9ELNS1_11target_archE1100ELNS1_3gpuE3ELNS1_3repE0EEENS1_30default_config_static_selectorELNS0_4arch9wavefront6targetE1EEEvT1_,"axG",@progbits,_ZN7rocprim17ROCPRIM_400000_NS6detail17trampoline_kernelINS0_14default_configENS1_25partition_config_selectorILNS1_17partition_subalgoE2EtNS0_10empty_typeEbEEZZNS1_14partition_implILS5_2ELb0ES3_jN6thrust23THRUST_200600_302600_NS6detail15normal_iteratorINSA_7pointerItNSA_11hip_rocprim3tagENSA_11use_defaultESG_EEEEPS6_NSA_18transform_iteratorI7is_evenItENSC_INSA_10device_ptrItEEEESG_SG_EENS0_5tupleIJPtSJ_EEENSR_IJSJ_SJ_EEES6_PlJS6_EEE10hipError_tPvRmT3_T4_T5_T6_T7_T9_mT8_P12ihipStream_tbDpT10_ENKUlT_T0_E_clISt17integral_constantIbLb0EES1F_EEDaS1A_S1B_EUlS1A_E_NS1_11comp_targetILNS1_3genE9ELNS1_11target_archE1100ELNS1_3gpuE3ELNS1_3repE0EEENS1_30default_config_static_selectorELNS0_4arch9wavefront6targetE1EEEvT1_,comdat
	.protected	_ZN7rocprim17ROCPRIM_400000_NS6detail17trampoline_kernelINS0_14default_configENS1_25partition_config_selectorILNS1_17partition_subalgoE2EtNS0_10empty_typeEbEEZZNS1_14partition_implILS5_2ELb0ES3_jN6thrust23THRUST_200600_302600_NS6detail15normal_iteratorINSA_7pointerItNSA_11hip_rocprim3tagENSA_11use_defaultESG_EEEEPS6_NSA_18transform_iteratorI7is_evenItENSC_INSA_10device_ptrItEEEESG_SG_EENS0_5tupleIJPtSJ_EEENSR_IJSJ_SJ_EEES6_PlJS6_EEE10hipError_tPvRmT3_T4_T5_T6_T7_T9_mT8_P12ihipStream_tbDpT10_ENKUlT_T0_E_clISt17integral_constantIbLb0EES1F_EEDaS1A_S1B_EUlS1A_E_NS1_11comp_targetILNS1_3genE9ELNS1_11target_archE1100ELNS1_3gpuE3ELNS1_3repE0EEENS1_30default_config_static_selectorELNS0_4arch9wavefront6targetE1EEEvT1_ ; -- Begin function _ZN7rocprim17ROCPRIM_400000_NS6detail17trampoline_kernelINS0_14default_configENS1_25partition_config_selectorILNS1_17partition_subalgoE2EtNS0_10empty_typeEbEEZZNS1_14partition_implILS5_2ELb0ES3_jN6thrust23THRUST_200600_302600_NS6detail15normal_iteratorINSA_7pointerItNSA_11hip_rocprim3tagENSA_11use_defaultESG_EEEEPS6_NSA_18transform_iteratorI7is_evenItENSC_INSA_10device_ptrItEEEESG_SG_EENS0_5tupleIJPtSJ_EEENSR_IJSJ_SJ_EEES6_PlJS6_EEE10hipError_tPvRmT3_T4_T5_T6_T7_T9_mT8_P12ihipStream_tbDpT10_ENKUlT_T0_E_clISt17integral_constantIbLb0EES1F_EEDaS1A_S1B_EUlS1A_E_NS1_11comp_targetILNS1_3genE9ELNS1_11target_archE1100ELNS1_3gpuE3ELNS1_3repE0EEENS1_30default_config_static_selectorELNS0_4arch9wavefront6targetE1EEEvT1_
	.globl	_ZN7rocprim17ROCPRIM_400000_NS6detail17trampoline_kernelINS0_14default_configENS1_25partition_config_selectorILNS1_17partition_subalgoE2EtNS0_10empty_typeEbEEZZNS1_14partition_implILS5_2ELb0ES3_jN6thrust23THRUST_200600_302600_NS6detail15normal_iteratorINSA_7pointerItNSA_11hip_rocprim3tagENSA_11use_defaultESG_EEEEPS6_NSA_18transform_iteratorI7is_evenItENSC_INSA_10device_ptrItEEEESG_SG_EENS0_5tupleIJPtSJ_EEENSR_IJSJ_SJ_EEES6_PlJS6_EEE10hipError_tPvRmT3_T4_T5_T6_T7_T9_mT8_P12ihipStream_tbDpT10_ENKUlT_T0_E_clISt17integral_constantIbLb0EES1F_EEDaS1A_S1B_EUlS1A_E_NS1_11comp_targetILNS1_3genE9ELNS1_11target_archE1100ELNS1_3gpuE3ELNS1_3repE0EEENS1_30default_config_static_selectorELNS0_4arch9wavefront6targetE1EEEvT1_
	.p2align	8
	.type	_ZN7rocprim17ROCPRIM_400000_NS6detail17trampoline_kernelINS0_14default_configENS1_25partition_config_selectorILNS1_17partition_subalgoE2EtNS0_10empty_typeEbEEZZNS1_14partition_implILS5_2ELb0ES3_jN6thrust23THRUST_200600_302600_NS6detail15normal_iteratorINSA_7pointerItNSA_11hip_rocprim3tagENSA_11use_defaultESG_EEEEPS6_NSA_18transform_iteratorI7is_evenItENSC_INSA_10device_ptrItEEEESG_SG_EENS0_5tupleIJPtSJ_EEENSR_IJSJ_SJ_EEES6_PlJS6_EEE10hipError_tPvRmT3_T4_T5_T6_T7_T9_mT8_P12ihipStream_tbDpT10_ENKUlT_T0_E_clISt17integral_constantIbLb0EES1F_EEDaS1A_S1B_EUlS1A_E_NS1_11comp_targetILNS1_3genE9ELNS1_11target_archE1100ELNS1_3gpuE3ELNS1_3repE0EEENS1_30default_config_static_selectorELNS0_4arch9wavefront6targetE1EEEvT1_,@function
_ZN7rocprim17ROCPRIM_400000_NS6detail17trampoline_kernelINS0_14default_configENS1_25partition_config_selectorILNS1_17partition_subalgoE2EtNS0_10empty_typeEbEEZZNS1_14partition_implILS5_2ELb0ES3_jN6thrust23THRUST_200600_302600_NS6detail15normal_iteratorINSA_7pointerItNSA_11hip_rocprim3tagENSA_11use_defaultESG_EEEEPS6_NSA_18transform_iteratorI7is_evenItENSC_INSA_10device_ptrItEEEESG_SG_EENS0_5tupleIJPtSJ_EEENSR_IJSJ_SJ_EEES6_PlJS6_EEE10hipError_tPvRmT3_T4_T5_T6_T7_T9_mT8_P12ihipStream_tbDpT10_ENKUlT_T0_E_clISt17integral_constantIbLb0EES1F_EEDaS1A_S1B_EUlS1A_E_NS1_11comp_targetILNS1_3genE9ELNS1_11target_archE1100ELNS1_3gpuE3ELNS1_3repE0EEENS1_30default_config_static_selectorELNS0_4arch9wavefront6targetE1EEEvT1_: ; @_ZN7rocprim17ROCPRIM_400000_NS6detail17trampoline_kernelINS0_14default_configENS1_25partition_config_selectorILNS1_17partition_subalgoE2EtNS0_10empty_typeEbEEZZNS1_14partition_implILS5_2ELb0ES3_jN6thrust23THRUST_200600_302600_NS6detail15normal_iteratorINSA_7pointerItNSA_11hip_rocprim3tagENSA_11use_defaultESG_EEEEPS6_NSA_18transform_iteratorI7is_evenItENSC_INSA_10device_ptrItEEEESG_SG_EENS0_5tupleIJPtSJ_EEENSR_IJSJ_SJ_EEES6_PlJS6_EEE10hipError_tPvRmT3_T4_T5_T6_T7_T9_mT8_P12ihipStream_tbDpT10_ENKUlT_T0_E_clISt17integral_constantIbLb0EES1F_EEDaS1A_S1B_EUlS1A_E_NS1_11comp_targetILNS1_3genE9ELNS1_11target_archE1100ELNS1_3gpuE3ELNS1_3repE0EEENS1_30default_config_static_selectorELNS0_4arch9wavefront6targetE1EEEvT1_
; %bb.0:
	.section	.rodata,"a",@progbits
	.p2align	6, 0x0
	.amdhsa_kernel _ZN7rocprim17ROCPRIM_400000_NS6detail17trampoline_kernelINS0_14default_configENS1_25partition_config_selectorILNS1_17partition_subalgoE2EtNS0_10empty_typeEbEEZZNS1_14partition_implILS5_2ELb0ES3_jN6thrust23THRUST_200600_302600_NS6detail15normal_iteratorINSA_7pointerItNSA_11hip_rocprim3tagENSA_11use_defaultESG_EEEEPS6_NSA_18transform_iteratorI7is_evenItENSC_INSA_10device_ptrItEEEESG_SG_EENS0_5tupleIJPtSJ_EEENSR_IJSJ_SJ_EEES6_PlJS6_EEE10hipError_tPvRmT3_T4_T5_T6_T7_T9_mT8_P12ihipStream_tbDpT10_ENKUlT_T0_E_clISt17integral_constantIbLb0EES1F_EEDaS1A_S1B_EUlS1A_E_NS1_11comp_targetILNS1_3genE9ELNS1_11target_archE1100ELNS1_3gpuE3ELNS1_3repE0EEENS1_30default_config_static_selectorELNS0_4arch9wavefront6targetE1EEEvT1_
		.amdhsa_group_segment_fixed_size 0
		.amdhsa_private_segment_fixed_size 0
		.amdhsa_kernarg_size 128
		.amdhsa_user_sgpr_count 6
		.amdhsa_user_sgpr_private_segment_buffer 1
		.amdhsa_user_sgpr_dispatch_ptr 0
		.amdhsa_user_sgpr_queue_ptr 0
		.amdhsa_user_sgpr_kernarg_segment_ptr 1
		.amdhsa_user_sgpr_dispatch_id 0
		.amdhsa_user_sgpr_flat_scratch_init 0
		.amdhsa_user_sgpr_kernarg_preload_length 0
		.amdhsa_user_sgpr_kernarg_preload_offset 0
		.amdhsa_user_sgpr_private_segment_size 0
		.amdhsa_uses_dynamic_stack 0
		.amdhsa_system_sgpr_private_segment_wavefront_offset 0
		.amdhsa_system_sgpr_workgroup_id_x 1
		.amdhsa_system_sgpr_workgroup_id_y 0
		.amdhsa_system_sgpr_workgroup_id_z 0
		.amdhsa_system_sgpr_workgroup_info 0
		.amdhsa_system_vgpr_workitem_id 0
		.amdhsa_next_free_vgpr 1
		.amdhsa_next_free_sgpr 0
		.amdhsa_accum_offset 4
		.amdhsa_reserve_vcc 0
		.amdhsa_reserve_flat_scratch 0
		.amdhsa_float_round_mode_32 0
		.amdhsa_float_round_mode_16_64 0
		.amdhsa_float_denorm_mode_32 3
		.amdhsa_float_denorm_mode_16_64 3
		.amdhsa_dx10_clamp 1
		.amdhsa_ieee_mode 1
		.amdhsa_fp16_overflow 0
		.amdhsa_tg_split 0
		.amdhsa_exception_fp_ieee_invalid_op 0
		.amdhsa_exception_fp_denorm_src 0
		.amdhsa_exception_fp_ieee_div_zero 0
		.amdhsa_exception_fp_ieee_overflow 0
		.amdhsa_exception_fp_ieee_underflow 0
		.amdhsa_exception_fp_ieee_inexact 0
		.amdhsa_exception_int_div_zero 0
	.end_amdhsa_kernel
	.section	.text._ZN7rocprim17ROCPRIM_400000_NS6detail17trampoline_kernelINS0_14default_configENS1_25partition_config_selectorILNS1_17partition_subalgoE2EtNS0_10empty_typeEbEEZZNS1_14partition_implILS5_2ELb0ES3_jN6thrust23THRUST_200600_302600_NS6detail15normal_iteratorINSA_7pointerItNSA_11hip_rocprim3tagENSA_11use_defaultESG_EEEEPS6_NSA_18transform_iteratorI7is_evenItENSC_INSA_10device_ptrItEEEESG_SG_EENS0_5tupleIJPtSJ_EEENSR_IJSJ_SJ_EEES6_PlJS6_EEE10hipError_tPvRmT3_T4_T5_T6_T7_T9_mT8_P12ihipStream_tbDpT10_ENKUlT_T0_E_clISt17integral_constantIbLb0EES1F_EEDaS1A_S1B_EUlS1A_E_NS1_11comp_targetILNS1_3genE9ELNS1_11target_archE1100ELNS1_3gpuE3ELNS1_3repE0EEENS1_30default_config_static_selectorELNS0_4arch9wavefront6targetE1EEEvT1_,"axG",@progbits,_ZN7rocprim17ROCPRIM_400000_NS6detail17trampoline_kernelINS0_14default_configENS1_25partition_config_selectorILNS1_17partition_subalgoE2EtNS0_10empty_typeEbEEZZNS1_14partition_implILS5_2ELb0ES3_jN6thrust23THRUST_200600_302600_NS6detail15normal_iteratorINSA_7pointerItNSA_11hip_rocprim3tagENSA_11use_defaultESG_EEEEPS6_NSA_18transform_iteratorI7is_evenItENSC_INSA_10device_ptrItEEEESG_SG_EENS0_5tupleIJPtSJ_EEENSR_IJSJ_SJ_EEES6_PlJS6_EEE10hipError_tPvRmT3_T4_T5_T6_T7_T9_mT8_P12ihipStream_tbDpT10_ENKUlT_T0_E_clISt17integral_constantIbLb0EES1F_EEDaS1A_S1B_EUlS1A_E_NS1_11comp_targetILNS1_3genE9ELNS1_11target_archE1100ELNS1_3gpuE3ELNS1_3repE0EEENS1_30default_config_static_selectorELNS0_4arch9wavefront6targetE1EEEvT1_,comdat
.Lfunc_end2076:
	.size	_ZN7rocprim17ROCPRIM_400000_NS6detail17trampoline_kernelINS0_14default_configENS1_25partition_config_selectorILNS1_17partition_subalgoE2EtNS0_10empty_typeEbEEZZNS1_14partition_implILS5_2ELb0ES3_jN6thrust23THRUST_200600_302600_NS6detail15normal_iteratorINSA_7pointerItNSA_11hip_rocprim3tagENSA_11use_defaultESG_EEEEPS6_NSA_18transform_iteratorI7is_evenItENSC_INSA_10device_ptrItEEEESG_SG_EENS0_5tupleIJPtSJ_EEENSR_IJSJ_SJ_EEES6_PlJS6_EEE10hipError_tPvRmT3_T4_T5_T6_T7_T9_mT8_P12ihipStream_tbDpT10_ENKUlT_T0_E_clISt17integral_constantIbLb0EES1F_EEDaS1A_S1B_EUlS1A_E_NS1_11comp_targetILNS1_3genE9ELNS1_11target_archE1100ELNS1_3gpuE3ELNS1_3repE0EEENS1_30default_config_static_selectorELNS0_4arch9wavefront6targetE1EEEvT1_, .Lfunc_end2076-_ZN7rocprim17ROCPRIM_400000_NS6detail17trampoline_kernelINS0_14default_configENS1_25partition_config_selectorILNS1_17partition_subalgoE2EtNS0_10empty_typeEbEEZZNS1_14partition_implILS5_2ELb0ES3_jN6thrust23THRUST_200600_302600_NS6detail15normal_iteratorINSA_7pointerItNSA_11hip_rocprim3tagENSA_11use_defaultESG_EEEEPS6_NSA_18transform_iteratorI7is_evenItENSC_INSA_10device_ptrItEEEESG_SG_EENS0_5tupleIJPtSJ_EEENSR_IJSJ_SJ_EEES6_PlJS6_EEE10hipError_tPvRmT3_T4_T5_T6_T7_T9_mT8_P12ihipStream_tbDpT10_ENKUlT_T0_E_clISt17integral_constantIbLb0EES1F_EEDaS1A_S1B_EUlS1A_E_NS1_11comp_targetILNS1_3genE9ELNS1_11target_archE1100ELNS1_3gpuE3ELNS1_3repE0EEENS1_30default_config_static_selectorELNS0_4arch9wavefront6targetE1EEEvT1_
                                        ; -- End function
	.section	.AMDGPU.csdata,"",@progbits
; Kernel info:
; codeLenInByte = 0
; NumSgprs: 4
; NumVgprs: 0
; NumAgprs: 0
; TotalNumVgprs: 0
; ScratchSize: 0
; MemoryBound: 0
; FloatMode: 240
; IeeeMode: 1
; LDSByteSize: 0 bytes/workgroup (compile time only)
; SGPRBlocks: 0
; VGPRBlocks: 0
; NumSGPRsForWavesPerEU: 4
; NumVGPRsForWavesPerEU: 1
; AccumOffset: 4
; Occupancy: 8
; WaveLimiterHint : 0
; COMPUTE_PGM_RSRC2:SCRATCH_EN: 0
; COMPUTE_PGM_RSRC2:USER_SGPR: 6
; COMPUTE_PGM_RSRC2:TRAP_HANDLER: 0
; COMPUTE_PGM_RSRC2:TGID_X_EN: 1
; COMPUTE_PGM_RSRC2:TGID_Y_EN: 0
; COMPUTE_PGM_RSRC2:TGID_Z_EN: 0
; COMPUTE_PGM_RSRC2:TIDIG_COMP_CNT: 0
; COMPUTE_PGM_RSRC3_GFX90A:ACCUM_OFFSET: 0
; COMPUTE_PGM_RSRC3_GFX90A:TG_SPLIT: 0
	.section	.text._ZN7rocprim17ROCPRIM_400000_NS6detail17trampoline_kernelINS0_14default_configENS1_25partition_config_selectorILNS1_17partition_subalgoE2EtNS0_10empty_typeEbEEZZNS1_14partition_implILS5_2ELb0ES3_jN6thrust23THRUST_200600_302600_NS6detail15normal_iteratorINSA_7pointerItNSA_11hip_rocprim3tagENSA_11use_defaultESG_EEEEPS6_NSA_18transform_iteratorI7is_evenItENSC_INSA_10device_ptrItEEEESG_SG_EENS0_5tupleIJPtSJ_EEENSR_IJSJ_SJ_EEES6_PlJS6_EEE10hipError_tPvRmT3_T4_T5_T6_T7_T9_mT8_P12ihipStream_tbDpT10_ENKUlT_T0_E_clISt17integral_constantIbLb0EES1F_EEDaS1A_S1B_EUlS1A_E_NS1_11comp_targetILNS1_3genE8ELNS1_11target_archE1030ELNS1_3gpuE2ELNS1_3repE0EEENS1_30default_config_static_selectorELNS0_4arch9wavefront6targetE1EEEvT1_,"axG",@progbits,_ZN7rocprim17ROCPRIM_400000_NS6detail17trampoline_kernelINS0_14default_configENS1_25partition_config_selectorILNS1_17partition_subalgoE2EtNS0_10empty_typeEbEEZZNS1_14partition_implILS5_2ELb0ES3_jN6thrust23THRUST_200600_302600_NS6detail15normal_iteratorINSA_7pointerItNSA_11hip_rocprim3tagENSA_11use_defaultESG_EEEEPS6_NSA_18transform_iteratorI7is_evenItENSC_INSA_10device_ptrItEEEESG_SG_EENS0_5tupleIJPtSJ_EEENSR_IJSJ_SJ_EEES6_PlJS6_EEE10hipError_tPvRmT3_T4_T5_T6_T7_T9_mT8_P12ihipStream_tbDpT10_ENKUlT_T0_E_clISt17integral_constantIbLb0EES1F_EEDaS1A_S1B_EUlS1A_E_NS1_11comp_targetILNS1_3genE8ELNS1_11target_archE1030ELNS1_3gpuE2ELNS1_3repE0EEENS1_30default_config_static_selectorELNS0_4arch9wavefront6targetE1EEEvT1_,comdat
	.protected	_ZN7rocprim17ROCPRIM_400000_NS6detail17trampoline_kernelINS0_14default_configENS1_25partition_config_selectorILNS1_17partition_subalgoE2EtNS0_10empty_typeEbEEZZNS1_14partition_implILS5_2ELb0ES3_jN6thrust23THRUST_200600_302600_NS6detail15normal_iteratorINSA_7pointerItNSA_11hip_rocprim3tagENSA_11use_defaultESG_EEEEPS6_NSA_18transform_iteratorI7is_evenItENSC_INSA_10device_ptrItEEEESG_SG_EENS0_5tupleIJPtSJ_EEENSR_IJSJ_SJ_EEES6_PlJS6_EEE10hipError_tPvRmT3_T4_T5_T6_T7_T9_mT8_P12ihipStream_tbDpT10_ENKUlT_T0_E_clISt17integral_constantIbLb0EES1F_EEDaS1A_S1B_EUlS1A_E_NS1_11comp_targetILNS1_3genE8ELNS1_11target_archE1030ELNS1_3gpuE2ELNS1_3repE0EEENS1_30default_config_static_selectorELNS0_4arch9wavefront6targetE1EEEvT1_ ; -- Begin function _ZN7rocprim17ROCPRIM_400000_NS6detail17trampoline_kernelINS0_14default_configENS1_25partition_config_selectorILNS1_17partition_subalgoE2EtNS0_10empty_typeEbEEZZNS1_14partition_implILS5_2ELb0ES3_jN6thrust23THRUST_200600_302600_NS6detail15normal_iteratorINSA_7pointerItNSA_11hip_rocprim3tagENSA_11use_defaultESG_EEEEPS6_NSA_18transform_iteratorI7is_evenItENSC_INSA_10device_ptrItEEEESG_SG_EENS0_5tupleIJPtSJ_EEENSR_IJSJ_SJ_EEES6_PlJS6_EEE10hipError_tPvRmT3_T4_T5_T6_T7_T9_mT8_P12ihipStream_tbDpT10_ENKUlT_T0_E_clISt17integral_constantIbLb0EES1F_EEDaS1A_S1B_EUlS1A_E_NS1_11comp_targetILNS1_3genE8ELNS1_11target_archE1030ELNS1_3gpuE2ELNS1_3repE0EEENS1_30default_config_static_selectorELNS0_4arch9wavefront6targetE1EEEvT1_
	.globl	_ZN7rocprim17ROCPRIM_400000_NS6detail17trampoline_kernelINS0_14default_configENS1_25partition_config_selectorILNS1_17partition_subalgoE2EtNS0_10empty_typeEbEEZZNS1_14partition_implILS5_2ELb0ES3_jN6thrust23THRUST_200600_302600_NS6detail15normal_iteratorINSA_7pointerItNSA_11hip_rocprim3tagENSA_11use_defaultESG_EEEEPS6_NSA_18transform_iteratorI7is_evenItENSC_INSA_10device_ptrItEEEESG_SG_EENS0_5tupleIJPtSJ_EEENSR_IJSJ_SJ_EEES6_PlJS6_EEE10hipError_tPvRmT3_T4_T5_T6_T7_T9_mT8_P12ihipStream_tbDpT10_ENKUlT_T0_E_clISt17integral_constantIbLb0EES1F_EEDaS1A_S1B_EUlS1A_E_NS1_11comp_targetILNS1_3genE8ELNS1_11target_archE1030ELNS1_3gpuE2ELNS1_3repE0EEENS1_30default_config_static_selectorELNS0_4arch9wavefront6targetE1EEEvT1_
	.p2align	8
	.type	_ZN7rocprim17ROCPRIM_400000_NS6detail17trampoline_kernelINS0_14default_configENS1_25partition_config_selectorILNS1_17partition_subalgoE2EtNS0_10empty_typeEbEEZZNS1_14partition_implILS5_2ELb0ES3_jN6thrust23THRUST_200600_302600_NS6detail15normal_iteratorINSA_7pointerItNSA_11hip_rocprim3tagENSA_11use_defaultESG_EEEEPS6_NSA_18transform_iteratorI7is_evenItENSC_INSA_10device_ptrItEEEESG_SG_EENS0_5tupleIJPtSJ_EEENSR_IJSJ_SJ_EEES6_PlJS6_EEE10hipError_tPvRmT3_T4_T5_T6_T7_T9_mT8_P12ihipStream_tbDpT10_ENKUlT_T0_E_clISt17integral_constantIbLb0EES1F_EEDaS1A_S1B_EUlS1A_E_NS1_11comp_targetILNS1_3genE8ELNS1_11target_archE1030ELNS1_3gpuE2ELNS1_3repE0EEENS1_30default_config_static_selectorELNS0_4arch9wavefront6targetE1EEEvT1_,@function
_ZN7rocprim17ROCPRIM_400000_NS6detail17trampoline_kernelINS0_14default_configENS1_25partition_config_selectorILNS1_17partition_subalgoE2EtNS0_10empty_typeEbEEZZNS1_14partition_implILS5_2ELb0ES3_jN6thrust23THRUST_200600_302600_NS6detail15normal_iteratorINSA_7pointerItNSA_11hip_rocprim3tagENSA_11use_defaultESG_EEEEPS6_NSA_18transform_iteratorI7is_evenItENSC_INSA_10device_ptrItEEEESG_SG_EENS0_5tupleIJPtSJ_EEENSR_IJSJ_SJ_EEES6_PlJS6_EEE10hipError_tPvRmT3_T4_T5_T6_T7_T9_mT8_P12ihipStream_tbDpT10_ENKUlT_T0_E_clISt17integral_constantIbLb0EES1F_EEDaS1A_S1B_EUlS1A_E_NS1_11comp_targetILNS1_3genE8ELNS1_11target_archE1030ELNS1_3gpuE2ELNS1_3repE0EEENS1_30default_config_static_selectorELNS0_4arch9wavefront6targetE1EEEvT1_: ; @_ZN7rocprim17ROCPRIM_400000_NS6detail17trampoline_kernelINS0_14default_configENS1_25partition_config_selectorILNS1_17partition_subalgoE2EtNS0_10empty_typeEbEEZZNS1_14partition_implILS5_2ELb0ES3_jN6thrust23THRUST_200600_302600_NS6detail15normal_iteratorINSA_7pointerItNSA_11hip_rocprim3tagENSA_11use_defaultESG_EEEEPS6_NSA_18transform_iteratorI7is_evenItENSC_INSA_10device_ptrItEEEESG_SG_EENS0_5tupleIJPtSJ_EEENSR_IJSJ_SJ_EEES6_PlJS6_EEE10hipError_tPvRmT3_T4_T5_T6_T7_T9_mT8_P12ihipStream_tbDpT10_ENKUlT_T0_E_clISt17integral_constantIbLb0EES1F_EEDaS1A_S1B_EUlS1A_E_NS1_11comp_targetILNS1_3genE8ELNS1_11target_archE1030ELNS1_3gpuE2ELNS1_3repE0EEENS1_30default_config_static_selectorELNS0_4arch9wavefront6targetE1EEEvT1_
; %bb.0:
	.section	.rodata,"a",@progbits
	.p2align	6, 0x0
	.amdhsa_kernel _ZN7rocprim17ROCPRIM_400000_NS6detail17trampoline_kernelINS0_14default_configENS1_25partition_config_selectorILNS1_17partition_subalgoE2EtNS0_10empty_typeEbEEZZNS1_14partition_implILS5_2ELb0ES3_jN6thrust23THRUST_200600_302600_NS6detail15normal_iteratorINSA_7pointerItNSA_11hip_rocprim3tagENSA_11use_defaultESG_EEEEPS6_NSA_18transform_iteratorI7is_evenItENSC_INSA_10device_ptrItEEEESG_SG_EENS0_5tupleIJPtSJ_EEENSR_IJSJ_SJ_EEES6_PlJS6_EEE10hipError_tPvRmT3_T4_T5_T6_T7_T9_mT8_P12ihipStream_tbDpT10_ENKUlT_T0_E_clISt17integral_constantIbLb0EES1F_EEDaS1A_S1B_EUlS1A_E_NS1_11comp_targetILNS1_3genE8ELNS1_11target_archE1030ELNS1_3gpuE2ELNS1_3repE0EEENS1_30default_config_static_selectorELNS0_4arch9wavefront6targetE1EEEvT1_
		.amdhsa_group_segment_fixed_size 0
		.amdhsa_private_segment_fixed_size 0
		.amdhsa_kernarg_size 128
		.amdhsa_user_sgpr_count 6
		.amdhsa_user_sgpr_private_segment_buffer 1
		.amdhsa_user_sgpr_dispatch_ptr 0
		.amdhsa_user_sgpr_queue_ptr 0
		.amdhsa_user_sgpr_kernarg_segment_ptr 1
		.amdhsa_user_sgpr_dispatch_id 0
		.amdhsa_user_sgpr_flat_scratch_init 0
		.amdhsa_user_sgpr_kernarg_preload_length 0
		.amdhsa_user_sgpr_kernarg_preload_offset 0
		.amdhsa_user_sgpr_private_segment_size 0
		.amdhsa_uses_dynamic_stack 0
		.amdhsa_system_sgpr_private_segment_wavefront_offset 0
		.amdhsa_system_sgpr_workgroup_id_x 1
		.amdhsa_system_sgpr_workgroup_id_y 0
		.amdhsa_system_sgpr_workgroup_id_z 0
		.amdhsa_system_sgpr_workgroup_info 0
		.amdhsa_system_vgpr_workitem_id 0
		.amdhsa_next_free_vgpr 1
		.amdhsa_next_free_sgpr 0
		.amdhsa_accum_offset 4
		.amdhsa_reserve_vcc 0
		.amdhsa_reserve_flat_scratch 0
		.amdhsa_float_round_mode_32 0
		.amdhsa_float_round_mode_16_64 0
		.amdhsa_float_denorm_mode_32 3
		.amdhsa_float_denorm_mode_16_64 3
		.amdhsa_dx10_clamp 1
		.amdhsa_ieee_mode 1
		.amdhsa_fp16_overflow 0
		.amdhsa_tg_split 0
		.amdhsa_exception_fp_ieee_invalid_op 0
		.amdhsa_exception_fp_denorm_src 0
		.amdhsa_exception_fp_ieee_div_zero 0
		.amdhsa_exception_fp_ieee_overflow 0
		.amdhsa_exception_fp_ieee_underflow 0
		.amdhsa_exception_fp_ieee_inexact 0
		.amdhsa_exception_int_div_zero 0
	.end_amdhsa_kernel
	.section	.text._ZN7rocprim17ROCPRIM_400000_NS6detail17trampoline_kernelINS0_14default_configENS1_25partition_config_selectorILNS1_17partition_subalgoE2EtNS0_10empty_typeEbEEZZNS1_14partition_implILS5_2ELb0ES3_jN6thrust23THRUST_200600_302600_NS6detail15normal_iteratorINSA_7pointerItNSA_11hip_rocprim3tagENSA_11use_defaultESG_EEEEPS6_NSA_18transform_iteratorI7is_evenItENSC_INSA_10device_ptrItEEEESG_SG_EENS0_5tupleIJPtSJ_EEENSR_IJSJ_SJ_EEES6_PlJS6_EEE10hipError_tPvRmT3_T4_T5_T6_T7_T9_mT8_P12ihipStream_tbDpT10_ENKUlT_T0_E_clISt17integral_constantIbLb0EES1F_EEDaS1A_S1B_EUlS1A_E_NS1_11comp_targetILNS1_3genE8ELNS1_11target_archE1030ELNS1_3gpuE2ELNS1_3repE0EEENS1_30default_config_static_selectorELNS0_4arch9wavefront6targetE1EEEvT1_,"axG",@progbits,_ZN7rocprim17ROCPRIM_400000_NS6detail17trampoline_kernelINS0_14default_configENS1_25partition_config_selectorILNS1_17partition_subalgoE2EtNS0_10empty_typeEbEEZZNS1_14partition_implILS5_2ELb0ES3_jN6thrust23THRUST_200600_302600_NS6detail15normal_iteratorINSA_7pointerItNSA_11hip_rocprim3tagENSA_11use_defaultESG_EEEEPS6_NSA_18transform_iteratorI7is_evenItENSC_INSA_10device_ptrItEEEESG_SG_EENS0_5tupleIJPtSJ_EEENSR_IJSJ_SJ_EEES6_PlJS6_EEE10hipError_tPvRmT3_T4_T5_T6_T7_T9_mT8_P12ihipStream_tbDpT10_ENKUlT_T0_E_clISt17integral_constantIbLb0EES1F_EEDaS1A_S1B_EUlS1A_E_NS1_11comp_targetILNS1_3genE8ELNS1_11target_archE1030ELNS1_3gpuE2ELNS1_3repE0EEENS1_30default_config_static_selectorELNS0_4arch9wavefront6targetE1EEEvT1_,comdat
.Lfunc_end2077:
	.size	_ZN7rocprim17ROCPRIM_400000_NS6detail17trampoline_kernelINS0_14default_configENS1_25partition_config_selectorILNS1_17partition_subalgoE2EtNS0_10empty_typeEbEEZZNS1_14partition_implILS5_2ELb0ES3_jN6thrust23THRUST_200600_302600_NS6detail15normal_iteratorINSA_7pointerItNSA_11hip_rocprim3tagENSA_11use_defaultESG_EEEEPS6_NSA_18transform_iteratorI7is_evenItENSC_INSA_10device_ptrItEEEESG_SG_EENS0_5tupleIJPtSJ_EEENSR_IJSJ_SJ_EEES6_PlJS6_EEE10hipError_tPvRmT3_T4_T5_T6_T7_T9_mT8_P12ihipStream_tbDpT10_ENKUlT_T0_E_clISt17integral_constantIbLb0EES1F_EEDaS1A_S1B_EUlS1A_E_NS1_11comp_targetILNS1_3genE8ELNS1_11target_archE1030ELNS1_3gpuE2ELNS1_3repE0EEENS1_30default_config_static_selectorELNS0_4arch9wavefront6targetE1EEEvT1_, .Lfunc_end2077-_ZN7rocprim17ROCPRIM_400000_NS6detail17trampoline_kernelINS0_14default_configENS1_25partition_config_selectorILNS1_17partition_subalgoE2EtNS0_10empty_typeEbEEZZNS1_14partition_implILS5_2ELb0ES3_jN6thrust23THRUST_200600_302600_NS6detail15normal_iteratorINSA_7pointerItNSA_11hip_rocprim3tagENSA_11use_defaultESG_EEEEPS6_NSA_18transform_iteratorI7is_evenItENSC_INSA_10device_ptrItEEEESG_SG_EENS0_5tupleIJPtSJ_EEENSR_IJSJ_SJ_EEES6_PlJS6_EEE10hipError_tPvRmT3_T4_T5_T6_T7_T9_mT8_P12ihipStream_tbDpT10_ENKUlT_T0_E_clISt17integral_constantIbLb0EES1F_EEDaS1A_S1B_EUlS1A_E_NS1_11comp_targetILNS1_3genE8ELNS1_11target_archE1030ELNS1_3gpuE2ELNS1_3repE0EEENS1_30default_config_static_selectorELNS0_4arch9wavefront6targetE1EEEvT1_
                                        ; -- End function
	.section	.AMDGPU.csdata,"",@progbits
; Kernel info:
; codeLenInByte = 0
; NumSgprs: 4
; NumVgprs: 0
; NumAgprs: 0
; TotalNumVgprs: 0
; ScratchSize: 0
; MemoryBound: 0
; FloatMode: 240
; IeeeMode: 1
; LDSByteSize: 0 bytes/workgroup (compile time only)
; SGPRBlocks: 0
; VGPRBlocks: 0
; NumSGPRsForWavesPerEU: 4
; NumVGPRsForWavesPerEU: 1
; AccumOffset: 4
; Occupancy: 8
; WaveLimiterHint : 0
; COMPUTE_PGM_RSRC2:SCRATCH_EN: 0
; COMPUTE_PGM_RSRC2:USER_SGPR: 6
; COMPUTE_PGM_RSRC2:TRAP_HANDLER: 0
; COMPUTE_PGM_RSRC2:TGID_X_EN: 1
; COMPUTE_PGM_RSRC2:TGID_Y_EN: 0
; COMPUTE_PGM_RSRC2:TGID_Z_EN: 0
; COMPUTE_PGM_RSRC2:TIDIG_COMP_CNT: 0
; COMPUTE_PGM_RSRC3_GFX90A:ACCUM_OFFSET: 0
; COMPUTE_PGM_RSRC3_GFX90A:TG_SPLIT: 0
	.section	.text._ZN7rocprim17ROCPRIM_400000_NS6detail17trampoline_kernelINS0_14default_configENS1_25partition_config_selectorILNS1_17partition_subalgoE2EtNS0_10empty_typeEbEEZZNS1_14partition_implILS5_2ELb0ES3_jN6thrust23THRUST_200600_302600_NS6detail15normal_iteratorINSA_7pointerItNSA_11hip_rocprim3tagENSA_11use_defaultESG_EEEEPS6_NSA_18transform_iteratorI7is_evenItENSC_INSA_10device_ptrItEEEESG_SG_EENS0_5tupleIJPtSJ_EEENSR_IJSJ_SJ_EEES6_PlJS6_EEE10hipError_tPvRmT3_T4_T5_T6_T7_T9_mT8_P12ihipStream_tbDpT10_ENKUlT_T0_E_clISt17integral_constantIbLb1EES1F_EEDaS1A_S1B_EUlS1A_E_NS1_11comp_targetILNS1_3genE0ELNS1_11target_archE4294967295ELNS1_3gpuE0ELNS1_3repE0EEENS1_30default_config_static_selectorELNS0_4arch9wavefront6targetE1EEEvT1_,"axG",@progbits,_ZN7rocprim17ROCPRIM_400000_NS6detail17trampoline_kernelINS0_14default_configENS1_25partition_config_selectorILNS1_17partition_subalgoE2EtNS0_10empty_typeEbEEZZNS1_14partition_implILS5_2ELb0ES3_jN6thrust23THRUST_200600_302600_NS6detail15normal_iteratorINSA_7pointerItNSA_11hip_rocprim3tagENSA_11use_defaultESG_EEEEPS6_NSA_18transform_iteratorI7is_evenItENSC_INSA_10device_ptrItEEEESG_SG_EENS0_5tupleIJPtSJ_EEENSR_IJSJ_SJ_EEES6_PlJS6_EEE10hipError_tPvRmT3_T4_T5_T6_T7_T9_mT8_P12ihipStream_tbDpT10_ENKUlT_T0_E_clISt17integral_constantIbLb1EES1F_EEDaS1A_S1B_EUlS1A_E_NS1_11comp_targetILNS1_3genE0ELNS1_11target_archE4294967295ELNS1_3gpuE0ELNS1_3repE0EEENS1_30default_config_static_selectorELNS0_4arch9wavefront6targetE1EEEvT1_,comdat
	.protected	_ZN7rocprim17ROCPRIM_400000_NS6detail17trampoline_kernelINS0_14default_configENS1_25partition_config_selectorILNS1_17partition_subalgoE2EtNS0_10empty_typeEbEEZZNS1_14partition_implILS5_2ELb0ES3_jN6thrust23THRUST_200600_302600_NS6detail15normal_iteratorINSA_7pointerItNSA_11hip_rocprim3tagENSA_11use_defaultESG_EEEEPS6_NSA_18transform_iteratorI7is_evenItENSC_INSA_10device_ptrItEEEESG_SG_EENS0_5tupleIJPtSJ_EEENSR_IJSJ_SJ_EEES6_PlJS6_EEE10hipError_tPvRmT3_T4_T5_T6_T7_T9_mT8_P12ihipStream_tbDpT10_ENKUlT_T0_E_clISt17integral_constantIbLb1EES1F_EEDaS1A_S1B_EUlS1A_E_NS1_11comp_targetILNS1_3genE0ELNS1_11target_archE4294967295ELNS1_3gpuE0ELNS1_3repE0EEENS1_30default_config_static_selectorELNS0_4arch9wavefront6targetE1EEEvT1_ ; -- Begin function _ZN7rocprim17ROCPRIM_400000_NS6detail17trampoline_kernelINS0_14default_configENS1_25partition_config_selectorILNS1_17partition_subalgoE2EtNS0_10empty_typeEbEEZZNS1_14partition_implILS5_2ELb0ES3_jN6thrust23THRUST_200600_302600_NS6detail15normal_iteratorINSA_7pointerItNSA_11hip_rocprim3tagENSA_11use_defaultESG_EEEEPS6_NSA_18transform_iteratorI7is_evenItENSC_INSA_10device_ptrItEEEESG_SG_EENS0_5tupleIJPtSJ_EEENSR_IJSJ_SJ_EEES6_PlJS6_EEE10hipError_tPvRmT3_T4_T5_T6_T7_T9_mT8_P12ihipStream_tbDpT10_ENKUlT_T0_E_clISt17integral_constantIbLb1EES1F_EEDaS1A_S1B_EUlS1A_E_NS1_11comp_targetILNS1_3genE0ELNS1_11target_archE4294967295ELNS1_3gpuE0ELNS1_3repE0EEENS1_30default_config_static_selectorELNS0_4arch9wavefront6targetE1EEEvT1_
	.globl	_ZN7rocprim17ROCPRIM_400000_NS6detail17trampoline_kernelINS0_14default_configENS1_25partition_config_selectorILNS1_17partition_subalgoE2EtNS0_10empty_typeEbEEZZNS1_14partition_implILS5_2ELb0ES3_jN6thrust23THRUST_200600_302600_NS6detail15normal_iteratorINSA_7pointerItNSA_11hip_rocprim3tagENSA_11use_defaultESG_EEEEPS6_NSA_18transform_iteratorI7is_evenItENSC_INSA_10device_ptrItEEEESG_SG_EENS0_5tupleIJPtSJ_EEENSR_IJSJ_SJ_EEES6_PlJS6_EEE10hipError_tPvRmT3_T4_T5_T6_T7_T9_mT8_P12ihipStream_tbDpT10_ENKUlT_T0_E_clISt17integral_constantIbLb1EES1F_EEDaS1A_S1B_EUlS1A_E_NS1_11comp_targetILNS1_3genE0ELNS1_11target_archE4294967295ELNS1_3gpuE0ELNS1_3repE0EEENS1_30default_config_static_selectorELNS0_4arch9wavefront6targetE1EEEvT1_
	.p2align	8
	.type	_ZN7rocprim17ROCPRIM_400000_NS6detail17trampoline_kernelINS0_14default_configENS1_25partition_config_selectorILNS1_17partition_subalgoE2EtNS0_10empty_typeEbEEZZNS1_14partition_implILS5_2ELb0ES3_jN6thrust23THRUST_200600_302600_NS6detail15normal_iteratorINSA_7pointerItNSA_11hip_rocprim3tagENSA_11use_defaultESG_EEEEPS6_NSA_18transform_iteratorI7is_evenItENSC_INSA_10device_ptrItEEEESG_SG_EENS0_5tupleIJPtSJ_EEENSR_IJSJ_SJ_EEES6_PlJS6_EEE10hipError_tPvRmT3_T4_T5_T6_T7_T9_mT8_P12ihipStream_tbDpT10_ENKUlT_T0_E_clISt17integral_constantIbLb1EES1F_EEDaS1A_S1B_EUlS1A_E_NS1_11comp_targetILNS1_3genE0ELNS1_11target_archE4294967295ELNS1_3gpuE0ELNS1_3repE0EEENS1_30default_config_static_selectorELNS0_4arch9wavefront6targetE1EEEvT1_,@function
_ZN7rocprim17ROCPRIM_400000_NS6detail17trampoline_kernelINS0_14default_configENS1_25partition_config_selectorILNS1_17partition_subalgoE2EtNS0_10empty_typeEbEEZZNS1_14partition_implILS5_2ELb0ES3_jN6thrust23THRUST_200600_302600_NS6detail15normal_iteratorINSA_7pointerItNSA_11hip_rocprim3tagENSA_11use_defaultESG_EEEEPS6_NSA_18transform_iteratorI7is_evenItENSC_INSA_10device_ptrItEEEESG_SG_EENS0_5tupleIJPtSJ_EEENSR_IJSJ_SJ_EEES6_PlJS6_EEE10hipError_tPvRmT3_T4_T5_T6_T7_T9_mT8_P12ihipStream_tbDpT10_ENKUlT_T0_E_clISt17integral_constantIbLb1EES1F_EEDaS1A_S1B_EUlS1A_E_NS1_11comp_targetILNS1_3genE0ELNS1_11target_archE4294967295ELNS1_3gpuE0ELNS1_3repE0EEENS1_30default_config_static_selectorELNS0_4arch9wavefront6targetE1EEEvT1_: ; @_ZN7rocprim17ROCPRIM_400000_NS6detail17trampoline_kernelINS0_14default_configENS1_25partition_config_selectorILNS1_17partition_subalgoE2EtNS0_10empty_typeEbEEZZNS1_14partition_implILS5_2ELb0ES3_jN6thrust23THRUST_200600_302600_NS6detail15normal_iteratorINSA_7pointerItNSA_11hip_rocprim3tagENSA_11use_defaultESG_EEEEPS6_NSA_18transform_iteratorI7is_evenItENSC_INSA_10device_ptrItEEEESG_SG_EENS0_5tupleIJPtSJ_EEENSR_IJSJ_SJ_EEES6_PlJS6_EEE10hipError_tPvRmT3_T4_T5_T6_T7_T9_mT8_P12ihipStream_tbDpT10_ENKUlT_T0_E_clISt17integral_constantIbLb1EES1F_EEDaS1A_S1B_EUlS1A_E_NS1_11comp_targetILNS1_3genE0ELNS1_11target_archE4294967295ELNS1_3gpuE0ELNS1_3repE0EEENS1_30default_config_static_selectorELNS0_4arch9wavefront6targetE1EEEvT1_
; %bb.0:
	.section	.rodata,"a",@progbits
	.p2align	6, 0x0
	.amdhsa_kernel _ZN7rocprim17ROCPRIM_400000_NS6detail17trampoline_kernelINS0_14default_configENS1_25partition_config_selectorILNS1_17partition_subalgoE2EtNS0_10empty_typeEbEEZZNS1_14partition_implILS5_2ELb0ES3_jN6thrust23THRUST_200600_302600_NS6detail15normal_iteratorINSA_7pointerItNSA_11hip_rocprim3tagENSA_11use_defaultESG_EEEEPS6_NSA_18transform_iteratorI7is_evenItENSC_INSA_10device_ptrItEEEESG_SG_EENS0_5tupleIJPtSJ_EEENSR_IJSJ_SJ_EEES6_PlJS6_EEE10hipError_tPvRmT3_T4_T5_T6_T7_T9_mT8_P12ihipStream_tbDpT10_ENKUlT_T0_E_clISt17integral_constantIbLb1EES1F_EEDaS1A_S1B_EUlS1A_E_NS1_11comp_targetILNS1_3genE0ELNS1_11target_archE4294967295ELNS1_3gpuE0ELNS1_3repE0EEENS1_30default_config_static_selectorELNS0_4arch9wavefront6targetE1EEEvT1_
		.amdhsa_group_segment_fixed_size 0
		.amdhsa_private_segment_fixed_size 0
		.amdhsa_kernarg_size 144
		.amdhsa_user_sgpr_count 6
		.amdhsa_user_sgpr_private_segment_buffer 1
		.amdhsa_user_sgpr_dispatch_ptr 0
		.amdhsa_user_sgpr_queue_ptr 0
		.amdhsa_user_sgpr_kernarg_segment_ptr 1
		.amdhsa_user_sgpr_dispatch_id 0
		.amdhsa_user_sgpr_flat_scratch_init 0
		.amdhsa_user_sgpr_kernarg_preload_length 0
		.amdhsa_user_sgpr_kernarg_preload_offset 0
		.amdhsa_user_sgpr_private_segment_size 0
		.amdhsa_uses_dynamic_stack 0
		.amdhsa_system_sgpr_private_segment_wavefront_offset 0
		.amdhsa_system_sgpr_workgroup_id_x 1
		.amdhsa_system_sgpr_workgroup_id_y 0
		.amdhsa_system_sgpr_workgroup_id_z 0
		.amdhsa_system_sgpr_workgroup_info 0
		.amdhsa_system_vgpr_workitem_id 0
		.amdhsa_next_free_vgpr 1
		.amdhsa_next_free_sgpr 0
		.amdhsa_accum_offset 4
		.amdhsa_reserve_vcc 0
		.amdhsa_reserve_flat_scratch 0
		.amdhsa_float_round_mode_32 0
		.amdhsa_float_round_mode_16_64 0
		.amdhsa_float_denorm_mode_32 3
		.amdhsa_float_denorm_mode_16_64 3
		.amdhsa_dx10_clamp 1
		.amdhsa_ieee_mode 1
		.amdhsa_fp16_overflow 0
		.amdhsa_tg_split 0
		.amdhsa_exception_fp_ieee_invalid_op 0
		.amdhsa_exception_fp_denorm_src 0
		.amdhsa_exception_fp_ieee_div_zero 0
		.amdhsa_exception_fp_ieee_overflow 0
		.amdhsa_exception_fp_ieee_underflow 0
		.amdhsa_exception_fp_ieee_inexact 0
		.amdhsa_exception_int_div_zero 0
	.end_amdhsa_kernel
	.section	.text._ZN7rocprim17ROCPRIM_400000_NS6detail17trampoline_kernelINS0_14default_configENS1_25partition_config_selectorILNS1_17partition_subalgoE2EtNS0_10empty_typeEbEEZZNS1_14partition_implILS5_2ELb0ES3_jN6thrust23THRUST_200600_302600_NS6detail15normal_iteratorINSA_7pointerItNSA_11hip_rocprim3tagENSA_11use_defaultESG_EEEEPS6_NSA_18transform_iteratorI7is_evenItENSC_INSA_10device_ptrItEEEESG_SG_EENS0_5tupleIJPtSJ_EEENSR_IJSJ_SJ_EEES6_PlJS6_EEE10hipError_tPvRmT3_T4_T5_T6_T7_T9_mT8_P12ihipStream_tbDpT10_ENKUlT_T0_E_clISt17integral_constantIbLb1EES1F_EEDaS1A_S1B_EUlS1A_E_NS1_11comp_targetILNS1_3genE0ELNS1_11target_archE4294967295ELNS1_3gpuE0ELNS1_3repE0EEENS1_30default_config_static_selectorELNS0_4arch9wavefront6targetE1EEEvT1_,"axG",@progbits,_ZN7rocprim17ROCPRIM_400000_NS6detail17trampoline_kernelINS0_14default_configENS1_25partition_config_selectorILNS1_17partition_subalgoE2EtNS0_10empty_typeEbEEZZNS1_14partition_implILS5_2ELb0ES3_jN6thrust23THRUST_200600_302600_NS6detail15normal_iteratorINSA_7pointerItNSA_11hip_rocprim3tagENSA_11use_defaultESG_EEEEPS6_NSA_18transform_iteratorI7is_evenItENSC_INSA_10device_ptrItEEEESG_SG_EENS0_5tupleIJPtSJ_EEENSR_IJSJ_SJ_EEES6_PlJS6_EEE10hipError_tPvRmT3_T4_T5_T6_T7_T9_mT8_P12ihipStream_tbDpT10_ENKUlT_T0_E_clISt17integral_constantIbLb1EES1F_EEDaS1A_S1B_EUlS1A_E_NS1_11comp_targetILNS1_3genE0ELNS1_11target_archE4294967295ELNS1_3gpuE0ELNS1_3repE0EEENS1_30default_config_static_selectorELNS0_4arch9wavefront6targetE1EEEvT1_,comdat
.Lfunc_end2078:
	.size	_ZN7rocprim17ROCPRIM_400000_NS6detail17trampoline_kernelINS0_14default_configENS1_25partition_config_selectorILNS1_17partition_subalgoE2EtNS0_10empty_typeEbEEZZNS1_14partition_implILS5_2ELb0ES3_jN6thrust23THRUST_200600_302600_NS6detail15normal_iteratorINSA_7pointerItNSA_11hip_rocprim3tagENSA_11use_defaultESG_EEEEPS6_NSA_18transform_iteratorI7is_evenItENSC_INSA_10device_ptrItEEEESG_SG_EENS0_5tupleIJPtSJ_EEENSR_IJSJ_SJ_EEES6_PlJS6_EEE10hipError_tPvRmT3_T4_T5_T6_T7_T9_mT8_P12ihipStream_tbDpT10_ENKUlT_T0_E_clISt17integral_constantIbLb1EES1F_EEDaS1A_S1B_EUlS1A_E_NS1_11comp_targetILNS1_3genE0ELNS1_11target_archE4294967295ELNS1_3gpuE0ELNS1_3repE0EEENS1_30default_config_static_selectorELNS0_4arch9wavefront6targetE1EEEvT1_, .Lfunc_end2078-_ZN7rocprim17ROCPRIM_400000_NS6detail17trampoline_kernelINS0_14default_configENS1_25partition_config_selectorILNS1_17partition_subalgoE2EtNS0_10empty_typeEbEEZZNS1_14partition_implILS5_2ELb0ES3_jN6thrust23THRUST_200600_302600_NS6detail15normal_iteratorINSA_7pointerItNSA_11hip_rocprim3tagENSA_11use_defaultESG_EEEEPS6_NSA_18transform_iteratorI7is_evenItENSC_INSA_10device_ptrItEEEESG_SG_EENS0_5tupleIJPtSJ_EEENSR_IJSJ_SJ_EEES6_PlJS6_EEE10hipError_tPvRmT3_T4_T5_T6_T7_T9_mT8_P12ihipStream_tbDpT10_ENKUlT_T0_E_clISt17integral_constantIbLb1EES1F_EEDaS1A_S1B_EUlS1A_E_NS1_11comp_targetILNS1_3genE0ELNS1_11target_archE4294967295ELNS1_3gpuE0ELNS1_3repE0EEENS1_30default_config_static_selectorELNS0_4arch9wavefront6targetE1EEEvT1_
                                        ; -- End function
	.section	.AMDGPU.csdata,"",@progbits
; Kernel info:
; codeLenInByte = 0
; NumSgprs: 4
; NumVgprs: 0
; NumAgprs: 0
; TotalNumVgprs: 0
; ScratchSize: 0
; MemoryBound: 0
; FloatMode: 240
; IeeeMode: 1
; LDSByteSize: 0 bytes/workgroup (compile time only)
; SGPRBlocks: 0
; VGPRBlocks: 0
; NumSGPRsForWavesPerEU: 4
; NumVGPRsForWavesPerEU: 1
; AccumOffset: 4
; Occupancy: 8
; WaveLimiterHint : 0
; COMPUTE_PGM_RSRC2:SCRATCH_EN: 0
; COMPUTE_PGM_RSRC2:USER_SGPR: 6
; COMPUTE_PGM_RSRC2:TRAP_HANDLER: 0
; COMPUTE_PGM_RSRC2:TGID_X_EN: 1
; COMPUTE_PGM_RSRC2:TGID_Y_EN: 0
; COMPUTE_PGM_RSRC2:TGID_Z_EN: 0
; COMPUTE_PGM_RSRC2:TIDIG_COMP_CNT: 0
; COMPUTE_PGM_RSRC3_GFX90A:ACCUM_OFFSET: 0
; COMPUTE_PGM_RSRC3_GFX90A:TG_SPLIT: 0
	.section	.text._ZN7rocprim17ROCPRIM_400000_NS6detail17trampoline_kernelINS0_14default_configENS1_25partition_config_selectorILNS1_17partition_subalgoE2EtNS0_10empty_typeEbEEZZNS1_14partition_implILS5_2ELb0ES3_jN6thrust23THRUST_200600_302600_NS6detail15normal_iteratorINSA_7pointerItNSA_11hip_rocprim3tagENSA_11use_defaultESG_EEEEPS6_NSA_18transform_iteratorI7is_evenItENSC_INSA_10device_ptrItEEEESG_SG_EENS0_5tupleIJPtSJ_EEENSR_IJSJ_SJ_EEES6_PlJS6_EEE10hipError_tPvRmT3_T4_T5_T6_T7_T9_mT8_P12ihipStream_tbDpT10_ENKUlT_T0_E_clISt17integral_constantIbLb1EES1F_EEDaS1A_S1B_EUlS1A_E_NS1_11comp_targetILNS1_3genE5ELNS1_11target_archE942ELNS1_3gpuE9ELNS1_3repE0EEENS1_30default_config_static_selectorELNS0_4arch9wavefront6targetE1EEEvT1_,"axG",@progbits,_ZN7rocprim17ROCPRIM_400000_NS6detail17trampoline_kernelINS0_14default_configENS1_25partition_config_selectorILNS1_17partition_subalgoE2EtNS0_10empty_typeEbEEZZNS1_14partition_implILS5_2ELb0ES3_jN6thrust23THRUST_200600_302600_NS6detail15normal_iteratorINSA_7pointerItNSA_11hip_rocprim3tagENSA_11use_defaultESG_EEEEPS6_NSA_18transform_iteratorI7is_evenItENSC_INSA_10device_ptrItEEEESG_SG_EENS0_5tupleIJPtSJ_EEENSR_IJSJ_SJ_EEES6_PlJS6_EEE10hipError_tPvRmT3_T4_T5_T6_T7_T9_mT8_P12ihipStream_tbDpT10_ENKUlT_T0_E_clISt17integral_constantIbLb1EES1F_EEDaS1A_S1B_EUlS1A_E_NS1_11comp_targetILNS1_3genE5ELNS1_11target_archE942ELNS1_3gpuE9ELNS1_3repE0EEENS1_30default_config_static_selectorELNS0_4arch9wavefront6targetE1EEEvT1_,comdat
	.protected	_ZN7rocprim17ROCPRIM_400000_NS6detail17trampoline_kernelINS0_14default_configENS1_25partition_config_selectorILNS1_17partition_subalgoE2EtNS0_10empty_typeEbEEZZNS1_14partition_implILS5_2ELb0ES3_jN6thrust23THRUST_200600_302600_NS6detail15normal_iteratorINSA_7pointerItNSA_11hip_rocprim3tagENSA_11use_defaultESG_EEEEPS6_NSA_18transform_iteratorI7is_evenItENSC_INSA_10device_ptrItEEEESG_SG_EENS0_5tupleIJPtSJ_EEENSR_IJSJ_SJ_EEES6_PlJS6_EEE10hipError_tPvRmT3_T4_T5_T6_T7_T9_mT8_P12ihipStream_tbDpT10_ENKUlT_T0_E_clISt17integral_constantIbLb1EES1F_EEDaS1A_S1B_EUlS1A_E_NS1_11comp_targetILNS1_3genE5ELNS1_11target_archE942ELNS1_3gpuE9ELNS1_3repE0EEENS1_30default_config_static_selectorELNS0_4arch9wavefront6targetE1EEEvT1_ ; -- Begin function _ZN7rocprim17ROCPRIM_400000_NS6detail17trampoline_kernelINS0_14default_configENS1_25partition_config_selectorILNS1_17partition_subalgoE2EtNS0_10empty_typeEbEEZZNS1_14partition_implILS5_2ELb0ES3_jN6thrust23THRUST_200600_302600_NS6detail15normal_iteratorINSA_7pointerItNSA_11hip_rocprim3tagENSA_11use_defaultESG_EEEEPS6_NSA_18transform_iteratorI7is_evenItENSC_INSA_10device_ptrItEEEESG_SG_EENS0_5tupleIJPtSJ_EEENSR_IJSJ_SJ_EEES6_PlJS6_EEE10hipError_tPvRmT3_T4_T5_T6_T7_T9_mT8_P12ihipStream_tbDpT10_ENKUlT_T0_E_clISt17integral_constantIbLb1EES1F_EEDaS1A_S1B_EUlS1A_E_NS1_11comp_targetILNS1_3genE5ELNS1_11target_archE942ELNS1_3gpuE9ELNS1_3repE0EEENS1_30default_config_static_selectorELNS0_4arch9wavefront6targetE1EEEvT1_
	.globl	_ZN7rocprim17ROCPRIM_400000_NS6detail17trampoline_kernelINS0_14default_configENS1_25partition_config_selectorILNS1_17partition_subalgoE2EtNS0_10empty_typeEbEEZZNS1_14partition_implILS5_2ELb0ES3_jN6thrust23THRUST_200600_302600_NS6detail15normal_iteratorINSA_7pointerItNSA_11hip_rocprim3tagENSA_11use_defaultESG_EEEEPS6_NSA_18transform_iteratorI7is_evenItENSC_INSA_10device_ptrItEEEESG_SG_EENS0_5tupleIJPtSJ_EEENSR_IJSJ_SJ_EEES6_PlJS6_EEE10hipError_tPvRmT3_T4_T5_T6_T7_T9_mT8_P12ihipStream_tbDpT10_ENKUlT_T0_E_clISt17integral_constantIbLb1EES1F_EEDaS1A_S1B_EUlS1A_E_NS1_11comp_targetILNS1_3genE5ELNS1_11target_archE942ELNS1_3gpuE9ELNS1_3repE0EEENS1_30default_config_static_selectorELNS0_4arch9wavefront6targetE1EEEvT1_
	.p2align	8
	.type	_ZN7rocprim17ROCPRIM_400000_NS6detail17trampoline_kernelINS0_14default_configENS1_25partition_config_selectorILNS1_17partition_subalgoE2EtNS0_10empty_typeEbEEZZNS1_14partition_implILS5_2ELb0ES3_jN6thrust23THRUST_200600_302600_NS6detail15normal_iteratorINSA_7pointerItNSA_11hip_rocprim3tagENSA_11use_defaultESG_EEEEPS6_NSA_18transform_iteratorI7is_evenItENSC_INSA_10device_ptrItEEEESG_SG_EENS0_5tupleIJPtSJ_EEENSR_IJSJ_SJ_EEES6_PlJS6_EEE10hipError_tPvRmT3_T4_T5_T6_T7_T9_mT8_P12ihipStream_tbDpT10_ENKUlT_T0_E_clISt17integral_constantIbLb1EES1F_EEDaS1A_S1B_EUlS1A_E_NS1_11comp_targetILNS1_3genE5ELNS1_11target_archE942ELNS1_3gpuE9ELNS1_3repE0EEENS1_30default_config_static_selectorELNS0_4arch9wavefront6targetE1EEEvT1_,@function
_ZN7rocprim17ROCPRIM_400000_NS6detail17trampoline_kernelINS0_14default_configENS1_25partition_config_selectorILNS1_17partition_subalgoE2EtNS0_10empty_typeEbEEZZNS1_14partition_implILS5_2ELb0ES3_jN6thrust23THRUST_200600_302600_NS6detail15normal_iteratorINSA_7pointerItNSA_11hip_rocprim3tagENSA_11use_defaultESG_EEEEPS6_NSA_18transform_iteratorI7is_evenItENSC_INSA_10device_ptrItEEEESG_SG_EENS0_5tupleIJPtSJ_EEENSR_IJSJ_SJ_EEES6_PlJS6_EEE10hipError_tPvRmT3_T4_T5_T6_T7_T9_mT8_P12ihipStream_tbDpT10_ENKUlT_T0_E_clISt17integral_constantIbLb1EES1F_EEDaS1A_S1B_EUlS1A_E_NS1_11comp_targetILNS1_3genE5ELNS1_11target_archE942ELNS1_3gpuE9ELNS1_3repE0EEENS1_30default_config_static_selectorELNS0_4arch9wavefront6targetE1EEEvT1_: ; @_ZN7rocprim17ROCPRIM_400000_NS6detail17trampoline_kernelINS0_14default_configENS1_25partition_config_selectorILNS1_17partition_subalgoE2EtNS0_10empty_typeEbEEZZNS1_14partition_implILS5_2ELb0ES3_jN6thrust23THRUST_200600_302600_NS6detail15normal_iteratorINSA_7pointerItNSA_11hip_rocprim3tagENSA_11use_defaultESG_EEEEPS6_NSA_18transform_iteratorI7is_evenItENSC_INSA_10device_ptrItEEEESG_SG_EENS0_5tupleIJPtSJ_EEENSR_IJSJ_SJ_EEES6_PlJS6_EEE10hipError_tPvRmT3_T4_T5_T6_T7_T9_mT8_P12ihipStream_tbDpT10_ENKUlT_T0_E_clISt17integral_constantIbLb1EES1F_EEDaS1A_S1B_EUlS1A_E_NS1_11comp_targetILNS1_3genE5ELNS1_11target_archE942ELNS1_3gpuE9ELNS1_3repE0EEENS1_30default_config_static_selectorELNS0_4arch9wavefront6targetE1EEEvT1_
; %bb.0:
	.section	.rodata,"a",@progbits
	.p2align	6, 0x0
	.amdhsa_kernel _ZN7rocprim17ROCPRIM_400000_NS6detail17trampoline_kernelINS0_14default_configENS1_25partition_config_selectorILNS1_17partition_subalgoE2EtNS0_10empty_typeEbEEZZNS1_14partition_implILS5_2ELb0ES3_jN6thrust23THRUST_200600_302600_NS6detail15normal_iteratorINSA_7pointerItNSA_11hip_rocprim3tagENSA_11use_defaultESG_EEEEPS6_NSA_18transform_iteratorI7is_evenItENSC_INSA_10device_ptrItEEEESG_SG_EENS0_5tupleIJPtSJ_EEENSR_IJSJ_SJ_EEES6_PlJS6_EEE10hipError_tPvRmT3_T4_T5_T6_T7_T9_mT8_P12ihipStream_tbDpT10_ENKUlT_T0_E_clISt17integral_constantIbLb1EES1F_EEDaS1A_S1B_EUlS1A_E_NS1_11comp_targetILNS1_3genE5ELNS1_11target_archE942ELNS1_3gpuE9ELNS1_3repE0EEENS1_30default_config_static_selectorELNS0_4arch9wavefront6targetE1EEEvT1_
		.amdhsa_group_segment_fixed_size 0
		.amdhsa_private_segment_fixed_size 0
		.amdhsa_kernarg_size 144
		.amdhsa_user_sgpr_count 6
		.amdhsa_user_sgpr_private_segment_buffer 1
		.amdhsa_user_sgpr_dispatch_ptr 0
		.amdhsa_user_sgpr_queue_ptr 0
		.amdhsa_user_sgpr_kernarg_segment_ptr 1
		.amdhsa_user_sgpr_dispatch_id 0
		.amdhsa_user_sgpr_flat_scratch_init 0
		.amdhsa_user_sgpr_kernarg_preload_length 0
		.amdhsa_user_sgpr_kernarg_preload_offset 0
		.amdhsa_user_sgpr_private_segment_size 0
		.amdhsa_uses_dynamic_stack 0
		.amdhsa_system_sgpr_private_segment_wavefront_offset 0
		.amdhsa_system_sgpr_workgroup_id_x 1
		.amdhsa_system_sgpr_workgroup_id_y 0
		.amdhsa_system_sgpr_workgroup_id_z 0
		.amdhsa_system_sgpr_workgroup_info 0
		.amdhsa_system_vgpr_workitem_id 0
		.amdhsa_next_free_vgpr 1
		.amdhsa_next_free_sgpr 0
		.amdhsa_accum_offset 4
		.amdhsa_reserve_vcc 0
		.amdhsa_reserve_flat_scratch 0
		.amdhsa_float_round_mode_32 0
		.amdhsa_float_round_mode_16_64 0
		.amdhsa_float_denorm_mode_32 3
		.amdhsa_float_denorm_mode_16_64 3
		.amdhsa_dx10_clamp 1
		.amdhsa_ieee_mode 1
		.amdhsa_fp16_overflow 0
		.amdhsa_tg_split 0
		.amdhsa_exception_fp_ieee_invalid_op 0
		.amdhsa_exception_fp_denorm_src 0
		.amdhsa_exception_fp_ieee_div_zero 0
		.amdhsa_exception_fp_ieee_overflow 0
		.amdhsa_exception_fp_ieee_underflow 0
		.amdhsa_exception_fp_ieee_inexact 0
		.amdhsa_exception_int_div_zero 0
	.end_amdhsa_kernel
	.section	.text._ZN7rocprim17ROCPRIM_400000_NS6detail17trampoline_kernelINS0_14default_configENS1_25partition_config_selectorILNS1_17partition_subalgoE2EtNS0_10empty_typeEbEEZZNS1_14partition_implILS5_2ELb0ES3_jN6thrust23THRUST_200600_302600_NS6detail15normal_iteratorINSA_7pointerItNSA_11hip_rocprim3tagENSA_11use_defaultESG_EEEEPS6_NSA_18transform_iteratorI7is_evenItENSC_INSA_10device_ptrItEEEESG_SG_EENS0_5tupleIJPtSJ_EEENSR_IJSJ_SJ_EEES6_PlJS6_EEE10hipError_tPvRmT3_T4_T5_T6_T7_T9_mT8_P12ihipStream_tbDpT10_ENKUlT_T0_E_clISt17integral_constantIbLb1EES1F_EEDaS1A_S1B_EUlS1A_E_NS1_11comp_targetILNS1_3genE5ELNS1_11target_archE942ELNS1_3gpuE9ELNS1_3repE0EEENS1_30default_config_static_selectorELNS0_4arch9wavefront6targetE1EEEvT1_,"axG",@progbits,_ZN7rocprim17ROCPRIM_400000_NS6detail17trampoline_kernelINS0_14default_configENS1_25partition_config_selectorILNS1_17partition_subalgoE2EtNS0_10empty_typeEbEEZZNS1_14partition_implILS5_2ELb0ES3_jN6thrust23THRUST_200600_302600_NS6detail15normal_iteratorINSA_7pointerItNSA_11hip_rocprim3tagENSA_11use_defaultESG_EEEEPS6_NSA_18transform_iteratorI7is_evenItENSC_INSA_10device_ptrItEEEESG_SG_EENS0_5tupleIJPtSJ_EEENSR_IJSJ_SJ_EEES6_PlJS6_EEE10hipError_tPvRmT3_T4_T5_T6_T7_T9_mT8_P12ihipStream_tbDpT10_ENKUlT_T0_E_clISt17integral_constantIbLb1EES1F_EEDaS1A_S1B_EUlS1A_E_NS1_11comp_targetILNS1_3genE5ELNS1_11target_archE942ELNS1_3gpuE9ELNS1_3repE0EEENS1_30default_config_static_selectorELNS0_4arch9wavefront6targetE1EEEvT1_,comdat
.Lfunc_end2079:
	.size	_ZN7rocprim17ROCPRIM_400000_NS6detail17trampoline_kernelINS0_14default_configENS1_25partition_config_selectorILNS1_17partition_subalgoE2EtNS0_10empty_typeEbEEZZNS1_14partition_implILS5_2ELb0ES3_jN6thrust23THRUST_200600_302600_NS6detail15normal_iteratorINSA_7pointerItNSA_11hip_rocprim3tagENSA_11use_defaultESG_EEEEPS6_NSA_18transform_iteratorI7is_evenItENSC_INSA_10device_ptrItEEEESG_SG_EENS0_5tupleIJPtSJ_EEENSR_IJSJ_SJ_EEES6_PlJS6_EEE10hipError_tPvRmT3_T4_T5_T6_T7_T9_mT8_P12ihipStream_tbDpT10_ENKUlT_T0_E_clISt17integral_constantIbLb1EES1F_EEDaS1A_S1B_EUlS1A_E_NS1_11comp_targetILNS1_3genE5ELNS1_11target_archE942ELNS1_3gpuE9ELNS1_3repE0EEENS1_30default_config_static_selectorELNS0_4arch9wavefront6targetE1EEEvT1_, .Lfunc_end2079-_ZN7rocprim17ROCPRIM_400000_NS6detail17trampoline_kernelINS0_14default_configENS1_25partition_config_selectorILNS1_17partition_subalgoE2EtNS0_10empty_typeEbEEZZNS1_14partition_implILS5_2ELb0ES3_jN6thrust23THRUST_200600_302600_NS6detail15normal_iteratorINSA_7pointerItNSA_11hip_rocprim3tagENSA_11use_defaultESG_EEEEPS6_NSA_18transform_iteratorI7is_evenItENSC_INSA_10device_ptrItEEEESG_SG_EENS0_5tupleIJPtSJ_EEENSR_IJSJ_SJ_EEES6_PlJS6_EEE10hipError_tPvRmT3_T4_T5_T6_T7_T9_mT8_P12ihipStream_tbDpT10_ENKUlT_T0_E_clISt17integral_constantIbLb1EES1F_EEDaS1A_S1B_EUlS1A_E_NS1_11comp_targetILNS1_3genE5ELNS1_11target_archE942ELNS1_3gpuE9ELNS1_3repE0EEENS1_30default_config_static_selectorELNS0_4arch9wavefront6targetE1EEEvT1_
                                        ; -- End function
	.section	.AMDGPU.csdata,"",@progbits
; Kernel info:
; codeLenInByte = 0
; NumSgprs: 4
; NumVgprs: 0
; NumAgprs: 0
; TotalNumVgprs: 0
; ScratchSize: 0
; MemoryBound: 0
; FloatMode: 240
; IeeeMode: 1
; LDSByteSize: 0 bytes/workgroup (compile time only)
; SGPRBlocks: 0
; VGPRBlocks: 0
; NumSGPRsForWavesPerEU: 4
; NumVGPRsForWavesPerEU: 1
; AccumOffset: 4
; Occupancy: 8
; WaveLimiterHint : 0
; COMPUTE_PGM_RSRC2:SCRATCH_EN: 0
; COMPUTE_PGM_RSRC2:USER_SGPR: 6
; COMPUTE_PGM_RSRC2:TRAP_HANDLER: 0
; COMPUTE_PGM_RSRC2:TGID_X_EN: 1
; COMPUTE_PGM_RSRC2:TGID_Y_EN: 0
; COMPUTE_PGM_RSRC2:TGID_Z_EN: 0
; COMPUTE_PGM_RSRC2:TIDIG_COMP_CNT: 0
; COMPUTE_PGM_RSRC3_GFX90A:ACCUM_OFFSET: 0
; COMPUTE_PGM_RSRC3_GFX90A:TG_SPLIT: 0
	.section	.text._ZN7rocprim17ROCPRIM_400000_NS6detail17trampoline_kernelINS0_14default_configENS1_25partition_config_selectorILNS1_17partition_subalgoE2EtNS0_10empty_typeEbEEZZNS1_14partition_implILS5_2ELb0ES3_jN6thrust23THRUST_200600_302600_NS6detail15normal_iteratorINSA_7pointerItNSA_11hip_rocprim3tagENSA_11use_defaultESG_EEEEPS6_NSA_18transform_iteratorI7is_evenItENSC_INSA_10device_ptrItEEEESG_SG_EENS0_5tupleIJPtSJ_EEENSR_IJSJ_SJ_EEES6_PlJS6_EEE10hipError_tPvRmT3_T4_T5_T6_T7_T9_mT8_P12ihipStream_tbDpT10_ENKUlT_T0_E_clISt17integral_constantIbLb1EES1F_EEDaS1A_S1B_EUlS1A_E_NS1_11comp_targetILNS1_3genE4ELNS1_11target_archE910ELNS1_3gpuE8ELNS1_3repE0EEENS1_30default_config_static_selectorELNS0_4arch9wavefront6targetE1EEEvT1_,"axG",@progbits,_ZN7rocprim17ROCPRIM_400000_NS6detail17trampoline_kernelINS0_14default_configENS1_25partition_config_selectorILNS1_17partition_subalgoE2EtNS0_10empty_typeEbEEZZNS1_14partition_implILS5_2ELb0ES3_jN6thrust23THRUST_200600_302600_NS6detail15normal_iteratorINSA_7pointerItNSA_11hip_rocprim3tagENSA_11use_defaultESG_EEEEPS6_NSA_18transform_iteratorI7is_evenItENSC_INSA_10device_ptrItEEEESG_SG_EENS0_5tupleIJPtSJ_EEENSR_IJSJ_SJ_EEES6_PlJS6_EEE10hipError_tPvRmT3_T4_T5_T6_T7_T9_mT8_P12ihipStream_tbDpT10_ENKUlT_T0_E_clISt17integral_constantIbLb1EES1F_EEDaS1A_S1B_EUlS1A_E_NS1_11comp_targetILNS1_3genE4ELNS1_11target_archE910ELNS1_3gpuE8ELNS1_3repE0EEENS1_30default_config_static_selectorELNS0_4arch9wavefront6targetE1EEEvT1_,comdat
	.protected	_ZN7rocprim17ROCPRIM_400000_NS6detail17trampoline_kernelINS0_14default_configENS1_25partition_config_selectorILNS1_17partition_subalgoE2EtNS0_10empty_typeEbEEZZNS1_14partition_implILS5_2ELb0ES3_jN6thrust23THRUST_200600_302600_NS6detail15normal_iteratorINSA_7pointerItNSA_11hip_rocprim3tagENSA_11use_defaultESG_EEEEPS6_NSA_18transform_iteratorI7is_evenItENSC_INSA_10device_ptrItEEEESG_SG_EENS0_5tupleIJPtSJ_EEENSR_IJSJ_SJ_EEES6_PlJS6_EEE10hipError_tPvRmT3_T4_T5_T6_T7_T9_mT8_P12ihipStream_tbDpT10_ENKUlT_T0_E_clISt17integral_constantIbLb1EES1F_EEDaS1A_S1B_EUlS1A_E_NS1_11comp_targetILNS1_3genE4ELNS1_11target_archE910ELNS1_3gpuE8ELNS1_3repE0EEENS1_30default_config_static_selectorELNS0_4arch9wavefront6targetE1EEEvT1_ ; -- Begin function _ZN7rocprim17ROCPRIM_400000_NS6detail17trampoline_kernelINS0_14default_configENS1_25partition_config_selectorILNS1_17partition_subalgoE2EtNS0_10empty_typeEbEEZZNS1_14partition_implILS5_2ELb0ES3_jN6thrust23THRUST_200600_302600_NS6detail15normal_iteratorINSA_7pointerItNSA_11hip_rocprim3tagENSA_11use_defaultESG_EEEEPS6_NSA_18transform_iteratorI7is_evenItENSC_INSA_10device_ptrItEEEESG_SG_EENS0_5tupleIJPtSJ_EEENSR_IJSJ_SJ_EEES6_PlJS6_EEE10hipError_tPvRmT3_T4_T5_T6_T7_T9_mT8_P12ihipStream_tbDpT10_ENKUlT_T0_E_clISt17integral_constantIbLb1EES1F_EEDaS1A_S1B_EUlS1A_E_NS1_11comp_targetILNS1_3genE4ELNS1_11target_archE910ELNS1_3gpuE8ELNS1_3repE0EEENS1_30default_config_static_selectorELNS0_4arch9wavefront6targetE1EEEvT1_
	.globl	_ZN7rocprim17ROCPRIM_400000_NS6detail17trampoline_kernelINS0_14default_configENS1_25partition_config_selectorILNS1_17partition_subalgoE2EtNS0_10empty_typeEbEEZZNS1_14partition_implILS5_2ELb0ES3_jN6thrust23THRUST_200600_302600_NS6detail15normal_iteratorINSA_7pointerItNSA_11hip_rocprim3tagENSA_11use_defaultESG_EEEEPS6_NSA_18transform_iteratorI7is_evenItENSC_INSA_10device_ptrItEEEESG_SG_EENS0_5tupleIJPtSJ_EEENSR_IJSJ_SJ_EEES6_PlJS6_EEE10hipError_tPvRmT3_T4_T5_T6_T7_T9_mT8_P12ihipStream_tbDpT10_ENKUlT_T0_E_clISt17integral_constantIbLb1EES1F_EEDaS1A_S1B_EUlS1A_E_NS1_11comp_targetILNS1_3genE4ELNS1_11target_archE910ELNS1_3gpuE8ELNS1_3repE0EEENS1_30default_config_static_selectorELNS0_4arch9wavefront6targetE1EEEvT1_
	.p2align	8
	.type	_ZN7rocprim17ROCPRIM_400000_NS6detail17trampoline_kernelINS0_14default_configENS1_25partition_config_selectorILNS1_17partition_subalgoE2EtNS0_10empty_typeEbEEZZNS1_14partition_implILS5_2ELb0ES3_jN6thrust23THRUST_200600_302600_NS6detail15normal_iteratorINSA_7pointerItNSA_11hip_rocprim3tagENSA_11use_defaultESG_EEEEPS6_NSA_18transform_iteratorI7is_evenItENSC_INSA_10device_ptrItEEEESG_SG_EENS0_5tupleIJPtSJ_EEENSR_IJSJ_SJ_EEES6_PlJS6_EEE10hipError_tPvRmT3_T4_T5_T6_T7_T9_mT8_P12ihipStream_tbDpT10_ENKUlT_T0_E_clISt17integral_constantIbLb1EES1F_EEDaS1A_S1B_EUlS1A_E_NS1_11comp_targetILNS1_3genE4ELNS1_11target_archE910ELNS1_3gpuE8ELNS1_3repE0EEENS1_30default_config_static_selectorELNS0_4arch9wavefront6targetE1EEEvT1_,@function
_ZN7rocprim17ROCPRIM_400000_NS6detail17trampoline_kernelINS0_14default_configENS1_25partition_config_selectorILNS1_17partition_subalgoE2EtNS0_10empty_typeEbEEZZNS1_14partition_implILS5_2ELb0ES3_jN6thrust23THRUST_200600_302600_NS6detail15normal_iteratorINSA_7pointerItNSA_11hip_rocprim3tagENSA_11use_defaultESG_EEEEPS6_NSA_18transform_iteratorI7is_evenItENSC_INSA_10device_ptrItEEEESG_SG_EENS0_5tupleIJPtSJ_EEENSR_IJSJ_SJ_EEES6_PlJS6_EEE10hipError_tPvRmT3_T4_T5_T6_T7_T9_mT8_P12ihipStream_tbDpT10_ENKUlT_T0_E_clISt17integral_constantIbLb1EES1F_EEDaS1A_S1B_EUlS1A_E_NS1_11comp_targetILNS1_3genE4ELNS1_11target_archE910ELNS1_3gpuE8ELNS1_3repE0EEENS1_30default_config_static_selectorELNS0_4arch9wavefront6targetE1EEEvT1_: ; @_ZN7rocprim17ROCPRIM_400000_NS6detail17trampoline_kernelINS0_14default_configENS1_25partition_config_selectorILNS1_17partition_subalgoE2EtNS0_10empty_typeEbEEZZNS1_14partition_implILS5_2ELb0ES3_jN6thrust23THRUST_200600_302600_NS6detail15normal_iteratorINSA_7pointerItNSA_11hip_rocprim3tagENSA_11use_defaultESG_EEEEPS6_NSA_18transform_iteratorI7is_evenItENSC_INSA_10device_ptrItEEEESG_SG_EENS0_5tupleIJPtSJ_EEENSR_IJSJ_SJ_EEES6_PlJS6_EEE10hipError_tPvRmT3_T4_T5_T6_T7_T9_mT8_P12ihipStream_tbDpT10_ENKUlT_T0_E_clISt17integral_constantIbLb1EES1F_EEDaS1A_S1B_EUlS1A_E_NS1_11comp_targetILNS1_3genE4ELNS1_11target_archE910ELNS1_3gpuE8ELNS1_3repE0EEENS1_30default_config_static_selectorELNS0_4arch9wavefront6targetE1EEEvT1_
; %bb.0:
	s_load_dwordx2 s[6:7], s[4:5], 0x20
	s_load_dwordx2 s[24:25], s[4:5], 0x30
	;; [unrolled: 1-line block ×3, first 2 shown]
	s_load_dwordx4 s[20:23], s[4:5], 0x50
	s_load_dwordx2 s[34:35], s[4:5], 0x70
	v_cmp_eq_u32_e64 s[0:1], 0, v0
	s_and_saveexec_b64 s[2:3], s[0:1]
	s_cbranch_execz .LBB2080_4
; %bb.1:
	s_mov_b64 s[10:11], exec
	v_mbcnt_lo_u32_b32 v1, s10, 0
	v_mbcnt_hi_u32_b32 v1, s11, v1
	v_cmp_eq_u32_e32 vcc, 0, v1
                                        ; implicit-def: $vgpr2
	s_and_saveexec_b64 s[8:9], vcc
	s_cbranch_execz .LBB2080_3
; %bb.2:
	s_load_dwordx2 s[12:13], s[4:5], 0x80
	s_bcnt1_i32_b64 s10, s[10:11]
	v_mov_b32_e32 v2, 0
	v_mov_b32_e32 v3, s10
	s_waitcnt lgkmcnt(0)
	global_atomic_add v2, v2, v3, s[12:13] glc
.LBB2080_3:
	s_or_b64 exec, exec, s[8:9]
	s_waitcnt vmcnt(0)
	v_readfirstlane_b32 s8, v2
	v_add_u32_e32 v1, s8, v1
	v_mov_b32_e32 v2, 0
	ds_write_b32 v2, v1
.LBB2080_4:
	s_or_b64 exec, exec, s[2:3]
	v_mov_b32_e32 v1, 0
	s_load_dwordx4 s[16:19], s[4:5], 0x8
	s_load_dword s2, s[4:5], 0x78
	s_waitcnt lgkmcnt(0)
	s_barrier
	ds_read_b32 v2, v1
	s_waitcnt lgkmcnt(0)
	s_barrier
	global_load_dwordx2 v[12:13], v1, s[22:23]
	s_lshl_b64 s[4:5], s[18:19], 1
	s_add_u32 s10, s16, s4
	s_addc_u32 s11, s17, s5
	s_add_i32 s8, s2, -1
	s_mulk_i32 s2, 0x1400
	s_add_i32 s3, s2, s18
	s_sub_i32 s33, s26, s3
	s_addk_i32 s33, 0x1400
	s_add_u32 s2, s18, s2
	v_readfirstlane_b32 s42, v2
	s_addc_u32 s3, s19, 0
	s_cmp_eq_u32 s42, s8
	v_pk_mov_b32 v[2:3], s[26:27], s[26:27] op_sel:[0,1]
	s_cselect_b64 s[22:23], -1, 0
	s_cmp_lg_u32 s42, s8
	s_mul_i32 s28, s42, 0x1400
	s_mov_b32 s29, 0
	v_cmp_lt_u64_e32 vcc, s[2:3], v[2:3]
	s_cselect_b64 s[2:3], -1, 0
	s_or_b64 s[30:31], vcc, s[2:3]
	s_lshl_b64 s[8:9], s[28:29], 1
	s_add_u32 s12, s10, s8
	s_addc_u32 s13, s11, s9
	s_mov_b64 s[2:3], -1
	s_and_b64 vcc, exec, s[30:31]
	v_lshlrev_b32_e32 v1, 1, v0
	s_cbranch_vccz .LBB2080_6
; %bb.5:
	v_mov_b32_e32 v3, s13
	v_add_co_u32_e32 v2, vcc, s12, v1
	v_addc_co_u32_e32 v3, vcc, 0, v3, vcc
	v_add_co_u32_e32 v4, vcc, 0x1000, v2
	v_addc_co_u32_e32 v5, vcc, 0, v3, vcc
	flat_load_ushort v6, v[2:3]
	flat_load_ushort v7, v[2:3] offset:512
	flat_load_ushort v8, v[2:3] offset:1024
	;; [unrolled: 1-line block ×7, first 2 shown]
	v_add_co_u32_e32 v2, vcc, 0x2000, v2
	v_addc_co_u32_e32 v3, vcc, 0, v3, vcc
	flat_load_ushort v16, v[4:5]
	flat_load_ushort v17, v[4:5] offset:512
	flat_load_ushort v18, v[4:5] offset:1024
	;; [unrolled: 1-line block ×7, first 2 shown]
	s_nop 0
	flat_load_ushort v4, v[2:3]
	flat_load_ushort v5, v[2:3] offset:512
	flat_load_ushort v24, v[2:3] offset:1024
	;; [unrolled: 1-line block ×3, first 2 shown]
	s_mov_b64 s[2:3], 0
	s_waitcnt vmcnt(0) lgkmcnt(0)
	ds_write_b16 v1, v6
	ds_write_b16 v1, v7 offset:512
	ds_write_b16 v1, v8 offset:1024
	;; [unrolled: 1-line block ×19, first 2 shown]
	s_waitcnt lgkmcnt(0)
	s_barrier
.LBB2080_6:
	s_andn2_b64 vcc, exec, s[2:3]
	v_cmp_gt_u32_e64 s[2:3], s33, v0
	s_cbranch_vccnz .LBB2080_48
; %bb.7:
                                        ; implicit-def: $vgpr2
	s_and_saveexec_b64 s[10:11], s[2:3]
	s_cbranch_execz .LBB2080_9
; %bb.8:
	v_mov_b32_e32 v3, s13
	v_add_co_u32_e32 v2, vcc, s12, v1
	v_addc_co_u32_e32 v3, vcc, 0, v3, vcc
	flat_load_ushort v2, v[2:3]
.LBB2080_9:
	s_or_b64 exec, exec, s[10:11]
	v_or_b32_e32 v3, 0x100, v0
	v_cmp_gt_u32_e32 vcc, s33, v3
                                        ; implicit-def: $vgpr3
	s_and_saveexec_b64 s[2:3], vcc
	s_cbranch_execz .LBB2080_11
; %bb.10:
	v_mov_b32_e32 v3, s13
	v_add_co_u32_e32 v4, vcc, s12, v1
	v_addc_co_u32_e32 v5, vcc, 0, v3, vcc
	flat_load_ushort v3, v[4:5] offset:512
.LBB2080_11:
	s_or_b64 exec, exec, s[2:3]
	v_or_b32_e32 v4, 0x200, v0
	v_cmp_gt_u32_e32 vcc, s33, v4
                                        ; implicit-def: $vgpr4
	s_and_saveexec_b64 s[2:3], vcc
	s_cbranch_execz .LBB2080_13
; %bb.12:
	v_mov_b32_e32 v5, s13
	v_add_co_u32_e32 v4, vcc, s12, v1
	v_addc_co_u32_e32 v5, vcc, 0, v5, vcc
	flat_load_ushort v4, v[4:5] offset:1024
.LBB2080_13:
	s_or_b64 exec, exec, s[2:3]
	v_or_b32_e32 v5, 0x300, v0
	v_cmp_gt_u32_e32 vcc, s33, v5
                                        ; implicit-def: $vgpr5
	s_and_saveexec_b64 s[2:3], vcc
	s_cbranch_execz .LBB2080_15
; %bb.14:
	v_mov_b32_e32 v5, s13
	v_add_co_u32_e32 v6, vcc, s12, v1
	v_addc_co_u32_e32 v7, vcc, 0, v5, vcc
	flat_load_ushort v5, v[6:7] offset:1536
.LBB2080_15:
	s_or_b64 exec, exec, s[2:3]
	v_or_b32_e32 v6, 0x400, v0
	v_cmp_gt_u32_e32 vcc, s33, v6
                                        ; implicit-def: $vgpr6
	s_and_saveexec_b64 s[2:3], vcc
	s_cbranch_execz .LBB2080_17
; %bb.16:
	v_mov_b32_e32 v7, s13
	v_add_co_u32_e32 v6, vcc, s12, v1
	v_addc_co_u32_e32 v7, vcc, 0, v7, vcc
	flat_load_ushort v6, v[6:7] offset:2048
.LBB2080_17:
	s_or_b64 exec, exec, s[2:3]
	v_or_b32_e32 v7, 0x500, v0
	v_cmp_gt_u32_e32 vcc, s33, v7
                                        ; implicit-def: $vgpr7
	s_and_saveexec_b64 s[2:3], vcc
	s_cbranch_execz .LBB2080_19
; %bb.18:
	v_mov_b32_e32 v7, s13
	v_add_co_u32_e32 v8, vcc, s12, v1
	v_addc_co_u32_e32 v9, vcc, 0, v7, vcc
	flat_load_ushort v7, v[8:9] offset:2560
.LBB2080_19:
	s_or_b64 exec, exec, s[2:3]
	v_or_b32_e32 v8, 0x600, v0
	v_cmp_gt_u32_e32 vcc, s33, v8
                                        ; implicit-def: $vgpr8
	s_and_saveexec_b64 s[2:3], vcc
	s_cbranch_execz .LBB2080_21
; %bb.20:
	v_mov_b32_e32 v9, s13
	v_add_co_u32_e32 v8, vcc, s12, v1
	v_addc_co_u32_e32 v9, vcc, 0, v9, vcc
	flat_load_ushort v8, v[8:9] offset:3072
.LBB2080_21:
	s_or_b64 exec, exec, s[2:3]
	v_or_b32_e32 v9, 0x700, v0
	v_cmp_gt_u32_e32 vcc, s33, v9
                                        ; implicit-def: $vgpr9
	s_and_saveexec_b64 s[2:3], vcc
	s_cbranch_execz .LBB2080_23
; %bb.22:
	v_mov_b32_e32 v9, s13
	v_add_co_u32_e32 v10, vcc, s12, v1
	v_addc_co_u32_e32 v11, vcc, 0, v9, vcc
	flat_load_ushort v9, v[10:11] offset:3584
.LBB2080_23:
	s_or_b64 exec, exec, s[2:3]
	v_or_b32_e32 v11, 0x800, v0
	v_cmp_gt_u32_e32 vcc, s33, v11
                                        ; implicit-def: $vgpr10
	s_and_saveexec_b64 s[2:3], vcc
	s_cbranch_execz .LBB2080_25
; %bb.24:
	v_lshlrev_b32_e32 v10, 1, v11
	v_mov_b32_e32 v11, s13
	v_add_co_u32_e32 v10, vcc, s12, v10
	v_addc_co_u32_e32 v11, vcc, 0, v11, vcc
	flat_load_ushort v10, v[10:11]
.LBB2080_25:
	s_or_b64 exec, exec, s[2:3]
	v_or_b32_e32 v14, 0x900, v0
	v_cmp_gt_u32_e32 vcc, s33, v14
                                        ; implicit-def: $vgpr11
	s_and_saveexec_b64 s[2:3], vcc
	s_cbranch_execz .LBB2080_27
; %bb.26:
	v_lshlrev_b32_e32 v11, 1, v14
	v_mov_b32_e32 v15, s13
	v_add_co_u32_e32 v14, vcc, s12, v11
	v_addc_co_u32_e32 v15, vcc, 0, v15, vcc
	flat_load_ushort v11, v[14:15]
.LBB2080_27:
	s_or_b64 exec, exec, s[2:3]
	v_or_b32_e32 v15, 0xa00, v0
	v_cmp_gt_u32_e32 vcc, s33, v15
                                        ; implicit-def: $vgpr14
	s_and_saveexec_b64 s[2:3], vcc
	s_cbranch_execz .LBB2080_29
; %bb.28:
	v_lshlrev_b32_e32 v14, 1, v15
	v_mov_b32_e32 v15, s13
	v_add_co_u32_e32 v14, vcc, s12, v14
	v_addc_co_u32_e32 v15, vcc, 0, v15, vcc
	flat_load_ushort v14, v[14:15]
.LBB2080_29:
	s_or_b64 exec, exec, s[2:3]
	v_or_b32_e32 v16, 0xb00, v0
	v_cmp_gt_u32_e32 vcc, s33, v16
                                        ; implicit-def: $vgpr15
	s_and_saveexec_b64 s[2:3], vcc
	s_cbranch_execz .LBB2080_31
; %bb.30:
	v_lshlrev_b32_e32 v15, 1, v16
	v_mov_b32_e32 v17, s13
	v_add_co_u32_e32 v16, vcc, s12, v15
	v_addc_co_u32_e32 v17, vcc, 0, v17, vcc
	flat_load_ushort v15, v[16:17]
.LBB2080_31:
	s_or_b64 exec, exec, s[2:3]
	v_or_b32_e32 v17, 0xc00, v0
	v_cmp_gt_u32_e32 vcc, s33, v17
                                        ; implicit-def: $vgpr16
	s_and_saveexec_b64 s[2:3], vcc
	s_cbranch_execz .LBB2080_33
; %bb.32:
	v_lshlrev_b32_e32 v16, 1, v17
	v_mov_b32_e32 v17, s13
	v_add_co_u32_e32 v16, vcc, s12, v16
	v_addc_co_u32_e32 v17, vcc, 0, v17, vcc
	flat_load_ushort v16, v[16:17]
.LBB2080_33:
	s_or_b64 exec, exec, s[2:3]
	v_or_b32_e32 v18, 0xd00, v0
	v_cmp_gt_u32_e32 vcc, s33, v18
                                        ; implicit-def: $vgpr17
	s_and_saveexec_b64 s[2:3], vcc
	s_cbranch_execz .LBB2080_35
; %bb.34:
	v_lshlrev_b32_e32 v17, 1, v18
	v_mov_b32_e32 v19, s13
	v_add_co_u32_e32 v18, vcc, s12, v17
	v_addc_co_u32_e32 v19, vcc, 0, v19, vcc
	flat_load_ushort v17, v[18:19]
.LBB2080_35:
	s_or_b64 exec, exec, s[2:3]
	v_or_b32_e32 v19, 0xe00, v0
	v_cmp_gt_u32_e32 vcc, s33, v19
                                        ; implicit-def: $vgpr18
	s_and_saveexec_b64 s[2:3], vcc
	s_cbranch_execz .LBB2080_37
; %bb.36:
	v_lshlrev_b32_e32 v18, 1, v19
	v_mov_b32_e32 v19, s13
	v_add_co_u32_e32 v18, vcc, s12, v18
	v_addc_co_u32_e32 v19, vcc, 0, v19, vcc
	flat_load_ushort v18, v[18:19]
.LBB2080_37:
	s_or_b64 exec, exec, s[2:3]
	v_or_b32_e32 v20, 0xf00, v0
	v_cmp_gt_u32_e32 vcc, s33, v20
                                        ; implicit-def: $vgpr19
	s_and_saveexec_b64 s[2:3], vcc
	s_cbranch_execz .LBB2080_39
; %bb.38:
	v_lshlrev_b32_e32 v19, 1, v20
	v_mov_b32_e32 v21, s13
	v_add_co_u32_e32 v20, vcc, s12, v19
	v_addc_co_u32_e32 v21, vcc, 0, v21, vcc
	flat_load_ushort v19, v[20:21]
.LBB2080_39:
	s_or_b64 exec, exec, s[2:3]
	v_or_b32_e32 v21, 0x1000, v0
	v_cmp_gt_u32_e32 vcc, s33, v21
                                        ; implicit-def: $vgpr20
	s_and_saveexec_b64 s[2:3], vcc
	s_cbranch_execz .LBB2080_41
; %bb.40:
	v_lshlrev_b32_e32 v20, 1, v21
	v_mov_b32_e32 v21, s13
	v_add_co_u32_e32 v20, vcc, s12, v20
	v_addc_co_u32_e32 v21, vcc, 0, v21, vcc
	flat_load_ushort v20, v[20:21]
.LBB2080_41:
	s_or_b64 exec, exec, s[2:3]
	v_or_b32_e32 v22, 0x1100, v0
	v_cmp_gt_u32_e32 vcc, s33, v22
                                        ; implicit-def: $vgpr21
	s_and_saveexec_b64 s[2:3], vcc
	s_cbranch_execz .LBB2080_43
; %bb.42:
	v_lshlrev_b32_e32 v21, 1, v22
	v_mov_b32_e32 v23, s13
	v_add_co_u32_e32 v22, vcc, s12, v21
	v_addc_co_u32_e32 v23, vcc, 0, v23, vcc
	flat_load_ushort v21, v[22:23]
.LBB2080_43:
	s_or_b64 exec, exec, s[2:3]
	v_or_b32_e32 v23, 0x1200, v0
	v_cmp_gt_u32_e32 vcc, s33, v23
                                        ; implicit-def: $vgpr22
	s_and_saveexec_b64 s[2:3], vcc
	s_cbranch_execz .LBB2080_45
; %bb.44:
	v_lshlrev_b32_e32 v22, 1, v23
	v_mov_b32_e32 v23, s13
	v_add_co_u32_e32 v22, vcc, s12, v22
	v_addc_co_u32_e32 v23, vcc, 0, v23, vcc
	flat_load_ushort v22, v[22:23]
.LBB2080_45:
	s_or_b64 exec, exec, s[2:3]
	v_or_b32_e32 v24, 0x1300, v0
	v_cmp_gt_u32_e32 vcc, s33, v24
                                        ; implicit-def: $vgpr23
	s_and_saveexec_b64 s[2:3], vcc
	s_cbranch_execz .LBB2080_47
; %bb.46:
	v_lshlrev_b32_e32 v23, 1, v24
	v_mov_b32_e32 v25, s13
	v_add_co_u32_e32 v24, vcc, s12, v23
	v_addc_co_u32_e32 v25, vcc, 0, v25, vcc
	flat_load_ushort v23, v[24:25]
.LBB2080_47:
	s_or_b64 exec, exec, s[2:3]
	s_waitcnt vmcnt(0) lgkmcnt(0)
	ds_write_b16 v1, v2
	ds_write_b16 v1, v3 offset:512
	ds_write_b16 v1, v4 offset:1024
	;; [unrolled: 1-line block ×19, first 2 shown]
	s_waitcnt lgkmcnt(0)
	s_barrier
.LBB2080_48:
	v_mul_u32_u24_e32 v28, 20, v0
	v_lshlrev_b32_e32 v6, 1, v28
	ds_read_b64 v[14:15], v6 offset:32
	ds_read2_b64 v[2:5], v6 offset0:2 offset1:3
	ds_read2_b64 v[6:9], v6 offset1:1
	s_add_u32 s2, s6, s4
	s_addc_u32 s3, s7, s5
	s_add_u32 s2, s2, s8
	s_addc_u32 s3, s3, s9
	s_mov_b64 s[4:5], -1
	s_and_b64 vcc, exec, s[30:31]
	s_waitcnt lgkmcnt(0)
	s_barrier
	s_cbranch_vccz .LBB2080_50
; %bb.49:
	v_mov_b32_e32 v10, s3
	v_add_co_u32_e32 v16, vcc, s2, v1
	s_movk_i32 s4, 0x1000
	v_addc_co_u32_e32 v17, vcc, 0, v10, vcc
	v_add_co_u32_e32 v10, vcc, s4, v16
	s_movk_i32 s5, 0x2000
	v_addc_co_u32_e32 v11, vcc, 0, v17, vcc
	global_load_ubyte v18, v1, s[2:3]
	global_load_ubyte v19, v1, s[2:3] offset:512
	global_load_ubyte v20, v1, s[2:3] offset:1024
	;; [unrolled: 1-line block ×7, first 2 shown]
	v_add_co_u32_e32 v16, vcc, s5, v16
	v_addc_co_u32_e32 v17, vcc, 0, v17, vcc
	global_load_ubyte v26, v[16:17], off offset:-4096
	global_load_ubyte v27, v[10:11], off offset:512
	global_load_ubyte v29, v[10:11], off offset:1024
	;; [unrolled: 1-line block ×7, first 2 shown]
	global_load_ubyte v35, v[16:17], off
	global_load_ubyte v36, v[16:17], off offset:512
	global_load_ubyte v37, v[16:17], off offset:1024
	;; [unrolled: 1-line block ×3, first 2 shown]
	s_mov_b64 s[4:5], 0
	s_waitcnt vmcnt(19)
	v_xor_b32_e32 v10, -1, v18
	s_waitcnt vmcnt(18)
	v_xor_b32_e32 v11, -1, v19
	;; [unrolled: 2-line block ×8, first 2 shown]
	v_and_b32_e32 v10, 1, v10
	v_and_b32_e32 v11, 1, v11
	;; [unrolled: 1-line block ×8, first 2 shown]
	ds_write_b8 v0, v10
	ds_write_b8 v0, v11 offset:256
	ds_write_b8 v0, v16 offset:512
	;; [unrolled: 1-line block ×7, first 2 shown]
	s_waitcnt vmcnt(11)
	v_xor_b32_e32 v10, -1, v26
	s_waitcnt vmcnt(10)
	v_xor_b32_e32 v11, -1, v27
	s_waitcnt vmcnt(9)
	v_xor_b32_e32 v16, -1, v29
	s_waitcnt vmcnt(8)
	v_xor_b32_e32 v17, -1, v30
	s_waitcnt vmcnt(7)
	v_xor_b32_e32 v18, -1, v31
	s_waitcnt vmcnt(6)
	v_xor_b32_e32 v19, -1, v32
	s_waitcnt vmcnt(5)
	v_xor_b32_e32 v20, -1, v33
	s_waitcnt vmcnt(4)
	v_xor_b32_e32 v21, -1, v34
	s_waitcnt vmcnt(3)
	v_xor_b32_e32 v22, -1, v35
	s_waitcnt vmcnt(2)
	v_xor_b32_e32 v23, -1, v36
	s_waitcnt vmcnt(1)
	v_xor_b32_e32 v24, -1, v37
	s_waitcnt vmcnt(0)
	v_xor_b32_e32 v25, -1, v38
	v_and_b32_e32 v10, 1, v10
	v_and_b32_e32 v11, 1, v11
	;; [unrolled: 1-line block ×12, first 2 shown]
	ds_write_b8 v0, v10 offset:2048
	ds_write_b8 v0, v11 offset:2304
	;; [unrolled: 1-line block ×12, first 2 shown]
	s_waitcnt lgkmcnt(0)
	s_barrier
.LBB2080_50:
	s_andn2_b64 vcc, exec, s[4:5]
	s_cbranch_vccnz .LBB2080_92
; %bb.51:
	v_cmp_gt_u32_e32 vcc, s33, v0
	v_mov_b32_e32 v10, 0
	v_mov_b32_e32 v11, 0
	s_and_saveexec_b64 s[4:5], vcc
	s_cbranch_execz .LBB2080_53
; %bb.52:
	global_load_ubyte v11, v1, s[2:3]
	s_waitcnt vmcnt(0)
	v_xor_b32_e32 v11, -1, v11
	v_and_b32_e32 v11, 1, v11
.LBB2080_53:
	s_or_b64 exec, exec, s[4:5]
	v_or_b32_e32 v16, 0x100, v0
	v_cmp_gt_u32_e32 vcc, s33, v16
	s_and_saveexec_b64 s[4:5], vcc
	s_cbranch_execz .LBB2080_55
; %bb.54:
	global_load_ubyte v10, v1, s[2:3] offset:512
	s_waitcnt vmcnt(0)
	v_xor_b32_e32 v10, -1, v10
	v_and_b32_e32 v10, 1, v10
.LBB2080_55:
	s_or_b64 exec, exec, s[4:5]
	v_or_b32_e32 v16, 0x200, v0
	v_cmp_gt_u32_e32 vcc, s33, v16
	v_mov_b32_e32 v16, 0
	v_mov_b32_e32 v17, 0
	s_and_saveexec_b64 s[4:5], vcc
	s_cbranch_execz .LBB2080_57
; %bb.56:
	global_load_ubyte v17, v1, s[2:3] offset:1024
	s_waitcnt vmcnt(0)
	v_xor_b32_e32 v17, -1, v17
	v_and_b32_e32 v17, 1, v17
.LBB2080_57:
	s_or_b64 exec, exec, s[4:5]
	v_or_b32_e32 v18, 0x300, v0
	v_cmp_gt_u32_e32 vcc, s33, v18
	s_and_saveexec_b64 s[4:5], vcc
	s_cbranch_execz .LBB2080_59
; %bb.58:
	global_load_ubyte v16, v1, s[2:3] offset:1536
	s_waitcnt vmcnt(0)
	v_xor_b32_e32 v16, -1, v16
	v_and_b32_e32 v16, 1, v16
.LBB2080_59:
	s_or_b64 exec, exec, s[4:5]
	v_or_b32_e32 v18, 0x400, v0
	v_cmp_gt_u32_e32 vcc, s33, v18
	v_mov_b32_e32 v18, 0
	v_mov_b32_e32 v19, 0
	s_and_saveexec_b64 s[4:5], vcc
	s_cbranch_execz .LBB2080_61
; %bb.60:
	global_load_ubyte v19, v1, s[2:3] offset:2048
	s_waitcnt vmcnt(0)
	v_xor_b32_e32 v19, -1, v19
	v_and_b32_e32 v19, 1, v19
.LBB2080_61:
	;; [unrolled: 24-line block ×3, first 2 shown]
	s_or_b64 exec, exec, s[4:5]
	v_or_b32_e32 v22, 0x700, v0
	v_cmp_gt_u32_e32 vcc, s33, v22
	s_and_saveexec_b64 s[4:5], vcc
	s_cbranch_execz .LBB2080_67
; %bb.66:
	global_load_ubyte v20, v1, s[2:3] offset:3584
	s_waitcnt vmcnt(0)
	v_xor_b32_e32 v20, -1, v20
	v_and_b32_e32 v20, 1, v20
.LBB2080_67:
	s_or_b64 exec, exec, s[4:5]
	v_or_b32_e32 v24, 0x800, v0
	v_cmp_gt_u32_e32 vcc, s33, v24
	v_mov_b32_e32 v22, 0
	v_mov_b32_e32 v23, 0
	s_and_saveexec_b64 s[4:5], vcc
	s_cbranch_execz .LBB2080_69
; %bb.68:
	v_lshlrev_b32_e32 v23, 1, v24
	global_load_ubyte v23, v23, s[2:3]
	s_waitcnt vmcnt(0)
	v_xor_b32_e32 v23, -1, v23
	v_and_b32_e32 v23, 1, v23
.LBB2080_69:
	s_or_b64 exec, exec, s[4:5]
	v_or_b32_e32 v24, 0x900, v0
	v_cmp_gt_u32_e32 vcc, s33, v24
	s_and_saveexec_b64 s[4:5], vcc
	s_cbranch_execz .LBB2080_71
; %bb.70:
	v_lshlrev_b32_e32 v22, 1, v24
	global_load_ubyte v22, v22, s[2:3]
	s_waitcnt vmcnt(0)
	v_xor_b32_e32 v22, -1, v22
	v_and_b32_e32 v22, 1, v22
.LBB2080_71:
	s_or_b64 exec, exec, s[4:5]
	v_or_b32_e32 v26, 0xa00, v0
	v_cmp_gt_u32_e32 vcc, s33, v26
	v_mov_b32_e32 v24, 0
	v_mov_b32_e32 v25, 0
	s_and_saveexec_b64 s[4:5], vcc
	s_cbranch_execz .LBB2080_73
; %bb.72:
	v_lshlrev_b32_e32 v25, 1, v26
	global_load_ubyte v25, v25, s[2:3]
	s_waitcnt vmcnt(0)
	v_xor_b32_e32 v25, -1, v25
	v_and_b32_e32 v25, 1, v25
.LBB2080_73:
	s_or_b64 exec, exec, s[4:5]
	v_or_b32_e32 v26, 0xb00, v0
	v_cmp_gt_u32_e32 vcc, s33, v26
	s_and_saveexec_b64 s[4:5], vcc
	s_cbranch_execz .LBB2080_75
; %bb.74:
	v_lshlrev_b32_e32 v24, 1, v26
	global_load_ubyte v24, v24, s[2:3]
	s_waitcnt vmcnt(0)
	v_xor_b32_e32 v24, -1, v24
	v_and_b32_e32 v24, 1, v24
.LBB2080_75:
	s_or_b64 exec, exec, s[4:5]
	v_or_b32_e32 v29, 0xc00, v0
	v_cmp_gt_u32_e32 vcc, s33, v29
	v_mov_b32_e32 v26, 0
	v_mov_b32_e32 v27, 0
	s_and_saveexec_b64 s[4:5], vcc
	s_cbranch_execz .LBB2080_77
; %bb.76:
	v_lshlrev_b32_e32 v27, 1, v29
	global_load_ubyte v27, v27, s[2:3]
	s_waitcnt vmcnt(0)
	v_xor_b32_e32 v27, -1, v27
	v_and_b32_e32 v27, 1, v27
.LBB2080_77:
	s_or_b64 exec, exec, s[4:5]
	v_or_b32_e32 v29, 0xd00, v0
	v_cmp_gt_u32_e32 vcc, s33, v29
	s_and_saveexec_b64 s[4:5], vcc
	s_cbranch_execz .LBB2080_79
; %bb.78:
	v_lshlrev_b32_e32 v26, 1, v29
	global_load_ubyte v26, v26, s[2:3]
	s_waitcnt vmcnt(0)
	v_xor_b32_e32 v26, -1, v26
	v_and_b32_e32 v26, 1, v26
.LBB2080_79:
	s_or_b64 exec, exec, s[4:5]
	v_or_b32_e32 v31, 0xe00, v0
	v_cmp_gt_u32_e32 vcc, s33, v31
	v_mov_b32_e32 v29, 0
	v_mov_b32_e32 v30, 0
	s_and_saveexec_b64 s[4:5], vcc
	s_cbranch_execz .LBB2080_81
; %bb.80:
	v_lshlrev_b32_e32 v30, 1, v31
	global_load_ubyte v30, v30, s[2:3]
	s_waitcnt vmcnt(0)
	v_xor_b32_e32 v30, -1, v30
	v_and_b32_e32 v30, 1, v30
.LBB2080_81:
	s_or_b64 exec, exec, s[4:5]
	v_or_b32_e32 v31, 0xf00, v0
	v_cmp_gt_u32_e32 vcc, s33, v31
	s_and_saveexec_b64 s[4:5], vcc
	s_cbranch_execz .LBB2080_83
; %bb.82:
	v_lshlrev_b32_e32 v29, 1, v31
	global_load_ubyte v29, v29, s[2:3]
	s_waitcnt vmcnt(0)
	v_xor_b32_e32 v29, -1, v29
	v_and_b32_e32 v29, 1, v29
.LBB2080_83:
	s_or_b64 exec, exec, s[4:5]
	v_or_b32_e32 v33, 0x1000, v0
	v_cmp_gt_u32_e32 vcc, s33, v33
	v_mov_b32_e32 v31, 0
	v_mov_b32_e32 v32, 0
	s_and_saveexec_b64 s[4:5], vcc
	s_cbranch_execz .LBB2080_85
; %bb.84:
	v_lshlrev_b32_e32 v32, 1, v33
	global_load_ubyte v32, v32, s[2:3]
	s_waitcnt vmcnt(0)
	v_xor_b32_e32 v32, -1, v32
	v_and_b32_e32 v32, 1, v32
.LBB2080_85:
	s_or_b64 exec, exec, s[4:5]
	v_or_b32_e32 v33, 0x1100, v0
	v_cmp_gt_u32_e32 vcc, s33, v33
	s_and_saveexec_b64 s[4:5], vcc
	s_cbranch_execz .LBB2080_87
; %bb.86:
	v_lshlrev_b32_e32 v31, 1, v33
	global_load_ubyte v31, v31, s[2:3]
	s_waitcnt vmcnt(0)
	v_xor_b32_e32 v31, -1, v31
	v_and_b32_e32 v31, 1, v31
.LBB2080_87:
	s_or_b64 exec, exec, s[4:5]
	v_or_b32_e32 v35, 0x1200, v0
	v_cmp_gt_u32_e32 vcc, s33, v35
	v_mov_b32_e32 v33, 0
	v_mov_b32_e32 v34, 0
	s_and_saveexec_b64 s[4:5], vcc
	s_cbranch_execz .LBB2080_89
; %bb.88:
	v_lshlrev_b32_e32 v34, 1, v35
	global_load_ubyte v34, v34, s[2:3]
	s_waitcnt vmcnt(0)
	v_xor_b32_e32 v34, -1, v34
	v_and_b32_e32 v34, 1, v34
.LBB2080_89:
	s_or_b64 exec, exec, s[4:5]
	v_or_b32_e32 v35, 0x1300, v0
	v_cmp_gt_u32_e32 vcc, s33, v35
	s_and_saveexec_b64 s[4:5], vcc
	s_cbranch_execz .LBB2080_91
; %bb.90:
	v_lshlrev_b32_e32 v33, 1, v35
	global_load_ubyte v33, v33, s[2:3]
	s_waitcnt vmcnt(0)
	v_xor_b32_e32 v33, -1, v33
	v_and_b32_e32 v33, 1, v33
.LBB2080_91:
	s_or_b64 exec, exec, s[4:5]
	ds_write_b8 v0, v11
	ds_write_b8 v0, v10 offset:256
	ds_write_b8 v0, v17 offset:512
	;; [unrolled: 1-line block ×19, first 2 shown]
	s_waitcnt lgkmcnt(0)
	s_barrier
.LBB2080_92:
	ds_read2_b32 v[18:19], v28 offset1:1
	ds_read2_b32 v[16:17], v28 offset0:2 offset1:3
	ds_read_b32 v30, v28 offset:16
	s_cmp_lg_u32 s42, 0
	v_lshrrev_b32_e32 v49, 6, v0
	s_waitcnt lgkmcnt(2)
	v_lshrrev_b32_e32 v35, 24, v18
	v_bfe_u32 v47, v18, 16, 8
	v_add_u32_sdwa v10, v18, v18 dst_sel:DWORD dst_unused:UNUSED_PAD src0_sel:BYTE_1 src1_sel:BYTE_0
	v_and_b32_e32 v44, 0xff, v19
	v_bfe_u32 v45, v19, 8, 8
	v_add3_u32 v10, v10, v47, v35
	v_lshrrev_b32_e32 v34, 24, v19
	v_bfe_u32 v46, v19, 16, 8
	v_add3_u32 v10, v10, v44, v45
	s_waitcnt lgkmcnt(1)
	v_and_b32_e32 v41, 0xff, v16
	v_bfe_u32 v42, v16, 8, 8
	v_add3_u32 v10, v10, v46, v34
	v_lshrrev_b32_e32 v33, 24, v16
	v_bfe_u32 v43, v16, 16, 8
	v_add3_u32 v10, v10, v41, v42
	v_and_b32_e32 v38, 0xff, v17
	v_bfe_u32 v39, v17, 8, 8
	v_add3_u32 v10, v10, v43, v33
	v_lshrrev_b32_e32 v32, 24, v17
	v_bfe_u32 v40, v17, 16, 8
	v_add3_u32 v10, v10, v38, v39
	s_waitcnt lgkmcnt(0)
	v_and_b32_e32 v36, 0xff, v30
	v_bfe_u32 v37, v30, 8, 8
	v_add3_u32 v10, v10, v40, v32
	v_lshrrev_b32_e32 v29, 24, v30
	v_bfe_u32 v31, v30, 16, 8
	v_add3_u32 v10, v10, v36, v37
	v_add3_u32 v50, v10, v31, v29
	v_mbcnt_lo_u32_b32 v10, -1, 0
	v_mbcnt_hi_u32_b32 v48, -1, v10
	v_and_b32_e32 v10, 15, v48
	v_cmp_eq_u32_e64 s[14:15], 0, v10
	v_cmp_lt_u32_e64 s[12:13], 1, v10
	v_cmp_lt_u32_e64 s[10:11], 3, v10
	;; [unrolled: 1-line block ×3, first 2 shown]
	v_and_b32_e32 v10, 16, v48
	v_cmp_eq_u32_e64 s[6:7], 0, v10
	v_or_b32_e32 v10, 63, v0
	v_cmp_lt_u32_e64 s[2:3], 31, v48
	v_cmp_eq_u32_e64 s[4:5], v10, v0
	s_barrier
	s_cbranch_scc0 .LBB2080_123
; %bb.93:
	v_mov_b32_dpp v10, v50 row_shr:1 row_mask:0xf bank_mask:0xf
	v_cndmask_b32_e64 v10, v10, 0, s[14:15]
	v_add_u32_e32 v10, v10, v50
	s_nop 1
	v_mov_b32_dpp v11, v10 row_shr:2 row_mask:0xf bank_mask:0xf
	v_cndmask_b32_e64 v11, 0, v11, s[12:13]
	v_add_u32_e32 v10, v10, v11
	s_nop 1
	;; [unrolled: 4-line block ×4, first 2 shown]
	v_mov_b32_dpp v11, v10 row_bcast:15 row_mask:0xf bank_mask:0xf
	v_cndmask_b32_e64 v11, v11, 0, s[6:7]
	v_add_u32_e32 v10, v10, v11
	s_nop 1
	v_mov_b32_dpp v11, v10 row_bcast:31 row_mask:0xf bank_mask:0xf
	v_cndmask_b32_e64 v11, 0, v11, s[2:3]
	v_add_u32_e32 v10, v10, v11
	s_and_saveexec_b64 s[16:17], s[4:5]
	s_cbranch_execz .LBB2080_95
; %bb.94:
	v_lshlrev_b32_e32 v11, 2, v49
	ds_write_b32 v11, v10
.LBB2080_95:
	s_or_b64 exec, exec, s[16:17]
	v_cmp_gt_u32_e32 vcc, 4, v0
	s_waitcnt lgkmcnt(0)
	s_barrier
	s_and_saveexec_b64 s[16:17], vcc
	s_cbranch_execz .LBB2080_97
; %bb.96:
	v_lshlrev_b32_e32 v11, 2, v0
	ds_read_b32 v20, v11
	v_and_b32_e32 v21, 3, v48
	v_cmp_ne_u32_e32 vcc, 0, v21
	s_waitcnt lgkmcnt(0)
	v_mov_b32_dpp v22, v20 row_shr:1 row_mask:0xf bank_mask:0xf
	v_cndmask_b32_e32 v22, 0, v22, vcc
	v_add_u32_e32 v20, v22, v20
	v_cmp_lt_u32_e32 vcc, 1, v21
	s_nop 0
	v_mov_b32_dpp v22, v20 row_shr:2 row_mask:0xf bank_mask:0xf
	v_cndmask_b32_e32 v21, 0, v22, vcc
	v_add_u32_e32 v20, v20, v21
	ds_write_b32 v11, v20
.LBB2080_97:
	s_or_b64 exec, exec, s[16:17]
	v_cmp_gt_u32_e32 vcc, 64, v0
	v_cmp_lt_u32_e64 s[16:17], 63, v0
	s_waitcnt lgkmcnt(0)
	s_barrier
	s_waitcnt lgkmcnt(0)
                                        ; implicit-def: $vgpr51
	s_and_saveexec_b64 s[36:37], s[16:17]
	s_cbranch_execz .LBB2080_99
; %bb.98:
	v_lshl_add_u32 v11, v49, 2, -4
	ds_read_b32 v51, v11
	s_waitcnt lgkmcnt(0)
	v_add_u32_e32 v10, v51, v10
.LBB2080_99:
	s_or_b64 exec, exec, s[36:37]
	v_add_u32_e32 v11, -1, v48
	v_and_b32_e32 v20, 64, v48
	v_cmp_lt_i32_e64 s[16:17], v11, v20
	v_cndmask_b32_e64 v11, v11, v48, s[16:17]
	v_lshlrev_b32_e32 v11, 2, v11
	ds_bpermute_b32 v52, v11, v10
	v_cmp_eq_u32_e64 s[16:17], 0, v48
	s_and_saveexec_b64 s[36:37], vcc
	s_cbranch_execz .LBB2080_122
; %bb.100:
	v_mov_b32_e32 v27, 0
	ds_read_b32 v10, v27 offset:12
	s_and_saveexec_b64 s[38:39], s[16:17]
	s_cbranch_execz .LBB2080_102
; %bb.101:
	s_add_i32 s40, s42, 64
	s_mov_b32 s41, 0
	s_lshl_b64 s[40:41], s[40:41], 3
	s_add_u32 s40, s34, s40
	v_mov_b32_e32 v11, 1
	s_addc_u32 s41, s35, s41
	s_waitcnt lgkmcnt(0)
	global_store_dwordx2 v27, v[10:11], s[40:41]
.LBB2080_102:
	s_or_b64 exec, exec, s[38:39]
	v_xad_u32 v20, v48, -1, s42
	v_add_u32_e32 v26, 64, v20
	v_lshlrev_b64 v[22:23], 3, v[26:27]
	v_mov_b32_e32 v11, s35
	v_add_co_u32_e32 v22, vcc, s34, v22
	v_addc_co_u32_e32 v23, vcc, v11, v23, vcc
	global_load_dwordx2 v[24:25], v[22:23], off glc
	s_waitcnt vmcnt(0)
	v_cmp_eq_u16_sdwa s[40:41], v25, v27 src0_sel:BYTE_0 src1_sel:DWORD
	s_and_saveexec_b64 s[38:39], s[40:41]
	s_cbranch_execz .LBB2080_108
; %bb.103:
	s_mov_b32 s29, 1
	s_mov_b64 s[40:41], 0
	v_mov_b32_e32 v11, 0
.LBB2080_104:                           ; =>This Loop Header: Depth=1
                                        ;     Child Loop BB2080_105 Depth 2
	s_max_u32 s43, s29, 1
.LBB2080_105:                           ;   Parent Loop BB2080_104 Depth=1
                                        ; =>  This Inner Loop Header: Depth=2
	s_add_i32 s43, s43, -1
	s_cmp_eq_u32 s43, 0
	s_sleep 1
	s_cbranch_scc0 .LBB2080_105
; %bb.106:                              ;   in Loop: Header=BB2080_104 Depth=1
	global_load_dwordx2 v[24:25], v[22:23], off glc
	s_cmp_lt_u32 s29, 32
	s_cselect_b64 s[44:45], -1, 0
	s_cmp_lg_u64 s[44:45], 0
	s_addc_u32 s29, s29, 0
	s_waitcnt vmcnt(0)
	v_cmp_ne_u16_sdwa s[44:45], v25, v11 src0_sel:BYTE_0 src1_sel:DWORD
	s_or_b64 s[40:41], s[44:45], s[40:41]
	s_andn2_b64 exec, exec, s[40:41]
	s_cbranch_execnz .LBB2080_104
; %bb.107:
	s_or_b64 exec, exec, s[40:41]
.LBB2080_108:
	s_or_b64 exec, exec, s[38:39]
	v_and_b32_e32 v54, 63, v48
	v_mov_b32_e32 v53, 2
	v_cmp_ne_u32_e32 vcc, 63, v54
	v_cmp_eq_u16_sdwa s[38:39], v25, v53 src0_sel:BYTE_0 src1_sel:DWORD
	v_lshlrev_b64 v[22:23], v48, -1
	v_addc_co_u32_e32 v26, vcc, 0, v48, vcc
	v_and_b32_e32 v11, s39, v23
	v_lshlrev_b32_e32 v55, 2, v26
	v_or_b32_e32 v11, 0x80000000, v11
	ds_bpermute_b32 v26, v55, v24
	v_and_b32_e32 v21, s38, v22
	v_ffbl_b32_e32 v11, v11
	v_add_u32_e32 v11, 32, v11
	v_ffbl_b32_e32 v21, v21
	v_min_u32_e32 v11, v21, v11
	v_cmp_lt_u32_e32 vcc, v54, v11
	s_waitcnt lgkmcnt(0)
	v_cndmask_b32_e32 v21, 0, v26, vcc
	v_cmp_gt_u32_e32 vcc, 62, v54
	v_add_u32_e32 v21, v21, v24
	v_cndmask_b32_e64 v24, 0, 1, vcc
	v_lshlrev_b32_e32 v24, 1, v24
	v_add_lshl_u32 v56, v24, v48, 2
	ds_bpermute_b32 v24, v56, v21
	v_add_u32_e32 v57, 2, v54
	v_cmp_le_u32_e32 vcc, v57, v11
	v_add_u32_e32 v59, 4, v54
	v_add_u32_e32 v61, 8, v54
	s_waitcnt lgkmcnt(0)
	v_cndmask_b32_e32 v24, 0, v24, vcc
	v_cmp_gt_u32_e32 vcc, 60, v54
	v_add_u32_e32 v21, v21, v24
	v_cndmask_b32_e64 v24, 0, 1, vcc
	v_lshlrev_b32_e32 v24, 2, v24
	v_add_lshl_u32 v58, v24, v48, 2
	ds_bpermute_b32 v24, v58, v21
	v_cmp_le_u32_e32 vcc, v59, v11
	v_add_u32_e32 v63, 16, v54
	v_add_u32_e32 v65, 32, v54
	s_waitcnt lgkmcnt(0)
	v_cndmask_b32_e32 v24, 0, v24, vcc
	v_cmp_gt_u32_e32 vcc, 56, v54
	v_add_u32_e32 v21, v21, v24
	v_cndmask_b32_e64 v24, 0, 1, vcc
	v_lshlrev_b32_e32 v24, 3, v24
	v_add_lshl_u32 v60, v24, v48, 2
	ds_bpermute_b32 v24, v60, v21
	v_cmp_le_u32_e32 vcc, v61, v11
	s_waitcnt lgkmcnt(0)
	v_cndmask_b32_e32 v24, 0, v24, vcc
	v_cmp_gt_u32_e32 vcc, 48, v54
	v_add_u32_e32 v21, v21, v24
	v_cndmask_b32_e64 v24, 0, 1, vcc
	v_lshlrev_b32_e32 v24, 4, v24
	v_add_lshl_u32 v62, v24, v48, 2
	ds_bpermute_b32 v24, v62, v21
	v_cmp_le_u32_e32 vcc, v63, v11
	;; [unrolled: 9-line block ×3, first 2 shown]
	s_waitcnt lgkmcnt(0)
	v_cndmask_b32_e32 v11, 0, v24, vcc
	v_add_u32_e32 v24, v21, v11
	v_mov_b32_e32 v21, 0
	s_branch .LBB2080_110
.LBB2080_109:                           ;   in Loop: Header=BB2080_110 Depth=1
	s_or_b64 exec, exec, s[38:39]
	v_cmp_eq_u16_sdwa s[38:39], v25, v53 src0_sel:BYTE_0 src1_sel:DWORD
	v_and_b32_e32 v26, s39, v23
	v_or_b32_e32 v26, 0x80000000, v26
	ds_bpermute_b32 v66, v55, v24
	v_and_b32_e32 v27, s38, v22
	v_ffbl_b32_e32 v26, v26
	v_add_u32_e32 v26, 32, v26
	v_ffbl_b32_e32 v27, v27
	v_min_u32_e32 v26, v27, v26
	v_cmp_lt_u32_e32 vcc, v54, v26
	s_waitcnt lgkmcnt(0)
	v_cndmask_b32_e32 v27, 0, v66, vcc
	v_add_u32_e32 v24, v27, v24
	ds_bpermute_b32 v27, v56, v24
	v_cmp_le_u32_e32 vcc, v57, v26
	v_subrev_u32_e32 v20, 64, v20
	s_waitcnt lgkmcnt(0)
	v_cndmask_b32_e32 v27, 0, v27, vcc
	v_add_u32_e32 v24, v24, v27
	ds_bpermute_b32 v27, v58, v24
	v_cmp_le_u32_e32 vcc, v59, v26
	s_waitcnt lgkmcnt(0)
	v_cndmask_b32_e32 v27, 0, v27, vcc
	v_add_u32_e32 v24, v24, v27
	ds_bpermute_b32 v27, v60, v24
	v_cmp_le_u32_e32 vcc, v61, v26
	;; [unrolled: 5-line block ×4, first 2 shown]
	s_waitcnt lgkmcnt(0)
	v_cndmask_b32_e32 v26, 0, v27, vcc
	v_add3_u32 v24, v26, v11, v24
.LBB2080_110:                           ; =>This Loop Header: Depth=1
                                        ;     Child Loop BB2080_113 Depth 2
                                        ;       Child Loop BB2080_114 Depth 3
	v_cmp_ne_u16_sdwa s[38:39], v25, v53 src0_sel:BYTE_0 src1_sel:DWORD
	v_cndmask_b32_e64 v11, 0, 1, s[38:39]
	;;#ASMSTART
	;;#ASMEND
	v_cmp_ne_u32_e32 vcc, 0, v11
	s_cmp_lg_u64 vcc, exec
	v_mov_b32_e32 v11, v24
	s_cbranch_scc1 .LBB2080_117
; %bb.111:                              ;   in Loop: Header=BB2080_110 Depth=1
	v_lshlrev_b64 v[24:25], 3, v[20:21]
	v_mov_b32_e32 v27, s35
	v_add_co_u32_e32 v26, vcc, s34, v24
	v_addc_co_u32_e32 v27, vcc, v27, v25, vcc
	global_load_dwordx2 v[24:25], v[26:27], off glc
	s_waitcnt vmcnt(0)
	v_cmp_eq_u16_sdwa s[40:41], v25, v21 src0_sel:BYTE_0 src1_sel:DWORD
	s_and_saveexec_b64 s[38:39], s[40:41]
	s_cbranch_execz .LBB2080_109
; %bb.112:                              ;   in Loop: Header=BB2080_110 Depth=1
	s_mov_b32 s29, 1
	s_mov_b64 s[40:41], 0
.LBB2080_113:                           ;   Parent Loop BB2080_110 Depth=1
                                        ; =>  This Loop Header: Depth=2
                                        ;       Child Loop BB2080_114 Depth 3
	s_max_u32 s43, s29, 1
.LBB2080_114:                           ;   Parent Loop BB2080_110 Depth=1
                                        ;     Parent Loop BB2080_113 Depth=2
                                        ; =>    This Inner Loop Header: Depth=3
	s_add_i32 s43, s43, -1
	s_cmp_eq_u32 s43, 0
	s_sleep 1
	s_cbranch_scc0 .LBB2080_114
; %bb.115:                              ;   in Loop: Header=BB2080_113 Depth=2
	global_load_dwordx2 v[24:25], v[26:27], off glc
	s_cmp_lt_u32 s29, 32
	s_cselect_b64 s[44:45], -1, 0
	s_cmp_lg_u64 s[44:45], 0
	s_addc_u32 s29, s29, 0
	s_waitcnt vmcnt(0)
	v_cmp_ne_u16_sdwa s[44:45], v25, v21 src0_sel:BYTE_0 src1_sel:DWORD
	s_or_b64 s[40:41], s[44:45], s[40:41]
	s_andn2_b64 exec, exec, s[40:41]
	s_cbranch_execnz .LBB2080_113
; %bb.116:                              ;   in Loop: Header=BB2080_110 Depth=1
	s_or_b64 exec, exec, s[40:41]
	s_branch .LBB2080_109
.LBB2080_117:                           ;   in Loop: Header=BB2080_110 Depth=1
                                        ; implicit-def: $vgpr24
                                        ; implicit-def: $vgpr25
	s_cbranch_execz .LBB2080_110
; %bb.118:
	s_and_saveexec_b64 s[38:39], s[16:17]
	s_cbranch_execz .LBB2080_120
; %bb.119:
	s_add_i32 s40, s42, 64
	s_mov_b32 s41, 0
	s_lshl_b64 s[40:41], s[40:41], 3
	s_add_u32 s40, s34, s40
	v_add_u32_e32 v20, v11, v10
	v_mov_b32_e32 v21, 2
	s_addc_u32 s41, s35, s41
	v_mov_b32_e32 v22, 0
	global_store_dwordx2 v22, v[20:21], s[40:41]
	ds_write_b64 v22, v[10:11] offset:10240
.LBB2080_120:
	s_or_b64 exec, exec, s[38:39]
	s_and_b64 exec, exec, s[0:1]
	s_cbranch_execz .LBB2080_122
; %bb.121:
	v_mov_b32_e32 v10, 0
	ds_write_b32 v10, v11 offset:12
.LBB2080_122:
	s_or_b64 exec, exec, s[36:37]
	v_mov_b32_e32 v10, 0
	s_waitcnt lgkmcnt(0)
	s_barrier
	ds_read_b32 v20, v10 offset:12
	s_waitcnt lgkmcnt(0)
	s_barrier
	ds_read_b64 v[10:11], v10 offset:10240
	v_cndmask_b32_e64 v21, v52, v51, s[16:17]
	v_cndmask_b32_e64 v21, v21, 0, s[0:1]
	v_add_u32_e32 v24, v20, v21
	s_branch .LBB2080_133
.LBB2080_123:
                                        ; implicit-def: $vgpr11
                                        ; implicit-def: $vgpr24
	s_cbranch_execz .LBB2080_133
; %bb.124:
	s_waitcnt lgkmcnt(0)
	v_mov_b32_dpp v10, v50 row_shr:1 row_mask:0xf bank_mask:0xf
	v_cndmask_b32_e64 v10, v10, 0, s[14:15]
	v_add_u32_e32 v10, v10, v50
	s_nop 1
	v_mov_b32_dpp v11, v10 row_shr:2 row_mask:0xf bank_mask:0xf
	v_cndmask_b32_e64 v11, 0, v11, s[12:13]
	v_add_u32_e32 v10, v10, v11
	s_nop 1
	;; [unrolled: 4-line block ×4, first 2 shown]
	v_mov_b32_dpp v11, v10 row_bcast:15 row_mask:0xf bank_mask:0xf
	v_cndmask_b32_e64 v11, v11, 0, s[6:7]
	v_add_u32_e32 v10, v10, v11
	s_nop 1
	v_mov_b32_dpp v11, v10 row_bcast:31 row_mask:0xf bank_mask:0xf
	v_cndmask_b32_e64 v11, 0, v11, s[2:3]
	v_add_u32_e32 v10, v10, v11
	s_and_saveexec_b64 s[2:3], s[4:5]
	s_cbranch_execz .LBB2080_126
; %bb.125:
	v_lshlrev_b32_e32 v11, 2, v49
	ds_write_b32 v11, v10
.LBB2080_126:
	s_or_b64 exec, exec, s[2:3]
	v_cmp_gt_u32_e32 vcc, 4, v0
	s_waitcnt lgkmcnt(0)
	s_barrier
	s_and_saveexec_b64 s[2:3], vcc
	s_cbranch_execz .LBB2080_128
; %bb.127:
	v_lshlrev_b32_e32 v11, 2, v0
	ds_read_b32 v20, v11
	v_and_b32_e32 v21, 3, v48
	v_cmp_ne_u32_e32 vcc, 0, v21
	s_waitcnt lgkmcnt(0)
	v_mov_b32_dpp v22, v20 row_shr:1 row_mask:0xf bank_mask:0xf
	v_cndmask_b32_e32 v22, 0, v22, vcc
	v_add_u32_e32 v20, v22, v20
	v_cmp_lt_u32_e32 vcc, 1, v21
	s_nop 0
	v_mov_b32_dpp v22, v20 row_shr:2 row_mask:0xf bank_mask:0xf
	v_cndmask_b32_e32 v21, 0, v22, vcc
	v_add_u32_e32 v20, v20, v21
	ds_write_b32 v11, v20
.LBB2080_128:
	s_or_b64 exec, exec, s[2:3]
	v_cmp_lt_u32_e32 vcc, 63, v0
	v_mov_b32_e32 v11, 0
	v_mov_b32_e32 v20, 0
	s_waitcnt lgkmcnt(0)
	s_barrier
	s_and_saveexec_b64 s[2:3], vcc
	s_cbranch_execz .LBB2080_130
; %bb.129:
	v_lshl_add_u32 v20, v49, 2, -4
	ds_read_b32 v20, v20
.LBB2080_130:
	s_or_b64 exec, exec, s[2:3]
	v_add_u32_e32 v21, -1, v48
	v_and_b32_e32 v22, 64, v48
	v_cmp_lt_i32_e32 vcc, v21, v22
	v_cndmask_b32_e32 v21, v21, v48, vcc
	s_waitcnt lgkmcnt(0)
	v_add_u32_e32 v10, v20, v10
	v_lshlrev_b32_e32 v21, 2, v21
	ds_bpermute_b32 v21, v21, v10
	ds_read_b32 v10, v11 offset:12
	s_and_saveexec_b64 s[2:3], s[0:1]
	s_cbranch_execz .LBB2080_132
; %bb.131:
	v_mov_b32_e32 v22, 0
	v_mov_b32_e32 v11, 2
	s_waitcnt lgkmcnt(0)
	global_store_dwordx2 v22, v[10:11], s[34:35] offset:512
.LBB2080_132:
	s_or_b64 exec, exec, s[2:3]
	v_cmp_eq_u32_e32 vcc, 0, v48
	s_waitcnt lgkmcnt(1)
	v_cndmask_b32_e32 v20, v21, v20, vcc
	v_mov_b32_e32 v11, 0
	v_cndmask_b32_e64 v24, v20, 0, s[0:1]
	s_waitcnt lgkmcnt(0)
	s_barrier
.LBB2080_133:
	v_add_u32_sdwa v26, v24, v18 dst_sel:DWORD dst_unused:UNUSED_PAD src0_sel:DWORD src1_sel:BYTE_0
	s_waitcnt lgkmcnt(0)
	v_add_u32_e32 v28, v10, v28
	v_sub_u32_e32 v24, v24, v11
	v_and_b32_e32 v53, 1, v18
	v_sub_u32_e32 v52, v28, v24
	v_cmp_eq_u32_e32 vcc, 1, v53
	v_cndmask_b32_e32 v24, v52, v24, vcc
	v_lshlrev_b32_e32 v24, 1, v24
	v_lshrrev_b32_e32 v25, 8, v18
	ds_write_b16 v24, v6
	v_sub_u32_e32 v24, v26, v11
	v_add_u32_sdwa v27, v26, v18 dst_sel:DWORD dst_unused:UNUSED_PAD src0_sel:DWORD src1_sel:BYTE_1
	v_sub_u32_e32 v26, v28, v24
	v_and_b32_e32 v25, 1, v25
	v_add_u32_e32 v26, 1, v26
	v_cmp_eq_u32_e32 vcc, 1, v25
	v_cndmask_b32_e32 v24, v26, v24, vcc
	v_lshlrev_b32_e32 v24, 1, v24
	ds_write_b16_d16_hi v24, v6
	v_sub_u32_e32 v6, v27, v11
	v_mov_b32_e32 v25, 1
	v_sub_u32_e32 v24, v28, v6
	v_and_b32_sdwa v18, v25, v18 dst_sel:DWORD dst_unused:UNUSED_PAD src0_sel:DWORD src1_sel:WORD_1
	v_add_u32_e32 v24, 2, v24
	v_cmp_eq_u32_e32 vcc, 1, v18
	v_cndmask_b32_e32 v6, v24, v6, vcc
	v_add_u32_e32 v47, v27, v47
	v_lshlrev_b32_e32 v6, 1, v6
	ds_write_b16 v6, v7
	v_sub_u32_e32 v6, v47, v11
	v_sub_u32_e32 v18, v28, v6
	v_and_b32_e32 v24, 1, v35
	v_add_u32_e32 v18, 3, v18
	v_cmp_eq_u32_e32 vcc, 1, v24
	v_cndmask_b32_e32 v6, v18, v6, vcc
	v_add_u32_e32 v48, v47, v35
	v_lshlrev_b32_e32 v6, 1, v6
	ds_write_b16_d16_hi v6, v7
	v_sub_u32_e32 v6, v48, v11
	v_sub_u32_e32 v7, v28, v6
	v_and_b32_e32 v18, 1, v19
	v_add_u32_e32 v7, 4, v7
	v_cmp_eq_u32_e32 vcc, 1, v18
	v_cndmask_b32_e32 v6, v7, v6, vcc
	v_add_u32_e32 v44, v48, v44
	v_lshlrev_b32_e32 v6, 1, v6
	v_lshrrev_b32_e32 v23, 8, v19
	ds_write_b16 v6, v8
	v_sub_u32_e32 v6, v44, v11
	v_sub_u32_e32 v7, v28, v6
	v_and_b32_e32 v18, 1, v23
	v_add_u32_e32 v7, 5, v7
	v_cmp_eq_u32_e32 vcc, 1, v18
	v_cndmask_b32_e32 v6, v7, v6, vcc
	v_add_u32_e32 v45, v44, v45
	v_lshlrev_b32_e32 v6, 1, v6
	ds_write_b16_d16_hi v6, v8
	v_sub_u32_e32 v6, v45, v11
	v_sub_u32_e32 v7, v28, v6
	v_and_b32_sdwa v8, v25, v19 dst_sel:DWORD dst_unused:UNUSED_PAD src0_sel:DWORD src1_sel:WORD_1
	v_add_u32_e32 v7, 6, v7
	v_cmp_eq_u32_e32 vcc, 1, v8
	v_cndmask_b32_e32 v6, v7, v6, vcc
	v_add_u32_e32 v46, v45, v46
	v_lshlrev_b32_e32 v6, 1, v6
	ds_write_b16 v6, v9
	v_sub_u32_e32 v6, v46, v11
	v_sub_u32_e32 v7, v28, v6
	v_and_b32_e32 v8, 1, v34
	v_add_u32_e32 v7, 7, v7
	v_cmp_eq_u32_e32 vcc, 1, v8
	v_cndmask_b32_e32 v6, v7, v6, vcc
	v_add_u32_e32 v49, v46, v34
	v_lshlrev_b32_e32 v6, 1, v6
	ds_write_b16_d16_hi v6, v9
	v_sub_u32_e32 v6, v49, v11
	v_sub_u32_e32 v7, v28, v6
	v_and_b32_e32 v8, 1, v16
	v_add_u32_e32 v7, 8, v7
	v_cmp_eq_u32_e32 vcc, 1, v8
	v_cndmask_b32_e32 v6, v7, v6, vcc
	v_add_u32_e32 v41, v49, v41
	v_lshlrev_b32_e32 v6, 1, v6
	v_lshrrev_b32_e32 v22, 8, v16
	ds_write_b16 v6, v2
	v_sub_u32_e32 v6, v41, v11
	v_sub_u32_e32 v7, v28, v6
	v_and_b32_e32 v8, 1, v22
	v_add_u32_e32 v7, 9, v7
	v_cmp_eq_u32_e32 vcc, 1, v8
	v_cndmask_b32_e32 v6, v7, v6, vcc
	v_add_u32_e32 v42, v41, v42
	v_lshlrev_b32_e32 v6, 1, v6
	ds_write_b16_d16_hi v6, v2
	v_sub_u32_e32 v2, v42, v11
	;; [unrolled: 37-line block ×4, first 2 shown]
	v_sub_u32_e32 v3, v28, v2
	v_and_b32_sdwa v4, v25, v30 dst_sel:DWORD dst_unused:UNUSED_PAD src0_sel:DWORD src1_sel:WORD_1
	v_add_u32_e32 v3, 18, v3
	v_cmp_eq_u32_e32 vcc, 1, v4
	v_cndmask_b32_e32 v2, v3, v2, vcc
	v_lshlrev_b32_e32 v2, 1, v2
	ds_write_b16 v2, v15
	v_sub_u32_e32 v2, v31, v11
	v_add_u32_e32 v2, v37, v2
	v_sub_u32_e32 v3, v28, v2
	v_and_b32_e32 v4, 1, v29
	v_add_u32_e32 v3, 19, v3
	v_cmp_eq_u32_e32 vcc, 1, v4
	v_cndmask_b32_e32 v2, v3, v2, vcc
	v_lshlrev_b32_e32 v2, 1, v2
	ds_write_b16_d16_hi v2, v15
	s_waitcnt lgkmcnt(0)
	s_barrier
	ds_read_u16 v49, v1
	ds_read_u16 v47, v1 offset:512
	ds_read_u16 v45, v1 offset:1024
	;; [unrolled: 1-line block ×19, first 2 shown]
	s_add_u32 s2, s18, s28
	s_addc_u32 s3, s19, 0
	s_waitcnt vmcnt(0)
	v_add_co_u32_e32 v1, vcc, v12, v11
	s_sub_u32 s2, s26, s2
	v_addc_co_u32_e32 v4, vcc, 0, v13, vcc
	s_subb_u32 s3, s27, s3
	v_mov_b32_e32 v2, s3
	v_add_co_u32_e32 v3, vcc, s2, v10
	v_addc_co_u32_e32 v2, vcc, 0, v2, vcc
	v_add_co_u32_e64 v7, s[2:3], v3, v1
	v_or_b32_e32 v48, 0x100, v0
	v_or_b32_e32 v46, 0x200, v0
	v_or_b32_e32 v44, 0x300, v0
	v_or_b32_e32 v42, 0x400, v0
	v_or_b32_e32 v40, 0x500, v0
	v_or_b32_e32 v38, 0x600, v0
	v_or_b32_e32 v36, 0x700, v0
	v_or_b32_e32 v34, 0x800, v0
	v_or_b32_e32 v32, 0x900, v0
	v_or_b32_e32 v30, 0xa00, v0
	v_or_b32_e32 v28, 0xb00, v0
	v_or_b32_e32 v26, 0xc00, v0
	v_or_b32_e32 v24, 0xd00, v0
	v_or_b32_e32 v22, 0xe00, v0
	v_or_b32_e32 v20, 0xf00, v0
	v_or_b32_e32 v18, 0x1000, v0
	v_or_b32_e32 v16, 0x1100, v0
	v_or_b32_e32 v14, 0x1200, v0
	v_or_b32_e32 v6, 0x1300, v0
	s_andn2_b64 vcc, exec, s[30:31]
	v_addc_co_u32_e64 v8, s[2:3], v2, v4, s[2:3]
	s_cbranch_vccnz .LBB2080_218
; %bb.134:
	v_cmp_ge_u32_e32 vcc, v0, v10
                                        ; implicit-def: $vgpr2_vgpr3
	s_and_saveexec_b64 s[2:3], vcc
	s_xor_b64 s[2:3], exec, s[2:3]
; %bb.135:
	v_not_b32_e32 v2, v0
	v_ashrrev_i32_e32 v3, 31, v2
	v_add_co_u32_e32 v2, vcc, v7, v2
	v_addc_co_u32_e32 v3, vcc, v8, v3, vcc
; %bb.136:
	s_andn2_saveexec_b64 s[2:3], s[2:3]
; %bb.137:
	v_add_co_u32_e32 v2, vcc, v1, v0
	v_addc_co_u32_e32 v3, vcc, 0, v4, vcc
; %bb.138:
	s_or_b64 exec, exec, s[2:3]
	v_lshlrev_b64 v[2:3], 1, v[2:3]
	v_mov_b32_e32 v11, s25
	v_add_co_u32_e32 v2, vcc, s24, v2
	v_addc_co_u32_e32 v3, vcc, v11, v3, vcc
	v_cmp_ge_u32_e32 vcc, v48, v10
	s_waitcnt lgkmcnt(14)
	global_store_short v[2:3], v49, off
                                        ; implicit-def: $vgpr2_vgpr3
	s_and_saveexec_b64 s[2:3], vcc
	s_xor_b64 s[2:3], exec, s[2:3]
; %bb.139:
	v_xor_b32_e32 v2, 0xfffffeff, v0
	v_ashrrev_i32_e32 v3, 31, v2
	v_add_co_u32_e32 v2, vcc, v7, v2
	v_addc_co_u32_e32 v3, vcc, v8, v3, vcc
; %bb.140:
	s_andn2_saveexec_b64 s[2:3], s[2:3]
; %bb.141:
	v_add_co_u32_e32 v2, vcc, v1, v48
	v_addc_co_u32_e32 v3, vcc, 0, v4, vcc
; %bb.142:
	s_or_b64 exec, exec, s[2:3]
	v_lshlrev_b64 v[2:3], 1, v[2:3]
	v_mov_b32_e32 v11, s25
	v_add_co_u32_e32 v2, vcc, s24, v2
	v_addc_co_u32_e32 v3, vcc, v11, v3, vcc
	v_cmp_ge_u32_e32 vcc, v46, v10
	global_store_short v[2:3], v47, off
                                        ; implicit-def: $vgpr2_vgpr3
	s_and_saveexec_b64 s[2:3], vcc
	s_xor_b64 s[2:3], exec, s[2:3]
; %bb.143:
	v_xor_b32_e32 v2, 0xfffffdff, v0
	v_ashrrev_i32_e32 v3, 31, v2
	v_add_co_u32_e32 v2, vcc, v7, v2
	v_addc_co_u32_e32 v3, vcc, v8, v3, vcc
; %bb.144:
	s_andn2_saveexec_b64 s[2:3], s[2:3]
; %bb.145:
	v_add_co_u32_e32 v2, vcc, v1, v46
	v_addc_co_u32_e32 v3, vcc, 0, v4, vcc
; %bb.146:
	s_or_b64 exec, exec, s[2:3]
	v_lshlrev_b64 v[2:3], 1, v[2:3]
	v_mov_b32_e32 v11, s25
	v_add_co_u32_e32 v2, vcc, s24, v2
	v_addc_co_u32_e32 v3, vcc, v11, v3, vcc
	v_cmp_ge_u32_e32 vcc, v44, v10
	;; [unrolled: 21-line block ×6, first 2 shown]
	s_waitcnt lgkmcnt(13)
	global_store_short v[2:3], v37, off
                                        ; implicit-def: $vgpr2_vgpr3
	s_and_saveexec_b64 s[2:3], vcc
	s_xor_b64 s[2:3], exec, s[2:3]
; %bb.163:
	v_xor_b32_e32 v2, 0xfffff8ff, v0
	v_ashrrev_i32_e32 v3, 31, v2
	v_add_co_u32_e32 v2, vcc, v7, v2
	v_addc_co_u32_e32 v3, vcc, v8, v3, vcc
; %bb.164:
	s_andn2_saveexec_b64 s[2:3], s[2:3]
; %bb.165:
	v_add_co_u32_e32 v2, vcc, v1, v36
	v_addc_co_u32_e32 v3, vcc, 0, v4, vcc
; %bb.166:
	s_or_b64 exec, exec, s[2:3]
	v_lshlrev_b64 v[2:3], 1, v[2:3]
	v_mov_b32_e32 v11, s25
	v_add_co_u32_e32 v2, vcc, s24, v2
	v_addc_co_u32_e32 v3, vcc, v11, v3, vcc
	v_cmp_ge_u32_e32 vcc, v34, v10
	s_waitcnt lgkmcnt(12)
	global_store_short v[2:3], v35, off
                                        ; implicit-def: $vgpr2_vgpr3
	s_and_saveexec_b64 s[2:3], vcc
	s_xor_b64 s[2:3], exec, s[2:3]
; %bb.167:
	v_xor_b32_e32 v2, 0xfffff7ff, v0
	v_ashrrev_i32_e32 v3, 31, v2
	v_add_co_u32_e32 v2, vcc, v7, v2
	v_addc_co_u32_e32 v3, vcc, v8, v3, vcc
; %bb.168:
	s_andn2_saveexec_b64 s[2:3], s[2:3]
; %bb.169:
	v_add_co_u32_e32 v2, vcc, v1, v34
	v_addc_co_u32_e32 v3, vcc, 0, v4, vcc
; %bb.170:
	s_or_b64 exec, exec, s[2:3]
	v_lshlrev_b64 v[2:3], 1, v[2:3]
	v_mov_b32_e32 v11, s25
	v_add_co_u32_e32 v2, vcc, s24, v2
	v_addc_co_u32_e32 v3, vcc, v11, v3, vcc
	v_cmp_ge_u32_e32 vcc, v32, v10
	;; [unrolled: 22-line block ×12, first 2 shown]
	s_waitcnt lgkmcnt(1)
	global_store_short v[2:3], v9, off
                                        ; implicit-def: $vgpr2_vgpr3
	s_and_saveexec_b64 s[2:3], vcc
	s_xor_b64 s[2:3], exec, s[2:3]
; %bb.211:
	v_xor_b32_e32 v2, 0xffffecff, v0
	v_ashrrev_i32_e32 v3, 31, v2
	v_add_co_u32_e32 v2, vcc, v7, v2
	v_addc_co_u32_e32 v3, vcc, v8, v3, vcc
; %bb.212:
	s_andn2_saveexec_b64 s[2:3], s[2:3]
; %bb.213:
	v_add_co_u32_e32 v2, vcc, v1, v6
	v_addc_co_u32_e32 v3, vcc, 0, v4, vcc
; %bb.214:
	s_or_b64 exec, exec, s[2:3]
	s_mov_b64 s[2:3], -1
.LBB2080_215:
	s_and_saveexec_b64 s[4:5], s[2:3]
	s_cbranch_execz .LBB2080_276
.LBB2080_216:
	v_lshlrev_b64 v[2:3], 1, v[2:3]
	v_mov_b32_e32 v0, s25
	v_add_co_u32_e32 v2, vcc, s24, v2
	v_addc_co_u32_e32 v3, vcc, v0, v3, vcc
	s_waitcnt lgkmcnt(0)
	global_store_short v[2:3], v5, off
	s_or_b64 exec, exec, s[4:5]
	s_and_b64 s[0:1], s[0:1], s[22:23]
	s_and_saveexec_b64 s[2:3], s[0:1]
	s_cbranch_execnz .LBB2080_277
.LBB2080_217:
	s_endpgm
.LBB2080_218:
	s_mov_b64 s[2:3], 0
                                        ; implicit-def: $vgpr2_vgpr3
	s_cbranch_execz .LBB2080_215
; %bb.219:
	v_cmp_gt_u32_e32 vcc, s33, v0
	s_and_saveexec_b64 s[4:5], vcc
	s_cbranch_execz .LBB2080_278
; %bb.220:
	v_cmp_ge_u32_e32 vcc, v0, v10
                                        ; implicit-def: $vgpr2_vgpr3
	s_and_saveexec_b64 s[6:7], vcc
	s_xor_b64 s[6:7], exec, s[6:7]
; %bb.221:
	v_not_b32_e32 v2, v0
	v_ashrrev_i32_e32 v3, 31, v2
	v_add_co_u32_e32 v2, vcc, v7, v2
	v_addc_co_u32_e32 v3, vcc, v8, v3, vcc
; %bb.222:
	s_andn2_saveexec_b64 s[6:7], s[6:7]
; %bb.223:
	v_add_co_u32_e32 v2, vcc, v1, v0
	v_addc_co_u32_e32 v3, vcc, 0, v4, vcc
; %bb.224:
	s_or_b64 exec, exec, s[6:7]
	v_lshlrev_b64 v[2:3], 1, v[2:3]
	v_mov_b32_e32 v11, s25
	v_add_co_u32_e32 v2, vcc, s24, v2
	v_addc_co_u32_e32 v3, vcc, v11, v3, vcc
	s_waitcnt lgkmcnt(14)
	global_store_short v[2:3], v49, off
	s_or_b64 exec, exec, s[4:5]
	v_cmp_gt_u32_e32 vcc, s33, v48
	s_and_saveexec_b64 s[4:5], vcc
	s_cbranch_execnz .LBB2080_279
.LBB2080_225:
	s_or_b64 exec, exec, s[4:5]
	v_cmp_gt_u32_e32 vcc, s33, v46
	s_and_saveexec_b64 s[4:5], vcc
	s_cbranch_execz .LBB2080_284
.LBB2080_226:
	v_cmp_ge_u32_e32 vcc, v46, v10
                                        ; implicit-def: $vgpr2_vgpr3
	s_and_saveexec_b64 s[6:7], vcc
	s_xor_b64 s[6:7], exec, s[6:7]
; %bb.227:
	v_xor_b32_e32 v2, 0xfffffdff, v0
	v_ashrrev_i32_e32 v3, 31, v2
	v_add_co_u32_e32 v2, vcc, v7, v2
	v_addc_co_u32_e32 v3, vcc, v8, v3, vcc
                                        ; implicit-def: $vgpr46
; %bb.228:
	s_andn2_saveexec_b64 s[6:7], s[6:7]
; %bb.229:
	v_add_co_u32_e32 v2, vcc, v1, v46
	v_addc_co_u32_e32 v3, vcc, 0, v4, vcc
; %bb.230:
	s_or_b64 exec, exec, s[6:7]
	v_lshlrev_b64 v[2:3], 1, v[2:3]
	v_mov_b32_e32 v11, s25
	v_add_co_u32_e32 v2, vcc, s24, v2
	v_addc_co_u32_e32 v3, vcc, v11, v3, vcc
	s_waitcnt lgkmcnt(14)
	global_store_short v[2:3], v45, off
	s_or_b64 exec, exec, s[4:5]
	v_cmp_gt_u32_e32 vcc, s33, v44
	s_and_saveexec_b64 s[4:5], vcc
	s_cbranch_execnz .LBB2080_285
.LBB2080_231:
	s_or_b64 exec, exec, s[4:5]
	v_cmp_gt_u32_e32 vcc, s33, v42
	s_and_saveexec_b64 s[4:5], vcc
	s_cbranch_execz .LBB2080_290
.LBB2080_232:
	v_cmp_ge_u32_e32 vcc, v42, v10
                                        ; implicit-def: $vgpr2_vgpr3
	s_and_saveexec_b64 s[6:7], vcc
	s_xor_b64 s[6:7], exec, s[6:7]
; %bb.233:
	v_xor_b32_e32 v2, 0xfffffbff, v0
	v_ashrrev_i32_e32 v3, 31, v2
	v_add_co_u32_e32 v2, vcc, v7, v2
	v_addc_co_u32_e32 v3, vcc, v8, v3, vcc
                                        ; implicit-def: $vgpr42
; %bb.234:
	s_andn2_saveexec_b64 s[6:7], s[6:7]
; %bb.235:
	v_add_co_u32_e32 v2, vcc, v1, v42
	v_addc_co_u32_e32 v3, vcc, 0, v4, vcc
; %bb.236:
	s_or_b64 exec, exec, s[6:7]
	v_lshlrev_b64 v[2:3], 1, v[2:3]
	v_mov_b32_e32 v11, s25
	v_add_co_u32_e32 v2, vcc, s24, v2
	v_addc_co_u32_e32 v3, vcc, v11, v3, vcc
	s_waitcnt lgkmcnt(14)
	global_store_short v[2:3], v41, off
	s_or_b64 exec, exec, s[4:5]
	v_cmp_gt_u32_e32 vcc, s33, v40
	s_and_saveexec_b64 s[4:5], vcc
	s_cbranch_execnz .LBB2080_291
.LBB2080_237:
	s_or_b64 exec, exec, s[4:5]
	v_cmp_gt_u32_e32 vcc, s33, v38
	s_and_saveexec_b64 s[4:5], vcc
	s_cbranch_execz .LBB2080_296
.LBB2080_238:
	v_cmp_ge_u32_e32 vcc, v38, v10
                                        ; implicit-def: $vgpr2_vgpr3
	s_and_saveexec_b64 s[6:7], vcc
	s_xor_b64 s[6:7], exec, s[6:7]
; %bb.239:
	v_xor_b32_e32 v2, 0xfffff9ff, v0
	v_ashrrev_i32_e32 v3, 31, v2
	v_add_co_u32_e32 v2, vcc, v7, v2
	v_addc_co_u32_e32 v3, vcc, v8, v3, vcc
                                        ; implicit-def: $vgpr38
; %bb.240:
	s_andn2_saveexec_b64 s[6:7], s[6:7]
; %bb.241:
	v_add_co_u32_e32 v2, vcc, v1, v38
	v_addc_co_u32_e32 v3, vcc, 0, v4, vcc
; %bb.242:
	s_or_b64 exec, exec, s[6:7]
	v_lshlrev_b64 v[2:3], 1, v[2:3]
	v_mov_b32_e32 v11, s25
	v_add_co_u32_e32 v2, vcc, s24, v2
	v_addc_co_u32_e32 v3, vcc, v11, v3, vcc
	s_waitcnt lgkmcnt(13)
	global_store_short v[2:3], v37, off
	s_or_b64 exec, exec, s[4:5]
	v_cmp_gt_u32_e32 vcc, s33, v36
	s_and_saveexec_b64 s[4:5], vcc
	s_cbranch_execnz .LBB2080_297
.LBB2080_243:
	s_or_b64 exec, exec, s[4:5]
	v_cmp_gt_u32_e32 vcc, s33, v34
	s_and_saveexec_b64 s[4:5], vcc
	s_cbranch_execz .LBB2080_302
.LBB2080_244:
	v_cmp_ge_u32_e32 vcc, v34, v10
                                        ; implicit-def: $vgpr2_vgpr3
	s_and_saveexec_b64 s[6:7], vcc
	s_xor_b64 s[6:7], exec, s[6:7]
; %bb.245:
	v_xor_b32_e32 v2, 0xfffff7ff, v0
	v_ashrrev_i32_e32 v3, 31, v2
	v_add_co_u32_e32 v2, vcc, v7, v2
	v_addc_co_u32_e32 v3, vcc, v8, v3, vcc
                                        ; implicit-def: $vgpr34
; %bb.246:
	s_andn2_saveexec_b64 s[6:7], s[6:7]
; %bb.247:
	v_add_co_u32_e32 v2, vcc, v1, v34
	v_addc_co_u32_e32 v3, vcc, 0, v4, vcc
; %bb.248:
	s_or_b64 exec, exec, s[6:7]
	v_lshlrev_b64 v[2:3], 1, v[2:3]
	v_mov_b32_e32 v11, s25
	v_add_co_u32_e32 v2, vcc, s24, v2
	v_addc_co_u32_e32 v3, vcc, v11, v3, vcc
	s_waitcnt lgkmcnt(11)
	global_store_short v[2:3], v33, off
	s_or_b64 exec, exec, s[4:5]
	v_cmp_gt_u32_e32 vcc, s33, v32
	s_and_saveexec_b64 s[4:5], vcc
	s_cbranch_execnz .LBB2080_303
.LBB2080_249:
	s_or_b64 exec, exec, s[4:5]
	v_cmp_gt_u32_e32 vcc, s33, v30
	s_and_saveexec_b64 s[4:5], vcc
	s_cbranch_execz .LBB2080_308
.LBB2080_250:
	v_cmp_ge_u32_e32 vcc, v30, v10
                                        ; implicit-def: $vgpr2_vgpr3
	s_and_saveexec_b64 s[6:7], vcc
	s_xor_b64 s[6:7], exec, s[6:7]
; %bb.251:
	v_xor_b32_e32 v2, 0xfffff5ff, v0
	v_ashrrev_i32_e32 v3, 31, v2
	v_add_co_u32_e32 v2, vcc, v7, v2
	v_addc_co_u32_e32 v3, vcc, v8, v3, vcc
                                        ; implicit-def: $vgpr30
; %bb.252:
	s_andn2_saveexec_b64 s[6:7], s[6:7]
; %bb.253:
	v_add_co_u32_e32 v2, vcc, v1, v30
	v_addc_co_u32_e32 v3, vcc, 0, v4, vcc
; %bb.254:
	s_or_b64 exec, exec, s[6:7]
	v_lshlrev_b64 v[2:3], 1, v[2:3]
	v_mov_b32_e32 v11, s25
	v_add_co_u32_e32 v2, vcc, s24, v2
	v_addc_co_u32_e32 v3, vcc, v11, v3, vcc
	s_waitcnt lgkmcnt(9)
	global_store_short v[2:3], v29, off
	s_or_b64 exec, exec, s[4:5]
	v_cmp_gt_u32_e32 vcc, s33, v28
	s_and_saveexec_b64 s[4:5], vcc
	s_cbranch_execnz .LBB2080_309
.LBB2080_255:
	s_or_b64 exec, exec, s[4:5]
	v_cmp_gt_u32_e32 vcc, s33, v26
	s_and_saveexec_b64 s[4:5], vcc
	s_cbranch_execz .LBB2080_314
.LBB2080_256:
	v_cmp_ge_u32_e32 vcc, v26, v10
                                        ; implicit-def: $vgpr2_vgpr3
	s_and_saveexec_b64 s[6:7], vcc
	s_xor_b64 s[6:7], exec, s[6:7]
; %bb.257:
	v_xor_b32_e32 v2, 0xfffff3ff, v0
	v_ashrrev_i32_e32 v3, 31, v2
	v_add_co_u32_e32 v2, vcc, v7, v2
	v_addc_co_u32_e32 v3, vcc, v8, v3, vcc
                                        ; implicit-def: $vgpr26
; %bb.258:
	s_andn2_saveexec_b64 s[6:7], s[6:7]
; %bb.259:
	v_add_co_u32_e32 v2, vcc, v1, v26
	v_addc_co_u32_e32 v3, vcc, 0, v4, vcc
; %bb.260:
	s_or_b64 exec, exec, s[6:7]
	v_lshlrev_b64 v[2:3], 1, v[2:3]
	v_mov_b32_e32 v11, s25
	v_add_co_u32_e32 v2, vcc, s24, v2
	v_addc_co_u32_e32 v3, vcc, v11, v3, vcc
	s_waitcnt lgkmcnt(7)
	global_store_short v[2:3], v25, off
	s_or_b64 exec, exec, s[4:5]
	v_cmp_gt_u32_e32 vcc, s33, v24
	s_and_saveexec_b64 s[4:5], vcc
	s_cbranch_execnz .LBB2080_315
.LBB2080_261:
	s_or_b64 exec, exec, s[4:5]
	v_cmp_gt_u32_e32 vcc, s33, v22
	s_and_saveexec_b64 s[4:5], vcc
	s_cbranch_execz .LBB2080_320
.LBB2080_262:
	v_cmp_ge_u32_e32 vcc, v22, v10
                                        ; implicit-def: $vgpr2_vgpr3
	s_and_saveexec_b64 s[6:7], vcc
	s_xor_b64 s[6:7], exec, s[6:7]
; %bb.263:
	v_xor_b32_e32 v2, 0xfffff1ff, v0
	v_ashrrev_i32_e32 v3, 31, v2
	v_add_co_u32_e32 v2, vcc, v7, v2
	v_addc_co_u32_e32 v3, vcc, v8, v3, vcc
                                        ; implicit-def: $vgpr22
; %bb.264:
	s_andn2_saveexec_b64 s[6:7], s[6:7]
; %bb.265:
	v_add_co_u32_e32 v2, vcc, v1, v22
	v_addc_co_u32_e32 v3, vcc, 0, v4, vcc
; %bb.266:
	s_or_b64 exec, exec, s[6:7]
	v_lshlrev_b64 v[2:3], 1, v[2:3]
	v_mov_b32_e32 v11, s25
	v_add_co_u32_e32 v2, vcc, s24, v2
	v_addc_co_u32_e32 v3, vcc, v11, v3, vcc
	s_waitcnt lgkmcnt(5)
	global_store_short v[2:3], v21, off
	s_or_b64 exec, exec, s[4:5]
	v_cmp_gt_u32_e32 vcc, s33, v20
	s_and_saveexec_b64 s[4:5], vcc
	s_cbranch_execnz .LBB2080_321
.LBB2080_267:
	s_or_b64 exec, exec, s[4:5]
	v_cmp_gt_u32_e32 vcc, s33, v18
	s_and_saveexec_b64 s[4:5], vcc
	s_cbranch_execz .LBB2080_326
.LBB2080_268:
	v_cmp_ge_u32_e32 vcc, v18, v10
                                        ; implicit-def: $vgpr2_vgpr3
	s_and_saveexec_b64 s[6:7], vcc
	s_xor_b64 s[6:7], exec, s[6:7]
; %bb.269:
	v_xor_b32_e32 v2, 0xffffefff, v0
	v_ashrrev_i32_e32 v3, 31, v2
	v_add_co_u32_e32 v2, vcc, v7, v2
	v_addc_co_u32_e32 v3, vcc, v8, v3, vcc
                                        ; implicit-def: $vgpr18
; %bb.270:
	s_andn2_saveexec_b64 s[6:7], s[6:7]
; %bb.271:
	v_add_co_u32_e32 v2, vcc, v1, v18
	v_addc_co_u32_e32 v3, vcc, 0, v4, vcc
; %bb.272:
	s_or_b64 exec, exec, s[6:7]
	v_lshlrev_b64 v[2:3], 1, v[2:3]
	v_mov_b32_e32 v11, s25
	v_add_co_u32_e32 v2, vcc, s24, v2
	v_addc_co_u32_e32 v3, vcc, v11, v3, vcc
	s_waitcnt lgkmcnt(3)
	global_store_short v[2:3], v17, off
	s_or_b64 exec, exec, s[4:5]
	v_cmp_gt_u32_e32 vcc, s33, v16
	s_and_saveexec_b64 s[4:5], vcc
	s_cbranch_execnz .LBB2080_327
.LBB2080_273:
	s_or_b64 exec, exec, s[4:5]
	v_cmp_gt_u32_e32 vcc, s33, v14
	s_and_saveexec_b64 s[4:5], vcc
	s_cbranch_execnz .LBB2080_332
.LBB2080_274:
	s_or_b64 exec, exec, s[4:5]
	v_cmp_gt_u32_e32 vcc, s33, v6
                                        ; implicit-def: $vgpr2_vgpr3
	s_and_saveexec_b64 s[4:5], vcc
	s_cbranch_execnz .LBB2080_337
.LBB2080_275:
	s_or_b64 exec, exec, s[4:5]
	s_and_saveexec_b64 s[4:5], s[2:3]
	s_cbranch_execnz .LBB2080_216
.LBB2080_276:
	s_or_b64 exec, exec, s[4:5]
	s_and_b64 s[0:1], s[0:1], s[22:23]
	s_and_saveexec_b64 s[2:3], s[0:1]
	s_cbranch_execz .LBB2080_217
.LBB2080_277:
	v_add_co_u32_e32 v0, vcc, v1, v10
	v_mov_b32_e32 v2, 0
	v_addc_co_u32_e32 v1, vcc, 0, v4, vcc
	global_store_dwordx2 v2, v[0:1], s[20:21]
	s_endpgm
.LBB2080_278:
	s_or_b64 exec, exec, s[4:5]
	v_cmp_gt_u32_e32 vcc, s33, v48
	s_and_saveexec_b64 s[4:5], vcc
	s_cbranch_execz .LBB2080_225
.LBB2080_279:
	v_cmp_ge_u32_e32 vcc, v48, v10
                                        ; implicit-def: $vgpr2_vgpr3
	s_and_saveexec_b64 s[6:7], vcc
	s_xor_b64 s[6:7], exec, s[6:7]
; %bb.280:
	v_xor_b32_e32 v2, 0xfffffeff, v0
	v_ashrrev_i32_e32 v3, 31, v2
	v_add_co_u32_e32 v2, vcc, v7, v2
	v_addc_co_u32_e32 v3, vcc, v8, v3, vcc
                                        ; implicit-def: $vgpr48
; %bb.281:
	s_andn2_saveexec_b64 s[6:7], s[6:7]
; %bb.282:
	v_add_co_u32_e32 v2, vcc, v1, v48
	v_addc_co_u32_e32 v3, vcc, 0, v4, vcc
; %bb.283:
	s_or_b64 exec, exec, s[6:7]
	v_lshlrev_b64 v[2:3], 1, v[2:3]
	v_mov_b32_e32 v11, s25
	v_add_co_u32_e32 v2, vcc, s24, v2
	v_addc_co_u32_e32 v3, vcc, v11, v3, vcc
	s_waitcnt lgkmcnt(14)
	global_store_short v[2:3], v47, off
	s_or_b64 exec, exec, s[4:5]
	v_cmp_gt_u32_e32 vcc, s33, v46
	s_and_saveexec_b64 s[4:5], vcc
	s_cbranch_execnz .LBB2080_226
.LBB2080_284:
	s_or_b64 exec, exec, s[4:5]
	v_cmp_gt_u32_e32 vcc, s33, v44
	s_and_saveexec_b64 s[4:5], vcc
	s_cbranch_execz .LBB2080_231
.LBB2080_285:
	v_cmp_ge_u32_e32 vcc, v44, v10
                                        ; implicit-def: $vgpr2_vgpr3
	s_and_saveexec_b64 s[6:7], vcc
	s_xor_b64 s[6:7], exec, s[6:7]
; %bb.286:
	v_xor_b32_e32 v2, 0xfffffcff, v0
	v_ashrrev_i32_e32 v3, 31, v2
	v_add_co_u32_e32 v2, vcc, v7, v2
	v_addc_co_u32_e32 v3, vcc, v8, v3, vcc
                                        ; implicit-def: $vgpr44
; %bb.287:
	s_andn2_saveexec_b64 s[6:7], s[6:7]
; %bb.288:
	v_add_co_u32_e32 v2, vcc, v1, v44
	v_addc_co_u32_e32 v3, vcc, 0, v4, vcc
; %bb.289:
	s_or_b64 exec, exec, s[6:7]
	v_lshlrev_b64 v[2:3], 1, v[2:3]
	v_mov_b32_e32 v11, s25
	v_add_co_u32_e32 v2, vcc, s24, v2
	v_addc_co_u32_e32 v3, vcc, v11, v3, vcc
	s_waitcnt lgkmcnt(14)
	global_store_short v[2:3], v43, off
	s_or_b64 exec, exec, s[4:5]
	v_cmp_gt_u32_e32 vcc, s33, v42
	s_and_saveexec_b64 s[4:5], vcc
	s_cbranch_execnz .LBB2080_232
.LBB2080_290:
	s_or_b64 exec, exec, s[4:5]
	v_cmp_gt_u32_e32 vcc, s33, v40
	s_and_saveexec_b64 s[4:5], vcc
	s_cbranch_execz .LBB2080_237
.LBB2080_291:
	v_cmp_ge_u32_e32 vcc, v40, v10
                                        ; implicit-def: $vgpr2_vgpr3
	s_and_saveexec_b64 s[6:7], vcc
	s_xor_b64 s[6:7], exec, s[6:7]
; %bb.292:
	v_xor_b32_e32 v2, 0xfffffaff, v0
	v_ashrrev_i32_e32 v3, 31, v2
	v_add_co_u32_e32 v2, vcc, v7, v2
	v_addc_co_u32_e32 v3, vcc, v8, v3, vcc
                                        ; implicit-def: $vgpr40
; %bb.293:
	s_andn2_saveexec_b64 s[6:7], s[6:7]
; %bb.294:
	v_add_co_u32_e32 v2, vcc, v1, v40
	v_addc_co_u32_e32 v3, vcc, 0, v4, vcc
; %bb.295:
	s_or_b64 exec, exec, s[6:7]
	v_lshlrev_b64 v[2:3], 1, v[2:3]
	v_mov_b32_e32 v11, s25
	v_add_co_u32_e32 v2, vcc, s24, v2
	v_addc_co_u32_e32 v3, vcc, v11, v3, vcc
	s_waitcnt lgkmcnt(14)
	global_store_short v[2:3], v39, off
	s_or_b64 exec, exec, s[4:5]
	v_cmp_gt_u32_e32 vcc, s33, v38
	s_and_saveexec_b64 s[4:5], vcc
	s_cbranch_execnz .LBB2080_238
.LBB2080_296:
	s_or_b64 exec, exec, s[4:5]
	v_cmp_gt_u32_e32 vcc, s33, v36
	s_and_saveexec_b64 s[4:5], vcc
	s_cbranch_execz .LBB2080_243
.LBB2080_297:
	v_cmp_ge_u32_e32 vcc, v36, v10
                                        ; implicit-def: $vgpr2_vgpr3
	s_and_saveexec_b64 s[6:7], vcc
	s_xor_b64 s[6:7], exec, s[6:7]
; %bb.298:
	v_xor_b32_e32 v2, 0xfffff8ff, v0
	v_ashrrev_i32_e32 v3, 31, v2
	v_add_co_u32_e32 v2, vcc, v7, v2
	v_addc_co_u32_e32 v3, vcc, v8, v3, vcc
                                        ; implicit-def: $vgpr36
; %bb.299:
	s_andn2_saveexec_b64 s[6:7], s[6:7]
; %bb.300:
	v_add_co_u32_e32 v2, vcc, v1, v36
	v_addc_co_u32_e32 v3, vcc, 0, v4, vcc
; %bb.301:
	s_or_b64 exec, exec, s[6:7]
	v_lshlrev_b64 v[2:3], 1, v[2:3]
	v_mov_b32_e32 v11, s25
	v_add_co_u32_e32 v2, vcc, s24, v2
	v_addc_co_u32_e32 v3, vcc, v11, v3, vcc
	s_waitcnt lgkmcnt(12)
	global_store_short v[2:3], v35, off
	s_or_b64 exec, exec, s[4:5]
	v_cmp_gt_u32_e32 vcc, s33, v34
	s_and_saveexec_b64 s[4:5], vcc
	s_cbranch_execnz .LBB2080_244
.LBB2080_302:
	s_or_b64 exec, exec, s[4:5]
	v_cmp_gt_u32_e32 vcc, s33, v32
	s_and_saveexec_b64 s[4:5], vcc
	s_cbranch_execz .LBB2080_249
.LBB2080_303:
	v_cmp_ge_u32_e32 vcc, v32, v10
                                        ; implicit-def: $vgpr2_vgpr3
	s_and_saveexec_b64 s[6:7], vcc
	s_xor_b64 s[6:7], exec, s[6:7]
; %bb.304:
	v_xor_b32_e32 v2, 0xfffff6ff, v0
	v_ashrrev_i32_e32 v3, 31, v2
	v_add_co_u32_e32 v2, vcc, v7, v2
	v_addc_co_u32_e32 v3, vcc, v8, v3, vcc
                                        ; implicit-def: $vgpr32
; %bb.305:
	s_andn2_saveexec_b64 s[6:7], s[6:7]
; %bb.306:
	v_add_co_u32_e32 v2, vcc, v1, v32
	v_addc_co_u32_e32 v3, vcc, 0, v4, vcc
; %bb.307:
	s_or_b64 exec, exec, s[6:7]
	v_lshlrev_b64 v[2:3], 1, v[2:3]
	v_mov_b32_e32 v11, s25
	v_add_co_u32_e32 v2, vcc, s24, v2
	v_addc_co_u32_e32 v3, vcc, v11, v3, vcc
	s_waitcnt lgkmcnt(10)
	global_store_short v[2:3], v31, off
	s_or_b64 exec, exec, s[4:5]
	v_cmp_gt_u32_e32 vcc, s33, v30
	s_and_saveexec_b64 s[4:5], vcc
	s_cbranch_execnz .LBB2080_250
.LBB2080_308:
	s_or_b64 exec, exec, s[4:5]
	v_cmp_gt_u32_e32 vcc, s33, v28
	s_and_saveexec_b64 s[4:5], vcc
	s_cbranch_execz .LBB2080_255
.LBB2080_309:
	v_cmp_ge_u32_e32 vcc, v28, v10
                                        ; implicit-def: $vgpr2_vgpr3
	s_and_saveexec_b64 s[6:7], vcc
	s_xor_b64 s[6:7], exec, s[6:7]
; %bb.310:
	v_xor_b32_e32 v2, 0xfffff4ff, v0
	v_ashrrev_i32_e32 v3, 31, v2
	v_add_co_u32_e32 v2, vcc, v7, v2
	v_addc_co_u32_e32 v3, vcc, v8, v3, vcc
                                        ; implicit-def: $vgpr28
; %bb.311:
	s_andn2_saveexec_b64 s[6:7], s[6:7]
; %bb.312:
	v_add_co_u32_e32 v2, vcc, v1, v28
	v_addc_co_u32_e32 v3, vcc, 0, v4, vcc
; %bb.313:
	s_or_b64 exec, exec, s[6:7]
	v_lshlrev_b64 v[2:3], 1, v[2:3]
	v_mov_b32_e32 v11, s25
	v_add_co_u32_e32 v2, vcc, s24, v2
	v_addc_co_u32_e32 v3, vcc, v11, v3, vcc
	s_waitcnt lgkmcnt(8)
	global_store_short v[2:3], v27, off
	s_or_b64 exec, exec, s[4:5]
	v_cmp_gt_u32_e32 vcc, s33, v26
	s_and_saveexec_b64 s[4:5], vcc
	s_cbranch_execnz .LBB2080_256
.LBB2080_314:
	s_or_b64 exec, exec, s[4:5]
	v_cmp_gt_u32_e32 vcc, s33, v24
	s_and_saveexec_b64 s[4:5], vcc
	s_cbranch_execz .LBB2080_261
.LBB2080_315:
	v_cmp_ge_u32_e32 vcc, v24, v10
                                        ; implicit-def: $vgpr2_vgpr3
	s_and_saveexec_b64 s[6:7], vcc
	s_xor_b64 s[6:7], exec, s[6:7]
; %bb.316:
	v_xor_b32_e32 v2, 0xfffff2ff, v0
	v_ashrrev_i32_e32 v3, 31, v2
	v_add_co_u32_e32 v2, vcc, v7, v2
	v_addc_co_u32_e32 v3, vcc, v8, v3, vcc
                                        ; implicit-def: $vgpr24
; %bb.317:
	s_andn2_saveexec_b64 s[6:7], s[6:7]
; %bb.318:
	v_add_co_u32_e32 v2, vcc, v1, v24
	v_addc_co_u32_e32 v3, vcc, 0, v4, vcc
; %bb.319:
	s_or_b64 exec, exec, s[6:7]
	v_lshlrev_b64 v[2:3], 1, v[2:3]
	v_mov_b32_e32 v11, s25
	v_add_co_u32_e32 v2, vcc, s24, v2
	v_addc_co_u32_e32 v3, vcc, v11, v3, vcc
	s_waitcnt lgkmcnt(6)
	global_store_short v[2:3], v23, off
	s_or_b64 exec, exec, s[4:5]
	v_cmp_gt_u32_e32 vcc, s33, v22
	s_and_saveexec_b64 s[4:5], vcc
	s_cbranch_execnz .LBB2080_262
.LBB2080_320:
	s_or_b64 exec, exec, s[4:5]
	v_cmp_gt_u32_e32 vcc, s33, v20
	s_and_saveexec_b64 s[4:5], vcc
	s_cbranch_execz .LBB2080_267
.LBB2080_321:
	v_cmp_ge_u32_e32 vcc, v20, v10
                                        ; implicit-def: $vgpr2_vgpr3
	s_and_saveexec_b64 s[6:7], vcc
	s_xor_b64 s[6:7], exec, s[6:7]
; %bb.322:
	v_xor_b32_e32 v2, 0xfffff0ff, v0
	v_ashrrev_i32_e32 v3, 31, v2
	v_add_co_u32_e32 v2, vcc, v7, v2
	v_addc_co_u32_e32 v3, vcc, v8, v3, vcc
                                        ; implicit-def: $vgpr20
; %bb.323:
	s_andn2_saveexec_b64 s[6:7], s[6:7]
; %bb.324:
	v_add_co_u32_e32 v2, vcc, v1, v20
	v_addc_co_u32_e32 v3, vcc, 0, v4, vcc
; %bb.325:
	s_or_b64 exec, exec, s[6:7]
	v_lshlrev_b64 v[2:3], 1, v[2:3]
	v_mov_b32_e32 v11, s25
	v_add_co_u32_e32 v2, vcc, s24, v2
	v_addc_co_u32_e32 v3, vcc, v11, v3, vcc
	s_waitcnt lgkmcnt(4)
	global_store_short v[2:3], v19, off
	s_or_b64 exec, exec, s[4:5]
	v_cmp_gt_u32_e32 vcc, s33, v18
	s_and_saveexec_b64 s[4:5], vcc
	s_cbranch_execnz .LBB2080_268
.LBB2080_326:
	s_or_b64 exec, exec, s[4:5]
	v_cmp_gt_u32_e32 vcc, s33, v16
	s_and_saveexec_b64 s[4:5], vcc
	s_cbranch_execz .LBB2080_273
.LBB2080_327:
	v_cmp_ge_u32_e32 vcc, v16, v10
                                        ; implicit-def: $vgpr2_vgpr3
	s_and_saveexec_b64 s[6:7], vcc
	s_xor_b64 s[6:7], exec, s[6:7]
; %bb.328:
	v_xor_b32_e32 v2, 0xffffeeff, v0
	v_ashrrev_i32_e32 v3, 31, v2
	v_add_co_u32_e32 v2, vcc, v7, v2
	v_addc_co_u32_e32 v3, vcc, v8, v3, vcc
                                        ; implicit-def: $vgpr16
; %bb.329:
	s_andn2_saveexec_b64 s[6:7], s[6:7]
; %bb.330:
	v_add_co_u32_e32 v2, vcc, v1, v16
	v_addc_co_u32_e32 v3, vcc, 0, v4, vcc
; %bb.331:
	s_or_b64 exec, exec, s[6:7]
	v_lshlrev_b64 v[2:3], 1, v[2:3]
	v_mov_b32_e32 v11, s25
	v_add_co_u32_e32 v2, vcc, s24, v2
	v_addc_co_u32_e32 v3, vcc, v11, v3, vcc
	s_waitcnt lgkmcnt(2)
	global_store_short v[2:3], v15, off
	s_or_b64 exec, exec, s[4:5]
	v_cmp_gt_u32_e32 vcc, s33, v14
	s_and_saveexec_b64 s[4:5], vcc
	s_cbranch_execz .LBB2080_274
.LBB2080_332:
	v_cmp_ge_u32_e32 vcc, v14, v10
                                        ; implicit-def: $vgpr2_vgpr3
	s_and_saveexec_b64 s[6:7], vcc
	s_xor_b64 s[6:7], exec, s[6:7]
; %bb.333:
	v_xor_b32_e32 v2, 0xffffedff, v0
	v_ashrrev_i32_e32 v3, 31, v2
	v_add_co_u32_e32 v2, vcc, v7, v2
	v_addc_co_u32_e32 v3, vcc, v8, v3, vcc
                                        ; implicit-def: $vgpr14
; %bb.334:
	s_andn2_saveexec_b64 s[6:7], s[6:7]
; %bb.335:
	v_add_co_u32_e32 v2, vcc, v1, v14
	v_addc_co_u32_e32 v3, vcc, 0, v4, vcc
; %bb.336:
	s_or_b64 exec, exec, s[6:7]
	v_lshlrev_b64 v[2:3], 1, v[2:3]
	v_mov_b32_e32 v11, s25
	v_add_co_u32_e32 v2, vcc, s24, v2
	v_addc_co_u32_e32 v3, vcc, v11, v3, vcc
	s_waitcnt lgkmcnt(1)
	global_store_short v[2:3], v9, off
	s_or_b64 exec, exec, s[4:5]
	v_cmp_gt_u32_e32 vcc, s33, v6
                                        ; implicit-def: $vgpr2_vgpr3
	s_and_saveexec_b64 s[4:5], vcc
	s_cbranch_execz .LBB2080_275
.LBB2080_337:
	v_cmp_ge_u32_e32 vcc, v6, v10
                                        ; implicit-def: $vgpr2_vgpr3
	s_and_saveexec_b64 s[6:7], vcc
	s_xor_b64 s[6:7], exec, s[6:7]
; %bb.338:
	v_xor_b32_e32 v0, 0xffffecff, v0
	v_ashrrev_i32_e32 v3, 31, v0
	v_add_co_u32_e32 v2, vcc, v7, v0
	v_addc_co_u32_e32 v3, vcc, v8, v3, vcc
                                        ; implicit-def: $vgpr6
; %bb.339:
	s_andn2_saveexec_b64 s[6:7], s[6:7]
; %bb.340:
	v_add_co_u32_e32 v2, vcc, v1, v6
	v_addc_co_u32_e32 v3, vcc, 0, v4, vcc
; %bb.341:
	s_or_b64 exec, exec, s[6:7]
	s_or_b64 s[2:3], s[2:3], exec
	s_or_b64 exec, exec, s[4:5]
	s_and_saveexec_b64 s[4:5], s[2:3]
	s_cbranch_execnz .LBB2080_216
	s_branch .LBB2080_276
	.section	.rodata,"a",@progbits
	.p2align	6, 0x0
	.amdhsa_kernel _ZN7rocprim17ROCPRIM_400000_NS6detail17trampoline_kernelINS0_14default_configENS1_25partition_config_selectorILNS1_17partition_subalgoE2EtNS0_10empty_typeEbEEZZNS1_14partition_implILS5_2ELb0ES3_jN6thrust23THRUST_200600_302600_NS6detail15normal_iteratorINSA_7pointerItNSA_11hip_rocprim3tagENSA_11use_defaultESG_EEEEPS6_NSA_18transform_iteratorI7is_evenItENSC_INSA_10device_ptrItEEEESG_SG_EENS0_5tupleIJPtSJ_EEENSR_IJSJ_SJ_EEES6_PlJS6_EEE10hipError_tPvRmT3_T4_T5_T6_T7_T9_mT8_P12ihipStream_tbDpT10_ENKUlT_T0_E_clISt17integral_constantIbLb1EES1F_EEDaS1A_S1B_EUlS1A_E_NS1_11comp_targetILNS1_3genE4ELNS1_11target_archE910ELNS1_3gpuE8ELNS1_3repE0EEENS1_30default_config_static_selectorELNS0_4arch9wavefront6targetE1EEEvT1_
		.amdhsa_group_segment_fixed_size 10248
		.amdhsa_private_segment_fixed_size 0
		.amdhsa_kernarg_size 144
		.amdhsa_user_sgpr_count 6
		.amdhsa_user_sgpr_private_segment_buffer 1
		.amdhsa_user_sgpr_dispatch_ptr 0
		.amdhsa_user_sgpr_queue_ptr 0
		.amdhsa_user_sgpr_kernarg_segment_ptr 1
		.amdhsa_user_sgpr_dispatch_id 0
		.amdhsa_user_sgpr_flat_scratch_init 0
		.amdhsa_user_sgpr_kernarg_preload_length 0
		.amdhsa_user_sgpr_kernarg_preload_offset 0
		.amdhsa_user_sgpr_private_segment_size 0
		.amdhsa_uses_dynamic_stack 0
		.amdhsa_system_sgpr_private_segment_wavefront_offset 0
		.amdhsa_system_sgpr_workgroup_id_x 1
		.amdhsa_system_sgpr_workgroup_id_y 0
		.amdhsa_system_sgpr_workgroup_id_z 0
		.amdhsa_system_sgpr_workgroup_info 0
		.amdhsa_system_vgpr_workitem_id 0
		.amdhsa_next_free_vgpr 67
		.amdhsa_next_free_sgpr 46
		.amdhsa_accum_offset 68
		.amdhsa_reserve_vcc 1
		.amdhsa_reserve_flat_scratch 0
		.amdhsa_float_round_mode_32 0
		.amdhsa_float_round_mode_16_64 0
		.amdhsa_float_denorm_mode_32 3
		.amdhsa_float_denorm_mode_16_64 3
		.amdhsa_dx10_clamp 1
		.amdhsa_ieee_mode 1
		.amdhsa_fp16_overflow 0
		.amdhsa_tg_split 0
		.amdhsa_exception_fp_ieee_invalid_op 0
		.amdhsa_exception_fp_denorm_src 0
		.amdhsa_exception_fp_ieee_div_zero 0
		.amdhsa_exception_fp_ieee_overflow 0
		.amdhsa_exception_fp_ieee_underflow 0
		.amdhsa_exception_fp_ieee_inexact 0
		.amdhsa_exception_int_div_zero 0
	.end_amdhsa_kernel
	.section	.text._ZN7rocprim17ROCPRIM_400000_NS6detail17trampoline_kernelINS0_14default_configENS1_25partition_config_selectorILNS1_17partition_subalgoE2EtNS0_10empty_typeEbEEZZNS1_14partition_implILS5_2ELb0ES3_jN6thrust23THRUST_200600_302600_NS6detail15normal_iteratorINSA_7pointerItNSA_11hip_rocprim3tagENSA_11use_defaultESG_EEEEPS6_NSA_18transform_iteratorI7is_evenItENSC_INSA_10device_ptrItEEEESG_SG_EENS0_5tupleIJPtSJ_EEENSR_IJSJ_SJ_EEES6_PlJS6_EEE10hipError_tPvRmT3_T4_T5_T6_T7_T9_mT8_P12ihipStream_tbDpT10_ENKUlT_T0_E_clISt17integral_constantIbLb1EES1F_EEDaS1A_S1B_EUlS1A_E_NS1_11comp_targetILNS1_3genE4ELNS1_11target_archE910ELNS1_3gpuE8ELNS1_3repE0EEENS1_30default_config_static_selectorELNS0_4arch9wavefront6targetE1EEEvT1_,"axG",@progbits,_ZN7rocprim17ROCPRIM_400000_NS6detail17trampoline_kernelINS0_14default_configENS1_25partition_config_selectorILNS1_17partition_subalgoE2EtNS0_10empty_typeEbEEZZNS1_14partition_implILS5_2ELb0ES3_jN6thrust23THRUST_200600_302600_NS6detail15normal_iteratorINSA_7pointerItNSA_11hip_rocprim3tagENSA_11use_defaultESG_EEEEPS6_NSA_18transform_iteratorI7is_evenItENSC_INSA_10device_ptrItEEEESG_SG_EENS0_5tupleIJPtSJ_EEENSR_IJSJ_SJ_EEES6_PlJS6_EEE10hipError_tPvRmT3_T4_T5_T6_T7_T9_mT8_P12ihipStream_tbDpT10_ENKUlT_T0_E_clISt17integral_constantIbLb1EES1F_EEDaS1A_S1B_EUlS1A_E_NS1_11comp_targetILNS1_3genE4ELNS1_11target_archE910ELNS1_3gpuE8ELNS1_3repE0EEENS1_30default_config_static_selectorELNS0_4arch9wavefront6targetE1EEEvT1_,comdat
.Lfunc_end2080:
	.size	_ZN7rocprim17ROCPRIM_400000_NS6detail17trampoline_kernelINS0_14default_configENS1_25partition_config_selectorILNS1_17partition_subalgoE2EtNS0_10empty_typeEbEEZZNS1_14partition_implILS5_2ELb0ES3_jN6thrust23THRUST_200600_302600_NS6detail15normal_iteratorINSA_7pointerItNSA_11hip_rocprim3tagENSA_11use_defaultESG_EEEEPS6_NSA_18transform_iteratorI7is_evenItENSC_INSA_10device_ptrItEEEESG_SG_EENS0_5tupleIJPtSJ_EEENSR_IJSJ_SJ_EEES6_PlJS6_EEE10hipError_tPvRmT3_T4_T5_T6_T7_T9_mT8_P12ihipStream_tbDpT10_ENKUlT_T0_E_clISt17integral_constantIbLb1EES1F_EEDaS1A_S1B_EUlS1A_E_NS1_11comp_targetILNS1_3genE4ELNS1_11target_archE910ELNS1_3gpuE8ELNS1_3repE0EEENS1_30default_config_static_selectorELNS0_4arch9wavefront6targetE1EEEvT1_, .Lfunc_end2080-_ZN7rocprim17ROCPRIM_400000_NS6detail17trampoline_kernelINS0_14default_configENS1_25partition_config_selectorILNS1_17partition_subalgoE2EtNS0_10empty_typeEbEEZZNS1_14partition_implILS5_2ELb0ES3_jN6thrust23THRUST_200600_302600_NS6detail15normal_iteratorINSA_7pointerItNSA_11hip_rocprim3tagENSA_11use_defaultESG_EEEEPS6_NSA_18transform_iteratorI7is_evenItENSC_INSA_10device_ptrItEEEESG_SG_EENS0_5tupleIJPtSJ_EEENSR_IJSJ_SJ_EEES6_PlJS6_EEE10hipError_tPvRmT3_T4_T5_T6_T7_T9_mT8_P12ihipStream_tbDpT10_ENKUlT_T0_E_clISt17integral_constantIbLb1EES1F_EEDaS1A_S1B_EUlS1A_E_NS1_11comp_targetILNS1_3genE4ELNS1_11target_archE910ELNS1_3gpuE8ELNS1_3repE0EEENS1_30default_config_static_selectorELNS0_4arch9wavefront6targetE1EEEvT1_
                                        ; -- End function
	.section	.AMDGPU.csdata,"",@progbits
; Kernel info:
; codeLenInByte = 10972
; NumSgprs: 50
; NumVgprs: 67
; NumAgprs: 0
; TotalNumVgprs: 67
; ScratchSize: 0
; MemoryBound: 0
; FloatMode: 240
; IeeeMode: 1
; LDSByteSize: 10248 bytes/workgroup (compile time only)
; SGPRBlocks: 6
; VGPRBlocks: 8
; NumSGPRsForWavesPerEU: 50
; NumVGPRsForWavesPerEU: 67
; AccumOffset: 68
; Occupancy: 6
; WaveLimiterHint : 1
; COMPUTE_PGM_RSRC2:SCRATCH_EN: 0
; COMPUTE_PGM_RSRC2:USER_SGPR: 6
; COMPUTE_PGM_RSRC2:TRAP_HANDLER: 0
; COMPUTE_PGM_RSRC2:TGID_X_EN: 1
; COMPUTE_PGM_RSRC2:TGID_Y_EN: 0
; COMPUTE_PGM_RSRC2:TGID_Z_EN: 0
; COMPUTE_PGM_RSRC2:TIDIG_COMP_CNT: 0
; COMPUTE_PGM_RSRC3_GFX90A:ACCUM_OFFSET: 16
; COMPUTE_PGM_RSRC3_GFX90A:TG_SPLIT: 0
	.section	.text._ZN7rocprim17ROCPRIM_400000_NS6detail17trampoline_kernelINS0_14default_configENS1_25partition_config_selectorILNS1_17partition_subalgoE2EtNS0_10empty_typeEbEEZZNS1_14partition_implILS5_2ELb0ES3_jN6thrust23THRUST_200600_302600_NS6detail15normal_iteratorINSA_7pointerItNSA_11hip_rocprim3tagENSA_11use_defaultESG_EEEEPS6_NSA_18transform_iteratorI7is_evenItENSC_INSA_10device_ptrItEEEESG_SG_EENS0_5tupleIJPtSJ_EEENSR_IJSJ_SJ_EEES6_PlJS6_EEE10hipError_tPvRmT3_T4_T5_T6_T7_T9_mT8_P12ihipStream_tbDpT10_ENKUlT_T0_E_clISt17integral_constantIbLb1EES1F_EEDaS1A_S1B_EUlS1A_E_NS1_11comp_targetILNS1_3genE3ELNS1_11target_archE908ELNS1_3gpuE7ELNS1_3repE0EEENS1_30default_config_static_selectorELNS0_4arch9wavefront6targetE1EEEvT1_,"axG",@progbits,_ZN7rocprim17ROCPRIM_400000_NS6detail17trampoline_kernelINS0_14default_configENS1_25partition_config_selectorILNS1_17partition_subalgoE2EtNS0_10empty_typeEbEEZZNS1_14partition_implILS5_2ELb0ES3_jN6thrust23THRUST_200600_302600_NS6detail15normal_iteratorINSA_7pointerItNSA_11hip_rocprim3tagENSA_11use_defaultESG_EEEEPS6_NSA_18transform_iteratorI7is_evenItENSC_INSA_10device_ptrItEEEESG_SG_EENS0_5tupleIJPtSJ_EEENSR_IJSJ_SJ_EEES6_PlJS6_EEE10hipError_tPvRmT3_T4_T5_T6_T7_T9_mT8_P12ihipStream_tbDpT10_ENKUlT_T0_E_clISt17integral_constantIbLb1EES1F_EEDaS1A_S1B_EUlS1A_E_NS1_11comp_targetILNS1_3genE3ELNS1_11target_archE908ELNS1_3gpuE7ELNS1_3repE0EEENS1_30default_config_static_selectorELNS0_4arch9wavefront6targetE1EEEvT1_,comdat
	.protected	_ZN7rocprim17ROCPRIM_400000_NS6detail17trampoline_kernelINS0_14default_configENS1_25partition_config_selectorILNS1_17partition_subalgoE2EtNS0_10empty_typeEbEEZZNS1_14partition_implILS5_2ELb0ES3_jN6thrust23THRUST_200600_302600_NS6detail15normal_iteratorINSA_7pointerItNSA_11hip_rocprim3tagENSA_11use_defaultESG_EEEEPS6_NSA_18transform_iteratorI7is_evenItENSC_INSA_10device_ptrItEEEESG_SG_EENS0_5tupleIJPtSJ_EEENSR_IJSJ_SJ_EEES6_PlJS6_EEE10hipError_tPvRmT3_T4_T5_T6_T7_T9_mT8_P12ihipStream_tbDpT10_ENKUlT_T0_E_clISt17integral_constantIbLb1EES1F_EEDaS1A_S1B_EUlS1A_E_NS1_11comp_targetILNS1_3genE3ELNS1_11target_archE908ELNS1_3gpuE7ELNS1_3repE0EEENS1_30default_config_static_selectorELNS0_4arch9wavefront6targetE1EEEvT1_ ; -- Begin function _ZN7rocprim17ROCPRIM_400000_NS6detail17trampoline_kernelINS0_14default_configENS1_25partition_config_selectorILNS1_17partition_subalgoE2EtNS0_10empty_typeEbEEZZNS1_14partition_implILS5_2ELb0ES3_jN6thrust23THRUST_200600_302600_NS6detail15normal_iteratorINSA_7pointerItNSA_11hip_rocprim3tagENSA_11use_defaultESG_EEEEPS6_NSA_18transform_iteratorI7is_evenItENSC_INSA_10device_ptrItEEEESG_SG_EENS0_5tupleIJPtSJ_EEENSR_IJSJ_SJ_EEES6_PlJS6_EEE10hipError_tPvRmT3_T4_T5_T6_T7_T9_mT8_P12ihipStream_tbDpT10_ENKUlT_T0_E_clISt17integral_constantIbLb1EES1F_EEDaS1A_S1B_EUlS1A_E_NS1_11comp_targetILNS1_3genE3ELNS1_11target_archE908ELNS1_3gpuE7ELNS1_3repE0EEENS1_30default_config_static_selectorELNS0_4arch9wavefront6targetE1EEEvT1_
	.globl	_ZN7rocprim17ROCPRIM_400000_NS6detail17trampoline_kernelINS0_14default_configENS1_25partition_config_selectorILNS1_17partition_subalgoE2EtNS0_10empty_typeEbEEZZNS1_14partition_implILS5_2ELb0ES3_jN6thrust23THRUST_200600_302600_NS6detail15normal_iteratorINSA_7pointerItNSA_11hip_rocprim3tagENSA_11use_defaultESG_EEEEPS6_NSA_18transform_iteratorI7is_evenItENSC_INSA_10device_ptrItEEEESG_SG_EENS0_5tupleIJPtSJ_EEENSR_IJSJ_SJ_EEES6_PlJS6_EEE10hipError_tPvRmT3_T4_T5_T6_T7_T9_mT8_P12ihipStream_tbDpT10_ENKUlT_T0_E_clISt17integral_constantIbLb1EES1F_EEDaS1A_S1B_EUlS1A_E_NS1_11comp_targetILNS1_3genE3ELNS1_11target_archE908ELNS1_3gpuE7ELNS1_3repE0EEENS1_30default_config_static_selectorELNS0_4arch9wavefront6targetE1EEEvT1_
	.p2align	8
	.type	_ZN7rocprim17ROCPRIM_400000_NS6detail17trampoline_kernelINS0_14default_configENS1_25partition_config_selectorILNS1_17partition_subalgoE2EtNS0_10empty_typeEbEEZZNS1_14partition_implILS5_2ELb0ES3_jN6thrust23THRUST_200600_302600_NS6detail15normal_iteratorINSA_7pointerItNSA_11hip_rocprim3tagENSA_11use_defaultESG_EEEEPS6_NSA_18transform_iteratorI7is_evenItENSC_INSA_10device_ptrItEEEESG_SG_EENS0_5tupleIJPtSJ_EEENSR_IJSJ_SJ_EEES6_PlJS6_EEE10hipError_tPvRmT3_T4_T5_T6_T7_T9_mT8_P12ihipStream_tbDpT10_ENKUlT_T0_E_clISt17integral_constantIbLb1EES1F_EEDaS1A_S1B_EUlS1A_E_NS1_11comp_targetILNS1_3genE3ELNS1_11target_archE908ELNS1_3gpuE7ELNS1_3repE0EEENS1_30default_config_static_selectorELNS0_4arch9wavefront6targetE1EEEvT1_,@function
_ZN7rocprim17ROCPRIM_400000_NS6detail17trampoline_kernelINS0_14default_configENS1_25partition_config_selectorILNS1_17partition_subalgoE2EtNS0_10empty_typeEbEEZZNS1_14partition_implILS5_2ELb0ES3_jN6thrust23THRUST_200600_302600_NS6detail15normal_iteratorINSA_7pointerItNSA_11hip_rocprim3tagENSA_11use_defaultESG_EEEEPS6_NSA_18transform_iteratorI7is_evenItENSC_INSA_10device_ptrItEEEESG_SG_EENS0_5tupleIJPtSJ_EEENSR_IJSJ_SJ_EEES6_PlJS6_EEE10hipError_tPvRmT3_T4_T5_T6_T7_T9_mT8_P12ihipStream_tbDpT10_ENKUlT_T0_E_clISt17integral_constantIbLb1EES1F_EEDaS1A_S1B_EUlS1A_E_NS1_11comp_targetILNS1_3genE3ELNS1_11target_archE908ELNS1_3gpuE7ELNS1_3repE0EEENS1_30default_config_static_selectorELNS0_4arch9wavefront6targetE1EEEvT1_: ; @_ZN7rocprim17ROCPRIM_400000_NS6detail17trampoline_kernelINS0_14default_configENS1_25partition_config_selectorILNS1_17partition_subalgoE2EtNS0_10empty_typeEbEEZZNS1_14partition_implILS5_2ELb0ES3_jN6thrust23THRUST_200600_302600_NS6detail15normal_iteratorINSA_7pointerItNSA_11hip_rocprim3tagENSA_11use_defaultESG_EEEEPS6_NSA_18transform_iteratorI7is_evenItENSC_INSA_10device_ptrItEEEESG_SG_EENS0_5tupleIJPtSJ_EEENSR_IJSJ_SJ_EEES6_PlJS6_EEE10hipError_tPvRmT3_T4_T5_T6_T7_T9_mT8_P12ihipStream_tbDpT10_ENKUlT_T0_E_clISt17integral_constantIbLb1EES1F_EEDaS1A_S1B_EUlS1A_E_NS1_11comp_targetILNS1_3genE3ELNS1_11target_archE908ELNS1_3gpuE7ELNS1_3repE0EEENS1_30default_config_static_selectorELNS0_4arch9wavefront6targetE1EEEvT1_
; %bb.0:
	.section	.rodata,"a",@progbits
	.p2align	6, 0x0
	.amdhsa_kernel _ZN7rocprim17ROCPRIM_400000_NS6detail17trampoline_kernelINS0_14default_configENS1_25partition_config_selectorILNS1_17partition_subalgoE2EtNS0_10empty_typeEbEEZZNS1_14partition_implILS5_2ELb0ES3_jN6thrust23THRUST_200600_302600_NS6detail15normal_iteratorINSA_7pointerItNSA_11hip_rocprim3tagENSA_11use_defaultESG_EEEEPS6_NSA_18transform_iteratorI7is_evenItENSC_INSA_10device_ptrItEEEESG_SG_EENS0_5tupleIJPtSJ_EEENSR_IJSJ_SJ_EEES6_PlJS6_EEE10hipError_tPvRmT3_T4_T5_T6_T7_T9_mT8_P12ihipStream_tbDpT10_ENKUlT_T0_E_clISt17integral_constantIbLb1EES1F_EEDaS1A_S1B_EUlS1A_E_NS1_11comp_targetILNS1_3genE3ELNS1_11target_archE908ELNS1_3gpuE7ELNS1_3repE0EEENS1_30default_config_static_selectorELNS0_4arch9wavefront6targetE1EEEvT1_
		.amdhsa_group_segment_fixed_size 0
		.amdhsa_private_segment_fixed_size 0
		.amdhsa_kernarg_size 144
		.amdhsa_user_sgpr_count 6
		.amdhsa_user_sgpr_private_segment_buffer 1
		.amdhsa_user_sgpr_dispatch_ptr 0
		.amdhsa_user_sgpr_queue_ptr 0
		.amdhsa_user_sgpr_kernarg_segment_ptr 1
		.amdhsa_user_sgpr_dispatch_id 0
		.amdhsa_user_sgpr_flat_scratch_init 0
		.amdhsa_user_sgpr_kernarg_preload_length 0
		.amdhsa_user_sgpr_kernarg_preload_offset 0
		.amdhsa_user_sgpr_private_segment_size 0
		.amdhsa_uses_dynamic_stack 0
		.amdhsa_system_sgpr_private_segment_wavefront_offset 0
		.amdhsa_system_sgpr_workgroup_id_x 1
		.amdhsa_system_sgpr_workgroup_id_y 0
		.amdhsa_system_sgpr_workgroup_id_z 0
		.amdhsa_system_sgpr_workgroup_info 0
		.amdhsa_system_vgpr_workitem_id 0
		.amdhsa_next_free_vgpr 1
		.amdhsa_next_free_sgpr 0
		.amdhsa_accum_offset 4
		.amdhsa_reserve_vcc 0
		.amdhsa_reserve_flat_scratch 0
		.amdhsa_float_round_mode_32 0
		.amdhsa_float_round_mode_16_64 0
		.amdhsa_float_denorm_mode_32 3
		.amdhsa_float_denorm_mode_16_64 3
		.amdhsa_dx10_clamp 1
		.amdhsa_ieee_mode 1
		.amdhsa_fp16_overflow 0
		.amdhsa_tg_split 0
		.amdhsa_exception_fp_ieee_invalid_op 0
		.amdhsa_exception_fp_denorm_src 0
		.amdhsa_exception_fp_ieee_div_zero 0
		.amdhsa_exception_fp_ieee_overflow 0
		.amdhsa_exception_fp_ieee_underflow 0
		.amdhsa_exception_fp_ieee_inexact 0
		.amdhsa_exception_int_div_zero 0
	.end_amdhsa_kernel
	.section	.text._ZN7rocprim17ROCPRIM_400000_NS6detail17trampoline_kernelINS0_14default_configENS1_25partition_config_selectorILNS1_17partition_subalgoE2EtNS0_10empty_typeEbEEZZNS1_14partition_implILS5_2ELb0ES3_jN6thrust23THRUST_200600_302600_NS6detail15normal_iteratorINSA_7pointerItNSA_11hip_rocprim3tagENSA_11use_defaultESG_EEEEPS6_NSA_18transform_iteratorI7is_evenItENSC_INSA_10device_ptrItEEEESG_SG_EENS0_5tupleIJPtSJ_EEENSR_IJSJ_SJ_EEES6_PlJS6_EEE10hipError_tPvRmT3_T4_T5_T6_T7_T9_mT8_P12ihipStream_tbDpT10_ENKUlT_T0_E_clISt17integral_constantIbLb1EES1F_EEDaS1A_S1B_EUlS1A_E_NS1_11comp_targetILNS1_3genE3ELNS1_11target_archE908ELNS1_3gpuE7ELNS1_3repE0EEENS1_30default_config_static_selectorELNS0_4arch9wavefront6targetE1EEEvT1_,"axG",@progbits,_ZN7rocprim17ROCPRIM_400000_NS6detail17trampoline_kernelINS0_14default_configENS1_25partition_config_selectorILNS1_17partition_subalgoE2EtNS0_10empty_typeEbEEZZNS1_14partition_implILS5_2ELb0ES3_jN6thrust23THRUST_200600_302600_NS6detail15normal_iteratorINSA_7pointerItNSA_11hip_rocprim3tagENSA_11use_defaultESG_EEEEPS6_NSA_18transform_iteratorI7is_evenItENSC_INSA_10device_ptrItEEEESG_SG_EENS0_5tupleIJPtSJ_EEENSR_IJSJ_SJ_EEES6_PlJS6_EEE10hipError_tPvRmT3_T4_T5_T6_T7_T9_mT8_P12ihipStream_tbDpT10_ENKUlT_T0_E_clISt17integral_constantIbLb1EES1F_EEDaS1A_S1B_EUlS1A_E_NS1_11comp_targetILNS1_3genE3ELNS1_11target_archE908ELNS1_3gpuE7ELNS1_3repE0EEENS1_30default_config_static_selectorELNS0_4arch9wavefront6targetE1EEEvT1_,comdat
.Lfunc_end2081:
	.size	_ZN7rocprim17ROCPRIM_400000_NS6detail17trampoline_kernelINS0_14default_configENS1_25partition_config_selectorILNS1_17partition_subalgoE2EtNS0_10empty_typeEbEEZZNS1_14partition_implILS5_2ELb0ES3_jN6thrust23THRUST_200600_302600_NS6detail15normal_iteratorINSA_7pointerItNSA_11hip_rocprim3tagENSA_11use_defaultESG_EEEEPS6_NSA_18transform_iteratorI7is_evenItENSC_INSA_10device_ptrItEEEESG_SG_EENS0_5tupleIJPtSJ_EEENSR_IJSJ_SJ_EEES6_PlJS6_EEE10hipError_tPvRmT3_T4_T5_T6_T7_T9_mT8_P12ihipStream_tbDpT10_ENKUlT_T0_E_clISt17integral_constantIbLb1EES1F_EEDaS1A_S1B_EUlS1A_E_NS1_11comp_targetILNS1_3genE3ELNS1_11target_archE908ELNS1_3gpuE7ELNS1_3repE0EEENS1_30default_config_static_selectorELNS0_4arch9wavefront6targetE1EEEvT1_, .Lfunc_end2081-_ZN7rocprim17ROCPRIM_400000_NS6detail17trampoline_kernelINS0_14default_configENS1_25partition_config_selectorILNS1_17partition_subalgoE2EtNS0_10empty_typeEbEEZZNS1_14partition_implILS5_2ELb0ES3_jN6thrust23THRUST_200600_302600_NS6detail15normal_iteratorINSA_7pointerItNSA_11hip_rocprim3tagENSA_11use_defaultESG_EEEEPS6_NSA_18transform_iteratorI7is_evenItENSC_INSA_10device_ptrItEEEESG_SG_EENS0_5tupleIJPtSJ_EEENSR_IJSJ_SJ_EEES6_PlJS6_EEE10hipError_tPvRmT3_T4_T5_T6_T7_T9_mT8_P12ihipStream_tbDpT10_ENKUlT_T0_E_clISt17integral_constantIbLb1EES1F_EEDaS1A_S1B_EUlS1A_E_NS1_11comp_targetILNS1_3genE3ELNS1_11target_archE908ELNS1_3gpuE7ELNS1_3repE0EEENS1_30default_config_static_selectorELNS0_4arch9wavefront6targetE1EEEvT1_
                                        ; -- End function
	.section	.AMDGPU.csdata,"",@progbits
; Kernel info:
; codeLenInByte = 0
; NumSgprs: 4
; NumVgprs: 0
; NumAgprs: 0
; TotalNumVgprs: 0
; ScratchSize: 0
; MemoryBound: 0
; FloatMode: 240
; IeeeMode: 1
; LDSByteSize: 0 bytes/workgroup (compile time only)
; SGPRBlocks: 0
; VGPRBlocks: 0
; NumSGPRsForWavesPerEU: 4
; NumVGPRsForWavesPerEU: 1
; AccumOffset: 4
; Occupancy: 8
; WaveLimiterHint : 0
; COMPUTE_PGM_RSRC2:SCRATCH_EN: 0
; COMPUTE_PGM_RSRC2:USER_SGPR: 6
; COMPUTE_PGM_RSRC2:TRAP_HANDLER: 0
; COMPUTE_PGM_RSRC2:TGID_X_EN: 1
; COMPUTE_PGM_RSRC2:TGID_Y_EN: 0
; COMPUTE_PGM_RSRC2:TGID_Z_EN: 0
; COMPUTE_PGM_RSRC2:TIDIG_COMP_CNT: 0
; COMPUTE_PGM_RSRC3_GFX90A:ACCUM_OFFSET: 0
; COMPUTE_PGM_RSRC3_GFX90A:TG_SPLIT: 0
	.section	.text._ZN7rocprim17ROCPRIM_400000_NS6detail17trampoline_kernelINS0_14default_configENS1_25partition_config_selectorILNS1_17partition_subalgoE2EtNS0_10empty_typeEbEEZZNS1_14partition_implILS5_2ELb0ES3_jN6thrust23THRUST_200600_302600_NS6detail15normal_iteratorINSA_7pointerItNSA_11hip_rocprim3tagENSA_11use_defaultESG_EEEEPS6_NSA_18transform_iteratorI7is_evenItENSC_INSA_10device_ptrItEEEESG_SG_EENS0_5tupleIJPtSJ_EEENSR_IJSJ_SJ_EEES6_PlJS6_EEE10hipError_tPvRmT3_T4_T5_T6_T7_T9_mT8_P12ihipStream_tbDpT10_ENKUlT_T0_E_clISt17integral_constantIbLb1EES1F_EEDaS1A_S1B_EUlS1A_E_NS1_11comp_targetILNS1_3genE2ELNS1_11target_archE906ELNS1_3gpuE6ELNS1_3repE0EEENS1_30default_config_static_selectorELNS0_4arch9wavefront6targetE1EEEvT1_,"axG",@progbits,_ZN7rocprim17ROCPRIM_400000_NS6detail17trampoline_kernelINS0_14default_configENS1_25partition_config_selectorILNS1_17partition_subalgoE2EtNS0_10empty_typeEbEEZZNS1_14partition_implILS5_2ELb0ES3_jN6thrust23THRUST_200600_302600_NS6detail15normal_iteratorINSA_7pointerItNSA_11hip_rocprim3tagENSA_11use_defaultESG_EEEEPS6_NSA_18transform_iteratorI7is_evenItENSC_INSA_10device_ptrItEEEESG_SG_EENS0_5tupleIJPtSJ_EEENSR_IJSJ_SJ_EEES6_PlJS6_EEE10hipError_tPvRmT3_T4_T5_T6_T7_T9_mT8_P12ihipStream_tbDpT10_ENKUlT_T0_E_clISt17integral_constantIbLb1EES1F_EEDaS1A_S1B_EUlS1A_E_NS1_11comp_targetILNS1_3genE2ELNS1_11target_archE906ELNS1_3gpuE6ELNS1_3repE0EEENS1_30default_config_static_selectorELNS0_4arch9wavefront6targetE1EEEvT1_,comdat
	.protected	_ZN7rocprim17ROCPRIM_400000_NS6detail17trampoline_kernelINS0_14default_configENS1_25partition_config_selectorILNS1_17partition_subalgoE2EtNS0_10empty_typeEbEEZZNS1_14partition_implILS5_2ELb0ES3_jN6thrust23THRUST_200600_302600_NS6detail15normal_iteratorINSA_7pointerItNSA_11hip_rocprim3tagENSA_11use_defaultESG_EEEEPS6_NSA_18transform_iteratorI7is_evenItENSC_INSA_10device_ptrItEEEESG_SG_EENS0_5tupleIJPtSJ_EEENSR_IJSJ_SJ_EEES6_PlJS6_EEE10hipError_tPvRmT3_T4_T5_T6_T7_T9_mT8_P12ihipStream_tbDpT10_ENKUlT_T0_E_clISt17integral_constantIbLb1EES1F_EEDaS1A_S1B_EUlS1A_E_NS1_11comp_targetILNS1_3genE2ELNS1_11target_archE906ELNS1_3gpuE6ELNS1_3repE0EEENS1_30default_config_static_selectorELNS0_4arch9wavefront6targetE1EEEvT1_ ; -- Begin function _ZN7rocprim17ROCPRIM_400000_NS6detail17trampoline_kernelINS0_14default_configENS1_25partition_config_selectorILNS1_17partition_subalgoE2EtNS0_10empty_typeEbEEZZNS1_14partition_implILS5_2ELb0ES3_jN6thrust23THRUST_200600_302600_NS6detail15normal_iteratorINSA_7pointerItNSA_11hip_rocprim3tagENSA_11use_defaultESG_EEEEPS6_NSA_18transform_iteratorI7is_evenItENSC_INSA_10device_ptrItEEEESG_SG_EENS0_5tupleIJPtSJ_EEENSR_IJSJ_SJ_EEES6_PlJS6_EEE10hipError_tPvRmT3_T4_T5_T6_T7_T9_mT8_P12ihipStream_tbDpT10_ENKUlT_T0_E_clISt17integral_constantIbLb1EES1F_EEDaS1A_S1B_EUlS1A_E_NS1_11comp_targetILNS1_3genE2ELNS1_11target_archE906ELNS1_3gpuE6ELNS1_3repE0EEENS1_30default_config_static_selectorELNS0_4arch9wavefront6targetE1EEEvT1_
	.globl	_ZN7rocprim17ROCPRIM_400000_NS6detail17trampoline_kernelINS0_14default_configENS1_25partition_config_selectorILNS1_17partition_subalgoE2EtNS0_10empty_typeEbEEZZNS1_14partition_implILS5_2ELb0ES3_jN6thrust23THRUST_200600_302600_NS6detail15normal_iteratorINSA_7pointerItNSA_11hip_rocprim3tagENSA_11use_defaultESG_EEEEPS6_NSA_18transform_iteratorI7is_evenItENSC_INSA_10device_ptrItEEEESG_SG_EENS0_5tupleIJPtSJ_EEENSR_IJSJ_SJ_EEES6_PlJS6_EEE10hipError_tPvRmT3_T4_T5_T6_T7_T9_mT8_P12ihipStream_tbDpT10_ENKUlT_T0_E_clISt17integral_constantIbLb1EES1F_EEDaS1A_S1B_EUlS1A_E_NS1_11comp_targetILNS1_3genE2ELNS1_11target_archE906ELNS1_3gpuE6ELNS1_3repE0EEENS1_30default_config_static_selectorELNS0_4arch9wavefront6targetE1EEEvT1_
	.p2align	8
	.type	_ZN7rocprim17ROCPRIM_400000_NS6detail17trampoline_kernelINS0_14default_configENS1_25partition_config_selectorILNS1_17partition_subalgoE2EtNS0_10empty_typeEbEEZZNS1_14partition_implILS5_2ELb0ES3_jN6thrust23THRUST_200600_302600_NS6detail15normal_iteratorINSA_7pointerItNSA_11hip_rocprim3tagENSA_11use_defaultESG_EEEEPS6_NSA_18transform_iteratorI7is_evenItENSC_INSA_10device_ptrItEEEESG_SG_EENS0_5tupleIJPtSJ_EEENSR_IJSJ_SJ_EEES6_PlJS6_EEE10hipError_tPvRmT3_T4_T5_T6_T7_T9_mT8_P12ihipStream_tbDpT10_ENKUlT_T0_E_clISt17integral_constantIbLb1EES1F_EEDaS1A_S1B_EUlS1A_E_NS1_11comp_targetILNS1_3genE2ELNS1_11target_archE906ELNS1_3gpuE6ELNS1_3repE0EEENS1_30default_config_static_selectorELNS0_4arch9wavefront6targetE1EEEvT1_,@function
_ZN7rocprim17ROCPRIM_400000_NS6detail17trampoline_kernelINS0_14default_configENS1_25partition_config_selectorILNS1_17partition_subalgoE2EtNS0_10empty_typeEbEEZZNS1_14partition_implILS5_2ELb0ES3_jN6thrust23THRUST_200600_302600_NS6detail15normal_iteratorINSA_7pointerItNSA_11hip_rocprim3tagENSA_11use_defaultESG_EEEEPS6_NSA_18transform_iteratorI7is_evenItENSC_INSA_10device_ptrItEEEESG_SG_EENS0_5tupleIJPtSJ_EEENSR_IJSJ_SJ_EEES6_PlJS6_EEE10hipError_tPvRmT3_T4_T5_T6_T7_T9_mT8_P12ihipStream_tbDpT10_ENKUlT_T0_E_clISt17integral_constantIbLb1EES1F_EEDaS1A_S1B_EUlS1A_E_NS1_11comp_targetILNS1_3genE2ELNS1_11target_archE906ELNS1_3gpuE6ELNS1_3repE0EEENS1_30default_config_static_selectorELNS0_4arch9wavefront6targetE1EEEvT1_: ; @_ZN7rocprim17ROCPRIM_400000_NS6detail17trampoline_kernelINS0_14default_configENS1_25partition_config_selectorILNS1_17partition_subalgoE2EtNS0_10empty_typeEbEEZZNS1_14partition_implILS5_2ELb0ES3_jN6thrust23THRUST_200600_302600_NS6detail15normal_iteratorINSA_7pointerItNSA_11hip_rocprim3tagENSA_11use_defaultESG_EEEEPS6_NSA_18transform_iteratorI7is_evenItENSC_INSA_10device_ptrItEEEESG_SG_EENS0_5tupleIJPtSJ_EEENSR_IJSJ_SJ_EEES6_PlJS6_EEE10hipError_tPvRmT3_T4_T5_T6_T7_T9_mT8_P12ihipStream_tbDpT10_ENKUlT_T0_E_clISt17integral_constantIbLb1EES1F_EEDaS1A_S1B_EUlS1A_E_NS1_11comp_targetILNS1_3genE2ELNS1_11target_archE906ELNS1_3gpuE6ELNS1_3repE0EEENS1_30default_config_static_selectorELNS0_4arch9wavefront6targetE1EEEvT1_
; %bb.0:
	.section	.rodata,"a",@progbits
	.p2align	6, 0x0
	.amdhsa_kernel _ZN7rocprim17ROCPRIM_400000_NS6detail17trampoline_kernelINS0_14default_configENS1_25partition_config_selectorILNS1_17partition_subalgoE2EtNS0_10empty_typeEbEEZZNS1_14partition_implILS5_2ELb0ES3_jN6thrust23THRUST_200600_302600_NS6detail15normal_iteratorINSA_7pointerItNSA_11hip_rocprim3tagENSA_11use_defaultESG_EEEEPS6_NSA_18transform_iteratorI7is_evenItENSC_INSA_10device_ptrItEEEESG_SG_EENS0_5tupleIJPtSJ_EEENSR_IJSJ_SJ_EEES6_PlJS6_EEE10hipError_tPvRmT3_T4_T5_T6_T7_T9_mT8_P12ihipStream_tbDpT10_ENKUlT_T0_E_clISt17integral_constantIbLb1EES1F_EEDaS1A_S1B_EUlS1A_E_NS1_11comp_targetILNS1_3genE2ELNS1_11target_archE906ELNS1_3gpuE6ELNS1_3repE0EEENS1_30default_config_static_selectorELNS0_4arch9wavefront6targetE1EEEvT1_
		.amdhsa_group_segment_fixed_size 0
		.amdhsa_private_segment_fixed_size 0
		.amdhsa_kernarg_size 144
		.amdhsa_user_sgpr_count 6
		.amdhsa_user_sgpr_private_segment_buffer 1
		.amdhsa_user_sgpr_dispatch_ptr 0
		.amdhsa_user_sgpr_queue_ptr 0
		.amdhsa_user_sgpr_kernarg_segment_ptr 1
		.amdhsa_user_sgpr_dispatch_id 0
		.amdhsa_user_sgpr_flat_scratch_init 0
		.amdhsa_user_sgpr_kernarg_preload_length 0
		.amdhsa_user_sgpr_kernarg_preload_offset 0
		.amdhsa_user_sgpr_private_segment_size 0
		.amdhsa_uses_dynamic_stack 0
		.amdhsa_system_sgpr_private_segment_wavefront_offset 0
		.amdhsa_system_sgpr_workgroup_id_x 1
		.amdhsa_system_sgpr_workgroup_id_y 0
		.amdhsa_system_sgpr_workgroup_id_z 0
		.amdhsa_system_sgpr_workgroup_info 0
		.amdhsa_system_vgpr_workitem_id 0
		.amdhsa_next_free_vgpr 1
		.amdhsa_next_free_sgpr 0
		.amdhsa_accum_offset 4
		.amdhsa_reserve_vcc 0
		.amdhsa_reserve_flat_scratch 0
		.amdhsa_float_round_mode_32 0
		.amdhsa_float_round_mode_16_64 0
		.amdhsa_float_denorm_mode_32 3
		.amdhsa_float_denorm_mode_16_64 3
		.amdhsa_dx10_clamp 1
		.amdhsa_ieee_mode 1
		.amdhsa_fp16_overflow 0
		.amdhsa_tg_split 0
		.amdhsa_exception_fp_ieee_invalid_op 0
		.amdhsa_exception_fp_denorm_src 0
		.amdhsa_exception_fp_ieee_div_zero 0
		.amdhsa_exception_fp_ieee_overflow 0
		.amdhsa_exception_fp_ieee_underflow 0
		.amdhsa_exception_fp_ieee_inexact 0
		.amdhsa_exception_int_div_zero 0
	.end_amdhsa_kernel
	.section	.text._ZN7rocprim17ROCPRIM_400000_NS6detail17trampoline_kernelINS0_14default_configENS1_25partition_config_selectorILNS1_17partition_subalgoE2EtNS0_10empty_typeEbEEZZNS1_14partition_implILS5_2ELb0ES3_jN6thrust23THRUST_200600_302600_NS6detail15normal_iteratorINSA_7pointerItNSA_11hip_rocprim3tagENSA_11use_defaultESG_EEEEPS6_NSA_18transform_iteratorI7is_evenItENSC_INSA_10device_ptrItEEEESG_SG_EENS0_5tupleIJPtSJ_EEENSR_IJSJ_SJ_EEES6_PlJS6_EEE10hipError_tPvRmT3_T4_T5_T6_T7_T9_mT8_P12ihipStream_tbDpT10_ENKUlT_T0_E_clISt17integral_constantIbLb1EES1F_EEDaS1A_S1B_EUlS1A_E_NS1_11comp_targetILNS1_3genE2ELNS1_11target_archE906ELNS1_3gpuE6ELNS1_3repE0EEENS1_30default_config_static_selectorELNS0_4arch9wavefront6targetE1EEEvT1_,"axG",@progbits,_ZN7rocprim17ROCPRIM_400000_NS6detail17trampoline_kernelINS0_14default_configENS1_25partition_config_selectorILNS1_17partition_subalgoE2EtNS0_10empty_typeEbEEZZNS1_14partition_implILS5_2ELb0ES3_jN6thrust23THRUST_200600_302600_NS6detail15normal_iteratorINSA_7pointerItNSA_11hip_rocprim3tagENSA_11use_defaultESG_EEEEPS6_NSA_18transform_iteratorI7is_evenItENSC_INSA_10device_ptrItEEEESG_SG_EENS0_5tupleIJPtSJ_EEENSR_IJSJ_SJ_EEES6_PlJS6_EEE10hipError_tPvRmT3_T4_T5_T6_T7_T9_mT8_P12ihipStream_tbDpT10_ENKUlT_T0_E_clISt17integral_constantIbLb1EES1F_EEDaS1A_S1B_EUlS1A_E_NS1_11comp_targetILNS1_3genE2ELNS1_11target_archE906ELNS1_3gpuE6ELNS1_3repE0EEENS1_30default_config_static_selectorELNS0_4arch9wavefront6targetE1EEEvT1_,comdat
.Lfunc_end2082:
	.size	_ZN7rocprim17ROCPRIM_400000_NS6detail17trampoline_kernelINS0_14default_configENS1_25partition_config_selectorILNS1_17partition_subalgoE2EtNS0_10empty_typeEbEEZZNS1_14partition_implILS5_2ELb0ES3_jN6thrust23THRUST_200600_302600_NS6detail15normal_iteratorINSA_7pointerItNSA_11hip_rocprim3tagENSA_11use_defaultESG_EEEEPS6_NSA_18transform_iteratorI7is_evenItENSC_INSA_10device_ptrItEEEESG_SG_EENS0_5tupleIJPtSJ_EEENSR_IJSJ_SJ_EEES6_PlJS6_EEE10hipError_tPvRmT3_T4_T5_T6_T7_T9_mT8_P12ihipStream_tbDpT10_ENKUlT_T0_E_clISt17integral_constantIbLb1EES1F_EEDaS1A_S1B_EUlS1A_E_NS1_11comp_targetILNS1_3genE2ELNS1_11target_archE906ELNS1_3gpuE6ELNS1_3repE0EEENS1_30default_config_static_selectorELNS0_4arch9wavefront6targetE1EEEvT1_, .Lfunc_end2082-_ZN7rocprim17ROCPRIM_400000_NS6detail17trampoline_kernelINS0_14default_configENS1_25partition_config_selectorILNS1_17partition_subalgoE2EtNS0_10empty_typeEbEEZZNS1_14partition_implILS5_2ELb0ES3_jN6thrust23THRUST_200600_302600_NS6detail15normal_iteratorINSA_7pointerItNSA_11hip_rocprim3tagENSA_11use_defaultESG_EEEEPS6_NSA_18transform_iteratorI7is_evenItENSC_INSA_10device_ptrItEEEESG_SG_EENS0_5tupleIJPtSJ_EEENSR_IJSJ_SJ_EEES6_PlJS6_EEE10hipError_tPvRmT3_T4_T5_T6_T7_T9_mT8_P12ihipStream_tbDpT10_ENKUlT_T0_E_clISt17integral_constantIbLb1EES1F_EEDaS1A_S1B_EUlS1A_E_NS1_11comp_targetILNS1_3genE2ELNS1_11target_archE906ELNS1_3gpuE6ELNS1_3repE0EEENS1_30default_config_static_selectorELNS0_4arch9wavefront6targetE1EEEvT1_
                                        ; -- End function
	.section	.AMDGPU.csdata,"",@progbits
; Kernel info:
; codeLenInByte = 0
; NumSgprs: 4
; NumVgprs: 0
; NumAgprs: 0
; TotalNumVgprs: 0
; ScratchSize: 0
; MemoryBound: 0
; FloatMode: 240
; IeeeMode: 1
; LDSByteSize: 0 bytes/workgroup (compile time only)
; SGPRBlocks: 0
; VGPRBlocks: 0
; NumSGPRsForWavesPerEU: 4
; NumVGPRsForWavesPerEU: 1
; AccumOffset: 4
; Occupancy: 8
; WaveLimiterHint : 0
; COMPUTE_PGM_RSRC2:SCRATCH_EN: 0
; COMPUTE_PGM_RSRC2:USER_SGPR: 6
; COMPUTE_PGM_RSRC2:TRAP_HANDLER: 0
; COMPUTE_PGM_RSRC2:TGID_X_EN: 1
; COMPUTE_PGM_RSRC2:TGID_Y_EN: 0
; COMPUTE_PGM_RSRC2:TGID_Z_EN: 0
; COMPUTE_PGM_RSRC2:TIDIG_COMP_CNT: 0
; COMPUTE_PGM_RSRC3_GFX90A:ACCUM_OFFSET: 0
; COMPUTE_PGM_RSRC3_GFX90A:TG_SPLIT: 0
	.section	.text._ZN7rocprim17ROCPRIM_400000_NS6detail17trampoline_kernelINS0_14default_configENS1_25partition_config_selectorILNS1_17partition_subalgoE2EtNS0_10empty_typeEbEEZZNS1_14partition_implILS5_2ELb0ES3_jN6thrust23THRUST_200600_302600_NS6detail15normal_iteratorINSA_7pointerItNSA_11hip_rocprim3tagENSA_11use_defaultESG_EEEEPS6_NSA_18transform_iteratorI7is_evenItENSC_INSA_10device_ptrItEEEESG_SG_EENS0_5tupleIJPtSJ_EEENSR_IJSJ_SJ_EEES6_PlJS6_EEE10hipError_tPvRmT3_T4_T5_T6_T7_T9_mT8_P12ihipStream_tbDpT10_ENKUlT_T0_E_clISt17integral_constantIbLb1EES1F_EEDaS1A_S1B_EUlS1A_E_NS1_11comp_targetILNS1_3genE10ELNS1_11target_archE1200ELNS1_3gpuE4ELNS1_3repE0EEENS1_30default_config_static_selectorELNS0_4arch9wavefront6targetE1EEEvT1_,"axG",@progbits,_ZN7rocprim17ROCPRIM_400000_NS6detail17trampoline_kernelINS0_14default_configENS1_25partition_config_selectorILNS1_17partition_subalgoE2EtNS0_10empty_typeEbEEZZNS1_14partition_implILS5_2ELb0ES3_jN6thrust23THRUST_200600_302600_NS6detail15normal_iteratorINSA_7pointerItNSA_11hip_rocprim3tagENSA_11use_defaultESG_EEEEPS6_NSA_18transform_iteratorI7is_evenItENSC_INSA_10device_ptrItEEEESG_SG_EENS0_5tupleIJPtSJ_EEENSR_IJSJ_SJ_EEES6_PlJS6_EEE10hipError_tPvRmT3_T4_T5_T6_T7_T9_mT8_P12ihipStream_tbDpT10_ENKUlT_T0_E_clISt17integral_constantIbLb1EES1F_EEDaS1A_S1B_EUlS1A_E_NS1_11comp_targetILNS1_3genE10ELNS1_11target_archE1200ELNS1_3gpuE4ELNS1_3repE0EEENS1_30default_config_static_selectorELNS0_4arch9wavefront6targetE1EEEvT1_,comdat
	.protected	_ZN7rocprim17ROCPRIM_400000_NS6detail17trampoline_kernelINS0_14default_configENS1_25partition_config_selectorILNS1_17partition_subalgoE2EtNS0_10empty_typeEbEEZZNS1_14partition_implILS5_2ELb0ES3_jN6thrust23THRUST_200600_302600_NS6detail15normal_iteratorINSA_7pointerItNSA_11hip_rocprim3tagENSA_11use_defaultESG_EEEEPS6_NSA_18transform_iteratorI7is_evenItENSC_INSA_10device_ptrItEEEESG_SG_EENS0_5tupleIJPtSJ_EEENSR_IJSJ_SJ_EEES6_PlJS6_EEE10hipError_tPvRmT3_T4_T5_T6_T7_T9_mT8_P12ihipStream_tbDpT10_ENKUlT_T0_E_clISt17integral_constantIbLb1EES1F_EEDaS1A_S1B_EUlS1A_E_NS1_11comp_targetILNS1_3genE10ELNS1_11target_archE1200ELNS1_3gpuE4ELNS1_3repE0EEENS1_30default_config_static_selectorELNS0_4arch9wavefront6targetE1EEEvT1_ ; -- Begin function _ZN7rocprim17ROCPRIM_400000_NS6detail17trampoline_kernelINS0_14default_configENS1_25partition_config_selectorILNS1_17partition_subalgoE2EtNS0_10empty_typeEbEEZZNS1_14partition_implILS5_2ELb0ES3_jN6thrust23THRUST_200600_302600_NS6detail15normal_iteratorINSA_7pointerItNSA_11hip_rocprim3tagENSA_11use_defaultESG_EEEEPS6_NSA_18transform_iteratorI7is_evenItENSC_INSA_10device_ptrItEEEESG_SG_EENS0_5tupleIJPtSJ_EEENSR_IJSJ_SJ_EEES6_PlJS6_EEE10hipError_tPvRmT3_T4_T5_T6_T7_T9_mT8_P12ihipStream_tbDpT10_ENKUlT_T0_E_clISt17integral_constantIbLb1EES1F_EEDaS1A_S1B_EUlS1A_E_NS1_11comp_targetILNS1_3genE10ELNS1_11target_archE1200ELNS1_3gpuE4ELNS1_3repE0EEENS1_30default_config_static_selectorELNS0_4arch9wavefront6targetE1EEEvT1_
	.globl	_ZN7rocprim17ROCPRIM_400000_NS6detail17trampoline_kernelINS0_14default_configENS1_25partition_config_selectorILNS1_17partition_subalgoE2EtNS0_10empty_typeEbEEZZNS1_14partition_implILS5_2ELb0ES3_jN6thrust23THRUST_200600_302600_NS6detail15normal_iteratorINSA_7pointerItNSA_11hip_rocprim3tagENSA_11use_defaultESG_EEEEPS6_NSA_18transform_iteratorI7is_evenItENSC_INSA_10device_ptrItEEEESG_SG_EENS0_5tupleIJPtSJ_EEENSR_IJSJ_SJ_EEES6_PlJS6_EEE10hipError_tPvRmT3_T4_T5_T6_T7_T9_mT8_P12ihipStream_tbDpT10_ENKUlT_T0_E_clISt17integral_constantIbLb1EES1F_EEDaS1A_S1B_EUlS1A_E_NS1_11comp_targetILNS1_3genE10ELNS1_11target_archE1200ELNS1_3gpuE4ELNS1_3repE0EEENS1_30default_config_static_selectorELNS0_4arch9wavefront6targetE1EEEvT1_
	.p2align	8
	.type	_ZN7rocprim17ROCPRIM_400000_NS6detail17trampoline_kernelINS0_14default_configENS1_25partition_config_selectorILNS1_17partition_subalgoE2EtNS0_10empty_typeEbEEZZNS1_14partition_implILS5_2ELb0ES3_jN6thrust23THRUST_200600_302600_NS6detail15normal_iteratorINSA_7pointerItNSA_11hip_rocprim3tagENSA_11use_defaultESG_EEEEPS6_NSA_18transform_iteratorI7is_evenItENSC_INSA_10device_ptrItEEEESG_SG_EENS0_5tupleIJPtSJ_EEENSR_IJSJ_SJ_EEES6_PlJS6_EEE10hipError_tPvRmT3_T4_T5_T6_T7_T9_mT8_P12ihipStream_tbDpT10_ENKUlT_T0_E_clISt17integral_constantIbLb1EES1F_EEDaS1A_S1B_EUlS1A_E_NS1_11comp_targetILNS1_3genE10ELNS1_11target_archE1200ELNS1_3gpuE4ELNS1_3repE0EEENS1_30default_config_static_selectorELNS0_4arch9wavefront6targetE1EEEvT1_,@function
_ZN7rocprim17ROCPRIM_400000_NS6detail17trampoline_kernelINS0_14default_configENS1_25partition_config_selectorILNS1_17partition_subalgoE2EtNS0_10empty_typeEbEEZZNS1_14partition_implILS5_2ELb0ES3_jN6thrust23THRUST_200600_302600_NS6detail15normal_iteratorINSA_7pointerItNSA_11hip_rocprim3tagENSA_11use_defaultESG_EEEEPS6_NSA_18transform_iteratorI7is_evenItENSC_INSA_10device_ptrItEEEESG_SG_EENS0_5tupleIJPtSJ_EEENSR_IJSJ_SJ_EEES6_PlJS6_EEE10hipError_tPvRmT3_T4_T5_T6_T7_T9_mT8_P12ihipStream_tbDpT10_ENKUlT_T0_E_clISt17integral_constantIbLb1EES1F_EEDaS1A_S1B_EUlS1A_E_NS1_11comp_targetILNS1_3genE10ELNS1_11target_archE1200ELNS1_3gpuE4ELNS1_3repE0EEENS1_30default_config_static_selectorELNS0_4arch9wavefront6targetE1EEEvT1_: ; @_ZN7rocprim17ROCPRIM_400000_NS6detail17trampoline_kernelINS0_14default_configENS1_25partition_config_selectorILNS1_17partition_subalgoE2EtNS0_10empty_typeEbEEZZNS1_14partition_implILS5_2ELb0ES3_jN6thrust23THRUST_200600_302600_NS6detail15normal_iteratorINSA_7pointerItNSA_11hip_rocprim3tagENSA_11use_defaultESG_EEEEPS6_NSA_18transform_iteratorI7is_evenItENSC_INSA_10device_ptrItEEEESG_SG_EENS0_5tupleIJPtSJ_EEENSR_IJSJ_SJ_EEES6_PlJS6_EEE10hipError_tPvRmT3_T4_T5_T6_T7_T9_mT8_P12ihipStream_tbDpT10_ENKUlT_T0_E_clISt17integral_constantIbLb1EES1F_EEDaS1A_S1B_EUlS1A_E_NS1_11comp_targetILNS1_3genE10ELNS1_11target_archE1200ELNS1_3gpuE4ELNS1_3repE0EEENS1_30default_config_static_selectorELNS0_4arch9wavefront6targetE1EEEvT1_
; %bb.0:
	.section	.rodata,"a",@progbits
	.p2align	6, 0x0
	.amdhsa_kernel _ZN7rocprim17ROCPRIM_400000_NS6detail17trampoline_kernelINS0_14default_configENS1_25partition_config_selectorILNS1_17partition_subalgoE2EtNS0_10empty_typeEbEEZZNS1_14partition_implILS5_2ELb0ES3_jN6thrust23THRUST_200600_302600_NS6detail15normal_iteratorINSA_7pointerItNSA_11hip_rocprim3tagENSA_11use_defaultESG_EEEEPS6_NSA_18transform_iteratorI7is_evenItENSC_INSA_10device_ptrItEEEESG_SG_EENS0_5tupleIJPtSJ_EEENSR_IJSJ_SJ_EEES6_PlJS6_EEE10hipError_tPvRmT3_T4_T5_T6_T7_T9_mT8_P12ihipStream_tbDpT10_ENKUlT_T0_E_clISt17integral_constantIbLb1EES1F_EEDaS1A_S1B_EUlS1A_E_NS1_11comp_targetILNS1_3genE10ELNS1_11target_archE1200ELNS1_3gpuE4ELNS1_3repE0EEENS1_30default_config_static_selectorELNS0_4arch9wavefront6targetE1EEEvT1_
		.amdhsa_group_segment_fixed_size 0
		.amdhsa_private_segment_fixed_size 0
		.amdhsa_kernarg_size 144
		.amdhsa_user_sgpr_count 6
		.amdhsa_user_sgpr_private_segment_buffer 1
		.amdhsa_user_sgpr_dispatch_ptr 0
		.amdhsa_user_sgpr_queue_ptr 0
		.amdhsa_user_sgpr_kernarg_segment_ptr 1
		.amdhsa_user_sgpr_dispatch_id 0
		.amdhsa_user_sgpr_flat_scratch_init 0
		.amdhsa_user_sgpr_kernarg_preload_length 0
		.amdhsa_user_sgpr_kernarg_preload_offset 0
		.amdhsa_user_sgpr_private_segment_size 0
		.amdhsa_uses_dynamic_stack 0
		.amdhsa_system_sgpr_private_segment_wavefront_offset 0
		.amdhsa_system_sgpr_workgroup_id_x 1
		.amdhsa_system_sgpr_workgroup_id_y 0
		.amdhsa_system_sgpr_workgroup_id_z 0
		.amdhsa_system_sgpr_workgroup_info 0
		.amdhsa_system_vgpr_workitem_id 0
		.amdhsa_next_free_vgpr 1
		.amdhsa_next_free_sgpr 0
		.amdhsa_accum_offset 4
		.amdhsa_reserve_vcc 0
		.amdhsa_reserve_flat_scratch 0
		.amdhsa_float_round_mode_32 0
		.amdhsa_float_round_mode_16_64 0
		.amdhsa_float_denorm_mode_32 3
		.amdhsa_float_denorm_mode_16_64 3
		.amdhsa_dx10_clamp 1
		.amdhsa_ieee_mode 1
		.amdhsa_fp16_overflow 0
		.amdhsa_tg_split 0
		.amdhsa_exception_fp_ieee_invalid_op 0
		.amdhsa_exception_fp_denorm_src 0
		.amdhsa_exception_fp_ieee_div_zero 0
		.amdhsa_exception_fp_ieee_overflow 0
		.amdhsa_exception_fp_ieee_underflow 0
		.amdhsa_exception_fp_ieee_inexact 0
		.amdhsa_exception_int_div_zero 0
	.end_amdhsa_kernel
	.section	.text._ZN7rocprim17ROCPRIM_400000_NS6detail17trampoline_kernelINS0_14default_configENS1_25partition_config_selectorILNS1_17partition_subalgoE2EtNS0_10empty_typeEbEEZZNS1_14partition_implILS5_2ELb0ES3_jN6thrust23THRUST_200600_302600_NS6detail15normal_iteratorINSA_7pointerItNSA_11hip_rocprim3tagENSA_11use_defaultESG_EEEEPS6_NSA_18transform_iteratorI7is_evenItENSC_INSA_10device_ptrItEEEESG_SG_EENS0_5tupleIJPtSJ_EEENSR_IJSJ_SJ_EEES6_PlJS6_EEE10hipError_tPvRmT3_T4_T5_T6_T7_T9_mT8_P12ihipStream_tbDpT10_ENKUlT_T0_E_clISt17integral_constantIbLb1EES1F_EEDaS1A_S1B_EUlS1A_E_NS1_11comp_targetILNS1_3genE10ELNS1_11target_archE1200ELNS1_3gpuE4ELNS1_3repE0EEENS1_30default_config_static_selectorELNS0_4arch9wavefront6targetE1EEEvT1_,"axG",@progbits,_ZN7rocprim17ROCPRIM_400000_NS6detail17trampoline_kernelINS0_14default_configENS1_25partition_config_selectorILNS1_17partition_subalgoE2EtNS0_10empty_typeEbEEZZNS1_14partition_implILS5_2ELb0ES3_jN6thrust23THRUST_200600_302600_NS6detail15normal_iteratorINSA_7pointerItNSA_11hip_rocprim3tagENSA_11use_defaultESG_EEEEPS6_NSA_18transform_iteratorI7is_evenItENSC_INSA_10device_ptrItEEEESG_SG_EENS0_5tupleIJPtSJ_EEENSR_IJSJ_SJ_EEES6_PlJS6_EEE10hipError_tPvRmT3_T4_T5_T6_T7_T9_mT8_P12ihipStream_tbDpT10_ENKUlT_T0_E_clISt17integral_constantIbLb1EES1F_EEDaS1A_S1B_EUlS1A_E_NS1_11comp_targetILNS1_3genE10ELNS1_11target_archE1200ELNS1_3gpuE4ELNS1_3repE0EEENS1_30default_config_static_selectorELNS0_4arch9wavefront6targetE1EEEvT1_,comdat
.Lfunc_end2083:
	.size	_ZN7rocprim17ROCPRIM_400000_NS6detail17trampoline_kernelINS0_14default_configENS1_25partition_config_selectorILNS1_17partition_subalgoE2EtNS0_10empty_typeEbEEZZNS1_14partition_implILS5_2ELb0ES3_jN6thrust23THRUST_200600_302600_NS6detail15normal_iteratorINSA_7pointerItNSA_11hip_rocprim3tagENSA_11use_defaultESG_EEEEPS6_NSA_18transform_iteratorI7is_evenItENSC_INSA_10device_ptrItEEEESG_SG_EENS0_5tupleIJPtSJ_EEENSR_IJSJ_SJ_EEES6_PlJS6_EEE10hipError_tPvRmT3_T4_T5_T6_T7_T9_mT8_P12ihipStream_tbDpT10_ENKUlT_T0_E_clISt17integral_constantIbLb1EES1F_EEDaS1A_S1B_EUlS1A_E_NS1_11comp_targetILNS1_3genE10ELNS1_11target_archE1200ELNS1_3gpuE4ELNS1_3repE0EEENS1_30default_config_static_selectorELNS0_4arch9wavefront6targetE1EEEvT1_, .Lfunc_end2083-_ZN7rocprim17ROCPRIM_400000_NS6detail17trampoline_kernelINS0_14default_configENS1_25partition_config_selectorILNS1_17partition_subalgoE2EtNS0_10empty_typeEbEEZZNS1_14partition_implILS5_2ELb0ES3_jN6thrust23THRUST_200600_302600_NS6detail15normal_iteratorINSA_7pointerItNSA_11hip_rocprim3tagENSA_11use_defaultESG_EEEEPS6_NSA_18transform_iteratorI7is_evenItENSC_INSA_10device_ptrItEEEESG_SG_EENS0_5tupleIJPtSJ_EEENSR_IJSJ_SJ_EEES6_PlJS6_EEE10hipError_tPvRmT3_T4_T5_T6_T7_T9_mT8_P12ihipStream_tbDpT10_ENKUlT_T0_E_clISt17integral_constantIbLb1EES1F_EEDaS1A_S1B_EUlS1A_E_NS1_11comp_targetILNS1_3genE10ELNS1_11target_archE1200ELNS1_3gpuE4ELNS1_3repE0EEENS1_30default_config_static_selectorELNS0_4arch9wavefront6targetE1EEEvT1_
                                        ; -- End function
	.section	.AMDGPU.csdata,"",@progbits
; Kernel info:
; codeLenInByte = 0
; NumSgprs: 4
; NumVgprs: 0
; NumAgprs: 0
; TotalNumVgprs: 0
; ScratchSize: 0
; MemoryBound: 0
; FloatMode: 240
; IeeeMode: 1
; LDSByteSize: 0 bytes/workgroup (compile time only)
; SGPRBlocks: 0
; VGPRBlocks: 0
; NumSGPRsForWavesPerEU: 4
; NumVGPRsForWavesPerEU: 1
; AccumOffset: 4
; Occupancy: 8
; WaveLimiterHint : 0
; COMPUTE_PGM_RSRC2:SCRATCH_EN: 0
; COMPUTE_PGM_RSRC2:USER_SGPR: 6
; COMPUTE_PGM_RSRC2:TRAP_HANDLER: 0
; COMPUTE_PGM_RSRC2:TGID_X_EN: 1
; COMPUTE_PGM_RSRC2:TGID_Y_EN: 0
; COMPUTE_PGM_RSRC2:TGID_Z_EN: 0
; COMPUTE_PGM_RSRC2:TIDIG_COMP_CNT: 0
; COMPUTE_PGM_RSRC3_GFX90A:ACCUM_OFFSET: 0
; COMPUTE_PGM_RSRC3_GFX90A:TG_SPLIT: 0
	.section	.text._ZN7rocprim17ROCPRIM_400000_NS6detail17trampoline_kernelINS0_14default_configENS1_25partition_config_selectorILNS1_17partition_subalgoE2EtNS0_10empty_typeEbEEZZNS1_14partition_implILS5_2ELb0ES3_jN6thrust23THRUST_200600_302600_NS6detail15normal_iteratorINSA_7pointerItNSA_11hip_rocprim3tagENSA_11use_defaultESG_EEEEPS6_NSA_18transform_iteratorI7is_evenItENSC_INSA_10device_ptrItEEEESG_SG_EENS0_5tupleIJPtSJ_EEENSR_IJSJ_SJ_EEES6_PlJS6_EEE10hipError_tPvRmT3_T4_T5_T6_T7_T9_mT8_P12ihipStream_tbDpT10_ENKUlT_T0_E_clISt17integral_constantIbLb1EES1F_EEDaS1A_S1B_EUlS1A_E_NS1_11comp_targetILNS1_3genE9ELNS1_11target_archE1100ELNS1_3gpuE3ELNS1_3repE0EEENS1_30default_config_static_selectorELNS0_4arch9wavefront6targetE1EEEvT1_,"axG",@progbits,_ZN7rocprim17ROCPRIM_400000_NS6detail17trampoline_kernelINS0_14default_configENS1_25partition_config_selectorILNS1_17partition_subalgoE2EtNS0_10empty_typeEbEEZZNS1_14partition_implILS5_2ELb0ES3_jN6thrust23THRUST_200600_302600_NS6detail15normal_iteratorINSA_7pointerItNSA_11hip_rocprim3tagENSA_11use_defaultESG_EEEEPS6_NSA_18transform_iteratorI7is_evenItENSC_INSA_10device_ptrItEEEESG_SG_EENS0_5tupleIJPtSJ_EEENSR_IJSJ_SJ_EEES6_PlJS6_EEE10hipError_tPvRmT3_T4_T5_T6_T7_T9_mT8_P12ihipStream_tbDpT10_ENKUlT_T0_E_clISt17integral_constantIbLb1EES1F_EEDaS1A_S1B_EUlS1A_E_NS1_11comp_targetILNS1_3genE9ELNS1_11target_archE1100ELNS1_3gpuE3ELNS1_3repE0EEENS1_30default_config_static_selectorELNS0_4arch9wavefront6targetE1EEEvT1_,comdat
	.protected	_ZN7rocprim17ROCPRIM_400000_NS6detail17trampoline_kernelINS0_14default_configENS1_25partition_config_selectorILNS1_17partition_subalgoE2EtNS0_10empty_typeEbEEZZNS1_14partition_implILS5_2ELb0ES3_jN6thrust23THRUST_200600_302600_NS6detail15normal_iteratorINSA_7pointerItNSA_11hip_rocprim3tagENSA_11use_defaultESG_EEEEPS6_NSA_18transform_iteratorI7is_evenItENSC_INSA_10device_ptrItEEEESG_SG_EENS0_5tupleIJPtSJ_EEENSR_IJSJ_SJ_EEES6_PlJS6_EEE10hipError_tPvRmT3_T4_T5_T6_T7_T9_mT8_P12ihipStream_tbDpT10_ENKUlT_T0_E_clISt17integral_constantIbLb1EES1F_EEDaS1A_S1B_EUlS1A_E_NS1_11comp_targetILNS1_3genE9ELNS1_11target_archE1100ELNS1_3gpuE3ELNS1_3repE0EEENS1_30default_config_static_selectorELNS0_4arch9wavefront6targetE1EEEvT1_ ; -- Begin function _ZN7rocprim17ROCPRIM_400000_NS6detail17trampoline_kernelINS0_14default_configENS1_25partition_config_selectorILNS1_17partition_subalgoE2EtNS0_10empty_typeEbEEZZNS1_14partition_implILS5_2ELb0ES3_jN6thrust23THRUST_200600_302600_NS6detail15normal_iteratorINSA_7pointerItNSA_11hip_rocprim3tagENSA_11use_defaultESG_EEEEPS6_NSA_18transform_iteratorI7is_evenItENSC_INSA_10device_ptrItEEEESG_SG_EENS0_5tupleIJPtSJ_EEENSR_IJSJ_SJ_EEES6_PlJS6_EEE10hipError_tPvRmT3_T4_T5_T6_T7_T9_mT8_P12ihipStream_tbDpT10_ENKUlT_T0_E_clISt17integral_constantIbLb1EES1F_EEDaS1A_S1B_EUlS1A_E_NS1_11comp_targetILNS1_3genE9ELNS1_11target_archE1100ELNS1_3gpuE3ELNS1_3repE0EEENS1_30default_config_static_selectorELNS0_4arch9wavefront6targetE1EEEvT1_
	.globl	_ZN7rocprim17ROCPRIM_400000_NS6detail17trampoline_kernelINS0_14default_configENS1_25partition_config_selectorILNS1_17partition_subalgoE2EtNS0_10empty_typeEbEEZZNS1_14partition_implILS5_2ELb0ES3_jN6thrust23THRUST_200600_302600_NS6detail15normal_iteratorINSA_7pointerItNSA_11hip_rocprim3tagENSA_11use_defaultESG_EEEEPS6_NSA_18transform_iteratorI7is_evenItENSC_INSA_10device_ptrItEEEESG_SG_EENS0_5tupleIJPtSJ_EEENSR_IJSJ_SJ_EEES6_PlJS6_EEE10hipError_tPvRmT3_T4_T5_T6_T7_T9_mT8_P12ihipStream_tbDpT10_ENKUlT_T0_E_clISt17integral_constantIbLb1EES1F_EEDaS1A_S1B_EUlS1A_E_NS1_11comp_targetILNS1_3genE9ELNS1_11target_archE1100ELNS1_3gpuE3ELNS1_3repE0EEENS1_30default_config_static_selectorELNS0_4arch9wavefront6targetE1EEEvT1_
	.p2align	8
	.type	_ZN7rocprim17ROCPRIM_400000_NS6detail17trampoline_kernelINS0_14default_configENS1_25partition_config_selectorILNS1_17partition_subalgoE2EtNS0_10empty_typeEbEEZZNS1_14partition_implILS5_2ELb0ES3_jN6thrust23THRUST_200600_302600_NS6detail15normal_iteratorINSA_7pointerItNSA_11hip_rocprim3tagENSA_11use_defaultESG_EEEEPS6_NSA_18transform_iteratorI7is_evenItENSC_INSA_10device_ptrItEEEESG_SG_EENS0_5tupleIJPtSJ_EEENSR_IJSJ_SJ_EEES6_PlJS6_EEE10hipError_tPvRmT3_T4_T5_T6_T7_T9_mT8_P12ihipStream_tbDpT10_ENKUlT_T0_E_clISt17integral_constantIbLb1EES1F_EEDaS1A_S1B_EUlS1A_E_NS1_11comp_targetILNS1_3genE9ELNS1_11target_archE1100ELNS1_3gpuE3ELNS1_3repE0EEENS1_30default_config_static_selectorELNS0_4arch9wavefront6targetE1EEEvT1_,@function
_ZN7rocprim17ROCPRIM_400000_NS6detail17trampoline_kernelINS0_14default_configENS1_25partition_config_selectorILNS1_17partition_subalgoE2EtNS0_10empty_typeEbEEZZNS1_14partition_implILS5_2ELb0ES3_jN6thrust23THRUST_200600_302600_NS6detail15normal_iteratorINSA_7pointerItNSA_11hip_rocprim3tagENSA_11use_defaultESG_EEEEPS6_NSA_18transform_iteratorI7is_evenItENSC_INSA_10device_ptrItEEEESG_SG_EENS0_5tupleIJPtSJ_EEENSR_IJSJ_SJ_EEES6_PlJS6_EEE10hipError_tPvRmT3_T4_T5_T6_T7_T9_mT8_P12ihipStream_tbDpT10_ENKUlT_T0_E_clISt17integral_constantIbLb1EES1F_EEDaS1A_S1B_EUlS1A_E_NS1_11comp_targetILNS1_3genE9ELNS1_11target_archE1100ELNS1_3gpuE3ELNS1_3repE0EEENS1_30default_config_static_selectorELNS0_4arch9wavefront6targetE1EEEvT1_: ; @_ZN7rocprim17ROCPRIM_400000_NS6detail17trampoline_kernelINS0_14default_configENS1_25partition_config_selectorILNS1_17partition_subalgoE2EtNS0_10empty_typeEbEEZZNS1_14partition_implILS5_2ELb0ES3_jN6thrust23THRUST_200600_302600_NS6detail15normal_iteratorINSA_7pointerItNSA_11hip_rocprim3tagENSA_11use_defaultESG_EEEEPS6_NSA_18transform_iteratorI7is_evenItENSC_INSA_10device_ptrItEEEESG_SG_EENS0_5tupleIJPtSJ_EEENSR_IJSJ_SJ_EEES6_PlJS6_EEE10hipError_tPvRmT3_T4_T5_T6_T7_T9_mT8_P12ihipStream_tbDpT10_ENKUlT_T0_E_clISt17integral_constantIbLb1EES1F_EEDaS1A_S1B_EUlS1A_E_NS1_11comp_targetILNS1_3genE9ELNS1_11target_archE1100ELNS1_3gpuE3ELNS1_3repE0EEENS1_30default_config_static_selectorELNS0_4arch9wavefront6targetE1EEEvT1_
; %bb.0:
	.section	.rodata,"a",@progbits
	.p2align	6, 0x0
	.amdhsa_kernel _ZN7rocprim17ROCPRIM_400000_NS6detail17trampoline_kernelINS0_14default_configENS1_25partition_config_selectorILNS1_17partition_subalgoE2EtNS0_10empty_typeEbEEZZNS1_14partition_implILS5_2ELb0ES3_jN6thrust23THRUST_200600_302600_NS6detail15normal_iteratorINSA_7pointerItNSA_11hip_rocprim3tagENSA_11use_defaultESG_EEEEPS6_NSA_18transform_iteratorI7is_evenItENSC_INSA_10device_ptrItEEEESG_SG_EENS0_5tupleIJPtSJ_EEENSR_IJSJ_SJ_EEES6_PlJS6_EEE10hipError_tPvRmT3_T4_T5_T6_T7_T9_mT8_P12ihipStream_tbDpT10_ENKUlT_T0_E_clISt17integral_constantIbLb1EES1F_EEDaS1A_S1B_EUlS1A_E_NS1_11comp_targetILNS1_3genE9ELNS1_11target_archE1100ELNS1_3gpuE3ELNS1_3repE0EEENS1_30default_config_static_selectorELNS0_4arch9wavefront6targetE1EEEvT1_
		.amdhsa_group_segment_fixed_size 0
		.amdhsa_private_segment_fixed_size 0
		.amdhsa_kernarg_size 144
		.amdhsa_user_sgpr_count 6
		.amdhsa_user_sgpr_private_segment_buffer 1
		.amdhsa_user_sgpr_dispatch_ptr 0
		.amdhsa_user_sgpr_queue_ptr 0
		.amdhsa_user_sgpr_kernarg_segment_ptr 1
		.amdhsa_user_sgpr_dispatch_id 0
		.amdhsa_user_sgpr_flat_scratch_init 0
		.amdhsa_user_sgpr_kernarg_preload_length 0
		.amdhsa_user_sgpr_kernarg_preload_offset 0
		.amdhsa_user_sgpr_private_segment_size 0
		.amdhsa_uses_dynamic_stack 0
		.amdhsa_system_sgpr_private_segment_wavefront_offset 0
		.amdhsa_system_sgpr_workgroup_id_x 1
		.amdhsa_system_sgpr_workgroup_id_y 0
		.amdhsa_system_sgpr_workgroup_id_z 0
		.amdhsa_system_sgpr_workgroup_info 0
		.amdhsa_system_vgpr_workitem_id 0
		.amdhsa_next_free_vgpr 1
		.amdhsa_next_free_sgpr 0
		.amdhsa_accum_offset 4
		.amdhsa_reserve_vcc 0
		.amdhsa_reserve_flat_scratch 0
		.amdhsa_float_round_mode_32 0
		.amdhsa_float_round_mode_16_64 0
		.amdhsa_float_denorm_mode_32 3
		.amdhsa_float_denorm_mode_16_64 3
		.amdhsa_dx10_clamp 1
		.amdhsa_ieee_mode 1
		.amdhsa_fp16_overflow 0
		.amdhsa_tg_split 0
		.amdhsa_exception_fp_ieee_invalid_op 0
		.amdhsa_exception_fp_denorm_src 0
		.amdhsa_exception_fp_ieee_div_zero 0
		.amdhsa_exception_fp_ieee_overflow 0
		.amdhsa_exception_fp_ieee_underflow 0
		.amdhsa_exception_fp_ieee_inexact 0
		.amdhsa_exception_int_div_zero 0
	.end_amdhsa_kernel
	.section	.text._ZN7rocprim17ROCPRIM_400000_NS6detail17trampoline_kernelINS0_14default_configENS1_25partition_config_selectorILNS1_17partition_subalgoE2EtNS0_10empty_typeEbEEZZNS1_14partition_implILS5_2ELb0ES3_jN6thrust23THRUST_200600_302600_NS6detail15normal_iteratorINSA_7pointerItNSA_11hip_rocprim3tagENSA_11use_defaultESG_EEEEPS6_NSA_18transform_iteratorI7is_evenItENSC_INSA_10device_ptrItEEEESG_SG_EENS0_5tupleIJPtSJ_EEENSR_IJSJ_SJ_EEES6_PlJS6_EEE10hipError_tPvRmT3_T4_T5_T6_T7_T9_mT8_P12ihipStream_tbDpT10_ENKUlT_T0_E_clISt17integral_constantIbLb1EES1F_EEDaS1A_S1B_EUlS1A_E_NS1_11comp_targetILNS1_3genE9ELNS1_11target_archE1100ELNS1_3gpuE3ELNS1_3repE0EEENS1_30default_config_static_selectorELNS0_4arch9wavefront6targetE1EEEvT1_,"axG",@progbits,_ZN7rocprim17ROCPRIM_400000_NS6detail17trampoline_kernelINS0_14default_configENS1_25partition_config_selectorILNS1_17partition_subalgoE2EtNS0_10empty_typeEbEEZZNS1_14partition_implILS5_2ELb0ES3_jN6thrust23THRUST_200600_302600_NS6detail15normal_iteratorINSA_7pointerItNSA_11hip_rocprim3tagENSA_11use_defaultESG_EEEEPS6_NSA_18transform_iteratorI7is_evenItENSC_INSA_10device_ptrItEEEESG_SG_EENS0_5tupleIJPtSJ_EEENSR_IJSJ_SJ_EEES6_PlJS6_EEE10hipError_tPvRmT3_T4_T5_T6_T7_T9_mT8_P12ihipStream_tbDpT10_ENKUlT_T0_E_clISt17integral_constantIbLb1EES1F_EEDaS1A_S1B_EUlS1A_E_NS1_11comp_targetILNS1_3genE9ELNS1_11target_archE1100ELNS1_3gpuE3ELNS1_3repE0EEENS1_30default_config_static_selectorELNS0_4arch9wavefront6targetE1EEEvT1_,comdat
.Lfunc_end2084:
	.size	_ZN7rocprim17ROCPRIM_400000_NS6detail17trampoline_kernelINS0_14default_configENS1_25partition_config_selectorILNS1_17partition_subalgoE2EtNS0_10empty_typeEbEEZZNS1_14partition_implILS5_2ELb0ES3_jN6thrust23THRUST_200600_302600_NS6detail15normal_iteratorINSA_7pointerItNSA_11hip_rocprim3tagENSA_11use_defaultESG_EEEEPS6_NSA_18transform_iteratorI7is_evenItENSC_INSA_10device_ptrItEEEESG_SG_EENS0_5tupleIJPtSJ_EEENSR_IJSJ_SJ_EEES6_PlJS6_EEE10hipError_tPvRmT3_T4_T5_T6_T7_T9_mT8_P12ihipStream_tbDpT10_ENKUlT_T0_E_clISt17integral_constantIbLb1EES1F_EEDaS1A_S1B_EUlS1A_E_NS1_11comp_targetILNS1_3genE9ELNS1_11target_archE1100ELNS1_3gpuE3ELNS1_3repE0EEENS1_30default_config_static_selectorELNS0_4arch9wavefront6targetE1EEEvT1_, .Lfunc_end2084-_ZN7rocprim17ROCPRIM_400000_NS6detail17trampoline_kernelINS0_14default_configENS1_25partition_config_selectorILNS1_17partition_subalgoE2EtNS0_10empty_typeEbEEZZNS1_14partition_implILS5_2ELb0ES3_jN6thrust23THRUST_200600_302600_NS6detail15normal_iteratorINSA_7pointerItNSA_11hip_rocprim3tagENSA_11use_defaultESG_EEEEPS6_NSA_18transform_iteratorI7is_evenItENSC_INSA_10device_ptrItEEEESG_SG_EENS0_5tupleIJPtSJ_EEENSR_IJSJ_SJ_EEES6_PlJS6_EEE10hipError_tPvRmT3_T4_T5_T6_T7_T9_mT8_P12ihipStream_tbDpT10_ENKUlT_T0_E_clISt17integral_constantIbLb1EES1F_EEDaS1A_S1B_EUlS1A_E_NS1_11comp_targetILNS1_3genE9ELNS1_11target_archE1100ELNS1_3gpuE3ELNS1_3repE0EEENS1_30default_config_static_selectorELNS0_4arch9wavefront6targetE1EEEvT1_
                                        ; -- End function
	.section	.AMDGPU.csdata,"",@progbits
; Kernel info:
; codeLenInByte = 0
; NumSgprs: 4
; NumVgprs: 0
; NumAgprs: 0
; TotalNumVgprs: 0
; ScratchSize: 0
; MemoryBound: 0
; FloatMode: 240
; IeeeMode: 1
; LDSByteSize: 0 bytes/workgroup (compile time only)
; SGPRBlocks: 0
; VGPRBlocks: 0
; NumSGPRsForWavesPerEU: 4
; NumVGPRsForWavesPerEU: 1
; AccumOffset: 4
; Occupancy: 8
; WaveLimiterHint : 0
; COMPUTE_PGM_RSRC2:SCRATCH_EN: 0
; COMPUTE_PGM_RSRC2:USER_SGPR: 6
; COMPUTE_PGM_RSRC2:TRAP_HANDLER: 0
; COMPUTE_PGM_RSRC2:TGID_X_EN: 1
; COMPUTE_PGM_RSRC2:TGID_Y_EN: 0
; COMPUTE_PGM_RSRC2:TGID_Z_EN: 0
; COMPUTE_PGM_RSRC2:TIDIG_COMP_CNT: 0
; COMPUTE_PGM_RSRC3_GFX90A:ACCUM_OFFSET: 0
; COMPUTE_PGM_RSRC3_GFX90A:TG_SPLIT: 0
	.section	.text._ZN7rocprim17ROCPRIM_400000_NS6detail17trampoline_kernelINS0_14default_configENS1_25partition_config_selectorILNS1_17partition_subalgoE2EtNS0_10empty_typeEbEEZZNS1_14partition_implILS5_2ELb0ES3_jN6thrust23THRUST_200600_302600_NS6detail15normal_iteratorINSA_7pointerItNSA_11hip_rocprim3tagENSA_11use_defaultESG_EEEEPS6_NSA_18transform_iteratorI7is_evenItENSC_INSA_10device_ptrItEEEESG_SG_EENS0_5tupleIJPtSJ_EEENSR_IJSJ_SJ_EEES6_PlJS6_EEE10hipError_tPvRmT3_T4_T5_T6_T7_T9_mT8_P12ihipStream_tbDpT10_ENKUlT_T0_E_clISt17integral_constantIbLb1EES1F_EEDaS1A_S1B_EUlS1A_E_NS1_11comp_targetILNS1_3genE8ELNS1_11target_archE1030ELNS1_3gpuE2ELNS1_3repE0EEENS1_30default_config_static_selectorELNS0_4arch9wavefront6targetE1EEEvT1_,"axG",@progbits,_ZN7rocprim17ROCPRIM_400000_NS6detail17trampoline_kernelINS0_14default_configENS1_25partition_config_selectorILNS1_17partition_subalgoE2EtNS0_10empty_typeEbEEZZNS1_14partition_implILS5_2ELb0ES3_jN6thrust23THRUST_200600_302600_NS6detail15normal_iteratorINSA_7pointerItNSA_11hip_rocprim3tagENSA_11use_defaultESG_EEEEPS6_NSA_18transform_iteratorI7is_evenItENSC_INSA_10device_ptrItEEEESG_SG_EENS0_5tupleIJPtSJ_EEENSR_IJSJ_SJ_EEES6_PlJS6_EEE10hipError_tPvRmT3_T4_T5_T6_T7_T9_mT8_P12ihipStream_tbDpT10_ENKUlT_T0_E_clISt17integral_constantIbLb1EES1F_EEDaS1A_S1B_EUlS1A_E_NS1_11comp_targetILNS1_3genE8ELNS1_11target_archE1030ELNS1_3gpuE2ELNS1_3repE0EEENS1_30default_config_static_selectorELNS0_4arch9wavefront6targetE1EEEvT1_,comdat
	.protected	_ZN7rocprim17ROCPRIM_400000_NS6detail17trampoline_kernelINS0_14default_configENS1_25partition_config_selectorILNS1_17partition_subalgoE2EtNS0_10empty_typeEbEEZZNS1_14partition_implILS5_2ELb0ES3_jN6thrust23THRUST_200600_302600_NS6detail15normal_iteratorINSA_7pointerItNSA_11hip_rocprim3tagENSA_11use_defaultESG_EEEEPS6_NSA_18transform_iteratorI7is_evenItENSC_INSA_10device_ptrItEEEESG_SG_EENS0_5tupleIJPtSJ_EEENSR_IJSJ_SJ_EEES6_PlJS6_EEE10hipError_tPvRmT3_T4_T5_T6_T7_T9_mT8_P12ihipStream_tbDpT10_ENKUlT_T0_E_clISt17integral_constantIbLb1EES1F_EEDaS1A_S1B_EUlS1A_E_NS1_11comp_targetILNS1_3genE8ELNS1_11target_archE1030ELNS1_3gpuE2ELNS1_3repE0EEENS1_30default_config_static_selectorELNS0_4arch9wavefront6targetE1EEEvT1_ ; -- Begin function _ZN7rocprim17ROCPRIM_400000_NS6detail17trampoline_kernelINS0_14default_configENS1_25partition_config_selectorILNS1_17partition_subalgoE2EtNS0_10empty_typeEbEEZZNS1_14partition_implILS5_2ELb0ES3_jN6thrust23THRUST_200600_302600_NS6detail15normal_iteratorINSA_7pointerItNSA_11hip_rocprim3tagENSA_11use_defaultESG_EEEEPS6_NSA_18transform_iteratorI7is_evenItENSC_INSA_10device_ptrItEEEESG_SG_EENS0_5tupleIJPtSJ_EEENSR_IJSJ_SJ_EEES6_PlJS6_EEE10hipError_tPvRmT3_T4_T5_T6_T7_T9_mT8_P12ihipStream_tbDpT10_ENKUlT_T0_E_clISt17integral_constantIbLb1EES1F_EEDaS1A_S1B_EUlS1A_E_NS1_11comp_targetILNS1_3genE8ELNS1_11target_archE1030ELNS1_3gpuE2ELNS1_3repE0EEENS1_30default_config_static_selectorELNS0_4arch9wavefront6targetE1EEEvT1_
	.globl	_ZN7rocprim17ROCPRIM_400000_NS6detail17trampoline_kernelINS0_14default_configENS1_25partition_config_selectorILNS1_17partition_subalgoE2EtNS0_10empty_typeEbEEZZNS1_14partition_implILS5_2ELb0ES3_jN6thrust23THRUST_200600_302600_NS6detail15normal_iteratorINSA_7pointerItNSA_11hip_rocprim3tagENSA_11use_defaultESG_EEEEPS6_NSA_18transform_iteratorI7is_evenItENSC_INSA_10device_ptrItEEEESG_SG_EENS0_5tupleIJPtSJ_EEENSR_IJSJ_SJ_EEES6_PlJS6_EEE10hipError_tPvRmT3_T4_T5_T6_T7_T9_mT8_P12ihipStream_tbDpT10_ENKUlT_T0_E_clISt17integral_constantIbLb1EES1F_EEDaS1A_S1B_EUlS1A_E_NS1_11comp_targetILNS1_3genE8ELNS1_11target_archE1030ELNS1_3gpuE2ELNS1_3repE0EEENS1_30default_config_static_selectorELNS0_4arch9wavefront6targetE1EEEvT1_
	.p2align	8
	.type	_ZN7rocprim17ROCPRIM_400000_NS6detail17trampoline_kernelINS0_14default_configENS1_25partition_config_selectorILNS1_17partition_subalgoE2EtNS0_10empty_typeEbEEZZNS1_14partition_implILS5_2ELb0ES3_jN6thrust23THRUST_200600_302600_NS6detail15normal_iteratorINSA_7pointerItNSA_11hip_rocprim3tagENSA_11use_defaultESG_EEEEPS6_NSA_18transform_iteratorI7is_evenItENSC_INSA_10device_ptrItEEEESG_SG_EENS0_5tupleIJPtSJ_EEENSR_IJSJ_SJ_EEES6_PlJS6_EEE10hipError_tPvRmT3_T4_T5_T6_T7_T9_mT8_P12ihipStream_tbDpT10_ENKUlT_T0_E_clISt17integral_constantIbLb1EES1F_EEDaS1A_S1B_EUlS1A_E_NS1_11comp_targetILNS1_3genE8ELNS1_11target_archE1030ELNS1_3gpuE2ELNS1_3repE0EEENS1_30default_config_static_selectorELNS0_4arch9wavefront6targetE1EEEvT1_,@function
_ZN7rocprim17ROCPRIM_400000_NS6detail17trampoline_kernelINS0_14default_configENS1_25partition_config_selectorILNS1_17partition_subalgoE2EtNS0_10empty_typeEbEEZZNS1_14partition_implILS5_2ELb0ES3_jN6thrust23THRUST_200600_302600_NS6detail15normal_iteratorINSA_7pointerItNSA_11hip_rocprim3tagENSA_11use_defaultESG_EEEEPS6_NSA_18transform_iteratorI7is_evenItENSC_INSA_10device_ptrItEEEESG_SG_EENS0_5tupleIJPtSJ_EEENSR_IJSJ_SJ_EEES6_PlJS6_EEE10hipError_tPvRmT3_T4_T5_T6_T7_T9_mT8_P12ihipStream_tbDpT10_ENKUlT_T0_E_clISt17integral_constantIbLb1EES1F_EEDaS1A_S1B_EUlS1A_E_NS1_11comp_targetILNS1_3genE8ELNS1_11target_archE1030ELNS1_3gpuE2ELNS1_3repE0EEENS1_30default_config_static_selectorELNS0_4arch9wavefront6targetE1EEEvT1_: ; @_ZN7rocprim17ROCPRIM_400000_NS6detail17trampoline_kernelINS0_14default_configENS1_25partition_config_selectorILNS1_17partition_subalgoE2EtNS0_10empty_typeEbEEZZNS1_14partition_implILS5_2ELb0ES3_jN6thrust23THRUST_200600_302600_NS6detail15normal_iteratorINSA_7pointerItNSA_11hip_rocprim3tagENSA_11use_defaultESG_EEEEPS6_NSA_18transform_iteratorI7is_evenItENSC_INSA_10device_ptrItEEEESG_SG_EENS0_5tupleIJPtSJ_EEENSR_IJSJ_SJ_EEES6_PlJS6_EEE10hipError_tPvRmT3_T4_T5_T6_T7_T9_mT8_P12ihipStream_tbDpT10_ENKUlT_T0_E_clISt17integral_constantIbLb1EES1F_EEDaS1A_S1B_EUlS1A_E_NS1_11comp_targetILNS1_3genE8ELNS1_11target_archE1030ELNS1_3gpuE2ELNS1_3repE0EEENS1_30default_config_static_selectorELNS0_4arch9wavefront6targetE1EEEvT1_
; %bb.0:
	.section	.rodata,"a",@progbits
	.p2align	6, 0x0
	.amdhsa_kernel _ZN7rocprim17ROCPRIM_400000_NS6detail17trampoline_kernelINS0_14default_configENS1_25partition_config_selectorILNS1_17partition_subalgoE2EtNS0_10empty_typeEbEEZZNS1_14partition_implILS5_2ELb0ES3_jN6thrust23THRUST_200600_302600_NS6detail15normal_iteratorINSA_7pointerItNSA_11hip_rocprim3tagENSA_11use_defaultESG_EEEEPS6_NSA_18transform_iteratorI7is_evenItENSC_INSA_10device_ptrItEEEESG_SG_EENS0_5tupleIJPtSJ_EEENSR_IJSJ_SJ_EEES6_PlJS6_EEE10hipError_tPvRmT3_T4_T5_T6_T7_T9_mT8_P12ihipStream_tbDpT10_ENKUlT_T0_E_clISt17integral_constantIbLb1EES1F_EEDaS1A_S1B_EUlS1A_E_NS1_11comp_targetILNS1_3genE8ELNS1_11target_archE1030ELNS1_3gpuE2ELNS1_3repE0EEENS1_30default_config_static_selectorELNS0_4arch9wavefront6targetE1EEEvT1_
		.amdhsa_group_segment_fixed_size 0
		.amdhsa_private_segment_fixed_size 0
		.amdhsa_kernarg_size 144
		.amdhsa_user_sgpr_count 6
		.amdhsa_user_sgpr_private_segment_buffer 1
		.amdhsa_user_sgpr_dispatch_ptr 0
		.amdhsa_user_sgpr_queue_ptr 0
		.amdhsa_user_sgpr_kernarg_segment_ptr 1
		.amdhsa_user_sgpr_dispatch_id 0
		.amdhsa_user_sgpr_flat_scratch_init 0
		.amdhsa_user_sgpr_kernarg_preload_length 0
		.amdhsa_user_sgpr_kernarg_preload_offset 0
		.amdhsa_user_sgpr_private_segment_size 0
		.amdhsa_uses_dynamic_stack 0
		.amdhsa_system_sgpr_private_segment_wavefront_offset 0
		.amdhsa_system_sgpr_workgroup_id_x 1
		.amdhsa_system_sgpr_workgroup_id_y 0
		.amdhsa_system_sgpr_workgroup_id_z 0
		.amdhsa_system_sgpr_workgroup_info 0
		.amdhsa_system_vgpr_workitem_id 0
		.amdhsa_next_free_vgpr 1
		.amdhsa_next_free_sgpr 0
		.amdhsa_accum_offset 4
		.amdhsa_reserve_vcc 0
		.amdhsa_reserve_flat_scratch 0
		.amdhsa_float_round_mode_32 0
		.amdhsa_float_round_mode_16_64 0
		.amdhsa_float_denorm_mode_32 3
		.amdhsa_float_denorm_mode_16_64 3
		.amdhsa_dx10_clamp 1
		.amdhsa_ieee_mode 1
		.amdhsa_fp16_overflow 0
		.amdhsa_tg_split 0
		.amdhsa_exception_fp_ieee_invalid_op 0
		.amdhsa_exception_fp_denorm_src 0
		.amdhsa_exception_fp_ieee_div_zero 0
		.amdhsa_exception_fp_ieee_overflow 0
		.amdhsa_exception_fp_ieee_underflow 0
		.amdhsa_exception_fp_ieee_inexact 0
		.amdhsa_exception_int_div_zero 0
	.end_amdhsa_kernel
	.section	.text._ZN7rocprim17ROCPRIM_400000_NS6detail17trampoline_kernelINS0_14default_configENS1_25partition_config_selectorILNS1_17partition_subalgoE2EtNS0_10empty_typeEbEEZZNS1_14partition_implILS5_2ELb0ES3_jN6thrust23THRUST_200600_302600_NS6detail15normal_iteratorINSA_7pointerItNSA_11hip_rocprim3tagENSA_11use_defaultESG_EEEEPS6_NSA_18transform_iteratorI7is_evenItENSC_INSA_10device_ptrItEEEESG_SG_EENS0_5tupleIJPtSJ_EEENSR_IJSJ_SJ_EEES6_PlJS6_EEE10hipError_tPvRmT3_T4_T5_T6_T7_T9_mT8_P12ihipStream_tbDpT10_ENKUlT_T0_E_clISt17integral_constantIbLb1EES1F_EEDaS1A_S1B_EUlS1A_E_NS1_11comp_targetILNS1_3genE8ELNS1_11target_archE1030ELNS1_3gpuE2ELNS1_3repE0EEENS1_30default_config_static_selectorELNS0_4arch9wavefront6targetE1EEEvT1_,"axG",@progbits,_ZN7rocprim17ROCPRIM_400000_NS6detail17trampoline_kernelINS0_14default_configENS1_25partition_config_selectorILNS1_17partition_subalgoE2EtNS0_10empty_typeEbEEZZNS1_14partition_implILS5_2ELb0ES3_jN6thrust23THRUST_200600_302600_NS6detail15normal_iteratorINSA_7pointerItNSA_11hip_rocprim3tagENSA_11use_defaultESG_EEEEPS6_NSA_18transform_iteratorI7is_evenItENSC_INSA_10device_ptrItEEEESG_SG_EENS0_5tupleIJPtSJ_EEENSR_IJSJ_SJ_EEES6_PlJS6_EEE10hipError_tPvRmT3_T4_T5_T6_T7_T9_mT8_P12ihipStream_tbDpT10_ENKUlT_T0_E_clISt17integral_constantIbLb1EES1F_EEDaS1A_S1B_EUlS1A_E_NS1_11comp_targetILNS1_3genE8ELNS1_11target_archE1030ELNS1_3gpuE2ELNS1_3repE0EEENS1_30default_config_static_selectorELNS0_4arch9wavefront6targetE1EEEvT1_,comdat
.Lfunc_end2085:
	.size	_ZN7rocprim17ROCPRIM_400000_NS6detail17trampoline_kernelINS0_14default_configENS1_25partition_config_selectorILNS1_17partition_subalgoE2EtNS0_10empty_typeEbEEZZNS1_14partition_implILS5_2ELb0ES3_jN6thrust23THRUST_200600_302600_NS6detail15normal_iteratorINSA_7pointerItNSA_11hip_rocprim3tagENSA_11use_defaultESG_EEEEPS6_NSA_18transform_iteratorI7is_evenItENSC_INSA_10device_ptrItEEEESG_SG_EENS0_5tupleIJPtSJ_EEENSR_IJSJ_SJ_EEES6_PlJS6_EEE10hipError_tPvRmT3_T4_T5_T6_T7_T9_mT8_P12ihipStream_tbDpT10_ENKUlT_T0_E_clISt17integral_constantIbLb1EES1F_EEDaS1A_S1B_EUlS1A_E_NS1_11comp_targetILNS1_3genE8ELNS1_11target_archE1030ELNS1_3gpuE2ELNS1_3repE0EEENS1_30default_config_static_selectorELNS0_4arch9wavefront6targetE1EEEvT1_, .Lfunc_end2085-_ZN7rocprim17ROCPRIM_400000_NS6detail17trampoline_kernelINS0_14default_configENS1_25partition_config_selectorILNS1_17partition_subalgoE2EtNS0_10empty_typeEbEEZZNS1_14partition_implILS5_2ELb0ES3_jN6thrust23THRUST_200600_302600_NS6detail15normal_iteratorINSA_7pointerItNSA_11hip_rocprim3tagENSA_11use_defaultESG_EEEEPS6_NSA_18transform_iteratorI7is_evenItENSC_INSA_10device_ptrItEEEESG_SG_EENS0_5tupleIJPtSJ_EEENSR_IJSJ_SJ_EEES6_PlJS6_EEE10hipError_tPvRmT3_T4_T5_T6_T7_T9_mT8_P12ihipStream_tbDpT10_ENKUlT_T0_E_clISt17integral_constantIbLb1EES1F_EEDaS1A_S1B_EUlS1A_E_NS1_11comp_targetILNS1_3genE8ELNS1_11target_archE1030ELNS1_3gpuE2ELNS1_3repE0EEENS1_30default_config_static_selectorELNS0_4arch9wavefront6targetE1EEEvT1_
                                        ; -- End function
	.section	.AMDGPU.csdata,"",@progbits
; Kernel info:
; codeLenInByte = 0
; NumSgprs: 4
; NumVgprs: 0
; NumAgprs: 0
; TotalNumVgprs: 0
; ScratchSize: 0
; MemoryBound: 0
; FloatMode: 240
; IeeeMode: 1
; LDSByteSize: 0 bytes/workgroup (compile time only)
; SGPRBlocks: 0
; VGPRBlocks: 0
; NumSGPRsForWavesPerEU: 4
; NumVGPRsForWavesPerEU: 1
; AccumOffset: 4
; Occupancy: 8
; WaveLimiterHint : 0
; COMPUTE_PGM_RSRC2:SCRATCH_EN: 0
; COMPUTE_PGM_RSRC2:USER_SGPR: 6
; COMPUTE_PGM_RSRC2:TRAP_HANDLER: 0
; COMPUTE_PGM_RSRC2:TGID_X_EN: 1
; COMPUTE_PGM_RSRC2:TGID_Y_EN: 0
; COMPUTE_PGM_RSRC2:TGID_Z_EN: 0
; COMPUTE_PGM_RSRC2:TIDIG_COMP_CNT: 0
; COMPUTE_PGM_RSRC3_GFX90A:ACCUM_OFFSET: 0
; COMPUTE_PGM_RSRC3_GFX90A:TG_SPLIT: 0
	.section	.text._ZN7rocprim17ROCPRIM_400000_NS6detail17trampoline_kernelINS0_14default_configENS1_25partition_config_selectorILNS1_17partition_subalgoE2EtNS0_10empty_typeEbEEZZNS1_14partition_implILS5_2ELb0ES3_jN6thrust23THRUST_200600_302600_NS6detail15normal_iteratorINSA_7pointerItNSA_11hip_rocprim3tagENSA_11use_defaultESG_EEEEPS6_NSA_18transform_iteratorI7is_evenItENSC_INSA_10device_ptrItEEEESG_SG_EENS0_5tupleIJPtSJ_EEENSR_IJSJ_SJ_EEES6_PlJS6_EEE10hipError_tPvRmT3_T4_T5_T6_T7_T9_mT8_P12ihipStream_tbDpT10_ENKUlT_T0_E_clISt17integral_constantIbLb1EES1E_IbLb0EEEEDaS1A_S1B_EUlS1A_E_NS1_11comp_targetILNS1_3genE0ELNS1_11target_archE4294967295ELNS1_3gpuE0ELNS1_3repE0EEENS1_30default_config_static_selectorELNS0_4arch9wavefront6targetE1EEEvT1_,"axG",@progbits,_ZN7rocprim17ROCPRIM_400000_NS6detail17trampoline_kernelINS0_14default_configENS1_25partition_config_selectorILNS1_17partition_subalgoE2EtNS0_10empty_typeEbEEZZNS1_14partition_implILS5_2ELb0ES3_jN6thrust23THRUST_200600_302600_NS6detail15normal_iteratorINSA_7pointerItNSA_11hip_rocprim3tagENSA_11use_defaultESG_EEEEPS6_NSA_18transform_iteratorI7is_evenItENSC_INSA_10device_ptrItEEEESG_SG_EENS0_5tupleIJPtSJ_EEENSR_IJSJ_SJ_EEES6_PlJS6_EEE10hipError_tPvRmT3_T4_T5_T6_T7_T9_mT8_P12ihipStream_tbDpT10_ENKUlT_T0_E_clISt17integral_constantIbLb1EES1E_IbLb0EEEEDaS1A_S1B_EUlS1A_E_NS1_11comp_targetILNS1_3genE0ELNS1_11target_archE4294967295ELNS1_3gpuE0ELNS1_3repE0EEENS1_30default_config_static_selectorELNS0_4arch9wavefront6targetE1EEEvT1_,comdat
	.protected	_ZN7rocprim17ROCPRIM_400000_NS6detail17trampoline_kernelINS0_14default_configENS1_25partition_config_selectorILNS1_17partition_subalgoE2EtNS0_10empty_typeEbEEZZNS1_14partition_implILS5_2ELb0ES3_jN6thrust23THRUST_200600_302600_NS6detail15normal_iteratorINSA_7pointerItNSA_11hip_rocprim3tagENSA_11use_defaultESG_EEEEPS6_NSA_18transform_iteratorI7is_evenItENSC_INSA_10device_ptrItEEEESG_SG_EENS0_5tupleIJPtSJ_EEENSR_IJSJ_SJ_EEES6_PlJS6_EEE10hipError_tPvRmT3_T4_T5_T6_T7_T9_mT8_P12ihipStream_tbDpT10_ENKUlT_T0_E_clISt17integral_constantIbLb1EES1E_IbLb0EEEEDaS1A_S1B_EUlS1A_E_NS1_11comp_targetILNS1_3genE0ELNS1_11target_archE4294967295ELNS1_3gpuE0ELNS1_3repE0EEENS1_30default_config_static_selectorELNS0_4arch9wavefront6targetE1EEEvT1_ ; -- Begin function _ZN7rocprim17ROCPRIM_400000_NS6detail17trampoline_kernelINS0_14default_configENS1_25partition_config_selectorILNS1_17partition_subalgoE2EtNS0_10empty_typeEbEEZZNS1_14partition_implILS5_2ELb0ES3_jN6thrust23THRUST_200600_302600_NS6detail15normal_iteratorINSA_7pointerItNSA_11hip_rocprim3tagENSA_11use_defaultESG_EEEEPS6_NSA_18transform_iteratorI7is_evenItENSC_INSA_10device_ptrItEEEESG_SG_EENS0_5tupleIJPtSJ_EEENSR_IJSJ_SJ_EEES6_PlJS6_EEE10hipError_tPvRmT3_T4_T5_T6_T7_T9_mT8_P12ihipStream_tbDpT10_ENKUlT_T0_E_clISt17integral_constantIbLb1EES1E_IbLb0EEEEDaS1A_S1B_EUlS1A_E_NS1_11comp_targetILNS1_3genE0ELNS1_11target_archE4294967295ELNS1_3gpuE0ELNS1_3repE0EEENS1_30default_config_static_selectorELNS0_4arch9wavefront6targetE1EEEvT1_
	.globl	_ZN7rocprim17ROCPRIM_400000_NS6detail17trampoline_kernelINS0_14default_configENS1_25partition_config_selectorILNS1_17partition_subalgoE2EtNS0_10empty_typeEbEEZZNS1_14partition_implILS5_2ELb0ES3_jN6thrust23THRUST_200600_302600_NS6detail15normal_iteratorINSA_7pointerItNSA_11hip_rocprim3tagENSA_11use_defaultESG_EEEEPS6_NSA_18transform_iteratorI7is_evenItENSC_INSA_10device_ptrItEEEESG_SG_EENS0_5tupleIJPtSJ_EEENSR_IJSJ_SJ_EEES6_PlJS6_EEE10hipError_tPvRmT3_T4_T5_T6_T7_T9_mT8_P12ihipStream_tbDpT10_ENKUlT_T0_E_clISt17integral_constantIbLb1EES1E_IbLb0EEEEDaS1A_S1B_EUlS1A_E_NS1_11comp_targetILNS1_3genE0ELNS1_11target_archE4294967295ELNS1_3gpuE0ELNS1_3repE0EEENS1_30default_config_static_selectorELNS0_4arch9wavefront6targetE1EEEvT1_
	.p2align	8
	.type	_ZN7rocprim17ROCPRIM_400000_NS6detail17trampoline_kernelINS0_14default_configENS1_25partition_config_selectorILNS1_17partition_subalgoE2EtNS0_10empty_typeEbEEZZNS1_14partition_implILS5_2ELb0ES3_jN6thrust23THRUST_200600_302600_NS6detail15normal_iteratorINSA_7pointerItNSA_11hip_rocprim3tagENSA_11use_defaultESG_EEEEPS6_NSA_18transform_iteratorI7is_evenItENSC_INSA_10device_ptrItEEEESG_SG_EENS0_5tupleIJPtSJ_EEENSR_IJSJ_SJ_EEES6_PlJS6_EEE10hipError_tPvRmT3_T4_T5_T6_T7_T9_mT8_P12ihipStream_tbDpT10_ENKUlT_T0_E_clISt17integral_constantIbLb1EES1E_IbLb0EEEEDaS1A_S1B_EUlS1A_E_NS1_11comp_targetILNS1_3genE0ELNS1_11target_archE4294967295ELNS1_3gpuE0ELNS1_3repE0EEENS1_30default_config_static_selectorELNS0_4arch9wavefront6targetE1EEEvT1_,@function
_ZN7rocprim17ROCPRIM_400000_NS6detail17trampoline_kernelINS0_14default_configENS1_25partition_config_selectorILNS1_17partition_subalgoE2EtNS0_10empty_typeEbEEZZNS1_14partition_implILS5_2ELb0ES3_jN6thrust23THRUST_200600_302600_NS6detail15normal_iteratorINSA_7pointerItNSA_11hip_rocprim3tagENSA_11use_defaultESG_EEEEPS6_NSA_18transform_iteratorI7is_evenItENSC_INSA_10device_ptrItEEEESG_SG_EENS0_5tupleIJPtSJ_EEENSR_IJSJ_SJ_EEES6_PlJS6_EEE10hipError_tPvRmT3_T4_T5_T6_T7_T9_mT8_P12ihipStream_tbDpT10_ENKUlT_T0_E_clISt17integral_constantIbLb1EES1E_IbLb0EEEEDaS1A_S1B_EUlS1A_E_NS1_11comp_targetILNS1_3genE0ELNS1_11target_archE4294967295ELNS1_3gpuE0ELNS1_3repE0EEENS1_30default_config_static_selectorELNS0_4arch9wavefront6targetE1EEEvT1_: ; @_ZN7rocprim17ROCPRIM_400000_NS6detail17trampoline_kernelINS0_14default_configENS1_25partition_config_selectorILNS1_17partition_subalgoE2EtNS0_10empty_typeEbEEZZNS1_14partition_implILS5_2ELb0ES3_jN6thrust23THRUST_200600_302600_NS6detail15normal_iteratorINSA_7pointerItNSA_11hip_rocprim3tagENSA_11use_defaultESG_EEEEPS6_NSA_18transform_iteratorI7is_evenItENSC_INSA_10device_ptrItEEEESG_SG_EENS0_5tupleIJPtSJ_EEENSR_IJSJ_SJ_EEES6_PlJS6_EEE10hipError_tPvRmT3_T4_T5_T6_T7_T9_mT8_P12ihipStream_tbDpT10_ENKUlT_T0_E_clISt17integral_constantIbLb1EES1E_IbLb0EEEEDaS1A_S1B_EUlS1A_E_NS1_11comp_targetILNS1_3genE0ELNS1_11target_archE4294967295ELNS1_3gpuE0ELNS1_3repE0EEENS1_30default_config_static_selectorELNS0_4arch9wavefront6targetE1EEEvT1_
; %bb.0:
	.section	.rodata,"a",@progbits
	.p2align	6, 0x0
	.amdhsa_kernel _ZN7rocprim17ROCPRIM_400000_NS6detail17trampoline_kernelINS0_14default_configENS1_25partition_config_selectorILNS1_17partition_subalgoE2EtNS0_10empty_typeEbEEZZNS1_14partition_implILS5_2ELb0ES3_jN6thrust23THRUST_200600_302600_NS6detail15normal_iteratorINSA_7pointerItNSA_11hip_rocprim3tagENSA_11use_defaultESG_EEEEPS6_NSA_18transform_iteratorI7is_evenItENSC_INSA_10device_ptrItEEEESG_SG_EENS0_5tupleIJPtSJ_EEENSR_IJSJ_SJ_EEES6_PlJS6_EEE10hipError_tPvRmT3_T4_T5_T6_T7_T9_mT8_P12ihipStream_tbDpT10_ENKUlT_T0_E_clISt17integral_constantIbLb1EES1E_IbLb0EEEEDaS1A_S1B_EUlS1A_E_NS1_11comp_targetILNS1_3genE0ELNS1_11target_archE4294967295ELNS1_3gpuE0ELNS1_3repE0EEENS1_30default_config_static_selectorELNS0_4arch9wavefront6targetE1EEEvT1_
		.amdhsa_group_segment_fixed_size 0
		.amdhsa_private_segment_fixed_size 0
		.amdhsa_kernarg_size 128
		.amdhsa_user_sgpr_count 6
		.amdhsa_user_sgpr_private_segment_buffer 1
		.amdhsa_user_sgpr_dispatch_ptr 0
		.amdhsa_user_sgpr_queue_ptr 0
		.amdhsa_user_sgpr_kernarg_segment_ptr 1
		.amdhsa_user_sgpr_dispatch_id 0
		.amdhsa_user_sgpr_flat_scratch_init 0
		.amdhsa_user_sgpr_kernarg_preload_length 0
		.amdhsa_user_sgpr_kernarg_preload_offset 0
		.amdhsa_user_sgpr_private_segment_size 0
		.amdhsa_uses_dynamic_stack 0
		.amdhsa_system_sgpr_private_segment_wavefront_offset 0
		.amdhsa_system_sgpr_workgroup_id_x 1
		.amdhsa_system_sgpr_workgroup_id_y 0
		.amdhsa_system_sgpr_workgroup_id_z 0
		.amdhsa_system_sgpr_workgroup_info 0
		.amdhsa_system_vgpr_workitem_id 0
		.amdhsa_next_free_vgpr 1
		.amdhsa_next_free_sgpr 0
		.amdhsa_accum_offset 4
		.amdhsa_reserve_vcc 0
		.amdhsa_reserve_flat_scratch 0
		.amdhsa_float_round_mode_32 0
		.amdhsa_float_round_mode_16_64 0
		.amdhsa_float_denorm_mode_32 3
		.amdhsa_float_denorm_mode_16_64 3
		.amdhsa_dx10_clamp 1
		.amdhsa_ieee_mode 1
		.amdhsa_fp16_overflow 0
		.amdhsa_tg_split 0
		.amdhsa_exception_fp_ieee_invalid_op 0
		.amdhsa_exception_fp_denorm_src 0
		.amdhsa_exception_fp_ieee_div_zero 0
		.amdhsa_exception_fp_ieee_overflow 0
		.amdhsa_exception_fp_ieee_underflow 0
		.amdhsa_exception_fp_ieee_inexact 0
		.amdhsa_exception_int_div_zero 0
	.end_amdhsa_kernel
	.section	.text._ZN7rocprim17ROCPRIM_400000_NS6detail17trampoline_kernelINS0_14default_configENS1_25partition_config_selectorILNS1_17partition_subalgoE2EtNS0_10empty_typeEbEEZZNS1_14partition_implILS5_2ELb0ES3_jN6thrust23THRUST_200600_302600_NS6detail15normal_iteratorINSA_7pointerItNSA_11hip_rocprim3tagENSA_11use_defaultESG_EEEEPS6_NSA_18transform_iteratorI7is_evenItENSC_INSA_10device_ptrItEEEESG_SG_EENS0_5tupleIJPtSJ_EEENSR_IJSJ_SJ_EEES6_PlJS6_EEE10hipError_tPvRmT3_T4_T5_T6_T7_T9_mT8_P12ihipStream_tbDpT10_ENKUlT_T0_E_clISt17integral_constantIbLb1EES1E_IbLb0EEEEDaS1A_S1B_EUlS1A_E_NS1_11comp_targetILNS1_3genE0ELNS1_11target_archE4294967295ELNS1_3gpuE0ELNS1_3repE0EEENS1_30default_config_static_selectorELNS0_4arch9wavefront6targetE1EEEvT1_,"axG",@progbits,_ZN7rocprim17ROCPRIM_400000_NS6detail17trampoline_kernelINS0_14default_configENS1_25partition_config_selectorILNS1_17partition_subalgoE2EtNS0_10empty_typeEbEEZZNS1_14partition_implILS5_2ELb0ES3_jN6thrust23THRUST_200600_302600_NS6detail15normal_iteratorINSA_7pointerItNSA_11hip_rocprim3tagENSA_11use_defaultESG_EEEEPS6_NSA_18transform_iteratorI7is_evenItENSC_INSA_10device_ptrItEEEESG_SG_EENS0_5tupleIJPtSJ_EEENSR_IJSJ_SJ_EEES6_PlJS6_EEE10hipError_tPvRmT3_T4_T5_T6_T7_T9_mT8_P12ihipStream_tbDpT10_ENKUlT_T0_E_clISt17integral_constantIbLb1EES1E_IbLb0EEEEDaS1A_S1B_EUlS1A_E_NS1_11comp_targetILNS1_3genE0ELNS1_11target_archE4294967295ELNS1_3gpuE0ELNS1_3repE0EEENS1_30default_config_static_selectorELNS0_4arch9wavefront6targetE1EEEvT1_,comdat
.Lfunc_end2086:
	.size	_ZN7rocprim17ROCPRIM_400000_NS6detail17trampoline_kernelINS0_14default_configENS1_25partition_config_selectorILNS1_17partition_subalgoE2EtNS0_10empty_typeEbEEZZNS1_14partition_implILS5_2ELb0ES3_jN6thrust23THRUST_200600_302600_NS6detail15normal_iteratorINSA_7pointerItNSA_11hip_rocprim3tagENSA_11use_defaultESG_EEEEPS6_NSA_18transform_iteratorI7is_evenItENSC_INSA_10device_ptrItEEEESG_SG_EENS0_5tupleIJPtSJ_EEENSR_IJSJ_SJ_EEES6_PlJS6_EEE10hipError_tPvRmT3_T4_T5_T6_T7_T9_mT8_P12ihipStream_tbDpT10_ENKUlT_T0_E_clISt17integral_constantIbLb1EES1E_IbLb0EEEEDaS1A_S1B_EUlS1A_E_NS1_11comp_targetILNS1_3genE0ELNS1_11target_archE4294967295ELNS1_3gpuE0ELNS1_3repE0EEENS1_30default_config_static_selectorELNS0_4arch9wavefront6targetE1EEEvT1_, .Lfunc_end2086-_ZN7rocprim17ROCPRIM_400000_NS6detail17trampoline_kernelINS0_14default_configENS1_25partition_config_selectorILNS1_17partition_subalgoE2EtNS0_10empty_typeEbEEZZNS1_14partition_implILS5_2ELb0ES3_jN6thrust23THRUST_200600_302600_NS6detail15normal_iteratorINSA_7pointerItNSA_11hip_rocprim3tagENSA_11use_defaultESG_EEEEPS6_NSA_18transform_iteratorI7is_evenItENSC_INSA_10device_ptrItEEEESG_SG_EENS0_5tupleIJPtSJ_EEENSR_IJSJ_SJ_EEES6_PlJS6_EEE10hipError_tPvRmT3_T4_T5_T6_T7_T9_mT8_P12ihipStream_tbDpT10_ENKUlT_T0_E_clISt17integral_constantIbLb1EES1E_IbLb0EEEEDaS1A_S1B_EUlS1A_E_NS1_11comp_targetILNS1_3genE0ELNS1_11target_archE4294967295ELNS1_3gpuE0ELNS1_3repE0EEENS1_30default_config_static_selectorELNS0_4arch9wavefront6targetE1EEEvT1_
                                        ; -- End function
	.section	.AMDGPU.csdata,"",@progbits
; Kernel info:
; codeLenInByte = 0
; NumSgprs: 4
; NumVgprs: 0
; NumAgprs: 0
; TotalNumVgprs: 0
; ScratchSize: 0
; MemoryBound: 0
; FloatMode: 240
; IeeeMode: 1
; LDSByteSize: 0 bytes/workgroup (compile time only)
; SGPRBlocks: 0
; VGPRBlocks: 0
; NumSGPRsForWavesPerEU: 4
; NumVGPRsForWavesPerEU: 1
; AccumOffset: 4
; Occupancy: 8
; WaveLimiterHint : 0
; COMPUTE_PGM_RSRC2:SCRATCH_EN: 0
; COMPUTE_PGM_RSRC2:USER_SGPR: 6
; COMPUTE_PGM_RSRC2:TRAP_HANDLER: 0
; COMPUTE_PGM_RSRC2:TGID_X_EN: 1
; COMPUTE_PGM_RSRC2:TGID_Y_EN: 0
; COMPUTE_PGM_RSRC2:TGID_Z_EN: 0
; COMPUTE_PGM_RSRC2:TIDIG_COMP_CNT: 0
; COMPUTE_PGM_RSRC3_GFX90A:ACCUM_OFFSET: 0
; COMPUTE_PGM_RSRC3_GFX90A:TG_SPLIT: 0
	.section	.text._ZN7rocprim17ROCPRIM_400000_NS6detail17trampoline_kernelINS0_14default_configENS1_25partition_config_selectorILNS1_17partition_subalgoE2EtNS0_10empty_typeEbEEZZNS1_14partition_implILS5_2ELb0ES3_jN6thrust23THRUST_200600_302600_NS6detail15normal_iteratorINSA_7pointerItNSA_11hip_rocprim3tagENSA_11use_defaultESG_EEEEPS6_NSA_18transform_iteratorI7is_evenItENSC_INSA_10device_ptrItEEEESG_SG_EENS0_5tupleIJPtSJ_EEENSR_IJSJ_SJ_EEES6_PlJS6_EEE10hipError_tPvRmT3_T4_T5_T6_T7_T9_mT8_P12ihipStream_tbDpT10_ENKUlT_T0_E_clISt17integral_constantIbLb1EES1E_IbLb0EEEEDaS1A_S1B_EUlS1A_E_NS1_11comp_targetILNS1_3genE5ELNS1_11target_archE942ELNS1_3gpuE9ELNS1_3repE0EEENS1_30default_config_static_selectorELNS0_4arch9wavefront6targetE1EEEvT1_,"axG",@progbits,_ZN7rocprim17ROCPRIM_400000_NS6detail17trampoline_kernelINS0_14default_configENS1_25partition_config_selectorILNS1_17partition_subalgoE2EtNS0_10empty_typeEbEEZZNS1_14partition_implILS5_2ELb0ES3_jN6thrust23THRUST_200600_302600_NS6detail15normal_iteratorINSA_7pointerItNSA_11hip_rocprim3tagENSA_11use_defaultESG_EEEEPS6_NSA_18transform_iteratorI7is_evenItENSC_INSA_10device_ptrItEEEESG_SG_EENS0_5tupleIJPtSJ_EEENSR_IJSJ_SJ_EEES6_PlJS6_EEE10hipError_tPvRmT3_T4_T5_T6_T7_T9_mT8_P12ihipStream_tbDpT10_ENKUlT_T0_E_clISt17integral_constantIbLb1EES1E_IbLb0EEEEDaS1A_S1B_EUlS1A_E_NS1_11comp_targetILNS1_3genE5ELNS1_11target_archE942ELNS1_3gpuE9ELNS1_3repE0EEENS1_30default_config_static_selectorELNS0_4arch9wavefront6targetE1EEEvT1_,comdat
	.protected	_ZN7rocprim17ROCPRIM_400000_NS6detail17trampoline_kernelINS0_14default_configENS1_25partition_config_selectorILNS1_17partition_subalgoE2EtNS0_10empty_typeEbEEZZNS1_14partition_implILS5_2ELb0ES3_jN6thrust23THRUST_200600_302600_NS6detail15normal_iteratorINSA_7pointerItNSA_11hip_rocprim3tagENSA_11use_defaultESG_EEEEPS6_NSA_18transform_iteratorI7is_evenItENSC_INSA_10device_ptrItEEEESG_SG_EENS0_5tupleIJPtSJ_EEENSR_IJSJ_SJ_EEES6_PlJS6_EEE10hipError_tPvRmT3_T4_T5_T6_T7_T9_mT8_P12ihipStream_tbDpT10_ENKUlT_T0_E_clISt17integral_constantIbLb1EES1E_IbLb0EEEEDaS1A_S1B_EUlS1A_E_NS1_11comp_targetILNS1_3genE5ELNS1_11target_archE942ELNS1_3gpuE9ELNS1_3repE0EEENS1_30default_config_static_selectorELNS0_4arch9wavefront6targetE1EEEvT1_ ; -- Begin function _ZN7rocprim17ROCPRIM_400000_NS6detail17trampoline_kernelINS0_14default_configENS1_25partition_config_selectorILNS1_17partition_subalgoE2EtNS0_10empty_typeEbEEZZNS1_14partition_implILS5_2ELb0ES3_jN6thrust23THRUST_200600_302600_NS6detail15normal_iteratorINSA_7pointerItNSA_11hip_rocprim3tagENSA_11use_defaultESG_EEEEPS6_NSA_18transform_iteratorI7is_evenItENSC_INSA_10device_ptrItEEEESG_SG_EENS0_5tupleIJPtSJ_EEENSR_IJSJ_SJ_EEES6_PlJS6_EEE10hipError_tPvRmT3_T4_T5_T6_T7_T9_mT8_P12ihipStream_tbDpT10_ENKUlT_T0_E_clISt17integral_constantIbLb1EES1E_IbLb0EEEEDaS1A_S1B_EUlS1A_E_NS1_11comp_targetILNS1_3genE5ELNS1_11target_archE942ELNS1_3gpuE9ELNS1_3repE0EEENS1_30default_config_static_selectorELNS0_4arch9wavefront6targetE1EEEvT1_
	.globl	_ZN7rocprim17ROCPRIM_400000_NS6detail17trampoline_kernelINS0_14default_configENS1_25partition_config_selectorILNS1_17partition_subalgoE2EtNS0_10empty_typeEbEEZZNS1_14partition_implILS5_2ELb0ES3_jN6thrust23THRUST_200600_302600_NS6detail15normal_iteratorINSA_7pointerItNSA_11hip_rocprim3tagENSA_11use_defaultESG_EEEEPS6_NSA_18transform_iteratorI7is_evenItENSC_INSA_10device_ptrItEEEESG_SG_EENS0_5tupleIJPtSJ_EEENSR_IJSJ_SJ_EEES6_PlJS6_EEE10hipError_tPvRmT3_T4_T5_T6_T7_T9_mT8_P12ihipStream_tbDpT10_ENKUlT_T0_E_clISt17integral_constantIbLb1EES1E_IbLb0EEEEDaS1A_S1B_EUlS1A_E_NS1_11comp_targetILNS1_3genE5ELNS1_11target_archE942ELNS1_3gpuE9ELNS1_3repE0EEENS1_30default_config_static_selectorELNS0_4arch9wavefront6targetE1EEEvT1_
	.p2align	8
	.type	_ZN7rocprim17ROCPRIM_400000_NS6detail17trampoline_kernelINS0_14default_configENS1_25partition_config_selectorILNS1_17partition_subalgoE2EtNS0_10empty_typeEbEEZZNS1_14partition_implILS5_2ELb0ES3_jN6thrust23THRUST_200600_302600_NS6detail15normal_iteratorINSA_7pointerItNSA_11hip_rocprim3tagENSA_11use_defaultESG_EEEEPS6_NSA_18transform_iteratorI7is_evenItENSC_INSA_10device_ptrItEEEESG_SG_EENS0_5tupleIJPtSJ_EEENSR_IJSJ_SJ_EEES6_PlJS6_EEE10hipError_tPvRmT3_T4_T5_T6_T7_T9_mT8_P12ihipStream_tbDpT10_ENKUlT_T0_E_clISt17integral_constantIbLb1EES1E_IbLb0EEEEDaS1A_S1B_EUlS1A_E_NS1_11comp_targetILNS1_3genE5ELNS1_11target_archE942ELNS1_3gpuE9ELNS1_3repE0EEENS1_30default_config_static_selectorELNS0_4arch9wavefront6targetE1EEEvT1_,@function
_ZN7rocprim17ROCPRIM_400000_NS6detail17trampoline_kernelINS0_14default_configENS1_25partition_config_selectorILNS1_17partition_subalgoE2EtNS0_10empty_typeEbEEZZNS1_14partition_implILS5_2ELb0ES3_jN6thrust23THRUST_200600_302600_NS6detail15normal_iteratorINSA_7pointerItNSA_11hip_rocprim3tagENSA_11use_defaultESG_EEEEPS6_NSA_18transform_iteratorI7is_evenItENSC_INSA_10device_ptrItEEEESG_SG_EENS0_5tupleIJPtSJ_EEENSR_IJSJ_SJ_EEES6_PlJS6_EEE10hipError_tPvRmT3_T4_T5_T6_T7_T9_mT8_P12ihipStream_tbDpT10_ENKUlT_T0_E_clISt17integral_constantIbLb1EES1E_IbLb0EEEEDaS1A_S1B_EUlS1A_E_NS1_11comp_targetILNS1_3genE5ELNS1_11target_archE942ELNS1_3gpuE9ELNS1_3repE0EEENS1_30default_config_static_selectorELNS0_4arch9wavefront6targetE1EEEvT1_: ; @_ZN7rocprim17ROCPRIM_400000_NS6detail17trampoline_kernelINS0_14default_configENS1_25partition_config_selectorILNS1_17partition_subalgoE2EtNS0_10empty_typeEbEEZZNS1_14partition_implILS5_2ELb0ES3_jN6thrust23THRUST_200600_302600_NS6detail15normal_iteratorINSA_7pointerItNSA_11hip_rocprim3tagENSA_11use_defaultESG_EEEEPS6_NSA_18transform_iteratorI7is_evenItENSC_INSA_10device_ptrItEEEESG_SG_EENS0_5tupleIJPtSJ_EEENSR_IJSJ_SJ_EEES6_PlJS6_EEE10hipError_tPvRmT3_T4_T5_T6_T7_T9_mT8_P12ihipStream_tbDpT10_ENKUlT_T0_E_clISt17integral_constantIbLb1EES1E_IbLb0EEEEDaS1A_S1B_EUlS1A_E_NS1_11comp_targetILNS1_3genE5ELNS1_11target_archE942ELNS1_3gpuE9ELNS1_3repE0EEENS1_30default_config_static_selectorELNS0_4arch9wavefront6targetE1EEEvT1_
; %bb.0:
	.section	.rodata,"a",@progbits
	.p2align	6, 0x0
	.amdhsa_kernel _ZN7rocprim17ROCPRIM_400000_NS6detail17trampoline_kernelINS0_14default_configENS1_25partition_config_selectorILNS1_17partition_subalgoE2EtNS0_10empty_typeEbEEZZNS1_14partition_implILS5_2ELb0ES3_jN6thrust23THRUST_200600_302600_NS6detail15normal_iteratorINSA_7pointerItNSA_11hip_rocprim3tagENSA_11use_defaultESG_EEEEPS6_NSA_18transform_iteratorI7is_evenItENSC_INSA_10device_ptrItEEEESG_SG_EENS0_5tupleIJPtSJ_EEENSR_IJSJ_SJ_EEES6_PlJS6_EEE10hipError_tPvRmT3_T4_T5_T6_T7_T9_mT8_P12ihipStream_tbDpT10_ENKUlT_T0_E_clISt17integral_constantIbLb1EES1E_IbLb0EEEEDaS1A_S1B_EUlS1A_E_NS1_11comp_targetILNS1_3genE5ELNS1_11target_archE942ELNS1_3gpuE9ELNS1_3repE0EEENS1_30default_config_static_selectorELNS0_4arch9wavefront6targetE1EEEvT1_
		.amdhsa_group_segment_fixed_size 0
		.amdhsa_private_segment_fixed_size 0
		.amdhsa_kernarg_size 128
		.amdhsa_user_sgpr_count 6
		.amdhsa_user_sgpr_private_segment_buffer 1
		.amdhsa_user_sgpr_dispatch_ptr 0
		.amdhsa_user_sgpr_queue_ptr 0
		.amdhsa_user_sgpr_kernarg_segment_ptr 1
		.amdhsa_user_sgpr_dispatch_id 0
		.amdhsa_user_sgpr_flat_scratch_init 0
		.amdhsa_user_sgpr_kernarg_preload_length 0
		.amdhsa_user_sgpr_kernarg_preload_offset 0
		.amdhsa_user_sgpr_private_segment_size 0
		.amdhsa_uses_dynamic_stack 0
		.amdhsa_system_sgpr_private_segment_wavefront_offset 0
		.amdhsa_system_sgpr_workgroup_id_x 1
		.amdhsa_system_sgpr_workgroup_id_y 0
		.amdhsa_system_sgpr_workgroup_id_z 0
		.amdhsa_system_sgpr_workgroup_info 0
		.amdhsa_system_vgpr_workitem_id 0
		.amdhsa_next_free_vgpr 1
		.amdhsa_next_free_sgpr 0
		.amdhsa_accum_offset 4
		.amdhsa_reserve_vcc 0
		.amdhsa_reserve_flat_scratch 0
		.amdhsa_float_round_mode_32 0
		.amdhsa_float_round_mode_16_64 0
		.amdhsa_float_denorm_mode_32 3
		.amdhsa_float_denorm_mode_16_64 3
		.amdhsa_dx10_clamp 1
		.amdhsa_ieee_mode 1
		.amdhsa_fp16_overflow 0
		.amdhsa_tg_split 0
		.amdhsa_exception_fp_ieee_invalid_op 0
		.amdhsa_exception_fp_denorm_src 0
		.amdhsa_exception_fp_ieee_div_zero 0
		.amdhsa_exception_fp_ieee_overflow 0
		.amdhsa_exception_fp_ieee_underflow 0
		.amdhsa_exception_fp_ieee_inexact 0
		.amdhsa_exception_int_div_zero 0
	.end_amdhsa_kernel
	.section	.text._ZN7rocprim17ROCPRIM_400000_NS6detail17trampoline_kernelINS0_14default_configENS1_25partition_config_selectorILNS1_17partition_subalgoE2EtNS0_10empty_typeEbEEZZNS1_14partition_implILS5_2ELb0ES3_jN6thrust23THRUST_200600_302600_NS6detail15normal_iteratorINSA_7pointerItNSA_11hip_rocprim3tagENSA_11use_defaultESG_EEEEPS6_NSA_18transform_iteratorI7is_evenItENSC_INSA_10device_ptrItEEEESG_SG_EENS0_5tupleIJPtSJ_EEENSR_IJSJ_SJ_EEES6_PlJS6_EEE10hipError_tPvRmT3_T4_T5_T6_T7_T9_mT8_P12ihipStream_tbDpT10_ENKUlT_T0_E_clISt17integral_constantIbLb1EES1E_IbLb0EEEEDaS1A_S1B_EUlS1A_E_NS1_11comp_targetILNS1_3genE5ELNS1_11target_archE942ELNS1_3gpuE9ELNS1_3repE0EEENS1_30default_config_static_selectorELNS0_4arch9wavefront6targetE1EEEvT1_,"axG",@progbits,_ZN7rocprim17ROCPRIM_400000_NS6detail17trampoline_kernelINS0_14default_configENS1_25partition_config_selectorILNS1_17partition_subalgoE2EtNS0_10empty_typeEbEEZZNS1_14partition_implILS5_2ELb0ES3_jN6thrust23THRUST_200600_302600_NS6detail15normal_iteratorINSA_7pointerItNSA_11hip_rocprim3tagENSA_11use_defaultESG_EEEEPS6_NSA_18transform_iteratorI7is_evenItENSC_INSA_10device_ptrItEEEESG_SG_EENS0_5tupleIJPtSJ_EEENSR_IJSJ_SJ_EEES6_PlJS6_EEE10hipError_tPvRmT3_T4_T5_T6_T7_T9_mT8_P12ihipStream_tbDpT10_ENKUlT_T0_E_clISt17integral_constantIbLb1EES1E_IbLb0EEEEDaS1A_S1B_EUlS1A_E_NS1_11comp_targetILNS1_3genE5ELNS1_11target_archE942ELNS1_3gpuE9ELNS1_3repE0EEENS1_30default_config_static_selectorELNS0_4arch9wavefront6targetE1EEEvT1_,comdat
.Lfunc_end2087:
	.size	_ZN7rocprim17ROCPRIM_400000_NS6detail17trampoline_kernelINS0_14default_configENS1_25partition_config_selectorILNS1_17partition_subalgoE2EtNS0_10empty_typeEbEEZZNS1_14partition_implILS5_2ELb0ES3_jN6thrust23THRUST_200600_302600_NS6detail15normal_iteratorINSA_7pointerItNSA_11hip_rocprim3tagENSA_11use_defaultESG_EEEEPS6_NSA_18transform_iteratorI7is_evenItENSC_INSA_10device_ptrItEEEESG_SG_EENS0_5tupleIJPtSJ_EEENSR_IJSJ_SJ_EEES6_PlJS6_EEE10hipError_tPvRmT3_T4_T5_T6_T7_T9_mT8_P12ihipStream_tbDpT10_ENKUlT_T0_E_clISt17integral_constantIbLb1EES1E_IbLb0EEEEDaS1A_S1B_EUlS1A_E_NS1_11comp_targetILNS1_3genE5ELNS1_11target_archE942ELNS1_3gpuE9ELNS1_3repE0EEENS1_30default_config_static_selectorELNS0_4arch9wavefront6targetE1EEEvT1_, .Lfunc_end2087-_ZN7rocprim17ROCPRIM_400000_NS6detail17trampoline_kernelINS0_14default_configENS1_25partition_config_selectorILNS1_17partition_subalgoE2EtNS0_10empty_typeEbEEZZNS1_14partition_implILS5_2ELb0ES3_jN6thrust23THRUST_200600_302600_NS6detail15normal_iteratorINSA_7pointerItNSA_11hip_rocprim3tagENSA_11use_defaultESG_EEEEPS6_NSA_18transform_iteratorI7is_evenItENSC_INSA_10device_ptrItEEEESG_SG_EENS0_5tupleIJPtSJ_EEENSR_IJSJ_SJ_EEES6_PlJS6_EEE10hipError_tPvRmT3_T4_T5_T6_T7_T9_mT8_P12ihipStream_tbDpT10_ENKUlT_T0_E_clISt17integral_constantIbLb1EES1E_IbLb0EEEEDaS1A_S1B_EUlS1A_E_NS1_11comp_targetILNS1_3genE5ELNS1_11target_archE942ELNS1_3gpuE9ELNS1_3repE0EEENS1_30default_config_static_selectorELNS0_4arch9wavefront6targetE1EEEvT1_
                                        ; -- End function
	.section	.AMDGPU.csdata,"",@progbits
; Kernel info:
; codeLenInByte = 0
; NumSgprs: 4
; NumVgprs: 0
; NumAgprs: 0
; TotalNumVgprs: 0
; ScratchSize: 0
; MemoryBound: 0
; FloatMode: 240
; IeeeMode: 1
; LDSByteSize: 0 bytes/workgroup (compile time only)
; SGPRBlocks: 0
; VGPRBlocks: 0
; NumSGPRsForWavesPerEU: 4
; NumVGPRsForWavesPerEU: 1
; AccumOffset: 4
; Occupancy: 8
; WaveLimiterHint : 0
; COMPUTE_PGM_RSRC2:SCRATCH_EN: 0
; COMPUTE_PGM_RSRC2:USER_SGPR: 6
; COMPUTE_PGM_RSRC2:TRAP_HANDLER: 0
; COMPUTE_PGM_RSRC2:TGID_X_EN: 1
; COMPUTE_PGM_RSRC2:TGID_Y_EN: 0
; COMPUTE_PGM_RSRC2:TGID_Z_EN: 0
; COMPUTE_PGM_RSRC2:TIDIG_COMP_CNT: 0
; COMPUTE_PGM_RSRC3_GFX90A:ACCUM_OFFSET: 0
; COMPUTE_PGM_RSRC3_GFX90A:TG_SPLIT: 0
	.section	.text._ZN7rocprim17ROCPRIM_400000_NS6detail17trampoline_kernelINS0_14default_configENS1_25partition_config_selectorILNS1_17partition_subalgoE2EtNS0_10empty_typeEbEEZZNS1_14partition_implILS5_2ELb0ES3_jN6thrust23THRUST_200600_302600_NS6detail15normal_iteratorINSA_7pointerItNSA_11hip_rocprim3tagENSA_11use_defaultESG_EEEEPS6_NSA_18transform_iteratorI7is_evenItENSC_INSA_10device_ptrItEEEESG_SG_EENS0_5tupleIJPtSJ_EEENSR_IJSJ_SJ_EEES6_PlJS6_EEE10hipError_tPvRmT3_T4_T5_T6_T7_T9_mT8_P12ihipStream_tbDpT10_ENKUlT_T0_E_clISt17integral_constantIbLb1EES1E_IbLb0EEEEDaS1A_S1B_EUlS1A_E_NS1_11comp_targetILNS1_3genE4ELNS1_11target_archE910ELNS1_3gpuE8ELNS1_3repE0EEENS1_30default_config_static_selectorELNS0_4arch9wavefront6targetE1EEEvT1_,"axG",@progbits,_ZN7rocprim17ROCPRIM_400000_NS6detail17trampoline_kernelINS0_14default_configENS1_25partition_config_selectorILNS1_17partition_subalgoE2EtNS0_10empty_typeEbEEZZNS1_14partition_implILS5_2ELb0ES3_jN6thrust23THRUST_200600_302600_NS6detail15normal_iteratorINSA_7pointerItNSA_11hip_rocprim3tagENSA_11use_defaultESG_EEEEPS6_NSA_18transform_iteratorI7is_evenItENSC_INSA_10device_ptrItEEEESG_SG_EENS0_5tupleIJPtSJ_EEENSR_IJSJ_SJ_EEES6_PlJS6_EEE10hipError_tPvRmT3_T4_T5_T6_T7_T9_mT8_P12ihipStream_tbDpT10_ENKUlT_T0_E_clISt17integral_constantIbLb1EES1E_IbLb0EEEEDaS1A_S1B_EUlS1A_E_NS1_11comp_targetILNS1_3genE4ELNS1_11target_archE910ELNS1_3gpuE8ELNS1_3repE0EEENS1_30default_config_static_selectorELNS0_4arch9wavefront6targetE1EEEvT1_,comdat
	.protected	_ZN7rocprim17ROCPRIM_400000_NS6detail17trampoline_kernelINS0_14default_configENS1_25partition_config_selectorILNS1_17partition_subalgoE2EtNS0_10empty_typeEbEEZZNS1_14partition_implILS5_2ELb0ES3_jN6thrust23THRUST_200600_302600_NS6detail15normal_iteratorINSA_7pointerItNSA_11hip_rocprim3tagENSA_11use_defaultESG_EEEEPS6_NSA_18transform_iteratorI7is_evenItENSC_INSA_10device_ptrItEEEESG_SG_EENS0_5tupleIJPtSJ_EEENSR_IJSJ_SJ_EEES6_PlJS6_EEE10hipError_tPvRmT3_T4_T5_T6_T7_T9_mT8_P12ihipStream_tbDpT10_ENKUlT_T0_E_clISt17integral_constantIbLb1EES1E_IbLb0EEEEDaS1A_S1B_EUlS1A_E_NS1_11comp_targetILNS1_3genE4ELNS1_11target_archE910ELNS1_3gpuE8ELNS1_3repE0EEENS1_30default_config_static_selectorELNS0_4arch9wavefront6targetE1EEEvT1_ ; -- Begin function _ZN7rocprim17ROCPRIM_400000_NS6detail17trampoline_kernelINS0_14default_configENS1_25partition_config_selectorILNS1_17partition_subalgoE2EtNS0_10empty_typeEbEEZZNS1_14partition_implILS5_2ELb0ES3_jN6thrust23THRUST_200600_302600_NS6detail15normal_iteratorINSA_7pointerItNSA_11hip_rocprim3tagENSA_11use_defaultESG_EEEEPS6_NSA_18transform_iteratorI7is_evenItENSC_INSA_10device_ptrItEEEESG_SG_EENS0_5tupleIJPtSJ_EEENSR_IJSJ_SJ_EEES6_PlJS6_EEE10hipError_tPvRmT3_T4_T5_T6_T7_T9_mT8_P12ihipStream_tbDpT10_ENKUlT_T0_E_clISt17integral_constantIbLb1EES1E_IbLb0EEEEDaS1A_S1B_EUlS1A_E_NS1_11comp_targetILNS1_3genE4ELNS1_11target_archE910ELNS1_3gpuE8ELNS1_3repE0EEENS1_30default_config_static_selectorELNS0_4arch9wavefront6targetE1EEEvT1_
	.globl	_ZN7rocprim17ROCPRIM_400000_NS6detail17trampoline_kernelINS0_14default_configENS1_25partition_config_selectorILNS1_17partition_subalgoE2EtNS0_10empty_typeEbEEZZNS1_14partition_implILS5_2ELb0ES3_jN6thrust23THRUST_200600_302600_NS6detail15normal_iteratorINSA_7pointerItNSA_11hip_rocprim3tagENSA_11use_defaultESG_EEEEPS6_NSA_18transform_iteratorI7is_evenItENSC_INSA_10device_ptrItEEEESG_SG_EENS0_5tupleIJPtSJ_EEENSR_IJSJ_SJ_EEES6_PlJS6_EEE10hipError_tPvRmT3_T4_T5_T6_T7_T9_mT8_P12ihipStream_tbDpT10_ENKUlT_T0_E_clISt17integral_constantIbLb1EES1E_IbLb0EEEEDaS1A_S1B_EUlS1A_E_NS1_11comp_targetILNS1_3genE4ELNS1_11target_archE910ELNS1_3gpuE8ELNS1_3repE0EEENS1_30default_config_static_selectorELNS0_4arch9wavefront6targetE1EEEvT1_
	.p2align	8
	.type	_ZN7rocprim17ROCPRIM_400000_NS6detail17trampoline_kernelINS0_14default_configENS1_25partition_config_selectorILNS1_17partition_subalgoE2EtNS0_10empty_typeEbEEZZNS1_14partition_implILS5_2ELb0ES3_jN6thrust23THRUST_200600_302600_NS6detail15normal_iteratorINSA_7pointerItNSA_11hip_rocprim3tagENSA_11use_defaultESG_EEEEPS6_NSA_18transform_iteratorI7is_evenItENSC_INSA_10device_ptrItEEEESG_SG_EENS0_5tupleIJPtSJ_EEENSR_IJSJ_SJ_EEES6_PlJS6_EEE10hipError_tPvRmT3_T4_T5_T6_T7_T9_mT8_P12ihipStream_tbDpT10_ENKUlT_T0_E_clISt17integral_constantIbLb1EES1E_IbLb0EEEEDaS1A_S1B_EUlS1A_E_NS1_11comp_targetILNS1_3genE4ELNS1_11target_archE910ELNS1_3gpuE8ELNS1_3repE0EEENS1_30default_config_static_selectorELNS0_4arch9wavefront6targetE1EEEvT1_,@function
_ZN7rocprim17ROCPRIM_400000_NS6detail17trampoline_kernelINS0_14default_configENS1_25partition_config_selectorILNS1_17partition_subalgoE2EtNS0_10empty_typeEbEEZZNS1_14partition_implILS5_2ELb0ES3_jN6thrust23THRUST_200600_302600_NS6detail15normal_iteratorINSA_7pointerItNSA_11hip_rocprim3tagENSA_11use_defaultESG_EEEEPS6_NSA_18transform_iteratorI7is_evenItENSC_INSA_10device_ptrItEEEESG_SG_EENS0_5tupleIJPtSJ_EEENSR_IJSJ_SJ_EEES6_PlJS6_EEE10hipError_tPvRmT3_T4_T5_T6_T7_T9_mT8_P12ihipStream_tbDpT10_ENKUlT_T0_E_clISt17integral_constantIbLb1EES1E_IbLb0EEEEDaS1A_S1B_EUlS1A_E_NS1_11comp_targetILNS1_3genE4ELNS1_11target_archE910ELNS1_3gpuE8ELNS1_3repE0EEENS1_30default_config_static_selectorELNS0_4arch9wavefront6targetE1EEEvT1_: ; @_ZN7rocprim17ROCPRIM_400000_NS6detail17trampoline_kernelINS0_14default_configENS1_25partition_config_selectorILNS1_17partition_subalgoE2EtNS0_10empty_typeEbEEZZNS1_14partition_implILS5_2ELb0ES3_jN6thrust23THRUST_200600_302600_NS6detail15normal_iteratorINSA_7pointerItNSA_11hip_rocprim3tagENSA_11use_defaultESG_EEEEPS6_NSA_18transform_iteratorI7is_evenItENSC_INSA_10device_ptrItEEEESG_SG_EENS0_5tupleIJPtSJ_EEENSR_IJSJ_SJ_EEES6_PlJS6_EEE10hipError_tPvRmT3_T4_T5_T6_T7_T9_mT8_P12ihipStream_tbDpT10_ENKUlT_T0_E_clISt17integral_constantIbLb1EES1E_IbLb0EEEEDaS1A_S1B_EUlS1A_E_NS1_11comp_targetILNS1_3genE4ELNS1_11target_archE910ELNS1_3gpuE8ELNS1_3repE0EEENS1_30default_config_static_selectorELNS0_4arch9wavefront6targetE1EEEvT1_
; %bb.0:
	s_load_dwordx4 s[24:27], s[4:5], 0x8
	s_load_dwordx2 s[2:3], s[4:5], 0x20
	s_load_dwordx2 s[28:29], s[4:5], 0x60
	s_load_dwordx4 s[20:23], s[4:5], 0x50
	s_load_dword s0, s[4:5], 0x78
	s_waitcnt lgkmcnt(0)
	s_lshl_b64 s[8:9], s[26:27], 1
	s_add_u32 s7, s24, s8
	s_addc_u32 s12, s25, s9
	s_load_dwordx2 s[30:31], s[22:23], 0x0
	s_add_i32 s10, s0, -1
	s_mulk_i32 s0, 0x1400
	s_add_i32 s1, s0, s26
	s_sub_i32 s33, s28, s1
	s_addk_i32 s33, 0x1400
	s_add_u32 s0, s26, s0
	s_addc_u32 s1, s27, 0
	s_cmp_eq_u32 s6, s10
	v_pk_mov_b32 v[2:3], s[28:29], s[28:29] op_sel:[0,1]
	s_cselect_b64 s[22:23], -1, 0
	s_cmp_lg_u32 s6, s10
	s_mul_i32 s24, s6, 0x1400
	s_mov_b32 s25, 0
	v_cmp_lt_u64_e32 vcc, s[0:1], v[2:3]
	s_cselect_b64 s[0:1], -1, 0
	s_or_b64 s[34:35], s[0:1], vcc
	s_lshl_b64 s[10:11], s[24:25], 1
	s_add_u32 s7, s7, s10
	s_addc_u32 s14, s12, s11
	s_mov_b64 s[0:1], -1
	s_and_b64 vcc, exec, s[34:35]
	v_lshlrev_b32_e32 v1, 1, v0
	s_cbranch_vccz .LBB2088_2
; %bb.1:
	v_mov_b32_e32 v3, s14
	v_add_co_u32_e32 v2, vcc, s7, v1
	v_addc_co_u32_e32 v3, vcc, 0, v3, vcc
	v_add_co_u32_e32 v4, vcc, 0x1000, v2
	v_addc_co_u32_e32 v5, vcc, 0, v3, vcc
	flat_load_ushort v6, v[2:3]
	flat_load_ushort v7, v[2:3] offset:512
	flat_load_ushort v8, v[2:3] offset:1024
	;; [unrolled: 1-line block ×7, first 2 shown]
	v_add_co_u32_e32 v2, vcc, 0x2000, v2
	v_addc_co_u32_e32 v3, vcc, 0, v3, vcc
	flat_load_ushort v14, v[4:5]
	flat_load_ushort v15, v[4:5] offset:512
	flat_load_ushort v16, v[4:5] offset:1024
	;; [unrolled: 1-line block ×7, first 2 shown]
	s_nop 0
	flat_load_ushort v4, v[2:3]
	flat_load_ushort v5, v[2:3] offset:512
	flat_load_ushort v22, v[2:3] offset:1024
	;; [unrolled: 1-line block ×3, first 2 shown]
	s_mov_b64 s[0:1], 0
	s_waitcnt vmcnt(0) lgkmcnt(0)
	ds_write_b16 v1, v6
	ds_write_b16 v1, v7 offset:512
	ds_write_b16 v1, v8 offset:1024
	;; [unrolled: 1-line block ×19, first 2 shown]
	s_waitcnt lgkmcnt(0)
	s_barrier
.LBB2088_2:
	s_andn2_b64 vcc, exec, s[0:1]
	v_cmp_gt_u32_e64 s[0:1], s33, v0
	s_cbranch_vccnz .LBB2088_44
; %bb.3:
                                        ; implicit-def: $vgpr2
	s_and_saveexec_b64 s[12:13], s[0:1]
	s_cbranch_execz .LBB2088_5
; %bb.4:
	v_mov_b32_e32 v3, s14
	v_add_co_u32_e32 v2, vcc, s7, v1
	v_addc_co_u32_e32 v3, vcc, 0, v3, vcc
	flat_load_ushort v2, v[2:3]
.LBB2088_5:
	s_or_b64 exec, exec, s[12:13]
	v_or_b32_e32 v3, 0x100, v0
	v_cmp_gt_u32_e32 vcc, s33, v3
                                        ; implicit-def: $vgpr3
	s_and_saveexec_b64 s[0:1], vcc
	s_cbranch_execz .LBB2088_7
; %bb.6:
	v_mov_b32_e32 v3, s14
	v_add_co_u32_e32 v4, vcc, s7, v1
	v_addc_co_u32_e32 v5, vcc, 0, v3, vcc
	flat_load_ushort v3, v[4:5] offset:512
.LBB2088_7:
	s_or_b64 exec, exec, s[0:1]
	v_or_b32_e32 v4, 0x200, v0
	v_cmp_gt_u32_e32 vcc, s33, v4
                                        ; implicit-def: $vgpr4
	s_and_saveexec_b64 s[0:1], vcc
	s_cbranch_execz .LBB2088_9
; %bb.8:
	v_mov_b32_e32 v5, s14
	v_add_co_u32_e32 v4, vcc, s7, v1
	v_addc_co_u32_e32 v5, vcc, 0, v5, vcc
	flat_load_ushort v4, v[4:5] offset:1024
.LBB2088_9:
	s_or_b64 exec, exec, s[0:1]
	v_or_b32_e32 v5, 0x300, v0
	v_cmp_gt_u32_e32 vcc, s33, v5
                                        ; implicit-def: $vgpr5
	s_and_saveexec_b64 s[0:1], vcc
	s_cbranch_execz .LBB2088_11
; %bb.10:
	v_mov_b32_e32 v5, s14
	v_add_co_u32_e32 v6, vcc, s7, v1
	v_addc_co_u32_e32 v7, vcc, 0, v5, vcc
	flat_load_ushort v5, v[6:7] offset:1536
.LBB2088_11:
	s_or_b64 exec, exec, s[0:1]
	v_or_b32_e32 v6, 0x400, v0
	v_cmp_gt_u32_e32 vcc, s33, v6
                                        ; implicit-def: $vgpr6
	s_and_saveexec_b64 s[0:1], vcc
	s_cbranch_execz .LBB2088_13
; %bb.12:
	v_mov_b32_e32 v7, s14
	v_add_co_u32_e32 v6, vcc, s7, v1
	v_addc_co_u32_e32 v7, vcc, 0, v7, vcc
	flat_load_ushort v6, v[6:7] offset:2048
.LBB2088_13:
	s_or_b64 exec, exec, s[0:1]
	v_or_b32_e32 v7, 0x500, v0
	v_cmp_gt_u32_e32 vcc, s33, v7
                                        ; implicit-def: $vgpr7
	s_and_saveexec_b64 s[0:1], vcc
	s_cbranch_execz .LBB2088_15
; %bb.14:
	v_mov_b32_e32 v7, s14
	v_add_co_u32_e32 v8, vcc, s7, v1
	v_addc_co_u32_e32 v9, vcc, 0, v7, vcc
	flat_load_ushort v7, v[8:9] offset:2560
.LBB2088_15:
	s_or_b64 exec, exec, s[0:1]
	v_or_b32_e32 v8, 0x600, v0
	v_cmp_gt_u32_e32 vcc, s33, v8
                                        ; implicit-def: $vgpr8
	s_and_saveexec_b64 s[0:1], vcc
	s_cbranch_execz .LBB2088_17
; %bb.16:
	v_mov_b32_e32 v9, s14
	v_add_co_u32_e32 v8, vcc, s7, v1
	v_addc_co_u32_e32 v9, vcc, 0, v9, vcc
	flat_load_ushort v8, v[8:9] offset:3072
.LBB2088_17:
	s_or_b64 exec, exec, s[0:1]
	v_or_b32_e32 v9, 0x700, v0
	v_cmp_gt_u32_e32 vcc, s33, v9
                                        ; implicit-def: $vgpr9
	s_and_saveexec_b64 s[0:1], vcc
	s_cbranch_execz .LBB2088_19
; %bb.18:
	v_mov_b32_e32 v9, s14
	v_add_co_u32_e32 v10, vcc, s7, v1
	v_addc_co_u32_e32 v11, vcc, 0, v9, vcc
	flat_load_ushort v9, v[10:11] offset:3584
.LBB2088_19:
	s_or_b64 exec, exec, s[0:1]
	v_or_b32_e32 v11, 0x800, v0
	v_cmp_gt_u32_e32 vcc, s33, v11
                                        ; implicit-def: $vgpr10
	s_and_saveexec_b64 s[0:1], vcc
	s_cbranch_execz .LBB2088_21
; %bb.20:
	v_lshlrev_b32_e32 v10, 1, v11
	v_mov_b32_e32 v11, s14
	v_add_co_u32_e32 v10, vcc, s7, v10
	v_addc_co_u32_e32 v11, vcc, 0, v11, vcc
	flat_load_ushort v10, v[10:11]
.LBB2088_21:
	s_or_b64 exec, exec, s[0:1]
	v_or_b32_e32 v12, 0x900, v0
	v_cmp_gt_u32_e32 vcc, s33, v12
                                        ; implicit-def: $vgpr11
	s_and_saveexec_b64 s[0:1], vcc
	s_cbranch_execz .LBB2088_23
; %bb.22:
	v_lshlrev_b32_e32 v11, 1, v12
	v_mov_b32_e32 v13, s14
	v_add_co_u32_e32 v12, vcc, s7, v11
	v_addc_co_u32_e32 v13, vcc, 0, v13, vcc
	flat_load_ushort v11, v[12:13]
.LBB2088_23:
	s_or_b64 exec, exec, s[0:1]
	v_or_b32_e32 v13, 0xa00, v0
	v_cmp_gt_u32_e32 vcc, s33, v13
                                        ; implicit-def: $vgpr12
	s_and_saveexec_b64 s[0:1], vcc
	s_cbranch_execz .LBB2088_25
; %bb.24:
	v_lshlrev_b32_e32 v12, 1, v13
	v_mov_b32_e32 v13, s14
	v_add_co_u32_e32 v12, vcc, s7, v12
	v_addc_co_u32_e32 v13, vcc, 0, v13, vcc
	flat_load_ushort v12, v[12:13]
.LBB2088_25:
	s_or_b64 exec, exec, s[0:1]
	v_or_b32_e32 v14, 0xb00, v0
	v_cmp_gt_u32_e32 vcc, s33, v14
                                        ; implicit-def: $vgpr13
	s_and_saveexec_b64 s[0:1], vcc
	s_cbranch_execz .LBB2088_27
; %bb.26:
	v_lshlrev_b32_e32 v13, 1, v14
	v_mov_b32_e32 v15, s14
	v_add_co_u32_e32 v14, vcc, s7, v13
	v_addc_co_u32_e32 v15, vcc, 0, v15, vcc
	flat_load_ushort v13, v[14:15]
.LBB2088_27:
	s_or_b64 exec, exec, s[0:1]
	v_or_b32_e32 v15, 0xc00, v0
	v_cmp_gt_u32_e32 vcc, s33, v15
                                        ; implicit-def: $vgpr14
	s_and_saveexec_b64 s[0:1], vcc
	s_cbranch_execz .LBB2088_29
; %bb.28:
	v_lshlrev_b32_e32 v14, 1, v15
	v_mov_b32_e32 v15, s14
	v_add_co_u32_e32 v14, vcc, s7, v14
	v_addc_co_u32_e32 v15, vcc, 0, v15, vcc
	flat_load_ushort v14, v[14:15]
.LBB2088_29:
	s_or_b64 exec, exec, s[0:1]
	v_or_b32_e32 v16, 0xd00, v0
	v_cmp_gt_u32_e32 vcc, s33, v16
                                        ; implicit-def: $vgpr15
	s_and_saveexec_b64 s[0:1], vcc
	s_cbranch_execz .LBB2088_31
; %bb.30:
	v_lshlrev_b32_e32 v15, 1, v16
	v_mov_b32_e32 v17, s14
	v_add_co_u32_e32 v16, vcc, s7, v15
	v_addc_co_u32_e32 v17, vcc, 0, v17, vcc
	flat_load_ushort v15, v[16:17]
.LBB2088_31:
	s_or_b64 exec, exec, s[0:1]
	v_or_b32_e32 v17, 0xe00, v0
	v_cmp_gt_u32_e32 vcc, s33, v17
                                        ; implicit-def: $vgpr16
	s_and_saveexec_b64 s[0:1], vcc
	s_cbranch_execz .LBB2088_33
; %bb.32:
	v_lshlrev_b32_e32 v16, 1, v17
	v_mov_b32_e32 v17, s14
	v_add_co_u32_e32 v16, vcc, s7, v16
	v_addc_co_u32_e32 v17, vcc, 0, v17, vcc
	flat_load_ushort v16, v[16:17]
.LBB2088_33:
	s_or_b64 exec, exec, s[0:1]
	v_or_b32_e32 v18, 0xf00, v0
	v_cmp_gt_u32_e32 vcc, s33, v18
                                        ; implicit-def: $vgpr17
	s_and_saveexec_b64 s[0:1], vcc
	s_cbranch_execz .LBB2088_35
; %bb.34:
	v_lshlrev_b32_e32 v17, 1, v18
	v_mov_b32_e32 v19, s14
	v_add_co_u32_e32 v18, vcc, s7, v17
	v_addc_co_u32_e32 v19, vcc, 0, v19, vcc
	flat_load_ushort v17, v[18:19]
.LBB2088_35:
	s_or_b64 exec, exec, s[0:1]
	v_or_b32_e32 v19, 0x1000, v0
	v_cmp_gt_u32_e32 vcc, s33, v19
                                        ; implicit-def: $vgpr18
	s_and_saveexec_b64 s[0:1], vcc
	s_cbranch_execz .LBB2088_37
; %bb.36:
	v_lshlrev_b32_e32 v18, 1, v19
	v_mov_b32_e32 v19, s14
	v_add_co_u32_e32 v18, vcc, s7, v18
	v_addc_co_u32_e32 v19, vcc, 0, v19, vcc
	flat_load_ushort v18, v[18:19]
.LBB2088_37:
	s_or_b64 exec, exec, s[0:1]
	v_or_b32_e32 v20, 0x1100, v0
	v_cmp_gt_u32_e32 vcc, s33, v20
                                        ; implicit-def: $vgpr19
	s_and_saveexec_b64 s[0:1], vcc
	s_cbranch_execz .LBB2088_39
; %bb.38:
	v_lshlrev_b32_e32 v19, 1, v20
	v_mov_b32_e32 v21, s14
	v_add_co_u32_e32 v20, vcc, s7, v19
	v_addc_co_u32_e32 v21, vcc, 0, v21, vcc
	flat_load_ushort v19, v[20:21]
.LBB2088_39:
	s_or_b64 exec, exec, s[0:1]
	v_or_b32_e32 v21, 0x1200, v0
	v_cmp_gt_u32_e32 vcc, s33, v21
                                        ; implicit-def: $vgpr20
	s_and_saveexec_b64 s[0:1], vcc
	s_cbranch_execz .LBB2088_41
; %bb.40:
	v_lshlrev_b32_e32 v20, 1, v21
	v_mov_b32_e32 v21, s14
	v_add_co_u32_e32 v20, vcc, s7, v20
	v_addc_co_u32_e32 v21, vcc, 0, v21, vcc
	flat_load_ushort v20, v[20:21]
.LBB2088_41:
	s_or_b64 exec, exec, s[0:1]
	v_or_b32_e32 v22, 0x1300, v0
	v_cmp_gt_u32_e32 vcc, s33, v22
                                        ; implicit-def: $vgpr21
	s_and_saveexec_b64 s[0:1], vcc
	s_cbranch_execz .LBB2088_43
; %bb.42:
	v_lshlrev_b32_e32 v21, 1, v22
	v_mov_b32_e32 v23, s14
	v_add_co_u32_e32 v22, vcc, s7, v21
	v_addc_co_u32_e32 v23, vcc, 0, v23, vcc
	flat_load_ushort v21, v[22:23]
.LBB2088_43:
	s_or_b64 exec, exec, s[0:1]
	s_waitcnt vmcnt(0) lgkmcnt(0)
	ds_write_b16 v1, v2
	ds_write_b16 v1, v3 offset:512
	ds_write_b16 v1, v4 offset:1024
	;; [unrolled: 1-line block ×19, first 2 shown]
	s_waitcnt lgkmcnt(0)
	s_barrier
.LBB2088_44:
	v_mul_u32_u24_e32 v26, 20, v0
	v_lshlrev_b32_e32 v6, 1, v26
	s_waitcnt lgkmcnt(0)
	ds_read_b64 v[12:13], v6 offset:32
	ds_read2_b64 v[2:5], v6 offset0:2 offset1:3
	ds_read2_b64 v[6:9], v6 offset1:1
	s_add_u32 s0, s2, s8
	s_addc_u32 s1, s3, s9
	s_add_u32 s0, s0, s10
	s_addc_u32 s1, s1, s11
	s_mov_b64 s[2:3], -1
	s_and_b64 vcc, exec, s[34:35]
	s_waitcnt lgkmcnt(0)
	s_barrier
	s_cbranch_vccz .LBB2088_46
; %bb.45:
	v_mov_b32_e32 v10, s1
	v_add_co_u32_e32 v14, vcc, s0, v1
	s_movk_i32 s2, 0x1000
	v_addc_co_u32_e32 v15, vcc, 0, v10, vcc
	v_add_co_u32_e32 v10, vcc, s2, v14
	s_movk_i32 s3, 0x2000
	v_addc_co_u32_e32 v11, vcc, 0, v15, vcc
	global_load_ubyte v16, v1, s[0:1]
	global_load_ubyte v17, v1, s[0:1] offset:512
	global_load_ubyte v18, v1, s[0:1] offset:1024
	;; [unrolled: 1-line block ×7, first 2 shown]
	v_add_co_u32_e32 v14, vcc, s3, v14
	v_addc_co_u32_e32 v15, vcc, 0, v15, vcc
	global_load_ubyte v24, v[14:15], off offset:-4096
	global_load_ubyte v25, v[10:11], off offset:512
	global_load_ubyte v27, v[10:11], off offset:1024
	;; [unrolled: 1-line block ×7, first 2 shown]
	global_load_ubyte v33, v[14:15], off
	global_load_ubyte v34, v[14:15], off offset:512
	global_load_ubyte v35, v[14:15], off offset:1024
	;; [unrolled: 1-line block ×3, first 2 shown]
	s_mov_b64 s[2:3], 0
	s_waitcnt vmcnt(19)
	v_xor_b32_e32 v10, -1, v16
	s_waitcnt vmcnt(18)
	v_xor_b32_e32 v11, -1, v17
	;; [unrolled: 2-line block ×8, first 2 shown]
	v_and_b32_e32 v10, 1, v10
	v_and_b32_e32 v11, 1, v11
	;; [unrolled: 1-line block ×8, first 2 shown]
	ds_write_b8 v0, v10
	ds_write_b8 v0, v11 offset:256
	ds_write_b8 v0, v14 offset:512
	;; [unrolled: 1-line block ×7, first 2 shown]
	s_waitcnt vmcnt(11)
	v_xor_b32_e32 v10, -1, v24
	s_waitcnt vmcnt(10)
	v_xor_b32_e32 v11, -1, v25
	;; [unrolled: 2-line block ×12, first 2 shown]
	v_and_b32_e32 v10, 1, v10
	v_and_b32_e32 v11, 1, v11
	;; [unrolled: 1-line block ×12, first 2 shown]
	ds_write_b8 v0, v10 offset:2048
	ds_write_b8 v0, v11 offset:2304
	;; [unrolled: 1-line block ×12, first 2 shown]
	s_waitcnt lgkmcnt(0)
	s_barrier
.LBB2088_46:
	s_load_dwordx2 s[36:37], s[4:5], 0x70
	s_andn2_b64 vcc, exec, s[2:3]
	s_cbranch_vccnz .LBB2088_88
; %bb.47:
	v_cmp_gt_u32_e32 vcc, s33, v0
	v_mov_b32_e32 v10, 0
	v_mov_b32_e32 v11, 0
	s_and_saveexec_b64 s[2:3], vcc
	s_cbranch_execz .LBB2088_49
; %bb.48:
	global_load_ubyte v11, v1, s[0:1]
	s_waitcnt vmcnt(0)
	v_xor_b32_e32 v11, -1, v11
	v_and_b32_e32 v11, 1, v11
.LBB2088_49:
	s_or_b64 exec, exec, s[2:3]
	v_or_b32_e32 v14, 0x100, v0
	v_cmp_gt_u32_e32 vcc, s33, v14
	s_and_saveexec_b64 s[2:3], vcc
	s_cbranch_execz .LBB2088_51
; %bb.50:
	global_load_ubyte v10, v1, s[0:1] offset:512
	s_waitcnt vmcnt(0)
	v_xor_b32_e32 v10, -1, v10
	v_and_b32_e32 v10, 1, v10
.LBB2088_51:
	s_or_b64 exec, exec, s[2:3]
	v_or_b32_e32 v14, 0x200, v0
	v_cmp_gt_u32_e32 vcc, s33, v14
	v_mov_b32_e32 v14, 0
	v_mov_b32_e32 v15, 0
	s_and_saveexec_b64 s[2:3], vcc
	s_cbranch_execz .LBB2088_53
; %bb.52:
	global_load_ubyte v15, v1, s[0:1] offset:1024
	s_waitcnt vmcnt(0)
	v_xor_b32_e32 v15, -1, v15
	v_and_b32_e32 v15, 1, v15
.LBB2088_53:
	s_or_b64 exec, exec, s[2:3]
	v_or_b32_e32 v16, 0x300, v0
	v_cmp_gt_u32_e32 vcc, s33, v16
	s_and_saveexec_b64 s[2:3], vcc
	s_cbranch_execz .LBB2088_55
; %bb.54:
	global_load_ubyte v14, v1, s[0:1] offset:1536
	s_waitcnt vmcnt(0)
	v_xor_b32_e32 v14, -1, v14
	v_and_b32_e32 v14, 1, v14
.LBB2088_55:
	s_or_b64 exec, exec, s[2:3]
	v_or_b32_e32 v16, 0x400, v0
	v_cmp_gt_u32_e32 vcc, s33, v16
	v_mov_b32_e32 v16, 0
	v_mov_b32_e32 v17, 0
	s_and_saveexec_b64 s[2:3], vcc
	s_cbranch_execz .LBB2088_57
; %bb.56:
	global_load_ubyte v17, v1, s[0:1] offset:2048
	s_waitcnt vmcnt(0)
	v_xor_b32_e32 v17, -1, v17
	v_and_b32_e32 v17, 1, v17
.LBB2088_57:
	s_or_b64 exec, exec, s[2:3]
	v_or_b32_e32 v18, 0x500, v0
	v_cmp_gt_u32_e32 vcc, s33, v18
	s_and_saveexec_b64 s[2:3], vcc
	s_cbranch_execz .LBB2088_59
; %bb.58:
	global_load_ubyte v16, v1, s[0:1] offset:2560
	s_waitcnt vmcnt(0)
	v_xor_b32_e32 v16, -1, v16
	v_and_b32_e32 v16, 1, v16
.LBB2088_59:
	s_or_b64 exec, exec, s[2:3]
	v_or_b32_e32 v18, 0x600, v0
	v_cmp_gt_u32_e32 vcc, s33, v18
	v_mov_b32_e32 v18, 0
	v_mov_b32_e32 v19, 0
	s_and_saveexec_b64 s[2:3], vcc
	s_cbranch_execz .LBB2088_61
; %bb.60:
	global_load_ubyte v19, v1, s[0:1] offset:3072
	s_waitcnt vmcnt(0)
	v_xor_b32_e32 v19, -1, v19
	v_and_b32_e32 v19, 1, v19
.LBB2088_61:
	s_or_b64 exec, exec, s[2:3]
	v_or_b32_e32 v20, 0x700, v0
	v_cmp_gt_u32_e32 vcc, s33, v20
	s_and_saveexec_b64 s[2:3], vcc
	s_cbranch_execz .LBB2088_63
; %bb.62:
	global_load_ubyte v18, v1, s[0:1] offset:3584
	s_waitcnt vmcnt(0)
	v_xor_b32_e32 v18, -1, v18
	v_and_b32_e32 v18, 1, v18
.LBB2088_63:
	s_or_b64 exec, exec, s[2:3]
	v_or_b32_e32 v22, 0x800, v0
	v_cmp_gt_u32_e32 vcc, s33, v22
	v_mov_b32_e32 v20, 0
	v_mov_b32_e32 v21, 0
	s_and_saveexec_b64 s[2:3], vcc
	s_cbranch_execz .LBB2088_65
; %bb.64:
	v_lshlrev_b32_e32 v21, 1, v22
	global_load_ubyte v21, v21, s[0:1]
	s_waitcnt vmcnt(0)
	v_xor_b32_e32 v21, -1, v21
	v_and_b32_e32 v21, 1, v21
.LBB2088_65:
	s_or_b64 exec, exec, s[2:3]
	v_or_b32_e32 v22, 0x900, v0
	v_cmp_gt_u32_e32 vcc, s33, v22
	s_and_saveexec_b64 s[2:3], vcc
	s_cbranch_execz .LBB2088_67
; %bb.66:
	v_lshlrev_b32_e32 v20, 1, v22
	global_load_ubyte v20, v20, s[0:1]
	s_waitcnt vmcnt(0)
	v_xor_b32_e32 v20, -1, v20
	v_and_b32_e32 v20, 1, v20
.LBB2088_67:
	s_or_b64 exec, exec, s[2:3]
	v_or_b32_e32 v24, 0xa00, v0
	v_cmp_gt_u32_e32 vcc, s33, v24
	v_mov_b32_e32 v22, 0
	v_mov_b32_e32 v23, 0
	s_and_saveexec_b64 s[2:3], vcc
	s_cbranch_execz .LBB2088_69
; %bb.68:
	v_lshlrev_b32_e32 v23, 1, v24
	global_load_ubyte v23, v23, s[0:1]
	s_waitcnt vmcnt(0)
	v_xor_b32_e32 v23, -1, v23
	v_and_b32_e32 v23, 1, v23
.LBB2088_69:
	s_or_b64 exec, exec, s[2:3]
	v_or_b32_e32 v24, 0xb00, v0
	v_cmp_gt_u32_e32 vcc, s33, v24
	s_and_saveexec_b64 s[2:3], vcc
	s_cbranch_execz .LBB2088_71
; %bb.70:
	v_lshlrev_b32_e32 v22, 1, v24
	global_load_ubyte v22, v22, s[0:1]
	s_waitcnt vmcnt(0)
	v_xor_b32_e32 v22, -1, v22
	v_and_b32_e32 v22, 1, v22
.LBB2088_71:
	s_or_b64 exec, exec, s[2:3]
	v_or_b32_e32 v27, 0xc00, v0
	v_cmp_gt_u32_e32 vcc, s33, v27
	v_mov_b32_e32 v24, 0
	v_mov_b32_e32 v25, 0
	s_and_saveexec_b64 s[2:3], vcc
	s_cbranch_execz .LBB2088_73
; %bb.72:
	v_lshlrev_b32_e32 v25, 1, v27
	global_load_ubyte v25, v25, s[0:1]
	s_waitcnt vmcnt(0)
	v_xor_b32_e32 v25, -1, v25
	v_and_b32_e32 v25, 1, v25
.LBB2088_73:
	s_or_b64 exec, exec, s[2:3]
	v_or_b32_e32 v27, 0xd00, v0
	v_cmp_gt_u32_e32 vcc, s33, v27
	s_and_saveexec_b64 s[2:3], vcc
	s_cbranch_execz .LBB2088_75
; %bb.74:
	v_lshlrev_b32_e32 v24, 1, v27
	global_load_ubyte v24, v24, s[0:1]
	s_waitcnt vmcnt(0)
	v_xor_b32_e32 v24, -1, v24
	v_and_b32_e32 v24, 1, v24
.LBB2088_75:
	s_or_b64 exec, exec, s[2:3]
	v_or_b32_e32 v29, 0xe00, v0
	v_cmp_gt_u32_e32 vcc, s33, v29
	v_mov_b32_e32 v27, 0
	v_mov_b32_e32 v28, 0
	s_and_saveexec_b64 s[2:3], vcc
	s_cbranch_execz .LBB2088_77
; %bb.76:
	v_lshlrev_b32_e32 v28, 1, v29
	global_load_ubyte v28, v28, s[0:1]
	s_waitcnt vmcnt(0)
	v_xor_b32_e32 v28, -1, v28
	v_and_b32_e32 v28, 1, v28
.LBB2088_77:
	s_or_b64 exec, exec, s[2:3]
	v_or_b32_e32 v29, 0xf00, v0
	v_cmp_gt_u32_e32 vcc, s33, v29
	s_and_saveexec_b64 s[2:3], vcc
	s_cbranch_execz .LBB2088_79
; %bb.78:
	v_lshlrev_b32_e32 v27, 1, v29
	global_load_ubyte v27, v27, s[0:1]
	s_waitcnt vmcnt(0)
	v_xor_b32_e32 v27, -1, v27
	v_and_b32_e32 v27, 1, v27
.LBB2088_79:
	s_or_b64 exec, exec, s[2:3]
	v_or_b32_e32 v31, 0x1000, v0
	v_cmp_gt_u32_e32 vcc, s33, v31
	v_mov_b32_e32 v29, 0
	v_mov_b32_e32 v30, 0
	s_and_saveexec_b64 s[2:3], vcc
	s_cbranch_execz .LBB2088_81
; %bb.80:
	v_lshlrev_b32_e32 v30, 1, v31
	global_load_ubyte v30, v30, s[0:1]
	s_waitcnt vmcnt(0)
	v_xor_b32_e32 v30, -1, v30
	v_and_b32_e32 v30, 1, v30
.LBB2088_81:
	s_or_b64 exec, exec, s[2:3]
	v_or_b32_e32 v31, 0x1100, v0
	v_cmp_gt_u32_e32 vcc, s33, v31
	s_and_saveexec_b64 s[2:3], vcc
	s_cbranch_execz .LBB2088_83
; %bb.82:
	v_lshlrev_b32_e32 v29, 1, v31
	global_load_ubyte v29, v29, s[0:1]
	s_waitcnt vmcnt(0)
	v_xor_b32_e32 v29, -1, v29
	v_and_b32_e32 v29, 1, v29
.LBB2088_83:
	s_or_b64 exec, exec, s[2:3]
	v_or_b32_e32 v33, 0x1200, v0
	v_cmp_gt_u32_e32 vcc, s33, v33
	v_mov_b32_e32 v31, 0
	v_mov_b32_e32 v32, 0
	s_and_saveexec_b64 s[2:3], vcc
	s_cbranch_execz .LBB2088_85
; %bb.84:
	v_lshlrev_b32_e32 v32, 1, v33
	global_load_ubyte v32, v32, s[0:1]
	s_waitcnt vmcnt(0)
	v_xor_b32_e32 v32, -1, v32
	v_and_b32_e32 v32, 1, v32
.LBB2088_85:
	s_or_b64 exec, exec, s[2:3]
	v_or_b32_e32 v33, 0x1300, v0
	v_cmp_gt_u32_e32 vcc, s33, v33
	s_and_saveexec_b64 s[2:3], vcc
	s_cbranch_execz .LBB2088_87
; %bb.86:
	v_lshlrev_b32_e32 v31, 1, v33
	global_load_ubyte v31, v31, s[0:1]
	s_waitcnt vmcnt(0)
	v_xor_b32_e32 v31, -1, v31
	v_and_b32_e32 v31, 1, v31
.LBB2088_87:
	s_or_b64 exec, exec, s[2:3]
	ds_write_b8 v0, v11
	ds_write_b8 v0, v10 offset:256
	ds_write_b8 v0, v15 offset:512
	;; [unrolled: 1-line block ×19, first 2 shown]
	s_waitcnt lgkmcnt(0)
	s_barrier
.LBB2088_88:
	s_waitcnt lgkmcnt(0)
	ds_read2_b32 v[16:17], v26 offset1:1
	ds_read2_b32 v[14:15], v26 offset0:2 offset1:3
	ds_read_b32 v28, v26 offset:16
	s_cmp_lg_u32 s6, 0
	v_lshrrev_b32_e32 v47, 6, v0
	s_waitcnt lgkmcnt(2)
	v_lshrrev_b32_e32 v33, 24, v16
	v_bfe_u32 v45, v16, 16, 8
	v_add_u32_sdwa v10, v16, v16 dst_sel:DWORD dst_unused:UNUSED_PAD src0_sel:BYTE_1 src1_sel:BYTE_0
	v_and_b32_e32 v42, 0xff, v17
	v_bfe_u32 v43, v17, 8, 8
	v_add3_u32 v10, v10, v45, v33
	v_lshrrev_b32_e32 v32, 24, v17
	v_bfe_u32 v44, v17, 16, 8
	v_add3_u32 v10, v10, v42, v43
	s_waitcnt lgkmcnt(1)
	v_and_b32_e32 v39, 0xff, v14
	v_bfe_u32 v40, v14, 8, 8
	v_add3_u32 v10, v10, v44, v32
	v_lshrrev_b32_e32 v31, 24, v14
	v_bfe_u32 v41, v14, 16, 8
	v_add3_u32 v10, v10, v39, v40
	v_and_b32_e32 v36, 0xff, v15
	v_bfe_u32 v37, v15, 8, 8
	v_add3_u32 v10, v10, v41, v31
	v_lshrrev_b32_e32 v30, 24, v15
	v_bfe_u32 v38, v15, 16, 8
	v_add3_u32 v10, v10, v36, v37
	s_waitcnt lgkmcnt(0)
	v_and_b32_e32 v34, 0xff, v28
	v_bfe_u32 v35, v28, 8, 8
	v_add3_u32 v10, v10, v38, v30
	v_lshrrev_b32_e32 v27, 24, v28
	v_bfe_u32 v29, v28, 16, 8
	v_add3_u32 v10, v10, v34, v35
	v_add3_u32 v48, v10, v29, v27
	v_mbcnt_lo_u32_b32 v10, -1, 0
	v_mbcnt_hi_u32_b32 v46, -1, v10
	v_and_b32_e32 v10, 15, v46
	v_cmp_eq_u32_e64 s[14:15], 0, v10
	v_cmp_lt_u32_e64 s[12:13], 1, v10
	v_cmp_lt_u32_e64 s[10:11], 3, v10
	;; [unrolled: 1-line block ×3, first 2 shown]
	v_and_b32_e32 v10, 16, v46
	v_cmp_eq_u32_e64 s[18:19], 0, v10
	v_or_b32_e32 v10, 63, v0
	v_cmp_lt_u32_e64 s[0:1], 31, v46
	v_cmp_eq_u32_e64 s[2:3], v10, v0
	s_barrier
	s_cbranch_scc0 .LBB2088_119
; %bb.89:
	v_mov_b32_dpp v10, v48 row_shr:1 row_mask:0xf bank_mask:0xf
	v_cndmask_b32_e64 v10, v10, 0, s[14:15]
	v_add_u32_e32 v10, v10, v48
	s_nop 1
	v_mov_b32_dpp v11, v10 row_shr:2 row_mask:0xf bank_mask:0xf
	v_cndmask_b32_e64 v11, 0, v11, s[12:13]
	v_add_u32_e32 v10, v10, v11
	s_nop 1
	;; [unrolled: 4-line block ×4, first 2 shown]
	v_mov_b32_dpp v11, v10 row_bcast:15 row_mask:0xf bank_mask:0xf
	v_cndmask_b32_e64 v11, v11, 0, s[18:19]
	v_add_u32_e32 v10, v10, v11
	s_nop 1
	v_mov_b32_dpp v11, v10 row_bcast:31 row_mask:0xf bank_mask:0xf
	v_cndmask_b32_e64 v11, 0, v11, s[0:1]
	v_add_u32_e32 v10, v10, v11
	s_and_saveexec_b64 s[16:17], s[2:3]
	s_cbranch_execz .LBB2088_91
; %bb.90:
	v_lshlrev_b32_e32 v11, 2, v47
	ds_write_b32 v11, v10
.LBB2088_91:
	s_or_b64 exec, exec, s[16:17]
	v_cmp_gt_u32_e32 vcc, 4, v0
	s_waitcnt lgkmcnt(0)
	s_barrier
	s_and_saveexec_b64 s[16:17], vcc
	s_cbranch_execz .LBB2088_93
; %bb.92:
	v_lshlrev_b32_e32 v11, 2, v0
	ds_read_b32 v18, v11
	v_and_b32_e32 v19, 3, v46
	v_cmp_ne_u32_e32 vcc, 0, v19
	s_waitcnt lgkmcnt(0)
	v_mov_b32_dpp v20, v18 row_shr:1 row_mask:0xf bank_mask:0xf
	v_cndmask_b32_e32 v20, 0, v20, vcc
	v_add_u32_e32 v18, v20, v18
	v_cmp_lt_u32_e32 vcc, 1, v19
	s_nop 0
	v_mov_b32_dpp v20, v18 row_shr:2 row_mask:0xf bank_mask:0xf
	v_cndmask_b32_e32 v19, 0, v20, vcc
	v_add_u32_e32 v18, v18, v19
	ds_write_b32 v11, v18
.LBB2088_93:
	s_or_b64 exec, exec, s[16:17]
	v_cmp_gt_u32_e32 vcc, 64, v0
	v_cmp_lt_u32_e64 s[16:17], 63, v0
	s_waitcnt lgkmcnt(0)
	s_barrier
	s_waitcnt lgkmcnt(0)
                                        ; implicit-def: $vgpr49
	s_and_saveexec_b64 s[38:39], s[16:17]
	s_cbranch_execz .LBB2088_95
; %bb.94:
	v_lshl_add_u32 v11, v47, 2, -4
	ds_read_b32 v49, v11
	s_waitcnt lgkmcnt(0)
	v_add_u32_e32 v10, v49, v10
.LBB2088_95:
	s_or_b64 exec, exec, s[38:39]
	v_add_u32_e32 v11, -1, v46
	v_and_b32_e32 v18, 64, v46
	v_cmp_lt_i32_e64 s[16:17], v11, v18
	v_cndmask_b32_e64 v11, v11, v46, s[16:17]
	v_lshlrev_b32_e32 v11, 2, v11
	ds_bpermute_b32 v50, v11, v10
	v_cmp_eq_u32_e64 s[16:17], 0, v46
	s_and_saveexec_b64 s[38:39], vcc
	s_cbranch_execz .LBB2088_118
; %bb.96:
	v_mov_b32_e32 v25, 0
	ds_read_b32 v10, v25 offset:12
	s_and_saveexec_b64 s[40:41], s[16:17]
	s_cbranch_execz .LBB2088_98
; %bb.97:
	s_add_i32 s42, s6, 64
	s_mov_b32 s43, 0
	s_lshl_b64 s[42:43], s[42:43], 3
	s_add_u32 s42, s36, s42
	v_mov_b32_e32 v11, 1
	s_addc_u32 s43, s37, s43
	s_waitcnt lgkmcnt(0)
	global_store_dwordx2 v25, v[10:11], s[42:43]
.LBB2088_98:
	s_or_b64 exec, exec, s[40:41]
	v_xad_u32 v18, v46, -1, s6
	v_add_u32_e32 v24, 64, v18
	v_lshlrev_b64 v[20:21], 3, v[24:25]
	v_mov_b32_e32 v11, s37
	v_add_co_u32_e32 v20, vcc, s36, v20
	v_addc_co_u32_e32 v21, vcc, v11, v21, vcc
	global_load_dwordx2 v[22:23], v[20:21], off glc
	s_waitcnt vmcnt(0)
	v_cmp_eq_u16_sdwa s[42:43], v23, v25 src0_sel:BYTE_0 src1_sel:DWORD
	s_and_saveexec_b64 s[40:41], s[42:43]
	s_cbranch_execz .LBB2088_104
; %bb.99:
	s_mov_b32 s7, 1
	s_mov_b64 s[42:43], 0
	v_mov_b32_e32 v11, 0
.LBB2088_100:                           ; =>This Loop Header: Depth=1
                                        ;     Child Loop BB2088_101 Depth 2
	s_max_u32 s25, s7, 1
.LBB2088_101:                           ;   Parent Loop BB2088_100 Depth=1
                                        ; =>  This Inner Loop Header: Depth=2
	s_add_i32 s25, s25, -1
	s_cmp_eq_u32 s25, 0
	s_sleep 1
	s_cbranch_scc0 .LBB2088_101
; %bb.102:                              ;   in Loop: Header=BB2088_100 Depth=1
	global_load_dwordx2 v[22:23], v[20:21], off glc
	s_cmp_lt_u32 s7, 32
	s_cselect_b64 s[44:45], -1, 0
	s_cmp_lg_u64 s[44:45], 0
	s_addc_u32 s7, s7, 0
	s_waitcnt vmcnt(0)
	v_cmp_ne_u16_sdwa s[44:45], v23, v11 src0_sel:BYTE_0 src1_sel:DWORD
	s_or_b64 s[42:43], s[44:45], s[42:43]
	s_andn2_b64 exec, exec, s[42:43]
	s_cbranch_execnz .LBB2088_100
; %bb.103:
	s_or_b64 exec, exec, s[42:43]
.LBB2088_104:
	s_or_b64 exec, exec, s[40:41]
	v_and_b32_e32 v52, 63, v46
	v_mov_b32_e32 v51, 2
	v_cmp_ne_u32_e32 vcc, 63, v52
	v_cmp_eq_u16_sdwa s[40:41], v23, v51 src0_sel:BYTE_0 src1_sel:DWORD
	v_lshlrev_b64 v[20:21], v46, -1
	v_addc_co_u32_e32 v24, vcc, 0, v46, vcc
	v_and_b32_e32 v11, s41, v21
	v_lshlrev_b32_e32 v53, 2, v24
	v_or_b32_e32 v11, 0x80000000, v11
	ds_bpermute_b32 v24, v53, v22
	v_and_b32_e32 v19, s40, v20
	v_ffbl_b32_e32 v11, v11
	v_add_u32_e32 v11, 32, v11
	v_ffbl_b32_e32 v19, v19
	v_min_u32_e32 v11, v19, v11
	v_cmp_lt_u32_e32 vcc, v52, v11
	s_waitcnt lgkmcnt(0)
	v_cndmask_b32_e32 v19, 0, v24, vcc
	v_cmp_gt_u32_e32 vcc, 62, v52
	v_add_u32_e32 v19, v19, v22
	v_cndmask_b32_e64 v22, 0, 1, vcc
	v_lshlrev_b32_e32 v22, 1, v22
	v_add_lshl_u32 v54, v22, v46, 2
	ds_bpermute_b32 v22, v54, v19
	v_add_u32_e32 v55, 2, v52
	v_cmp_le_u32_e32 vcc, v55, v11
	v_add_u32_e32 v57, 4, v52
	v_add_u32_e32 v59, 8, v52
	s_waitcnt lgkmcnt(0)
	v_cndmask_b32_e32 v22, 0, v22, vcc
	v_cmp_gt_u32_e32 vcc, 60, v52
	v_add_u32_e32 v19, v19, v22
	v_cndmask_b32_e64 v22, 0, 1, vcc
	v_lshlrev_b32_e32 v22, 2, v22
	v_add_lshl_u32 v56, v22, v46, 2
	ds_bpermute_b32 v22, v56, v19
	v_cmp_le_u32_e32 vcc, v57, v11
	v_add_u32_e32 v61, 16, v52
	v_add_u32_e32 v63, 32, v52
	s_waitcnt lgkmcnt(0)
	v_cndmask_b32_e32 v22, 0, v22, vcc
	v_cmp_gt_u32_e32 vcc, 56, v52
	v_add_u32_e32 v19, v19, v22
	v_cndmask_b32_e64 v22, 0, 1, vcc
	v_lshlrev_b32_e32 v22, 3, v22
	v_add_lshl_u32 v58, v22, v46, 2
	ds_bpermute_b32 v22, v58, v19
	v_cmp_le_u32_e32 vcc, v59, v11
	s_waitcnt lgkmcnt(0)
	v_cndmask_b32_e32 v22, 0, v22, vcc
	v_cmp_gt_u32_e32 vcc, 48, v52
	v_add_u32_e32 v19, v19, v22
	v_cndmask_b32_e64 v22, 0, 1, vcc
	v_lshlrev_b32_e32 v22, 4, v22
	v_add_lshl_u32 v60, v22, v46, 2
	ds_bpermute_b32 v22, v60, v19
	v_cmp_le_u32_e32 vcc, v61, v11
	;; [unrolled: 9-line block ×3, first 2 shown]
	s_waitcnt lgkmcnt(0)
	v_cndmask_b32_e32 v11, 0, v22, vcc
	v_add_u32_e32 v22, v19, v11
	v_mov_b32_e32 v19, 0
	s_branch .LBB2088_106
.LBB2088_105:                           ;   in Loop: Header=BB2088_106 Depth=1
	s_or_b64 exec, exec, s[40:41]
	v_cmp_eq_u16_sdwa s[40:41], v23, v51 src0_sel:BYTE_0 src1_sel:DWORD
	v_and_b32_e32 v24, s41, v21
	v_or_b32_e32 v24, 0x80000000, v24
	ds_bpermute_b32 v64, v53, v22
	v_and_b32_e32 v25, s40, v20
	v_ffbl_b32_e32 v24, v24
	v_add_u32_e32 v24, 32, v24
	v_ffbl_b32_e32 v25, v25
	v_min_u32_e32 v24, v25, v24
	v_cmp_lt_u32_e32 vcc, v52, v24
	s_waitcnt lgkmcnt(0)
	v_cndmask_b32_e32 v25, 0, v64, vcc
	v_add_u32_e32 v22, v25, v22
	ds_bpermute_b32 v25, v54, v22
	v_cmp_le_u32_e32 vcc, v55, v24
	v_subrev_u32_e32 v18, 64, v18
	s_waitcnt lgkmcnt(0)
	v_cndmask_b32_e32 v25, 0, v25, vcc
	v_add_u32_e32 v22, v22, v25
	ds_bpermute_b32 v25, v56, v22
	v_cmp_le_u32_e32 vcc, v57, v24
	s_waitcnt lgkmcnt(0)
	v_cndmask_b32_e32 v25, 0, v25, vcc
	v_add_u32_e32 v22, v22, v25
	ds_bpermute_b32 v25, v58, v22
	v_cmp_le_u32_e32 vcc, v59, v24
	;; [unrolled: 5-line block ×4, first 2 shown]
	s_waitcnt lgkmcnt(0)
	v_cndmask_b32_e32 v24, 0, v25, vcc
	v_add3_u32 v22, v24, v11, v22
.LBB2088_106:                           ; =>This Loop Header: Depth=1
                                        ;     Child Loop BB2088_109 Depth 2
                                        ;       Child Loop BB2088_110 Depth 3
	v_cmp_ne_u16_sdwa s[40:41], v23, v51 src0_sel:BYTE_0 src1_sel:DWORD
	v_cndmask_b32_e64 v11, 0, 1, s[40:41]
	;;#ASMSTART
	;;#ASMEND
	v_cmp_ne_u32_e32 vcc, 0, v11
	s_cmp_lg_u64 vcc, exec
	v_mov_b32_e32 v11, v22
	s_cbranch_scc1 .LBB2088_113
; %bb.107:                              ;   in Loop: Header=BB2088_106 Depth=1
	v_lshlrev_b64 v[22:23], 3, v[18:19]
	v_mov_b32_e32 v25, s37
	v_add_co_u32_e32 v24, vcc, s36, v22
	v_addc_co_u32_e32 v25, vcc, v25, v23, vcc
	global_load_dwordx2 v[22:23], v[24:25], off glc
	s_waitcnt vmcnt(0)
	v_cmp_eq_u16_sdwa s[42:43], v23, v19 src0_sel:BYTE_0 src1_sel:DWORD
	s_and_saveexec_b64 s[40:41], s[42:43]
	s_cbranch_execz .LBB2088_105
; %bb.108:                              ;   in Loop: Header=BB2088_106 Depth=1
	s_mov_b32 s7, 1
	s_mov_b64 s[42:43], 0
.LBB2088_109:                           ;   Parent Loop BB2088_106 Depth=1
                                        ; =>  This Loop Header: Depth=2
                                        ;       Child Loop BB2088_110 Depth 3
	s_max_u32 s25, s7, 1
.LBB2088_110:                           ;   Parent Loop BB2088_106 Depth=1
                                        ;     Parent Loop BB2088_109 Depth=2
                                        ; =>    This Inner Loop Header: Depth=3
	s_add_i32 s25, s25, -1
	s_cmp_eq_u32 s25, 0
	s_sleep 1
	s_cbranch_scc0 .LBB2088_110
; %bb.111:                              ;   in Loop: Header=BB2088_109 Depth=2
	global_load_dwordx2 v[22:23], v[24:25], off glc
	s_cmp_lt_u32 s7, 32
	s_cselect_b64 s[44:45], -1, 0
	s_cmp_lg_u64 s[44:45], 0
	s_addc_u32 s7, s7, 0
	s_waitcnt vmcnt(0)
	v_cmp_ne_u16_sdwa s[44:45], v23, v19 src0_sel:BYTE_0 src1_sel:DWORD
	s_or_b64 s[42:43], s[44:45], s[42:43]
	s_andn2_b64 exec, exec, s[42:43]
	s_cbranch_execnz .LBB2088_109
; %bb.112:                              ;   in Loop: Header=BB2088_106 Depth=1
	s_or_b64 exec, exec, s[42:43]
	s_branch .LBB2088_105
.LBB2088_113:                           ;   in Loop: Header=BB2088_106 Depth=1
                                        ; implicit-def: $vgpr22
                                        ; implicit-def: $vgpr23
	s_cbranch_execz .LBB2088_106
; %bb.114:
	s_and_saveexec_b64 s[40:41], s[16:17]
	s_cbranch_execz .LBB2088_116
; %bb.115:
	s_add_i32 s6, s6, 64
	s_mov_b32 s7, 0
	s_lshl_b64 s[6:7], s[6:7], 3
	s_add_u32 s6, s36, s6
	v_add_u32_e32 v18, v11, v10
	v_mov_b32_e32 v19, 2
	s_addc_u32 s7, s37, s7
	v_mov_b32_e32 v20, 0
	global_store_dwordx2 v20, v[18:19], s[6:7]
	ds_write_b64 v20, v[10:11] offset:10240
.LBB2088_116:
	s_or_b64 exec, exec, s[40:41]
	v_cmp_eq_u32_e32 vcc, 0, v0
	s_and_b64 exec, exec, vcc
	s_cbranch_execz .LBB2088_118
; %bb.117:
	v_mov_b32_e32 v10, 0
	ds_write_b32 v10, v11 offset:12
.LBB2088_118:
	s_or_b64 exec, exec, s[38:39]
	v_mov_b32_e32 v10, 0
	s_waitcnt lgkmcnt(0)
	s_barrier
	ds_read_b32 v19, v10 offset:12
	s_waitcnt lgkmcnt(0)
	s_barrier
	ds_read_b64 v[10:11], v10 offset:10240
	v_cndmask_b32_e64 v18, v50, v49, s[16:17]
	v_cmp_ne_u32_e32 vcc, 0, v0
	v_cndmask_b32_e32 v18, 0, v18, vcc
	v_add_u32_e32 v22, v19, v18
	s_load_dwordx2 s[4:5], s[4:5], 0x30
	s_branch .LBB2088_129
.LBB2088_119:
                                        ; implicit-def: $vgpr11
                                        ; implicit-def: $vgpr22
	s_load_dwordx2 s[4:5], s[4:5], 0x30
	s_cbranch_execz .LBB2088_129
; %bb.120:
	s_waitcnt lgkmcnt(0)
	v_mov_b32_dpp v10, v48 row_shr:1 row_mask:0xf bank_mask:0xf
	v_cndmask_b32_e64 v10, v10, 0, s[14:15]
	v_add_u32_e32 v10, v10, v48
	s_nop 1
	v_mov_b32_dpp v11, v10 row_shr:2 row_mask:0xf bank_mask:0xf
	v_cndmask_b32_e64 v11, 0, v11, s[12:13]
	v_add_u32_e32 v10, v10, v11
	s_nop 1
	;; [unrolled: 4-line block ×4, first 2 shown]
	v_mov_b32_dpp v11, v10 row_bcast:15 row_mask:0xf bank_mask:0xf
	v_cndmask_b32_e64 v11, v11, 0, s[18:19]
	v_add_u32_e32 v10, v10, v11
	s_nop 1
	v_mov_b32_dpp v11, v10 row_bcast:31 row_mask:0xf bank_mask:0xf
	v_cndmask_b32_e64 v11, 0, v11, s[0:1]
	v_add_u32_e32 v10, v10, v11
	s_and_saveexec_b64 s[0:1], s[2:3]
	s_cbranch_execz .LBB2088_122
; %bb.121:
	v_lshlrev_b32_e32 v11, 2, v47
	ds_write_b32 v11, v10
.LBB2088_122:
	s_or_b64 exec, exec, s[0:1]
	v_cmp_gt_u32_e32 vcc, 4, v0
	s_waitcnt lgkmcnt(0)
	s_barrier
	s_and_saveexec_b64 s[0:1], vcc
	s_cbranch_execz .LBB2088_124
; %bb.123:
	v_lshlrev_b32_e32 v11, 2, v0
	ds_read_b32 v18, v11
	v_and_b32_e32 v19, 3, v46
	v_cmp_ne_u32_e32 vcc, 0, v19
	s_waitcnt lgkmcnt(0)
	v_mov_b32_dpp v20, v18 row_shr:1 row_mask:0xf bank_mask:0xf
	v_cndmask_b32_e32 v20, 0, v20, vcc
	v_add_u32_e32 v18, v20, v18
	v_cmp_lt_u32_e32 vcc, 1, v19
	s_nop 0
	v_mov_b32_dpp v20, v18 row_shr:2 row_mask:0xf bank_mask:0xf
	v_cndmask_b32_e32 v19, 0, v20, vcc
	v_add_u32_e32 v18, v18, v19
	ds_write_b32 v11, v18
.LBB2088_124:
	s_or_b64 exec, exec, s[0:1]
	v_cmp_lt_u32_e32 vcc, 63, v0
	v_mov_b32_e32 v11, 0
	v_mov_b32_e32 v18, 0
	s_waitcnt lgkmcnt(0)
	s_barrier
	s_and_saveexec_b64 s[0:1], vcc
	s_cbranch_execz .LBB2088_126
; %bb.125:
	v_lshl_add_u32 v18, v47, 2, -4
	ds_read_b32 v18, v18
.LBB2088_126:
	s_or_b64 exec, exec, s[0:1]
	v_add_u32_e32 v19, -1, v46
	v_and_b32_e32 v20, 64, v46
	v_cmp_lt_i32_e32 vcc, v19, v20
	v_cndmask_b32_e32 v19, v19, v46, vcc
	s_waitcnt lgkmcnt(0)
	v_add_u32_e32 v10, v18, v10
	v_lshlrev_b32_e32 v19, 2, v19
	ds_bpermute_b32 v19, v19, v10
	ds_read_b32 v10, v11 offset:12
	v_cmp_eq_u32_e32 vcc, 0, v0
	s_and_saveexec_b64 s[0:1], vcc
	s_cbranch_execz .LBB2088_128
; %bb.127:
	v_mov_b32_e32 v20, 0
	v_mov_b32_e32 v11, 2
	s_waitcnt lgkmcnt(0)
	global_store_dwordx2 v20, v[10:11], s[36:37] offset:512
.LBB2088_128:
	s_or_b64 exec, exec, s[0:1]
	v_cmp_eq_u32_e64 s[0:1], 0, v46
	s_waitcnt lgkmcnt(1)
	v_cndmask_b32_e64 v18, v19, v18, s[0:1]
	v_mov_b32_e32 v11, 0
	v_cndmask_b32_e64 v22, v18, 0, vcc
	s_waitcnt lgkmcnt(0)
	s_barrier
.LBB2088_129:
	v_add_u32_sdwa v24, v22, v16 dst_sel:DWORD dst_unused:UNUSED_PAD src0_sel:DWORD src1_sel:BYTE_0
	s_waitcnt lgkmcnt(0)
	v_add_u32_e32 v26, v10, v26
	v_sub_u32_e32 v22, v22, v11
	v_and_b32_e32 v51, 1, v16
	v_sub_u32_e32 v50, v26, v22
	v_cmp_eq_u32_e32 vcc, 1, v51
	v_cndmask_b32_e32 v22, v50, v22, vcc
	v_lshlrev_b32_e32 v22, 1, v22
	v_lshrrev_b32_e32 v23, 8, v16
	ds_write_b16 v22, v6
	v_sub_u32_e32 v22, v24, v11
	v_add_u32_sdwa v25, v24, v16 dst_sel:DWORD dst_unused:UNUSED_PAD src0_sel:DWORD src1_sel:BYTE_1
	v_sub_u32_e32 v24, v26, v22
	v_and_b32_e32 v23, 1, v23
	v_add_u32_e32 v24, 1, v24
	v_cmp_eq_u32_e32 vcc, 1, v23
	v_cndmask_b32_e32 v22, v24, v22, vcc
	v_lshlrev_b32_e32 v22, 1, v22
	ds_write_b16_d16_hi v22, v6
	v_sub_u32_e32 v6, v25, v11
	v_mov_b32_e32 v23, 1
	v_sub_u32_e32 v22, v26, v6
	v_and_b32_sdwa v16, v23, v16 dst_sel:DWORD dst_unused:UNUSED_PAD src0_sel:DWORD src1_sel:WORD_1
	v_add_u32_e32 v22, 2, v22
	v_cmp_eq_u32_e32 vcc, 1, v16
	v_cndmask_b32_e32 v6, v22, v6, vcc
	v_add_u32_e32 v45, v25, v45
	v_lshlrev_b32_e32 v6, 1, v6
	ds_write_b16 v6, v7
	v_sub_u32_e32 v6, v45, v11
	v_sub_u32_e32 v16, v26, v6
	v_and_b32_e32 v22, 1, v33
	v_add_u32_e32 v16, 3, v16
	v_cmp_eq_u32_e32 vcc, 1, v22
	v_cndmask_b32_e32 v6, v16, v6, vcc
	v_add_u32_e32 v46, v45, v33
	v_lshlrev_b32_e32 v6, 1, v6
	ds_write_b16_d16_hi v6, v7
	v_sub_u32_e32 v6, v46, v11
	v_sub_u32_e32 v7, v26, v6
	v_and_b32_e32 v16, 1, v17
	v_add_u32_e32 v7, 4, v7
	v_cmp_eq_u32_e32 vcc, 1, v16
	v_cndmask_b32_e32 v6, v7, v6, vcc
	v_add_u32_e32 v42, v46, v42
	v_lshlrev_b32_e32 v6, 1, v6
	v_lshrrev_b32_e32 v21, 8, v17
	ds_write_b16 v6, v8
	v_sub_u32_e32 v6, v42, v11
	v_sub_u32_e32 v7, v26, v6
	v_and_b32_e32 v16, 1, v21
	v_add_u32_e32 v7, 5, v7
	v_cmp_eq_u32_e32 vcc, 1, v16
	v_cndmask_b32_e32 v6, v7, v6, vcc
	v_add_u32_e32 v43, v42, v43
	v_lshlrev_b32_e32 v6, 1, v6
	ds_write_b16_d16_hi v6, v8
	v_sub_u32_e32 v6, v43, v11
	v_sub_u32_e32 v7, v26, v6
	v_and_b32_sdwa v8, v23, v17 dst_sel:DWORD dst_unused:UNUSED_PAD src0_sel:DWORD src1_sel:WORD_1
	v_add_u32_e32 v7, 6, v7
	v_cmp_eq_u32_e32 vcc, 1, v8
	v_cndmask_b32_e32 v6, v7, v6, vcc
	v_add_u32_e32 v44, v43, v44
	v_lshlrev_b32_e32 v6, 1, v6
	ds_write_b16 v6, v9
	v_sub_u32_e32 v6, v44, v11
	v_sub_u32_e32 v7, v26, v6
	v_and_b32_e32 v8, 1, v32
	v_add_u32_e32 v7, 7, v7
	v_cmp_eq_u32_e32 vcc, 1, v8
	v_cndmask_b32_e32 v6, v7, v6, vcc
	v_add_u32_e32 v47, v44, v32
	v_lshlrev_b32_e32 v6, 1, v6
	ds_write_b16_d16_hi v6, v9
	v_sub_u32_e32 v6, v47, v11
	v_sub_u32_e32 v7, v26, v6
	v_and_b32_e32 v8, 1, v14
	v_add_u32_e32 v7, 8, v7
	v_cmp_eq_u32_e32 vcc, 1, v8
	v_cndmask_b32_e32 v6, v7, v6, vcc
	v_add_u32_e32 v39, v47, v39
	v_lshlrev_b32_e32 v6, 1, v6
	v_lshrrev_b32_e32 v20, 8, v14
	ds_write_b16 v6, v2
	v_sub_u32_e32 v6, v39, v11
	v_sub_u32_e32 v7, v26, v6
	v_and_b32_e32 v8, 1, v20
	v_add_u32_e32 v7, 9, v7
	v_cmp_eq_u32_e32 vcc, 1, v8
	v_cndmask_b32_e32 v6, v7, v6, vcc
	v_add_u32_e32 v40, v39, v40
	v_lshlrev_b32_e32 v6, 1, v6
	ds_write_b16_d16_hi v6, v2
	v_sub_u32_e32 v2, v40, v11
	;; [unrolled: 37-line block ×4, first 2 shown]
	v_sub_u32_e32 v3, v26, v2
	v_and_b32_sdwa v4, v23, v28 dst_sel:DWORD dst_unused:UNUSED_PAD src0_sel:DWORD src1_sel:WORD_1
	v_add_u32_e32 v3, 18, v3
	v_cmp_eq_u32_e32 vcc, 1, v4
	v_cndmask_b32_e32 v2, v3, v2, vcc
	v_lshlrev_b32_e32 v2, 1, v2
	ds_write_b16 v2, v13
	v_sub_u32_e32 v2, v29, v11
	v_add_u32_e32 v2, v35, v2
	v_sub_u32_e32 v3, v26, v2
	v_and_b32_e32 v4, 1, v27
	v_add_u32_e32 v3, 19, v3
	v_cmp_eq_u32_e32 vcc, 1, v4
	v_cndmask_b32_e32 v2, v3, v2, vcc
	v_lshlrev_b32_e32 v2, 1, v2
	ds_write_b16_d16_hi v2, v13
	s_waitcnt lgkmcnt(0)
	s_barrier
	ds_read_u16 v47, v1
	ds_read_u16 v45, v1 offset:512
	ds_read_u16 v43, v1 offset:1024
	;; [unrolled: 1-line block ×19, first 2 shown]
	s_add_u32 s0, s26, s24
	s_addc_u32 s1, s27, 0
	v_mov_b32_e32 v2, s31
	v_add_co_u32_e32 v1, vcc, s30, v11
	s_sub_u32 s0, s28, s0
	v_addc_co_u32_e32 v4, vcc, 0, v2, vcc
	s_subb_u32 s1, s29, s1
	v_mov_b32_e32 v2, s1
	v_add_co_u32_e32 v3, vcc, s0, v10
	v_addc_co_u32_e32 v2, vcc, 0, v2, vcc
	v_add_co_u32_e64 v7, s[0:1], v3, v1
	v_or_b32_e32 v46, 0x100, v0
	v_or_b32_e32 v44, 0x200, v0
	;; [unrolled: 1-line block ×19, first 2 shown]
	s_andn2_b64 vcc, exec, s[34:35]
	v_addc_co_u32_e64 v8, s[0:1], v2, v4, s[0:1]
	s_cbranch_vccnz .LBB2088_211
; %bb.130:
	v_cmp_ge_u32_e32 vcc, v0, v10
                                        ; implicit-def: $vgpr2_vgpr3
	s_and_saveexec_b64 s[0:1], vcc
	s_xor_b64 s[0:1], exec, s[0:1]
; %bb.131:
	v_not_b32_e32 v2, v0
	v_ashrrev_i32_e32 v3, 31, v2
	v_add_co_u32_e32 v2, vcc, v7, v2
	v_addc_co_u32_e32 v3, vcc, v8, v3, vcc
; %bb.132:
	s_andn2_saveexec_b64 s[0:1], s[0:1]
; %bb.133:
	v_add_co_u32_e32 v2, vcc, v1, v0
	v_addc_co_u32_e32 v3, vcc, 0, v4, vcc
; %bb.134:
	s_or_b64 exec, exec, s[0:1]
	v_lshlrev_b64 v[2:3], 1, v[2:3]
	v_mov_b32_e32 v11, s5
	v_add_co_u32_e32 v2, vcc, s4, v2
	v_addc_co_u32_e32 v3, vcc, v11, v3, vcc
	v_cmp_ge_u32_e32 vcc, v46, v10
	s_waitcnt lgkmcnt(14)
	global_store_short v[2:3], v47, off
                                        ; implicit-def: $vgpr2_vgpr3
	s_and_saveexec_b64 s[0:1], vcc
	s_xor_b64 s[0:1], exec, s[0:1]
; %bb.135:
	v_xor_b32_e32 v2, 0xfffffeff, v0
	v_ashrrev_i32_e32 v3, 31, v2
	v_add_co_u32_e32 v2, vcc, v7, v2
	v_addc_co_u32_e32 v3, vcc, v8, v3, vcc
; %bb.136:
	s_andn2_saveexec_b64 s[0:1], s[0:1]
; %bb.137:
	v_add_co_u32_e32 v2, vcc, v1, v46
	v_addc_co_u32_e32 v3, vcc, 0, v4, vcc
; %bb.138:
	s_or_b64 exec, exec, s[0:1]
	v_lshlrev_b64 v[2:3], 1, v[2:3]
	v_mov_b32_e32 v11, s5
	v_add_co_u32_e32 v2, vcc, s4, v2
	v_addc_co_u32_e32 v3, vcc, v11, v3, vcc
	v_cmp_ge_u32_e32 vcc, v44, v10
	global_store_short v[2:3], v45, off
                                        ; implicit-def: $vgpr2_vgpr3
	s_and_saveexec_b64 s[0:1], vcc
	s_xor_b64 s[0:1], exec, s[0:1]
; %bb.139:
	v_xor_b32_e32 v2, 0xfffffdff, v0
	v_ashrrev_i32_e32 v3, 31, v2
	v_add_co_u32_e32 v2, vcc, v7, v2
	v_addc_co_u32_e32 v3, vcc, v8, v3, vcc
; %bb.140:
	s_andn2_saveexec_b64 s[0:1], s[0:1]
; %bb.141:
	v_add_co_u32_e32 v2, vcc, v1, v44
	v_addc_co_u32_e32 v3, vcc, 0, v4, vcc
; %bb.142:
	s_or_b64 exec, exec, s[0:1]
	v_lshlrev_b64 v[2:3], 1, v[2:3]
	v_mov_b32_e32 v11, s5
	v_add_co_u32_e32 v2, vcc, s4, v2
	v_addc_co_u32_e32 v3, vcc, v11, v3, vcc
	v_cmp_ge_u32_e32 vcc, v42, v10
	;; [unrolled: 21-line block ×6, first 2 shown]
	s_waitcnt lgkmcnt(13)
	global_store_short v[2:3], v35, off
                                        ; implicit-def: $vgpr2_vgpr3
	s_and_saveexec_b64 s[0:1], vcc
	s_xor_b64 s[0:1], exec, s[0:1]
; %bb.159:
	v_xor_b32_e32 v2, 0xfffff8ff, v0
	v_ashrrev_i32_e32 v3, 31, v2
	v_add_co_u32_e32 v2, vcc, v7, v2
	v_addc_co_u32_e32 v3, vcc, v8, v3, vcc
; %bb.160:
	s_andn2_saveexec_b64 s[0:1], s[0:1]
; %bb.161:
	v_add_co_u32_e32 v2, vcc, v1, v34
	v_addc_co_u32_e32 v3, vcc, 0, v4, vcc
; %bb.162:
	s_or_b64 exec, exec, s[0:1]
	v_lshlrev_b64 v[2:3], 1, v[2:3]
	v_mov_b32_e32 v11, s5
	v_add_co_u32_e32 v2, vcc, s4, v2
	v_addc_co_u32_e32 v3, vcc, v11, v3, vcc
	v_cmp_ge_u32_e32 vcc, v32, v10
	s_waitcnt lgkmcnt(12)
	global_store_short v[2:3], v33, off
                                        ; implicit-def: $vgpr2_vgpr3
	s_and_saveexec_b64 s[0:1], vcc
	s_xor_b64 s[0:1], exec, s[0:1]
; %bb.163:
	v_xor_b32_e32 v2, 0xfffff7ff, v0
	v_ashrrev_i32_e32 v3, 31, v2
	v_add_co_u32_e32 v2, vcc, v7, v2
	v_addc_co_u32_e32 v3, vcc, v8, v3, vcc
; %bb.164:
	s_andn2_saveexec_b64 s[0:1], s[0:1]
; %bb.165:
	v_add_co_u32_e32 v2, vcc, v1, v32
	v_addc_co_u32_e32 v3, vcc, 0, v4, vcc
; %bb.166:
	s_or_b64 exec, exec, s[0:1]
	v_lshlrev_b64 v[2:3], 1, v[2:3]
	v_mov_b32_e32 v11, s5
	v_add_co_u32_e32 v2, vcc, s4, v2
	v_addc_co_u32_e32 v3, vcc, v11, v3, vcc
	v_cmp_ge_u32_e32 vcc, v30, v10
	;; [unrolled: 22-line block ×12, first 2 shown]
	s_waitcnt lgkmcnt(1)
	global_store_short v[2:3], v9, off
                                        ; implicit-def: $vgpr2_vgpr3
	s_and_saveexec_b64 s[0:1], vcc
	s_xor_b64 s[0:1], exec, s[0:1]
; %bb.207:
	v_xor_b32_e32 v2, 0xffffecff, v0
	v_ashrrev_i32_e32 v3, 31, v2
	v_add_co_u32_e32 v2, vcc, v7, v2
	v_addc_co_u32_e32 v3, vcc, v8, v3, vcc
; %bb.208:
	s_andn2_saveexec_b64 s[0:1], s[0:1]
; %bb.209:
	v_add_co_u32_e32 v2, vcc, v1, v6
	v_addc_co_u32_e32 v3, vcc, 0, v4, vcc
; %bb.210:
	s_or_b64 exec, exec, s[0:1]
	s_mov_b64 s[0:1], -1
	s_branch .LBB2088_333
.LBB2088_211:
	s_mov_b64 s[0:1], 0
                                        ; implicit-def: $vgpr2_vgpr3
	s_cbranch_execz .LBB2088_333
; %bb.212:
	v_cmp_gt_u32_e32 vcc, s33, v0
	s_and_saveexec_b64 s[2:3], vcc
	s_cbranch_execz .LBB2088_268
; %bb.213:
	v_cmp_ge_u32_e32 vcc, v0, v10
                                        ; implicit-def: $vgpr2_vgpr3
	s_and_saveexec_b64 s[6:7], vcc
	s_xor_b64 s[6:7], exec, s[6:7]
; %bb.214:
	v_not_b32_e32 v2, v0
	v_ashrrev_i32_e32 v3, 31, v2
	v_add_co_u32_e32 v2, vcc, v7, v2
	v_addc_co_u32_e32 v3, vcc, v8, v3, vcc
; %bb.215:
	s_andn2_saveexec_b64 s[6:7], s[6:7]
; %bb.216:
	v_add_co_u32_e32 v2, vcc, v1, v0
	v_addc_co_u32_e32 v3, vcc, 0, v4, vcc
; %bb.217:
	s_or_b64 exec, exec, s[6:7]
	v_lshlrev_b64 v[2:3], 1, v[2:3]
	v_mov_b32_e32 v11, s5
	v_add_co_u32_e32 v2, vcc, s4, v2
	v_addc_co_u32_e32 v3, vcc, v11, v3, vcc
	s_waitcnt lgkmcnt(14)
	global_store_short v[2:3], v47, off
	s_or_b64 exec, exec, s[2:3]
	v_cmp_gt_u32_e32 vcc, s33, v46
	s_and_saveexec_b64 s[2:3], vcc
	s_cbranch_execnz .LBB2088_269
.LBB2088_218:
	s_or_b64 exec, exec, s[2:3]
	v_cmp_gt_u32_e32 vcc, s33, v44
	s_and_saveexec_b64 s[2:3], vcc
	s_cbranch_execz .LBB2088_274
.LBB2088_219:
	v_cmp_ge_u32_e32 vcc, v44, v10
                                        ; implicit-def: $vgpr2_vgpr3
	s_and_saveexec_b64 s[6:7], vcc
	s_xor_b64 s[6:7], exec, s[6:7]
; %bb.220:
	v_xor_b32_e32 v2, 0xfffffdff, v0
	v_ashrrev_i32_e32 v3, 31, v2
	v_add_co_u32_e32 v2, vcc, v7, v2
	v_addc_co_u32_e32 v3, vcc, v8, v3, vcc
                                        ; implicit-def: $vgpr44
; %bb.221:
	s_andn2_saveexec_b64 s[6:7], s[6:7]
; %bb.222:
	v_add_co_u32_e32 v2, vcc, v1, v44
	v_addc_co_u32_e32 v3, vcc, 0, v4, vcc
; %bb.223:
	s_or_b64 exec, exec, s[6:7]
	v_lshlrev_b64 v[2:3], 1, v[2:3]
	v_mov_b32_e32 v11, s5
	v_add_co_u32_e32 v2, vcc, s4, v2
	v_addc_co_u32_e32 v3, vcc, v11, v3, vcc
	s_waitcnt lgkmcnt(14)
	global_store_short v[2:3], v43, off
	s_or_b64 exec, exec, s[2:3]
	v_cmp_gt_u32_e32 vcc, s33, v42
	s_and_saveexec_b64 s[2:3], vcc
	s_cbranch_execnz .LBB2088_275
.LBB2088_224:
	s_or_b64 exec, exec, s[2:3]
	v_cmp_gt_u32_e32 vcc, s33, v40
	s_and_saveexec_b64 s[2:3], vcc
	s_cbranch_execz .LBB2088_280
.LBB2088_225:
	v_cmp_ge_u32_e32 vcc, v40, v10
                                        ; implicit-def: $vgpr2_vgpr3
	s_and_saveexec_b64 s[6:7], vcc
	s_xor_b64 s[6:7], exec, s[6:7]
; %bb.226:
	v_xor_b32_e32 v2, 0xfffffbff, v0
	v_ashrrev_i32_e32 v3, 31, v2
	v_add_co_u32_e32 v2, vcc, v7, v2
	v_addc_co_u32_e32 v3, vcc, v8, v3, vcc
                                        ; implicit-def: $vgpr40
; %bb.227:
	s_andn2_saveexec_b64 s[6:7], s[6:7]
; %bb.228:
	v_add_co_u32_e32 v2, vcc, v1, v40
	v_addc_co_u32_e32 v3, vcc, 0, v4, vcc
; %bb.229:
	s_or_b64 exec, exec, s[6:7]
	v_lshlrev_b64 v[2:3], 1, v[2:3]
	v_mov_b32_e32 v11, s5
	v_add_co_u32_e32 v2, vcc, s4, v2
	v_addc_co_u32_e32 v3, vcc, v11, v3, vcc
	s_waitcnt lgkmcnt(14)
	global_store_short v[2:3], v39, off
	s_or_b64 exec, exec, s[2:3]
	v_cmp_gt_u32_e32 vcc, s33, v38
	s_and_saveexec_b64 s[2:3], vcc
	s_cbranch_execnz .LBB2088_281
.LBB2088_230:
	s_or_b64 exec, exec, s[2:3]
	v_cmp_gt_u32_e32 vcc, s33, v36
	s_and_saveexec_b64 s[2:3], vcc
	s_cbranch_execz .LBB2088_286
.LBB2088_231:
	v_cmp_ge_u32_e32 vcc, v36, v10
                                        ; implicit-def: $vgpr2_vgpr3
	s_and_saveexec_b64 s[6:7], vcc
	s_xor_b64 s[6:7], exec, s[6:7]
; %bb.232:
	v_xor_b32_e32 v2, 0xfffff9ff, v0
	v_ashrrev_i32_e32 v3, 31, v2
	v_add_co_u32_e32 v2, vcc, v7, v2
	v_addc_co_u32_e32 v3, vcc, v8, v3, vcc
                                        ; implicit-def: $vgpr36
; %bb.233:
	s_andn2_saveexec_b64 s[6:7], s[6:7]
; %bb.234:
	v_add_co_u32_e32 v2, vcc, v1, v36
	v_addc_co_u32_e32 v3, vcc, 0, v4, vcc
; %bb.235:
	s_or_b64 exec, exec, s[6:7]
	v_lshlrev_b64 v[2:3], 1, v[2:3]
	v_mov_b32_e32 v11, s5
	v_add_co_u32_e32 v2, vcc, s4, v2
	v_addc_co_u32_e32 v3, vcc, v11, v3, vcc
	s_waitcnt lgkmcnt(13)
	global_store_short v[2:3], v35, off
	s_or_b64 exec, exec, s[2:3]
	v_cmp_gt_u32_e32 vcc, s33, v34
	s_and_saveexec_b64 s[2:3], vcc
	s_cbranch_execnz .LBB2088_287
.LBB2088_236:
	s_or_b64 exec, exec, s[2:3]
	v_cmp_gt_u32_e32 vcc, s33, v32
	s_and_saveexec_b64 s[2:3], vcc
	s_cbranch_execz .LBB2088_292
.LBB2088_237:
	v_cmp_ge_u32_e32 vcc, v32, v10
                                        ; implicit-def: $vgpr2_vgpr3
	s_and_saveexec_b64 s[6:7], vcc
	s_xor_b64 s[6:7], exec, s[6:7]
; %bb.238:
	v_xor_b32_e32 v2, 0xfffff7ff, v0
	v_ashrrev_i32_e32 v3, 31, v2
	v_add_co_u32_e32 v2, vcc, v7, v2
	v_addc_co_u32_e32 v3, vcc, v8, v3, vcc
                                        ; implicit-def: $vgpr32
; %bb.239:
	s_andn2_saveexec_b64 s[6:7], s[6:7]
; %bb.240:
	v_add_co_u32_e32 v2, vcc, v1, v32
	v_addc_co_u32_e32 v3, vcc, 0, v4, vcc
; %bb.241:
	s_or_b64 exec, exec, s[6:7]
	v_lshlrev_b64 v[2:3], 1, v[2:3]
	v_mov_b32_e32 v11, s5
	v_add_co_u32_e32 v2, vcc, s4, v2
	v_addc_co_u32_e32 v3, vcc, v11, v3, vcc
	s_waitcnt lgkmcnt(11)
	global_store_short v[2:3], v31, off
	s_or_b64 exec, exec, s[2:3]
	v_cmp_gt_u32_e32 vcc, s33, v30
	s_and_saveexec_b64 s[2:3], vcc
	s_cbranch_execnz .LBB2088_293
.LBB2088_242:
	s_or_b64 exec, exec, s[2:3]
	v_cmp_gt_u32_e32 vcc, s33, v28
	s_and_saveexec_b64 s[2:3], vcc
	s_cbranch_execz .LBB2088_298
.LBB2088_243:
	v_cmp_ge_u32_e32 vcc, v28, v10
                                        ; implicit-def: $vgpr2_vgpr3
	s_and_saveexec_b64 s[6:7], vcc
	s_xor_b64 s[6:7], exec, s[6:7]
; %bb.244:
	v_xor_b32_e32 v2, 0xfffff5ff, v0
	v_ashrrev_i32_e32 v3, 31, v2
	v_add_co_u32_e32 v2, vcc, v7, v2
	v_addc_co_u32_e32 v3, vcc, v8, v3, vcc
                                        ; implicit-def: $vgpr28
; %bb.245:
	s_andn2_saveexec_b64 s[6:7], s[6:7]
; %bb.246:
	v_add_co_u32_e32 v2, vcc, v1, v28
	v_addc_co_u32_e32 v3, vcc, 0, v4, vcc
; %bb.247:
	s_or_b64 exec, exec, s[6:7]
	v_lshlrev_b64 v[2:3], 1, v[2:3]
	v_mov_b32_e32 v11, s5
	v_add_co_u32_e32 v2, vcc, s4, v2
	v_addc_co_u32_e32 v3, vcc, v11, v3, vcc
	s_waitcnt lgkmcnt(9)
	global_store_short v[2:3], v27, off
	s_or_b64 exec, exec, s[2:3]
	v_cmp_gt_u32_e32 vcc, s33, v26
	s_and_saveexec_b64 s[2:3], vcc
	s_cbranch_execnz .LBB2088_299
.LBB2088_248:
	s_or_b64 exec, exec, s[2:3]
	v_cmp_gt_u32_e32 vcc, s33, v24
	s_and_saveexec_b64 s[2:3], vcc
	s_cbranch_execz .LBB2088_304
.LBB2088_249:
	v_cmp_ge_u32_e32 vcc, v24, v10
                                        ; implicit-def: $vgpr2_vgpr3
	s_and_saveexec_b64 s[6:7], vcc
	s_xor_b64 s[6:7], exec, s[6:7]
; %bb.250:
	v_xor_b32_e32 v2, 0xfffff3ff, v0
	v_ashrrev_i32_e32 v3, 31, v2
	v_add_co_u32_e32 v2, vcc, v7, v2
	v_addc_co_u32_e32 v3, vcc, v8, v3, vcc
                                        ; implicit-def: $vgpr24
; %bb.251:
	s_andn2_saveexec_b64 s[6:7], s[6:7]
; %bb.252:
	v_add_co_u32_e32 v2, vcc, v1, v24
	v_addc_co_u32_e32 v3, vcc, 0, v4, vcc
; %bb.253:
	s_or_b64 exec, exec, s[6:7]
	v_lshlrev_b64 v[2:3], 1, v[2:3]
	v_mov_b32_e32 v11, s5
	v_add_co_u32_e32 v2, vcc, s4, v2
	v_addc_co_u32_e32 v3, vcc, v11, v3, vcc
	s_waitcnt lgkmcnt(7)
	global_store_short v[2:3], v23, off
	s_or_b64 exec, exec, s[2:3]
	v_cmp_gt_u32_e32 vcc, s33, v22
	s_and_saveexec_b64 s[2:3], vcc
	s_cbranch_execnz .LBB2088_305
.LBB2088_254:
	s_or_b64 exec, exec, s[2:3]
	v_cmp_gt_u32_e32 vcc, s33, v20
	s_and_saveexec_b64 s[2:3], vcc
	s_cbranch_execz .LBB2088_310
.LBB2088_255:
	v_cmp_ge_u32_e32 vcc, v20, v10
                                        ; implicit-def: $vgpr2_vgpr3
	s_and_saveexec_b64 s[6:7], vcc
	s_xor_b64 s[6:7], exec, s[6:7]
; %bb.256:
	v_xor_b32_e32 v2, 0xfffff1ff, v0
	v_ashrrev_i32_e32 v3, 31, v2
	v_add_co_u32_e32 v2, vcc, v7, v2
	v_addc_co_u32_e32 v3, vcc, v8, v3, vcc
                                        ; implicit-def: $vgpr20
; %bb.257:
	s_andn2_saveexec_b64 s[6:7], s[6:7]
; %bb.258:
	v_add_co_u32_e32 v2, vcc, v1, v20
	v_addc_co_u32_e32 v3, vcc, 0, v4, vcc
; %bb.259:
	s_or_b64 exec, exec, s[6:7]
	v_lshlrev_b64 v[2:3], 1, v[2:3]
	v_mov_b32_e32 v11, s5
	v_add_co_u32_e32 v2, vcc, s4, v2
	v_addc_co_u32_e32 v3, vcc, v11, v3, vcc
	s_waitcnt lgkmcnt(5)
	global_store_short v[2:3], v19, off
	s_or_b64 exec, exec, s[2:3]
	v_cmp_gt_u32_e32 vcc, s33, v18
	s_and_saveexec_b64 s[2:3], vcc
	s_cbranch_execnz .LBB2088_311
.LBB2088_260:
	s_or_b64 exec, exec, s[2:3]
	v_cmp_gt_u32_e32 vcc, s33, v16
	s_and_saveexec_b64 s[2:3], vcc
	s_cbranch_execz .LBB2088_316
.LBB2088_261:
	v_cmp_ge_u32_e32 vcc, v16, v10
                                        ; implicit-def: $vgpr2_vgpr3
	s_and_saveexec_b64 s[6:7], vcc
	s_xor_b64 s[6:7], exec, s[6:7]
; %bb.262:
	v_xor_b32_e32 v2, 0xffffefff, v0
	v_ashrrev_i32_e32 v3, 31, v2
	v_add_co_u32_e32 v2, vcc, v7, v2
	v_addc_co_u32_e32 v3, vcc, v8, v3, vcc
                                        ; implicit-def: $vgpr16
; %bb.263:
	s_andn2_saveexec_b64 s[6:7], s[6:7]
; %bb.264:
	v_add_co_u32_e32 v2, vcc, v1, v16
	v_addc_co_u32_e32 v3, vcc, 0, v4, vcc
; %bb.265:
	s_or_b64 exec, exec, s[6:7]
	v_lshlrev_b64 v[2:3], 1, v[2:3]
	v_mov_b32_e32 v11, s5
	v_add_co_u32_e32 v2, vcc, s4, v2
	v_addc_co_u32_e32 v3, vcc, v11, v3, vcc
	s_waitcnt lgkmcnt(3)
	global_store_short v[2:3], v15, off
	s_or_b64 exec, exec, s[2:3]
	v_cmp_gt_u32_e32 vcc, s33, v14
	s_and_saveexec_b64 s[2:3], vcc
	s_cbranch_execnz .LBB2088_317
.LBB2088_266:
	s_or_b64 exec, exec, s[2:3]
	v_cmp_gt_u32_e32 vcc, s33, v12
	s_and_saveexec_b64 s[2:3], vcc
	s_cbranch_execnz .LBB2088_322
.LBB2088_267:
	s_or_b64 exec, exec, s[2:3]
	v_cmp_gt_u32_e32 vcc, s33, v6
                                        ; implicit-def: $vgpr2_vgpr3
	s_and_saveexec_b64 s[2:3], vcc
	s_cbranch_execz .LBB2088_332
	s_branch .LBB2088_327
.LBB2088_268:
	s_or_b64 exec, exec, s[2:3]
	v_cmp_gt_u32_e32 vcc, s33, v46
	s_and_saveexec_b64 s[2:3], vcc
	s_cbranch_execz .LBB2088_218
.LBB2088_269:
	v_cmp_ge_u32_e32 vcc, v46, v10
                                        ; implicit-def: $vgpr2_vgpr3
	s_and_saveexec_b64 s[6:7], vcc
	s_xor_b64 s[6:7], exec, s[6:7]
; %bb.270:
	v_xor_b32_e32 v2, 0xfffffeff, v0
	v_ashrrev_i32_e32 v3, 31, v2
	v_add_co_u32_e32 v2, vcc, v7, v2
	v_addc_co_u32_e32 v3, vcc, v8, v3, vcc
                                        ; implicit-def: $vgpr46
; %bb.271:
	s_andn2_saveexec_b64 s[6:7], s[6:7]
; %bb.272:
	v_add_co_u32_e32 v2, vcc, v1, v46
	v_addc_co_u32_e32 v3, vcc, 0, v4, vcc
; %bb.273:
	s_or_b64 exec, exec, s[6:7]
	v_lshlrev_b64 v[2:3], 1, v[2:3]
	v_mov_b32_e32 v11, s5
	v_add_co_u32_e32 v2, vcc, s4, v2
	v_addc_co_u32_e32 v3, vcc, v11, v3, vcc
	s_waitcnt lgkmcnt(14)
	global_store_short v[2:3], v45, off
	s_or_b64 exec, exec, s[2:3]
	v_cmp_gt_u32_e32 vcc, s33, v44
	s_and_saveexec_b64 s[2:3], vcc
	s_cbranch_execnz .LBB2088_219
.LBB2088_274:
	s_or_b64 exec, exec, s[2:3]
	v_cmp_gt_u32_e32 vcc, s33, v42
	s_and_saveexec_b64 s[2:3], vcc
	s_cbranch_execz .LBB2088_224
.LBB2088_275:
	v_cmp_ge_u32_e32 vcc, v42, v10
                                        ; implicit-def: $vgpr2_vgpr3
	s_and_saveexec_b64 s[6:7], vcc
	s_xor_b64 s[6:7], exec, s[6:7]
; %bb.276:
	v_xor_b32_e32 v2, 0xfffffcff, v0
	v_ashrrev_i32_e32 v3, 31, v2
	v_add_co_u32_e32 v2, vcc, v7, v2
	v_addc_co_u32_e32 v3, vcc, v8, v3, vcc
                                        ; implicit-def: $vgpr42
; %bb.277:
	s_andn2_saveexec_b64 s[6:7], s[6:7]
; %bb.278:
	v_add_co_u32_e32 v2, vcc, v1, v42
	v_addc_co_u32_e32 v3, vcc, 0, v4, vcc
; %bb.279:
	s_or_b64 exec, exec, s[6:7]
	v_lshlrev_b64 v[2:3], 1, v[2:3]
	v_mov_b32_e32 v11, s5
	v_add_co_u32_e32 v2, vcc, s4, v2
	v_addc_co_u32_e32 v3, vcc, v11, v3, vcc
	s_waitcnt lgkmcnt(14)
	global_store_short v[2:3], v41, off
	s_or_b64 exec, exec, s[2:3]
	v_cmp_gt_u32_e32 vcc, s33, v40
	s_and_saveexec_b64 s[2:3], vcc
	s_cbranch_execnz .LBB2088_225
.LBB2088_280:
	s_or_b64 exec, exec, s[2:3]
	v_cmp_gt_u32_e32 vcc, s33, v38
	s_and_saveexec_b64 s[2:3], vcc
	s_cbranch_execz .LBB2088_230
.LBB2088_281:
	v_cmp_ge_u32_e32 vcc, v38, v10
                                        ; implicit-def: $vgpr2_vgpr3
	s_and_saveexec_b64 s[6:7], vcc
	s_xor_b64 s[6:7], exec, s[6:7]
; %bb.282:
	v_xor_b32_e32 v2, 0xfffffaff, v0
	v_ashrrev_i32_e32 v3, 31, v2
	v_add_co_u32_e32 v2, vcc, v7, v2
	v_addc_co_u32_e32 v3, vcc, v8, v3, vcc
                                        ; implicit-def: $vgpr38
; %bb.283:
	s_andn2_saveexec_b64 s[6:7], s[6:7]
; %bb.284:
	v_add_co_u32_e32 v2, vcc, v1, v38
	v_addc_co_u32_e32 v3, vcc, 0, v4, vcc
; %bb.285:
	s_or_b64 exec, exec, s[6:7]
	v_lshlrev_b64 v[2:3], 1, v[2:3]
	v_mov_b32_e32 v11, s5
	v_add_co_u32_e32 v2, vcc, s4, v2
	v_addc_co_u32_e32 v3, vcc, v11, v3, vcc
	s_waitcnt lgkmcnt(14)
	global_store_short v[2:3], v37, off
	s_or_b64 exec, exec, s[2:3]
	v_cmp_gt_u32_e32 vcc, s33, v36
	s_and_saveexec_b64 s[2:3], vcc
	s_cbranch_execnz .LBB2088_231
.LBB2088_286:
	s_or_b64 exec, exec, s[2:3]
	v_cmp_gt_u32_e32 vcc, s33, v34
	s_and_saveexec_b64 s[2:3], vcc
	s_cbranch_execz .LBB2088_236
.LBB2088_287:
	v_cmp_ge_u32_e32 vcc, v34, v10
                                        ; implicit-def: $vgpr2_vgpr3
	s_and_saveexec_b64 s[6:7], vcc
	s_xor_b64 s[6:7], exec, s[6:7]
; %bb.288:
	v_xor_b32_e32 v2, 0xfffff8ff, v0
	v_ashrrev_i32_e32 v3, 31, v2
	v_add_co_u32_e32 v2, vcc, v7, v2
	v_addc_co_u32_e32 v3, vcc, v8, v3, vcc
                                        ; implicit-def: $vgpr34
; %bb.289:
	s_andn2_saveexec_b64 s[6:7], s[6:7]
; %bb.290:
	v_add_co_u32_e32 v2, vcc, v1, v34
	v_addc_co_u32_e32 v3, vcc, 0, v4, vcc
; %bb.291:
	s_or_b64 exec, exec, s[6:7]
	v_lshlrev_b64 v[2:3], 1, v[2:3]
	v_mov_b32_e32 v11, s5
	v_add_co_u32_e32 v2, vcc, s4, v2
	v_addc_co_u32_e32 v3, vcc, v11, v3, vcc
	s_waitcnt lgkmcnt(12)
	global_store_short v[2:3], v33, off
	s_or_b64 exec, exec, s[2:3]
	v_cmp_gt_u32_e32 vcc, s33, v32
	s_and_saveexec_b64 s[2:3], vcc
	s_cbranch_execnz .LBB2088_237
.LBB2088_292:
	s_or_b64 exec, exec, s[2:3]
	v_cmp_gt_u32_e32 vcc, s33, v30
	s_and_saveexec_b64 s[2:3], vcc
	s_cbranch_execz .LBB2088_242
.LBB2088_293:
	v_cmp_ge_u32_e32 vcc, v30, v10
                                        ; implicit-def: $vgpr2_vgpr3
	s_and_saveexec_b64 s[6:7], vcc
	s_xor_b64 s[6:7], exec, s[6:7]
; %bb.294:
	v_xor_b32_e32 v2, 0xfffff6ff, v0
	v_ashrrev_i32_e32 v3, 31, v2
	v_add_co_u32_e32 v2, vcc, v7, v2
	v_addc_co_u32_e32 v3, vcc, v8, v3, vcc
                                        ; implicit-def: $vgpr30
; %bb.295:
	s_andn2_saveexec_b64 s[6:7], s[6:7]
; %bb.296:
	v_add_co_u32_e32 v2, vcc, v1, v30
	v_addc_co_u32_e32 v3, vcc, 0, v4, vcc
; %bb.297:
	s_or_b64 exec, exec, s[6:7]
	v_lshlrev_b64 v[2:3], 1, v[2:3]
	v_mov_b32_e32 v11, s5
	v_add_co_u32_e32 v2, vcc, s4, v2
	v_addc_co_u32_e32 v3, vcc, v11, v3, vcc
	s_waitcnt lgkmcnt(10)
	global_store_short v[2:3], v29, off
	s_or_b64 exec, exec, s[2:3]
	v_cmp_gt_u32_e32 vcc, s33, v28
	s_and_saveexec_b64 s[2:3], vcc
	s_cbranch_execnz .LBB2088_243
.LBB2088_298:
	s_or_b64 exec, exec, s[2:3]
	v_cmp_gt_u32_e32 vcc, s33, v26
	s_and_saveexec_b64 s[2:3], vcc
	s_cbranch_execz .LBB2088_248
.LBB2088_299:
	v_cmp_ge_u32_e32 vcc, v26, v10
                                        ; implicit-def: $vgpr2_vgpr3
	s_and_saveexec_b64 s[6:7], vcc
	s_xor_b64 s[6:7], exec, s[6:7]
; %bb.300:
	v_xor_b32_e32 v2, 0xfffff4ff, v0
	v_ashrrev_i32_e32 v3, 31, v2
	v_add_co_u32_e32 v2, vcc, v7, v2
	v_addc_co_u32_e32 v3, vcc, v8, v3, vcc
                                        ; implicit-def: $vgpr26
; %bb.301:
	s_andn2_saveexec_b64 s[6:7], s[6:7]
; %bb.302:
	v_add_co_u32_e32 v2, vcc, v1, v26
	v_addc_co_u32_e32 v3, vcc, 0, v4, vcc
; %bb.303:
	s_or_b64 exec, exec, s[6:7]
	v_lshlrev_b64 v[2:3], 1, v[2:3]
	v_mov_b32_e32 v11, s5
	v_add_co_u32_e32 v2, vcc, s4, v2
	v_addc_co_u32_e32 v3, vcc, v11, v3, vcc
	s_waitcnt lgkmcnt(8)
	global_store_short v[2:3], v25, off
	s_or_b64 exec, exec, s[2:3]
	v_cmp_gt_u32_e32 vcc, s33, v24
	s_and_saveexec_b64 s[2:3], vcc
	s_cbranch_execnz .LBB2088_249
.LBB2088_304:
	s_or_b64 exec, exec, s[2:3]
	v_cmp_gt_u32_e32 vcc, s33, v22
	s_and_saveexec_b64 s[2:3], vcc
	s_cbranch_execz .LBB2088_254
.LBB2088_305:
	v_cmp_ge_u32_e32 vcc, v22, v10
                                        ; implicit-def: $vgpr2_vgpr3
	s_and_saveexec_b64 s[6:7], vcc
	s_xor_b64 s[6:7], exec, s[6:7]
; %bb.306:
	v_xor_b32_e32 v2, 0xfffff2ff, v0
	v_ashrrev_i32_e32 v3, 31, v2
	v_add_co_u32_e32 v2, vcc, v7, v2
	v_addc_co_u32_e32 v3, vcc, v8, v3, vcc
                                        ; implicit-def: $vgpr22
; %bb.307:
	s_andn2_saveexec_b64 s[6:7], s[6:7]
; %bb.308:
	v_add_co_u32_e32 v2, vcc, v1, v22
	v_addc_co_u32_e32 v3, vcc, 0, v4, vcc
; %bb.309:
	s_or_b64 exec, exec, s[6:7]
	v_lshlrev_b64 v[2:3], 1, v[2:3]
	v_mov_b32_e32 v11, s5
	v_add_co_u32_e32 v2, vcc, s4, v2
	v_addc_co_u32_e32 v3, vcc, v11, v3, vcc
	s_waitcnt lgkmcnt(6)
	global_store_short v[2:3], v21, off
	s_or_b64 exec, exec, s[2:3]
	v_cmp_gt_u32_e32 vcc, s33, v20
	s_and_saveexec_b64 s[2:3], vcc
	s_cbranch_execnz .LBB2088_255
.LBB2088_310:
	s_or_b64 exec, exec, s[2:3]
	v_cmp_gt_u32_e32 vcc, s33, v18
	s_and_saveexec_b64 s[2:3], vcc
	s_cbranch_execz .LBB2088_260
.LBB2088_311:
	v_cmp_ge_u32_e32 vcc, v18, v10
                                        ; implicit-def: $vgpr2_vgpr3
	s_and_saveexec_b64 s[6:7], vcc
	s_xor_b64 s[6:7], exec, s[6:7]
; %bb.312:
	v_xor_b32_e32 v2, 0xfffff0ff, v0
	v_ashrrev_i32_e32 v3, 31, v2
	v_add_co_u32_e32 v2, vcc, v7, v2
	v_addc_co_u32_e32 v3, vcc, v8, v3, vcc
                                        ; implicit-def: $vgpr18
; %bb.313:
	s_andn2_saveexec_b64 s[6:7], s[6:7]
; %bb.314:
	v_add_co_u32_e32 v2, vcc, v1, v18
	v_addc_co_u32_e32 v3, vcc, 0, v4, vcc
; %bb.315:
	s_or_b64 exec, exec, s[6:7]
	v_lshlrev_b64 v[2:3], 1, v[2:3]
	v_mov_b32_e32 v11, s5
	v_add_co_u32_e32 v2, vcc, s4, v2
	v_addc_co_u32_e32 v3, vcc, v11, v3, vcc
	s_waitcnt lgkmcnt(4)
	global_store_short v[2:3], v17, off
	s_or_b64 exec, exec, s[2:3]
	v_cmp_gt_u32_e32 vcc, s33, v16
	s_and_saveexec_b64 s[2:3], vcc
	s_cbranch_execnz .LBB2088_261
.LBB2088_316:
	s_or_b64 exec, exec, s[2:3]
	v_cmp_gt_u32_e32 vcc, s33, v14
	s_and_saveexec_b64 s[2:3], vcc
	s_cbranch_execz .LBB2088_266
.LBB2088_317:
	v_cmp_ge_u32_e32 vcc, v14, v10
                                        ; implicit-def: $vgpr2_vgpr3
	s_and_saveexec_b64 s[6:7], vcc
	s_xor_b64 s[6:7], exec, s[6:7]
; %bb.318:
	v_xor_b32_e32 v2, 0xffffeeff, v0
	v_ashrrev_i32_e32 v3, 31, v2
	v_add_co_u32_e32 v2, vcc, v7, v2
	v_addc_co_u32_e32 v3, vcc, v8, v3, vcc
                                        ; implicit-def: $vgpr14
; %bb.319:
	s_andn2_saveexec_b64 s[6:7], s[6:7]
; %bb.320:
	v_add_co_u32_e32 v2, vcc, v1, v14
	v_addc_co_u32_e32 v3, vcc, 0, v4, vcc
; %bb.321:
	s_or_b64 exec, exec, s[6:7]
	v_lshlrev_b64 v[2:3], 1, v[2:3]
	v_mov_b32_e32 v11, s5
	v_add_co_u32_e32 v2, vcc, s4, v2
	v_addc_co_u32_e32 v3, vcc, v11, v3, vcc
	s_waitcnt lgkmcnt(2)
	global_store_short v[2:3], v13, off
	s_or_b64 exec, exec, s[2:3]
	v_cmp_gt_u32_e32 vcc, s33, v12
	s_and_saveexec_b64 s[2:3], vcc
	s_cbranch_execz .LBB2088_267
.LBB2088_322:
	v_cmp_ge_u32_e32 vcc, v12, v10
                                        ; implicit-def: $vgpr2_vgpr3
	s_and_saveexec_b64 s[6:7], vcc
	s_xor_b64 s[6:7], exec, s[6:7]
; %bb.323:
	v_xor_b32_e32 v2, 0xffffedff, v0
	v_ashrrev_i32_e32 v3, 31, v2
	v_add_co_u32_e32 v2, vcc, v7, v2
	v_addc_co_u32_e32 v3, vcc, v8, v3, vcc
                                        ; implicit-def: $vgpr12
; %bb.324:
	s_andn2_saveexec_b64 s[6:7], s[6:7]
; %bb.325:
	v_add_co_u32_e32 v2, vcc, v1, v12
	v_addc_co_u32_e32 v3, vcc, 0, v4, vcc
; %bb.326:
	s_or_b64 exec, exec, s[6:7]
	v_lshlrev_b64 v[2:3], 1, v[2:3]
	v_mov_b32_e32 v11, s5
	v_add_co_u32_e32 v2, vcc, s4, v2
	v_addc_co_u32_e32 v3, vcc, v11, v3, vcc
	s_waitcnt lgkmcnt(1)
	global_store_short v[2:3], v9, off
	s_or_b64 exec, exec, s[2:3]
	v_cmp_gt_u32_e32 vcc, s33, v6
                                        ; implicit-def: $vgpr2_vgpr3
	s_and_saveexec_b64 s[2:3], vcc
	s_cbranch_execz .LBB2088_332
.LBB2088_327:
	v_cmp_ge_u32_e32 vcc, v6, v10
                                        ; implicit-def: $vgpr2_vgpr3
	s_and_saveexec_b64 s[6:7], vcc
	s_xor_b64 s[6:7], exec, s[6:7]
; %bb.328:
	v_xor_b32_e32 v2, 0xffffecff, v0
	v_ashrrev_i32_e32 v3, 31, v2
	v_add_co_u32_e32 v2, vcc, v7, v2
	v_addc_co_u32_e32 v3, vcc, v8, v3, vcc
                                        ; implicit-def: $vgpr6
; %bb.329:
	s_andn2_saveexec_b64 s[6:7], s[6:7]
; %bb.330:
	v_add_co_u32_e32 v2, vcc, v1, v6
	v_addc_co_u32_e32 v3, vcc, 0, v4, vcc
; %bb.331:
	s_or_b64 exec, exec, s[6:7]
	s_or_b64 s[0:1], s[0:1], exec
.LBB2088_332:
	s_or_b64 exec, exec, s[2:3]
.LBB2088_333:
	s_and_saveexec_b64 s[2:3], s[0:1]
	s_cbranch_execz .LBB2088_335
; %bb.334:
	v_lshlrev_b64 v[2:3], 1, v[2:3]
	v_mov_b32_e32 v6, s5
	v_add_co_u32_e32 v2, vcc, s4, v2
	v_addc_co_u32_e32 v3, vcc, v6, v3, vcc
	s_waitcnt lgkmcnt(0)
	global_store_short v[2:3], v5, off
.LBB2088_335:
	s_or_b64 exec, exec, s[2:3]
	v_cmp_eq_u32_e32 vcc, 0, v0
	s_and_b64 s[0:1], vcc, s[22:23]
	s_and_saveexec_b64 s[2:3], s[0:1]
	s_cbranch_execz .LBB2088_337
; %bb.336:
	v_add_co_u32_e32 v0, vcc, v1, v10
	v_mov_b32_e32 v2, 0
	v_addc_co_u32_e32 v1, vcc, 0, v4, vcc
	global_store_dwordx2 v2, v[0:1], s[20:21]
.LBB2088_337:
	s_endpgm
	.section	.rodata,"a",@progbits
	.p2align	6, 0x0
	.amdhsa_kernel _ZN7rocprim17ROCPRIM_400000_NS6detail17trampoline_kernelINS0_14default_configENS1_25partition_config_selectorILNS1_17partition_subalgoE2EtNS0_10empty_typeEbEEZZNS1_14partition_implILS5_2ELb0ES3_jN6thrust23THRUST_200600_302600_NS6detail15normal_iteratorINSA_7pointerItNSA_11hip_rocprim3tagENSA_11use_defaultESG_EEEEPS6_NSA_18transform_iteratorI7is_evenItENSC_INSA_10device_ptrItEEEESG_SG_EENS0_5tupleIJPtSJ_EEENSR_IJSJ_SJ_EEES6_PlJS6_EEE10hipError_tPvRmT3_T4_T5_T6_T7_T9_mT8_P12ihipStream_tbDpT10_ENKUlT_T0_E_clISt17integral_constantIbLb1EES1E_IbLb0EEEEDaS1A_S1B_EUlS1A_E_NS1_11comp_targetILNS1_3genE4ELNS1_11target_archE910ELNS1_3gpuE8ELNS1_3repE0EEENS1_30default_config_static_selectorELNS0_4arch9wavefront6targetE1EEEvT1_
		.amdhsa_group_segment_fixed_size 10248
		.amdhsa_private_segment_fixed_size 0
		.amdhsa_kernarg_size 128
		.amdhsa_user_sgpr_count 6
		.amdhsa_user_sgpr_private_segment_buffer 1
		.amdhsa_user_sgpr_dispatch_ptr 0
		.amdhsa_user_sgpr_queue_ptr 0
		.amdhsa_user_sgpr_kernarg_segment_ptr 1
		.amdhsa_user_sgpr_dispatch_id 0
		.amdhsa_user_sgpr_flat_scratch_init 0
		.amdhsa_user_sgpr_kernarg_preload_length 0
		.amdhsa_user_sgpr_kernarg_preload_offset 0
		.amdhsa_user_sgpr_private_segment_size 0
		.amdhsa_uses_dynamic_stack 0
		.amdhsa_system_sgpr_private_segment_wavefront_offset 0
		.amdhsa_system_sgpr_workgroup_id_x 1
		.amdhsa_system_sgpr_workgroup_id_y 0
		.amdhsa_system_sgpr_workgroup_id_z 0
		.amdhsa_system_sgpr_workgroup_info 0
		.amdhsa_system_vgpr_workitem_id 0
		.amdhsa_next_free_vgpr 65
		.amdhsa_next_free_sgpr 46
		.amdhsa_accum_offset 68
		.amdhsa_reserve_vcc 1
		.amdhsa_reserve_flat_scratch 0
		.amdhsa_float_round_mode_32 0
		.amdhsa_float_round_mode_16_64 0
		.amdhsa_float_denorm_mode_32 3
		.amdhsa_float_denorm_mode_16_64 3
		.amdhsa_dx10_clamp 1
		.amdhsa_ieee_mode 1
		.amdhsa_fp16_overflow 0
		.amdhsa_tg_split 0
		.amdhsa_exception_fp_ieee_invalid_op 0
		.amdhsa_exception_fp_denorm_src 0
		.amdhsa_exception_fp_ieee_div_zero 0
		.amdhsa_exception_fp_ieee_overflow 0
		.amdhsa_exception_fp_ieee_underflow 0
		.amdhsa_exception_fp_ieee_inexact 0
		.amdhsa_exception_int_div_zero 0
	.end_amdhsa_kernel
	.section	.text._ZN7rocprim17ROCPRIM_400000_NS6detail17trampoline_kernelINS0_14default_configENS1_25partition_config_selectorILNS1_17partition_subalgoE2EtNS0_10empty_typeEbEEZZNS1_14partition_implILS5_2ELb0ES3_jN6thrust23THRUST_200600_302600_NS6detail15normal_iteratorINSA_7pointerItNSA_11hip_rocprim3tagENSA_11use_defaultESG_EEEEPS6_NSA_18transform_iteratorI7is_evenItENSC_INSA_10device_ptrItEEEESG_SG_EENS0_5tupleIJPtSJ_EEENSR_IJSJ_SJ_EEES6_PlJS6_EEE10hipError_tPvRmT3_T4_T5_T6_T7_T9_mT8_P12ihipStream_tbDpT10_ENKUlT_T0_E_clISt17integral_constantIbLb1EES1E_IbLb0EEEEDaS1A_S1B_EUlS1A_E_NS1_11comp_targetILNS1_3genE4ELNS1_11target_archE910ELNS1_3gpuE8ELNS1_3repE0EEENS1_30default_config_static_selectorELNS0_4arch9wavefront6targetE1EEEvT1_,"axG",@progbits,_ZN7rocprim17ROCPRIM_400000_NS6detail17trampoline_kernelINS0_14default_configENS1_25partition_config_selectorILNS1_17partition_subalgoE2EtNS0_10empty_typeEbEEZZNS1_14partition_implILS5_2ELb0ES3_jN6thrust23THRUST_200600_302600_NS6detail15normal_iteratorINSA_7pointerItNSA_11hip_rocprim3tagENSA_11use_defaultESG_EEEEPS6_NSA_18transform_iteratorI7is_evenItENSC_INSA_10device_ptrItEEEESG_SG_EENS0_5tupleIJPtSJ_EEENSR_IJSJ_SJ_EEES6_PlJS6_EEE10hipError_tPvRmT3_T4_T5_T6_T7_T9_mT8_P12ihipStream_tbDpT10_ENKUlT_T0_E_clISt17integral_constantIbLb1EES1E_IbLb0EEEEDaS1A_S1B_EUlS1A_E_NS1_11comp_targetILNS1_3genE4ELNS1_11target_archE910ELNS1_3gpuE8ELNS1_3repE0EEENS1_30default_config_static_selectorELNS0_4arch9wavefront6targetE1EEEvT1_,comdat
.Lfunc_end2088:
	.size	_ZN7rocprim17ROCPRIM_400000_NS6detail17trampoline_kernelINS0_14default_configENS1_25partition_config_selectorILNS1_17partition_subalgoE2EtNS0_10empty_typeEbEEZZNS1_14partition_implILS5_2ELb0ES3_jN6thrust23THRUST_200600_302600_NS6detail15normal_iteratorINSA_7pointerItNSA_11hip_rocprim3tagENSA_11use_defaultESG_EEEEPS6_NSA_18transform_iteratorI7is_evenItENSC_INSA_10device_ptrItEEEESG_SG_EENS0_5tupleIJPtSJ_EEENSR_IJSJ_SJ_EEES6_PlJS6_EEE10hipError_tPvRmT3_T4_T5_T6_T7_T9_mT8_P12ihipStream_tbDpT10_ENKUlT_T0_E_clISt17integral_constantIbLb1EES1E_IbLb0EEEEDaS1A_S1B_EUlS1A_E_NS1_11comp_targetILNS1_3genE4ELNS1_11target_archE910ELNS1_3gpuE8ELNS1_3repE0EEENS1_30default_config_static_selectorELNS0_4arch9wavefront6targetE1EEEvT1_, .Lfunc_end2088-_ZN7rocprim17ROCPRIM_400000_NS6detail17trampoline_kernelINS0_14default_configENS1_25partition_config_selectorILNS1_17partition_subalgoE2EtNS0_10empty_typeEbEEZZNS1_14partition_implILS5_2ELb0ES3_jN6thrust23THRUST_200600_302600_NS6detail15normal_iteratorINSA_7pointerItNSA_11hip_rocprim3tagENSA_11use_defaultESG_EEEEPS6_NSA_18transform_iteratorI7is_evenItENSC_INSA_10device_ptrItEEEESG_SG_EENS0_5tupleIJPtSJ_EEENSR_IJSJ_SJ_EEES6_PlJS6_EEE10hipError_tPvRmT3_T4_T5_T6_T7_T9_mT8_P12ihipStream_tbDpT10_ENKUlT_T0_E_clISt17integral_constantIbLb1EES1E_IbLb0EEEEDaS1A_S1B_EUlS1A_E_NS1_11comp_targetILNS1_3genE4ELNS1_11target_archE910ELNS1_3gpuE8ELNS1_3repE0EEENS1_30default_config_static_selectorELNS0_4arch9wavefront6targetE1EEEvT1_
                                        ; -- End function
	.section	.AMDGPU.csdata,"",@progbits
; Kernel info:
; codeLenInByte = 10832
; NumSgprs: 50
; NumVgprs: 65
; NumAgprs: 0
; TotalNumVgprs: 65
; ScratchSize: 0
; MemoryBound: 0
; FloatMode: 240
; IeeeMode: 1
; LDSByteSize: 10248 bytes/workgroup (compile time only)
; SGPRBlocks: 6
; VGPRBlocks: 8
; NumSGPRsForWavesPerEU: 50
; NumVGPRsForWavesPerEU: 65
; AccumOffset: 68
; Occupancy: 6
; WaveLimiterHint : 1
; COMPUTE_PGM_RSRC2:SCRATCH_EN: 0
; COMPUTE_PGM_RSRC2:USER_SGPR: 6
; COMPUTE_PGM_RSRC2:TRAP_HANDLER: 0
; COMPUTE_PGM_RSRC2:TGID_X_EN: 1
; COMPUTE_PGM_RSRC2:TGID_Y_EN: 0
; COMPUTE_PGM_RSRC2:TGID_Z_EN: 0
; COMPUTE_PGM_RSRC2:TIDIG_COMP_CNT: 0
; COMPUTE_PGM_RSRC3_GFX90A:ACCUM_OFFSET: 16
; COMPUTE_PGM_RSRC3_GFX90A:TG_SPLIT: 0
	.section	.text._ZN7rocprim17ROCPRIM_400000_NS6detail17trampoline_kernelINS0_14default_configENS1_25partition_config_selectorILNS1_17partition_subalgoE2EtNS0_10empty_typeEbEEZZNS1_14partition_implILS5_2ELb0ES3_jN6thrust23THRUST_200600_302600_NS6detail15normal_iteratorINSA_7pointerItNSA_11hip_rocprim3tagENSA_11use_defaultESG_EEEEPS6_NSA_18transform_iteratorI7is_evenItENSC_INSA_10device_ptrItEEEESG_SG_EENS0_5tupleIJPtSJ_EEENSR_IJSJ_SJ_EEES6_PlJS6_EEE10hipError_tPvRmT3_T4_T5_T6_T7_T9_mT8_P12ihipStream_tbDpT10_ENKUlT_T0_E_clISt17integral_constantIbLb1EES1E_IbLb0EEEEDaS1A_S1B_EUlS1A_E_NS1_11comp_targetILNS1_3genE3ELNS1_11target_archE908ELNS1_3gpuE7ELNS1_3repE0EEENS1_30default_config_static_selectorELNS0_4arch9wavefront6targetE1EEEvT1_,"axG",@progbits,_ZN7rocprim17ROCPRIM_400000_NS6detail17trampoline_kernelINS0_14default_configENS1_25partition_config_selectorILNS1_17partition_subalgoE2EtNS0_10empty_typeEbEEZZNS1_14partition_implILS5_2ELb0ES3_jN6thrust23THRUST_200600_302600_NS6detail15normal_iteratorINSA_7pointerItNSA_11hip_rocprim3tagENSA_11use_defaultESG_EEEEPS6_NSA_18transform_iteratorI7is_evenItENSC_INSA_10device_ptrItEEEESG_SG_EENS0_5tupleIJPtSJ_EEENSR_IJSJ_SJ_EEES6_PlJS6_EEE10hipError_tPvRmT3_T4_T5_T6_T7_T9_mT8_P12ihipStream_tbDpT10_ENKUlT_T0_E_clISt17integral_constantIbLb1EES1E_IbLb0EEEEDaS1A_S1B_EUlS1A_E_NS1_11comp_targetILNS1_3genE3ELNS1_11target_archE908ELNS1_3gpuE7ELNS1_3repE0EEENS1_30default_config_static_selectorELNS0_4arch9wavefront6targetE1EEEvT1_,comdat
	.protected	_ZN7rocprim17ROCPRIM_400000_NS6detail17trampoline_kernelINS0_14default_configENS1_25partition_config_selectorILNS1_17partition_subalgoE2EtNS0_10empty_typeEbEEZZNS1_14partition_implILS5_2ELb0ES3_jN6thrust23THRUST_200600_302600_NS6detail15normal_iteratorINSA_7pointerItNSA_11hip_rocprim3tagENSA_11use_defaultESG_EEEEPS6_NSA_18transform_iteratorI7is_evenItENSC_INSA_10device_ptrItEEEESG_SG_EENS0_5tupleIJPtSJ_EEENSR_IJSJ_SJ_EEES6_PlJS6_EEE10hipError_tPvRmT3_T4_T5_T6_T7_T9_mT8_P12ihipStream_tbDpT10_ENKUlT_T0_E_clISt17integral_constantIbLb1EES1E_IbLb0EEEEDaS1A_S1B_EUlS1A_E_NS1_11comp_targetILNS1_3genE3ELNS1_11target_archE908ELNS1_3gpuE7ELNS1_3repE0EEENS1_30default_config_static_selectorELNS0_4arch9wavefront6targetE1EEEvT1_ ; -- Begin function _ZN7rocprim17ROCPRIM_400000_NS6detail17trampoline_kernelINS0_14default_configENS1_25partition_config_selectorILNS1_17partition_subalgoE2EtNS0_10empty_typeEbEEZZNS1_14partition_implILS5_2ELb0ES3_jN6thrust23THRUST_200600_302600_NS6detail15normal_iteratorINSA_7pointerItNSA_11hip_rocprim3tagENSA_11use_defaultESG_EEEEPS6_NSA_18transform_iteratorI7is_evenItENSC_INSA_10device_ptrItEEEESG_SG_EENS0_5tupleIJPtSJ_EEENSR_IJSJ_SJ_EEES6_PlJS6_EEE10hipError_tPvRmT3_T4_T5_T6_T7_T9_mT8_P12ihipStream_tbDpT10_ENKUlT_T0_E_clISt17integral_constantIbLb1EES1E_IbLb0EEEEDaS1A_S1B_EUlS1A_E_NS1_11comp_targetILNS1_3genE3ELNS1_11target_archE908ELNS1_3gpuE7ELNS1_3repE0EEENS1_30default_config_static_selectorELNS0_4arch9wavefront6targetE1EEEvT1_
	.globl	_ZN7rocprim17ROCPRIM_400000_NS6detail17trampoline_kernelINS0_14default_configENS1_25partition_config_selectorILNS1_17partition_subalgoE2EtNS0_10empty_typeEbEEZZNS1_14partition_implILS5_2ELb0ES3_jN6thrust23THRUST_200600_302600_NS6detail15normal_iteratorINSA_7pointerItNSA_11hip_rocprim3tagENSA_11use_defaultESG_EEEEPS6_NSA_18transform_iteratorI7is_evenItENSC_INSA_10device_ptrItEEEESG_SG_EENS0_5tupleIJPtSJ_EEENSR_IJSJ_SJ_EEES6_PlJS6_EEE10hipError_tPvRmT3_T4_T5_T6_T7_T9_mT8_P12ihipStream_tbDpT10_ENKUlT_T0_E_clISt17integral_constantIbLb1EES1E_IbLb0EEEEDaS1A_S1B_EUlS1A_E_NS1_11comp_targetILNS1_3genE3ELNS1_11target_archE908ELNS1_3gpuE7ELNS1_3repE0EEENS1_30default_config_static_selectorELNS0_4arch9wavefront6targetE1EEEvT1_
	.p2align	8
	.type	_ZN7rocprim17ROCPRIM_400000_NS6detail17trampoline_kernelINS0_14default_configENS1_25partition_config_selectorILNS1_17partition_subalgoE2EtNS0_10empty_typeEbEEZZNS1_14partition_implILS5_2ELb0ES3_jN6thrust23THRUST_200600_302600_NS6detail15normal_iteratorINSA_7pointerItNSA_11hip_rocprim3tagENSA_11use_defaultESG_EEEEPS6_NSA_18transform_iteratorI7is_evenItENSC_INSA_10device_ptrItEEEESG_SG_EENS0_5tupleIJPtSJ_EEENSR_IJSJ_SJ_EEES6_PlJS6_EEE10hipError_tPvRmT3_T4_T5_T6_T7_T9_mT8_P12ihipStream_tbDpT10_ENKUlT_T0_E_clISt17integral_constantIbLb1EES1E_IbLb0EEEEDaS1A_S1B_EUlS1A_E_NS1_11comp_targetILNS1_3genE3ELNS1_11target_archE908ELNS1_3gpuE7ELNS1_3repE0EEENS1_30default_config_static_selectorELNS0_4arch9wavefront6targetE1EEEvT1_,@function
_ZN7rocprim17ROCPRIM_400000_NS6detail17trampoline_kernelINS0_14default_configENS1_25partition_config_selectorILNS1_17partition_subalgoE2EtNS0_10empty_typeEbEEZZNS1_14partition_implILS5_2ELb0ES3_jN6thrust23THRUST_200600_302600_NS6detail15normal_iteratorINSA_7pointerItNSA_11hip_rocprim3tagENSA_11use_defaultESG_EEEEPS6_NSA_18transform_iteratorI7is_evenItENSC_INSA_10device_ptrItEEEESG_SG_EENS0_5tupleIJPtSJ_EEENSR_IJSJ_SJ_EEES6_PlJS6_EEE10hipError_tPvRmT3_T4_T5_T6_T7_T9_mT8_P12ihipStream_tbDpT10_ENKUlT_T0_E_clISt17integral_constantIbLb1EES1E_IbLb0EEEEDaS1A_S1B_EUlS1A_E_NS1_11comp_targetILNS1_3genE3ELNS1_11target_archE908ELNS1_3gpuE7ELNS1_3repE0EEENS1_30default_config_static_selectorELNS0_4arch9wavefront6targetE1EEEvT1_: ; @_ZN7rocprim17ROCPRIM_400000_NS6detail17trampoline_kernelINS0_14default_configENS1_25partition_config_selectorILNS1_17partition_subalgoE2EtNS0_10empty_typeEbEEZZNS1_14partition_implILS5_2ELb0ES3_jN6thrust23THRUST_200600_302600_NS6detail15normal_iteratorINSA_7pointerItNSA_11hip_rocprim3tagENSA_11use_defaultESG_EEEEPS6_NSA_18transform_iteratorI7is_evenItENSC_INSA_10device_ptrItEEEESG_SG_EENS0_5tupleIJPtSJ_EEENSR_IJSJ_SJ_EEES6_PlJS6_EEE10hipError_tPvRmT3_T4_T5_T6_T7_T9_mT8_P12ihipStream_tbDpT10_ENKUlT_T0_E_clISt17integral_constantIbLb1EES1E_IbLb0EEEEDaS1A_S1B_EUlS1A_E_NS1_11comp_targetILNS1_3genE3ELNS1_11target_archE908ELNS1_3gpuE7ELNS1_3repE0EEENS1_30default_config_static_selectorELNS0_4arch9wavefront6targetE1EEEvT1_
; %bb.0:
	.section	.rodata,"a",@progbits
	.p2align	6, 0x0
	.amdhsa_kernel _ZN7rocprim17ROCPRIM_400000_NS6detail17trampoline_kernelINS0_14default_configENS1_25partition_config_selectorILNS1_17partition_subalgoE2EtNS0_10empty_typeEbEEZZNS1_14partition_implILS5_2ELb0ES3_jN6thrust23THRUST_200600_302600_NS6detail15normal_iteratorINSA_7pointerItNSA_11hip_rocprim3tagENSA_11use_defaultESG_EEEEPS6_NSA_18transform_iteratorI7is_evenItENSC_INSA_10device_ptrItEEEESG_SG_EENS0_5tupleIJPtSJ_EEENSR_IJSJ_SJ_EEES6_PlJS6_EEE10hipError_tPvRmT3_T4_T5_T6_T7_T9_mT8_P12ihipStream_tbDpT10_ENKUlT_T0_E_clISt17integral_constantIbLb1EES1E_IbLb0EEEEDaS1A_S1B_EUlS1A_E_NS1_11comp_targetILNS1_3genE3ELNS1_11target_archE908ELNS1_3gpuE7ELNS1_3repE0EEENS1_30default_config_static_selectorELNS0_4arch9wavefront6targetE1EEEvT1_
		.amdhsa_group_segment_fixed_size 0
		.amdhsa_private_segment_fixed_size 0
		.amdhsa_kernarg_size 128
		.amdhsa_user_sgpr_count 6
		.amdhsa_user_sgpr_private_segment_buffer 1
		.amdhsa_user_sgpr_dispatch_ptr 0
		.amdhsa_user_sgpr_queue_ptr 0
		.amdhsa_user_sgpr_kernarg_segment_ptr 1
		.amdhsa_user_sgpr_dispatch_id 0
		.amdhsa_user_sgpr_flat_scratch_init 0
		.amdhsa_user_sgpr_kernarg_preload_length 0
		.amdhsa_user_sgpr_kernarg_preload_offset 0
		.amdhsa_user_sgpr_private_segment_size 0
		.amdhsa_uses_dynamic_stack 0
		.amdhsa_system_sgpr_private_segment_wavefront_offset 0
		.amdhsa_system_sgpr_workgroup_id_x 1
		.amdhsa_system_sgpr_workgroup_id_y 0
		.amdhsa_system_sgpr_workgroup_id_z 0
		.amdhsa_system_sgpr_workgroup_info 0
		.amdhsa_system_vgpr_workitem_id 0
		.amdhsa_next_free_vgpr 1
		.amdhsa_next_free_sgpr 0
		.amdhsa_accum_offset 4
		.amdhsa_reserve_vcc 0
		.amdhsa_reserve_flat_scratch 0
		.amdhsa_float_round_mode_32 0
		.amdhsa_float_round_mode_16_64 0
		.amdhsa_float_denorm_mode_32 3
		.amdhsa_float_denorm_mode_16_64 3
		.amdhsa_dx10_clamp 1
		.amdhsa_ieee_mode 1
		.amdhsa_fp16_overflow 0
		.amdhsa_tg_split 0
		.amdhsa_exception_fp_ieee_invalid_op 0
		.amdhsa_exception_fp_denorm_src 0
		.amdhsa_exception_fp_ieee_div_zero 0
		.amdhsa_exception_fp_ieee_overflow 0
		.amdhsa_exception_fp_ieee_underflow 0
		.amdhsa_exception_fp_ieee_inexact 0
		.amdhsa_exception_int_div_zero 0
	.end_amdhsa_kernel
	.section	.text._ZN7rocprim17ROCPRIM_400000_NS6detail17trampoline_kernelINS0_14default_configENS1_25partition_config_selectorILNS1_17partition_subalgoE2EtNS0_10empty_typeEbEEZZNS1_14partition_implILS5_2ELb0ES3_jN6thrust23THRUST_200600_302600_NS6detail15normal_iteratorINSA_7pointerItNSA_11hip_rocprim3tagENSA_11use_defaultESG_EEEEPS6_NSA_18transform_iteratorI7is_evenItENSC_INSA_10device_ptrItEEEESG_SG_EENS0_5tupleIJPtSJ_EEENSR_IJSJ_SJ_EEES6_PlJS6_EEE10hipError_tPvRmT3_T4_T5_T6_T7_T9_mT8_P12ihipStream_tbDpT10_ENKUlT_T0_E_clISt17integral_constantIbLb1EES1E_IbLb0EEEEDaS1A_S1B_EUlS1A_E_NS1_11comp_targetILNS1_3genE3ELNS1_11target_archE908ELNS1_3gpuE7ELNS1_3repE0EEENS1_30default_config_static_selectorELNS0_4arch9wavefront6targetE1EEEvT1_,"axG",@progbits,_ZN7rocprim17ROCPRIM_400000_NS6detail17trampoline_kernelINS0_14default_configENS1_25partition_config_selectorILNS1_17partition_subalgoE2EtNS0_10empty_typeEbEEZZNS1_14partition_implILS5_2ELb0ES3_jN6thrust23THRUST_200600_302600_NS6detail15normal_iteratorINSA_7pointerItNSA_11hip_rocprim3tagENSA_11use_defaultESG_EEEEPS6_NSA_18transform_iteratorI7is_evenItENSC_INSA_10device_ptrItEEEESG_SG_EENS0_5tupleIJPtSJ_EEENSR_IJSJ_SJ_EEES6_PlJS6_EEE10hipError_tPvRmT3_T4_T5_T6_T7_T9_mT8_P12ihipStream_tbDpT10_ENKUlT_T0_E_clISt17integral_constantIbLb1EES1E_IbLb0EEEEDaS1A_S1B_EUlS1A_E_NS1_11comp_targetILNS1_3genE3ELNS1_11target_archE908ELNS1_3gpuE7ELNS1_3repE0EEENS1_30default_config_static_selectorELNS0_4arch9wavefront6targetE1EEEvT1_,comdat
.Lfunc_end2089:
	.size	_ZN7rocprim17ROCPRIM_400000_NS6detail17trampoline_kernelINS0_14default_configENS1_25partition_config_selectorILNS1_17partition_subalgoE2EtNS0_10empty_typeEbEEZZNS1_14partition_implILS5_2ELb0ES3_jN6thrust23THRUST_200600_302600_NS6detail15normal_iteratorINSA_7pointerItNSA_11hip_rocprim3tagENSA_11use_defaultESG_EEEEPS6_NSA_18transform_iteratorI7is_evenItENSC_INSA_10device_ptrItEEEESG_SG_EENS0_5tupleIJPtSJ_EEENSR_IJSJ_SJ_EEES6_PlJS6_EEE10hipError_tPvRmT3_T4_T5_T6_T7_T9_mT8_P12ihipStream_tbDpT10_ENKUlT_T0_E_clISt17integral_constantIbLb1EES1E_IbLb0EEEEDaS1A_S1B_EUlS1A_E_NS1_11comp_targetILNS1_3genE3ELNS1_11target_archE908ELNS1_3gpuE7ELNS1_3repE0EEENS1_30default_config_static_selectorELNS0_4arch9wavefront6targetE1EEEvT1_, .Lfunc_end2089-_ZN7rocprim17ROCPRIM_400000_NS6detail17trampoline_kernelINS0_14default_configENS1_25partition_config_selectorILNS1_17partition_subalgoE2EtNS0_10empty_typeEbEEZZNS1_14partition_implILS5_2ELb0ES3_jN6thrust23THRUST_200600_302600_NS6detail15normal_iteratorINSA_7pointerItNSA_11hip_rocprim3tagENSA_11use_defaultESG_EEEEPS6_NSA_18transform_iteratorI7is_evenItENSC_INSA_10device_ptrItEEEESG_SG_EENS0_5tupleIJPtSJ_EEENSR_IJSJ_SJ_EEES6_PlJS6_EEE10hipError_tPvRmT3_T4_T5_T6_T7_T9_mT8_P12ihipStream_tbDpT10_ENKUlT_T0_E_clISt17integral_constantIbLb1EES1E_IbLb0EEEEDaS1A_S1B_EUlS1A_E_NS1_11comp_targetILNS1_3genE3ELNS1_11target_archE908ELNS1_3gpuE7ELNS1_3repE0EEENS1_30default_config_static_selectorELNS0_4arch9wavefront6targetE1EEEvT1_
                                        ; -- End function
	.section	.AMDGPU.csdata,"",@progbits
; Kernel info:
; codeLenInByte = 0
; NumSgprs: 4
; NumVgprs: 0
; NumAgprs: 0
; TotalNumVgprs: 0
; ScratchSize: 0
; MemoryBound: 0
; FloatMode: 240
; IeeeMode: 1
; LDSByteSize: 0 bytes/workgroup (compile time only)
; SGPRBlocks: 0
; VGPRBlocks: 0
; NumSGPRsForWavesPerEU: 4
; NumVGPRsForWavesPerEU: 1
; AccumOffset: 4
; Occupancy: 8
; WaveLimiterHint : 0
; COMPUTE_PGM_RSRC2:SCRATCH_EN: 0
; COMPUTE_PGM_RSRC2:USER_SGPR: 6
; COMPUTE_PGM_RSRC2:TRAP_HANDLER: 0
; COMPUTE_PGM_RSRC2:TGID_X_EN: 1
; COMPUTE_PGM_RSRC2:TGID_Y_EN: 0
; COMPUTE_PGM_RSRC2:TGID_Z_EN: 0
; COMPUTE_PGM_RSRC2:TIDIG_COMP_CNT: 0
; COMPUTE_PGM_RSRC3_GFX90A:ACCUM_OFFSET: 0
; COMPUTE_PGM_RSRC3_GFX90A:TG_SPLIT: 0
	.section	.text._ZN7rocprim17ROCPRIM_400000_NS6detail17trampoline_kernelINS0_14default_configENS1_25partition_config_selectorILNS1_17partition_subalgoE2EtNS0_10empty_typeEbEEZZNS1_14partition_implILS5_2ELb0ES3_jN6thrust23THRUST_200600_302600_NS6detail15normal_iteratorINSA_7pointerItNSA_11hip_rocprim3tagENSA_11use_defaultESG_EEEEPS6_NSA_18transform_iteratorI7is_evenItENSC_INSA_10device_ptrItEEEESG_SG_EENS0_5tupleIJPtSJ_EEENSR_IJSJ_SJ_EEES6_PlJS6_EEE10hipError_tPvRmT3_T4_T5_T6_T7_T9_mT8_P12ihipStream_tbDpT10_ENKUlT_T0_E_clISt17integral_constantIbLb1EES1E_IbLb0EEEEDaS1A_S1B_EUlS1A_E_NS1_11comp_targetILNS1_3genE2ELNS1_11target_archE906ELNS1_3gpuE6ELNS1_3repE0EEENS1_30default_config_static_selectorELNS0_4arch9wavefront6targetE1EEEvT1_,"axG",@progbits,_ZN7rocprim17ROCPRIM_400000_NS6detail17trampoline_kernelINS0_14default_configENS1_25partition_config_selectorILNS1_17partition_subalgoE2EtNS0_10empty_typeEbEEZZNS1_14partition_implILS5_2ELb0ES3_jN6thrust23THRUST_200600_302600_NS6detail15normal_iteratorINSA_7pointerItNSA_11hip_rocprim3tagENSA_11use_defaultESG_EEEEPS6_NSA_18transform_iteratorI7is_evenItENSC_INSA_10device_ptrItEEEESG_SG_EENS0_5tupleIJPtSJ_EEENSR_IJSJ_SJ_EEES6_PlJS6_EEE10hipError_tPvRmT3_T4_T5_T6_T7_T9_mT8_P12ihipStream_tbDpT10_ENKUlT_T0_E_clISt17integral_constantIbLb1EES1E_IbLb0EEEEDaS1A_S1B_EUlS1A_E_NS1_11comp_targetILNS1_3genE2ELNS1_11target_archE906ELNS1_3gpuE6ELNS1_3repE0EEENS1_30default_config_static_selectorELNS0_4arch9wavefront6targetE1EEEvT1_,comdat
	.protected	_ZN7rocprim17ROCPRIM_400000_NS6detail17trampoline_kernelINS0_14default_configENS1_25partition_config_selectorILNS1_17partition_subalgoE2EtNS0_10empty_typeEbEEZZNS1_14partition_implILS5_2ELb0ES3_jN6thrust23THRUST_200600_302600_NS6detail15normal_iteratorINSA_7pointerItNSA_11hip_rocprim3tagENSA_11use_defaultESG_EEEEPS6_NSA_18transform_iteratorI7is_evenItENSC_INSA_10device_ptrItEEEESG_SG_EENS0_5tupleIJPtSJ_EEENSR_IJSJ_SJ_EEES6_PlJS6_EEE10hipError_tPvRmT3_T4_T5_T6_T7_T9_mT8_P12ihipStream_tbDpT10_ENKUlT_T0_E_clISt17integral_constantIbLb1EES1E_IbLb0EEEEDaS1A_S1B_EUlS1A_E_NS1_11comp_targetILNS1_3genE2ELNS1_11target_archE906ELNS1_3gpuE6ELNS1_3repE0EEENS1_30default_config_static_selectorELNS0_4arch9wavefront6targetE1EEEvT1_ ; -- Begin function _ZN7rocprim17ROCPRIM_400000_NS6detail17trampoline_kernelINS0_14default_configENS1_25partition_config_selectorILNS1_17partition_subalgoE2EtNS0_10empty_typeEbEEZZNS1_14partition_implILS5_2ELb0ES3_jN6thrust23THRUST_200600_302600_NS6detail15normal_iteratorINSA_7pointerItNSA_11hip_rocprim3tagENSA_11use_defaultESG_EEEEPS6_NSA_18transform_iteratorI7is_evenItENSC_INSA_10device_ptrItEEEESG_SG_EENS0_5tupleIJPtSJ_EEENSR_IJSJ_SJ_EEES6_PlJS6_EEE10hipError_tPvRmT3_T4_T5_T6_T7_T9_mT8_P12ihipStream_tbDpT10_ENKUlT_T0_E_clISt17integral_constantIbLb1EES1E_IbLb0EEEEDaS1A_S1B_EUlS1A_E_NS1_11comp_targetILNS1_3genE2ELNS1_11target_archE906ELNS1_3gpuE6ELNS1_3repE0EEENS1_30default_config_static_selectorELNS0_4arch9wavefront6targetE1EEEvT1_
	.globl	_ZN7rocprim17ROCPRIM_400000_NS6detail17trampoline_kernelINS0_14default_configENS1_25partition_config_selectorILNS1_17partition_subalgoE2EtNS0_10empty_typeEbEEZZNS1_14partition_implILS5_2ELb0ES3_jN6thrust23THRUST_200600_302600_NS6detail15normal_iteratorINSA_7pointerItNSA_11hip_rocprim3tagENSA_11use_defaultESG_EEEEPS6_NSA_18transform_iteratorI7is_evenItENSC_INSA_10device_ptrItEEEESG_SG_EENS0_5tupleIJPtSJ_EEENSR_IJSJ_SJ_EEES6_PlJS6_EEE10hipError_tPvRmT3_T4_T5_T6_T7_T9_mT8_P12ihipStream_tbDpT10_ENKUlT_T0_E_clISt17integral_constantIbLb1EES1E_IbLb0EEEEDaS1A_S1B_EUlS1A_E_NS1_11comp_targetILNS1_3genE2ELNS1_11target_archE906ELNS1_3gpuE6ELNS1_3repE0EEENS1_30default_config_static_selectorELNS0_4arch9wavefront6targetE1EEEvT1_
	.p2align	8
	.type	_ZN7rocprim17ROCPRIM_400000_NS6detail17trampoline_kernelINS0_14default_configENS1_25partition_config_selectorILNS1_17partition_subalgoE2EtNS0_10empty_typeEbEEZZNS1_14partition_implILS5_2ELb0ES3_jN6thrust23THRUST_200600_302600_NS6detail15normal_iteratorINSA_7pointerItNSA_11hip_rocprim3tagENSA_11use_defaultESG_EEEEPS6_NSA_18transform_iteratorI7is_evenItENSC_INSA_10device_ptrItEEEESG_SG_EENS0_5tupleIJPtSJ_EEENSR_IJSJ_SJ_EEES6_PlJS6_EEE10hipError_tPvRmT3_T4_T5_T6_T7_T9_mT8_P12ihipStream_tbDpT10_ENKUlT_T0_E_clISt17integral_constantIbLb1EES1E_IbLb0EEEEDaS1A_S1B_EUlS1A_E_NS1_11comp_targetILNS1_3genE2ELNS1_11target_archE906ELNS1_3gpuE6ELNS1_3repE0EEENS1_30default_config_static_selectorELNS0_4arch9wavefront6targetE1EEEvT1_,@function
_ZN7rocprim17ROCPRIM_400000_NS6detail17trampoline_kernelINS0_14default_configENS1_25partition_config_selectorILNS1_17partition_subalgoE2EtNS0_10empty_typeEbEEZZNS1_14partition_implILS5_2ELb0ES3_jN6thrust23THRUST_200600_302600_NS6detail15normal_iteratorINSA_7pointerItNSA_11hip_rocprim3tagENSA_11use_defaultESG_EEEEPS6_NSA_18transform_iteratorI7is_evenItENSC_INSA_10device_ptrItEEEESG_SG_EENS0_5tupleIJPtSJ_EEENSR_IJSJ_SJ_EEES6_PlJS6_EEE10hipError_tPvRmT3_T4_T5_T6_T7_T9_mT8_P12ihipStream_tbDpT10_ENKUlT_T0_E_clISt17integral_constantIbLb1EES1E_IbLb0EEEEDaS1A_S1B_EUlS1A_E_NS1_11comp_targetILNS1_3genE2ELNS1_11target_archE906ELNS1_3gpuE6ELNS1_3repE0EEENS1_30default_config_static_selectorELNS0_4arch9wavefront6targetE1EEEvT1_: ; @_ZN7rocprim17ROCPRIM_400000_NS6detail17trampoline_kernelINS0_14default_configENS1_25partition_config_selectorILNS1_17partition_subalgoE2EtNS0_10empty_typeEbEEZZNS1_14partition_implILS5_2ELb0ES3_jN6thrust23THRUST_200600_302600_NS6detail15normal_iteratorINSA_7pointerItNSA_11hip_rocprim3tagENSA_11use_defaultESG_EEEEPS6_NSA_18transform_iteratorI7is_evenItENSC_INSA_10device_ptrItEEEESG_SG_EENS0_5tupleIJPtSJ_EEENSR_IJSJ_SJ_EEES6_PlJS6_EEE10hipError_tPvRmT3_T4_T5_T6_T7_T9_mT8_P12ihipStream_tbDpT10_ENKUlT_T0_E_clISt17integral_constantIbLb1EES1E_IbLb0EEEEDaS1A_S1B_EUlS1A_E_NS1_11comp_targetILNS1_3genE2ELNS1_11target_archE906ELNS1_3gpuE6ELNS1_3repE0EEENS1_30default_config_static_selectorELNS0_4arch9wavefront6targetE1EEEvT1_
; %bb.0:
	.section	.rodata,"a",@progbits
	.p2align	6, 0x0
	.amdhsa_kernel _ZN7rocprim17ROCPRIM_400000_NS6detail17trampoline_kernelINS0_14default_configENS1_25partition_config_selectorILNS1_17partition_subalgoE2EtNS0_10empty_typeEbEEZZNS1_14partition_implILS5_2ELb0ES3_jN6thrust23THRUST_200600_302600_NS6detail15normal_iteratorINSA_7pointerItNSA_11hip_rocprim3tagENSA_11use_defaultESG_EEEEPS6_NSA_18transform_iteratorI7is_evenItENSC_INSA_10device_ptrItEEEESG_SG_EENS0_5tupleIJPtSJ_EEENSR_IJSJ_SJ_EEES6_PlJS6_EEE10hipError_tPvRmT3_T4_T5_T6_T7_T9_mT8_P12ihipStream_tbDpT10_ENKUlT_T0_E_clISt17integral_constantIbLb1EES1E_IbLb0EEEEDaS1A_S1B_EUlS1A_E_NS1_11comp_targetILNS1_3genE2ELNS1_11target_archE906ELNS1_3gpuE6ELNS1_3repE0EEENS1_30default_config_static_selectorELNS0_4arch9wavefront6targetE1EEEvT1_
		.amdhsa_group_segment_fixed_size 0
		.amdhsa_private_segment_fixed_size 0
		.amdhsa_kernarg_size 128
		.amdhsa_user_sgpr_count 6
		.amdhsa_user_sgpr_private_segment_buffer 1
		.amdhsa_user_sgpr_dispatch_ptr 0
		.amdhsa_user_sgpr_queue_ptr 0
		.amdhsa_user_sgpr_kernarg_segment_ptr 1
		.amdhsa_user_sgpr_dispatch_id 0
		.amdhsa_user_sgpr_flat_scratch_init 0
		.amdhsa_user_sgpr_kernarg_preload_length 0
		.amdhsa_user_sgpr_kernarg_preload_offset 0
		.amdhsa_user_sgpr_private_segment_size 0
		.amdhsa_uses_dynamic_stack 0
		.amdhsa_system_sgpr_private_segment_wavefront_offset 0
		.amdhsa_system_sgpr_workgroup_id_x 1
		.amdhsa_system_sgpr_workgroup_id_y 0
		.amdhsa_system_sgpr_workgroup_id_z 0
		.amdhsa_system_sgpr_workgroup_info 0
		.amdhsa_system_vgpr_workitem_id 0
		.amdhsa_next_free_vgpr 1
		.amdhsa_next_free_sgpr 0
		.amdhsa_accum_offset 4
		.amdhsa_reserve_vcc 0
		.amdhsa_reserve_flat_scratch 0
		.amdhsa_float_round_mode_32 0
		.amdhsa_float_round_mode_16_64 0
		.amdhsa_float_denorm_mode_32 3
		.amdhsa_float_denorm_mode_16_64 3
		.amdhsa_dx10_clamp 1
		.amdhsa_ieee_mode 1
		.amdhsa_fp16_overflow 0
		.amdhsa_tg_split 0
		.amdhsa_exception_fp_ieee_invalid_op 0
		.amdhsa_exception_fp_denorm_src 0
		.amdhsa_exception_fp_ieee_div_zero 0
		.amdhsa_exception_fp_ieee_overflow 0
		.amdhsa_exception_fp_ieee_underflow 0
		.amdhsa_exception_fp_ieee_inexact 0
		.amdhsa_exception_int_div_zero 0
	.end_amdhsa_kernel
	.section	.text._ZN7rocprim17ROCPRIM_400000_NS6detail17trampoline_kernelINS0_14default_configENS1_25partition_config_selectorILNS1_17partition_subalgoE2EtNS0_10empty_typeEbEEZZNS1_14partition_implILS5_2ELb0ES3_jN6thrust23THRUST_200600_302600_NS6detail15normal_iteratorINSA_7pointerItNSA_11hip_rocprim3tagENSA_11use_defaultESG_EEEEPS6_NSA_18transform_iteratorI7is_evenItENSC_INSA_10device_ptrItEEEESG_SG_EENS0_5tupleIJPtSJ_EEENSR_IJSJ_SJ_EEES6_PlJS6_EEE10hipError_tPvRmT3_T4_T5_T6_T7_T9_mT8_P12ihipStream_tbDpT10_ENKUlT_T0_E_clISt17integral_constantIbLb1EES1E_IbLb0EEEEDaS1A_S1B_EUlS1A_E_NS1_11comp_targetILNS1_3genE2ELNS1_11target_archE906ELNS1_3gpuE6ELNS1_3repE0EEENS1_30default_config_static_selectorELNS0_4arch9wavefront6targetE1EEEvT1_,"axG",@progbits,_ZN7rocprim17ROCPRIM_400000_NS6detail17trampoline_kernelINS0_14default_configENS1_25partition_config_selectorILNS1_17partition_subalgoE2EtNS0_10empty_typeEbEEZZNS1_14partition_implILS5_2ELb0ES3_jN6thrust23THRUST_200600_302600_NS6detail15normal_iteratorINSA_7pointerItNSA_11hip_rocprim3tagENSA_11use_defaultESG_EEEEPS6_NSA_18transform_iteratorI7is_evenItENSC_INSA_10device_ptrItEEEESG_SG_EENS0_5tupleIJPtSJ_EEENSR_IJSJ_SJ_EEES6_PlJS6_EEE10hipError_tPvRmT3_T4_T5_T6_T7_T9_mT8_P12ihipStream_tbDpT10_ENKUlT_T0_E_clISt17integral_constantIbLb1EES1E_IbLb0EEEEDaS1A_S1B_EUlS1A_E_NS1_11comp_targetILNS1_3genE2ELNS1_11target_archE906ELNS1_3gpuE6ELNS1_3repE0EEENS1_30default_config_static_selectorELNS0_4arch9wavefront6targetE1EEEvT1_,comdat
.Lfunc_end2090:
	.size	_ZN7rocprim17ROCPRIM_400000_NS6detail17trampoline_kernelINS0_14default_configENS1_25partition_config_selectorILNS1_17partition_subalgoE2EtNS0_10empty_typeEbEEZZNS1_14partition_implILS5_2ELb0ES3_jN6thrust23THRUST_200600_302600_NS6detail15normal_iteratorINSA_7pointerItNSA_11hip_rocprim3tagENSA_11use_defaultESG_EEEEPS6_NSA_18transform_iteratorI7is_evenItENSC_INSA_10device_ptrItEEEESG_SG_EENS0_5tupleIJPtSJ_EEENSR_IJSJ_SJ_EEES6_PlJS6_EEE10hipError_tPvRmT3_T4_T5_T6_T7_T9_mT8_P12ihipStream_tbDpT10_ENKUlT_T0_E_clISt17integral_constantIbLb1EES1E_IbLb0EEEEDaS1A_S1B_EUlS1A_E_NS1_11comp_targetILNS1_3genE2ELNS1_11target_archE906ELNS1_3gpuE6ELNS1_3repE0EEENS1_30default_config_static_selectorELNS0_4arch9wavefront6targetE1EEEvT1_, .Lfunc_end2090-_ZN7rocprim17ROCPRIM_400000_NS6detail17trampoline_kernelINS0_14default_configENS1_25partition_config_selectorILNS1_17partition_subalgoE2EtNS0_10empty_typeEbEEZZNS1_14partition_implILS5_2ELb0ES3_jN6thrust23THRUST_200600_302600_NS6detail15normal_iteratorINSA_7pointerItNSA_11hip_rocprim3tagENSA_11use_defaultESG_EEEEPS6_NSA_18transform_iteratorI7is_evenItENSC_INSA_10device_ptrItEEEESG_SG_EENS0_5tupleIJPtSJ_EEENSR_IJSJ_SJ_EEES6_PlJS6_EEE10hipError_tPvRmT3_T4_T5_T6_T7_T9_mT8_P12ihipStream_tbDpT10_ENKUlT_T0_E_clISt17integral_constantIbLb1EES1E_IbLb0EEEEDaS1A_S1B_EUlS1A_E_NS1_11comp_targetILNS1_3genE2ELNS1_11target_archE906ELNS1_3gpuE6ELNS1_3repE0EEENS1_30default_config_static_selectorELNS0_4arch9wavefront6targetE1EEEvT1_
                                        ; -- End function
	.section	.AMDGPU.csdata,"",@progbits
; Kernel info:
; codeLenInByte = 0
; NumSgprs: 4
; NumVgprs: 0
; NumAgprs: 0
; TotalNumVgprs: 0
; ScratchSize: 0
; MemoryBound: 0
; FloatMode: 240
; IeeeMode: 1
; LDSByteSize: 0 bytes/workgroup (compile time only)
; SGPRBlocks: 0
; VGPRBlocks: 0
; NumSGPRsForWavesPerEU: 4
; NumVGPRsForWavesPerEU: 1
; AccumOffset: 4
; Occupancy: 8
; WaveLimiterHint : 0
; COMPUTE_PGM_RSRC2:SCRATCH_EN: 0
; COMPUTE_PGM_RSRC2:USER_SGPR: 6
; COMPUTE_PGM_RSRC2:TRAP_HANDLER: 0
; COMPUTE_PGM_RSRC2:TGID_X_EN: 1
; COMPUTE_PGM_RSRC2:TGID_Y_EN: 0
; COMPUTE_PGM_RSRC2:TGID_Z_EN: 0
; COMPUTE_PGM_RSRC2:TIDIG_COMP_CNT: 0
; COMPUTE_PGM_RSRC3_GFX90A:ACCUM_OFFSET: 0
; COMPUTE_PGM_RSRC3_GFX90A:TG_SPLIT: 0
	.section	.text._ZN7rocprim17ROCPRIM_400000_NS6detail17trampoline_kernelINS0_14default_configENS1_25partition_config_selectorILNS1_17partition_subalgoE2EtNS0_10empty_typeEbEEZZNS1_14partition_implILS5_2ELb0ES3_jN6thrust23THRUST_200600_302600_NS6detail15normal_iteratorINSA_7pointerItNSA_11hip_rocprim3tagENSA_11use_defaultESG_EEEEPS6_NSA_18transform_iteratorI7is_evenItENSC_INSA_10device_ptrItEEEESG_SG_EENS0_5tupleIJPtSJ_EEENSR_IJSJ_SJ_EEES6_PlJS6_EEE10hipError_tPvRmT3_T4_T5_T6_T7_T9_mT8_P12ihipStream_tbDpT10_ENKUlT_T0_E_clISt17integral_constantIbLb1EES1E_IbLb0EEEEDaS1A_S1B_EUlS1A_E_NS1_11comp_targetILNS1_3genE10ELNS1_11target_archE1200ELNS1_3gpuE4ELNS1_3repE0EEENS1_30default_config_static_selectorELNS0_4arch9wavefront6targetE1EEEvT1_,"axG",@progbits,_ZN7rocprim17ROCPRIM_400000_NS6detail17trampoline_kernelINS0_14default_configENS1_25partition_config_selectorILNS1_17partition_subalgoE2EtNS0_10empty_typeEbEEZZNS1_14partition_implILS5_2ELb0ES3_jN6thrust23THRUST_200600_302600_NS6detail15normal_iteratorINSA_7pointerItNSA_11hip_rocprim3tagENSA_11use_defaultESG_EEEEPS6_NSA_18transform_iteratorI7is_evenItENSC_INSA_10device_ptrItEEEESG_SG_EENS0_5tupleIJPtSJ_EEENSR_IJSJ_SJ_EEES6_PlJS6_EEE10hipError_tPvRmT3_T4_T5_T6_T7_T9_mT8_P12ihipStream_tbDpT10_ENKUlT_T0_E_clISt17integral_constantIbLb1EES1E_IbLb0EEEEDaS1A_S1B_EUlS1A_E_NS1_11comp_targetILNS1_3genE10ELNS1_11target_archE1200ELNS1_3gpuE4ELNS1_3repE0EEENS1_30default_config_static_selectorELNS0_4arch9wavefront6targetE1EEEvT1_,comdat
	.protected	_ZN7rocprim17ROCPRIM_400000_NS6detail17trampoline_kernelINS0_14default_configENS1_25partition_config_selectorILNS1_17partition_subalgoE2EtNS0_10empty_typeEbEEZZNS1_14partition_implILS5_2ELb0ES3_jN6thrust23THRUST_200600_302600_NS6detail15normal_iteratorINSA_7pointerItNSA_11hip_rocprim3tagENSA_11use_defaultESG_EEEEPS6_NSA_18transform_iteratorI7is_evenItENSC_INSA_10device_ptrItEEEESG_SG_EENS0_5tupleIJPtSJ_EEENSR_IJSJ_SJ_EEES6_PlJS6_EEE10hipError_tPvRmT3_T4_T5_T6_T7_T9_mT8_P12ihipStream_tbDpT10_ENKUlT_T0_E_clISt17integral_constantIbLb1EES1E_IbLb0EEEEDaS1A_S1B_EUlS1A_E_NS1_11comp_targetILNS1_3genE10ELNS1_11target_archE1200ELNS1_3gpuE4ELNS1_3repE0EEENS1_30default_config_static_selectorELNS0_4arch9wavefront6targetE1EEEvT1_ ; -- Begin function _ZN7rocprim17ROCPRIM_400000_NS6detail17trampoline_kernelINS0_14default_configENS1_25partition_config_selectorILNS1_17partition_subalgoE2EtNS0_10empty_typeEbEEZZNS1_14partition_implILS5_2ELb0ES3_jN6thrust23THRUST_200600_302600_NS6detail15normal_iteratorINSA_7pointerItNSA_11hip_rocprim3tagENSA_11use_defaultESG_EEEEPS6_NSA_18transform_iteratorI7is_evenItENSC_INSA_10device_ptrItEEEESG_SG_EENS0_5tupleIJPtSJ_EEENSR_IJSJ_SJ_EEES6_PlJS6_EEE10hipError_tPvRmT3_T4_T5_T6_T7_T9_mT8_P12ihipStream_tbDpT10_ENKUlT_T0_E_clISt17integral_constantIbLb1EES1E_IbLb0EEEEDaS1A_S1B_EUlS1A_E_NS1_11comp_targetILNS1_3genE10ELNS1_11target_archE1200ELNS1_3gpuE4ELNS1_3repE0EEENS1_30default_config_static_selectorELNS0_4arch9wavefront6targetE1EEEvT1_
	.globl	_ZN7rocprim17ROCPRIM_400000_NS6detail17trampoline_kernelINS0_14default_configENS1_25partition_config_selectorILNS1_17partition_subalgoE2EtNS0_10empty_typeEbEEZZNS1_14partition_implILS5_2ELb0ES3_jN6thrust23THRUST_200600_302600_NS6detail15normal_iteratorINSA_7pointerItNSA_11hip_rocprim3tagENSA_11use_defaultESG_EEEEPS6_NSA_18transform_iteratorI7is_evenItENSC_INSA_10device_ptrItEEEESG_SG_EENS0_5tupleIJPtSJ_EEENSR_IJSJ_SJ_EEES6_PlJS6_EEE10hipError_tPvRmT3_T4_T5_T6_T7_T9_mT8_P12ihipStream_tbDpT10_ENKUlT_T0_E_clISt17integral_constantIbLb1EES1E_IbLb0EEEEDaS1A_S1B_EUlS1A_E_NS1_11comp_targetILNS1_3genE10ELNS1_11target_archE1200ELNS1_3gpuE4ELNS1_3repE0EEENS1_30default_config_static_selectorELNS0_4arch9wavefront6targetE1EEEvT1_
	.p2align	8
	.type	_ZN7rocprim17ROCPRIM_400000_NS6detail17trampoline_kernelINS0_14default_configENS1_25partition_config_selectorILNS1_17partition_subalgoE2EtNS0_10empty_typeEbEEZZNS1_14partition_implILS5_2ELb0ES3_jN6thrust23THRUST_200600_302600_NS6detail15normal_iteratorINSA_7pointerItNSA_11hip_rocprim3tagENSA_11use_defaultESG_EEEEPS6_NSA_18transform_iteratorI7is_evenItENSC_INSA_10device_ptrItEEEESG_SG_EENS0_5tupleIJPtSJ_EEENSR_IJSJ_SJ_EEES6_PlJS6_EEE10hipError_tPvRmT3_T4_T5_T6_T7_T9_mT8_P12ihipStream_tbDpT10_ENKUlT_T0_E_clISt17integral_constantIbLb1EES1E_IbLb0EEEEDaS1A_S1B_EUlS1A_E_NS1_11comp_targetILNS1_3genE10ELNS1_11target_archE1200ELNS1_3gpuE4ELNS1_3repE0EEENS1_30default_config_static_selectorELNS0_4arch9wavefront6targetE1EEEvT1_,@function
_ZN7rocprim17ROCPRIM_400000_NS6detail17trampoline_kernelINS0_14default_configENS1_25partition_config_selectorILNS1_17partition_subalgoE2EtNS0_10empty_typeEbEEZZNS1_14partition_implILS5_2ELb0ES3_jN6thrust23THRUST_200600_302600_NS6detail15normal_iteratorINSA_7pointerItNSA_11hip_rocprim3tagENSA_11use_defaultESG_EEEEPS6_NSA_18transform_iteratorI7is_evenItENSC_INSA_10device_ptrItEEEESG_SG_EENS0_5tupleIJPtSJ_EEENSR_IJSJ_SJ_EEES6_PlJS6_EEE10hipError_tPvRmT3_T4_T5_T6_T7_T9_mT8_P12ihipStream_tbDpT10_ENKUlT_T0_E_clISt17integral_constantIbLb1EES1E_IbLb0EEEEDaS1A_S1B_EUlS1A_E_NS1_11comp_targetILNS1_3genE10ELNS1_11target_archE1200ELNS1_3gpuE4ELNS1_3repE0EEENS1_30default_config_static_selectorELNS0_4arch9wavefront6targetE1EEEvT1_: ; @_ZN7rocprim17ROCPRIM_400000_NS6detail17trampoline_kernelINS0_14default_configENS1_25partition_config_selectorILNS1_17partition_subalgoE2EtNS0_10empty_typeEbEEZZNS1_14partition_implILS5_2ELb0ES3_jN6thrust23THRUST_200600_302600_NS6detail15normal_iteratorINSA_7pointerItNSA_11hip_rocprim3tagENSA_11use_defaultESG_EEEEPS6_NSA_18transform_iteratorI7is_evenItENSC_INSA_10device_ptrItEEEESG_SG_EENS0_5tupleIJPtSJ_EEENSR_IJSJ_SJ_EEES6_PlJS6_EEE10hipError_tPvRmT3_T4_T5_T6_T7_T9_mT8_P12ihipStream_tbDpT10_ENKUlT_T0_E_clISt17integral_constantIbLb1EES1E_IbLb0EEEEDaS1A_S1B_EUlS1A_E_NS1_11comp_targetILNS1_3genE10ELNS1_11target_archE1200ELNS1_3gpuE4ELNS1_3repE0EEENS1_30default_config_static_selectorELNS0_4arch9wavefront6targetE1EEEvT1_
; %bb.0:
	.section	.rodata,"a",@progbits
	.p2align	6, 0x0
	.amdhsa_kernel _ZN7rocprim17ROCPRIM_400000_NS6detail17trampoline_kernelINS0_14default_configENS1_25partition_config_selectorILNS1_17partition_subalgoE2EtNS0_10empty_typeEbEEZZNS1_14partition_implILS5_2ELb0ES3_jN6thrust23THRUST_200600_302600_NS6detail15normal_iteratorINSA_7pointerItNSA_11hip_rocprim3tagENSA_11use_defaultESG_EEEEPS6_NSA_18transform_iteratorI7is_evenItENSC_INSA_10device_ptrItEEEESG_SG_EENS0_5tupleIJPtSJ_EEENSR_IJSJ_SJ_EEES6_PlJS6_EEE10hipError_tPvRmT3_T4_T5_T6_T7_T9_mT8_P12ihipStream_tbDpT10_ENKUlT_T0_E_clISt17integral_constantIbLb1EES1E_IbLb0EEEEDaS1A_S1B_EUlS1A_E_NS1_11comp_targetILNS1_3genE10ELNS1_11target_archE1200ELNS1_3gpuE4ELNS1_3repE0EEENS1_30default_config_static_selectorELNS0_4arch9wavefront6targetE1EEEvT1_
		.amdhsa_group_segment_fixed_size 0
		.amdhsa_private_segment_fixed_size 0
		.amdhsa_kernarg_size 128
		.amdhsa_user_sgpr_count 6
		.amdhsa_user_sgpr_private_segment_buffer 1
		.amdhsa_user_sgpr_dispatch_ptr 0
		.amdhsa_user_sgpr_queue_ptr 0
		.amdhsa_user_sgpr_kernarg_segment_ptr 1
		.amdhsa_user_sgpr_dispatch_id 0
		.amdhsa_user_sgpr_flat_scratch_init 0
		.amdhsa_user_sgpr_kernarg_preload_length 0
		.amdhsa_user_sgpr_kernarg_preload_offset 0
		.amdhsa_user_sgpr_private_segment_size 0
		.amdhsa_uses_dynamic_stack 0
		.amdhsa_system_sgpr_private_segment_wavefront_offset 0
		.amdhsa_system_sgpr_workgroup_id_x 1
		.amdhsa_system_sgpr_workgroup_id_y 0
		.amdhsa_system_sgpr_workgroup_id_z 0
		.amdhsa_system_sgpr_workgroup_info 0
		.amdhsa_system_vgpr_workitem_id 0
		.amdhsa_next_free_vgpr 1
		.amdhsa_next_free_sgpr 0
		.amdhsa_accum_offset 4
		.amdhsa_reserve_vcc 0
		.amdhsa_reserve_flat_scratch 0
		.amdhsa_float_round_mode_32 0
		.amdhsa_float_round_mode_16_64 0
		.amdhsa_float_denorm_mode_32 3
		.amdhsa_float_denorm_mode_16_64 3
		.amdhsa_dx10_clamp 1
		.amdhsa_ieee_mode 1
		.amdhsa_fp16_overflow 0
		.amdhsa_tg_split 0
		.amdhsa_exception_fp_ieee_invalid_op 0
		.amdhsa_exception_fp_denorm_src 0
		.amdhsa_exception_fp_ieee_div_zero 0
		.amdhsa_exception_fp_ieee_overflow 0
		.amdhsa_exception_fp_ieee_underflow 0
		.amdhsa_exception_fp_ieee_inexact 0
		.amdhsa_exception_int_div_zero 0
	.end_amdhsa_kernel
	.section	.text._ZN7rocprim17ROCPRIM_400000_NS6detail17trampoline_kernelINS0_14default_configENS1_25partition_config_selectorILNS1_17partition_subalgoE2EtNS0_10empty_typeEbEEZZNS1_14partition_implILS5_2ELb0ES3_jN6thrust23THRUST_200600_302600_NS6detail15normal_iteratorINSA_7pointerItNSA_11hip_rocprim3tagENSA_11use_defaultESG_EEEEPS6_NSA_18transform_iteratorI7is_evenItENSC_INSA_10device_ptrItEEEESG_SG_EENS0_5tupleIJPtSJ_EEENSR_IJSJ_SJ_EEES6_PlJS6_EEE10hipError_tPvRmT3_T4_T5_T6_T7_T9_mT8_P12ihipStream_tbDpT10_ENKUlT_T0_E_clISt17integral_constantIbLb1EES1E_IbLb0EEEEDaS1A_S1B_EUlS1A_E_NS1_11comp_targetILNS1_3genE10ELNS1_11target_archE1200ELNS1_3gpuE4ELNS1_3repE0EEENS1_30default_config_static_selectorELNS0_4arch9wavefront6targetE1EEEvT1_,"axG",@progbits,_ZN7rocprim17ROCPRIM_400000_NS6detail17trampoline_kernelINS0_14default_configENS1_25partition_config_selectorILNS1_17partition_subalgoE2EtNS0_10empty_typeEbEEZZNS1_14partition_implILS5_2ELb0ES3_jN6thrust23THRUST_200600_302600_NS6detail15normal_iteratorINSA_7pointerItNSA_11hip_rocprim3tagENSA_11use_defaultESG_EEEEPS6_NSA_18transform_iteratorI7is_evenItENSC_INSA_10device_ptrItEEEESG_SG_EENS0_5tupleIJPtSJ_EEENSR_IJSJ_SJ_EEES6_PlJS6_EEE10hipError_tPvRmT3_T4_T5_T6_T7_T9_mT8_P12ihipStream_tbDpT10_ENKUlT_T0_E_clISt17integral_constantIbLb1EES1E_IbLb0EEEEDaS1A_S1B_EUlS1A_E_NS1_11comp_targetILNS1_3genE10ELNS1_11target_archE1200ELNS1_3gpuE4ELNS1_3repE0EEENS1_30default_config_static_selectorELNS0_4arch9wavefront6targetE1EEEvT1_,comdat
.Lfunc_end2091:
	.size	_ZN7rocprim17ROCPRIM_400000_NS6detail17trampoline_kernelINS0_14default_configENS1_25partition_config_selectorILNS1_17partition_subalgoE2EtNS0_10empty_typeEbEEZZNS1_14partition_implILS5_2ELb0ES3_jN6thrust23THRUST_200600_302600_NS6detail15normal_iteratorINSA_7pointerItNSA_11hip_rocprim3tagENSA_11use_defaultESG_EEEEPS6_NSA_18transform_iteratorI7is_evenItENSC_INSA_10device_ptrItEEEESG_SG_EENS0_5tupleIJPtSJ_EEENSR_IJSJ_SJ_EEES6_PlJS6_EEE10hipError_tPvRmT3_T4_T5_T6_T7_T9_mT8_P12ihipStream_tbDpT10_ENKUlT_T0_E_clISt17integral_constantIbLb1EES1E_IbLb0EEEEDaS1A_S1B_EUlS1A_E_NS1_11comp_targetILNS1_3genE10ELNS1_11target_archE1200ELNS1_3gpuE4ELNS1_3repE0EEENS1_30default_config_static_selectorELNS0_4arch9wavefront6targetE1EEEvT1_, .Lfunc_end2091-_ZN7rocprim17ROCPRIM_400000_NS6detail17trampoline_kernelINS0_14default_configENS1_25partition_config_selectorILNS1_17partition_subalgoE2EtNS0_10empty_typeEbEEZZNS1_14partition_implILS5_2ELb0ES3_jN6thrust23THRUST_200600_302600_NS6detail15normal_iteratorINSA_7pointerItNSA_11hip_rocprim3tagENSA_11use_defaultESG_EEEEPS6_NSA_18transform_iteratorI7is_evenItENSC_INSA_10device_ptrItEEEESG_SG_EENS0_5tupleIJPtSJ_EEENSR_IJSJ_SJ_EEES6_PlJS6_EEE10hipError_tPvRmT3_T4_T5_T6_T7_T9_mT8_P12ihipStream_tbDpT10_ENKUlT_T0_E_clISt17integral_constantIbLb1EES1E_IbLb0EEEEDaS1A_S1B_EUlS1A_E_NS1_11comp_targetILNS1_3genE10ELNS1_11target_archE1200ELNS1_3gpuE4ELNS1_3repE0EEENS1_30default_config_static_selectorELNS0_4arch9wavefront6targetE1EEEvT1_
                                        ; -- End function
	.section	.AMDGPU.csdata,"",@progbits
; Kernel info:
; codeLenInByte = 0
; NumSgprs: 4
; NumVgprs: 0
; NumAgprs: 0
; TotalNumVgprs: 0
; ScratchSize: 0
; MemoryBound: 0
; FloatMode: 240
; IeeeMode: 1
; LDSByteSize: 0 bytes/workgroup (compile time only)
; SGPRBlocks: 0
; VGPRBlocks: 0
; NumSGPRsForWavesPerEU: 4
; NumVGPRsForWavesPerEU: 1
; AccumOffset: 4
; Occupancy: 8
; WaveLimiterHint : 0
; COMPUTE_PGM_RSRC2:SCRATCH_EN: 0
; COMPUTE_PGM_RSRC2:USER_SGPR: 6
; COMPUTE_PGM_RSRC2:TRAP_HANDLER: 0
; COMPUTE_PGM_RSRC2:TGID_X_EN: 1
; COMPUTE_PGM_RSRC2:TGID_Y_EN: 0
; COMPUTE_PGM_RSRC2:TGID_Z_EN: 0
; COMPUTE_PGM_RSRC2:TIDIG_COMP_CNT: 0
; COMPUTE_PGM_RSRC3_GFX90A:ACCUM_OFFSET: 0
; COMPUTE_PGM_RSRC3_GFX90A:TG_SPLIT: 0
	.section	.text._ZN7rocprim17ROCPRIM_400000_NS6detail17trampoline_kernelINS0_14default_configENS1_25partition_config_selectorILNS1_17partition_subalgoE2EtNS0_10empty_typeEbEEZZNS1_14partition_implILS5_2ELb0ES3_jN6thrust23THRUST_200600_302600_NS6detail15normal_iteratorINSA_7pointerItNSA_11hip_rocprim3tagENSA_11use_defaultESG_EEEEPS6_NSA_18transform_iteratorI7is_evenItENSC_INSA_10device_ptrItEEEESG_SG_EENS0_5tupleIJPtSJ_EEENSR_IJSJ_SJ_EEES6_PlJS6_EEE10hipError_tPvRmT3_T4_T5_T6_T7_T9_mT8_P12ihipStream_tbDpT10_ENKUlT_T0_E_clISt17integral_constantIbLb1EES1E_IbLb0EEEEDaS1A_S1B_EUlS1A_E_NS1_11comp_targetILNS1_3genE9ELNS1_11target_archE1100ELNS1_3gpuE3ELNS1_3repE0EEENS1_30default_config_static_selectorELNS0_4arch9wavefront6targetE1EEEvT1_,"axG",@progbits,_ZN7rocprim17ROCPRIM_400000_NS6detail17trampoline_kernelINS0_14default_configENS1_25partition_config_selectorILNS1_17partition_subalgoE2EtNS0_10empty_typeEbEEZZNS1_14partition_implILS5_2ELb0ES3_jN6thrust23THRUST_200600_302600_NS6detail15normal_iteratorINSA_7pointerItNSA_11hip_rocprim3tagENSA_11use_defaultESG_EEEEPS6_NSA_18transform_iteratorI7is_evenItENSC_INSA_10device_ptrItEEEESG_SG_EENS0_5tupleIJPtSJ_EEENSR_IJSJ_SJ_EEES6_PlJS6_EEE10hipError_tPvRmT3_T4_T5_T6_T7_T9_mT8_P12ihipStream_tbDpT10_ENKUlT_T0_E_clISt17integral_constantIbLb1EES1E_IbLb0EEEEDaS1A_S1B_EUlS1A_E_NS1_11comp_targetILNS1_3genE9ELNS1_11target_archE1100ELNS1_3gpuE3ELNS1_3repE0EEENS1_30default_config_static_selectorELNS0_4arch9wavefront6targetE1EEEvT1_,comdat
	.protected	_ZN7rocprim17ROCPRIM_400000_NS6detail17trampoline_kernelINS0_14default_configENS1_25partition_config_selectorILNS1_17partition_subalgoE2EtNS0_10empty_typeEbEEZZNS1_14partition_implILS5_2ELb0ES3_jN6thrust23THRUST_200600_302600_NS6detail15normal_iteratorINSA_7pointerItNSA_11hip_rocprim3tagENSA_11use_defaultESG_EEEEPS6_NSA_18transform_iteratorI7is_evenItENSC_INSA_10device_ptrItEEEESG_SG_EENS0_5tupleIJPtSJ_EEENSR_IJSJ_SJ_EEES6_PlJS6_EEE10hipError_tPvRmT3_T4_T5_T6_T7_T9_mT8_P12ihipStream_tbDpT10_ENKUlT_T0_E_clISt17integral_constantIbLb1EES1E_IbLb0EEEEDaS1A_S1B_EUlS1A_E_NS1_11comp_targetILNS1_3genE9ELNS1_11target_archE1100ELNS1_3gpuE3ELNS1_3repE0EEENS1_30default_config_static_selectorELNS0_4arch9wavefront6targetE1EEEvT1_ ; -- Begin function _ZN7rocprim17ROCPRIM_400000_NS6detail17trampoline_kernelINS0_14default_configENS1_25partition_config_selectorILNS1_17partition_subalgoE2EtNS0_10empty_typeEbEEZZNS1_14partition_implILS5_2ELb0ES3_jN6thrust23THRUST_200600_302600_NS6detail15normal_iteratorINSA_7pointerItNSA_11hip_rocprim3tagENSA_11use_defaultESG_EEEEPS6_NSA_18transform_iteratorI7is_evenItENSC_INSA_10device_ptrItEEEESG_SG_EENS0_5tupleIJPtSJ_EEENSR_IJSJ_SJ_EEES6_PlJS6_EEE10hipError_tPvRmT3_T4_T5_T6_T7_T9_mT8_P12ihipStream_tbDpT10_ENKUlT_T0_E_clISt17integral_constantIbLb1EES1E_IbLb0EEEEDaS1A_S1B_EUlS1A_E_NS1_11comp_targetILNS1_3genE9ELNS1_11target_archE1100ELNS1_3gpuE3ELNS1_3repE0EEENS1_30default_config_static_selectorELNS0_4arch9wavefront6targetE1EEEvT1_
	.globl	_ZN7rocprim17ROCPRIM_400000_NS6detail17trampoline_kernelINS0_14default_configENS1_25partition_config_selectorILNS1_17partition_subalgoE2EtNS0_10empty_typeEbEEZZNS1_14partition_implILS5_2ELb0ES3_jN6thrust23THRUST_200600_302600_NS6detail15normal_iteratorINSA_7pointerItNSA_11hip_rocprim3tagENSA_11use_defaultESG_EEEEPS6_NSA_18transform_iteratorI7is_evenItENSC_INSA_10device_ptrItEEEESG_SG_EENS0_5tupleIJPtSJ_EEENSR_IJSJ_SJ_EEES6_PlJS6_EEE10hipError_tPvRmT3_T4_T5_T6_T7_T9_mT8_P12ihipStream_tbDpT10_ENKUlT_T0_E_clISt17integral_constantIbLb1EES1E_IbLb0EEEEDaS1A_S1B_EUlS1A_E_NS1_11comp_targetILNS1_3genE9ELNS1_11target_archE1100ELNS1_3gpuE3ELNS1_3repE0EEENS1_30default_config_static_selectorELNS0_4arch9wavefront6targetE1EEEvT1_
	.p2align	8
	.type	_ZN7rocprim17ROCPRIM_400000_NS6detail17trampoline_kernelINS0_14default_configENS1_25partition_config_selectorILNS1_17partition_subalgoE2EtNS0_10empty_typeEbEEZZNS1_14partition_implILS5_2ELb0ES3_jN6thrust23THRUST_200600_302600_NS6detail15normal_iteratorINSA_7pointerItNSA_11hip_rocprim3tagENSA_11use_defaultESG_EEEEPS6_NSA_18transform_iteratorI7is_evenItENSC_INSA_10device_ptrItEEEESG_SG_EENS0_5tupleIJPtSJ_EEENSR_IJSJ_SJ_EEES6_PlJS6_EEE10hipError_tPvRmT3_T4_T5_T6_T7_T9_mT8_P12ihipStream_tbDpT10_ENKUlT_T0_E_clISt17integral_constantIbLb1EES1E_IbLb0EEEEDaS1A_S1B_EUlS1A_E_NS1_11comp_targetILNS1_3genE9ELNS1_11target_archE1100ELNS1_3gpuE3ELNS1_3repE0EEENS1_30default_config_static_selectorELNS0_4arch9wavefront6targetE1EEEvT1_,@function
_ZN7rocprim17ROCPRIM_400000_NS6detail17trampoline_kernelINS0_14default_configENS1_25partition_config_selectorILNS1_17partition_subalgoE2EtNS0_10empty_typeEbEEZZNS1_14partition_implILS5_2ELb0ES3_jN6thrust23THRUST_200600_302600_NS6detail15normal_iteratorINSA_7pointerItNSA_11hip_rocprim3tagENSA_11use_defaultESG_EEEEPS6_NSA_18transform_iteratorI7is_evenItENSC_INSA_10device_ptrItEEEESG_SG_EENS0_5tupleIJPtSJ_EEENSR_IJSJ_SJ_EEES6_PlJS6_EEE10hipError_tPvRmT3_T4_T5_T6_T7_T9_mT8_P12ihipStream_tbDpT10_ENKUlT_T0_E_clISt17integral_constantIbLb1EES1E_IbLb0EEEEDaS1A_S1B_EUlS1A_E_NS1_11comp_targetILNS1_3genE9ELNS1_11target_archE1100ELNS1_3gpuE3ELNS1_3repE0EEENS1_30default_config_static_selectorELNS0_4arch9wavefront6targetE1EEEvT1_: ; @_ZN7rocprim17ROCPRIM_400000_NS6detail17trampoline_kernelINS0_14default_configENS1_25partition_config_selectorILNS1_17partition_subalgoE2EtNS0_10empty_typeEbEEZZNS1_14partition_implILS5_2ELb0ES3_jN6thrust23THRUST_200600_302600_NS6detail15normal_iteratorINSA_7pointerItNSA_11hip_rocprim3tagENSA_11use_defaultESG_EEEEPS6_NSA_18transform_iteratorI7is_evenItENSC_INSA_10device_ptrItEEEESG_SG_EENS0_5tupleIJPtSJ_EEENSR_IJSJ_SJ_EEES6_PlJS6_EEE10hipError_tPvRmT3_T4_T5_T6_T7_T9_mT8_P12ihipStream_tbDpT10_ENKUlT_T0_E_clISt17integral_constantIbLb1EES1E_IbLb0EEEEDaS1A_S1B_EUlS1A_E_NS1_11comp_targetILNS1_3genE9ELNS1_11target_archE1100ELNS1_3gpuE3ELNS1_3repE0EEENS1_30default_config_static_selectorELNS0_4arch9wavefront6targetE1EEEvT1_
; %bb.0:
	.section	.rodata,"a",@progbits
	.p2align	6, 0x0
	.amdhsa_kernel _ZN7rocprim17ROCPRIM_400000_NS6detail17trampoline_kernelINS0_14default_configENS1_25partition_config_selectorILNS1_17partition_subalgoE2EtNS0_10empty_typeEbEEZZNS1_14partition_implILS5_2ELb0ES3_jN6thrust23THRUST_200600_302600_NS6detail15normal_iteratorINSA_7pointerItNSA_11hip_rocprim3tagENSA_11use_defaultESG_EEEEPS6_NSA_18transform_iteratorI7is_evenItENSC_INSA_10device_ptrItEEEESG_SG_EENS0_5tupleIJPtSJ_EEENSR_IJSJ_SJ_EEES6_PlJS6_EEE10hipError_tPvRmT3_T4_T5_T6_T7_T9_mT8_P12ihipStream_tbDpT10_ENKUlT_T0_E_clISt17integral_constantIbLb1EES1E_IbLb0EEEEDaS1A_S1B_EUlS1A_E_NS1_11comp_targetILNS1_3genE9ELNS1_11target_archE1100ELNS1_3gpuE3ELNS1_3repE0EEENS1_30default_config_static_selectorELNS0_4arch9wavefront6targetE1EEEvT1_
		.amdhsa_group_segment_fixed_size 0
		.amdhsa_private_segment_fixed_size 0
		.amdhsa_kernarg_size 128
		.amdhsa_user_sgpr_count 6
		.amdhsa_user_sgpr_private_segment_buffer 1
		.amdhsa_user_sgpr_dispatch_ptr 0
		.amdhsa_user_sgpr_queue_ptr 0
		.amdhsa_user_sgpr_kernarg_segment_ptr 1
		.amdhsa_user_sgpr_dispatch_id 0
		.amdhsa_user_sgpr_flat_scratch_init 0
		.amdhsa_user_sgpr_kernarg_preload_length 0
		.amdhsa_user_sgpr_kernarg_preload_offset 0
		.amdhsa_user_sgpr_private_segment_size 0
		.amdhsa_uses_dynamic_stack 0
		.amdhsa_system_sgpr_private_segment_wavefront_offset 0
		.amdhsa_system_sgpr_workgroup_id_x 1
		.amdhsa_system_sgpr_workgroup_id_y 0
		.amdhsa_system_sgpr_workgroup_id_z 0
		.amdhsa_system_sgpr_workgroup_info 0
		.amdhsa_system_vgpr_workitem_id 0
		.amdhsa_next_free_vgpr 1
		.amdhsa_next_free_sgpr 0
		.amdhsa_accum_offset 4
		.amdhsa_reserve_vcc 0
		.amdhsa_reserve_flat_scratch 0
		.amdhsa_float_round_mode_32 0
		.amdhsa_float_round_mode_16_64 0
		.amdhsa_float_denorm_mode_32 3
		.amdhsa_float_denorm_mode_16_64 3
		.amdhsa_dx10_clamp 1
		.amdhsa_ieee_mode 1
		.amdhsa_fp16_overflow 0
		.amdhsa_tg_split 0
		.amdhsa_exception_fp_ieee_invalid_op 0
		.amdhsa_exception_fp_denorm_src 0
		.amdhsa_exception_fp_ieee_div_zero 0
		.amdhsa_exception_fp_ieee_overflow 0
		.amdhsa_exception_fp_ieee_underflow 0
		.amdhsa_exception_fp_ieee_inexact 0
		.amdhsa_exception_int_div_zero 0
	.end_amdhsa_kernel
	.section	.text._ZN7rocprim17ROCPRIM_400000_NS6detail17trampoline_kernelINS0_14default_configENS1_25partition_config_selectorILNS1_17partition_subalgoE2EtNS0_10empty_typeEbEEZZNS1_14partition_implILS5_2ELb0ES3_jN6thrust23THRUST_200600_302600_NS6detail15normal_iteratorINSA_7pointerItNSA_11hip_rocprim3tagENSA_11use_defaultESG_EEEEPS6_NSA_18transform_iteratorI7is_evenItENSC_INSA_10device_ptrItEEEESG_SG_EENS0_5tupleIJPtSJ_EEENSR_IJSJ_SJ_EEES6_PlJS6_EEE10hipError_tPvRmT3_T4_T5_T6_T7_T9_mT8_P12ihipStream_tbDpT10_ENKUlT_T0_E_clISt17integral_constantIbLb1EES1E_IbLb0EEEEDaS1A_S1B_EUlS1A_E_NS1_11comp_targetILNS1_3genE9ELNS1_11target_archE1100ELNS1_3gpuE3ELNS1_3repE0EEENS1_30default_config_static_selectorELNS0_4arch9wavefront6targetE1EEEvT1_,"axG",@progbits,_ZN7rocprim17ROCPRIM_400000_NS6detail17trampoline_kernelINS0_14default_configENS1_25partition_config_selectorILNS1_17partition_subalgoE2EtNS0_10empty_typeEbEEZZNS1_14partition_implILS5_2ELb0ES3_jN6thrust23THRUST_200600_302600_NS6detail15normal_iteratorINSA_7pointerItNSA_11hip_rocprim3tagENSA_11use_defaultESG_EEEEPS6_NSA_18transform_iteratorI7is_evenItENSC_INSA_10device_ptrItEEEESG_SG_EENS0_5tupleIJPtSJ_EEENSR_IJSJ_SJ_EEES6_PlJS6_EEE10hipError_tPvRmT3_T4_T5_T6_T7_T9_mT8_P12ihipStream_tbDpT10_ENKUlT_T0_E_clISt17integral_constantIbLb1EES1E_IbLb0EEEEDaS1A_S1B_EUlS1A_E_NS1_11comp_targetILNS1_3genE9ELNS1_11target_archE1100ELNS1_3gpuE3ELNS1_3repE0EEENS1_30default_config_static_selectorELNS0_4arch9wavefront6targetE1EEEvT1_,comdat
.Lfunc_end2092:
	.size	_ZN7rocprim17ROCPRIM_400000_NS6detail17trampoline_kernelINS0_14default_configENS1_25partition_config_selectorILNS1_17partition_subalgoE2EtNS0_10empty_typeEbEEZZNS1_14partition_implILS5_2ELb0ES3_jN6thrust23THRUST_200600_302600_NS6detail15normal_iteratorINSA_7pointerItNSA_11hip_rocprim3tagENSA_11use_defaultESG_EEEEPS6_NSA_18transform_iteratorI7is_evenItENSC_INSA_10device_ptrItEEEESG_SG_EENS0_5tupleIJPtSJ_EEENSR_IJSJ_SJ_EEES6_PlJS6_EEE10hipError_tPvRmT3_T4_T5_T6_T7_T9_mT8_P12ihipStream_tbDpT10_ENKUlT_T0_E_clISt17integral_constantIbLb1EES1E_IbLb0EEEEDaS1A_S1B_EUlS1A_E_NS1_11comp_targetILNS1_3genE9ELNS1_11target_archE1100ELNS1_3gpuE3ELNS1_3repE0EEENS1_30default_config_static_selectorELNS0_4arch9wavefront6targetE1EEEvT1_, .Lfunc_end2092-_ZN7rocprim17ROCPRIM_400000_NS6detail17trampoline_kernelINS0_14default_configENS1_25partition_config_selectorILNS1_17partition_subalgoE2EtNS0_10empty_typeEbEEZZNS1_14partition_implILS5_2ELb0ES3_jN6thrust23THRUST_200600_302600_NS6detail15normal_iteratorINSA_7pointerItNSA_11hip_rocprim3tagENSA_11use_defaultESG_EEEEPS6_NSA_18transform_iteratorI7is_evenItENSC_INSA_10device_ptrItEEEESG_SG_EENS0_5tupleIJPtSJ_EEENSR_IJSJ_SJ_EEES6_PlJS6_EEE10hipError_tPvRmT3_T4_T5_T6_T7_T9_mT8_P12ihipStream_tbDpT10_ENKUlT_T0_E_clISt17integral_constantIbLb1EES1E_IbLb0EEEEDaS1A_S1B_EUlS1A_E_NS1_11comp_targetILNS1_3genE9ELNS1_11target_archE1100ELNS1_3gpuE3ELNS1_3repE0EEENS1_30default_config_static_selectorELNS0_4arch9wavefront6targetE1EEEvT1_
                                        ; -- End function
	.section	.AMDGPU.csdata,"",@progbits
; Kernel info:
; codeLenInByte = 0
; NumSgprs: 4
; NumVgprs: 0
; NumAgprs: 0
; TotalNumVgprs: 0
; ScratchSize: 0
; MemoryBound: 0
; FloatMode: 240
; IeeeMode: 1
; LDSByteSize: 0 bytes/workgroup (compile time only)
; SGPRBlocks: 0
; VGPRBlocks: 0
; NumSGPRsForWavesPerEU: 4
; NumVGPRsForWavesPerEU: 1
; AccumOffset: 4
; Occupancy: 8
; WaveLimiterHint : 0
; COMPUTE_PGM_RSRC2:SCRATCH_EN: 0
; COMPUTE_PGM_RSRC2:USER_SGPR: 6
; COMPUTE_PGM_RSRC2:TRAP_HANDLER: 0
; COMPUTE_PGM_RSRC2:TGID_X_EN: 1
; COMPUTE_PGM_RSRC2:TGID_Y_EN: 0
; COMPUTE_PGM_RSRC2:TGID_Z_EN: 0
; COMPUTE_PGM_RSRC2:TIDIG_COMP_CNT: 0
; COMPUTE_PGM_RSRC3_GFX90A:ACCUM_OFFSET: 0
; COMPUTE_PGM_RSRC3_GFX90A:TG_SPLIT: 0
	.section	.text._ZN7rocprim17ROCPRIM_400000_NS6detail17trampoline_kernelINS0_14default_configENS1_25partition_config_selectorILNS1_17partition_subalgoE2EtNS0_10empty_typeEbEEZZNS1_14partition_implILS5_2ELb0ES3_jN6thrust23THRUST_200600_302600_NS6detail15normal_iteratorINSA_7pointerItNSA_11hip_rocprim3tagENSA_11use_defaultESG_EEEEPS6_NSA_18transform_iteratorI7is_evenItENSC_INSA_10device_ptrItEEEESG_SG_EENS0_5tupleIJPtSJ_EEENSR_IJSJ_SJ_EEES6_PlJS6_EEE10hipError_tPvRmT3_T4_T5_T6_T7_T9_mT8_P12ihipStream_tbDpT10_ENKUlT_T0_E_clISt17integral_constantIbLb1EES1E_IbLb0EEEEDaS1A_S1B_EUlS1A_E_NS1_11comp_targetILNS1_3genE8ELNS1_11target_archE1030ELNS1_3gpuE2ELNS1_3repE0EEENS1_30default_config_static_selectorELNS0_4arch9wavefront6targetE1EEEvT1_,"axG",@progbits,_ZN7rocprim17ROCPRIM_400000_NS6detail17trampoline_kernelINS0_14default_configENS1_25partition_config_selectorILNS1_17partition_subalgoE2EtNS0_10empty_typeEbEEZZNS1_14partition_implILS5_2ELb0ES3_jN6thrust23THRUST_200600_302600_NS6detail15normal_iteratorINSA_7pointerItNSA_11hip_rocprim3tagENSA_11use_defaultESG_EEEEPS6_NSA_18transform_iteratorI7is_evenItENSC_INSA_10device_ptrItEEEESG_SG_EENS0_5tupleIJPtSJ_EEENSR_IJSJ_SJ_EEES6_PlJS6_EEE10hipError_tPvRmT3_T4_T5_T6_T7_T9_mT8_P12ihipStream_tbDpT10_ENKUlT_T0_E_clISt17integral_constantIbLb1EES1E_IbLb0EEEEDaS1A_S1B_EUlS1A_E_NS1_11comp_targetILNS1_3genE8ELNS1_11target_archE1030ELNS1_3gpuE2ELNS1_3repE0EEENS1_30default_config_static_selectorELNS0_4arch9wavefront6targetE1EEEvT1_,comdat
	.protected	_ZN7rocprim17ROCPRIM_400000_NS6detail17trampoline_kernelINS0_14default_configENS1_25partition_config_selectorILNS1_17partition_subalgoE2EtNS0_10empty_typeEbEEZZNS1_14partition_implILS5_2ELb0ES3_jN6thrust23THRUST_200600_302600_NS6detail15normal_iteratorINSA_7pointerItNSA_11hip_rocprim3tagENSA_11use_defaultESG_EEEEPS6_NSA_18transform_iteratorI7is_evenItENSC_INSA_10device_ptrItEEEESG_SG_EENS0_5tupleIJPtSJ_EEENSR_IJSJ_SJ_EEES6_PlJS6_EEE10hipError_tPvRmT3_T4_T5_T6_T7_T9_mT8_P12ihipStream_tbDpT10_ENKUlT_T0_E_clISt17integral_constantIbLb1EES1E_IbLb0EEEEDaS1A_S1B_EUlS1A_E_NS1_11comp_targetILNS1_3genE8ELNS1_11target_archE1030ELNS1_3gpuE2ELNS1_3repE0EEENS1_30default_config_static_selectorELNS0_4arch9wavefront6targetE1EEEvT1_ ; -- Begin function _ZN7rocprim17ROCPRIM_400000_NS6detail17trampoline_kernelINS0_14default_configENS1_25partition_config_selectorILNS1_17partition_subalgoE2EtNS0_10empty_typeEbEEZZNS1_14partition_implILS5_2ELb0ES3_jN6thrust23THRUST_200600_302600_NS6detail15normal_iteratorINSA_7pointerItNSA_11hip_rocprim3tagENSA_11use_defaultESG_EEEEPS6_NSA_18transform_iteratorI7is_evenItENSC_INSA_10device_ptrItEEEESG_SG_EENS0_5tupleIJPtSJ_EEENSR_IJSJ_SJ_EEES6_PlJS6_EEE10hipError_tPvRmT3_T4_T5_T6_T7_T9_mT8_P12ihipStream_tbDpT10_ENKUlT_T0_E_clISt17integral_constantIbLb1EES1E_IbLb0EEEEDaS1A_S1B_EUlS1A_E_NS1_11comp_targetILNS1_3genE8ELNS1_11target_archE1030ELNS1_3gpuE2ELNS1_3repE0EEENS1_30default_config_static_selectorELNS0_4arch9wavefront6targetE1EEEvT1_
	.globl	_ZN7rocprim17ROCPRIM_400000_NS6detail17trampoline_kernelINS0_14default_configENS1_25partition_config_selectorILNS1_17partition_subalgoE2EtNS0_10empty_typeEbEEZZNS1_14partition_implILS5_2ELb0ES3_jN6thrust23THRUST_200600_302600_NS6detail15normal_iteratorINSA_7pointerItNSA_11hip_rocprim3tagENSA_11use_defaultESG_EEEEPS6_NSA_18transform_iteratorI7is_evenItENSC_INSA_10device_ptrItEEEESG_SG_EENS0_5tupleIJPtSJ_EEENSR_IJSJ_SJ_EEES6_PlJS6_EEE10hipError_tPvRmT3_T4_T5_T6_T7_T9_mT8_P12ihipStream_tbDpT10_ENKUlT_T0_E_clISt17integral_constantIbLb1EES1E_IbLb0EEEEDaS1A_S1B_EUlS1A_E_NS1_11comp_targetILNS1_3genE8ELNS1_11target_archE1030ELNS1_3gpuE2ELNS1_3repE0EEENS1_30default_config_static_selectorELNS0_4arch9wavefront6targetE1EEEvT1_
	.p2align	8
	.type	_ZN7rocprim17ROCPRIM_400000_NS6detail17trampoline_kernelINS0_14default_configENS1_25partition_config_selectorILNS1_17partition_subalgoE2EtNS0_10empty_typeEbEEZZNS1_14partition_implILS5_2ELb0ES3_jN6thrust23THRUST_200600_302600_NS6detail15normal_iteratorINSA_7pointerItNSA_11hip_rocprim3tagENSA_11use_defaultESG_EEEEPS6_NSA_18transform_iteratorI7is_evenItENSC_INSA_10device_ptrItEEEESG_SG_EENS0_5tupleIJPtSJ_EEENSR_IJSJ_SJ_EEES6_PlJS6_EEE10hipError_tPvRmT3_T4_T5_T6_T7_T9_mT8_P12ihipStream_tbDpT10_ENKUlT_T0_E_clISt17integral_constantIbLb1EES1E_IbLb0EEEEDaS1A_S1B_EUlS1A_E_NS1_11comp_targetILNS1_3genE8ELNS1_11target_archE1030ELNS1_3gpuE2ELNS1_3repE0EEENS1_30default_config_static_selectorELNS0_4arch9wavefront6targetE1EEEvT1_,@function
_ZN7rocprim17ROCPRIM_400000_NS6detail17trampoline_kernelINS0_14default_configENS1_25partition_config_selectorILNS1_17partition_subalgoE2EtNS0_10empty_typeEbEEZZNS1_14partition_implILS5_2ELb0ES3_jN6thrust23THRUST_200600_302600_NS6detail15normal_iteratorINSA_7pointerItNSA_11hip_rocprim3tagENSA_11use_defaultESG_EEEEPS6_NSA_18transform_iteratorI7is_evenItENSC_INSA_10device_ptrItEEEESG_SG_EENS0_5tupleIJPtSJ_EEENSR_IJSJ_SJ_EEES6_PlJS6_EEE10hipError_tPvRmT3_T4_T5_T6_T7_T9_mT8_P12ihipStream_tbDpT10_ENKUlT_T0_E_clISt17integral_constantIbLb1EES1E_IbLb0EEEEDaS1A_S1B_EUlS1A_E_NS1_11comp_targetILNS1_3genE8ELNS1_11target_archE1030ELNS1_3gpuE2ELNS1_3repE0EEENS1_30default_config_static_selectorELNS0_4arch9wavefront6targetE1EEEvT1_: ; @_ZN7rocprim17ROCPRIM_400000_NS6detail17trampoline_kernelINS0_14default_configENS1_25partition_config_selectorILNS1_17partition_subalgoE2EtNS0_10empty_typeEbEEZZNS1_14partition_implILS5_2ELb0ES3_jN6thrust23THRUST_200600_302600_NS6detail15normal_iteratorINSA_7pointerItNSA_11hip_rocprim3tagENSA_11use_defaultESG_EEEEPS6_NSA_18transform_iteratorI7is_evenItENSC_INSA_10device_ptrItEEEESG_SG_EENS0_5tupleIJPtSJ_EEENSR_IJSJ_SJ_EEES6_PlJS6_EEE10hipError_tPvRmT3_T4_T5_T6_T7_T9_mT8_P12ihipStream_tbDpT10_ENKUlT_T0_E_clISt17integral_constantIbLb1EES1E_IbLb0EEEEDaS1A_S1B_EUlS1A_E_NS1_11comp_targetILNS1_3genE8ELNS1_11target_archE1030ELNS1_3gpuE2ELNS1_3repE0EEENS1_30default_config_static_selectorELNS0_4arch9wavefront6targetE1EEEvT1_
; %bb.0:
	.section	.rodata,"a",@progbits
	.p2align	6, 0x0
	.amdhsa_kernel _ZN7rocprim17ROCPRIM_400000_NS6detail17trampoline_kernelINS0_14default_configENS1_25partition_config_selectorILNS1_17partition_subalgoE2EtNS0_10empty_typeEbEEZZNS1_14partition_implILS5_2ELb0ES3_jN6thrust23THRUST_200600_302600_NS6detail15normal_iteratorINSA_7pointerItNSA_11hip_rocprim3tagENSA_11use_defaultESG_EEEEPS6_NSA_18transform_iteratorI7is_evenItENSC_INSA_10device_ptrItEEEESG_SG_EENS0_5tupleIJPtSJ_EEENSR_IJSJ_SJ_EEES6_PlJS6_EEE10hipError_tPvRmT3_T4_T5_T6_T7_T9_mT8_P12ihipStream_tbDpT10_ENKUlT_T0_E_clISt17integral_constantIbLb1EES1E_IbLb0EEEEDaS1A_S1B_EUlS1A_E_NS1_11comp_targetILNS1_3genE8ELNS1_11target_archE1030ELNS1_3gpuE2ELNS1_3repE0EEENS1_30default_config_static_selectorELNS0_4arch9wavefront6targetE1EEEvT1_
		.amdhsa_group_segment_fixed_size 0
		.amdhsa_private_segment_fixed_size 0
		.amdhsa_kernarg_size 128
		.amdhsa_user_sgpr_count 6
		.amdhsa_user_sgpr_private_segment_buffer 1
		.amdhsa_user_sgpr_dispatch_ptr 0
		.amdhsa_user_sgpr_queue_ptr 0
		.amdhsa_user_sgpr_kernarg_segment_ptr 1
		.amdhsa_user_sgpr_dispatch_id 0
		.amdhsa_user_sgpr_flat_scratch_init 0
		.amdhsa_user_sgpr_kernarg_preload_length 0
		.amdhsa_user_sgpr_kernarg_preload_offset 0
		.amdhsa_user_sgpr_private_segment_size 0
		.amdhsa_uses_dynamic_stack 0
		.amdhsa_system_sgpr_private_segment_wavefront_offset 0
		.amdhsa_system_sgpr_workgroup_id_x 1
		.amdhsa_system_sgpr_workgroup_id_y 0
		.amdhsa_system_sgpr_workgroup_id_z 0
		.amdhsa_system_sgpr_workgroup_info 0
		.amdhsa_system_vgpr_workitem_id 0
		.amdhsa_next_free_vgpr 1
		.amdhsa_next_free_sgpr 0
		.amdhsa_accum_offset 4
		.amdhsa_reserve_vcc 0
		.amdhsa_reserve_flat_scratch 0
		.amdhsa_float_round_mode_32 0
		.amdhsa_float_round_mode_16_64 0
		.amdhsa_float_denorm_mode_32 3
		.amdhsa_float_denorm_mode_16_64 3
		.amdhsa_dx10_clamp 1
		.amdhsa_ieee_mode 1
		.amdhsa_fp16_overflow 0
		.amdhsa_tg_split 0
		.amdhsa_exception_fp_ieee_invalid_op 0
		.amdhsa_exception_fp_denorm_src 0
		.amdhsa_exception_fp_ieee_div_zero 0
		.amdhsa_exception_fp_ieee_overflow 0
		.amdhsa_exception_fp_ieee_underflow 0
		.amdhsa_exception_fp_ieee_inexact 0
		.amdhsa_exception_int_div_zero 0
	.end_amdhsa_kernel
	.section	.text._ZN7rocprim17ROCPRIM_400000_NS6detail17trampoline_kernelINS0_14default_configENS1_25partition_config_selectorILNS1_17partition_subalgoE2EtNS0_10empty_typeEbEEZZNS1_14partition_implILS5_2ELb0ES3_jN6thrust23THRUST_200600_302600_NS6detail15normal_iteratorINSA_7pointerItNSA_11hip_rocprim3tagENSA_11use_defaultESG_EEEEPS6_NSA_18transform_iteratorI7is_evenItENSC_INSA_10device_ptrItEEEESG_SG_EENS0_5tupleIJPtSJ_EEENSR_IJSJ_SJ_EEES6_PlJS6_EEE10hipError_tPvRmT3_T4_T5_T6_T7_T9_mT8_P12ihipStream_tbDpT10_ENKUlT_T0_E_clISt17integral_constantIbLb1EES1E_IbLb0EEEEDaS1A_S1B_EUlS1A_E_NS1_11comp_targetILNS1_3genE8ELNS1_11target_archE1030ELNS1_3gpuE2ELNS1_3repE0EEENS1_30default_config_static_selectorELNS0_4arch9wavefront6targetE1EEEvT1_,"axG",@progbits,_ZN7rocprim17ROCPRIM_400000_NS6detail17trampoline_kernelINS0_14default_configENS1_25partition_config_selectorILNS1_17partition_subalgoE2EtNS0_10empty_typeEbEEZZNS1_14partition_implILS5_2ELb0ES3_jN6thrust23THRUST_200600_302600_NS6detail15normal_iteratorINSA_7pointerItNSA_11hip_rocprim3tagENSA_11use_defaultESG_EEEEPS6_NSA_18transform_iteratorI7is_evenItENSC_INSA_10device_ptrItEEEESG_SG_EENS0_5tupleIJPtSJ_EEENSR_IJSJ_SJ_EEES6_PlJS6_EEE10hipError_tPvRmT3_T4_T5_T6_T7_T9_mT8_P12ihipStream_tbDpT10_ENKUlT_T0_E_clISt17integral_constantIbLb1EES1E_IbLb0EEEEDaS1A_S1B_EUlS1A_E_NS1_11comp_targetILNS1_3genE8ELNS1_11target_archE1030ELNS1_3gpuE2ELNS1_3repE0EEENS1_30default_config_static_selectorELNS0_4arch9wavefront6targetE1EEEvT1_,comdat
.Lfunc_end2093:
	.size	_ZN7rocprim17ROCPRIM_400000_NS6detail17trampoline_kernelINS0_14default_configENS1_25partition_config_selectorILNS1_17partition_subalgoE2EtNS0_10empty_typeEbEEZZNS1_14partition_implILS5_2ELb0ES3_jN6thrust23THRUST_200600_302600_NS6detail15normal_iteratorINSA_7pointerItNSA_11hip_rocprim3tagENSA_11use_defaultESG_EEEEPS6_NSA_18transform_iteratorI7is_evenItENSC_INSA_10device_ptrItEEEESG_SG_EENS0_5tupleIJPtSJ_EEENSR_IJSJ_SJ_EEES6_PlJS6_EEE10hipError_tPvRmT3_T4_T5_T6_T7_T9_mT8_P12ihipStream_tbDpT10_ENKUlT_T0_E_clISt17integral_constantIbLb1EES1E_IbLb0EEEEDaS1A_S1B_EUlS1A_E_NS1_11comp_targetILNS1_3genE8ELNS1_11target_archE1030ELNS1_3gpuE2ELNS1_3repE0EEENS1_30default_config_static_selectorELNS0_4arch9wavefront6targetE1EEEvT1_, .Lfunc_end2093-_ZN7rocprim17ROCPRIM_400000_NS6detail17trampoline_kernelINS0_14default_configENS1_25partition_config_selectorILNS1_17partition_subalgoE2EtNS0_10empty_typeEbEEZZNS1_14partition_implILS5_2ELb0ES3_jN6thrust23THRUST_200600_302600_NS6detail15normal_iteratorINSA_7pointerItNSA_11hip_rocprim3tagENSA_11use_defaultESG_EEEEPS6_NSA_18transform_iteratorI7is_evenItENSC_INSA_10device_ptrItEEEESG_SG_EENS0_5tupleIJPtSJ_EEENSR_IJSJ_SJ_EEES6_PlJS6_EEE10hipError_tPvRmT3_T4_T5_T6_T7_T9_mT8_P12ihipStream_tbDpT10_ENKUlT_T0_E_clISt17integral_constantIbLb1EES1E_IbLb0EEEEDaS1A_S1B_EUlS1A_E_NS1_11comp_targetILNS1_3genE8ELNS1_11target_archE1030ELNS1_3gpuE2ELNS1_3repE0EEENS1_30default_config_static_selectorELNS0_4arch9wavefront6targetE1EEEvT1_
                                        ; -- End function
	.section	.AMDGPU.csdata,"",@progbits
; Kernel info:
; codeLenInByte = 0
; NumSgprs: 4
; NumVgprs: 0
; NumAgprs: 0
; TotalNumVgprs: 0
; ScratchSize: 0
; MemoryBound: 0
; FloatMode: 240
; IeeeMode: 1
; LDSByteSize: 0 bytes/workgroup (compile time only)
; SGPRBlocks: 0
; VGPRBlocks: 0
; NumSGPRsForWavesPerEU: 4
; NumVGPRsForWavesPerEU: 1
; AccumOffset: 4
; Occupancy: 8
; WaveLimiterHint : 0
; COMPUTE_PGM_RSRC2:SCRATCH_EN: 0
; COMPUTE_PGM_RSRC2:USER_SGPR: 6
; COMPUTE_PGM_RSRC2:TRAP_HANDLER: 0
; COMPUTE_PGM_RSRC2:TGID_X_EN: 1
; COMPUTE_PGM_RSRC2:TGID_Y_EN: 0
; COMPUTE_PGM_RSRC2:TGID_Z_EN: 0
; COMPUTE_PGM_RSRC2:TIDIG_COMP_CNT: 0
; COMPUTE_PGM_RSRC3_GFX90A:ACCUM_OFFSET: 0
; COMPUTE_PGM_RSRC3_GFX90A:TG_SPLIT: 0
	.section	.text._ZN7rocprim17ROCPRIM_400000_NS6detail17trampoline_kernelINS0_14default_configENS1_25partition_config_selectorILNS1_17partition_subalgoE2EtNS0_10empty_typeEbEEZZNS1_14partition_implILS5_2ELb0ES3_jN6thrust23THRUST_200600_302600_NS6detail15normal_iteratorINSA_7pointerItNSA_11hip_rocprim3tagENSA_11use_defaultESG_EEEEPS6_NSA_18transform_iteratorI7is_evenItENSC_INSA_10device_ptrItEEEESG_SG_EENS0_5tupleIJPtSJ_EEENSR_IJSJ_SJ_EEES6_PlJS6_EEE10hipError_tPvRmT3_T4_T5_T6_T7_T9_mT8_P12ihipStream_tbDpT10_ENKUlT_T0_E_clISt17integral_constantIbLb0EES1E_IbLb1EEEEDaS1A_S1B_EUlS1A_E_NS1_11comp_targetILNS1_3genE0ELNS1_11target_archE4294967295ELNS1_3gpuE0ELNS1_3repE0EEENS1_30default_config_static_selectorELNS0_4arch9wavefront6targetE1EEEvT1_,"axG",@progbits,_ZN7rocprim17ROCPRIM_400000_NS6detail17trampoline_kernelINS0_14default_configENS1_25partition_config_selectorILNS1_17partition_subalgoE2EtNS0_10empty_typeEbEEZZNS1_14partition_implILS5_2ELb0ES3_jN6thrust23THRUST_200600_302600_NS6detail15normal_iteratorINSA_7pointerItNSA_11hip_rocprim3tagENSA_11use_defaultESG_EEEEPS6_NSA_18transform_iteratorI7is_evenItENSC_INSA_10device_ptrItEEEESG_SG_EENS0_5tupleIJPtSJ_EEENSR_IJSJ_SJ_EEES6_PlJS6_EEE10hipError_tPvRmT3_T4_T5_T6_T7_T9_mT8_P12ihipStream_tbDpT10_ENKUlT_T0_E_clISt17integral_constantIbLb0EES1E_IbLb1EEEEDaS1A_S1B_EUlS1A_E_NS1_11comp_targetILNS1_3genE0ELNS1_11target_archE4294967295ELNS1_3gpuE0ELNS1_3repE0EEENS1_30default_config_static_selectorELNS0_4arch9wavefront6targetE1EEEvT1_,comdat
	.protected	_ZN7rocprim17ROCPRIM_400000_NS6detail17trampoline_kernelINS0_14default_configENS1_25partition_config_selectorILNS1_17partition_subalgoE2EtNS0_10empty_typeEbEEZZNS1_14partition_implILS5_2ELb0ES3_jN6thrust23THRUST_200600_302600_NS6detail15normal_iteratorINSA_7pointerItNSA_11hip_rocprim3tagENSA_11use_defaultESG_EEEEPS6_NSA_18transform_iteratorI7is_evenItENSC_INSA_10device_ptrItEEEESG_SG_EENS0_5tupleIJPtSJ_EEENSR_IJSJ_SJ_EEES6_PlJS6_EEE10hipError_tPvRmT3_T4_T5_T6_T7_T9_mT8_P12ihipStream_tbDpT10_ENKUlT_T0_E_clISt17integral_constantIbLb0EES1E_IbLb1EEEEDaS1A_S1B_EUlS1A_E_NS1_11comp_targetILNS1_3genE0ELNS1_11target_archE4294967295ELNS1_3gpuE0ELNS1_3repE0EEENS1_30default_config_static_selectorELNS0_4arch9wavefront6targetE1EEEvT1_ ; -- Begin function _ZN7rocprim17ROCPRIM_400000_NS6detail17trampoline_kernelINS0_14default_configENS1_25partition_config_selectorILNS1_17partition_subalgoE2EtNS0_10empty_typeEbEEZZNS1_14partition_implILS5_2ELb0ES3_jN6thrust23THRUST_200600_302600_NS6detail15normal_iteratorINSA_7pointerItNSA_11hip_rocprim3tagENSA_11use_defaultESG_EEEEPS6_NSA_18transform_iteratorI7is_evenItENSC_INSA_10device_ptrItEEEESG_SG_EENS0_5tupleIJPtSJ_EEENSR_IJSJ_SJ_EEES6_PlJS6_EEE10hipError_tPvRmT3_T4_T5_T6_T7_T9_mT8_P12ihipStream_tbDpT10_ENKUlT_T0_E_clISt17integral_constantIbLb0EES1E_IbLb1EEEEDaS1A_S1B_EUlS1A_E_NS1_11comp_targetILNS1_3genE0ELNS1_11target_archE4294967295ELNS1_3gpuE0ELNS1_3repE0EEENS1_30default_config_static_selectorELNS0_4arch9wavefront6targetE1EEEvT1_
	.globl	_ZN7rocprim17ROCPRIM_400000_NS6detail17trampoline_kernelINS0_14default_configENS1_25partition_config_selectorILNS1_17partition_subalgoE2EtNS0_10empty_typeEbEEZZNS1_14partition_implILS5_2ELb0ES3_jN6thrust23THRUST_200600_302600_NS6detail15normal_iteratorINSA_7pointerItNSA_11hip_rocprim3tagENSA_11use_defaultESG_EEEEPS6_NSA_18transform_iteratorI7is_evenItENSC_INSA_10device_ptrItEEEESG_SG_EENS0_5tupleIJPtSJ_EEENSR_IJSJ_SJ_EEES6_PlJS6_EEE10hipError_tPvRmT3_T4_T5_T6_T7_T9_mT8_P12ihipStream_tbDpT10_ENKUlT_T0_E_clISt17integral_constantIbLb0EES1E_IbLb1EEEEDaS1A_S1B_EUlS1A_E_NS1_11comp_targetILNS1_3genE0ELNS1_11target_archE4294967295ELNS1_3gpuE0ELNS1_3repE0EEENS1_30default_config_static_selectorELNS0_4arch9wavefront6targetE1EEEvT1_
	.p2align	8
	.type	_ZN7rocprim17ROCPRIM_400000_NS6detail17trampoline_kernelINS0_14default_configENS1_25partition_config_selectorILNS1_17partition_subalgoE2EtNS0_10empty_typeEbEEZZNS1_14partition_implILS5_2ELb0ES3_jN6thrust23THRUST_200600_302600_NS6detail15normal_iteratorINSA_7pointerItNSA_11hip_rocprim3tagENSA_11use_defaultESG_EEEEPS6_NSA_18transform_iteratorI7is_evenItENSC_INSA_10device_ptrItEEEESG_SG_EENS0_5tupleIJPtSJ_EEENSR_IJSJ_SJ_EEES6_PlJS6_EEE10hipError_tPvRmT3_T4_T5_T6_T7_T9_mT8_P12ihipStream_tbDpT10_ENKUlT_T0_E_clISt17integral_constantIbLb0EES1E_IbLb1EEEEDaS1A_S1B_EUlS1A_E_NS1_11comp_targetILNS1_3genE0ELNS1_11target_archE4294967295ELNS1_3gpuE0ELNS1_3repE0EEENS1_30default_config_static_selectorELNS0_4arch9wavefront6targetE1EEEvT1_,@function
_ZN7rocprim17ROCPRIM_400000_NS6detail17trampoline_kernelINS0_14default_configENS1_25partition_config_selectorILNS1_17partition_subalgoE2EtNS0_10empty_typeEbEEZZNS1_14partition_implILS5_2ELb0ES3_jN6thrust23THRUST_200600_302600_NS6detail15normal_iteratorINSA_7pointerItNSA_11hip_rocprim3tagENSA_11use_defaultESG_EEEEPS6_NSA_18transform_iteratorI7is_evenItENSC_INSA_10device_ptrItEEEESG_SG_EENS0_5tupleIJPtSJ_EEENSR_IJSJ_SJ_EEES6_PlJS6_EEE10hipError_tPvRmT3_T4_T5_T6_T7_T9_mT8_P12ihipStream_tbDpT10_ENKUlT_T0_E_clISt17integral_constantIbLb0EES1E_IbLb1EEEEDaS1A_S1B_EUlS1A_E_NS1_11comp_targetILNS1_3genE0ELNS1_11target_archE4294967295ELNS1_3gpuE0ELNS1_3repE0EEENS1_30default_config_static_selectorELNS0_4arch9wavefront6targetE1EEEvT1_: ; @_ZN7rocprim17ROCPRIM_400000_NS6detail17trampoline_kernelINS0_14default_configENS1_25partition_config_selectorILNS1_17partition_subalgoE2EtNS0_10empty_typeEbEEZZNS1_14partition_implILS5_2ELb0ES3_jN6thrust23THRUST_200600_302600_NS6detail15normal_iteratorINSA_7pointerItNSA_11hip_rocprim3tagENSA_11use_defaultESG_EEEEPS6_NSA_18transform_iteratorI7is_evenItENSC_INSA_10device_ptrItEEEESG_SG_EENS0_5tupleIJPtSJ_EEENSR_IJSJ_SJ_EEES6_PlJS6_EEE10hipError_tPvRmT3_T4_T5_T6_T7_T9_mT8_P12ihipStream_tbDpT10_ENKUlT_T0_E_clISt17integral_constantIbLb0EES1E_IbLb1EEEEDaS1A_S1B_EUlS1A_E_NS1_11comp_targetILNS1_3genE0ELNS1_11target_archE4294967295ELNS1_3gpuE0ELNS1_3repE0EEENS1_30default_config_static_selectorELNS0_4arch9wavefront6targetE1EEEvT1_
; %bb.0:
	.section	.rodata,"a",@progbits
	.p2align	6, 0x0
	.amdhsa_kernel _ZN7rocprim17ROCPRIM_400000_NS6detail17trampoline_kernelINS0_14default_configENS1_25partition_config_selectorILNS1_17partition_subalgoE2EtNS0_10empty_typeEbEEZZNS1_14partition_implILS5_2ELb0ES3_jN6thrust23THRUST_200600_302600_NS6detail15normal_iteratorINSA_7pointerItNSA_11hip_rocprim3tagENSA_11use_defaultESG_EEEEPS6_NSA_18transform_iteratorI7is_evenItENSC_INSA_10device_ptrItEEEESG_SG_EENS0_5tupleIJPtSJ_EEENSR_IJSJ_SJ_EEES6_PlJS6_EEE10hipError_tPvRmT3_T4_T5_T6_T7_T9_mT8_P12ihipStream_tbDpT10_ENKUlT_T0_E_clISt17integral_constantIbLb0EES1E_IbLb1EEEEDaS1A_S1B_EUlS1A_E_NS1_11comp_targetILNS1_3genE0ELNS1_11target_archE4294967295ELNS1_3gpuE0ELNS1_3repE0EEENS1_30default_config_static_selectorELNS0_4arch9wavefront6targetE1EEEvT1_
		.amdhsa_group_segment_fixed_size 0
		.amdhsa_private_segment_fixed_size 0
		.amdhsa_kernarg_size 144
		.amdhsa_user_sgpr_count 6
		.amdhsa_user_sgpr_private_segment_buffer 1
		.amdhsa_user_sgpr_dispatch_ptr 0
		.amdhsa_user_sgpr_queue_ptr 0
		.amdhsa_user_sgpr_kernarg_segment_ptr 1
		.amdhsa_user_sgpr_dispatch_id 0
		.amdhsa_user_sgpr_flat_scratch_init 0
		.amdhsa_user_sgpr_kernarg_preload_length 0
		.amdhsa_user_sgpr_kernarg_preload_offset 0
		.amdhsa_user_sgpr_private_segment_size 0
		.amdhsa_uses_dynamic_stack 0
		.amdhsa_system_sgpr_private_segment_wavefront_offset 0
		.amdhsa_system_sgpr_workgroup_id_x 1
		.amdhsa_system_sgpr_workgroup_id_y 0
		.amdhsa_system_sgpr_workgroup_id_z 0
		.amdhsa_system_sgpr_workgroup_info 0
		.amdhsa_system_vgpr_workitem_id 0
		.amdhsa_next_free_vgpr 1
		.amdhsa_next_free_sgpr 0
		.amdhsa_accum_offset 4
		.amdhsa_reserve_vcc 0
		.amdhsa_reserve_flat_scratch 0
		.amdhsa_float_round_mode_32 0
		.amdhsa_float_round_mode_16_64 0
		.amdhsa_float_denorm_mode_32 3
		.amdhsa_float_denorm_mode_16_64 3
		.amdhsa_dx10_clamp 1
		.amdhsa_ieee_mode 1
		.amdhsa_fp16_overflow 0
		.amdhsa_tg_split 0
		.amdhsa_exception_fp_ieee_invalid_op 0
		.amdhsa_exception_fp_denorm_src 0
		.amdhsa_exception_fp_ieee_div_zero 0
		.amdhsa_exception_fp_ieee_overflow 0
		.amdhsa_exception_fp_ieee_underflow 0
		.amdhsa_exception_fp_ieee_inexact 0
		.amdhsa_exception_int_div_zero 0
	.end_amdhsa_kernel
	.section	.text._ZN7rocprim17ROCPRIM_400000_NS6detail17trampoline_kernelINS0_14default_configENS1_25partition_config_selectorILNS1_17partition_subalgoE2EtNS0_10empty_typeEbEEZZNS1_14partition_implILS5_2ELb0ES3_jN6thrust23THRUST_200600_302600_NS6detail15normal_iteratorINSA_7pointerItNSA_11hip_rocprim3tagENSA_11use_defaultESG_EEEEPS6_NSA_18transform_iteratorI7is_evenItENSC_INSA_10device_ptrItEEEESG_SG_EENS0_5tupleIJPtSJ_EEENSR_IJSJ_SJ_EEES6_PlJS6_EEE10hipError_tPvRmT3_T4_T5_T6_T7_T9_mT8_P12ihipStream_tbDpT10_ENKUlT_T0_E_clISt17integral_constantIbLb0EES1E_IbLb1EEEEDaS1A_S1B_EUlS1A_E_NS1_11comp_targetILNS1_3genE0ELNS1_11target_archE4294967295ELNS1_3gpuE0ELNS1_3repE0EEENS1_30default_config_static_selectorELNS0_4arch9wavefront6targetE1EEEvT1_,"axG",@progbits,_ZN7rocprim17ROCPRIM_400000_NS6detail17trampoline_kernelINS0_14default_configENS1_25partition_config_selectorILNS1_17partition_subalgoE2EtNS0_10empty_typeEbEEZZNS1_14partition_implILS5_2ELb0ES3_jN6thrust23THRUST_200600_302600_NS6detail15normal_iteratorINSA_7pointerItNSA_11hip_rocprim3tagENSA_11use_defaultESG_EEEEPS6_NSA_18transform_iteratorI7is_evenItENSC_INSA_10device_ptrItEEEESG_SG_EENS0_5tupleIJPtSJ_EEENSR_IJSJ_SJ_EEES6_PlJS6_EEE10hipError_tPvRmT3_T4_T5_T6_T7_T9_mT8_P12ihipStream_tbDpT10_ENKUlT_T0_E_clISt17integral_constantIbLb0EES1E_IbLb1EEEEDaS1A_S1B_EUlS1A_E_NS1_11comp_targetILNS1_3genE0ELNS1_11target_archE4294967295ELNS1_3gpuE0ELNS1_3repE0EEENS1_30default_config_static_selectorELNS0_4arch9wavefront6targetE1EEEvT1_,comdat
.Lfunc_end2094:
	.size	_ZN7rocprim17ROCPRIM_400000_NS6detail17trampoline_kernelINS0_14default_configENS1_25partition_config_selectorILNS1_17partition_subalgoE2EtNS0_10empty_typeEbEEZZNS1_14partition_implILS5_2ELb0ES3_jN6thrust23THRUST_200600_302600_NS6detail15normal_iteratorINSA_7pointerItNSA_11hip_rocprim3tagENSA_11use_defaultESG_EEEEPS6_NSA_18transform_iteratorI7is_evenItENSC_INSA_10device_ptrItEEEESG_SG_EENS0_5tupleIJPtSJ_EEENSR_IJSJ_SJ_EEES6_PlJS6_EEE10hipError_tPvRmT3_T4_T5_T6_T7_T9_mT8_P12ihipStream_tbDpT10_ENKUlT_T0_E_clISt17integral_constantIbLb0EES1E_IbLb1EEEEDaS1A_S1B_EUlS1A_E_NS1_11comp_targetILNS1_3genE0ELNS1_11target_archE4294967295ELNS1_3gpuE0ELNS1_3repE0EEENS1_30default_config_static_selectorELNS0_4arch9wavefront6targetE1EEEvT1_, .Lfunc_end2094-_ZN7rocprim17ROCPRIM_400000_NS6detail17trampoline_kernelINS0_14default_configENS1_25partition_config_selectorILNS1_17partition_subalgoE2EtNS0_10empty_typeEbEEZZNS1_14partition_implILS5_2ELb0ES3_jN6thrust23THRUST_200600_302600_NS6detail15normal_iteratorINSA_7pointerItNSA_11hip_rocprim3tagENSA_11use_defaultESG_EEEEPS6_NSA_18transform_iteratorI7is_evenItENSC_INSA_10device_ptrItEEEESG_SG_EENS0_5tupleIJPtSJ_EEENSR_IJSJ_SJ_EEES6_PlJS6_EEE10hipError_tPvRmT3_T4_T5_T6_T7_T9_mT8_P12ihipStream_tbDpT10_ENKUlT_T0_E_clISt17integral_constantIbLb0EES1E_IbLb1EEEEDaS1A_S1B_EUlS1A_E_NS1_11comp_targetILNS1_3genE0ELNS1_11target_archE4294967295ELNS1_3gpuE0ELNS1_3repE0EEENS1_30default_config_static_selectorELNS0_4arch9wavefront6targetE1EEEvT1_
                                        ; -- End function
	.section	.AMDGPU.csdata,"",@progbits
; Kernel info:
; codeLenInByte = 0
; NumSgprs: 4
; NumVgprs: 0
; NumAgprs: 0
; TotalNumVgprs: 0
; ScratchSize: 0
; MemoryBound: 0
; FloatMode: 240
; IeeeMode: 1
; LDSByteSize: 0 bytes/workgroup (compile time only)
; SGPRBlocks: 0
; VGPRBlocks: 0
; NumSGPRsForWavesPerEU: 4
; NumVGPRsForWavesPerEU: 1
; AccumOffset: 4
; Occupancy: 8
; WaveLimiterHint : 0
; COMPUTE_PGM_RSRC2:SCRATCH_EN: 0
; COMPUTE_PGM_RSRC2:USER_SGPR: 6
; COMPUTE_PGM_RSRC2:TRAP_HANDLER: 0
; COMPUTE_PGM_RSRC2:TGID_X_EN: 1
; COMPUTE_PGM_RSRC2:TGID_Y_EN: 0
; COMPUTE_PGM_RSRC2:TGID_Z_EN: 0
; COMPUTE_PGM_RSRC2:TIDIG_COMP_CNT: 0
; COMPUTE_PGM_RSRC3_GFX90A:ACCUM_OFFSET: 0
; COMPUTE_PGM_RSRC3_GFX90A:TG_SPLIT: 0
	.section	.text._ZN7rocprim17ROCPRIM_400000_NS6detail17trampoline_kernelINS0_14default_configENS1_25partition_config_selectorILNS1_17partition_subalgoE2EtNS0_10empty_typeEbEEZZNS1_14partition_implILS5_2ELb0ES3_jN6thrust23THRUST_200600_302600_NS6detail15normal_iteratorINSA_7pointerItNSA_11hip_rocprim3tagENSA_11use_defaultESG_EEEEPS6_NSA_18transform_iteratorI7is_evenItENSC_INSA_10device_ptrItEEEESG_SG_EENS0_5tupleIJPtSJ_EEENSR_IJSJ_SJ_EEES6_PlJS6_EEE10hipError_tPvRmT3_T4_T5_T6_T7_T9_mT8_P12ihipStream_tbDpT10_ENKUlT_T0_E_clISt17integral_constantIbLb0EES1E_IbLb1EEEEDaS1A_S1B_EUlS1A_E_NS1_11comp_targetILNS1_3genE5ELNS1_11target_archE942ELNS1_3gpuE9ELNS1_3repE0EEENS1_30default_config_static_selectorELNS0_4arch9wavefront6targetE1EEEvT1_,"axG",@progbits,_ZN7rocprim17ROCPRIM_400000_NS6detail17trampoline_kernelINS0_14default_configENS1_25partition_config_selectorILNS1_17partition_subalgoE2EtNS0_10empty_typeEbEEZZNS1_14partition_implILS5_2ELb0ES3_jN6thrust23THRUST_200600_302600_NS6detail15normal_iteratorINSA_7pointerItNSA_11hip_rocprim3tagENSA_11use_defaultESG_EEEEPS6_NSA_18transform_iteratorI7is_evenItENSC_INSA_10device_ptrItEEEESG_SG_EENS0_5tupleIJPtSJ_EEENSR_IJSJ_SJ_EEES6_PlJS6_EEE10hipError_tPvRmT3_T4_T5_T6_T7_T9_mT8_P12ihipStream_tbDpT10_ENKUlT_T0_E_clISt17integral_constantIbLb0EES1E_IbLb1EEEEDaS1A_S1B_EUlS1A_E_NS1_11comp_targetILNS1_3genE5ELNS1_11target_archE942ELNS1_3gpuE9ELNS1_3repE0EEENS1_30default_config_static_selectorELNS0_4arch9wavefront6targetE1EEEvT1_,comdat
	.protected	_ZN7rocprim17ROCPRIM_400000_NS6detail17trampoline_kernelINS0_14default_configENS1_25partition_config_selectorILNS1_17partition_subalgoE2EtNS0_10empty_typeEbEEZZNS1_14partition_implILS5_2ELb0ES3_jN6thrust23THRUST_200600_302600_NS6detail15normal_iteratorINSA_7pointerItNSA_11hip_rocprim3tagENSA_11use_defaultESG_EEEEPS6_NSA_18transform_iteratorI7is_evenItENSC_INSA_10device_ptrItEEEESG_SG_EENS0_5tupleIJPtSJ_EEENSR_IJSJ_SJ_EEES6_PlJS6_EEE10hipError_tPvRmT3_T4_T5_T6_T7_T9_mT8_P12ihipStream_tbDpT10_ENKUlT_T0_E_clISt17integral_constantIbLb0EES1E_IbLb1EEEEDaS1A_S1B_EUlS1A_E_NS1_11comp_targetILNS1_3genE5ELNS1_11target_archE942ELNS1_3gpuE9ELNS1_3repE0EEENS1_30default_config_static_selectorELNS0_4arch9wavefront6targetE1EEEvT1_ ; -- Begin function _ZN7rocprim17ROCPRIM_400000_NS6detail17trampoline_kernelINS0_14default_configENS1_25partition_config_selectorILNS1_17partition_subalgoE2EtNS0_10empty_typeEbEEZZNS1_14partition_implILS5_2ELb0ES3_jN6thrust23THRUST_200600_302600_NS6detail15normal_iteratorINSA_7pointerItNSA_11hip_rocprim3tagENSA_11use_defaultESG_EEEEPS6_NSA_18transform_iteratorI7is_evenItENSC_INSA_10device_ptrItEEEESG_SG_EENS0_5tupleIJPtSJ_EEENSR_IJSJ_SJ_EEES6_PlJS6_EEE10hipError_tPvRmT3_T4_T5_T6_T7_T9_mT8_P12ihipStream_tbDpT10_ENKUlT_T0_E_clISt17integral_constantIbLb0EES1E_IbLb1EEEEDaS1A_S1B_EUlS1A_E_NS1_11comp_targetILNS1_3genE5ELNS1_11target_archE942ELNS1_3gpuE9ELNS1_3repE0EEENS1_30default_config_static_selectorELNS0_4arch9wavefront6targetE1EEEvT1_
	.globl	_ZN7rocprim17ROCPRIM_400000_NS6detail17trampoline_kernelINS0_14default_configENS1_25partition_config_selectorILNS1_17partition_subalgoE2EtNS0_10empty_typeEbEEZZNS1_14partition_implILS5_2ELb0ES3_jN6thrust23THRUST_200600_302600_NS6detail15normal_iteratorINSA_7pointerItNSA_11hip_rocprim3tagENSA_11use_defaultESG_EEEEPS6_NSA_18transform_iteratorI7is_evenItENSC_INSA_10device_ptrItEEEESG_SG_EENS0_5tupleIJPtSJ_EEENSR_IJSJ_SJ_EEES6_PlJS6_EEE10hipError_tPvRmT3_T4_T5_T6_T7_T9_mT8_P12ihipStream_tbDpT10_ENKUlT_T0_E_clISt17integral_constantIbLb0EES1E_IbLb1EEEEDaS1A_S1B_EUlS1A_E_NS1_11comp_targetILNS1_3genE5ELNS1_11target_archE942ELNS1_3gpuE9ELNS1_3repE0EEENS1_30default_config_static_selectorELNS0_4arch9wavefront6targetE1EEEvT1_
	.p2align	8
	.type	_ZN7rocprim17ROCPRIM_400000_NS6detail17trampoline_kernelINS0_14default_configENS1_25partition_config_selectorILNS1_17partition_subalgoE2EtNS0_10empty_typeEbEEZZNS1_14partition_implILS5_2ELb0ES3_jN6thrust23THRUST_200600_302600_NS6detail15normal_iteratorINSA_7pointerItNSA_11hip_rocprim3tagENSA_11use_defaultESG_EEEEPS6_NSA_18transform_iteratorI7is_evenItENSC_INSA_10device_ptrItEEEESG_SG_EENS0_5tupleIJPtSJ_EEENSR_IJSJ_SJ_EEES6_PlJS6_EEE10hipError_tPvRmT3_T4_T5_T6_T7_T9_mT8_P12ihipStream_tbDpT10_ENKUlT_T0_E_clISt17integral_constantIbLb0EES1E_IbLb1EEEEDaS1A_S1B_EUlS1A_E_NS1_11comp_targetILNS1_3genE5ELNS1_11target_archE942ELNS1_3gpuE9ELNS1_3repE0EEENS1_30default_config_static_selectorELNS0_4arch9wavefront6targetE1EEEvT1_,@function
_ZN7rocprim17ROCPRIM_400000_NS6detail17trampoline_kernelINS0_14default_configENS1_25partition_config_selectorILNS1_17partition_subalgoE2EtNS0_10empty_typeEbEEZZNS1_14partition_implILS5_2ELb0ES3_jN6thrust23THRUST_200600_302600_NS6detail15normal_iteratorINSA_7pointerItNSA_11hip_rocprim3tagENSA_11use_defaultESG_EEEEPS6_NSA_18transform_iteratorI7is_evenItENSC_INSA_10device_ptrItEEEESG_SG_EENS0_5tupleIJPtSJ_EEENSR_IJSJ_SJ_EEES6_PlJS6_EEE10hipError_tPvRmT3_T4_T5_T6_T7_T9_mT8_P12ihipStream_tbDpT10_ENKUlT_T0_E_clISt17integral_constantIbLb0EES1E_IbLb1EEEEDaS1A_S1B_EUlS1A_E_NS1_11comp_targetILNS1_3genE5ELNS1_11target_archE942ELNS1_3gpuE9ELNS1_3repE0EEENS1_30default_config_static_selectorELNS0_4arch9wavefront6targetE1EEEvT1_: ; @_ZN7rocprim17ROCPRIM_400000_NS6detail17trampoline_kernelINS0_14default_configENS1_25partition_config_selectorILNS1_17partition_subalgoE2EtNS0_10empty_typeEbEEZZNS1_14partition_implILS5_2ELb0ES3_jN6thrust23THRUST_200600_302600_NS6detail15normal_iteratorINSA_7pointerItNSA_11hip_rocprim3tagENSA_11use_defaultESG_EEEEPS6_NSA_18transform_iteratorI7is_evenItENSC_INSA_10device_ptrItEEEESG_SG_EENS0_5tupleIJPtSJ_EEENSR_IJSJ_SJ_EEES6_PlJS6_EEE10hipError_tPvRmT3_T4_T5_T6_T7_T9_mT8_P12ihipStream_tbDpT10_ENKUlT_T0_E_clISt17integral_constantIbLb0EES1E_IbLb1EEEEDaS1A_S1B_EUlS1A_E_NS1_11comp_targetILNS1_3genE5ELNS1_11target_archE942ELNS1_3gpuE9ELNS1_3repE0EEENS1_30default_config_static_selectorELNS0_4arch9wavefront6targetE1EEEvT1_
; %bb.0:
	.section	.rodata,"a",@progbits
	.p2align	6, 0x0
	.amdhsa_kernel _ZN7rocprim17ROCPRIM_400000_NS6detail17trampoline_kernelINS0_14default_configENS1_25partition_config_selectorILNS1_17partition_subalgoE2EtNS0_10empty_typeEbEEZZNS1_14partition_implILS5_2ELb0ES3_jN6thrust23THRUST_200600_302600_NS6detail15normal_iteratorINSA_7pointerItNSA_11hip_rocprim3tagENSA_11use_defaultESG_EEEEPS6_NSA_18transform_iteratorI7is_evenItENSC_INSA_10device_ptrItEEEESG_SG_EENS0_5tupleIJPtSJ_EEENSR_IJSJ_SJ_EEES6_PlJS6_EEE10hipError_tPvRmT3_T4_T5_T6_T7_T9_mT8_P12ihipStream_tbDpT10_ENKUlT_T0_E_clISt17integral_constantIbLb0EES1E_IbLb1EEEEDaS1A_S1B_EUlS1A_E_NS1_11comp_targetILNS1_3genE5ELNS1_11target_archE942ELNS1_3gpuE9ELNS1_3repE0EEENS1_30default_config_static_selectorELNS0_4arch9wavefront6targetE1EEEvT1_
		.amdhsa_group_segment_fixed_size 0
		.amdhsa_private_segment_fixed_size 0
		.amdhsa_kernarg_size 144
		.amdhsa_user_sgpr_count 6
		.amdhsa_user_sgpr_private_segment_buffer 1
		.amdhsa_user_sgpr_dispatch_ptr 0
		.amdhsa_user_sgpr_queue_ptr 0
		.amdhsa_user_sgpr_kernarg_segment_ptr 1
		.amdhsa_user_sgpr_dispatch_id 0
		.amdhsa_user_sgpr_flat_scratch_init 0
		.amdhsa_user_sgpr_kernarg_preload_length 0
		.amdhsa_user_sgpr_kernarg_preload_offset 0
		.amdhsa_user_sgpr_private_segment_size 0
		.amdhsa_uses_dynamic_stack 0
		.amdhsa_system_sgpr_private_segment_wavefront_offset 0
		.amdhsa_system_sgpr_workgroup_id_x 1
		.amdhsa_system_sgpr_workgroup_id_y 0
		.amdhsa_system_sgpr_workgroup_id_z 0
		.amdhsa_system_sgpr_workgroup_info 0
		.amdhsa_system_vgpr_workitem_id 0
		.amdhsa_next_free_vgpr 1
		.amdhsa_next_free_sgpr 0
		.amdhsa_accum_offset 4
		.amdhsa_reserve_vcc 0
		.amdhsa_reserve_flat_scratch 0
		.amdhsa_float_round_mode_32 0
		.amdhsa_float_round_mode_16_64 0
		.amdhsa_float_denorm_mode_32 3
		.amdhsa_float_denorm_mode_16_64 3
		.amdhsa_dx10_clamp 1
		.amdhsa_ieee_mode 1
		.amdhsa_fp16_overflow 0
		.amdhsa_tg_split 0
		.amdhsa_exception_fp_ieee_invalid_op 0
		.amdhsa_exception_fp_denorm_src 0
		.amdhsa_exception_fp_ieee_div_zero 0
		.amdhsa_exception_fp_ieee_overflow 0
		.amdhsa_exception_fp_ieee_underflow 0
		.amdhsa_exception_fp_ieee_inexact 0
		.amdhsa_exception_int_div_zero 0
	.end_amdhsa_kernel
	.section	.text._ZN7rocprim17ROCPRIM_400000_NS6detail17trampoline_kernelINS0_14default_configENS1_25partition_config_selectorILNS1_17partition_subalgoE2EtNS0_10empty_typeEbEEZZNS1_14partition_implILS5_2ELb0ES3_jN6thrust23THRUST_200600_302600_NS6detail15normal_iteratorINSA_7pointerItNSA_11hip_rocprim3tagENSA_11use_defaultESG_EEEEPS6_NSA_18transform_iteratorI7is_evenItENSC_INSA_10device_ptrItEEEESG_SG_EENS0_5tupleIJPtSJ_EEENSR_IJSJ_SJ_EEES6_PlJS6_EEE10hipError_tPvRmT3_T4_T5_T6_T7_T9_mT8_P12ihipStream_tbDpT10_ENKUlT_T0_E_clISt17integral_constantIbLb0EES1E_IbLb1EEEEDaS1A_S1B_EUlS1A_E_NS1_11comp_targetILNS1_3genE5ELNS1_11target_archE942ELNS1_3gpuE9ELNS1_3repE0EEENS1_30default_config_static_selectorELNS0_4arch9wavefront6targetE1EEEvT1_,"axG",@progbits,_ZN7rocprim17ROCPRIM_400000_NS6detail17trampoline_kernelINS0_14default_configENS1_25partition_config_selectorILNS1_17partition_subalgoE2EtNS0_10empty_typeEbEEZZNS1_14partition_implILS5_2ELb0ES3_jN6thrust23THRUST_200600_302600_NS6detail15normal_iteratorINSA_7pointerItNSA_11hip_rocprim3tagENSA_11use_defaultESG_EEEEPS6_NSA_18transform_iteratorI7is_evenItENSC_INSA_10device_ptrItEEEESG_SG_EENS0_5tupleIJPtSJ_EEENSR_IJSJ_SJ_EEES6_PlJS6_EEE10hipError_tPvRmT3_T4_T5_T6_T7_T9_mT8_P12ihipStream_tbDpT10_ENKUlT_T0_E_clISt17integral_constantIbLb0EES1E_IbLb1EEEEDaS1A_S1B_EUlS1A_E_NS1_11comp_targetILNS1_3genE5ELNS1_11target_archE942ELNS1_3gpuE9ELNS1_3repE0EEENS1_30default_config_static_selectorELNS0_4arch9wavefront6targetE1EEEvT1_,comdat
.Lfunc_end2095:
	.size	_ZN7rocprim17ROCPRIM_400000_NS6detail17trampoline_kernelINS0_14default_configENS1_25partition_config_selectorILNS1_17partition_subalgoE2EtNS0_10empty_typeEbEEZZNS1_14partition_implILS5_2ELb0ES3_jN6thrust23THRUST_200600_302600_NS6detail15normal_iteratorINSA_7pointerItNSA_11hip_rocprim3tagENSA_11use_defaultESG_EEEEPS6_NSA_18transform_iteratorI7is_evenItENSC_INSA_10device_ptrItEEEESG_SG_EENS0_5tupleIJPtSJ_EEENSR_IJSJ_SJ_EEES6_PlJS6_EEE10hipError_tPvRmT3_T4_T5_T6_T7_T9_mT8_P12ihipStream_tbDpT10_ENKUlT_T0_E_clISt17integral_constantIbLb0EES1E_IbLb1EEEEDaS1A_S1B_EUlS1A_E_NS1_11comp_targetILNS1_3genE5ELNS1_11target_archE942ELNS1_3gpuE9ELNS1_3repE0EEENS1_30default_config_static_selectorELNS0_4arch9wavefront6targetE1EEEvT1_, .Lfunc_end2095-_ZN7rocprim17ROCPRIM_400000_NS6detail17trampoline_kernelINS0_14default_configENS1_25partition_config_selectorILNS1_17partition_subalgoE2EtNS0_10empty_typeEbEEZZNS1_14partition_implILS5_2ELb0ES3_jN6thrust23THRUST_200600_302600_NS6detail15normal_iteratorINSA_7pointerItNSA_11hip_rocprim3tagENSA_11use_defaultESG_EEEEPS6_NSA_18transform_iteratorI7is_evenItENSC_INSA_10device_ptrItEEEESG_SG_EENS0_5tupleIJPtSJ_EEENSR_IJSJ_SJ_EEES6_PlJS6_EEE10hipError_tPvRmT3_T4_T5_T6_T7_T9_mT8_P12ihipStream_tbDpT10_ENKUlT_T0_E_clISt17integral_constantIbLb0EES1E_IbLb1EEEEDaS1A_S1B_EUlS1A_E_NS1_11comp_targetILNS1_3genE5ELNS1_11target_archE942ELNS1_3gpuE9ELNS1_3repE0EEENS1_30default_config_static_selectorELNS0_4arch9wavefront6targetE1EEEvT1_
                                        ; -- End function
	.section	.AMDGPU.csdata,"",@progbits
; Kernel info:
; codeLenInByte = 0
; NumSgprs: 4
; NumVgprs: 0
; NumAgprs: 0
; TotalNumVgprs: 0
; ScratchSize: 0
; MemoryBound: 0
; FloatMode: 240
; IeeeMode: 1
; LDSByteSize: 0 bytes/workgroup (compile time only)
; SGPRBlocks: 0
; VGPRBlocks: 0
; NumSGPRsForWavesPerEU: 4
; NumVGPRsForWavesPerEU: 1
; AccumOffset: 4
; Occupancy: 8
; WaveLimiterHint : 0
; COMPUTE_PGM_RSRC2:SCRATCH_EN: 0
; COMPUTE_PGM_RSRC2:USER_SGPR: 6
; COMPUTE_PGM_RSRC2:TRAP_HANDLER: 0
; COMPUTE_PGM_RSRC2:TGID_X_EN: 1
; COMPUTE_PGM_RSRC2:TGID_Y_EN: 0
; COMPUTE_PGM_RSRC2:TGID_Z_EN: 0
; COMPUTE_PGM_RSRC2:TIDIG_COMP_CNT: 0
; COMPUTE_PGM_RSRC3_GFX90A:ACCUM_OFFSET: 0
; COMPUTE_PGM_RSRC3_GFX90A:TG_SPLIT: 0
	.section	.text._ZN7rocprim17ROCPRIM_400000_NS6detail17trampoline_kernelINS0_14default_configENS1_25partition_config_selectorILNS1_17partition_subalgoE2EtNS0_10empty_typeEbEEZZNS1_14partition_implILS5_2ELb0ES3_jN6thrust23THRUST_200600_302600_NS6detail15normal_iteratorINSA_7pointerItNSA_11hip_rocprim3tagENSA_11use_defaultESG_EEEEPS6_NSA_18transform_iteratorI7is_evenItENSC_INSA_10device_ptrItEEEESG_SG_EENS0_5tupleIJPtSJ_EEENSR_IJSJ_SJ_EEES6_PlJS6_EEE10hipError_tPvRmT3_T4_T5_T6_T7_T9_mT8_P12ihipStream_tbDpT10_ENKUlT_T0_E_clISt17integral_constantIbLb0EES1E_IbLb1EEEEDaS1A_S1B_EUlS1A_E_NS1_11comp_targetILNS1_3genE4ELNS1_11target_archE910ELNS1_3gpuE8ELNS1_3repE0EEENS1_30default_config_static_selectorELNS0_4arch9wavefront6targetE1EEEvT1_,"axG",@progbits,_ZN7rocprim17ROCPRIM_400000_NS6detail17trampoline_kernelINS0_14default_configENS1_25partition_config_selectorILNS1_17partition_subalgoE2EtNS0_10empty_typeEbEEZZNS1_14partition_implILS5_2ELb0ES3_jN6thrust23THRUST_200600_302600_NS6detail15normal_iteratorINSA_7pointerItNSA_11hip_rocprim3tagENSA_11use_defaultESG_EEEEPS6_NSA_18transform_iteratorI7is_evenItENSC_INSA_10device_ptrItEEEESG_SG_EENS0_5tupleIJPtSJ_EEENSR_IJSJ_SJ_EEES6_PlJS6_EEE10hipError_tPvRmT3_T4_T5_T6_T7_T9_mT8_P12ihipStream_tbDpT10_ENKUlT_T0_E_clISt17integral_constantIbLb0EES1E_IbLb1EEEEDaS1A_S1B_EUlS1A_E_NS1_11comp_targetILNS1_3genE4ELNS1_11target_archE910ELNS1_3gpuE8ELNS1_3repE0EEENS1_30default_config_static_selectorELNS0_4arch9wavefront6targetE1EEEvT1_,comdat
	.protected	_ZN7rocprim17ROCPRIM_400000_NS6detail17trampoline_kernelINS0_14default_configENS1_25partition_config_selectorILNS1_17partition_subalgoE2EtNS0_10empty_typeEbEEZZNS1_14partition_implILS5_2ELb0ES3_jN6thrust23THRUST_200600_302600_NS6detail15normal_iteratorINSA_7pointerItNSA_11hip_rocprim3tagENSA_11use_defaultESG_EEEEPS6_NSA_18transform_iteratorI7is_evenItENSC_INSA_10device_ptrItEEEESG_SG_EENS0_5tupleIJPtSJ_EEENSR_IJSJ_SJ_EEES6_PlJS6_EEE10hipError_tPvRmT3_T4_T5_T6_T7_T9_mT8_P12ihipStream_tbDpT10_ENKUlT_T0_E_clISt17integral_constantIbLb0EES1E_IbLb1EEEEDaS1A_S1B_EUlS1A_E_NS1_11comp_targetILNS1_3genE4ELNS1_11target_archE910ELNS1_3gpuE8ELNS1_3repE0EEENS1_30default_config_static_selectorELNS0_4arch9wavefront6targetE1EEEvT1_ ; -- Begin function _ZN7rocprim17ROCPRIM_400000_NS6detail17trampoline_kernelINS0_14default_configENS1_25partition_config_selectorILNS1_17partition_subalgoE2EtNS0_10empty_typeEbEEZZNS1_14partition_implILS5_2ELb0ES3_jN6thrust23THRUST_200600_302600_NS6detail15normal_iteratorINSA_7pointerItNSA_11hip_rocprim3tagENSA_11use_defaultESG_EEEEPS6_NSA_18transform_iteratorI7is_evenItENSC_INSA_10device_ptrItEEEESG_SG_EENS0_5tupleIJPtSJ_EEENSR_IJSJ_SJ_EEES6_PlJS6_EEE10hipError_tPvRmT3_T4_T5_T6_T7_T9_mT8_P12ihipStream_tbDpT10_ENKUlT_T0_E_clISt17integral_constantIbLb0EES1E_IbLb1EEEEDaS1A_S1B_EUlS1A_E_NS1_11comp_targetILNS1_3genE4ELNS1_11target_archE910ELNS1_3gpuE8ELNS1_3repE0EEENS1_30default_config_static_selectorELNS0_4arch9wavefront6targetE1EEEvT1_
	.globl	_ZN7rocprim17ROCPRIM_400000_NS6detail17trampoline_kernelINS0_14default_configENS1_25partition_config_selectorILNS1_17partition_subalgoE2EtNS0_10empty_typeEbEEZZNS1_14partition_implILS5_2ELb0ES3_jN6thrust23THRUST_200600_302600_NS6detail15normal_iteratorINSA_7pointerItNSA_11hip_rocprim3tagENSA_11use_defaultESG_EEEEPS6_NSA_18transform_iteratorI7is_evenItENSC_INSA_10device_ptrItEEEESG_SG_EENS0_5tupleIJPtSJ_EEENSR_IJSJ_SJ_EEES6_PlJS6_EEE10hipError_tPvRmT3_T4_T5_T6_T7_T9_mT8_P12ihipStream_tbDpT10_ENKUlT_T0_E_clISt17integral_constantIbLb0EES1E_IbLb1EEEEDaS1A_S1B_EUlS1A_E_NS1_11comp_targetILNS1_3genE4ELNS1_11target_archE910ELNS1_3gpuE8ELNS1_3repE0EEENS1_30default_config_static_selectorELNS0_4arch9wavefront6targetE1EEEvT1_
	.p2align	8
	.type	_ZN7rocprim17ROCPRIM_400000_NS6detail17trampoline_kernelINS0_14default_configENS1_25partition_config_selectorILNS1_17partition_subalgoE2EtNS0_10empty_typeEbEEZZNS1_14partition_implILS5_2ELb0ES3_jN6thrust23THRUST_200600_302600_NS6detail15normal_iteratorINSA_7pointerItNSA_11hip_rocprim3tagENSA_11use_defaultESG_EEEEPS6_NSA_18transform_iteratorI7is_evenItENSC_INSA_10device_ptrItEEEESG_SG_EENS0_5tupleIJPtSJ_EEENSR_IJSJ_SJ_EEES6_PlJS6_EEE10hipError_tPvRmT3_T4_T5_T6_T7_T9_mT8_P12ihipStream_tbDpT10_ENKUlT_T0_E_clISt17integral_constantIbLb0EES1E_IbLb1EEEEDaS1A_S1B_EUlS1A_E_NS1_11comp_targetILNS1_3genE4ELNS1_11target_archE910ELNS1_3gpuE8ELNS1_3repE0EEENS1_30default_config_static_selectorELNS0_4arch9wavefront6targetE1EEEvT1_,@function
_ZN7rocprim17ROCPRIM_400000_NS6detail17trampoline_kernelINS0_14default_configENS1_25partition_config_selectorILNS1_17partition_subalgoE2EtNS0_10empty_typeEbEEZZNS1_14partition_implILS5_2ELb0ES3_jN6thrust23THRUST_200600_302600_NS6detail15normal_iteratorINSA_7pointerItNSA_11hip_rocprim3tagENSA_11use_defaultESG_EEEEPS6_NSA_18transform_iteratorI7is_evenItENSC_INSA_10device_ptrItEEEESG_SG_EENS0_5tupleIJPtSJ_EEENSR_IJSJ_SJ_EEES6_PlJS6_EEE10hipError_tPvRmT3_T4_T5_T6_T7_T9_mT8_P12ihipStream_tbDpT10_ENKUlT_T0_E_clISt17integral_constantIbLb0EES1E_IbLb1EEEEDaS1A_S1B_EUlS1A_E_NS1_11comp_targetILNS1_3genE4ELNS1_11target_archE910ELNS1_3gpuE8ELNS1_3repE0EEENS1_30default_config_static_selectorELNS0_4arch9wavefront6targetE1EEEvT1_: ; @_ZN7rocprim17ROCPRIM_400000_NS6detail17trampoline_kernelINS0_14default_configENS1_25partition_config_selectorILNS1_17partition_subalgoE2EtNS0_10empty_typeEbEEZZNS1_14partition_implILS5_2ELb0ES3_jN6thrust23THRUST_200600_302600_NS6detail15normal_iteratorINSA_7pointerItNSA_11hip_rocprim3tagENSA_11use_defaultESG_EEEEPS6_NSA_18transform_iteratorI7is_evenItENSC_INSA_10device_ptrItEEEESG_SG_EENS0_5tupleIJPtSJ_EEENSR_IJSJ_SJ_EEES6_PlJS6_EEE10hipError_tPvRmT3_T4_T5_T6_T7_T9_mT8_P12ihipStream_tbDpT10_ENKUlT_T0_E_clISt17integral_constantIbLb0EES1E_IbLb1EEEEDaS1A_S1B_EUlS1A_E_NS1_11comp_targetILNS1_3genE4ELNS1_11target_archE910ELNS1_3gpuE8ELNS1_3repE0EEENS1_30default_config_static_selectorELNS0_4arch9wavefront6targetE1EEEvT1_
; %bb.0:
	s_load_dwordx2 s[6:7], s[4:5], 0x20
	s_load_dwordx2 s[24:25], s[4:5], 0x30
	;; [unrolled: 1-line block ×3, first 2 shown]
	s_load_dwordx4 s[20:23], s[4:5], 0x50
	s_load_dwordx2 s[34:35], s[4:5], 0x70
	v_cmp_eq_u32_e64 s[0:1], 0, v0
	s_and_saveexec_b64 s[2:3], s[0:1]
	s_cbranch_execz .LBB2096_4
; %bb.1:
	s_mov_b64 s[10:11], exec
	v_mbcnt_lo_u32_b32 v1, s10, 0
	v_mbcnt_hi_u32_b32 v1, s11, v1
	v_cmp_eq_u32_e32 vcc, 0, v1
                                        ; implicit-def: $vgpr2
	s_and_saveexec_b64 s[8:9], vcc
	s_cbranch_execz .LBB2096_3
; %bb.2:
	s_load_dwordx2 s[12:13], s[4:5], 0x80
	s_bcnt1_i32_b64 s10, s[10:11]
	v_mov_b32_e32 v2, 0
	v_mov_b32_e32 v3, s10
	s_waitcnt lgkmcnt(0)
	global_atomic_add v2, v2, v3, s[12:13] glc
.LBB2096_3:
	s_or_b64 exec, exec, s[8:9]
	s_waitcnt vmcnt(0)
	v_readfirstlane_b32 s8, v2
	v_add_u32_e32 v1, s8, v1
	v_mov_b32_e32 v2, 0
	ds_write_b32 v2, v1
.LBB2096_4:
	s_or_b64 exec, exec, s[2:3]
	v_mov_b32_e32 v1, 0
	s_load_dwordx4 s[16:19], s[4:5], 0x8
	s_load_dword s2, s[4:5], 0x78
	s_waitcnt lgkmcnt(0)
	s_barrier
	ds_read_b32 v2, v1
	s_waitcnt lgkmcnt(0)
	s_barrier
	global_load_dwordx2 v[12:13], v1, s[22:23]
	s_lshl_b64 s[4:5], s[18:19], 1
	s_add_u32 s10, s16, s4
	s_addc_u32 s11, s17, s5
	s_add_i32 s8, s2, -1
	s_mulk_i32 s2, 0x1400
	s_add_i32 s3, s2, s18
	s_sub_i32 s33, s26, s3
	s_addk_i32 s33, 0x1400
	s_add_u32 s2, s18, s2
	v_readfirstlane_b32 s42, v2
	s_addc_u32 s3, s19, 0
	s_cmp_eq_u32 s42, s8
	v_pk_mov_b32 v[2:3], s[26:27], s[26:27] op_sel:[0,1]
	s_cselect_b64 s[22:23], -1, 0
	s_cmp_lg_u32 s42, s8
	s_mul_i32 s28, s42, 0x1400
	s_mov_b32 s29, 0
	v_cmp_lt_u64_e32 vcc, s[2:3], v[2:3]
	s_cselect_b64 s[2:3], -1, 0
	s_or_b64 s[30:31], vcc, s[2:3]
	s_lshl_b64 s[8:9], s[28:29], 1
	s_add_u32 s12, s10, s8
	s_addc_u32 s13, s11, s9
	s_mov_b64 s[2:3], -1
	s_and_b64 vcc, exec, s[30:31]
	v_lshlrev_b32_e32 v1, 1, v0
	s_cbranch_vccz .LBB2096_6
; %bb.5:
	v_mov_b32_e32 v3, s13
	v_add_co_u32_e32 v2, vcc, s12, v1
	v_addc_co_u32_e32 v3, vcc, 0, v3, vcc
	v_add_co_u32_e32 v4, vcc, 0x1000, v2
	v_addc_co_u32_e32 v5, vcc, 0, v3, vcc
	flat_load_ushort v6, v[2:3]
	flat_load_ushort v7, v[2:3] offset:512
	flat_load_ushort v8, v[2:3] offset:1024
	;; [unrolled: 1-line block ×7, first 2 shown]
	v_add_co_u32_e32 v2, vcc, 0x2000, v2
	v_addc_co_u32_e32 v3, vcc, 0, v3, vcc
	flat_load_ushort v16, v[4:5]
	flat_load_ushort v17, v[4:5] offset:512
	flat_load_ushort v18, v[4:5] offset:1024
	;; [unrolled: 1-line block ×7, first 2 shown]
	s_nop 0
	flat_load_ushort v4, v[2:3]
	flat_load_ushort v5, v[2:3] offset:512
	flat_load_ushort v24, v[2:3] offset:1024
	;; [unrolled: 1-line block ×3, first 2 shown]
	s_mov_b64 s[2:3], 0
	s_waitcnt vmcnt(0) lgkmcnt(0)
	ds_write_b16 v1, v6
	ds_write_b16 v1, v7 offset:512
	ds_write_b16 v1, v8 offset:1024
	;; [unrolled: 1-line block ×19, first 2 shown]
	s_waitcnt lgkmcnt(0)
	s_barrier
.LBB2096_6:
	s_andn2_b64 vcc, exec, s[2:3]
	v_cmp_gt_u32_e64 s[2:3], s33, v0
	s_cbranch_vccnz .LBB2096_48
; %bb.7:
                                        ; implicit-def: $vgpr2
	s_and_saveexec_b64 s[10:11], s[2:3]
	s_cbranch_execz .LBB2096_9
; %bb.8:
	v_mov_b32_e32 v3, s13
	v_add_co_u32_e32 v2, vcc, s12, v1
	v_addc_co_u32_e32 v3, vcc, 0, v3, vcc
	flat_load_ushort v2, v[2:3]
.LBB2096_9:
	s_or_b64 exec, exec, s[10:11]
	v_or_b32_e32 v3, 0x100, v0
	v_cmp_gt_u32_e32 vcc, s33, v3
                                        ; implicit-def: $vgpr3
	s_and_saveexec_b64 s[2:3], vcc
	s_cbranch_execz .LBB2096_11
; %bb.10:
	v_mov_b32_e32 v3, s13
	v_add_co_u32_e32 v4, vcc, s12, v1
	v_addc_co_u32_e32 v5, vcc, 0, v3, vcc
	flat_load_ushort v3, v[4:5] offset:512
.LBB2096_11:
	s_or_b64 exec, exec, s[2:3]
	v_or_b32_e32 v4, 0x200, v0
	v_cmp_gt_u32_e32 vcc, s33, v4
                                        ; implicit-def: $vgpr4
	s_and_saveexec_b64 s[2:3], vcc
	s_cbranch_execz .LBB2096_13
; %bb.12:
	v_mov_b32_e32 v5, s13
	v_add_co_u32_e32 v4, vcc, s12, v1
	v_addc_co_u32_e32 v5, vcc, 0, v5, vcc
	flat_load_ushort v4, v[4:5] offset:1024
.LBB2096_13:
	s_or_b64 exec, exec, s[2:3]
	v_or_b32_e32 v5, 0x300, v0
	v_cmp_gt_u32_e32 vcc, s33, v5
                                        ; implicit-def: $vgpr5
	s_and_saveexec_b64 s[2:3], vcc
	s_cbranch_execz .LBB2096_15
; %bb.14:
	v_mov_b32_e32 v5, s13
	v_add_co_u32_e32 v6, vcc, s12, v1
	v_addc_co_u32_e32 v7, vcc, 0, v5, vcc
	flat_load_ushort v5, v[6:7] offset:1536
.LBB2096_15:
	s_or_b64 exec, exec, s[2:3]
	v_or_b32_e32 v6, 0x400, v0
	v_cmp_gt_u32_e32 vcc, s33, v6
                                        ; implicit-def: $vgpr6
	s_and_saveexec_b64 s[2:3], vcc
	s_cbranch_execz .LBB2096_17
; %bb.16:
	v_mov_b32_e32 v7, s13
	v_add_co_u32_e32 v6, vcc, s12, v1
	v_addc_co_u32_e32 v7, vcc, 0, v7, vcc
	flat_load_ushort v6, v[6:7] offset:2048
.LBB2096_17:
	s_or_b64 exec, exec, s[2:3]
	v_or_b32_e32 v7, 0x500, v0
	v_cmp_gt_u32_e32 vcc, s33, v7
                                        ; implicit-def: $vgpr7
	s_and_saveexec_b64 s[2:3], vcc
	s_cbranch_execz .LBB2096_19
; %bb.18:
	v_mov_b32_e32 v7, s13
	v_add_co_u32_e32 v8, vcc, s12, v1
	v_addc_co_u32_e32 v9, vcc, 0, v7, vcc
	flat_load_ushort v7, v[8:9] offset:2560
.LBB2096_19:
	s_or_b64 exec, exec, s[2:3]
	v_or_b32_e32 v8, 0x600, v0
	v_cmp_gt_u32_e32 vcc, s33, v8
                                        ; implicit-def: $vgpr8
	s_and_saveexec_b64 s[2:3], vcc
	s_cbranch_execz .LBB2096_21
; %bb.20:
	v_mov_b32_e32 v9, s13
	v_add_co_u32_e32 v8, vcc, s12, v1
	v_addc_co_u32_e32 v9, vcc, 0, v9, vcc
	flat_load_ushort v8, v[8:9] offset:3072
.LBB2096_21:
	s_or_b64 exec, exec, s[2:3]
	v_or_b32_e32 v9, 0x700, v0
	v_cmp_gt_u32_e32 vcc, s33, v9
                                        ; implicit-def: $vgpr9
	s_and_saveexec_b64 s[2:3], vcc
	s_cbranch_execz .LBB2096_23
; %bb.22:
	v_mov_b32_e32 v9, s13
	v_add_co_u32_e32 v10, vcc, s12, v1
	v_addc_co_u32_e32 v11, vcc, 0, v9, vcc
	flat_load_ushort v9, v[10:11] offset:3584
.LBB2096_23:
	s_or_b64 exec, exec, s[2:3]
	v_or_b32_e32 v11, 0x800, v0
	v_cmp_gt_u32_e32 vcc, s33, v11
                                        ; implicit-def: $vgpr10
	s_and_saveexec_b64 s[2:3], vcc
	s_cbranch_execz .LBB2096_25
; %bb.24:
	v_lshlrev_b32_e32 v10, 1, v11
	v_mov_b32_e32 v11, s13
	v_add_co_u32_e32 v10, vcc, s12, v10
	v_addc_co_u32_e32 v11, vcc, 0, v11, vcc
	flat_load_ushort v10, v[10:11]
.LBB2096_25:
	s_or_b64 exec, exec, s[2:3]
	v_or_b32_e32 v14, 0x900, v0
	v_cmp_gt_u32_e32 vcc, s33, v14
                                        ; implicit-def: $vgpr11
	s_and_saveexec_b64 s[2:3], vcc
	s_cbranch_execz .LBB2096_27
; %bb.26:
	v_lshlrev_b32_e32 v11, 1, v14
	v_mov_b32_e32 v15, s13
	v_add_co_u32_e32 v14, vcc, s12, v11
	v_addc_co_u32_e32 v15, vcc, 0, v15, vcc
	flat_load_ushort v11, v[14:15]
.LBB2096_27:
	s_or_b64 exec, exec, s[2:3]
	v_or_b32_e32 v15, 0xa00, v0
	v_cmp_gt_u32_e32 vcc, s33, v15
                                        ; implicit-def: $vgpr14
	s_and_saveexec_b64 s[2:3], vcc
	s_cbranch_execz .LBB2096_29
; %bb.28:
	v_lshlrev_b32_e32 v14, 1, v15
	v_mov_b32_e32 v15, s13
	v_add_co_u32_e32 v14, vcc, s12, v14
	v_addc_co_u32_e32 v15, vcc, 0, v15, vcc
	flat_load_ushort v14, v[14:15]
.LBB2096_29:
	s_or_b64 exec, exec, s[2:3]
	v_or_b32_e32 v16, 0xb00, v0
	v_cmp_gt_u32_e32 vcc, s33, v16
                                        ; implicit-def: $vgpr15
	s_and_saveexec_b64 s[2:3], vcc
	s_cbranch_execz .LBB2096_31
; %bb.30:
	v_lshlrev_b32_e32 v15, 1, v16
	v_mov_b32_e32 v17, s13
	v_add_co_u32_e32 v16, vcc, s12, v15
	v_addc_co_u32_e32 v17, vcc, 0, v17, vcc
	flat_load_ushort v15, v[16:17]
.LBB2096_31:
	s_or_b64 exec, exec, s[2:3]
	v_or_b32_e32 v17, 0xc00, v0
	v_cmp_gt_u32_e32 vcc, s33, v17
                                        ; implicit-def: $vgpr16
	s_and_saveexec_b64 s[2:3], vcc
	s_cbranch_execz .LBB2096_33
; %bb.32:
	v_lshlrev_b32_e32 v16, 1, v17
	v_mov_b32_e32 v17, s13
	v_add_co_u32_e32 v16, vcc, s12, v16
	v_addc_co_u32_e32 v17, vcc, 0, v17, vcc
	flat_load_ushort v16, v[16:17]
.LBB2096_33:
	s_or_b64 exec, exec, s[2:3]
	v_or_b32_e32 v18, 0xd00, v0
	v_cmp_gt_u32_e32 vcc, s33, v18
                                        ; implicit-def: $vgpr17
	s_and_saveexec_b64 s[2:3], vcc
	s_cbranch_execz .LBB2096_35
; %bb.34:
	v_lshlrev_b32_e32 v17, 1, v18
	v_mov_b32_e32 v19, s13
	v_add_co_u32_e32 v18, vcc, s12, v17
	v_addc_co_u32_e32 v19, vcc, 0, v19, vcc
	flat_load_ushort v17, v[18:19]
.LBB2096_35:
	s_or_b64 exec, exec, s[2:3]
	v_or_b32_e32 v19, 0xe00, v0
	v_cmp_gt_u32_e32 vcc, s33, v19
                                        ; implicit-def: $vgpr18
	s_and_saveexec_b64 s[2:3], vcc
	s_cbranch_execz .LBB2096_37
; %bb.36:
	v_lshlrev_b32_e32 v18, 1, v19
	v_mov_b32_e32 v19, s13
	v_add_co_u32_e32 v18, vcc, s12, v18
	v_addc_co_u32_e32 v19, vcc, 0, v19, vcc
	flat_load_ushort v18, v[18:19]
.LBB2096_37:
	s_or_b64 exec, exec, s[2:3]
	v_or_b32_e32 v20, 0xf00, v0
	v_cmp_gt_u32_e32 vcc, s33, v20
                                        ; implicit-def: $vgpr19
	s_and_saveexec_b64 s[2:3], vcc
	s_cbranch_execz .LBB2096_39
; %bb.38:
	v_lshlrev_b32_e32 v19, 1, v20
	v_mov_b32_e32 v21, s13
	v_add_co_u32_e32 v20, vcc, s12, v19
	v_addc_co_u32_e32 v21, vcc, 0, v21, vcc
	flat_load_ushort v19, v[20:21]
.LBB2096_39:
	s_or_b64 exec, exec, s[2:3]
	v_or_b32_e32 v21, 0x1000, v0
	v_cmp_gt_u32_e32 vcc, s33, v21
                                        ; implicit-def: $vgpr20
	s_and_saveexec_b64 s[2:3], vcc
	s_cbranch_execz .LBB2096_41
; %bb.40:
	v_lshlrev_b32_e32 v20, 1, v21
	v_mov_b32_e32 v21, s13
	v_add_co_u32_e32 v20, vcc, s12, v20
	v_addc_co_u32_e32 v21, vcc, 0, v21, vcc
	flat_load_ushort v20, v[20:21]
.LBB2096_41:
	s_or_b64 exec, exec, s[2:3]
	v_or_b32_e32 v22, 0x1100, v0
	v_cmp_gt_u32_e32 vcc, s33, v22
                                        ; implicit-def: $vgpr21
	s_and_saveexec_b64 s[2:3], vcc
	s_cbranch_execz .LBB2096_43
; %bb.42:
	v_lshlrev_b32_e32 v21, 1, v22
	v_mov_b32_e32 v23, s13
	v_add_co_u32_e32 v22, vcc, s12, v21
	v_addc_co_u32_e32 v23, vcc, 0, v23, vcc
	flat_load_ushort v21, v[22:23]
.LBB2096_43:
	s_or_b64 exec, exec, s[2:3]
	v_or_b32_e32 v23, 0x1200, v0
	v_cmp_gt_u32_e32 vcc, s33, v23
                                        ; implicit-def: $vgpr22
	s_and_saveexec_b64 s[2:3], vcc
	s_cbranch_execz .LBB2096_45
; %bb.44:
	v_lshlrev_b32_e32 v22, 1, v23
	v_mov_b32_e32 v23, s13
	v_add_co_u32_e32 v22, vcc, s12, v22
	v_addc_co_u32_e32 v23, vcc, 0, v23, vcc
	flat_load_ushort v22, v[22:23]
.LBB2096_45:
	s_or_b64 exec, exec, s[2:3]
	v_or_b32_e32 v24, 0x1300, v0
	v_cmp_gt_u32_e32 vcc, s33, v24
                                        ; implicit-def: $vgpr23
	s_and_saveexec_b64 s[2:3], vcc
	s_cbranch_execz .LBB2096_47
; %bb.46:
	v_lshlrev_b32_e32 v23, 1, v24
	v_mov_b32_e32 v25, s13
	v_add_co_u32_e32 v24, vcc, s12, v23
	v_addc_co_u32_e32 v25, vcc, 0, v25, vcc
	flat_load_ushort v23, v[24:25]
.LBB2096_47:
	s_or_b64 exec, exec, s[2:3]
	s_waitcnt vmcnt(0) lgkmcnt(0)
	ds_write_b16 v1, v2
	ds_write_b16 v1, v3 offset:512
	ds_write_b16 v1, v4 offset:1024
	;; [unrolled: 1-line block ×19, first 2 shown]
	s_waitcnt lgkmcnt(0)
	s_barrier
.LBB2096_48:
	v_mul_u32_u24_e32 v28, 20, v0
	v_lshlrev_b32_e32 v6, 1, v28
	ds_read_b64 v[14:15], v6 offset:32
	ds_read2_b64 v[2:5], v6 offset0:2 offset1:3
	ds_read2_b64 v[6:9], v6 offset1:1
	s_add_u32 s2, s6, s4
	s_addc_u32 s3, s7, s5
	s_add_u32 s2, s2, s8
	s_addc_u32 s3, s3, s9
	s_mov_b64 s[4:5], -1
	s_and_b64 vcc, exec, s[30:31]
	s_waitcnt lgkmcnt(0)
	s_barrier
	s_cbranch_vccz .LBB2096_50
; %bb.49:
	v_mov_b32_e32 v10, s3
	v_add_co_u32_e32 v16, vcc, s2, v1
	s_movk_i32 s4, 0x1000
	v_addc_co_u32_e32 v17, vcc, 0, v10, vcc
	v_add_co_u32_e32 v10, vcc, s4, v16
	s_movk_i32 s5, 0x2000
	v_addc_co_u32_e32 v11, vcc, 0, v17, vcc
	global_load_ubyte v18, v1, s[2:3]
	global_load_ubyte v19, v1, s[2:3] offset:512
	global_load_ubyte v20, v1, s[2:3] offset:1024
	;; [unrolled: 1-line block ×7, first 2 shown]
	v_add_co_u32_e32 v16, vcc, s5, v16
	v_addc_co_u32_e32 v17, vcc, 0, v17, vcc
	global_load_ubyte v26, v[16:17], off offset:-4096
	global_load_ubyte v27, v[10:11], off offset:512
	global_load_ubyte v29, v[10:11], off offset:1024
	;; [unrolled: 1-line block ×7, first 2 shown]
	global_load_ubyte v35, v[16:17], off
	global_load_ubyte v36, v[16:17], off offset:512
	global_load_ubyte v37, v[16:17], off offset:1024
	;; [unrolled: 1-line block ×3, first 2 shown]
	s_mov_b64 s[4:5], 0
	s_waitcnt vmcnt(19)
	v_xor_b32_e32 v10, -1, v18
	s_waitcnt vmcnt(18)
	v_xor_b32_e32 v11, -1, v19
	;; [unrolled: 2-line block ×8, first 2 shown]
	v_and_b32_e32 v10, 1, v10
	v_and_b32_e32 v11, 1, v11
	;; [unrolled: 1-line block ×8, first 2 shown]
	ds_write_b8 v0, v10
	ds_write_b8 v0, v11 offset:256
	ds_write_b8 v0, v16 offset:512
	;; [unrolled: 1-line block ×7, first 2 shown]
	s_waitcnt vmcnt(11)
	v_xor_b32_e32 v10, -1, v26
	s_waitcnt vmcnt(10)
	v_xor_b32_e32 v11, -1, v27
	;; [unrolled: 2-line block ×12, first 2 shown]
	v_and_b32_e32 v10, 1, v10
	v_and_b32_e32 v11, 1, v11
	;; [unrolled: 1-line block ×12, first 2 shown]
	ds_write_b8 v0, v10 offset:2048
	ds_write_b8 v0, v11 offset:2304
	;; [unrolled: 1-line block ×12, first 2 shown]
	s_waitcnt lgkmcnt(0)
	s_barrier
.LBB2096_50:
	s_andn2_b64 vcc, exec, s[4:5]
	s_cbranch_vccnz .LBB2096_92
; %bb.51:
	v_cmp_gt_u32_e32 vcc, s33, v0
	v_mov_b32_e32 v10, 0
	v_mov_b32_e32 v11, 0
	s_and_saveexec_b64 s[4:5], vcc
	s_cbranch_execz .LBB2096_53
; %bb.52:
	global_load_ubyte v11, v1, s[2:3]
	s_waitcnt vmcnt(0)
	v_xor_b32_e32 v11, -1, v11
	v_and_b32_e32 v11, 1, v11
.LBB2096_53:
	s_or_b64 exec, exec, s[4:5]
	v_or_b32_e32 v16, 0x100, v0
	v_cmp_gt_u32_e32 vcc, s33, v16
	s_and_saveexec_b64 s[4:5], vcc
	s_cbranch_execz .LBB2096_55
; %bb.54:
	global_load_ubyte v10, v1, s[2:3] offset:512
	s_waitcnt vmcnt(0)
	v_xor_b32_e32 v10, -1, v10
	v_and_b32_e32 v10, 1, v10
.LBB2096_55:
	s_or_b64 exec, exec, s[4:5]
	v_or_b32_e32 v16, 0x200, v0
	v_cmp_gt_u32_e32 vcc, s33, v16
	v_mov_b32_e32 v16, 0
	v_mov_b32_e32 v17, 0
	s_and_saveexec_b64 s[4:5], vcc
	s_cbranch_execz .LBB2096_57
; %bb.56:
	global_load_ubyte v17, v1, s[2:3] offset:1024
	s_waitcnt vmcnt(0)
	v_xor_b32_e32 v17, -1, v17
	v_and_b32_e32 v17, 1, v17
.LBB2096_57:
	s_or_b64 exec, exec, s[4:5]
	v_or_b32_e32 v18, 0x300, v0
	v_cmp_gt_u32_e32 vcc, s33, v18
	s_and_saveexec_b64 s[4:5], vcc
	s_cbranch_execz .LBB2096_59
; %bb.58:
	global_load_ubyte v16, v1, s[2:3] offset:1536
	s_waitcnt vmcnt(0)
	v_xor_b32_e32 v16, -1, v16
	v_and_b32_e32 v16, 1, v16
.LBB2096_59:
	s_or_b64 exec, exec, s[4:5]
	v_or_b32_e32 v18, 0x400, v0
	v_cmp_gt_u32_e32 vcc, s33, v18
	v_mov_b32_e32 v18, 0
	v_mov_b32_e32 v19, 0
	s_and_saveexec_b64 s[4:5], vcc
	s_cbranch_execz .LBB2096_61
; %bb.60:
	global_load_ubyte v19, v1, s[2:3] offset:2048
	s_waitcnt vmcnt(0)
	v_xor_b32_e32 v19, -1, v19
	v_and_b32_e32 v19, 1, v19
.LBB2096_61:
	;; [unrolled: 24-line block ×3, first 2 shown]
	s_or_b64 exec, exec, s[4:5]
	v_or_b32_e32 v22, 0x700, v0
	v_cmp_gt_u32_e32 vcc, s33, v22
	s_and_saveexec_b64 s[4:5], vcc
	s_cbranch_execz .LBB2096_67
; %bb.66:
	global_load_ubyte v20, v1, s[2:3] offset:3584
	s_waitcnt vmcnt(0)
	v_xor_b32_e32 v20, -1, v20
	v_and_b32_e32 v20, 1, v20
.LBB2096_67:
	s_or_b64 exec, exec, s[4:5]
	v_or_b32_e32 v24, 0x800, v0
	v_cmp_gt_u32_e32 vcc, s33, v24
	v_mov_b32_e32 v22, 0
	v_mov_b32_e32 v23, 0
	s_and_saveexec_b64 s[4:5], vcc
	s_cbranch_execz .LBB2096_69
; %bb.68:
	v_lshlrev_b32_e32 v23, 1, v24
	global_load_ubyte v23, v23, s[2:3]
	s_waitcnt vmcnt(0)
	v_xor_b32_e32 v23, -1, v23
	v_and_b32_e32 v23, 1, v23
.LBB2096_69:
	s_or_b64 exec, exec, s[4:5]
	v_or_b32_e32 v24, 0x900, v0
	v_cmp_gt_u32_e32 vcc, s33, v24
	s_and_saveexec_b64 s[4:5], vcc
	s_cbranch_execz .LBB2096_71
; %bb.70:
	v_lshlrev_b32_e32 v22, 1, v24
	global_load_ubyte v22, v22, s[2:3]
	s_waitcnt vmcnt(0)
	v_xor_b32_e32 v22, -1, v22
	v_and_b32_e32 v22, 1, v22
.LBB2096_71:
	s_or_b64 exec, exec, s[4:5]
	v_or_b32_e32 v26, 0xa00, v0
	v_cmp_gt_u32_e32 vcc, s33, v26
	v_mov_b32_e32 v24, 0
	v_mov_b32_e32 v25, 0
	s_and_saveexec_b64 s[4:5], vcc
	s_cbranch_execz .LBB2096_73
; %bb.72:
	v_lshlrev_b32_e32 v25, 1, v26
	global_load_ubyte v25, v25, s[2:3]
	s_waitcnt vmcnt(0)
	v_xor_b32_e32 v25, -1, v25
	v_and_b32_e32 v25, 1, v25
.LBB2096_73:
	s_or_b64 exec, exec, s[4:5]
	v_or_b32_e32 v26, 0xb00, v0
	v_cmp_gt_u32_e32 vcc, s33, v26
	s_and_saveexec_b64 s[4:5], vcc
	s_cbranch_execz .LBB2096_75
; %bb.74:
	v_lshlrev_b32_e32 v24, 1, v26
	global_load_ubyte v24, v24, s[2:3]
	s_waitcnt vmcnt(0)
	v_xor_b32_e32 v24, -1, v24
	v_and_b32_e32 v24, 1, v24
.LBB2096_75:
	;; [unrolled: 26-line block ×6, first 2 shown]
	s_or_b64 exec, exec, s[4:5]
	ds_write_b8 v0, v11
	ds_write_b8 v0, v10 offset:256
	ds_write_b8 v0, v17 offset:512
	;; [unrolled: 1-line block ×19, first 2 shown]
	s_waitcnt lgkmcnt(0)
	s_barrier
.LBB2096_92:
	ds_read2_b32 v[18:19], v28 offset1:1
	ds_read2_b32 v[16:17], v28 offset0:2 offset1:3
	ds_read_b32 v30, v28 offset:16
	s_cmp_lg_u32 s42, 0
	v_lshrrev_b32_e32 v49, 6, v0
	s_waitcnt lgkmcnt(2)
	v_lshrrev_b32_e32 v35, 24, v18
	v_bfe_u32 v47, v18, 16, 8
	v_add_u32_sdwa v10, v18, v18 dst_sel:DWORD dst_unused:UNUSED_PAD src0_sel:BYTE_1 src1_sel:BYTE_0
	v_and_b32_e32 v44, 0xff, v19
	v_bfe_u32 v45, v19, 8, 8
	v_add3_u32 v10, v10, v47, v35
	v_lshrrev_b32_e32 v34, 24, v19
	v_bfe_u32 v46, v19, 16, 8
	v_add3_u32 v10, v10, v44, v45
	s_waitcnt lgkmcnt(1)
	v_and_b32_e32 v41, 0xff, v16
	v_bfe_u32 v42, v16, 8, 8
	v_add3_u32 v10, v10, v46, v34
	v_lshrrev_b32_e32 v33, 24, v16
	v_bfe_u32 v43, v16, 16, 8
	v_add3_u32 v10, v10, v41, v42
	v_and_b32_e32 v38, 0xff, v17
	v_bfe_u32 v39, v17, 8, 8
	v_add3_u32 v10, v10, v43, v33
	v_lshrrev_b32_e32 v32, 24, v17
	v_bfe_u32 v40, v17, 16, 8
	v_add3_u32 v10, v10, v38, v39
	s_waitcnt lgkmcnt(0)
	v_and_b32_e32 v36, 0xff, v30
	v_bfe_u32 v37, v30, 8, 8
	v_add3_u32 v10, v10, v40, v32
	v_lshrrev_b32_e32 v29, 24, v30
	v_bfe_u32 v31, v30, 16, 8
	v_add3_u32 v10, v10, v36, v37
	v_add3_u32 v50, v10, v31, v29
	v_mbcnt_lo_u32_b32 v10, -1, 0
	v_mbcnt_hi_u32_b32 v48, -1, v10
	v_and_b32_e32 v10, 15, v48
	v_cmp_eq_u32_e64 s[14:15], 0, v10
	v_cmp_lt_u32_e64 s[12:13], 1, v10
	v_cmp_lt_u32_e64 s[10:11], 3, v10
	;; [unrolled: 1-line block ×3, first 2 shown]
	v_and_b32_e32 v10, 16, v48
	v_cmp_eq_u32_e64 s[6:7], 0, v10
	v_or_b32_e32 v10, 63, v0
	v_cmp_lt_u32_e64 s[2:3], 31, v48
	v_cmp_eq_u32_e64 s[4:5], v10, v0
	s_barrier
	s_cbranch_scc0 .LBB2096_119
; %bb.93:
	v_mov_b32_dpp v10, v50 row_shr:1 row_mask:0xf bank_mask:0xf
	v_cndmask_b32_e64 v10, v10, 0, s[14:15]
	v_add_u32_e32 v10, v10, v50
	s_nop 1
	v_mov_b32_dpp v11, v10 row_shr:2 row_mask:0xf bank_mask:0xf
	v_cndmask_b32_e64 v11, 0, v11, s[12:13]
	v_add_u32_e32 v10, v10, v11
	s_nop 1
	;; [unrolled: 4-line block ×4, first 2 shown]
	v_mov_b32_dpp v11, v10 row_bcast:15 row_mask:0xf bank_mask:0xf
	v_cndmask_b32_e64 v11, v11, 0, s[6:7]
	v_add_u32_e32 v10, v10, v11
	s_nop 1
	v_mov_b32_dpp v11, v10 row_bcast:31 row_mask:0xf bank_mask:0xf
	v_cndmask_b32_e64 v11, 0, v11, s[2:3]
	v_add_u32_e32 v10, v10, v11
	s_and_saveexec_b64 s[16:17], s[4:5]
	s_cbranch_execz .LBB2096_95
; %bb.94:
	v_lshlrev_b32_e32 v11, 2, v49
	ds_write_b32 v11, v10
.LBB2096_95:
	s_or_b64 exec, exec, s[16:17]
	v_cmp_gt_u32_e32 vcc, 4, v0
	s_waitcnt lgkmcnt(0)
	s_barrier
	s_and_saveexec_b64 s[16:17], vcc
	s_cbranch_execz .LBB2096_97
; %bb.96:
	v_lshlrev_b32_e32 v11, 2, v0
	ds_read_b32 v20, v11
	v_and_b32_e32 v21, 3, v48
	v_cmp_ne_u32_e32 vcc, 0, v21
	s_waitcnt lgkmcnt(0)
	v_mov_b32_dpp v22, v20 row_shr:1 row_mask:0xf bank_mask:0xf
	v_cndmask_b32_e32 v22, 0, v22, vcc
	v_add_u32_e32 v20, v22, v20
	v_cmp_lt_u32_e32 vcc, 1, v21
	s_nop 0
	v_mov_b32_dpp v22, v20 row_shr:2 row_mask:0xf bank_mask:0xf
	v_cndmask_b32_e32 v21, 0, v22, vcc
	v_add_u32_e32 v20, v20, v21
	ds_write_b32 v11, v20
.LBB2096_97:
	s_or_b64 exec, exec, s[16:17]
	v_cmp_gt_u32_e32 vcc, 64, v0
	v_cmp_lt_u32_e64 s[16:17], 63, v0
	s_waitcnt lgkmcnt(0)
	s_barrier
	s_waitcnt lgkmcnt(0)
                                        ; implicit-def: $vgpr51
	s_and_saveexec_b64 s[36:37], s[16:17]
	s_cbranch_execz .LBB2096_99
; %bb.98:
	v_lshl_add_u32 v11, v49, 2, -4
	ds_read_b32 v51, v11
	s_waitcnt lgkmcnt(0)
	v_add_u32_e32 v10, v51, v10
.LBB2096_99:
	s_or_b64 exec, exec, s[36:37]
	v_add_u32_e32 v11, -1, v48
	v_and_b32_e32 v20, 64, v48
	v_cmp_lt_i32_e64 s[16:17], v11, v20
	v_cndmask_b32_e64 v11, v11, v48, s[16:17]
	v_lshlrev_b32_e32 v11, 2, v11
	ds_bpermute_b32 v52, v11, v10
	v_cmp_eq_u32_e64 s[16:17], 0, v48
	s_and_saveexec_b64 s[36:37], vcc
	s_cbranch_execz .LBB2096_118
; %bb.100:
	v_mov_b32_e32 v25, 0
	ds_read_b32 v10, v25 offset:12
	s_and_saveexec_b64 s[38:39], s[16:17]
	s_cbranch_execz .LBB2096_102
; %bb.101:
	s_add_i32 s40, s42, 64
	s_mov_b32 s41, 0
	s_lshl_b64 s[40:41], s[40:41], 3
	s_add_u32 s40, s34, s40
	v_mov_b32_e32 v11, 1
	s_addc_u32 s41, s35, s41
	s_waitcnt lgkmcnt(0)
	global_store_dwordx2 v25, v[10:11], s[40:41]
.LBB2096_102:
	s_or_b64 exec, exec, s[38:39]
	v_xad_u32 v20, v48, -1, s42
	v_add_u32_e32 v24, 64, v20
	v_lshlrev_b64 v[22:23], 3, v[24:25]
	v_mov_b32_e32 v11, s35
	v_add_co_u32_e32 v26, vcc, s34, v22
	v_addc_co_u32_e32 v27, vcc, v11, v23, vcc
	global_load_dwordx2 v[22:23], v[26:27], off glc
	s_waitcnt vmcnt(0)
	v_cmp_eq_u16_sdwa s[40:41], v23, v25 src0_sel:BYTE_0 src1_sel:DWORD
	s_and_saveexec_b64 s[38:39], s[40:41]
	s_cbranch_execz .LBB2096_106
; %bb.103:
	s_mov_b64 s[40:41], 0
	v_mov_b32_e32 v11, 0
.LBB2096_104:                           ; =>This Inner Loop Header: Depth=1
	global_load_dwordx2 v[22:23], v[26:27], off glc
	s_waitcnt vmcnt(0)
	v_cmp_ne_u16_sdwa s[44:45], v23, v11 src0_sel:BYTE_0 src1_sel:DWORD
	s_or_b64 s[40:41], s[44:45], s[40:41]
	s_andn2_b64 exec, exec, s[40:41]
	s_cbranch_execnz .LBB2096_104
; %bb.105:
	s_or_b64 exec, exec, s[40:41]
.LBB2096_106:
	s_or_b64 exec, exec, s[38:39]
	v_and_b32_e32 v54, 63, v48
	v_mov_b32_e32 v53, 2
	v_cmp_ne_u32_e32 vcc, 63, v54
	v_cmp_eq_u16_sdwa s[38:39], v23, v53 src0_sel:BYTE_0 src1_sel:DWORD
	v_lshlrev_b64 v[24:25], v48, -1
	v_addc_co_u32_e32 v26, vcc, 0, v48, vcc
	v_and_b32_e32 v11, s39, v25
	v_lshlrev_b32_e32 v55, 2, v26
	v_or_b32_e32 v11, 0x80000000, v11
	ds_bpermute_b32 v26, v55, v22
	v_and_b32_e32 v21, s38, v24
	v_ffbl_b32_e32 v11, v11
	v_add_u32_e32 v11, 32, v11
	v_ffbl_b32_e32 v21, v21
	v_min_u32_e32 v11, v21, v11
	v_cmp_lt_u32_e32 vcc, v54, v11
	s_waitcnt lgkmcnt(0)
	v_cndmask_b32_e32 v21, 0, v26, vcc
	v_cmp_gt_u32_e32 vcc, 62, v54
	v_add_u32_e32 v21, v21, v22
	v_cndmask_b32_e64 v22, 0, 1, vcc
	v_lshlrev_b32_e32 v22, 1, v22
	v_add_lshl_u32 v56, v22, v48, 2
	ds_bpermute_b32 v22, v56, v21
	v_add_u32_e32 v57, 2, v54
	v_cmp_le_u32_e32 vcc, v57, v11
	v_add_u32_e32 v59, 4, v54
	v_add_u32_e32 v61, 8, v54
	s_waitcnt lgkmcnt(0)
	v_cndmask_b32_e32 v22, 0, v22, vcc
	v_cmp_gt_u32_e32 vcc, 60, v54
	v_add_u32_e32 v21, v21, v22
	v_cndmask_b32_e64 v22, 0, 1, vcc
	v_lshlrev_b32_e32 v22, 2, v22
	v_add_lshl_u32 v58, v22, v48, 2
	ds_bpermute_b32 v22, v58, v21
	v_cmp_le_u32_e32 vcc, v59, v11
	v_add_u32_e32 v63, 16, v54
	v_add_u32_e32 v65, 32, v54
	s_waitcnt lgkmcnt(0)
	v_cndmask_b32_e32 v22, 0, v22, vcc
	v_cmp_gt_u32_e32 vcc, 56, v54
	v_add_u32_e32 v21, v21, v22
	v_cndmask_b32_e64 v22, 0, 1, vcc
	v_lshlrev_b32_e32 v22, 3, v22
	v_add_lshl_u32 v60, v22, v48, 2
	ds_bpermute_b32 v22, v60, v21
	v_cmp_le_u32_e32 vcc, v61, v11
	s_waitcnt lgkmcnt(0)
	v_cndmask_b32_e32 v22, 0, v22, vcc
	v_cmp_gt_u32_e32 vcc, 48, v54
	v_add_u32_e32 v21, v21, v22
	v_cndmask_b32_e64 v22, 0, 1, vcc
	v_lshlrev_b32_e32 v22, 4, v22
	v_add_lshl_u32 v62, v22, v48, 2
	ds_bpermute_b32 v22, v62, v21
	v_cmp_le_u32_e32 vcc, v63, v11
	;; [unrolled: 9-line block ×3, first 2 shown]
	s_waitcnt lgkmcnt(0)
	v_cndmask_b32_e32 v11, 0, v22, vcc
	v_add_u32_e32 v22, v21, v11
	v_mov_b32_e32 v21, 0
	s_branch .LBB2096_108
.LBB2096_107:                           ;   in Loop: Header=BB2096_108 Depth=1
	s_or_b64 exec, exec, s[38:39]
	v_cmp_eq_u16_sdwa s[38:39], v23, v53 src0_sel:BYTE_0 src1_sel:DWORD
	v_and_b32_e32 v26, s39, v25
	v_or_b32_e32 v26, 0x80000000, v26
	ds_bpermute_b32 v66, v55, v22
	v_and_b32_e32 v27, s38, v24
	v_ffbl_b32_e32 v26, v26
	v_add_u32_e32 v26, 32, v26
	v_ffbl_b32_e32 v27, v27
	v_min_u32_e32 v26, v27, v26
	v_cmp_lt_u32_e32 vcc, v54, v26
	s_waitcnt lgkmcnt(0)
	v_cndmask_b32_e32 v27, 0, v66, vcc
	v_add_u32_e32 v22, v27, v22
	ds_bpermute_b32 v27, v56, v22
	v_cmp_le_u32_e32 vcc, v57, v26
	v_subrev_u32_e32 v20, 64, v20
	s_waitcnt lgkmcnt(0)
	v_cndmask_b32_e32 v27, 0, v27, vcc
	v_add_u32_e32 v22, v22, v27
	ds_bpermute_b32 v27, v58, v22
	v_cmp_le_u32_e32 vcc, v59, v26
	s_waitcnt lgkmcnt(0)
	v_cndmask_b32_e32 v27, 0, v27, vcc
	v_add_u32_e32 v22, v22, v27
	ds_bpermute_b32 v27, v60, v22
	v_cmp_le_u32_e32 vcc, v61, v26
	;; [unrolled: 5-line block ×4, first 2 shown]
	s_waitcnt lgkmcnt(0)
	v_cndmask_b32_e32 v26, 0, v27, vcc
	v_add3_u32 v22, v26, v11, v22
.LBB2096_108:                           ; =>This Loop Header: Depth=1
                                        ;     Child Loop BB2096_111 Depth 2
	v_cmp_ne_u16_sdwa s[38:39], v23, v53 src0_sel:BYTE_0 src1_sel:DWORD
	v_cndmask_b32_e64 v11, 0, 1, s[38:39]
	;;#ASMSTART
	;;#ASMEND
	v_cmp_ne_u32_e32 vcc, 0, v11
	s_cmp_lg_u64 vcc, exec
	v_mov_b32_e32 v11, v22
	s_cbranch_scc1 .LBB2096_113
; %bb.109:                              ;   in Loop: Header=BB2096_108 Depth=1
	v_lshlrev_b64 v[22:23], 3, v[20:21]
	v_mov_b32_e32 v27, s35
	v_add_co_u32_e32 v26, vcc, s34, v22
	v_addc_co_u32_e32 v27, vcc, v27, v23, vcc
	global_load_dwordx2 v[22:23], v[26:27], off glc
	s_waitcnt vmcnt(0)
	v_cmp_eq_u16_sdwa s[40:41], v23, v21 src0_sel:BYTE_0 src1_sel:DWORD
	s_and_saveexec_b64 s[38:39], s[40:41]
	s_cbranch_execz .LBB2096_107
; %bb.110:                              ;   in Loop: Header=BB2096_108 Depth=1
	s_mov_b64 s[40:41], 0
.LBB2096_111:                           ;   Parent Loop BB2096_108 Depth=1
                                        ; =>  This Inner Loop Header: Depth=2
	global_load_dwordx2 v[22:23], v[26:27], off glc
	s_waitcnt vmcnt(0)
	v_cmp_ne_u16_sdwa s[44:45], v23, v21 src0_sel:BYTE_0 src1_sel:DWORD
	s_or_b64 s[40:41], s[44:45], s[40:41]
	s_andn2_b64 exec, exec, s[40:41]
	s_cbranch_execnz .LBB2096_111
; %bb.112:                              ;   in Loop: Header=BB2096_108 Depth=1
	s_or_b64 exec, exec, s[40:41]
	s_branch .LBB2096_107
.LBB2096_113:                           ;   in Loop: Header=BB2096_108 Depth=1
                                        ; implicit-def: $vgpr22
                                        ; implicit-def: $vgpr23
	s_cbranch_execz .LBB2096_108
; %bb.114:
	s_and_saveexec_b64 s[38:39], s[16:17]
	s_cbranch_execz .LBB2096_116
; %bb.115:
	s_add_i32 s40, s42, 64
	s_mov_b32 s41, 0
	s_lshl_b64 s[40:41], s[40:41], 3
	s_add_u32 s40, s34, s40
	v_add_u32_e32 v20, v11, v10
	v_mov_b32_e32 v21, 2
	s_addc_u32 s41, s35, s41
	v_mov_b32_e32 v22, 0
	global_store_dwordx2 v22, v[20:21], s[40:41]
	ds_write_b64 v22, v[10:11] offset:10240
.LBB2096_116:
	s_or_b64 exec, exec, s[38:39]
	s_and_b64 exec, exec, s[0:1]
	s_cbranch_execz .LBB2096_118
; %bb.117:
	v_mov_b32_e32 v10, 0
	ds_write_b32 v10, v11 offset:12
.LBB2096_118:
	s_or_b64 exec, exec, s[36:37]
	v_mov_b32_e32 v10, 0
	s_waitcnt lgkmcnt(0)
	s_barrier
	ds_read_b32 v20, v10 offset:12
	s_waitcnt lgkmcnt(0)
	s_barrier
	ds_read_b64 v[10:11], v10 offset:10240
	v_cndmask_b32_e64 v21, v52, v51, s[16:17]
	v_cndmask_b32_e64 v21, v21, 0, s[0:1]
	v_add_u32_e32 v24, v20, v21
	s_branch .LBB2096_129
.LBB2096_119:
                                        ; implicit-def: $vgpr11
                                        ; implicit-def: $vgpr24
	s_cbranch_execz .LBB2096_129
; %bb.120:
	s_waitcnt lgkmcnt(0)
	v_mov_b32_dpp v10, v50 row_shr:1 row_mask:0xf bank_mask:0xf
	v_cndmask_b32_e64 v10, v10, 0, s[14:15]
	v_add_u32_e32 v10, v10, v50
	s_nop 1
	v_mov_b32_dpp v11, v10 row_shr:2 row_mask:0xf bank_mask:0xf
	v_cndmask_b32_e64 v11, 0, v11, s[12:13]
	v_add_u32_e32 v10, v10, v11
	s_nop 1
	;; [unrolled: 4-line block ×4, first 2 shown]
	v_mov_b32_dpp v11, v10 row_bcast:15 row_mask:0xf bank_mask:0xf
	v_cndmask_b32_e64 v11, v11, 0, s[6:7]
	v_add_u32_e32 v10, v10, v11
	s_nop 1
	v_mov_b32_dpp v11, v10 row_bcast:31 row_mask:0xf bank_mask:0xf
	v_cndmask_b32_e64 v11, 0, v11, s[2:3]
	v_add_u32_e32 v10, v10, v11
	s_and_saveexec_b64 s[2:3], s[4:5]
	s_cbranch_execz .LBB2096_122
; %bb.121:
	v_lshlrev_b32_e32 v11, 2, v49
	ds_write_b32 v11, v10
.LBB2096_122:
	s_or_b64 exec, exec, s[2:3]
	v_cmp_gt_u32_e32 vcc, 4, v0
	s_waitcnt lgkmcnt(0)
	s_barrier
	s_and_saveexec_b64 s[2:3], vcc
	s_cbranch_execz .LBB2096_124
; %bb.123:
	v_lshlrev_b32_e32 v11, 2, v0
	ds_read_b32 v20, v11
	v_and_b32_e32 v21, 3, v48
	v_cmp_ne_u32_e32 vcc, 0, v21
	s_waitcnt lgkmcnt(0)
	v_mov_b32_dpp v22, v20 row_shr:1 row_mask:0xf bank_mask:0xf
	v_cndmask_b32_e32 v22, 0, v22, vcc
	v_add_u32_e32 v20, v22, v20
	v_cmp_lt_u32_e32 vcc, 1, v21
	s_nop 0
	v_mov_b32_dpp v22, v20 row_shr:2 row_mask:0xf bank_mask:0xf
	v_cndmask_b32_e32 v21, 0, v22, vcc
	v_add_u32_e32 v20, v20, v21
	ds_write_b32 v11, v20
.LBB2096_124:
	s_or_b64 exec, exec, s[2:3]
	v_cmp_lt_u32_e32 vcc, 63, v0
	v_mov_b32_e32 v11, 0
	v_mov_b32_e32 v20, 0
	s_waitcnt lgkmcnt(0)
	s_barrier
	s_and_saveexec_b64 s[2:3], vcc
	s_cbranch_execz .LBB2096_126
; %bb.125:
	v_lshl_add_u32 v20, v49, 2, -4
	ds_read_b32 v20, v20
.LBB2096_126:
	s_or_b64 exec, exec, s[2:3]
	v_add_u32_e32 v21, -1, v48
	v_and_b32_e32 v22, 64, v48
	v_cmp_lt_i32_e32 vcc, v21, v22
	v_cndmask_b32_e32 v21, v21, v48, vcc
	s_waitcnt lgkmcnt(0)
	v_add_u32_e32 v10, v20, v10
	v_lshlrev_b32_e32 v21, 2, v21
	ds_bpermute_b32 v21, v21, v10
	ds_read_b32 v10, v11 offset:12
	s_and_saveexec_b64 s[2:3], s[0:1]
	s_cbranch_execz .LBB2096_128
; %bb.127:
	v_mov_b32_e32 v22, 0
	v_mov_b32_e32 v11, 2
	s_waitcnt lgkmcnt(0)
	global_store_dwordx2 v22, v[10:11], s[34:35] offset:512
.LBB2096_128:
	s_or_b64 exec, exec, s[2:3]
	v_cmp_eq_u32_e32 vcc, 0, v48
	s_waitcnt lgkmcnt(1)
	v_cndmask_b32_e32 v20, v21, v20, vcc
	v_mov_b32_e32 v11, 0
	v_cndmask_b32_e64 v24, v20, 0, s[0:1]
	s_waitcnt lgkmcnt(0)
	s_barrier
.LBB2096_129:
	v_add_u32_sdwa v26, v24, v18 dst_sel:DWORD dst_unused:UNUSED_PAD src0_sel:DWORD src1_sel:BYTE_0
	s_waitcnt lgkmcnt(0)
	v_add_u32_e32 v28, v10, v28
	v_sub_u32_e32 v24, v24, v11
	v_and_b32_e32 v53, 1, v18
	v_sub_u32_e32 v52, v28, v24
	v_cmp_eq_u32_e32 vcc, 1, v53
	v_cndmask_b32_e32 v24, v52, v24, vcc
	v_lshlrev_b32_e32 v24, 1, v24
	v_lshrrev_b32_e32 v25, 8, v18
	ds_write_b16 v24, v6
	v_sub_u32_e32 v24, v26, v11
	v_add_u32_sdwa v27, v26, v18 dst_sel:DWORD dst_unused:UNUSED_PAD src0_sel:DWORD src1_sel:BYTE_1
	v_sub_u32_e32 v26, v28, v24
	v_and_b32_e32 v25, 1, v25
	v_add_u32_e32 v26, 1, v26
	v_cmp_eq_u32_e32 vcc, 1, v25
	v_cndmask_b32_e32 v24, v26, v24, vcc
	v_lshlrev_b32_e32 v24, 1, v24
	ds_write_b16_d16_hi v24, v6
	v_sub_u32_e32 v6, v27, v11
	v_mov_b32_e32 v25, 1
	v_sub_u32_e32 v24, v28, v6
	v_and_b32_sdwa v18, v25, v18 dst_sel:DWORD dst_unused:UNUSED_PAD src0_sel:DWORD src1_sel:WORD_1
	v_add_u32_e32 v24, 2, v24
	v_cmp_eq_u32_e32 vcc, 1, v18
	v_cndmask_b32_e32 v6, v24, v6, vcc
	v_add_u32_e32 v47, v27, v47
	v_lshlrev_b32_e32 v6, 1, v6
	ds_write_b16 v6, v7
	v_sub_u32_e32 v6, v47, v11
	v_sub_u32_e32 v18, v28, v6
	v_and_b32_e32 v24, 1, v35
	v_add_u32_e32 v18, 3, v18
	v_cmp_eq_u32_e32 vcc, 1, v24
	v_cndmask_b32_e32 v6, v18, v6, vcc
	v_add_u32_e32 v48, v47, v35
	v_lshlrev_b32_e32 v6, 1, v6
	ds_write_b16_d16_hi v6, v7
	v_sub_u32_e32 v6, v48, v11
	v_sub_u32_e32 v7, v28, v6
	v_and_b32_e32 v18, 1, v19
	v_add_u32_e32 v7, 4, v7
	v_cmp_eq_u32_e32 vcc, 1, v18
	v_cndmask_b32_e32 v6, v7, v6, vcc
	v_add_u32_e32 v44, v48, v44
	v_lshlrev_b32_e32 v6, 1, v6
	v_lshrrev_b32_e32 v23, 8, v19
	ds_write_b16 v6, v8
	v_sub_u32_e32 v6, v44, v11
	v_sub_u32_e32 v7, v28, v6
	v_and_b32_e32 v18, 1, v23
	v_add_u32_e32 v7, 5, v7
	v_cmp_eq_u32_e32 vcc, 1, v18
	v_cndmask_b32_e32 v6, v7, v6, vcc
	v_add_u32_e32 v45, v44, v45
	v_lshlrev_b32_e32 v6, 1, v6
	ds_write_b16_d16_hi v6, v8
	v_sub_u32_e32 v6, v45, v11
	v_sub_u32_e32 v7, v28, v6
	v_and_b32_sdwa v8, v25, v19 dst_sel:DWORD dst_unused:UNUSED_PAD src0_sel:DWORD src1_sel:WORD_1
	v_add_u32_e32 v7, 6, v7
	v_cmp_eq_u32_e32 vcc, 1, v8
	v_cndmask_b32_e32 v6, v7, v6, vcc
	v_add_u32_e32 v46, v45, v46
	v_lshlrev_b32_e32 v6, 1, v6
	ds_write_b16 v6, v9
	v_sub_u32_e32 v6, v46, v11
	v_sub_u32_e32 v7, v28, v6
	v_and_b32_e32 v8, 1, v34
	v_add_u32_e32 v7, 7, v7
	v_cmp_eq_u32_e32 vcc, 1, v8
	v_cndmask_b32_e32 v6, v7, v6, vcc
	v_add_u32_e32 v49, v46, v34
	v_lshlrev_b32_e32 v6, 1, v6
	ds_write_b16_d16_hi v6, v9
	v_sub_u32_e32 v6, v49, v11
	v_sub_u32_e32 v7, v28, v6
	v_and_b32_e32 v8, 1, v16
	v_add_u32_e32 v7, 8, v7
	v_cmp_eq_u32_e32 vcc, 1, v8
	v_cndmask_b32_e32 v6, v7, v6, vcc
	v_add_u32_e32 v41, v49, v41
	v_lshlrev_b32_e32 v6, 1, v6
	v_lshrrev_b32_e32 v22, 8, v16
	ds_write_b16 v6, v2
	v_sub_u32_e32 v6, v41, v11
	v_sub_u32_e32 v7, v28, v6
	v_and_b32_e32 v8, 1, v22
	v_add_u32_e32 v7, 9, v7
	v_cmp_eq_u32_e32 vcc, 1, v8
	v_cndmask_b32_e32 v6, v7, v6, vcc
	v_add_u32_e32 v42, v41, v42
	v_lshlrev_b32_e32 v6, 1, v6
	ds_write_b16_d16_hi v6, v2
	v_sub_u32_e32 v2, v42, v11
	v_sub_u32_e32 v6, v28, v2
	v_and_b32_sdwa v7, v25, v16 dst_sel:DWORD dst_unused:UNUSED_PAD src0_sel:DWORD src1_sel:WORD_1
	v_add_u32_e32 v6, 10, v6
	v_cmp_eq_u32_e32 vcc, 1, v7
	v_cndmask_b32_e32 v2, v6, v2, vcc
	v_add_u32_e32 v43, v42, v43
	v_lshlrev_b32_e32 v2, 1, v2
	ds_write_b16 v2, v3
	v_sub_u32_e32 v2, v43, v11
	v_sub_u32_e32 v6, v28, v2
	v_and_b32_e32 v7, 1, v33
	v_add_u32_e32 v6, 11, v6
	v_cmp_eq_u32_e32 vcc, 1, v7
	v_cndmask_b32_e32 v2, v6, v2, vcc
	v_add_u32_e32 v50, v43, v33
	v_lshlrev_b32_e32 v2, 1, v2
	ds_write_b16_d16_hi v2, v3
	v_sub_u32_e32 v2, v50, v11
	v_sub_u32_e32 v3, v28, v2
	v_and_b32_e32 v6, 1, v17
	v_add_u32_e32 v3, 12, v3
	v_cmp_eq_u32_e32 vcc, 1, v6
	v_cndmask_b32_e32 v2, v3, v2, vcc
	v_add_u32_e32 v38, v50, v38
	v_lshlrev_b32_e32 v2, 1, v2
	v_lshrrev_b32_e32 v21, 8, v17
	ds_write_b16 v2, v4
	v_sub_u32_e32 v2, v38, v11
	v_sub_u32_e32 v3, v28, v2
	v_and_b32_e32 v6, 1, v21
	v_add_u32_e32 v3, 13, v3
	v_cmp_eq_u32_e32 vcc, 1, v6
	v_cndmask_b32_e32 v2, v3, v2, vcc
	v_add_u32_e32 v39, v38, v39
	v_lshlrev_b32_e32 v2, 1, v2
	ds_write_b16_d16_hi v2, v4
	v_sub_u32_e32 v2, v39, v11
	v_sub_u32_e32 v3, v28, v2
	v_and_b32_sdwa v4, v25, v17 dst_sel:DWORD dst_unused:UNUSED_PAD src0_sel:DWORD src1_sel:WORD_1
	v_add_u32_e32 v3, 14, v3
	v_cmp_eq_u32_e32 vcc, 1, v4
	v_cndmask_b32_e32 v2, v3, v2, vcc
	v_add_u32_e32 v40, v39, v40
	v_lshlrev_b32_e32 v2, 1, v2
	ds_write_b16 v2, v5
	v_sub_u32_e32 v2, v40, v11
	v_sub_u32_e32 v3, v28, v2
	v_and_b32_e32 v4, 1, v32
	v_add_u32_e32 v3, 15, v3
	v_cmp_eq_u32_e32 vcc, 1, v4
	v_cndmask_b32_e32 v2, v3, v2, vcc
	v_add_u32_e32 v51, v40, v32
	v_lshlrev_b32_e32 v2, 1, v2
	ds_write_b16_d16_hi v2, v5
	v_sub_u32_e32 v2, v51, v11
	v_sub_u32_e32 v3, v28, v2
	v_and_b32_e32 v4, 1, v30
	v_add_u32_e32 v3, 16, v3
	v_cmp_eq_u32_e32 vcc, 1, v4
	v_cndmask_b32_e32 v2, v3, v2, vcc
	v_add_u32_e32 v36, v51, v36
	v_lshlrev_b32_e32 v2, 1, v2
	v_lshrrev_b32_e32 v20, 8, v30
	ds_write_b16 v2, v14
	v_sub_u32_e32 v2, v36, v11
	v_sub_u32_e32 v3, v28, v2
	v_and_b32_e32 v4, 1, v20
	v_add_u32_e32 v3, 17, v3
	v_cmp_eq_u32_e32 vcc, 1, v4
	v_cndmask_b32_e32 v2, v3, v2, vcc
	v_add_u32_e32 v37, v36, v37
	v_lshlrev_b32_e32 v2, 1, v2
	ds_write_b16_d16_hi v2, v14
	v_sub_u32_e32 v2, v37, v11
	v_sub_u32_e32 v3, v28, v2
	v_and_b32_sdwa v4, v25, v30 dst_sel:DWORD dst_unused:UNUSED_PAD src0_sel:DWORD src1_sel:WORD_1
	v_add_u32_e32 v3, 18, v3
	v_cmp_eq_u32_e32 vcc, 1, v4
	v_cndmask_b32_e32 v2, v3, v2, vcc
	v_lshlrev_b32_e32 v2, 1, v2
	ds_write_b16 v2, v15
	v_sub_u32_e32 v2, v31, v11
	v_add_u32_e32 v2, v37, v2
	v_sub_u32_e32 v3, v28, v2
	v_and_b32_e32 v4, 1, v29
	v_add_u32_e32 v3, 19, v3
	v_cmp_eq_u32_e32 vcc, 1, v4
	v_cndmask_b32_e32 v2, v3, v2, vcc
	v_lshlrev_b32_e32 v2, 1, v2
	ds_write_b16_d16_hi v2, v15
	s_waitcnt lgkmcnt(0)
	s_barrier
	ds_read_u16 v49, v1
	ds_read_u16 v47, v1 offset:512
	ds_read_u16 v45, v1 offset:1024
	;; [unrolled: 1-line block ×19, first 2 shown]
	s_add_u32 s2, s18, s28
	s_addc_u32 s3, s19, 0
	s_waitcnt vmcnt(0)
	v_add_co_u32_e32 v1, vcc, v12, v11
	s_sub_u32 s2, s26, s2
	v_addc_co_u32_e32 v4, vcc, 0, v13, vcc
	s_subb_u32 s3, s27, s3
	v_mov_b32_e32 v2, s3
	v_add_co_u32_e32 v3, vcc, s2, v10
	v_addc_co_u32_e32 v2, vcc, 0, v2, vcc
	v_add_co_u32_e64 v7, s[2:3], v3, v1
	v_or_b32_e32 v48, 0x100, v0
	v_or_b32_e32 v46, 0x200, v0
	;; [unrolled: 1-line block ×19, first 2 shown]
	s_andn2_b64 vcc, exec, s[30:31]
	v_addc_co_u32_e64 v8, s[2:3], v2, v4, s[2:3]
	s_cbranch_vccnz .LBB2096_214
; %bb.130:
	v_cmp_ge_u32_e32 vcc, v0, v10
                                        ; implicit-def: $vgpr2_vgpr3
	s_and_saveexec_b64 s[2:3], vcc
	s_xor_b64 s[2:3], exec, s[2:3]
; %bb.131:
	v_not_b32_e32 v2, v0
	v_ashrrev_i32_e32 v3, 31, v2
	v_add_co_u32_e32 v2, vcc, v7, v2
	v_addc_co_u32_e32 v3, vcc, v8, v3, vcc
; %bb.132:
	s_andn2_saveexec_b64 s[2:3], s[2:3]
; %bb.133:
	v_add_co_u32_e32 v2, vcc, v1, v0
	v_addc_co_u32_e32 v3, vcc, 0, v4, vcc
; %bb.134:
	s_or_b64 exec, exec, s[2:3]
	v_lshlrev_b64 v[2:3], 1, v[2:3]
	v_mov_b32_e32 v11, s25
	v_add_co_u32_e32 v2, vcc, s24, v2
	v_addc_co_u32_e32 v3, vcc, v11, v3, vcc
	v_cmp_ge_u32_e32 vcc, v48, v10
	s_waitcnt lgkmcnt(14)
	global_store_short v[2:3], v49, off
                                        ; implicit-def: $vgpr2_vgpr3
	s_and_saveexec_b64 s[2:3], vcc
	s_xor_b64 s[2:3], exec, s[2:3]
; %bb.135:
	v_xor_b32_e32 v2, 0xfffffeff, v0
	v_ashrrev_i32_e32 v3, 31, v2
	v_add_co_u32_e32 v2, vcc, v7, v2
	v_addc_co_u32_e32 v3, vcc, v8, v3, vcc
; %bb.136:
	s_andn2_saveexec_b64 s[2:3], s[2:3]
; %bb.137:
	v_add_co_u32_e32 v2, vcc, v1, v48
	v_addc_co_u32_e32 v3, vcc, 0, v4, vcc
; %bb.138:
	s_or_b64 exec, exec, s[2:3]
	v_lshlrev_b64 v[2:3], 1, v[2:3]
	v_mov_b32_e32 v11, s25
	v_add_co_u32_e32 v2, vcc, s24, v2
	v_addc_co_u32_e32 v3, vcc, v11, v3, vcc
	v_cmp_ge_u32_e32 vcc, v46, v10
	global_store_short v[2:3], v47, off
                                        ; implicit-def: $vgpr2_vgpr3
	s_and_saveexec_b64 s[2:3], vcc
	s_xor_b64 s[2:3], exec, s[2:3]
; %bb.139:
	v_xor_b32_e32 v2, 0xfffffdff, v0
	v_ashrrev_i32_e32 v3, 31, v2
	v_add_co_u32_e32 v2, vcc, v7, v2
	v_addc_co_u32_e32 v3, vcc, v8, v3, vcc
; %bb.140:
	s_andn2_saveexec_b64 s[2:3], s[2:3]
; %bb.141:
	v_add_co_u32_e32 v2, vcc, v1, v46
	v_addc_co_u32_e32 v3, vcc, 0, v4, vcc
; %bb.142:
	s_or_b64 exec, exec, s[2:3]
	v_lshlrev_b64 v[2:3], 1, v[2:3]
	v_mov_b32_e32 v11, s25
	v_add_co_u32_e32 v2, vcc, s24, v2
	v_addc_co_u32_e32 v3, vcc, v11, v3, vcc
	v_cmp_ge_u32_e32 vcc, v44, v10
	global_store_short v[2:3], v45, off
                                        ; implicit-def: $vgpr2_vgpr3
	s_and_saveexec_b64 s[2:3], vcc
	s_xor_b64 s[2:3], exec, s[2:3]
; %bb.143:
	v_xor_b32_e32 v2, 0xfffffcff, v0
	v_ashrrev_i32_e32 v3, 31, v2
	v_add_co_u32_e32 v2, vcc, v7, v2
	v_addc_co_u32_e32 v3, vcc, v8, v3, vcc
; %bb.144:
	s_andn2_saveexec_b64 s[2:3], s[2:3]
; %bb.145:
	v_add_co_u32_e32 v2, vcc, v1, v44
	v_addc_co_u32_e32 v3, vcc, 0, v4, vcc
; %bb.146:
	s_or_b64 exec, exec, s[2:3]
	v_lshlrev_b64 v[2:3], 1, v[2:3]
	v_mov_b32_e32 v11, s25
	v_add_co_u32_e32 v2, vcc, s24, v2
	v_addc_co_u32_e32 v3, vcc, v11, v3, vcc
	v_cmp_ge_u32_e32 vcc, v42, v10
	global_store_short v[2:3], v43, off
                                        ; implicit-def: $vgpr2_vgpr3
	s_and_saveexec_b64 s[2:3], vcc
	s_xor_b64 s[2:3], exec, s[2:3]
; %bb.147:
	v_xor_b32_e32 v2, 0xfffffbff, v0
	v_ashrrev_i32_e32 v3, 31, v2
	v_add_co_u32_e32 v2, vcc, v7, v2
	v_addc_co_u32_e32 v3, vcc, v8, v3, vcc
; %bb.148:
	s_andn2_saveexec_b64 s[2:3], s[2:3]
; %bb.149:
	v_add_co_u32_e32 v2, vcc, v1, v42
	v_addc_co_u32_e32 v3, vcc, 0, v4, vcc
; %bb.150:
	s_or_b64 exec, exec, s[2:3]
	v_lshlrev_b64 v[2:3], 1, v[2:3]
	v_mov_b32_e32 v11, s25
	v_add_co_u32_e32 v2, vcc, s24, v2
	v_addc_co_u32_e32 v3, vcc, v11, v3, vcc
	v_cmp_ge_u32_e32 vcc, v40, v10
	global_store_short v[2:3], v41, off
                                        ; implicit-def: $vgpr2_vgpr3
	s_and_saveexec_b64 s[2:3], vcc
	s_xor_b64 s[2:3], exec, s[2:3]
; %bb.151:
	v_xor_b32_e32 v2, 0xfffffaff, v0
	v_ashrrev_i32_e32 v3, 31, v2
	v_add_co_u32_e32 v2, vcc, v7, v2
	v_addc_co_u32_e32 v3, vcc, v8, v3, vcc
; %bb.152:
	s_andn2_saveexec_b64 s[2:3], s[2:3]
; %bb.153:
	v_add_co_u32_e32 v2, vcc, v1, v40
	v_addc_co_u32_e32 v3, vcc, 0, v4, vcc
; %bb.154:
	s_or_b64 exec, exec, s[2:3]
	v_lshlrev_b64 v[2:3], 1, v[2:3]
	v_mov_b32_e32 v11, s25
	v_add_co_u32_e32 v2, vcc, s24, v2
	v_addc_co_u32_e32 v3, vcc, v11, v3, vcc
	v_cmp_ge_u32_e32 vcc, v38, v10
	global_store_short v[2:3], v39, off
                                        ; implicit-def: $vgpr2_vgpr3
	s_and_saveexec_b64 s[2:3], vcc
	s_xor_b64 s[2:3], exec, s[2:3]
; %bb.155:
	v_xor_b32_e32 v2, 0xfffff9ff, v0
	v_ashrrev_i32_e32 v3, 31, v2
	v_add_co_u32_e32 v2, vcc, v7, v2
	v_addc_co_u32_e32 v3, vcc, v8, v3, vcc
; %bb.156:
	s_andn2_saveexec_b64 s[2:3], s[2:3]
; %bb.157:
	v_add_co_u32_e32 v2, vcc, v1, v38
	v_addc_co_u32_e32 v3, vcc, 0, v4, vcc
; %bb.158:
	s_or_b64 exec, exec, s[2:3]
	v_lshlrev_b64 v[2:3], 1, v[2:3]
	v_mov_b32_e32 v11, s25
	v_add_co_u32_e32 v2, vcc, s24, v2
	v_addc_co_u32_e32 v3, vcc, v11, v3, vcc
	v_cmp_ge_u32_e32 vcc, v36, v10
	s_waitcnt lgkmcnt(13)
	global_store_short v[2:3], v37, off
                                        ; implicit-def: $vgpr2_vgpr3
	s_and_saveexec_b64 s[2:3], vcc
	s_xor_b64 s[2:3], exec, s[2:3]
; %bb.159:
	v_xor_b32_e32 v2, 0xfffff8ff, v0
	v_ashrrev_i32_e32 v3, 31, v2
	v_add_co_u32_e32 v2, vcc, v7, v2
	v_addc_co_u32_e32 v3, vcc, v8, v3, vcc
; %bb.160:
	s_andn2_saveexec_b64 s[2:3], s[2:3]
; %bb.161:
	v_add_co_u32_e32 v2, vcc, v1, v36
	v_addc_co_u32_e32 v3, vcc, 0, v4, vcc
; %bb.162:
	s_or_b64 exec, exec, s[2:3]
	v_lshlrev_b64 v[2:3], 1, v[2:3]
	v_mov_b32_e32 v11, s25
	v_add_co_u32_e32 v2, vcc, s24, v2
	v_addc_co_u32_e32 v3, vcc, v11, v3, vcc
	v_cmp_ge_u32_e32 vcc, v34, v10
	s_waitcnt lgkmcnt(12)
	global_store_short v[2:3], v35, off
                                        ; implicit-def: $vgpr2_vgpr3
	s_and_saveexec_b64 s[2:3], vcc
	s_xor_b64 s[2:3], exec, s[2:3]
; %bb.163:
	v_xor_b32_e32 v2, 0xfffff7ff, v0
	v_ashrrev_i32_e32 v3, 31, v2
	v_add_co_u32_e32 v2, vcc, v7, v2
	v_addc_co_u32_e32 v3, vcc, v8, v3, vcc
; %bb.164:
	s_andn2_saveexec_b64 s[2:3], s[2:3]
; %bb.165:
	v_add_co_u32_e32 v2, vcc, v1, v34
	v_addc_co_u32_e32 v3, vcc, 0, v4, vcc
; %bb.166:
	s_or_b64 exec, exec, s[2:3]
	v_lshlrev_b64 v[2:3], 1, v[2:3]
	v_mov_b32_e32 v11, s25
	v_add_co_u32_e32 v2, vcc, s24, v2
	v_addc_co_u32_e32 v3, vcc, v11, v3, vcc
	v_cmp_ge_u32_e32 vcc, v32, v10
	;; [unrolled: 22-line block ×12, first 2 shown]
	s_waitcnt lgkmcnt(1)
	global_store_short v[2:3], v9, off
                                        ; implicit-def: $vgpr2_vgpr3
	s_and_saveexec_b64 s[2:3], vcc
	s_xor_b64 s[2:3], exec, s[2:3]
; %bb.207:
	v_xor_b32_e32 v2, 0xffffecff, v0
	v_ashrrev_i32_e32 v3, 31, v2
	v_add_co_u32_e32 v2, vcc, v7, v2
	v_addc_co_u32_e32 v3, vcc, v8, v3, vcc
; %bb.208:
	s_andn2_saveexec_b64 s[2:3], s[2:3]
; %bb.209:
	v_add_co_u32_e32 v2, vcc, v1, v6
	v_addc_co_u32_e32 v3, vcc, 0, v4, vcc
; %bb.210:
	s_or_b64 exec, exec, s[2:3]
	s_mov_b64 s[2:3], -1
.LBB2096_211:
	s_and_saveexec_b64 s[4:5], s[2:3]
	s_cbranch_execz .LBB2096_272
.LBB2096_212:
	v_lshlrev_b64 v[2:3], 1, v[2:3]
	v_mov_b32_e32 v0, s25
	v_add_co_u32_e32 v2, vcc, s24, v2
	v_addc_co_u32_e32 v3, vcc, v0, v3, vcc
	s_waitcnt lgkmcnt(0)
	global_store_short v[2:3], v5, off
	s_or_b64 exec, exec, s[4:5]
	s_and_b64 s[0:1], s[0:1], s[22:23]
	s_and_saveexec_b64 s[2:3], s[0:1]
	s_cbranch_execnz .LBB2096_273
.LBB2096_213:
	s_endpgm
.LBB2096_214:
	s_mov_b64 s[2:3], 0
                                        ; implicit-def: $vgpr2_vgpr3
	s_cbranch_execz .LBB2096_211
; %bb.215:
	v_cmp_gt_u32_e32 vcc, s33, v0
	s_and_saveexec_b64 s[4:5], vcc
	s_cbranch_execz .LBB2096_274
; %bb.216:
	v_cmp_ge_u32_e32 vcc, v0, v10
                                        ; implicit-def: $vgpr2_vgpr3
	s_and_saveexec_b64 s[6:7], vcc
	s_xor_b64 s[6:7], exec, s[6:7]
; %bb.217:
	v_not_b32_e32 v2, v0
	v_ashrrev_i32_e32 v3, 31, v2
	v_add_co_u32_e32 v2, vcc, v7, v2
	v_addc_co_u32_e32 v3, vcc, v8, v3, vcc
; %bb.218:
	s_andn2_saveexec_b64 s[6:7], s[6:7]
; %bb.219:
	v_add_co_u32_e32 v2, vcc, v1, v0
	v_addc_co_u32_e32 v3, vcc, 0, v4, vcc
; %bb.220:
	s_or_b64 exec, exec, s[6:7]
	v_lshlrev_b64 v[2:3], 1, v[2:3]
	v_mov_b32_e32 v11, s25
	v_add_co_u32_e32 v2, vcc, s24, v2
	v_addc_co_u32_e32 v3, vcc, v11, v3, vcc
	s_waitcnt lgkmcnt(14)
	global_store_short v[2:3], v49, off
	s_or_b64 exec, exec, s[4:5]
	v_cmp_gt_u32_e32 vcc, s33, v48
	s_and_saveexec_b64 s[4:5], vcc
	s_cbranch_execnz .LBB2096_275
.LBB2096_221:
	s_or_b64 exec, exec, s[4:5]
	v_cmp_gt_u32_e32 vcc, s33, v46
	s_and_saveexec_b64 s[4:5], vcc
	s_cbranch_execz .LBB2096_280
.LBB2096_222:
	v_cmp_ge_u32_e32 vcc, v46, v10
                                        ; implicit-def: $vgpr2_vgpr3
	s_and_saveexec_b64 s[6:7], vcc
	s_xor_b64 s[6:7], exec, s[6:7]
; %bb.223:
	v_xor_b32_e32 v2, 0xfffffdff, v0
	v_ashrrev_i32_e32 v3, 31, v2
	v_add_co_u32_e32 v2, vcc, v7, v2
	v_addc_co_u32_e32 v3, vcc, v8, v3, vcc
                                        ; implicit-def: $vgpr46
; %bb.224:
	s_andn2_saveexec_b64 s[6:7], s[6:7]
; %bb.225:
	v_add_co_u32_e32 v2, vcc, v1, v46
	v_addc_co_u32_e32 v3, vcc, 0, v4, vcc
; %bb.226:
	s_or_b64 exec, exec, s[6:7]
	v_lshlrev_b64 v[2:3], 1, v[2:3]
	v_mov_b32_e32 v11, s25
	v_add_co_u32_e32 v2, vcc, s24, v2
	v_addc_co_u32_e32 v3, vcc, v11, v3, vcc
	s_waitcnt lgkmcnt(14)
	global_store_short v[2:3], v45, off
	s_or_b64 exec, exec, s[4:5]
	v_cmp_gt_u32_e32 vcc, s33, v44
	s_and_saveexec_b64 s[4:5], vcc
	s_cbranch_execnz .LBB2096_281
.LBB2096_227:
	s_or_b64 exec, exec, s[4:5]
	v_cmp_gt_u32_e32 vcc, s33, v42
	s_and_saveexec_b64 s[4:5], vcc
	s_cbranch_execz .LBB2096_286
.LBB2096_228:
	v_cmp_ge_u32_e32 vcc, v42, v10
                                        ; implicit-def: $vgpr2_vgpr3
	s_and_saveexec_b64 s[6:7], vcc
	s_xor_b64 s[6:7], exec, s[6:7]
; %bb.229:
	v_xor_b32_e32 v2, 0xfffffbff, v0
	v_ashrrev_i32_e32 v3, 31, v2
	v_add_co_u32_e32 v2, vcc, v7, v2
	v_addc_co_u32_e32 v3, vcc, v8, v3, vcc
                                        ; implicit-def: $vgpr42
; %bb.230:
	s_andn2_saveexec_b64 s[6:7], s[6:7]
; %bb.231:
	v_add_co_u32_e32 v2, vcc, v1, v42
	v_addc_co_u32_e32 v3, vcc, 0, v4, vcc
; %bb.232:
	s_or_b64 exec, exec, s[6:7]
	v_lshlrev_b64 v[2:3], 1, v[2:3]
	v_mov_b32_e32 v11, s25
	v_add_co_u32_e32 v2, vcc, s24, v2
	v_addc_co_u32_e32 v3, vcc, v11, v3, vcc
	s_waitcnt lgkmcnt(14)
	global_store_short v[2:3], v41, off
	s_or_b64 exec, exec, s[4:5]
	v_cmp_gt_u32_e32 vcc, s33, v40
	s_and_saveexec_b64 s[4:5], vcc
	s_cbranch_execnz .LBB2096_287
.LBB2096_233:
	s_or_b64 exec, exec, s[4:5]
	v_cmp_gt_u32_e32 vcc, s33, v38
	s_and_saveexec_b64 s[4:5], vcc
	s_cbranch_execz .LBB2096_292
.LBB2096_234:
	v_cmp_ge_u32_e32 vcc, v38, v10
                                        ; implicit-def: $vgpr2_vgpr3
	s_and_saveexec_b64 s[6:7], vcc
	s_xor_b64 s[6:7], exec, s[6:7]
; %bb.235:
	v_xor_b32_e32 v2, 0xfffff9ff, v0
	v_ashrrev_i32_e32 v3, 31, v2
	v_add_co_u32_e32 v2, vcc, v7, v2
	v_addc_co_u32_e32 v3, vcc, v8, v3, vcc
                                        ; implicit-def: $vgpr38
; %bb.236:
	s_andn2_saveexec_b64 s[6:7], s[6:7]
; %bb.237:
	v_add_co_u32_e32 v2, vcc, v1, v38
	v_addc_co_u32_e32 v3, vcc, 0, v4, vcc
; %bb.238:
	s_or_b64 exec, exec, s[6:7]
	v_lshlrev_b64 v[2:3], 1, v[2:3]
	v_mov_b32_e32 v11, s25
	v_add_co_u32_e32 v2, vcc, s24, v2
	v_addc_co_u32_e32 v3, vcc, v11, v3, vcc
	s_waitcnt lgkmcnt(13)
	global_store_short v[2:3], v37, off
	s_or_b64 exec, exec, s[4:5]
	v_cmp_gt_u32_e32 vcc, s33, v36
	s_and_saveexec_b64 s[4:5], vcc
	s_cbranch_execnz .LBB2096_293
.LBB2096_239:
	s_or_b64 exec, exec, s[4:5]
	v_cmp_gt_u32_e32 vcc, s33, v34
	s_and_saveexec_b64 s[4:5], vcc
	s_cbranch_execz .LBB2096_298
.LBB2096_240:
	v_cmp_ge_u32_e32 vcc, v34, v10
                                        ; implicit-def: $vgpr2_vgpr3
	s_and_saveexec_b64 s[6:7], vcc
	s_xor_b64 s[6:7], exec, s[6:7]
; %bb.241:
	v_xor_b32_e32 v2, 0xfffff7ff, v0
	v_ashrrev_i32_e32 v3, 31, v2
	v_add_co_u32_e32 v2, vcc, v7, v2
	v_addc_co_u32_e32 v3, vcc, v8, v3, vcc
                                        ; implicit-def: $vgpr34
; %bb.242:
	s_andn2_saveexec_b64 s[6:7], s[6:7]
; %bb.243:
	v_add_co_u32_e32 v2, vcc, v1, v34
	v_addc_co_u32_e32 v3, vcc, 0, v4, vcc
; %bb.244:
	s_or_b64 exec, exec, s[6:7]
	v_lshlrev_b64 v[2:3], 1, v[2:3]
	v_mov_b32_e32 v11, s25
	v_add_co_u32_e32 v2, vcc, s24, v2
	v_addc_co_u32_e32 v3, vcc, v11, v3, vcc
	s_waitcnt lgkmcnt(11)
	global_store_short v[2:3], v33, off
	s_or_b64 exec, exec, s[4:5]
	v_cmp_gt_u32_e32 vcc, s33, v32
	s_and_saveexec_b64 s[4:5], vcc
	s_cbranch_execnz .LBB2096_299
.LBB2096_245:
	s_or_b64 exec, exec, s[4:5]
	v_cmp_gt_u32_e32 vcc, s33, v30
	s_and_saveexec_b64 s[4:5], vcc
	s_cbranch_execz .LBB2096_304
.LBB2096_246:
	v_cmp_ge_u32_e32 vcc, v30, v10
                                        ; implicit-def: $vgpr2_vgpr3
	s_and_saveexec_b64 s[6:7], vcc
	s_xor_b64 s[6:7], exec, s[6:7]
; %bb.247:
	v_xor_b32_e32 v2, 0xfffff5ff, v0
	v_ashrrev_i32_e32 v3, 31, v2
	v_add_co_u32_e32 v2, vcc, v7, v2
	v_addc_co_u32_e32 v3, vcc, v8, v3, vcc
                                        ; implicit-def: $vgpr30
; %bb.248:
	s_andn2_saveexec_b64 s[6:7], s[6:7]
; %bb.249:
	v_add_co_u32_e32 v2, vcc, v1, v30
	v_addc_co_u32_e32 v3, vcc, 0, v4, vcc
; %bb.250:
	s_or_b64 exec, exec, s[6:7]
	v_lshlrev_b64 v[2:3], 1, v[2:3]
	v_mov_b32_e32 v11, s25
	v_add_co_u32_e32 v2, vcc, s24, v2
	v_addc_co_u32_e32 v3, vcc, v11, v3, vcc
	s_waitcnt lgkmcnt(9)
	global_store_short v[2:3], v29, off
	s_or_b64 exec, exec, s[4:5]
	v_cmp_gt_u32_e32 vcc, s33, v28
	s_and_saveexec_b64 s[4:5], vcc
	s_cbranch_execnz .LBB2096_305
.LBB2096_251:
	s_or_b64 exec, exec, s[4:5]
	v_cmp_gt_u32_e32 vcc, s33, v26
	s_and_saveexec_b64 s[4:5], vcc
	s_cbranch_execz .LBB2096_310
.LBB2096_252:
	v_cmp_ge_u32_e32 vcc, v26, v10
                                        ; implicit-def: $vgpr2_vgpr3
	s_and_saveexec_b64 s[6:7], vcc
	s_xor_b64 s[6:7], exec, s[6:7]
; %bb.253:
	v_xor_b32_e32 v2, 0xfffff3ff, v0
	v_ashrrev_i32_e32 v3, 31, v2
	v_add_co_u32_e32 v2, vcc, v7, v2
	v_addc_co_u32_e32 v3, vcc, v8, v3, vcc
                                        ; implicit-def: $vgpr26
; %bb.254:
	s_andn2_saveexec_b64 s[6:7], s[6:7]
; %bb.255:
	v_add_co_u32_e32 v2, vcc, v1, v26
	v_addc_co_u32_e32 v3, vcc, 0, v4, vcc
; %bb.256:
	s_or_b64 exec, exec, s[6:7]
	v_lshlrev_b64 v[2:3], 1, v[2:3]
	v_mov_b32_e32 v11, s25
	v_add_co_u32_e32 v2, vcc, s24, v2
	v_addc_co_u32_e32 v3, vcc, v11, v3, vcc
	s_waitcnt lgkmcnt(7)
	global_store_short v[2:3], v25, off
	s_or_b64 exec, exec, s[4:5]
	v_cmp_gt_u32_e32 vcc, s33, v24
	s_and_saveexec_b64 s[4:5], vcc
	s_cbranch_execnz .LBB2096_311
.LBB2096_257:
	s_or_b64 exec, exec, s[4:5]
	v_cmp_gt_u32_e32 vcc, s33, v22
	s_and_saveexec_b64 s[4:5], vcc
	s_cbranch_execz .LBB2096_316
.LBB2096_258:
	v_cmp_ge_u32_e32 vcc, v22, v10
                                        ; implicit-def: $vgpr2_vgpr3
	s_and_saveexec_b64 s[6:7], vcc
	s_xor_b64 s[6:7], exec, s[6:7]
; %bb.259:
	v_xor_b32_e32 v2, 0xfffff1ff, v0
	v_ashrrev_i32_e32 v3, 31, v2
	v_add_co_u32_e32 v2, vcc, v7, v2
	v_addc_co_u32_e32 v3, vcc, v8, v3, vcc
                                        ; implicit-def: $vgpr22
; %bb.260:
	s_andn2_saveexec_b64 s[6:7], s[6:7]
; %bb.261:
	v_add_co_u32_e32 v2, vcc, v1, v22
	v_addc_co_u32_e32 v3, vcc, 0, v4, vcc
; %bb.262:
	s_or_b64 exec, exec, s[6:7]
	v_lshlrev_b64 v[2:3], 1, v[2:3]
	v_mov_b32_e32 v11, s25
	v_add_co_u32_e32 v2, vcc, s24, v2
	v_addc_co_u32_e32 v3, vcc, v11, v3, vcc
	s_waitcnt lgkmcnt(5)
	global_store_short v[2:3], v21, off
	s_or_b64 exec, exec, s[4:5]
	v_cmp_gt_u32_e32 vcc, s33, v20
	s_and_saveexec_b64 s[4:5], vcc
	s_cbranch_execnz .LBB2096_317
.LBB2096_263:
	s_or_b64 exec, exec, s[4:5]
	v_cmp_gt_u32_e32 vcc, s33, v18
	s_and_saveexec_b64 s[4:5], vcc
	s_cbranch_execz .LBB2096_322
.LBB2096_264:
	v_cmp_ge_u32_e32 vcc, v18, v10
                                        ; implicit-def: $vgpr2_vgpr3
	s_and_saveexec_b64 s[6:7], vcc
	s_xor_b64 s[6:7], exec, s[6:7]
; %bb.265:
	v_xor_b32_e32 v2, 0xffffefff, v0
	v_ashrrev_i32_e32 v3, 31, v2
	v_add_co_u32_e32 v2, vcc, v7, v2
	v_addc_co_u32_e32 v3, vcc, v8, v3, vcc
                                        ; implicit-def: $vgpr18
; %bb.266:
	s_andn2_saveexec_b64 s[6:7], s[6:7]
; %bb.267:
	v_add_co_u32_e32 v2, vcc, v1, v18
	v_addc_co_u32_e32 v3, vcc, 0, v4, vcc
; %bb.268:
	s_or_b64 exec, exec, s[6:7]
	v_lshlrev_b64 v[2:3], 1, v[2:3]
	v_mov_b32_e32 v11, s25
	v_add_co_u32_e32 v2, vcc, s24, v2
	v_addc_co_u32_e32 v3, vcc, v11, v3, vcc
	s_waitcnt lgkmcnt(3)
	global_store_short v[2:3], v17, off
	s_or_b64 exec, exec, s[4:5]
	v_cmp_gt_u32_e32 vcc, s33, v16
	s_and_saveexec_b64 s[4:5], vcc
	s_cbranch_execnz .LBB2096_323
.LBB2096_269:
	s_or_b64 exec, exec, s[4:5]
	v_cmp_gt_u32_e32 vcc, s33, v14
	s_and_saveexec_b64 s[4:5], vcc
	s_cbranch_execnz .LBB2096_328
.LBB2096_270:
	s_or_b64 exec, exec, s[4:5]
	v_cmp_gt_u32_e32 vcc, s33, v6
                                        ; implicit-def: $vgpr2_vgpr3
	s_and_saveexec_b64 s[4:5], vcc
	s_cbranch_execnz .LBB2096_333
.LBB2096_271:
	s_or_b64 exec, exec, s[4:5]
	s_and_saveexec_b64 s[4:5], s[2:3]
	s_cbranch_execnz .LBB2096_212
.LBB2096_272:
	s_or_b64 exec, exec, s[4:5]
	s_and_b64 s[0:1], s[0:1], s[22:23]
	s_and_saveexec_b64 s[2:3], s[0:1]
	s_cbranch_execz .LBB2096_213
.LBB2096_273:
	v_add_co_u32_e32 v0, vcc, v1, v10
	v_mov_b32_e32 v2, 0
	v_addc_co_u32_e32 v1, vcc, 0, v4, vcc
	global_store_dwordx2 v2, v[0:1], s[20:21]
	s_endpgm
.LBB2096_274:
	s_or_b64 exec, exec, s[4:5]
	v_cmp_gt_u32_e32 vcc, s33, v48
	s_and_saveexec_b64 s[4:5], vcc
	s_cbranch_execz .LBB2096_221
.LBB2096_275:
	v_cmp_ge_u32_e32 vcc, v48, v10
                                        ; implicit-def: $vgpr2_vgpr3
	s_and_saveexec_b64 s[6:7], vcc
	s_xor_b64 s[6:7], exec, s[6:7]
; %bb.276:
	v_xor_b32_e32 v2, 0xfffffeff, v0
	v_ashrrev_i32_e32 v3, 31, v2
	v_add_co_u32_e32 v2, vcc, v7, v2
	v_addc_co_u32_e32 v3, vcc, v8, v3, vcc
                                        ; implicit-def: $vgpr48
; %bb.277:
	s_andn2_saveexec_b64 s[6:7], s[6:7]
; %bb.278:
	v_add_co_u32_e32 v2, vcc, v1, v48
	v_addc_co_u32_e32 v3, vcc, 0, v4, vcc
; %bb.279:
	s_or_b64 exec, exec, s[6:7]
	v_lshlrev_b64 v[2:3], 1, v[2:3]
	v_mov_b32_e32 v11, s25
	v_add_co_u32_e32 v2, vcc, s24, v2
	v_addc_co_u32_e32 v3, vcc, v11, v3, vcc
	s_waitcnt lgkmcnt(14)
	global_store_short v[2:3], v47, off
	s_or_b64 exec, exec, s[4:5]
	v_cmp_gt_u32_e32 vcc, s33, v46
	s_and_saveexec_b64 s[4:5], vcc
	s_cbranch_execnz .LBB2096_222
.LBB2096_280:
	s_or_b64 exec, exec, s[4:5]
	v_cmp_gt_u32_e32 vcc, s33, v44
	s_and_saveexec_b64 s[4:5], vcc
	s_cbranch_execz .LBB2096_227
.LBB2096_281:
	v_cmp_ge_u32_e32 vcc, v44, v10
                                        ; implicit-def: $vgpr2_vgpr3
	s_and_saveexec_b64 s[6:7], vcc
	s_xor_b64 s[6:7], exec, s[6:7]
; %bb.282:
	v_xor_b32_e32 v2, 0xfffffcff, v0
	v_ashrrev_i32_e32 v3, 31, v2
	v_add_co_u32_e32 v2, vcc, v7, v2
	v_addc_co_u32_e32 v3, vcc, v8, v3, vcc
                                        ; implicit-def: $vgpr44
; %bb.283:
	s_andn2_saveexec_b64 s[6:7], s[6:7]
; %bb.284:
	v_add_co_u32_e32 v2, vcc, v1, v44
	v_addc_co_u32_e32 v3, vcc, 0, v4, vcc
; %bb.285:
	s_or_b64 exec, exec, s[6:7]
	v_lshlrev_b64 v[2:3], 1, v[2:3]
	v_mov_b32_e32 v11, s25
	v_add_co_u32_e32 v2, vcc, s24, v2
	v_addc_co_u32_e32 v3, vcc, v11, v3, vcc
	s_waitcnt lgkmcnt(14)
	global_store_short v[2:3], v43, off
	s_or_b64 exec, exec, s[4:5]
	v_cmp_gt_u32_e32 vcc, s33, v42
	s_and_saveexec_b64 s[4:5], vcc
	s_cbranch_execnz .LBB2096_228
.LBB2096_286:
	s_or_b64 exec, exec, s[4:5]
	v_cmp_gt_u32_e32 vcc, s33, v40
	s_and_saveexec_b64 s[4:5], vcc
	s_cbranch_execz .LBB2096_233
.LBB2096_287:
	v_cmp_ge_u32_e32 vcc, v40, v10
                                        ; implicit-def: $vgpr2_vgpr3
	s_and_saveexec_b64 s[6:7], vcc
	s_xor_b64 s[6:7], exec, s[6:7]
; %bb.288:
	v_xor_b32_e32 v2, 0xfffffaff, v0
	v_ashrrev_i32_e32 v3, 31, v2
	v_add_co_u32_e32 v2, vcc, v7, v2
	v_addc_co_u32_e32 v3, vcc, v8, v3, vcc
                                        ; implicit-def: $vgpr40
; %bb.289:
	s_andn2_saveexec_b64 s[6:7], s[6:7]
; %bb.290:
	v_add_co_u32_e32 v2, vcc, v1, v40
	v_addc_co_u32_e32 v3, vcc, 0, v4, vcc
; %bb.291:
	s_or_b64 exec, exec, s[6:7]
	v_lshlrev_b64 v[2:3], 1, v[2:3]
	v_mov_b32_e32 v11, s25
	v_add_co_u32_e32 v2, vcc, s24, v2
	v_addc_co_u32_e32 v3, vcc, v11, v3, vcc
	s_waitcnt lgkmcnt(14)
	global_store_short v[2:3], v39, off
	s_or_b64 exec, exec, s[4:5]
	v_cmp_gt_u32_e32 vcc, s33, v38
	s_and_saveexec_b64 s[4:5], vcc
	s_cbranch_execnz .LBB2096_234
.LBB2096_292:
	s_or_b64 exec, exec, s[4:5]
	v_cmp_gt_u32_e32 vcc, s33, v36
	s_and_saveexec_b64 s[4:5], vcc
	s_cbranch_execz .LBB2096_239
.LBB2096_293:
	v_cmp_ge_u32_e32 vcc, v36, v10
                                        ; implicit-def: $vgpr2_vgpr3
	s_and_saveexec_b64 s[6:7], vcc
	s_xor_b64 s[6:7], exec, s[6:7]
; %bb.294:
	v_xor_b32_e32 v2, 0xfffff8ff, v0
	v_ashrrev_i32_e32 v3, 31, v2
	v_add_co_u32_e32 v2, vcc, v7, v2
	v_addc_co_u32_e32 v3, vcc, v8, v3, vcc
                                        ; implicit-def: $vgpr36
; %bb.295:
	s_andn2_saveexec_b64 s[6:7], s[6:7]
; %bb.296:
	v_add_co_u32_e32 v2, vcc, v1, v36
	v_addc_co_u32_e32 v3, vcc, 0, v4, vcc
; %bb.297:
	s_or_b64 exec, exec, s[6:7]
	v_lshlrev_b64 v[2:3], 1, v[2:3]
	v_mov_b32_e32 v11, s25
	v_add_co_u32_e32 v2, vcc, s24, v2
	v_addc_co_u32_e32 v3, vcc, v11, v3, vcc
	s_waitcnt lgkmcnt(12)
	global_store_short v[2:3], v35, off
	s_or_b64 exec, exec, s[4:5]
	v_cmp_gt_u32_e32 vcc, s33, v34
	s_and_saveexec_b64 s[4:5], vcc
	s_cbranch_execnz .LBB2096_240
.LBB2096_298:
	s_or_b64 exec, exec, s[4:5]
	v_cmp_gt_u32_e32 vcc, s33, v32
	s_and_saveexec_b64 s[4:5], vcc
	s_cbranch_execz .LBB2096_245
.LBB2096_299:
	v_cmp_ge_u32_e32 vcc, v32, v10
                                        ; implicit-def: $vgpr2_vgpr3
	s_and_saveexec_b64 s[6:7], vcc
	s_xor_b64 s[6:7], exec, s[6:7]
; %bb.300:
	v_xor_b32_e32 v2, 0xfffff6ff, v0
	v_ashrrev_i32_e32 v3, 31, v2
	v_add_co_u32_e32 v2, vcc, v7, v2
	v_addc_co_u32_e32 v3, vcc, v8, v3, vcc
                                        ; implicit-def: $vgpr32
; %bb.301:
	s_andn2_saveexec_b64 s[6:7], s[6:7]
; %bb.302:
	v_add_co_u32_e32 v2, vcc, v1, v32
	v_addc_co_u32_e32 v3, vcc, 0, v4, vcc
; %bb.303:
	s_or_b64 exec, exec, s[6:7]
	v_lshlrev_b64 v[2:3], 1, v[2:3]
	v_mov_b32_e32 v11, s25
	v_add_co_u32_e32 v2, vcc, s24, v2
	v_addc_co_u32_e32 v3, vcc, v11, v3, vcc
	s_waitcnt lgkmcnt(10)
	global_store_short v[2:3], v31, off
	s_or_b64 exec, exec, s[4:5]
	v_cmp_gt_u32_e32 vcc, s33, v30
	s_and_saveexec_b64 s[4:5], vcc
	s_cbranch_execnz .LBB2096_246
.LBB2096_304:
	s_or_b64 exec, exec, s[4:5]
	v_cmp_gt_u32_e32 vcc, s33, v28
	s_and_saveexec_b64 s[4:5], vcc
	s_cbranch_execz .LBB2096_251
.LBB2096_305:
	v_cmp_ge_u32_e32 vcc, v28, v10
                                        ; implicit-def: $vgpr2_vgpr3
	s_and_saveexec_b64 s[6:7], vcc
	s_xor_b64 s[6:7], exec, s[6:7]
; %bb.306:
	v_xor_b32_e32 v2, 0xfffff4ff, v0
	v_ashrrev_i32_e32 v3, 31, v2
	v_add_co_u32_e32 v2, vcc, v7, v2
	v_addc_co_u32_e32 v3, vcc, v8, v3, vcc
                                        ; implicit-def: $vgpr28
; %bb.307:
	s_andn2_saveexec_b64 s[6:7], s[6:7]
; %bb.308:
	v_add_co_u32_e32 v2, vcc, v1, v28
	v_addc_co_u32_e32 v3, vcc, 0, v4, vcc
; %bb.309:
	s_or_b64 exec, exec, s[6:7]
	v_lshlrev_b64 v[2:3], 1, v[2:3]
	v_mov_b32_e32 v11, s25
	v_add_co_u32_e32 v2, vcc, s24, v2
	v_addc_co_u32_e32 v3, vcc, v11, v3, vcc
	s_waitcnt lgkmcnt(8)
	global_store_short v[2:3], v27, off
	s_or_b64 exec, exec, s[4:5]
	v_cmp_gt_u32_e32 vcc, s33, v26
	s_and_saveexec_b64 s[4:5], vcc
	s_cbranch_execnz .LBB2096_252
.LBB2096_310:
	s_or_b64 exec, exec, s[4:5]
	v_cmp_gt_u32_e32 vcc, s33, v24
	s_and_saveexec_b64 s[4:5], vcc
	s_cbranch_execz .LBB2096_257
.LBB2096_311:
	v_cmp_ge_u32_e32 vcc, v24, v10
                                        ; implicit-def: $vgpr2_vgpr3
	s_and_saveexec_b64 s[6:7], vcc
	s_xor_b64 s[6:7], exec, s[6:7]
; %bb.312:
	v_xor_b32_e32 v2, 0xfffff2ff, v0
	v_ashrrev_i32_e32 v3, 31, v2
	v_add_co_u32_e32 v2, vcc, v7, v2
	v_addc_co_u32_e32 v3, vcc, v8, v3, vcc
                                        ; implicit-def: $vgpr24
; %bb.313:
	s_andn2_saveexec_b64 s[6:7], s[6:7]
; %bb.314:
	v_add_co_u32_e32 v2, vcc, v1, v24
	v_addc_co_u32_e32 v3, vcc, 0, v4, vcc
; %bb.315:
	s_or_b64 exec, exec, s[6:7]
	v_lshlrev_b64 v[2:3], 1, v[2:3]
	v_mov_b32_e32 v11, s25
	v_add_co_u32_e32 v2, vcc, s24, v2
	v_addc_co_u32_e32 v3, vcc, v11, v3, vcc
	s_waitcnt lgkmcnt(6)
	global_store_short v[2:3], v23, off
	s_or_b64 exec, exec, s[4:5]
	v_cmp_gt_u32_e32 vcc, s33, v22
	s_and_saveexec_b64 s[4:5], vcc
	s_cbranch_execnz .LBB2096_258
.LBB2096_316:
	s_or_b64 exec, exec, s[4:5]
	v_cmp_gt_u32_e32 vcc, s33, v20
	s_and_saveexec_b64 s[4:5], vcc
	s_cbranch_execz .LBB2096_263
.LBB2096_317:
	v_cmp_ge_u32_e32 vcc, v20, v10
                                        ; implicit-def: $vgpr2_vgpr3
	s_and_saveexec_b64 s[6:7], vcc
	s_xor_b64 s[6:7], exec, s[6:7]
; %bb.318:
	v_xor_b32_e32 v2, 0xfffff0ff, v0
	v_ashrrev_i32_e32 v3, 31, v2
	v_add_co_u32_e32 v2, vcc, v7, v2
	v_addc_co_u32_e32 v3, vcc, v8, v3, vcc
                                        ; implicit-def: $vgpr20
; %bb.319:
	s_andn2_saveexec_b64 s[6:7], s[6:7]
; %bb.320:
	v_add_co_u32_e32 v2, vcc, v1, v20
	v_addc_co_u32_e32 v3, vcc, 0, v4, vcc
; %bb.321:
	s_or_b64 exec, exec, s[6:7]
	v_lshlrev_b64 v[2:3], 1, v[2:3]
	v_mov_b32_e32 v11, s25
	v_add_co_u32_e32 v2, vcc, s24, v2
	v_addc_co_u32_e32 v3, vcc, v11, v3, vcc
	s_waitcnt lgkmcnt(4)
	global_store_short v[2:3], v19, off
	s_or_b64 exec, exec, s[4:5]
	v_cmp_gt_u32_e32 vcc, s33, v18
	s_and_saveexec_b64 s[4:5], vcc
	s_cbranch_execnz .LBB2096_264
.LBB2096_322:
	s_or_b64 exec, exec, s[4:5]
	v_cmp_gt_u32_e32 vcc, s33, v16
	s_and_saveexec_b64 s[4:5], vcc
	s_cbranch_execz .LBB2096_269
.LBB2096_323:
	v_cmp_ge_u32_e32 vcc, v16, v10
                                        ; implicit-def: $vgpr2_vgpr3
	s_and_saveexec_b64 s[6:7], vcc
	s_xor_b64 s[6:7], exec, s[6:7]
; %bb.324:
	v_xor_b32_e32 v2, 0xffffeeff, v0
	v_ashrrev_i32_e32 v3, 31, v2
	v_add_co_u32_e32 v2, vcc, v7, v2
	v_addc_co_u32_e32 v3, vcc, v8, v3, vcc
                                        ; implicit-def: $vgpr16
; %bb.325:
	s_andn2_saveexec_b64 s[6:7], s[6:7]
; %bb.326:
	v_add_co_u32_e32 v2, vcc, v1, v16
	v_addc_co_u32_e32 v3, vcc, 0, v4, vcc
; %bb.327:
	s_or_b64 exec, exec, s[6:7]
	v_lshlrev_b64 v[2:3], 1, v[2:3]
	v_mov_b32_e32 v11, s25
	v_add_co_u32_e32 v2, vcc, s24, v2
	v_addc_co_u32_e32 v3, vcc, v11, v3, vcc
	s_waitcnt lgkmcnt(2)
	global_store_short v[2:3], v15, off
	s_or_b64 exec, exec, s[4:5]
	v_cmp_gt_u32_e32 vcc, s33, v14
	s_and_saveexec_b64 s[4:5], vcc
	s_cbranch_execz .LBB2096_270
.LBB2096_328:
	v_cmp_ge_u32_e32 vcc, v14, v10
                                        ; implicit-def: $vgpr2_vgpr3
	s_and_saveexec_b64 s[6:7], vcc
	s_xor_b64 s[6:7], exec, s[6:7]
; %bb.329:
	v_xor_b32_e32 v2, 0xffffedff, v0
	v_ashrrev_i32_e32 v3, 31, v2
	v_add_co_u32_e32 v2, vcc, v7, v2
	v_addc_co_u32_e32 v3, vcc, v8, v3, vcc
                                        ; implicit-def: $vgpr14
; %bb.330:
	s_andn2_saveexec_b64 s[6:7], s[6:7]
; %bb.331:
	v_add_co_u32_e32 v2, vcc, v1, v14
	v_addc_co_u32_e32 v3, vcc, 0, v4, vcc
; %bb.332:
	s_or_b64 exec, exec, s[6:7]
	v_lshlrev_b64 v[2:3], 1, v[2:3]
	v_mov_b32_e32 v11, s25
	v_add_co_u32_e32 v2, vcc, s24, v2
	v_addc_co_u32_e32 v3, vcc, v11, v3, vcc
	s_waitcnt lgkmcnt(1)
	global_store_short v[2:3], v9, off
	s_or_b64 exec, exec, s[4:5]
	v_cmp_gt_u32_e32 vcc, s33, v6
                                        ; implicit-def: $vgpr2_vgpr3
	s_and_saveexec_b64 s[4:5], vcc
	s_cbranch_execz .LBB2096_271
.LBB2096_333:
	v_cmp_ge_u32_e32 vcc, v6, v10
                                        ; implicit-def: $vgpr2_vgpr3
	s_and_saveexec_b64 s[6:7], vcc
	s_xor_b64 s[6:7], exec, s[6:7]
; %bb.334:
	v_xor_b32_e32 v0, 0xffffecff, v0
	v_ashrrev_i32_e32 v3, 31, v0
	v_add_co_u32_e32 v2, vcc, v7, v0
	v_addc_co_u32_e32 v3, vcc, v8, v3, vcc
                                        ; implicit-def: $vgpr6
; %bb.335:
	s_andn2_saveexec_b64 s[6:7], s[6:7]
; %bb.336:
	v_add_co_u32_e32 v2, vcc, v1, v6
	v_addc_co_u32_e32 v3, vcc, 0, v4, vcc
; %bb.337:
	s_or_b64 exec, exec, s[6:7]
	s_or_b64 s[2:3], s[2:3], exec
	s_or_b64 exec, exec, s[4:5]
	s_and_saveexec_b64 s[4:5], s[2:3]
	s_cbranch_execnz .LBB2096_212
	s_branch .LBB2096_272
	.section	.rodata,"a",@progbits
	.p2align	6, 0x0
	.amdhsa_kernel _ZN7rocprim17ROCPRIM_400000_NS6detail17trampoline_kernelINS0_14default_configENS1_25partition_config_selectorILNS1_17partition_subalgoE2EtNS0_10empty_typeEbEEZZNS1_14partition_implILS5_2ELb0ES3_jN6thrust23THRUST_200600_302600_NS6detail15normal_iteratorINSA_7pointerItNSA_11hip_rocprim3tagENSA_11use_defaultESG_EEEEPS6_NSA_18transform_iteratorI7is_evenItENSC_INSA_10device_ptrItEEEESG_SG_EENS0_5tupleIJPtSJ_EEENSR_IJSJ_SJ_EEES6_PlJS6_EEE10hipError_tPvRmT3_T4_T5_T6_T7_T9_mT8_P12ihipStream_tbDpT10_ENKUlT_T0_E_clISt17integral_constantIbLb0EES1E_IbLb1EEEEDaS1A_S1B_EUlS1A_E_NS1_11comp_targetILNS1_3genE4ELNS1_11target_archE910ELNS1_3gpuE8ELNS1_3repE0EEENS1_30default_config_static_selectorELNS0_4arch9wavefront6targetE1EEEvT1_
		.amdhsa_group_segment_fixed_size 10248
		.amdhsa_private_segment_fixed_size 0
		.amdhsa_kernarg_size 144
		.amdhsa_user_sgpr_count 6
		.amdhsa_user_sgpr_private_segment_buffer 1
		.amdhsa_user_sgpr_dispatch_ptr 0
		.amdhsa_user_sgpr_queue_ptr 0
		.amdhsa_user_sgpr_kernarg_segment_ptr 1
		.amdhsa_user_sgpr_dispatch_id 0
		.amdhsa_user_sgpr_flat_scratch_init 0
		.amdhsa_user_sgpr_kernarg_preload_length 0
		.amdhsa_user_sgpr_kernarg_preload_offset 0
		.amdhsa_user_sgpr_private_segment_size 0
		.amdhsa_uses_dynamic_stack 0
		.amdhsa_system_sgpr_private_segment_wavefront_offset 0
		.amdhsa_system_sgpr_workgroup_id_x 1
		.amdhsa_system_sgpr_workgroup_id_y 0
		.amdhsa_system_sgpr_workgroup_id_z 0
		.amdhsa_system_sgpr_workgroup_info 0
		.amdhsa_system_vgpr_workitem_id 0
		.amdhsa_next_free_vgpr 67
		.amdhsa_next_free_sgpr 46
		.amdhsa_accum_offset 68
		.amdhsa_reserve_vcc 1
		.amdhsa_reserve_flat_scratch 0
		.amdhsa_float_round_mode_32 0
		.amdhsa_float_round_mode_16_64 0
		.amdhsa_float_denorm_mode_32 3
		.amdhsa_float_denorm_mode_16_64 3
		.amdhsa_dx10_clamp 1
		.amdhsa_ieee_mode 1
		.amdhsa_fp16_overflow 0
		.amdhsa_tg_split 0
		.amdhsa_exception_fp_ieee_invalid_op 0
		.amdhsa_exception_fp_denorm_src 0
		.amdhsa_exception_fp_ieee_div_zero 0
		.amdhsa_exception_fp_ieee_overflow 0
		.amdhsa_exception_fp_ieee_underflow 0
		.amdhsa_exception_fp_ieee_inexact 0
		.amdhsa_exception_int_div_zero 0
	.end_amdhsa_kernel
	.section	.text._ZN7rocprim17ROCPRIM_400000_NS6detail17trampoline_kernelINS0_14default_configENS1_25partition_config_selectorILNS1_17partition_subalgoE2EtNS0_10empty_typeEbEEZZNS1_14partition_implILS5_2ELb0ES3_jN6thrust23THRUST_200600_302600_NS6detail15normal_iteratorINSA_7pointerItNSA_11hip_rocprim3tagENSA_11use_defaultESG_EEEEPS6_NSA_18transform_iteratorI7is_evenItENSC_INSA_10device_ptrItEEEESG_SG_EENS0_5tupleIJPtSJ_EEENSR_IJSJ_SJ_EEES6_PlJS6_EEE10hipError_tPvRmT3_T4_T5_T6_T7_T9_mT8_P12ihipStream_tbDpT10_ENKUlT_T0_E_clISt17integral_constantIbLb0EES1E_IbLb1EEEEDaS1A_S1B_EUlS1A_E_NS1_11comp_targetILNS1_3genE4ELNS1_11target_archE910ELNS1_3gpuE8ELNS1_3repE0EEENS1_30default_config_static_selectorELNS0_4arch9wavefront6targetE1EEEvT1_,"axG",@progbits,_ZN7rocprim17ROCPRIM_400000_NS6detail17trampoline_kernelINS0_14default_configENS1_25partition_config_selectorILNS1_17partition_subalgoE2EtNS0_10empty_typeEbEEZZNS1_14partition_implILS5_2ELb0ES3_jN6thrust23THRUST_200600_302600_NS6detail15normal_iteratorINSA_7pointerItNSA_11hip_rocprim3tagENSA_11use_defaultESG_EEEEPS6_NSA_18transform_iteratorI7is_evenItENSC_INSA_10device_ptrItEEEESG_SG_EENS0_5tupleIJPtSJ_EEENSR_IJSJ_SJ_EEES6_PlJS6_EEE10hipError_tPvRmT3_T4_T5_T6_T7_T9_mT8_P12ihipStream_tbDpT10_ENKUlT_T0_E_clISt17integral_constantIbLb0EES1E_IbLb1EEEEDaS1A_S1B_EUlS1A_E_NS1_11comp_targetILNS1_3genE4ELNS1_11target_archE910ELNS1_3gpuE8ELNS1_3repE0EEENS1_30default_config_static_selectorELNS0_4arch9wavefront6targetE1EEEvT1_,comdat
.Lfunc_end2096:
	.size	_ZN7rocprim17ROCPRIM_400000_NS6detail17trampoline_kernelINS0_14default_configENS1_25partition_config_selectorILNS1_17partition_subalgoE2EtNS0_10empty_typeEbEEZZNS1_14partition_implILS5_2ELb0ES3_jN6thrust23THRUST_200600_302600_NS6detail15normal_iteratorINSA_7pointerItNSA_11hip_rocprim3tagENSA_11use_defaultESG_EEEEPS6_NSA_18transform_iteratorI7is_evenItENSC_INSA_10device_ptrItEEEESG_SG_EENS0_5tupleIJPtSJ_EEENSR_IJSJ_SJ_EEES6_PlJS6_EEE10hipError_tPvRmT3_T4_T5_T6_T7_T9_mT8_P12ihipStream_tbDpT10_ENKUlT_T0_E_clISt17integral_constantIbLb0EES1E_IbLb1EEEEDaS1A_S1B_EUlS1A_E_NS1_11comp_targetILNS1_3genE4ELNS1_11target_archE910ELNS1_3gpuE8ELNS1_3repE0EEENS1_30default_config_static_selectorELNS0_4arch9wavefront6targetE1EEEvT1_, .Lfunc_end2096-_ZN7rocprim17ROCPRIM_400000_NS6detail17trampoline_kernelINS0_14default_configENS1_25partition_config_selectorILNS1_17partition_subalgoE2EtNS0_10empty_typeEbEEZZNS1_14partition_implILS5_2ELb0ES3_jN6thrust23THRUST_200600_302600_NS6detail15normal_iteratorINSA_7pointerItNSA_11hip_rocprim3tagENSA_11use_defaultESG_EEEEPS6_NSA_18transform_iteratorI7is_evenItENSC_INSA_10device_ptrItEEEESG_SG_EENS0_5tupleIJPtSJ_EEENSR_IJSJ_SJ_EEES6_PlJS6_EEE10hipError_tPvRmT3_T4_T5_T6_T7_T9_mT8_P12ihipStream_tbDpT10_ENKUlT_T0_E_clISt17integral_constantIbLb0EES1E_IbLb1EEEEDaS1A_S1B_EUlS1A_E_NS1_11comp_targetILNS1_3genE4ELNS1_11target_archE910ELNS1_3gpuE8ELNS1_3repE0EEENS1_30default_config_static_selectorELNS0_4arch9wavefront6targetE1EEEvT1_
                                        ; -- End function
	.section	.AMDGPU.csdata,"",@progbits
; Kernel info:
; codeLenInByte = 10892
; NumSgprs: 50
; NumVgprs: 67
; NumAgprs: 0
; TotalNumVgprs: 67
; ScratchSize: 0
; MemoryBound: 0
; FloatMode: 240
; IeeeMode: 1
; LDSByteSize: 10248 bytes/workgroup (compile time only)
; SGPRBlocks: 6
; VGPRBlocks: 8
; NumSGPRsForWavesPerEU: 50
; NumVGPRsForWavesPerEU: 67
; AccumOffset: 68
; Occupancy: 6
; WaveLimiterHint : 1
; COMPUTE_PGM_RSRC2:SCRATCH_EN: 0
; COMPUTE_PGM_RSRC2:USER_SGPR: 6
; COMPUTE_PGM_RSRC2:TRAP_HANDLER: 0
; COMPUTE_PGM_RSRC2:TGID_X_EN: 1
; COMPUTE_PGM_RSRC2:TGID_Y_EN: 0
; COMPUTE_PGM_RSRC2:TGID_Z_EN: 0
; COMPUTE_PGM_RSRC2:TIDIG_COMP_CNT: 0
; COMPUTE_PGM_RSRC3_GFX90A:ACCUM_OFFSET: 16
; COMPUTE_PGM_RSRC3_GFX90A:TG_SPLIT: 0
	.section	.text._ZN7rocprim17ROCPRIM_400000_NS6detail17trampoline_kernelINS0_14default_configENS1_25partition_config_selectorILNS1_17partition_subalgoE2EtNS0_10empty_typeEbEEZZNS1_14partition_implILS5_2ELb0ES3_jN6thrust23THRUST_200600_302600_NS6detail15normal_iteratorINSA_7pointerItNSA_11hip_rocprim3tagENSA_11use_defaultESG_EEEEPS6_NSA_18transform_iteratorI7is_evenItENSC_INSA_10device_ptrItEEEESG_SG_EENS0_5tupleIJPtSJ_EEENSR_IJSJ_SJ_EEES6_PlJS6_EEE10hipError_tPvRmT3_T4_T5_T6_T7_T9_mT8_P12ihipStream_tbDpT10_ENKUlT_T0_E_clISt17integral_constantIbLb0EES1E_IbLb1EEEEDaS1A_S1B_EUlS1A_E_NS1_11comp_targetILNS1_3genE3ELNS1_11target_archE908ELNS1_3gpuE7ELNS1_3repE0EEENS1_30default_config_static_selectorELNS0_4arch9wavefront6targetE1EEEvT1_,"axG",@progbits,_ZN7rocprim17ROCPRIM_400000_NS6detail17trampoline_kernelINS0_14default_configENS1_25partition_config_selectorILNS1_17partition_subalgoE2EtNS0_10empty_typeEbEEZZNS1_14partition_implILS5_2ELb0ES3_jN6thrust23THRUST_200600_302600_NS6detail15normal_iteratorINSA_7pointerItNSA_11hip_rocprim3tagENSA_11use_defaultESG_EEEEPS6_NSA_18transform_iteratorI7is_evenItENSC_INSA_10device_ptrItEEEESG_SG_EENS0_5tupleIJPtSJ_EEENSR_IJSJ_SJ_EEES6_PlJS6_EEE10hipError_tPvRmT3_T4_T5_T6_T7_T9_mT8_P12ihipStream_tbDpT10_ENKUlT_T0_E_clISt17integral_constantIbLb0EES1E_IbLb1EEEEDaS1A_S1B_EUlS1A_E_NS1_11comp_targetILNS1_3genE3ELNS1_11target_archE908ELNS1_3gpuE7ELNS1_3repE0EEENS1_30default_config_static_selectorELNS0_4arch9wavefront6targetE1EEEvT1_,comdat
	.protected	_ZN7rocprim17ROCPRIM_400000_NS6detail17trampoline_kernelINS0_14default_configENS1_25partition_config_selectorILNS1_17partition_subalgoE2EtNS0_10empty_typeEbEEZZNS1_14partition_implILS5_2ELb0ES3_jN6thrust23THRUST_200600_302600_NS6detail15normal_iteratorINSA_7pointerItNSA_11hip_rocprim3tagENSA_11use_defaultESG_EEEEPS6_NSA_18transform_iteratorI7is_evenItENSC_INSA_10device_ptrItEEEESG_SG_EENS0_5tupleIJPtSJ_EEENSR_IJSJ_SJ_EEES6_PlJS6_EEE10hipError_tPvRmT3_T4_T5_T6_T7_T9_mT8_P12ihipStream_tbDpT10_ENKUlT_T0_E_clISt17integral_constantIbLb0EES1E_IbLb1EEEEDaS1A_S1B_EUlS1A_E_NS1_11comp_targetILNS1_3genE3ELNS1_11target_archE908ELNS1_3gpuE7ELNS1_3repE0EEENS1_30default_config_static_selectorELNS0_4arch9wavefront6targetE1EEEvT1_ ; -- Begin function _ZN7rocprim17ROCPRIM_400000_NS6detail17trampoline_kernelINS0_14default_configENS1_25partition_config_selectorILNS1_17partition_subalgoE2EtNS0_10empty_typeEbEEZZNS1_14partition_implILS5_2ELb0ES3_jN6thrust23THRUST_200600_302600_NS6detail15normal_iteratorINSA_7pointerItNSA_11hip_rocprim3tagENSA_11use_defaultESG_EEEEPS6_NSA_18transform_iteratorI7is_evenItENSC_INSA_10device_ptrItEEEESG_SG_EENS0_5tupleIJPtSJ_EEENSR_IJSJ_SJ_EEES6_PlJS6_EEE10hipError_tPvRmT3_T4_T5_T6_T7_T9_mT8_P12ihipStream_tbDpT10_ENKUlT_T0_E_clISt17integral_constantIbLb0EES1E_IbLb1EEEEDaS1A_S1B_EUlS1A_E_NS1_11comp_targetILNS1_3genE3ELNS1_11target_archE908ELNS1_3gpuE7ELNS1_3repE0EEENS1_30default_config_static_selectorELNS0_4arch9wavefront6targetE1EEEvT1_
	.globl	_ZN7rocprim17ROCPRIM_400000_NS6detail17trampoline_kernelINS0_14default_configENS1_25partition_config_selectorILNS1_17partition_subalgoE2EtNS0_10empty_typeEbEEZZNS1_14partition_implILS5_2ELb0ES3_jN6thrust23THRUST_200600_302600_NS6detail15normal_iteratorINSA_7pointerItNSA_11hip_rocprim3tagENSA_11use_defaultESG_EEEEPS6_NSA_18transform_iteratorI7is_evenItENSC_INSA_10device_ptrItEEEESG_SG_EENS0_5tupleIJPtSJ_EEENSR_IJSJ_SJ_EEES6_PlJS6_EEE10hipError_tPvRmT3_T4_T5_T6_T7_T9_mT8_P12ihipStream_tbDpT10_ENKUlT_T0_E_clISt17integral_constantIbLb0EES1E_IbLb1EEEEDaS1A_S1B_EUlS1A_E_NS1_11comp_targetILNS1_3genE3ELNS1_11target_archE908ELNS1_3gpuE7ELNS1_3repE0EEENS1_30default_config_static_selectorELNS0_4arch9wavefront6targetE1EEEvT1_
	.p2align	8
	.type	_ZN7rocprim17ROCPRIM_400000_NS6detail17trampoline_kernelINS0_14default_configENS1_25partition_config_selectorILNS1_17partition_subalgoE2EtNS0_10empty_typeEbEEZZNS1_14partition_implILS5_2ELb0ES3_jN6thrust23THRUST_200600_302600_NS6detail15normal_iteratorINSA_7pointerItNSA_11hip_rocprim3tagENSA_11use_defaultESG_EEEEPS6_NSA_18transform_iteratorI7is_evenItENSC_INSA_10device_ptrItEEEESG_SG_EENS0_5tupleIJPtSJ_EEENSR_IJSJ_SJ_EEES6_PlJS6_EEE10hipError_tPvRmT3_T4_T5_T6_T7_T9_mT8_P12ihipStream_tbDpT10_ENKUlT_T0_E_clISt17integral_constantIbLb0EES1E_IbLb1EEEEDaS1A_S1B_EUlS1A_E_NS1_11comp_targetILNS1_3genE3ELNS1_11target_archE908ELNS1_3gpuE7ELNS1_3repE0EEENS1_30default_config_static_selectorELNS0_4arch9wavefront6targetE1EEEvT1_,@function
_ZN7rocprim17ROCPRIM_400000_NS6detail17trampoline_kernelINS0_14default_configENS1_25partition_config_selectorILNS1_17partition_subalgoE2EtNS0_10empty_typeEbEEZZNS1_14partition_implILS5_2ELb0ES3_jN6thrust23THRUST_200600_302600_NS6detail15normal_iteratorINSA_7pointerItNSA_11hip_rocprim3tagENSA_11use_defaultESG_EEEEPS6_NSA_18transform_iteratorI7is_evenItENSC_INSA_10device_ptrItEEEESG_SG_EENS0_5tupleIJPtSJ_EEENSR_IJSJ_SJ_EEES6_PlJS6_EEE10hipError_tPvRmT3_T4_T5_T6_T7_T9_mT8_P12ihipStream_tbDpT10_ENKUlT_T0_E_clISt17integral_constantIbLb0EES1E_IbLb1EEEEDaS1A_S1B_EUlS1A_E_NS1_11comp_targetILNS1_3genE3ELNS1_11target_archE908ELNS1_3gpuE7ELNS1_3repE0EEENS1_30default_config_static_selectorELNS0_4arch9wavefront6targetE1EEEvT1_: ; @_ZN7rocprim17ROCPRIM_400000_NS6detail17trampoline_kernelINS0_14default_configENS1_25partition_config_selectorILNS1_17partition_subalgoE2EtNS0_10empty_typeEbEEZZNS1_14partition_implILS5_2ELb0ES3_jN6thrust23THRUST_200600_302600_NS6detail15normal_iteratorINSA_7pointerItNSA_11hip_rocprim3tagENSA_11use_defaultESG_EEEEPS6_NSA_18transform_iteratorI7is_evenItENSC_INSA_10device_ptrItEEEESG_SG_EENS0_5tupleIJPtSJ_EEENSR_IJSJ_SJ_EEES6_PlJS6_EEE10hipError_tPvRmT3_T4_T5_T6_T7_T9_mT8_P12ihipStream_tbDpT10_ENKUlT_T0_E_clISt17integral_constantIbLb0EES1E_IbLb1EEEEDaS1A_S1B_EUlS1A_E_NS1_11comp_targetILNS1_3genE3ELNS1_11target_archE908ELNS1_3gpuE7ELNS1_3repE0EEENS1_30default_config_static_selectorELNS0_4arch9wavefront6targetE1EEEvT1_
; %bb.0:
	.section	.rodata,"a",@progbits
	.p2align	6, 0x0
	.amdhsa_kernel _ZN7rocprim17ROCPRIM_400000_NS6detail17trampoline_kernelINS0_14default_configENS1_25partition_config_selectorILNS1_17partition_subalgoE2EtNS0_10empty_typeEbEEZZNS1_14partition_implILS5_2ELb0ES3_jN6thrust23THRUST_200600_302600_NS6detail15normal_iteratorINSA_7pointerItNSA_11hip_rocprim3tagENSA_11use_defaultESG_EEEEPS6_NSA_18transform_iteratorI7is_evenItENSC_INSA_10device_ptrItEEEESG_SG_EENS0_5tupleIJPtSJ_EEENSR_IJSJ_SJ_EEES6_PlJS6_EEE10hipError_tPvRmT3_T4_T5_T6_T7_T9_mT8_P12ihipStream_tbDpT10_ENKUlT_T0_E_clISt17integral_constantIbLb0EES1E_IbLb1EEEEDaS1A_S1B_EUlS1A_E_NS1_11comp_targetILNS1_3genE3ELNS1_11target_archE908ELNS1_3gpuE7ELNS1_3repE0EEENS1_30default_config_static_selectorELNS0_4arch9wavefront6targetE1EEEvT1_
		.amdhsa_group_segment_fixed_size 0
		.amdhsa_private_segment_fixed_size 0
		.amdhsa_kernarg_size 144
		.amdhsa_user_sgpr_count 6
		.amdhsa_user_sgpr_private_segment_buffer 1
		.amdhsa_user_sgpr_dispatch_ptr 0
		.amdhsa_user_sgpr_queue_ptr 0
		.amdhsa_user_sgpr_kernarg_segment_ptr 1
		.amdhsa_user_sgpr_dispatch_id 0
		.amdhsa_user_sgpr_flat_scratch_init 0
		.amdhsa_user_sgpr_kernarg_preload_length 0
		.amdhsa_user_sgpr_kernarg_preload_offset 0
		.amdhsa_user_sgpr_private_segment_size 0
		.amdhsa_uses_dynamic_stack 0
		.amdhsa_system_sgpr_private_segment_wavefront_offset 0
		.amdhsa_system_sgpr_workgroup_id_x 1
		.amdhsa_system_sgpr_workgroup_id_y 0
		.amdhsa_system_sgpr_workgroup_id_z 0
		.amdhsa_system_sgpr_workgroup_info 0
		.amdhsa_system_vgpr_workitem_id 0
		.amdhsa_next_free_vgpr 1
		.amdhsa_next_free_sgpr 0
		.amdhsa_accum_offset 4
		.amdhsa_reserve_vcc 0
		.amdhsa_reserve_flat_scratch 0
		.amdhsa_float_round_mode_32 0
		.amdhsa_float_round_mode_16_64 0
		.amdhsa_float_denorm_mode_32 3
		.amdhsa_float_denorm_mode_16_64 3
		.amdhsa_dx10_clamp 1
		.amdhsa_ieee_mode 1
		.amdhsa_fp16_overflow 0
		.amdhsa_tg_split 0
		.amdhsa_exception_fp_ieee_invalid_op 0
		.amdhsa_exception_fp_denorm_src 0
		.amdhsa_exception_fp_ieee_div_zero 0
		.amdhsa_exception_fp_ieee_overflow 0
		.amdhsa_exception_fp_ieee_underflow 0
		.amdhsa_exception_fp_ieee_inexact 0
		.amdhsa_exception_int_div_zero 0
	.end_amdhsa_kernel
	.section	.text._ZN7rocprim17ROCPRIM_400000_NS6detail17trampoline_kernelINS0_14default_configENS1_25partition_config_selectorILNS1_17partition_subalgoE2EtNS0_10empty_typeEbEEZZNS1_14partition_implILS5_2ELb0ES3_jN6thrust23THRUST_200600_302600_NS6detail15normal_iteratorINSA_7pointerItNSA_11hip_rocprim3tagENSA_11use_defaultESG_EEEEPS6_NSA_18transform_iteratorI7is_evenItENSC_INSA_10device_ptrItEEEESG_SG_EENS0_5tupleIJPtSJ_EEENSR_IJSJ_SJ_EEES6_PlJS6_EEE10hipError_tPvRmT3_T4_T5_T6_T7_T9_mT8_P12ihipStream_tbDpT10_ENKUlT_T0_E_clISt17integral_constantIbLb0EES1E_IbLb1EEEEDaS1A_S1B_EUlS1A_E_NS1_11comp_targetILNS1_3genE3ELNS1_11target_archE908ELNS1_3gpuE7ELNS1_3repE0EEENS1_30default_config_static_selectorELNS0_4arch9wavefront6targetE1EEEvT1_,"axG",@progbits,_ZN7rocprim17ROCPRIM_400000_NS6detail17trampoline_kernelINS0_14default_configENS1_25partition_config_selectorILNS1_17partition_subalgoE2EtNS0_10empty_typeEbEEZZNS1_14partition_implILS5_2ELb0ES3_jN6thrust23THRUST_200600_302600_NS6detail15normal_iteratorINSA_7pointerItNSA_11hip_rocprim3tagENSA_11use_defaultESG_EEEEPS6_NSA_18transform_iteratorI7is_evenItENSC_INSA_10device_ptrItEEEESG_SG_EENS0_5tupleIJPtSJ_EEENSR_IJSJ_SJ_EEES6_PlJS6_EEE10hipError_tPvRmT3_T4_T5_T6_T7_T9_mT8_P12ihipStream_tbDpT10_ENKUlT_T0_E_clISt17integral_constantIbLb0EES1E_IbLb1EEEEDaS1A_S1B_EUlS1A_E_NS1_11comp_targetILNS1_3genE3ELNS1_11target_archE908ELNS1_3gpuE7ELNS1_3repE0EEENS1_30default_config_static_selectorELNS0_4arch9wavefront6targetE1EEEvT1_,comdat
.Lfunc_end2097:
	.size	_ZN7rocprim17ROCPRIM_400000_NS6detail17trampoline_kernelINS0_14default_configENS1_25partition_config_selectorILNS1_17partition_subalgoE2EtNS0_10empty_typeEbEEZZNS1_14partition_implILS5_2ELb0ES3_jN6thrust23THRUST_200600_302600_NS6detail15normal_iteratorINSA_7pointerItNSA_11hip_rocprim3tagENSA_11use_defaultESG_EEEEPS6_NSA_18transform_iteratorI7is_evenItENSC_INSA_10device_ptrItEEEESG_SG_EENS0_5tupleIJPtSJ_EEENSR_IJSJ_SJ_EEES6_PlJS6_EEE10hipError_tPvRmT3_T4_T5_T6_T7_T9_mT8_P12ihipStream_tbDpT10_ENKUlT_T0_E_clISt17integral_constantIbLb0EES1E_IbLb1EEEEDaS1A_S1B_EUlS1A_E_NS1_11comp_targetILNS1_3genE3ELNS1_11target_archE908ELNS1_3gpuE7ELNS1_3repE0EEENS1_30default_config_static_selectorELNS0_4arch9wavefront6targetE1EEEvT1_, .Lfunc_end2097-_ZN7rocprim17ROCPRIM_400000_NS6detail17trampoline_kernelINS0_14default_configENS1_25partition_config_selectorILNS1_17partition_subalgoE2EtNS0_10empty_typeEbEEZZNS1_14partition_implILS5_2ELb0ES3_jN6thrust23THRUST_200600_302600_NS6detail15normal_iteratorINSA_7pointerItNSA_11hip_rocprim3tagENSA_11use_defaultESG_EEEEPS6_NSA_18transform_iteratorI7is_evenItENSC_INSA_10device_ptrItEEEESG_SG_EENS0_5tupleIJPtSJ_EEENSR_IJSJ_SJ_EEES6_PlJS6_EEE10hipError_tPvRmT3_T4_T5_T6_T7_T9_mT8_P12ihipStream_tbDpT10_ENKUlT_T0_E_clISt17integral_constantIbLb0EES1E_IbLb1EEEEDaS1A_S1B_EUlS1A_E_NS1_11comp_targetILNS1_3genE3ELNS1_11target_archE908ELNS1_3gpuE7ELNS1_3repE0EEENS1_30default_config_static_selectorELNS0_4arch9wavefront6targetE1EEEvT1_
                                        ; -- End function
	.section	.AMDGPU.csdata,"",@progbits
; Kernel info:
; codeLenInByte = 0
; NumSgprs: 4
; NumVgprs: 0
; NumAgprs: 0
; TotalNumVgprs: 0
; ScratchSize: 0
; MemoryBound: 0
; FloatMode: 240
; IeeeMode: 1
; LDSByteSize: 0 bytes/workgroup (compile time only)
; SGPRBlocks: 0
; VGPRBlocks: 0
; NumSGPRsForWavesPerEU: 4
; NumVGPRsForWavesPerEU: 1
; AccumOffset: 4
; Occupancy: 8
; WaveLimiterHint : 0
; COMPUTE_PGM_RSRC2:SCRATCH_EN: 0
; COMPUTE_PGM_RSRC2:USER_SGPR: 6
; COMPUTE_PGM_RSRC2:TRAP_HANDLER: 0
; COMPUTE_PGM_RSRC2:TGID_X_EN: 1
; COMPUTE_PGM_RSRC2:TGID_Y_EN: 0
; COMPUTE_PGM_RSRC2:TGID_Z_EN: 0
; COMPUTE_PGM_RSRC2:TIDIG_COMP_CNT: 0
; COMPUTE_PGM_RSRC3_GFX90A:ACCUM_OFFSET: 0
; COMPUTE_PGM_RSRC3_GFX90A:TG_SPLIT: 0
	.section	.text._ZN7rocprim17ROCPRIM_400000_NS6detail17trampoline_kernelINS0_14default_configENS1_25partition_config_selectorILNS1_17partition_subalgoE2EtNS0_10empty_typeEbEEZZNS1_14partition_implILS5_2ELb0ES3_jN6thrust23THRUST_200600_302600_NS6detail15normal_iteratorINSA_7pointerItNSA_11hip_rocprim3tagENSA_11use_defaultESG_EEEEPS6_NSA_18transform_iteratorI7is_evenItENSC_INSA_10device_ptrItEEEESG_SG_EENS0_5tupleIJPtSJ_EEENSR_IJSJ_SJ_EEES6_PlJS6_EEE10hipError_tPvRmT3_T4_T5_T6_T7_T9_mT8_P12ihipStream_tbDpT10_ENKUlT_T0_E_clISt17integral_constantIbLb0EES1E_IbLb1EEEEDaS1A_S1B_EUlS1A_E_NS1_11comp_targetILNS1_3genE2ELNS1_11target_archE906ELNS1_3gpuE6ELNS1_3repE0EEENS1_30default_config_static_selectorELNS0_4arch9wavefront6targetE1EEEvT1_,"axG",@progbits,_ZN7rocprim17ROCPRIM_400000_NS6detail17trampoline_kernelINS0_14default_configENS1_25partition_config_selectorILNS1_17partition_subalgoE2EtNS0_10empty_typeEbEEZZNS1_14partition_implILS5_2ELb0ES3_jN6thrust23THRUST_200600_302600_NS6detail15normal_iteratorINSA_7pointerItNSA_11hip_rocprim3tagENSA_11use_defaultESG_EEEEPS6_NSA_18transform_iteratorI7is_evenItENSC_INSA_10device_ptrItEEEESG_SG_EENS0_5tupleIJPtSJ_EEENSR_IJSJ_SJ_EEES6_PlJS6_EEE10hipError_tPvRmT3_T4_T5_T6_T7_T9_mT8_P12ihipStream_tbDpT10_ENKUlT_T0_E_clISt17integral_constantIbLb0EES1E_IbLb1EEEEDaS1A_S1B_EUlS1A_E_NS1_11comp_targetILNS1_3genE2ELNS1_11target_archE906ELNS1_3gpuE6ELNS1_3repE0EEENS1_30default_config_static_selectorELNS0_4arch9wavefront6targetE1EEEvT1_,comdat
	.protected	_ZN7rocprim17ROCPRIM_400000_NS6detail17trampoline_kernelINS0_14default_configENS1_25partition_config_selectorILNS1_17partition_subalgoE2EtNS0_10empty_typeEbEEZZNS1_14partition_implILS5_2ELb0ES3_jN6thrust23THRUST_200600_302600_NS6detail15normal_iteratorINSA_7pointerItNSA_11hip_rocprim3tagENSA_11use_defaultESG_EEEEPS6_NSA_18transform_iteratorI7is_evenItENSC_INSA_10device_ptrItEEEESG_SG_EENS0_5tupleIJPtSJ_EEENSR_IJSJ_SJ_EEES6_PlJS6_EEE10hipError_tPvRmT3_T4_T5_T6_T7_T9_mT8_P12ihipStream_tbDpT10_ENKUlT_T0_E_clISt17integral_constantIbLb0EES1E_IbLb1EEEEDaS1A_S1B_EUlS1A_E_NS1_11comp_targetILNS1_3genE2ELNS1_11target_archE906ELNS1_3gpuE6ELNS1_3repE0EEENS1_30default_config_static_selectorELNS0_4arch9wavefront6targetE1EEEvT1_ ; -- Begin function _ZN7rocprim17ROCPRIM_400000_NS6detail17trampoline_kernelINS0_14default_configENS1_25partition_config_selectorILNS1_17partition_subalgoE2EtNS0_10empty_typeEbEEZZNS1_14partition_implILS5_2ELb0ES3_jN6thrust23THRUST_200600_302600_NS6detail15normal_iteratorINSA_7pointerItNSA_11hip_rocprim3tagENSA_11use_defaultESG_EEEEPS6_NSA_18transform_iteratorI7is_evenItENSC_INSA_10device_ptrItEEEESG_SG_EENS0_5tupleIJPtSJ_EEENSR_IJSJ_SJ_EEES6_PlJS6_EEE10hipError_tPvRmT3_T4_T5_T6_T7_T9_mT8_P12ihipStream_tbDpT10_ENKUlT_T0_E_clISt17integral_constantIbLb0EES1E_IbLb1EEEEDaS1A_S1B_EUlS1A_E_NS1_11comp_targetILNS1_3genE2ELNS1_11target_archE906ELNS1_3gpuE6ELNS1_3repE0EEENS1_30default_config_static_selectorELNS0_4arch9wavefront6targetE1EEEvT1_
	.globl	_ZN7rocprim17ROCPRIM_400000_NS6detail17trampoline_kernelINS0_14default_configENS1_25partition_config_selectorILNS1_17partition_subalgoE2EtNS0_10empty_typeEbEEZZNS1_14partition_implILS5_2ELb0ES3_jN6thrust23THRUST_200600_302600_NS6detail15normal_iteratorINSA_7pointerItNSA_11hip_rocprim3tagENSA_11use_defaultESG_EEEEPS6_NSA_18transform_iteratorI7is_evenItENSC_INSA_10device_ptrItEEEESG_SG_EENS0_5tupleIJPtSJ_EEENSR_IJSJ_SJ_EEES6_PlJS6_EEE10hipError_tPvRmT3_T4_T5_T6_T7_T9_mT8_P12ihipStream_tbDpT10_ENKUlT_T0_E_clISt17integral_constantIbLb0EES1E_IbLb1EEEEDaS1A_S1B_EUlS1A_E_NS1_11comp_targetILNS1_3genE2ELNS1_11target_archE906ELNS1_3gpuE6ELNS1_3repE0EEENS1_30default_config_static_selectorELNS0_4arch9wavefront6targetE1EEEvT1_
	.p2align	8
	.type	_ZN7rocprim17ROCPRIM_400000_NS6detail17trampoline_kernelINS0_14default_configENS1_25partition_config_selectorILNS1_17partition_subalgoE2EtNS0_10empty_typeEbEEZZNS1_14partition_implILS5_2ELb0ES3_jN6thrust23THRUST_200600_302600_NS6detail15normal_iteratorINSA_7pointerItNSA_11hip_rocprim3tagENSA_11use_defaultESG_EEEEPS6_NSA_18transform_iteratorI7is_evenItENSC_INSA_10device_ptrItEEEESG_SG_EENS0_5tupleIJPtSJ_EEENSR_IJSJ_SJ_EEES6_PlJS6_EEE10hipError_tPvRmT3_T4_T5_T6_T7_T9_mT8_P12ihipStream_tbDpT10_ENKUlT_T0_E_clISt17integral_constantIbLb0EES1E_IbLb1EEEEDaS1A_S1B_EUlS1A_E_NS1_11comp_targetILNS1_3genE2ELNS1_11target_archE906ELNS1_3gpuE6ELNS1_3repE0EEENS1_30default_config_static_selectorELNS0_4arch9wavefront6targetE1EEEvT1_,@function
_ZN7rocprim17ROCPRIM_400000_NS6detail17trampoline_kernelINS0_14default_configENS1_25partition_config_selectorILNS1_17partition_subalgoE2EtNS0_10empty_typeEbEEZZNS1_14partition_implILS5_2ELb0ES3_jN6thrust23THRUST_200600_302600_NS6detail15normal_iteratorINSA_7pointerItNSA_11hip_rocprim3tagENSA_11use_defaultESG_EEEEPS6_NSA_18transform_iteratorI7is_evenItENSC_INSA_10device_ptrItEEEESG_SG_EENS0_5tupleIJPtSJ_EEENSR_IJSJ_SJ_EEES6_PlJS6_EEE10hipError_tPvRmT3_T4_T5_T6_T7_T9_mT8_P12ihipStream_tbDpT10_ENKUlT_T0_E_clISt17integral_constantIbLb0EES1E_IbLb1EEEEDaS1A_S1B_EUlS1A_E_NS1_11comp_targetILNS1_3genE2ELNS1_11target_archE906ELNS1_3gpuE6ELNS1_3repE0EEENS1_30default_config_static_selectorELNS0_4arch9wavefront6targetE1EEEvT1_: ; @_ZN7rocprim17ROCPRIM_400000_NS6detail17trampoline_kernelINS0_14default_configENS1_25partition_config_selectorILNS1_17partition_subalgoE2EtNS0_10empty_typeEbEEZZNS1_14partition_implILS5_2ELb0ES3_jN6thrust23THRUST_200600_302600_NS6detail15normal_iteratorINSA_7pointerItNSA_11hip_rocprim3tagENSA_11use_defaultESG_EEEEPS6_NSA_18transform_iteratorI7is_evenItENSC_INSA_10device_ptrItEEEESG_SG_EENS0_5tupleIJPtSJ_EEENSR_IJSJ_SJ_EEES6_PlJS6_EEE10hipError_tPvRmT3_T4_T5_T6_T7_T9_mT8_P12ihipStream_tbDpT10_ENKUlT_T0_E_clISt17integral_constantIbLb0EES1E_IbLb1EEEEDaS1A_S1B_EUlS1A_E_NS1_11comp_targetILNS1_3genE2ELNS1_11target_archE906ELNS1_3gpuE6ELNS1_3repE0EEENS1_30default_config_static_selectorELNS0_4arch9wavefront6targetE1EEEvT1_
; %bb.0:
	.section	.rodata,"a",@progbits
	.p2align	6, 0x0
	.amdhsa_kernel _ZN7rocprim17ROCPRIM_400000_NS6detail17trampoline_kernelINS0_14default_configENS1_25partition_config_selectorILNS1_17partition_subalgoE2EtNS0_10empty_typeEbEEZZNS1_14partition_implILS5_2ELb0ES3_jN6thrust23THRUST_200600_302600_NS6detail15normal_iteratorINSA_7pointerItNSA_11hip_rocprim3tagENSA_11use_defaultESG_EEEEPS6_NSA_18transform_iteratorI7is_evenItENSC_INSA_10device_ptrItEEEESG_SG_EENS0_5tupleIJPtSJ_EEENSR_IJSJ_SJ_EEES6_PlJS6_EEE10hipError_tPvRmT3_T4_T5_T6_T7_T9_mT8_P12ihipStream_tbDpT10_ENKUlT_T0_E_clISt17integral_constantIbLb0EES1E_IbLb1EEEEDaS1A_S1B_EUlS1A_E_NS1_11comp_targetILNS1_3genE2ELNS1_11target_archE906ELNS1_3gpuE6ELNS1_3repE0EEENS1_30default_config_static_selectorELNS0_4arch9wavefront6targetE1EEEvT1_
		.amdhsa_group_segment_fixed_size 0
		.amdhsa_private_segment_fixed_size 0
		.amdhsa_kernarg_size 144
		.amdhsa_user_sgpr_count 6
		.amdhsa_user_sgpr_private_segment_buffer 1
		.amdhsa_user_sgpr_dispatch_ptr 0
		.amdhsa_user_sgpr_queue_ptr 0
		.amdhsa_user_sgpr_kernarg_segment_ptr 1
		.amdhsa_user_sgpr_dispatch_id 0
		.amdhsa_user_sgpr_flat_scratch_init 0
		.amdhsa_user_sgpr_kernarg_preload_length 0
		.amdhsa_user_sgpr_kernarg_preload_offset 0
		.amdhsa_user_sgpr_private_segment_size 0
		.amdhsa_uses_dynamic_stack 0
		.amdhsa_system_sgpr_private_segment_wavefront_offset 0
		.amdhsa_system_sgpr_workgroup_id_x 1
		.amdhsa_system_sgpr_workgroup_id_y 0
		.amdhsa_system_sgpr_workgroup_id_z 0
		.amdhsa_system_sgpr_workgroup_info 0
		.amdhsa_system_vgpr_workitem_id 0
		.amdhsa_next_free_vgpr 1
		.amdhsa_next_free_sgpr 0
		.amdhsa_accum_offset 4
		.amdhsa_reserve_vcc 0
		.amdhsa_reserve_flat_scratch 0
		.amdhsa_float_round_mode_32 0
		.amdhsa_float_round_mode_16_64 0
		.amdhsa_float_denorm_mode_32 3
		.amdhsa_float_denorm_mode_16_64 3
		.amdhsa_dx10_clamp 1
		.amdhsa_ieee_mode 1
		.amdhsa_fp16_overflow 0
		.amdhsa_tg_split 0
		.amdhsa_exception_fp_ieee_invalid_op 0
		.amdhsa_exception_fp_denorm_src 0
		.amdhsa_exception_fp_ieee_div_zero 0
		.amdhsa_exception_fp_ieee_overflow 0
		.amdhsa_exception_fp_ieee_underflow 0
		.amdhsa_exception_fp_ieee_inexact 0
		.amdhsa_exception_int_div_zero 0
	.end_amdhsa_kernel
	.section	.text._ZN7rocprim17ROCPRIM_400000_NS6detail17trampoline_kernelINS0_14default_configENS1_25partition_config_selectorILNS1_17partition_subalgoE2EtNS0_10empty_typeEbEEZZNS1_14partition_implILS5_2ELb0ES3_jN6thrust23THRUST_200600_302600_NS6detail15normal_iteratorINSA_7pointerItNSA_11hip_rocprim3tagENSA_11use_defaultESG_EEEEPS6_NSA_18transform_iteratorI7is_evenItENSC_INSA_10device_ptrItEEEESG_SG_EENS0_5tupleIJPtSJ_EEENSR_IJSJ_SJ_EEES6_PlJS6_EEE10hipError_tPvRmT3_T4_T5_T6_T7_T9_mT8_P12ihipStream_tbDpT10_ENKUlT_T0_E_clISt17integral_constantIbLb0EES1E_IbLb1EEEEDaS1A_S1B_EUlS1A_E_NS1_11comp_targetILNS1_3genE2ELNS1_11target_archE906ELNS1_3gpuE6ELNS1_3repE0EEENS1_30default_config_static_selectorELNS0_4arch9wavefront6targetE1EEEvT1_,"axG",@progbits,_ZN7rocprim17ROCPRIM_400000_NS6detail17trampoline_kernelINS0_14default_configENS1_25partition_config_selectorILNS1_17partition_subalgoE2EtNS0_10empty_typeEbEEZZNS1_14partition_implILS5_2ELb0ES3_jN6thrust23THRUST_200600_302600_NS6detail15normal_iteratorINSA_7pointerItNSA_11hip_rocprim3tagENSA_11use_defaultESG_EEEEPS6_NSA_18transform_iteratorI7is_evenItENSC_INSA_10device_ptrItEEEESG_SG_EENS0_5tupleIJPtSJ_EEENSR_IJSJ_SJ_EEES6_PlJS6_EEE10hipError_tPvRmT3_T4_T5_T6_T7_T9_mT8_P12ihipStream_tbDpT10_ENKUlT_T0_E_clISt17integral_constantIbLb0EES1E_IbLb1EEEEDaS1A_S1B_EUlS1A_E_NS1_11comp_targetILNS1_3genE2ELNS1_11target_archE906ELNS1_3gpuE6ELNS1_3repE0EEENS1_30default_config_static_selectorELNS0_4arch9wavefront6targetE1EEEvT1_,comdat
.Lfunc_end2098:
	.size	_ZN7rocprim17ROCPRIM_400000_NS6detail17trampoline_kernelINS0_14default_configENS1_25partition_config_selectorILNS1_17partition_subalgoE2EtNS0_10empty_typeEbEEZZNS1_14partition_implILS5_2ELb0ES3_jN6thrust23THRUST_200600_302600_NS6detail15normal_iteratorINSA_7pointerItNSA_11hip_rocprim3tagENSA_11use_defaultESG_EEEEPS6_NSA_18transform_iteratorI7is_evenItENSC_INSA_10device_ptrItEEEESG_SG_EENS0_5tupleIJPtSJ_EEENSR_IJSJ_SJ_EEES6_PlJS6_EEE10hipError_tPvRmT3_T4_T5_T6_T7_T9_mT8_P12ihipStream_tbDpT10_ENKUlT_T0_E_clISt17integral_constantIbLb0EES1E_IbLb1EEEEDaS1A_S1B_EUlS1A_E_NS1_11comp_targetILNS1_3genE2ELNS1_11target_archE906ELNS1_3gpuE6ELNS1_3repE0EEENS1_30default_config_static_selectorELNS0_4arch9wavefront6targetE1EEEvT1_, .Lfunc_end2098-_ZN7rocprim17ROCPRIM_400000_NS6detail17trampoline_kernelINS0_14default_configENS1_25partition_config_selectorILNS1_17partition_subalgoE2EtNS0_10empty_typeEbEEZZNS1_14partition_implILS5_2ELb0ES3_jN6thrust23THRUST_200600_302600_NS6detail15normal_iteratorINSA_7pointerItNSA_11hip_rocprim3tagENSA_11use_defaultESG_EEEEPS6_NSA_18transform_iteratorI7is_evenItENSC_INSA_10device_ptrItEEEESG_SG_EENS0_5tupleIJPtSJ_EEENSR_IJSJ_SJ_EEES6_PlJS6_EEE10hipError_tPvRmT3_T4_T5_T6_T7_T9_mT8_P12ihipStream_tbDpT10_ENKUlT_T0_E_clISt17integral_constantIbLb0EES1E_IbLb1EEEEDaS1A_S1B_EUlS1A_E_NS1_11comp_targetILNS1_3genE2ELNS1_11target_archE906ELNS1_3gpuE6ELNS1_3repE0EEENS1_30default_config_static_selectorELNS0_4arch9wavefront6targetE1EEEvT1_
                                        ; -- End function
	.section	.AMDGPU.csdata,"",@progbits
; Kernel info:
; codeLenInByte = 0
; NumSgprs: 4
; NumVgprs: 0
; NumAgprs: 0
; TotalNumVgprs: 0
; ScratchSize: 0
; MemoryBound: 0
; FloatMode: 240
; IeeeMode: 1
; LDSByteSize: 0 bytes/workgroup (compile time only)
; SGPRBlocks: 0
; VGPRBlocks: 0
; NumSGPRsForWavesPerEU: 4
; NumVGPRsForWavesPerEU: 1
; AccumOffset: 4
; Occupancy: 8
; WaveLimiterHint : 0
; COMPUTE_PGM_RSRC2:SCRATCH_EN: 0
; COMPUTE_PGM_RSRC2:USER_SGPR: 6
; COMPUTE_PGM_RSRC2:TRAP_HANDLER: 0
; COMPUTE_PGM_RSRC2:TGID_X_EN: 1
; COMPUTE_PGM_RSRC2:TGID_Y_EN: 0
; COMPUTE_PGM_RSRC2:TGID_Z_EN: 0
; COMPUTE_PGM_RSRC2:TIDIG_COMP_CNT: 0
; COMPUTE_PGM_RSRC3_GFX90A:ACCUM_OFFSET: 0
; COMPUTE_PGM_RSRC3_GFX90A:TG_SPLIT: 0
	.section	.text._ZN7rocprim17ROCPRIM_400000_NS6detail17trampoline_kernelINS0_14default_configENS1_25partition_config_selectorILNS1_17partition_subalgoE2EtNS0_10empty_typeEbEEZZNS1_14partition_implILS5_2ELb0ES3_jN6thrust23THRUST_200600_302600_NS6detail15normal_iteratorINSA_7pointerItNSA_11hip_rocprim3tagENSA_11use_defaultESG_EEEEPS6_NSA_18transform_iteratorI7is_evenItENSC_INSA_10device_ptrItEEEESG_SG_EENS0_5tupleIJPtSJ_EEENSR_IJSJ_SJ_EEES6_PlJS6_EEE10hipError_tPvRmT3_T4_T5_T6_T7_T9_mT8_P12ihipStream_tbDpT10_ENKUlT_T0_E_clISt17integral_constantIbLb0EES1E_IbLb1EEEEDaS1A_S1B_EUlS1A_E_NS1_11comp_targetILNS1_3genE10ELNS1_11target_archE1200ELNS1_3gpuE4ELNS1_3repE0EEENS1_30default_config_static_selectorELNS0_4arch9wavefront6targetE1EEEvT1_,"axG",@progbits,_ZN7rocprim17ROCPRIM_400000_NS6detail17trampoline_kernelINS0_14default_configENS1_25partition_config_selectorILNS1_17partition_subalgoE2EtNS0_10empty_typeEbEEZZNS1_14partition_implILS5_2ELb0ES3_jN6thrust23THRUST_200600_302600_NS6detail15normal_iteratorINSA_7pointerItNSA_11hip_rocprim3tagENSA_11use_defaultESG_EEEEPS6_NSA_18transform_iteratorI7is_evenItENSC_INSA_10device_ptrItEEEESG_SG_EENS0_5tupleIJPtSJ_EEENSR_IJSJ_SJ_EEES6_PlJS6_EEE10hipError_tPvRmT3_T4_T5_T6_T7_T9_mT8_P12ihipStream_tbDpT10_ENKUlT_T0_E_clISt17integral_constantIbLb0EES1E_IbLb1EEEEDaS1A_S1B_EUlS1A_E_NS1_11comp_targetILNS1_3genE10ELNS1_11target_archE1200ELNS1_3gpuE4ELNS1_3repE0EEENS1_30default_config_static_selectorELNS0_4arch9wavefront6targetE1EEEvT1_,comdat
	.protected	_ZN7rocprim17ROCPRIM_400000_NS6detail17trampoline_kernelINS0_14default_configENS1_25partition_config_selectorILNS1_17partition_subalgoE2EtNS0_10empty_typeEbEEZZNS1_14partition_implILS5_2ELb0ES3_jN6thrust23THRUST_200600_302600_NS6detail15normal_iteratorINSA_7pointerItNSA_11hip_rocprim3tagENSA_11use_defaultESG_EEEEPS6_NSA_18transform_iteratorI7is_evenItENSC_INSA_10device_ptrItEEEESG_SG_EENS0_5tupleIJPtSJ_EEENSR_IJSJ_SJ_EEES6_PlJS6_EEE10hipError_tPvRmT3_T4_T5_T6_T7_T9_mT8_P12ihipStream_tbDpT10_ENKUlT_T0_E_clISt17integral_constantIbLb0EES1E_IbLb1EEEEDaS1A_S1B_EUlS1A_E_NS1_11comp_targetILNS1_3genE10ELNS1_11target_archE1200ELNS1_3gpuE4ELNS1_3repE0EEENS1_30default_config_static_selectorELNS0_4arch9wavefront6targetE1EEEvT1_ ; -- Begin function _ZN7rocprim17ROCPRIM_400000_NS6detail17trampoline_kernelINS0_14default_configENS1_25partition_config_selectorILNS1_17partition_subalgoE2EtNS0_10empty_typeEbEEZZNS1_14partition_implILS5_2ELb0ES3_jN6thrust23THRUST_200600_302600_NS6detail15normal_iteratorINSA_7pointerItNSA_11hip_rocprim3tagENSA_11use_defaultESG_EEEEPS6_NSA_18transform_iteratorI7is_evenItENSC_INSA_10device_ptrItEEEESG_SG_EENS0_5tupleIJPtSJ_EEENSR_IJSJ_SJ_EEES6_PlJS6_EEE10hipError_tPvRmT3_T4_T5_T6_T7_T9_mT8_P12ihipStream_tbDpT10_ENKUlT_T0_E_clISt17integral_constantIbLb0EES1E_IbLb1EEEEDaS1A_S1B_EUlS1A_E_NS1_11comp_targetILNS1_3genE10ELNS1_11target_archE1200ELNS1_3gpuE4ELNS1_3repE0EEENS1_30default_config_static_selectorELNS0_4arch9wavefront6targetE1EEEvT1_
	.globl	_ZN7rocprim17ROCPRIM_400000_NS6detail17trampoline_kernelINS0_14default_configENS1_25partition_config_selectorILNS1_17partition_subalgoE2EtNS0_10empty_typeEbEEZZNS1_14partition_implILS5_2ELb0ES3_jN6thrust23THRUST_200600_302600_NS6detail15normal_iteratorINSA_7pointerItNSA_11hip_rocprim3tagENSA_11use_defaultESG_EEEEPS6_NSA_18transform_iteratorI7is_evenItENSC_INSA_10device_ptrItEEEESG_SG_EENS0_5tupleIJPtSJ_EEENSR_IJSJ_SJ_EEES6_PlJS6_EEE10hipError_tPvRmT3_T4_T5_T6_T7_T9_mT8_P12ihipStream_tbDpT10_ENKUlT_T0_E_clISt17integral_constantIbLb0EES1E_IbLb1EEEEDaS1A_S1B_EUlS1A_E_NS1_11comp_targetILNS1_3genE10ELNS1_11target_archE1200ELNS1_3gpuE4ELNS1_3repE0EEENS1_30default_config_static_selectorELNS0_4arch9wavefront6targetE1EEEvT1_
	.p2align	8
	.type	_ZN7rocprim17ROCPRIM_400000_NS6detail17trampoline_kernelINS0_14default_configENS1_25partition_config_selectorILNS1_17partition_subalgoE2EtNS0_10empty_typeEbEEZZNS1_14partition_implILS5_2ELb0ES3_jN6thrust23THRUST_200600_302600_NS6detail15normal_iteratorINSA_7pointerItNSA_11hip_rocprim3tagENSA_11use_defaultESG_EEEEPS6_NSA_18transform_iteratorI7is_evenItENSC_INSA_10device_ptrItEEEESG_SG_EENS0_5tupleIJPtSJ_EEENSR_IJSJ_SJ_EEES6_PlJS6_EEE10hipError_tPvRmT3_T4_T5_T6_T7_T9_mT8_P12ihipStream_tbDpT10_ENKUlT_T0_E_clISt17integral_constantIbLb0EES1E_IbLb1EEEEDaS1A_S1B_EUlS1A_E_NS1_11comp_targetILNS1_3genE10ELNS1_11target_archE1200ELNS1_3gpuE4ELNS1_3repE0EEENS1_30default_config_static_selectorELNS0_4arch9wavefront6targetE1EEEvT1_,@function
_ZN7rocprim17ROCPRIM_400000_NS6detail17trampoline_kernelINS0_14default_configENS1_25partition_config_selectorILNS1_17partition_subalgoE2EtNS0_10empty_typeEbEEZZNS1_14partition_implILS5_2ELb0ES3_jN6thrust23THRUST_200600_302600_NS6detail15normal_iteratorINSA_7pointerItNSA_11hip_rocprim3tagENSA_11use_defaultESG_EEEEPS6_NSA_18transform_iteratorI7is_evenItENSC_INSA_10device_ptrItEEEESG_SG_EENS0_5tupleIJPtSJ_EEENSR_IJSJ_SJ_EEES6_PlJS6_EEE10hipError_tPvRmT3_T4_T5_T6_T7_T9_mT8_P12ihipStream_tbDpT10_ENKUlT_T0_E_clISt17integral_constantIbLb0EES1E_IbLb1EEEEDaS1A_S1B_EUlS1A_E_NS1_11comp_targetILNS1_3genE10ELNS1_11target_archE1200ELNS1_3gpuE4ELNS1_3repE0EEENS1_30default_config_static_selectorELNS0_4arch9wavefront6targetE1EEEvT1_: ; @_ZN7rocprim17ROCPRIM_400000_NS6detail17trampoline_kernelINS0_14default_configENS1_25partition_config_selectorILNS1_17partition_subalgoE2EtNS0_10empty_typeEbEEZZNS1_14partition_implILS5_2ELb0ES3_jN6thrust23THRUST_200600_302600_NS6detail15normal_iteratorINSA_7pointerItNSA_11hip_rocprim3tagENSA_11use_defaultESG_EEEEPS6_NSA_18transform_iteratorI7is_evenItENSC_INSA_10device_ptrItEEEESG_SG_EENS0_5tupleIJPtSJ_EEENSR_IJSJ_SJ_EEES6_PlJS6_EEE10hipError_tPvRmT3_T4_T5_T6_T7_T9_mT8_P12ihipStream_tbDpT10_ENKUlT_T0_E_clISt17integral_constantIbLb0EES1E_IbLb1EEEEDaS1A_S1B_EUlS1A_E_NS1_11comp_targetILNS1_3genE10ELNS1_11target_archE1200ELNS1_3gpuE4ELNS1_3repE0EEENS1_30default_config_static_selectorELNS0_4arch9wavefront6targetE1EEEvT1_
; %bb.0:
	.section	.rodata,"a",@progbits
	.p2align	6, 0x0
	.amdhsa_kernel _ZN7rocprim17ROCPRIM_400000_NS6detail17trampoline_kernelINS0_14default_configENS1_25partition_config_selectorILNS1_17partition_subalgoE2EtNS0_10empty_typeEbEEZZNS1_14partition_implILS5_2ELb0ES3_jN6thrust23THRUST_200600_302600_NS6detail15normal_iteratorINSA_7pointerItNSA_11hip_rocprim3tagENSA_11use_defaultESG_EEEEPS6_NSA_18transform_iteratorI7is_evenItENSC_INSA_10device_ptrItEEEESG_SG_EENS0_5tupleIJPtSJ_EEENSR_IJSJ_SJ_EEES6_PlJS6_EEE10hipError_tPvRmT3_T4_T5_T6_T7_T9_mT8_P12ihipStream_tbDpT10_ENKUlT_T0_E_clISt17integral_constantIbLb0EES1E_IbLb1EEEEDaS1A_S1B_EUlS1A_E_NS1_11comp_targetILNS1_3genE10ELNS1_11target_archE1200ELNS1_3gpuE4ELNS1_3repE0EEENS1_30default_config_static_selectorELNS0_4arch9wavefront6targetE1EEEvT1_
		.amdhsa_group_segment_fixed_size 0
		.amdhsa_private_segment_fixed_size 0
		.amdhsa_kernarg_size 144
		.amdhsa_user_sgpr_count 6
		.amdhsa_user_sgpr_private_segment_buffer 1
		.amdhsa_user_sgpr_dispatch_ptr 0
		.amdhsa_user_sgpr_queue_ptr 0
		.amdhsa_user_sgpr_kernarg_segment_ptr 1
		.amdhsa_user_sgpr_dispatch_id 0
		.amdhsa_user_sgpr_flat_scratch_init 0
		.amdhsa_user_sgpr_kernarg_preload_length 0
		.amdhsa_user_sgpr_kernarg_preload_offset 0
		.amdhsa_user_sgpr_private_segment_size 0
		.amdhsa_uses_dynamic_stack 0
		.amdhsa_system_sgpr_private_segment_wavefront_offset 0
		.amdhsa_system_sgpr_workgroup_id_x 1
		.amdhsa_system_sgpr_workgroup_id_y 0
		.amdhsa_system_sgpr_workgroup_id_z 0
		.amdhsa_system_sgpr_workgroup_info 0
		.amdhsa_system_vgpr_workitem_id 0
		.amdhsa_next_free_vgpr 1
		.amdhsa_next_free_sgpr 0
		.amdhsa_accum_offset 4
		.amdhsa_reserve_vcc 0
		.amdhsa_reserve_flat_scratch 0
		.amdhsa_float_round_mode_32 0
		.amdhsa_float_round_mode_16_64 0
		.amdhsa_float_denorm_mode_32 3
		.amdhsa_float_denorm_mode_16_64 3
		.amdhsa_dx10_clamp 1
		.amdhsa_ieee_mode 1
		.amdhsa_fp16_overflow 0
		.amdhsa_tg_split 0
		.amdhsa_exception_fp_ieee_invalid_op 0
		.amdhsa_exception_fp_denorm_src 0
		.amdhsa_exception_fp_ieee_div_zero 0
		.amdhsa_exception_fp_ieee_overflow 0
		.amdhsa_exception_fp_ieee_underflow 0
		.amdhsa_exception_fp_ieee_inexact 0
		.amdhsa_exception_int_div_zero 0
	.end_amdhsa_kernel
	.section	.text._ZN7rocprim17ROCPRIM_400000_NS6detail17trampoline_kernelINS0_14default_configENS1_25partition_config_selectorILNS1_17partition_subalgoE2EtNS0_10empty_typeEbEEZZNS1_14partition_implILS5_2ELb0ES3_jN6thrust23THRUST_200600_302600_NS6detail15normal_iteratorINSA_7pointerItNSA_11hip_rocprim3tagENSA_11use_defaultESG_EEEEPS6_NSA_18transform_iteratorI7is_evenItENSC_INSA_10device_ptrItEEEESG_SG_EENS0_5tupleIJPtSJ_EEENSR_IJSJ_SJ_EEES6_PlJS6_EEE10hipError_tPvRmT3_T4_T5_T6_T7_T9_mT8_P12ihipStream_tbDpT10_ENKUlT_T0_E_clISt17integral_constantIbLb0EES1E_IbLb1EEEEDaS1A_S1B_EUlS1A_E_NS1_11comp_targetILNS1_3genE10ELNS1_11target_archE1200ELNS1_3gpuE4ELNS1_3repE0EEENS1_30default_config_static_selectorELNS0_4arch9wavefront6targetE1EEEvT1_,"axG",@progbits,_ZN7rocprim17ROCPRIM_400000_NS6detail17trampoline_kernelINS0_14default_configENS1_25partition_config_selectorILNS1_17partition_subalgoE2EtNS0_10empty_typeEbEEZZNS1_14partition_implILS5_2ELb0ES3_jN6thrust23THRUST_200600_302600_NS6detail15normal_iteratorINSA_7pointerItNSA_11hip_rocprim3tagENSA_11use_defaultESG_EEEEPS6_NSA_18transform_iteratorI7is_evenItENSC_INSA_10device_ptrItEEEESG_SG_EENS0_5tupleIJPtSJ_EEENSR_IJSJ_SJ_EEES6_PlJS6_EEE10hipError_tPvRmT3_T4_T5_T6_T7_T9_mT8_P12ihipStream_tbDpT10_ENKUlT_T0_E_clISt17integral_constantIbLb0EES1E_IbLb1EEEEDaS1A_S1B_EUlS1A_E_NS1_11comp_targetILNS1_3genE10ELNS1_11target_archE1200ELNS1_3gpuE4ELNS1_3repE0EEENS1_30default_config_static_selectorELNS0_4arch9wavefront6targetE1EEEvT1_,comdat
.Lfunc_end2099:
	.size	_ZN7rocprim17ROCPRIM_400000_NS6detail17trampoline_kernelINS0_14default_configENS1_25partition_config_selectorILNS1_17partition_subalgoE2EtNS0_10empty_typeEbEEZZNS1_14partition_implILS5_2ELb0ES3_jN6thrust23THRUST_200600_302600_NS6detail15normal_iteratorINSA_7pointerItNSA_11hip_rocprim3tagENSA_11use_defaultESG_EEEEPS6_NSA_18transform_iteratorI7is_evenItENSC_INSA_10device_ptrItEEEESG_SG_EENS0_5tupleIJPtSJ_EEENSR_IJSJ_SJ_EEES6_PlJS6_EEE10hipError_tPvRmT3_T4_T5_T6_T7_T9_mT8_P12ihipStream_tbDpT10_ENKUlT_T0_E_clISt17integral_constantIbLb0EES1E_IbLb1EEEEDaS1A_S1B_EUlS1A_E_NS1_11comp_targetILNS1_3genE10ELNS1_11target_archE1200ELNS1_3gpuE4ELNS1_3repE0EEENS1_30default_config_static_selectorELNS0_4arch9wavefront6targetE1EEEvT1_, .Lfunc_end2099-_ZN7rocprim17ROCPRIM_400000_NS6detail17trampoline_kernelINS0_14default_configENS1_25partition_config_selectorILNS1_17partition_subalgoE2EtNS0_10empty_typeEbEEZZNS1_14partition_implILS5_2ELb0ES3_jN6thrust23THRUST_200600_302600_NS6detail15normal_iteratorINSA_7pointerItNSA_11hip_rocprim3tagENSA_11use_defaultESG_EEEEPS6_NSA_18transform_iteratorI7is_evenItENSC_INSA_10device_ptrItEEEESG_SG_EENS0_5tupleIJPtSJ_EEENSR_IJSJ_SJ_EEES6_PlJS6_EEE10hipError_tPvRmT3_T4_T5_T6_T7_T9_mT8_P12ihipStream_tbDpT10_ENKUlT_T0_E_clISt17integral_constantIbLb0EES1E_IbLb1EEEEDaS1A_S1B_EUlS1A_E_NS1_11comp_targetILNS1_3genE10ELNS1_11target_archE1200ELNS1_3gpuE4ELNS1_3repE0EEENS1_30default_config_static_selectorELNS0_4arch9wavefront6targetE1EEEvT1_
                                        ; -- End function
	.section	.AMDGPU.csdata,"",@progbits
; Kernel info:
; codeLenInByte = 0
; NumSgprs: 4
; NumVgprs: 0
; NumAgprs: 0
; TotalNumVgprs: 0
; ScratchSize: 0
; MemoryBound: 0
; FloatMode: 240
; IeeeMode: 1
; LDSByteSize: 0 bytes/workgroup (compile time only)
; SGPRBlocks: 0
; VGPRBlocks: 0
; NumSGPRsForWavesPerEU: 4
; NumVGPRsForWavesPerEU: 1
; AccumOffset: 4
; Occupancy: 8
; WaveLimiterHint : 0
; COMPUTE_PGM_RSRC2:SCRATCH_EN: 0
; COMPUTE_PGM_RSRC2:USER_SGPR: 6
; COMPUTE_PGM_RSRC2:TRAP_HANDLER: 0
; COMPUTE_PGM_RSRC2:TGID_X_EN: 1
; COMPUTE_PGM_RSRC2:TGID_Y_EN: 0
; COMPUTE_PGM_RSRC2:TGID_Z_EN: 0
; COMPUTE_PGM_RSRC2:TIDIG_COMP_CNT: 0
; COMPUTE_PGM_RSRC3_GFX90A:ACCUM_OFFSET: 0
; COMPUTE_PGM_RSRC3_GFX90A:TG_SPLIT: 0
	.section	.text._ZN7rocprim17ROCPRIM_400000_NS6detail17trampoline_kernelINS0_14default_configENS1_25partition_config_selectorILNS1_17partition_subalgoE2EtNS0_10empty_typeEbEEZZNS1_14partition_implILS5_2ELb0ES3_jN6thrust23THRUST_200600_302600_NS6detail15normal_iteratorINSA_7pointerItNSA_11hip_rocprim3tagENSA_11use_defaultESG_EEEEPS6_NSA_18transform_iteratorI7is_evenItENSC_INSA_10device_ptrItEEEESG_SG_EENS0_5tupleIJPtSJ_EEENSR_IJSJ_SJ_EEES6_PlJS6_EEE10hipError_tPvRmT3_T4_T5_T6_T7_T9_mT8_P12ihipStream_tbDpT10_ENKUlT_T0_E_clISt17integral_constantIbLb0EES1E_IbLb1EEEEDaS1A_S1B_EUlS1A_E_NS1_11comp_targetILNS1_3genE9ELNS1_11target_archE1100ELNS1_3gpuE3ELNS1_3repE0EEENS1_30default_config_static_selectorELNS0_4arch9wavefront6targetE1EEEvT1_,"axG",@progbits,_ZN7rocprim17ROCPRIM_400000_NS6detail17trampoline_kernelINS0_14default_configENS1_25partition_config_selectorILNS1_17partition_subalgoE2EtNS0_10empty_typeEbEEZZNS1_14partition_implILS5_2ELb0ES3_jN6thrust23THRUST_200600_302600_NS6detail15normal_iteratorINSA_7pointerItNSA_11hip_rocprim3tagENSA_11use_defaultESG_EEEEPS6_NSA_18transform_iteratorI7is_evenItENSC_INSA_10device_ptrItEEEESG_SG_EENS0_5tupleIJPtSJ_EEENSR_IJSJ_SJ_EEES6_PlJS6_EEE10hipError_tPvRmT3_T4_T5_T6_T7_T9_mT8_P12ihipStream_tbDpT10_ENKUlT_T0_E_clISt17integral_constantIbLb0EES1E_IbLb1EEEEDaS1A_S1B_EUlS1A_E_NS1_11comp_targetILNS1_3genE9ELNS1_11target_archE1100ELNS1_3gpuE3ELNS1_3repE0EEENS1_30default_config_static_selectorELNS0_4arch9wavefront6targetE1EEEvT1_,comdat
	.protected	_ZN7rocprim17ROCPRIM_400000_NS6detail17trampoline_kernelINS0_14default_configENS1_25partition_config_selectorILNS1_17partition_subalgoE2EtNS0_10empty_typeEbEEZZNS1_14partition_implILS5_2ELb0ES3_jN6thrust23THRUST_200600_302600_NS6detail15normal_iteratorINSA_7pointerItNSA_11hip_rocprim3tagENSA_11use_defaultESG_EEEEPS6_NSA_18transform_iteratorI7is_evenItENSC_INSA_10device_ptrItEEEESG_SG_EENS0_5tupleIJPtSJ_EEENSR_IJSJ_SJ_EEES6_PlJS6_EEE10hipError_tPvRmT3_T4_T5_T6_T7_T9_mT8_P12ihipStream_tbDpT10_ENKUlT_T0_E_clISt17integral_constantIbLb0EES1E_IbLb1EEEEDaS1A_S1B_EUlS1A_E_NS1_11comp_targetILNS1_3genE9ELNS1_11target_archE1100ELNS1_3gpuE3ELNS1_3repE0EEENS1_30default_config_static_selectorELNS0_4arch9wavefront6targetE1EEEvT1_ ; -- Begin function _ZN7rocprim17ROCPRIM_400000_NS6detail17trampoline_kernelINS0_14default_configENS1_25partition_config_selectorILNS1_17partition_subalgoE2EtNS0_10empty_typeEbEEZZNS1_14partition_implILS5_2ELb0ES3_jN6thrust23THRUST_200600_302600_NS6detail15normal_iteratorINSA_7pointerItNSA_11hip_rocprim3tagENSA_11use_defaultESG_EEEEPS6_NSA_18transform_iteratorI7is_evenItENSC_INSA_10device_ptrItEEEESG_SG_EENS0_5tupleIJPtSJ_EEENSR_IJSJ_SJ_EEES6_PlJS6_EEE10hipError_tPvRmT3_T4_T5_T6_T7_T9_mT8_P12ihipStream_tbDpT10_ENKUlT_T0_E_clISt17integral_constantIbLb0EES1E_IbLb1EEEEDaS1A_S1B_EUlS1A_E_NS1_11comp_targetILNS1_3genE9ELNS1_11target_archE1100ELNS1_3gpuE3ELNS1_3repE0EEENS1_30default_config_static_selectorELNS0_4arch9wavefront6targetE1EEEvT1_
	.globl	_ZN7rocprim17ROCPRIM_400000_NS6detail17trampoline_kernelINS0_14default_configENS1_25partition_config_selectorILNS1_17partition_subalgoE2EtNS0_10empty_typeEbEEZZNS1_14partition_implILS5_2ELb0ES3_jN6thrust23THRUST_200600_302600_NS6detail15normal_iteratorINSA_7pointerItNSA_11hip_rocprim3tagENSA_11use_defaultESG_EEEEPS6_NSA_18transform_iteratorI7is_evenItENSC_INSA_10device_ptrItEEEESG_SG_EENS0_5tupleIJPtSJ_EEENSR_IJSJ_SJ_EEES6_PlJS6_EEE10hipError_tPvRmT3_T4_T5_T6_T7_T9_mT8_P12ihipStream_tbDpT10_ENKUlT_T0_E_clISt17integral_constantIbLb0EES1E_IbLb1EEEEDaS1A_S1B_EUlS1A_E_NS1_11comp_targetILNS1_3genE9ELNS1_11target_archE1100ELNS1_3gpuE3ELNS1_3repE0EEENS1_30default_config_static_selectorELNS0_4arch9wavefront6targetE1EEEvT1_
	.p2align	8
	.type	_ZN7rocprim17ROCPRIM_400000_NS6detail17trampoline_kernelINS0_14default_configENS1_25partition_config_selectorILNS1_17partition_subalgoE2EtNS0_10empty_typeEbEEZZNS1_14partition_implILS5_2ELb0ES3_jN6thrust23THRUST_200600_302600_NS6detail15normal_iteratorINSA_7pointerItNSA_11hip_rocprim3tagENSA_11use_defaultESG_EEEEPS6_NSA_18transform_iteratorI7is_evenItENSC_INSA_10device_ptrItEEEESG_SG_EENS0_5tupleIJPtSJ_EEENSR_IJSJ_SJ_EEES6_PlJS6_EEE10hipError_tPvRmT3_T4_T5_T6_T7_T9_mT8_P12ihipStream_tbDpT10_ENKUlT_T0_E_clISt17integral_constantIbLb0EES1E_IbLb1EEEEDaS1A_S1B_EUlS1A_E_NS1_11comp_targetILNS1_3genE9ELNS1_11target_archE1100ELNS1_3gpuE3ELNS1_3repE0EEENS1_30default_config_static_selectorELNS0_4arch9wavefront6targetE1EEEvT1_,@function
_ZN7rocprim17ROCPRIM_400000_NS6detail17trampoline_kernelINS0_14default_configENS1_25partition_config_selectorILNS1_17partition_subalgoE2EtNS0_10empty_typeEbEEZZNS1_14partition_implILS5_2ELb0ES3_jN6thrust23THRUST_200600_302600_NS6detail15normal_iteratorINSA_7pointerItNSA_11hip_rocprim3tagENSA_11use_defaultESG_EEEEPS6_NSA_18transform_iteratorI7is_evenItENSC_INSA_10device_ptrItEEEESG_SG_EENS0_5tupleIJPtSJ_EEENSR_IJSJ_SJ_EEES6_PlJS6_EEE10hipError_tPvRmT3_T4_T5_T6_T7_T9_mT8_P12ihipStream_tbDpT10_ENKUlT_T0_E_clISt17integral_constantIbLb0EES1E_IbLb1EEEEDaS1A_S1B_EUlS1A_E_NS1_11comp_targetILNS1_3genE9ELNS1_11target_archE1100ELNS1_3gpuE3ELNS1_3repE0EEENS1_30default_config_static_selectorELNS0_4arch9wavefront6targetE1EEEvT1_: ; @_ZN7rocprim17ROCPRIM_400000_NS6detail17trampoline_kernelINS0_14default_configENS1_25partition_config_selectorILNS1_17partition_subalgoE2EtNS0_10empty_typeEbEEZZNS1_14partition_implILS5_2ELb0ES3_jN6thrust23THRUST_200600_302600_NS6detail15normal_iteratorINSA_7pointerItNSA_11hip_rocprim3tagENSA_11use_defaultESG_EEEEPS6_NSA_18transform_iteratorI7is_evenItENSC_INSA_10device_ptrItEEEESG_SG_EENS0_5tupleIJPtSJ_EEENSR_IJSJ_SJ_EEES6_PlJS6_EEE10hipError_tPvRmT3_T4_T5_T6_T7_T9_mT8_P12ihipStream_tbDpT10_ENKUlT_T0_E_clISt17integral_constantIbLb0EES1E_IbLb1EEEEDaS1A_S1B_EUlS1A_E_NS1_11comp_targetILNS1_3genE9ELNS1_11target_archE1100ELNS1_3gpuE3ELNS1_3repE0EEENS1_30default_config_static_selectorELNS0_4arch9wavefront6targetE1EEEvT1_
; %bb.0:
	.section	.rodata,"a",@progbits
	.p2align	6, 0x0
	.amdhsa_kernel _ZN7rocprim17ROCPRIM_400000_NS6detail17trampoline_kernelINS0_14default_configENS1_25partition_config_selectorILNS1_17partition_subalgoE2EtNS0_10empty_typeEbEEZZNS1_14partition_implILS5_2ELb0ES3_jN6thrust23THRUST_200600_302600_NS6detail15normal_iteratorINSA_7pointerItNSA_11hip_rocprim3tagENSA_11use_defaultESG_EEEEPS6_NSA_18transform_iteratorI7is_evenItENSC_INSA_10device_ptrItEEEESG_SG_EENS0_5tupleIJPtSJ_EEENSR_IJSJ_SJ_EEES6_PlJS6_EEE10hipError_tPvRmT3_T4_T5_T6_T7_T9_mT8_P12ihipStream_tbDpT10_ENKUlT_T0_E_clISt17integral_constantIbLb0EES1E_IbLb1EEEEDaS1A_S1B_EUlS1A_E_NS1_11comp_targetILNS1_3genE9ELNS1_11target_archE1100ELNS1_3gpuE3ELNS1_3repE0EEENS1_30default_config_static_selectorELNS0_4arch9wavefront6targetE1EEEvT1_
		.amdhsa_group_segment_fixed_size 0
		.amdhsa_private_segment_fixed_size 0
		.amdhsa_kernarg_size 144
		.amdhsa_user_sgpr_count 6
		.amdhsa_user_sgpr_private_segment_buffer 1
		.amdhsa_user_sgpr_dispatch_ptr 0
		.amdhsa_user_sgpr_queue_ptr 0
		.amdhsa_user_sgpr_kernarg_segment_ptr 1
		.amdhsa_user_sgpr_dispatch_id 0
		.amdhsa_user_sgpr_flat_scratch_init 0
		.amdhsa_user_sgpr_kernarg_preload_length 0
		.amdhsa_user_sgpr_kernarg_preload_offset 0
		.amdhsa_user_sgpr_private_segment_size 0
		.amdhsa_uses_dynamic_stack 0
		.amdhsa_system_sgpr_private_segment_wavefront_offset 0
		.amdhsa_system_sgpr_workgroup_id_x 1
		.amdhsa_system_sgpr_workgroup_id_y 0
		.amdhsa_system_sgpr_workgroup_id_z 0
		.amdhsa_system_sgpr_workgroup_info 0
		.amdhsa_system_vgpr_workitem_id 0
		.amdhsa_next_free_vgpr 1
		.amdhsa_next_free_sgpr 0
		.amdhsa_accum_offset 4
		.amdhsa_reserve_vcc 0
		.amdhsa_reserve_flat_scratch 0
		.amdhsa_float_round_mode_32 0
		.amdhsa_float_round_mode_16_64 0
		.amdhsa_float_denorm_mode_32 3
		.amdhsa_float_denorm_mode_16_64 3
		.amdhsa_dx10_clamp 1
		.amdhsa_ieee_mode 1
		.amdhsa_fp16_overflow 0
		.amdhsa_tg_split 0
		.amdhsa_exception_fp_ieee_invalid_op 0
		.amdhsa_exception_fp_denorm_src 0
		.amdhsa_exception_fp_ieee_div_zero 0
		.amdhsa_exception_fp_ieee_overflow 0
		.amdhsa_exception_fp_ieee_underflow 0
		.amdhsa_exception_fp_ieee_inexact 0
		.amdhsa_exception_int_div_zero 0
	.end_amdhsa_kernel
	.section	.text._ZN7rocprim17ROCPRIM_400000_NS6detail17trampoline_kernelINS0_14default_configENS1_25partition_config_selectorILNS1_17partition_subalgoE2EtNS0_10empty_typeEbEEZZNS1_14partition_implILS5_2ELb0ES3_jN6thrust23THRUST_200600_302600_NS6detail15normal_iteratorINSA_7pointerItNSA_11hip_rocprim3tagENSA_11use_defaultESG_EEEEPS6_NSA_18transform_iteratorI7is_evenItENSC_INSA_10device_ptrItEEEESG_SG_EENS0_5tupleIJPtSJ_EEENSR_IJSJ_SJ_EEES6_PlJS6_EEE10hipError_tPvRmT3_T4_T5_T6_T7_T9_mT8_P12ihipStream_tbDpT10_ENKUlT_T0_E_clISt17integral_constantIbLb0EES1E_IbLb1EEEEDaS1A_S1B_EUlS1A_E_NS1_11comp_targetILNS1_3genE9ELNS1_11target_archE1100ELNS1_3gpuE3ELNS1_3repE0EEENS1_30default_config_static_selectorELNS0_4arch9wavefront6targetE1EEEvT1_,"axG",@progbits,_ZN7rocprim17ROCPRIM_400000_NS6detail17trampoline_kernelINS0_14default_configENS1_25partition_config_selectorILNS1_17partition_subalgoE2EtNS0_10empty_typeEbEEZZNS1_14partition_implILS5_2ELb0ES3_jN6thrust23THRUST_200600_302600_NS6detail15normal_iteratorINSA_7pointerItNSA_11hip_rocprim3tagENSA_11use_defaultESG_EEEEPS6_NSA_18transform_iteratorI7is_evenItENSC_INSA_10device_ptrItEEEESG_SG_EENS0_5tupleIJPtSJ_EEENSR_IJSJ_SJ_EEES6_PlJS6_EEE10hipError_tPvRmT3_T4_T5_T6_T7_T9_mT8_P12ihipStream_tbDpT10_ENKUlT_T0_E_clISt17integral_constantIbLb0EES1E_IbLb1EEEEDaS1A_S1B_EUlS1A_E_NS1_11comp_targetILNS1_3genE9ELNS1_11target_archE1100ELNS1_3gpuE3ELNS1_3repE0EEENS1_30default_config_static_selectorELNS0_4arch9wavefront6targetE1EEEvT1_,comdat
.Lfunc_end2100:
	.size	_ZN7rocprim17ROCPRIM_400000_NS6detail17trampoline_kernelINS0_14default_configENS1_25partition_config_selectorILNS1_17partition_subalgoE2EtNS0_10empty_typeEbEEZZNS1_14partition_implILS5_2ELb0ES3_jN6thrust23THRUST_200600_302600_NS6detail15normal_iteratorINSA_7pointerItNSA_11hip_rocprim3tagENSA_11use_defaultESG_EEEEPS6_NSA_18transform_iteratorI7is_evenItENSC_INSA_10device_ptrItEEEESG_SG_EENS0_5tupleIJPtSJ_EEENSR_IJSJ_SJ_EEES6_PlJS6_EEE10hipError_tPvRmT3_T4_T5_T6_T7_T9_mT8_P12ihipStream_tbDpT10_ENKUlT_T0_E_clISt17integral_constantIbLb0EES1E_IbLb1EEEEDaS1A_S1B_EUlS1A_E_NS1_11comp_targetILNS1_3genE9ELNS1_11target_archE1100ELNS1_3gpuE3ELNS1_3repE0EEENS1_30default_config_static_selectorELNS0_4arch9wavefront6targetE1EEEvT1_, .Lfunc_end2100-_ZN7rocprim17ROCPRIM_400000_NS6detail17trampoline_kernelINS0_14default_configENS1_25partition_config_selectorILNS1_17partition_subalgoE2EtNS0_10empty_typeEbEEZZNS1_14partition_implILS5_2ELb0ES3_jN6thrust23THRUST_200600_302600_NS6detail15normal_iteratorINSA_7pointerItNSA_11hip_rocprim3tagENSA_11use_defaultESG_EEEEPS6_NSA_18transform_iteratorI7is_evenItENSC_INSA_10device_ptrItEEEESG_SG_EENS0_5tupleIJPtSJ_EEENSR_IJSJ_SJ_EEES6_PlJS6_EEE10hipError_tPvRmT3_T4_T5_T6_T7_T9_mT8_P12ihipStream_tbDpT10_ENKUlT_T0_E_clISt17integral_constantIbLb0EES1E_IbLb1EEEEDaS1A_S1B_EUlS1A_E_NS1_11comp_targetILNS1_3genE9ELNS1_11target_archE1100ELNS1_3gpuE3ELNS1_3repE0EEENS1_30default_config_static_selectorELNS0_4arch9wavefront6targetE1EEEvT1_
                                        ; -- End function
	.section	.AMDGPU.csdata,"",@progbits
; Kernel info:
; codeLenInByte = 0
; NumSgprs: 4
; NumVgprs: 0
; NumAgprs: 0
; TotalNumVgprs: 0
; ScratchSize: 0
; MemoryBound: 0
; FloatMode: 240
; IeeeMode: 1
; LDSByteSize: 0 bytes/workgroup (compile time only)
; SGPRBlocks: 0
; VGPRBlocks: 0
; NumSGPRsForWavesPerEU: 4
; NumVGPRsForWavesPerEU: 1
; AccumOffset: 4
; Occupancy: 8
; WaveLimiterHint : 0
; COMPUTE_PGM_RSRC2:SCRATCH_EN: 0
; COMPUTE_PGM_RSRC2:USER_SGPR: 6
; COMPUTE_PGM_RSRC2:TRAP_HANDLER: 0
; COMPUTE_PGM_RSRC2:TGID_X_EN: 1
; COMPUTE_PGM_RSRC2:TGID_Y_EN: 0
; COMPUTE_PGM_RSRC2:TGID_Z_EN: 0
; COMPUTE_PGM_RSRC2:TIDIG_COMP_CNT: 0
; COMPUTE_PGM_RSRC3_GFX90A:ACCUM_OFFSET: 0
; COMPUTE_PGM_RSRC3_GFX90A:TG_SPLIT: 0
	.section	.text._ZN7rocprim17ROCPRIM_400000_NS6detail17trampoline_kernelINS0_14default_configENS1_25partition_config_selectorILNS1_17partition_subalgoE2EtNS0_10empty_typeEbEEZZNS1_14partition_implILS5_2ELb0ES3_jN6thrust23THRUST_200600_302600_NS6detail15normal_iteratorINSA_7pointerItNSA_11hip_rocprim3tagENSA_11use_defaultESG_EEEEPS6_NSA_18transform_iteratorI7is_evenItENSC_INSA_10device_ptrItEEEESG_SG_EENS0_5tupleIJPtSJ_EEENSR_IJSJ_SJ_EEES6_PlJS6_EEE10hipError_tPvRmT3_T4_T5_T6_T7_T9_mT8_P12ihipStream_tbDpT10_ENKUlT_T0_E_clISt17integral_constantIbLb0EES1E_IbLb1EEEEDaS1A_S1B_EUlS1A_E_NS1_11comp_targetILNS1_3genE8ELNS1_11target_archE1030ELNS1_3gpuE2ELNS1_3repE0EEENS1_30default_config_static_selectorELNS0_4arch9wavefront6targetE1EEEvT1_,"axG",@progbits,_ZN7rocprim17ROCPRIM_400000_NS6detail17trampoline_kernelINS0_14default_configENS1_25partition_config_selectorILNS1_17partition_subalgoE2EtNS0_10empty_typeEbEEZZNS1_14partition_implILS5_2ELb0ES3_jN6thrust23THRUST_200600_302600_NS6detail15normal_iteratorINSA_7pointerItNSA_11hip_rocprim3tagENSA_11use_defaultESG_EEEEPS6_NSA_18transform_iteratorI7is_evenItENSC_INSA_10device_ptrItEEEESG_SG_EENS0_5tupleIJPtSJ_EEENSR_IJSJ_SJ_EEES6_PlJS6_EEE10hipError_tPvRmT3_T4_T5_T6_T7_T9_mT8_P12ihipStream_tbDpT10_ENKUlT_T0_E_clISt17integral_constantIbLb0EES1E_IbLb1EEEEDaS1A_S1B_EUlS1A_E_NS1_11comp_targetILNS1_3genE8ELNS1_11target_archE1030ELNS1_3gpuE2ELNS1_3repE0EEENS1_30default_config_static_selectorELNS0_4arch9wavefront6targetE1EEEvT1_,comdat
	.protected	_ZN7rocprim17ROCPRIM_400000_NS6detail17trampoline_kernelINS0_14default_configENS1_25partition_config_selectorILNS1_17partition_subalgoE2EtNS0_10empty_typeEbEEZZNS1_14partition_implILS5_2ELb0ES3_jN6thrust23THRUST_200600_302600_NS6detail15normal_iteratorINSA_7pointerItNSA_11hip_rocprim3tagENSA_11use_defaultESG_EEEEPS6_NSA_18transform_iteratorI7is_evenItENSC_INSA_10device_ptrItEEEESG_SG_EENS0_5tupleIJPtSJ_EEENSR_IJSJ_SJ_EEES6_PlJS6_EEE10hipError_tPvRmT3_T4_T5_T6_T7_T9_mT8_P12ihipStream_tbDpT10_ENKUlT_T0_E_clISt17integral_constantIbLb0EES1E_IbLb1EEEEDaS1A_S1B_EUlS1A_E_NS1_11comp_targetILNS1_3genE8ELNS1_11target_archE1030ELNS1_3gpuE2ELNS1_3repE0EEENS1_30default_config_static_selectorELNS0_4arch9wavefront6targetE1EEEvT1_ ; -- Begin function _ZN7rocprim17ROCPRIM_400000_NS6detail17trampoline_kernelINS0_14default_configENS1_25partition_config_selectorILNS1_17partition_subalgoE2EtNS0_10empty_typeEbEEZZNS1_14partition_implILS5_2ELb0ES3_jN6thrust23THRUST_200600_302600_NS6detail15normal_iteratorINSA_7pointerItNSA_11hip_rocprim3tagENSA_11use_defaultESG_EEEEPS6_NSA_18transform_iteratorI7is_evenItENSC_INSA_10device_ptrItEEEESG_SG_EENS0_5tupleIJPtSJ_EEENSR_IJSJ_SJ_EEES6_PlJS6_EEE10hipError_tPvRmT3_T4_T5_T6_T7_T9_mT8_P12ihipStream_tbDpT10_ENKUlT_T0_E_clISt17integral_constantIbLb0EES1E_IbLb1EEEEDaS1A_S1B_EUlS1A_E_NS1_11comp_targetILNS1_3genE8ELNS1_11target_archE1030ELNS1_3gpuE2ELNS1_3repE0EEENS1_30default_config_static_selectorELNS0_4arch9wavefront6targetE1EEEvT1_
	.globl	_ZN7rocprim17ROCPRIM_400000_NS6detail17trampoline_kernelINS0_14default_configENS1_25partition_config_selectorILNS1_17partition_subalgoE2EtNS0_10empty_typeEbEEZZNS1_14partition_implILS5_2ELb0ES3_jN6thrust23THRUST_200600_302600_NS6detail15normal_iteratorINSA_7pointerItNSA_11hip_rocprim3tagENSA_11use_defaultESG_EEEEPS6_NSA_18transform_iteratorI7is_evenItENSC_INSA_10device_ptrItEEEESG_SG_EENS0_5tupleIJPtSJ_EEENSR_IJSJ_SJ_EEES6_PlJS6_EEE10hipError_tPvRmT3_T4_T5_T6_T7_T9_mT8_P12ihipStream_tbDpT10_ENKUlT_T0_E_clISt17integral_constantIbLb0EES1E_IbLb1EEEEDaS1A_S1B_EUlS1A_E_NS1_11comp_targetILNS1_3genE8ELNS1_11target_archE1030ELNS1_3gpuE2ELNS1_3repE0EEENS1_30default_config_static_selectorELNS0_4arch9wavefront6targetE1EEEvT1_
	.p2align	8
	.type	_ZN7rocprim17ROCPRIM_400000_NS6detail17trampoline_kernelINS0_14default_configENS1_25partition_config_selectorILNS1_17partition_subalgoE2EtNS0_10empty_typeEbEEZZNS1_14partition_implILS5_2ELb0ES3_jN6thrust23THRUST_200600_302600_NS6detail15normal_iteratorINSA_7pointerItNSA_11hip_rocprim3tagENSA_11use_defaultESG_EEEEPS6_NSA_18transform_iteratorI7is_evenItENSC_INSA_10device_ptrItEEEESG_SG_EENS0_5tupleIJPtSJ_EEENSR_IJSJ_SJ_EEES6_PlJS6_EEE10hipError_tPvRmT3_T4_T5_T6_T7_T9_mT8_P12ihipStream_tbDpT10_ENKUlT_T0_E_clISt17integral_constantIbLb0EES1E_IbLb1EEEEDaS1A_S1B_EUlS1A_E_NS1_11comp_targetILNS1_3genE8ELNS1_11target_archE1030ELNS1_3gpuE2ELNS1_3repE0EEENS1_30default_config_static_selectorELNS0_4arch9wavefront6targetE1EEEvT1_,@function
_ZN7rocprim17ROCPRIM_400000_NS6detail17trampoline_kernelINS0_14default_configENS1_25partition_config_selectorILNS1_17partition_subalgoE2EtNS0_10empty_typeEbEEZZNS1_14partition_implILS5_2ELb0ES3_jN6thrust23THRUST_200600_302600_NS6detail15normal_iteratorINSA_7pointerItNSA_11hip_rocprim3tagENSA_11use_defaultESG_EEEEPS6_NSA_18transform_iteratorI7is_evenItENSC_INSA_10device_ptrItEEEESG_SG_EENS0_5tupleIJPtSJ_EEENSR_IJSJ_SJ_EEES6_PlJS6_EEE10hipError_tPvRmT3_T4_T5_T6_T7_T9_mT8_P12ihipStream_tbDpT10_ENKUlT_T0_E_clISt17integral_constantIbLb0EES1E_IbLb1EEEEDaS1A_S1B_EUlS1A_E_NS1_11comp_targetILNS1_3genE8ELNS1_11target_archE1030ELNS1_3gpuE2ELNS1_3repE0EEENS1_30default_config_static_selectorELNS0_4arch9wavefront6targetE1EEEvT1_: ; @_ZN7rocprim17ROCPRIM_400000_NS6detail17trampoline_kernelINS0_14default_configENS1_25partition_config_selectorILNS1_17partition_subalgoE2EtNS0_10empty_typeEbEEZZNS1_14partition_implILS5_2ELb0ES3_jN6thrust23THRUST_200600_302600_NS6detail15normal_iteratorINSA_7pointerItNSA_11hip_rocprim3tagENSA_11use_defaultESG_EEEEPS6_NSA_18transform_iteratorI7is_evenItENSC_INSA_10device_ptrItEEEESG_SG_EENS0_5tupleIJPtSJ_EEENSR_IJSJ_SJ_EEES6_PlJS6_EEE10hipError_tPvRmT3_T4_T5_T6_T7_T9_mT8_P12ihipStream_tbDpT10_ENKUlT_T0_E_clISt17integral_constantIbLb0EES1E_IbLb1EEEEDaS1A_S1B_EUlS1A_E_NS1_11comp_targetILNS1_3genE8ELNS1_11target_archE1030ELNS1_3gpuE2ELNS1_3repE0EEENS1_30default_config_static_selectorELNS0_4arch9wavefront6targetE1EEEvT1_
; %bb.0:
	.section	.rodata,"a",@progbits
	.p2align	6, 0x0
	.amdhsa_kernel _ZN7rocprim17ROCPRIM_400000_NS6detail17trampoline_kernelINS0_14default_configENS1_25partition_config_selectorILNS1_17partition_subalgoE2EtNS0_10empty_typeEbEEZZNS1_14partition_implILS5_2ELb0ES3_jN6thrust23THRUST_200600_302600_NS6detail15normal_iteratorINSA_7pointerItNSA_11hip_rocprim3tagENSA_11use_defaultESG_EEEEPS6_NSA_18transform_iteratorI7is_evenItENSC_INSA_10device_ptrItEEEESG_SG_EENS0_5tupleIJPtSJ_EEENSR_IJSJ_SJ_EEES6_PlJS6_EEE10hipError_tPvRmT3_T4_T5_T6_T7_T9_mT8_P12ihipStream_tbDpT10_ENKUlT_T0_E_clISt17integral_constantIbLb0EES1E_IbLb1EEEEDaS1A_S1B_EUlS1A_E_NS1_11comp_targetILNS1_3genE8ELNS1_11target_archE1030ELNS1_3gpuE2ELNS1_3repE0EEENS1_30default_config_static_selectorELNS0_4arch9wavefront6targetE1EEEvT1_
		.amdhsa_group_segment_fixed_size 0
		.amdhsa_private_segment_fixed_size 0
		.amdhsa_kernarg_size 144
		.amdhsa_user_sgpr_count 6
		.amdhsa_user_sgpr_private_segment_buffer 1
		.amdhsa_user_sgpr_dispatch_ptr 0
		.amdhsa_user_sgpr_queue_ptr 0
		.amdhsa_user_sgpr_kernarg_segment_ptr 1
		.amdhsa_user_sgpr_dispatch_id 0
		.amdhsa_user_sgpr_flat_scratch_init 0
		.amdhsa_user_sgpr_kernarg_preload_length 0
		.amdhsa_user_sgpr_kernarg_preload_offset 0
		.amdhsa_user_sgpr_private_segment_size 0
		.amdhsa_uses_dynamic_stack 0
		.amdhsa_system_sgpr_private_segment_wavefront_offset 0
		.amdhsa_system_sgpr_workgroup_id_x 1
		.amdhsa_system_sgpr_workgroup_id_y 0
		.amdhsa_system_sgpr_workgroup_id_z 0
		.amdhsa_system_sgpr_workgroup_info 0
		.amdhsa_system_vgpr_workitem_id 0
		.amdhsa_next_free_vgpr 1
		.amdhsa_next_free_sgpr 0
		.amdhsa_accum_offset 4
		.amdhsa_reserve_vcc 0
		.amdhsa_reserve_flat_scratch 0
		.amdhsa_float_round_mode_32 0
		.amdhsa_float_round_mode_16_64 0
		.amdhsa_float_denorm_mode_32 3
		.amdhsa_float_denorm_mode_16_64 3
		.amdhsa_dx10_clamp 1
		.amdhsa_ieee_mode 1
		.amdhsa_fp16_overflow 0
		.amdhsa_tg_split 0
		.amdhsa_exception_fp_ieee_invalid_op 0
		.amdhsa_exception_fp_denorm_src 0
		.amdhsa_exception_fp_ieee_div_zero 0
		.amdhsa_exception_fp_ieee_overflow 0
		.amdhsa_exception_fp_ieee_underflow 0
		.amdhsa_exception_fp_ieee_inexact 0
		.amdhsa_exception_int_div_zero 0
	.end_amdhsa_kernel
	.section	.text._ZN7rocprim17ROCPRIM_400000_NS6detail17trampoline_kernelINS0_14default_configENS1_25partition_config_selectorILNS1_17partition_subalgoE2EtNS0_10empty_typeEbEEZZNS1_14partition_implILS5_2ELb0ES3_jN6thrust23THRUST_200600_302600_NS6detail15normal_iteratorINSA_7pointerItNSA_11hip_rocprim3tagENSA_11use_defaultESG_EEEEPS6_NSA_18transform_iteratorI7is_evenItENSC_INSA_10device_ptrItEEEESG_SG_EENS0_5tupleIJPtSJ_EEENSR_IJSJ_SJ_EEES6_PlJS6_EEE10hipError_tPvRmT3_T4_T5_T6_T7_T9_mT8_P12ihipStream_tbDpT10_ENKUlT_T0_E_clISt17integral_constantIbLb0EES1E_IbLb1EEEEDaS1A_S1B_EUlS1A_E_NS1_11comp_targetILNS1_3genE8ELNS1_11target_archE1030ELNS1_3gpuE2ELNS1_3repE0EEENS1_30default_config_static_selectorELNS0_4arch9wavefront6targetE1EEEvT1_,"axG",@progbits,_ZN7rocprim17ROCPRIM_400000_NS6detail17trampoline_kernelINS0_14default_configENS1_25partition_config_selectorILNS1_17partition_subalgoE2EtNS0_10empty_typeEbEEZZNS1_14partition_implILS5_2ELb0ES3_jN6thrust23THRUST_200600_302600_NS6detail15normal_iteratorINSA_7pointerItNSA_11hip_rocprim3tagENSA_11use_defaultESG_EEEEPS6_NSA_18transform_iteratorI7is_evenItENSC_INSA_10device_ptrItEEEESG_SG_EENS0_5tupleIJPtSJ_EEENSR_IJSJ_SJ_EEES6_PlJS6_EEE10hipError_tPvRmT3_T4_T5_T6_T7_T9_mT8_P12ihipStream_tbDpT10_ENKUlT_T0_E_clISt17integral_constantIbLb0EES1E_IbLb1EEEEDaS1A_S1B_EUlS1A_E_NS1_11comp_targetILNS1_3genE8ELNS1_11target_archE1030ELNS1_3gpuE2ELNS1_3repE0EEENS1_30default_config_static_selectorELNS0_4arch9wavefront6targetE1EEEvT1_,comdat
.Lfunc_end2101:
	.size	_ZN7rocprim17ROCPRIM_400000_NS6detail17trampoline_kernelINS0_14default_configENS1_25partition_config_selectorILNS1_17partition_subalgoE2EtNS0_10empty_typeEbEEZZNS1_14partition_implILS5_2ELb0ES3_jN6thrust23THRUST_200600_302600_NS6detail15normal_iteratorINSA_7pointerItNSA_11hip_rocprim3tagENSA_11use_defaultESG_EEEEPS6_NSA_18transform_iteratorI7is_evenItENSC_INSA_10device_ptrItEEEESG_SG_EENS0_5tupleIJPtSJ_EEENSR_IJSJ_SJ_EEES6_PlJS6_EEE10hipError_tPvRmT3_T4_T5_T6_T7_T9_mT8_P12ihipStream_tbDpT10_ENKUlT_T0_E_clISt17integral_constantIbLb0EES1E_IbLb1EEEEDaS1A_S1B_EUlS1A_E_NS1_11comp_targetILNS1_3genE8ELNS1_11target_archE1030ELNS1_3gpuE2ELNS1_3repE0EEENS1_30default_config_static_selectorELNS0_4arch9wavefront6targetE1EEEvT1_, .Lfunc_end2101-_ZN7rocprim17ROCPRIM_400000_NS6detail17trampoline_kernelINS0_14default_configENS1_25partition_config_selectorILNS1_17partition_subalgoE2EtNS0_10empty_typeEbEEZZNS1_14partition_implILS5_2ELb0ES3_jN6thrust23THRUST_200600_302600_NS6detail15normal_iteratorINSA_7pointerItNSA_11hip_rocprim3tagENSA_11use_defaultESG_EEEEPS6_NSA_18transform_iteratorI7is_evenItENSC_INSA_10device_ptrItEEEESG_SG_EENS0_5tupleIJPtSJ_EEENSR_IJSJ_SJ_EEES6_PlJS6_EEE10hipError_tPvRmT3_T4_T5_T6_T7_T9_mT8_P12ihipStream_tbDpT10_ENKUlT_T0_E_clISt17integral_constantIbLb0EES1E_IbLb1EEEEDaS1A_S1B_EUlS1A_E_NS1_11comp_targetILNS1_3genE8ELNS1_11target_archE1030ELNS1_3gpuE2ELNS1_3repE0EEENS1_30default_config_static_selectorELNS0_4arch9wavefront6targetE1EEEvT1_
                                        ; -- End function
	.section	.AMDGPU.csdata,"",@progbits
; Kernel info:
; codeLenInByte = 0
; NumSgprs: 4
; NumVgprs: 0
; NumAgprs: 0
; TotalNumVgprs: 0
; ScratchSize: 0
; MemoryBound: 0
; FloatMode: 240
; IeeeMode: 1
; LDSByteSize: 0 bytes/workgroup (compile time only)
; SGPRBlocks: 0
; VGPRBlocks: 0
; NumSGPRsForWavesPerEU: 4
; NumVGPRsForWavesPerEU: 1
; AccumOffset: 4
; Occupancy: 8
; WaveLimiterHint : 0
; COMPUTE_PGM_RSRC2:SCRATCH_EN: 0
; COMPUTE_PGM_RSRC2:USER_SGPR: 6
; COMPUTE_PGM_RSRC2:TRAP_HANDLER: 0
; COMPUTE_PGM_RSRC2:TGID_X_EN: 1
; COMPUTE_PGM_RSRC2:TGID_Y_EN: 0
; COMPUTE_PGM_RSRC2:TGID_Z_EN: 0
; COMPUTE_PGM_RSRC2:TIDIG_COMP_CNT: 0
; COMPUTE_PGM_RSRC3_GFX90A:ACCUM_OFFSET: 0
; COMPUTE_PGM_RSRC3_GFX90A:TG_SPLIT: 0
	.section	.text._ZN6thrust23THRUST_200600_302600_NS11hip_rocprim14__parallel_for6kernelILj256ENS1_13__swap_ranges6swap_fINS0_6detail15normal_iteratorINS0_10device_ptrItEEEENS0_16reverse_iteratorISA_EEEElLj1EEEvT0_T1_SF_,"axG",@progbits,_ZN6thrust23THRUST_200600_302600_NS11hip_rocprim14__parallel_for6kernelILj256ENS1_13__swap_ranges6swap_fINS0_6detail15normal_iteratorINS0_10device_ptrItEEEENS0_16reverse_iteratorISA_EEEElLj1EEEvT0_T1_SF_,comdat
	.protected	_ZN6thrust23THRUST_200600_302600_NS11hip_rocprim14__parallel_for6kernelILj256ENS1_13__swap_ranges6swap_fINS0_6detail15normal_iteratorINS0_10device_ptrItEEEENS0_16reverse_iteratorISA_EEEElLj1EEEvT0_T1_SF_ ; -- Begin function _ZN6thrust23THRUST_200600_302600_NS11hip_rocprim14__parallel_for6kernelILj256ENS1_13__swap_ranges6swap_fINS0_6detail15normal_iteratorINS0_10device_ptrItEEEENS0_16reverse_iteratorISA_EEEElLj1EEEvT0_T1_SF_
	.globl	_ZN6thrust23THRUST_200600_302600_NS11hip_rocprim14__parallel_for6kernelILj256ENS1_13__swap_ranges6swap_fINS0_6detail15normal_iteratorINS0_10device_ptrItEEEENS0_16reverse_iteratorISA_EEEElLj1EEEvT0_T1_SF_
	.p2align	8
	.type	_ZN6thrust23THRUST_200600_302600_NS11hip_rocprim14__parallel_for6kernelILj256ENS1_13__swap_ranges6swap_fINS0_6detail15normal_iteratorINS0_10device_ptrItEEEENS0_16reverse_iteratorISA_EEEElLj1EEEvT0_T1_SF_,@function
_ZN6thrust23THRUST_200600_302600_NS11hip_rocprim14__parallel_for6kernelILj256ENS1_13__swap_ranges6swap_fINS0_6detail15normal_iteratorINS0_10device_ptrItEEEENS0_16reverse_iteratorISA_EEEElLj1EEEvT0_T1_SF_: ; @_ZN6thrust23THRUST_200600_302600_NS11hip_rocprim14__parallel_for6kernelILj256ENS1_13__swap_ranges6swap_fINS0_6detail15normal_iteratorINS0_10device_ptrItEEEENS0_16reverse_iteratorISA_EEEElLj1EEEvT0_T1_SF_
; %bb.0:
	s_load_dwordx8 s[8:15], s[4:5], 0x0
	s_lshl_b32 s0, s6, 8
	v_mov_b32_e32 v2, 0x100
	v_mov_b32_e32 v3, 0
	s_waitcnt lgkmcnt(0)
	s_add_u32 s2, s0, s14
	s_addc_u32 s3, 0, s15
	s_sub_u32 s0, s12, s2
	s_subb_u32 s1, s13, s3
	v_cmp_lt_i64_e32 vcc, s[0:1], v[2:3]
	s_and_b64 s[4:5], vcc, exec
	s_cselect_b32 s4, s0, 0x100
	s_cmpk_lg_i32 s4, 0x100
	s_mov_b64 s[0:1], -1
	s_cbranch_scc1 .LBB2102_3
; %bb.1:
	s_andn2_b64 vcc, exec, s[0:1]
	s_cbranch_vccz .LBB2102_6
.LBB2102_2:
	s_endpgm
.LBB2102_3:
	v_cmp_gt_u32_e32 vcc, s4, v0
	s_and_saveexec_b64 s[0:1], vcc
	s_cbranch_execz .LBB2102_5
; %bb.4:
	v_mov_b32_e32 v1, s3
	v_add_co_u32_e32 v2, vcc, s2, v0
	v_addc_co_u32_e32 v3, vcc, 0, v1, vcc
	v_lshlrev_b64 v[2:3], 1, v[2:3]
	v_mov_b32_e32 v1, s11
	v_sub_co_u32_e32 v4, vcc, s10, v2
	v_subb_co_u32_e32 v1, vcc, v1, v3, vcc
	v_mov_b32_e32 v5, s9
	v_add_co_u32_e32 v2, vcc, s8, v2
	v_addc_co_u32_e32 v3, vcc, v5, v3, vcc
	v_add_co_u32_e32 v4, vcc, -2, v4
	v_addc_co_u32_e32 v5, vcc, -1, v1, vcc
	flat_load_ushort v1, v[4:5]
	flat_load_ushort v6, v[2:3]
	s_waitcnt vmcnt(0) lgkmcnt(0)
	flat_store_short v[2:3], v1
	flat_store_short v[4:5], v6
.LBB2102_5:
	s_or_b64 exec, exec, s[0:1]
	s_cbranch_execnz .LBB2102_2
.LBB2102_6:
	v_mov_b32_e32 v1, s3
	v_add_co_u32_e32 v0, vcc, s2, v0
	v_addc_co_u32_e32 v1, vcc, 0, v1, vcc
	v_lshlrev_b64 v[0:1], 1, v[0:1]
	v_mov_b32_e32 v3, s9
	v_add_co_u32_e32 v2, vcc, s8, v0
	v_addc_co_u32_e32 v3, vcc, v3, v1, vcc
	v_mov_b32_e32 v4, s11
	v_sub_co_u32_e32 v0, vcc, s10, v0
	v_subb_co_u32_e32 v1, vcc, v4, v1, vcc
	v_add_co_u32_e32 v0, vcc, -2, v0
	v_addc_co_u32_e32 v1, vcc, -1, v1, vcc
	flat_load_ushort v4, v[0:1]
	flat_load_ushort v5, v[2:3]
	s_waitcnt vmcnt(0) lgkmcnt(0)
	flat_store_short v[2:3], v4
	flat_store_short v[0:1], v5
	s_endpgm
	.section	.rodata,"a",@progbits
	.p2align	6, 0x0
	.amdhsa_kernel _ZN6thrust23THRUST_200600_302600_NS11hip_rocprim14__parallel_for6kernelILj256ENS1_13__swap_ranges6swap_fINS0_6detail15normal_iteratorINS0_10device_ptrItEEEENS0_16reverse_iteratorISA_EEEElLj1EEEvT0_T1_SF_
		.amdhsa_group_segment_fixed_size 0
		.amdhsa_private_segment_fixed_size 0
		.amdhsa_kernarg_size 32
		.amdhsa_user_sgpr_count 6
		.amdhsa_user_sgpr_private_segment_buffer 1
		.amdhsa_user_sgpr_dispatch_ptr 0
		.amdhsa_user_sgpr_queue_ptr 0
		.amdhsa_user_sgpr_kernarg_segment_ptr 1
		.amdhsa_user_sgpr_dispatch_id 0
		.amdhsa_user_sgpr_flat_scratch_init 0
		.amdhsa_user_sgpr_kernarg_preload_length 0
		.amdhsa_user_sgpr_kernarg_preload_offset 0
		.amdhsa_user_sgpr_private_segment_size 0
		.amdhsa_uses_dynamic_stack 0
		.amdhsa_system_sgpr_private_segment_wavefront_offset 0
		.amdhsa_system_sgpr_workgroup_id_x 1
		.amdhsa_system_sgpr_workgroup_id_y 0
		.amdhsa_system_sgpr_workgroup_id_z 0
		.amdhsa_system_sgpr_workgroup_info 0
		.amdhsa_system_vgpr_workitem_id 0
		.amdhsa_next_free_vgpr 7
		.amdhsa_next_free_sgpr 16
		.amdhsa_accum_offset 8
		.amdhsa_reserve_vcc 1
		.amdhsa_reserve_flat_scratch 0
		.amdhsa_float_round_mode_32 0
		.amdhsa_float_round_mode_16_64 0
		.amdhsa_float_denorm_mode_32 3
		.amdhsa_float_denorm_mode_16_64 3
		.amdhsa_dx10_clamp 1
		.amdhsa_ieee_mode 1
		.amdhsa_fp16_overflow 0
		.amdhsa_tg_split 0
		.amdhsa_exception_fp_ieee_invalid_op 0
		.amdhsa_exception_fp_denorm_src 0
		.amdhsa_exception_fp_ieee_div_zero 0
		.amdhsa_exception_fp_ieee_overflow 0
		.amdhsa_exception_fp_ieee_underflow 0
		.amdhsa_exception_fp_ieee_inexact 0
		.amdhsa_exception_int_div_zero 0
	.end_amdhsa_kernel
	.section	.text._ZN6thrust23THRUST_200600_302600_NS11hip_rocprim14__parallel_for6kernelILj256ENS1_13__swap_ranges6swap_fINS0_6detail15normal_iteratorINS0_10device_ptrItEEEENS0_16reverse_iteratorISA_EEEElLj1EEEvT0_T1_SF_,"axG",@progbits,_ZN6thrust23THRUST_200600_302600_NS11hip_rocprim14__parallel_for6kernelILj256ENS1_13__swap_ranges6swap_fINS0_6detail15normal_iteratorINS0_10device_ptrItEEEENS0_16reverse_iteratorISA_EEEElLj1EEEvT0_T1_SF_,comdat
.Lfunc_end2102:
	.size	_ZN6thrust23THRUST_200600_302600_NS11hip_rocprim14__parallel_for6kernelILj256ENS1_13__swap_ranges6swap_fINS0_6detail15normal_iteratorINS0_10device_ptrItEEEENS0_16reverse_iteratorISA_EEEElLj1EEEvT0_T1_SF_, .Lfunc_end2102-_ZN6thrust23THRUST_200600_302600_NS11hip_rocprim14__parallel_for6kernelILj256ENS1_13__swap_ranges6swap_fINS0_6detail15normal_iteratorINS0_10device_ptrItEEEENS0_16reverse_iteratorISA_EEEElLj1EEEvT0_T1_SF_
                                        ; -- End function
	.section	.AMDGPU.csdata,"",@progbits
; Kernel info:
; codeLenInByte = 284
; NumSgprs: 20
; NumVgprs: 7
; NumAgprs: 0
; TotalNumVgprs: 7
; ScratchSize: 0
; MemoryBound: 0
; FloatMode: 240
; IeeeMode: 1
; LDSByteSize: 0 bytes/workgroup (compile time only)
; SGPRBlocks: 2
; VGPRBlocks: 0
; NumSGPRsForWavesPerEU: 20
; NumVGPRsForWavesPerEU: 7
; AccumOffset: 8
; Occupancy: 8
; WaveLimiterHint : 0
; COMPUTE_PGM_RSRC2:SCRATCH_EN: 0
; COMPUTE_PGM_RSRC2:USER_SGPR: 6
; COMPUTE_PGM_RSRC2:TRAP_HANDLER: 0
; COMPUTE_PGM_RSRC2:TGID_X_EN: 1
; COMPUTE_PGM_RSRC2:TGID_Y_EN: 0
; COMPUTE_PGM_RSRC2:TGID_Z_EN: 0
; COMPUTE_PGM_RSRC2:TIDIG_COMP_CNT: 0
; COMPUTE_PGM_RSRC3_GFX90A:ACCUM_OFFSET: 1
; COMPUTE_PGM_RSRC3_GFX90A:TG_SPLIT: 0
	.section	.text._ZN6thrust23THRUST_200600_302600_NS11hip_rocprim14__parallel_for6kernelILj256ENS1_20__uninitialized_fill7functorINS0_10device_ptrIyEEyEEmLj1EEEvT0_T1_SA_,"axG",@progbits,_ZN6thrust23THRUST_200600_302600_NS11hip_rocprim14__parallel_for6kernelILj256ENS1_20__uninitialized_fill7functorINS0_10device_ptrIyEEyEEmLj1EEEvT0_T1_SA_,comdat
	.protected	_ZN6thrust23THRUST_200600_302600_NS11hip_rocprim14__parallel_for6kernelILj256ENS1_20__uninitialized_fill7functorINS0_10device_ptrIyEEyEEmLj1EEEvT0_T1_SA_ ; -- Begin function _ZN6thrust23THRUST_200600_302600_NS11hip_rocprim14__parallel_for6kernelILj256ENS1_20__uninitialized_fill7functorINS0_10device_ptrIyEEyEEmLj1EEEvT0_T1_SA_
	.globl	_ZN6thrust23THRUST_200600_302600_NS11hip_rocprim14__parallel_for6kernelILj256ENS1_20__uninitialized_fill7functorINS0_10device_ptrIyEEyEEmLj1EEEvT0_T1_SA_
	.p2align	8
	.type	_ZN6thrust23THRUST_200600_302600_NS11hip_rocprim14__parallel_for6kernelILj256ENS1_20__uninitialized_fill7functorINS0_10device_ptrIyEEyEEmLj1EEEvT0_T1_SA_,@function
_ZN6thrust23THRUST_200600_302600_NS11hip_rocprim14__parallel_for6kernelILj256ENS1_20__uninitialized_fill7functorINS0_10device_ptrIyEEyEEmLj1EEEvT0_T1_SA_: ; @_ZN6thrust23THRUST_200600_302600_NS11hip_rocprim14__parallel_for6kernelILj256ENS1_20__uninitialized_fill7functorINS0_10device_ptrIyEEyEEmLj1EEEvT0_T1_SA_
; %bb.0:
	s_load_dwordx8 s[8:15], s[4:5], 0x0
	s_lshl_b32 s0, s6, 8
	v_mov_b32_e32 v2, 0x100
	v_mov_b32_e32 v3, 0
	s_waitcnt lgkmcnt(0)
	s_add_u32 s0, s0, s14
	s_addc_u32 s1, 0, s15
	s_sub_u32 s2, s12, s0
	s_subb_u32 s3, s13, s1
	v_cmp_lt_u64_e32 vcc, s[2:3], v[2:3]
	s_cbranch_vccz .LBB2103_2
; %bb.1:
	v_cmp_gt_u32_e32 vcc, s2, v0
	s_and_b64 s[2:3], vcc, exec
	s_cbranch_execz .LBB2103_3
	s_branch .LBB2103_4
.LBB2103_2:
	s_mov_b64 s[2:3], 0
.LBB2103_3:
	s_or_b64 s[2:3], s[2:3], exec
.LBB2103_4:
	s_and_saveexec_b64 s[4:5], s[2:3]
	s_cbranch_execnz .LBB2103_6
; %bb.5:
	s_endpgm
.LBB2103_6:
	s_lshl_b64 s[0:1], s[0:1], 3
	v_mov_b32_e32 v1, 0
	s_add_u32 s0, s8, s0
	s_addc_u32 s1, s9, s1
	v_lshlrev_b64 v[0:1], 3, v[0:1]
	v_mov_b32_e32 v4, s1
	v_add_co_u32_e32 v0, vcc, s0, v0
	v_mov_b32_e32 v2, s10
	v_mov_b32_e32 v3, s11
	v_addc_co_u32_e32 v1, vcc, v4, v1, vcc
	flat_store_dwordx2 v[0:1], v[2:3]
	s_endpgm
	.section	.rodata,"a",@progbits
	.p2align	6, 0x0
	.amdhsa_kernel _ZN6thrust23THRUST_200600_302600_NS11hip_rocprim14__parallel_for6kernelILj256ENS1_20__uninitialized_fill7functorINS0_10device_ptrIyEEyEEmLj1EEEvT0_T1_SA_
		.amdhsa_group_segment_fixed_size 0
		.amdhsa_private_segment_fixed_size 0
		.amdhsa_kernarg_size 32
		.amdhsa_user_sgpr_count 6
		.amdhsa_user_sgpr_private_segment_buffer 1
		.amdhsa_user_sgpr_dispatch_ptr 0
		.amdhsa_user_sgpr_queue_ptr 0
		.amdhsa_user_sgpr_kernarg_segment_ptr 1
		.amdhsa_user_sgpr_dispatch_id 0
		.amdhsa_user_sgpr_flat_scratch_init 0
		.amdhsa_user_sgpr_kernarg_preload_length 0
		.amdhsa_user_sgpr_kernarg_preload_offset 0
		.amdhsa_user_sgpr_private_segment_size 0
		.amdhsa_uses_dynamic_stack 0
		.amdhsa_system_sgpr_private_segment_wavefront_offset 0
		.amdhsa_system_sgpr_workgroup_id_x 1
		.amdhsa_system_sgpr_workgroup_id_y 0
		.amdhsa_system_sgpr_workgroup_id_z 0
		.amdhsa_system_sgpr_workgroup_info 0
		.amdhsa_system_vgpr_workitem_id 0
		.amdhsa_next_free_vgpr 5
		.amdhsa_next_free_sgpr 16
		.amdhsa_accum_offset 8
		.amdhsa_reserve_vcc 1
		.amdhsa_reserve_flat_scratch 0
		.amdhsa_float_round_mode_32 0
		.amdhsa_float_round_mode_16_64 0
		.amdhsa_float_denorm_mode_32 3
		.amdhsa_float_denorm_mode_16_64 3
		.amdhsa_dx10_clamp 1
		.amdhsa_ieee_mode 1
		.amdhsa_fp16_overflow 0
		.amdhsa_tg_split 0
		.amdhsa_exception_fp_ieee_invalid_op 0
		.amdhsa_exception_fp_denorm_src 0
		.amdhsa_exception_fp_ieee_div_zero 0
		.amdhsa_exception_fp_ieee_overflow 0
		.amdhsa_exception_fp_ieee_underflow 0
		.amdhsa_exception_fp_ieee_inexact 0
		.amdhsa_exception_int_div_zero 0
	.end_amdhsa_kernel
	.section	.text._ZN6thrust23THRUST_200600_302600_NS11hip_rocprim14__parallel_for6kernelILj256ENS1_20__uninitialized_fill7functorINS0_10device_ptrIyEEyEEmLj1EEEvT0_T1_SA_,"axG",@progbits,_ZN6thrust23THRUST_200600_302600_NS11hip_rocprim14__parallel_for6kernelILj256ENS1_20__uninitialized_fill7functorINS0_10device_ptrIyEEyEEmLj1EEEvT0_T1_SA_,comdat
.Lfunc_end2103:
	.size	_ZN6thrust23THRUST_200600_302600_NS11hip_rocprim14__parallel_for6kernelILj256ENS1_20__uninitialized_fill7functorINS0_10device_ptrIyEEyEEmLj1EEEvT0_T1_SA_, .Lfunc_end2103-_ZN6thrust23THRUST_200600_302600_NS11hip_rocprim14__parallel_for6kernelILj256ENS1_20__uninitialized_fill7functorINS0_10device_ptrIyEEyEEmLj1EEEvT0_T1_SA_
                                        ; -- End function
	.section	.AMDGPU.csdata,"",@progbits
; Kernel info:
; codeLenInByte = 144
; NumSgprs: 20
; NumVgprs: 5
; NumAgprs: 0
; TotalNumVgprs: 5
; ScratchSize: 0
; MemoryBound: 0
; FloatMode: 240
; IeeeMode: 1
; LDSByteSize: 0 bytes/workgroup (compile time only)
; SGPRBlocks: 2
; VGPRBlocks: 0
; NumSGPRsForWavesPerEU: 20
; NumVGPRsForWavesPerEU: 5
; AccumOffset: 8
; Occupancy: 8
; WaveLimiterHint : 0
; COMPUTE_PGM_RSRC2:SCRATCH_EN: 0
; COMPUTE_PGM_RSRC2:USER_SGPR: 6
; COMPUTE_PGM_RSRC2:TRAP_HANDLER: 0
; COMPUTE_PGM_RSRC2:TGID_X_EN: 1
; COMPUTE_PGM_RSRC2:TGID_Y_EN: 0
; COMPUTE_PGM_RSRC2:TGID_Z_EN: 0
; COMPUTE_PGM_RSRC2:TIDIG_COMP_CNT: 0
; COMPUTE_PGM_RSRC3_GFX90A:ACCUM_OFFSET: 1
; COMPUTE_PGM_RSRC3_GFX90A:TG_SPLIT: 0
	.section	.text._ZN7rocprim17ROCPRIM_400000_NS6detail17trampoline_kernelINS0_14default_configENS1_25partition_config_selectorILNS1_17partition_subalgoE0EyNS0_10empty_typeEbEEZZNS1_14partition_implILS5_0ELb0ES3_jN6thrust23THRUST_200600_302600_NS6detail15normal_iteratorINSA_10device_ptrIyEEEEPS6_SG_NS0_5tupleIJSF_SF_EEENSH_IJSG_SG_EEES6_PlJ7is_evenIyEEEE10hipError_tPvRmT3_T4_T5_T6_T7_T9_mT8_P12ihipStream_tbDpT10_ENKUlT_T0_E_clISt17integral_constantIbLb0EES16_EEDaS11_S12_EUlS11_E_NS1_11comp_targetILNS1_3genE0ELNS1_11target_archE4294967295ELNS1_3gpuE0ELNS1_3repE0EEENS1_30default_config_static_selectorELNS0_4arch9wavefront6targetE1EEEvT1_,"axG",@progbits,_ZN7rocprim17ROCPRIM_400000_NS6detail17trampoline_kernelINS0_14default_configENS1_25partition_config_selectorILNS1_17partition_subalgoE0EyNS0_10empty_typeEbEEZZNS1_14partition_implILS5_0ELb0ES3_jN6thrust23THRUST_200600_302600_NS6detail15normal_iteratorINSA_10device_ptrIyEEEEPS6_SG_NS0_5tupleIJSF_SF_EEENSH_IJSG_SG_EEES6_PlJ7is_evenIyEEEE10hipError_tPvRmT3_T4_T5_T6_T7_T9_mT8_P12ihipStream_tbDpT10_ENKUlT_T0_E_clISt17integral_constantIbLb0EES16_EEDaS11_S12_EUlS11_E_NS1_11comp_targetILNS1_3genE0ELNS1_11target_archE4294967295ELNS1_3gpuE0ELNS1_3repE0EEENS1_30default_config_static_selectorELNS0_4arch9wavefront6targetE1EEEvT1_,comdat
	.protected	_ZN7rocprim17ROCPRIM_400000_NS6detail17trampoline_kernelINS0_14default_configENS1_25partition_config_selectorILNS1_17partition_subalgoE0EyNS0_10empty_typeEbEEZZNS1_14partition_implILS5_0ELb0ES3_jN6thrust23THRUST_200600_302600_NS6detail15normal_iteratorINSA_10device_ptrIyEEEEPS6_SG_NS0_5tupleIJSF_SF_EEENSH_IJSG_SG_EEES6_PlJ7is_evenIyEEEE10hipError_tPvRmT3_T4_T5_T6_T7_T9_mT8_P12ihipStream_tbDpT10_ENKUlT_T0_E_clISt17integral_constantIbLb0EES16_EEDaS11_S12_EUlS11_E_NS1_11comp_targetILNS1_3genE0ELNS1_11target_archE4294967295ELNS1_3gpuE0ELNS1_3repE0EEENS1_30default_config_static_selectorELNS0_4arch9wavefront6targetE1EEEvT1_ ; -- Begin function _ZN7rocprim17ROCPRIM_400000_NS6detail17trampoline_kernelINS0_14default_configENS1_25partition_config_selectorILNS1_17partition_subalgoE0EyNS0_10empty_typeEbEEZZNS1_14partition_implILS5_0ELb0ES3_jN6thrust23THRUST_200600_302600_NS6detail15normal_iteratorINSA_10device_ptrIyEEEEPS6_SG_NS0_5tupleIJSF_SF_EEENSH_IJSG_SG_EEES6_PlJ7is_evenIyEEEE10hipError_tPvRmT3_T4_T5_T6_T7_T9_mT8_P12ihipStream_tbDpT10_ENKUlT_T0_E_clISt17integral_constantIbLb0EES16_EEDaS11_S12_EUlS11_E_NS1_11comp_targetILNS1_3genE0ELNS1_11target_archE4294967295ELNS1_3gpuE0ELNS1_3repE0EEENS1_30default_config_static_selectorELNS0_4arch9wavefront6targetE1EEEvT1_
	.globl	_ZN7rocprim17ROCPRIM_400000_NS6detail17trampoline_kernelINS0_14default_configENS1_25partition_config_selectorILNS1_17partition_subalgoE0EyNS0_10empty_typeEbEEZZNS1_14partition_implILS5_0ELb0ES3_jN6thrust23THRUST_200600_302600_NS6detail15normal_iteratorINSA_10device_ptrIyEEEEPS6_SG_NS0_5tupleIJSF_SF_EEENSH_IJSG_SG_EEES6_PlJ7is_evenIyEEEE10hipError_tPvRmT3_T4_T5_T6_T7_T9_mT8_P12ihipStream_tbDpT10_ENKUlT_T0_E_clISt17integral_constantIbLb0EES16_EEDaS11_S12_EUlS11_E_NS1_11comp_targetILNS1_3genE0ELNS1_11target_archE4294967295ELNS1_3gpuE0ELNS1_3repE0EEENS1_30default_config_static_selectorELNS0_4arch9wavefront6targetE1EEEvT1_
	.p2align	8
	.type	_ZN7rocprim17ROCPRIM_400000_NS6detail17trampoline_kernelINS0_14default_configENS1_25partition_config_selectorILNS1_17partition_subalgoE0EyNS0_10empty_typeEbEEZZNS1_14partition_implILS5_0ELb0ES3_jN6thrust23THRUST_200600_302600_NS6detail15normal_iteratorINSA_10device_ptrIyEEEEPS6_SG_NS0_5tupleIJSF_SF_EEENSH_IJSG_SG_EEES6_PlJ7is_evenIyEEEE10hipError_tPvRmT3_T4_T5_T6_T7_T9_mT8_P12ihipStream_tbDpT10_ENKUlT_T0_E_clISt17integral_constantIbLb0EES16_EEDaS11_S12_EUlS11_E_NS1_11comp_targetILNS1_3genE0ELNS1_11target_archE4294967295ELNS1_3gpuE0ELNS1_3repE0EEENS1_30default_config_static_selectorELNS0_4arch9wavefront6targetE1EEEvT1_,@function
_ZN7rocprim17ROCPRIM_400000_NS6detail17trampoline_kernelINS0_14default_configENS1_25partition_config_selectorILNS1_17partition_subalgoE0EyNS0_10empty_typeEbEEZZNS1_14partition_implILS5_0ELb0ES3_jN6thrust23THRUST_200600_302600_NS6detail15normal_iteratorINSA_10device_ptrIyEEEEPS6_SG_NS0_5tupleIJSF_SF_EEENSH_IJSG_SG_EEES6_PlJ7is_evenIyEEEE10hipError_tPvRmT3_T4_T5_T6_T7_T9_mT8_P12ihipStream_tbDpT10_ENKUlT_T0_E_clISt17integral_constantIbLb0EES16_EEDaS11_S12_EUlS11_E_NS1_11comp_targetILNS1_3genE0ELNS1_11target_archE4294967295ELNS1_3gpuE0ELNS1_3repE0EEENS1_30default_config_static_selectorELNS0_4arch9wavefront6targetE1EEEvT1_: ; @_ZN7rocprim17ROCPRIM_400000_NS6detail17trampoline_kernelINS0_14default_configENS1_25partition_config_selectorILNS1_17partition_subalgoE0EyNS0_10empty_typeEbEEZZNS1_14partition_implILS5_0ELb0ES3_jN6thrust23THRUST_200600_302600_NS6detail15normal_iteratorINSA_10device_ptrIyEEEEPS6_SG_NS0_5tupleIJSF_SF_EEENSH_IJSG_SG_EEES6_PlJ7is_evenIyEEEE10hipError_tPvRmT3_T4_T5_T6_T7_T9_mT8_P12ihipStream_tbDpT10_ENKUlT_T0_E_clISt17integral_constantIbLb0EES16_EEDaS11_S12_EUlS11_E_NS1_11comp_targetILNS1_3genE0ELNS1_11target_archE4294967295ELNS1_3gpuE0ELNS1_3repE0EEENS1_30default_config_static_selectorELNS0_4arch9wavefront6targetE1EEEvT1_
; %bb.0:
	.section	.rodata,"a",@progbits
	.p2align	6, 0x0
	.amdhsa_kernel _ZN7rocprim17ROCPRIM_400000_NS6detail17trampoline_kernelINS0_14default_configENS1_25partition_config_selectorILNS1_17partition_subalgoE0EyNS0_10empty_typeEbEEZZNS1_14partition_implILS5_0ELb0ES3_jN6thrust23THRUST_200600_302600_NS6detail15normal_iteratorINSA_10device_ptrIyEEEEPS6_SG_NS0_5tupleIJSF_SF_EEENSH_IJSG_SG_EEES6_PlJ7is_evenIyEEEE10hipError_tPvRmT3_T4_T5_T6_T7_T9_mT8_P12ihipStream_tbDpT10_ENKUlT_T0_E_clISt17integral_constantIbLb0EES16_EEDaS11_S12_EUlS11_E_NS1_11comp_targetILNS1_3genE0ELNS1_11target_archE4294967295ELNS1_3gpuE0ELNS1_3repE0EEENS1_30default_config_static_selectorELNS0_4arch9wavefront6targetE1EEEvT1_
		.amdhsa_group_segment_fixed_size 0
		.amdhsa_private_segment_fixed_size 0
		.amdhsa_kernarg_size 120
		.amdhsa_user_sgpr_count 6
		.amdhsa_user_sgpr_private_segment_buffer 1
		.amdhsa_user_sgpr_dispatch_ptr 0
		.amdhsa_user_sgpr_queue_ptr 0
		.amdhsa_user_sgpr_kernarg_segment_ptr 1
		.amdhsa_user_sgpr_dispatch_id 0
		.amdhsa_user_sgpr_flat_scratch_init 0
		.amdhsa_user_sgpr_kernarg_preload_length 0
		.amdhsa_user_sgpr_kernarg_preload_offset 0
		.amdhsa_user_sgpr_private_segment_size 0
		.amdhsa_uses_dynamic_stack 0
		.amdhsa_system_sgpr_private_segment_wavefront_offset 0
		.amdhsa_system_sgpr_workgroup_id_x 1
		.amdhsa_system_sgpr_workgroup_id_y 0
		.amdhsa_system_sgpr_workgroup_id_z 0
		.amdhsa_system_sgpr_workgroup_info 0
		.amdhsa_system_vgpr_workitem_id 0
		.amdhsa_next_free_vgpr 1
		.amdhsa_next_free_sgpr 0
		.amdhsa_accum_offset 4
		.amdhsa_reserve_vcc 0
		.amdhsa_reserve_flat_scratch 0
		.amdhsa_float_round_mode_32 0
		.amdhsa_float_round_mode_16_64 0
		.amdhsa_float_denorm_mode_32 3
		.amdhsa_float_denorm_mode_16_64 3
		.amdhsa_dx10_clamp 1
		.amdhsa_ieee_mode 1
		.amdhsa_fp16_overflow 0
		.amdhsa_tg_split 0
		.amdhsa_exception_fp_ieee_invalid_op 0
		.amdhsa_exception_fp_denorm_src 0
		.amdhsa_exception_fp_ieee_div_zero 0
		.amdhsa_exception_fp_ieee_overflow 0
		.amdhsa_exception_fp_ieee_underflow 0
		.amdhsa_exception_fp_ieee_inexact 0
		.amdhsa_exception_int_div_zero 0
	.end_amdhsa_kernel
	.section	.text._ZN7rocprim17ROCPRIM_400000_NS6detail17trampoline_kernelINS0_14default_configENS1_25partition_config_selectorILNS1_17partition_subalgoE0EyNS0_10empty_typeEbEEZZNS1_14partition_implILS5_0ELb0ES3_jN6thrust23THRUST_200600_302600_NS6detail15normal_iteratorINSA_10device_ptrIyEEEEPS6_SG_NS0_5tupleIJSF_SF_EEENSH_IJSG_SG_EEES6_PlJ7is_evenIyEEEE10hipError_tPvRmT3_T4_T5_T6_T7_T9_mT8_P12ihipStream_tbDpT10_ENKUlT_T0_E_clISt17integral_constantIbLb0EES16_EEDaS11_S12_EUlS11_E_NS1_11comp_targetILNS1_3genE0ELNS1_11target_archE4294967295ELNS1_3gpuE0ELNS1_3repE0EEENS1_30default_config_static_selectorELNS0_4arch9wavefront6targetE1EEEvT1_,"axG",@progbits,_ZN7rocprim17ROCPRIM_400000_NS6detail17trampoline_kernelINS0_14default_configENS1_25partition_config_selectorILNS1_17partition_subalgoE0EyNS0_10empty_typeEbEEZZNS1_14partition_implILS5_0ELb0ES3_jN6thrust23THRUST_200600_302600_NS6detail15normal_iteratorINSA_10device_ptrIyEEEEPS6_SG_NS0_5tupleIJSF_SF_EEENSH_IJSG_SG_EEES6_PlJ7is_evenIyEEEE10hipError_tPvRmT3_T4_T5_T6_T7_T9_mT8_P12ihipStream_tbDpT10_ENKUlT_T0_E_clISt17integral_constantIbLb0EES16_EEDaS11_S12_EUlS11_E_NS1_11comp_targetILNS1_3genE0ELNS1_11target_archE4294967295ELNS1_3gpuE0ELNS1_3repE0EEENS1_30default_config_static_selectorELNS0_4arch9wavefront6targetE1EEEvT1_,comdat
.Lfunc_end2104:
	.size	_ZN7rocprim17ROCPRIM_400000_NS6detail17trampoline_kernelINS0_14default_configENS1_25partition_config_selectorILNS1_17partition_subalgoE0EyNS0_10empty_typeEbEEZZNS1_14partition_implILS5_0ELb0ES3_jN6thrust23THRUST_200600_302600_NS6detail15normal_iteratorINSA_10device_ptrIyEEEEPS6_SG_NS0_5tupleIJSF_SF_EEENSH_IJSG_SG_EEES6_PlJ7is_evenIyEEEE10hipError_tPvRmT3_T4_T5_T6_T7_T9_mT8_P12ihipStream_tbDpT10_ENKUlT_T0_E_clISt17integral_constantIbLb0EES16_EEDaS11_S12_EUlS11_E_NS1_11comp_targetILNS1_3genE0ELNS1_11target_archE4294967295ELNS1_3gpuE0ELNS1_3repE0EEENS1_30default_config_static_selectorELNS0_4arch9wavefront6targetE1EEEvT1_, .Lfunc_end2104-_ZN7rocprim17ROCPRIM_400000_NS6detail17trampoline_kernelINS0_14default_configENS1_25partition_config_selectorILNS1_17partition_subalgoE0EyNS0_10empty_typeEbEEZZNS1_14partition_implILS5_0ELb0ES3_jN6thrust23THRUST_200600_302600_NS6detail15normal_iteratorINSA_10device_ptrIyEEEEPS6_SG_NS0_5tupleIJSF_SF_EEENSH_IJSG_SG_EEES6_PlJ7is_evenIyEEEE10hipError_tPvRmT3_T4_T5_T6_T7_T9_mT8_P12ihipStream_tbDpT10_ENKUlT_T0_E_clISt17integral_constantIbLb0EES16_EEDaS11_S12_EUlS11_E_NS1_11comp_targetILNS1_3genE0ELNS1_11target_archE4294967295ELNS1_3gpuE0ELNS1_3repE0EEENS1_30default_config_static_selectorELNS0_4arch9wavefront6targetE1EEEvT1_
                                        ; -- End function
	.section	.AMDGPU.csdata,"",@progbits
; Kernel info:
; codeLenInByte = 0
; NumSgprs: 4
; NumVgprs: 0
; NumAgprs: 0
; TotalNumVgprs: 0
; ScratchSize: 0
; MemoryBound: 0
; FloatMode: 240
; IeeeMode: 1
; LDSByteSize: 0 bytes/workgroup (compile time only)
; SGPRBlocks: 0
; VGPRBlocks: 0
; NumSGPRsForWavesPerEU: 4
; NumVGPRsForWavesPerEU: 1
; AccumOffset: 4
; Occupancy: 8
; WaveLimiterHint : 0
; COMPUTE_PGM_RSRC2:SCRATCH_EN: 0
; COMPUTE_PGM_RSRC2:USER_SGPR: 6
; COMPUTE_PGM_RSRC2:TRAP_HANDLER: 0
; COMPUTE_PGM_RSRC2:TGID_X_EN: 1
; COMPUTE_PGM_RSRC2:TGID_Y_EN: 0
; COMPUTE_PGM_RSRC2:TGID_Z_EN: 0
; COMPUTE_PGM_RSRC2:TIDIG_COMP_CNT: 0
; COMPUTE_PGM_RSRC3_GFX90A:ACCUM_OFFSET: 0
; COMPUTE_PGM_RSRC3_GFX90A:TG_SPLIT: 0
	.section	.text._ZN7rocprim17ROCPRIM_400000_NS6detail17trampoline_kernelINS0_14default_configENS1_25partition_config_selectorILNS1_17partition_subalgoE0EyNS0_10empty_typeEbEEZZNS1_14partition_implILS5_0ELb0ES3_jN6thrust23THRUST_200600_302600_NS6detail15normal_iteratorINSA_10device_ptrIyEEEEPS6_SG_NS0_5tupleIJSF_SF_EEENSH_IJSG_SG_EEES6_PlJ7is_evenIyEEEE10hipError_tPvRmT3_T4_T5_T6_T7_T9_mT8_P12ihipStream_tbDpT10_ENKUlT_T0_E_clISt17integral_constantIbLb0EES16_EEDaS11_S12_EUlS11_E_NS1_11comp_targetILNS1_3genE5ELNS1_11target_archE942ELNS1_3gpuE9ELNS1_3repE0EEENS1_30default_config_static_selectorELNS0_4arch9wavefront6targetE1EEEvT1_,"axG",@progbits,_ZN7rocprim17ROCPRIM_400000_NS6detail17trampoline_kernelINS0_14default_configENS1_25partition_config_selectorILNS1_17partition_subalgoE0EyNS0_10empty_typeEbEEZZNS1_14partition_implILS5_0ELb0ES3_jN6thrust23THRUST_200600_302600_NS6detail15normal_iteratorINSA_10device_ptrIyEEEEPS6_SG_NS0_5tupleIJSF_SF_EEENSH_IJSG_SG_EEES6_PlJ7is_evenIyEEEE10hipError_tPvRmT3_T4_T5_T6_T7_T9_mT8_P12ihipStream_tbDpT10_ENKUlT_T0_E_clISt17integral_constantIbLb0EES16_EEDaS11_S12_EUlS11_E_NS1_11comp_targetILNS1_3genE5ELNS1_11target_archE942ELNS1_3gpuE9ELNS1_3repE0EEENS1_30default_config_static_selectorELNS0_4arch9wavefront6targetE1EEEvT1_,comdat
	.protected	_ZN7rocprim17ROCPRIM_400000_NS6detail17trampoline_kernelINS0_14default_configENS1_25partition_config_selectorILNS1_17partition_subalgoE0EyNS0_10empty_typeEbEEZZNS1_14partition_implILS5_0ELb0ES3_jN6thrust23THRUST_200600_302600_NS6detail15normal_iteratorINSA_10device_ptrIyEEEEPS6_SG_NS0_5tupleIJSF_SF_EEENSH_IJSG_SG_EEES6_PlJ7is_evenIyEEEE10hipError_tPvRmT3_T4_T5_T6_T7_T9_mT8_P12ihipStream_tbDpT10_ENKUlT_T0_E_clISt17integral_constantIbLb0EES16_EEDaS11_S12_EUlS11_E_NS1_11comp_targetILNS1_3genE5ELNS1_11target_archE942ELNS1_3gpuE9ELNS1_3repE0EEENS1_30default_config_static_selectorELNS0_4arch9wavefront6targetE1EEEvT1_ ; -- Begin function _ZN7rocprim17ROCPRIM_400000_NS6detail17trampoline_kernelINS0_14default_configENS1_25partition_config_selectorILNS1_17partition_subalgoE0EyNS0_10empty_typeEbEEZZNS1_14partition_implILS5_0ELb0ES3_jN6thrust23THRUST_200600_302600_NS6detail15normal_iteratorINSA_10device_ptrIyEEEEPS6_SG_NS0_5tupleIJSF_SF_EEENSH_IJSG_SG_EEES6_PlJ7is_evenIyEEEE10hipError_tPvRmT3_T4_T5_T6_T7_T9_mT8_P12ihipStream_tbDpT10_ENKUlT_T0_E_clISt17integral_constantIbLb0EES16_EEDaS11_S12_EUlS11_E_NS1_11comp_targetILNS1_3genE5ELNS1_11target_archE942ELNS1_3gpuE9ELNS1_3repE0EEENS1_30default_config_static_selectorELNS0_4arch9wavefront6targetE1EEEvT1_
	.globl	_ZN7rocprim17ROCPRIM_400000_NS6detail17trampoline_kernelINS0_14default_configENS1_25partition_config_selectorILNS1_17partition_subalgoE0EyNS0_10empty_typeEbEEZZNS1_14partition_implILS5_0ELb0ES3_jN6thrust23THRUST_200600_302600_NS6detail15normal_iteratorINSA_10device_ptrIyEEEEPS6_SG_NS0_5tupleIJSF_SF_EEENSH_IJSG_SG_EEES6_PlJ7is_evenIyEEEE10hipError_tPvRmT3_T4_T5_T6_T7_T9_mT8_P12ihipStream_tbDpT10_ENKUlT_T0_E_clISt17integral_constantIbLb0EES16_EEDaS11_S12_EUlS11_E_NS1_11comp_targetILNS1_3genE5ELNS1_11target_archE942ELNS1_3gpuE9ELNS1_3repE0EEENS1_30default_config_static_selectorELNS0_4arch9wavefront6targetE1EEEvT1_
	.p2align	8
	.type	_ZN7rocprim17ROCPRIM_400000_NS6detail17trampoline_kernelINS0_14default_configENS1_25partition_config_selectorILNS1_17partition_subalgoE0EyNS0_10empty_typeEbEEZZNS1_14partition_implILS5_0ELb0ES3_jN6thrust23THRUST_200600_302600_NS6detail15normal_iteratorINSA_10device_ptrIyEEEEPS6_SG_NS0_5tupleIJSF_SF_EEENSH_IJSG_SG_EEES6_PlJ7is_evenIyEEEE10hipError_tPvRmT3_T4_T5_T6_T7_T9_mT8_P12ihipStream_tbDpT10_ENKUlT_T0_E_clISt17integral_constantIbLb0EES16_EEDaS11_S12_EUlS11_E_NS1_11comp_targetILNS1_3genE5ELNS1_11target_archE942ELNS1_3gpuE9ELNS1_3repE0EEENS1_30default_config_static_selectorELNS0_4arch9wavefront6targetE1EEEvT1_,@function
_ZN7rocprim17ROCPRIM_400000_NS6detail17trampoline_kernelINS0_14default_configENS1_25partition_config_selectorILNS1_17partition_subalgoE0EyNS0_10empty_typeEbEEZZNS1_14partition_implILS5_0ELb0ES3_jN6thrust23THRUST_200600_302600_NS6detail15normal_iteratorINSA_10device_ptrIyEEEEPS6_SG_NS0_5tupleIJSF_SF_EEENSH_IJSG_SG_EEES6_PlJ7is_evenIyEEEE10hipError_tPvRmT3_T4_T5_T6_T7_T9_mT8_P12ihipStream_tbDpT10_ENKUlT_T0_E_clISt17integral_constantIbLb0EES16_EEDaS11_S12_EUlS11_E_NS1_11comp_targetILNS1_3genE5ELNS1_11target_archE942ELNS1_3gpuE9ELNS1_3repE0EEENS1_30default_config_static_selectorELNS0_4arch9wavefront6targetE1EEEvT1_: ; @_ZN7rocprim17ROCPRIM_400000_NS6detail17trampoline_kernelINS0_14default_configENS1_25partition_config_selectorILNS1_17partition_subalgoE0EyNS0_10empty_typeEbEEZZNS1_14partition_implILS5_0ELb0ES3_jN6thrust23THRUST_200600_302600_NS6detail15normal_iteratorINSA_10device_ptrIyEEEEPS6_SG_NS0_5tupleIJSF_SF_EEENSH_IJSG_SG_EEES6_PlJ7is_evenIyEEEE10hipError_tPvRmT3_T4_T5_T6_T7_T9_mT8_P12ihipStream_tbDpT10_ENKUlT_T0_E_clISt17integral_constantIbLb0EES16_EEDaS11_S12_EUlS11_E_NS1_11comp_targetILNS1_3genE5ELNS1_11target_archE942ELNS1_3gpuE9ELNS1_3repE0EEENS1_30default_config_static_selectorELNS0_4arch9wavefront6targetE1EEEvT1_
; %bb.0:
	.section	.rodata,"a",@progbits
	.p2align	6, 0x0
	.amdhsa_kernel _ZN7rocprim17ROCPRIM_400000_NS6detail17trampoline_kernelINS0_14default_configENS1_25partition_config_selectorILNS1_17partition_subalgoE0EyNS0_10empty_typeEbEEZZNS1_14partition_implILS5_0ELb0ES3_jN6thrust23THRUST_200600_302600_NS6detail15normal_iteratorINSA_10device_ptrIyEEEEPS6_SG_NS0_5tupleIJSF_SF_EEENSH_IJSG_SG_EEES6_PlJ7is_evenIyEEEE10hipError_tPvRmT3_T4_T5_T6_T7_T9_mT8_P12ihipStream_tbDpT10_ENKUlT_T0_E_clISt17integral_constantIbLb0EES16_EEDaS11_S12_EUlS11_E_NS1_11comp_targetILNS1_3genE5ELNS1_11target_archE942ELNS1_3gpuE9ELNS1_3repE0EEENS1_30default_config_static_selectorELNS0_4arch9wavefront6targetE1EEEvT1_
		.amdhsa_group_segment_fixed_size 0
		.amdhsa_private_segment_fixed_size 0
		.amdhsa_kernarg_size 120
		.amdhsa_user_sgpr_count 6
		.amdhsa_user_sgpr_private_segment_buffer 1
		.amdhsa_user_sgpr_dispatch_ptr 0
		.amdhsa_user_sgpr_queue_ptr 0
		.amdhsa_user_sgpr_kernarg_segment_ptr 1
		.amdhsa_user_sgpr_dispatch_id 0
		.amdhsa_user_sgpr_flat_scratch_init 0
		.amdhsa_user_sgpr_kernarg_preload_length 0
		.amdhsa_user_sgpr_kernarg_preload_offset 0
		.amdhsa_user_sgpr_private_segment_size 0
		.amdhsa_uses_dynamic_stack 0
		.amdhsa_system_sgpr_private_segment_wavefront_offset 0
		.amdhsa_system_sgpr_workgroup_id_x 1
		.amdhsa_system_sgpr_workgroup_id_y 0
		.amdhsa_system_sgpr_workgroup_id_z 0
		.amdhsa_system_sgpr_workgroup_info 0
		.amdhsa_system_vgpr_workitem_id 0
		.amdhsa_next_free_vgpr 1
		.amdhsa_next_free_sgpr 0
		.amdhsa_accum_offset 4
		.amdhsa_reserve_vcc 0
		.amdhsa_reserve_flat_scratch 0
		.amdhsa_float_round_mode_32 0
		.amdhsa_float_round_mode_16_64 0
		.amdhsa_float_denorm_mode_32 3
		.amdhsa_float_denorm_mode_16_64 3
		.amdhsa_dx10_clamp 1
		.amdhsa_ieee_mode 1
		.amdhsa_fp16_overflow 0
		.amdhsa_tg_split 0
		.amdhsa_exception_fp_ieee_invalid_op 0
		.amdhsa_exception_fp_denorm_src 0
		.amdhsa_exception_fp_ieee_div_zero 0
		.amdhsa_exception_fp_ieee_overflow 0
		.amdhsa_exception_fp_ieee_underflow 0
		.amdhsa_exception_fp_ieee_inexact 0
		.amdhsa_exception_int_div_zero 0
	.end_amdhsa_kernel
	.section	.text._ZN7rocprim17ROCPRIM_400000_NS6detail17trampoline_kernelINS0_14default_configENS1_25partition_config_selectorILNS1_17partition_subalgoE0EyNS0_10empty_typeEbEEZZNS1_14partition_implILS5_0ELb0ES3_jN6thrust23THRUST_200600_302600_NS6detail15normal_iteratorINSA_10device_ptrIyEEEEPS6_SG_NS0_5tupleIJSF_SF_EEENSH_IJSG_SG_EEES6_PlJ7is_evenIyEEEE10hipError_tPvRmT3_T4_T5_T6_T7_T9_mT8_P12ihipStream_tbDpT10_ENKUlT_T0_E_clISt17integral_constantIbLb0EES16_EEDaS11_S12_EUlS11_E_NS1_11comp_targetILNS1_3genE5ELNS1_11target_archE942ELNS1_3gpuE9ELNS1_3repE0EEENS1_30default_config_static_selectorELNS0_4arch9wavefront6targetE1EEEvT1_,"axG",@progbits,_ZN7rocprim17ROCPRIM_400000_NS6detail17trampoline_kernelINS0_14default_configENS1_25partition_config_selectorILNS1_17partition_subalgoE0EyNS0_10empty_typeEbEEZZNS1_14partition_implILS5_0ELb0ES3_jN6thrust23THRUST_200600_302600_NS6detail15normal_iteratorINSA_10device_ptrIyEEEEPS6_SG_NS0_5tupleIJSF_SF_EEENSH_IJSG_SG_EEES6_PlJ7is_evenIyEEEE10hipError_tPvRmT3_T4_T5_T6_T7_T9_mT8_P12ihipStream_tbDpT10_ENKUlT_T0_E_clISt17integral_constantIbLb0EES16_EEDaS11_S12_EUlS11_E_NS1_11comp_targetILNS1_3genE5ELNS1_11target_archE942ELNS1_3gpuE9ELNS1_3repE0EEENS1_30default_config_static_selectorELNS0_4arch9wavefront6targetE1EEEvT1_,comdat
.Lfunc_end2105:
	.size	_ZN7rocprim17ROCPRIM_400000_NS6detail17trampoline_kernelINS0_14default_configENS1_25partition_config_selectorILNS1_17partition_subalgoE0EyNS0_10empty_typeEbEEZZNS1_14partition_implILS5_0ELb0ES3_jN6thrust23THRUST_200600_302600_NS6detail15normal_iteratorINSA_10device_ptrIyEEEEPS6_SG_NS0_5tupleIJSF_SF_EEENSH_IJSG_SG_EEES6_PlJ7is_evenIyEEEE10hipError_tPvRmT3_T4_T5_T6_T7_T9_mT8_P12ihipStream_tbDpT10_ENKUlT_T0_E_clISt17integral_constantIbLb0EES16_EEDaS11_S12_EUlS11_E_NS1_11comp_targetILNS1_3genE5ELNS1_11target_archE942ELNS1_3gpuE9ELNS1_3repE0EEENS1_30default_config_static_selectorELNS0_4arch9wavefront6targetE1EEEvT1_, .Lfunc_end2105-_ZN7rocprim17ROCPRIM_400000_NS6detail17trampoline_kernelINS0_14default_configENS1_25partition_config_selectorILNS1_17partition_subalgoE0EyNS0_10empty_typeEbEEZZNS1_14partition_implILS5_0ELb0ES3_jN6thrust23THRUST_200600_302600_NS6detail15normal_iteratorINSA_10device_ptrIyEEEEPS6_SG_NS0_5tupleIJSF_SF_EEENSH_IJSG_SG_EEES6_PlJ7is_evenIyEEEE10hipError_tPvRmT3_T4_T5_T6_T7_T9_mT8_P12ihipStream_tbDpT10_ENKUlT_T0_E_clISt17integral_constantIbLb0EES16_EEDaS11_S12_EUlS11_E_NS1_11comp_targetILNS1_3genE5ELNS1_11target_archE942ELNS1_3gpuE9ELNS1_3repE0EEENS1_30default_config_static_selectorELNS0_4arch9wavefront6targetE1EEEvT1_
                                        ; -- End function
	.section	.AMDGPU.csdata,"",@progbits
; Kernel info:
; codeLenInByte = 0
; NumSgprs: 4
; NumVgprs: 0
; NumAgprs: 0
; TotalNumVgprs: 0
; ScratchSize: 0
; MemoryBound: 0
; FloatMode: 240
; IeeeMode: 1
; LDSByteSize: 0 bytes/workgroup (compile time only)
; SGPRBlocks: 0
; VGPRBlocks: 0
; NumSGPRsForWavesPerEU: 4
; NumVGPRsForWavesPerEU: 1
; AccumOffset: 4
; Occupancy: 8
; WaveLimiterHint : 0
; COMPUTE_PGM_RSRC2:SCRATCH_EN: 0
; COMPUTE_PGM_RSRC2:USER_SGPR: 6
; COMPUTE_PGM_RSRC2:TRAP_HANDLER: 0
; COMPUTE_PGM_RSRC2:TGID_X_EN: 1
; COMPUTE_PGM_RSRC2:TGID_Y_EN: 0
; COMPUTE_PGM_RSRC2:TGID_Z_EN: 0
; COMPUTE_PGM_RSRC2:TIDIG_COMP_CNT: 0
; COMPUTE_PGM_RSRC3_GFX90A:ACCUM_OFFSET: 0
; COMPUTE_PGM_RSRC3_GFX90A:TG_SPLIT: 0
	.section	.text._ZN7rocprim17ROCPRIM_400000_NS6detail17trampoline_kernelINS0_14default_configENS1_25partition_config_selectorILNS1_17partition_subalgoE0EyNS0_10empty_typeEbEEZZNS1_14partition_implILS5_0ELb0ES3_jN6thrust23THRUST_200600_302600_NS6detail15normal_iteratorINSA_10device_ptrIyEEEEPS6_SG_NS0_5tupleIJSF_SF_EEENSH_IJSG_SG_EEES6_PlJ7is_evenIyEEEE10hipError_tPvRmT3_T4_T5_T6_T7_T9_mT8_P12ihipStream_tbDpT10_ENKUlT_T0_E_clISt17integral_constantIbLb0EES16_EEDaS11_S12_EUlS11_E_NS1_11comp_targetILNS1_3genE4ELNS1_11target_archE910ELNS1_3gpuE8ELNS1_3repE0EEENS1_30default_config_static_selectorELNS0_4arch9wavefront6targetE1EEEvT1_,"axG",@progbits,_ZN7rocprim17ROCPRIM_400000_NS6detail17trampoline_kernelINS0_14default_configENS1_25partition_config_selectorILNS1_17partition_subalgoE0EyNS0_10empty_typeEbEEZZNS1_14partition_implILS5_0ELb0ES3_jN6thrust23THRUST_200600_302600_NS6detail15normal_iteratorINSA_10device_ptrIyEEEEPS6_SG_NS0_5tupleIJSF_SF_EEENSH_IJSG_SG_EEES6_PlJ7is_evenIyEEEE10hipError_tPvRmT3_T4_T5_T6_T7_T9_mT8_P12ihipStream_tbDpT10_ENKUlT_T0_E_clISt17integral_constantIbLb0EES16_EEDaS11_S12_EUlS11_E_NS1_11comp_targetILNS1_3genE4ELNS1_11target_archE910ELNS1_3gpuE8ELNS1_3repE0EEENS1_30default_config_static_selectorELNS0_4arch9wavefront6targetE1EEEvT1_,comdat
	.protected	_ZN7rocprim17ROCPRIM_400000_NS6detail17trampoline_kernelINS0_14default_configENS1_25partition_config_selectorILNS1_17partition_subalgoE0EyNS0_10empty_typeEbEEZZNS1_14partition_implILS5_0ELb0ES3_jN6thrust23THRUST_200600_302600_NS6detail15normal_iteratorINSA_10device_ptrIyEEEEPS6_SG_NS0_5tupleIJSF_SF_EEENSH_IJSG_SG_EEES6_PlJ7is_evenIyEEEE10hipError_tPvRmT3_T4_T5_T6_T7_T9_mT8_P12ihipStream_tbDpT10_ENKUlT_T0_E_clISt17integral_constantIbLb0EES16_EEDaS11_S12_EUlS11_E_NS1_11comp_targetILNS1_3genE4ELNS1_11target_archE910ELNS1_3gpuE8ELNS1_3repE0EEENS1_30default_config_static_selectorELNS0_4arch9wavefront6targetE1EEEvT1_ ; -- Begin function _ZN7rocprim17ROCPRIM_400000_NS6detail17trampoline_kernelINS0_14default_configENS1_25partition_config_selectorILNS1_17partition_subalgoE0EyNS0_10empty_typeEbEEZZNS1_14partition_implILS5_0ELb0ES3_jN6thrust23THRUST_200600_302600_NS6detail15normal_iteratorINSA_10device_ptrIyEEEEPS6_SG_NS0_5tupleIJSF_SF_EEENSH_IJSG_SG_EEES6_PlJ7is_evenIyEEEE10hipError_tPvRmT3_T4_T5_T6_T7_T9_mT8_P12ihipStream_tbDpT10_ENKUlT_T0_E_clISt17integral_constantIbLb0EES16_EEDaS11_S12_EUlS11_E_NS1_11comp_targetILNS1_3genE4ELNS1_11target_archE910ELNS1_3gpuE8ELNS1_3repE0EEENS1_30default_config_static_selectorELNS0_4arch9wavefront6targetE1EEEvT1_
	.globl	_ZN7rocprim17ROCPRIM_400000_NS6detail17trampoline_kernelINS0_14default_configENS1_25partition_config_selectorILNS1_17partition_subalgoE0EyNS0_10empty_typeEbEEZZNS1_14partition_implILS5_0ELb0ES3_jN6thrust23THRUST_200600_302600_NS6detail15normal_iteratorINSA_10device_ptrIyEEEEPS6_SG_NS0_5tupleIJSF_SF_EEENSH_IJSG_SG_EEES6_PlJ7is_evenIyEEEE10hipError_tPvRmT3_T4_T5_T6_T7_T9_mT8_P12ihipStream_tbDpT10_ENKUlT_T0_E_clISt17integral_constantIbLb0EES16_EEDaS11_S12_EUlS11_E_NS1_11comp_targetILNS1_3genE4ELNS1_11target_archE910ELNS1_3gpuE8ELNS1_3repE0EEENS1_30default_config_static_selectorELNS0_4arch9wavefront6targetE1EEEvT1_
	.p2align	8
	.type	_ZN7rocprim17ROCPRIM_400000_NS6detail17trampoline_kernelINS0_14default_configENS1_25partition_config_selectorILNS1_17partition_subalgoE0EyNS0_10empty_typeEbEEZZNS1_14partition_implILS5_0ELb0ES3_jN6thrust23THRUST_200600_302600_NS6detail15normal_iteratorINSA_10device_ptrIyEEEEPS6_SG_NS0_5tupleIJSF_SF_EEENSH_IJSG_SG_EEES6_PlJ7is_evenIyEEEE10hipError_tPvRmT3_T4_T5_T6_T7_T9_mT8_P12ihipStream_tbDpT10_ENKUlT_T0_E_clISt17integral_constantIbLb0EES16_EEDaS11_S12_EUlS11_E_NS1_11comp_targetILNS1_3genE4ELNS1_11target_archE910ELNS1_3gpuE8ELNS1_3repE0EEENS1_30default_config_static_selectorELNS0_4arch9wavefront6targetE1EEEvT1_,@function
_ZN7rocprim17ROCPRIM_400000_NS6detail17trampoline_kernelINS0_14default_configENS1_25partition_config_selectorILNS1_17partition_subalgoE0EyNS0_10empty_typeEbEEZZNS1_14partition_implILS5_0ELb0ES3_jN6thrust23THRUST_200600_302600_NS6detail15normal_iteratorINSA_10device_ptrIyEEEEPS6_SG_NS0_5tupleIJSF_SF_EEENSH_IJSG_SG_EEES6_PlJ7is_evenIyEEEE10hipError_tPvRmT3_T4_T5_T6_T7_T9_mT8_P12ihipStream_tbDpT10_ENKUlT_T0_E_clISt17integral_constantIbLb0EES16_EEDaS11_S12_EUlS11_E_NS1_11comp_targetILNS1_3genE4ELNS1_11target_archE910ELNS1_3gpuE8ELNS1_3repE0EEENS1_30default_config_static_selectorELNS0_4arch9wavefront6targetE1EEEvT1_: ; @_ZN7rocprim17ROCPRIM_400000_NS6detail17trampoline_kernelINS0_14default_configENS1_25partition_config_selectorILNS1_17partition_subalgoE0EyNS0_10empty_typeEbEEZZNS1_14partition_implILS5_0ELb0ES3_jN6thrust23THRUST_200600_302600_NS6detail15normal_iteratorINSA_10device_ptrIyEEEEPS6_SG_NS0_5tupleIJSF_SF_EEENSH_IJSG_SG_EEES6_PlJ7is_evenIyEEEE10hipError_tPvRmT3_T4_T5_T6_T7_T9_mT8_P12ihipStream_tbDpT10_ENKUlT_T0_E_clISt17integral_constantIbLb0EES16_EEDaS11_S12_EUlS11_E_NS1_11comp_targetILNS1_3genE4ELNS1_11target_archE910ELNS1_3gpuE8ELNS1_3repE0EEENS1_30default_config_static_selectorELNS0_4arch9wavefront6targetE1EEEvT1_
; %bb.0:
	s_load_dwordx2 s[0:1], s[4:5], 0x58
	s_load_dwordx4 s[20:23], s[4:5], 0x8
	s_load_dwordx4 s[24:27], s[4:5], 0x48
	s_load_dword s7, s[4:5], 0x70
	s_mul_i32 s8, s6, 0x300
	s_waitcnt lgkmcnt(0)
	v_mov_b32_e32 v3, s1
	s_lshl_b64 s[2:3], s[22:23], 3
	s_add_u32 s10, s20, s2
	s_mul_i32 s1, s7, 0x300
	s_addc_u32 s11, s21, s3
	s_add_i32 s3, s1, s22
	s_sub_i32 s33, s0, s3
	s_add_i32 s2, s7, -1
	s_addk_i32 s33, 0x300
	v_mov_b32_e32 v2, s0
	s_add_u32 s0, s22, s1
	s_addc_u32 s1, s23, 0
	s_cmp_eq_u32 s6, s2
	s_load_dwordx2 s[30:31], s[26:27], 0x0
	s_cselect_b64 s[26:27], -1, 0
	s_cmp_lg_u32 s6, s2
	s_mov_b32 s9, 0
	v_cmp_lt_u64_e32 vcc, s[0:1], v[2:3]
	s_cselect_b64 s[0:1], -1, 0
	s_or_b64 s[2:3], s[0:1], vcc
	s_lshl_b64 s[28:29], s[8:9], 3
	s_add_u32 s7, s10, s28
	s_addc_u32 s10, s11, s29
	s_mov_b64 s[0:1], -1
	s_and_b64 vcc, exec, s[2:3]
	v_lshlrev_b32_e32 v1, 3, v0
	v_lshrrev_b32_e32 v10, 2, v0
	s_cbranch_vccz .LBB2106_2
; %bb.1:
	v_mov_b32_e32 v3, s10
	v_add_co_u32_e32 v2, vcc, s7, v1
	v_addc_co_u32_e32 v3, vcc, 0, v3, vcc
	v_add_co_u32_e32 v4, vcc, 0x1000, v2
	v_addc_co_u32_e32 v5, vcc, 0, v3, vcc
	flat_load_dwordx2 v[6:7], v[2:3]
	flat_load_dwordx2 v[8:9], v[2:3] offset:1536
	flat_load_dwordx2 v[12:13], v[2:3] offset:3072
	;; [unrolled: 1-line block ×3, first 2 shown]
	v_add_u32_e32 v3, 0xc0, v0
	v_add_u32_e32 v4, 0x180, v0
	;; [unrolled: 1-line block ×3, first 2 shown]
	v_and_b32_e32 v2, 56, v10
	v_lshrrev_b32_e32 v3, 2, v3
	v_lshrrev_b32_e32 v4, 2, v4
	v_lshrrev_b32_e32 v5, 2, v5
	v_add_u32_e32 v2, v2, v1
	v_and_b32_e32 v3, 0x78, v3
	v_and_b32_e32 v4, 0xf8, v4
	;; [unrolled: 1-line block ×3, first 2 shown]
	v_add_u32_e32 v3, v3, v1
	v_add_u32_e32 v4, v4, v1
	v_add_u32_e32 v5, v5, v1
	s_mov_b64 s[0:1], 0
	s_waitcnt vmcnt(0) lgkmcnt(0)
	ds_write_b64 v2, v[6:7]
	ds_write_b64 v3, v[8:9] offset:1536
	ds_write_b64 v4, v[12:13] offset:3072
	;; [unrolled: 1-line block ×3, first 2 shown]
	s_waitcnt lgkmcnt(0)
	s_barrier
.LBB2106_2:
	s_andn2_b64 vcc, exec, s[0:1]
	v_cmp_gt_u32_e64 s[0:1], s33, v0
	s_cbranch_vccnz .LBB2106_12
; %bb.3:
                                        ; implicit-def: $vgpr2_vgpr3_vgpr4_vgpr5_vgpr6_vgpr7_vgpr8_vgpr9
	s_and_saveexec_b64 s[8:9], s[0:1]
	s_cbranch_execz .LBB2106_5
; %bb.4:
	v_mov_b32_e32 v3, s10
	v_add_co_u32_e32 v2, vcc, s7, v1
	v_addc_co_u32_e32 v3, vcc, 0, v3, vcc
	flat_load_dwordx2 v[2:3], v[2:3]
.LBB2106_5:
	s_or_b64 exec, exec, s[8:9]
	v_add_u32_e32 v11, 0xc0, v0
	v_cmp_gt_u32_e32 vcc, s33, v11
	s_and_saveexec_b64 s[0:1], vcc
	s_cbranch_execz .LBB2106_7
; %bb.6:
	v_mov_b32_e32 v5, s10
	v_add_co_u32_e32 v4, vcc, s7, v1
	v_addc_co_u32_e32 v5, vcc, 0, v5, vcc
	flat_load_dwordx2 v[4:5], v[4:5] offset:1536
.LBB2106_7:
	s_or_b64 exec, exec, s[0:1]
	v_add_u32_e32 v12, 0x180, v0
	v_cmp_gt_u32_e32 vcc, s33, v12
	s_and_saveexec_b64 s[0:1], vcc
	s_cbranch_execz .LBB2106_9
; %bb.8:
	v_mov_b32_e32 v7, s10
	v_add_co_u32_e32 v6, vcc, s7, v1
	v_addc_co_u32_e32 v7, vcc, 0, v7, vcc
	flat_load_dwordx2 v[6:7], v[6:7] offset:3072
.LBB2106_9:
	s_or_b64 exec, exec, s[0:1]
	v_add_u32_e32 v13, 0x240, v0
	v_cmp_gt_u32_e32 vcc, s33, v13
	s_and_saveexec_b64 s[0:1], vcc
	s_cbranch_execz .LBB2106_11
; %bb.10:
	v_lshlrev_b32_e32 v8, 3, v13
	v_mov_b32_e32 v9, s10
	v_add_co_u32_e32 v8, vcc, s7, v8
	v_addc_co_u32_e32 v9, vcc, 0, v9, vcc
	flat_load_dwordx2 v[8:9], v[8:9]
.LBB2106_11:
	s_or_b64 exec, exec, s[0:1]
	v_and_b32_e32 v10, 56, v10
	v_add_u32_e32 v10, v10, v1
	s_waitcnt vmcnt(0) lgkmcnt(0)
	ds_write_b64 v10, v[2:3]
	v_lshrrev_b32_e32 v2, 2, v11
	v_and_b32_e32 v2, 0x78, v2
	v_add_u32_e32 v2, v2, v1
	ds_write_b64 v2, v[4:5] offset:1536
	v_lshrrev_b32_e32 v2, 2, v12
	v_and_b32_e32 v2, 0xf8, v2
	v_add_u32_e32 v2, v2, v1
	ds_write_b64 v2, v[6:7] offset:3072
	;; [unrolled: 4-line block ×3, first 2 shown]
	s_waitcnt lgkmcnt(0)
	s_barrier
.LBB2106_12:
	v_lshlrev_b32_e32 v20, 2, v0
	v_lshrrev_b32_e32 v2, 3, v0
	v_add_lshl_u32 v2, v2, v20, 3
	s_waitcnt lgkmcnt(0)
	ds_read2_b64 v[6:9], v2 offset1:1
	ds_read2_b64 v[2:5], v2 offset0:2 offset1:3
	v_cndmask_b32_e64 v10, 0, 1, s[2:3]
	v_cmp_ne_u32_e64 s[0:1], 1, v10
	s_andn2_b64 vcc, exec, s[2:3]
	s_waitcnt lgkmcnt(1)
	v_xor_b32_e32 v13, -1, v6
	v_xor_b32_e32 v12, -1, v8
	s_waitcnt lgkmcnt(0)
	v_xor_b32_e32 v11, -1, v2
	v_xor_b32_e32 v10, -1, v4
	s_barrier
	s_cbranch_vccnz .LBB2106_14
; %bb.13:
	v_mov_b32_e32 v15, 1
	v_and_b32_e32 v14, 1, v13
	v_and_b32_sdwa v16, v12, v15 dst_sel:BYTE_1 dst_unused:UNUSED_PAD src0_sel:DWORD src1_sel:DWORD
	v_and_b32_e32 v17, 1, v11
	v_and_b32_sdwa v15, v10, v15 dst_sel:BYTE_1 dst_unused:UNUSED_PAD src0_sel:DWORD src1_sel:DWORD
	v_or_b32_e32 v14, v14, v16
	v_or_b32_sdwa v15, v17, v15 dst_sel:WORD_1 dst_unused:UNUSED_PAD src0_sel:DWORD src1_sel:DWORD
	v_or_b32_sdwa v21, v14, v15 dst_sel:DWORD dst_unused:UNUSED_PAD src0_sel:WORD_0 src1_sel:DWORD
	s_load_dwordx2 s[34:35], s[4:5], 0x68
	s_cbranch_execz .LBB2106_15
	s_branch .LBB2106_16
.LBB2106_14:
                                        ; implicit-def: $vgpr21
	s_load_dwordx2 s[34:35], s[4:5], 0x68
.LBB2106_15:
	v_cmp_gt_u32_e32 vcc, s33, v20
	v_cndmask_b32_e64 v14, 0, 1, vcc
	v_and_b32_e32 v13, v14, v13
	v_or_b32_e32 v14, 1, v20
	v_cmp_gt_u32_e32 vcc, s33, v14
	v_cndmask_b32_e64 v14, 0, 1, vcc
	v_and_b32_sdwa v12, v14, v12 dst_sel:BYTE_1 dst_unused:UNUSED_PAD src0_sel:DWORD src1_sel:DWORD
	v_or_b32_e32 v14, 2, v20
	v_cmp_gt_u32_e32 vcc, s33, v14
	v_cndmask_b32_e64 v14, 0, 1, vcc
	v_and_b32_e32 v11, v14, v11
	v_or_b32_e32 v14, 3, v20
	v_cmp_gt_u32_e32 vcc, s33, v14
	v_cndmask_b32_e64 v14, 0, 1, vcc
	v_and_b32_sdwa v10, v14, v10 dst_sel:BYTE_1 dst_unused:UNUSED_PAD src0_sel:DWORD src1_sel:DWORD
	v_or_b32_e32 v12, v13, v12
	v_or_b32_sdwa v10, v11, v10 dst_sel:WORD_1 dst_unused:UNUSED_PAD src0_sel:DWORD src1_sel:DWORD
	v_or_b32_sdwa v21, v12, v10 dst_sel:DWORD dst_unused:UNUSED_PAD src0_sel:WORD_0 src1_sel:DWORD
.LBB2106_16:
	v_bfe_u32 v23, v21, 16, 8
	v_lshrrev_b32_e32 v22, 24, v21
	v_add_u32_sdwa v10, v21, v21 dst_sel:DWORD dst_unused:UNUSED_PAD src0_sel:BYTE_1 src1_sel:BYTE_0
	v_add3_u32 v26, v10, v23, v22
	v_mbcnt_lo_u32_b32 v10, -1, 0
	v_mbcnt_hi_u32_b32 v24, -1, v10
	v_and_b32_e32 v10, 15, v24
	v_cmp_eq_u32_e64 s[16:17], 0, v10
	v_cmp_lt_u32_e64 s[14:15], 1, v10
	v_cmp_lt_u32_e64 s[12:13], 3, v10
	;; [unrolled: 1-line block ×3, first 2 shown]
	v_and_b32_e32 v10, 16, v24
	v_cmp_eq_u32_e64 s[20:21], 0, v10
	v_and_b32_e32 v10, 0xc0, v0
	v_min_u32_e32 v10, 0x80, v10
	v_or_b32_e32 v10, 63, v10
	s_cmp_lg_u32 s6, 0
	v_cmp_lt_u32_e64 s[2:3], 31, v24
	v_lshrrev_b32_e32 v25, 6, v0
	v_cmp_eq_u32_e64 s[8:9], v10, v0
	s_cbranch_scc0 .LBB2106_43
; %bb.17:
	v_mov_b32_dpp v10, v26 row_shr:1 row_mask:0xf bank_mask:0xf
	v_cndmask_b32_e64 v10, v10, 0, s[16:17]
	v_add_u32_e32 v10, v10, v26
	s_nop 1
	v_mov_b32_dpp v11, v10 row_shr:2 row_mask:0xf bank_mask:0xf
	v_cndmask_b32_e64 v11, 0, v11, s[14:15]
	v_add_u32_e32 v10, v10, v11
	s_nop 1
	;; [unrolled: 4-line block ×4, first 2 shown]
	v_mov_b32_dpp v11, v10 row_bcast:15 row_mask:0xf bank_mask:0xf
	v_cndmask_b32_e64 v11, v11, 0, s[20:21]
	v_add_u32_e32 v10, v10, v11
	s_nop 1
	v_mov_b32_dpp v11, v10 row_bcast:31 row_mask:0xf bank_mask:0xf
	v_cndmask_b32_e64 v11, 0, v11, s[2:3]
	v_add_u32_e32 v10, v10, v11
	s_and_saveexec_b64 s[18:19], s[8:9]
	s_cbranch_execz .LBB2106_19
; %bb.18:
	v_lshlrev_b32_e32 v11, 2, v25
	ds_write_b32 v11, v10
.LBB2106_19:
	s_or_b64 exec, exec, s[18:19]
	v_cmp_gt_u32_e32 vcc, 3, v0
	s_waitcnt lgkmcnt(0)
	s_barrier
	s_and_saveexec_b64 s[18:19], vcc
	s_cbranch_execz .LBB2106_21
; %bb.20:
	ds_read_b32 v11, v20
	v_and_b32_e32 v12, 3, v24
	v_cmp_ne_u32_e32 vcc, 0, v12
	s_waitcnt lgkmcnt(0)
	v_mov_b32_dpp v13, v11 row_shr:1 row_mask:0xf bank_mask:0xf
	v_cndmask_b32_e32 v13, 0, v13, vcc
	v_add_u32_e32 v11, v13, v11
	v_cmp_lt_u32_e32 vcc, 1, v12
	s_nop 0
	v_mov_b32_dpp v13, v11 row_shr:2 row_mask:0xf bank_mask:0xf
	v_cndmask_b32_e32 v12, 0, v13, vcc
	v_add_u32_e32 v11, v11, v12
	ds_write_b32 v20, v11
.LBB2106_21:
	s_or_b64 exec, exec, s[18:19]
	v_cmp_gt_u32_e32 vcc, 64, v0
	v_cmp_lt_u32_e64 s[18:19], 63, v0
	s_waitcnt lgkmcnt(0)
	s_barrier
	s_waitcnt lgkmcnt(0)
                                        ; implicit-def: $vgpr27
	s_and_saveexec_b64 s[36:37], s[18:19]
	s_cbranch_execz .LBB2106_23
; %bb.22:
	v_lshl_add_u32 v11, v25, 2, -4
	ds_read_b32 v27, v11
	s_waitcnt lgkmcnt(0)
	v_add_u32_e32 v10, v27, v10
.LBB2106_23:
	s_or_b64 exec, exec, s[36:37]
	v_add_u32_e32 v11, -1, v24
	v_and_b32_e32 v12, 64, v24
	v_cmp_lt_i32_e64 s[18:19], v11, v12
	v_cndmask_b32_e64 v11, v11, v24, s[18:19]
	v_lshlrev_b32_e32 v11, 2, v11
	ds_bpermute_b32 v28, v11, v10
	v_cmp_eq_u32_e64 s[18:19], 0, v24
	s_and_saveexec_b64 s[36:37], vcc
	s_cbranch_execz .LBB2106_42
; %bb.24:
	v_mov_b32_e32 v17, 0
	ds_read_b32 v10, v17 offset:8
	s_and_saveexec_b64 s[38:39], s[18:19]
	s_cbranch_execz .LBB2106_26
; %bb.25:
	s_add_i32 s40, s6, 64
	s_mov_b32 s41, 0
	s_lshl_b64 s[40:41], s[40:41], 3
	s_add_u32 s40, s34, s40
	v_mov_b32_e32 v11, 1
	s_addc_u32 s41, s35, s41
	s_waitcnt lgkmcnt(0)
	global_store_dwordx2 v17, v[10:11], s[40:41]
.LBB2106_26:
	s_or_b64 exec, exec, s[38:39]
	v_xad_u32 v12, v24, -1, s6
	v_add_u32_e32 v16, 64, v12
	v_lshlrev_b64 v[14:15], 3, v[16:17]
	v_mov_b32_e32 v11, s35
	v_add_co_u32_e32 v18, vcc, s34, v14
	v_addc_co_u32_e32 v19, vcc, v11, v15, vcc
	global_load_dwordx2 v[14:15], v[18:19], off glc
	s_waitcnt vmcnt(0)
	v_cmp_eq_u16_sdwa s[40:41], v15, v17 src0_sel:BYTE_0 src1_sel:DWORD
	s_and_saveexec_b64 s[38:39], s[40:41]
	s_cbranch_execz .LBB2106_30
; %bb.27:
	s_mov_b64 s[40:41], 0
	v_mov_b32_e32 v11, 0
.LBB2106_28:                            ; =>This Inner Loop Header: Depth=1
	global_load_dwordx2 v[14:15], v[18:19], off glc
	s_waitcnt vmcnt(0)
	v_cmp_ne_u16_sdwa s[42:43], v15, v11 src0_sel:BYTE_0 src1_sel:DWORD
	s_or_b64 s[40:41], s[42:43], s[40:41]
	s_andn2_b64 exec, exec, s[40:41]
	s_cbranch_execnz .LBB2106_28
; %bb.29:
	s_or_b64 exec, exec, s[40:41]
.LBB2106_30:
	s_or_b64 exec, exec, s[38:39]
	v_and_b32_e32 v30, 63, v24
	v_mov_b32_e32 v29, 2
	v_cmp_ne_u32_e32 vcc, 63, v30
	v_cmp_eq_u16_sdwa s[38:39], v15, v29 src0_sel:BYTE_0 src1_sel:DWORD
	v_lshlrev_b64 v[16:17], v24, -1
	v_addc_co_u32_e32 v18, vcc, 0, v24, vcc
	v_and_b32_e32 v11, s39, v17
	v_lshlrev_b32_e32 v31, 2, v18
	v_or_b32_e32 v11, 0x80000000, v11
	ds_bpermute_b32 v18, v31, v14
	v_and_b32_e32 v13, s38, v16
	v_ffbl_b32_e32 v11, v11
	v_add_u32_e32 v11, 32, v11
	v_ffbl_b32_e32 v13, v13
	v_min_u32_e32 v11, v13, v11
	v_cmp_lt_u32_e32 vcc, v30, v11
	s_waitcnt lgkmcnt(0)
	v_cndmask_b32_e32 v13, 0, v18, vcc
	v_cmp_gt_u32_e32 vcc, 62, v30
	v_add_u32_e32 v13, v13, v14
	v_cndmask_b32_e64 v14, 0, 1, vcc
	v_lshlrev_b32_e32 v14, 1, v14
	v_add_lshl_u32 v32, v14, v24, 2
	ds_bpermute_b32 v14, v32, v13
	v_add_u32_e32 v33, 2, v30
	v_cmp_le_u32_e32 vcc, v33, v11
	v_add_u32_e32 v35, 4, v30
	v_add_u32_e32 v37, 8, v30
	s_waitcnt lgkmcnt(0)
	v_cndmask_b32_e32 v14, 0, v14, vcc
	v_cmp_gt_u32_e32 vcc, 60, v30
	v_add_u32_e32 v13, v13, v14
	v_cndmask_b32_e64 v14, 0, 1, vcc
	v_lshlrev_b32_e32 v14, 2, v14
	v_add_lshl_u32 v34, v14, v24, 2
	ds_bpermute_b32 v14, v34, v13
	v_cmp_le_u32_e32 vcc, v35, v11
	v_add_u32_e32 v39, 16, v30
	v_add_u32_e32 v41, 32, v30
	s_waitcnt lgkmcnt(0)
	v_cndmask_b32_e32 v14, 0, v14, vcc
	v_cmp_gt_u32_e32 vcc, 56, v30
	v_add_u32_e32 v13, v13, v14
	v_cndmask_b32_e64 v14, 0, 1, vcc
	v_lshlrev_b32_e32 v14, 3, v14
	v_add_lshl_u32 v36, v14, v24, 2
	ds_bpermute_b32 v14, v36, v13
	v_cmp_le_u32_e32 vcc, v37, v11
	s_waitcnt lgkmcnt(0)
	v_cndmask_b32_e32 v14, 0, v14, vcc
	v_cmp_gt_u32_e32 vcc, 48, v30
	v_add_u32_e32 v13, v13, v14
	v_cndmask_b32_e64 v14, 0, 1, vcc
	v_lshlrev_b32_e32 v14, 4, v14
	v_add_lshl_u32 v38, v14, v24, 2
	ds_bpermute_b32 v14, v38, v13
	v_cmp_le_u32_e32 vcc, v39, v11
	;; [unrolled: 9-line block ×3, first 2 shown]
	s_waitcnt lgkmcnt(0)
	v_cndmask_b32_e32 v11, 0, v14, vcc
	v_add_u32_e32 v14, v13, v11
	v_mov_b32_e32 v13, 0
	s_branch .LBB2106_32
.LBB2106_31:                            ;   in Loop: Header=BB2106_32 Depth=1
	s_or_b64 exec, exec, s[38:39]
	v_cmp_eq_u16_sdwa s[38:39], v15, v29 src0_sel:BYTE_0 src1_sel:DWORD
	v_and_b32_e32 v18, s39, v17
	v_or_b32_e32 v18, 0x80000000, v18
	ds_bpermute_b32 v42, v31, v14
	v_and_b32_e32 v19, s38, v16
	v_ffbl_b32_e32 v18, v18
	v_add_u32_e32 v18, 32, v18
	v_ffbl_b32_e32 v19, v19
	v_min_u32_e32 v18, v19, v18
	v_cmp_lt_u32_e32 vcc, v30, v18
	s_waitcnt lgkmcnt(0)
	v_cndmask_b32_e32 v19, 0, v42, vcc
	v_add_u32_e32 v14, v19, v14
	ds_bpermute_b32 v19, v32, v14
	v_cmp_le_u32_e32 vcc, v33, v18
	v_subrev_u32_e32 v12, 64, v12
	s_waitcnt lgkmcnt(0)
	v_cndmask_b32_e32 v19, 0, v19, vcc
	v_add_u32_e32 v14, v14, v19
	ds_bpermute_b32 v19, v34, v14
	v_cmp_le_u32_e32 vcc, v35, v18
	s_waitcnt lgkmcnt(0)
	v_cndmask_b32_e32 v19, 0, v19, vcc
	v_add_u32_e32 v14, v14, v19
	ds_bpermute_b32 v19, v36, v14
	v_cmp_le_u32_e32 vcc, v37, v18
	;; [unrolled: 5-line block ×4, first 2 shown]
	s_waitcnt lgkmcnt(0)
	v_cndmask_b32_e32 v18, 0, v19, vcc
	v_add3_u32 v14, v18, v11, v14
.LBB2106_32:                            ; =>This Loop Header: Depth=1
                                        ;     Child Loop BB2106_35 Depth 2
	v_cmp_ne_u16_sdwa s[38:39], v15, v29 src0_sel:BYTE_0 src1_sel:DWORD
	v_cndmask_b32_e64 v11, 0, 1, s[38:39]
	;;#ASMSTART
	;;#ASMEND
	v_cmp_ne_u32_e32 vcc, 0, v11
	s_cmp_lg_u64 vcc, exec
	v_mov_b32_e32 v11, v14
	s_cbranch_scc1 .LBB2106_37
; %bb.33:                               ;   in Loop: Header=BB2106_32 Depth=1
	v_lshlrev_b64 v[14:15], 3, v[12:13]
	v_mov_b32_e32 v19, s35
	v_add_co_u32_e32 v18, vcc, s34, v14
	v_addc_co_u32_e32 v19, vcc, v19, v15, vcc
	global_load_dwordx2 v[14:15], v[18:19], off glc
	s_waitcnt vmcnt(0)
	v_cmp_eq_u16_sdwa s[40:41], v15, v13 src0_sel:BYTE_0 src1_sel:DWORD
	s_and_saveexec_b64 s[38:39], s[40:41]
	s_cbranch_execz .LBB2106_31
; %bb.34:                               ;   in Loop: Header=BB2106_32 Depth=1
	s_mov_b64 s[40:41], 0
.LBB2106_35:                            ;   Parent Loop BB2106_32 Depth=1
                                        ; =>  This Inner Loop Header: Depth=2
	global_load_dwordx2 v[14:15], v[18:19], off glc
	s_waitcnt vmcnt(0)
	v_cmp_ne_u16_sdwa s[42:43], v15, v13 src0_sel:BYTE_0 src1_sel:DWORD
	s_or_b64 s[40:41], s[42:43], s[40:41]
	s_andn2_b64 exec, exec, s[40:41]
	s_cbranch_execnz .LBB2106_35
; %bb.36:                               ;   in Loop: Header=BB2106_32 Depth=1
	s_or_b64 exec, exec, s[40:41]
	s_branch .LBB2106_31
.LBB2106_37:                            ;   in Loop: Header=BB2106_32 Depth=1
                                        ; implicit-def: $vgpr14
                                        ; implicit-def: $vgpr15
	s_cbranch_execz .LBB2106_32
; %bb.38:
	s_and_saveexec_b64 s[38:39], s[18:19]
	s_cbranch_execz .LBB2106_40
; %bb.39:
	s_add_i32 s6, s6, 64
	s_mov_b32 s7, 0
	s_lshl_b64 s[6:7], s[6:7], 3
	s_add_u32 s6, s34, s6
	v_add_u32_e32 v12, v11, v10
	v_mov_b32_e32 v13, 2
	s_addc_u32 s7, s35, s7
	v_mov_b32_e32 v14, 0
	global_store_dwordx2 v14, v[12:13], s[6:7]
	ds_write_b64 v14, v[10:11] offset:6336
.LBB2106_40:
	s_or_b64 exec, exec, s[38:39]
	v_cmp_eq_u32_e32 vcc, 0, v0
	s_and_b64 exec, exec, vcc
	s_cbranch_execz .LBB2106_42
; %bb.41:
	v_mov_b32_e32 v10, 0
	ds_write_b32 v10, v11 offset:8
.LBB2106_42:
	s_or_b64 exec, exec, s[36:37]
	v_mov_b32_e32 v10, 0
	s_waitcnt lgkmcnt(0)
	s_barrier
	ds_read_b32 v11, v10 offset:8
	v_cndmask_b32_e64 v12, v28, v27, s[18:19]
	v_cmp_ne_u32_e32 vcc, 0, v0
	v_cndmask_b32_e32 v12, 0, v12, vcc
	s_waitcnt lgkmcnt(0)
	v_add_u32_e32 v14, v11, v12
	s_barrier
	ds_read_b64 v[10:11], v10 offset:6336
	v_add_u32_sdwa v15, v14, v21 dst_sel:DWORD dst_unused:UNUSED_PAD src0_sel:DWORD src1_sel:BYTE_0
	v_add_u32_sdwa v13, v15, v21 dst_sel:DWORD dst_unused:UNUSED_PAD src0_sel:DWORD src1_sel:BYTE_1
	v_add_u32_e32 v12, v13, v23
	s_branch .LBB2106_53
.LBB2106_43:
                                        ; implicit-def: $vgpr11
                                        ; implicit-def: $vgpr12
                                        ; implicit-def: $vgpr13
                                        ; implicit-def: $vgpr15
                                        ; implicit-def: $vgpr14
	s_cbranch_execz .LBB2106_53
; %bb.44:
	s_waitcnt lgkmcnt(0)
	v_mov_b32_dpp v10, v26 row_shr:1 row_mask:0xf bank_mask:0xf
	v_cndmask_b32_e64 v10, v10, 0, s[16:17]
	v_add_u32_e32 v10, v10, v26
	s_nop 1
	v_mov_b32_dpp v11, v10 row_shr:2 row_mask:0xf bank_mask:0xf
	v_cndmask_b32_e64 v11, 0, v11, s[14:15]
	v_add_u32_e32 v10, v10, v11
	s_nop 1
	;; [unrolled: 4-line block ×4, first 2 shown]
	v_mov_b32_dpp v11, v10 row_bcast:15 row_mask:0xf bank_mask:0xf
	v_cndmask_b32_e64 v11, v11, 0, s[20:21]
	v_add_u32_e32 v10, v10, v11
	s_nop 1
	v_mov_b32_dpp v11, v10 row_bcast:31 row_mask:0xf bank_mask:0xf
	v_cndmask_b32_e64 v11, 0, v11, s[2:3]
	v_add_u32_e32 v10, v10, v11
	s_and_saveexec_b64 s[2:3], s[8:9]
	s_cbranch_execz .LBB2106_46
; %bb.45:
	v_lshlrev_b32_e32 v11, 2, v25
	ds_write_b32 v11, v10
.LBB2106_46:
	s_or_b64 exec, exec, s[2:3]
	v_cmp_gt_u32_e32 vcc, 3, v0
	s_waitcnt lgkmcnt(0)
	s_barrier
	s_and_saveexec_b64 s[2:3], vcc
	s_cbranch_execz .LBB2106_48
; %bb.47:
	ds_read_b32 v11, v20
	v_and_b32_e32 v12, 3, v24
	v_cmp_ne_u32_e32 vcc, 0, v12
	s_waitcnt lgkmcnt(0)
	v_mov_b32_dpp v13, v11 row_shr:1 row_mask:0xf bank_mask:0xf
	v_cndmask_b32_e32 v13, 0, v13, vcc
	v_add_u32_e32 v11, v13, v11
	v_cmp_lt_u32_e32 vcc, 1, v12
	s_nop 0
	v_mov_b32_dpp v13, v11 row_shr:2 row_mask:0xf bank_mask:0xf
	v_cndmask_b32_e32 v12, 0, v13, vcc
	v_add_u32_e32 v11, v11, v12
	ds_write_b32 v20, v11
.LBB2106_48:
	s_or_b64 exec, exec, s[2:3]
	v_cmp_lt_u32_e32 vcc, 63, v0
	v_mov_b32_e32 v11, 0
	v_mov_b32_e32 v12, 0
	s_waitcnt lgkmcnt(0)
	s_barrier
	s_and_saveexec_b64 s[2:3], vcc
	s_cbranch_execz .LBB2106_50
; %bb.49:
	v_lshl_add_u32 v12, v25, 2, -4
	ds_read_b32 v12, v12
.LBB2106_50:
	s_or_b64 exec, exec, s[2:3]
	v_add_u32_e32 v13, -1, v24
	v_and_b32_e32 v14, 64, v24
	v_cmp_lt_i32_e32 vcc, v13, v14
	v_cndmask_b32_e32 v13, v13, v24, vcc
	s_waitcnt lgkmcnt(0)
	v_add_u32_e32 v10, v12, v10
	v_lshlrev_b32_e32 v13, 2, v13
	ds_bpermute_b32 v13, v13, v10
	ds_read_b32 v10, v11 offset:8
	v_cmp_eq_u32_e32 vcc, 0, v0
	s_and_saveexec_b64 s[2:3], vcc
	s_cbranch_execz .LBB2106_52
; %bb.51:
	v_mov_b32_e32 v14, 0
	v_mov_b32_e32 v11, 2
	s_waitcnt lgkmcnt(0)
	global_store_dwordx2 v14, v[10:11], s[34:35] offset:512
.LBB2106_52:
	s_or_b64 exec, exec, s[2:3]
	v_cmp_eq_u32_e64 s[2:3], 0, v24
	s_waitcnt lgkmcnt(1)
	v_cndmask_b32_e64 v12, v13, v12, s[2:3]
	v_cndmask_b32_e64 v14, v12, 0, vcc
	v_add_u32_sdwa v15, v14, v21 dst_sel:DWORD dst_unused:UNUSED_PAD src0_sel:DWORD src1_sel:BYTE_0
	v_add_u32_sdwa v13, v15, v21 dst_sel:DWORD dst_unused:UNUSED_PAD src0_sel:DWORD src1_sel:BYTE_1
	v_mov_b32_e32 v11, 0
	v_add_u32_e32 v12, v13, v23
	s_waitcnt lgkmcnt(0)
	s_barrier
.LBB2106_53:
	s_waitcnt lgkmcnt(0)
	v_add_u32_e32 v17, v10, v20
	v_sub_u32_e32 v14, v14, v11
	v_and_b32_e32 v19, 1, v21
	v_sub_u32_e32 v18, v17, v14
	v_cmp_eq_u32_e32 vcc, 1, v19
	v_cndmask_b32_e32 v14, v18, v14, vcc
	v_lshlrev_b32_e32 v14, 3, v14
	v_lshrrev_b32_e32 v16, 8, v21
	ds_write_b64 v14, v[6:7]
	v_sub_u32_e32 v6, v15, v11
	v_sub_u32_e32 v7, v17, v6
	v_and_b32_e32 v14, 1, v16
	v_add_u32_e32 v7, 1, v7
	v_cmp_eq_u32_e32 vcc, 1, v14
	v_cndmask_b32_e32 v6, v7, v6, vcc
	v_lshlrev_b32_e32 v6, 3, v6
	ds_write_b64 v6, v[8:9]
	v_sub_u32_e32 v6, v13, v11
	v_mov_b32_e32 v8, 1
	v_sub_u32_e32 v7, v17, v6
	v_and_b32_sdwa v8, v8, v21 dst_sel:DWORD dst_unused:UNUSED_PAD src0_sel:DWORD src1_sel:WORD_1
	v_add_u32_e32 v7, 2, v7
	v_cmp_eq_u32_e32 vcc, 1, v8
	v_cndmask_b32_e32 v6, v7, v6, vcc
	v_lshlrev_b32_e32 v6, 3, v6
	ds_write_b64 v6, v[2:3]
	v_sub_u32_e32 v2, v12, v11
	v_sub_u32_e32 v3, v17, v2
	v_and_b32_e32 v6, 1, v22
	v_add_u32_e32 v3, 3, v3
	v_cmp_eq_u32_e32 vcc, 1, v6
	v_cndmask_b32_e32 v2, v3, v2, vcc
	v_mov_b32_e32 v12, s31
	v_add_co_u32_e32 v20, vcc, s30, v11
	v_addc_co_u32_e32 v21, vcc, 0, v12, vcc
	s_load_dwordx4 s[4:7], s[4:5], 0x28
	v_add_co_u32_e32 v12, vcc, v20, v10
	v_addc_co_u32_e32 v13, vcc, 0, v21, vcc
	v_mov_b32_e32 v11, s23
	v_sub_co_u32_e32 v16, vcc, s22, v12
	v_subb_co_u32_e32 v17, vcc, v11, v13, vcc
	v_lshlrev_b64 v[16:17], 3, v[16:17]
	v_lshlrev_b32_e32 v2, 3, v2
	s_waitcnt lgkmcnt(0)
	v_mov_b32_e32 v11, s7
	v_add_co_u32_e32 v16, vcc, s6, v16
	ds_write_b64 v2, v[4:5]
	s_waitcnt lgkmcnt(0)
	s_barrier
	ds_read2st64_b64 v[6:9], v1 offset1:3
	ds_read2st64_b64 v[2:5], v1 offset0:6 offset1:9
	v_addc_co_u32_e32 v17, vcc, v11, v17, vcc
	v_mov_b32_e32 v18, s29
	v_add_co_u32_e32 v11, vcc, s28, v16
	v_addc_co_u32_e32 v16, vcc, v17, v18, vcc
	v_lshlrev_b64 v[20:21], 3, v[20:21]
	v_mov_b32_e32 v18, s5
	s_and_b64 vcc, exec, s[0:1]
	v_add_co_u32_e64 v17, s[0:1], s4, v20
	v_add_u32_e32 v19, 0xc0, v0
	v_add_u32_e32 v15, 0x180, v0
	;; [unrolled: 1-line block ×3, first 2 shown]
	v_addc_co_u32_e64 v18, s[0:1], v18, v21, s[0:1]
	s_cbranch_vccnz .LBB2106_55
; %bb.54:
	v_cmp_lt_u32_e32 vcc, v0, v10
	v_cndmask_b32_e32 v20, v11, v17, vcc
	v_cndmask_b32_e32 v21, v16, v18, vcc
	v_add_co_u32_e32 v20, vcc, v20, v1
	v_addc_co_u32_e32 v21, vcc, 0, v21, vcc
	v_cmp_lt_u32_e32 vcc, v19, v10
	s_waitcnt lgkmcnt(1)
	global_store_dwordx2 v[20:21], v[6:7], off
	v_cndmask_b32_e32 v20, v11, v17, vcc
	v_cndmask_b32_e32 v21, v16, v18, vcc
	v_add_co_u32_e32 v20, vcc, v20, v1
	v_addc_co_u32_e32 v21, vcc, 0, v21, vcc
	v_cmp_lt_u32_e32 vcc, v15, v10
	global_store_dwordx2 v[20:21], v[8:9], off offset:1536
	v_cndmask_b32_e32 v20, v11, v17, vcc
	v_cndmask_b32_e32 v21, v16, v18, vcc
	v_add_co_u32_e32 v20, vcc, v20, v1
	v_addc_co_u32_e32 v21, vcc, 0, v21, vcc
	s_mov_b64 s[0:1], -1
	s_waitcnt lgkmcnt(0)
	global_store_dwordx2 v[20:21], v[2:3], off offset:3072
	s_cbranch_execz .LBB2106_56
	s_branch .LBB2106_61
.LBB2106_55:
	s_mov_b64 s[0:1], 0
.LBB2106_56:
	v_cmp_gt_u32_e32 vcc, s33, v0
	s_and_saveexec_b64 s[0:1], vcc
	s_cbranch_execnz .LBB2106_66
; %bb.57:
	s_or_b64 exec, exec, s[0:1]
	v_cmp_gt_u32_e32 vcc, s33, v19
	s_and_saveexec_b64 s[0:1], vcc
	s_cbranch_execnz .LBB2106_67
.LBB2106_58:
	s_or_b64 exec, exec, s[0:1]
	v_cmp_gt_u32_e32 vcc, s33, v15
	s_and_saveexec_b64 s[0:1], vcc
	s_cbranch_execz .LBB2106_60
.LBB2106_59:
	v_cmp_lt_u32_e32 vcc, v15, v10
	s_waitcnt lgkmcnt(1)
	v_cndmask_b32_e32 v6, v11, v17, vcc
	v_cndmask_b32_e32 v7, v16, v18, vcc
	v_add_co_u32_e32 v6, vcc, v6, v1
	v_addc_co_u32_e32 v7, vcc, 0, v7, vcc
	s_waitcnt lgkmcnt(0)
	global_store_dwordx2 v[6:7], v[2:3], off offset:3072
.LBB2106_60:
	s_or_b64 exec, exec, s[0:1]
	v_cmp_gt_u32_e64 s[0:1], s33, v14
.LBB2106_61:
	s_and_saveexec_b64 s[2:3], s[0:1]
	s_cbranch_execz .LBB2106_63
; %bb.62:
	v_cmp_lt_u32_e32 vcc, v14, v10
	s_waitcnt lgkmcnt(0)
	v_cndmask_b32_e32 v2, v11, v17, vcc
	v_lshlrev_b32_e32 v3, 3, v14
	v_cndmask_b32_e32 v1, v16, v18, vcc
	v_add_co_u32_e32 v2, vcc, v2, v3
	v_addc_co_u32_e32 v3, vcc, 0, v1, vcc
	global_store_dwordx2 v[2:3], v[4:5], off
.LBB2106_63:
	s_or_b64 exec, exec, s[2:3]
	v_cmp_eq_u32_e32 vcc, 0, v0
	s_and_b64 s[0:1], vcc, s[26:27]
	s_and_saveexec_b64 s[2:3], s[0:1]
	s_cbranch_execz .LBB2106_65
; %bb.64:
	v_mov_b32_e32 v0, 0
	global_store_dwordx2 v0, v[12:13], s[24:25]
.LBB2106_65:
	s_endpgm
.LBB2106_66:
	v_cmp_lt_u32_e32 vcc, v0, v10
	v_cndmask_b32_e32 v20, v11, v17, vcc
	v_cndmask_b32_e32 v21, v16, v18, vcc
	v_add_co_u32_e32 v20, vcc, v20, v1
	v_addc_co_u32_e32 v21, vcc, 0, v21, vcc
	s_waitcnt lgkmcnt(1)
	global_store_dwordx2 v[20:21], v[6:7], off
	s_or_b64 exec, exec, s[0:1]
	v_cmp_gt_u32_e32 vcc, s33, v19
	s_and_saveexec_b64 s[0:1], vcc
	s_cbranch_execz .LBB2106_58
.LBB2106_67:
	v_cmp_lt_u32_e32 vcc, v19, v10
	s_waitcnt lgkmcnt(1)
	v_cndmask_b32_e32 v6, v11, v17, vcc
	v_cndmask_b32_e32 v7, v16, v18, vcc
	v_add_co_u32_e32 v6, vcc, v6, v1
	v_addc_co_u32_e32 v7, vcc, 0, v7, vcc
	global_store_dwordx2 v[6:7], v[8:9], off offset:1536
	s_or_b64 exec, exec, s[0:1]
	v_cmp_gt_u32_e32 vcc, s33, v15
	s_and_saveexec_b64 s[0:1], vcc
	s_cbranch_execnz .LBB2106_59
	s_branch .LBB2106_60
	.section	.rodata,"a",@progbits
	.p2align	6, 0x0
	.amdhsa_kernel _ZN7rocprim17ROCPRIM_400000_NS6detail17trampoline_kernelINS0_14default_configENS1_25partition_config_selectorILNS1_17partition_subalgoE0EyNS0_10empty_typeEbEEZZNS1_14partition_implILS5_0ELb0ES3_jN6thrust23THRUST_200600_302600_NS6detail15normal_iteratorINSA_10device_ptrIyEEEEPS6_SG_NS0_5tupleIJSF_SF_EEENSH_IJSG_SG_EEES6_PlJ7is_evenIyEEEE10hipError_tPvRmT3_T4_T5_T6_T7_T9_mT8_P12ihipStream_tbDpT10_ENKUlT_T0_E_clISt17integral_constantIbLb0EES16_EEDaS11_S12_EUlS11_E_NS1_11comp_targetILNS1_3genE4ELNS1_11target_archE910ELNS1_3gpuE8ELNS1_3repE0EEENS1_30default_config_static_selectorELNS0_4arch9wavefront6targetE1EEEvT1_
		.amdhsa_group_segment_fixed_size 6344
		.amdhsa_private_segment_fixed_size 0
		.amdhsa_kernarg_size 120
		.amdhsa_user_sgpr_count 6
		.amdhsa_user_sgpr_private_segment_buffer 1
		.amdhsa_user_sgpr_dispatch_ptr 0
		.amdhsa_user_sgpr_queue_ptr 0
		.amdhsa_user_sgpr_kernarg_segment_ptr 1
		.amdhsa_user_sgpr_dispatch_id 0
		.amdhsa_user_sgpr_flat_scratch_init 0
		.amdhsa_user_sgpr_kernarg_preload_length 0
		.amdhsa_user_sgpr_kernarg_preload_offset 0
		.amdhsa_user_sgpr_private_segment_size 0
		.amdhsa_uses_dynamic_stack 0
		.amdhsa_system_sgpr_private_segment_wavefront_offset 0
		.amdhsa_system_sgpr_workgroup_id_x 1
		.amdhsa_system_sgpr_workgroup_id_y 0
		.amdhsa_system_sgpr_workgroup_id_z 0
		.amdhsa_system_sgpr_workgroup_info 0
		.amdhsa_system_vgpr_workitem_id 0
		.amdhsa_next_free_vgpr 43
		.amdhsa_next_free_sgpr 44
		.amdhsa_accum_offset 44
		.amdhsa_reserve_vcc 1
		.amdhsa_reserve_flat_scratch 0
		.amdhsa_float_round_mode_32 0
		.amdhsa_float_round_mode_16_64 0
		.amdhsa_float_denorm_mode_32 3
		.amdhsa_float_denorm_mode_16_64 3
		.amdhsa_dx10_clamp 1
		.amdhsa_ieee_mode 1
		.amdhsa_fp16_overflow 0
		.amdhsa_tg_split 0
		.amdhsa_exception_fp_ieee_invalid_op 0
		.amdhsa_exception_fp_denorm_src 0
		.amdhsa_exception_fp_ieee_div_zero 0
		.amdhsa_exception_fp_ieee_overflow 0
		.amdhsa_exception_fp_ieee_underflow 0
		.amdhsa_exception_fp_ieee_inexact 0
		.amdhsa_exception_int_div_zero 0
	.end_amdhsa_kernel
	.section	.text._ZN7rocprim17ROCPRIM_400000_NS6detail17trampoline_kernelINS0_14default_configENS1_25partition_config_selectorILNS1_17partition_subalgoE0EyNS0_10empty_typeEbEEZZNS1_14partition_implILS5_0ELb0ES3_jN6thrust23THRUST_200600_302600_NS6detail15normal_iteratorINSA_10device_ptrIyEEEEPS6_SG_NS0_5tupleIJSF_SF_EEENSH_IJSG_SG_EEES6_PlJ7is_evenIyEEEE10hipError_tPvRmT3_T4_T5_T6_T7_T9_mT8_P12ihipStream_tbDpT10_ENKUlT_T0_E_clISt17integral_constantIbLb0EES16_EEDaS11_S12_EUlS11_E_NS1_11comp_targetILNS1_3genE4ELNS1_11target_archE910ELNS1_3gpuE8ELNS1_3repE0EEENS1_30default_config_static_selectorELNS0_4arch9wavefront6targetE1EEEvT1_,"axG",@progbits,_ZN7rocprim17ROCPRIM_400000_NS6detail17trampoline_kernelINS0_14default_configENS1_25partition_config_selectorILNS1_17partition_subalgoE0EyNS0_10empty_typeEbEEZZNS1_14partition_implILS5_0ELb0ES3_jN6thrust23THRUST_200600_302600_NS6detail15normal_iteratorINSA_10device_ptrIyEEEEPS6_SG_NS0_5tupleIJSF_SF_EEENSH_IJSG_SG_EEES6_PlJ7is_evenIyEEEE10hipError_tPvRmT3_T4_T5_T6_T7_T9_mT8_P12ihipStream_tbDpT10_ENKUlT_T0_E_clISt17integral_constantIbLb0EES16_EEDaS11_S12_EUlS11_E_NS1_11comp_targetILNS1_3genE4ELNS1_11target_archE910ELNS1_3gpuE8ELNS1_3repE0EEENS1_30default_config_static_selectorELNS0_4arch9wavefront6targetE1EEEvT1_,comdat
.Lfunc_end2106:
	.size	_ZN7rocprim17ROCPRIM_400000_NS6detail17trampoline_kernelINS0_14default_configENS1_25partition_config_selectorILNS1_17partition_subalgoE0EyNS0_10empty_typeEbEEZZNS1_14partition_implILS5_0ELb0ES3_jN6thrust23THRUST_200600_302600_NS6detail15normal_iteratorINSA_10device_ptrIyEEEEPS6_SG_NS0_5tupleIJSF_SF_EEENSH_IJSG_SG_EEES6_PlJ7is_evenIyEEEE10hipError_tPvRmT3_T4_T5_T6_T7_T9_mT8_P12ihipStream_tbDpT10_ENKUlT_T0_E_clISt17integral_constantIbLb0EES16_EEDaS11_S12_EUlS11_E_NS1_11comp_targetILNS1_3genE4ELNS1_11target_archE910ELNS1_3gpuE8ELNS1_3repE0EEENS1_30default_config_static_selectorELNS0_4arch9wavefront6targetE1EEEvT1_, .Lfunc_end2106-_ZN7rocprim17ROCPRIM_400000_NS6detail17trampoline_kernelINS0_14default_configENS1_25partition_config_selectorILNS1_17partition_subalgoE0EyNS0_10empty_typeEbEEZZNS1_14partition_implILS5_0ELb0ES3_jN6thrust23THRUST_200600_302600_NS6detail15normal_iteratorINSA_10device_ptrIyEEEEPS6_SG_NS0_5tupleIJSF_SF_EEENSH_IJSG_SG_EEES6_PlJ7is_evenIyEEEE10hipError_tPvRmT3_T4_T5_T6_T7_T9_mT8_P12ihipStream_tbDpT10_ENKUlT_T0_E_clISt17integral_constantIbLb0EES16_EEDaS11_S12_EUlS11_E_NS1_11comp_targetILNS1_3genE4ELNS1_11target_archE910ELNS1_3gpuE8ELNS1_3repE0EEENS1_30default_config_static_selectorELNS0_4arch9wavefront6targetE1EEEvT1_
                                        ; -- End function
	.section	.AMDGPU.csdata,"",@progbits
; Kernel info:
; codeLenInByte = 3576
; NumSgprs: 48
; NumVgprs: 43
; NumAgprs: 0
; TotalNumVgprs: 43
; ScratchSize: 0
; MemoryBound: 0
; FloatMode: 240
; IeeeMode: 1
; LDSByteSize: 6344 bytes/workgroup (compile time only)
; SGPRBlocks: 5
; VGPRBlocks: 5
; NumSGPRsForWavesPerEU: 48
; NumVGPRsForWavesPerEU: 43
; AccumOffset: 44
; Occupancy: 8
; WaveLimiterHint : 1
; COMPUTE_PGM_RSRC2:SCRATCH_EN: 0
; COMPUTE_PGM_RSRC2:USER_SGPR: 6
; COMPUTE_PGM_RSRC2:TRAP_HANDLER: 0
; COMPUTE_PGM_RSRC2:TGID_X_EN: 1
; COMPUTE_PGM_RSRC2:TGID_Y_EN: 0
; COMPUTE_PGM_RSRC2:TGID_Z_EN: 0
; COMPUTE_PGM_RSRC2:TIDIG_COMP_CNT: 0
; COMPUTE_PGM_RSRC3_GFX90A:ACCUM_OFFSET: 10
; COMPUTE_PGM_RSRC3_GFX90A:TG_SPLIT: 0
	.section	.text._ZN7rocprim17ROCPRIM_400000_NS6detail17trampoline_kernelINS0_14default_configENS1_25partition_config_selectorILNS1_17partition_subalgoE0EyNS0_10empty_typeEbEEZZNS1_14partition_implILS5_0ELb0ES3_jN6thrust23THRUST_200600_302600_NS6detail15normal_iteratorINSA_10device_ptrIyEEEEPS6_SG_NS0_5tupleIJSF_SF_EEENSH_IJSG_SG_EEES6_PlJ7is_evenIyEEEE10hipError_tPvRmT3_T4_T5_T6_T7_T9_mT8_P12ihipStream_tbDpT10_ENKUlT_T0_E_clISt17integral_constantIbLb0EES16_EEDaS11_S12_EUlS11_E_NS1_11comp_targetILNS1_3genE3ELNS1_11target_archE908ELNS1_3gpuE7ELNS1_3repE0EEENS1_30default_config_static_selectorELNS0_4arch9wavefront6targetE1EEEvT1_,"axG",@progbits,_ZN7rocprim17ROCPRIM_400000_NS6detail17trampoline_kernelINS0_14default_configENS1_25partition_config_selectorILNS1_17partition_subalgoE0EyNS0_10empty_typeEbEEZZNS1_14partition_implILS5_0ELb0ES3_jN6thrust23THRUST_200600_302600_NS6detail15normal_iteratorINSA_10device_ptrIyEEEEPS6_SG_NS0_5tupleIJSF_SF_EEENSH_IJSG_SG_EEES6_PlJ7is_evenIyEEEE10hipError_tPvRmT3_T4_T5_T6_T7_T9_mT8_P12ihipStream_tbDpT10_ENKUlT_T0_E_clISt17integral_constantIbLb0EES16_EEDaS11_S12_EUlS11_E_NS1_11comp_targetILNS1_3genE3ELNS1_11target_archE908ELNS1_3gpuE7ELNS1_3repE0EEENS1_30default_config_static_selectorELNS0_4arch9wavefront6targetE1EEEvT1_,comdat
	.protected	_ZN7rocprim17ROCPRIM_400000_NS6detail17trampoline_kernelINS0_14default_configENS1_25partition_config_selectorILNS1_17partition_subalgoE0EyNS0_10empty_typeEbEEZZNS1_14partition_implILS5_0ELb0ES3_jN6thrust23THRUST_200600_302600_NS6detail15normal_iteratorINSA_10device_ptrIyEEEEPS6_SG_NS0_5tupleIJSF_SF_EEENSH_IJSG_SG_EEES6_PlJ7is_evenIyEEEE10hipError_tPvRmT3_T4_T5_T6_T7_T9_mT8_P12ihipStream_tbDpT10_ENKUlT_T0_E_clISt17integral_constantIbLb0EES16_EEDaS11_S12_EUlS11_E_NS1_11comp_targetILNS1_3genE3ELNS1_11target_archE908ELNS1_3gpuE7ELNS1_3repE0EEENS1_30default_config_static_selectorELNS0_4arch9wavefront6targetE1EEEvT1_ ; -- Begin function _ZN7rocprim17ROCPRIM_400000_NS6detail17trampoline_kernelINS0_14default_configENS1_25partition_config_selectorILNS1_17partition_subalgoE0EyNS0_10empty_typeEbEEZZNS1_14partition_implILS5_0ELb0ES3_jN6thrust23THRUST_200600_302600_NS6detail15normal_iteratorINSA_10device_ptrIyEEEEPS6_SG_NS0_5tupleIJSF_SF_EEENSH_IJSG_SG_EEES6_PlJ7is_evenIyEEEE10hipError_tPvRmT3_T4_T5_T6_T7_T9_mT8_P12ihipStream_tbDpT10_ENKUlT_T0_E_clISt17integral_constantIbLb0EES16_EEDaS11_S12_EUlS11_E_NS1_11comp_targetILNS1_3genE3ELNS1_11target_archE908ELNS1_3gpuE7ELNS1_3repE0EEENS1_30default_config_static_selectorELNS0_4arch9wavefront6targetE1EEEvT1_
	.globl	_ZN7rocprim17ROCPRIM_400000_NS6detail17trampoline_kernelINS0_14default_configENS1_25partition_config_selectorILNS1_17partition_subalgoE0EyNS0_10empty_typeEbEEZZNS1_14partition_implILS5_0ELb0ES3_jN6thrust23THRUST_200600_302600_NS6detail15normal_iteratorINSA_10device_ptrIyEEEEPS6_SG_NS0_5tupleIJSF_SF_EEENSH_IJSG_SG_EEES6_PlJ7is_evenIyEEEE10hipError_tPvRmT3_T4_T5_T6_T7_T9_mT8_P12ihipStream_tbDpT10_ENKUlT_T0_E_clISt17integral_constantIbLb0EES16_EEDaS11_S12_EUlS11_E_NS1_11comp_targetILNS1_3genE3ELNS1_11target_archE908ELNS1_3gpuE7ELNS1_3repE0EEENS1_30default_config_static_selectorELNS0_4arch9wavefront6targetE1EEEvT1_
	.p2align	8
	.type	_ZN7rocprim17ROCPRIM_400000_NS6detail17trampoline_kernelINS0_14default_configENS1_25partition_config_selectorILNS1_17partition_subalgoE0EyNS0_10empty_typeEbEEZZNS1_14partition_implILS5_0ELb0ES3_jN6thrust23THRUST_200600_302600_NS6detail15normal_iteratorINSA_10device_ptrIyEEEEPS6_SG_NS0_5tupleIJSF_SF_EEENSH_IJSG_SG_EEES6_PlJ7is_evenIyEEEE10hipError_tPvRmT3_T4_T5_T6_T7_T9_mT8_P12ihipStream_tbDpT10_ENKUlT_T0_E_clISt17integral_constantIbLb0EES16_EEDaS11_S12_EUlS11_E_NS1_11comp_targetILNS1_3genE3ELNS1_11target_archE908ELNS1_3gpuE7ELNS1_3repE0EEENS1_30default_config_static_selectorELNS0_4arch9wavefront6targetE1EEEvT1_,@function
_ZN7rocprim17ROCPRIM_400000_NS6detail17trampoline_kernelINS0_14default_configENS1_25partition_config_selectorILNS1_17partition_subalgoE0EyNS0_10empty_typeEbEEZZNS1_14partition_implILS5_0ELb0ES3_jN6thrust23THRUST_200600_302600_NS6detail15normal_iteratorINSA_10device_ptrIyEEEEPS6_SG_NS0_5tupleIJSF_SF_EEENSH_IJSG_SG_EEES6_PlJ7is_evenIyEEEE10hipError_tPvRmT3_T4_T5_T6_T7_T9_mT8_P12ihipStream_tbDpT10_ENKUlT_T0_E_clISt17integral_constantIbLb0EES16_EEDaS11_S12_EUlS11_E_NS1_11comp_targetILNS1_3genE3ELNS1_11target_archE908ELNS1_3gpuE7ELNS1_3repE0EEENS1_30default_config_static_selectorELNS0_4arch9wavefront6targetE1EEEvT1_: ; @_ZN7rocprim17ROCPRIM_400000_NS6detail17trampoline_kernelINS0_14default_configENS1_25partition_config_selectorILNS1_17partition_subalgoE0EyNS0_10empty_typeEbEEZZNS1_14partition_implILS5_0ELb0ES3_jN6thrust23THRUST_200600_302600_NS6detail15normal_iteratorINSA_10device_ptrIyEEEEPS6_SG_NS0_5tupleIJSF_SF_EEENSH_IJSG_SG_EEES6_PlJ7is_evenIyEEEE10hipError_tPvRmT3_T4_T5_T6_T7_T9_mT8_P12ihipStream_tbDpT10_ENKUlT_T0_E_clISt17integral_constantIbLb0EES16_EEDaS11_S12_EUlS11_E_NS1_11comp_targetILNS1_3genE3ELNS1_11target_archE908ELNS1_3gpuE7ELNS1_3repE0EEENS1_30default_config_static_selectorELNS0_4arch9wavefront6targetE1EEEvT1_
; %bb.0:
	.section	.rodata,"a",@progbits
	.p2align	6, 0x0
	.amdhsa_kernel _ZN7rocprim17ROCPRIM_400000_NS6detail17trampoline_kernelINS0_14default_configENS1_25partition_config_selectorILNS1_17partition_subalgoE0EyNS0_10empty_typeEbEEZZNS1_14partition_implILS5_0ELb0ES3_jN6thrust23THRUST_200600_302600_NS6detail15normal_iteratorINSA_10device_ptrIyEEEEPS6_SG_NS0_5tupleIJSF_SF_EEENSH_IJSG_SG_EEES6_PlJ7is_evenIyEEEE10hipError_tPvRmT3_T4_T5_T6_T7_T9_mT8_P12ihipStream_tbDpT10_ENKUlT_T0_E_clISt17integral_constantIbLb0EES16_EEDaS11_S12_EUlS11_E_NS1_11comp_targetILNS1_3genE3ELNS1_11target_archE908ELNS1_3gpuE7ELNS1_3repE0EEENS1_30default_config_static_selectorELNS0_4arch9wavefront6targetE1EEEvT1_
		.amdhsa_group_segment_fixed_size 0
		.amdhsa_private_segment_fixed_size 0
		.amdhsa_kernarg_size 120
		.amdhsa_user_sgpr_count 6
		.amdhsa_user_sgpr_private_segment_buffer 1
		.amdhsa_user_sgpr_dispatch_ptr 0
		.amdhsa_user_sgpr_queue_ptr 0
		.amdhsa_user_sgpr_kernarg_segment_ptr 1
		.amdhsa_user_sgpr_dispatch_id 0
		.amdhsa_user_sgpr_flat_scratch_init 0
		.amdhsa_user_sgpr_kernarg_preload_length 0
		.amdhsa_user_sgpr_kernarg_preload_offset 0
		.amdhsa_user_sgpr_private_segment_size 0
		.amdhsa_uses_dynamic_stack 0
		.amdhsa_system_sgpr_private_segment_wavefront_offset 0
		.amdhsa_system_sgpr_workgroup_id_x 1
		.amdhsa_system_sgpr_workgroup_id_y 0
		.amdhsa_system_sgpr_workgroup_id_z 0
		.amdhsa_system_sgpr_workgroup_info 0
		.amdhsa_system_vgpr_workitem_id 0
		.amdhsa_next_free_vgpr 1
		.amdhsa_next_free_sgpr 0
		.amdhsa_accum_offset 4
		.amdhsa_reserve_vcc 0
		.amdhsa_reserve_flat_scratch 0
		.amdhsa_float_round_mode_32 0
		.amdhsa_float_round_mode_16_64 0
		.amdhsa_float_denorm_mode_32 3
		.amdhsa_float_denorm_mode_16_64 3
		.amdhsa_dx10_clamp 1
		.amdhsa_ieee_mode 1
		.amdhsa_fp16_overflow 0
		.amdhsa_tg_split 0
		.amdhsa_exception_fp_ieee_invalid_op 0
		.amdhsa_exception_fp_denorm_src 0
		.amdhsa_exception_fp_ieee_div_zero 0
		.amdhsa_exception_fp_ieee_overflow 0
		.amdhsa_exception_fp_ieee_underflow 0
		.amdhsa_exception_fp_ieee_inexact 0
		.amdhsa_exception_int_div_zero 0
	.end_amdhsa_kernel
	.section	.text._ZN7rocprim17ROCPRIM_400000_NS6detail17trampoline_kernelINS0_14default_configENS1_25partition_config_selectorILNS1_17partition_subalgoE0EyNS0_10empty_typeEbEEZZNS1_14partition_implILS5_0ELb0ES3_jN6thrust23THRUST_200600_302600_NS6detail15normal_iteratorINSA_10device_ptrIyEEEEPS6_SG_NS0_5tupleIJSF_SF_EEENSH_IJSG_SG_EEES6_PlJ7is_evenIyEEEE10hipError_tPvRmT3_T4_T5_T6_T7_T9_mT8_P12ihipStream_tbDpT10_ENKUlT_T0_E_clISt17integral_constantIbLb0EES16_EEDaS11_S12_EUlS11_E_NS1_11comp_targetILNS1_3genE3ELNS1_11target_archE908ELNS1_3gpuE7ELNS1_3repE0EEENS1_30default_config_static_selectorELNS0_4arch9wavefront6targetE1EEEvT1_,"axG",@progbits,_ZN7rocprim17ROCPRIM_400000_NS6detail17trampoline_kernelINS0_14default_configENS1_25partition_config_selectorILNS1_17partition_subalgoE0EyNS0_10empty_typeEbEEZZNS1_14partition_implILS5_0ELb0ES3_jN6thrust23THRUST_200600_302600_NS6detail15normal_iteratorINSA_10device_ptrIyEEEEPS6_SG_NS0_5tupleIJSF_SF_EEENSH_IJSG_SG_EEES6_PlJ7is_evenIyEEEE10hipError_tPvRmT3_T4_T5_T6_T7_T9_mT8_P12ihipStream_tbDpT10_ENKUlT_T0_E_clISt17integral_constantIbLb0EES16_EEDaS11_S12_EUlS11_E_NS1_11comp_targetILNS1_3genE3ELNS1_11target_archE908ELNS1_3gpuE7ELNS1_3repE0EEENS1_30default_config_static_selectorELNS0_4arch9wavefront6targetE1EEEvT1_,comdat
.Lfunc_end2107:
	.size	_ZN7rocprim17ROCPRIM_400000_NS6detail17trampoline_kernelINS0_14default_configENS1_25partition_config_selectorILNS1_17partition_subalgoE0EyNS0_10empty_typeEbEEZZNS1_14partition_implILS5_0ELb0ES3_jN6thrust23THRUST_200600_302600_NS6detail15normal_iteratorINSA_10device_ptrIyEEEEPS6_SG_NS0_5tupleIJSF_SF_EEENSH_IJSG_SG_EEES6_PlJ7is_evenIyEEEE10hipError_tPvRmT3_T4_T5_T6_T7_T9_mT8_P12ihipStream_tbDpT10_ENKUlT_T0_E_clISt17integral_constantIbLb0EES16_EEDaS11_S12_EUlS11_E_NS1_11comp_targetILNS1_3genE3ELNS1_11target_archE908ELNS1_3gpuE7ELNS1_3repE0EEENS1_30default_config_static_selectorELNS0_4arch9wavefront6targetE1EEEvT1_, .Lfunc_end2107-_ZN7rocprim17ROCPRIM_400000_NS6detail17trampoline_kernelINS0_14default_configENS1_25partition_config_selectorILNS1_17partition_subalgoE0EyNS0_10empty_typeEbEEZZNS1_14partition_implILS5_0ELb0ES3_jN6thrust23THRUST_200600_302600_NS6detail15normal_iteratorINSA_10device_ptrIyEEEEPS6_SG_NS0_5tupleIJSF_SF_EEENSH_IJSG_SG_EEES6_PlJ7is_evenIyEEEE10hipError_tPvRmT3_T4_T5_T6_T7_T9_mT8_P12ihipStream_tbDpT10_ENKUlT_T0_E_clISt17integral_constantIbLb0EES16_EEDaS11_S12_EUlS11_E_NS1_11comp_targetILNS1_3genE3ELNS1_11target_archE908ELNS1_3gpuE7ELNS1_3repE0EEENS1_30default_config_static_selectorELNS0_4arch9wavefront6targetE1EEEvT1_
                                        ; -- End function
	.section	.AMDGPU.csdata,"",@progbits
; Kernel info:
; codeLenInByte = 0
; NumSgprs: 4
; NumVgprs: 0
; NumAgprs: 0
; TotalNumVgprs: 0
; ScratchSize: 0
; MemoryBound: 0
; FloatMode: 240
; IeeeMode: 1
; LDSByteSize: 0 bytes/workgroup (compile time only)
; SGPRBlocks: 0
; VGPRBlocks: 0
; NumSGPRsForWavesPerEU: 4
; NumVGPRsForWavesPerEU: 1
; AccumOffset: 4
; Occupancy: 8
; WaveLimiterHint : 0
; COMPUTE_PGM_RSRC2:SCRATCH_EN: 0
; COMPUTE_PGM_RSRC2:USER_SGPR: 6
; COMPUTE_PGM_RSRC2:TRAP_HANDLER: 0
; COMPUTE_PGM_RSRC2:TGID_X_EN: 1
; COMPUTE_PGM_RSRC2:TGID_Y_EN: 0
; COMPUTE_PGM_RSRC2:TGID_Z_EN: 0
; COMPUTE_PGM_RSRC2:TIDIG_COMP_CNT: 0
; COMPUTE_PGM_RSRC3_GFX90A:ACCUM_OFFSET: 0
; COMPUTE_PGM_RSRC3_GFX90A:TG_SPLIT: 0
	.section	.text._ZN7rocprim17ROCPRIM_400000_NS6detail17trampoline_kernelINS0_14default_configENS1_25partition_config_selectorILNS1_17partition_subalgoE0EyNS0_10empty_typeEbEEZZNS1_14partition_implILS5_0ELb0ES3_jN6thrust23THRUST_200600_302600_NS6detail15normal_iteratorINSA_10device_ptrIyEEEEPS6_SG_NS0_5tupleIJSF_SF_EEENSH_IJSG_SG_EEES6_PlJ7is_evenIyEEEE10hipError_tPvRmT3_T4_T5_T6_T7_T9_mT8_P12ihipStream_tbDpT10_ENKUlT_T0_E_clISt17integral_constantIbLb0EES16_EEDaS11_S12_EUlS11_E_NS1_11comp_targetILNS1_3genE2ELNS1_11target_archE906ELNS1_3gpuE6ELNS1_3repE0EEENS1_30default_config_static_selectorELNS0_4arch9wavefront6targetE1EEEvT1_,"axG",@progbits,_ZN7rocprim17ROCPRIM_400000_NS6detail17trampoline_kernelINS0_14default_configENS1_25partition_config_selectorILNS1_17partition_subalgoE0EyNS0_10empty_typeEbEEZZNS1_14partition_implILS5_0ELb0ES3_jN6thrust23THRUST_200600_302600_NS6detail15normal_iteratorINSA_10device_ptrIyEEEEPS6_SG_NS0_5tupleIJSF_SF_EEENSH_IJSG_SG_EEES6_PlJ7is_evenIyEEEE10hipError_tPvRmT3_T4_T5_T6_T7_T9_mT8_P12ihipStream_tbDpT10_ENKUlT_T0_E_clISt17integral_constantIbLb0EES16_EEDaS11_S12_EUlS11_E_NS1_11comp_targetILNS1_3genE2ELNS1_11target_archE906ELNS1_3gpuE6ELNS1_3repE0EEENS1_30default_config_static_selectorELNS0_4arch9wavefront6targetE1EEEvT1_,comdat
	.protected	_ZN7rocprim17ROCPRIM_400000_NS6detail17trampoline_kernelINS0_14default_configENS1_25partition_config_selectorILNS1_17partition_subalgoE0EyNS0_10empty_typeEbEEZZNS1_14partition_implILS5_0ELb0ES3_jN6thrust23THRUST_200600_302600_NS6detail15normal_iteratorINSA_10device_ptrIyEEEEPS6_SG_NS0_5tupleIJSF_SF_EEENSH_IJSG_SG_EEES6_PlJ7is_evenIyEEEE10hipError_tPvRmT3_T4_T5_T6_T7_T9_mT8_P12ihipStream_tbDpT10_ENKUlT_T0_E_clISt17integral_constantIbLb0EES16_EEDaS11_S12_EUlS11_E_NS1_11comp_targetILNS1_3genE2ELNS1_11target_archE906ELNS1_3gpuE6ELNS1_3repE0EEENS1_30default_config_static_selectorELNS0_4arch9wavefront6targetE1EEEvT1_ ; -- Begin function _ZN7rocprim17ROCPRIM_400000_NS6detail17trampoline_kernelINS0_14default_configENS1_25partition_config_selectorILNS1_17partition_subalgoE0EyNS0_10empty_typeEbEEZZNS1_14partition_implILS5_0ELb0ES3_jN6thrust23THRUST_200600_302600_NS6detail15normal_iteratorINSA_10device_ptrIyEEEEPS6_SG_NS0_5tupleIJSF_SF_EEENSH_IJSG_SG_EEES6_PlJ7is_evenIyEEEE10hipError_tPvRmT3_T4_T5_T6_T7_T9_mT8_P12ihipStream_tbDpT10_ENKUlT_T0_E_clISt17integral_constantIbLb0EES16_EEDaS11_S12_EUlS11_E_NS1_11comp_targetILNS1_3genE2ELNS1_11target_archE906ELNS1_3gpuE6ELNS1_3repE0EEENS1_30default_config_static_selectorELNS0_4arch9wavefront6targetE1EEEvT1_
	.globl	_ZN7rocprim17ROCPRIM_400000_NS6detail17trampoline_kernelINS0_14default_configENS1_25partition_config_selectorILNS1_17partition_subalgoE0EyNS0_10empty_typeEbEEZZNS1_14partition_implILS5_0ELb0ES3_jN6thrust23THRUST_200600_302600_NS6detail15normal_iteratorINSA_10device_ptrIyEEEEPS6_SG_NS0_5tupleIJSF_SF_EEENSH_IJSG_SG_EEES6_PlJ7is_evenIyEEEE10hipError_tPvRmT3_T4_T5_T6_T7_T9_mT8_P12ihipStream_tbDpT10_ENKUlT_T0_E_clISt17integral_constantIbLb0EES16_EEDaS11_S12_EUlS11_E_NS1_11comp_targetILNS1_3genE2ELNS1_11target_archE906ELNS1_3gpuE6ELNS1_3repE0EEENS1_30default_config_static_selectorELNS0_4arch9wavefront6targetE1EEEvT1_
	.p2align	8
	.type	_ZN7rocprim17ROCPRIM_400000_NS6detail17trampoline_kernelINS0_14default_configENS1_25partition_config_selectorILNS1_17partition_subalgoE0EyNS0_10empty_typeEbEEZZNS1_14partition_implILS5_0ELb0ES3_jN6thrust23THRUST_200600_302600_NS6detail15normal_iteratorINSA_10device_ptrIyEEEEPS6_SG_NS0_5tupleIJSF_SF_EEENSH_IJSG_SG_EEES6_PlJ7is_evenIyEEEE10hipError_tPvRmT3_T4_T5_T6_T7_T9_mT8_P12ihipStream_tbDpT10_ENKUlT_T0_E_clISt17integral_constantIbLb0EES16_EEDaS11_S12_EUlS11_E_NS1_11comp_targetILNS1_3genE2ELNS1_11target_archE906ELNS1_3gpuE6ELNS1_3repE0EEENS1_30default_config_static_selectorELNS0_4arch9wavefront6targetE1EEEvT1_,@function
_ZN7rocprim17ROCPRIM_400000_NS6detail17trampoline_kernelINS0_14default_configENS1_25partition_config_selectorILNS1_17partition_subalgoE0EyNS0_10empty_typeEbEEZZNS1_14partition_implILS5_0ELb0ES3_jN6thrust23THRUST_200600_302600_NS6detail15normal_iteratorINSA_10device_ptrIyEEEEPS6_SG_NS0_5tupleIJSF_SF_EEENSH_IJSG_SG_EEES6_PlJ7is_evenIyEEEE10hipError_tPvRmT3_T4_T5_T6_T7_T9_mT8_P12ihipStream_tbDpT10_ENKUlT_T0_E_clISt17integral_constantIbLb0EES16_EEDaS11_S12_EUlS11_E_NS1_11comp_targetILNS1_3genE2ELNS1_11target_archE906ELNS1_3gpuE6ELNS1_3repE0EEENS1_30default_config_static_selectorELNS0_4arch9wavefront6targetE1EEEvT1_: ; @_ZN7rocprim17ROCPRIM_400000_NS6detail17trampoline_kernelINS0_14default_configENS1_25partition_config_selectorILNS1_17partition_subalgoE0EyNS0_10empty_typeEbEEZZNS1_14partition_implILS5_0ELb0ES3_jN6thrust23THRUST_200600_302600_NS6detail15normal_iteratorINSA_10device_ptrIyEEEEPS6_SG_NS0_5tupleIJSF_SF_EEENSH_IJSG_SG_EEES6_PlJ7is_evenIyEEEE10hipError_tPvRmT3_T4_T5_T6_T7_T9_mT8_P12ihipStream_tbDpT10_ENKUlT_T0_E_clISt17integral_constantIbLb0EES16_EEDaS11_S12_EUlS11_E_NS1_11comp_targetILNS1_3genE2ELNS1_11target_archE906ELNS1_3gpuE6ELNS1_3repE0EEENS1_30default_config_static_selectorELNS0_4arch9wavefront6targetE1EEEvT1_
; %bb.0:
	.section	.rodata,"a",@progbits
	.p2align	6, 0x0
	.amdhsa_kernel _ZN7rocprim17ROCPRIM_400000_NS6detail17trampoline_kernelINS0_14default_configENS1_25partition_config_selectorILNS1_17partition_subalgoE0EyNS0_10empty_typeEbEEZZNS1_14partition_implILS5_0ELb0ES3_jN6thrust23THRUST_200600_302600_NS6detail15normal_iteratorINSA_10device_ptrIyEEEEPS6_SG_NS0_5tupleIJSF_SF_EEENSH_IJSG_SG_EEES6_PlJ7is_evenIyEEEE10hipError_tPvRmT3_T4_T5_T6_T7_T9_mT8_P12ihipStream_tbDpT10_ENKUlT_T0_E_clISt17integral_constantIbLb0EES16_EEDaS11_S12_EUlS11_E_NS1_11comp_targetILNS1_3genE2ELNS1_11target_archE906ELNS1_3gpuE6ELNS1_3repE0EEENS1_30default_config_static_selectorELNS0_4arch9wavefront6targetE1EEEvT1_
		.amdhsa_group_segment_fixed_size 0
		.amdhsa_private_segment_fixed_size 0
		.amdhsa_kernarg_size 120
		.amdhsa_user_sgpr_count 6
		.amdhsa_user_sgpr_private_segment_buffer 1
		.amdhsa_user_sgpr_dispatch_ptr 0
		.amdhsa_user_sgpr_queue_ptr 0
		.amdhsa_user_sgpr_kernarg_segment_ptr 1
		.amdhsa_user_sgpr_dispatch_id 0
		.amdhsa_user_sgpr_flat_scratch_init 0
		.amdhsa_user_sgpr_kernarg_preload_length 0
		.amdhsa_user_sgpr_kernarg_preload_offset 0
		.amdhsa_user_sgpr_private_segment_size 0
		.amdhsa_uses_dynamic_stack 0
		.amdhsa_system_sgpr_private_segment_wavefront_offset 0
		.amdhsa_system_sgpr_workgroup_id_x 1
		.amdhsa_system_sgpr_workgroup_id_y 0
		.amdhsa_system_sgpr_workgroup_id_z 0
		.amdhsa_system_sgpr_workgroup_info 0
		.amdhsa_system_vgpr_workitem_id 0
		.amdhsa_next_free_vgpr 1
		.amdhsa_next_free_sgpr 0
		.amdhsa_accum_offset 4
		.amdhsa_reserve_vcc 0
		.amdhsa_reserve_flat_scratch 0
		.amdhsa_float_round_mode_32 0
		.amdhsa_float_round_mode_16_64 0
		.amdhsa_float_denorm_mode_32 3
		.amdhsa_float_denorm_mode_16_64 3
		.amdhsa_dx10_clamp 1
		.amdhsa_ieee_mode 1
		.amdhsa_fp16_overflow 0
		.amdhsa_tg_split 0
		.amdhsa_exception_fp_ieee_invalid_op 0
		.amdhsa_exception_fp_denorm_src 0
		.amdhsa_exception_fp_ieee_div_zero 0
		.amdhsa_exception_fp_ieee_overflow 0
		.amdhsa_exception_fp_ieee_underflow 0
		.amdhsa_exception_fp_ieee_inexact 0
		.amdhsa_exception_int_div_zero 0
	.end_amdhsa_kernel
	.section	.text._ZN7rocprim17ROCPRIM_400000_NS6detail17trampoline_kernelINS0_14default_configENS1_25partition_config_selectorILNS1_17partition_subalgoE0EyNS0_10empty_typeEbEEZZNS1_14partition_implILS5_0ELb0ES3_jN6thrust23THRUST_200600_302600_NS6detail15normal_iteratorINSA_10device_ptrIyEEEEPS6_SG_NS0_5tupleIJSF_SF_EEENSH_IJSG_SG_EEES6_PlJ7is_evenIyEEEE10hipError_tPvRmT3_T4_T5_T6_T7_T9_mT8_P12ihipStream_tbDpT10_ENKUlT_T0_E_clISt17integral_constantIbLb0EES16_EEDaS11_S12_EUlS11_E_NS1_11comp_targetILNS1_3genE2ELNS1_11target_archE906ELNS1_3gpuE6ELNS1_3repE0EEENS1_30default_config_static_selectorELNS0_4arch9wavefront6targetE1EEEvT1_,"axG",@progbits,_ZN7rocprim17ROCPRIM_400000_NS6detail17trampoline_kernelINS0_14default_configENS1_25partition_config_selectorILNS1_17partition_subalgoE0EyNS0_10empty_typeEbEEZZNS1_14partition_implILS5_0ELb0ES3_jN6thrust23THRUST_200600_302600_NS6detail15normal_iteratorINSA_10device_ptrIyEEEEPS6_SG_NS0_5tupleIJSF_SF_EEENSH_IJSG_SG_EEES6_PlJ7is_evenIyEEEE10hipError_tPvRmT3_T4_T5_T6_T7_T9_mT8_P12ihipStream_tbDpT10_ENKUlT_T0_E_clISt17integral_constantIbLb0EES16_EEDaS11_S12_EUlS11_E_NS1_11comp_targetILNS1_3genE2ELNS1_11target_archE906ELNS1_3gpuE6ELNS1_3repE0EEENS1_30default_config_static_selectorELNS0_4arch9wavefront6targetE1EEEvT1_,comdat
.Lfunc_end2108:
	.size	_ZN7rocprim17ROCPRIM_400000_NS6detail17trampoline_kernelINS0_14default_configENS1_25partition_config_selectorILNS1_17partition_subalgoE0EyNS0_10empty_typeEbEEZZNS1_14partition_implILS5_0ELb0ES3_jN6thrust23THRUST_200600_302600_NS6detail15normal_iteratorINSA_10device_ptrIyEEEEPS6_SG_NS0_5tupleIJSF_SF_EEENSH_IJSG_SG_EEES6_PlJ7is_evenIyEEEE10hipError_tPvRmT3_T4_T5_T6_T7_T9_mT8_P12ihipStream_tbDpT10_ENKUlT_T0_E_clISt17integral_constantIbLb0EES16_EEDaS11_S12_EUlS11_E_NS1_11comp_targetILNS1_3genE2ELNS1_11target_archE906ELNS1_3gpuE6ELNS1_3repE0EEENS1_30default_config_static_selectorELNS0_4arch9wavefront6targetE1EEEvT1_, .Lfunc_end2108-_ZN7rocprim17ROCPRIM_400000_NS6detail17trampoline_kernelINS0_14default_configENS1_25partition_config_selectorILNS1_17partition_subalgoE0EyNS0_10empty_typeEbEEZZNS1_14partition_implILS5_0ELb0ES3_jN6thrust23THRUST_200600_302600_NS6detail15normal_iteratorINSA_10device_ptrIyEEEEPS6_SG_NS0_5tupleIJSF_SF_EEENSH_IJSG_SG_EEES6_PlJ7is_evenIyEEEE10hipError_tPvRmT3_T4_T5_T6_T7_T9_mT8_P12ihipStream_tbDpT10_ENKUlT_T0_E_clISt17integral_constantIbLb0EES16_EEDaS11_S12_EUlS11_E_NS1_11comp_targetILNS1_3genE2ELNS1_11target_archE906ELNS1_3gpuE6ELNS1_3repE0EEENS1_30default_config_static_selectorELNS0_4arch9wavefront6targetE1EEEvT1_
                                        ; -- End function
	.section	.AMDGPU.csdata,"",@progbits
; Kernel info:
; codeLenInByte = 0
; NumSgprs: 4
; NumVgprs: 0
; NumAgprs: 0
; TotalNumVgprs: 0
; ScratchSize: 0
; MemoryBound: 0
; FloatMode: 240
; IeeeMode: 1
; LDSByteSize: 0 bytes/workgroup (compile time only)
; SGPRBlocks: 0
; VGPRBlocks: 0
; NumSGPRsForWavesPerEU: 4
; NumVGPRsForWavesPerEU: 1
; AccumOffset: 4
; Occupancy: 8
; WaveLimiterHint : 0
; COMPUTE_PGM_RSRC2:SCRATCH_EN: 0
; COMPUTE_PGM_RSRC2:USER_SGPR: 6
; COMPUTE_PGM_RSRC2:TRAP_HANDLER: 0
; COMPUTE_PGM_RSRC2:TGID_X_EN: 1
; COMPUTE_PGM_RSRC2:TGID_Y_EN: 0
; COMPUTE_PGM_RSRC2:TGID_Z_EN: 0
; COMPUTE_PGM_RSRC2:TIDIG_COMP_CNT: 0
; COMPUTE_PGM_RSRC3_GFX90A:ACCUM_OFFSET: 0
; COMPUTE_PGM_RSRC3_GFX90A:TG_SPLIT: 0
	.section	.text._ZN7rocprim17ROCPRIM_400000_NS6detail17trampoline_kernelINS0_14default_configENS1_25partition_config_selectorILNS1_17partition_subalgoE0EyNS0_10empty_typeEbEEZZNS1_14partition_implILS5_0ELb0ES3_jN6thrust23THRUST_200600_302600_NS6detail15normal_iteratorINSA_10device_ptrIyEEEEPS6_SG_NS0_5tupleIJSF_SF_EEENSH_IJSG_SG_EEES6_PlJ7is_evenIyEEEE10hipError_tPvRmT3_T4_T5_T6_T7_T9_mT8_P12ihipStream_tbDpT10_ENKUlT_T0_E_clISt17integral_constantIbLb0EES16_EEDaS11_S12_EUlS11_E_NS1_11comp_targetILNS1_3genE10ELNS1_11target_archE1200ELNS1_3gpuE4ELNS1_3repE0EEENS1_30default_config_static_selectorELNS0_4arch9wavefront6targetE1EEEvT1_,"axG",@progbits,_ZN7rocprim17ROCPRIM_400000_NS6detail17trampoline_kernelINS0_14default_configENS1_25partition_config_selectorILNS1_17partition_subalgoE0EyNS0_10empty_typeEbEEZZNS1_14partition_implILS5_0ELb0ES3_jN6thrust23THRUST_200600_302600_NS6detail15normal_iteratorINSA_10device_ptrIyEEEEPS6_SG_NS0_5tupleIJSF_SF_EEENSH_IJSG_SG_EEES6_PlJ7is_evenIyEEEE10hipError_tPvRmT3_T4_T5_T6_T7_T9_mT8_P12ihipStream_tbDpT10_ENKUlT_T0_E_clISt17integral_constantIbLb0EES16_EEDaS11_S12_EUlS11_E_NS1_11comp_targetILNS1_3genE10ELNS1_11target_archE1200ELNS1_3gpuE4ELNS1_3repE0EEENS1_30default_config_static_selectorELNS0_4arch9wavefront6targetE1EEEvT1_,comdat
	.protected	_ZN7rocprim17ROCPRIM_400000_NS6detail17trampoline_kernelINS0_14default_configENS1_25partition_config_selectorILNS1_17partition_subalgoE0EyNS0_10empty_typeEbEEZZNS1_14partition_implILS5_0ELb0ES3_jN6thrust23THRUST_200600_302600_NS6detail15normal_iteratorINSA_10device_ptrIyEEEEPS6_SG_NS0_5tupleIJSF_SF_EEENSH_IJSG_SG_EEES6_PlJ7is_evenIyEEEE10hipError_tPvRmT3_T4_T5_T6_T7_T9_mT8_P12ihipStream_tbDpT10_ENKUlT_T0_E_clISt17integral_constantIbLb0EES16_EEDaS11_S12_EUlS11_E_NS1_11comp_targetILNS1_3genE10ELNS1_11target_archE1200ELNS1_3gpuE4ELNS1_3repE0EEENS1_30default_config_static_selectorELNS0_4arch9wavefront6targetE1EEEvT1_ ; -- Begin function _ZN7rocprim17ROCPRIM_400000_NS6detail17trampoline_kernelINS0_14default_configENS1_25partition_config_selectorILNS1_17partition_subalgoE0EyNS0_10empty_typeEbEEZZNS1_14partition_implILS5_0ELb0ES3_jN6thrust23THRUST_200600_302600_NS6detail15normal_iteratorINSA_10device_ptrIyEEEEPS6_SG_NS0_5tupleIJSF_SF_EEENSH_IJSG_SG_EEES6_PlJ7is_evenIyEEEE10hipError_tPvRmT3_T4_T5_T6_T7_T9_mT8_P12ihipStream_tbDpT10_ENKUlT_T0_E_clISt17integral_constantIbLb0EES16_EEDaS11_S12_EUlS11_E_NS1_11comp_targetILNS1_3genE10ELNS1_11target_archE1200ELNS1_3gpuE4ELNS1_3repE0EEENS1_30default_config_static_selectorELNS0_4arch9wavefront6targetE1EEEvT1_
	.globl	_ZN7rocprim17ROCPRIM_400000_NS6detail17trampoline_kernelINS0_14default_configENS1_25partition_config_selectorILNS1_17partition_subalgoE0EyNS0_10empty_typeEbEEZZNS1_14partition_implILS5_0ELb0ES3_jN6thrust23THRUST_200600_302600_NS6detail15normal_iteratorINSA_10device_ptrIyEEEEPS6_SG_NS0_5tupleIJSF_SF_EEENSH_IJSG_SG_EEES6_PlJ7is_evenIyEEEE10hipError_tPvRmT3_T4_T5_T6_T7_T9_mT8_P12ihipStream_tbDpT10_ENKUlT_T0_E_clISt17integral_constantIbLb0EES16_EEDaS11_S12_EUlS11_E_NS1_11comp_targetILNS1_3genE10ELNS1_11target_archE1200ELNS1_3gpuE4ELNS1_3repE0EEENS1_30default_config_static_selectorELNS0_4arch9wavefront6targetE1EEEvT1_
	.p2align	8
	.type	_ZN7rocprim17ROCPRIM_400000_NS6detail17trampoline_kernelINS0_14default_configENS1_25partition_config_selectorILNS1_17partition_subalgoE0EyNS0_10empty_typeEbEEZZNS1_14partition_implILS5_0ELb0ES3_jN6thrust23THRUST_200600_302600_NS6detail15normal_iteratorINSA_10device_ptrIyEEEEPS6_SG_NS0_5tupleIJSF_SF_EEENSH_IJSG_SG_EEES6_PlJ7is_evenIyEEEE10hipError_tPvRmT3_T4_T5_T6_T7_T9_mT8_P12ihipStream_tbDpT10_ENKUlT_T0_E_clISt17integral_constantIbLb0EES16_EEDaS11_S12_EUlS11_E_NS1_11comp_targetILNS1_3genE10ELNS1_11target_archE1200ELNS1_3gpuE4ELNS1_3repE0EEENS1_30default_config_static_selectorELNS0_4arch9wavefront6targetE1EEEvT1_,@function
_ZN7rocprim17ROCPRIM_400000_NS6detail17trampoline_kernelINS0_14default_configENS1_25partition_config_selectorILNS1_17partition_subalgoE0EyNS0_10empty_typeEbEEZZNS1_14partition_implILS5_0ELb0ES3_jN6thrust23THRUST_200600_302600_NS6detail15normal_iteratorINSA_10device_ptrIyEEEEPS6_SG_NS0_5tupleIJSF_SF_EEENSH_IJSG_SG_EEES6_PlJ7is_evenIyEEEE10hipError_tPvRmT3_T4_T5_T6_T7_T9_mT8_P12ihipStream_tbDpT10_ENKUlT_T0_E_clISt17integral_constantIbLb0EES16_EEDaS11_S12_EUlS11_E_NS1_11comp_targetILNS1_3genE10ELNS1_11target_archE1200ELNS1_3gpuE4ELNS1_3repE0EEENS1_30default_config_static_selectorELNS0_4arch9wavefront6targetE1EEEvT1_: ; @_ZN7rocprim17ROCPRIM_400000_NS6detail17trampoline_kernelINS0_14default_configENS1_25partition_config_selectorILNS1_17partition_subalgoE0EyNS0_10empty_typeEbEEZZNS1_14partition_implILS5_0ELb0ES3_jN6thrust23THRUST_200600_302600_NS6detail15normal_iteratorINSA_10device_ptrIyEEEEPS6_SG_NS0_5tupleIJSF_SF_EEENSH_IJSG_SG_EEES6_PlJ7is_evenIyEEEE10hipError_tPvRmT3_T4_T5_T6_T7_T9_mT8_P12ihipStream_tbDpT10_ENKUlT_T0_E_clISt17integral_constantIbLb0EES16_EEDaS11_S12_EUlS11_E_NS1_11comp_targetILNS1_3genE10ELNS1_11target_archE1200ELNS1_3gpuE4ELNS1_3repE0EEENS1_30default_config_static_selectorELNS0_4arch9wavefront6targetE1EEEvT1_
; %bb.0:
	.section	.rodata,"a",@progbits
	.p2align	6, 0x0
	.amdhsa_kernel _ZN7rocprim17ROCPRIM_400000_NS6detail17trampoline_kernelINS0_14default_configENS1_25partition_config_selectorILNS1_17partition_subalgoE0EyNS0_10empty_typeEbEEZZNS1_14partition_implILS5_0ELb0ES3_jN6thrust23THRUST_200600_302600_NS6detail15normal_iteratorINSA_10device_ptrIyEEEEPS6_SG_NS0_5tupleIJSF_SF_EEENSH_IJSG_SG_EEES6_PlJ7is_evenIyEEEE10hipError_tPvRmT3_T4_T5_T6_T7_T9_mT8_P12ihipStream_tbDpT10_ENKUlT_T0_E_clISt17integral_constantIbLb0EES16_EEDaS11_S12_EUlS11_E_NS1_11comp_targetILNS1_3genE10ELNS1_11target_archE1200ELNS1_3gpuE4ELNS1_3repE0EEENS1_30default_config_static_selectorELNS0_4arch9wavefront6targetE1EEEvT1_
		.amdhsa_group_segment_fixed_size 0
		.amdhsa_private_segment_fixed_size 0
		.amdhsa_kernarg_size 120
		.amdhsa_user_sgpr_count 6
		.amdhsa_user_sgpr_private_segment_buffer 1
		.amdhsa_user_sgpr_dispatch_ptr 0
		.amdhsa_user_sgpr_queue_ptr 0
		.amdhsa_user_sgpr_kernarg_segment_ptr 1
		.amdhsa_user_sgpr_dispatch_id 0
		.amdhsa_user_sgpr_flat_scratch_init 0
		.amdhsa_user_sgpr_kernarg_preload_length 0
		.amdhsa_user_sgpr_kernarg_preload_offset 0
		.amdhsa_user_sgpr_private_segment_size 0
		.amdhsa_uses_dynamic_stack 0
		.amdhsa_system_sgpr_private_segment_wavefront_offset 0
		.amdhsa_system_sgpr_workgroup_id_x 1
		.amdhsa_system_sgpr_workgroup_id_y 0
		.amdhsa_system_sgpr_workgroup_id_z 0
		.amdhsa_system_sgpr_workgroup_info 0
		.amdhsa_system_vgpr_workitem_id 0
		.amdhsa_next_free_vgpr 1
		.amdhsa_next_free_sgpr 0
		.amdhsa_accum_offset 4
		.amdhsa_reserve_vcc 0
		.amdhsa_reserve_flat_scratch 0
		.amdhsa_float_round_mode_32 0
		.amdhsa_float_round_mode_16_64 0
		.amdhsa_float_denorm_mode_32 3
		.amdhsa_float_denorm_mode_16_64 3
		.amdhsa_dx10_clamp 1
		.amdhsa_ieee_mode 1
		.amdhsa_fp16_overflow 0
		.amdhsa_tg_split 0
		.amdhsa_exception_fp_ieee_invalid_op 0
		.amdhsa_exception_fp_denorm_src 0
		.amdhsa_exception_fp_ieee_div_zero 0
		.amdhsa_exception_fp_ieee_overflow 0
		.amdhsa_exception_fp_ieee_underflow 0
		.amdhsa_exception_fp_ieee_inexact 0
		.amdhsa_exception_int_div_zero 0
	.end_amdhsa_kernel
	.section	.text._ZN7rocprim17ROCPRIM_400000_NS6detail17trampoline_kernelINS0_14default_configENS1_25partition_config_selectorILNS1_17partition_subalgoE0EyNS0_10empty_typeEbEEZZNS1_14partition_implILS5_0ELb0ES3_jN6thrust23THRUST_200600_302600_NS6detail15normal_iteratorINSA_10device_ptrIyEEEEPS6_SG_NS0_5tupleIJSF_SF_EEENSH_IJSG_SG_EEES6_PlJ7is_evenIyEEEE10hipError_tPvRmT3_T4_T5_T6_T7_T9_mT8_P12ihipStream_tbDpT10_ENKUlT_T0_E_clISt17integral_constantIbLb0EES16_EEDaS11_S12_EUlS11_E_NS1_11comp_targetILNS1_3genE10ELNS1_11target_archE1200ELNS1_3gpuE4ELNS1_3repE0EEENS1_30default_config_static_selectorELNS0_4arch9wavefront6targetE1EEEvT1_,"axG",@progbits,_ZN7rocprim17ROCPRIM_400000_NS6detail17trampoline_kernelINS0_14default_configENS1_25partition_config_selectorILNS1_17partition_subalgoE0EyNS0_10empty_typeEbEEZZNS1_14partition_implILS5_0ELb0ES3_jN6thrust23THRUST_200600_302600_NS6detail15normal_iteratorINSA_10device_ptrIyEEEEPS6_SG_NS0_5tupleIJSF_SF_EEENSH_IJSG_SG_EEES6_PlJ7is_evenIyEEEE10hipError_tPvRmT3_T4_T5_T6_T7_T9_mT8_P12ihipStream_tbDpT10_ENKUlT_T0_E_clISt17integral_constantIbLb0EES16_EEDaS11_S12_EUlS11_E_NS1_11comp_targetILNS1_3genE10ELNS1_11target_archE1200ELNS1_3gpuE4ELNS1_3repE0EEENS1_30default_config_static_selectorELNS0_4arch9wavefront6targetE1EEEvT1_,comdat
.Lfunc_end2109:
	.size	_ZN7rocprim17ROCPRIM_400000_NS6detail17trampoline_kernelINS0_14default_configENS1_25partition_config_selectorILNS1_17partition_subalgoE0EyNS0_10empty_typeEbEEZZNS1_14partition_implILS5_0ELb0ES3_jN6thrust23THRUST_200600_302600_NS6detail15normal_iteratorINSA_10device_ptrIyEEEEPS6_SG_NS0_5tupleIJSF_SF_EEENSH_IJSG_SG_EEES6_PlJ7is_evenIyEEEE10hipError_tPvRmT3_T4_T5_T6_T7_T9_mT8_P12ihipStream_tbDpT10_ENKUlT_T0_E_clISt17integral_constantIbLb0EES16_EEDaS11_S12_EUlS11_E_NS1_11comp_targetILNS1_3genE10ELNS1_11target_archE1200ELNS1_3gpuE4ELNS1_3repE0EEENS1_30default_config_static_selectorELNS0_4arch9wavefront6targetE1EEEvT1_, .Lfunc_end2109-_ZN7rocprim17ROCPRIM_400000_NS6detail17trampoline_kernelINS0_14default_configENS1_25partition_config_selectorILNS1_17partition_subalgoE0EyNS0_10empty_typeEbEEZZNS1_14partition_implILS5_0ELb0ES3_jN6thrust23THRUST_200600_302600_NS6detail15normal_iteratorINSA_10device_ptrIyEEEEPS6_SG_NS0_5tupleIJSF_SF_EEENSH_IJSG_SG_EEES6_PlJ7is_evenIyEEEE10hipError_tPvRmT3_T4_T5_T6_T7_T9_mT8_P12ihipStream_tbDpT10_ENKUlT_T0_E_clISt17integral_constantIbLb0EES16_EEDaS11_S12_EUlS11_E_NS1_11comp_targetILNS1_3genE10ELNS1_11target_archE1200ELNS1_3gpuE4ELNS1_3repE0EEENS1_30default_config_static_selectorELNS0_4arch9wavefront6targetE1EEEvT1_
                                        ; -- End function
	.section	.AMDGPU.csdata,"",@progbits
; Kernel info:
; codeLenInByte = 0
; NumSgprs: 4
; NumVgprs: 0
; NumAgprs: 0
; TotalNumVgprs: 0
; ScratchSize: 0
; MemoryBound: 0
; FloatMode: 240
; IeeeMode: 1
; LDSByteSize: 0 bytes/workgroup (compile time only)
; SGPRBlocks: 0
; VGPRBlocks: 0
; NumSGPRsForWavesPerEU: 4
; NumVGPRsForWavesPerEU: 1
; AccumOffset: 4
; Occupancy: 8
; WaveLimiterHint : 0
; COMPUTE_PGM_RSRC2:SCRATCH_EN: 0
; COMPUTE_PGM_RSRC2:USER_SGPR: 6
; COMPUTE_PGM_RSRC2:TRAP_HANDLER: 0
; COMPUTE_PGM_RSRC2:TGID_X_EN: 1
; COMPUTE_PGM_RSRC2:TGID_Y_EN: 0
; COMPUTE_PGM_RSRC2:TGID_Z_EN: 0
; COMPUTE_PGM_RSRC2:TIDIG_COMP_CNT: 0
; COMPUTE_PGM_RSRC3_GFX90A:ACCUM_OFFSET: 0
; COMPUTE_PGM_RSRC3_GFX90A:TG_SPLIT: 0
	.section	.text._ZN7rocprim17ROCPRIM_400000_NS6detail17trampoline_kernelINS0_14default_configENS1_25partition_config_selectorILNS1_17partition_subalgoE0EyNS0_10empty_typeEbEEZZNS1_14partition_implILS5_0ELb0ES3_jN6thrust23THRUST_200600_302600_NS6detail15normal_iteratorINSA_10device_ptrIyEEEEPS6_SG_NS0_5tupleIJSF_SF_EEENSH_IJSG_SG_EEES6_PlJ7is_evenIyEEEE10hipError_tPvRmT3_T4_T5_T6_T7_T9_mT8_P12ihipStream_tbDpT10_ENKUlT_T0_E_clISt17integral_constantIbLb0EES16_EEDaS11_S12_EUlS11_E_NS1_11comp_targetILNS1_3genE9ELNS1_11target_archE1100ELNS1_3gpuE3ELNS1_3repE0EEENS1_30default_config_static_selectorELNS0_4arch9wavefront6targetE1EEEvT1_,"axG",@progbits,_ZN7rocprim17ROCPRIM_400000_NS6detail17trampoline_kernelINS0_14default_configENS1_25partition_config_selectorILNS1_17partition_subalgoE0EyNS0_10empty_typeEbEEZZNS1_14partition_implILS5_0ELb0ES3_jN6thrust23THRUST_200600_302600_NS6detail15normal_iteratorINSA_10device_ptrIyEEEEPS6_SG_NS0_5tupleIJSF_SF_EEENSH_IJSG_SG_EEES6_PlJ7is_evenIyEEEE10hipError_tPvRmT3_T4_T5_T6_T7_T9_mT8_P12ihipStream_tbDpT10_ENKUlT_T0_E_clISt17integral_constantIbLb0EES16_EEDaS11_S12_EUlS11_E_NS1_11comp_targetILNS1_3genE9ELNS1_11target_archE1100ELNS1_3gpuE3ELNS1_3repE0EEENS1_30default_config_static_selectorELNS0_4arch9wavefront6targetE1EEEvT1_,comdat
	.protected	_ZN7rocprim17ROCPRIM_400000_NS6detail17trampoline_kernelINS0_14default_configENS1_25partition_config_selectorILNS1_17partition_subalgoE0EyNS0_10empty_typeEbEEZZNS1_14partition_implILS5_0ELb0ES3_jN6thrust23THRUST_200600_302600_NS6detail15normal_iteratorINSA_10device_ptrIyEEEEPS6_SG_NS0_5tupleIJSF_SF_EEENSH_IJSG_SG_EEES6_PlJ7is_evenIyEEEE10hipError_tPvRmT3_T4_T5_T6_T7_T9_mT8_P12ihipStream_tbDpT10_ENKUlT_T0_E_clISt17integral_constantIbLb0EES16_EEDaS11_S12_EUlS11_E_NS1_11comp_targetILNS1_3genE9ELNS1_11target_archE1100ELNS1_3gpuE3ELNS1_3repE0EEENS1_30default_config_static_selectorELNS0_4arch9wavefront6targetE1EEEvT1_ ; -- Begin function _ZN7rocprim17ROCPRIM_400000_NS6detail17trampoline_kernelINS0_14default_configENS1_25partition_config_selectorILNS1_17partition_subalgoE0EyNS0_10empty_typeEbEEZZNS1_14partition_implILS5_0ELb0ES3_jN6thrust23THRUST_200600_302600_NS6detail15normal_iteratorINSA_10device_ptrIyEEEEPS6_SG_NS0_5tupleIJSF_SF_EEENSH_IJSG_SG_EEES6_PlJ7is_evenIyEEEE10hipError_tPvRmT3_T4_T5_T6_T7_T9_mT8_P12ihipStream_tbDpT10_ENKUlT_T0_E_clISt17integral_constantIbLb0EES16_EEDaS11_S12_EUlS11_E_NS1_11comp_targetILNS1_3genE9ELNS1_11target_archE1100ELNS1_3gpuE3ELNS1_3repE0EEENS1_30default_config_static_selectorELNS0_4arch9wavefront6targetE1EEEvT1_
	.globl	_ZN7rocprim17ROCPRIM_400000_NS6detail17trampoline_kernelINS0_14default_configENS1_25partition_config_selectorILNS1_17partition_subalgoE0EyNS0_10empty_typeEbEEZZNS1_14partition_implILS5_0ELb0ES3_jN6thrust23THRUST_200600_302600_NS6detail15normal_iteratorINSA_10device_ptrIyEEEEPS6_SG_NS0_5tupleIJSF_SF_EEENSH_IJSG_SG_EEES6_PlJ7is_evenIyEEEE10hipError_tPvRmT3_T4_T5_T6_T7_T9_mT8_P12ihipStream_tbDpT10_ENKUlT_T0_E_clISt17integral_constantIbLb0EES16_EEDaS11_S12_EUlS11_E_NS1_11comp_targetILNS1_3genE9ELNS1_11target_archE1100ELNS1_3gpuE3ELNS1_3repE0EEENS1_30default_config_static_selectorELNS0_4arch9wavefront6targetE1EEEvT1_
	.p2align	8
	.type	_ZN7rocprim17ROCPRIM_400000_NS6detail17trampoline_kernelINS0_14default_configENS1_25partition_config_selectorILNS1_17partition_subalgoE0EyNS0_10empty_typeEbEEZZNS1_14partition_implILS5_0ELb0ES3_jN6thrust23THRUST_200600_302600_NS6detail15normal_iteratorINSA_10device_ptrIyEEEEPS6_SG_NS0_5tupleIJSF_SF_EEENSH_IJSG_SG_EEES6_PlJ7is_evenIyEEEE10hipError_tPvRmT3_T4_T5_T6_T7_T9_mT8_P12ihipStream_tbDpT10_ENKUlT_T0_E_clISt17integral_constantIbLb0EES16_EEDaS11_S12_EUlS11_E_NS1_11comp_targetILNS1_3genE9ELNS1_11target_archE1100ELNS1_3gpuE3ELNS1_3repE0EEENS1_30default_config_static_selectorELNS0_4arch9wavefront6targetE1EEEvT1_,@function
_ZN7rocprim17ROCPRIM_400000_NS6detail17trampoline_kernelINS0_14default_configENS1_25partition_config_selectorILNS1_17partition_subalgoE0EyNS0_10empty_typeEbEEZZNS1_14partition_implILS5_0ELb0ES3_jN6thrust23THRUST_200600_302600_NS6detail15normal_iteratorINSA_10device_ptrIyEEEEPS6_SG_NS0_5tupleIJSF_SF_EEENSH_IJSG_SG_EEES6_PlJ7is_evenIyEEEE10hipError_tPvRmT3_T4_T5_T6_T7_T9_mT8_P12ihipStream_tbDpT10_ENKUlT_T0_E_clISt17integral_constantIbLb0EES16_EEDaS11_S12_EUlS11_E_NS1_11comp_targetILNS1_3genE9ELNS1_11target_archE1100ELNS1_3gpuE3ELNS1_3repE0EEENS1_30default_config_static_selectorELNS0_4arch9wavefront6targetE1EEEvT1_: ; @_ZN7rocprim17ROCPRIM_400000_NS6detail17trampoline_kernelINS0_14default_configENS1_25partition_config_selectorILNS1_17partition_subalgoE0EyNS0_10empty_typeEbEEZZNS1_14partition_implILS5_0ELb0ES3_jN6thrust23THRUST_200600_302600_NS6detail15normal_iteratorINSA_10device_ptrIyEEEEPS6_SG_NS0_5tupleIJSF_SF_EEENSH_IJSG_SG_EEES6_PlJ7is_evenIyEEEE10hipError_tPvRmT3_T4_T5_T6_T7_T9_mT8_P12ihipStream_tbDpT10_ENKUlT_T0_E_clISt17integral_constantIbLb0EES16_EEDaS11_S12_EUlS11_E_NS1_11comp_targetILNS1_3genE9ELNS1_11target_archE1100ELNS1_3gpuE3ELNS1_3repE0EEENS1_30default_config_static_selectorELNS0_4arch9wavefront6targetE1EEEvT1_
; %bb.0:
	.section	.rodata,"a",@progbits
	.p2align	6, 0x0
	.amdhsa_kernel _ZN7rocprim17ROCPRIM_400000_NS6detail17trampoline_kernelINS0_14default_configENS1_25partition_config_selectorILNS1_17partition_subalgoE0EyNS0_10empty_typeEbEEZZNS1_14partition_implILS5_0ELb0ES3_jN6thrust23THRUST_200600_302600_NS6detail15normal_iteratorINSA_10device_ptrIyEEEEPS6_SG_NS0_5tupleIJSF_SF_EEENSH_IJSG_SG_EEES6_PlJ7is_evenIyEEEE10hipError_tPvRmT3_T4_T5_T6_T7_T9_mT8_P12ihipStream_tbDpT10_ENKUlT_T0_E_clISt17integral_constantIbLb0EES16_EEDaS11_S12_EUlS11_E_NS1_11comp_targetILNS1_3genE9ELNS1_11target_archE1100ELNS1_3gpuE3ELNS1_3repE0EEENS1_30default_config_static_selectorELNS0_4arch9wavefront6targetE1EEEvT1_
		.amdhsa_group_segment_fixed_size 0
		.amdhsa_private_segment_fixed_size 0
		.amdhsa_kernarg_size 120
		.amdhsa_user_sgpr_count 6
		.amdhsa_user_sgpr_private_segment_buffer 1
		.amdhsa_user_sgpr_dispatch_ptr 0
		.amdhsa_user_sgpr_queue_ptr 0
		.amdhsa_user_sgpr_kernarg_segment_ptr 1
		.amdhsa_user_sgpr_dispatch_id 0
		.amdhsa_user_sgpr_flat_scratch_init 0
		.amdhsa_user_sgpr_kernarg_preload_length 0
		.amdhsa_user_sgpr_kernarg_preload_offset 0
		.amdhsa_user_sgpr_private_segment_size 0
		.amdhsa_uses_dynamic_stack 0
		.amdhsa_system_sgpr_private_segment_wavefront_offset 0
		.amdhsa_system_sgpr_workgroup_id_x 1
		.amdhsa_system_sgpr_workgroup_id_y 0
		.amdhsa_system_sgpr_workgroup_id_z 0
		.amdhsa_system_sgpr_workgroup_info 0
		.amdhsa_system_vgpr_workitem_id 0
		.amdhsa_next_free_vgpr 1
		.amdhsa_next_free_sgpr 0
		.amdhsa_accum_offset 4
		.amdhsa_reserve_vcc 0
		.amdhsa_reserve_flat_scratch 0
		.amdhsa_float_round_mode_32 0
		.amdhsa_float_round_mode_16_64 0
		.amdhsa_float_denorm_mode_32 3
		.amdhsa_float_denorm_mode_16_64 3
		.amdhsa_dx10_clamp 1
		.amdhsa_ieee_mode 1
		.amdhsa_fp16_overflow 0
		.amdhsa_tg_split 0
		.amdhsa_exception_fp_ieee_invalid_op 0
		.amdhsa_exception_fp_denorm_src 0
		.amdhsa_exception_fp_ieee_div_zero 0
		.amdhsa_exception_fp_ieee_overflow 0
		.amdhsa_exception_fp_ieee_underflow 0
		.amdhsa_exception_fp_ieee_inexact 0
		.amdhsa_exception_int_div_zero 0
	.end_amdhsa_kernel
	.section	.text._ZN7rocprim17ROCPRIM_400000_NS6detail17trampoline_kernelINS0_14default_configENS1_25partition_config_selectorILNS1_17partition_subalgoE0EyNS0_10empty_typeEbEEZZNS1_14partition_implILS5_0ELb0ES3_jN6thrust23THRUST_200600_302600_NS6detail15normal_iteratorINSA_10device_ptrIyEEEEPS6_SG_NS0_5tupleIJSF_SF_EEENSH_IJSG_SG_EEES6_PlJ7is_evenIyEEEE10hipError_tPvRmT3_T4_T5_T6_T7_T9_mT8_P12ihipStream_tbDpT10_ENKUlT_T0_E_clISt17integral_constantIbLb0EES16_EEDaS11_S12_EUlS11_E_NS1_11comp_targetILNS1_3genE9ELNS1_11target_archE1100ELNS1_3gpuE3ELNS1_3repE0EEENS1_30default_config_static_selectorELNS0_4arch9wavefront6targetE1EEEvT1_,"axG",@progbits,_ZN7rocprim17ROCPRIM_400000_NS6detail17trampoline_kernelINS0_14default_configENS1_25partition_config_selectorILNS1_17partition_subalgoE0EyNS0_10empty_typeEbEEZZNS1_14partition_implILS5_0ELb0ES3_jN6thrust23THRUST_200600_302600_NS6detail15normal_iteratorINSA_10device_ptrIyEEEEPS6_SG_NS0_5tupleIJSF_SF_EEENSH_IJSG_SG_EEES6_PlJ7is_evenIyEEEE10hipError_tPvRmT3_T4_T5_T6_T7_T9_mT8_P12ihipStream_tbDpT10_ENKUlT_T0_E_clISt17integral_constantIbLb0EES16_EEDaS11_S12_EUlS11_E_NS1_11comp_targetILNS1_3genE9ELNS1_11target_archE1100ELNS1_3gpuE3ELNS1_3repE0EEENS1_30default_config_static_selectorELNS0_4arch9wavefront6targetE1EEEvT1_,comdat
.Lfunc_end2110:
	.size	_ZN7rocprim17ROCPRIM_400000_NS6detail17trampoline_kernelINS0_14default_configENS1_25partition_config_selectorILNS1_17partition_subalgoE0EyNS0_10empty_typeEbEEZZNS1_14partition_implILS5_0ELb0ES3_jN6thrust23THRUST_200600_302600_NS6detail15normal_iteratorINSA_10device_ptrIyEEEEPS6_SG_NS0_5tupleIJSF_SF_EEENSH_IJSG_SG_EEES6_PlJ7is_evenIyEEEE10hipError_tPvRmT3_T4_T5_T6_T7_T9_mT8_P12ihipStream_tbDpT10_ENKUlT_T0_E_clISt17integral_constantIbLb0EES16_EEDaS11_S12_EUlS11_E_NS1_11comp_targetILNS1_3genE9ELNS1_11target_archE1100ELNS1_3gpuE3ELNS1_3repE0EEENS1_30default_config_static_selectorELNS0_4arch9wavefront6targetE1EEEvT1_, .Lfunc_end2110-_ZN7rocprim17ROCPRIM_400000_NS6detail17trampoline_kernelINS0_14default_configENS1_25partition_config_selectorILNS1_17partition_subalgoE0EyNS0_10empty_typeEbEEZZNS1_14partition_implILS5_0ELb0ES3_jN6thrust23THRUST_200600_302600_NS6detail15normal_iteratorINSA_10device_ptrIyEEEEPS6_SG_NS0_5tupleIJSF_SF_EEENSH_IJSG_SG_EEES6_PlJ7is_evenIyEEEE10hipError_tPvRmT3_T4_T5_T6_T7_T9_mT8_P12ihipStream_tbDpT10_ENKUlT_T0_E_clISt17integral_constantIbLb0EES16_EEDaS11_S12_EUlS11_E_NS1_11comp_targetILNS1_3genE9ELNS1_11target_archE1100ELNS1_3gpuE3ELNS1_3repE0EEENS1_30default_config_static_selectorELNS0_4arch9wavefront6targetE1EEEvT1_
                                        ; -- End function
	.section	.AMDGPU.csdata,"",@progbits
; Kernel info:
; codeLenInByte = 0
; NumSgprs: 4
; NumVgprs: 0
; NumAgprs: 0
; TotalNumVgprs: 0
; ScratchSize: 0
; MemoryBound: 0
; FloatMode: 240
; IeeeMode: 1
; LDSByteSize: 0 bytes/workgroup (compile time only)
; SGPRBlocks: 0
; VGPRBlocks: 0
; NumSGPRsForWavesPerEU: 4
; NumVGPRsForWavesPerEU: 1
; AccumOffset: 4
; Occupancy: 8
; WaveLimiterHint : 0
; COMPUTE_PGM_RSRC2:SCRATCH_EN: 0
; COMPUTE_PGM_RSRC2:USER_SGPR: 6
; COMPUTE_PGM_RSRC2:TRAP_HANDLER: 0
; COMPUTE_PGM_RSRC2:TGID_X_EN: 1
; COMPUTE_PGM_RSRC2:TGID_Y_EN: 0
; COMPUTE_PGM_RSRC2:TGID_Z_EN: 0
; COMPUTE_PGM_RSRC2:TIDIG_COMP_CNT: 0
; COMPUTE_PGM_RSRC3_GFX90A:ACCUM_OFFSET: 0
; COMPUTE_PGM_RSRC3_GFX90A:TG_SPLIT: 0
	.section	.text._ZN7rocprim17ROCPRIM_400000_NS6detail17trampoline_kernelINS0_14default_configENS1_25partition_config_selectorILNS1_17partition_subalgoE0EyNS0_10empty_typeEbEEZZNS1_14partition_implILS5_0ELb0ES3_jN6thrust23THRUST_200600_302600_NS6detail15normal_iteratorINSA_10device_ptrIyEEEEPS6_SG_NS0_5tupleIJSF_SF_EEENSH_IJSG_SG_EEES6_PlJ7is_evenIyEEEE10hipError_tPvRmT3_T4_T5_T6_T7_T9_mT8_P12ihipStream_tbDpT10_ENKUlT_T0_E_clISt17integral_constantIbLb0EES16_EEDaS11_S12_EUlS11_E_NS1_11comp_targetILNS1_3genE8ELNS1_11target_archE1030ELNS1_3gpuE2ELNS1_3repE0EEENS1_30default_config_static_selectorELNS0_4arch9wavefront6targetE1EEEvT1_,"axG",@progbits,_ZN7rocprim17ROCPRIM_400000_NS6detail17trampoline_kernelINS0_14default_configENS1_25partition_config_selectorILNS1_17partition_subalgoE0EyNS0_10empty_typeEbEEZZNS1_14partition_implILS5_0ELb0ES3_jN6thrust23THRUST_200600_302600_NS6detail15normal_iteratorINSA_10device_ptrIyEEEEPS6_SG_NS0_5tupleIJSF_SF_EEENSH_IJSG_SG_EEES6_PlJ7is_evenIyEEEE10hipError_tPvRmT3_T4_T5_T6_T7_T9_mT8_P12ihipStream_tbDpT10_ENKUlT_T0_E_clISt17integral_constantIbLb0EES16_EEDaS11_S12_EUlS11_E_NS1_11comp_targetILNS1_3genE8ELNS1_11target_archE1030ELNS1_3gpuE2ELNS1_3repE0EEENS1_30default_config_static_selectorELNS0_4arch9wavefront6targetE1EEEvT1_,comdat
	.protected	_ZN7rocprim17ROCPRIM_400000_NS6detail17trampoline_kernelINS0_14default_configENS1_25partition_config_selectorILNS1_17partition_subalgoE0EyNS0_10empty_typeEbEEZZNS1_14partition_implILS5_0ELb0ES3_jN6thrust23THRUST_200600_302600_NS6detail15normal_iteratorINSA_10device_ptrIyEEEEPS6_SG_NS0_5tupleIJSF_SF_EEENSH_IJSG_SG_EEES6_PlJ7is_evenIyEEEE10hipError_tPvRmT3_T4_T5_T6_T7_T9_mT8_P12ihipStream_tbDpT10_ENKUlT_T0_E_clISt17integral_constantIbLb0EES16_EEDaS11_S12_EUlS11_E_NS1_11comp_targetILNS1_3genE8ELNS1_11target_archE1030ELNS1_3gpuE2ELNS1_3repE0EEENS1_30default_config_static_selectorELNS0_4arch9wavefront6targetE1EEEvT1_ ; -- Begin function _ZN7rocprim17ROCPRIM_400000_NS6detail17trampoline_kernelINS0_14default_configENS1_25partition_config_selectorILNS1_17partition_subalgoE0EyNS0_10empty_typeEbEEZZNS1_14partition_implILS5_0ELb0ES3_jN6thrust23THRUST_200600_302600_NS6detail15normal_iteratorINSA_10device_ptrIyEEEEPS6_SG_NS0_5tupleIJSF_SF_EEENSH_IJSG_SG_EEES6_PlJ7is_evenIyEEEE10hipError_tPvRmT3_T4_T5_T6_T7_T9_mT8_P12ihipStream_tbDpT10_ENKUlT_T0_E_clISt17integral_constantIbLb0EES16_EEDaS11_S12_EUlS11_E_NS1_11comp_targetILNS1_3genE8ELNS1_11target_archE1030ELNS1_3gpuE2ELNS1_3repE0EEENS1_30default_config_static_selectorELNS0_4arch9wavefront6targetE1EEEvT1_
	.globl	_ZN7rocprim17ROCPRIM_400000_NS6detail17trampoline_kernelINS0_14default_configENS1_25partition_config_selectorILNS1_17partition_subalgoE0EyNS0_10empty_typeEbEEZZNS1_14partition_implILS5_0ELb0ES3_jN6thrust23THRUST_200600_302600_NS6detail15normal_iteratorINSA_10device_ptrIyEEEEPS6_SG_NS0_5tupleIJSF_SF_EEENSH_IJSG_SG_EEES6_PlJ7is_evenIyEEEE10hipError_tPvRmT3_T4_T5_T6_T7_T9_mT8_P12ihipStream_tbDpT10_ENKUlT_T0_E_clISt17integral_constantIbLb0EES16_EEDaS11_S12_EUlS11_E_NS1_11comp_targetILNS1_3genE8ELNS1_11target_archE1030ELNS1_3gpuE2ELNS1_3repE0EEENS1_30default_config_static_selectorELNS0_4arch9wavefront6targetE1EEEvT1_
	.p2align	8
	.type	_ZN7rocprim17ROCPRIM_400000_NS6detail17trampoline_kernelINS0_14default_configENS1_25partition_config_selectorILNS1_17partition_subalgoE0EyNS0_10empty_typeEbEEZZNS1_14partition_implILS5_0ELb0ES3_jN6thrust23THRUST_200600_302600_NS6detail15normal_iteratorINSA_10device_ptrIyEEEEPS6_SG_NS0_5tupleIJSF_SF_EEENSH_IJSG_SG_EEES6_PlJ7is_evenIyEEEE10hipError_tPvRmT3_T4_T5_T6_T7_T9_mT8_P12ihipStream_tbDpT10_ENKUlT_T0_E_clISt17integral_constantIbLb0EES16_EEDaS11_S12_EUlS11_E_NS1_11comp_targetILNS1_3genE8ELNS1_11target_archE1030ELNS1_3gpuE2ELNS1_3repE0EEENS1_30default_config_static_selectorELNS0_4arch9wavefront6targetE1EEEvT1_,@function
_ZN7rocprim17ROCPRIM_400000_NS6detail17trampoline_kernelINS0_14default_configENS1_25partition_config_selectorILNS1_17partition_subalgoE0EyNS0_10empty_typeEbEEZZNS1_14partition_implILS5_0ELb0ES3_jN6thrust23THRUST_200600_302600_NS6detail15normal_iteratorINSA_10device_ptrIyEEEEPS6_SG_NS0_5tupleIJSF_SF_EEENSH_IJSG_SG_EEES6_PlJ7is_evenIyEEEE10hipError_tPvRmT3_T4_T5_T6_T7_T9_mT8_P12ihipStream_tbDpT10_ENKUlT_T0_E_clISt17integral_constantIbLb0EES16_EEDaS11_S12_EUlS11_E_NS1_11comp_targetILNS1_3genE8ELNS1_11target_archE1030ELNS1_3gpuE2ELNS1_3repE0EEENS1_30default_config_static_selectorELNS0_4arch9wavefront6targetE1EEEvT1_: ; @_ZN7rocprim17ROCPRIM_400000_NS6detail17trampoline_kernelINS0_14default_configENS1_25partition_config_selectorILNS1_17partition_subalgoE0EyNS0_10empty_typeEbEEZZNS1_14partition_implILS5_0ELb0ES3_jN6thrust23THRUST_200600_302600_NS6detail15normal_iteratorINSA_10device_ptrIyEEEEPS6_SG_NS0_5tupleIJSF_SF_EEENSH_IJSG_SG_EEES6_PlJ7is_evenIyEEEE10hipError_tPvRmT3_T4_T5_T6_T7_T9_mT8_P12ihipStream_tbDpT10_ENKUlT_T0_E_clISt17integral_constantIbLb0EES16_EEDaS11_S12_EUlS11_E_NS1_11comp_targetILNS1_3genE8ELNS1_11target_archE1030ELNS1_3gpuE2ELNS1_3repE0EEENS1_30default_config_static_selectorELNS0_4arch9wavefront6targetE1EEEvT1_
; %bb.0:
	.section	.rodata,"a",@progbits
	.p2align	6, 0x0
	.amdhsa_kernel _ZN7rocprim17ROCPRIM_400000_NS6detail17trampoline_kernelINS0_14default_configENS1_25partition_config_selectorILNS1_17partition_subalgoE0EyNS0_10empty_typeEbEEZZNS1_14partition_implILS5_0ELb0ES3_jN6thrust23THRUST_200600_302600_NS6detail15normal_iteratorINSA_10device_ptrIyEEEEPS6_SG_NS0_5tupleIJSF_SF_EEENSH_IJSG_SG_EEES6_PlJ7is_evenIyEEEE10hipError_tPvRmT3_T4_T5_T6_T7_T9_mT8_P12ihipStream_tbDpT10_ENKUlT_T0_E_clISt17integral_constantIbLb0EES16_EEDaS11_S12_EUlS11_E_NS1_11comp_targetILNS1_3genE8ELNS1_11target_archE1030ELNS1_3gpuE2ELNS1_3repE0EEENS1_30default_config_static_selectorELNS0_4arch9wavefront6targetE1EEEvT1_
		.amdhsa_group_segment_fixed_size 0
		.amdhsa_private_segment_fixed_size 0
		.amdhsa_kernarg_size 120
		.amdhsa_user_sgpr_count 6
		.amdhsa_user_sgpr_private_segment_buffer 1
		.amdhsa_user_sgpr_dispatch_ptr 0
		.amdhsa_user_sgpr_queue_ptr 0
		.amdhsa_user_sgpr_kernarg_segment_ptr 1
		.amdhsa_user_sgpr_dispatch_id 0
		.amdhsa_user_sgpr_flat_scratch_init 0
		.amdhsa_user_sgpr_kernarg_preload_length 0
		.amdhsa_user_sgpr_kernarg_preload_offset 0
		.amdhsa_user_sgpr_private_segment_size 0
		.amdhsa_uses_dynamic_stack 0
		.amdhsa_system_sgpr_private_segment_wavefront_offset 0
		.amdhsa_system_sgpr_workgroup_id_x 1
		.amdhsa_system_sgpr_workgroup_id_y 0
		.amdhsa_system_sgpr_workgroup_id_z 0
		.amdhsa_system_sgpr_workgroup_info 0
		.amdhsa_system_vgpr_workitem_id 0
		.amdhsa_next_free_vgpr 1
		.amdhsa_next_free_sgpr 0
		.amdhsa_accum_offset 4
		.amdhsa_reserve_vcc 0
		.amdhsa_reserve_flat_scratch 0
		.amdhsa_float_round_mode_32 0
		.amdhsa_float_round_mode_16_64 0
		.amdhsa_float_denorm_mode_32 3
		.amdhsa_float_denorm_mode_16_64 3
		.amdhsa_dx10_clamp 1
		.amdhsa_ieee_mode 1
		.amdhsa_fp16_overflow 0
		.amdhsa_tg_split 0
		.amdhsa_exception_fp_ieee_invalid_op 0
		.amdhsa_exception_fp_denorm_src 0
		.amdhsa_exception_fp_ieee_div_zero 0
		.amdhsa_exception_fp_ieee_overflow 0
		.amdhsa_exception_fp_ieee_underflow 0
		.amdhsa_exception_fp_ieee_inexact 0
		.amdhsa_exception_int_div_zero 0
	.end_amdhsa_kernel
	.section	.text._ZN7rocprim17ROCPRIM_400000_NS6detail17trampoline_kernelINS0_14default_configENS1_25partition_config_selectorILNS1_17partition_subalgoE0EyNS0_10empty_typeEbEEZZNS1_14partition_implILS5_0ELb0ES3_jN6thrust23THRUST_200600_302600_NS6detail15normal_iteratorINSA_10device_ptrIyEEEEPS6_SG_NS0_5tupleIJSF_SF_EEENSH_IJSG_SG_EEES6_PlJ7is_evenIyEEEE10hipError_tPvRmT3_T4_T5_T6_T7_T9_mT8_P12ihipStream_tbDpT10_ENKUlT_T0_E_clISt17integral_constantIbLb0EES16_EEDaS11_S12_EUlS11_E_NS1_11comp_targetILNS1_3genE8ELNS1_11target_archE1030ELNS1_3gpuE2ELNS1_3repE0EEENS1_30default_config_static_selectorELNS0_4arch9wavefront6targetE1EEEvT1_,"axG",@progbits,_ZN7rocprim17ROCPRIM_400000_NS6detail17trampoline_kernelINS0_14default_configENS1_25partition_config_selectorILNS1_17partition_subalgoE0EyNS0_10empty_typeEbEEZZNS1_14partition_implILS5_0ELb0ES3_jN6thrust23THRUST_200600_302600_NS6detail15normal_iteratorINSA_10device_ptrIyEEEEPS6_SG_NS0_5tupleIJSF_SF_EEENSH_IJSG_SG_EEES6_PlJ7is_evenIyEEEE10hipError_tPvRmT3_T4_T5_T6_T7_T9_mT8_P12ihipStream_tbDpT10_ENKUlT_T0_E_clISt17integral_constantIbLb0EES16_EEDaS11_S12_EUlS11_E_NS1_11comp_targetILNS1_3genE8ELNS1_11target_archE1030ELNS1_3gpuE2ELNS1_3repE0EEENS1_30default_config_static_selectorELNS0_4arch9wavefront6targetE1EEEvT1_,comdat
.Lfunc_end2111:
	.size	_ZN7rocprim17ROCPRIM_400000_NS6detail17trampoline_kernelINS0_14default_configENS1_25partition_config_selectorILNS1_17partition_subalgoE0EyNS0_10empty_typeEbEEZZNS1_14partition_implILS5_0ELb0ES3_jN6thrust23THRUST_200600_302600_NS6detail15normal_iteratorINSA_10device_ptrIyEEEEPS6_SG_NS0_5tupleIJSF_SF_EEENSH_IJSG_SG_EEES6_PlJ7is_evenIyEEEE10hipError_tPvRmT3_T4_T5_T6_T7_T9_mT8_P12ihipStream_tbDpT10_ENKUlT_T0_E_clISt17integral_constantIbLb0EES16_EEDaS11_S12_EUlS11_E_NS1_11comp_targetILNS1_3genE8ELNS1_11target_archE1030ELNS1_3gpuE2ELNS1_3repE0EEENS1_30default_config_static_selectorELNS0_4arch9wavefront6targetE1EEEvT1_, .Lfunc_end2111-_ZN7rocprim17ROCPRIM_400000_NS6detail17trampoline_kernelINS0_14default_configENS1_25partition_config_selectorILNS1_17partition_subalgoE0EyNS0_10empty_typeEbEEZZNS1_14partition_implILS5_0ELb0ES3_jN6thrust23THRUST_200600_302600_NS6detail15normal_iteratorINSA_10device_ptrIyEEEEPS6_SG_NS0_5tupleIJSF_SF_EEENSH_IJSG_SG_EEES6_PlJ7is_evenIyEEEE10hipError_tPvRmT3_T4_T5_T6_T7_T9_mT8_P12ihipStream_tbDpT10_ENKUlT_T0_E_clISt17integral_constantIbLb0EES16_EEDaS11_S12_EUlS11_E_NS1_11comp_targetILNS1_3genE8ELNS1_11target_archE1030ELNS1_3gpuE2ELNS1_3repE0EEENS1_30default_config_static_selectorELNS0_4arch9wavefront6targetE1EEEvT1_
                                        ; -- End function
	.section	.AMDGPU.csdata,"",@progbits
; Kernel info:
; codeLenInByte = 0
; NumSgprs: 4
; NumVgprs: 0
; NumAgprs: 0
; TotalNumVgprs: 0
; ScratchSize: 0
; MemoryBound: 0
; FloatMode: 240
; IeeeMode: 1
; LDSByteSize: 0 bytes/workgroup (compile time only)
; SGPRBlocks: 0
; VGPRBlocks: 0
; NumSGPRsForWavesPerEU: 4
; NumVGPRsForWavesPerEU: 1
; AccumOffset: 4
; Occupancy: 8
; WaveLimiterHint : 0
; COMPUTE_PGM_RSRC2:SCRATCH_EN: 0
; COMPUTE_PGM_RSRC2:USER_SGPR: 6
; COMPUTE_PGM_RSRC2:TRAP_HANDLER: 0
; COMPUTE_PGM_RSRC2:TGID_X_EN: 1
; COMPUTE_PGM_RSRC2:TGID_Y_EN: 0
; COMPUTE_PGM_RSRC2:TGID_Z_EN: 0
; COMPUTE_PGM_RSRC2:TIDIG_COMP_CNT: 0
; COMPUTE_PGM_RSRC3_GFX90A:ACCUM_OFFSET: 0
; COMPUTE_PGM_RSRC3_GFX90A:TG_SPLIT: 0
	.section	.text._ZN7rocprim17ROCPRIM_400000_NS6detail17trampoline_kernelINS0_14default_configENS1_25partition_config_selectorILNS1_17partition_subalgoE0EyNS0_10empty_typeEbEEZZNS1_14partition_implILS5_0ELb0ES3_jN6thrust23THRUST_200600_302600_NS6detail15normal_iteratorINSA_10device_ptrIyEEEEPS6_SG_NS0_5tupleIJSF_SF_EEENSH_IJSG_SG_EEES6_PlJ7is_evenIyEEEE10hipError_tPvRmT3_T4_T5_T6_T7_T9_mT8_P12ihipStream_tbDpT10_ENKUlT_T0_E_clISt17integral_constantIbLb1EES16_EEDaS11_S12_EUlS11_E_NS1_11comp_targetILNS1_3genE0ELNS1_11target_archE4294967295ELNS1_3gpuE0ELNS1_3repE0EEENS1_30default_config_static_selectorELNS0_4arch9wavefront6targetE1EEEvT1_,"axG",@progbits,_ZN7rocprim17ROCPRIM_400000_NS6detail17trampoline_kernelINS0_14default_configENS1_25partition_config_selectorILNS1_17partition_subalgoE0EyNS0_10empty_typeEbEEZZNS1_14partition_implILS5_0ELb0ES3_jN6thrust23THRUST_200600_302600_NS6detail15normal_iteratorINSA_10device_ptrIyEEEEPS6_SG_NS0_5tupleIJSF_SF_EEENSH_IJSG_SG_EEES6_PlJ7is_evenIyEEEE10hipError_tPvRmT3_T4_T5_T6_T7_T9_mT8_P12ihipStream_tbDpT10_ENKUlT_T0_E_clISt17integral_constantIbLb1EES16_EEDaS11_S12_EUlS11_E_NS1_11comp_targetILNS1_3genE0ELNS1_11target_archE4294967295ELNS1_3gpuE0ELNS1_3repE0EEENS1_30default_config_static_selectorELNS0_4arch9wavefront6targetE1EEEvT1_,comdat
	.protected	_ZN7rocprim17ROCPRIM_400000_NS6detail17trampoline_kernelINS0_14default_configENS1_25partition_config_selectorILNS1_17partition_subalgoE0EyNS0_10empty_typeEbEEZZNS1_14partition_implILS5_0ELb0ES3_jN6thrust23THRUST_200600_302600_NS6detail15normal_iteratorINSA_10device_ptrIyEEEEPS6_SG_NS0_5tupleIJSF_SF_EEENSH_IJSG_SG_EEES6_PlJ7is_evenIyEEEE10hipError_tPvRmT3_T4_T5_T6_T7_T9_mT8_P12ihipStream_tbDpT10_ENKUlT_T0_E_clISt17integral_constantIbLb1EES16_EEDaS11_S12_EUlS11_E_NS1_11comp_targetILNS1_3genE0ELNS1_11target_archE4294967295ELNS1_3gpuE0ELNS1_3repE0EEENS1_30default_config_static_selectorELNS0_4arch9wavefront6targetE1EEEvT1_ ; -- Begin function _ZN7rocprim17ROCPRIM_400000_NS6detail17trampoline_kernelINS0_14default_configENS1_25partition_config_selectorILNS1_17partition_subalgoE0EyNS0_10empty_typeEbEEZZNS1_14partition_implILS5_0ELb0ES3_jN6thrust23THRUST_200600_302600_NS6detail15normal_iteratorINSA_10device_ptrIyEEEEPS6_SG_NS0_5tupleIJSF_SF_EEENSH_IJSG_SG_EEES6_PlJ7is_evenIyEEEE10hipError_tPvRmT3_T4_T5_T6_T7_T9_mT8_P12ihipStream_tbDpT10_ENKUlT_T0_E_clISt17integral_constantIbLb1EES16_EEDaS11_S12_EUlS11_E_NS1_11comp_targetILNS1_3genE0ELNS1_11target_archE4294967295ELNS1_3gpuE0ELNS1_3repE0EEENS1_30default_config_static_selectorELNS0_4arch9wavefront6targetE1EEEvT1_
	.globl	_ZN7rocprim17ROCPRIM_400000_NS6detail17trampoline_kernelINS0_14default_configENS1_25partition_config_selectorILNS1_17partition_subalgoE0EyNS0_10empty_typeEbEEZZNS1_14partition_implILS5_0ELb0ES3_jN6thrust23THRUST_200600_302600_NS6detail15normal_iteratorINSA_10device_ptrIyEEEEPS6_SG_NS0_5tupleIJSF_SF_EEENSH_IJSG_SG_EEES6_PlJ7is_evenIyEEEE10hipError_tPvRmT3_T4_T5_T6_T7_T9_mT8_P12ihipStream_tbDpT10_ENKUlT_T0_E_clISt17integral_constantIbLb1EES16_EEDaS11_S12_EUlS11_E_NS1_11comp_targetILNS1_3genE0ELNS1_11target_archE4294967295ELNS1_3gpuE0ELNS1_3repE0EEENS1_30default_config_static_selectorELNS0_4arch9wavefront6targetE1EEEvT1_
	.p2align	8
	.type	_ZN7rocprim17ROCPRIM_400000_NS6detail17trampoline_kernelINS0_14default_configENS1_25partition_config_selectorILNS1_17partition_subalgoE0EyNS0_10empty_typeEbEEZZNS1_14partition_implILS5_0ELb0ES3_jN6thrust23THRUST_200600_302600_NS6detail15normal_iteratorINSA_10device_ptrIyEEEEPS6_SG_NS0_5tupleIJSF_SF_EEENSH_IJSG_SG_EEES6_PlJ7is_evenIyEEEE10hipError_tPvRmT3_T4_T5_T6_T7_T9_mT8_P12ihipStream_tbDpT10_ENKUlT_T0_E_clISt17integral_constantIbLb1EES16_EEDaS11_S12_EUlS11_E_NS1_11comp_targetILNS1_3genE0ELNS1_11target_archE4294967295ELNS1_3gpuE0ELNS1_3repE0EEENS1_30default_config_static_selectorELNS0_4arch9wavefront6targetE1EEEvT1_,@function
_ZN7rocprim17ROCPRIM_400000_NS6detail17trampoline_kernelINS0_14default_configENS1_25partition_config_selectorILNS1_17partition_subalgoE0EyNS0_10empty_typeEbEEZZNS1_14partition_implILS5_0ELb0ES3_jN6thrust23THRUST_200600_302600_NS6detail15normal_iteratorINSA_10device_ptrIyEEEEPS6_SG_NS0_5tupleIJSF_SF_EEENSH_IJSG_SG_EEES6_PlJ7is_evenIyEEEE10hipError_tPvRmT3_T4_T5_T6_T7_T9_mT8_P12ihipStream_tbDpT10_ENKUlT_T0_E_clISt17integral_constantIbLb1EES16_EEDaS11_S12_EUlS11_E_NS1_11comp_targetILNS1_3genE0ELNS1_11target_archE4294967295ELNS1_3gpuE0ELNS1_3repE0EEENS1_30default_config_static_selectorELNS0_4arch9wavefront6targetE1EEEvT1_: ; @_ZN7rocprim17ROCPRIM_400000_NS6detail17trampoline_kernelINS0_14default_configENS1_25partition_config_selectorILNS1_17partition_subalgoE0EyNS0_10empty_typeEbEEZZNS1_14partition_implILS5_0ELb0ES3_jN6thrust23THRUST_200600_302600_NS6detail15normal_iteratorINSA_10device_ptrIyEEEEPS6_SG_NS0_5tupleIJSF_SF_EEENSH_IJSG_SG_EEES6_PlJ7is_evenIyEEEE10hipError_tPvRmT3_T4_T5_T6_T7_T9_mT8_P12ihipStream_tbDpT10_ENKUlT_T0_E_clISt17integral_constantIbLb1EES16_EEDaS11_S12_EUlS11_E_NS1_11comp_targetILNS1_3genE0ELNS1_11target_archE4294967295ELNS1_3gpuE0ELNS1_3repE0EEENS1_30default_config_static_selectorELNS0_4arch9wavefront6targetE1EEEvT1_
; %bb.0:
	.section	.rodata,"a",@progbits
	.p2align	6, 0x0
	.amdhsa_kernel _ZN7rocprim17ROCPRIM_400000_NS6detail17trampoline_kernelINS0_14default_configENS1_25partition_config_selectorILNS1_17partition_subalgoE0EyNS0_10empty_typeEbEEZZNS1_14partition_implILS5_0ELb0ES3_jN6thrust23THRUST_200600_302600_NS6detail15normal_iteratorINSA_10device_ptrIyEEEEPS6_SG_NS0_5tupleIJSF_SF_EEENSH_IJSG_SG_EEES6_PlJ7is_evenIyEEEE10hipError_tPvRmT3_T4_T5_T6_T7_T9_mT8_P12ihipStream_tbDpT10_ENKUlT_T0_E_clISt17integral_constantIbLb1EES16_EEDaS11_S12_EUlS11_E_NS1_11comp_targetILNS1_3genE0ELNS1_11target_archE4294967295ELNS1_3gpuE0ELNS1_3repE0EEENS1_30default_config_static_selectorELNS0_4arch9wavefront6targetE1EEEvT1_
		.amdhsa_group_segment_fixed_size 0
		.amdhsa_private_segment_fixed_size 0
		.amdhsa_kernarg_size 136
		.amdhsa_user_sgpr_count 6
		.amdhsa_user_sgpr_private_segment_buffer 1
		.amdhsa_user_sgpr_dispatch_ptr 0
		.amdhsa_user_sgpr_queue_ptr 0
		.amdhsa_user_sgpr_kernarg_segment_ptr 1
		.amdhsa_user_sgpr_dispatch_id 0
		.amdhsa_user_sgpr_flat_scratch_init 0
		.amdhsa_user_sgpr_kernarg_preload_length 0
		.amdhsa_user_sgpr_kernarg_preload_offset 0
		.amdhsa_user_sgpr_private_segment_size 0
		.amdhsa_uses_dynamic_stack 0
		.amdhsa_system_sgpr_private_segment_wavefront_offset 0
		.amdhsa_system_sgpr_workgroup_id_x 1
		.amdhsa_system_sgpr_workgroup_id_y 0
		.amdhsa_system_sgpr_workgroup_id_z 0
		.amdhsa_system_sgpr_workgroup_info 0
		.amdhsa_system_vgpr_workitem_id 0
		.amdhsa_next_free_vgpr 1
		.amdhsa_next_free_sgpr 0
		.amdhsa_accum_offset 4
		.amdhsa_reserve_vcc 0
		.amdhsa_reserve_flat_scratch 0
		.amdhsa_float_round_mode_32 0
		.amdhsa_float_round_mode_16_64 0
		.amdhsa_float_denorm_mode_32 3
		.amdhsa_float_denorm_mode_16_64 3
		.amdhsa_dx10_clamp 1
		.amdhsa_ieee_mode 1
		.amdhsa_fp16_overflow 0
		.amdhsa_tg_split 0
		.amdhsa_exception_fp_ieee_invalid_op 0
		.amdhsa_exception_fp_denorm_src 0
		.amdhsa_exception_fp_ieee_div_zero 0
		.amdhsa_exception_fp_ieee_overflow 0
		.amdhsa_exception_fp_ieee_underflow 0
		.amdhsa_exception_fp_ieee_inexact 0
		.amdhsa_exception_int_div_zero 0
	.end_amdhsa_kernel
	.section	.text._ZN7rocprim17ROCPRIM_400000_NS6detail17trampoline_kernelINS0_14default_configENS1_25partition_config_selectorILNS1_17partition_subalgoE0EyNS0_10empty_typeEbEEZZNS1_14partition_implILS5_0ELb0ES3_jN6thrust23THRUST_200600_302600_NS6detail15normal_iteratorINSA_10device_ptrIyEEEEPS6_SG_NS0_5tupleIJSF_SF_EEENSH_IJSG_SG_EEES6_PlJ7is_evenIyEEEE10hipError_tPvRmT3_T4_T5_T6_T7_T9_mT8_P12ihipStream_tbDpT10_ENKUlT_T0_E_clISt17integral_constantIbLb1EES16_EEDaS11_S12_EUlS11_E_NS1_11comp_targetILNS1_3genE0ELNS1_11target_archE4294967295ELNS1_3gpuE0ELNS1_3repE0EEENS1_30default_config_static_selectorELNS0_4arch9wavefront6targetE1EEEvT1_,"axG",@progbits,_ZN7rocprim17ROCPRIM_400000_NS6detail17trampoline_kernelINS0_14default_configENS1_25partition_config_selectorILNS1_17partition_subalgoE0EyNS0_10empty_typeEbEEZZNS1_14partition_implILS5_0ELb0ES3_jN6thrust23THRUST_200600_302600_NS6detail15normal_iteratorINSA_10device_ptrIyEEEEPS6_SG_NS0_5tupleIJSF_SF_EEENSH_IJSG_SG_EEES6_PlJ7is_evenIyEEEE10hipError_tPvRmT3_T4_T5_T6_T7_T9_mT8_P12ihipStream_tbDpT10_ENKUlT_T0_E_clISt17integral_constantIbLb1EES16_EEDaS11_S12_EUlS11_E_NS1_11comp_targetILNS1_3genE0ELNS1_11target_archE4294967295ELNS1_3gpuE0ELNS1_3repE0EEENS1_30default_config_static_selectorELNS0_4arch9wavefront6targetE1EEEvT1_,comdat
.Lfunc_end2112:
	.size	_ZN7rocprim17ROCPRIM_400000_NS6detail17trampoline_kernelINS0_14default_configENS1_25partition_config_selectorILNS1_17partition_subalgoE0EyNS0_10empty_typeEbEEZZNS1_14partition_implILS5_0ELb0ES3_jN6thrust23THRUST_200600_302600_NS6detail15normal_iteratorINSA_10device_ptrIyEEEEPS6_SG_NS0_5tupleIJSF_SF_EEENSH_IJSG_SG_EEES6_PlJ7is_evenIyEEEE10hipError_tPvRmT3_T4_T5_T6_T7_T9_mT8_P12ihipStream_tbDpT10_ENKUlT_T0_E_clISt17integral_constantIbLb1EES16_EEDaS11_S12_EUlS11_E_NS1_11comp_targetILNS1_3genE0ELNS1_11target_archE4294967295ELNS1_3gpuE0ELNS1_3repE0EEENS1_30default_config_static_selectorELNS0_4arch9wavefront6targetE1EEEvT1_, .Lfunc_end2112-_ZN7rocprim17ROCPRIM_400000_NS6detail17trampoline_kernelINS0_14default_configENS1_25partition_config_selectorILNS1_17partition_subalgoE0EyNS0_10empty_typeEbEEZZNS1_14partition_implILS5_0ELb0ES3_jN6thrust23THRUST_200600_302600_NS6detail15normal_iteratorINSA_10device_ptrIyEEEEPS6_SG_NS0_5tupleIJSF_SF_EEENSH_IJSG_SG_EEES6_PlJ7is_evenIyEEEE10hipError_tPvRmT3_T4_T5_T6_T7_T9_mT8_P12ihipStream_tbDpT10_ENKUlT_T0_E_clISt17integral_constantIbLb1EES16_EEDaS11_S12_EUlS11_E_NS1_11comp_targetILNS1_3genE0ELNS1_11target_archE4294967295ELNS1_3gpuE0ELNS1_3repE0EEENS1_30default_config_static_selectorELNS0_4arch9wavefront6targetE1EEEvT1_
                                        ; -- End function
	.section	.AMDGPU.csdata,"",@progbits
; Kernel info:
; codeLenInByte = 0
; NumSgprs: 4
; NumVgprs: 0
; NumAgprs: 0
; TotalNumVgprs: 0
; ScratchSize: 0
; MemoryBound: 0
; FloatMode: 240
; IeeeMode: 1
; LDSByteSize: 0 bytes/workgroup (compile time only)
; SGPRBlocks: 0
; VGPRBlocks: 0
; NumSGPRsForWavesPerEU: 4
; NumVGPRsForWavesPerEU: 1
; AccumOffset: 4
; Occupancy: 8
; WaveLimiterHint : 0
; COMPUTE_PGM_RSRC2:SCRATCH_EN: 0
; COMPUTE_PGM_RSRC2:USER_SGPR: 6
; COMPUTE_PGM_RSRC2:TRAP_HANDLER: 0
; COMPUTE_PGM_RSRC2:TGID_X_EN: 1
; COMPUTE_PGM_RSRC2:TGID_Y_EN: 0
; COMPUTE_PGM_RSRC2:TGID_Z_EN: 0
; COMPUTE_PGM_RSRC2:TIDIG_COMP_CNT: 0
; COMPUTE_PGM_RSRC3_GFX90A:ACCUM_OFFSET: 0
; COMPUTE_PGM_RSRC3_GFX90A:TG_SPLIT: 0
	.section	.text._ZN7rocprim17ROCPRIM_400000_NS6detail17trampoline_kernelINS0_14default_configENS1_25partition_config_selectorILNS1_17partition_subalgoE0EyNS0_10empty_typeEbEEZZNS1_14partition_implILS5_0ELb0ES3_jN6thrust23THRUST_200600_302600_NS6detail15normal_iteratorINSA_10device_ptrIyEEEEPS6_SG_NS0_5tupleIJSF_SF_EEENSH_IJSG_SG_EEES6_PlJ7is_evenIyEEEE10hipError_tPvRmT3_T4_T5_T6_T7_T9_mT8_P12ihipStream_tbDpT10_ENKUlT_T0_E_clISt17integral_constantIbLb1EES16_EEDaS11_S12_EUlS11_E_NS1_11comp_targetILNS1_3genE5ELNS1_11target_archE942ELNS1_3gpuE9ELNS1_3repE0EEENS1_30default_config_static_selectorELNS0_4arch9wavefront6targetE1EEEvT1_,"axG",@progbits,_ZN7rocprim17ROCPRIM_400000_NS6detail17trampoline_kernelINS0_14default_configENS1_25partition_config_selectorILNS1_17partition_subalgoE0EyNS0_10empty_typeEbEEZZNS1_14partition_implILS5_0ELb0ES3_jN6thrust23THRUST_200600_302600_NS6detail15normal_iteratorINSA_10device_ptrIyEEEEPS6_SG_NS0_5tupleIJSF_SF_EEENSH_IJSG_SG_EEES6_PlJ7is_evenIyEEEE10hipError_tPvRmT3_T4_T5_T6_T7_T9_mT8_P12ihipStream_tbDpT10_ENKUlT_T0_E_clISt17integral_constantIbLb1EES16_EEDaS11_S12_EUlS11_E_NS1_11comp_targetILNS1_3genE5ELNS1_11target_archE942ELNS1_3gpuE9ELNS1_3repE0EEENS1_30default_config_static_selectorELNS0_4arch9wavefront6targetE1EEEvT1_,comdat
	.protected	_ZN7rocprim17ROCPRIM_400000_NS6detail17trampoline_kernelINS0_14default_configENS1_25partition_config_selectorILNS1_17partition_subalgoE0EyNS0_10empty_typeEbEEZZNS1_14partition_implILS5_0ELb0ES3_jN6thrust23THRUST_200600_302600_NS6detail15normal_iteratorINSA_10device_ptrIyEEEEPS6_SG_NS0_5tupleIJSF_SF_EEENSH_IJSG_SG_EEES6_PlJ7is_evenIyEEEE10hipError_tPvRmT3_T4_T5_T6_T7_T9_mT8_P12ihipStream_tbDpT10_ENKUlT_T0_E_clISt17integral_constantIbLb1EES16_EEDaS11_S12_EUlS11_E_NS1_11comp_targetILNS1_3genE5ELNS1_11target_archE942ELNS1_3gpuE9ELNS1_3repE0EEENS1_30default_config_static_selectorELNS0_4arch9wavefront6targetE1EEEvT1_ ; -- Begin function _ZN7rocprim17ROCPRIM_400000_NS6detail17trampoline_kernelINS0_14default_configENS1_25partition_config_selectorILNS1_17partition_subalgoE0EyNS0_10empty_typeEbEEZZNS1_14partition_implILS5_0ELb0ES3_jN6thrust23THRUST_200600_302600_NS6detail15normal_iteratorINSA_10device_ptrIyEEEEPS6_SG_NS0_5tupleIJSF_SF_EEENSH_IJSG_SG_EEES6_PlJ7is_evenIyEEEE10hipError_tPvRmT3_T4_T5_T6_T7_T9_mT8_P12ihipStream_tbDpT10_ENKUlT_T0_E_clISt17integral_constantIbLb1EES16_EEDaS11_S12_EUlS11_E_NS1_11comp_targetILNS1_3genE5ELNS1_11target_archE942ELNS1_3gpuE9ELNS1_3repE0EEENS1_30default_config_static_selectorELNS0_4arch9wavefront6targetE1EEEvT1_
	.globl	_ZN7rocprim17ROCPRIM_400000_NS6detail17trampoline_kernelINS0_14default_configENS1_25partition_config_selectorILNS1_17partition_subalgoE0EyNS0_10empty_typeEbEEZZNS1_14partition_implILS5_0ELb0ES3_jN6thrust23THRUST_200600_302600_NS6detail15normal_iteratorINSA_10device_ptrIyEEEEPS6_SG_NS0_5tupleIJSF_SF_EEENSH_IJSG_SG_EEES6_PlJ7is_evenIyEEEE10hipError_tPvRmT3_T4_T5_T6_T7_T9_mT8_P12ihipStream_tbDpT10_ENKUlT_T0_E_clISt17integral_constantIbLb1EES16_EEDaS11_S12_EUlS11_E_NS1_11comp_targetILNS1_3genE5ELNS1_11target_archE942ELNS1_3gpuE9ELNS1_3repE0EEENS1_30default_config_static_selectorELNS0_4arch9wavefront6targetE1EEEvT1_
	.p2align	8
	.type	_ZN7rocprim17ROCPRIM_400000_NS6detail17trampoline_kernelINS0_14default_configENS1_25partition_config_selectorILNS1_17partition_subalgoE0EyNS0_10empty_typeEbEEZZNS1_14partition_implILS5_0ELb0ES3_jN6thrust23THRUST_200600_302600_NS6detail15normal_iteratorINSA_10device_ptrIyEEEEPS6_SG_NS0_5tupleIJSF_SF_EEENSH_IJSG_SG_EEES6_PlJ7is_evenIyEEEE10hipError_tPvRmT3_T4_T5_T6_T7_T9_mT8_P12ihipStream_tbDpT10_ENKUlT_T0_E_clISt17integral_constantIbLb1EES16_EEDaS11_S12_EUlS11_E_NS1_11comp_targetILNS1_3genE5ELNS1_11target_archE942ELNS1_3gpuE9ELNS1_3repE0EEENS1_30default_config_static_selectorELNS0_4arch9wavefront6targetE1EEEvT1_,@function
_ZN7rocprim17ROCPRIM_400000_NS6detail17trampoline_kernelINS0_14default_configENS1_25partition_config_selectorILNS1_17partition_subalgoE0EyNS0_10empty_typeEbEEZZNS1_14partition_implILS5_0ELb0ES3_jN6thrust23THRUST_200600_302600_NS6detail15normal_iteratorINSA_10device_ptrIyEEEEPS6_SG_NS0_5tupleIJSF_SF_EEENSH_IJSG_SG_EEES6_PlJ7is_evenIyEEEE10hipError_tPvRmT3_T4_T5_T6_T7_T9_mT8_P12ihipStream_tbDpT10_ENKUlT_T0_E_clISt17integral_constantIbLb1EES16_EEDaS11_S12_EUlS11_E_NS1_11comp_targetILNS1_3genE5ELNS1_11target_archE942ELNS1_3gpuE9ELNS1_3repE0EEENS1_30default_config_static_selectorELNS0_4arch9wavefront6targetE1EEEvT1_: ; @_ZN7rocprim17ROCPRIM_400000_NS6detail17trampoline_kernelINS0_14default_configENS1_25partition_config_selectorILNS1_17partition_subalgoE0EyNS0_10empty_typeEbEEZZNS1_14partition_implILS5_0ELb0ES3_jN6thrust23THRUST_200600_302600_NS6detail15normal_iteratorINSA_10device_ptrIyEEEEPS6_SG_NS0_5tupleIJSF_SF_EEENSH_IJSG_SG_EEES6_PlJ7is_evenIyEEEE10hipError_tPvRmT3_T4_T5_T6_T7_T9_mT8_P12ihipStream_tbDpT10_ENKUlT_T0_E_clISt17integral_constantIbLb1EES16_EEDaS11_S12_EUlS11_E_NS1_11comp_targetILNS1_3genE5ELNS1_11target_archE942ELNS1_3gpuE9ELNS1_3repE0EEENS1_30default_config_static_selectorELNS0_4arch9wavefront6targetE1EEEvT1_
; %bb.0:
	.section	.rodata,"a",@progbits
	.p2align	6, 0x0
	.amdhsa_kernel _ZN7rocprim17ROCPRIM_400000_NS6detail17trampoline_kernelINS0_14default_configENS1_25partition_config_selectorILNS1_17partition_subalgoE0EyNS0_10empty_typeEbEEZZNS1_14partition_implILS5_0ELb0ES3_jN6thrust23THRUST_200600_302600_NS6detail15normal_iteratorINSA_10device_ptrIyEEEEPS6_SG_NS0_5tupleIJSF_SF_EEENSH_IJSG_SG_EEES6_PlJ7is_evenIyEEEE10hipError_tPvRmT3_T4_T5_T6_T7_T9_mT8_P12ihipStream_tbDpT10_ENKUlT_T0_E_clISt17integral_constantIbLb1EES16_EEDaS11_S12_EUlS11_E_NS1_11comp_targetILNS1_3genE5ELNS1_11target_archE942ELNS1_3gpuE9ELNS1_3repE0EEENS1_30default_config_static_selectorELNS0_4arch9wavefront6targetE1EEEvT1_
		.amdhsa_group_segment_fixed_size 0
		.amdhsa_private_segment_fixed_size 0
		.amdhsa_kernarg_size 136
		.amdhsa_user_sgpr_count 6
		.amdhsa_user_sgpr_private_segment_buffer 1
		.amdhsa_user_sgpr_dispatch_ptr 0
		.amdhsa_user_sgpr_queue_ptr 0
		.amdhsa_user_sgpr_kernarg_segment_ptr 1
		.amdhsa_user_sgpr_dispatch_id 0
		.amdhsa_user_sgpr_flat_scratch_init 0
		.amdhsa_user_sgpr_kernarg_preload_length 0
		.amdhsa_user_sgpr_kernarg_preload_offset 0
		.amdhsa_user_sgpr_private_segment_size 0
		.amdhsa_uses_dynamic_stack 0
		.amdhsa_system_sgpr_private_segment_wavefront_offset 0
		.amdhsa_system_sgpr_workgroup_id_x 1
		.amdhsa_system_sgpr_workgroup_id_y 0
		.amdhsa_system_sgpr_workgroup_id_z 0
		.amdhsa_system_sgpr_workgroup_info 0
		.amdhsa_system_vgpr_workitem_id 0
		.amdhsa_next_free_vgpr 1
		.amdhsa_next_free_sgpr 0
		.amdhsa_accum_offset 4
		.amdhsa_reserve_vcc 0
		.amdhsa_reserve_flat_scratch 0
		.amdhsa_float_round_mode_32 0
		.amdhsa_float_round_mode_16_64 0
		.amdhsa_float_denorm_mode_32 3
		.amdhsa_float_denorm_mode_16_64 3
		.amdhsa_dx10_clamp 1
		.amdhsa_ieee_mode 1
		.amdhsa_fp16_overflow 0
		.amdhsa_tg_split 0
		.amdhsa_exception_fp_ieee_invalid_op 0
		.amdhsa_exception_fp_denorm_src 0
		.amdhsa_exception_fp_ieee_div_zero 0
		.amdhsa_exception_fp_ieee_overflow 0
		.amdhsa_exception_fp_ieee_underflow 0
		.amdhsa_exception_fp_ieee_inexact 0
		.amdhsa_exception_int_div_zero 0
	.end_amdhsa_kernel
	.section	.text._ZN7rocprim17ROCPRIM_400000_NS6detail17trampoline_kernelINS0_14default_configENS1_25partition_config_selectorILNS1_17partition_subalgoE0EyNS0_10empty_typeEbEEZZNS1_14partition_implILS5_0ELb0ES3_jN6thrust23THRUST_200600_302600_NS6detail15normal_iteratorINSA_10device_ptrIyEEEEPS6_SG_NS0_5tupleIJSF_SF_EEENSH_IJSG_SG_EEES6_PlJ7is_evenIyEEEE10hipError_tPvRmT3_T4_T5_T6_T7_T9_mT8_P12ihipStream_tbDpT10_ENKUlT_T0_E_clISt17integral_constantIbLb1EES16_EEDaS11_S12_EUlS11_E_NS1_11comp_targetILNS1_3genE5ELNS1_11target_archE942ELNS1_3gpuE9ELNS1_3repE0EEENS1_30default_config_static_selectorELNS0_4arch9wavefront6targetE1EEEvT1_,"axG",@progbits,_ZN7rocprim17ROCPRIM_400000_NS6detail17trampoline_kernelINS0_14default_configENS1_25partition_config_selectorILNS1_17partition_subalgoE0EyNS0_10empty_typeEbEEZZNS1_14partition_implILS5_0ELb0ES3_jN6thrust23THRUST_200600_302600_NS6detail15normal_iteratorINSA_10device_ptrIyEEEEPS6_SG_NS0_5tupleIJSF_SF_EEENSH_IJSG_SG_EEES6_PlJ7is_evenIyEEEE10hipError_tPvRmT3_T4_T5_T6_T7_T9_mT8_P12ihipStream_tbDpT10_ENKUlT_T0_E_clISt17integral_constantIbLb1EES16_EEDaS11_S12_EUlS11_E_NS1_11comp_targetILNS1_3genE5ELNS1_11target_archE942ELNS1_3gpuE9ELNS1_3repE0EEENS1_30default_config_static_selectorELNS0_4arch9wavefront6targetE1EEEvT1_,comdat
.Lfunc_end2113:
	.size	_ZN7rocprim17ROCPRIM_400000_NS6detail17trampoline_kernelINS0_14default_configENS1_25partition_config_selectorILNS1_17partition_subalgoE0EyNS0_10empty_typeEbEEZZNS1_14partition_implILS5_0ELb0ES3_jN6thrust23THRUST_200600_302600_NS6detail15normal_iteratorINSA_10device_ptrIyEEEEPS6_SG_NS0_5tupleIJSF_SF_EEENSH_IJSG_SG_EEES6_PlJ7is_evenIyEEEE10hipError_tPvRmT3_T4_T5_T6_T7_T9_mT8_P12ihipStream_tbDpT10_ENKUlT_T0_E_clISt17integral_constantIbLb1EES16_EEDaS11_S12_EUlS11_E_NS1_11comp_targetILNS1_3genE5ELNS1_11target_archE942ELNS1_3gpuE9ELNS1_3repE0EEENS1_30default_config_static_selectorELNS0_4arch9wavefront6targetE1EEEvT1_, .Lfunc_end2113-_ZN7rocprim17ROCPRIM_400000_NS6detail17trampoline_kernelINS0_14default_configENS1_25partition_config_selectorILNS1_17partition_subalgoE0EyNS0_10empty_typeEbEEZZNS1_14partition_implILS5_0ELb0ES3_jN6thrust23THRUST_200600_302600_NS6detail15normal_iteratorINSA_10device_ptrIyEEEEPS6_SG_NS0_5tupleIJSF_SF_EEENSH_IJSG_SG_EEES6_PlJ7is_evenIyEEEE10hipError_tPvRmT3_T4_T5_T6_T7_T9_mT8_P12ihipStream_tbDpT10_ENKUlT_T0_E_clISt17integral_constantIbLb1EES16_EEDaS11_S12_EUlS11_E_NS1_11comp_targetILNS1_3genE5ELNS1_11target_archE942ELNS1_3gpuE9ELNS1_3repE0EEENS1_30default_config_static_selectorELNS0_4arch9wavefront6targetE1EEEvT1_
                                        ; -- End function
	.section	.AMDGPU.csdata,"",@progbits
; Kernel info:
; codeLenInByte = 0
; NumSgprs: 4
; NumVgprs: 0
; NumAgprs: 0
; TotalNumVgprs: 0
; ScratchSize: 0
; MemoryBound: 0
; FloatMode: 240
; IeeeMode: 1
; LDSByteSize: 0 bytes/workgroup (compile time only)
; SGPRBlocks: 0
; VGPRBlocks: 0
; NumSGPRsForWavesPerEU: 4
; NumVGPRsForWavesPerEU: 1
; AccumOffset: 4
; Occupancy: 8
; WaveLimiterHint : 0
; COMPUTE_PGM_RSRC2:SCRATCH_EN: 0
; COMPUTE_PGM_RSRC2:USER_SGPR: 6
; COMPUTE_PGM_RSRC2:TRAP_HANDLER: 0
; COMPUTE_PGM_RSRC2:TGID_X_EN: 1
; COMPUTE_PGM_RSRC2:TGID_Y_EN: 0
; COMPUTE_PGM_RSRC2:TGID_Z_EN: 0
; COMPUTE_PGM_RSRC2:TIDIG_COMP_CNT: 0
; COMPUTE_PGM_RSRC3_GFX90A:ACCUM_OFFSET: 0
; COMPUTE_PGM_RSRC3_GFX90A:TG_SPLIT: 0
	.section	.text._ZN7rocprim17ROCPRIM_400000_NS6detail17trampoline_kernelINS0_14default_configENS1_25partition_config_selectorILNS1_17partition_subalgoE0EyNS0_10empty_typeEbEEZZNS1_14partition_implILS5_0ELb0ES3_jN6thrust23THRUST_200600_302600_NS6detail15normal_iteratorINSA_10device_ptrIyEEEEPS6_SG_NS0_5tupleIJSF_SF_EEENSH_IJSG_SG_EEES6_PlJ7is_evenIyEEEE10hipError_tPvRmT3_T4_T5_T6_T7_T9_mT8_P12ihipStream_tbDpT10_ENKUlT_T0_E_clISt17integral_constantIbLb1EES16_EEDaS11_S12_EUlS11_E_NS1_11comp_targetILNS1_3genE4ELNS1_11target_archE910ELNS1_3gpuE8ELNS1_3repE0EEENS1_30default_config_static_selectorELNS0_4arch9wavefront6targetE1EEEvT1_,"axG",@progbits,_ZN7rocprim17ROCPRIM_400000_NS6detail17trampoline_kernelINS0_14default_configENS1_25partition_config_selectorILNS1_17partition_subalgoE0EyNS0_10empty_typeEbEEZZNS1_14partition_implILS5_0ELb0ES3_jN6thrust23THRUST_200600_302600_NS6detail15normal_iteratorINSA_10device_ptrIyEEEEPS6_SG_NS0_5tupleIJSF_SF_EEENSH_IJSG_SG_EEES6_PlJ7is_evenIyEEEE10hipError_tPvRmT3_T4_T5_T6_T7_T9_mT8_P12ihipStream_tbDpT10_ENKUlT_T0_E_clISt17integral_constantIbLb1EES16_EEDaS11_S12_EUlS11_E_NS1_11comp_targetILNS1_3genE4ELNS1_11target_archE910ELNS1_3gpuE8ELNS1_3repE0EEENS1_30default_config_static_selectorELNS0_4arch9wavefront6targetE1EEEvT1_,comdat
	.protected	_ZN7rocprim17ROCPRIM_400000_NS6detail17trampoline_kernelINS0_14default_configENS1_25partition_config_selectorILNS1_17partition_subalgoE0EyNS0_10empty_typeEbEEZZNS1_14partition_implILS5_0ELb0ES3_jN6thrust23THRUST_200600_302600_NS6detail15normal_iteratorINSA_10device_ptrIyEEEEPS6_SG_NS0_5tupleIJSF_SF_EEENSH_IJSG_SG_EEES6_PlJ7is_evenIyEEEE10hipError_tPvRmT3_T4_T5_T6_T7_T9_mT8_P12ihipStream_tbDpT10_ENKUlT_T0_E_clISt17integral_constantIbLb1EES16_EEDaS11_S12_EUlS11_E_NS1_11comp_targetILNS1_3genE4ELNS1_11target_archE910ELNS1_3gpuE8ELNS1_3repE0EEENS1_30default_config_static_selectorELNS0_4arch9wavefront6targetE1EEEvT1_ ; -- Begin function _ZN7rocprim17ROCPRIM_400000_NS6detail17trampoline_kernelINS0_14default_configENS1_25partition_config_selectorILNS1_17partition_subalgoE0EyNS0_10empty_typeEbEEZZNS1_14partition_implILS5_0ELb0ES3_jN6thrust23THRUST_200600_302600_NS6detail15normal_iteratorINSA_10device_ptrIyEEEEPS6_SG_NS0_5tupleIJSF_SF_EEENSH_IJSG_SG_EEES6_PlJ7is_evenIyEEEE10hipError_tPvRmT3_T4_T5_T6_T7_T9_mT8_P12ihipStream_tbDpT10_ENKUlT_T0_E_clISt17integral_constantIbLb1EES16_EEDaS11_S12_EUlS11_E_NS1_11comp_targetILNS1_3genE4ELNS1_11target_archE910ELNS1_3gpuE8ELNS1_3repE0EEENS1_30default_config_static_selectorELNS0_4arch9wavefront6targetE1EEEvT1_
	.globl	_ZN7rocprim17ROCPRIM_400000_NS6detail17trampoline_kernelINS0_14default_configENS1_25partition_config_selectorILNS1_17partition_subalgoE0EyNS0_10empty_typeEbEEZZNS1_14partition_implILS5_0ELb0ES3_jN6thrust23THRUST_200600_302600_NS6detail15normal_iteratorINSA_10device_ptrIyEEEEPS6_SG_NS0_5tupleIJSF_SF_EEENSH_IJSG_SG_EEES6_PlJ7is_evenIyEEEE10hipError_tPvRmT3_T4_T5_T6_T7_T9_mT8_P12ihipStream_tbDpT10_ENKUlT_T0_E_clISt17integral_constantIbLb1EES16_EEDaS11_S12_EUlS11_E_NS1_11comp_targetILNS1_3genE4ELNS1_11target_archE910ELNS1_3gpuE8ELNS1_3repE0EEENS1_30default_config_static_selectorELNS0_4arch9wavefront6targetE1EEEvT1_
	.p2align	8
	.type	_ZN7rocprim17ROCPRIM_400000_NS6detail17trampoline_kernelINS0_14default_configENS1_25partition_config_selectorILNS1_17partition_subalgoE0EyNS0_10empty_typeEbEEZZNS1_14partition_implILS5_0ELb0ES3_jN6thrust23THRUST_200600_302600_NS6detail15normal_iteratorINSA_10device_ptrIyEEEEPS6_SG_NS0_5tupleIJSF_SF_EEENSH_IJSG_SG_EEES6_PlJ7is_evenIyEEEE10hipError_tPvRmT3_T4_T5_T6_T7_T9_mT8_P12ihipStream_tbDpT10_ENKUlT_T0_E_clISt17integral_constantIbLb1EES16_EEDaS11_S12_EUlS11_E_NS1_11comp_targetILNS1_3genE4ELNS1_11target_archE910ELNS1_3gpuE8ELNS1_3repE0EEENS1_30default_config_static_selectorELNS0_4arch9wavefront6targetE1EEEvT1_,@function
_ZN7rocprim17ROCPRIM_400000_NS6detail17trampoline_kernelINS0_14default_configENS1_25partition_config_selectorILNS1_17partition_subalgoE0EyNS0_10empty_typeEbEEZZNS1_14partition_implILS5_0ELb0ES3_jN6thrust23THRUST_200600_302600_NS6detail15normal_iteratorINSA_10device_ptrIyEEEEPS6_SG_NS0_5tupleIJSF_SF_EEENSH_IJSG_SG_EEES6_PlJ7is_evenIyEEEE10hipError_tPvRmT3_T4_T5_T6_T7_T9_mT8_P12ihipStream_tbDpT10_ENKUlT_T0_E_clISt17integral_constantIbLb1EES16_EEDaS11_S12_EUlS11_E_NS1_11comp_targetILNS1_3genE4ELNS1_11target_archE910ELNS1_3gpuE8ELNS1_3repE0EEENS1_30default_config_static_selectorELNS0_4arch9wavefront6targetE1EEEvT1_: ; @_ZN7rocprim17ROCPRIM_400000_NS6detail17trampoline_kernelINS0_14default_configENS1_25partition_config_selectorILNS1_17partition_subalgoE0EyNS0_10empty_typeEbEEZZNS1_14partition_implILS5_0ELb0ES3_jN6thrust23THRUST_200600_302600_NS6detail15normal_iteratorINSA_10device_ptrIyEEEEPS6_SG_NS0_5tupleIJSF_SF_EEENSH_IJSG_SG_EEES6_PlJ7is_evenIyEEEE10hipError_tPvRmT3_T4_T5_T6_T7_T9_mT8_P12ihipStream_tbDpT10_ENKUlT_T0_E_clISt17integral_constantIbLb1EES16_EEDaS11_S12_EUlS11_E_NS1_11comp_targetILNS1_3genE4ELNS1_11target_archE910ELNS1_3gpuE8ELNS1_3repE0EEENS1_30default_config_static_selectorELNS0_4arch9wavefront6targetE1EEEvT1_
; %bb.0:
	s_load_dwordx2 s[2:3], s[4:5], 0x58
	s_load_dwordx4 s[20:23], s[4:5], 0x48
	s_load_dwordx2 s[34:35], s[4:5], 0x68
	v_cmp_eq_u32_e64 s[0:1], 0, v0
	s_and_saveexec_b64 s[6:7], s[0:1]
	s_cbranch_execz .LBB2114_4
; %bb.1:
	s_mov_b64 s[10:11], exec
	v_mbcnt_lo_u32_b32 v1, s10, 0
	v_mbcnt_hi_u32_b32 v1, s11, v1
	v_cmp_eq_u32_e32 vcc, 0, v1
                                        ; implicit-def: $vgpr2
	s_and_saveexec_b64 s[8:9], vcc
	s_cbranch_execz .LBB2114_3
; %bb.2:
	s_load_dwordx2 s[12:13], s[4:5], 0x78
	s_bcnt1_i32_b64 s10, s[10:11]
	v_mov_b32_e32 v2, 0
	v_mov_b32_e32 v3, s10
	s_waitcnt lgkmcnt(0)
	global_atomic_add v2, v2, v3, s[12:13] glc
.LBB2114_3:
	s_or_b64 exec, exec, s[8:9]
	s_waitcnt vmcnt(0)
	v_readfirstlane_b32 s8, v2
	v_add_u32_e32 v1, s8, v1
	v_mov_b32_e32 v2, 0
	ds_write_b32 v2, v1
.LBB2114_4:
	s_or_b64 exec, exec, s[6:7]
	v_mov_b32_e32 v3, 0
	s_load_dwordx4 s[28:31], s[4:5], 0x8
	s_load_dwordx4 s[24:27], s[4:5], 0x28
	s_load_dword s6, s[4:5], 0x70
	s_waitcnt lgkmcnt(0)
	s_barrier
	ds_read_b32 v1, v3
	s_waitcnt lgkmcnt(0)
	s_barrier
	global_load_dwordx2 v[10:11], v3, s[22:23]
	v_mov_b32_e32 v5, s3
	s_lshl_b64 s[4:5], s[30:31], 3
	s_movk_i32 s3, 0x300
	s_add_u32 s7, s28, s4
	v_mul_lo_u32 v2, v1, s3
	s_mul_i32 s3, s6, 0x300
	s_addc_u32 s8, s29, s5
	s_add_i32 s5, s3, s30
	s_sub_i32 s33, s2, s5
	s_add_i32 s4, s6, -1
	s_addk_i32 s33, 0x300
	v_mov_b32_e32 v4, s2
	s_add_u32 s2, s30, s3
	v_readfirstlane_b32 s40, v1
	s_addc_u32 s3, s31, 0
	s_cmp_eq_u32 s40, s4
	s_cselect_b64 s[22:23], -1, 0
	s_cmp_lg_u32 s40, s4
	v_cmp_lt_u64_e32 vcc, s[2:3], v[4:5]
	s_cselect_b64 s[2:3], -1, 0
	v_lshlrev_b64 v[12:13], 3, v[2:3]
	s_or_b64 s[4:5], vcc, s[2:3]
	v_mov_b32_e32 v1, s8
	v_add_co_u32_e32 v15, vcc, s7, v12
	v_addc_co_u32_e32 v16, vcc, v1, v13, vcc
	s_mov_b64 s[2:3], -1
	s_and_b64 vcc, exec, s[4:5]
	v_lshlrev_b32_e32 v1, 3, v0
	v_lshrrev_b32_e32 v14, 2, v0
	s_cbranch_vccz .LBB2114_6
; %bb.5:
	v_add_co_u32_e32 v2, vcc, v15, v1
	v_addc_co_u32_e32 v3, vcc, 0, v16, vcc
	v_add_co_u32_e32 v4, vcc, 0x1000, v2
	v_addc_co_u32_e32 v5, vcc, 0, v3, vcc
	flat_load_dwordx2 v[6:7], v[2:3]
	flat_load_dwordx2 v[8:9], v[2:3] offset:1536
	flat_load_dwordx2 v[18:19], v[2:3] offset:3072
	;; [unrolled: 1-line block ×3, first 2 shown]
	v_add_u32_e32 v3, 0xc0, v0
	v_add_u32_e32 v4, 0x180, v0
	;; [unrolled: 1-line block ×3, first 2 shown]
	v_and_b32_e32 v2, 56, v14
	v_lshrrev_b32_e32 v3, 2, v3
	v_lshrrev_b32_e32 v4, 2, v4
	;; [unrolled: 1-line block ×3, first 2 shown]
	v_add_u32_e32 v2, v2, v1
	v_and_b32_e32 v3, 0x78, v3
	v_and_b32_e32 v4, 0xf8, v4
	;; [unrolled: 1-line block ×3, first 2 shown]
	v_add_u32_e32 v3, v3, v1
	v_add_u32_e32 v4, v4, v1
	;; [unrolled: 1-line block ×3, first 2 shown]
	s_mov_b64 s[2:3], 0
	s_waitcnt vmcnt(0) lgkmcnt(0)
	ds_write_b64 v2, v[6:7]
	ds_write_b64 v3, v[8:9] offset:1536
	ds_write_b64 v4, v[18:19] offset:3072
	;; [unrolled: 1-line block ×3, first 2 shown]
	s_waitcnt lgkmcnt(0)
	s_barrier
.LBB2114_6:
	s_andn2_b64 vcc, exec, s[2:3]
	v_cmp_gt_u32_e64 s[2:3], s33, v0
	s_cbranch_vccnz .LBB2114_16
; %bb.7:
                                        ; implicit-def: $vgpr2_vgpr3_vgpr4_vgpr5_vgpr6_vgpr7_vgpr8_vgpr9
	s_and_saveexec_b64 s[6:7], s[2:3]
	s_cbranch_execz .LBB2114_9
; %bb.8:
	v_add_co_u32_e32 v2, vcc, v15, v1
	v_addc_co_u32_e32 v3, vcc, 0, v16, vcc
	flat_load_dwordx2 v[2:3], v[2:3]
.LBB2114_9:
	s_or_b64 exec, exec, s[6:7]
	v_add_u32_e32 v17, 0xc0, v0
	v_cmp_gt_u32_e32 vcc, s33, v17
	s_and_saveexec_b64 s[2:3], vcc
	s_cbranch_execz .LBB2114_11
; %bb.10:
	v_add_co_u32_e32 v4, vcc, v15, v1
	v_addc_co_u32_e32 v5, vcc, 0, v16, vcc
	flat_load_dwordx2 v[4:5], v[4:5] offset:1536
.LBB2114_11:
	s_or_b64 exec, exec, s[2:3]
	v_add_u32_e32 v18, 0x180, v0
	v_cmp_gt_u32_e32 vcc, s33, v18
	s_and_saveexec_b64 s[2:3], vcc
	s_cbranch_execz .LBB2114_13
; %bb.12:
	v_add_co_u32_e32 v6, vcc, v15, v1
	v_addc_co_u32_e32 v7, vcc, 0, v16, vcc
	flat_load_dwordx2 v[6:7], v[6:7] offset:3072
.LBB2114_13:
	s_or_b64 exec, exec, s[2:3]
	v_add_u32_e32 v19, 0x240, v0
	v_cmp_gt_u32_e32 vcc, s33, v19
	s_and_saveexec_b64 s[2:3], vcc
	s_cbranch_execz .LBB2114_15
; %bb.14:
	v_lshlrev_b32_e32 v8, 3, v19
	v_add_co_u32_e32 v8, vcc, v15, v8
	v_addc_co_u32_e32 v9, vcc, 0, v16, vcc
	flat_load_dwordx2 v[8:9], v[8:9]
.LBB2114_15:
	s_or_b64 exec, exec, s[2:3]
	v_and_b32_e32 v14, 56, v14
	v_add_u32_e32 v14, v14, v1
	s_waitcnt vmcnt(0) lgkmcnt(0)
	ds_write_b64 v14, v[2:3]
	v_lshrrev_b32_e32 v2, 2, v17
	v_and_b32_e32 v2, 0x78, v2
	v_add_u32_e32 v2, v2, v1
	ds_write_b64 v2, v[4:5] offset:1536
	v_lshrrev_b32_e32 v2, 2, v18
	v_and_b32_e32 v2, 0xf8, v2
	v_add_u32_e32 v2, v2, v1
	ds_write_b64 v2, v[6:7] offset:3072
	;; [unrolled: 4-line block ×3, first 2 shown]
	s_waitcnt lgkmcnt(0)
	s_barrier
.LBB2114_16:
	v_lshlrev_b32_e32 v24, 2, v0
	v_lshrrev_b32_e32 v2, 3, v0
	v_add_lshl_u32 v2, v2, v24, 3
	ds_read2_b64 v[6:9], v2 offset1:1
	ds_read2_b64 v[2:5], v2 offset0:2 offset1:3
	v_cndmask_b32_e64 v14, 0, 1, s[4:5]
	v_cmp_ne_u32_e64 s[2:3], 1, v14
	s_andn2_b64 vcc, exec, s[4:5]
	s_waitcnt lgkmcnt(1)
	v_xor_b32_e32 v17, -1, v6
	v_xor_b32_e32 v16, -1, v8
	s_waitcnt lgkmcnt(0)
	v_xor_b32_e32 v15, -1, v2
	v_xor_b32_e32 v14, -1, v4
	s_barrier
	s_cbranch_vccnz .LBB2114_18
; %bb.17:
	v_mov_b32_e32 v19, 1
	v_and_b32_e32 v18, 1, v17
	v_and_b32_sdwa v20, v16, v19 dst_sel:BYTE_1 dst_unused:UNUSED_PAD src0_sel:DWORD src1_sel:DWORD
	v_and_b32_e32 v21, 1, v15
	v_and_b32_sdwa v19, v14, v19 dst_sel:BYTE_1 dst_unused:UNUSED_PAD src0_sel:DWORD src1_sel:DWORD
	v_or_b32_e32 v18, v18, v20
	v_or_b32_sdwa v19, v21, v19 dst_sel:WORD_1 dst_unused:UNUSED_PAD src0_sel:DWORD src1_sel:DWORD
	v_or_b32_sdwa v25, v18, v19 dst_sel:DWORD dst_unused:UNUSED_PAD src0_sel:WORD_0 src1_sel:DWORD
	s_cbranch_execz .LBB2114_19
	s_branch .LBB2114_20
.LBB2114_18:
                                        ; implicit-def: $vgpr25
.LBB2114_19:
	v_cmp_gt_u32_e32 vcc, s33, v24
	v_cndmask_b32_e64 v18, 0, 1, vcc
	v_and_b32_e32 v17, v18, v17
	v_or_b32_e32 v18, 1, v24
	v_cmp_gt_u32_e32 vcc, s33, v18
	v_cndmask_b32_e64 v18, 0, 1, vcc
	v_and_b32_sdwa v16, v18, v16 dst_sel:BYTE_1 dst_unused:UNUSED_PAD src0_sel:DWORD src1_sel:DWORD
	v_or_b32_e32 v18, 2, v24
	v_cmp_gt_u32_e32 vcc, s33, v18
	v_cndmask_b32_e64 v18, 0, 1, vcc
	v_and_b32_e32 v15, v18, v15
	v_or_b32_e32 v18, 3, v24
	v_cmp_gt_u32_e32 vcc, s33, v18
	v_cndmask_b32_e64 v18, 0, 1, vcc
	v_and_b32_sdwa v14, v18, v14 dst_sel:BYTE_1 dst_unused:UNUSED_PAD src0_sel:DWORD src1_sel:DWORD
	v_or_b32_e32 v16, v17, v16
	v_or_b32_sdwa v14, v15, v14 dst_sel:WORD_1 dst_unused:UNUSED_PAD src0_sel:DWORD src1_sel:DWORD
	v_or_b32_sdwa v25, v16, v14 dst_sel:DWORD dst_unused:UNUSED_PAD src0_sel:WORD_0 src1_sel:DWORD
.LBB2114_20:
	v_bfe_u32 v27, v25, 16, 8
	v_lshrrev_b32_e32 v26, 24, v25
	v_add_u32_sdwa v14, v25, v25 dst_sel:DWORD dst_unused:UNUSED_PAD src0_sel:BYTE_1 src1_sel:BYTE_0
	v_add3_u32 v30, v14, v27, v26
	v_mbcnt_lo_u32_b32 v14, -1, 0
	v_mbcnt_hi_u32_b32 v28, -1, v14
	v_and_b32_e32 v14, 15, v28
	v_cmp_eq_u32_e64 s[16:17], 0, v14
	v_cmp_lt_u32_e64 s[14:15], 1, v14
	v_cmp_lt_u32_e64 s[12:13], 3, v14
	;; [unrolled: 1-line block ×3, first 2 shown]
	v_and_b32_e32 v14, 16, v28
	v_cmp_eq_u32_e64 s[6:7], 0, v14
	v_and_b32_e32 v14, 0xc0, v0
	v_min_u32_e32 v14, 0x80, v14
	v_or_b32_e32 v14, 63, v14
	s_cmp_lg_u32 s40, 0
	v_cmp_lt_u32_e64 s[4:5], 31, v28
	v_lshrrev_b32_e32 v29, 6, v0
	v_cmp_eq_u32_e64 s[8:9], v14, v0
	s_cbranch_scc0 .LBB2114_51
; %bb.21:
	v_mov_b32_dpp v14, v30 row_shr:1 row_mask:0xf bank_mask:0xf
	v_cndmask_b32_e64 v14, v14, 0, s[16:17]
	v_add_u32_e32 v14, v14, v30
	s_nop 1
	v_mov_b32_dpp v15, v14 row_shr:2 row_mask:0xf bank_mask:0xf
	v_cndmask_b32_e64 v15, 0, v15, s[14:15]
	v_add_u32_e32 v14, v14, v15
	s_nop 1
	;; [unrolled: 4-line block ×4, first 2 shown]
	v_mov_b32_dpp v15, v14 row_bcast:15 row_mask:0xf bank_mask:0xf
	v_cndmask_b32_e64 v15, v15, 0, s[6:7]
	v_add_u32_e32 v14, v14, v15
	s_nop 1
	v_mov_b32_dpp v15, v14 row_bcast:31 row_mask:0xf bank_mask:0xf
	v_cndmask_b32_e64 v15, 0, v15, s[4:5]
	v_add_u32_e32 v14, v14, v15
	s_and_saveexec_b64 s[18:19], s[8:9]
	s_cbranch_execz .LBB2114_23
; %bb.22:
	v_lshlrev_b32_e32 v15, 2, v29
	ds_write_b32 v15, v14
.LBB2114_23:
	s_or_b64 exec, exec, s[18:19]
	v_cmp_gt_u32_e32 vcc, 3, v0
	s_waitcnt lgkmcnt(0)
	s_barrier
	s_and_saveexec_b64 s[18:19], vcc
	s_cbranch_execz .LBB2114_25
; %bb.24:
	ds_read_b32 v15, v24
	v_and_b32_e32 v16, 3, v28
	v_cmp_ne_u32_e32 vcc, 0, v16
	s_waitcnt lgkmcnt(0)
	v_mov_b32_dpp v17, v15 row_shr:1 row_mask:0xf bank_mask:0xf
	v_cndmask_b32_e32 v17, 0, v17, vcc
	v_add_u32_e32 v15, v17, v15
	v_cmp_lt_u32_e32 vcc, 1, v16
	s_nop 0
	v_mov_b32_dpp v17, v15 row_shr:2 row_mask:0xf bank_mask:0xf
	v_cndmask_b32_e32 v16, 0, v17, vcc
	v_add_u32_e32 v15, v15, v16
	ds_write_b32 v24, v15
.LBB2114_25:
	s_or_b64 exec, exec, s[18:19]
	v_cmp_gt_u32_e32 vcc, 64, v0
	v_cmp_lt_u32_e64 s[18:19], 63, v0
	s_waitcnt lgkmcnt(0)
	s_barrier
	s_waitcnt lgkmcnt(0)
                                        ; implicit-def: $vgpr31
	s_and_saveexec_b64 s[28:29], s[18:19]
	s_cbranch_execz .LBB2114_27
; %bb.26:
	v_lshl_add_u32 v15, v29, 2, -4
	ds_read_b32 v31, v15
	s_waitcnt lgkmcnt(0)
	v_add_u32_e32 v14, v31, v14
.LBB2114_27:
	s_or_b64 exec, exec, s[28:29]
	v_add_u32_e32 v15, -1, v28
	v_and_b32_e32 v16, 64, v28
	v_cmp_lt_i32_e64 s[18:19], v15, v16
	v_cndmask_b32_e64 v15, v15, v28, s[18:19]
	v_lshlrev_b32_e32 v15, 2, v15
	ds_bpermute_b32 v32, v15, v14
	v_cmp_eq_u32_e64 s[18:19], 0, v28
	s_and_saveexec_b64 s[28:29], vcc
	s_cbranch_execz .LBB2114_50
; %bb.28:
	v_mov_b32_e32 v23, 0
	ds_read_b32 v14, v23 offset:8
	s_and_saveexec_b64 s[36:37], s[18:19]
	s_cbranch_execz .LBB2114_30
; %bb.29:
	s_add_i32 s38, s40, 64
	s_mov_b32 s39, 0
	s_lshl_b64 s[38:39], s[38:39], 3
	s_add_u32 s38, s34, s38
	v_mov_b32_e32 v15, 1
	s_addc_u32 s39, s35, s39
	s_waitcnt lgkmcnt(0)
	global_store_dwordx2 v23, v[14:15], s[38:39]
.LBB2114_30:
	s_or_b64 exec, exec, s[36:37]
	v_xad_u32 v16, v28, -1, s40
	v_add_u32_e32 v22, 64, v16
	v_lshlrev_b64 v[18:19], 3, v[22:23]
	v_mov_b32_e32 v15, s35
	v_add_co_u32_e32 v18, vcc, s34, v18
	v_addc_co_u32_e32 v19, vcc, v15, v19, vcc
	global_load_dwordx2 v[20:21], v[18:19], off glc
	s_waitcnt vmcnt(0)
	v_cmp_eq_u16_sdwa s[38:39], v21, v23 src0_sel:BYTE_0 src1_sel:DWORD
	s_and_saveexec_b64 s[36:37], s[38:39]
	s_cbranch_execz .LBB2114_36
; %bb.31:
	s_mov_b32 s41, 1
	s_mov_b64 s[38:39], 0
	v_mov_b32_e32 v15, 0
.LBB2114_32:                            ; =>This Loop Header: Depth=1
                                        ;     Child Loop BB2114_33 Depth 2
	s_max_u32 s42, s41, 1
.LBB2114_33:                            ;   Parent Loop BB2114_32 Depth=1
                                        ; =>  This Inner Loop Header: Depth=2
	s_add_i32 s42, s42, -1
	s_cmp_eq_u32 s42, 0
	s_sleep 1
	s_cbranch_scc0 .LBB2114_33
; %bb.34:                               ;   in Loop: Header=BB2114_32 Depth=1
	global_load_dwordx2 v[20:21], v[18:19], off glc
	s_cmp_lt_u32 s41, 32
	s_cselect_b64 s[42:43], -1, 0
	s_cmp_lg_u64 s[42:43], 0
	s_addc_u32 s41, s41, 0
	s_waitcnt vmcnt(0)
	v_cmp_ne_u16_sdwa s[42:43], v21, v15 src0_sel:BYTE_0 src1_sel:DWORD
	s_or_b64 s[38:39], s[42:43], s[38:39]
	s_andn2_b64 exec, exec, s[38:39]
	s_cbranch_execnz .LBB2114_32
; %bb.35:
	s_or_b64 exec, exec, s[38:39]
.LBB2114_36:
	s_or_b64 exec, exec, s[36:37]
	v_and_b32_e32 v34, 63, v28
	v_mov_b32_e32 v33, 2
	v_cmp_ne_u32_e32 vcc, 63, v34
	v_cmp_eq_u16_sdwa s[36:37], v21, v33 src0_sel:BYTE_0 src1_sel:DWORD
	v_lshlrev_b64 v[18:19], v28, -1
	v_addc_co_u32_e32 v22, vcc, 0, v28, vcc
	v_and_b32_e32 v15, s37, v19
	v_lshlrev_b32_e32 v35, 2, v22
	v_or_b32_e32 v15, 0x80000000, v15
	ds_bpermute_b32 v22, v35, v20
	v_and_b32_e32 v17, s36, v18
	v_ffbl_b32_e32 v15, v15
	v_add_u32_e32 v15, 32, v15
	v_ffbl_b32_e32 v17, v17
	v_min_u32_e32 v15, v17, v15
	v_cmp_lt_u32_e32 vcc, v34, v15
	s_waitcnt lgkmcnt(0)
	v_cndmask_b32_e32 v17, 0, v22, vcc
	v_cmp_gt_u32_e32 vcc, 62, v34
	v_add_u32_e32 v17, v17, v20
	v_cndmask_b32_e64 v20, 0, 1, vcc
	v_lshlrev_b32_e32 v20, 1, v20
	v_add_lshl_u32 v36, v20, v28, 2
	ds_bpermute_b32 v20, v36, v17
	v_add_u32_e32 v37, 2, v34
	v_cmp_le_u32_e32 vcc, v37, v15
	v_add_u32_e32 v39, 4, v34
	v_add_u32_e32 v41, 8, v34
	s_waitcnt lgkmcnt(0)
	v_cndmask_b32_e32 v20, 0, v20, vcc
	v_cmp_gt_u32_e32 vcc, 60, v34
	v_add_u32_e32 v17, v17, v20
	v_cndmask_b32_e64 v20, 0, 1, vcc
	v_lshlrev_b32_e32 v20, 2, v20
	v_add_lshl_u32 v38, v20, v28, 2
	ds_bpermute_b32 v20, v38, v17
	v_cmp_le_u32_e32 vcc, v39, v15
	v_add_u32_e32 v43, 16, v34
	v_add_u32_e32 v45, 32, v34
	s_waitcnt lgkmcnt(0)
	v_cndmask_b32_e32 v20, 0, v20, vcc
	v_cmp_gt_u32_e32 vcc, 56, v34
	v_add_u32_e32 v17, v17, v20
	v_cndmask_b32_e64 v20, 0, 1, vcc
	v_lshlrev_b32_e32 v20, 3, v20
	v_add_lshl_u32 v40, v20, v28, 2
	ds_bpermute_b32 v20, v40, v17
	v_cmp_le_u32_e32 vcc, v41, v15
	s_waitcnt lgkmcnt(0)
	v_cndmask_b32_e32 v20, 0, v20, vcc
	v_cmp_gt_u32_e32 vcc, 48, v34
	v_add_u32_e32 v17, v17, v20
	v_cndmask_b32_e64 v20, 0, 1, vcc
	v_lshlrev_b32_e32 v20, 4, v20
	v_add_lshl_u32 v42, v20, v28, 2
	ds_bpermute_b32 v20, v42, v17
	v_cmp_le_u32_e32 vcc, v43, v15
	;; [unrolled: 9-line block ×3, first 2 shown]
	s_waitcnt lgkmcnt(0)
	v_cndmask_b32_e32 v15, 0, v20, vcc
	v_add_u32_e32 v20, v17, v15
	v_mov_b32_e32 v17, 0
	s_branch .LBB2114_38
.LBB2114_37:                            ;   in Loop: Header=BB2114_38 Depth=1
	s_or_b64 exec, exec, s[36:37]
	v_cmp_eq_u16_sdwa s[36:37], v21, v33 src0_sel:BYTE_0 src1_sel:DWORD
	v_and_b32_e32 v22, s37, v19
	v_or_b32_e32 v22, 0x80000000, v22
	ds_bpermute_b32 v46, v35, v20
	v_and_b32_e32 v23, s36, v18
	v_ffbl_b32_e32 v22, v22
	v_add_u32_e32 v22, 32, v22
	v_ffbl_b32_e32 v23, v23
	v_min_u32_e32 v22, v23, v22
	v_cmp_lt_u32_e32 vcc, v34, v22
	s_waitcnt lgkmcnt(0)
	v_cndmask_b32_e32 v23, 0, v46, vcc
	v_add_u32_e32 v20, v23, v20
	ds_bpermute_b32 v23, v36, v20
	v_cmp_le_u32_e32 vcc, v37, v22
	v_subrev_u32_e32 v16, 64, v16
	s_waitcnt lgkmcnt(0)
	v_cndmask_b32_e32 v23, 0, v23, vcc
	v_add_u32_e32 v20, v20, v23
	ds_bpermute_b32 v23, v38, v20
	v_cmp_le_u32_e32 vcc, v39, v22
	s_waitcnt lgkmcnt(0)
	v_cndmask_b32_e32 v23, 0, v23, vcc
	v_add_u32_e32 v20, v20, v23
	ds_bpermute_b32 v23, v40, v20
	v_cmp_le_u32_e32 vcc, v41, v22
	;; [unrolled: 5-line block ×4, first 2 shown]
	s_waitcnt lgkmcnt(0)
	v_cndmask_b32_e32 v22, 0, v23, vcc
	v_add3_u32 v20, v22, v15, v20
.LBB2114_38:                            ; =>This Loop Header: Depth=1
                                        ;     Child Loop BB2114_41 Depth 2
                                        ;       Child Loop BB2114_42 Depth 3
	v_cmp_ne_u16_sdwa s[36:37], v21, v33 src0_sel:BYTE_0 src1_sel:DWORD
	v_cndmask_b32_e64 v15, 0, 1, s[36:37]
	;;#ASMSTART
	;;#ASMEND
	v_cmp_ne_u32_e32 vcc, 0, v15
	s_cmp_lg_u64 vcc, exec
	v_mov_b32_e32 v15, v20
	s_cbranch_scc1 .LBB2114_45
; %bb.39:                               ;   in Loop: Header=BB2114_38 Depth=1
	v_lshlrev_b64 v[20:21], 3, v[16:17]
	v_mov_b32_e32 v23, s35
	v_add_co_u32_e32 v22, vcc, s34, v20
	v_addc_co_u32_e32 v23, vcc, v23, v21, vcc
	global_load_dwordx2 v[20:21], v[22:23], off glc
	s_waitcnt vmcnt(0)
	v_cmp_eq_u16_sdwa s[38:39], v21, v17 src0_sel:BYTE_0 src1_sel:DWORD
	s_and_saveexec_b64 s[36:37], s[38:39]
	s_cbranch_execz .LBB2114_37
; %bb.40:                               ;   in Loop: Header=BB2114_38 Depth=1
	s_mov_b32 s41, 1
	s_mov_b64 s[38:39], 0
.LBB2114_41:                            ;   Parent Loop BB2114_38 Depth=1
                                        ; =>  This Loop Header: Depth=2
                                        ;       Child Loop BB2114_42 Depth 3
	s_max_u32 s42, s41, 1
.LBB2114_42:                            ;   Parent Loop BB2114_38 Depth=1
                                        ;     Parent Loop BB2114_41 Depth=2
                                        ; =>    This Inner Loop Header: Depth=3
	s_add_i32 s42, s42, -1
	s_cmp_eq_u32 s42, 0
	s_sleep 1
	s_cbranch_scc0 .LBB2114_42
; %bb.43:                               ;   in Loop: Header=BB2114_41 Depth=2
	global_load_dwordx2 v[20:21], v[22:23], off glc
	s_cmp_lt_u32 s41, 32
	s_cselect_b64 s[42:43], -1, 0
	s_cmp_lg_u64 s[42:43], 0
	s_addc_u32 s41, s41, 0
	s_waitcnt vmcnt(0)
	v_cmp_ne_u16_sdwa s[42:43], v21, v17 src0_sel:BYTE_0 src1_sel:DWORD
	s_or_b64 s[38:39], s[42:43], s[38:39]
	s_andn2_b64 exec, exec, s[38:39]
	s_cbranch_execnz .LBB2114_41
; %bb.44:                               ;   in Loop: Header=BB2114_38 Depth=1
	s_or_b64 exec, exec, s[38:39]
	s_branch .LBB2114_37
.LBB2114_45:                            ;   in Loop: Header=BB2114_38 Depth=1
                                        ; implicit-def: $vgpr20
                                        ; implicit-def: $vgpr21
	s_cbranch_execz .LBB2114_38
; %bb.46:
	s_and_saveexec_b64 s[36:37], s[18:19]
	s_cbranch_execz .LBB2114_48
; %bb.47:
	s_add_i32 s38, s40, 64
	s_mov_b32 s39, 0
	s_lshl_b64 s[38:39], s[38:39], 3
	s_add_u32 s38, s34, s38
	v_add_u32_e32 v16, v15, v14
	v_mov_b32_e32 v17, 2
	s_addc_u32 s39, s35, s39
	v_mov_b32_e32 v18, 0
	global_store_dwordx2 v18, v[16:17], s[38:39]
	ds_write_b64 v18, v[14:15] offset:6336
.LBB2114_48:
	s_or_b64 exec, exec, s[36:37]
	s_and_b64 exec, exec, s[0:1]
	s_cbranch_execz .LBB2114_50
; %bb.49:
	v_mov_b32_e32 v14, 0
	ds_write_b32 v14, v15 offset:8
.LBB2114_50:
	s_or_b64 exec, exec, s[28:29]
	v_mov_b32_e32 v14, 0
	s_waitcnt lgkmcnt(0)
	s_barrier
	ds_read_b32 v15, v14 offset:8
	v_cndmask_b32_e64 v16, v32, v31, s[18:19]
	v_cndmask_b32_e64 v16, v16, 0, s[0:1]
	s_waitcnt lgkmcnt(0)
	s_barrier
	v_add_u32_e32 v18, v15, v16
	ds_read_b64 v[14:15], v14 offset:6336
	v_add_u32_sdwa v19, v18, v25 dst_sel:DWORD dst_unused:UNUSED_PAD src0_sel:DWORD src1_sel:BYTE_0
	v_add_u32_sdwa v17, v19, v25 dst_sel:DWORD dst_unused:UNUSED_PAD src0_sel:DWORD src1_sel:BYTE_1
	v_add_u32_e32 v16, v17, v27
	s_branch .LBB2114_61
.LBB2114_51:
                                        ; implicit-def: $vgpr15
                                        ; implicit-def: $vgpr16
                                        ; implicit-def: $vgpr17
                                        ; implicit-def: $vgpr19
                                        ; implicit-def: $vgpr18
	s_cbranch_execz .LBB2114_61
; %bb.52:
	s_waitcnt lgkmcnt(0)
	v_mov_b32_dpp v14, v30 row_shr:1 row_mask:0xf bank_mask:0xf
	v_cndmask_b32_e64 v14, v14, 0, s[16:17]
	v_add_u32_e32 v14, v14, v30
	s_nop 1
	v_mov_b32_dpp v15, v14 row_shr:2 row_mask:0xf bank_mask:0xf
	v_cndmask_b32_e64 v15, 0, v15, s[14:15]
	v_add_u32_e32 v14, v14, v15
	s_nop 1
	;; [unrolled: 4-line block ×4, first 2 shown]
	v_mov_b32_dpp v15, v14 row_bcast:15 row_mask:0xf bank_mask:0xf
	v_cndmask_b32_e64 v15, v15, 0, s[6:7]
	v_add_u32_e32 v14, v14, v15
	s_nop 1
	v_mov_b32_dpp v15, v14 row_bcast:31 row_mask:0xf bank_mask:0xf
	v_cndmask_b32_e64 v15, 0, v15, s[4:5]
	v_add_u32_e32 v14, v14, v15
	s_and_saveexec_b64 s[4:5], s[8:9]
	s_cbranch_execz .LBB2114_54
; %bb.53:
	v_lshlrev_b32_e32 v15, 2, v29
	ds_write_b32 v15, v14
.LBB2114_54:
	s_or_b64 exec, exec, s[4:5]
	v_cmp_gt_u32_e32 vcc, 3, v0
	s_waitcnt lgkmcnt(0)
	s_barrier
	s_and_saveexec_b64 s[4:5], vcc
	s_cbranch_execz .LBB2114_56
; %bb.55:
	ds_read_b32 v15, v24
	v_and_b32_e32 v16, 3, v28
	v_cmp_ne_u32_e32 vcc, 0, v16
	s_waitcnt lgkmcnt(0)
	v_mov_b32_dpp v17, v15 row_shr:1 row_mask:0xf bank_mask:0xf
	v_cndmask_b32_e32 v17, 0, v17, vcc
	v_add_u32_e32 v15, v17, v15
	v_cmp_lt_u32_e32 vcc, 1, v16
	s_nop 0
	v_mov_b32_dpp v17, v15 row_shr:2 row_mask:0xf bank_mask:0xf
	v_cndmask_b32_e32 v16, 0, v17, vcc
	v_add_u32_e32 v15, v15, v16
	ds_write_b32 v24, v15
.LBB2114_56:
	s_or_b64 exec, exec, s[4:5]
	v_cmp_lt_u32_e32 vcc, 63, v0
	v_mov_b32_e32 v15, 0
	v_mov_b32_e32 v16, 0
	s_waitcnt lgkmcnt(0)
	s_barrier
	s_and_saveexec_b64 s[4:5], vcc
	s_cbranch_execz .LBB2114_58
; %bb.57:
	v_lshl_add_u32 v16, v29, 2, -4
	ds_read_b32 v16, v16
.LBB2114_58:
	s_or_b64 exec, exec, s[4:5]
	v_add_u32_e32 v17, -1, v28
	v_and_b32_e32 v18, 64, v28
	v_cmp_lt_i32_e32 vcc, v17, v18
	v_cndmask_b32_e32 v17, v17, v28, vcc
	s_waitcnt lgkmcnt(0)
	v_add_u32_e32 v14, v16, v14
	v_lshlrev_b32_e32 v17, 2, v17
	ds_bpermute_b32 v17, v17, v14
	ds_read_b32 v14, v15 offset:8
	s_and_saveexec_b64 s[4:5], s[0:1]
	s_cbranch_execz .LBB2114_60
; %bb.59:
	v_mov_b32_e32 v18, 0
	v_mov_b32_e32 v15, 2
	s_waitcnt lgkmcnt(0)
	global_store_dwordx2 v18, v[14:15], s[34:35] offset:512
.LBB2114_60:
	s_or_b64 exec, exec, s[4:5]
	v_cmp_eq_u32_e32 vcc, 0, v28
	s_waitcnt lgkmcnt(1)
	v_cndmask_b32_e32 v16, v17, v16, vcc
	v_cndmask_b32_e64 v18, v16, 0, s[0:1]
	v_add_u32_sdwa v19, v18, v25 dst_sel:DWORD dst_unused:UNUSED_PAD src0_sel:DWORD src1_sel:BYTE_0
	v_add_u32_sdwa v17, v19, v25 dst_sel:DWORD dst_unused:UNUSED_PAD src0_sel:DWORD src1_sel:BYTE_1
	v_mov_b32_e32 v15, 0
	v_add_u32_e32 v16, v17, v27
	s_waitcnt lgkmcnt(0)
	s_barrier
.LBB2114_61:
	s_waitcnt lgkmcnt(0)
	v_add_u32_e32 v21, v14, v24
	v_sub_u32_e32 v18, v18, v15
	v_and_b32_e32 v23, 1, v25
	v_sub_u32_e32 v22, v21, v18
	v_cmp_eq_u32_e32 vcc, 1, v23
	v_cndmask_b32_e32 v18, v22, v18, vcc
	v_lshlrev_b32_e32 v18, 3, v18
	v_lshrrev_b32_e32 v20, 8, v25
	ds_write_b64 v18, v[6:7]
	v_sub_u32_e32 v6, v19, v15
	v_sub_u32_e32 v7, v21, v6
	v_and_b32_e32 v18, 1, v20
	v_add_u32_e32 v7, 1, v7
	v_cmp_eq_u32_e32 vcc, 1, v18
	v_cndmask_b32_e32 v6, v7, v6, vcc
	v_lshlrev_b32_e32 v6, 3, v6
	ds_write_b64 v6, v[8:9]
	v_sub_u32_e32 v6, v17, v15
	v_mov_b32_e32 v8, 1
	v_sub_u32_e32 v7, v21, v6
	v_and_b32_sdwa v8, v8, v25 dst_sel:DWORD dst_unused:UNUSED_PAD src0_sel:DWORD src1_sel:WORD_1
	v_add_u32_e32 v7, 2, v7
	v_cmp_eq_u32_e32 vcc, 1, v8
	v_cndmask_b32_e32 v6, v7, v6, vcc
	v_lshlrev_b32_e32 v6, 3, v6
	ds_write_b64 v6, v[2:3]
	v_sub_u32_e32 v2, v16, v15
	v_sub_u32_e32 v3, v21, v2
	v_and_b32_e32 v6, 1, v26
	v_add_u32_e32 v3, 3, v3
	v_cmp_eq_u32_e32 vcc, 1, v6
	v_cndmask_b32_e32 v2, v3, v2, vcc
	s_waitcnt vmcnt(0)
	v_add_co_u32_e32 v20, vcc, v10, v15
	v_addc_co_u32_e32 v21, vcc, 0, v11, vcc
	v_add_co_u32_e32 v10, vcc, v20, v14
	v_addc_co_u32_e32 v11, vcc, 0, v21, vcc
	v_mov_b32_e32 v15, s31
	v_sub_co_u32_e32 v22, vcc, s30, v10
	v_subb_co_u32_e32 v23, vcc, v15, v11, vcc
	v_lshlrev_b64 v[22:23], 3, v[22:23]
	v_lshlrev_b32_e32 v2, 3, v2
	v_mov_b32_e32 v15, s27
	v_add_co_u32_e32 v18, vcc, s26, v22
	ds_write_b64 v2, v[4:5]
	s_waitcnt lgkmcnt(0)
	s_barrier
	ds_read2st64_b64 v[6:9], v1 offset1:3
	ds_read2st64_b64 v[2:5], v1 offset0:6 offset1:9
	v_addc_co_u32_e32 v15, vcc, v15, v23, vcc
	v_add_co_u32_e32 v12, vcc, v18, v12
	v_addc_co_u32_e32 v13, vcc, v15, v13, vcc
	v_lshlrev_b64 v[20:21], 3, v[20:21]
	v_mov_b32_e32 v18, s25
	s_and_b64 vcc, exec, s[2:3]
	v_add_co_u32_e64 v15, s[2:3], s24, v20
	v_add_u32_e32 v19, 0xc0, v0
	v_add_u32_e32 v17, 0x180, v0
	;; [unrolled: 1-line block ×3, first 2 shown]
	v_addc_co_u32_e64 v18, s[2:3], v18, v21, s[2:3]
	s_cbranch_vccnz .LBB2114_63
; %bb.62:
	v_cmp_lt_u32_e32 vcc, v0, v14
	v_cndmask_b32_e32 v20, v12, v15, vcc
	v_cndmask_b32_e32 v21, v13, v18, vcc
	v_add_co_u32_e32 v20, vcc, v20, v1
	v_addc_co_u32_e32 v21, vcc, 0, v21, vcc
	v_cmp_lt_u32_e32 vcc, v19, v14
	s_waitcnt lgkmcnt(1)
	global_store_dwordx2 v[20:21], v[6:7], off
	v_cndmask_b32_e32 v20, v12, v15, vcc
	v_cndmask_b32_e32 v21, v13, v18, vcc
	v_add_co_u32_e32 v20, vcc, v20, v1
	v_addc_co_u32_e32 v21, vcc, 0, v21, vcc
	v_cmp_lt_u32_e32 vcc, v17, v14
	global_store_dwordx2 v[20:21], v[8:9], off offset:1536
	v_cndmask_b32_e32 v20, v12, v15, vcc
	v_cndmask_b32_e32 v21, v13, v18, vcc
	v_add_co_u32_e32 v20, vcc, v20, v1
	v_addc_co_u32_e32 v21, vcc, 0, v21, vcc
	s_mov_b64 s[2:3], -1
	s_waitcnt lgkmcnt(0)
	global_store_dwordx2 v[20:21], v[2:3], off offset:3072
	s_cbranch_execz .LBB2114_64
	s_branch .LBB2114_69
.LBB2114_63:
	s_mov_b64 s[2:3], 0
.LBB2114_64:
	v_cmp_gt_u32_e32 vcc, s33, v0
	s_and_saveexec_b64 s[2:3], vcc
	s_cbranch_execnz .LBB2114_74
; %bb.65:
	s_or_b64 exec, exec, s[2:3]
	v_cmp_gt_u32_e32 vcc, s33, v19
	s_and_saveexec_b64 s[2:3], vcc
	s_cbranch_execnz .LBB2114_75
.LBB2114_66:
	s_or_b64 exec, exec, s[2:3]
	v_cmp_gt_u32_e32 vcc, s33, v17
	s_and_saveexec_b64 s[2:3], vcc
	s_cbranch_execz .LBB2114_68
.LBB2114_67:
	v_cmp_lt_u32_e32 vcc, v17, v14
	v_cndmask_b32_e32 v0, v12, v15, vcc
	s_waitcnt lgkmcnt(1)
	v_cndmask_b32_e32 v6, v13, v18, vcc
	v_add_co_u32_e32 v0, vcc, v0, v1
	v_addc_co_u32_e32 v1, vcc, 0, v6, vcc
	s_waitcnt lgkmcnt(0)
	global_store_dwordx2 v[0:1], v[2:3], off offset:3072
.LBB2114_68:
	s_or_b64 exec, exec, s[2:3]
	v_cmp_gt_u32_e64 s[2:3], s33, v16
.LBB2114_69:
	s_and_saveexec_b64 s[4:5], s[2:3]
	s_cbranch_execnz .LBB2114_72
; %bb.70:
	s_or_b64 exec, exec, s[4:5]
	s_and_b64 s[0:1], s[0:1], s[22:23]
	s_and_saveexec_b64 s[2:3], s[0:1]
	s_cbranch_execnz .LBB2114_73
.LBB2114_71:
	s_endpgm
.LBB2114_72:
	v_cmp_lt_u32_e32 vcc, v16, v14
	v_cndmask_b32_e32 v0, v12, v15, vcc
	s_waitcnt lgkmcnt(0)
	v_lshlrev_b32_e32 v2, 3, v16
	v_cndmask_b32_e32 v1, v13, v18, vcc
	v_add_co_u32_e32 v0, vcc, v0, v2
	v_addc_co_u32_e32 v1, vcc, 0, v1, vcc
	global_store_dwordx2 v[0:1], v[4:5], off
	s_or_b64 exec, exec, s[4:5]
	s_and_b64 s[0:1], s[0:1], s[22:23]
	s_and_saveexec_b64 s[2:3], s[0:1]
	s_cbranch_execz .LBB2114_71
.LBB2114_73:
	v_mov_b32_e32 v0, 0
	global_store_dwordx2 v0, v[10:11], s[20:21]
	s_endpgm
.LBB2114_74:
	v_cmp_lt_u32_e32 vcc, v0, v14
	v_cndmask_b32_e32 v20, v12, v15, vcc
	v_cndmask_b32_e32 v0, v13, v18, vcc
	v_add_co_u32_e32 v20, vcc, v20, v1
	v_addc_co_u32_e32 v21, vcc, 0, v0, vcc
	s_waitcnt lgkmcnt(1)
	global_store_dwordx2 v[20:21], v[6:7], off
	s_or_b64 exec, exec, s[2:3]
	v_cmp_gt_u32_e32 vcc, s33, v19
	s_and_saveexec_b64 s[2:3], vcc
	s_cbranch_execz .LBB2114_66
.LBB2114_75:
	v_cmp_lt_u32_e32 vcc, v19, v14
	s_waitcnt lgkmcnt(1)
	v_cndmask_b32_e32 v6, v12, v15, vcc
	v_cndmask_b32_e32 v0, v13, v18, vcc
	v_add_co_u32_e32 v6, vcc, v6, v1
	v_addc_co_u32_e32 v7, vcc, 0, v0, vcc
	global_store_dwordx2 v[6:7], v[8:9], off offset:1536
	s_or_b64 exec, exec, s[2:3]
	v_cmp_gt_u32_e32 vcc, s33, v17
	s_and_saveexec_b64 s[2:3], vcc
	s_cbranch_execnz .LBB2114_67
	s_branch .LBB2114_68
	.section	.rodata,"a",@progbits
	.p2align	6, 0x0
	.amdhsa_kernel _ZN7rocprim17ROCPRIM_400000_NS6detail17trampoline_kernelINS0_14default_configENS1_25partition_config_selectorILNS1_17partition_subalgoE0EyNS0_10empty_typeEbEEZZNS1_14partition_implILS5_0ELb0ES3_jN6thrust23THRUST_200600_302600_NS6detail15normal_iteratorINSA_10device_ptrIyEEEEPS6_SG_NS0_5tupleIJSF_SF_EEENSH_IJSG_SG_EEES6_PlJ7is_evenIyEEEE10hipError_tPvRmT3_T4_T5_T6_T7_T9_mT8_P12ihipStream_tbDpT10_ENKUlT_T0_E_clISt17integral_constantIbLb1EES16_EEDaS11_S12_EUlS11_E_NS1_11comp_targetILNS1_3genE4ELNS1_11target_archE910ELNS1_3gpuE8ELNS1_3repE0EEENS1_30default_config_static_selectorELNS0_4arch9wavefront6targetE1EEEvT1_
		.amdhsa_group_segment_fixed_size 6344
		.amdhsa_private_segment_fixed_size 0
		.amdhsa_kernarg_size 136
		.amdhsa_user_sgpr_count 6
		.amdhsa_user_sgpr_private_segment_buffer 1
		.amdhsa_user_sgpr_dispatch_ptr 0
		.amdhsa_user_sgpr_queue_ptr 0
		.amdhsa_user_sgpr_kernarg_segment_ptr 1
		.amdhsa_user_sgpr_dispatch_id 0
		.amdhsa_user_sgpr_flat_scratch_init 0
		.amdhsa_user_sgpr_kernarg_preload_length 0
		.amdhsa_user_sgpr_kernarg_preload_offset 0
		.amdhsa_user_sgpr_private_segment_size 0
		.amdhsa_uses_dynamic_stack 0
		.amdhsa_system_sgpr_private_segment_wavefront_offset 0
		.amdhsa_system_sgpr_workgroup_id_x 1
		.amdhsa_system_sgpr_workgroup_id_y 0
		.amdhsa_system_sgpr_workgroup_id_z 0
		.amdhsa_system_sgpr_workgroup_info 0
		.amdhsa_system_vgpr_workitem_id 0
		.amdhsa_next_free_vgpr 47
		.amdhsa_next_free_sgpr 44
		.amdhsa_accum_offset 48
		.amdhsa_reserve_vcc 1
		.amdhsa_reserve_flat_scratch 0
		.amdhsa_float_round_mode_32 0
		.amdhsa_float_round_mode_16_64 0
		.amdhsa_float_denorm_mode_32 3
		.amdhsa_float_denorm_mode_16_64 3
		.amdhsa_dx10_clamp 1
		.amdhsa_ieee_mode 1
		.amdhsa_fp16_overflow 0
		.amdhsa_tg_split 0
		.amdhsa_exception_fp_ieee_invalid_op 0
		.amdhsa_exception_fp_denorm_src 0
		.amdhsa_exception_fp_ieee_div_zero 0
		.amdhsa_exception_fp_ieee_overflow 0
		.amdhsa_exception_fp_ieee_underflow 0
		.amdhsa_exception_fp_ieee_inexact 0
		.amdhsa_exception_int_div_zero 0
	.end_amdhsa_kernel
	.section	.text._ZN7rocprim17ROCPRIM_400000_NS6detail17trampoline_kernelINS0_14default_configENS1_25partition_config_selectorILNS1_17partition_subalgoE0EyNS0_10empty_typeEbEEZZNS1_14partition_implILS5_0ELb0ES3_jN6thrust23THRUST_200600_302600_NS6detail15normal_iteratorINSA_10device_ptrIyEEEEPS6_SG_NS0_5tupleIJSF_SF_EEENSH_IJSG_SG_EEES6_PlJ7is_evenIyEEEE10hipError_tPvRmT3_T4_T5_T6_T7_T9_mT8_P12ihipStream_tbDpT10_ENKUlT_T0_E_clISt17integral_constantIbLb1EES16_EEDaS11_S12_EUlS11_E_NS1_11comp_targetILNS1_3genE4ELNS1_11target_archE910ELNS1_3gpuE8ELNS1_3repE0EEENS1_30default_config_static_selectorELNS0_4arch9wavefront6targetE1EEEvT1_,"axG",@progbits,_ZN7rocprim17ROCPRIM_400000_NS6detail17trampoline_kernelINS0_14default_configENS1_25partition_config_selectorILNS1_17partition_subalgoE0EyNS0_10empty_typeEbEEZZNS1_14partition_implILS5_0ELb0ES3_jN6thrust23THRUST_200600_302600_NS6detail15normal_iteratorINSA_10device_ptrIyEEEEPS6_SG_NS0_5tupleIJSF_SF_EEENSH_IJSG_SG_EEES6_PlJ7is_evenIyEEEE10hipError_tPvRmT3_T4_T5_T6_T7_T9_mT8_P12ihipStream_tbDpT10_ENKUlT_T0_E_clISt17integral_constantIbLb1EES16_EEDaS11_S12_EUlS11_E_NS1_11comp_targetILNS1_3genE4ELNS1_11target_archE910ELNS1_3gpuE8ELNS1_3repE0EEENS1_30default_config_static_selectorELNS0_4arch9wavefront6targetE1EEEvT1_,comdat
.Lfunc_end2114:
	.size	_ZN7rocprim17ROCPRIM_400000_NS6detail17trampoline_kernelINS0_14default_configENS1_25partition_config_selectorILNS1_17partition_subalgoE0EyNS0_10empty_typeEbEEZZNS1_14partition_implILS5_0ELb0ES3_jN6thrust23THRUST_200600_302600_NS6detail15normal_iteratorINSA_10device_ptrIyEEEEPS6_SG_NS0_5tupleIJSF_SF_EEENSH_IJSG_SG_EEES6_PlJ7is_evenIyEEEE10hipError_tPvRmT3_T4_T5_T6_T7_T9_mT8_P12ihipStream_tbDpT10_ENKUlT_T0_E_clISt17integral_constantIbLb1EES16_EEDaS11_S12_EUlS11_E_NS1_11comp_targetILNS1_3genE4ELNS1_11target_archE910ELNS1_3gpuE8ELNS1_3repE0EEENS1_30default_config_static_selectorELNS0_4arch9wavefront6targetE1EEEvT1_, .Lfunc_end2114-_ZN7rocprim17ROCPRIM_400000_NS6detail17trampoline_kernelINS0_14default_configENS1_25partition_config_selectorILNS1_17partition_subalgoE0EyNS0_10empty_typeEbEEZZNS1_14partition_implILS5_0ELb0ES3_jN6thrust23THRUST_200600_302600_NS6detail15normal_iteratorINSA_10device_ptrIyEEEEPS6_SG_NS0_5tupleIJSF_SF_EEENSH_IJSG_SG_EEES6_PlJ7is_evenIyEEEE10hipError_tPvRmT3_T4_T5_T6_T7_T9_mT8_P12ihipStream_tbDpT10_ENKUlT_T0_E_clISt17integral_constantIbLb1EES16_EEDaS11_S12_EUlS11_E_NS1_11comp_targetILNS1_3genE4ELNS1_11target_archE910ELNS1_3gpuE8ELNS1_3repE0EEENS1_30default_config_static_selectorELNS0_4arch9wavefront6targetE1EEEvT1_
                                        ; -- End function
	.section	.AMDGPU.csdata,"",@progbits
; Kernel info:
; codeLenInByte = 3764
; NumSgprs: 48
; NumVgprs: 47
; NumAgprs: 0
; TotalNumVgprs: 47
; ScratchSize: 0
; MemoryBound: 0
; FloatMode: 240
; IeeeMode: 1
; LDSByteSize: 6344 bytes/workgroup (compile time only)
; SGPRBlocks: 5
; VGPRBlocks: 5
; NumSGPRsForWavesPerEU: 48
; NumVGPRsForWavesPerEU: 47
; AccumOffset: 48
; Occupancy: 8
; WaveLimiterHint : 1
; COMPUTE_PGM_RSRC2:SCRATCH_EN: 0
; COMPUTE_PGM_RSRC2:USER_SGPR: 6
; COMPUTE_PGM_RSRC2:TRAP_HANDLER: 0
; COMPUTE_PGM_RSRC2:TGID_X_EN: 1
; COMPUTE_PGM_RSRC2:TGID_Y_EN: 0
; COMPUTE_PGM_RSRC2:TGID_Z_EN: 0
; COMPUTE_PGM_RSRC2:TIDIG_COMP_CNT: 0
; COMPUTE_PGM_RSRC3_GFX90A:ACCUM_OFFSET: 11
; COMPUTE_PGM_RSRC3_GFX90A:TG_SPLIT: 0
	.section	.text._ZN7rocprim17ROCPRIM_400000_NS6detail17trampoline_kernelINS0_14default_configENS1_25partition_config_selectorILNS1_17partition_subalgoE0EyNS0_10empty_typeEbEEZZNS1_14partition_implILS5_0ELb0ES3_jN6thrust23THRUST_200600_302600_NS6detail15normal_iteratorINSA_10device_ptrIyEEEEPS6_SG_NS0_5tupleIJSF_SF_EEENSH_IJSG_SG_EEES6_PlJ7is_evenIyEEEE10hipError_tPvRmT3_T4_T5_T6_T7_T9_mT8_P12ihipStream_tbDpT10_ENKUlT_T0_E_clISt17integral_constantIbLb1EES16_EEDaS11_S12_EUlS11_E_NS1_11comp_targetILNS1_3genE3ELNS1_11target_archE908ELNS1_3gpuE7ELNS1_3repE0EEENS1_30default_config_static_selectorELNS0_4arch9wavefront6targetE1EEEvT1_,"axG",@progbits,_ZN7rocprim17ROCPRIM_400000_NS6detail17trampoline_kernelINS0_14default_configENS1_25partition_config_selectorILNS1_17partition_subalgoE0EyNS0_10empty_typeEbEEZZNS1_14partition_implILS5_0ELb0ES3_jN6thrust23THRUST_200600_302600_NS6detail15normal_iteratorINSA_10device_ptrIyEEEEPS6_SG_NS0_5tupleIJSF_SF_EEENSH_IJSG_SG_EEES6_PlJ7is_evenIyEEEE10hipError_tPvRmT3_T4_T5_T6_T7_T9_mT8_P12ihipStream_tbDpT10_ENKUlT_T0_E_clISt17integral_constantIbLb1EES16_EEDaS11_S12_EUlS11_E_NS1_11comp_targetILNS1_3genE3ELNS1_11target_archE908ELNS1_3gpuE7ELNS1_3repE0EEENS1_30default_config_static_selectorELNS0_4arch9wavefront6targetE1EEEvT1_,comdat
	.protected	_ZN7rocprim17ROCPRIM_400000_NS6detail17trampoline_kernelINS0_14default_configENS1_25partition_config_selectorILNS1_17partition_subalgoE0EyNS0_10empty_typeEbEEZZNS1_14partition_implILS5_0ELb0ES3_jN6thrust23THRUST_200600_302600_NS6detail15normal_iteratorINSA_10device_ptrIyEEEEPS6_SG_NS0_5tupleIJSF_SF_EEENSH_IJSG_SG_EEES6_PlJ7is_evenIyEEEE10hipError_tPvRmT3_T4_T5_T6_T7_T9_mT8_P12ihipStream_tbDpT10_ENKUlT_T0_E_clISt17integral_constantIbLb1EES16_EEDaS11_S12_EUlS11_E_NS1_11comp_targetILNS1_3genE3ELNS1_11target_archE908ELNS1_3gpuE7ELNS1_3repE0EEENS1_30default_config_static_selectorELNS0_4arch9wavefront6targetE1EEEvT1_ ; -- Begin function _ZN7rocprim17ROCPRIM_400000_NS6detail17trampoline_kernelINS0_14default_configENS1_25partition_config_selectorILNS1_17partition_subalgoE0EyNS0_10empty_typeEbEEZZNS1_14partition_implILS5_0ELb0ES3_jN6thrust23THRUST_200600_302600_NS6detail15normal_iteratorINSA_10device_ptrIyEEEEPS6_SG_NS0_5tupleIJSF_SF_EEENSH_IJSG_SG_EEES6_PlJ7is_evenIyEEEE10hipError_tPvRmT3_T4_T5_T6_T7_T9_mT8_P12ihipStream_tbDpT10_ENKUlT_T0_E_clISt17integral_constantIbLb1EES16_EEDaS11_S12_EUlS11_E_NS1_11comp_targetILNS1_3genE3ELNS1_11target_archE908ELNS1_3gpuE7ELNS1_3repE0EEENS1_30default_config_static_selectorELNS0_4arch9wavefront6targetE1EEEvT1_
	.globl	_ZN7rocprim17ROCPRIM_400000_NS6detail17trampoline_kernelINS0_14default_configENS1_25partition_config_selectorILNS1_17partition_subalgoE0EyNS0_10empty_typeEbEEZZNS1_14partition_implILS5_0ELb0ES3_jN6thrust23THRUST_200600_302600_NS6detail15normal_iteratorINSA_10device_ptrIyEEEEPS6_SG_NS0_5tupleIJSF_SF_EEENSH_IJSG_SG_EEES6_PlJ7is_evenIyEEEE10hipError_tPvRmT3_T4_T5_T6_T7_T9_mT8_P12ihipStream_tbDpT10_ENKUlT_T0_E_clISt17integral_constantIbLb1EES16_EEDaS11_S12_EUlS11_E_NS1_11comp_targetILNS1_3genE3ELNS1_11target_archE908ELNS1_3gpuE7ELNS1_3repE0EEENS1_30default_config_static_selectorELNS0_4arch9wavefront6targetE1EEEvT1_
	.p2align	8
	.type	_ZN7rocprim17ROCPRIM_400000_NS6detail17trampoline_kernelINS0_14default_configENS1_25partition_config_selectorILNS1_17partition_subalgoE0EyNS0_10empty_typeEbEEZZNS1_14partition_implILS5_0ELb0ES3_jN6thrust23THRUST_200600_302600_NS6detail15normal_iteratorINSA_10device_ptrIyEEEEPS6_SG_NS0_5tupleIJSF_SF_EEENSH_IJSG_SG_EEES6_PlJ7is_evenIyEEEE10hipError_tPvRmT3_T4_T5_T6_T7_T9_mT8_P12ihipStream_tbDpT10_ENKUlT_T0_E_clISt17integral_constantIbLb1EES16_EEDaS11_S12_EUlS11_E_NS1_11comp_targetILNS1_3genE3ELNS1_11target_archE908ELNS1_3gpuE7ELNS1_3repE0EEENS1_30default_config_static_selectorELNS0_4arch9wavefront6targetE1EEEvT1_,@function
_ZN7rocprim17ROCPRIM_400000_NS6detail17trampoline_kernelINS0_14default_configENS1_25partition_config_selectorILNS1_17partition_subalgoE0EyNS0_10empty_typeEbEEZZNS1_14partition_implILS5_0ELb0ES3_jN6thrust23THRUST_200600_302600_NS6detail15normal_iteratorINSA_10device_ptrIyEEEEPS6_SG_NS0_5tupleIJSF_SF_EEENSH_IJSG_SG_EEES6_PlJ7is_evenIyEEEE10hipError_tPvRmT3_T4_T5_T6_T7_T9_mT8_P12ihipStream_tbDpT10_ENKUlT_T0_E_clISt17integral_constantIbLb1EES16_EEDaS11_S12_EUlS11_E_NS1_11comp_targetILNS1_3genE3ELNS1_11target_archE908ELNS1_3gpuE7ELNS1_3repE0EEENS1_30default_config_static_selectorELNS0_4arch9wavefront6targetE1EEEvT1_: ; @_ZN7rocprim17ROCPRIM_400000_NS6detail17trampoline_kernelINS0_14default_configENS1_25partition_config_selectorILNS1_17partition_subalgoE0EyNS0_10empty_typeEbEEZZNS1_14partition_implILS5_0ELb0ES3_jN6thrust23THRUST_200600_302600_NS6detail15normal_iteratorINSA_10device_ptrIyEEEEPS6_SG_NS0_5tupleIJSF_SF_EEENSH_IJSG_SG_EEES6_PlJ7is_evenIyEEEE10hipError_tPvRmT3_T4_T5_T6_T7_T9_mT8_P12ihipStream_tbDpT10_ENKUlT_T0_E_clISt17integral_constantIbLb1EES16_EEDaS11_S12_EUlS11_E_NS1_11comp_targetILNS1_3genE3ELNS1_11target_archE908ELNS1_3gpuE7ELNS1_3repE0EEENS1_30default_config_static_selectorELNS0_4arch9wavefront6targetE1EEEvT1_
; %bb.0:
	.section	.rodata,"a",@progbits
	.p2align	6, 0x0
	.amdhsa_kernel _ZN7rocprim17ROCPRIM_400000_NS6detail17trampoline_kernelINS0_14default_configENS1_25partition_config_selectorILNS1_17partition_subalgoE0EyNS0_10empty_typeEbEEZZNS1_14partition_implILS5_0ELb0ES3_jN6thrust23THRUST_200600_302600_NS6detail15normal_iteratorINSA_10device_ptrIyEEEEPS6_SG_NS0_5tupleIJSF_SF_EEENSH_IJSG_SG_EEES6_PlJ7is_evenIyEEEE10hipError_tPvRmT3_T4_T5_T6_T7_T9_mT8_P12ihipStream_tbDpT10_ENKUlT_T0_E_clISt17integral_constantIbLb1EES16_EEDaS11_S12_EUlS11_E_NS1_11comp_targetILNS1_3genE3ELNS1_11target_archE908ELNS1_3gpuE7ELNS1_3repE0EEENS1_30default_config_static_selectorELNS0_4arch9wavefront6targetE1EEEvT1_
		.amdhsa_group_segment_fixed_size 0
		.amdhsa_private_segment_fixed_size 0
		.amdhsa_kernarg_size 136
		.amdhsa_user_sgpr_count 6
		.amdhsa_user_sgpr_private_segment_buffer 1
		.amdhsa_user_sgpr_dispatch_ptr 0
		.amdhsa_user_sgpr_queue_ptr 0
		.amdhsa_user_sgpr_kernarg_segment_ptr 1
		.amdhsa_user_sgpr_dispatch_id 0
		.amdhsa_user_sgpr_flat_scratch_init 0
		.amdhsa_user_sgpr_kernarg_preload_length 0
		.amdhsa_user_sgpr_kernarg_preload_offset 0
		.amdhsa_user_sgpr_private_segment_size 0
		.amdhsa_uses_dynamic_stack 0
		.amdhsa_system_sgpr_private_segment_wavefront_offset 0
		.amdhsa_system_sgpr_workgroup_id_x 1
		.amdhsa_system_sgpr_workgroup_id_y 0
		.amdhsa_system_sgpr_workgroup_id_z 0
		.amdhsa_system_sgpr_workgroup_info 0
		.amdhsa_system_vgpr_workitem_id 0
		.amdhsa_next_free_vgpr 1
		.amdhsa_next_free_sgpr 0
		.amdhsa_accum_offset 4
		.amdhsa_reserve_vcc 0
		.amdhsa_reserve_flat_scratch 0
		.amdhsa_float_round_mode_32 0
		.amdhsa_float_round_mode_16_64 0
		.amdhsa_float_denorm_mode_32 3
		.amdhsa_float_denorm_mode_16_64 3
		.amdhsa_dx10_clamp 1
		.amdhsa_ieee_mode 1
		.amdhsa_fp16_overflow 0
		.amdhsa_tg_split 0
		.amdhsa_exception_fp_ieee_invalid_op 0
		.amdhsa_exception_fp_denorm_src 0
		.amdhsa_exception_fp_ieee_div_zero 0
		.amdhsa_exception_fp_ieee_overflow 0
		.amdhsa_exception_fp_ieee_underflow 0
		.amdhsa_exception_fp_ieee_inexact 0
		.amdhsa_exception_int_div_zero 0
	.end_amdhsa_kernel
	.section	.text._ZN7rocprim17ROCPRIM_400000_NS6detail17trampoline_kernelINS0_14default_configENS1_25partition_config_selectorILNS1_17partition_subalgoE0EyNS0_10empty_typeEbEEZZNS1_14partition_implILS5_0ELb0ES3_jN6thrust23THRUST_200600_302600_NS6detail15normal_iteratorINSA_10device_ptrIyEEEEPS6_SG_NS0_5tupleIJSF_SF_EEENSH_IJSG_SG_EEES6_PlJ7is_evenIyEEEE10hipError_tPvRmT3_T4_T5_T6_T7_T9_mT8_P12ihipStream_tbDpT10_ENKUlT_T0_E_clISt17integral_constantIbLb1EES16_EEDaS11_S12_EUlS11_E_NS1_11comp_targetILNS1_3genE3ELNS1_11target_archE908ELNS1_3gpuE7ELNS1_3repE0EEENS1_30default_config_static_selectorELNS0_4arch9wavefront6targetE1EEEvT1_,"axG",@progbits,_ZN7rocprim17ROCPRIM_400000_NS6detail17trampoline_kernelINS0_14default_configENS1_25partition_config_selectorILNS1_17partition_subalgoE0EyNS0_10empty_typeEbEEZZNS1_14partition_implILS5_0ELb0ES3_jN6thrust23THRUST_200600_302600_NS6detail15normal_iteratorINSA_10device_ptrIyEEEEPS6_SG_NS0_5tupleIJSF_SF_EEENSH_IJSG_SG_EEES6_PlJ7is_evenIyEEEE10hipError_tPvRmT3_T4_T5_T6_T7_T9_mT8_P12ihipStream_tbDpT10_ENKUlT_T0_E_clISt17integral_constantIbLb1EES16_EEDaS11_S12_EUlS11_E_NS1_11comp_targetILNS1_3genE3ELNS1_11target_archE908ELNS1_3gpuE7ELNS1_3repE0EEENS1_30default_config_static_selectorELNS0_4arch9wavefront6targetE1EEEvT1_,comdat
.Lfunc_end2115:
	.size	_ZN7rocprim17ROCPRIM_400000_NS6detail17trampoline_kernelINS0_14default_configENS1_25partition_config_selectorILNS1_17partition_subalgoE0EyNS0_10empty_typeEbEEZZNS1_14partition_implILS5_0ELb0ES3_jN6thrust23THRUST_200600_302600_NS6detail15normal_iteratorINSA_10device_ptrIyEEEEPS6_SG_NS0_5tupleIJSF_SF_EEENSH_IJSG_SG_EEES6_PlJ7is_evenIyEEEE10hipError_tPvRmT3_T4_T5_T6_T7_T9_mT8_P12ihipStream_tbDpT10_ENKUlT_T0_E_clISt17integral_constantIbLb1EES16_EEDaS11_S12_EUlS11_E_NS1_11comp_targetILNS1_3genE3ELNS1_11target_archE908ELNS1_3gpuE7ELNS1_3repE0EEENS1_30default_config_static_selectorELNS0_4arch9wavefront6targetE1EEEvT1_, .Lfunc_end2115-_ZN7rocprim17ROCPRIM_400000_NS6detail17trampoline_kernelINS0_14default_configENS1_25partition_config_selectorILNS1_17partition_subalgoE0EyNS0_10empty_typeEbEEZZNS1_14partition_implILS5_0ELb0ES3_jN6thrust23THRUST_200600_302600_NS6detail15normal_iteratorINSA_10device_ptrIyEEEEPS6_SG_NS0_5tupleIJSF_SF_EEENSH_IJSG_SG_EEES6_PlJ7is_evenIyEEEE10hipError_tPvRmT3_T4_T5_T6_T7_T9_mT8_P12ihipStream_tbDpT10_ENKUlT_T0_E_clISt17integral_constantIbLb1EES16_EEDaS11_S12_EUlS11_E_NS1_11comp_targetILNS1_3genE3ELNS1_11target_archE908ELNS1_3gpuE7ELNS1_3repE0EEENS1_30default_config_static_selectorELNS0_4arch9wavefront6targetE1EEEvT1_
                                        ; -- End function
	.section	.AMDGPU.csdata,"",@progbits
; Kernel info:
; codeLenInByte = 0
; NumSgprs: 4
; NumVgprs: 0
; NumAgprs: 0
; TotalNumVgprs: 0
; ScratchSize: 0
; MemoryBound: 0
; FloatMode: 240
; IeeeMode: 1
; LDSByteSize: 0 bytes/workgroup (compile time only)
; SGPRBlocks: 0
; VGPRBlocks: 0
; NumSGPRsForWavesPerEU: 4
; NumVGPRsForWavesPerEU: 1
; AccumOffset: 4
; Occupancy: 8
; WaveLimiterHint : 0
; COMPUTE_PGM_RSRC2:SCRATCH_EN: 0
; COMPUTE_PGM_RSRC2:USER_SGPR: 6
; COMPUTE_PGM_RSRC2:TRAP_HANDLER: 0
; COMPUTE_PGM_RSRC2:TGID_X_EN: 1
; COMPUTE_PGM_RSRC2:TGID_Y_EN: 0
; COMPUTE_PGM_RSRC2:TGID_Z_EN: 0
; COMPUTE_PGM_RSRC2:TIDIG_COMP_CNT: 0
; COMPUTE_PGM_RSRC3_GFX90A:ACCUM_OFFSET: 0
; COMPUTE_PGM_RSRC3_GFX90A:TG_SPLIT: 0
	.section	.text._ZN7rocprim17ROCPRIM_400000_NS6detail17trampoline_kernelINS0_14default_configENS1_25partition_config_selectorILNS1_17partition_subalgoE0EyNS0_10empty_typeEbEEZZNS1_14partition_implILS5_0ELb0ES3_jN6thrust23THRUST_200600_302600_NS6detail15normal_iteratorINSA_10device_ptrIyEEEEPS6_SG_NS0_5tupleIJSF_SF_EEENSH_IJSG_SG_EEES6_PlJ7is_evenIyEEEE10hipError_tPvRmT3_T4_T5_T6_T7_T9_mT8_P12ihipStream_tbDpT10_ENKUlT_T0_E_clISt17integral_constantIbLb1EES16_EEDaS11_S12_EUlS11_E_NS1_11comp_targetILNS1_3genE2ELNS1_11target_archE906ELNS1_3gpuE6ELNS1_3repE0EEENS1_30default_config_static_selectorELNS0_4arch9wavefront6targetE1EEEvT1_,"axG",@progbits,_ZN7rocprim17ROCPRIM_400000_NS6detail17trampoline_kernelINS0_14default_configENS1_25partition_config_selectorILNS1_17partition_subalgoE0EyNS0_10empty_typeEbEEZZNS1_14partition_implILS5_0ELb0ES3_jN6thrust23THRUST_200600_302600_NS6detail15normal_iteratorINSA_10device_ptrIyEEEEPS6_SG_NS0_5tupleIJSF_SF_EEENSH_IJSG_SG_EEES6_PlJ7is_evenIyEEEE10hipError_tPvRmT3_T4_T5_T6_T7_T9_mT8_P12ihipStream_tbDpT10_ENKUlT_T0_E_clISt17integral_constantIbLb1EES16_EEDaS11_S12_EUlS11_E_NS1_11comp_targetILNS1_3genE2ELNS1_11target_archE906ELNS1_3gpuE6ELNS1_3repE0EEENS1_30default_config_static_selectorELNS0_4arch9wavefront6targetE1EEEvT1_,comdat
	.protected	_ZN7rocprim17ROCPRIM_400000_NS6detail17trampoline_kernelINS0_14default_configENS1_25partition_config_selectorILNS1_17partition_subalgoE0EyNS0_10empty_typeEbEEZZNS1_14partition_implILS5_0ELb0ES3_jN6thrust23THRUST_200600_302600_NS6detail15normal_iteratorINSA_10device_ptrIyEEEEPS6_SG_NS0_5tupleIJSF_SF_EEENSH_IJSG_SG_EEES6_PlJ7is_evenIyEEEE10hipError_tPvRmT3_T4_T5_T6_T7_T9_mT8_P12ihipStream_tbDpT10_ENKUlT_T0_E_clISt17integral_constantIbLb1EES16_EEDaS11_S12_EUlS11_E_NS1_11comp_targetILNS1_3genE2ELNS1_11target_archE906ELNS1_3gpuE6ELNS1_3repE0EEENS1_30default_config_static_selectorELNS0_4arch9wavefront6targetE1EEEvT1_ ; -- Begin function _ZN7rocprim17ROCPRIM_400000_NS6detail17trampoline_kernelINS0_14default_configENS1_25partition_config_selectorILNS1_17partition_subalgoE0EyNS0_10empty_typeEbEEZZNS1_14partition_implILS5_0ELb0ES3_jN6thrust23THRUST_200600_302600_NS6detail15normal_iteratorINSA_10device_ptrIyEEEEPS6_SG_NS0_5tupleIJSF_SF_EEENSH_IJSG_SG_EEES6_PlJ7is_evenIyEEEE10hipError_tPvRmT3_T4_T5_T6_T7_T9_mT8_P12ihipStream_tbDpT10_ENKUlT_T0_E_clISt17integral_constantIbLb1EES16_EEDaS11_S12_EUlS11_E_NS1_11comp_targetILNS1_3genE2ELNS1_11target_archE906ELNS1_3gpuE6ELNS1_3repE0EEENS1_30default_config_static_selectorELNS0_4arch9wavefront6targetE1EEEvT1_
	.globl	_ZN7rocprim17ROCPRIM_400000_NS6detail17trampoline_kernelINS0_14default_configENS1_25partition_config_selectorILNS1_17partition_subalgoE0EyNS0_10empty_typeEbEEZZNS1_14partition_implILS5_0ELb0ES3_jN6thrust23THRUST_200600_302600_NS6detail15normal_iteratorINSA_10device_ptrIyEEEEPS6_SG_NS0_5tupleIJSF_SF_EEENSH_IJSG_SG_EEES6_PlJ7is_evenIyEEEE10hipError_tPvRmT3_T4_T5_T6_T7_T9_mT8_P12ihipStream_tbDpT10_ENKUlT_T0_E_clISt17integral_constantIbLb1EES16_EEDaS11_S12_EUlS11_E_NS1_11comp_targetILNS1_3genE2ELNS1_11target_archE906ELNS1_3gpuE6ELNS1_3repE0EEENS1_30default_config_static_selectorELNS0_4arch9wavefront6targetE1EEEvT1_
	.p2align	8
	.type	_ZN7rocprim17ROCPRIM_400000_NS6detail17trampoline_kernelINS0_14default_configENS1_25partition_config_selectorILNS1_17partition_subalgoE0EyNS0_10empty_typeEbEEZZNS1_14partition_implILS5_0ELb0ES3_jN6thrust23THRUST_200600_302600_NS6detail15normal_iteratorINSA_10device_ptrIyEEEEPS6_SG_NS0_5tupleIJSF_SF_EEENSH_IJSG_SG_EEES6_PlJ7is_evenIyEEEE10hipError_tPvRmT3_T4_T5_T6_T7_T9_mT8_P12ihipStream_tbDpT10_ENKUlT_T0_E_clISt17integral_constantIbLb1EES16_EEDaS11_S12_EUlS11_E_NS1_11comp_targetILNS1_3genE2ELNS1_11target_archE906ELNS1_3gpuE6ELNS1_3repE0EEENS1_30default_config_static_selectorELNS0_4arch9wavefront6targetE1EEEvT1_,@function
_ZN7rocprim17ROCPRIM_400000_NS6detail17trampoline_kernelINS0_14default_configENS1_25partition_config_selectorILNS1_17partition_subalgoE0EyNS0_10empty_typeEbEEZZNS1_14partition_implILS5_0ELb0ES3_jN6thrust23THRUST_200600_302600_NS6detail15normal_iteratorINSA_10device_ptrIyEEEEPS6_SG_NS0_5tupleIJSF_SF_EEENSH_IJSG_SG_EEES6_PlJ7is_evenIyEEEE10hipError_tPvRmT3_T4_T5_T6_T7_T9_mT8_P12ihipStream_tbDpT10_ENKUlT_T0_E_clISt17integral_constantIbLb1EES16_EEDaS11_S12_EUlS11_E_NS1_11comp_targetILNS1_3genE2ELNS1_11target_archE906ELNS1_3gpuE6ELNS1_3repE0EEENS1_30default_config_static_selectorELNS0_4arch9wavefront6targetE1EEEvT1_: ; @_ZN7rocprim17ROCPRIM_400000_NS6detail17trampoline_kernelINS0_14default_configENS1_25partition_config_selectorILNS1_17partition_subalgoE0EyNS0_10empty_typeEbEEZZNS1_14partition_implILS5_0ELb0ES3_jN6thrust23THRUST_200600_302600_NS6detail15normal_iteratorINSA_10device_ptrIyEEEEPS6_SG_NS0_5tupleIJSF_SF_EEENSH_IJSG_SG_EEES6_PlJ7is_evenIyEEEE10hipError_tPvRmT3_T4_T5_T6_T7_T9_mT8_P12ihipStream_tbDpT10_ENKUlT_T0_E_clISt17integral_constantIbLb1EES16_EEDaS11_S12_EUlS11_E_NS1_11comp_targetILNS1_3genE2ELNS1_11target_archE906ELNS1_3gpuE6ELNS1_3repE0EEENS1_30default_config_static_selectorELNS0_4arch9wavefront6targetE1EEEvT1_
; %bb.0:
	.section	.rodata,"a",@progbits
	.p2align	6, 0x0
	.amdhsa_kernel _ZN7rocprim17ROCPRIM_400000_NS6detail17trampoline_kernelINS0_14default_configENS1_25partition_config_selectorILNS1_17partition_subalgoE0EyNS0_10empty_typeEbEEZZNS1_14partition_implILS5_0ELb0ES3_jN6thrust23THRUST_200600_302600_NS6detail15normal_iteratorINSA_10device_ptrIyEEEEPS6_SG_NS0_5tupleIJSF_SF_EEENSH_IJSG_SG_EEES6_PlJ7is_evenIyEEEE10hipError_tPvRmT3_T4_T5_T6_T7_T9_mT8_P12ihipStream_tbDpT10_ENKUlT_T0_E_clISt17integral_constantIbLb1EES16_EEDaS11_S12_EUlS11_E_NS1_11comp_targetILNS1_3genE2ELNS1_11target_archE906ELNS1_3gpuE6ELNS1_3repE0EEENS1_30default_config_static_selectorELNS0_4arch9wavefront6targetE1EEEvT1_
		.amdhsa_group_segment_fixed_size 0
		.amdhsa_private_segment_fixed_size 0
		.amdhsa_kernarg_size 136
		.amdhsa_user_sgpr_count 6
		.amdhsa_user_sgpr_private_segment_buffer 1
		.amdhsa_user_sgpr_dispatch_ptr 0
		.amdhsa_user_sgpr_queue_ptr 0
		.amdhsa_user_sgpr_kernarg_segment_ptr 1
		.amdhsa_user_sgpr_dispatch_id 0
		.amdhsa_user_sgpr_flat_scratch_init 0
		.amdhsa_user_sgpr_kernarg_preload_length 0
		.amdhsa_user_sgpr_kernarg_preload_offset 0
		.amdhsa_user_sgpr_private_segment_size 0
		.amdhsa_uses_dynamic_stack 0
		.amdhsa_system_sgpr_private_segment_wavefront_offset 0
		.amdhsa_system_sgpr_workgroup_id_x 1
		.amdhsa_system_sgpr_workgroup_id_y 0
		.amdhsa_system_sgpr_workgroup_id_z 0
		.amdhsa_system_sgpr_workgroup_info 0
		.amdhsa_system_vgpr_workitem_id 0
		.amdhsa_next_free_vgpr 1
		.amdhsa_next_free_sgpr 0
		.amdhsa_accum_offset 4
		.amdhsa_reserve_vcc 0
		.amdhsa_reserve_flat_scratch 0
		.amdhsa_float_round_mode_32 0
		.amdhsa_float_round_mode_16_64 0
		.amdhsa_float_denorm_mode_32 3
		.amdhsa_float_denorm_mode_16_64 3
		.amdhsa_dx10_clamp 1
		.amdhsa_ieee_mode 1
		.amdhsa_fp16_overflow 0
		.amdhsa_tg_split 0
		.amdhsa_exception_fp_ieee_invalid_op 0
		.amdhsa_exception_fp_denorm_src 0
		.amdhsa_exception_fp_ieee_div_zero 0
		.amdhsa_exception_fp_ieee_overflow 0
		.amdhsa_exception_fp_ieee_underflow 0
		.amdhsa_exception_fp_ieee_inexact 0
		.amdhsa_exception_int_div_zero 0
	.end_amdhsa_kernel
	.section	.text._ZN7rocprim17ROCPRIM_400000_NS6detail17trampoline_kernelINS0_14default_configENS1_25partition_config_selectorILNS1_17partition_subalgoE0EyNS0_10empty_typeEbEEZZNS1_14partition_implILS5_0ELb0ES3_jN6thrust23THRUST_200600_302600_NS6detail15normal_iteratorINSA_10device_ptrIyEEEEPS6_SG_NS0_5tupleIJSF_SF_EEENSH_IJSG_SG_EEES6_PlJ7is_evenIyEEEE10hipError_tPvRmT3_T4_T5_T6_T7_T9_mT8_P12ihipStream_tbDpT10_ENKUlT_T0_E_clISt17integral_constantIbLb1EES16_EEDaS11_S12_EUlS11_E_NS1_11comp_targetILNS1_3genE2ELNS1_11target_archE906ELNS1_3gpuE6ELNS1_3repE0EEENS1_30default_config_static_selectorELNS0_4arch9wavefront6targetE1EEEvT1_,"axG",@progbits,_ZN7rocprim17ROCPRIM_400000_NS6detail17trampoline_kernelINS0_14default_configENS1_25partition_config_selectorILNS1_17partition_subalgoE0EyNS0_10empty_typeEbEEZZNS1_14partition_implILS5_0ELb0ES3_jN6thrust23THRUST_200600_302600_NS6detail15normal_iteratorINSA_10device_ptrIyEEEEPS6_SG_NS0_5tupleIJSF_SF_EEENSH_IJSG_SG_EEES6_PlJ7is_evenIyEEEE10hipError_tPvRmT3_T4_T5_T6_T7_T9_mT8_P12ihipStream_tbDpT10_ENKUlT_T0_E_clISt17integral_constantIbLb1EES16_EEDaS11_S12_EUlS11_E_NS1_11comp_targetILNS1_3genE2ELNS1_11target_archE906ELNS1_3gpuE6ELNS1_3repE0EEENS1_30default_config_static_selectorELNS0_4arch9wavefront6targetE1EEEvT1_,comdat
.Lfunc_end2116:
	.size	_ZN7rocprim17ROCPRIM_400000_NS6detail17trampoline_kernelINS0_14default_configENS1_25partition_config_selectorILNS1_17partition_subalgoE0EyNS0_10empty_typeEbEEZZNS1_14partition_implILS5_0ELb0ES3_jN6thrust23THRUST_200600_302600_NS6detail15normal_iteratorINSA_10device_ptrIyEEEEPS6_SG_NS0_5tupleIJSF_SF_EEENSH_IJSG_SG_EEES6_PlJ7is_evenIyEEEE10hipError_tPvRmT3_T4_T5_T6_T7_T9_mT8_P12ihipStream_tbDpT10_ENKUlT_T0_E_clISt17integral_constantIbLb1EES16_EEDaS11_S12_EUlS11_E_NS1_11comp_targetILNS1_3genE2ELNS1_11target_archE906ELNS1_3gpuE6ELNS1_3repE0EEENS1_30default_config_static_selectorELNS0_4arch9wavefront6targetE1EEEvT1_, .Lfunc_end2116-_ZN7rocprim17ROCPRIM_400000_NS6detail17trampoline_kernelINS0_14default_configENS1_25partition_config_selectorILNS1_17partition_subalgoE0EyNS0_10empty_typeEbEEZZNS1_14partition_implILS5_0ELb0ES3_jN6thrust23THRUST_200600_302600_NS6detail15normal_iteratorINSA_10device_ptrIyEEEEPS6_SG_NS0_5tupleIJSF_SF_EEENSH_IJSG_SG_EEES6_PlJ7is_evenIyEEEE10hipError_tPvRmT3_T4_T5_T6_T7_T9_mT8_P12ihipStream_tbDpT10_ENKUlT_T0_E_clISt17integral_constantIbLb1EES16_EEDaS11_S12_EUlS11_E_NS1_11comp_targetILNS1_3genE2ELNS1_11target_archE906ELNS1_3gpuE6ELNS1_3repE0EEENS1_30default_config_static_selectorELNS0_4arch9wavefront6targetE1EEEvT1_
                                        ; -- End function
	.section	.AMDGPU.csdata,"",@progbits
; Kernel info:
; codeLenInByte = 0
; NumSgprs: 4
; NumVgprs: 0
; NumAgprs: 0
; TotalNumVgprs: 0
; ScratchSize: 0
; MemoryBound: 0
; FloatMode: 240
; IeeeMode: 1
; LDSByteSize: 0 bytes/workgroup (compile time only)
; SGPRBlocks: 0
; VGPRBlocks: 0
; NumSGPRsForWavesPerEU: 4
; NumVGPRsForWavesPerEU: 1
; AccumOffset: 4
; Occupancy: 8
; WaveLimiterHint : 0
; COMPUTE_PGM_RSRC2:SCRATCH_EN: 0
; COMPUTE_PGM_RSRC2:USER_SGPR: 6
; COMPUTE_PGM_RSRC2:TRAP_HANDLER: 0
; COMPUTE_PGM_RSRC2:TGID_X_EN: 1
; COMPUTE_PGM_RSRC2:TGID_Y_EN: 0
; COMPUTE_PGM_RSRC2:TGID_Z_EN: 0
; COMPUTE_PGM_RSRC2:TIDIG_COMP_CNT: 0
; COMPUTE_PGM_RSRC3_GFX90A:ACCUM_OFFSET: 0
; COMPUTE_PGM_RSRC3_GFX90A:TG_SPLIT: 0
	.section	.text._ZN7rocprim17ROCPRIM_400000_NS6detail17trampoline_kernelINS0_14default_configENS1_25partition_config_selectorILNS1_17partition_subalgoE0EyNS0_10empty_typeEbEEZZNS1_14partition_implILS5_0ELb0ES3_jN6thrust23THRUST_200600_302600_NS6detail15normal_iteratorINSA_10device_ptrIyEEEEPS6_SG_NS0_5tupleIJSF_SF_EEENSH_IJSG_SG_EEES6_PlJ7is_evenIyEEEE10hipError_tPvRmT3_T4_T5_T6_T7_T9_mT8_P12ihipStream_tbDpT10_ENKUlT_T0_E_clISt17integral_constantIbLb1EES16_EEDaS11_S12_EUlS11_E_NS1_11comp_targetILNS1_3genE10ELNS1_11target_archE1200ELNS1_3gpuE4ELNS1_3repE0EEENS1_30default_config_static_selectorELNS0_4arch9wavefront6targetE1EEEvT1_,"axG",@progbits,_ZN7rocprim17ROCPRIM_400000_NS6detail17trampoline_kernelINS0_14default_configENS1_25partition_config_selectorILNS1_17partition_subalgoE0EyNS0_10empty_typeEbEEZZNS1_14partition_implILS5_0ELb0ES3_jN6thrust23THRUST_200600_302600_NS6detail15normal_iteratorINSA_10device_ptrIyEEEEPS6_SG_NS0_5tupleIJSF_SF_EEENSH_IJSG_SG_EEES6_PlJ7is_evenIyEEEE10hipError_tPvRmT3_T4_T5_T6_T7_T9_mT8_P12ihipStream_tbDpT10_ENKUlT_T0_E_clISt17integral_constantIbLb1EES16_EEDaS11_S12_EUlS11_E_NS1_11comp_targetILNS1_3genE10ELNS1_11target_archE1200ELNS1_3gpuE4ELNS1_3repE0EEENS1_30default_config_static_selectorELNS0_4arch9wavefront6targetE1EEEvT1_,comdat
	.protected	_ZN7rocprim17ROCPRIM_400000_NS6detail17trampoline_kernelINS0_14default_configENS1_25partition_config_selectorILNS1_17partition_subalgoE0EyNS0_10empty_typeEbEEZZNS1_14partition_implILS5_0ELb0ES3_jN6thrust23THRUST_200600_302600_NS6detail15normal_iteratorINSA_10device_ptrIyEEEEPS6_SG_NS0_5tupleIJSF_SF_EEENSH_IJSG_SG_EEES6_PlJ7is_evenIyEEEE10hipError_tPvRmT3_T4_T5_T6_T7_T9_mT8_P12ihipStream_tbDpT10_ENKUlT_T0_E_clISt17integral_constantIbLb1EES16_EEDaS11_S12_EUlS11_E_NS1_11comp_targetILNS1_3genE10ELNS1_11target_archE1200ELNS1_3gpuE4ELNS1_3repE0EEENS1_30default_config_static_selectorELNS0_4arch9wavefront6targetE1EEEvT1_ ; -- Begin function _ZN7rocprim17ROCPRIM_400000_NS6detail17trampoline_kernelINS0_14default_configENS1_25partition_config_selectorILNS1_17partition_subalgoE0EyNS0_10empty_typeEbEEZZNS1_14partition_implILS5_0ELb0ES3_jN6thrust23THRUST_200600_302600_NS6detail15normal_iteratorINSA_10device_ptrIyEEEEPS6_SG_NS0_5tupleIJSF_SF_EEENSH_IJSG_SG_EEES6_PlJ7is_evenIyEEEE10hipError_tPvRmT3_T4_T5_T6_T7_T9_mT8_P12ihipStream_tbDpT10_ENKUlT_T0_E_clISt17integral_constantIbLb1EES16_EEDaS11_S12_EUlS11_E_NS1_11comp_targetILNS1_3genE10ELNS1_11target_archE1200ELNS1_3gpuE4ELNS1_3repE0EEENS1_30default_config_static_selectorELNS0_4arch9wavefront6targetE1EEEvT1_
	.globl	_ZN7rocprim17ROCPRIM_400000_NS6detail17trampoline_kernelINS0_14default_configENS1_25partition_config_selectorILNS1_17partition_subalgoE0EyNS0_10empty_typeEbEEZZNS1_14partition_implILS5_0ELb0ES3_jN6thrust23THRUST_200600_302600_NS6detail15normal_iteratorINSA_10device_ptrIyEEEEPS6_SG_NS0_5tupleIJSF_SF_EEENSH_IJSG_SG_EEES6_PlJ7is_evenIyEEEE10hipError_tPvRmT3_T4_T5_T6_T7_T9_mT8_P12ihipStream_tbDpT10_ENKUlT_T0_E_clISt17integral_constantIbLb1EES16_EEDaS11_S12_EUlS11_E_NS1_11comp_targetILNS1_3genE10ELNS1_11target_archE1200ELNS1_3gpuE4ELNS1_3repE0EEENS1_30default_config_static_selectorELNS0_4arch9wavefront6targetE1EEEvT1_
	.p2align	8
	.type	_ZN7rocprim17ROCPRIM_400000_NS6detail17trampoline_kernelINS0_14default_configENS1_25partition_config_selectorILNS1_17partition_subalgoE0EyNS0_10empty_typeEbEEZZNS1_14partition_implILS5_0ELb0ES3_jN6thrust23THRUST_200600_302600_NS6detail15normal_iteratorINSA_10device_ptrIyEEEEPS6_SG_NS0_5tupleIJSF_SF_EEENSH_IJSG_SG_EEES6_PlJ7is_evenIyEEEE10hipError_tPvRmT3_T4_T5_T6_T7_T9_mT8_P12ihipStream_tbDpT10_ENKUlT_T0_E_clISt17integral_constantIbLb1EES16_EEDaS11_S12_EUlS11_E_NS1_11comp_targetILNS1_3genE10ELNS1_11target_archE1200ELNS1_3gpuE4ELNS1_3repE0EEENS1_30default_config_static_selectorELNS0_4arch9wavefront6targetE1EEEvT1_,@function
_ZN7rocprim17ROCPRIM_400000_NS6detail17trampoline_kernelINS0_14default_configENS1_25partition_config_selectorILNS1_17partition_subalgoE0EyNS0_10empty_typeEbEEZZNS1_14partition_implILS5_0ELb0ES3_jN6thrust23THRUST_200600_302600_NS6detail15normal_iteratorINSA_10device_ptrIyEEEEPS6_SG_NS0_5tupleIJSF_SF_EEENSH_IJSG_SG_EEES6_PlJ7is_evenIyEEEE10hipError_tPvRmT3_T4_T5_T6_T7_T9_mT8_P12ihipStream_tbDpT10_ENKUlT_T0_E_clISt17integral_constantIbLb1EES16_EEDaS11_S12_EUlS11_E_NS1_11comp_targetILNS1_3genE10ELNS1_11target_archE1200ELNS1_3gpuE4ELNS1_3repE0EEENS1_30default_config_static_selectorELNS0_4arch9wavefront6targetE1EEEvT1_: ; @_ZN7rocprim17ROCPRIM_400000_NS6detail17trampoline_kernelINS0_14default_configENS1_25partition_config_selectorILNS1_17partition_subalgoE0EyNS0_10empty_typeEbEEZZNS1_14partition_implILS5_0ELb0ES3_jN6thrust23THRUST_200600_302600_NS6detail15normal_iteratorINSA_10device_ptrIyEEEEPS6_SG_NS0_5tupleIJSF_SF_EEENSH_IJSG_SG_EEES6_PlJ7is_evenIyEEEE10hipError_tPvRmT3_T4_T5_T6_T7_T9_mT8_P12ihipStream_tbDpT10_ENKUlT_T0_E_clISt17integral_constantIbLb1EES16_EEDaS11_S12_EUlS11_E_NS1_11comp_targetILNS1_3genE10ELNS1_11target_archE1200ELNS1_3gpuE4ELNS1_3repE0EEENS1_30default_config_static_selectorELNS0_4arch9wavefront6targetE1EEEvT1_
; %bb.0:
	.section	.rodata,"a",@progbits
	.p2align	6, 0x0
	.amdhsa_kernel _ZN7rocprim17ROCPRIM_400000_NS6detail17trampoline_kernelINS0_14default_configENS1_25partition_config_selectorILNS1_17partition_subalgoE0EyNS0_10empty_typeEbEEZZNS1_14partition_implILS5_0ELb0ES3_jN6thrust23THRUST_200600_302600_NS6detail15normal_iteratorINSA_10device_ptrIyEEEEPS6_SG_NS0_5tupleIJSF_SF_EEENSH_IJSG_SG_EEES6_PlJ7is_evenIyEEEE10hipError_tPvRmT3_T4_T5_T6_T7_T9_mT8_P12ihipStream_tbDpT10_ENKUlT_T0_E_clISt17integral_constantIbLb1EES16_EEDaS11_S12_EUlS11_E_NS1_11comp_targetILNS1_3genE10ELNS1_11target_archE1200ELNS1_3gpuE4ELNS1_3repE0EEENS1_30default_config_static_selectorELNS0_4arch9wavefront6targetE1EEEvT1_
		.amdhsa_group_segment_fixed_size 0
		.amdhsa_private_segment_fixed_size 0
		.amdhsa_kernarg_size 136
		.amdhsa_user_sgpr_count 6
		.amdhsa_user_sgpr_private_segment_buffer 1
		.amdhsa_user_sgpr_dispatch_ptr 0
		.amdhsa_user_sgpr_queue_ptr 0
		.amdhsa_user_sgpr_kernarg_segment_ptr 1
		.amdhsa_user_sgpr_dispatch_id 0
		.amdhsa_user_sgpr_flat_scratch_init 0
		.amdhsa_user_sgpr_kernarg_preload_length 0
		.amdhsa_user_sgpr_kernarg_preload_offset 0
		.amdhsa_user_sgpr_private_segment_size 0
		.amdhsa_uses_dynamic_stack 0
		.amdhsa_system_sgpr_private_segment_wavefront_offset 0
		.amdhsa_system_sgpr_workgroup_id_x 1
		.amdhsa_system_sgpr_workgroup_id_y 0
		.amdhsa_system_sgpr_workgroup_id_z 0
		.amdhsa_system_sgpr_workgroup_info 0
		.amdhsa_system_vgpr_workitem_id 0
		.amdhsa_next_free_vgpr 1
		.amdhsa_next_free_sgpr 0
		.amdhsa_accum_offset 4
		.amdhsa_reserve_vcc 0
		.amdhsa_reserve_flat_scratch 0
		.amdhsa_float_round_mode_32 0
		.amdhsa_float_round_mode_16_64 0
		.amdhsa_float_denorm_mode_32 3
		.amdhsa_float_denorm_mode_16_64 3
		.amdhsa_dx10_clamp 1
		.amdhsa_ieee_mode 1
		.amdhsa_fp16_overflow 0
		.amdhsa_tg_split 0
		.amdhsa_exception_fp_ieee_invalid_op 0
		.amdhsa_exception_fp_denorm_src 0
		.amdhsa_exception_fp_ieee_div_zero 0
		.amdhsa_exception_fp_ieee_overflow 0
		.amdhsa_exception_fp_ieee_underflow 0
		.amdhsa_exception_fp_ieee_inexact 0
		.amdhsa_exception_int_div_zero 0
	.end_amdhsa_kernel
	.section	.text._ZN7rocprim17ROCPRIM_400000_NS6detail17trampoline_kernelINS0_14default_configENS1_25partition_config_selectorILNS1_17partition_subalgoE0EyNS0_10empty_typeEbEEZZNS1_14partition_implILS5_0ELb0ES3_jN6thrust23THRUST_200600_302600_NS6detail15normal_iteratorINSA_10device_ptrIyEEEEPS6_SG_NS0_5tupleIJSF_SF_EEENSH_IJSG_SG_EEES6_PlJ7is_evenIyEEEE10hipError_tPvRmT3_T4_T5_T6_T7_T9_mT8_P12ihipStream_tbDpT10_ENKUlT_T0_E_clISt17integral_constantIbLb1EES16_EEDaS11_S12_EUlS11_E_NS1_11comp_targetILNS1_3genE10ELNS1_11target_archE1200ELNS1_3gpuE4ELNS1_3repE0EEENS1_30default_config_static_selectorELNS0_4arch9wavefront6targetE1EEEvT1_,"axG",@progbits,_ZN7rocprim17ROCPRIM_400000_NS6detail17trampoline_kernelINS0_14default_configENS1_25partition_config_selectorILNS1_17partition_subalgoE0EyNS0_10empty_typeEbEEZZNS1_14partition_implILS5_0ELb0ES3_jN6thrust23THRUST_200600_302600_NS6detail15normal_iteratorINSA_10device_ptrIyEEEEPS6_SG_NS0_5tupleIJSF_SF_EEENSH_IJSG_SG_EEES6_PlJ7is_evenIyEEEE10hipError_tPvRmT3_T4_T5_T6_T7_T9_mT8_P12ihipStream_tbDpT10_ENKUlT_T0_E_clISt17integral_constantIbLb1EES16_EEDaS11_S12_EUlS11_E_NS1_11comp_targetILNS1_3genE10ELNS1_11target_archE1200ELNS1_3gpuE4ELNS1_3repE0EEENS1_30default_config_static_selectorELNS0_4arch9wavefront6targetE1EEEvT1_,comdat
.Lfunc_end2117:
	.size	_ZN7rocprim17ROCPRIM_400000_NS6detail17trampoline_kernelINS0_14default_configENS1_25partition_config_selectorILNS1_17partition_subalgoE0EyNS0_10empty_typeEbEEZZNS1_14partition_implILS5_0ELb0ES3_jN6thrust23THRUST_200600_302600_NS6detail15normal_iteratorINSA_10device_ptrIyEEEEPS6_SG_NS0_5tupleIJSF_SF_EEENSH_IJSG_SG_EEES6_PlJ7is_evenIyEEEE10hipError_tPvRmT3_T4_T5_T6_T7_T9_mT8_P12ihipStream_tbDpT10_ENKUlT_T0_E_clISt17integral_constantIbLb1EES16_EEDaS11_S12_EUlS11_E_NS1_11comp_targetILNS1_3genE10ELNS1_11target_archE1200ELNS1_3gpuE4ELNS1_3repE0EEENS1_30default_config_static_selectorELNS0_4arch9wavefront6targetE1EEEvT1_, .Lfunc_end2117-_ZN7rocprim17ROCPRIM_400000_NS6detail17trampoline_kernelINS0_14default_configENS1_25partition_config_selectorILNS1_17partition_subalgoE0EyNS0_10empty_typeEbEEZZNS1_14partition_implILS5_0ELb0ES3_jN6thrust23THRUST_200600_302600_NS6detail15normal_iteratorINSA_10device_ptrIyEEEEPS6_SG_NS0_5tupleIJSF_SF_EEENSH_IJSG_SG_EEES6_PlJ7is_evenIyEEEE10hipError_tPvRmT3_T4_T5_T6_T7_T9_mT8_P12ihipStream_tbDpT10_ENKUlT_T0_E_clISt17integral_constantIbLb1EES16_EEDaS11_S12_EUlS11_E_NS1_11comp_targetILNS1_3genE10ELNS1_11target_archE1200ELNS1_3gpuE4ELNS1_3repE0EEENS1_30default_config_static_selectorELNS0_4arch9wavefront6targetE1EEEvT1_
                                        ; -- End function
	.section	.AMDGPU.csdata,"",@progbits
; Kernel info:
; codeLenInByte = 0
; NumSgprs: 4
; NumVgprs: 0
; NumAgprs: 0
; TotalNumVgprs: 0
; ScratchSize: 0
; MemoryBound: 0
; FloatMode: 240
; IeeeMode: 1
; LDSByteSize: 0 bytes/workgroup (compile time only)
; SGPRBlocks: 0
; VGPRBlocks: 0
; NumSGPRsForWavesPerEU: 4
; NumVGPRsForWavesPerEU: 1
; AccumOffset: 4
; Occupancy: 8
; WaveLimiterHint : 0
; COMPUTE_PGM_RSRC2:SCRATCH_EN: 0
; COMPUTE_PGM_RSRC2:USER_SGPR: 6
; COMPUTE_PGM_RSRC2:TRAP_HANDLER: 0
; COMPUTE_PGM_RSRC2:TGID_X_EN: 1
; COMPUTE_PGM_RSRC2:TGID_Y_EN: 0
; COMPUTE_PGM_RSRC2:TGID_Z_EN: 0
; COMPUTE_PGM_RSRC2:TIDIG_COMP_CNT: 0
; COMPUTE_PGM_RSRC3_GFX90A:ACCUM_OFFSET: 0
; COMPUTE_PGM_RSRC3_GFX90A:TG_SPLIT: 0
	.section	.text._ZN7rocprim17ROCPRIM_400000_NS6detail17trampoline_kernelINS0_14default_configENS1_25partition_config_selectorILNS1_17partition_subalgoE0EyNS0_10empty_typeEbEEZZNS1_14partition_implILS5_0ELb0ES3_jN6thrust23THRUST_200600_302600_NS6detail15normal_iteratorINSA_10device_ptrIyEEEEPS6_SG_NS0_5tupleIJSF_SF_EEENSH_IJSG_SG_EEES6_PlJ7is_evenIyEEEE10hipError_tPvRmT3_T4_T5_T6_T7_T9_mT8_P12ihipStream_tbDpT10_ENKUlT_T0_E_clISt17integral_constantIbLb1EES16_EEDaS11_S12_EUlS11_E_NS1_11comp_targetILNS1_3genE9ELNS1_11target_archE1100ELNS1_3gpuE3ELNS1_3repE0EEENS1_30default_config_static_selectorELNS0_4arch9wavefront6targetE1EEEvT1_,"axG",@progbits,_ZN7rocprim17ROCPRIM_400000_NS6detail17trampoline_kernelINS0_14default_configENS1_25partition_config_selectorILNS1_17partition_subalgoE0EyNS0_10empty_typeEbEEZZNS1_14partition_implILS5_0ELb0ES3_jN6thrust23THRUST_200600_302600_NS6detail15normal_iteratorINSA_10device_ptrIyEEEEPS6_SG_NS0_5tupleIJSF_SF_EEENSH_IJSG_SG_EEES6_PlJ7is_evenIyEEEE10hipError_tPvRmT3_T4_T5_T6_T7_T9_mT8_P12ihipStream_tbDpT10_ENKUlT_T0_E_clISt17integral_constantIbLb1EES16_EEDaS11_S12_EUlS11_E_NS1_11comp_targetILNS1_3genE9ELNS1_11target_archE1100ELNS1_3gpuE3ELNS1_3repE0EEENS1_30default_config_static_selectorELNS0_4arch9wavefront6targetE1EEEvT1_,comdat
	.protected	_ZN7rocprim17ROCPRIM_400000_NS6detail17trampoline_kernelINS0_14default_configENS1_25partition_config_selectorILNS1_17partition_subalgoE0EyNS0_10empty_typeEbEEZZNS1_14partition_implILS5_0ELb0ES3_jN6thrust23THRUST_200600_302600_NS6detail15normal_iteratorINSA_10device_ptrIyEEEEPS6_SG_NS0_5tupleIJSF_SF_EEENSH_IJSG_SG_EEES6_PlJ7is_evenIyEEEE10hipError_tPvRmT3_T4_T5_T6_T7_T9_mT8_P12ihipStream_tbDpT10_ENKUlT_T0_E_clISt17integral_constantIbLb1EES16_EEDaS11_S12_EUlS11_E_NS1_11comp_targetILNS1_3genE9ELNS1_11target_archE1100ELNS1_3gpuE3ELNS1_3repE0EEENS1_30default_config_static_selectorELNS0_4arch9wavefront6targetE1EEEvT1_ ; -- Begin function _ZN7rocprim17ROCPRIM_400000_NS6detail17trampoline_kernelINS0_14default_configENS1_25partition_config_selectorILNS1_17partition_subalgoE0EyNS0_10empty_typeEbEEZZNS1_14partition_implILS5_0ELb0ES3_jN6thrust23THRUST_200600_302600_NS6detail15normal_iteratorINSA_10device_ptrIyEEEEPS6_SG_NS0_5tupleIJSF_SF_EEENSH_IJSG_SG_EEES6_PlJ7is_evenIyEEEE10hipError_tPvRmT3_T4_T5_T6_T7_T9_mT8_P12ihipStream_tbDpT10_ENKUlT_T0_E_clISt17integral_constantIbLb1EES16_EEDaS11_S12_EUlS11_E_NS1_11comp_targetILNS1_3genE9ELNS1_11target_archE1100ELNS1_3gpuE3ELNS1_3repE0EEENS1_30default_config_static_selectorELNS0_4arch9wavefront6targetE1EEEvT1_
	.globl	_ZN7rocprim17ROCPRIM_400000_NS6detail17trampoline_kernelINS0_14default_configENS1_25partition_config_selectorILNS1_17partition_subalgoE0EyNS0_10empty_typeEbEEZZNS1_14partition_implILS5_0ELb0ES3_jN6thrust23THRUST_200600_302600_NS6detail15normal_iteratorINSA_10device_ptrIyEEEEPS6_SG_NS0_5tupleIJSF_SF_EEENSH_IJSG_SG_EEES6_PlJ7is_evenIyEEEE10hipError_tPvRmT3_T4_T5_T6_T7_T9_mT8_P12ihipStream_tbDpT10_ENKUlT_T0_E_clISt17integral_constantIbLb1EES16_EEDaS11_S12_EUlS11_E_NS1_11comp_targetILNS1_3genE9ELNS1_11target_archE1100ELNS1_3gpuE3ELNS1_3repE0EEENS1_30default_config_static_selectorELNS0_4arch9wavefront6targetE1EEEvT1_
	.p2align	8
	.type	_ZN7rocprim17ROCPRIM_400000_NS6detail17trampoline_kernelINS0_14default_configENS1_25partition_config_selectorILNS1_17partition_subalgoE0EyNS0_10empty_typeEbEEZZNS1_14partition_implILS5_0ELb0ES3_jN6thrust23THRUST_200600_302600_NS6detail15normal_iteratorINSA_10device_ptrIyEEEEPS6_SG_NS0_5tupleIJSF_SF_EEENSH_IJSG_SG_EEES6_PlJ7is_evenIyEEEE10hipError_tPvRmT3_T4_T5_T6_T7_T9_mT8_P12ihipStream_tbDpT10_ENKUlT_T0_E_clISt17integral_constantIbLb1EES16_EEDaS11_S12_EUlS11_E_NS1_11comp_targetILNS1_3genE9ELNS1_11target_archE1100ELNS1_3gpuE3ELNS1_3repE0EEENS1_30default_config_static_selectorELNS0_4arch9wavefront6targetE1EEEvT1_,@function
_ZN7rocprim17ROCPRIM_400000_NS6detail17trampoline_kernelINS0_14default_configENS1_25partition_config_selectorILNS1_17partition_subalgoE0EyNS0_10empty_typeEbEEZZNS1_14partition_implILS5_0ELb0ES3_jN6thrust23THRUST_200600_302600_NS6detail15normal_iteratorINSA_10device_ptrIyEEEEPS6_SG_NS0_5tupleIJSF_SF_EEENSH_IJSG_SG_EEES6_PlJ7is_evenIyEEEE10hipError_tPvRmT3_T4_T5_T6_T7_T9_mT8_P12ihipStream_tbDpT10_ENKUlT_T0_E_clISt17integral_constantIbLb1EES16_EEDaS11_S12_EUlS11_E_NS1_11comp_targetILNS1_3genE9ELNS1_11target_archE1100ELNS1_3gpuE3ELNS1_3repE0EEENS1_30default_config_static_selectorELNS0_4arch9wavefront6targetE1EEEvT1_: ; @_ZN7rocprim17ROCPRIM_400000_NS6detail17trampoline_kernelINS0_14default_configENS1_25partition_config_selectorILNS1_17partition_subalgoE0EyNS0_10empty_typeEbEEZZNS1_14partition_implILS5_0ELb0ES3_jN6thrust23THRUST_200600_302600_NS6detail15normal_iteratorINSA_10device_ptrIyEEEEPS6_SG_NS0_5tupleIJSF_SF_EEENSH_IJSG_SG_EEES6_PlJ7is_evenIyEEEE10hipError_tPvRmT3_T4_T5_T6_T7_T9_mT8_P12ihipStream_tbDpT10_ENKUlT_T0_E_clISt17integral_constantIbLb1EES16_EEDaS11_S12_EUlS11_E_NS1_11comp_targetILNS1_3genE9ELNS1_11target_archE1100ELNS1_3gpuE3ELNS1_3repE0EEENS1_30default_config_static_selectorELNS0_4arch9wavefront6targetE1EEEvT1_
; %bb.0:
	.section	.rodata,"a",@progbits
	.p2align	6, 0x0
	.amdhsa_kernel _ZN7rocprim17ROCPRIM_400000_NS6detail17trampoline_kernelINS0_14default_configENS1_25partition_config_selectorILNS1_17partition_subalgoE0EyNS0_10empty_typeEbEEZZNS1_14partition_implILS5_0ELb0ES3_jN6thrust23THRUST_200600_302600_NS6detail15normal_iteratorINSA_10device_ptrIyEEEEPS6_SG_NS0_5tupleIJSF_SF_EEENSH_IJSG_SG_EEES6_PlJ7is_evenIyEEEE10hipError_tPvRmT3_T4_T5_T6_T7_T9_mT8_P12ihipStream_tbDpT10_ENKUlT_T0_E_clISt17integral_constantIbLb1EES16_EEDaS11_S12_EUlS11_E_NS1_11comp_targetILNS1_3genE9ELNS1_11target_archE1100ELNS1_3gpuE3ELNS1_3repE0EEENS1_30default_config_static_selectorELNS0_4arch9wavefront6targetE1EEEvT1_
		.amdhsa_group_segment_fixed_size 0
		.amdhsa_private_segment_fixed_size 0
		.amdhsa_kernarg_size 136
		.amdhsa_user_sgpr_count 6
		.amdhsa_user_sgpr_private_segment_buffer 1
		.amdhsa_user_sgpr_dispatch_ptr 0
		.amdhsa_user_sgpr_queue_ptr 0
		.amdhsa_user_sgpr_kernarg_segment_ptr 1
		.amdhsa_user_sgpr_dispatch_id 0
		.amdhsa_user_sgpr_flat_scratch_init 0
		.amdhsa_user_sgpr_kernarg_preload_length 0
		.amdhsa_user_sgpr_kernarg_preload_offset 0
		.amdhsa_user_sgpr_private_segment_size 0
		.amdhsa_uses_dynamic_stack 0
		.amdhsa_system_sgpr_private_segment_wavefront_offset 0
		.amdhsa_system_sgpr_workgroup_id_x 1
		.amdhsa_system_sgpr_workgroup_id_y 0
		.amdhsa_system_sgpr_workgroup_id_z 0
		.amdhsa_system_sgpr_workgroup_info 0
		.amdhsa_system_vgpr_workitem_id 0
		.amdhsa_next_free_vgpr 1
		.amdhsa_next_free_sgpr 0
		.amdhsa_accum_offset 4
		.amdhsa_reserve_vcc 0
		.amdhsa_reserve_flat_scratch 0
		.amdhsa_float_round_mode_32 0
		.amdhsa_float_round_mode_16_64 0
		.amdhsa_float_denorm_mode_32 3
		.amdhsa_float_denorm_mode_16_64 3
		.amdhsa_dx10_clamp 1
		.amdhsa_ieee_mode 1
		.amdhsa_fp16_overflow 0
		.amdhsa_tg_split 0
		.amdhsa_exception_fp_ieee_invalid_op 0
		.amdhsa_exception_fp_denorm_src 0
		.amdhsa_exception_fp_ieee_div_zero 0
		.amdhsa_exception_fp_ieee_overflow 0
		.amdhsa_exception_fp_ieee_underflow 0
		.amdhsa_exception_fp_ieee_inexact 0
		.amdhsa_exception_int_div_zero 0
	.end_amdhsa_kernel
	.section	.text._ZN7rocprim17ROCPRIM_400000_NS6detail17trampoline_kernelINS0_14default_configENS1_25partition_config_selectorILNS1_17partition_subalgoE0EyNS0_10empty_typeEbEEZZNS1_14partition_implILS5_0ELb0ES3_jN6thrust23THRUST_200600_302600_NS6detail15normal_iteratorINSA_10device_ptrIyEEEEPS6_SG_NS0_5tupleIJSF_SF_EEENSH_IJSG_SG_EEES6_PlJ7is_evenIyEEEE10hipError_tPvRmT3_T4_T5_T6_T7_T9_mT8_P12ihipStream_tbDpT10_ENKUlT_T0_E_clISt17integral_constantIbLb1EES16_EEDaS11_S12_EUlS11_E_NS1_11comp_targetILNS1_3genE9ELNS1_11target_archE1100ELNS1_3gpuE3ELNS1_3repE0EEENS1_30default_config_static_selectorELNS0_4arch9wavefront6targetE1EEEvT1_,"axG",@progbits,_ZN7rocprim17ROCPRIM_400000_NS6detail17trampoline_kernelINS0_14default_configENS1_25partition_config_selectorILNS1_17partition_subalgoE0EyNS0_10empty_typeEbEEZZNS1_14partition_implILS5_0ELb0ES3_jN6thrust23THRUST_200600_302600_NS6detail15normal_iteratorINSA_10device_ptrIyEEEEPS6_SG_NS0_5tupleIJSF_SF_EEENSH_IJSG_SG_EEES6_PlJ7is_evenIyEEEE10hipError_tPvRmT3_T4_T5_T6_T7_T9_mT8_P12ihipStream_tbDpT10_ENKUlT_T0_E_clISt17integral_constantIbLb1EES16_EEDaS11_S12_EUlS11_E_NS1_11comp_targetILNS1_3genE9ELNS1_11target_archE1100ELNS1_3gpuE3ELNS1_3repE0EEENS1_30default_config_static_selectorELNS0_4arch9wavefront6targetE1EEEvT1_,comdat
.Lfunc_end2118:
	.size	_ZN7rocprim17ROCPRIM_400000_NS6detail17trampoline_kernelINS0_14default_configENS1_25partition_config_selectorILNS1_17partition_subalgoE0EyNS0_10empty_typeEbEEZZNS1_14partition_implILS5_0ELb0ES3_jN6thrust23THRUST_200600_302600_NS6detail15normal_iteratorINSA_10device_ptrIyEEEEPS6_SG_NS0_5tupleIJSF_SF_EEENSH_IJSG_SG_EEES6_PlJ7is_evenIyEEEE10hipError_tPvRmT3_T4_T5_T6_T7_T9_mT8_P12ihipStream_tbDpT10_ENKUlT_T0_E_clISt17integral_constantIbLb1EES16_EEDaS11_S12_EUlS11_E_NS1_11comp_targetILNS1_3genE9ELNS1_11target_archE1100ELNS1_3gpuE3ELNS1_3repE0EEENS1_30default_config_static_selectorELNS0_4arch9wavefront6targetE1EEEvT1_, .Lfunc_end2118-_ZN7rocprim17ROCPRIM_400000_NS6detail17trampoline_kernelINS0_14default_configENS1_25partition_config_selectorILNS1_17partition_subalgoE0EyNS0_10empty_typeEbEEZZNS1_14partition_implILS5_0ELb0ES3_jN6thrust23THRUST_200600_302600_NS6detail15normal_iteratorINSA_10device_ptrIyEEEEPS6_SG_NS0_5tupleIJSF_SF_EEENSH_IJSG_SG_EEES6_PlJ7is_evenIyEEEE10hipError_tPvRmT3_T4_T5_T6_T7_T9_mT8_P12ihipStream_tbDpT10_ENKUlT_T0_E_clISt17integral_constantIbLb1EES16_EEDaS11_S12_EUlS11_E_NS1_11comp_targetILNS1_3genE9ELNS1_11target_archE1100ELNS1_3gpuE3ELNS1_3repE0EEENS1_30default_config_static_selectorELNS0_4arch9wavefront6targetE1EEEvT1_
                                        ; -- End function
	.section	.AMDGPU.csdata,"",@progbits
; Kernel info:
; codeLenInByte = 0
; NumSgprs: 4
; NumVgprs: 0
; NumAgprs: 0
; TotalNumVgprs: 0
; ScratchSize: 0
; MemoryBound: 0
; FloatMode: 240
; IeeeMode: 1
; LDSByteSize: 0 bytes/workgroup (compile time only)
; SGPRBlocks: 0
; VGPRBlocks: 0
; NumSGPRsForWavesPerEU: 4
; NumVGPRsForWavesPerEU: 1
; AccumOffset: 4
; Occupancy: 8
; WaveLimiterHint : 0
; COMPUTE_PGM_RSRC2:SCRATCH_EN: 0
; COMPUTE_PGM_RSRC2:USER_SGPR: 6
; COMPUTE_PGM_RSRC2:TRAP_HANDLER: 0
; COMPUTE_PGM_RSRC2:TGID_X_EN: 1
; COMPUTE_PGM_RSRC2:TGID_Y_EN: 0
; COMPUTE_PGM_RSRC2:TGID_Z_EN: 0
; COMPUTE_PGM_RSRC2:TIDIG_COMP_CNT: 0
; COMPUTE_PGM_RSRC3_GFX90A:ACCUM_OFFSET: 0
; COMPUTE_PGM_RSRC3_GFX90A:TG_SPLIT: 0
	.section	.text._ZN7rocprim17ROCPRIM_400000_NS6detail17trampoline_kernelINS0_14default_configENS1_25partition_config_selectorILNS1_17partition_subalgoE0EyNS0_10empty_typeEbEEZZNS1_14partition_implILS5_0ELb0ES3_jN6thrust23THRUST_200600_302600_NS6detail15normal_iteratorINSA_10device_ptrIyEEEEPS6_SG_NS0_5tupleIJSF_SF_EEENSH_IJSG_SG_EEES6_PlJ7is_evenIyEEEE10hipError_tPvRmT3_T4_T5_T6_T7_T9_mT8_P12ihipStream_tbDpT10_ENKUlT_T0_E_clISt17integral_constantIbLb1EES16_EEDaS11_S12_EUlS11_E_NS1_11comp_targetILNS1_3genE8ELNS1_11target_archE1030ELNS1_3gpuE2ELNS1_3repE0EEENS1_30default_config_static_selectorELNS0_4arch9wavefront6targetE1EEEvT1_,"axG",@progbits,_ZN7rocprim17ROCPRIM_400000_NS6detail17trampoline_kernelINS0_14default_configENS1_25partition_config_selectorILNS1_17partition_subalgoE0EyNS0_10empty_typeEbEEZZNS1_14partition_implILS5_0ELb0ES3_jN6thrust23THRUST_200600_302600_NS6detail15normal_iteratorINSA_10device_ptrIyEEEEPS6_SG_NS0_5tupleIJSF_SF_EEENSH_IJSG_SG_EEES6_PlJ7is_evenIyEEEE10hipError_tPvRmT3_T4_T5_T6_T7_T9_mT8_P12ihipStream_tbDpT10_ENKUlT_T0_E_clISt17integral_constantIbLb1EES16_EEDaS11_S12_EUlS11_E_NS1_11comp_targetILNS1_3genE8ELNS1_11target_archE1030ELNS1_3gpuE2ELNS1_3repE0EEENS1_30default_config_static_selectorELNS0_4arch9wavefront6targetE1EEEvT1_,comdat
	.protected	_ZN7rocprim17ROCPRIM_400000_NS6detail17trampoline_kernelINS0_14default_configENS1_25partition_config_selectorILNS1_17partition_subalgoE0EyNS0_10empty_typeEbEEZZNS1_14partition_implILS5_0ELb0ES3_jN6thrust23THRUST_200600_302600_NS6detail15normal_iteratorINSA_10device_ptrIyEEEEPS6_SG_NS0_5tupleIJSF_SF_EEENSH_IJSG_SG_EEES6_PlJ7is_evenIyEEEE10hipError_tPvRmT3_T4_T5_T6_T7_T9_mT8_P12ihipStream_tbDpT10_ENKUlT_T0_E_clISt17integral_constantIbLb1EES16_EEDaS11_S12_EUlS11_E_NS1_11comp_targetILNS1_3genE8ELNS1_11target_archE1030ELNS1_3gpuE2ELNS1_3repE0EEENS1_30default_config_static_selectorELNS0_4arch9wavefront6targetE1EEEvT1_ ; -- Begin function _ZN7rocprim17ROCPRIM_400000_NS6detail17trampoline_kernelINS0_14default_configENS1_25partition_config_selectorILNS1_17partition_subalgoE0EyNS0_10empty_typeEbEEZZNS1_14partition_implILS5_0ELb0ES3_jN6thrust23THRUST_200600_302600_NS6detail15normal_iteratorINSA_10device_ptrIyEEEEPS6_SG_NS0_5tupleIJSF_SF_EEENSH_IJSG_SG_EEES6_PlJ7is_evenIyEEEE10hipError_tPvRmT3_T4_T5_T6_T7_T9_mT8_P12ihipStream_tbDpT10_ENKUlT_T0_E_clISt17integral_constantIbLb1EES16_EEDaS11_S12_EUlS11_E_NS1_11comp_targetILNS1_3genE8ELNS1_11target_archE1030ELNS1_3gpuE2ELNS1_3repE0EEENS1_30default_config_static_selectorELNS0_4arch9wavefront6targetE1EEEvT1_
	.globl	_ZN7rocprim17ROCPRIM_400000_NS6detail17trampoline_kernelINS0_14default_configENS1_25partition_config_selectorILNS1_17partition_subalgoE0EyNS0_10empty_typeEbEEZZNS1_14partition_implILS5_0ELb0ES3_jN6thrust23THRUST_200600_302600_NS6detail15normal_iteratorINSA_10device_ptrIyEEEEPS6_SG_NS0_5tupleIJSF_SF_EEENSH_IJSG_SG_EEES6_PlJ7is_evenIyEEEE10hipError_tPvRmT3_T4_T5_T6_T7_T9_mT8_P12ihipStream_tbDpT10_ENKUlT_T0_E_clISt17integral_constantIbLb1EES16_EEDaS11_S12_EUlS11_E_NS1_11comp_targetILNS1_3genE8ELNS1_11target_archE1030ELNS1_3gpuE2ELNS1_3repE0EEENS1_30default_config_static_selectorELNS0_4arch9wavefront6targetE1EEEvT1_
	.p2align	8
	.type	_ZN7rocprim17ROCPRIM_400000_NS6detail17trampoline_kernelINS0_14default_configENS1_25partition_config_selectorILNS1_17partition_subalgoE0EyNS0_10empty_typeEbEEZZNS1_14partition_implILS5_0ELb0ES3_jN6thrust23THRUST_200600_302600_NS6detail15normal_iteratorINSA_10device_ptrIyEEEEPS6_SG_NS0_5tupleIJSF_SF_EEENSH_IJSG_SG_EEES6_PlJ7is_evenIyEEEE10hipError_tPvRmT3_T4_T5_T6_T7_T9_mT8_P12ihipStream_tbDpT10_ENKUlT_T0_E_clISt17integral_constantIbLb1EES16_EEDaS11_S12_EUlS11_E_NS1_11comp_targetILNS1_3genE8ELNS1_11target_archE1030ELNS1_3gpuE2ELNS1_3repE0EEENS1_30default_config_static_selectorELNS0_4arch9wavefront6targetE1EEEvT1_,@function
_ZN7rocprim17ROCPRIM_400000_NS6detail17trampoline_kernelINS0_14default_configENS1_25partition_config_selectorILNS1_17partition_subalgoE0EyNS0_10empty_typeEbEEZZNS1_14partition_implILS5_0ELb0ES3_jN6thrust23THRUST_200600_302600_NS6detail15normal_iteratorINSA_10device_ptrIyEEEEPS6_SG_NS0_5tupleIJSF_SF_EEENSH_IJSG_SG_EEES6_PlJ7is_evenIyEEEE10hipError_tPvRmT3_T4_T5_T6_T7_T9_mT8_P12ihipStream_tbDpT10_ENKUlT_T0_E_clISt17integral_constantIbLb1EES16_EEDaS11_S12_EUlS11_E_NS1_11comp_targetILNS1_3genE8ELNS1_11target_archE1030ELNS1_3gpuE2ELNS1_3repE0EEENS1_30default_config_static_selectorELNS0_4arch9wavefront6targetE1EEEvT1_: ; @_ZN7rocprim17ROCPRIM_400000_NS6detail17trampoline_kernelINS0_14default_configENS1_25partition_config_selectorILNS1_17partition_subalgoE0EyNS0_10empty_typeEbEEZZNS1_14partition_implILS5_0ELb0ES3_jN6thrust23THRUST_200600_302600_NS6detail15normal_iteratorINSA_10device_ptrIyEEEEPS6_SG_NS0_5tupleIJSF_SF_EEENSH_IJSG_SG_EEES6_PlJ7is_evenIyEEEE10hipError_tPvRmT3_T4_T5_T6_T7_T9_mT8_P12ihipStream_tbDpT10_ENKUlT_T0_E_clISt17integral_constantIbLb1EES16_EEDaS11_S12_EUlS11_E_NS1_11comp_targetILNS1_3genE8ELNS1_11target_archE1030ELNS1_3gpuE2ELNS1_3repE0EEENS1_30default_config_static_selectorELNS0_4arch9wavefront6targetE1EEEvT1_
; %bb.0:
	.section	.rodata,"a",@progbits
	.p2align	6, 0x0
	.amdhsa_kernel _ZN7rocprim17ROCPRIM_400000_NS6detail17trampoline_kernelINS0_14default_configENS1_25partition_config_selectorILNS1_17partition_subalgoE0EyNS0_10empty_typeEbEEZZNS1_14partition_implILS5_0ELb0ES3_jN6thrust23THRUST_200600_302600_NS6detail15normal_iteratorINSA_10device_ptrIyEEEEPS6_SG_NS0_5tupleIJSF_SF_EEENSH_IJSG_SG_EEES6_PlJ7is_evenIyEEEE10hipError_tPvRmT3_T4_T5_T6_T7_T9_mT8_P12ihipStream_tbDpT10_ENKUlT_T0_E_clISt17integral_constantIbLb1EES16_EEDaS11_S12_EUlS11_E_NS1_11comp_targetILNS1_3genE8ELNS1_11target_archE1030ELNS1_3gpuE2ELNS1_3repE0EEENS1_30default_config_static_selectorELNS0_4arch9wavefront6targetE1EEEvT1_
		.amdhsa_group_segment_fixed_size 0
		.amdhsa_private_segment_fixed_size 0
		.amdhsa_kernarg_size 136
		.amdhsa_user_sgpr_count 6
		.amdhsa_user_sgpr_private_segment_buffer 1
		.amdhsa_user_sgpr_dispatch_ptr 0
		.amdhsa_user_sgpr_queue_ptr 0
		.amdhsa_user_sgpr_kernarg_segment_ptr 1
		.amdhsa_user_sgpr_dispatch_id 0
		.amdhsa_user_sgpr_flat_scratch_init 0
		.amdhsa_user_sgpr_kernarg_preload_length 0
		.amdhsa_user_sgpr_kernarg_preload_offset 0
		.amdhsa_user_sgpr_private_segment_size 0
		.amdhsa_uses_dynamic_stack 0
		.amdhsa_system_sgpr_private_segment_wavefront_offset 0
		.amdhsa_system_sgpr_workgroup_id_x 1
		.amdhsa_system_sgpr_workgroup_id_y 0
		.amdhsa_system_sgpr_workgroup_id_z 0
		.amdhsa_system_sgpr_workgroup_info 0
		.amdhsa_system_vgpr_workitem_id 0
		.amdhsa_next_free_vgpr 1
		.amdhsa_next_free_sgpr 0
		.amdhsa_accum_offset 4
		.amdhsa_reserve_vcc 0
		.amdhsa_reserve_flat_scratch 0
		.amdhsa_float_round_mode_32 0
		.amdhsa_float_round_mode_16_64 0
		.amdhsa_float_denorm_mode_32 3
		.amdhsa_float_denorm_mode_16_64 3
		.amdhsa_dx10_clamp 1
		.amdhsa_ieee_mode 1
		.amdhsa_fp16_overflow 0
		.amdhsa_tg_split 0
		.amdhsa_exception_fp_ieee_invalid_op 0
		.amdhsa_exception_fp_denorm_src 0
		.amdhsa_exception_fp_ieee_div_zero 0
		.amdhsa_exception_fp_ieee_overflow 0
		.amdhsa_exception_fp_ieee_underflow 0
		.amdhsa_exception_fp_ieee_inexact 0
		.amdhsa_exception_int_div_zero 0
	.end_amdhsa_kernel
	.section	.text._ZN7rocprim17ROCPRIM_400000_NS6detail17trampoline_kernelINS0_14default_configENS1_25partition_config_selectorILNS1_17partition_subalgoE0EyNS0_10empty_typeEbEEZZNS1_14partition_implILS5_0ELb0ES3_jN6thrust23THRUST_200600_302600_NS6detail15normal_iteratorINSA_10device_ptrIyEEEEPS6_SG_NS0_5tupleIJSF_SF_EEENSH_IJSG_SG_EEES6_PlJ7is_evenIyEEEE10hipError_tPvRmT3_T4_T5_T6_T7_T9_mT8_P12ihipStream_tbDpT10_ENKUlT_T0_E_clISt17integral_constantIbLb1EES16_EEDaS11_S12_EUlS11_E_NS1_11comp_targetILNS1_3genE8ELNS1_11target_archE1030ELNS1_3gpuE2ELNS1_3repE0EEENS1_30default_config_static_selectorELNS0_4arch9wavefront6targetE1EEEvT1_,"axG",@progbits,_ZN7rocprim17ROCPRIM_400000_NS6detail17trampoline_kernelINS0_14default_configENS1_25partition_config_selectorILNS1_17partition_subalgoE0EyNS0_10empty_typeEbEEZZNS1_14partition_implILS5_0ELb0ES3_jN6thrust23THRUST_200600_302600_NS6detail15normal_iteratorINSA_10device_ptrIyEEEEPS6_SG_NS0_5tupleIJSF_SF_EEENSH_IJSG_SG_EEES6_PlJ7is_evenIyEEEE10hipError_tPvRmT3_T4_T5_T6_T7_T9_mT8_P12ihipStream_tbDpT10_ENKUlT_T0_E_clISt17integral_constantIbLb1EES16_EEDaS11_S12_EUlS11_E_NS1_11comp_targetILNS1_3genE8ELNS1_11target_archE1030ELNS1_3gpuE2ELNS1_3repE0EEENS1_30default_config_static_selectorELNS0_4arch9wavefront6targetE1EEEvT1_,comdat
.Lfunc_end2119:
	.size	_ZN7rocprim17ROCPRIM_400000_NS6detail17trampoline_kernelINS0_14default_configENS1_25partition_config_selectorILNS1_17partition_subalgoE0EyNS0_10empty_typeEbEEZZNS1_14partition_implILS5_0ELb0ES3_jN6thrust23THRUST_200600_302600_NS6detail15normal_iteratorINSA_10device_ptrIyEEEEPS6_SG_NS0_5tupleIJSF_SF_EEENSH_IJSG_SG_EEES6_PlJ7is_evenIyEEEE10hipError_tPvRmT3_T4_T5_T6_T7_T9_mT8_P12ihipStream_tbDpT10_ENKUlT_T0_E_clISt17integral_constantIbLb1EES16_EEDaS11_S12_EUlS11_E_NS1_11comp_targetILNS1_3genE8ELNS1_11target_archE1030ELNS1_3gpuE2ELNS1_3repE0EEENS1_30default_config_static_selectorELNS0_4arch9wavefront6targetE1EEEvT1_, .Lfunc_end2119-_ZN7rocprim17ROCPRIM_400000_NS6detail17trampoline_kernelINS0_14default_configENS1_25partition_config_selectorILNS1_17partition_subalgoE0EyNS0_10empty_typeEbEEZZNS1_14partition_implILS5_0ELb0ES3_jN6thrust23THRUST_200600_302600_NS6detail15normal_iteratorINSA_10device_ptrIyEEEEPS6_SG_NS0_5tupleIJSF_SF_EEENSH_IJSG_SG_EEES6_PlJ7is_evenIyEEEE10hipError_tPvRmT3_T4_T5_T6_T7_T9_mT8_P12ihipStream_tbDpT10_ENKUlT_T0_E_clISt17integral_constantIbLb1EES16_EEDaS11_S12_EUlS11_E_NS1_11comp_targetILNS1_3genE8ELNS1_11target_archE1030ELNS1_3gpuE2ELNS1_3repE0EEENS1_30default_config_static_selectorELNS0_4arch9wavefront6targetE1EEEvT1_
                                        ; -- End function
	.section	.AMDGPU.csdata,"",@progbits
; Kernel info:
; codeLenInByte = 0
; NumSgprs: 4
; NumVgprs: 0
; NumAgprs: 0
; TotalNumVgprs: 0
; ScratchSize: 0
; MemoryBound: 0
; FloatMode: 240
; IeeeMode: 1
; LDSByteSize: 0 bytes/workgroup (compile time only)
; SGPRBlocks: 0
; VGPRBlocks: 0
; NumSGPRsForWavesPerEU: 4
; NumVGPRsForWavesPerEU: 1
; AccumOffset: 4
; Occupancy: 8
; WaveLimiterHint : 0
; COMPUTE_PGM_RSRC2:SCRATCH_EN: 0
; COMPUTE_PGM_RSRC2:USER_SGPR: 6
; COMPUTE_PGM_RSRC2:TRAP_HANDLER: 0
; COMPUTE_PGM_RSRC2:TGID_X_EN: 1
; COMPUTE_PGM_RSRC2:TGID_Y_EN: 0
; COMPUTE_PGM_RSRC2:TGID_Z_EN: 0
; COMPUTE_PGM_RSRC2:TIDIG_COMP_CNT: 0
; COMPUTE_PGM_RSRC3_GFX90A:ACCUM_OFFSET: 0
; COMPUTE_PGM_RSRC3_GFX90A:TG_SPLIT: 0
	.section	.text._ZN7rocprim17ROCPRIM_400000_NS6detail17trampoline_kernelINS0_14default_configENS1_25partition_config_selectorILNS1_17partition_subalgoE0EyNS0_10empty_typeEbEEZZNS1_14partition_implILS5_0ELb0ES3_jN6thrust23THRUST_200600_302600_NS6detail15normal_iteratorINSA_10device_ptrIyEEEEPS6_SG_NS0_5tupleIJSF_SF_EEENSH_IJSG_SG_EEES6_PlJ7is_evenIyEEEE10hipError_tPvRmT3_T4_T5_T6_T7_T9_mT8_P12ihipStream_tbDpT10_ENKUlT_T0_E_clISt17integral_constantIbLb1EES15_IbLb0EEEEDaS11_S12_EUlS11_E_NS1_11comp_targetILNS1_3genE0ELNS1_11target_archE4294967295ELNS1_3gpuE0ELNS1_3repE0EEENS1_30default_config_static_selectorELNS0_4arch9wavefront6targetE1EEEvT1_,"axG",@progbits,_ZN7rocprim17ROCPRIM_400000_NS6detail17trampoline_kernelINS0_14default_configENS1_25partition_config_selectorILNS1_17partition_subalgoE0EyNS0_10empty_typeEbEEZZNS1_14partition_implILS5_0ELb0ES3_jN6thrust23THRUST_200600_302600_NS6detail15normal_iteratorINSA_10device_ptrIyEEEEPS6_SG_NS0_5tupleIJSF_SF_EEENSH_IJSG_SG_EEES6_PlJ7is_evenIyEEEE10hipError_tPvRmT3_T4_T5_T6_T7_T9_mT8_P12ihipStream_tbDpT10_ENKUlT_T0_E_clISt17integral_constantIbLb1EES15_IbLb0EEEEDaS11_S12_EUlS11_E_NS1_11comp_targetILNS1_3genE0ELNS1_11target_archE4294967295ELNS1_3gpuE0ELNS1_3repE0EEENS1_30default_config_static_selectorELNS0_4arch9wavefront6targetE1EEEvT1_,comdat
	.protected	_ZN7rocprim17ROCPRIM_400000_NS6detail17trampoline_kernelINS0_14default_configENS1_25partition_config_selectorILNS1_17partition_subalgoE0EyNS0_10empty_typeEbEEZZNS1_14partition_implILS5_0ELb0ES3_jN6thrust23THRUST_200600_302600_NS6detail15normal_iteratorINSA_10device_ptrIyEEEEPS6_SG_NS0_5tupleIJSF_SF_EEENSH_IJSG_SG_EEES6_PlJ7is_evenIyEEEE10hipError_tPvRmT3_T4_T5_T6_T7_T9_mT8_P12ihipStream_tbDpT10_ENKUlT_T0_E_clISt17integral_constantIbLb1EES15_IbLb0EEEEDaS11_S12_EUlS11_E_NS1_11comp_targetILNS1_3genE0ELNS1_11target_archE4294967295ELNS1_3gpuE0ELNS1_3repE0EEENS1_30default_config_static_selectorELNS0_4arch9wavefront6targetE1EEEvT1_ ; -- Begin function _ZN7rocprim17ROCPRIM_400000_NS6detail17trampoline_kernelINS0_14default_configENS1_25partition_config_selectorILNS1_17partition_subalgoE0EyNS0_10empty_typeEbEEZZNS1_14partition_implILS5_0ELb0ES3_jN6thrust23THRUST_200600_302600_NS6detail15normal_iteratorINSA_10device_ptrIyEEEEPS6_SG_NS0_5tupleIJSF_SF_EEENSH_IJSG_SG_EEES6_PlJ7is_evenIyEEEE10hipError_tPvRmT3_T4_T5_T6_T7_T9_mT8_P12ihipStream_tbDpT10_ENKUlT_T0_E_clISt17integral_constantIbLb1EES15_IbLb0EEEEDaS11_S12_EUlS11_E_NS1_11comp_targetILNS1_3genE0ELNS1_11target_archE4294967295ELNS1_3gpuE0ELNS1_3repE0EEENS1_30default_config_static_selectorELNS0_4arch9wavefront6targetE1EEEvT1_
	.globl	_ZN7rocprim17ROCPRIM_400000_NS6detail17trampoline_kernelINS0_14default_configENS1_25partition_config_selectorILNS1_17partition_subalgoE0EyNS0_10empty_typeEbEEZZNS1_14partition_implILS5_0ELb0ES3_jN6thrust23THRUST_200600_302600_NS6detail15normal_iteratorINSA_10device_ptrIyEEEEPS6_SG_NS0_5tupleIJSF_SF_EEENSH_IJSG_SG_EEES6_PlJ7is_evenIyEEEE10hipError_tPvRmT3_T4_T5_T6_T7_T9_mT8_P12ihipStream_tbDpT10_ENKUlT_T0_E_clISt17integral_constantIbLb1EES15_IbLb0EEEEDaS11_S12_EUlS11_E_NS1_11comp_targetILNS1_3genE0ELNS1_11target_archE4294967295ELNS1_3gpuE0ELNS1_3repE0EEENS1_30default_config_static_selectorELNS0_4arch9wavefront6targetE1EEEvT1_
	.p2align	8
	.type	_ZN7rocprim17ROCPRIM_400000_NS6detail17trampoline_kernelINS0_14default_configENS1_25partition_config_selectorILNS1_17partition_subalgoE0EyNS0_10empty_typeEbEEZZNS1_14partition_implILS5_0ELb0ES3_jN6thrust23THRUST_200600_302600_NS6detail15normal_iteratorINSA_10device_ptrIyEEEEPS6_SG_NS0_5tupleIJSF_SF_EEENSH_IJSG_SG_EEES6_PlJ7is_evenIyEEEE10hipError_tPvRmT3_T4_T5_T6_T7_T9_mT8_P12ihipStream_tbDpT10_ENKUlT_T0_E_clISt17integral_constantIbLb1EES15_IbLb0EEEEDaS11_S12_EUlS11_E_NS1_11comp_targetILNS1_3genE0ELNS1_11target_archE4294967295ELNS1_3gpuE0ELNS1_3repE0EEENS1_30default_config_static_selectorELNS0_4arch9wavefront6targetE1EEEvT1_,@function
_ZN7rocprim17ROCPRIM_400000_NS6detail17trampoline_kernelINS0_14default_configENS1_25partition_config_selectorILNS1_17partition_subalgoE0EyNS0_10empty_typeEbEEZZNS1_14partition_implILS5_0ELb0ES3_jN6thrust23THRUST_200600_302600_NS6detail15normal_iteratorINSA_10device_ptrIyEEEEPS6_SG_NS0_5tupleIJSF_SF_EEENSH_IJSG_SG_EEES6_PlJ7is_evenIyEEEE10hipError_tPvRmT3_T4_T5_T6_T7_T9_mT8_P12ihipStream_tbDpT10_ENKUlT_T0_E_clISt17integral_constantIbLb1EES15_IbLb0EEEEDaS11_S12_EUlS11_E_NS1_11comp_targetILNS1_3genE0ELNS1_11target_archE4294967295ELNS1_3gpuE0ELNS1_3repE0EEENS1_30default_config_static_selectorELNS0_4arch9wavefront6targetE1EEEvT1_: ; @_ZN7rocprim17ROCPRIM_400000_NS6detail17trampoline_kernelINS0_14default_configENS1_25partition_config_selectorILNS1_17partition_subalgoE0EyNS0_10empty_typeEbEEZZNS1_14partition_implILS5_0ELb0ES3_jN6thrust23THRUST_200600_302600_NS6detail15normal_iteratorINSA_10device_ptrIyEEEEPS6_SG_NS0_5tupleIJSF_SF_EEENSH_IJSG_SG_EEES6_PlJ7is_evenIyEEEE10hipError_tPvRmT3_T4_T5_T6_T7_T9_mT8_P12ihipStream_tbDpT10_ENKUlT_T0_E_clISt17integral_constantIbLb1EES15_IbLb0EEEEDaS11_S12_EUlS11_E_NS1_11comp_targetILNS1_3genE0ELNS1_11target_archE4294967295ELNS1_3gpuE0ELNS1_3repE0EEENS1_30default_config_static_selectorELNS0_4arch9wavefront6targetE1EEEvT1_
; %bb.0:
	.section	.rodata,"a",@progbits
	.p2align	6, 0x0
	.amdhsa_kernel _ZN7rocprim17ROCPRIM_400000_NS6detail17trampoline_kernelINS0_14default_configENS1_25partition_config_selectorILNS1_17partition_subalgoE0EyNS0_10empty_typeEbEEZZNS1_14partition_implILS5_0ELb0ES3_jN6thrust23THRUST_200600_302600_NS6detail15normal_iteratorINSA_10device_ptrIyEEEEPS6_SG_NS0_5tupleIJSF_SF_EEENSH_IJSG_SG_EEES6_PlJ7is_evenIyEEEE10hipError_tPvRmT3_T4_T5_T6_T7_T9_mT8_P12ihipStream_tbDpT10_ENKUlT_T0_E_clISt17integral_constantIbLb1EES15_IbLb0EEEEDaS11_S12_EUlS11_E_NS1_11comp_targetILNS1_3genE0ELNS1_11target_archE4294967295ELNS1_3gpuE0ELNS1_3repE0EEENS1_30default_config_static_selectorELNS0_4arch9wavefront6targetE1EEEvT1_
		.amdhsa_group_segment_fixed_size 0
		.amdhsa_private_segment_fixed_size 0
		.amdhsa_kernarg_size 120
		.amdhsa_user_sgpr_count 6
		.amdhsa_user_sgpr_private_segment_buffer 1
		.amdhsa_user_sgpr_dispatch_ptr 0
		.amdhsa_user_sgpr_queue_ptr 0
		.amdhsa_user_sgpr_kernarg_segment_ptr 1
		.amdhsa_user_sgpr_dispatch_id 0
		.amdhsa_user_sgpr_flat_scratch_init 0
		.amdhsa_user_sgpr_kernarg_preload_length 0
		.amdhsa_user_sgpr_kernarg_preload_offset 0
		.amdhsa_user_sgpr_private_segment_size 0
		.amdhsa_uses_dynamic_stack 0
		.amdhsa_system_sgpr_private_segment_wavefront_offset 0
		.amdhsa_system_sgpr_workgroup_id_x 1
		.amdhsa_system_sgpr_workgroup_id_y 0
		.amdhsa_system_sgpr_workgroup_id_z 0
		.amdhsa_system_sgpr_workgroup_info 0
		.amdhsa_system_vgpr_workitem_id 0
		.amdhsa_next_free_vgpr 1
		.amdhsa_next_free_sgpr 0
		.amdhsa_accum_offset 4
		.amdhsa_reserve_vcc 0
		.amdhsa_reserve_flat_scratch 0
		.amdhsa_float_round_mode_32 0
		.amdhsa_float_round_mode_16_64 0
		.amdhsa_float_denorm_mode_32 3
		.amdhsa_float_denorm_mode_16_64 3
		.amdhsa_dx10_clamp 1
		.amdhsa_ieee_mode 1
		.amdhsa_fp16_overflow 0
		.amdhsa_tg_split 0
		.amdhsa_exception_fp_ieee_invalid_op 0
		.amdhsa_exception_fp_denorm_src 0
		.amdhsa_exception_fp_ieee_div_zero 0
		.amdhsa_exception_fp_ieee_overflow 0
		.amdhsa_exception_fp_ieee_underflow 0
		.amdhsa_exception_fp_ieee_inexact 0
		.amdhsa_exception_int_div_zero 0
	.end_amdhsa_kernel
	.section	.text._ZN7rocprim17ROCPRIM_400000_NS6detail17trampoline_kernelINS0_14default_configENS1_25partition_config_selectorILNS1_17partition_subalgoE0EyNS0_10empty_typeEbEEZZNS1_14partition_implILS5_0ELb0ES3_jN6thrust23THRUST_200600_302600_NS6detail15normal_iteratorINSA_10device_ptrIyEEEEPS6_SG_NS0_5tupleIJSF_SF_EEENSH_IJSG_SG_EEES6_PlJ7is_evenIyEEEE10hipError_tPvRmT3_T4_T5_T6_T7_T9_mT8_P12ihipStream_tbDpT10_ENKUlT_T0_E_clISt17integral_constantIbLb1EES15_IbLb0EEEEDaS11_S12_EUlS11_E_NS1_11comp_targetILNS1_3genE0ELNS1_11target_archE4294967295ELNS1_3gpuE0ELNS1_3repE0EEENS1_30default_config_static_selectorELNS0_4arch9wavefront6targetE1EEEvT1_,"axG",@progbits,_ZN7rocprim17ROCPRIM_400000_NS6detail17trampoline_kernelINS0_14default_configENS1_25partition_config_selectorILNS1_17partition_subalgoE0EyNS0_10empty_typeEbEEZZNS1_14partition_implILS5_0ELb0ES3_jN6thrust23THRUST_200600_302600_NS6detail15normal_iteratorINSA_10device_ptrIyEEEEPS6_SG_NS0_5tupleIJSF_SF_EEENSH_IJSG_SG_EEES6_PlJ7is_evenIyEEEE10hipError_tPvRmT3_T4_T5_T6_T7_T9_mT8_P12ihipStream_tbDpT10_ENKUlT_T0_E_clISt17integral_constantIbLb1EES15_IbLb0EEEEDaS11_S12_EUlS11_E_NS1_11comp_targetILNS1_3genE0ELNS1_11target_archE4294967295ELNS1_3gpuE0ELNS1_3repE0EEENS1_30default_config_static_selectorELNS0_4arch9wavefront6targetE1EEEvT1_,comdat
.Lfunc_end2120:
	.size	_ZN7rocprim17ROCPRIM_400000_NS6detail17trampoline_kernelINS0_14default_configENS1_25partition_config_selectorILNS1_17partition_subalgoE0EyNS0_10empty_typeEbEEZZNS1_14partition_implILS5_0ELb0ES3_jN6thrust23THRUST_200600_302600_NS6detail15normal_iteratorINSA_10device_ptrIyEEEEPS6_SG_NS0_5tupleIJSF_SF_EEENSH_IJSG_SG_EEES6_PlJ7is_evenIyEEEE10hipError_tPvRmT3_T4_T5_T6_T7_T9_mT8_P12ihipStream_tbDpT10_ENKUlT_T0_E_clISt17integral_constantIbLb1EES15_IbLb0EEEEDaS11_S12_EUlS11_E_NS1_11comp_targetILNS1_3genE0ELNS1_11target_archE4294967295ELNS1_3gpuE0ELNS1_3repE0EEENS1_30default_config_static_selectorELNS0_4arch9wavefront6targetE1EEEvT1_, .Lfunc_end2120-_ZN7rocprim17ROCPRIM_400000_NS6detail17trampoline_kernelINS0_14default_configENS1_25partition_config_selectorILNS1_17partition_subalgoE0EyNS0_10empty_typeEbEEZZNS1_14partition_implILS5_0ELb0ES3_jN6thrust23THRUST_200600_302600_NS6detail15normal_iteratorINSA_10device_ptrIyEEEEPS6_SG_NS0_5tupleIJSF_SF_EEENSH_IJSG_SG_EEES6_PlJ7is_evenIyEEEE10hipError_tPvRmT3_T4_T5_T6_T7_T9_mT8_P12ihipStream_tbDpT10_ENKUlT_T0_E_clISt17integral_constantIbLb1EES15_IbLb0EEEEDaS11_S12_EUlS11_E_NS1_11comp_targetILNS1_3genE0ELNS1_11target_archE4294967295ELNS1_3gpuE0ELNS1_3repE0EEENS1_30default_config_static_selectorELNS0_4arch9wavefront6targetE1EEEvT1_
                                        ; -- End function
	.section	.AMDGPU.csdata,"",@progbits
; Kernel info:
; codeLenInByte = 0
; NumSgprs: 4
; NumVgprs: 0
; NumAgprs: 0
; TotalNumVgprs: 0
; ScratchSize: 0
; MemoryBound: 0
; FloatMode: 240
; IeeeMode: 1
; LDSByteSize: 0 bytes/workgroup (compile time only)
; SGPRBlocks: 0
; VGPRBlocks: 0
; NumSGPRsForWavesPerEU: 4
; NumVGPRsForWavesPerEU: 1
; AccumOffset: 4
; Occupancy: 8
; WaveLimiterHint : 0
; COMPUTE_PGM_RSRC2:SCRATCH_EN: 0
; COMPUTE_PGM_RSRC2:USER_SGPR: 6
; COMPUTE_PGM_RSRC2:TRAP_HANDLER: 0
; COMPUTE_PGM_RSRC2:TGID_X_EN: 1
; COMPUTE_PGM_RSRC2:TGID_Y_EN: 0
; COMPUTE_PGM_RSRC2:TGID_Z_EN: 0
; COMPUTE_PGM_RSRC2:TIDIG_COMP_CNT: 0
; COMPUTE_PGM_RSRC3_GFX90A:ACCUM_OFFSET: 0
; COMPUTE_PGM_RSRC3_GFX90A:TG_SPLIT: 0
	.section	.text._ZN7rocprim17ROCPRIM_400000_NS6detail17trampoline_kernelINS0_14default_configENS1_25partition_config_selectorILNS1_17partition_subalgoE0EyNS0_10empty_typeEbEEZZNS1_14partition_implILS5_0ELb0ES3_jN6thrust23THRUST_200600_302600_NS6detail15normal_iteratorINSA_10device_ptrIyEEEEPS6_SG_NS0_5tupleIJSF_SF_EEENSH_IJSG_SG_EEES6_PlJ7is_evenIyEEEE10hipError_tPvRmT3_T4_T5_T6_T7_T9_mT8_P12ihipStream_tbDpT10_ENKUlT_T0_E_clISt17integral_constantIbLb1EES15_IbLb0EEEEDaS11_S12_EUlS11_E_NS1_11comp_targetILNS1_3genE5ELNS1_11target_archE942ELNS1_3gpuE9ELNS1_3repE0EEENS1_30default_config_static_selectorELNS0_4arch9wavefront6targetE1EEEvT1_,"axG",@progbits,_ZN7rocprim17ROCPRIM_400000_NS6detail17trampoline_kernelINS0_14default_configENS1_25partition_config_selectorILNS1_17partition_subalgoE0EyNS0_10empty_typeEbEEZZNS1_14partition_implILS5_0ELb0ES3_jN6thrust23THRUST_200600_302600_NS6detail15normal_iteratorINSA_10device_ptrIyEEEEPS6_SG_NS0_5tupleIJSF_SF_EEENSH_IJSG_SG_EEES6_PlJ7is_evenIyEEEE10hipError_tPvRmT3_T4_T5_T6_T7_T9_mT8_P12ihipStream_tbDpT10_ENKUlT_T0_E_clISt17integral_constantIbLb1EES15_IbLb0EEEEDaS11_S12_EUlS11_E_NS1_11comp_targetILNS1_3genE5ELNS1_11target_archE942ELNS1_3gpuE9ELNS1_3repE0EEENS1_30default_config_static_selectorELNS0_4arch9wavefront6targetE1EEEvT1_,comdat
	.protected	_ZN7rocprim17ROCPRIM_400000_NS6detail17trampoline_kernelINS0_14default_configENS1_25partition_config_selectorILNS1_17partition_subalgoE0EyNS0_10empty_typeEbEEZZNS1_14partition_implILS5_0ELb0ES3_jN6thrust23THRUST_200600_302600_NS6detail15normal_iteratorINSA_10device_ptrIyEEEEPS6_SG_NS0_5tupleIJSF_SF_EEENSH_IJSG_SG_EEES6_PlJ7is_evenIyEEEE10hipError_tPvRmT3_T4_T5_T6_T7_T9_mT8_P12ihipStream_tbDpT10_ENKUlT_T0_E_clISt17integral_constantIbLb1EES15_IbLb0EEEEDaS11_S12_EUlS11_E_NS1_11comp_targetILNS1_3genE5ELNS1_11target_archE942ELNS1_3gpuE9ELNS1_3repE0EEENS1_30default_config_static_selectorELNS0_4arch9wavefront6targetE1EEEvT1_ ; -- Begin function _ZN7rocprim17ROCPRIM_400000_NS6detail17trampoline_kernelINS0_14default_configENS1_25partition_config_selectorILNS1_17partition_subalgoE0EyNS0_10empty_typeEbEEZZNS1_14partition_implILS5_0ELb0ES3_jN6thrust23THRUST_200600_302600_NS6detail15normal_iteratorINSA_10device_ptrIyEEEEPS6_SG_NS0_5tupleIJSF_SF_EEENSH_IJSG_SG_EEES6_PlJ7is_evenIyEEEE10hipError_tPvRmT3_T4_T5_T6_T7_T9_mT8_P12ihipStream_tbDpT10_ENKUlT_T0_E_clISt17integral_constantIbLb1EES15_IbLb0EEEEDaS11_S12_EUlS11_E_NS1_11comp_targetILNS1_3genE5ELNS1_11target_archE942ELNS1_3gpuE9ELNS1_3repE0EEENS1_30default_config_static_selectorELNS0_4arch9wavefront6targetE1EEEvT1_
	.globl	_ZN7rocprim17ROCPRIM_400000_NS6detail17trampoline_kernelINS0_14default_configENS1_25partition_config_selectorILNS1_17partition_subalgoE0EyNS0_10empty_typeEbEEZZNS1_14partition_implILS5_0ELb0ES3_jN6thrust23THRUST_200600_302600_NS6detail15normal_iteratorINSA_10device_ptrIyEEEEPS6_SG_NS0_5tupleIJSF_SF_EEENSH_IJSG_SG_EEES6_PlJ7is_evenIyEEEE10hipError_tPvRmT3_T4_T5_T6_T7_T9_mT8_P12ihipStream_tbDpT10_ENKUlT_T0_E_clISt17integral_constantIbLb1EES15_IbLb0EEEEDaS11_S12_EUlS11_E_NS1_11comp_targetILNS1_3genE5ELNS1_11target_archE942ELNS1_3gpuE9ELNS1_3repE0EEENS1_30default_config_static_selectorELNS0_4arch9wavefront6targetE1EEEvT1_
	.p2align	8
	.type	_ZN7rocprim17ROCPRIM_400000_NS6detail17trampoline_kernelINS0_14default_configENS1_25partition_config_selectorILNS1_17partition_subalgoE0EyNS0_10empty_typeEbEEZZNS1_14partition_implILS5_0ELb0ES3_jN6thrust23THRUST_200600_302600_NS6detail15normal_iteratorINSA_10device_ptrIyEEEEPS6_SG_NS0_5tupleIJSF_SF_EEENSH_IJSG_SG_EEES6_PlJ7is_evenIyEEEE10hipError_tPvRmT3_T4_T5_T6_T7_T9_mT8_P12ihipStream_tbDpT10_ENKUlT_T0_E_clISt17integral_constantIbLb1EES15_IbLb0EEEEDaS11_S12_EUlS11_E_NS1_11comp_targetILNS1_3genE5ELNS1_11target_archE942ELNS1_3gpuE9ELNS1_3repE0EEENS1_30default_config_static_selectorELNS0_4arch9wavefront6targetE1EEEvT1_,@function
_ZN7rocprim17ROCPRIM_400000_NS6detail17trampoline_kernelINS0_14default_configENS1_25partition_config_selectorILNS1_17partition_subalgoE0EyNS0_10empty_typeEbEEZZNS1_14partition_implILS5_0ELb0ES3_jN6thrust23THRUST_200600_302600_NS6detail15normal_iteratorINSA_10device_ptrIyEEEEPS6_SG_NS0_5tupleIJSF_SF_EEENSH_IJSG_SG_EEES6_PlJ7is_evenIyEEEE10hipError_tPvRmT3_T4_T5_T6_T7_T9_mT8_P12ihipStream_tbDpT10_ENKUlT_T0_E_clISt17integral_constantIbLb1EES15_IbLb0EEEEDaS11_S12_EUlS11_E_NS1_11comp_targetILNS1_3genE5ELNS1_11target_archE942ELNS1_3gpuE9ELNS1_3repE0EEENS1_30default_config_static_selectorELNS0_4arch9wavefront6targetE1EEEvT1_: ; @_ZN7rocprim17ROCPRIM_400000_NS6detail17trampoline_kernelINS0_14default_configENS1_25partition_config_selectorILNS1_17partition_subalgoE0EyNS0_10empty_typeEbEEZZNS1_14partition_implILS5_0ELb0ES3_jN6thrust23THRUST_200600_302600_NS6detail15normal_iteratorINSA_10device_ptrIyEEEEPS6_SG_NS0_5tupleIJSF_SF_EEENSH_IJSG_SG_EEES6_PlJ7is_evenIyEEEE10hipError_tPvRmT3_T4_T5_T6_T7_T9_mT8_P12ihipStream_tbDpT10_ENKUlT_T0_E_clISt17integral_constantIbLb1EES15_IbLb0EEEEDaS11_S12_EUlS11_E_NS1_11comp_targetILNS1_3genE5ELNS1_11target_archE942ELNS1_3gpuE9ELNS1_3repE0EEENS1_30default_config_static_selectorELNS0_4arch9wavefront6targetE1EEEvT1_
; %bb.0:
	.section	.rodata,"a",@progbits
	.p2align	6, 0x0
	.amdhsa_kernel _ZN7rocprim17ROCPRIM_400000_NS6detail17trampoline_kernelINS0_14default_configENS1_25partition_config_selectorILNS1_17partition_subalgoE0EyNS0_10empty_typeEbEEZZNS1_14partition_implILS5_0ELb0ES3_jN6thrust23THRUST_200600_302600_NS6detail15normal_iteratorINSA_10device_ptrIyEEEEPS6_SG_NS0_5tupleIJSF_SF_EEENSH_IJSG_SG_EEES6_PlJ7is_evenIyEEEE10hipError_tPvRmT3_T4_T5_T6_T7_T9_mT8_P12ihipStream_tbDpT10_ENKUlT_T0_E_clISt17integral_constantIbLb1EES15_IbLb0EEEEDaS11_S12_EUlS11_E_NS1_11comp_targetILNS1_3genE5ELNS1_11target_archE942ELNS1_3gpuE9ELNS1_3repE0EEENS1_30default_config_static_selectorELNS0_4arch9wavefront6targetE1EEEvT1_
		.amdhsa_group_segment_fixed_size 0
		.amdhsa_private_segment_fixed_size 0
		.amdhsa_kernarg_size 120
		.amdhsa_user_sgpr_count 6
		.amdhsa_user_sgpr_private_segment_buffer 1
		.amdhsa_user_sgpr_dispatch_ptr 0
		.amdhsa_user_sgpr_queue_ptr 0
		.amdhsa_user_sgpr_kernarg_segment_ptr 1
		.amdhsa_user_sgpr_dispatch_id 0
		.amdhsa_user_sgpr_flat_scratch_init 0
		.amdhsa_user_sgpr_kernarg_preload_length 0
		.amdhsa_user_sgpr_kernarg_preload_offset 0
		.amdhsa_user_sgpr_private_segment_size 0
		.amdhsa_uses_dynamic_stack 0
		.amdhsa_system_sgpr_private_segment_wavefront_offset 0
		.amdhsa_system_sgpr_workgroup_id_x 1
		.amdhsa_system_sgpr_workgroup_id_y 0
		.amdhsa_system_sgpr_workgroup_id_z 0
		.amdhsa_system_sgpr_workgroup_info 0
		.amdhsa_system_vgpr_workitem_id 0
		.amdhsa_next_free_vgpr 1
		.amdhsa_next_free_sgpr 0
		.amdhsa_accum_offset 4
		.amdhsa_reserve_vcc 0
		.amdhsa_reserve_flat_scratch 0
		.amdhsa_float_round_mode_32 0
		.amdhsa_float_round_mode_16_64 0
		.amdhsa_float_denorm_mode_32 3
		.amdhsa_float_denorm_mode_16_64 3
		.amdhsa_dx10_clamp 1
		.amdhsa_ieee_mode 1
		.amdhsa_fp16_overflow 0
		.amdhsa_tg_split 0
		.amdhsa_exception_fp_ieee_invalid_op 0
		.amdhsa_exception_fp_denorm_src 0
		.amdhsa_exception_fp_ieee_div_zero 0
		.amdhsa_exception_fp_ieee_overflow 0
		.amdhsa_exception_fp_ieee_underflow 0
		.amdhsa_exception_fp_ieee_inexact 0
		.amdhsa_exception_int_div_zero 0
	.end_amdhsa_kernel
	.section	.text._ZN7rocprim17ROCPRIM_400000_NS6detail17trampoline_kernelINS0_14default_configENS1_25partition_config_selectorILNS1_17partition_subalgoE0EyNS0_10empty_typeEbEEZZNS1_14partition_implILS5_0ELb0ES3_jN6thrust23THRUST_200600_302600_NS6detail15normal_iteratorINSA_10device_ptrIyEEEEPS6_SG_NS0_5tupleIJSF_SF_EEENSH_IJSG_SG_EEES6_PlJ7is_evenIyEEEE10hipError_tPvRmT3_T4_T5_T6_T7_T9_mT8_P12ihipStream_tbDpT10_ENKUlT_T0_E_clISt17integral_constantIbLb1EES15_IbLb0EEEEDaS11_S12_EUlS11_E_NS1_11comp_targetILNS1_3genE5ELNS1_11target_archE942ELNS1_3gpuE9ELNS1_3repE0EEENS1_30default_config_static_selectorELNS0_4arch9wavefront6targetE1EEEvT1_,"axG",@progbits,_ZN7rocprim17ROCPRIM_400000_NS6detail17trampoline_kernelINS0_14default_configENS1_25partition_config_selectorILNS1_17partition_subalgoE0EyNS0_10empty_typeEbEEZZNS1_14partition_implILS5_0ELb0ES3_jN6thrust23THRUST_200600_302600_NS6detail15normal_iteratorINSA_10device_ptrIyEEEEPS6_SG_NS0_5tupleIJSF_SF_EEENSH_IJSG_SG_EEES6_PlJ7is_evenIyEEEE10hipError_tPvRmT3_T4_T5_T6_T7_T9_mT8_P12ihipStream_tbDpT10_ENKUlT_T0_E_clISt17integral_constantIbLb1EES15_IbLb0EEEEDaS11_S12_EUlS11_E_NS1_11comp_targetILNS1_3genE5ELNS1_11target_archE942ELNS1_3gpuE9ELNS1_3repE0EEENS1_30default_config_static_selectorELNS0_4arch9wavefront6targetE1EEEvT1_,comdat
.Lfunc_end2121:
	.size	_ZN7rocprim17ROCPRIM_400000_NS6detail17trampoline_kernelINS0_14default_configENS1_25partition_config_selectorILNS1_17partition_subalgoE0EyNS0_10empty_typeEbEEZZNS1_14partition_implILS5_0ELb0ES3_jN6thrust23THRUST_200600_302600_NS6detail15normal_iteratorINSA_10device_ptrIyEEEEPS6_SG_NS0_5tupleIJSF_SF_EEENSH_IJSG_SG_EEES6_PlJ7is_evenIyEEEE10hipError_tPvRmT3_T4_T5_T6_T7_T9_mT8_P12ihipStream_tbDpT10_ENKUlT_T0_E_clISt17integral_constantIbLb1EES15_IbLb0EEEEDaS11_S12_EUlS11_E_NS1_11comp_targetILNS1_3genE5ELNS1_11target_archE942ELNS1_3gpuE9ELNS1_3repE0EEENS1_30default_config_static_selectorELNS0_4arch9wavefront6targetE1EEEvT1_, .Lfunc_end2121-_ZN7rocprim17ROCPRIM_400000_NS6detail17trampoline_kernelINS0_14default_configENS1_25partition_config_selectorILNS1_17partition_subalgoE0EyNS0_10empty_typeEbEEZZNS1_14partition_implILS5_0ELb0ES3_jN6thrust23THRUST_200600_302600_NS6detail15normal_iteratorINSA_10device_ptrIyEEEEPS6_SG_NS0_5tupleIJSF_SF_EEENSH_IJSG_SG_EEES6_PlJ7is_evenIyEEEE10hipError_tPvRmT3_T4_T5_T6_T7_T9_mT8_P12ihipStream_tbDpT10_ENKUlT_T0_E_clISt17integral_constantIbLb1EES15_IbLb0EEEEDaS11_S12_EUlS11_E_NS1_11comp_targetILNS1_3genE5ELNS1_11target_archE942ELNS1_3gpuE9ELNS1_3repE0EEENS1_30default_config_static_selectorELNS0_4arch9wavefront6targetE1EEEvT1_
                                        ; -- End function
	.section	.AMDGPU.csdata,"",@progbits
; Kernel info:
; codeLenInByte = 0
; NumSgprs: 4
; NumVgprs: 0
; NumAgprs: 0
; TotalNumVgprs: 0
; ScratchSize: 0
; MemoryBound: 0
; FloatMode: 240
; IeeeMode: 1
; LDSByteSize: 0 bytes/workgroup (compile time only)
; SGPRBlocks: 0
; VGPRBlocks: 0
; NumSGPRsForWavesPerEU: 4
; NumVGPRsForWavesPerEU: 1
; AccumOffset: 4
; Occupancy: 8
; WaveLimiterHint : 0
; COMPUTE_PGM_RSRC2:SCRATCH_EN: 0
; COMPUTE_PGM_RSRC2:USER_SGPR: 6
; COMPUTE_PGM_RSRC2:TRAP_HANDLER: 0
; COMPUTE_PGM_RSRC2:TGID_X_EN: 1
; COMPUTE_PGM_RSRC2:TGID_Y_EN: 0
; COMPUTE_PGM_RSRC2:TGID_Z_EN: 0
; COMPUTE_PGM_RSRC2:TIDIG_COMP_CNT: 0
; COMPUTE_PGM_RSRC3_GFX90A:ACCUM_OFFSET: 0
; COMPUTE_PGM_RSRC3_GFX90A:TG_SPLIT: 0
	.section	.text._ZN7rocprim17ROCPRIM_400000_NS6detail17trampoline_kernelINS0_14default_configENS1_25partition_config_selectorILNS1_17partition_subalgoE0EyNS0_10empty_typeEbEEZZNS1_14partition_implILS5_0ELb0ES3_jN6thrust23THRUST_200600_302600_NS6detail15normal_iteratorINSA_10device_ptrIyEEEEPS6_SG_NS0_5tupleIJSF_SF_EEENSH_IJSG_SG_EEES6_PlJ7is_evenIyEEEE10hipError_tPvRmT3_T4_T5_T6_T7_T9_mT8_P12ihipStream_tbDpT10_ENKUlT_T0_E_clISt17integral_constantIbLb1EES15_IbLb0EEEEDaS11_S12_EUlS11_E_NS1_11comp_targetILNS1_3genE4ELNS1_11target_archE910ELNS1_3gpuE8ELNS1_3repE0EEENS1_30default_config_static_selectorELNS0_4arch9wavefront6targetE1EEEvT1_,"axG",@progbits,_ZN7rocprim17ROCPRIM_400000_NS6detail17trampoline_kernelINS0_14default_configENS1_25partition_config_selectorILNS1_17partition_subalgoE0EyNS0_10empty_typeEbEEZZNS1_14partition_implILS5_0ELb0ES3_jN6thrust23THRUST_200600_302600_NS6detail15normal_iteratorINSA_10device_ptrIyEEEEPS6_SG_NS0_5tupleIJSF_SF_EEENSH_IJSG_SG_EEES6_PlJ7is_evenIyEEEE10hipError_tPvRmT3_T4_T5_T6_T7_T9_mT8_P12ihipStream_tbDpT10_ENKUlT_T0_E_clISt17integral_constantIbLb1EES15_IbLb0EEEEDaS11_S12_EUlS11_E_NS1_11comp_targetILNS1_3genE4ELNS1_11target_archE910ELNS1_3gpuE8ELNS1_3repE0EEENS1_30default_config_static_selectorELNS0_4arch9wavefront6targetE1EEEvT1_,comdat
	.protected	_ZN7rocprim17ROCPRIM_400000_NS6detail17trampoline_kernelINS0_14default_configENS1_25partition_config_selectorILNS1_17partition_subalgoE0EyNS0_10empty_typeEbEEZZNS1_14partition_implILS5_0ELb0ES3_jN6thrust23THRUST_200600_302600_NS6detail15normal_iteratorINSA_10device_ptrIyEEEEPS6_SG_NS0_5tupleIJSF_SF_EEENSH_IJSG_SG_EEES6_PlJ7is_evenIyEEEE10hipError_tPvRmT3_T4_T5_T6_T7_T9_mT8_P12ihipStream_tbDpT10_ENKUlT_T0_E_clISt17integral_constantIbLb1EES15_IbLb0EEEEDaS11_S12_EUlS11_E_NS1_11comp_targetILNS1_3genE4ELNS1_11target_archE910ELNS1_3gpuE8ELNS1_3repE0EEENS1_30default_config_static_selectorELNS0_4arch9wavefront6targetE1EEEvT1_ ; -- Begin function _ZN7rocprim17ROCPRIM_400000_NS6detail17trampoline_kernelINS0_14default_configENS1_25partition_config_selectorILNS1_17partition_subalgoE0EyNS0_10empty_typeEbEEZZNS1_14partition_implILS5_0ELb0ES3_jN6thrust23THRUST_200600_302600_NS6detail15normal_iteratorINSA_10device_ptrIyEEEEPS6_SG_NS0_5tupleIJSF_SF_EEENSH_IJSG_SG_EEES6_PlJ7is_evenIyEEEE10hipError_tPvRmT3_T4_T5_T6_T7_T9_mT8_P12ihipStream_tbDpT10_ENKUlT_T0_E_clISt17integral_constantIbLb1EES15_IbLb0EEEEDaS11_S12_EUlS11_E_NS1_11comp_targetILNS1_3genE4ELNS1_11target_archE910ELNS1_3gpuE8ELNS1_3repE0EEENS1_30default_config_static_selectorELNS0_4arch9wavefront6targetE1EEEvT1_
	.globl	_ZN7rocprim17ROCPRIM_400000_NS6detail17trampoline_kernelINS0_14default_configENS1_25partition_config_selectorILNS1_17partition_subalgoE0EyNS0_10empty_typeEbEEZZNS1_14partition_implILS5_0ELb0ES3_jN6thrust23THRUST_200600_302600_NS6detail15normal_iteratorINSA_10device_ptrIyEEEEPS6_SG_NS0_5tupleIJSF_SF_EEENSH_IJSG_SG_EEES6_PlJ7is_evenIyEEEE10hipError_tPvRmT3_T4_T5_T6_T7_T9_mT8_P12ihipStream_tbDpT10_ENKUlT_T0_E_clISt17integral_constantIbLb1EES15_IbLb0EEEEDaS11_S12_EUlS11_E_NS1_11comp_targetILNS1_3genE4ELNS1_11target_archE910ELNS1_3gpuE8ELNS1_3repE0EEENS1_30default_config_static_selectorELNS0_4arch9wavefront6targetE1EEEvT1_
	.p2align	8
	.type	_ZN7rocprim17ROCPRIM_400000_NS6detail17trampoline_kernelINS0_14default_configENS1_25partition_config_selectorILNS1_17partition_subalgoE0EyNS0_10empty_typeEbEEZZNS1_14partition_implILS5_0ELb0ES3_jN6thrust23THRUST_200600_302600_NS6detail15normal_iteratorINSA_10device_ptrIyEEEEPS6_SG_NS0_5tupleIJSF_SF_EEENSH_IJSG_SG_EEES6_PlJ7is_evenIyEEEE10hipError_tPvRmT3_T4_T5_T6_T7_T9_mT8_P12ihipStream_tbDpT10_ENKUlT_T0_E_clISt17integral_constantIbLb1EES15_IbLb0EEEEDaS11_S12_EUlS11_E_NS1_11comp_targetILNS1_3genE4ELNS1_11target_archE910ELNS1_3gpuE8ELNS1_3repE0EEENS1_30default_config_static_selectorELNS0_4arch9wavefront6targetE1EEEvT1_,@function
_ZN7rocprim17ROCPRIM_400000_NS6detail17trampoline_kernelINS0_14default_configENS1_25partition_config_selectorILNS1_17partition_subalgoE0EyNS0_10empty_typeEbEEZZNS1_14partition_implILS5_0ELb0ES3_jN6thrust23THRUST_200600_302600_NS6detail15normal_iteratorINSA_10device_ptrIyEEEEPS6_SG_NS0_5tupleIJSF_SF_EEENSH_IJSG_SG_EEES6_PlJ7is_evenIyEEEE10hipError_tPvRmT3_T4_T5_T6_T7_T9_mT8_P12ihipStream_tbDpT10_ENKUlT_T0_E_clISt17integral_constantIbLb1EES15_IbLb0EEEEDaS11_S12_EUlS11_E_NS1_11comp_targetILNS1_3genE4ELNS1_11target_archE910ELNS1_3gpuE8ELNS1_3repE0EEENS1_30default_config_static_selectorELNS0_4arch9wavefront6targetE1EEEvT1_: ; @_ZN7rocprim17ROCPRIM_400000_NS6detail17trampoline_kernelINS0_14default_configENS1_25partition_config_selectorILNS1_17partition_subalgoE0EyNS0_10empty_typeEbEEZZNS1_14partition_implILS5_0ELb0ES3_jN6thrust23THRUST_200600_302600_NS6detail15normal_iteratorINSA_10device_ptrIyEEEEPS6_SG_NS0_5tupleIJSF_SF_EEENSH_IJSG_SG_EEES6_PlJ7is_evenIyEEEE10hipError_tPvRmT3_T4_T5_T6_T7_T9_mT8_P12ihipStream_tbDpT10_ENKUlT_T0_E_clISt17integral_constantIbLb1EES15_IbLb0EEEEDaS11_S12_EUlS11_E_NS1_11comp_targetILNS1_3genE4ELNS1_11target_archE910ELNS1_3gpuE8ELNS1_3repE0EEENS1_30default_config_static_selectorELNS0_4arch9wavefront6targetE1EEEvT1_
; %bb.0:
	s_load_dwordx2 s[0:1], s[4:5], 0x58
	s_load_dwordx4 s[20:23], s[4:5], 0x8
	s_load_dwordx4 s[24:27], s[4:5], 0x48
	s_load_dword s7, s[4:5], 0x70
	s_mul_i32 s8, s6, 0x300
	s_waitcnt lgkmcnt(0)
	v_mov_b32_e32 v3, s1
	s_lshl_b64 s[2:3], s[22:23], 3
	s_add_u32 s10, s20, s2
	s_mul_i32 s1, s7, 0x300
	s_addc_u32 s11, s21, s3
	s_add_i32 s3, s1, s22
	s_sub_i32 s33, s0, s3
	s_add_i32 s2, s7, -1
	s_addk_i32 s33, 0x300
	v_mov_b32_e32 v2, s0
	s_add_u32 s0, s22, s1
	s_addc_u32 s1, s23, 0
	s_cmp_eq_u32 s6, s2
	s_load_dwordx2 s[30:31], s[26:27], 0x0
	s_cselect_b64 s[26:27], -1, 0
	s_cmp_lg_u32 s6, s2
	s_mov_b32 s9, 0
	v_cmp_lt_u64_e32 vcc, s[0:1], v[2:3]
	s_cselect_b64 s[0:1], -1, 0
	s_or_b64 s[2:3], s[0:1], vcc
	s_lshl_b64 s[28:29], s[8:9], 3
	s_add_u32 s7, s10, s28
	s_addc_u32 s10, s11, s29
	s_mov_b64 s[0:1], -1
	s_and_b64 vcc, exec, s[2:3]
	v_lshlrev_b32_e32 v1, 3, v0
	v_lshrrev_b32_e32 v10, 2, v0
	s_cbranch_vccz .LBB2122_2
; %bb.1:
	v_mov_b32_e32 v3, s10
	v_add_co_u32_e32 v2, vcc, s7, v1
	v_addc_co_u32_e32 v3, vcc, 0, v3, vcc
	v_add_co_u32_e32 v4, vcc, 0x1000, v2
	v_addc_co_u32_e32 v5, vcc, 0, v3, vcc
	flat_load_dwordx2 v[6:7], v[2:3]
	flat_load_dwordx2 v[8:9], v[2:3] offset:1536
	flat_load_dwordx2 v[12:13], v[2:3] offset:3072
	;; [unrolled: 1-line block ×3, first 2 shown]
	v_add_u32_e32 v3, 0xc0, v0
	v_add_u32_e32 v4, 0x180, v0
	;; [unrolled: 1-line block ×3, first 2 shown]
	v_and_b32_e32 v2, 56, v10
	v_lshrrev_b32_e32 v3, 2, v3
	v_lshrrev_b32_e32 v4, 2, v4
	;; [unrolled: 1-line block ×3, first 2 shown]
	v_add_u32_e32 v2, v2, v1
	v_and_b32_e32 v3, 0x78, v3
	v_and_b32_e32 v4, 0xf8, v4
	;; [unrolled: 1-line block ×3, first 2 shown]
	v_add_u32_e32 v3, v3, v1
	v_add_u32_e32 v4, v4, v1
	;; [unrolled: 1-line block ×3, first 2 shown]
	s_mov_b64 s[0:1], 0
	s_waitcnt vmcnt(0) lgkmcnt(0)
	ds_write_b64 v2, v[6:7]
	ds_write_b64 v3, v[8:9] offset:1536
	ds_write_b64 v4, v[12:13] offset:3072
	;; [unrolled: 1-line block ×3, first 2 shown]
	s_waitcnt lgkmcnt(0)
	s_barrier
.LBB2122_2:
	s_andn2_b64 vcc, exec, s[0:1]
	v_cmp_gt_u32_e64 s[0:1], s33, v0
	s_cbranch_vccnz .LBB2122_12
; %bb.3:
                                        ; implicit-def: $vgpr2_vgpr3_vgpr4_vgpr5_vgpr6_vgpr7_vgpr8_vgpr9
	s_and_saveexec_b64 s[8:9], s[0:1]
	s_cbranch_execz .LBB2122_5
; %bb.4:
	v_mov_b32_e32 v3, s10
	v_add_co_u32_e32 v2, vcc, s7, v1
	v_addc_co_u32_e32 v3, vcc, 0, v3, vcc
	flat_load_dwordx2 v[2:3], v[2:3]
.LBB2122_5:
	s_or_b64 exec, exec, s[8:9]
	v_add_u32_e32 v11, 0xc0, v0
	v_cmp_gt_u32_e32 vcc, s33, v11
	s_and_saveexec_b64 s[0:1], vcc
	s_cbranch_execz .LBB2122_7
; %bb.6:
	v_mov_b32_e32 v5, s10
	v_add_co_u32_e32 v4, vcc, s7, v1
	v_addc_co_u32_e32 v5, vcc, 0, v5, vcc
	flat_load_dwordx2 v[4:5], v[4:5] offset:1536
.LBB2122_7:
	s_or_b64 exec, exec, s[0:1]
	v_add_u32_e32 v12, 0x180, v0
	v_cmp_gt_u32_e32 vcc, s33, v12
	s_and_saveexec_b64 s[0:1], vcc
	s_cbranch_execz .LBB2122_9
; %bb.8:
	v_mov_b32_e32 v7, s10
	v_add_co_u32_e32 v6, vcc, s7, v1
	v_addc_co_u32_e32 v7, vcc, 0, v7, vcc
	flat_load_dwordx2 v[6:7], v[6:7] offset:3072
.LBB2122_9:
	s_or_b64 exec, exec, s[0:1]
	v_add_u32_e32 v13, 0x240, v0
	v_cmp_gt_u32_e32 vcc, s33, v13
	s_and_saveexec_b64 s[0:1], vcc
	s_cbranch_execz .LBB2122_11
; %bb.10:
	v_lshlrev_b32_e32 v8, 3, v13
	v_mov_b32_e32 v9, s10
	v_add_co_u32_e32 v8, vcc, s7, v8
	v_addc_co_u32_e32 v9, vcc, 0, v9, vcc
	flat_load_dwordx2 v[8:9], v[8:9]
.LBB2122_11:
	s_or_b64 exec, exec, s[0:1]
	v_and_b32_e32 v10, 56, v10
	v_add_u32_e32 v10, v10, v1
	s_waitcnt vmcnt(0) lgkmcnt(0)
	ds_write_b64 v10, v[2:3]
	v_lshrrev_b32_e32 v2, 2, v11
	v_and_b32_e32 v2, 0x78, v2
	v_add_u32_e32 v2, v2, v1
	ds_write_b64 v2, v[4:5] offset:1536
	v_lshrrev_b32_e32 v2, 2, v12
	v_and_b32_e32 v2, 0xf8, v2
	v_add_u32_e32 v2, v2, v1
	ds_write_b64 v2, v[6:7] offset:3072
	;; [unrolled: 4-line block ×3, first 2 shown]
	s_waitcnt lgkmcnt(0)
	s_barrier
.LBB2122_12:
	v_lshlrev_b32_e32 v20, 2, v0
	v_lshrrev_b32_e32 v2, 3, v0
	v_add_lshl_u32 v2, v2, v20, 3
	s_waitcnt lgkmcnt(0)
	ds_read2_b64 v[6:9], v2 offset1:1
	ds_read2_b64 v[2:5], v2 offset0:2 offset1:3
	v_cndmask_b32_e64 v10, 0, 1, s[2:3]
	v_cmp_ne_u32_e64 s[0:1], 1, v10
	s_andn2_b64 vcc, exec, s[2:3]
	s_waitcnt lgkmcnt(1)
	v_xor_b32_e32 v13, -1, v6
	v_xor_b32_e32 v12, -1, v8
	s_waitcnt lgkmcnt(0)
	v_xor_b32_e32 v11, -1, v2
	v_xor_b32_e32 v10, -1, v4
	s_barrier
	s_cbranch_vccnz .LBB2122_14
; %bb.13:
	v_mov_b32_e32 v15, 1
	v_and_b32_e32 v14, 1, v13
	v_and_b32_sdwa v16, v12, v15 dst_sel:BYTE_1 dst_unused:UNUSED_PAD src0_sel:DWORD src1_sel:DWORD
	v_and_b32_e32 v17, 1, v11
	v_and_b32_sdwa v15, v10, v15 dst_sel:BYTE_1 dst_unused:UNUSED_PAD src0_sel:DWORD src1_sel:DWORD
	v_or_b32_e32 v14, v14, v16
	v_or_b32_sdwa v15, v17, v15 dst_sel:WORD_1 dst_unused:UNUSED_PAD src0_sel:DWORD src1_sel:DWORD
	v_or_b32_sdwa v21, v14, v15 dst_sel:DWORD dst_unused:UNUSED_PAD src0_sel:WORD_0 src1_sel:DWORD
	s_load_dwordx2 s[34:35], s[4:5], 0x68
	s_cbranch_execz .LBB2122_15
	s_branch .LBB2122_16
.LBB2122_14:
                                        ; implicit-def: $vgpr21
	s_load_dwordx2 s[34:35], s[4:5], 0x68
.LBB2122_15:
	v_cmp_gt_u32_e32 vcc, s33, v20
	v_cndmask_b32_e64 v14, 0, 1, vcc
	v_and_b32_e32 v13, v14, v13
	v_or_b32_e32 v14, 1, v20
	v_cmp_gt_u32_e32 vcc, s33, v14
	v_cndmask_b32_e64 v14, 0, 1, vcc
	v_and_b32_sdwa v12, v14, v12 dst_sel:BYTE_1 dst_unused:UNUSED_PAD src0_sel:DWORD src1_sel:DWORD
	v_or_b32_e32 v14, 2, v20
	v_cmp_gt_u32_e32 vcc, s33, v14
	v_cndmask_b32_e64 v14, 0, 1, vcc
	v_and_b32_e32 v11, v14, v11
	v_or_b32_e32 v14, 3, v20
	v_cmp_gt_u32_e32 vcc, s33, v14
	v_cndmask_b32_e64 v14, 0, 1, vcc
	v_and_b32_sdwa v10, v14, v10 dst_sel:BYTE_1 dst_unused:UNUSED_PAD src0_sel:DWORD src1_sel:DWORD
	v_or_b32_e32 v12, v13, v12
	v_or_b32_sdwa v10, v11, v10 dst_sel:WORD_1 dst_unused:UNUSED_PAD src0_sel:DWORD src1_sel:DWORD
	v_or_b32_sdwa v21, v12, v10 dst_sel:DWORD dst_unused:UNUSED_PAD src0_sel:WORD_0 src1_sel:DWORD
.LBB2122_16:
	v_bfe_u32 v23, v21, 16, 8
	v_lshrrev_b32_e32 v22, 24, v21
	v_add_u32_sdwa v10, v21, v21 dst_sel:DWORD dst_unused:UNUSED_PAD src0_sel:BYTE_1 src1_sel:BYTE_0
	v_add3_u32 v26, v10, v23, v22
	v_mbcnt_lo_u32_b32 v10, -1, 0
	v_mbcnt_hi_u32_b32 v24, -1, v10
	v_and_b32_e32 v10, 15, v24
	v_cmp_eq_u32_e64 s[16:17], 0, v10
	v_cmp_lt_u32_e64 s[14:15], 1, v10
	v_cmp_lt_u32_e64 s[12:13], 3, v10
	;; [unrolled: 1-line block ×3, first 2 shown]
	v_and_b32_e32 v10, 16, v24
	v_cmp_eq_u32_e64 s[20:21], 0, v10
	v_and_b32_e32 v10, 0xc0, v0
	v_min_u32_e32 v10, 0x80, v10
	v_or_b32_e32 v10, 63, v10
	s_cmp_lg_u32 s6, 0
	v_cmp_lt_u32_e64 s[2:3], 31, v24
	v_lshrrev_b32_e32 v25, 6, v0
	v_cmp_eq_u32_e64 s[8:9], v10, v0
	s_cbranch_scc0 .LBB2122_47
; %bb.17:
	v_mov_b32_dpp v10, v26 row_shr:1 row_mask:0xf bank_mask:0xf
	v_cndmask_b32_e64 v10, v10, 0, s[16:17]
	v_add_u32_e32 v10, v10, v26
	s_nop 1
	v_mov_b32_dpp v11, v10 row_shr:2 row_mask:0xf bank_mask:0xf
	v_cndmask_b32_e64 v11, 0, v11, s[14:15]
	v_add_u32_e32 v10, v10, v11
	s_nop 1
	;; [unrolled: 4-line block ×4, first 2 shown]
	v_mov_b32_dpp v11, v10 row_bcast:15 row_mask:0xf bank_mask:0xf
	v_cndmask_b32_e64 v11, v11, 0, s[20:21]
	v_add_u32_e32 v10, v10, v11
	s_nop 1
	v_mov_b32_dpp v11, v10 row_bcast:31 row_mask:0xf bank_mask:0xf
	v_cndmask_b32_e64 v11, 0, v11, s[2:3]
	v_add_u32_e32 v10, v10, v11
	s_and_saveexec_b64 s[18:19], s[8:9]
	s_cbranch_execz .LBB2122_19
; %bb.18:
	v_lshlrev_b32_e32 v11, 2, v25
	ds_write_b32 v11, v10
.LBB2122_19:
	s_or_b64 exec, exec, s[18:19]
	v_cmp_gt_u32_e32 vcc, 3, v0
	s_waitcnt lgkmcnt(0)
	s_barrier
	s_and_saveexec_b64 s[18:19], vcc
	s_cbranch_execz .LBB2122_21
; %bb.20:
	ds_read_b32 v11, v20
	v_and_b32_e32 v12, 3, v24
	v_cmp_ne_u32_e32 vcc, 0, v12
	s_waitcnt lgkmcnt(0)
	v_mov_b32_dpp v13, v11 row_shr:1 row_mask:0xf bank_mask:0xf
	v_cndmask_b32_e32 v13, 0, v13, vcc
	v_add_u32_e32 v11, v13, v11
	v_cmp_lt_u32_e32 vcc, 1, v12
	s_nop 0
	v_mov_b32_dpp v13, v11 row_shr:2 row_mask:0xf bank_mask:0xf
	v_cndmask_b32_e32 v12, 0, v13, vcc
	v_add_u32_e32 v11, v11, v12
	ds_write_b32 v20, v11
.LBB2122_21:
	s_or_b64 exec, exec, s[18:19]
	v_cmp_gt_u32_e32 vcc, 64, v0
	v_cmp_lt_u32_e64 s[18:19], 63, v0
	s_waitcnt lgkmcnt(0)
	s_barrier
	s_waitcnt lgkmcnt(0)
                                        ; implicit-def: $vgpr27
	s_and_saveexec_b64 s[36:37], s[18:19]
	s_cbranch_execz .LBB2122_23
; %bb.22:
	v_lshl_add_u32 v11, v25, 2, -4
	ds_read_b32 v27, v11
	s_waitcnt lgkmcnt(0)
	v_add_u32_e32 v10, v27, v10
.LBB2122_23:
	s_or_b64 exec, exec, s[36:37]
	v_add_u32_e32 v11, -1, v24
	v_and_b32_e32 v12, 64, v24
	v_cmp_lt_i32_e64 s[18:19], v11, v12
	v_cndmask_b32_e64 v11, v11, v24, s[18:19]
	v_lshlrev_b32_e32 v11, 2, v11
	ds_bpermute_b32 v28, v11, v10
	v_cmp_eq_u32_e64 s[18:19], 0, v24
	s_and_saveexec_b64 s[36:37], vcc
	s_cbranch_execz .LBB2122_46
; %bb.24:
	v_mov_b32_e32 v19, 0
	ds_read_b32 v10, v19 offset:8
	s_and_saveexec_b64 s[38:39], s[18:19]
	s_cbranch_execz .LBB2122_26
; %bb.25:
	s_add_i32 s40, s6, 64
	s_mov_b32 s41, 0
	s_lshl_b64 s[40:41], s[40:41], 3
	s_add_u32 s40, s34, s40
	v_mov_b32_e32 v11, 1
	s_addc_u32 s41, s35, s41
	s_waitcnt lgkmcnt(0)
	global_store_dwordx2 v19, v[10:11], s[40:41]
.LBB2122_26:
	s_or_b64 exec, exec, s[38:39]
	v_xad_u32 v12, v24, -1, s6
	v_add_u32_e32 v18, 64, v12
	v_lshlrev_b64 v[14:15], 3, v[18:19]
	v_mov_b32_e32 v11, s35
	v_add_co_u32_e32 v14, vcc, s34, v14
	v_addc_co_u32_e32 v15, vcc, v11, v15, vcc
	global_load_dwordx2 v[16:17], v[14:15], off glc
	s_waitcnt vmcnt(0)
	v_cmp_eq_u16_sdwa s[40:41], v17, v19 src0_sel:BYTE_0 src1_sel:DWORD
	s_and_saveexec_b64 s[38:39], s[40:41]
	s_cbranch_execz .LBB2122_32
; %bb.27:
	s_mov_b32 s7, 1
	s_mov_b64 s[40:41], 0
	v_mov_b32_e32 v11, 0
.LBB2122_28:                            ; =>This Loop Header: Depth=1
                                        ;     Child Loop BB2122_29 Depth 2
	s_max_u32 s42, s7, 1
.LBB2122_29:                            ;   Parent Loop BB2122_28 Depth=1
                                        ; =>  This Inner Loop Header: Depth=2
	s_add_i32 s42, s42, -1
	s_cmp_eq_u32 s42, 0
	s_sleep 1
	s_cbranch_scc0 .LBB2122_29
; %bb.30:                               ;   in Loop: Header=BB2122_28 Depth=1
	global_load_dwordx2 v[16:17], v[14:15], off glc
	s_cmp_lt_u32 s7, 32
	s_cselect_b64 s[42:43], -1, 0
	s_cmp_lg_u64 s[42:43], 0
	s_addc_u32 s7, s7, 0
	s_waitcnt vmcnt(0)
	v_cmp_ne_u16_sdwa s[42:43], v17, v11 src0_sel:BYTE_0 src1_sel:DWORD
	s_or_b64 s[40:41], s[42:43], s[40:41]
	s_andn2_b64 exec, exec, s[40:41]
	s_cbranch_execnz .LBB2122_28
; %bb.31:
	s_or_b64 exec, exec, s[40:41]
.LBB2122_32:
	s_or_b64 exec, exec, s[38:39]
	v_and_b32_e32 v30, 63, v24
	v_mov_b32_e32 v29, 2
	v_cmp_ne_u32_e32 vcc, 63, v30
	v_cmp_eq_u16_sdwa s[38:39], v17, v29 src0_sel:BYTE_0 src1_sel:DWORD
	v_lshlrev_b64 v[14:15], v24, -1
	v_addc_co_u32_e32 v18, vcc, 0, v24, vcc
	v_and_b32_e32 v11, s39, v15
	v_lshlrev_b32_e32 v31, 2, v18
	v_or_b32_e32 v11, 0x80000000, v11
	ds_bpermute_b32 v18, v31, v16
	v_and_b32_e32 v13, s38, v14
	v_ffbl_b32_e32 v11, v11
	v_add_u32_e32 v11, 32, v11
	v_ffbl_b32_e32 v13, v13
	v_min_u32_e32 v11, v13, v11
	v_cmp_lt_u32_e32 vcc, v30, v11
	s_waitcnt lgkmcnt(0)
	v_cndmask_b32_e32 v13, 0, v18, vcc
	v_cmp_gt_u32_e32 vcc, 62, v30
	v_add_u32_e32 v13, v13, v16
	v_cndmask_b32_e64 v16, 0, 1, vcc
	v_lshlrev_b32_e32 v16, 1, v16
	v_add_lshl_u32 v32, v16, v24, 2
	ds_bpermute_b32 v16, v32, v13
	v_add_u32_e32 v33, 2, v30
	v_cmp_le_u32_e32 vcc, v33, v11
	v_add_u32_e32 v35, 4, v30
	v_add_u32_e32 v37, 8, v30
	s_waitcnt lgkmcnt(0)
	v_cndmask_b32_e32 v16, 0, v16, vcc
	v_cmp_gt_u32_e32 vcc, 60, v30
	v_add_u32_e32 v13, v13, v16
	v_cndmask_b32_e64 v16, 0, 1, vcc
	v_lshlrev_b32_e32 v16, 2, v16
	v_add_lshl_u32 v34, v16, v24, 2
	ds_bpermute_b32 v16, v34, v13
	v_cmp_le_u32_e32 vcc, v35, v11
	v_add_u32_e32 v39, 16, v30
	v_add_u32_e32 v41, 32, v30
	s_waitcnt lgkmcnt(0)
	v_cndmask_b32_e32 v16, 0, v16, vcc
	v_cmp_gt_u32_e32 vcc, 56, v30
	v_add_u32_e32 v13, v13, v16
	v_cndmask_b32_e64 v16, 0, 1, vcc
	v_lshlrev_b32_e32 v16, 3, v16
	v_add_lshl_u32 v36, v16, v24, 2
	ds_bpermute_b32 v16, v36, v13
	v_cmp_le_u32_e32 vcc, v37, v11
	s_waitcnt lgkmcnt(0)
	v_cndmask_b32_e32 v16, 0, v16, vcc
	v_cmp_gt_u32_e32 vcc, 48, v30
	v_add_u32_e32 v13, v13, v16
	v_cndmask_b32_e64 v16, 0, 1, vcc
	v_lshlrev_b32_e32 v16, 4, v16
	v_add_lshl_u32 v38, v16, v24, 2
	ds_bpermute_b32 v16, v38, v13
	v_cmp_le_u32_e32 vcc, v39, v11
	;; [unrolled: 9-line block ×3, first 2 shown]
	s_waitcnt lgkmcnt(0)
	v_cndmask_b32_e32 v11, 0, v16, vcc
	v_add_u32_e32 v16, v13, v11
	v_mov_b32_e32 v13, 0
	s_branch .LBB2122_34
.LBB2122_33:                            ;   in Loop: Header=BB2122_34 Depth=1
	s_or_b64 exec, exec, s[38:39]
	v_cmp_eq_u16_sdwa s[38:39], v17, v29 src0_sel:BYTE_0 src1_sel:DWORD
	v_and_b32_e32 v18, s39, v15
	v_or_b32_e32 v18, 0x80000000, v18
	ds_bpermute_b32 v42, v31, v16
	v_and_b32_e32 v19, s38, v14
	v_ffbl_b32_e32 v18, v18
	v_add_u32_e32 v18, 32, v18
	v_ffbl_b32_e32 v19, v19
	v_min_u32_e32 v18, v19, v18
	v_cmp_lt_u32_e32 vcc, v30, v18
	s_waitcnt lgkmcnt(0)
	v_cndmask_b32_e32 v19, 0, v42, vcc
	v_add_u32_e32 v16, v19, v16
	ds_bpermute_b32 v19, v32, v16
	v_cmp_le_u32_e32 vcc, v33, v18
	v_subrev_u32_e32 v12, 64, v12
	s_waitcnt lgkmcnt(0)
	v_cndmask_b32_e32 v19, 0, v19, vcc
	v_add_u32_e32 v16, v16, v19
	ds_bpermute_b32 v19, v34, v16
	v_cmp_le_u32_e32 vcc, v35, v18
	s_waitcnt lgkmcnt(0)
	v_cndmask_b32_e32 v19, 0, v19, vcc
	v_add_u32_e32 v16, v16, v19
	ds_bpermute_b32 v19, v36, v16
	v_cmp_le_u32_e32 vcc, v37, v18
	;; [unrolled: 5-line block ×4, first 2 shown]
	s_waitcnt lgkmcnt(0)
	v_cndmask_b32_e32 v18, 0, v19, vcc
	v_add3_u32 v16, v18, v11, v16
.LBB2122_34:                            ; =>This Loop Header: Depth=1
                                        ;     Child Loop BB2122_37 Depth 2
                                        ;       Child Loop BB2122_38 Depth 3
	v_cmp_ne_u16_sdwa s[38:39], v17, v29 src0_sel:BYTE_0 src1_sel:DWORD
	v_cndmask_b32_e64 v11, 0, 1, s[38:39]
	;;#ASMSTART
	;;#ASMEND
	v_cmp_ne_u32_e32 vcc, 0, v11
	s_cmp_lg_u64 vcc, exec
	v_mov_b32_e32 v11, v16
	s_cbranch_scc1 .LBB2122_41
; %bb.35:                               ;   in Loop: Header=BB2122_34 Depth=1
	v_lshlrev_b64 v[16:17], 3, v[12:13]
	v_mov_b32_e32 v19, s35
	v_add_co_u32_e32 v18, vcc, s34, v16
	v_addc_co_u32_e32 v19, vcc, v19, v17, vcc
	global_load_dwordx2 v[16:17], v[18:19], off glc
	s_waitcnt vmcnt(0)
	v_cmp_eq_u16_sdwa s[40:41], v17, v13 src0_sel:BYTE_0 src1_sel:DWORD
	s_and_saveexec_b64 s[38:39], s[40:41]
	s_cbranch_execz .LBB2122_33
; %bb.36:                               ;   in Loop: Header=BB2122_34 Depth=1
	s_mov_b32 s7, 1
	s_mov_b64 s[40:41], 0
.LBB2122_37:                            ;   Parent Loop BB2122_34 Depth=1
                                        ; =>  This Loop Header: Depth=2
                                        ;       Child Loop BB2122_38 Depth 3
	s_max_u32 s42, s7, 1
.LBB2122_38:                            ;   Parent Loop BB2122_34 Depth=1
                                        ;     Parent Loop BB2122_37 Depth=2
                                        ; =>    This Inner Loop Header: Depth=3
	s_add_i32 s42, s42, -1
	s_cmp_eq_u32 s42, 0
	s_sleep 1
	s_cbranch_scc0 .LBB2122_38
; %bb.39:                               ;   in Loop: Header=BB2122_37 Depth=2
	global_load_dwordx2 v[16:17], v[18:19], off glc
	s_cmp_lt_u32 s7, 32
	s_cselect_b64 s[42:43], -1, 0
	s_cmp_lg_u64 s[42:43], 0
	s_addc_u32 s7, s7, 0
	s_waitcnt vmcnt(0)
	v_cmp_ne_u16_sdwa s[42:43], v17, v13 src0_sel:BYTE_0 src1_sel:DWORD
	s_or_b64 s[40:41], s[42:43], s[40:41]
	s_andn2_b64 exec, exec, s[40:41]
	s_cbranch_execnz .LBB2122_37
; %bb.40:                               ;   in Loop: Header=BB2122_34 Depth=1
	s_or_b64 exec, exec, s[40:41]
	s_branch .LBB2122_33
.LBB2122_41:                            ;   in Loop: Header=BB2122_34 Depth=1
                                        ; implicit-def: $vgpr16
                                        ; implicit-def: $vgpr17
	s_cbranch_execz .LBB2122_34
; %bb.42:
	s_and_saveexec_b64 s[38:39], s[18:19]
	s_cbranch_execz .LBB2122_44
; %bb.43:
	s_add_i32 s6, s6, 64
	s_mov_b32 s7, 0
	s_lshl_b64 s[6:7], s[6:7], 3
	s_add_u32 s6, s34, s6
	v_add_u32_e32 v12, v11, v10
	v_mov_b32_e32 v13, 2
	s_addc_u32 s7, s35, s7
	v_mov_b32_e32 v14, 0
	global_store_dwordx2 v14, v[12:13], s[6:7]
	ds_write_b64 v14, v[10:11] offset:6336
.LBB2122_44:
	s_or_b64 exec, exec, s[38:39]
	v_cmp_eq_u32_e32 vcc, 0, v0
	s_and_b64 exec, exec, vcc
	s_cbranch_execz .LBB2122_46
; %bb.45:
	v_mov_b32_e32 v10, 0
	ds_write_b32 v10, v11 offset:8
.LBB2122_46:
	s_or_b64 exec, exec, s[36:37]
	v_mov_b32_e32 v10, 0
	s_waitcnt lgkmcnt(0)
	s_barrier
	ds_read_b32 v11, v10 offset:8
	v_cndmask_b32_e64 v12, v28, v27, s[18:19]
	v_cmp_ne_u32_e32 vcc, 0, v0
	v_cndmask_b32_e32 v12, 0, v12, vcc
	s_waitcnt lgkmcnt(0)
	v_add_u32_e32 v14, v11, v12
	s_barrier
	ds_read_b64 v[10:11], v10 offset:6336
	v_add_u32_sdwa v15, v14, v21 dst_sel:DWORD dst_unused:UNUSED_PAD src0_sel:DWORD src1_sel:BYTE_0
	v_add_u32_sdwa v13, v15, v21 dst_sel:DWORD dst_unused:UNUSED_PAD src0_sel:DWORD src1_sel:BYTE_1
	v_add_u32_e32 v12, v13, v23
	s_branch .LBB2122_57
.LBB2122_47:
                                        ; implicit-def: $vgpr11
                                        ; implicit-def: $vgpr12
                                        ; implicit-def: $vgpr13
                                        ; implicit-def: $vgpr15
                                        ; implicit-def: $vgpr14
	s_cbranch_execz .LBB2122_57
; %bb.48:
	s_waitcnt lgkmcnt(0)
	v_mov_b32_dpp v10, v26 row_shr:1 row_mask:0xf bank_mask:0xf
	v_cndmask_b32_e64 v10, v10, 0, s[16:17]
	v_add_u32_e32 v10, v10, v26
	s_nop 1
	v_mov_b32_dpp v11, v10 row_shr:2 row_mask:0xf bank_mask:0xf
	v_cndmask_b32_e64 v11, 0, v11, s[14:15]
	v_add_u32_e32 v10, v10, v11
	s_nop 1
	;; [unrolled: 4-line block ×4, first 2 shown]
	v_mov_b32_dpp v11, v10 row_bcast:15 row_mask:0xf bank_mask:0xf
	v_cndmask_b32_e64 v11, v11, 0, s[20:21]
	v_add_u32_e32 v10, v10, v11
	s_nop 1
	v_mov_b32_dpp v11, v10 row_bcast:31 row_mask:0xf bank_mask:0xf
	v_cndmask_b32_e64 v11, 0, v11, s[2:3]
	v_add_u32_e32 v10, v10, v11
	s_and_saveexec_b64 s[2:3], s[8:9]
	s_cbranch_execz .LBB2122_50
; %bb.49:
	v_lshlrev_b32_e32 v11, 2, v25
	ds_write_b32 v11, v10
.LBB2122_50:
	s_or_b64 exec, exec, s[2:3]
	v_cmp_gt_u32_e32 vcc, 3, v0
	s_waitcnt lgkmcnt(0)
	s_barrier
	s_and_saveexec_b64 s[2:3], vcc
	s_cbranch_execz .LBB2122_52
; %bb.51:
	ds_read_b32 v11, v20
	v_and_b32_e32 v12, 3, v24
	v_cmp_ne_u32_e32 vcc, 0, v12
	s_waitcnt lgkmcnt(0)
	v_mov_b32_dpp v13, v11 row_shr:1 row_mask:0xf bank_mask:0xf
	v_cndmask_b32_e32 v13, 0, v13, vcc
	v_add_u32_e32 v11, v13, v11
	v_cmp_lt_u32_e32 vcc, 1, v12
	s_nop 0
	v_mov_b32_dpp v13, v11 row_shr:2 row_mask:0xf bank_mask:0xf
	v_cndmask_b32_e32 v12, 0, v13, vcc
	v_add_u32_e32 v11, v11, v12
	ds_write_b32 v20, v11
.LBB2122_52:
	s_or_b64 exec, exec, s[2:3]
	v_cmp_lt_u32_e32 vcc, 63, v0
	v_mov_b32_e32 v11, 0
	v_mov_b32_e32 v12, 0
	s_waitcnt lgkmcnt(0)
	s_barrier
	s_and_saveexec_b64 s[2:3], vcc
	s_cbranch_execz .LBB2122_54
; %bb.53:
	v_lshl_add_u32 v12, v25, 2, -4
	ds_read_b32 v12, v12
.LBB2122_54:
	s_or_b64 exec, exec, s[2:3]
	v_add_u32_e32 v13, -1, v24
	v_and_b32_e32 v14, 64, v24
	v_cmp_lt_i32_e32 vcc, v13, v14
	v_cndmask_b32_e32 v13, v13, v24, vcc
	s_waitcnt lgkmcnt(0)
	v_add_u32_e32 v10, v12, v10
	v_lshlrev_b32_e32 v13, 2, v13
	ds_bpermute_b32 v13, v13, v10
	ds_read_b32 v10, v11 offset:8
	v_cmp_eq_u32_e32 vcc, 0, v0
	s_and_saveexec_b64 s[2:3], vcc
	s_cbranch_execz .LBB2122_56
; %bb.55:
	v_mov_b32_e32 v14, 0
	v_mov_b32_e32 v11, 2
	s_waitcnt lgkmcnt(0)
	global_store_dwordx2 v14, v[10:11], s[34:35] offset:512
.LBB2122_56:
	s_or_b64 exec, exec, s[2:3]
	v_cmp_eq_u32_e64 s[2:3], 0, v24
	s_waitcnt lgkmcnt(1)
	v_cndmask_b32_e64 v12, v13, v12, s[2:3]
	v_cndmask_b32_e64 v14, v12, 0, vcc
	v_add_u32_sdwa v15, v14, v21 dst_sel:DWORD dst_unused:UNUSED_PAD src0_sel:DWORD src1_sel:BYTE_0
	v_add_u32_sdwa v13, v15, v21 dst_sel:DWORD dst_unused:UNUSED_PAD src0_sel:DWORD src1_sel:BYTE_1
	v_mov_b32_e32 v11, 0
	v_add_u32_e32 v12, v13, v23
	s_waitcnt lgkmcnt(0)
	s_barrier
.LBB2122_57:
	s_waitcnt lgkmcnt(0)
	v_add_u32_e32 v17, v10, v20
	v_sub_u32_e32 v14, v14, v11
	v_and_b32_e32 v19, 1, v21
	v_sub_u32_e32 v18, v17, v14
	v_cmp_eq_u32_e32 vcc, 1, v19
	v_cndmask_b32_e32 v14, v18, v14, vcc
	v_lshlrev_b32_e32 v14, 3, v14
	v_lshrrev_b32_e32 v16, 8, v21
	ds_write_b64 v14, v[6:7]
	v_sub_u32_e32 v6, v15, v11
	v_sub_u32_e32 v7, v17, v6
	v_and_b32_e32 v14, 1, v16
	v_add_u32_e32 v7, 1, v7
	v_cmp_eq_u32_e32 vcc, 1, v14
	v_cndmask_b32_e32 v6, v7, v6, vcc
	v_lshlrev_b32_e32 v6, 3, v6
	ds_write_b64 v6, v[8:9]
	v_sub_u32_e32 v6, v13, v11
	v_mov_b32_e32 v8, 1
	v_sub_u32_e32 v7, v17, v6
	v_and_b32_sdwa v8, v8, v21 dst_sel:DWORD dst_unused:UNUSED_PAD src0_sel:DWORD src1_sel:WORD_1
	v_add_u32_e32 v7, 2, v7
	v_cmp_eq_u32_e32 vcc, 1, v8
	v_cndmask_b32_e32 v6, v7, v6, vcc
	v_lshlrev_b32_e32 v6, 3, v6
	ds_write_b64 v6, v[2:3]
	v_sub_u32_e32 v2, v12, v11
	v_sub_u32_e32 v3, v17, v2
	v_and_b32_e32 v6, 1, v22
	v_add_u32_e32 v3, 3, v3
	v_cmp_eq_u32_e32 vcc, 1, v6
	v_cndmask_b32_e32 v2, v3, v2, vcc
	v_mov_b32_e32 v12, s31
	v_add_co_u32_e32 v20, vcc, s30, v11
	v_addc_co_u32_e32 v21, vcc, 0, v12, vcc
	s_load_dwordx4 s[4:7], s[4:5], 0x28
	v_add_co_u32_e32 v12, vcc, v20, v10
	v_addc_co_u32_e32 v13, vcc, 0, v21, vcc
	v_mov_b32_e32 v11, s23
	v_sub_co_u32_e32 v16, vcc, s22, v12
	v_subb_co_u32_e32 v17, vcc, v11, v13, vcc
	v_lshlrev_b64 v[16:17], 3, v[16:17]
	v_lshlrev_b32_e32 v2, 3, v2
	s_waitcnt lgkmcnt(0)
	v_mov_b32_e32 v11, s7
	v_add_co_u32_e32 v16, vcc, s6, v16
	ds_write_b64 v2, v[4:5]
	s_waitcnt lgkmcnt(0)
	s_barrier
	ds_read2st64_b64 v[6:9], v1 offset1:3
	ds_read2st64_b64 v[2:5], v1 offset0:6 offset1:9
	v_addc_co_u32_e32 v17, vcc, v11, v17, vcc
	v_mov_b32_e32 v18, s29
	v_add_co_u32_e32 v11, vcc, s28, v16
	v_addc_co_u32_e32 v16, vcc, v17, v18, vcc
	v_lshlrev_b64 v[20:21], 3, v[20:21]
	v_mov_b32_e32 v18, s5
	s_and_b64 vcc, exec, s[0:1]
	v_add_co_u32_e64 v17, s[0:1], s4, v20
	v_add_u32_e32 v19, 0xc0, v0
	v_add_u32_e32 v15, 0x180, v0
	;; [unrolled: 1-line block ×3, first 2 shown]
	v_addc_co_u32_e64 v18, s[0:1], v18, v21, s[0:1]
	s_cbranch_vccnz .LBB2122_59
; %bb.58:
	v_cmp_lt_u32_e32 vcc, v0, v10
	v_cndmask_b32_e32 v20, v11, v17, vcc
	v_cndmask_b32_e32 v21, v16, v18, vcc
	v_add_co_u32_e32 v20, vcc, v20, v1
	v_addc_co_u32_e32 v21, vcc, 0, v21, vcc
	v_cmp_lt_u32_e32 vcc, v19, v10
	s_waitcnt lgkmcnt(1)
	global_store_dwordx2 v[20:21], v[6:7], off
	v_cndmask_b32_e32 v20, v11, v17, vcc
	v_cndmask_b32_e32 v21, v16, v18, vcc
	v_add_co_u32_e32 v20, vcc, v20, v1
	v_addc_co_u32_e32 v21, vcc, 0, v21, vcc
	v_cmp_lt_u32_e32 vcc, v15, v10
	global_store_dwordx2 v[20:21], v[8:9], off offset:1536
	v_cndmask_b32_e32 v20, v11, v17, vcc
	v_cndmask_b32_e32 v21, v16, v18, vcc
	v_add_co_u32_e32 v20, vcc, v20, v1
	v_addc_co_u32_e32 v21, vcc, 0, v21, vcc
	s_mov_b64 s[0:1], -1
	s_waitcnt lgkmcnt(0)
	global_store_dwordx2 v[20:21], v[2:3], off offset:3072
	s_cbranch_execz .LBB2122_60
	s_branch .LBB2122_65
.LBB2122_59:
	s_mov_b64 s[0:1], 0
.LBB2122_60:
	v_cmp_gt_u32_e32 vcc, s33, v0
	s_and_saveexec_b64 s[0:1], vcc
	s_cbranch_execnz .LBB2122_70
; %bb.61:
	s_or_b64 exec, exec, s[0:1]
	v_cmp_gt_u32_e32 vcc, s33, v19
	s_and_saveexec_b64 s[0:1], vcc
	s_cbranch_execnz .LBB2122_71
.LBB2122_62:
	s_or_b64 exec, exec, s[0:1]
	v_cmp_gt_u32_e32 vcc, s33, v15
	s_and_saveexec_b64 s[0:1], vcc
	s_cbranch_execz .LBB2122_64
.LBB2122_63:
	v_cmp_lt_u32_e32 vcc, v15, v10
	s_waitcnt lgkmcnt(1)
	v_cndmask_b32_e32 v6, v11, v17, vcc
	v_cndmask_b32_e32 v7, v16, v18, vcc
	v_add_co_u32_e32 v6, vcc, v6, v1
	v_addc_co_u32_e32 v7, vcc, 0, v7, vcc
	s_waitcnt lgkmcnt(0)
	global_store_dwordx2 v[6:7], v[2:3], off offset:3072
.LBB2122_64:
	s_or_b64 exec, exec, s[0:1]
	v_cmp_gt_u32_e64 s[0:1], s33, v14
.LBB2122_65:
	s_and_saveexec_b64 s[2:3], s[0:1]
	s_cbranch_execz .LBB2122_67
; %bb.66:
	v_cmp_lt_u32_e32 vcc, v14, v10
	s_waitcnt lgkmcnt(0)
	v_cndmask_b32_e32 v2, v11, v17, vcc
	v_lshlrev_b32_e32 v3, 3, v14
	v_cndmask_b32_e32 v1, v16, v18, vcc
	v_add_co_u32_e32 v2, vcc, v2, v3
	v_addc_co_u32_e32 v3, vcc, 0, v1, vcc
	global_store_dwordx2 v[2:3], v[4:5], off
.LBB2122_67:
	s_or_b64 exec, exec, s[2:3]
	v_cmp_eq_u32_e32 vcc, 0, v0
	s_and_b64 s[0:1], vcc, s[26:27]
	s_and_saveexec_b64 s[2:3], s[0:1]
	s_cbranch_execz .LBB2122_69
; %bb.68:
	v_mov_b32_e32 v0, 0
	global_store_dwordx2 v0, v[12:13], s[24:25]
.LBB2122_69:
	s_endpgm
.LBB2122_70:
	v_cmp_lt_u32_e32 vcc, v0, v10
	v_cndmask_b32_e32 v20, v11, v17, vcc
	v_cndmask_b32_e32 v21, v16, v18, vcc
	v_add_co_u32_e32 v20, vcc, v20, v1
	v_addc_co_u32_e32 v21, vcc, 0, v21, vcc
	s_waitcnt lgkmcnt(1)
	global_store_dwordx2 v[20:21], v[6:7], off
	s_or_b64 exec, exec, s[0:1]
	v_cmp_gt_u32_e32 vcc, s33, v19
	s_and_saveexec_b64 s[0:1], vcc
	s_cbranch_execz .LBB2122_62
.LBB2122_71:
	v_cmp_lt_u32_e32 vcc, v19, v10
	s_waitcnt lgkmcnt(1)
	v_cndmask_b32_e32 v6, v11, v17, vcc
	v_cndmask_b32_e32 v7, v16, v18, vcc
	v_add_co_u32_e32 v6, vcc, v6, v1
	v_addc_co_u32_e32 v7, vcc, 0, v7, vcc
	global_store_dwordx2 v[6:7], v[8:9], off offset:1536
	s_or_b64 exec, exec, s[0:1]
	v_cmp_gt_u32_e32 vcc, s33, v15
	s_and_saveexec_b64 s[0:1], vcc
	s_cbranch_execnz .LBB2122_63
	s_branch .LBB2122_64
	.section	.rodata,"a",@progbits
	.p2align	6, 0x0
	.amdhsa_kernel _ZN7rocprim17ROCPRIM_400000_NS6detail17trampoline_kernelINS0_14default_configENS1_25partition_config_selectorILNS1_17partition_subalgoE0EyNS0_10empty_typeEbEEZZNS1_14partition_implILS5_0ELb0ES3_jN6thrust23THRUST_200600_302600_NS6detail15normal_iteratorINSA_10device_ptrIyEEEEPS6_SG_NS0_5tupleIJSF_SF_EEENSH_IJSG_SG_EEES6_PlJ7is_evenIyEEEE10hipError_tPvRmT3_T4_T5_T6_T7_T9_mT8_P12ihipStream_tbDpT10_ENKUlT_T0_E_clISt17integral_constantIbLb1EES15_IbLb0EEEEDaS11_S12_EUlS11_E_NS1_11comp_targetILNS1_3genE4ELNS1_11target_archE910ELNS1_3gpuE8ELNS1_3repE0EEENS1_30default_config_static_selectorELNS0_4arch9wavefront6targetE1EEEvT1_
		.amdhsa_group_segment_fixed_size 6344
		.amdhsa_private_segment_fixed_size 0
		.amdhsa_kernarg_size 120
		.amdhsa_user_sgpr_count 6
		.amdhsa_user_sgpr_private_segment_buffer 1
		.amdhsa_user_sgpr_dispatch_ptr 0
		.amdhsa_user_sgpr_queue_ptr 0
		.amdhsa_user_sgpr_kernarg_segment_ptr 1
		.amdhsa_user_sgpr_dispatch_id 0
		.amdhsa_user_sgpr_flat_scratch_init 0
		.amdhsa_user_sgpr_kernarg_preload_length 0
		.amdhsa_user_sgpr_kernarg_preload_offset 0
		.amdhsa_user_sgpr_private_segment_size 0
		.amdhsa_uses_dynamic_stack 0
		.amdhsa_system_sgpr_private_segment_wavefront_offset 0
		.amdhsa_system_sgpr_workgroup_id_x 1
		.amdhsa_system_sgpr_workgroup_id_y 0
		.amdhsa_system_sgpr_workgroup_id_z 0
		.amdhsa_system_sgpr_workgroup_info 0
		.amdhsa_system_vgpr_workitem_id 0
		.amdhsa_next_free_vgpr 43
		.amdhsa_next_free_sgpr 44
		.amdhsa_accum_offset 44
		.amdhsa_reserve_vcc 1
		.amdhsa_reserve_flat_scratch 0
		.amdhsa_float_round_mode_32 0
		.amdhsa_float_round_mode_16_64 0
		.amdhsa_float_denorm_mode_32 3
		.amdhsa_float_denorm_mode_16_64 3
		.amdhsa_dx10_clamp 1
		.amdhsa_ieee_mode 1
		.amdhsa_fp16_overflow 0
		.amdhsa_tg_split 0
		.amdhsa_exception_fp_ieee_invalid_op 0
		.amdhsa_exception_fp_denorm_src 0
		.amdhsa_exception_fp_ieee_div_zero 0
		.amdhsa_exception_fp_ieee_overflow 0
		.amdhsa_exception_fp_ieee_underflow 0
		.amdhsa_exception_fp_ieee_inexact 0
		.amdhsa_exception_int_div_zero 0
	.end_amdhsa_kernel
	.section	.text._ZN7rocprim17ROCPRIM_400000_NS6detail17trampoline_kernelINS0_14default_configENS1_25partition_config_selectorILNS1_17partition_subalgoE0EyNS0_10empty_typeEbEEZZNS1_14partition_implILS5_0ELb0ES3_jN6thrust23THRUST_200600_302600_NS6detail15normal_iteratorINSA_10device_ptrIyEEEEPS6_SG_NS0_5tupleIJSF_SF_EEENSH_IJSG_SG_EEES6_PlJ7is_evenIyEEEE10hipError_tPvRmT3_T4_T5_T6_T7_T9_mT8_P12ihipStream_tbDpT10_ENKUlT_T0_E_clISt17integral_constantIbLb1EES15_IbLb0EEEEDaS11_S12_EUlS11_E_NS1_11comp_targetILNS1_3genE4ELNS1_11target_archE910ELNS1_3gpuE8ELNS1_3repE0EEENS1_30default_config_static_selectorELNS0_4arch9wavefront6targetE1EEEvT1_,"axG",@progbits,_ZN7rocprim17ROCPRIM_400000_NS6detail17trampoline_kernelINS0_14default_configENS1_25partition_config_selectorILNS1_17partition_subalgoE0EyNS0_10empty_typeEbEEZZNS1_14partition_implILS5_0ELb0ES3_jN6thrust23THRUST_200600_302600_NS6detail15normal_iteratorINSA_10device_ptrIyEEEEPS6_SG_NS0_5tupleIJSF_SF_EEENSH_IJSG_SG_EEES6_PlJ7is_evenIyEEEE10hipError_tPvRmT3_T4_T5_T6_T7_T9_mT8_P12ihipStream_tbDpT10_ENKUlT_T0_E_clISt17integral_constantIbLb1EES15_IbLb0EEEEDaS11_S12_EUlS11_E_NS1_11comp_targetILNS1_3genE4ELNS1_11target_archE910ELNS1_3gpuE8ELNS1_3repE0EEENS1_30default_config_static_selectorELNS0_4arch9wavefront6targetE1EEEvT1_,comdat
.Lfunc_end2122:
	.size	_ZN7rocprim17ROCPRIM_400000_NS6detail17trampoline_kernelINS0_14default_configENS1_25partition_config_selectorILNS1_17partition_subalgoE0EyNS0_10empty_typeEbEEZZNS1_14partition_implILS5_0ELb0ES3_jN6thrust23THRUST_200600_302600_NS6detail15normal_iteratorINSA_10device_ptrIyEEEEPS6_SG_NS0_5tupleIJSF_SF_EEENSH_IJSG_SG_EEES6_PlJ7is_evenIyEEEE10hipError_tPvRmT3_T4_T5_T6_T7_T9_mT8_P12ihipStream_tbDpT10_ENKUlT_T0_E_clISt17integral_constantIbLb1EES15_IbLb0EEEEDaS11_S12_EUlS11_E_NS1_11comp_targetILNS1_3genE4ELNS1_11target_archE910ELNS1_3gpuE8ELNS1_3repE0EEENS1_30default_config_static_selectorELNS0_4arch9wavefront6targetE1EEEvT1_, .Lfunc_end2122-_ZN7rocprim17ROCPRIM_400000_NS6detail17trampoline_kernelINS0_14default_configENS1_25partition_config_selectorILNS1_17partition_subalgoE0EyNS0_10empty_typeEbEEZZNS1_14partition_implILS5_0ELb0ES3_jN6thrust23THRUST_200600_302600_NS6detail15normal_iteratorINSA_10device_ptrIyEEEEPS6_SG_NS0_5tupleIJSF_SF_EEENSH_IJSG_SG_EEES6_PlJ7is_evenIyEEEE10hipError_tPvRmT3_T4_T5_T6_T7_T9_mT8_P12ihipStream_tbDpT10_ENKUlT_T0_E_clISt17integral_constantIbLb1EES15_IbLb0EEEEDaS11_S12_EUlS11_E_NS1_11comp_targetILNS1_3genE4ELNS1_11target_archE910ELNS1_3gpuE8ELNS1_3repE0EEENS1_30default_config_static_selectorELNS0_4arch9wavefront6targetE1EEEvT1_
                                        ; -- End function
	.section	.AMDGPU.csdata,"",@progbits
; Kernel info:
; codeLenInByte = 3656
; NumSgprs: 48
; NumVgprs: 43
; NumAgprs: 0
; TotalNumVgprs: 43
; ScratchSize: 0
; MemoryBound: 0
; FloatMode: 240
; IeeeMode: 1
; LDSByteSize: 6344 bytes/workgroup (compile time only)
; SGPRBlocks: 5
; VGPRBlocks: 5
; NumSGPRsForWavesPerEU: 48
; NumVGPRsForWavesPerEU: 43
; AccumOffset: 44
; Occupancy: 8
; WaveLimiterHint : 1
; COMPUTE_PGM_RSRC2:SCRATCH_EN: 0
; COMPUTE_PGM_RSRC2:USER_SGPR: 6
; COMPUTE_PGM_RSRC2:TRAP_HANDLER: 0
; COMPUTE_PGM_RSRC2:TGID_X_EN: 1
; COMPUTE_PGM_RSRC2:TGID_Y_EN: 0
; COMPUTE_PGM_RSRC2:TGID_Z_EN: 0
; COMPUTE_PGM_RSRC2:TIDIG_COMP_CNT: 0
; COMPUTE_PGM_RSRC3_GFX90A:ACCUM_OFFSET: 10
; COMPUTE_PGM_RSRC3_GFX90A:TG_SPLIT: 0
	.section	.text._ZN7rocprim17ROCPRIM_400000_NS6detail17trampoline_kernelINS0_14default_configENS1_25partition_config_selectorILNS1_17partition_subalgoE0EyNS0_10empty_typeEbEEZZNS1_14partition_implILS5_0ELb0ES3_jN6thrust23THRUST_200600_302600_NS6detail15normal_iteratorINSA_10device_ptrIyEEEEPS6_SG_NS0_5tupleIJSF_SF_EEENSH_IJSG_SG_EEES6_PlJ7is_evenIyEEEE10hipError_tPvRmT3_T4_T5_T6_T7_T9_mT8_P12ihipStream_tbDpT10_ENKUlT_T0_E_clISt17integral_constantIbLb1EES15_IbLb0EEEEDaS11_S12_EUlS11_E_NS1_11comp_targetILNS1_3genE3ELNS1_11target_archE908ELNS1_3gpuE7ELNS1_3repE0EEENS1_30default_config_static_selectorELNS0_4arch9wavefront6targetE1EEEvT1_,"axG",@progbits,_ZN7rocprim17ROCPRIM_400000_NS6detail17trampoline_kernelINS0_14default_configENS1_25partition_config_selectorILNS1_17partition_subalgoE0EyNS0_10empty_typeEbEEZZNS1_14partition_implILS5_0ELb0ES3_jN6thrust23THRUST_200600_302600_NS6detail15normal_iteratorINSA_10device_ptrIyEEEEPS6_SG_NS0_5tupleIJSF_SF_EEENSH_IJSG_SG_EEES6_PlJ7is_evenIyEEEE10hipError_tPvRmT3_T4_T5_T6_T7_T9_mT8_P12ihipStream_tbDpT10_ENKUlT_T0_E_clISt17integral_constantIbLb1EES15_IbLb0EEEEDaS11_S12_EUlS11_E_NS1_11comp_targetILNS1_3genE3ELNS1_11target_archE908ELNS1_3gpuE7ELNS1_3repE0EEENS1_30default_config_static_selectorELNS0_4arch9wavefront6targetE1EEEvT1_,comdat
	.protected	_ZN7rocprim17ROCPRIM_400000_NS6detail17trampoline_kernelINS0_14default_configENS1_25partition_config_selectorILNS1_17partition_subalgoE0EyNS0_10empty_typeEbEEZZNS1_14partition_implILS5_0ELb0ES3_jN6thrust23THRUST_200600_302600_NS6detail15normal_iteratorINSA_10device_ptrIyEEEEPS6_SG_NS0_5tupleIJSF_SF_EEENSH_IJSG_SG_EEES6_PlJ7is_evenIyEEEE10hipError_tPvRmT3_T4_T5_T6_T7_T9_mT8_P12ihipStream_tbDpT10_ENKUlT_T0_E_clISt17integral_constantIbLb1EES15_IbLb0EEEEDaS11_S12_EUlS11_E_NS1_11comp_targetILNS1_3genE3ELNS1_11target_archE908ELNS1_3gpuE7ELNS1_3repE0EEENS1_30default_config_static_selectorELNS0_4arch9wavefront6targetE1EEEvT1_ ; -- Begin function _ZN7rocprim17ROCPRIM_400000_NS6detail17trampoline_kernelINS0_14default_configENS1_25partition_config_selectorILNS1_17partition_subalgoE0EyNS0_10empty_typeEbEEZZNS1_14partition_implILS5_0ELb0ES3_jN6thrust23THRUST_200600_302600_NS6detail15normal_iteratorINSA_10device_ptrIyEEEEPS6_SG_NS0_5tupleIJSF_SF_EEENSH_IJSG_SG_EEES6_PlJ7is_evenIyEEEE10hipError_tPvRmT3_T4_T5_T6_T7_T9_mT8_P12ihipStream_tbDpT10_ENKUlT_T0_E_clISt17integral_constantIbLb1EES15_IbLb0EEEEDaS11_S12_EUlS11_E_NS1_11comp_targetILNS1_3genE3ELNS1_11target_archE908ELNS1_3gpuE7ELNS1_3repE0EEENS1_30default_config_static_selectorELNS0_4arch9wavefront6targetE1EEEvT1_
	.globl	_ZN7rocprim17ROCPRIM_400000_NS6detail17trampoline_kernelINS0_14default_configENS1_25partition_config_selectorILNS1_17partition_subalgoE0EyNS0_10empty_typeEbEEZZNS1_14partition_implILS5_0ELb0ES3_jN6thrust23THRUST_200600_302600_NS6detail15normal_iteratorINSA_10device_ptrIyEEEEPS6_SG_NS0_5tupleIJSF_SF_EEENSH_IJSG_SG_EEES6_PlJ7is_evenIyEEEE10hipError_tPvRmT3_T4_T5_T6_T7_T9_mT8_P12ihipStream_tbDpT10_ENKUlT_T0_E_clISt17integral_constantIbLb1EES15_IbLb0EEEEDaS11_S12_EUlS11_E_NS1_11comp_targetILNS1_3genE3ELNS1_11target_archE908ELNS1_3gpuE7ELNS1_3repE0EEENS1_30default_config_static_selectorELNS0_4arch9wavefront6targetE1EEEvT1_
	.p2align	8
	.type	_ZN7rocprim17ROCPRIM_400000_NS6detail17trampoline_kernelINS0_14default_configENS1_25partition_config_selectorILNS1_17partition_subalgoE0EyNS0_10empty_typeEbEEZZNS1_14partition_implILS5_0ELb0ES3_jN6thrust23THRUST_200600_302600_NS6detail15normal_iteratorINSA_10device_ptrIyEEEEPS6_SG_NS0_5tupleIJSF_SF_EEENSH_IJSG_SG_EEES6_PlJ7is_evenIyEEEE10hipError_tPvRmT3_T4_T5_T6_T7_T9_mT8_P12ihipStream_tbDpT10_ENKUlT_T0_E_clISt17integral_constantIbLb1EES15_IbLb0EEEEDaS11_S12_EUlS11_E_NS1_11comp_targetILNS1_3genE3ELNS1_11target_archE908ELNS1_3gpuE7ELNS1_3repE0EEENS1_30default_config_static_selectorELNS0_4arch9wavefront6targetE1EEEvT1_,@function
_ZN7rocprim17ROCPRIM_400000_NS6detail17trampoline_kernelINS0_14default_configENS1_25partition_config_selectorILNS1_17partition_subalgoE0EyNS0_10empty_typeEbEEZZNS1_14partition_implILS5_0ELb0ES3_jN6thrust23THRUST_200600_302600_NS6detail15normal_iteratorINSA_10device_ptrIyEEEEPS6_SG_NS0_5tupleIJSF_SF_EEENSH_IJSG_SG_EEES6_PlJ7is_evenIyEEEE10hipError_tPvRmT3_T4_T5_T6_T7_T9_mT8_P12ihipStream_tbDpT10_ENKUlT_T0_E_clISt17integral_constantIbLb1EES15_IbLb0EEEEDaS11_S12_EUlS11_E_NS1_11comp_targetILNS1_3genE3ELNS1_11target_archE908ELNS1_3gpuE7ELNS1_3repE0EEENS1_30default_config_static_selectorELNS0_4arch9wavefront6targetE1EEEvT1_: ; @_ZN7rocprim17ROCPRIM_400000_NS6detail17trampoline_kernelINS0_14default_configENS1_25partition_config_selectorILNS1_17partition_subalgoE0EyNS0_10empty_typeEbEEZZNS1_14partition_implILS5_0ELb0ES3_jN6thrust23THRUST_200600_302600_NS6detail15normal_iteratorINSA_10device_ptrIyEEEEPS6_SG_NS0_5tupleIJSF_SF_EEENSH_IJSG_SG_EEES6_PlJ7is_evenIyEEEE10hipError_tPvRmT3_T4_T5_T6_T7_T9_mT8_P12ihipStream_tbDpT10_ENKUlT_T0_E_clISt17integral_constantIbLb1EES15_IbLb0EEEEDaS11_S12_EUlS11_E_NS1_11comp_targetILNS1_3genE3ELNS1_11target_archE908ELNS1_3gpuE7ELNS1_3repE0EEENS1_30default_config_static_selectorELNS0_4arch9wavefront6targetE1EEEvT1_
; %bb.0:
	.section	.rodata,"a",@progbits
	.p2align	6, 0x0
	.amdhsa_kernel _ZN7rocprim17ROCPRIM_400000_NS6detail17trampoline_kernelINS0_14default_configENS1_25partition_config_selectorILNS1_17partition_subalgoE0EyNS0_10empty_typeEbEEZZNS1_14partition_implILS5_0ELb0ES3_jN6thrust23THRUST_200600_302600_NS6detail15normal_iteratorINSA_10device_ptrIyEEEEPS6_SG_NS0_5tupleIJSF_SF_EEENSH_IJSG_SG_EEES6_PlJ7is_evenIyEEEE10hipError_tPvRmT3_T4_T5_T6_T7_T9_mT8_P12ihipStream_tbDpT10_ENKUlT_T0_E_clISt17integral_constantIbLb1EES15_IbLb0EEEEDaS11_S12_EUlS11_E_NS1_11comp_targetILNS1_3genE3ELNS1_11target_archE908ELNS1_3gpuE7ELNS1_3repE0EEENS1_30default_config_static_selectorELNS0_4arch9wavefront6targetE1EEEvT1_
		.amdhsa_group_segment_fixed_size 0
		.amdhsa_private_segment_fixed_size 0
		.amdhsa_kernarg_size 120
		.amdhsa_user_sgpr_count 6
		.amdhsa_user_sgpr_private_segment_buffer 1
		.amdhsa_user_sgpr_dispatch_ptr 0
		.amdhsa_user_sgpr_queue_ptr 0
		.amdhsa_user_sgpr_kernarg_segment_ptr 1
		.amdhsa_user_sgpr_dispatch_id 0
		.amdhsa_user_sgpr_flat_scratch_init 0
		.amdhsa_user_sgpr_kernarg_preload_length 0
		.amdhsa_user_sgpr_kernarg_preload_offset 0
		.amdhsa_user_sgpr_private_segment_size 0
		.amdhsa_uses_dynamic_stack 0
		.amdhsa_system_sgpr_private_segment_wavefront_offset 0
		.amdhsa_system_sgpr_workgroup_id_x 1
		.amdhsa_system_sgpr_workgroup_id_y 0
		.amdhsa_system_sgpr_workgroup_id_z 0
		.amdhsa_system_sgpr_workgroup_info 0
		.amdhsa_system_vgpr_workitem_id 0
		.amdhsa_next_free_vgpr 1
		.amdhsa_next_free_sgpr 0
		.amdhsa_accum_offset 4
		.amdhsa_reserve_vcc 0
		.amdhsa_reserve_flat_scratch 0
		.amdhsa_float_round_mode_32 0
		.amdhsa_float_round_mode_16_64 0
		.amdhsa_float_denorm_mode_32 3
		.amdhsa_float_denorm_mode_16_64 3
		.amdhsa_dx10_clamp 1
		.amdhsa_ieee_mode 1
		.amdhsa_fp16_overflow 0
		.amdhsa_tg_split 0
		.amdhsa_exception_fp_ieee_invalid_op 0
		.amdhsa_exception_fp_denorm_src 0
		.amdhsa_exception_fp_ieee_div_zero 0
		.amdhsa_exception_fp_ieee_overflow 0
		.amdhsa_exception_fp_ieee_underflow 0
		.amdhsa_exception_fp_ieee_inexact 0
		.amdhsa_exception_int_div_zero 0
	.end_amdhsa_kernel
	.section	.text._ZN7rocprim17ROCPRIM_400000_NS6detail17trampoline_kernelINS0_14default_configENS1_25partition_config_selectorILNS1_17partition_subalgoE0EyNS0_10empty_typeEbEEZZNS1_14partition_implILS5_0ELb0ES3_jN6thrust23THRUST_200600_302600_NS6detail15normal_iteratorINSA_10device_ptrIyEEEEPS6_SG_NS0_5tupleIJSF_SF_EEENSH_IJSG_SG_EEES6_PlJ7is_evenIyEEEE10hipError_tPvRmT3_T4_T5_T6_T7_T9_mT8_P12ihipStream_tbDpT10_ENKUlT_T0_E_clISt17integral_constantIbLb1EES15_IbLb0EEEEDaS11_S12_EUlS11_E_NS1_11comp_targetILNS1_3genE3ELNS1_11target_archE908ELNS1_3gpuE7ELNS1_3repE0EEENS1_30default_config_static_selectorELNS0_4arch9wavefront6targetE1EEEvT1_,"axG",@progbits,_ZN7rocprim17ROCPRIM_400000_NS6detail17trampoline_kernelINS0_14default_configENS1_25partition_config_selectorILNS1_17partition_subalgoE0EyNS0_10empty_typeEbEEZZNS1_14partition_implILS5_0ELb0ES3_jN6thrust23THRUST_200600_302600_NS6detail15normal_iteratorINSA_10device_ptrIyEEEEPS6_SG_NS0_5tupleIJSF_SF_EEENSH_IJSG_SG_EEES6_PlJ7is_evenIyEEEE10hipError_tPvRmT3_T4_T5_T6_T7_T9_mT8_P12ihipStream_tbDpT10_ENKUlT_T0_E_clISt17integral_constantIbLb1EES15_IbLb0EEEEDaS11_S12_EUlS11_E_NS1_11comp_targetILNS1_3genE3ELNS1_11target_archE908ELNS1_3gpuE7ELNS1_3repE0EEENS1_30default_config_static_selectorELNS0_4arch9wavefront6targetE1EEEvT1_,comdat
.Lfunc_end2123:
	.size	_ZN7rocprim17ROCPRIM_400000_NS6detail17trampoline_kernelINS0_14default_configENS1_25partition_config_selectorILNS1_17partition_subalgoE0EyNS0_10empty_typeEbEEZZNS1_14partition_implILS5_0ELb0ES3_jN6thrust23THRUST_200600_302600_NS6detail15normal_iteratorINSA_10device_ptrIyEEEEPS6_SG_NS0_5tupleIJSF_SF_EEENSH_IJSG_SG_EEES6_PlJ7is_evenIyEEEE10hipError_tPvRmT3_T4_T5_T6_T7_T9_mT8_P12ihipStream_tbDpT10_ENKUlT_T0_E_clISt17integral_constantIbLb1EES15_IbLb0EEEEDaS11_S12_EUlS11_E_NS1_11comp_targetILNS1_3genE3ELNS1_11target_archE908ELNS1_3gpuE7ELNS1_3repE0EEENS1_30default_config_static_selectorELNS0_4arch9wavefront6targetE1EEEvT1_, .Lfunc_end2123-_ZN7rocprim17ROCPRIM_400000_NS6detail17trampoline_kernelINS0_14default_configENS1_25partition_config_selectorILNS1_17partition_subalgoE0EyNS0_10empty_typeEbEEZZNS1_14partition_implILS5_0ELb0ES3_jN6thrust23THRUST_200600_302600_NS6detail15normal_iteratorINSA_10device_ptrIyEEEEPS6_SG_NS0_5tupleIJSF_SF_EEENSH_IJSG_SG_EEES6_PlJ7is_evenIyEEEE10hipError_tPvRmT3_T4_T5_T6_T7_T9_mT8_P12ihipStream_tbDpT10_ENKUlT_T0_E_clISt17integral_constantIbLb1EES15_IbLb0EEEEDaS11_S12_EUlS11_E_NS1_11comp_targetILNS1_3genE3ELNS1_11target_archE908ELNS1_3gpuE7ELNS1_3repE0EEENS1_30default_config_static_selectorELNS0_4arch9wavefront6targetE1EEEvT1_
                                        ; -- End function
	.section	.AMDGPU.csdata,"",@progbits
; Kernel info:
; codeLenInByte = 0
; NumSgprs: 4
; NumVgprs: 0
; NumAgprs: 0
; TotalNumVgprs: 0
; ScratchSize: 0
; MemoryBound: 0
; FloatMode: 240
; IeeeMode: 1
; LDSByteSize: 0 bytes/workgroup (compile time only)
; SGPRBlocks: 0
; VGPRBlocks: 0
; NumSGPRsForWavesPerEU: 4
; NumVGPRsForWavesPerEU: 1
; AccumOffset: 4
; Occupancy: 8
; WaveLimiterHint : 0
; COMPUTE_PGM_RSRC2:SCRATCH_EN: 0
; COMPUTE_PGM_RSRC2:USER_SGPR: 6
; COMPUTE_PGM_RSRC2:TRAP_HANDLER: 0
; COMPUTE_PGM_RSRC2:TGID_X_EN: 1
; COMPUTE_PGM_RSRC2:TGID_Y_EN: 0
; COMPUTE_PGM_RSRC2:TGID_Z_EN: 0
; COMPUTE_PGM_RSRC2:TIDIG_COMP_CNT: 0
; COMPUTE_PGM_RSRC3_GFX90A:ACCUM_OFFSET: 0
; COMPUTE_PGM_RSRC3_GFX90A:TG_SPLIT: 0
	.section	.text._ZN7rocprim17ROCPRIM_400000_NS6detail17trampoline_kernelINS0_14default_configENS1_25partition_config_selectorILNS1_17partition_subalgoE0EyNS0_10empty_typeEbEEZZNS1_14partition_implILS5_0ELb0ES3_jN6thrust23THRUST_200600_302600_NS6detail15normal_iteratorINSA_10device_ptrIyEEEEPS6_SG_NS0_5tupleIJSF_SF_EEENSH_IJSG_SG_EEES6_PlJ7is_evenIyEEEE10hipError_tPvRmT3_T4_T5_T6_T7_T9_mT8_P12ihipStream_tbDpT10_ENKUlT_T0_E_clISt17integral_constantIbLb1EES15_IbLb0EEEEDaS11_S12_EUlS11_E_NS1_11comp_targetILNS1_3genE2ELNS1_11target_archE906ELNS1_3gpuE6ELNS1_3repE0EEENS1_30default_config_static_selectorELNS0_4arch9wavefront6targetE1EEEvT1_,"axG",@progbits,_ZN7rocprim17ROCPRIM_400000_NS6detail17trampoline_kernelINS0_14default_configENS1_25partition_config_selectorILNS1_17partition_subalgoE0EyNS0_10empty_typeEbEEZZNS1_14partition_implILS5_0ELb0ES3_jN6thrust23THRUST_200600_302600_NS6detail15normal_iteratorINSA_10device_ptrIyEEEEPS6_SG_NS0_5tupleIJSF_SF_EEENSH_IJSG_SG_EEES6_PlJ7is_evenIyEEEE10hipError_tPvRmT3_T4_T5_T6_T7_T9_mT8_P12ihipStream_tbDpT10_ENKUlT_T0_E_clISt17integral_constantIbLb1EES15_IbLb0EEEEDaS11_S12_EUlS11_E_NS1_11comp_targetILNS1_3genE2ELNS1_11target_archE906ELNS1_3gpuE6ELNS1_3repE0EEENS1_30default_config_static_selectorELNS0_4arch9wavefront6targetE1EEEvT1_,comdat
	.protected	_ZN7rocprim17ROCPRIM_400000_NS6detail17trampoline_kernelINS0_14default_configENS1_25partition_config_selectorILNS1_17partition_subalgoE0EyNS0_10empty_typeEbEEZZNS1_14partition_implILS5_0ELb0ES3_jN6thrust23THRUST_200600_302600_NS6detail15normal_iteratorINSA_10device_ptrIyEEEEPS6_SG_NS0_5tupleIJSF_SF_EEENSH_IJSG_SG_EEES6_PlJ7is_evenIyEEEE10hipError_tPvRmT3_T4_T5_T6_T7_T9_mT8_P12ihipStream_tbDpT10_ENKUlT_T0_E_clISt17integral_constantIbLb1EES15_IbLb0EEEEDaS11_S12_EUlS11_E_NS1_11comp_targetILNS1_3genE2ELNS1_11target_archE906ELNS1_3gpuE6ELNS1_3repE0EEENS1_30default_config_static_selectorELNS0_4arch9wavefront6targetE1EEEvT1_ ; -- Begin function _ZN7rocprim17ROCPRIM_400000_NS6detail17trampoline_kernelINS0_14default_configENS1_25partition_config_selectorILNS1_17partition_subalgoE0EyNS0_10empty_typeEbEEZZNS1_14partition_implILS5_0ELb0ES3_jN6thrust23THRUST_200600_302600_NS6detail15normal_iteratorINSA_10device_ptrIyEEEEPS6_SG_NS0_5tupleIJSF_SF_EEENSH_IJSG_SG_EEES6_PlJ7is_evenIyEEEE10hipError_tPvRmT3_T4_T5_T6_T7_T9_mT8_P12ihipStream_tbDpT10_ENKUlT_T0_E_clISt17integral_constantIbLb1EES15_IbLb0EEEEDaS11_S12_EUlS11_E_NS1_11comp_targetILNS1_3genE2ELNS1_11target_archE906ELNS1_3gpuE6ELNS1_3repE0EEENS1_30default_config_static_selectorELNS0_4arch9wavefront6targetE1EEEvT1_
	.globl	_ZN7rocprim17ROCPRIM_400000_NS6detail17trampoline_kernelINS0_14default_configENS1_25partition_config_selectorILNS1_17partition_subalgoE0EyNS0_10empty_typeEbEEZZNS1_14partition_implILS5_0ELb0ES3_jN6thrust23THRUST_200600_302600_NS6detail15normal_iteratorINSA_10device_ptrIyEEEEPS6_SG_NS0_5tupleIJSF_SF_EEENSH_IJSG_SG_EEES6_PlJ7is_evenIyEEEE10hipError_tPvRmT3_T4_T5_T6_T7_T9_mT8_P12ihipStream_tbDpT10_ENKUlT_T0_E_clISt17integral_constantIbLb1EES15_IbLb0EEEEDaS11_S12_EUlS11_E_NS1_11comp_targetILNS1_3genE2ELNS1_11target_archE906ELNS1_3gpuE6ELNS1_3repE0EEENS1_30default_config_static_selectorELNS0_4arch9wavefront6targetE1EEEvT1_
	.p2align	8
	.type	_ZN7rocprim17ROCPRIM_400000_NS6detail17trampoline_kernelINS0_14default_configENS1_25partition_config_selectorILNS1_17partition_subalgoE0EyNS0_10empty_typeEbEEZZNS1_14partition_implILS5_0ELb0ES3_jN6thrust23THRUST_200600_302600_NS6detail15normal_iteratorINSA_10device_ptrIyEEEEPS6_SG_NS0_5tupleIJSF_SF_EEENSH_IJSG_SG_EEES6_PlJ7is_evenIyEEEE10hipError_tPvRmT3_T4_T5_T6_T7_T9_mT8_P12ihipStream_tbDpT10_ENKUlT_T0_E_clISt17integral_constantIbLb1EES15_IbLb0EEEEDaS11_S12_EUlS11_E_NS1_11comp_targetILNS1_3genE2ELNS1_11target_archE906ELNS1_3gpuE6ELNS1_3repE0EEENS1_30default_config_static_selectorELNS0_4arch9wavefront6targetE1EEEvT1_,@function
_ZN7rocprim17ROCPRIM_400000_NS6detail17trampoline_kernelINS0_14default_configENS1_25partition_config_selectorILNS1_17partition_subalgoE0EyNS0_10empty_typeEbEEZZNS1_14partition_implILS5_0ELb0ES3_jN6thrust23THRUST_200600_302600_NS6detail15normal_iteratorINSA_10device_ptrIyEEEEPS6_SG_NS0_5tupleIJSF_SF_EEENSH_IJSG_SG_EEES6_PlJ7is_evenIyEEEE10hipError_tPvRmT3_T4_T5_T6_T7_T9_mT8_P12ihipStream_tbDpT10_ENKUlT_T0_E_clISt17integral_constantIbLb1EES15_IbLb0EEEEDaS11_S12_EUlS11_E_NS1_11comp_targetILNS1_3genE2ELNS1_11target_archE906ELNS1_3gpuE6ELNS1_3repE0EEENS1_30default_config_static_selectorELNS0_4arch9wavefront6targetE1EEEvT1_: ; @_ZN7rocprim17ROCPRIM_400000_NS6detail17trampoline_kernelINS0_14default_configENS1_25partition_config_selectorILNS1_17partition_subalgoE0EyNS0_10empty_typeEbEEZZNS1_14partition_implILS5_0ELb0ES3_jN6thrust23THRUST_200600_302600_NS6detail15normal_iteratorINSA_10device_ptrIyEEEEPS6_SG_NS0_5tupleIJSF_SF_EEENSH_IJSG_SG_EEES6_PlJ7is_evenIyEEEE10hipError_tPvRmT3_T4_T5_T6_T7_T9_mT8_P12ihipStream_tbDpT10_ENKUlT_T0_E_clISt17integral_constantIbLb1EES15_IbLb0EEEEDaS11_S12_EUlS11_E_NS1_11comp_targetILNS1_3genE2ELNS1_11target_archE906ELNS1_3gpuE6ELNS1_3repE0EEENS1_30default_config_static_selectorELNS0_4arch9wavefront6targetE1EEEvT1_
; %bb.0:
	.section	.rodata,"a",@progbits
	.p2align	6, 0x0
	.amdhsa_kernel _ZN7rocprim17ROCPRIM_400000_NS6detail17trampoline_kernelINS0_14default_configENS1_25partition_config_selectorILNS1_17partition_subalgoE0EyNS0_10empty_typeEbEEZZNS1_14partition_implILS5_0ELb0ES3_jN6thrust23THRUST_200600_302600_NS6detail15normal_iteratorINSA_10device_ptrIyEEEEPS6_SG_NS0_5tupleIJSF_SF_EEENSH_IJSG_SG_EEES6_PlJ7is_evenIyEEEE10hipError_tPvRmT3_T4_T5_T6_T7_T9_mT8_P12ihipStream_tbDpT10_ENKUlT_T0_E_clISt17integral_constantIbLb1EES15_IbLb0EEEEDaS11_S12_EUlS11_E_NS1_11comp_targetILNS1_3genE2ELNS1_11target_archE906ELNS1_3gpuE6ELNS1_3repE0EEENS1_30default_config_static_selectorELNS0_4arch9wavefront6targetE1EEEvT1_
		.amdhsa_group_segment_fixed_size 0
		.amdhsa_private_segment_fixed_size 0
		.amdhsa_kernarg_size 120
		.amdhsa_user_sgpr_count 6
		.amdhsa_user_sgpr_private_segment_buffer 1
		.amdhsa_user_sgpr_dispatch_ptr 0
		.amdhsa_user_sgpr_queue_ptr 0
		.amdhsa_user_sgpr_kernarg_segment_ptr 1
		.amdhsa_user_sgpr_dispatch_id 0
		.amdhsa_user_sgpr_flat_scratch_init 0
		.amdhsa_user_sgpr_kernarg_preload_length 0
		.amdhsa_user_sgpr_kernarg_preload_offset 0
		.amdhsa_user_sgpr_private_segment_size 0
		.amdhsa_uses_dynamic_stack 0
		.amdhsa_system_sgpr_private_segment_wavefront_offset 0
		.amdhsa_system_sgpr_workgroup_id_x 1
		.amdhsa_system_sgpr_workgroup_id_y 0
		.amdhsa_system_sgpr_workgroup_id_z 0
		.amdhsa_system_sgpr_workgroup_info 0
		.amdhsa_system_vgpr_workitem_id 0
		.amdhsa_next_free_vgpr 1
		.amdhsa_next_free_sgpr 0
		.amdhsa_accum_offset 4
		.amdhsa_reserve_vcc 0
		.amdhsa_reserve_flat_scratch 0
		.amdhsa_float_round_mode_32 0
		.amdhsa_float_round_mode_16_64 0
		.amdhsa_float_denorm_mode_32 3
		.amdhsa_float_denorm_mode_16_64 3
		.amdhsa_dx10_clamp 1
		.amdhsa_ieee_mode 1
		.amdhsa_fp16_overflow 0
		.amdhsa_tg_split 0
		.amdhsa_exception_fp_ieee_invalid_op 0
		.amdhsa_exception_fp_denorm_src 0
		.amdhsa_exception_fp_ieee_div_zero 0
		.amdhsa_exception_fp_ieee_overflow 0
		.amdhsa_exception_fp_ieee_underflow 0
		.amdhsa_exception_fp_ieee_inexact 0
		.amdhsa_exception_int_div_zero 0
	.end_amdhsa_kernel
	.section	.text._ZN7rocprim17ROCPRIM_400000_NS6detail17trampoline_kernelINS0_14default_configENS1_25partition_config_selectorILNS1_17partition_subalgoE0EyNS0_10empty_typeEbEEZZNS1_14partition_implILS5_0ELb0ES3_jN6thrust23THRUST_200600_302600_NS6detail15normal_iteratorINSA_10device_ptrIyEEEEPS6_SG_NS0_5tupleIJSF_SF_EEENSH_IJSG_SG_EEES6_PlJ7is_evenIyEEEE10hipError_tPvRmT3_T4_T5_T6_T7_T9_mT8_P12ihipStream_tbDpT10_ENKUlT_T0_E_clISt17integral_constantIbLb1EES15_IbLb0EEEEDaS11_S12_EUlS11_E_NS1_11comp_targetILNS1_3genE2ELNS1_11target_archE906ELNS1_3gpuE6ELNS1_3repE0EEENS1_30default_config_static_selectorELNS0_4arch9wavefront6targetE1EEEvT1_,"axG",@progbits,_ZN7rocprim17ROCPRIM_400000_NS6detail17trampoline_kernelINS0_14default_configENS1_25partition_config_selectorILNS1_17partition_subalgoE0EyNS0_10empty_typeEbEEZZNS1_14partition_implILS5_0ELb0ES3_jN6thrust23THRUST_200600_302600_NS6detail15normal_iteratorINSA_10device_ptrIyEEEEPS6_SG_NS0_5tupleIJSF_SF_EEENSH_IJSG_SG_EEES6_PlJ7is_evenIyEEEE10hipError_tPvRmT3_T4_T5_T6_T7_T9_mT8_P12ihipStream_tbDpT10_ENKUlT_T0_E_clISt17integral_constantIbLb1EES15_IbLb0EEEEDaS11_S12_EUlS11_E_NS1_11comp_targetILNS1_3genE2ELNS1_11target_archE906ELNS1_3gpuE6ELNS1_3repE0EEENS1_30default_config_static_selectorELNS0_4arch9wavefront6targetE1EEEvT1_,comdat
.Lfunc_end2124:
	.size	_ZN7rocprim17ROCPRIM_400000_NS6detail17trampoline_kernelINS0_14default_configENS1_25partition_config_selectorILNS1_17partition_subalgoE0EyNS0_10empty_typeEbEEZZNS1_14partition_implILS5_0ELb0ES3_jN6thrust23THRUST_200600_302600_NS6detail15normal_iteratorINSA_10device_ptrIyEEEEPS6_SG_NS0_5tupleIJSF_SF_EEENSH_IJSG_SG_EEES6_PlJ7is_evenIyEEEE10hipError_tPvRmT3_T4_T5_T6_T7_T9_mT8_P12ihipStream_tbDpT10_ENKUlT_T0_E_clISt17integral_constantIbLb1EES15_IbLb0EEEEDaS11_S12_EUlS11_E_NS1_11comp_targetILNS1_3genE2ELNS1_11target_archE906ELNS1_3gpuE6ELNS1_3repE0EEENS1_30default_config_static_selectorELNS0_4arch9wavefront6targetE1EEEvT1_, .Lfunc_end2124-_ZN7rocprim17ROCPRIM_400000_NS6detail17trampoline_kernelINS0_14default_configENS1_25partition_config_selectorILNS1_17partition_subalgoE0EyNS0_10empty_typeEbEEZZNS1_14partition_implILS5_0ELb0ES3_jN6thrust23THRUST_200600_302600_NS6detail15normal_iteratorINSA_10device_ptrIyEEEEPS6_SG_NS0_5tupleIJSF_SF_EEENSH_IJSG_SG_EEES6_PlJ7is_evenIyEEEE10hipError_tPvRmT3_T4_T5_T6_T7_T9_mT8_P12ihipStream_tbDpT10_ENKUlT_T0_E_clISt17integral_constantIbLb1EES15_IbLb0EEEEDaS11_S12_EUlS11_E_NS1_11comp_targetILNS1_3genE2ELNS1_11target_archE906ELNS1_3gpuE6ELNS1_3repE0EEENS1_30default_config_static_selectorELNS0_4arch9wavefront6targetE1EEEvT1_
                                        ; -- End function
	.section	.AMDGPU.csdata,"",@progbits
; Kernel info:
; codeLenInByte = 0
; NumSgprs: 4
; NumVgprs: 0
; NumAgprs: 0
; TotalNumVgprs: 0
; ScratchSize: 0
; MemoryBound: 0
; FloatMode: 240
; IeeeMode: 1
; LDSByteSize: 0 bytes/workgroup (compile time only)
; SGPRBlocks: 0
; VGPRBlocks: 0
; NumSGPRsForWavesPerEU: 4
; NumVGPRsForWavesPerEU: 1
; AccumOffset: 4
; Occupancy: 8
; WaveLimiterHint : 0
; COMPUTE_PGM_RSRC2:SCRATCH_EN: 0
; COMPUTE_PGM_RSRC2:USER_SGPR: 6
; COMPUTE_PGM_RSRC2:TRAP_HANDLER: 0
; COMPUTE_PGM_RSRC2:TGID_X_EN: 1
; COMPUTE_PGM_RSRC2:TGID_Y_EN: 0
; COMPUTE_PGM_RSRC2:TGID_Z_EN: 0
; COMPUTE_PGM_RSRC2:TIDIG_COMP_CNT: 0
; COMPUTE_PGM_RSRC3_GFX90A:ACCUM_OFFSET: 0
; COMPUTE_PGM_RSRC3_GFX90A:TG_SPLIT: 0
	.section	.text._ZN7rocprim17ROCPRIM_400000_NS6detail17trampoline_kernelINS0_14default_configENS1_25partition_config_selectorILNS1_17partition_subalgoE0EyNS0_10empty_typeEbEEZZNS1_14partition_implILS5_0ELb0ES3_jN6thrust23THRUST_200600_302600_NS6detail15normal_iteratorINSA_10device_ptrIyEEEEPS6_SG_NS0_5tupleIJSF_SF_EEENSH_IJSG_SG_EEES6_PlJ7is_evenIyEEEE10hipError_tPvRmT3_T4_T5_T6_T7_T9_mT8_P12ihipStream_tbDpT10_ENKUlT_T0_E_clISt17integral_constantIbLb1EES15_IbLb0EEEEDaS11_S12_EUlS11_E_NS1_11comp_targetILNS1_3genE10ELNS1_11target_archE1200ELNS1_3gpuE4ELNS1_3repE0EEENS1_30default_config_static_selectorELNS0_4arch9wavefront6targetE1EEEvT1_,"axG",@progbits,_ZN7rocprim17ROCPRIM_400000_NS6detail17trampoline_kernelINS0_14default_configENS1_25partition_config_selectorILNS1_17partition_subalgoE0EyNS0_10empty_typeEbEEZZNS1_14partition_implILS5_0ELb0ES3_jN6thrust23THRUST_200600_302600_NS6detail15normal_iteratorINSA_10device_ptrIyEEEEPS6_SG_NS0_5tupleIJSF_SF_EEENSH_IJSG_SG_EEES6_PlJ7is_evenIyEEEE10hipError_tPvRmT3_T4_T5_T6_T7_T9_mT8_P12ihipStream_tbDpT10_ENKUlT_T0_E_clISt17integral_constantIbLb1EES15_IbLb0EEEEDaS11_S12_EUlS11_E_NS1_11comp_targetILNS1_3genE10ELNS1_11target_archE1200ELNS1_3gpuE4ELNS1_3repE0EEENS1_30default_config_static_selectorELNS0_4arch9wavefront6targetE1EEEvT1_,comdat
	.protected	_ZN7rocprim17ROCPRIM_400000_NS6detail17trampoline_kernelINS0_14default_configENS1_25partition_config_selectorILNS1_17partition_subalgoE0EyNS0_10empty_typeEbEEZZNS1_14partition_implILS5_0ELb0ES3_jN6thrust23THRUST_200600_302600_NS6detail15normal_iteratorINSA_10device_ptrIyEEEEPS6_SG_NS0_5tupleIJSF_SF_EEENSH_IJSG_SG_EEES6_PlJ7is_evenIyEEEE10hipError_tPvRmT3_T4_T5_T6_T7_T9_mT8_P12ihipStream_tbDpT10_ENKUlT_T0_E_clISt17integral_constantIbLb1EES15_IbLb0EEEEDaS11_S12_EUlS11_E_NS1_11comp_targetILNS1_3genE10ELNS1_11target_archE1200ELNS1_3gpuE4ELNS1_3repE0EEENS1_30default_config_static_selectorELNS0_4arch9wavefront6targetE1EEEvT1_ ; -- Begin function _ZN7rocprim17ROCPRIM_400000_NS6detail17trampoline_kernelINS0_14default_configENS1_25partition_config_selectorILNS1_17partition_subalgoE0EyNS0_10empty_typeEbEEZZNS1_14partition_implILS5_0ELb0ES3_jN6thrust23THRUST_200600_302600_NS6detail15normal_iteratorINSA_10device_ptrIyEEEEPS6_SG_NS0_5tupleIJSF_SF_EEENSH_IJSG_SG_EEES6_PlJ7is_evenIyEEEE10hipError_tPvRmT3_T4_T5_T6_T7_T9_mT8_P12ihipStream_tbDpT10_ENKUlT_T0_E_clISt17integral_constantIbLb1EES15_IbLb0EEEEDaS11_S12_EUlS11_E_NS1_11comp_targetILNS1_3genE10ELNS1_11target_archE1200ELNS1_3gpuE4ELNS1_3repE0EEENS1_30default_config_static_selectorELNS0_4arch9wavefront6targetE1EEEvT1_
	.globl	_ZN7rocprim17ROCPRIM_400000_NS6detail17trampoline_kernelINS0_14default_configENS1_25partition_config_selectorILNS1_17partition_subalgoE0EyNS0_10empty_typeEbEEZZNS1_14partition_implILS5_0ELb0ES3_jN6thrust23THRUST_200600_302600_NS6detail15normal_iteratorINSA_10device_ptrIyEEEEPS6_SG_NS0_5tupleIJSF_SF_EEENSH_IJSG_SG_EEES6_PlJ7is_evenIyEEEE10hipError_tPvRmT3_T4_T5_T6_T7_T9_mT8_P12ihipStream_tbDpT10_ENKUlT_T0_E_clISt17integral_constantIbLb1EES15_IbLb0EEEEDaS11_S12_EUlS11_E_NS1_11comp_targetILNS1_3genE10ELNS1_11target_archE1200ELNS1_3gpuE4ELNS1_3repE0EEENS1_30default_config_static_selectorELNS0_4arch9wavefront6targetE1EEEvT1_
	.p2align	8
	.type	_ZN7rocprim17ROCPRIM_400000_NS6detail17trampoline_kernelINS0_14default_configENS1_25partition_config_selectorILNS1_17partition_subalgoE0EyNS0_10empty_typeEbEEZZNS1_14partition_implILS5_0ELb0ES3_jN6thrust23THRUST_200600_302600_NS6detail15normal_iteratorINSA_10device_ptrIyEEEEPS6_SG_NS0_5tupleIJSF_SF_EEENSH_IJSG_SG_EEES6_PlJ7is_evenIyEEEE10hipError_tPvRmT3_T4_T5_T6_T7_T9_mT8_P12ihipStream_tbDpT10_ENKUlT_T0_E_clISt17integral_constantIbLb1EES15_IbLb0EEEEDaS11_S12_EUlS11_E_NS1_11comp_targetILNS1_3genE10ELNS1_11target_archE1200ELNS1_3gpuE4ELNS1_3repE0EEENS1_30default_config_static_selectorELNS0_4arch9wavefront6targetE1EEEvT1_,@function
_ZN7rocprim17ROCPRIM_400000_NS6detail17trampoline_kernelINS0_14default_configENS1_25partition_config_selectorILNS1_17partition_subalgoE0EyNS0_10empty_typeEbEEZZNS1_14partition_implILS5_0ELb0ES3_jN6thrust23THRUST_200600_302600_NS6detail15normal_iteratorINSA_10device_ptrIyEEEEPS6_SG_NS0_5tupleIJSF_SF_EEENSH_IJSG_SG_EEES6_PlJ7is_evenIyEEEE10hipError_tPvRmT3_T4_T5_T6_T7_T9_mT8_P12ihipStream_tbDpT10_ENKUlT_T0_E_clISt17integral_constantIbLb1EES15_IbLb0EEEEDaS11_S12_EUlS11_E_NS1_11comp_targetILNS1_3genE10ELNS1_11target_archE1200ELNS1_3gpuE4ELNS1_3repE0EEENS1_30default_config_static_selectorELNS0_4arch9wavefront6targetE1EEEvT1_: ; @_ZN7rocprim17ROCPRIM_400000_NS6detail17trampoline_kernelINS0_14default_configENS1_25partition_config_selectorILNS1_17partition_subalgoE0EyNS0_10empty_typeEbEEZZNS1_14partition_implILS5_0ELb0ES3_jN6thrust23THRUST_200600_302600_NS6detail15normal_iteratorINSA_10device_ptrIyEEEEPS6_SG_NS0_5tupleIJSF_SF_EEENSH_IJSG_SG_EEES6_PlJ7is_evenIyEEEE10hipError_tPvRmT3_T4_T5_T6_T7_T9_mT8_P12ihipStream_tbDpT10_ENKUlT_T0_E_clISt17integral_constantIbLb1EES15_IbLb0EEEEDaS11_S12_EUlS11_E_NS1_11comp_targetILNS1_3genE10ELNS1_11target_archE1200ELNS1_3gpuE4ELNS1_3repE0EEENS1_30default_config_static_selectorELNS0_4arch9wavefront6targetE1EEEvT1_
; %bb.0:
	.section	.rodata,"a",@progbits
	.p2align	6, 0x0
	.amdhsa_kernel _ZN7rocprim17ROCPRIM_400000_NS6detail17trampoline_kernelINS0_14default_configENS1_25partition_config_selectorILNS1_17partition_subalgoE0EyNS0_10empty_typeEbEEZZNS1_14partition_implILS5_0ELb0ES3_jN6thrust23THRUST_200600_302600_NS6detail15normal_iteratorINSA_10device_ptrIyEEEEPS6_SG_NS0_5tupleIJSF_SF_EEENSH_IJSG_SG_EEES6_PlJ7is_evenIyEEEE10hipError_tPvRmT3_T4_T5_T6_T7_T9_mT8_P12ihipStream_tbDpT10_ENKUlT_T0_E_clISt17integral_constantIbLb1EES15_IbLb0EEEEDaS11_S12_EUlS11_E_NS1_11comp_targetILNS1_3genE10ELNS1_11target_archE1200ELNS1_3gpuE4ELNS1_3repE0EEENS1_30default_config_static_selectorELNS0_4arch9wavefront6targetE1EEEvT1_
		.amdhsa_group_segment_fixed_size 0
		.amdhsa_private_segment_fixed_size 0
		.amdhsa_kernarg_size 120
		.amdhsa_user_sgpr_count 6
		.amdhsa_user_sgpr_private_segment_buffer 1
		.amdhsa_user_sgpr_dispatch_ptr 0
		.amdhsa_user_sgpr_queue_ptr 0
		.amdhsa_user_sgpr_kernarg_segment_ptr 1
		.amdhsa_user_sgpr_dispatch_id 0
		.amdhsa_user_sgpr_flat_scratch_init 0
		.amdhsa_user_sgpr_kernarg_preload_length 0
		.amdhsa_user_sgpr_kernarg_preload_offset 0
		.amdhsa_user_sgpr_private_segment_size 0
		.amdhsa_uses_dynamic_stack 0
		.amdhsa_system_sgpr_private_segment_wavefront_offset 0
		.amdhsa_system_sgpr_workgroup_id_x 1
		.amdhsa_system_sgpr_workgroup_id_y 0
		.amdhsa_system_sgpr_workgroup_id_z 0
		.amdhsa_system_sgpr_workgroup_info 0
		.amdhsa_system_vgpr_workitem_id 0
		.amdhsa_next_free_vgpr 1
		.amdhsa_next_free_sgpr 0
		.amdhsa_accum_offset 4
		.amdhsa_reserve_vcc 0
		.amdhsa_reserve_flat_scratch 0
		.amdhsa_float_round_mode_32 0
		.amdhsa_float_round_mode_16_64 0
		.amdhsa_float_denorm_mode_32 3
		.amdhsa_float_denorm_mode_16_64 3
		.amdhsa_dx10_clamp 1
		.amdhsa_ieee_mode 1
		.amdhsa_fp16_overflow 0
		.amdhsa_tg_split 0
		.amdhsa_exception_fp_ieee_invalid_op 0
		.amdhsa_exception_fp_denorm_src 0
		.amdhsa_exception_fp_ieee_div_zero 0
		.amdhsa_exception_fp_ieee_overflow 0
		.amdhsa_exception_fp_ieee_underflow 0
		.amdhsa_exception_fp_ieee_inexact 0
		.amdhsa_exception_int_div_zero 0
	.end_amdhsa_kernel
	.section	.text._ZN7rocprim17ROCPRIM_400000_NS6detail17trampoline_kernelINS0_14default_configENS1_25partition_config_selectorILNS1_17partition_subalgoE0EyNS0_10empty_typeEbEEZZNS1_14partition_implILS5_0ELb0ES3_jN6thrust23THRUST_200600_302600_NS6detail15normal_iteratorINSA_10device_ptrIyEEEEPS6_SG_NS0_5tupleIJSF_SF_EEENSH_IJSG_SG_EEES6_PlJ7is_evenIyEEEE10hipError_tPvRmT3_T4_T5_T6_T7_T9_mT8_P12ihipStream_tbDpT10_ENKUlT_T0_E_clISt17integral_constantIbLb1EES15_IbLb0EEEEDaS11_S12_EUlS11_E_NS1_11comp_targetILNS1_3genE10ELNS1_11target_archE1200ELNS1_3gpuE4ELNS1_3repE0EEENS1_30default_config_static_selectorELNS0_4arch9wavefront6targetE1EEEvT1_,"axG",@progbits,_ZN7rocprim17ROCPRIM_400000_NS6detail17trampoline_kernelINS0_14default_configENS1_25partition_config_selectorILNS1_17partition_subalgoE0EyNS0_10empty_typeEbEEZZNS1_14partition_implILS5_0ELb0ES3_jN6thrust23THRUST_200600_302600_NS6detail15normal_iteratorINSA_10device_ptrIyEEEEPS6_SG_NS0_5tupleIJSF_SF_EEENSH_IJSG_SG_EEES6_PlJ7is_evenIyEEEE10hipError_tPvRmT3_T4_T5_T6_T7_T9_mT8_P12ihipStream_tbDpT10_ENKUlT_T0_E_clISt17integral_constantIbLb1EES15_IbLb0EEEEDaS11_S12_EUlS11_E_NS1_11comp_targetILNS1_3genE10ELNS1_11target_archE1200ELNS1_3gpuE4ELNS1_3repE0EEENS1_30default_config_static_selectorELNS0_4arch9wavefront6targetE1EEEvT1_,comdat
.Lfunc_end2125:
	.size	_ZN7rocprim17ROCPRIM_400000_NS6detail17trampoline_kernelINS0_14default_configENS1_25partition_config_selectorILNS1_17partition_subalgoE0EyNS0_10empty_typeEbEEZZNS1_14partition_implILS5_0ELb0ES3_jN6thrust23THRUST_200600_302600_NS6detail15normal_iteratorINSA_10device_ptrIyEEEEPS6_SG_NS0_5tupleIJSF_SF_EEENSH_IJSG_SG_EEES6_PlJ7is_evenIyEEEE10hipError_tPvRmT3_T4_T5_T6_T7_T9_mT8_P12ihipStream_tbDpT10_ENKUlT_T0_E_clISt17integral_constantIbLb1EES15_IbLb0EEEEDaS11_S12_EUlS11_E_NS1_11comp_targetILNS1_3genE10ELNS1_11target_archE1200ELNS1_3gpuE4ELNS1_3repE0EEENS1_30default_config_static_selectorELNS0_4arch9wavefront6targetE1EEEvT1_, .Lfunc_end2125-_ZN7rocprim17ROCPRIM_400000_NS6detail17trampoline_kernelINS0_14default_configENS1_25partition_config_selectorILNS1_17partition_subalgoE0EyNS0_10empty_typeEbEEZZNS1_14partition_implILS5_0ELb0ES3_jN6thrust23THRUST_200600_302600_NS6detail15normal_iteratorINSA_10device_ptrIyEEEEPS6_SG_NS0_5tupleIJSF_SF_EEENSH_IJSG_SG_EEES6_PlJ7is_evenIyEEEE10hipError_tPvRmT3_T4_T5_T6_T7_T9_mT8_P12ihipStream_tbDpT10_ENKUlT_T0_E_clISt17integral_constantIbLb1EES15_IbLb0EEEEDaS11_S12_EUlS11_E_NS1_11comp_targetILNS1_3genE10ELNS1_11target_archE1200ELNS1_3gpuE4ELNS1_3repE0EEENS1_30default_config_static_selectorELNS0_4arch9wavefront6targetE1EEEvT1_
                                        ; -- End function
	.section	.AMDGPU.csdata,"",@progbits
; Kernel info:
; codeLenInByte = 0
; NumSgprs: 4
; NumVgprs: 0
; NumAgprs: 0
; TotalNumVgprs: 0
; ScratchSize: 0
; MemoryBound: 0
; FloatMode: 240
; IeeeMode: 1
; LDSByteSize: 0 bytes/workgroup (compile time only)
; SGPRBlocks: 0
; VGPRBlocks: 0
; NumSGPRsForWavesPerEU: 4
; NumVGPRsForWavesPerEU: 1
; AccumOffset: 4
; Occupancy: 8
; WaveLimiterHint : 0
; COMPUTE_PGM_RSRC2:SCRATCH_EN: 0
; COMPUTE_PGM_RSRC2:USER_SGPR: 6
; COMPUTE_PGM_RSRC2:TRAP_HANDLER: 0
; COMPUTE_PGM_RSRC2:TGID_X_EN: 1
; COMPUTE_PGM_RSRC2:TGID_Y_EN: 0
; COMPUTE_PGM_RSRC2:TGID_Z_EN: 0
; COMPUTE_PGM_RSRC2:TIDIG_COMP_CNT: 0
; COMPUTE_PGM_RSRC3_GFX90A:ACCUM_OFFSET: 0
; COMPUTE_PGM_RSRC3_GFX90A:TG_SPLIT: 0
	.section	.text._ZN7rocprim17ROCPRIM_400000_NS6detail17trampoline_kernelINS0_14default_configENS1_25partition_config_selectorILNS1_17partition_subalgoE0EyNS0_10empty_typeEbEEZZNS1_14partition_implILS5_0ELb0ES3_jN6thrust23THRUST_200600_302600_NS6detail15normal_iteratorINSA_10device_ptrIyEEEEPS6_SG_NS0_5tupleIJSF_SF_EEENSH_IJSG_SG_EEES6_PlJ7is_evenIyEEEE10hipError_tPvRmT3_T4_T5_T6_T7_T9_mT8_P12ihipStream_tbDpT10_ENKUlT_T0_E_clISt17integral_constantIbLb1EES15_IbLb0EEEEDaS11_S12_EUlS11_E_NS1_11comp_targetILNS1_3genE9ELNS1_11target_archE1100ELNS1_3gpuE3ELNS1_3repE0EEENS1_30default_config_static_selectorELNS0_4arch9wavefront6targetE1EEEvT1_,"axG",@progbits,_ZN7rocprim17ROCPRIM_400000_NS6detail17trampoline_kernelINS0_14default_configENS1_25partition_config_selectorILNS1_17partition_subalgoE0EyNS0_10empty_typeEbEEZZNS1_14partition_implILS5_0ELb0ES3_jN6thrust23THRUST_200600_302600_NS6detail15normal_iteratorINSA_10device_ptrIyEEEEPS6_SG_NS0_5tupleIJSF_SF_EEENSH_IJSG_SG_EEES6_PlJ7is_evenIyEEEE10hipError_tPvRmT3_T4_T5_T6_T7_T9_mT8_P12ihipStream_tbDpT10_ENKUlT_T0_E_clISt17integral_constantIbLb1EES15_IbLb0EEEEDaS11_S12_EUlS11_E_NS1_11comp_targetILNS1_3genE9ELNS1_11target_archE1100ELNS1_3gpuE3ELNS1_3repE0EEENS1_30default_config_static_selectorELNS0_4arch9wavefront6targetE1EEEvT1_,comdat
	.protected	_ZN7rocprim17ROCPRIM_400000_NS6detail17trampoline_kernelINS0_14default_configENS1_25partition_config_selectorILNS1_17partition_subalgoE0EyNS0_10empty_typeEbEEZZNS1_14partition_implILS5_0ELb0ES3_jN6thrust23THRUST_200600_302600_NS6detail15normal_iteratorINSA_10device_ptrIyEEEEPS6_SG_NS0_5tupleIJSF_SF_EEENSH_IJSG_SG_EEES6_PlJ7is_evenIyEEEE10hipError_tPvRmT3_T4_T5_T6_T7_T9_mT8_P12ihipStream_tbDpT10_ENKUlT_T0_E_clISt17integral_constantIbLb1EES15_IbLb0EEEEDaS11_S12_EUlS11_E_NS1_11comp_targetILNS1_3genE9ELNS1_11target_archE1100ELNS1_3gpuE3ELNS1_3repE0EEENS1_30default_config_static_selectorELNS0_4arch9wavefront6targetE1EEEvT1_ ; -- Begin function _ZN7rocprim17ROCPRIM_400000_NS6detail17trampoline_kernelINS0_14default_configENS1_25partition_config_selectorILNS1_17partition_subalgoE0EyNS0_10empty_typeEbEEZZNS1_14partition_implILS5_0ELb0ES3_jN6thrust23THRUST_200600_302600_NS6detail15normal_iteratorINSA_10device_ptrIyEEEEPS6_SG_NS0_5tupleIJSF_SF_EEENSH_IJSG_SG_EEES6_PlJ7is_evenIyEEEE10hipError_tPvRmT3_T4_T5_T6_T7_T9_mT8_P12ihipStream_tbDpT10_ENKUlT_T0_E_clISt17integral_constantIbLb1EES15_IbLb0EEEEDaS11_S12_EUlS11_E_NS1_11comp_targetILNS1_3genE9ELNS1_11target_archE1100ELNS1_3gpuE3ELNS1_3repE0EEENS1_30default_config_static_selectorELNS0_4arch9wavefront6targetE1EEEvT1_
	.globl	_ZN7rocprim17ROCPRIM_400000_NS6detail17trampoline_kernelINS0_14default_configENS1_25partition_config_selectorILNS1_17partition_subalgoE0EyNS0_10empty_typeEbEEZZNS1_14partition_implILS5_0ELb0ES3_jN6thrust23THRUST_200600_302600_NS6detail15normal_iteratorINSA_10device_ptrIyEEEEPS6_SG_NS0_5tupleIJSF_SF_EEENSH_IJSG_SG_EEES6_PlJ7is_evenIyEEEE10hipError_tPvRmT3_T4_T5_T6_T7_T9_mT8_P12ihipStream_tbDpT10_ENKUlT_T0_E_clISt17integral_constantIbLb1EES15_IbLb0EEEEDaS11_S12_EUlS11_E_NS1_11comp_targetILNS1_3genE9ELNS1_11target_archE1100ELNS1_3gpuE3ELNS1_3repE0EEENS1_30default_config_static_selectorELNS0_4arch9wavefront6targetE1EEEvT1_
	.p2align	8
	.type	_ZN7rocprim17ROCPRIM_400000_NS6detail17trampoline_kernelINS0_14default_configENS1_25partition_config_selectorILNS1_17partition_subalgoE0EyNS0_10empty_typeEbEEZZNS1_14partition_implILS5_0ELb0ES3_jN6thrust23THRUST_200600_302600_NS6detail15normal_iteratorINSA_10device_ptrIyEEEEPS6_SG_NS0_5tupleIJSF_SF_EEENSH_IJSG_SG_EEES6_PlJ7is_evenIyEEEE10hipError_tPvRmT3_T4_T5_T6_T7_T9_mT8_P12ihipStream_tbDpT10_ENKUlT_T0_E_clISt17integral_constantIbLb1EES15_IbLb0EEEEDaS11_S12_EUlS11_E_NS1_11comp_targetILNS1_3genE9ELNS1_11target_archE1100ELNS1_3gpuE3ELNS1_3repE0EEENS1_30default_config_static_selectorELNS0_4arch9wavefront6targetE1EEEvT1_,@function
_ZN7rocprim17ROCPRIM_400000_NS6detail17trampoline_kernelINS0_14default_configENS1_25partition_config_selectorILNS1_17partition_subalgoE0EyNS0_10empty_typeEbEEZZNS1_14partition_implILS5_0ELb0ES3_jN6thrust23THRUST_200600_302600_NS6detail15normal_iteratorINSA_10device_ptrIyEEEEPS6_SG_NS0_5tupleIJSF_SF_EEENSH_IJSG_SG_EEES6_PlJ7is_evenIyEEEE10hipError_tPvRmT3_T4_T5_T6_T7_T9_mT8_P12ihipStream_tbDpT10_ENKUlT_T0_E_clISt17integral_constantIbLb1EES15_IbLb0EEEEDaS11_S12_EUlS11_E_NS1_11comp_targetILNS1_3genE9ELNS1_11target_archE1100ELNS1_3gpuE3ELNS1_3repE0EEENS1_30default_config_static_selectorELNS0_4arch9wavefront6targetE1EEEvT1_: ; @_ZN7rocprim17ROCPRIM_400000_NS6detail17trampoline_kernelINS0_14default_configENS1_25partition_config_selectorILNS1_17partition_subalgoE0EyNS0_10empty_typeEbEEZZNS1_14partition_implILS5_0ELb0ES3_jN6thrust23THRUST_200600_302600_NS6detail15normal_iteratorINSA_10device_ptrIyEEEEPS6_SG_NS0_5tupleIJSF_SF_EEENSH_IJSG_SG_EEES6_PlJ7is_evenIyEEEE10hipError_tPvRmT3_T4_T5_T6_T7_T9_mT8_P12ihipStream_tbDpT10_ENKUlT_T0_E_clISt17integral_constantIbLb1EES15_IbLb0EEEEDaS11_S12_EUlS11_E_NS1_11comp_targetILNS1_3genE9ELNS1_11target_archE1100ELNS1_3gpuE3ELNS1_3repE0EEENS1_30default_config_static_selectorELNS0_4arch9wavefront6targetE1EEEvT1_
; %bb.0:
	.section	.rodata,"a",@progbits
	.p2align	6, 0x0
	.amdhsa_kernel _ZN7rocprim17ROCPRIM_400000_NS6detail17trampoline_kernelINS0_14default_configENS1_25partition_config_selectorILNS1_17partition_subalgoE0EyNS0_10empty_typeEbEEZZNS1_14partition_implILS5_0ELb0ES3_jN6thrust23THRUST_200600_302600_NS6detail15normal_iteratorINSA_10device_ptrIyEEEEPS6_SG_NS0_5tupleIJSF_SF_EEENSH_IJSG_SG_EEES6_PlJ7is_evenIyEEEE10hipError_tPvRmT3_T4_T5_T6_T7_T9_mT8_P12ihipStream_tbDpT10_ENKUlT_T0_E_clISt17integral_constantIbLb1EES15_IbLb0EEEEDaS11_S12_EUlS11_E_NS1_11comp_targetILNS1_3genE9ELNS1_11target_archE1100ELNS1_3gpuE3ELNS1_3repE0EEENS1_30default_config_static_selectorELNS0_4arch9wavefront6targetE1EEEvT1_
		.amdhsa_group_segment_fixed_size 0
		.amdhsa_private_segment_fixed_size 0
		.amdhsa_kernarg_size 120
		.amdhsa_user_sgpr_count 6
		.amdhsa_user_sgpr_private_segment_buffer 1
		.amdhsa_user_sgpr_dispatch_ptr 0
		.amdhsa_user_sgpr_queue_ptr 0
		.amdhsa_user_sgpr_kernarg_segment_ptr 1
		.amdhsa_user_sgpr_dispatch_id 0
		.amdhsa_user_sgpr_flat_scratch_init 0
		.amdhsa_user_sgpr_kernarg_preload_length 0
		.amdhsa_user_sgpr_kernarg_preload_offset 0
		.amdhsa_user_sgpr_private_segment_size 0
		.amdhsa_uses_dynamic_stack 0
		.amdhsa_system_sgpr_private_segment_wavefront_offset 0
		.amdhsa_system_sgpr_workgroup_id_x 1
		.amdhsa_system_sgpr_workgroup_id_y 0
		.amdhsa_system_sgpr_workgroup_id_z 0
		.amdhsa_system_sgpr_workgroup_info 0
		.amdhsa_system_vgpr_workitem_id 0
		.amdhsa_next_free_vgpr 1
		.amdhsa_next_free_sgpr 0
		.amdhsa_accum_offset 4
		.amdhsa_reserve_vcc 0
		.amdhsa_reserve_flat_scratch 0
		.amdhsa_float_round_mode_32 0
		.amdhsa_float_round_mode_16_64 0
		.amdhsa_float_denorm_mode_32 3
		.amdhsa_float_denorm_mode_16_64 3
		.amdhsa_dx10_clamp 1
		.amdhsa_ieee_mode 1
		.amdhsa_fp16_overflow 0
		.amdhsa_tg_split 0
		.amdhsa_exception_fp_ieee_invalid_op 0
		.amdhsa_exception_fp_denorm_src 0
		.amdhsa_exception_fp_ieee_div_zero 0
		.amdhsa_exception_fp_ieee_overflow 0
		.amdhsa_exception_fp_ieee_underflow 0
		.amdhsa_exception_fp_ieee_inexact 0
		.amdhsa_exception_int_div_zero 0
	.end_amdhsa_kernel
	.section	.text._ZN7rocprim17ROCPRIM_400000_NS6detail17trampoline_kernelINS0_14default_configENS1_25partition_config_selectorILNS1_17partition_subalgoE0EyNS0_10empty_typeEbEEZZNS1_14partition_implILS5_0ELb0ES3_jN6thrust23THRUST_200600_302600_NS6detail15normal_iteratorINSA_10device_ptrIyEEEEPS6_SG_NS0_5tupleIJSF_SF_EEENSH_IJSG_SG_EEES6_PlJ7is_evenIyEEEE10hipError_tPvRmT3_T4_T5_T6_T7_T9_mT8_P12ihipStream_tbDpT10_ENKUlT_T0_E_clISt17integral_constantIbLb1EES15_IbLb0EEEEDaS11_S12_EUlS11_E_NS1_11comp_targetILNS1_3genE9ELNS1_11target_archE1100ELNS1_3gpuE3ELNS1_3repE0EEENS1_30default_config_static_selectorELNS0_4arch9wavefront6targetE1EEEvT1_,"axG",@progbits,_ZN7rocprim17ROCPRIM_400000_NS6detail17trampoline_kernelINS0_14default_configENS1_25partition_config_selectorILNS1_17partition_subalgoE0EyNS0_10empty_typeEbEEZZNS1_14partition_implILS5_0ELb0ES3_jN6thrust23THRUST_200600_302600_NS6detail15normal_iteratorINSA_10device_ptrIyEEEEPS6_SG_NS0_5tupleIJSF_SF_EEENSH_IJSG_SG_EEES6_PlJ7is_evenIyEEEE10hipError_tPvRmT3_T4_T5_T6_T7_T9_mT8_P12ihipStream_tbDpT10_ENKUlT_T0_E_clISt17integral_constantIbLb1EES15_IbLb0EEEEDaS11_S12_EUlS11_E_NS1_11comp_targetILNS1_3genE9ELNS1_11target_archE1100ELNS1_3gpuE3ELNS1_3repE0EEENS1_30default_config_static_selectorELNS0_4arch9wavefront6targetE1EEEvT1_,comdat
.Lfunc_end2126:
	.size	_ZN7rocprim17ROCPRIM_400000_NS6detail17trampoline_kernelINS0_14default_configENS1_25partition_config_selectorILNS1_17partition_subalgoE0EyNS0_10empty_typeEbEEZZNS1_14partition_implILS5_0ELb0ES3_jN6thrust23THRUST_200600_302600_NS6detail15normal_iteratorINSA_10device_ptrIyEEEEPS6_SG_NS0_5tupleIJSF_SF_EEENSH_IJSG_SG_EEES6_PlJ7is_evenIyEEEE10hipError_tPvRmT3_T4_T5_T6_T7_T9_mT8_P12ihipStream_tbDpT10_ENKUlT_T0_E_clISt17integral_constantIbLb1EES15_IbLb0EEEEDaS11_S12_EUlS11_E_NS1_11comp_targetILNS1_3genE9ELNS1_11target_archE1100ELNS1_3gpuE3ELNS1_3repE0EEENS1_30default_config_static_selectorELNS0_4arch9wavefront6targetE1EEEvT1_, .Lfunc_end2126-_ZN7rocprim17ROCPRIM_400000_NS6detail17trampoline_kernelINS0_14default_configENS1_25partition_config_selectorILNS1_17partition_subalgoE0EyNS0_10empty_typeEbEEZZNS1_14partition_implILS5_0ELb0ES3_jN6thrust23THRUST_200600_302600_NS6detail15normal_iteratorINSA_10device_ptrIyEEEEPS6_SG_NS0_5tupleIJSF_SF_EEENSH_IJSG_SG_EEES6_PlJ7is_evenIyEEEE10hipError_tPvRmT3_T4_T5_T6_T7_T9_mT8_P12ihipStream_tbDpT10_ENKUlT_T0_E_clISt17integral_constantIbLb1EES15_IbLb0EEEEDaS11_S12_EUlS11_E_NS1_11comp_targetILNS1_3genE9ELNS1_11target_archE1100ELNS1_3gpuE3ELNS1_3repE0EEENS1_30default_config_static_selectorELNS0_4arch9wavefront6targetE1EEEvT1_
                                        ; -- End function
	.section	.AMDGPU.csdata,"",@progbits
; Kernel info:
; codeLenInByte = 0
; NumSgprs: 4
; NumVgprs: 0
; NumAgprs: 0
; TotalNumVgprs: 0
; ScratchSize: 0
; MemoryBound: 0
; FloatMode: 240
; IeeeMode: 1
; LDSByteSize: 0 bytes/workgroup (compile time only)
; SGPRBlocks: 0
; VGPRBlocks: 0
; NumSGPRsForWavesPerEU: 4
; NumVGPRsForWavesPerEU: 1
; AccumOffset: 4
; Occupancy: 8
; WaveLimiterHint : 0
; COMPUTE_PGM_RSRC2:SCRATCH_EN: 0
; COMPUTE_PGM_RSRC2:USER_SGPR: 6
; COMPUTE_PGM_RSRC2:TRAP_HANDLER: 0
; COMPUTE_PGM_RSRC2:TGID_X_EN: 1
; COMPUTE_PGM_RSRC2:TGID_Y_EN: 0
; COMPUTE_PGM_RSRC2:TGID_Z_EN: 0
; COMPUTE_PGM_RSRC2:TIDIG_COMP_CNT: 0
; COMPUTE_PGM_RSRC3_GFX90A:ACCUM_OFFSET: 0
; COMPUTE_PGM_RSRC3_GFX90A:TG_SPLIT: 0
	.section	.text._ZN7rocprim17ROCPRIM_400000_NS6detail17trampoline_kernelINS0_14default_configENS1_25partition_config_selectorILNS1_17partition_subalgoE0EyNS0_10empty_typeEbEEZZNS1_14partition_implILS5_0ELb0ES3_jN6thrust23THRUST_200600_302600_NS6detail15normal_iteratorINSA_10device_ptrIyEEEEPS6_SG_NS0_5tupleIJSF_SF_EEENSH_IJSG_SG_EEES6_PlJ7is_evenIyEEEE10hipError_tPvRmT3_T4_T5_T6_T7_T9_mT8_P12ihipStream_tbDpT10_ENKUlT_T0_E_clISt17integral_constantIbLb1EES15_IbLb0EEEEDaS11_S12_EUlS11_E_NS1_11comp_targetILNS1_3genE8ELNS1_11target_archE1030ELNS1_3gpuE2ELNS1_3repE0EEENS1_30default_config_static_selectorELNS0_4arch9wavefront6targetE1EEEvT1_,"axG",@progbits,_ZN7rocprim17ROCPRIM_400000_NS6detail17trampoline_kernelINS0_14default_configENS1_25partition_config_selectorILNS1_17partition_subalgoE0EyNS0_10empty_typeEbEEZZNS1_14partition_implILS5_0ELb0ES3_jN6thrust23THRUST_200600_302600_NS6detail15normal_iteratorINSA_10device_ptrIyEEEEPS6_SG_NS0_5tupleIJSF_SF_EEENSH_IJSG_SG_EEES6_PlJ7is_evenIyEEEE10hipError_tPvRmT3_T4_T5_T6_T7_T9_mT8_P12ihipStream_tbDpT10_ENKUlT_T0_E_clISt17integral_constantIbLb1EES15_IbLb0EEEEDaS11_S12_EUlS11_E_NS1_11comp_targetILNS1_3genE8ELNS1_11target_archE1030ELNS1_3gpuE2ELNS1_3repE0EEENS1_30default_config_static_selectorELNS0_4arch9wavefront6targetE1EEEvT1_,comdat
	.protected	_ZN7rocprim17ROCPRIM_400000_NS6detail17trampoline_kernelINS0_14default_configENS1_25partition_config_selectorILNS1_17partition_subalgoE0EyNS0_10empty_typeEbEEZZNS1_14partition_implILS5_0ELb0ES3_jN6thrust23THRUST_200600_302600_NS6detail15normal_iteratorINSA_10device_ptrIyEEEEPS6_SG_NS0_5tupleIJSF_SF_EEENSH_IJSG_SG_EEES6_PlJ7is_evenIyEEEE10hipError_tPvRmT3_T4_T5_T6_T7_T9_mT8_P12ihipStream_tbDpT10_ENKUlT_T0_E_clISt17integral_constantIbLb1EES15_IbLb0EEEEDaS11_S12_EUlS11_E_NS1_11comp_targetILNS1_3genE8ELNS1_11target_archE1030ELNS1_3gpuE2ELNS1_3repE0EEENS1_30default_config_static_selectorELNS0_4arch9wavefront6targetE1EEEvT1_ ; -- Begin function _ZN7rocprim17ROCPRIM_400000_NS6detail17trampoline_kernelINS0_14default_configENS1_25partition_config_selectorILNS1_17partition_subalgoE0EyNS0_10empty_typeEbEEZZNS1_14partition_implILS5_0ELb0ES3_jN6thrust23THRUST_200600_302600_NS6detail15normal_iteratorINSA_10device_ptrIyEEEEPS6_SG_NS0_5tupleIJSF_SF_EEENSH_IJSG_SG_EEES6_PlJ7is_evenIyEEEE10hipError_tPvRmT3_T4_T5_T6_T7_T9_mT8_P12ihipStream_tbDpT10_ENKUlT_T0_E_clISt17integral_constantIbLb1EES15_IbLb0EEEEDaS11_S12_EUlS11_E_NS1_11comp_targetILNS1_3genE8ELNS1_11target_archE1030ELNS1_3gpuE2ELNS1_3repE0EEENS1_30default_config_static_selectorELNS0_4arch9wavefront6targetE1EEEvT1_
	.globl	_ZN7rocprim17ROCPRIM_400000_NS6detail17trampoline_kernelINS0_14default_configENS1_25partition_config_selectorILNS1_17partition_subalgoE0EyNS0_10empty_typeEbEEZZNS1_14partition_implILS5_0ELb0ES3_jN6thrust23THRUST_200600_302600_NS6detail15normal_iteratorINSA_10device_ptrIyEEEEPS6_SG_NS0_5tupleIJSF_SF_EEENSH_IJSG_SG_EEES6_PlJ7is_evenIyEEEE10hipError_tPvRmT3_T4_T5_T6_T7_T9_mT8_P12ihipStream_tbDpT10_ENKUlT_T0_E_clISt17integral_constantIbLb1EES15_IbLb0EEEEDaS11_S12_EUlS11_E_NS1_11comp_targetILNS1_3genE8ELNS1_11target_archE1030ELNS1_3gpuE2ELNS1_3repE0EEENS1_30default_config_static_selectorELNS0_4arch9wavefront6targetE1EEEvT1_
	.p2align	8
	.type	_ZN7rocprim17ROCPRIM_400000_NS6detail17trampoline_kernelINS0_14default_configENS1_25partition_config_selectorILNS1_17partition_subalgoE0EyNS0_10empty_typeEbEEZZNS1_14partition_implILS5_0ELb0ES3_jN6thrust23THRUST_200600_302600_NS6detail15normal_iteratorINSA_10device_ptrIyEEEEPS6_SG_NS0_5tupleIJSF_SF_EEENSH_IJSG_SG_EEES6_PlJ7is_evenIyEEEE10hipError_tPvRmT3_T4_T5_T6_T7_T9_mT8_P12ihipStream_tbDpT10_ENKUlT_T0_E_clISt17integral_constantIbLb1EES15_IbLb0EEEEDaS11_S12_EUlS11_E_NS1_11comp_targetILNS1_3genE8ELNS1_11target_archE1030ELNS1_3gpuE2ELNS1_3repE0EEENS1_30default_config_static_selectorELNS0_4arch9wavefront6targetE1EEEvT1_,@function
_ZN7rocprim17ROCPRIM_400000_NS6detail17trampoline_kernelINS0_14default_configENS1_25partition_config_selectorILNS1_17partition_subalgoE0EyNS0_10empty_typeEbEEZZNS1_14partition_implILS5_0ELb0ES3_jN6thrust23THRUST_200600_302600_NS6detail15normal_iteratorINSA_10device_ptrIyEEEEPS6_SG_NS0_5tupleIJSF_SF_EEENSH_IJSG_SG_EEES6_PlJ7is_evenIyEEEE10hipError_tPvRmT3_T4_T5_T6_T7_T9_mT8_P12ihipStream_tbDpT10_ENKUlT_T0_E_clISt17integral_constantIbLb1EES15_IbLb0EEEEDaS11_S12_EUlS11_E_NS1_11comp_targetILNS1_3genE8ELNS1_11target_archE1030ELNS1_3gpuE2ELNS1_3repE0EEENS1_30default_config_static_selectorELNS0_4arch9wavefront6targetE1EEEvT1_: ; @_ZN7rocprim17ROCPRIM_400000_NS6detail17trampoline_kernelINS0_14default_configENS1_25partition_config_selectorILNS1_17partition_subalgoE0EyNS0_10empty_typeEbEEZZNS1_14partition_implILS5_0ELb0ES3_jN6thrust23THRUST_200600_302600_NS6detail15normal_iteratorINSA_10device_ptrIyEEEEPS6_SG_NS0_5tupleIJSF_SF_EEENSH_IJSG_SG_EEES6_PlJ7is_evenIyEEEE10hipError_tPvRmT3_T4_T5_T6_T7_T9_mT8_P12ihipStream_tbDpT10_ENKUlT_T0_E_clISt17integral_constantIbLb1EES15_IbLb0EEEEDaS11_S12_EUlS11_E_NS1_11comp_targetILNS1_3genE8ELNS1_11target_archE1030ELNS1_3gpuE2ELNS1_3repE0EEENS1_30default_config_static_selectorELNS0_4arch9wavefront6targetE1EEEvT1_
; %bb.0:
	.section	.rodata,"a",@progbits
	.p2align	6, 0x0
	.amdhsa_kernel _ZN7rocprim17ROCPRIM_400000_NS6detail17trampoline_kernelINS0_14default_configENS1_25partition_config_selectorILNS1_17partition_subalgoE0EyNS0_10empty_typeEbEEZZNS1_14partition_implILS5_0ELb0ES3_jN6thrust23THRUST_200600_302600_NS6detail15normal_iteratorINSA_10device_ptrIyEEEEPS6_SG_NS0_5tupleIJSF_SF_EEENSH_IJSG_SG_EEES6_PlJ7is_evenIyEEEE10hipError_tPvRmT3_T4_T5_T6_T7_T9_mT8_P12ihipStream_tbDpT10_ENKUlT_T0_E_clISt17integral_constantIbLb1EES15_IbLb0EEEEDaS11_S12_EUlS11_E_NS1_11comp_targetILNS1_3genE8ELNS1_11target_archE1030ELNS1_3gpuE2ELNS1_3repE0EEENS1_30default_config_static_selectorELNS0_4arch9wavefront6targetE1EEEvT1_
		.amdhsa_group_segment_fixed_size 0
		.amdhsa_private_segment_fixed_size 0
		.amdhsa_kernarg_size 120
		.amdhsa_user_sgpr_count 6
		.amdhsa_user_sgpr_private_segment_buffer 1
		.amdhsa_user_sgpr_dispatch_ptr 0
		.amdhsa_user_sgpr_queue_ptr 0
		.amdhsa_user_sgpr_kernarg_segment_ptr 1
		.amdhsa_user_sgpr_dispatch_id 0
		.amdhsa_user_sgpr_flat_scratch_init 0
		.amdhsa_user_sgpr_kernarg_preload_length 0
		.amdhsa_user_sgpr_kernarg_preload_offset 0
		.amdhsa_user_sgpr_private_segment_size 0
		.amdhsa_uses_dynamic_stack 0
		.amdhsa_system_sgpr_private_segment_wavefront_offset 0
		.amdhsa_system_sgpr_workgroup_id_x 1
		.amdhsa_system_sgpr_workgroup_id_y 0
		.amdhsa_system_sgpr_workgroup_id_z 0
		.amdhsa_system_sgpr_workgroup_info 0
		.amdhsa_system_vgpr_workitem_id 0
		.amdhsa_next_free_vgpr 1
		.amdhsa_next_free_sgpr 0
		.amdhsa_accum_offset 4
		.amdhsa_reserve_vcc 0
		.amdhsa_reserve_flat_scratch 0
		.amdhsa_float_round_mode_32 0
		.amdhsa_float_round_mode_16_64 0
		.amdhsa_float_denorm_mode_32 3
		.amdhsa_float_denorm_mode_16_64 3
		.amdhsa_dx10_clamp 1
		.amdhsa_ieee_mode 1
		.amdhsa_fp16_overflow 0
		.amdhsa_tg_split 0
		.amdhsa_exception_fp_ieee_invalid_op 0
		.amdhsa_exception_fp_denorm_src 0
		.amdhsa_exception_fp_ieee_div_zero 0
		.amdhsa_exception_fp_ieee_overflow 0
		.amdhsa_exception_fp_ieee_underflow 0
		.amdhsa_exception_fp_ieee_inexact 0
		.amdhsa_exception_int_div_zero 0
	.end_amdhsa_kernel
	.section	.text._ZN7rocprim17ROCPRIM_400000_NS6detail17trampoline_kernelINS0_14default_configENS1_25partition_config_selectorILNS1_17partition_subalgoE0EyNS0_10empty_typeEbEEZZNS1_14partition_implILS5_0ELb0ES3_jN6thrust23THRUST_200600_302600_NS6detail15normal_iteratorINSA_10device_ptrIyEEEEPS6_SG_NS0_5tupleIJSF_SF_EEENSH_IJSG_SG_EEES6_PlJ7is_evenIyEEEE10hipError_tPvRmT3_T4_T5_T6_T7_T9_mT8_P12ihipStream_tbDpT10_ENKUlT_T0_E_clISt17integral_constantIbLb1EES15_IbLb0EEEEDaS11_S12_EUlS11_E_NS1_11comp_targetILNS1_3genE8ELNS1_11target_archE1030ELNS1_3gpuE2ELNS1_3repE0EEENS1_30default_config_static_selectorELNS0_4arch9wavefront6targetE1EEEvT1_,"axG",@progbits,_ZN7rocprim17ROCPRIM_400000_NS6detail17trampoline_kernelINS0_14default_configENS1_25partition_config_selectorILNS1_17partition_subalgoE0EyNS0_10empty_typeEbEEZZNS1_14partition_implILS5_0ELb0ES3_jN6thrust23THRUST_200600_302600_NS6detail15normal_iteratorINSA_10device_ptrIyEEEEPS6_SG_NS0_5tupleIJSF_SF_EEENSH_IJSG_SG_EEES6_PlJ7is_evenIyEEEE10hipError_tPvRmT3_T4_T5_T6_T7_T9_mT8_P12ihipStream_tbDpT10_ENKUlT_T0_E_clISt17integral_constantIbLb1EES15_IbLb0EEEEDaS11_S12_EUlS11_E_NS1_11comp_targetILNS1_3genE8ELNS1_11target_archE1030ELNS1_3gpuE2ELNS1_3repE0EEENS1_30default_config_static_selectorELNS0_4arch9wavefront6targetE1EEEvT1_,comdat
.Lfunc_end2127:
	.size	_ZN7rocprim17ROCPRIM_400000_NS6detail17trampoline_kernelINS0_14default_configENS1_25partition_config_selectorILNS1_17partition_subalgoE0EyNS0_10empty_typeEbEEZZNS1_14partition_implILS5_0ELb0ES3_jN6thrust23THRUST_200600_302600_NS6detail15normal_iteratorINSA_10device_ptrIyEEEEPS6_SG_NS0_5tupleIJSF_SF_EEENSH_IJSG_SG_EEES6_PlJ7is_evenIyEEEE10hipError_tPvRmT3_T4_T5_T6_T7_T9_mT8_P12ihipStream_tbDpT10_ENKUlT_T0_E_clISt17integral_constantIbLb1EES15_IbLb0EEEEDaS11_S12_EUlS11_E_NS1_11comp_targetILNS1_3genE8ELNS1_11target_archE1030ELNS1_3gpuE2ELNS1_3repE0EEENS1_30default_config_static_selectorELNS0_4arch9wavefront6targetE1EEEvT1_, .Lfunc_end2127-_ZN7rocprim17ROCPRIM_400000_NS6detail17trampoline_kernelINS0_14default_configENS1_25partition_config_selectorILNS1_17partition_subalgoE0EyNS0_10empty_typeEbEEZZNS1_14partition_implILS5_0ELb0ES3_jN6thrust23THRUST_200600_302600_NS6detail15normal_iteratorINSA_10device_ptrIyEEEEPS6_SG_NS0_5tupleIJSF_SF_EEENSH_IJSG_SG_EEES6_PlJ7is_evenIyEEEE10hipError_tPvRmT3_T4_T5_T6_T7_T9_mT8_P12ihipStream_tbDpT10_ENKUlT_T0_E_clISt17integral_constantIbLb1EES15_IbLb0EEEEDaS11_S12_EUlS11_E_NS1_11comp_targetILNS1_3genE8ELNS1_11target_archE1030ELNS1_3gpuE2ELNS1_3repE0EEENS1_30default_config_static_selectorELNS0_4arch9wavefront6targetE1EEEvT1_
                                        ; -- End function
	.section	.AMDGPU.csdata,"",@progbits
; Kernel info:
; codeLenInByte = 0
; NumSgprs: 4
; NumVgprs: 0
; NumAgprs: 0
; TotalNumVgprs: 0
; ScratchSize: 0
; MemoryBound: 0
; FloatMode: 240
; IeeeMode: 1
; LDSByteSize: 0 bytes/workgroup (compile time only)
; SGPRBlocks: 0
; VGPRBlocks: 0
; NumSGPRsForWavesPerEU: 4
; NumVGPRsForWavesPerEU: 1
; AccumOffset: 4
; Occupancy: 8
; WaveLimiterHint : 0
; COMPUTE_PGM_RSRC2:SCRATCH_EN: 0
; COMPUTE_PGM_RSRC2:USER_SGPR: 6
; COMPUTE_PGM_RSRC2:TRAP_HANDLER: 0
; COMPUTE_PGM_RSRC2:TGID_X_EN: 1
; COMPUTE_PGM_RSRC2:TGID_Y_EN: 0
; COMPUTE_PGM_RSRC2:TGID_Z_EN: 0
; COMPUTE_PGM_RSRC2:TIDIG_COMP_CNT: 0
; COMPUTE_PGM_RSRC3_GFX90A:ACCUM_OFFSET: 0
; COMPUTE_PGM_RSRC3_GFX90A:TG_SPLIT: 0
	.section	.text._ZN7rocprim17ROCPRIM_400000_NS6detail17trampoline_kernelINS0_14default_configENS1_25partition_config_selectorILNS1_17partition_subalgoE0EyNS0_10empty_typeEbEEZZNS1_14partition_implILS5_0ELb0ES3_jN6thrust23THRUST_200600_302600_NS6detail15normal_iteratorINSA_10device_ptrIyEEEEPS6_SG_NS0_5tupleIJSF_SF_EEENSH_IJSG_SG_EEES6_PlJ7is_evenIyEEEE10hipError_tPvRmT3_T4_T5_T6_T7_T9_mT8_P12ihipStream_tbDpT10_ENKUlT_T0_E_clISt17integral_constantIbLb0EES15_IbLb1EEEEDaS11_S12_EUlS11_E_NS1_11comp_targetILNS1_3genE0ELNS1_11target_archE4294967295ELNS1_3gpuE0ELNS1_3repE0EEENS1_30default_config_static_selectorELNS0_4arch9wavefront6targetE1EEEvT1_,"axG",@progbits,_ZN7rocprim17ROCPRIM_400000_NS6detail17trampoline_kernelINS0_14default_configENS1_25partition_config_selectorILNS1_17partition_subalgoE0EyNS0_10empty_typeEbEEZZNS1_14partition_implILS5_0ELb0ES3_jN6thrust23THRUST_200600_302600_NS6detail15normal_iteratorINSA_10device_ptrIyEEEEPS6_SG_NS0_5tupleIJSF_SF_EEENSH_IJSG_SG_EEES6_PlJ7is_evenIyEEEE10hipError_tPvRmT3_T4_T5_T6_T7_T9_mT8_P12ihipStream_tbDpT10_ENKUlT_T0_E_clISt17integral_constantIbLb0EES15_IbLb1EEEEDaS11_S12_EUlS11_E_NS1_11comp_targetILNS1_3genE0ELNS1_11target_archE4294967295ELNS1_3gpuE0ELNS1_3repE0EEENS1_30default_config_static_selectorELNS0_4arch9wavefront6targetE1EEEvT1_,comdat
	.protected	_ZN7rocprim17ROCPRIM_400000_NS6detail17trampoline_kernelINS0_14default_configENS1_25partition_config_selectorILNS1_17partition_subalgoE0EyNS0_10empty_typeEbEEZZNS1_14partition_implILS5_0ELb0ES3_jN6thrust23THRUST_200600_302600_NS6detail15normal_iteratorINSA_10device_ptrIyEEEEPS6_SG_NS0_5tupleIJSF_SF_EEENSH_IJSG_SG_EEES6_PlJ7is_evenIyEEEE10hipError_tPvRmT3_T4_T5_T6_T7_T9_mT8_P12ihipStream_tbDpT10_ENKUlT_T0_E_clISt17integral_constantIbLb0EES15_IbLb1EEEEDaS11_S12_EUlS11_E_NS1_11comp_targetILNS1_3genE0ELNS1_11target_archE4294967295ELNS1_3gpuE0ELNS1_3repE0EEENS1_30default_config_static_selectorELNS0_4arch9wavefront6targetE1EEEvT1_ ; -- Begin function _ZN7rocprim17ROCPRIM_400000_NS6detail17trampoline_kernelINS0_14default_configENS1_25partition_config_selectorILNS1_17partition_subalgoE0EyNS0_10empty_typeEbEEZZNS1_14partition_implILS5_0ELb0ES3_jN6thrust23THRUST_200600_302600_NS6detail15normal_iteratorINSA_10device_ptrIyEEEEPS6_SG_NS0_5tupleIJSF_SF_EEENSH_IJSG_SG_EEES6_PlJ7is_evenIyEEEE10hipError_tPvRmT3_T4_T5_T6_T7_T9_mT8_P12ihipStream_tbDpT10_ENKUlT_T0_E_clISt17integral_constantIbLb0EES15_IbLb1EEEEDaS11_S12_EUlS11_E_NS1_11comp_targetILNS1_3genE0ELNS1_11target_archE4294967295ELNS1_3gpuE0ELNS1_3repE0EEENS1_30default_config_static_selectorELNS0_4arch9wavefront6targetE1EEEvT1_
	.globl	_ZN7rocprim17ROCPRIM_400000_NS6detail17trampoline_kernelINS0_14default_configENS1_25partition_config_selectorILNS1_17partition_subalgoE0EyNS0_10empty_typeEbEEZZNS1_14partition_implILS5_0ELb0ES3_jN6thrust23THRUST_200600_302600_NS6detail15normal_iteratorINSA_10device_ptrIyEEEEPS6_SG_NS0_5tupleIJSF_SF_EEENSH_IJSG_SG_EEES6_PlJ7is_evenIyEEEE10hipError_tPvRmT3_T4_T5_T6_T7_T9_mT8_P12ihipStream_tbDpT10_ENKUlT_T0_E_clISt17integral_constantIbLb0EES15_IbLb1EEEEDaS11_S12_EUlS11_E_NS1_11comp_targetILNS1_3genE0ELNS1_11target_archE4294967295ELNS1_3gpuE0ELNS1_3repE0EEENS1_30default_config_static_selectorELNS0_4arch9wavefront6targetE1EEEvT1_
	.p2align	8
	.type	_ZN7rocprim17ROCPRIM_400000_NS6detail17trampoline_kernelINS0_14default_configENS1_25partition_config_selectorILNS1_17partition_subalgoE0EyNS0_10empty_typeEbEEZZNS1_14partition_implILS5_0ELb0ES3_jN6thrust23THRUST_200600_302600_NS6detail15normal_iteratorINSA_10device_ptrIyEEEEPS6_SG_NS0_5tupleIJSF_SF_EEENSH_IJSG_SG_EEES6_PlJ7is_evenIyEEEE10hipError_tPvRmT3_T4_T5_T6_T7_T9_mT8_P12ihipStream_tbDpT10_ENKUlT_T0_E_clISt17integral_constantIbLb0EES15_IbLb1EEEEDaS11_S12_EUlS11_E_NS1_11comp_targetILNS1_3genE0ELNS1_11target_archE4294967295ELNS1_3gpuE0ELNS1_3repE0EEENS1_30default_config_static_selectorELNS0_4arch9wavefront6targetE1EEEvT1_,@function
_ZN7rocprim17ROCPRIM_400000_NS6detail17trampoline_kernelINS0_14default_configENS1_25partition_config_selectorILNS1_17partition_subalgoE0EyNS0_10empty_typeEbEEZZNS1_14partition_implILS5_0ELb0ES3_jN6thrust23THRUST_200600_302600_NS6detail15normal_iteratorINSA_10device_ptrIyEEEEPS6_SG_NS0_5tupleIJSF_SF_EEENSH_IJSG_SG_EEES6_PlJ7is_evenIyEEEE10hipError_tPvRmT3_T4_T5_T6_T7_T9_mT8_P12ihipStream_tbDpT10_ENKUlT_T0_E_clISt17integral_constantIbLb0EES15_IbLb1EEEEDaS11_S12_EUlS11_E_NS1_11comp_targetILNS1_3genE0ELNS1_11target_archE4294967295ELNS1_3gpuE0ELNS1_3repE0EEENS1_30default_config_static_selectorELNS0_4arch9wavefront6targetE1EEEvT1_: ; @_ZN7rocprim17ROCPRIM_400000_NS6detail17trampoline_kernelINS0_14default_configENS1_25partition_config_selectorILNS1_17partition_subalgoE0EyNS0_10empty_typeEbEEZZNS1_14partition_implILS5_0ELb0ES3_jN6thrust23THRUST_200600_302600_NS6detail15normal_iteratorINSA_10device_ptrIyEEEEPS6_SG_NS0_5tupleIJSF_SF_EEENSH_IJSG_SG_EEES6_PlJ7is_evenIyEEEE10hipError_tPvRmT3_T4_T5_T6_T7_T9_mT8_P12ihipStream_tbDpT10_ENKUlT_T0_E_clISt17integral_constantIbLb0EES15_IbLb1EEEEDaS11_S12_EUlS11_E_NS1_11comp_targetILNS1_3genE0ELNS1_11target_archE4294967295ELNS1_3gpuE0ELNS1_3repE0EEENS1_30default_config_static_selectorELNS0_4arch9wavefront6targetE1EEEvT1_
; %bb.0:
	.section	.rodata,"a",@progbits
	.p2align	6, 0x0
	.amdhsa_kernel _ZN7rocprim17ROCPRIM_400000_NS6detail17trampoline_kernelINS0_14default_configENS1_25partition_config_selectorILNS1_17partition_subalgoE0EyNS0_10empty_typeEbEEZZNS1_14partition_implILS5_0ELb0ES3_jN6thrust23THRUST_200600_302600_NS6detail15normal_iteratorINSA_10device_ptrIyEEEEPS6_SG_NS0_5tupleIJSF_SF_EEENSH_IJSG_SG_EEES6_PlJ7is_evenIyEEEE10hipError_tPvRmT3_T4_T5_T6_T7_T9_mT8_P12ihipStream_tbDpT10_ENKUlT_T0_E_clISt17integral_constantIbLb0EES15_IbLb1EEEEDaS11_S12_EUlS11_E_NS1_11comp_targetILNS1_3genE0ELNS1_11target_archE4294967295ELNS1_3gpuE0ELNS1_3repE0EEENS1_30default_config_static_selectorELNS0_4arch9wavefront6targetE1EEEvT1_
		.amdhsa_group_segment_fixed_size 0
		.amdhsa_private_segment_fixed_size 0
		.amdhsa_kernarg_size 136
		.amdhsa_user_sgpr_count 6
		.amdhsa_user_sgpr_private_segment_buffer 1
		.amdhsa_user_sgpr_dispatch_ptr 0
		.amdhsa_user_sgpr_queue_ptr 0
		.amdhsa_user_sgpr_kernarg_segment_ptr 1
		.amdhsa_user_sgpr_dispatch_id 0
		.amdhsa_user_sgpr_flat_scratch_init 0
		.amdhsa_user_sgpr_kernarg_preload_length 0
		.amdhsa_user_sgpr_kernarg_preload_offset 0
		.amdhsa_user_sgpr_private_segment_size 0
		.amdhsa_uses_dynamic_stack 0
		.amdhsa_system_sgpr_private_segment_wavefront_offset 0
		.amdhsa_system_sgpr_workgroup_id_x 1
		.amdhsa_system_sgpr_workgroup_id_y 0
		.amdhsa_system_sgpr_workgroup_id_z 0
		.amdhsa_system_sgpr_workgroup_info 0
		.amdhsa_system_vgpr_workitem_id 0
		.amdhsa_next_free_vgpr 1
		.amdhsa_next_free_sgpr 0
		.amdhsa_accum_offset 4
		.amdhsa_reserve_vcc 0
		.amdhsa_reserve_flat_scratch 0
		.amdhsa_float_round_mode_32 0
		.amdhsa_float_round_mode_16_64 0
		.amdhsa_float_denorm_mode_32 3
		.amdhsa_float_denorm_mode_16_64 3
		.amdhsa_dx10_clamp 1
		.amdhsa_ieee_mode 1
		.amdhsa_fp16_overflow 0
		.amdhsa_tg_split 0
		.amdhsa_exception_fp_ieee_invalid_op 0
		.amdhsa_exception_fp_denorm_src 0
		.amdhsa_exception_fp_ieee_div_zero 0
		.amdhsa_exception_fp_ieee_overflow 0
		.amdhsa_exception_fp_ieee_underflow 0
		.amdhsa_exception_fp_ieee_inexact 0
		.amdhsa_exception_int_div_zero 0
	.end_amdhsa_kernel
	.section	.text._ZN7rocprim17ROCPRIM_400000_NS6detail17trampoline_kernelINS0_14default_configENS1_25partition_config_selectorILNS1_17partition_subalgoE0EyNS0_10empty_typeEbEEZZNS1_14partition_implILS5_0ELb0ES3_jN6thrust23THRUST_200600_302600_NS6detail15normal_iteratorINSA_10device_ptrIyEEEEPS6_SG_NS0_5tupleIJSF_SF_EEENSH_IJSG_SG_EEES6_PlJ7is_evenIyEEEE10hipError_tPvRmT3_T4_T5_T6_T7_T9_mT8_P12ihipStream_tbDpT10_ENKUlT_T0_E_clISt17integral_constantIbLb0EES15_IbLb1EEEEDaS11_S12_EUlS11_E_NS1_11comp_targetILNS1_3genE0ELNS1_11target_archE4294967295ELNS1_3gpuE0ELNS1_3repE0EEENS1_30default_config_static_selectorELNS0_4arch9wavefront6targetE1EEEvT1_,"axG",@progbits,_ZN7rocprim17ROCPRIM_400000_NS6detail17trampoline_kernelINS0_14default_configENS1_25partition_config_selectorILNS1_17partition_subalgoE0EyNS0_10empty_typeEbEEZZNS1_14partition_implILS5_0ELb0ES3_jN6thrust23THRUST_200600_302600_NS6detail15normal_iteratorINSA_10device_ptrIyEEEEPS6_SG_NS0_5tupleIJSF_SF_EEENSH_IJSG_SG_EEES6_PlJ7is_evenIyEEEE10hipError_tPvRmT3_T4_T5_T6_T7_T9_mT8_P12ihipStream_tbDpT10_ENKUlT_T0_E_clISt17integral_constantIbLb0EES15_IbLb1EEEEDaS11_S12_EUlS11_E_NS1_11comp_targetILNS1_3genE0ELNS1_11target_archE4294967295ELNS1_3gpuE0ELNS1_3repE0EEENS1_30default_config_static_selectorELNS0_4arch9wavefront6targetE1EEEvT1_,comdat
.Lfunc_end2128:
	.size	_ZN7rocprim17ROCPRIM_400000_NS6detail17trampoline_kernelINS0_14default_configENS1_25partition_config_selectorILNS1_17partition_subalgoE0EyNS0_10empty_typeEbEEZZNS1_14partition_implILS5_0ELb0ES3_jN6thrust23THRUST_200600_302600_NS6detail15normal_iteratorINSA_10device_ptrIyEEEEPS6_SG_NS0_5tupleIJSF_SF_EEENSH_IJSG_SG_EEES6_PlJ7is_evenIyEEEE10hipError_tPvRmT3_T4_T5_T6_T7_T9_mT8_P12ihipStream_tbDpT10_ENKUlT_T0_E_clISt17integral_constantIbLb0EES15_IbLb1EEEEDaS11_S12_EUlS11_E_NS1_11comp_targetILNS1_3genE0ELNS1_11target_archE4294967295ELNS1_3gpuE0ELNS1_3repE0EEENS1_30default_config_static_selectorELNS0_4arch9wavefront6targetE1EEEvT1_, .Lfunc_end2128-_ZN7rocprim17ROCPRIM_400000_NS6detail17trampoline_kernelINS0_14default_configENS1_25partition_config_selectorILNS1_17partition_subalgoE0EyNS0_10empty_typeEbEEZZNS1_14partition_implILS5_0ELb0ES3_jN6thrust23THRUST_200600_302600_NS6detail15normal_iteratorINSA_10device_ptrIyEEEEPS6_SG_NS0_5tupleIJSF_SF_EEENSH_IJSG_SG_EEES6_PlJ7is_evenIyEEEE10hipError_tPvRmT3_T4_T5_T6_T7_T9_mT8_P12ihipStream_tbDpT10_ENKUlT_T0_E_clISt17integral_constantIbLb0EES15_IbLb1EEEEDaS11_S12_EUlS11_E_NS1_11comp_targetILNS1_3genE0ELNS1_11target_archE4294967295ELNS1_3gpuE0ELNS1_3repE0EEENS1_30default_config_static_selectorELNS0_4arch9wavefront6targetE1EEEvT1_
                                        ; -- End function
	.section	.AMDGPU.csdata,"",@progbits
; Kernel info:
; codeLenInByte = 0
; NumSgprs: 4
; NumVgprs: 0
; NumAgprs: 0
; TotalNumVgprs: 0
; ScratchSize: 0
; MemoryBound: 0
; FloatMode: 240
; IeeeMode: 1
; LDSByteSize: 0 bytes/workgroup (compile time only)
; SGPRBlocks: 0
; VGPRBlocks: 0
; NumSGPRsForWavesPerEU: 4
; NumVGPRsForWavesPerEU: 1
; AccumOffset: 4
; Occupancy: 8
; WaveLimiterHint : 0
; COMPUTE_PGM_RSRC2:SCRATCH_EN: 0
; COMPUTE_PGM_RSRC2:USER_SGPR: 6
; COMPUTE_PGM_RSRC2:TRAP_HANDLER: 0
; COMPUTE_PGM_RSRC2:TGID_X_EN: 1
; COMPUTE_PGM_RSRC2:TGID_Y_EN: 0
; COMPUTE_PGM_RSRC2:TGID_Z_EN: 0
; COMPUTE_PGM_RSRC2:TIDIG_COMP_CNT: 0
; COMPUTE_PGM_RSRC3_GFX90A:ACCUM_OFFSET: 0
; COMPUTE_PGM_RSRC3_GFX90A:TG_SPLIT: 0
	.section	.text._ZN7rocprim17ROCPRIM_400000_NS6detail17trampoline_kernelINS0_14default_configENS1_25partition_config_selectorILNS1_17partition_subalgoE0EyNS0_10empty_typeEbEEZZNS1_14partition_implILS5_0ELb0ES3_jN6thrust23THRUST_200600_302600_NS6detail15normal_iteratorINSA_10device_ptrIyEEEEPS6_SG_NS0_5tupleIJSF_SF_EEENSH_IJSG_SG_EEES6_PlJ7is_evenIyEEEE10hipError_tPvRmT3_T4_T5_T6_T7_T9_mT8_P12ihipStream_tbDpT10_ENKUlT_T0_E_clISt17integral_constantIbLb0EES15_IbLb1EEEEDaS11_S12_EUlS11_E_NS1_11comp_targetILNS1_3genE5ELNS1_11target_archE942ELNS1_3gpuE9ELNS1_3repE0EEENS1_30default_config_static_selectorELNS0_4arch9wavefront6targetE1EEEvT1_,"axG",@progbits,_ZN7rocprim17ROCPRIM_400000_NS6detail17trampoline_kernelINS0_14default_configENS1_25partition_config_selectorILNS1_17partition_subalgoE0EyNS0_10empty_typeEbEEZZNS1_14partition_implILS5_0ELb0ES3_jN6thrust23THRUST_200600_302600_NS6detail15normal_iteratorINSA_10device_ptrIyEEEEPS6_SG_NS0_5tupleIJSF_SF_EEENSH_IJSG_SG_EEES6_PlJ7is_evenIyEEEE10hipError_tPvRmT3_T4_T5_T6_T7_T9_mT8_P12ihipStream_tbDpT10_ENKUlT_T0_E_clISt17integral_constantIbLb0EES15_IbLb1EEEEDaS11_S12_EUlS11_E_NS1_11comp_targetILNS1_3genE5ELNS1_11target_archE942ELNS1_3gpuE9ELNS1_3repE0EEENS1_30default_config_static_selectorELNS0_4arch9wavefront6targetE1EEEvT1_,comdat
	.protected	_ZN7rocprim17ROCPRIM_400000_NS6detail17trampoline_kernelINS0_14default_configENS1_25partition_config_selectorILNS1_17partition_subalgoE0EyNS0_10empty_typeEbEEZZNS1_14partition_implILS5_0ELb0ES3_jN6thrust23THRUST_200600_302600_NS6detail15normal_iteratorINSA_10device_ptrIyEEEEPS6_SG_NS0_5tupleIJSF_SF_EEENSH_IJSG_SG_EEES6_PlJ7is_evenIyEEEE10hipError_tPvRmT3_T4_T5_T6_T7_T9_mT8_P12ihipStream_tbDpT10_ENKUlT_T0_E_clISt17integral_constantIbLb0EES15_IbLb1EEEEDaS11_S12_EUlS11_E_NS1_11comp_targetILNS1_3genE5ELNS1_11target_archE942ELNS1_3gpuE9ELNS1_3repE0EEENS1_30default_config_static_selectorELNS0_4arch9wavefront6targetE1EEEvT1_ ; -- Begin function _ZN7rocprim17ROCPRIM_400000_NS6detail17trampoline_kernelINS0_14default_configENS1_25partition_config_selectorILNS1_17partition_subalgoE0EyNS0_10empty_typeEbEEZZNS1_14partition_implILS5_0ELb0ES3_jN6thrust23THRUST_200600_302600_NS6detail15normal_iteratorINSA_10device_ptrIyEEEEPS6_SG_NS0_5tupleIJSF_SF_EEENSH_IJSG_SG_EEES6_PlJ7is_evenIyEEEE10hipError_tPvRmT3_T4_T5_T6_T7_T9_mT8_P12ihipStream_tbDpT10_ENKUlT_T0_E_clISt17integral_constantIbLb0EES15_IbLb1EEEEDaS11_S12_EUlS11_E_NS1_11comp_targetILNS1_3genE5ELNS1_11target_archE942ELNS1_3gpuE9ELNS1_3repE0EEENS1_30default_config_static_selectorELNS0_4arch9wavefront6targetE1EEEvT1_
	.globl	_ZN7rocprim17ROCPRIM_400000_NS6detail17trampoline_kernelINS0_14default_configENS1_25partition_config_selectorILNS1_17partition_subalgoE0EyNS0_10empty_typeEbEEZZNS1_14partition_implILS5_0ELb0ES3_jN6thrust23THRUST_200600_302600_NS6detail15normal_iteratorINSA_10device_ptrIyEEEEPS6_SG_NS0_5tupleIJSF_SF_EEENSH_IJSG_SG_EEES6_PlJ7is_evenIyEEEE10hipError_tPvRmT3_T4_T5_T6_T7_T9_mT8_P12ihipStream_tbDpT10_ENKUlT_T0_E_clISt17integral_constantIbLb0EES15_IbLb1EEEEDaS11_S12_EUlS11_E_NS1_11comp_targetILNS1_3genE5ELNS1_11target_archE942ELNS1_3gpuE9ELNS1_3repE0EEENS1_30default_config_static_selectorELNS0_4arch9wavefront6targetE1EEEvT1_
	.p2align	8
	.type	_ZN7rocprim17ROCPRIM_400000_NS6detail17trampoline_kernelINS0_14default_configENS1_25partition_config_selectorILNS1_17partition_subalgoE0EyNS0_10empty_typeEbEEZZNS1_14partition_implILS5_0ELb0ES3_jN6thrust23THRUST_200600_302600_NS6detail15normal_iteratorINSA_10device_ptrIyEEEEPS6_SG_NS0_5tupleIJSF_SF_EEENSH_IJSG_SG_EEES6_PlJ7is_evenIyEEEE10hipError_tPvRmT3_T4_T5_T6_T7_T9_mT8_P12ihipStream_tbDpT10_ENKUlT_T0_E_clISt17integral_constantIbLb0EES15_IbLb1EEEEDaS11_S12_EUlS11_E_NS1_11comp_targetILNS1_3genE5ELNS1_11target_archE942ELNS1_3gpuE9ELNS1_3repE0EEENS1_30default_config_static_selectorELNS0_4arch9wavefront6targetE1EEEvT1_,@function
_ZN7rocprim17ROCPRIM_400000_NS6detail17trampoline_kernelINS0_14default_configENS1_25partition_config_selectorILNS1_17partition_subalgoE0EyNS0_10empty_typeEbEEZZNS1_14partition_implILS5_0ELb0ES3_jN6thrust23THRUST_200600_302600_NS6detail15normal_iteratorINSA_10device_ptrIyEEEEPS6_SG_NS0_5tupleIJSF_SF_EEENSH_IJSG_SG_EEES6_PlJ7is_evenIyEEEE10hipError_tPvRmT3_T4_T5_T6_T7_T9_mT8_P12ihipStream_tbDpT10_ENKUlT_T0_E_clISt17integral_constantIbLb0EES15_IbLb1EEEEDaS11_S12_EUlS11_E_NS1_11comp_targetILNS1_3genE5ELNS1_11target_archE942ELNS1_3gpuE9ELNS1_3repE0EEENS1_30default_config_static_selectorELNS0_4arch9wavefront6targetE1EEEvT1_: ; @_ZN7rocprim17ROCPRIM_400000_NS6detail17trampoline_kernelINS0_14default_configENS1_25partition_config_selectorILNS1_17partition_subalgoE0EyNS0_10empty_typeEbEEZZNS1_14partition_implILS5_0ELb0ES3_jN6thrust23THRUST_200600_302600_NS6detail15normal_iteratorINSA_10device_ptrIyEEEEPS6_SG_NS0_5tupleIJSF_SF_EEENSH_IJSG_SG_EEES6_PlJ7is_evenIyEEEE10hipError_tPvRmT3_T4_T5_T6_T7_T9_mT8_P12ihipStream_tbDpT10_ENKUlT_T0_E_clISt17integral_constantIbLb0EES15_IbLb1EEEEDaS11_S12_EUlS11_E_NS1_11comp_targetILNS1_3genE5ELNS1_11target_archE942ELNS1_3gpuE9ELNS1_3repE0EEENS1_30default_config_static_selectorELNS0_4arch9wavefront6targetE1EEEvT1_
; %bb.0:
	.section	.rodata,"a",@progbits
	.p2align	6, 0x0
	.amdhsa_kernel _ZN7rocprim17ROCPRIM_400000_NS6detail17trampoline_kernelINS0_14default_configENS1_25partition_config_selectorILNS1_17partition_subalgoE0EyNS0_10empty_typeEbEEZZNS1_14partition_implILS5_0ELb0ES3_jN6thrust23THRUST_200600_302600_NS6detail15normal_iteratorINSA_10device_ptrIyEEEEPS6_SG_NS0_5tupleIJSF_SF_EEENSH_IJSG_SG_EEES6_PlJ7is_evenIyEEEE10hipError_tPvRmT3_T4_T5_T6_T7_T9_mT8_P12ihipStream_tbDpT10_ENKUlT_T0_E_clISt17integral_constantIbLb0EES15_IbLb1EEEEDaS11_S12_EUlS11_E_NS1_11comp_targetILNS1_3genE5ELNS1_11target_archE942ELNS1_3gpuE9ELNS1_3repE0EEENS1_30default_config_static_selectorELNS0_4arch9wavefront6targetE1EEEvT1_
		.amdhsa_group_segment_fixed_size 0
		.amdhsa_private_segment_fixed_size 0
		.amdhsa_kernarg_size 136
		.amdhsa_user_sgpr_count 6
		.amdhsa_user_sgpr_private_segment_buffer 1
		.amdhsa_user_sgpr_dispatch_ptr 0
		.amdhsa_user_sgpr_queue_ptr 0
		.amdhsa_user_sgpr_kernarg_segment_ptr 1
		.amdhsa_user_sgpr_dispatch_id 0
		.amdhsa_user_sgpr_flat_scratch_init 0
		.amdhsa_user_sgpr_kernarg_preload_length 0
		.amdhsa_user_sgpr_kernarg_preload_offset 0
		.amdhsa_user_sgpr_private_segment_size 0
		.amdhsa_uses_dynamic_stack 0
		.amdhsa_system_sgpr_private_segment_wavefront_offset 0
		.amdhsa_system_sgpr_workgroup_id_x 1
		.amdhsa_system_sgpr_workgroup_id_y 0
		.amdhsa_system_sgpr_workgroup_id_z 0
		.amdhsa_system_sgpr_workgroup_info 0
		.amdhsa_system_vgpr_workitem_id 0
		.amdhsa_next_free_vgpr 1
		.amdhsa_next_free_sgpr 0
		.amdhsa_accum_offset 4
		.amdhsa_reserve_vcc 0
		.amdhsa_reserve_flat_scratch 0
		.amdhsa_float_round_mode_32 0
		.amdhsa_float_round_mode_16_64 0
		.amdhsa_float_denorm_mode_32 3
		.amdhsa_float_denorm_mode_16_64 3
		.amdhsa_dx10_clamp 1
		.amdhsa_ieee_mode 1
		.amdhsa_fp16_overflow 0
		.amdhsa_tg_split 0
		.amdhsa_exception_fp_ieee_invalid_op 0
		.amdhsa_exception_fp_denorm_src 0
		.amdhsa_exception_fp_ieee_div_zero 0
		.amdhsa_exception_fp_ieee_overflow 0
		.amdhsa_exception_fp_ieee_underflow 0
		.amdhsa_exception_fp_ieee_inexact 0
		.amdhsa_exception_int_div_zero 0
	.end_amdhsa_kernel
	.section	.text._ZN7rocprim17ROCPRIM_400000_NS6detail17trampoline_kernelINS0_14default_configENS1_25partition_config_selectorILNS1_17partition_subalgoE0EyNS0_10empty_typeEbEEZZNS1_14partition_implILS5_0ELb0ES3_jN6thrust23THRUST_200600_302600_NS6detail15normal_iteratorINSA_10device_ptrIyEEEEPS6_SG_NS0_5tupleIJSF_SF_EEENSH_IJSG_SG_EEES6_PlJ7is_evenIyEEEE10hipError_tPvRmT3_T4_T5_T6_T7_T9_mT8_P12ihipStream_tbDpT10_ENKUlT_T0_E_clISt17integral_constantIbLb0EES15_IbLb1EEEEDaS11_S12_EUlS11_E_NS1_11comp_targetILNS1_3genE5ELNS1_11target_archE942ELNS1_3gpuE9ELNS1_3repE0EEENS1_30default_config_static_selectorELNS0_4arch9wavefront6targetE1EEEvT1_,"axG",@progbits,_ZN7rocprim17ROCPRIM_400000_NS6detail17trampoline_kernelINS0_14default_configENS1_25partition_config_selectorILNS1_17partition_subalgoE0EyNS0_10empty_typeEbEEZZNS1_14partition_implILS5_0ELb0ES3_jN6thrust23THRUST_200600_302600_NS6detail15normal_iteratorINSA_10device_ptrIyEEEEPS6_SG_NS0_5tupleIJSF_SF_EEENSH_IJSG_SG_EEES6_PlJ7is_evenIyEEEE10hipError_tPvRmT3_T4_T5_T6_T7_T9_mT8_P12ihipStream_tbDpT10_ENKUlT_T0_E_clISt17integral_constantIbLb0EES15_IbLb1EEEEDaS11_S12_EUlS11_E_NS1_11comp_targetILNS1_3genE5ELNS1_11target_archE942ELNS1_3gpuE9ELNS1_3repE0EEENS1_30default_config_static_selectorELNS0_4arch9wavefront6targetE1EEEvT1_,comdat
.Lfunc_end2129:
	.size	_ZN7rocprim17ROCPRIM_400000_NS6detail17trampoline_kernelINS0_14default_configENS1_25partition_config_selectorILNS1_17partition_subalgoE0EyNS0_10empty_typeEbEEZZNS1_14partition_implILS5_0ELb0ES3_jN6thrust23THRUST_200600_302600_NS6detail15normal_iteratorINSA_10device_ptrIyEEEEPS6_SG_NS0_5tupleIJSF_SF_EEENSH_IJSG_SG_EEES6_PlJ7is_evenIyEEEE10hipError_tPvRmT3_T4_T5_T6_T7_T9_mT8_P12ihipStream_tbDpT10_ENKUlT_T0_E_clISt17integral_constantIbLb0EES15_IbLb1EEEEDaS11_S12_EUlS11_E_NS1_11comp_targetILNS1_3genE5ELNS1_11target_archE942ELNS1_3gpuE9ELNS1_3repE0EEENS1_30default_config_static_selectorELNS0_4arch9wavefront6targetE1EEEvT1_, .Lfunc_end2129-_ZN7rocprim17ROCPRIM_400000_NS6detail17trampoline_kernelINS0_14default_configENS1_25partition_config_selectorILNS1_17partition_subalgoE0EyNS0_10empty_typeEbEEZZNS1_14partition_implILS5_0ELb0ES3_jN6thrust23THRUST_200600_302600_NS6detail15normal_iteratorINSA_10device_ptrIyEEEEPS6_SG_NS0_5tupleIJSF_SF_EEENSH_IJSG_SG_EEES6_PlJ7is_evenIyEEEE10hipError_tPvRmT3_T4_T5_T6_T7_T9_mT8_P12ihipStream_tbDpT10_ENKUlT_T0_E_clISt17integral_constantIbLb0EES15_IbLb1EEEEDaS11_S12_EUlS11_E_NS1_11comp_targetILNS1_3genE5ELNS1_11target_archE942ELNS1_3gpuE9ELNS1_3repE0EEENS1_30default_config_static_selectorELNS0_4arch9wavefront6targetE1EEEvT1_
                                        ; -- End function
	.section	.AMDGPU.csdata,"",@progbits
; Kernel info:
; codeLenInByte = 0
; NumSgprs: 4
; NumVgprs: 0
; NumAgprs: 0
; TotalNumVgprs: 0
; ScratchSize: 0
; MemoryBound: 0
; FloatMode: 240
; IeeeMode: 1
; LDSByteSize: 0 bytes/workgroup (compile time only)
; SGPRBlocks: 0
; VGPRBlocks: 0
; NumSGPRsForWavesPerEU: 4
; NumVGPRsForWavesPerEU: 1
; AccumOffset: 4
; Occupancy: 8
; WaveLimiterHint : 0
; COMPUTE_PGM_RSRC2:SCRATCH_EN: 0
; COMPUTE_PGM_RSRC2:USER_SGPR: 6
; COMPUTE_PGM_RSRC2:TRAP_HANDLER: 0
; COMPUTE_PGM_RSRC2:TGID_X_EN: 1
; COMPUTE_PGM_RSRC2:TGID_Y_EN: 0
; COMPUTE_PGM_RSRC2:TGID_Z_EN: 0
; COMPUTE_PGM_RSRC2:TIDIG_COMP_CNT: 0
; COMPUTE_PGM_RSRC3_GFX90A:ACCUM_OFFSET: 0
; COMPUTE_PGM_RSRC3_GFX90A:TG_SPLIT: 0
	.section	.text._ZN7rocprim17ROCPRIM_400000_NS6detail17trampoline_kernelINS0_14default_configENS1_25partition_config_selectorILNS1_17partition_subalgoE0EyNS0_10empty_typeEbEEZZNS1_14partition_implILS5_0ELb0ES3_jN6thrust23THRUST_200600_302600_NS6detail15normal_iteratorINSA_10device_ptrIyEEEEPS6_SG_NS0_5tupleIJSF_SF_EEENSH_IJSG_SG_EEES6_PlJ7is_evenIyEEEE10hipError_tPvRmT3_T4_T5_T6_T7_T9_mT8_P12ihipStream_tbDpT10_ENKUlT_T0_E_clISt17integral_constantIbLb0EES15_IbLb1EEEEDaS11_S12_EUlS11_E_NS1_11comp_targetILNS1_3genE4ELNS1_11target_archE910ELNS1_3gpuE8ELNS1_3repE0EEENS1_30default_config_static_selectorELNS0_4arch9wavefront6targetE1EEEvT1_,"axG",@progbits,_ZN7rocprim17ROCPRIM_400000_NS6detail17trampoline_kernelINS0_14default_configENS1_25partition_config_selectorILNS1_17partition_subalgoE0EyNS0_10empty_typeEbEEZZNS1_14partition_implILS5_0ELb0ES3_jN6thrust23THRUST_200600_302600_NS6detail15normal_iteratorINSA_10device_ptrIyEEEEPS6_SG_NS0_5tupleIJSF_SF_EEENSH_IJSG_SG_EEES6_PlJ7is_evenIyEEEE10hipError_tPvRmT3_T4_T5_T6_T7_T9_mT8_P12ihipStream_tbDpT10_ENKUlT_T0_E_clISt17integral_constantIbLb0EES15_IbLb1EEEEDaS11_S12_EUlS11_E_NS1_11comp_targetILNS1_3genE4ELNS1_11target_archE910ELNS1_3gpuE8ELNS1_3repE0EEENS1_30default_config_static_selectorELNS0_4arch9wavefront6targetE1EEEvT1_,comdat
	.protected	_ZN7rocprim17ROCPRIM_400000_NS6detail17trampoline_kernelINS0_14default_configENS1_25partition_config_selectorILNS1_17partition_subalgoE0EyNS0_10empty_typeEbEEZZNS1_14partition_implILS5_0ELb0ES3_jN6thrust23THRUST_200600_302600_NS6detail15normal_iteratorINSA_10device_ptrIyEEEEPS6_SG_NS0_5tupleIJSF_SF_EEENSH_IJSG_SG_EEES6_PlJ7is_evenIyEEEE10hipError_tPvRmT3_T4_T5_T6_T7_T9_mT8_P12ihipStream_tbDpT10_ENKUlT_T0_E_clISt17integral_constantIbLb0EES15_IbLb1EEEEDaS11_S12_EUlS11_E_NS1_11comp_targetILNS1_3genE4ELNS1_11target_archE910ELNS1_3gpuE8ELNS1_3repE0EEENS1_30default_config_static_selectorELNS0_4arch9wavefront6targetE1EEEvT1_ ; -- Begin function _ZN7rocprim17ROCPRIM_400000_NS6detail17trampoline_kernelINS0_14default_configENS1_25partition_config_selectorILNS1_17partition_subalgoE0EyNS0_10empty_typeEbEEZZNS1_14partition_implILS5_0ELb0ES3_jN6thrust23THRUST_200600_302600_NS6detail15normal_iteratorINSA_10device_ptrIyEEEEPS6_SG_NS0_5tupleIJSF_SF_EEENSH_IJSG_SG_EEES6_PlJ7is_evenIyEEEE10hipError_tPvRmT3_T4_T5_T6_T7_T9_mT8_P12ihipStream_tbDpT10_ENKUlT_T0_E_clISt17integral_constantIbLb0EES15_IbLb1EEEEDaS11_S12_EUlS11_E_NS1_11comp_targetILNS1_3genE4ELNS1_11target_archE910ELNS1_3gpuE8ELNS1_3repE0EEENS1_30default_config_static_selectorELNS0_4arch9wavefront6targetE1EEEvT1_
	.globl	_ZN7rocprim17ROCPRIM_400000_NS6detail17trampoline_kernelINS0_14default_configENS1_25partition_config_selectorILNS1_17partition_subalgoE0EyNS0_10empty_typeEbEEZZNS1_14partition_implILS5_0ELb0ES3_jN6thrust23THRUST_200600_302600_NS6detail15normal_iteratorINSA_10device_ptrIyEEEEPS6_SG_NS0_5tupleIJSF_SF_EEENSH_IJSG_SG_EEES6_PlJ7is_evenIyEEEE10hipError_tPvRmT3_T4_T5_T6_T7_T9_mT8_P12ihipStream_tbDpT10_ENKUlT_T0_E_clISt17integral_constantIbLb0EES15_IbLb1EEEEDaS11_S12_EUlS11_E_NS1_11comp_targetILNS1_3genE4ELNS1_11target_archE910ELNS1_3gpuE8ELNS1_3repE0EEENS1_30default_config_static_selectorELNS0_4arch9wavefront6targetE1EEEvT1_
	.p2align	8
	.type	_ZN7rocprim17ROCPRIM_400000_NS6detail17trampoline_kernelINS0_14default_configENS1_25partition_config_selectorILNS1_17partition_subalgoE0EyNS0_10empty_typeEbEEZZNS1_14partition_implILS5_0ELb0ES3_jN6thrust23THRUST_200600_302600_NS6detail15normal_iteratorINSA_10device_ptrIyEEEEPS6_SG_NS0_5tupleIJSF_SF_EEENSH_IJSG_SG_EEES6_PlJ7is_evenIyEEEE10hipError_tPvRmT3_T4_T5_T6_T7_T9_mT8_P12ihipStream_tbDpT10_ENKUlT_T0_E_clISt17integral_constantIbLb0EES15_IbLb1EEEEDaS11_S12_EUlS11_E_NS1_11comp_targetILNS1_3genE4ELNS1_11target_archE910ELNS1_3gpuE8ELNS1_3repE0EEENS1_30default_config_static_selectorELNS0_4arch9wavefront6targetE1EEEvT1_,@function
_ZN7rocprim17ROCPRIM_400000_NS6detail17trampoline_kernelINS0_14default_configENS1_25partition_config_selectorILNS1_17partition_subalgoE0EyNS0_10empty_typeEbEEZZNS1_14partition_implILS5_0ELb0ES3_jN6thrust23THRUST_200600_302600_NS6detail15normal_iteratorINSA_10device_ptrIyEEEEPS6_SG_NS0_5tupleIJSF_SF_EEENSH_IJSG_SG_EEES6_PlJ7is_evenIyEEEE10hipError_tPvRmT3_T4_T5_T6_T7_T9_mT8_P12ihipStream_tbDpT10_ENKUlT_T0_E_clISt17integral_constantIbLb0EES15_IbLb1EEEEDaS11_S12_EUlS11_E_NS1_11comp_targetILNS1_3genE4ELNS1_11target_archE910ELNS1_3gpuE8ELNS1_3repE0EEENS1_30default_config_static_selectorELNS0_4arch9wavefront6targetE1EEEvT1_: ; @_ZN7rocprim17ROCPRIM_400000_NS6detail17trampoline_kernelINS0_14default_configENS1_25partition_config_selectorILNS1_17partition_subalgoE0EyNS0_10empty_typeEbEEZZNS1_14partition_implILS5_0ELb0ES3_jN6thrust23THRUST_200600_302600_NS6detail15normal_iteratorINSA_10device_ptrIyEEEEPS6_SG_NS0_5tupleIJSF_SF_EEENSH_IJSG_SG_EEES6_PlJ7is_evenIyEEEE10hipError_tPvRmT3_T4_T5_T6_T7_T9_mT8_P12ihipStream_tbDpT10_ENKUlT_T0_E_clISt17integral_constantIbLb0EES15_IbLb1EEEEDaS11_S12_EUlS11_E_NS1_11comp_targetILNS1_3genE4ELNS1_11target_archE910ELNS1_3gpuE8ELNS1_3repE0EEENS1_30default_config_static_selectorELNS0_4arch9wavefront6targetE1EEEvT1_
; %bb.0:
	s_load_dwordx2 s[2:3], s[4:5], 0x58
	s_load_dwordx4 s[20:23], s[4:5], 0x48
	s_load_dwordx2 s[34:35], s[4:5], 0x68
	v_cmp_eq_u32_e64 s[0:1], 0, v0
	s_and_saveexec_b64 s[6:7], s[0:1]
	s_cbranch_execz .LBB2130_4
; %bb.1:
	s_mov_b64 s[10:11], exec
	v_mbcnt_lo_u32_b32 v1, s10, 0
	v_mbcnt_hi_u32_b32 v1, s11, v1
	v_cmp_eq_u32_e32 vcc, 0, v1
                                        ; implicit-def: $vgpr2
	s_and_saveexec_b64 s[8:9], vcc
	s_cbranch_execz .LBB2130_3
; %bb.2:
	s_load_dwordx2 s[12:13], s[4:5], 0x78
	s_bcnt1_i32_b64 s10, s[10:11]
	v_mov_b32_e32 v2, 0
	v_mov_b32_e32 v3, s10
	s_waitcnt lgkmcnt(0)
	global_atomic_add v2, v2, v3, s[12:13] glc
.LBB2130_3:
	s_or_b64 exec, exec, s[8:9]
	s_waitcnt vmcnt(0)
	v_readfirstlane_b32 s8, v2
	v_add_u32_e32 v1, s8, v1
	v_mov_b32_e32 v2, 0
	ds_write_b32 v2, v1
.LBB2130_4:
	s_or_b64 exec, exec, s[6:7]
	v_mov_b32_e32 v3, 0
	s_load_dwordx4 s[28:31], s[4:5], 0x8
	s_load_dwordx4 s[24:27], s[4:5], 0x28
	s_load_dword s6, s[4:5], 0x70
	s_waitcnt lgkmcnt(0)
	s_barrier
	ds_read_b32 v1, v3
	s_waitcnt lgkmcnt(0)
	s_barrier
	global_load_dwordx2 v[10:11], v3, s[22:23]
	v_mov_b32_e32 v5, s3
	s_lshl_b64 s[4:5], s[30:31], 3
	s_movk_i32 s3, 0x300
	s_add_u32 s7, s28, s4
	v_mul_lo_u32 v2, v1, s3
	s_mul_i32 s3, s6, 0x300
	s_addc_u32 s8, s29, s5
	s_add_i32 s5, s3, s30
	s_sub_i32 s33, s2, s5
	s_add_i32 s4, s6, -1
	s_addk_i32 s33, 0x300
	v_mov_b32_e32 v4, s2
	s_add_u32 s2, s30, s3
	v_readfirstlane_b32 s40, v1
	s_addc_u32 s3, s31, 0
	s_cmp_eq_u32 s40, s4
	s_cselect_b64 s[22:23], -1, 0
	s_cmp_lg_u32 s40, s4
	v_cmp_lt_u64_e32 vcc, s[2:3], v[4:5]
	s_cselect_b64 s[2:3], -1, 0
	v_lshlrev_b64 v[12:13], 3, v[2:3]
	s_or_b64 s[4:5], vcc, s[2:3]
	v_mov_b32_e32 v1, s8
	v_add_co_u32_e32 v15, vcc, s7, v12
	v_addc_co_u32_e32 v16, vcc, v1, v13, vcc
	s_mov_b64 s[2:3], -1
	s_and_b64 vcc, exec, s[4:5]
	v_lshlrev_b32_e32 v1, 3, v0
	v_lshrrev_b32_e32 v14, 2, v0
	s_cbranch_vccz .LBB2130_6
; %bb.5:
	v_add_co_u32_e32 v2, vcc, v15, v1
	v_addc_co_u32_e32 v3, vcc, 0, v16, vcc
	v_add_co_u32_e32 v4, vcc, 0x1000, v2
	v_addc_co_u32_e32 v5, vcc, 0, v3, vcc
	flat_load_dwordx2 v[6:7], v[2:3]
	flat_load_dwordx2 v[8:9], v[2:3] offset:1536
	flat_load_dwordx2 v[18:19], v[2:3] offset:3072
	;; [unrolled: 1-line block ×3, first 2 shown]
	v_add_u32_e32 v3, 0xc0, v0
	v_add_u32_e32 v4, 0x180, v0
	;; [unrolled: 1-line block ×3, first 2 shown]
	v_and_b32_e32 v2, 56, v14
	v_lshrrev_b32_e32 v3, 2, v3
	v_lshrrev_b32_e32 v4, 2, v4
	;; [unrolled: 1-line block ×3, first 2 shown]
	v_add_u32_e32 v2, v2, v1
	v_and_b32_e32 v3, 0x78, v3
	v_and_b32_e32 v4, 0xf8, v4
	;; [unrolled: 1-line block ×3, first 2 shown]
	v_add_u32_e32 v3, v3, v1
	v_add_u32_e32 v4, v4, v1
	;; [unrolled: 1-line block ×3, first 2 shown]
	s_mov_b64 s[2:3], 0
	s_waitcnt vmcnt(0) lgkmcnt(0)
	ds_write_b64 v2, v[6:7]
	ds_write_b64 v3, v[8:9] offset:1536
	ds_write_b64 v4, v[18:19] offset:3072
	;; [unrolled: 1-line block ×3, first 2 shown]
	s_waitcnt lgkmcnt(0)
	s_barrier
.LBB2130_6:
	s_andn2_b64 vcc, exec, s[2:3]
	v_cmp_gt_u32_e64 s[2:3], s33, v0
	s_cbranch_vccnz .LBB2130_16
; %bb.7:
                                        ; implicit-def: $vgpr2_vgpr3_vgpr4_vgpr5_vgpr6_vgpr7_vgpr8_vgpr9
	s_and_saveexec_b64 s[6:7], s[2:3]
	s_cbranch_execz .LBB2130_9
; %bb.8:
	v_add_co_u32_e32 v2, vcc, v15, v1
	v_addc_co_u32_e32 v3, vcc, 0, v16, vcc
	flat_load_dwordx2 v[2:3], v[2:3]
.LBB2130_9:
	s_or_b64 exec, exec, s[6:7]
	v_add_u32_e32 v17, 0xc0, v0
	v_cmp_gt_u32_e32 vcc, s33, v17
	s_and_saveexec_b64 s[2:3], vcc
	s_cbranch_execz .LBB2130_11
; %bb.10:
	v_add_co_u32_e32 v4, vcc, v15, v1
	v_addc_co_u32_e32 v5, vcc, 0, v16, vcc
	flat_load_dwordx2 v[4:5], v[4:5] offset:1536
.LBB2130_11:
	s_or_b64 exec, exec, s[2:3]
	v_add_u32_e32 v18, 0x180, v0
	v_cmp_gt_u32_e32 vcc, s33, v18
	s_and_saveexec_b64 s[2:3], vcc
	s_cbranch_execz .LBB2130_13
; %bb.12:
	v_add_co_u32_e32 v6, vcc, v15, v1
	v_addc_co_u32_e32 v7, vcc, 0, v16, vcc
	flat_load_dwordx2 v[6:7], v[6:7] offset:3072
.LBB2130_13:
	s_or_b64 exec, exec, s[2:3]
	v_add_u32_e32 v19, 0x240, v0
	v_cmp_gt_u32_e32 vcc, s33, v19
	s_and_saveexec_b64 s[2:3], vcc
	s_cbranch_execz .LBB2130_15
; %bb.14:
	v_lshlrev_b32_e32 v8, 3, v19
	v_add_co_u32_e32 v8, vcc, v15, v8
	v_addc_co_u32_e32 v9, vcc, 0, v16, vcc
	flat_load_dwordx2 v[8:9], v[8:9]
.LBB2130_15:
	s_or_b64 exec, exec, s[2:3]
	v_and_b32_e32 v14, 56, v14
	v_add_u32_e32 v14, v14, v1
	s_waitcnt vmcnt(0) lgkmcnt(0)
	ds_write_b64 v14, v[2:3]
	v_lshrrev_b32_e32 v2, 2, v17
	v_and_b32_e32 v2, 0x78, v2
	v_add_u32_e32 v2, v2, v1
	ds_write_b64 v2, v[4:5] offset:1536
	v_lshrrev_b32_e32 v2, 2, v18
	v_and_b32_e32 v2, 0xf8, v2
	v_add_u32_e32 v2, v2, v1
	ds_write_b64 v2, v[6:7] offset:3072
	;; [unrolled: 4-line block ×3, first 2 shown]
	s_waitcnt lgkmcnt(0)
	s_barrier
.LBB2130_16:
	v_lshlrev_b32_e32 v24, 2, v0
	v_lshrrev_b32_e32 v2, 3, v0
	v_add_lshl_u32 v2, v2, v24, 3
	ds_read2_b64 v[6:9], v2 offset1:1
	ds_read2_b64 v[2:5], v2 offset0:2 offset1:3
	v_cndmask_b32_e64 v14, 0, 1, s[4:5]
	v_cmp_ne_u32_e64 s[2:3], 1, v14
	s_andn2_b64 vcc, exec, s[4:5]
	s_waitcnt lgkmcnt(1)
	v_xor_b32_e32 v17, -1, v6
	v_xor_b32_e32 v16, -1, v8
	s_waitcnt lgkmcnt(0)
	v_xor_b32_e32 v15, -1, v2
	v_xor_b32_e32 v14, -1, v4
	s_barrier
	s_cbranch_vccnz .LBB2130_18
; %bb.17:
	v_mov_b32_e32 v19, 1
	v_and_b32_e32 v18, 1, v17
	v_and_b32_sdwa v20, v16, v19 dst_sel:BYTE_1 dst_unused:UNUSED_PAD src0_sel:DWORD src1_sel:DWORD
	v_and_b32_e32 v21, 1, v15
	v_and_b32_sdwa v19, v14, v19 dst_sel:BYTE_1 dst_unused:UNUSED_PAD src0_sel:DWORD src1_sel:DWORD
	v_or_b32_e32 v18, v18, v20
	v_or_b32_sdwa v19, v21, v19 dst_sel:WORD_1 dst_unused:UNUSED_PAD src0_sel:DWORD src1_sel:DWORD
	v_or_b32_sdwa v25, v18, v19 dst_sel:DWORD dst_unused:UNUSED_PAD src0_sel:WORD_0 src1_sel:DWORD
	s_cbranch_execz .LBB2130_19
	s_branch .LBB2130_20
.LBB2130_18:
                                        ; implicit-def: $vgpr25
.LBB2130_19:
	v_cmp_gt_u32_e32 vcc, s33, v24
	v_cndmask_b32_e64 v18, 0, 1, vcc
	v_and_b32_e32 v17, v18, v17
	v_or_b32_e32 v18, 1, v24
	v_cmp_gt_u32_e32 vcc, s33, v18
	v_cndmask_b32_e64 v18, 0, 1, vcc
	v_and_b32_sdwa v16, v18, v16 dst_sel:BYTE_1 dst_unused:UNUSED_PAD src0_sel:DWORD src1_sel:DWORD
	v_or_b32_e32 v18, 2, v24
	v_cmp_gt_u32_e32 vcc, s33, v18
	v_cndmask_b32_e64 v18, 0, 1, vcc
	v_and_b32_e32 v15, v18, v15
	v_or_b32_e32 v18, 3, v24
	v_cmp_gt_u32_e32 vcc, s33, v18
	v_cndmask_b32_e64 v18, 0, 1, vcc
	v_and_b32_sdwa v14, v18, v14 dst_sel:BYTE_1 dst_unused:UNUSED_PAD src0_sel:DWORD src1_sel:DWORD
	v_or_b32_e32 v16, v17, v16
	v_or_b32_sdwa v14, v15, v14 dst_sel:WORD_1 dst_unused:UNUSED_PAD src0_sel:DWORD src1_sel:DWORD
	v_or_b32_sdwa v25, v16, v14 dst_sel:DWORD dst_unused:UNUSED_PAD src0_sel:WORD_0 src1_sel:DWORD
.LBB2130_20:
	v_bfe_u32 v27, v25, 16, 8
	v_lshrrev_b32_e32 v26, 24, v25
	v_add_u32_sdwa v14, v25, v25 dst_sel:DWORD dst_unused:UNUSED_PAD src0_sel:BYTE_1 src1_sel:BYTE_0
	v_add3_u32 v30, v14, v27, v26
	v_mbcnt_lo_u32_b32 v14, -1, 0
	v_mbcnt_hi_u32_b32 v28, -1, v14
	v_and_b32_e32 v14, 15, v28
	v_cmp_eq_u32_e64 s[16:17], 0, v14
	v_cmp_lt_u32_e64 s[14:15], 1, v14
	v_cmp_lt_u32_e64 s[12:13], 3, v14
	;; [unrolled: 1-line block ×3, first 2 shown]
	v_and_b32_e32 v14, 16, v28
	v_cmp_eq_u32_e64 s[6:7], 0, v14
	v_and_b32_e32 v14, 0xc0, v0
	v_min_u32_e32 v14, 0x80, v14
	v_or_b32_e32 v14, 63, v14
	s_cmp_lg_u32 s40, 0
	v_cmp_lt_u32_e64 s[4:5], 31, v28
	v_lshrrev_b32_e32 v29, 6, v0
	v_cmp_eq_u32_e64 s[8:9], v14, v0
	s_cbranch_scc0 .LBB2130_47
; %bb.21:
	v_mov_b32_dpp v14, v30 row_shr:1 row_mask:0xf bank_mask:0xf
	v_cndmask_b32_e64 v14, v14, 0, s[16:17]
	v_add_u32_e32 v14, v14, v30
	s_nop 1
	v_mov_b32_dpp v15, v14 row_shr:2 row_mask:0xf bank_mask:0xf
	v_cndmask_b32_e64 v15, 0, v15, s[14:15]
	v_add_u32_e32 v14, v14, v15
	s_nop 1
	;; [unrolled: 4-line block ×4, first 2 shown]
	v_mov_b32_dpp v15, v14 row_bcast:15 row_mask:0xf bank_mask:0xf
	v_cndmask_b32_e64 v15, v15, 0, s[6:7]
	v_add_u32_e32 v14, v14, v15
	s_nop 1
	v_mov_b32_dpp v15, v14 row_bcast:31 row_mask:0xf bank_mask:0xf
	v_cndmask_b32_e64 v15, 0, v15, s[4:5]
	v_add_u32_e32 v14, v14, v15
	s_and_saveexec_b64 s[18:19], s[8:9]
	s_cbranch_execz .LBB2130_23
; %bb.22:
	v_lshlrev_b32_e32 v15, 2, v29
	ds_write_b32 v15, v14
.LBB2130_23:
	s_or_b64 exec, exec, s[18:19]
	v_cmp_gt_u32_e32 vcc, 3, v0
	s_waitcnt lgkmcnt(0)
	s_barrier
	s_and_saveexec_b64 s[18:19], vcc
	s_cbranch_execz .LBB2130_25
; %bb.24:
	ds_read_b32 v15, v24
	v_and_b32_e32 v16, 3, v28
	v_cmp_ne_u32_e32 vcc, 0, v16
	s_waitcnt lgkmcnt(0)
	v_mov_b32_dpp v17, v15 row_shr:1 row_mask:0xf bank_mask:0xf
	v_cndmask_b32_e32 v17, 0, v17, vcc
	v_add_u32_e32 v15, v17, v15
	v_cmp_lt_u32_e32 vcc, 1, v16
	s_nop 0
	v_mov_b32_dpp v17, v15 row_shr:2 row_mask:0xf bank_mask:0xf
	v_cndmask_b32_e32 v16, 0, v17, vcc
	v_add_u32_e32 v15, v15, v16
	ds_write_b32 v24, v15
.LBB2130_25:
	s_or_b64 exec, exec, s[18:19]
	v_cmp_gt_u32_e32 vcc, 64, v0
	v_cmp_lt_u32_e64 s[18:19], 63, v0
	s_waitcnt lgkmcnt(0)
	s_barrier
	s_waitcnt lgkmcnt(0)
                                        ; implicit-def: $vgpr31
	s_and_saveexec_b64 s[28:29], s[18:19]
	s_cbranch_execz .LBB2130_27
; %bb.26:
	v_lshl_add_u32 v15, v29, 2, -4
	ds_read_b32 v31, v15
	s_waitcnt lgkmcnt(0)
	v_add_u32_e32 v14, v31, v14
.LBB2130_27:
	s_or_b64 exec, exec, s[28:29]
	v_add_u32_e32 v15, -1, v28
	v_and_b32_e32 v16, 64, v28
	v_cmp_lt_i32_e64 s[18:19], v15, v16
	v_cndmask_b32_e64 v15, v15, v28, s[18:19]
	v_lshlrev_b32_e32 v15, 2, v15
	ds_bpermute_b32 v32, v15, v14
	v_cmp_eq_u32_e64 s[18:19], 0, v28
	s_and_saveexec_b64 s[28:29], vcc
	s_cbranch_execz .LBB2130_46
; %bb.28:
	v_mov_b32_e32 v21, 0
	ds_read_b32 v14, v21 offset:8
	s_and_saveexec_b64 s[36:37], s[18:19]
	s_cbranch_execz .LBB2130_30
; %bb.29:
	s_add_i32 s38, s40, 64
	s_mov_b32 s39, 0
	s_lshl_b64 s[38:39], s[38:39], 3
	s_add_u32 s38, s34, s38
	v_mov_b32_e32 v15, 1
	s_addc_u32 s39, s35, s39
	s_waitcnt lgkmcnt(0)
	global_store_dwordx2 v21, v[14:15], s[38:39]
.LBB2130_30:
	s_or_b64 exec, exec, s[36:37]
	v_xad_u32 v16, v28, -1, s40
	v_add_u32_e32 v20, 64, v16
	v_lshlrev_b64 v[18:19], 3, v[20:21]
	v_mov_b32_e32 v15, s35
	v_add_co_u32_e32 v22, vcc, s34, v18
	v_addc_co_u32_e32 v23, vcc, v15, v19, vcc
	global_load_dwordx2 v[18:19], v[22:23], off glc
	s_waitcnt vmcnt(0)
	v_cmp_eq_u16_sdwa s[38:39], v19, v21 src0_sel:BYTE_0 src1_sel:DWORD
	s_and_saveexec_b64 s[36:37], s[38:39]
	s_cbranch_execz .LBB2130_34
; %bb.31:
	s_mov_b64 s[38:39], 0
	v_mov_b32_e32 v15, 0
.LBB2130_32:                            ; =>This Inner Loop Header: Depth=1
	global_load_dwordx2 v[18:19], v[22:23], off glc
	s_waitcnt vmcnt(0)
	v_cmp_ne_u16_sdwa s[42:43], v19, v15 src0_sel:BYTE_0 src1_sel:DWORD
	s_or_b64 s[38:39], s[42:43], s[38:39]
	s_andn2_b64 exec, exec, s[38:39]
	s_cbranch_execnz .LBB2130_32
; %bb.33:
	s_or_b64 exec, exec, s[38:39]
.LBB2130_34:
	s_or_b64 exec, exec, s[36:37]
	v_and_b32_e32 v34, 63, v28
	v_mov_b32_e32 v33, 2
	v_cmp_ne_u32_e32 vcc, 63, v34
	v_cmp_eq_u16_sdwa s[36:37], v19, v33 src0_sel:BYTE_0 src1_sel:DWORD
	v_lshlrev_b64 v[20:21], v28, -1
	v_addc_co_u32_e32 v22, vcc, 0, v28, vcc
	v_and_b32_e32 v15, s37, v21
	v_lshlrev_b32_e32 v35, 2, v22
	v_or_b32_e32 v15, 0x80000000, v15
	ds_bpermute_b32 v22, v35, v18
	v_and_b32_e32 v17, s36, v20
	v_ffbl_b32_e32 v15, v15
	v_add_u32_e32 v15, 32, v15
	v_ffbl_b32_e32 v17, v17
	v_min_u32_e32 v15, v17, v15
	v_cmp_lt_u32_e32 vcc, v34, v15
	s_waitcnt lgkmcnt(0)
	v_cndmask_b32_e32 v17, 0, v22, vcc
	v_cmp_gt_u32_e32 vcc, 62, v34
	v_add_u32_e32 v17, v17, v18
	v_cndmask_b32_e64 v18, 0, 1, vcc
	v_lshlrev_b32_e32 v18, 1, v18
	v_add_lshl_u32 v36, v18, v28, 2
	ds_bpermute_b32 v18, v36, v17
	v_add_u32_e32 v37, 2, v34
	v_cmp_le_u32_e32 vcc, v37, v15
	v_add_u32_e32 v39, 4, v34
	v_add_u32_e32 v41, 8, v34
	s_waitcnt lgkmcnt(0)
	v_cndmask_b32_e32 v18, 0, v18, vcc
	v_cmp_gt_u32_e32 vcc, 60, v34
	v_add_u32_e32 v17, v17, v18
	v_cndmask_b32_e64 v18, 0, 1, vcc
	v_lshlrev_b32_e32 v18, 2, v18
	v_add_lshl_u32 v38, v18, v28, 2
	ds_bpermute_b32 v18, v38, v17
	v_cmp_le_u32_e32 vcc, v39, v15
	v_add_u32_e32 v43, 16, v34
	v_add_u32_e32 v45, 32, v34
	s_waitcnt lgkmcnt(0)
	v_cndmask_b32_e32 v18, 0, v18, vcc
	v_cmp_gt_u32_e32 vcc, 56, v34
	v_add_u32_e32 v17, v17, v18
	v_cndmask_b32_e64 v18, 0, 1, vcc
	v_lshlrev_b32_e32 v18, 3, v18
	v_add_lshl_u32 v40, v18, v28, 2
	ds_bpermute_b32 v18, v40, v17
	v_cmp_le_u32_e32 vcc, v41, v15
	s_waitcnt lgkmcnt(0)
	v_cndmask_b32_e32 v18, 0, v18, vcc
	v_cmp_gt_u32_e32 vcc, 48, v34
	v_add_u32_e32 v17, v17, v18
	v_cndmask_b32_e64 v18, 0, 1, vcc
	v_lshlrev_b32_e32 v18, 4, v18
	v_add_lshl_u32 v42, v18, v28, 2
	ds_bpermute_b32 v18, v42, v17
	v_cmp_le_u32_e32 vcc, v43, v15
	;; [unrolled: 9-line block ×3, first 2 shown]
	s_waitcnt lgkmcnt(0)
	v_cndmask_b32_e32 v15, 0, v18, vcc
	v_add_u32_e32 v18, v17, v15
	v_mov_b32_e32 v17, 0
	s_branch .LBB2130_36
.LBB2130_35:                            ;   in Loop: Header=BB2130_36 Depth=1
	s_or_b64 exec, exec, s[36:37]
	v_cmp_eq_u16_sdwa s[36:37], v19, v33 src0_sel:BYTE_0 src1_sel:DWORD
	v_and_b32_e32 v22, s37, v21
	v_or_b32_e32 v22, 0x80000000, v22
	ds_bpermute_b32 v46, v35, v18
	v_and_b32_e32 v23, s36, v20
	v_ffbl_b32_e32 v22, v22
	v_add_u32_e32 v22, 32, v22
	v_ffbl_b32_e32 v23, v23
	v_min_u32_e32 v22, v23, v22
	v_cmp_lt_u32_e32 vcc, v34, v22
	s_waitcnt lgkmcnt(0)
	v_cndmask_b32_e32 v23, 0, v46, vcc
	v_add_u32_e32 v18, v23, v18
	ds_bpermute_b32 v23, v36, v18
	v_cmp_le_u32_e32 vcc, v37, v22
	v_subrev_u32_e32 v16, 64, v16
	s_waitcnt lgkmcnt(0)
	v_cndmask_b32_e32 v23, 0, v23, vcc
	v_add_u32_e32 v18, v18, v23
	ds_bpermute_b32 v23, v38, v18
	v_cmp_le_u32_e32 vcc, v39, v22
	s_waitcnt lgkmcnt(0)
	v_cndmask_b32_e32 v23, 0, v23, vcc
	v_add_u32_e32 v18, v18, v23
	ds_bpermute_b32 v23, v40, v18
	v_cmp_le_u32_e32 vcc, v41, v22
	;; [unrolled: 5-line block ×4, first 2 shown]
	s_waitcnt lgkmcnt(0)
	v_cndmask_b32_e32 v22, 0, v23, vcc
	v_add3_u32 v18, v22, v15, v18
.LBB2130_36:                            ; =>This Loop Header: Depth=1
                                        ;     Child Loop BB2130_39 Depth 2
	v_cmp_ne_u16_sdwa s[36:37], v19, v33 src0_sel:BYTE_0 src1_sel:DWORD
	v_cndmask_b32_e64 v15, 0, 1, s[36:37]
	;;#ASMSTART
	;;#ASMEND
	v_cmp_ne_u32_e32 vcc, 0, v15
	s_cmp_lg_u64 vcc, exec
	v_mov_b32_e32 v15, v18
	s_cbranch_scc1 .LBB2130_41
; %bb.37:                               ;   in Loop: Header=BB2130_36 Depth=1
	v_lshlrev_b64 v[18:19], 3, v[16:17]
	v_mov_b32_e32 v23, s35
	v_add_co_u32_e32 v22, vcc, s34, v18
	v_addc_co_u32_e32 v23, vcc, v23, v19, vcc
	global_load_dwordx2 v[18:19], v[22:23], off glc
	s_waitcnt vmcnt(0)
	v_cmp_eq_u16_sdwa s[38:39], v19, v17 src0_sel:BYTE_0 src1_sel:DWORD
	s_and_saveexec_b64 s[36:37], s[38:39]
	s_cbranch_execz .LBB2130_35
; %bb.38:                               ;   in Loop: Header=BB2130_36 Depth=1
	s_mov_b64 s[38:39], 0
.LBB2130_39:                            ;   Parent Loop BB2130_36 Depth=1
                                        ; =>  This Inner Loop Header: Depth=2
	global_load_dwordx2 v[18:19], v[22:23], off glc
	s_waitcnt vmcnt(0)
	v_cmp_ne_u16_sdwa s[42:43], v19, v17 src0_sel:BYTE_0 src1_sel:DWORD
	s_or_b64 s[38:39], s[42:43], s[38:39]
	s_andn2_b64 exec, exec, s[38:39]
	s_cbranch_execnz .LBB2130_39
; %bb.40:                               ;   in Loop: Header=BB2130_36 Depth=1
	s_or_b64 exec, exec, s[38:39]
	s_branch .LBB2130_35
.LBB2130_41:                            ;   in Loop: Header=BB2130_36 Depth=1
                                        ; implicit-def: $vgpr18
                                        ; implicit-def: $vgpr19
	s_cbranch_execz .LBB2130_36
; %bb.42:
	s_and_saveexec_b64 s[36:37], s[18:19]
	s_cbranch_execz .LBB2130_44
; %bb.43:
	s_add_i32 s38, s40, 64
	s_mov_b32 s39, 0
	s_lshl_b64 s[38:39], s[38:39], 3
	s_add_u32 s38, s34, s38
	v_add_u32_e32 v16, v15, v14
	v_mov_b32_e32 v17, 2
	s_addc_u32 s39, s35, s39
	v_mov_b32_e32 v18, 0
	global_store_dwordx2 v18, v[16:17], s[38:39]
	ds_write_b64 v18, v[14:15] offset:6336
.LBB2130_44:
	s_or_b64 exec, exec, s[36:37]
	s_and_b64 exec, exec, s[0:1]
	s_cbranch_execz .LBB2130_46
; %bb.45:
	v_mov_b32_e32 v14, 0
	ds_write_b32 v14, v15 offset:8
.LBB2130_46:
	s_or_b64 exec, exec, s[28:29]
	v_mov_b32_e32 v14, 0
	s_waitcnt lgkmcnt(0)
	s_barrier
	ds_read_b32 v15, v14 offset:8
	v_cndmask_b32_e64 v16, v32, v31, s[18:19]
	v_cndmask_b32_e64 v16, v16, 0, s[0:1]
	s_waitcnt lgkmcnt(0)
	s_barrier
	v_add_u32_e32 v18, v15, v16
	ds_read_b64 v[14:15], v14 offset:6336
	v_add_u32_sdwa v19, v18, v25 dst_sel:DWORD dst_unused:UNUSED_PAD src0_sel:DWORD src1_sel:BYTE_0
	v_add_u32_sdwa v17, v19, v25 dst_sel:DWORD dst_unused:UNUSED_PAD src0_sel:DWORD src1_sel:BYTE_1
	v_add_u32_e32 v16, v17, v27
	s_branch .LBB2130_57
.LBB2130_47:
                                        ; implicit-def: $vgpr15
                                        ; implicit-def: $vgpr16
                                        ; implicit-def: $vgpr17
                                        ; implicit-def: $vgpr19
                                        ; implicit-def: $vgpr18
	s_cbranch_execz .LBB2130_57
; %bb.48:
	s_waitcnt lgkmcnt(0)
	v_mov_b32_dpp v14, v30 row_shr:1 row_mask:0xf bank_mask:0xf
	v_cndmask_b32_e64 v14, v14, 0, s[16:17]
	v_add_u32_e32 v14, v14, v30
	s_nop 1
	v_mov_b32_dpp v15, v14 row_shr:2 row_mask:0xf bank_mask:0xf
	v_cndmask_b32_e64 v15, 0, v15, s[14:15]
	v_add_u32_e32 v14, v14, v15
	s_nop 1
	;; [unrolled: 4-line block ×4, first 2 shown]
	v_mov_b32_dpp v15, v14 row_bcast:15 row_mask:0xf bank_mask:0xf
	v_cndmask_b32_e64 v15, v15, 0, s[6:7]
	v_add_u32_e32 v14, v14, v15
	s_nop 1
	v_mov_b32_dpp v15, v14 row_bcast:31 row_mask:0xf bank_mask:0xf
	v_cndmask_b32_e64 v15, 0, v15, s[4:5]
	v_add_u32_e32 v14, v14, v15
	s_and_saveexec_b64 s[4:5], s[8:9]
	s_cbranch_execz .LBB2130_50
; %bb.49:
	v_lshlrev_b32_e32 v15, 2, v29
	ds_write_b32 v15, v14
.LBB2130_50:
	s_or_b64 exec, exec, s[4:5]
	v_cmp_gt_u32_e32 vcc, 3, v0
	s_waitcnt lgkmcnt(0)
	s_barrier
	s_and_saveexec_b64 s[4:5], vcc
	s_cbranch_execz .LBB2130_52
; %bb.51:
	ds_read_b32 v15, v24
	v_and_b32_e32 v16, 3, v28
	v_cmp_ne_u32_e32 vcc, 0, v16
	s_waitcnt lgkmcnt(0)
	v_mov_b32_dpp v17, v15 row_shr:1 row_mask:0xf bank_mask:0xf
	v_cndmask_b32_e32 v17, 0, v17, vcc
	v_add_u32_e32 v15, v17, v15
	v_cmp_lt_u32_e32 vcc, 1, v16
	s_nop 0
	v_mov_b32_dpp v17, v15 row_shr:2 row_mask:0xf bank_mask:0xf
	v_cndmask_b32_e32 v16, 0, v17, vcc
	v_add_u32_e32 v15, v15, v16
	ds_write_b32 v24, v15
.LBB2130_52:
	s_or_b64 exec, exec, s[4:5]
	v_cmp_lt_u32_e32 vcc, 63, v0
	v_mov_b32_e32 v15, 0
	v_mov_b32_e32 v16, 0
	s_waitcnt lgkmcnt(0)
	s_barrier
	s_and_saveexec_b64 s[4:5], vcc
	s_cbranch_execz .LBB2130_54
; %bb.53:
	v_lshl_add_u32 v16, v29, 2, -4
	ds_read_b32 v16, v16
.LBB2130_54:
	s_or_b64 exec, exec, s[4:5]
	v_add_u32_e32 v17, -1, v28
	v_and_b32_e32 v18, 64, v28
	v_cmp_lt_i32_e32 vcc, v17, v18
	v_cndmask_b32_e32 v17, v17, v28, vcc
	s_waitcnt lgkmcnt(0)
	v_add_u32_e32 v14, v16, v14
	v_lshlrev_b32_e32 v17, 2, v17
	ds_bpermute_b32 v17, v17, v14
	ds_read_b32 v14, v15 offset:8
	s_and_saveexec_b64 s[4:5], s[0:1]
	s_cbranch_execz .LBB2130_56
; %bb.55:
	v_mov_b32_e32 v18, 0
	v_mov_b32_e32 v15, 2
	s_waitcnt lgkmcnt(0)
	global_store_dwordx2 v18, v[14:15], s[34:35] offset:512
.LBB2130_56:
	s_or_b64 exec, exec, s[4:5]
	v_cmp_eq_u32_e32 vcc, 0, v28
	s_waitcnt lgkmcnt(1)
	v_cndmask_b32_e32 v16, v17, v16, vcc
	v_cndmask_b32_e64 v18, v16, 0, s[0:1]
	v_add_u32_sdwa v19, v18, v25 dst_sel:DWORD dst_unused:UNUSED_PAD src0_sel:DWORD src1_sel:BYTE_0
	v_add_u32_sdwa v17, v19, v25 dst_sel:DWORD dst_unused:UNUSED_PAD src0_sel:DWORD src1_sel:BYTE_1
	v_mov_b32_e32 v15, 0
	v_add_u32_e32 v16, v17, v27
	s_waitcnt lgkmcnt(0)
	s_barrier
.LBB2130_57:
	s_waitcnt lgkmcnt(0)
	v_add_u32_e32 v21, v14, v24
	v_sub_u32_e32 v18, v18, v15
	v_and_b32_e32 v23, 1, v25
	v_sub_u32_e32 v22, v21, v18
	v_cmp_eq_u32_e32 vcc, 1, v23
	v_cndmask_b32_e32 v18, v22, v18, vcc
	v_lshlrev_b32_e32 v18, 3, v18
	v_lshrrev_b32_e32 v20, 8, v25
	ds_write_b64 v18, v[6:7]
	v_sub_u32_e32 v6, v19, v15
	v_sub_u32_e32 v7, v21, v6
	v_and_b32_e32 v18, 1, v20
	v_add_u32_e32 v7, 1, v7
	v_cmp_eq_u32_e32 vcc, 1, v18
	v_cndmask_b32_e32 v6, v7, v6, vcc
	v_lshlrev_b32_e32 v6, 3, v6
	ds_write_b64 v6, v[8:9]
	v_sub_u32_e32 v6, v17, v15
	v_mov_b32_e32 v8, 1
	v_sub_u32_e32 v7, v21, v6
	v_and_b32_sdwa v8, v8, v25 dst_sel:DWORD dst_unused:UNUSED_PAD src0_sel:DWORD src1_sel:WORD_1
	v_add_u32_e32 v7, 2, v7
	v_cmp_eq_u32_e32 vcc, 1, v8
	v_cndmask_b32_e32 v6, v7, v6, vcc
	v_lshlrev_b32_e32 v6, 3, v6
	ds_write_b64 v6, v[2:3]
	v_sub_u32_e32 v2, v16, v15
	v_sub_u32_e32 v3, v21, v2
	v_and_b32_e32 v6, 1, v26
	v_add_u32_e32 v3, 3, v3
	v_cmp_eq_u32_e32 vcc, 1, v6
	v_cndmask_b32_e32 v2, v3, v2, vcc
	s_waitcnt vmcnt(0)
	v_add_co_u32_e32 v20, vcc, v10, v15
	v_addc_co_u32_e32 v21, vcc, 0, v11, vcc
	v_add_co_u32_e32 v10, vcc, v20, v14
	v_addc_co_u32_e32 v11, vcc, 0, v21, vcc
	v_mov_b32_e32 v15, s31
	v_sub_co_u32_e32 v22, vcc, s30, v10
	v_subb_co_u32_e32 v23, vcc, v15, v11, vcc
	v_lshlrev_b64 v[22:23], 3, v[22:23]
	v_lshlrev_b32_e32 v2, 3, v2
	v_mov_b32_e32 v15, s27
	v_add_co_u32_e32 v18, vcc, s26, v22
	ds_write_b64 v2, v[4:5]
	s_waitcnt lgkmcnt(0)
	s_barrier
	ds_read2st64_b64 v[6:9], v1 offset1:3
	ds_read2st64_b64 v[2:5], v1 offset0:6 offset1:9
	v_addc_co_u32_e32 v15, vcc, v15, v23, vcc
	v_add_co_u32_e32 v12, vcc, v18, v12
	v_addc_co_u32_e32 v13, vcc, v15, v13, vcc
	v_lshlrev_b64 v[20:21], 3, v[20:21]
	v_mov_b32_e32 v18, s25
	s_and_b64 vcc, exec, s[2:3]
	v_add_co_u32_e64 v15, s[2:3], s24, v20
	v_add_u32_e32 v19, 0xc0, v0
	v_add_u32_e32 v17, 0x180, v0
	;; [unrolled: 1-line block ×3, first 2 shown]
	v_addc_co_u32_e64 v18, s[2:3], v18, v21, s[2:3]
	s_cbranch_vccnz .LBB2130_59
; %bb.58:
	v_cmp_lt_u32_e32 vcc, v0, v14
	v_cndmask_b32_e32 v20, v12, v15, vcc
	v_cndmask_b32_e32 v21, v13, v18, vcc
	v_add_co_u32_e32 v20, vcc, v20, v1
	v_addc_co_u32_e32 v21, vcc, 0, v21, vcc
	v_cmp_lt_u32_e32 vcc, v19, v14
	s_waitcnt lgkmcnt(1)
	global_store_dwordx2 v[20:21], v[6:7], off
	v_cndmask_b32_e32 v20, v12, v15, vcc
	v_cndmask_b32_e32 v21, v13, v18, vcc
	v_add_co_u32_e32 v20, vcc, v20, v1
	v_addc_co_u32_e32 v21, vcc, 0, v21, vcc
	v_cmp_lt_u32_e32 vcc, v17, v14
	global_store_dwordx2 v[20:21], v[8:9], off offset:1536
	v_cndmask_b32_e32 v20, v12, v15, vcc
	v_cndmask_b32_e32 v21, v13, v18, vcc
	v_add_co_u32_e32 v20, vcc, v20, v1
	v_addc_co_u32_e32 v21, vcc, 0, v21, vcc
	s_mov_b64 s[2:3], -1
	s_waitcnt lgkmcnt(0)
	global_store_dwordx2 v[20:21], v[2:3], off offset:3072
	s_cbranch_execz .LBB2130_60
	s_branch .LBB2130_65
.LBB2130_59:
	s_mov_b64 s[2:3], 0
.LBB2130_60:
	v_cmp_gt_u32_e32 vcc, s33, v0
	s_and_saveexec_b64 s[2:3], vcc
	s_cbranch_execnz .LBB2130_70
; %bb.61:
	s_or_b64 exec, exec, s[2:3]
	v_cmp_gt_u32_e32 vcc, s33, v19
	s_and_saveexec_b64 s[2:3], vcc
	s_cbranch_execnz .LBB2130_71
.LBB2130_62:
	s_or_b64 exec, exec, s[2:3]
	v_cmp_gt_u32_e32 vcc, s33, v17
	s_and_saveexec_b64 s[2:3], vcc
	s_cbranch_execz .LBB2130_64
.LBB2130_63:
	v_cmp_lt_u32_e32 vcc, v17, v14
	v_cndmask_b32_e32 v0, v12, v15, vcc
	s_waitcnt lgkmcnt(1)
	v_cndmask_b32_e32 v6, v13, v18, vcc
	v_add_co_u32_e32 v0, vcc, v0, v1
	v_addc_co_u32_e32 v1, vcc, 0, v6, vcc
	s_waitcnt lgkmcnt(0)
	global_store_dwordx2 v[0:1], v[2:3], off offset:3072
.LBB2130_64:
	s_or_b64 exec, exec, s[2:3]
	v_cmp_gt_u32_e64 s[2:3], s33, v16
.LBB2130_65:
	s_and_saveexec_b64 s[4:5], s[2:3]
	s_cbranch_execnz .LBB2130_68
; %bb.66:
	s_or_b64 exec, exec, s[4:5]
	s_and_b64 s[0:1], s[0:1], s[22:23]
	s_and_saveexec_b64 s[2:3], s[0:1]
	s_cbranch_execnz .LBB2130_69
.LBB2130_67:
	s_endpgm
.LBB2130_68:
	v_cmp_lt_u32_e32 vcc, v16, v14
	v_cndmask_b32_e32 v0, v12, v15, vcc
	s_waitcnt lgkmcnt(0)
	v_lshlrev_b32_e32 v2, 3, v16
	v_cndmask_b32_e32 v1, v13, v18, vcc
	v_add_co_u32_e32 v0, vcc, v0, v2
	v_addc_co_u32_e32 v1, vcc, 0, v1, vcc
	global_store_dwordx2 v[0:1], v[4:5], off
	s_or_b64 exec, exec, s[4:5]
	s_and_b64 s[0:1], s[0:1], s[22:23]
	s_and_saveexec_b64 s[2:3], s[0:1]
	s_cbranch_execz .LBB2130_67
.LBB2130_69:
	v_mov_b32_e32 v0, 0
	global_store_dwordx2 v0, v[10:11], s[20:21]
	s_endpgm
.LBB2130_70:
	v_cmp_lt_u32_e32 vcc, v0, v14
	v_cndmask_b32_e32 v20, v12, v15, vcc
	v_cndmask_b32_e32 v0, v13, v18, vcc
	v_add_co_u32_e32 v20, vcc, v20, v1
	v_addc_co_u32_e32 v21, vcc, 0, v0, vcc
	s_waitcnt lgkmcnt(1)
	global_store_dwordx2 v[20:21], v[6:7], off
	s_or_b64 exec, exec, s[2:3]
	v_cmp_gt_u32_e32 vcc, s33, v19
	s_and_saveexec_b64 s[2:3], vcc
	s_cbranch_execz .LBB2130_62
.LBB2130_71:
	v_cmp_lt_u32_e32 vcc, v19, v14
	s_waitcnt lgkmcnt(1)
	v_cndmask_b32_e32 v6, v12, v15, vcc
	v_cndmask_b32_e32 v0, v13, v18, vcc
	v_add_co_u32_e32 v6, vcc, v6, v1
	v_addc_co_u32_e32 v7, vcc, 0, v0, vcc
	global_store_dwordx2 v[6:7], v[8:9], off offset:1536
	s_or_b64 exec, exec, s[2:3]
	v_cmp_gt_u32_e32 vcc, s33, v17
	s_and_saveexec_b64 s[2:3], vcc
	s_cbranch_execnz .LBB2130_63
	s_branch .LBB2130_64
	.section	.rodata,"a",@progbits
	.p2align	6, 0x0
	.amdhsa_kernel _ZN7rocprim17ROCPRIM_400000_NS6detail17trampoline_kernelINS0_14default_configENS1_25partition_config_selectorILNS1_17partition_subalgoE0EyNS0_10empty_typeEbEEZZNS1_14partition_implILS5_0ELb0ES3_jN6thrust23THRUST_200600_302600_NS6detail15normal_iteratorINSA_10device_ptrIyEEEEPS6_SG_NS0_5tupleIJSF_SF_EEENSH_IJSG_SG_EEES6_PlJ7is_evenIyEEEE10hipError_tPvRmT3_T4_T5_T6_T7_T9_mT8_P12ihipStream_tbDpT10_ENKUlT_T0_E_clISt17integral_constantIbLb0EES15_IbLb1EEEEDaS11_S12_EUlS11_E_NS1_11comp_targetILNS1_3genE4ELNS1_11target_archE910ELNS1_3gpuE8ELNS1_3repE0EEENS1_30default_config_static_selectorELNS0_4arch9wavefront6targetE1EEEvT1_
		.amdhsa_group_segment_fixed_size 6344
		.amdhsa_private_segment_fixed_size 0
		.amdhsa_kernarg_size 136
		.amdhsa_user_sgpr_count 6
		.amdhsa_user_sgpr_private_segment_buffer 1
		.amdhsa_user_sgpr_dispatch_ptr 0
		.amdhsa_user_sgpr_queue_ptr 0
		.amdhsa_user_sgpr_kernarg_segment_ptr 1
		.amdhsa_user_sgpr_dispatch_id 0
		.amdhsa_user_sgpr_flat_scratch_init 0
		.amdhsa_user_sgpr_kernarg_preload_length 0
		.amdhsa_user_sgpr_kernarg_preload_offset 0
		.amdhsa_user_sgpr_private_segment_size 0
		.amdhsa_uses_dynamic_stack 0
		.amdhsa_system_sgpr_private_segment_wavefront_offset 0
		.amdhsa_system_sgpr_workgroup_id_x 1
		.amdhsa_system_sgpr_workgroup_id_y 0
		.amdhsa_system_sgpr_workgroup_id_z 0
		.amdhsa_system_sgpr_workgroup_info 0
		.amdhsa_system_vgpr_workitem_id 0
		.amdhsa_next_free_vgpr 47
		.amdhsa_next_free_sgpr 44
		.amdhsa_accum_offset 48
		.amdhsa_reserve_vcc 1
		.amdhsa_reserve_flat_scratch 0
		.amdhsa_float_round_mode_32 0
		.amdhsa_float_round_mode_16_64 0
		.amdhsa_float_denorm_mode_32 3
		.amdhsa_float_denorm_mode_16_64 3
		.amdhsa_dx10_clamp 1
		.amdhsa_ieee_mode 1
		.amdhsa_fp16_overflow 0
		.amdhsa_tg_split 0
		.amdhsa_exception_fp_ieee_invalid_op 0
		.amdhsa_exception_fp_denorm_src 0
		.amdhsa_exception_fp_ieee_div_zero 0
		.amdhsa_exception_fp_ieee_overflow 0
		.amdhsa_exception_fp_ieee_underflow 0
		.amdhsa_exception_fp_ieee_inexact 0
		.amdhsa_exception_int_div_zero 0
	.end_amdhsa_kernel
	.section	.text._ZN7rocprim17ROCPRIM_400000_NS6detail17trampoline_kernelINS0_14default_configENS1_25partition_config_selectorILNS1_17partition_subalgoE0EyNS0_10empty_typeEbEEZZNS1_14partition_implILS5_0ELb0ES3_jN6thrust23THRUST_200600_302600_NS6detail15normal_iteratorINSA_10device_ptrIyEEEEPS6_SG_NS0_5tupleIJSF_SF_EEENSH_IJSG_SG_EEES6_PlJ7is_evenIyEEEE10hipError_tPvRmT3_T4_T5_T6_T7_T9_mT8_P12ihipStream_tbDpT10_ENKUlT_T0_E_clISt17integral_constantIbLb0EES15_IbLb1EEEEDaS11_S12_EUlS11_E_NS1_11comp_targetILNS1_3genE4ELNS1_11target_archE910ELNS1_3gpuE8ELNS1_3repE0EEENS1_30default_config_static_selectorELNS0_4arch9wavefront6targetE1EEEvT1_,"axG",@progbits,_ZN7rocprim17ROCPRIM_400000_NS6detail17trampoline_kernelINS0_14default_configENS1_25partition_config_selectorILNS1_17partition_subalgoE0EyNS0_10empty_typeEbEEZZNS1_14partition_implILS5_0ELb0ES3_jN6thrust23THRUST_200600_302600_NS6detail15normal_iteratorINSA_10device_ptrIyEEEEPS6_SG_NS0_5tupleIJSF_SF_EEENSH_IJSG_SG_EEES6_PlJ7is_evenIyEEEE10hipError_tPvRmT3_T4_T5_T6_T7_T9_mT8_P12ihipStream_tbDpT10_ENKUlT_T0_E_clISt17integral_constantIbLb0EES15_IbLb1EEEEDaS11_S12_EUlS11_E_NS1_11comp_targetILNS1_3genE4ELNS1_11target_archE910ELNS1_3gpuE8ELNS1_3repE0EEENS1_30default_config_static_selectorELNS0_4arch9wavefront6targetE1EEEvT1_,comdat
.Lfunc_end2130:
	.size	_ZN7rocprim17ROCPRIM_400000_NS6detail17trampoline_kernelINS0_14default_configENS1_25partition_config_selectorILNS1_17partition_subalgoE0EyNS0_10empty_typeEbEEZZNS1_14partition_implILS5_0ELb0ES3_jN6thrust23THRUST_200600_302600_NS6detail15normal_iteratorINSA_10device_ptrIyEEEEPS6_SG_NS0_5tupleIJSF_SF_EEENSH_IJSG_SG_EEES6_PlJ7is_evenIyEEEE10hipError_tPvRmT3_T4_T5_T6_T7_T9_mT8_P12ihipStream_tbDpT10_ENKUlT_T0_E_clISt17integral_constantIbLb0EES15_IbLb1EEEEDaS11_S12_EUlS11_E_NS1_11comp_targetILNS1_3genE4ELNS1_11target_archE910ELNS1_3gpuE8ELNS1_3repE0EEENS1_30default_config_static_selectorELNS0_4arch9wavefront6targetE1EEEvT1_, .Lfunc_end2130-_ZN7rocprim17ROCPRIM_400000_NS6detail17trampoline_kernelINS0_14default_configENS1_25partition_config_selectorILNS1_17partition_subalgoE0EyNS0_10empty_typeEbEEZZNS1_14partition_implILS5_0ELb0ES3_jN6thrust23THRUST_200600_302600_NS6detail15normal_iteratorINSA_10device_ptrIyEEEEPS6_SG_NS0_5tupleIJSF_SF_EEENSH_IJSG_SG_EEES6_PlJ7is_evenIyEEEE10hipError_tPvRmT3_T4_T5_T6_T7_T9_mT8_P12ihipStream_tbDpT10_ENKUlT_T0_E_clISt17integral_constantIbLb0EES15_IbLb1EEEEDaS11_S12_EUlS11_E_NS1_11comp_targetILNS1_3genE4ELNS1_11target_archE910ELNS1_3gpuE8ELNS1_3repE0EEENS1_30default_config_static_selectorELNS0_4arch9wavefront6targetE1EEEvT1_
                                        ; -- End function
	.section	.AMDGPU.csdata,"",@progbits
; Kernel info:
; codeLenInByte = 3684
; NumSgprs: 48
; NumVgprs: 47
; NumAgprs: 0
; TotalNumVgprs: 47
; ScratchSize: 0
; MemoryBound: 0
; FloatMode: 240
; IeeeMode: 1
; LDSByteSize: 6344 bytes/workgroup (compile time only)
; SGPRBlocks: 5
; VGPRBlocks: 5
; NumSGPRsForWavesPerEU: 48
; NumVGPRsForWavesPerEU: 47
; AccumOffset: 48
; Occupancy: 8
; WaveLimiterHint : 1
; COMPUTE_PGM_RSRC2:SCRATCH_EN: 0
; COMPUTE_PGM_RSRC2:USER_SGPR: 6
; COMPUTE_PGM_RSRC2:TRAP_HANDLER: 0
; COMPUTE_PGM_RSRC2:TGID_X_EN: 1
; COMPUTE_PGM_RSRC2:TGID_Y_EN: 0
; COMPUTE_PGM_RSRC2:TGID_Z_EN: 0
; COMPUTE_PGM_RSRC2:TIDIG_COMP_CNT: 0
; COMPUTE_PGM_RSRC3_GFX90A:ACCUM_OFFSET: 11
; COMPUTE_PGM_RSRC3_GFX90A:TG_SPLIT: 0
	.section	.text._ZN7rocprim17ROCPRIM_400000_NS6detail17trampoline_kernelINS0_14default_configENS1_25partition_config_selectorILNS1_17partition_subalgoE0EyNS0_10empty_typeEbEEZZNS1_14partition_implILS5_0ELb0ES3_jN6thrust23THRUST_200600_302600_NS6detail15normal_iteratorINSA_10device_ptrIyEEEEPS6_SG_NS0_5tupleIJSF_SF_EEENSH_IJSG_SG_EEES6_PlJ7is_evenIyEEEE10hipError_tPvRmT3_T4_T5_T6_T7_T9_mT8_P12ihipStream_tbDpT10_ENKUlT_T0_E_clISt17integral_constantIbLb0EES15_IbLb1EEEEDaS11_S12_EUlS11_E_NS1_11comp_targetILNS1_3genE3ELNS1_11target_archE908ELNS1_3gpuE7ELNS1_3repE0EEENS1_30default_config_static_selectorELNS0_4arch9wavefront6targetE1EEEvT1_,"axG",@progbits,_ZN7rocprim17ROCPRIM_400000_NS6detail17trampoline_kernelINS0_14default_configENS1_25partition_config_selectorILNS1_17partition_subalgoE0EyNS0_10empty_typeEbEEZZNS1_14partition_implILS5_0ELb0ES3_jN6thrust23THRUST_200600_302600_NS6detail15normal_iteratorINSA_10device_ptrIyEEEEPS6_SG_NS0_5tupleIJSF_SF_EEENSH_IJSG_SG_EEES6_PlJ7is_evenIyEEEE10hipError_tPvRmT3_T4_T5_T6_T7_T9_mT8_P12ihipStream_tbDpT10_ENKUlT_T0_E_clISt17integral_constantIbLb0EES15_IbLb1EEEEDaS11_S12_EUlS11_E_NS1_11comp_targetILNS1_3genE3ELNS1_11target_archE908ELNS1_3gpuE7ELNS1_3repE0EEENS1_30default_config_static_selectorELNS0_4arch9wavefront6targetE1EEEvT1_,comdat
	.protected	_ZN7rocprim17ROCPRIM_400000_NS6detail17trampoline_kernelINS0_14default_configENS1_25partition_config_selectorILNS1_17partition_subalgoE0EyNS0_10empty_typeEbEEZZNS1_14partition_implILS5_0ELb0ES3_jN6thrust23THRUST_200600_302600_NS6detail15normal_iteratorINSA_10device_ptrIyEEEEPS6_SG_NS0_5tupleIJSF_SF_EEENSH_IJSG_SG_EEES6_PlJ7is_evenIyEEEE10hipError_tPvRmT3_T4_T5_T6_T7_T9_mT8_P12ihipStream_tbDpT10_ENKUlT_T0_E_clISt17integral_constantIbLb0EES15_IbLb1EEEEDaS11_S12_EUlS11_E_NS1_11comp_targetILNS1_3genE3ELNS1_11target_archE908ELNS1_3gpuE7ELNS1_3repE0EEENS1_30default_config_static_selectorELNS0_4arch9wavefront6targetE1EEEvT1_ ; -- Begin function _ZN7rocprim17ROCPRIM_400000_NS6detail17trampoline_kernelINS0_14default_configENS1_25partition_config_selectorILNS1_17partition_subalgoE0EyNS0_10empty_typeEbEEZZNS1_14partition_implILS5_0ELb0ES3_jN6thrust23THRUST_200600_302600_NS6detail15normal_iteratorINSA_10device_ptrIyEEEEPS6_SG_NS0_5tupleIJSF_SF_EEENSH_IJSG_SG_EEES6_PlJ7is_evenIyEEEE10hipError_tPvRmT3_T4_T5_T6_T7_T9_mT8_P12ihipStream_tbDpT10_ENKUlT_T0_E_clISt17integral_constantIbLb0EES15_IbLb1EEEEDaS11_S12_EUlS11_E_NS1_11comp_targetILNS1_3genE3ELNS1_11target_archE908ELNS1_3gpuE7ELNS1_3repE0EEENS1_30default_config_static_selectorELNS0_4arch9wavefront6targetE1EEEvT1_
	.globl	_ZN7rocprim17ROCPRIM_400000_NS6detail17trampoline_kernelINS0_14default_configENS1_25partition_config_selectorILNS1_17partition_subalgoE0EyNS0_10empty_typeEbEEZZNS1_14partition_implILS5_0ELb0ES3_jN6thrust23THRUST_200600_302600_NS6detail15normal_iteratorINSA_10device_ptrIyEEEEPS6_SG_NS0_5tupleIJSF_SF_EEENSH_IJSG_SG_EEES6_PlJ7is_evenIyEEEE10hipError_tPvRmT3_T4_T5_T6_T7_T9_mT8_P12ihipStream_tbDpT10_ENKUlT_T0_E_clISt17integral_constantIbLb0EES15_IbLb1EEEEDaS11_S12_EUlS11_E_NS1_11comp_targetILNS1_3genE3ELNS1_11target_archE908ELNS1_3gpuE7ELNS1_3repE0EEENS1_30default_config_static_selectorELNS0_4arch9wavefront6targetE1EEEvT1_
	.p2align	8
	.type	_ZN7rocprim17ROCPRIM_400000_NS6detail17trampoline_kernelINS0_14default_configENS1_25partition_config_selectorILNS1_17partition_subalgoE0EyNS0_10empty_typeEbEEZZNS1_14partition_implILS5_0ELb0ES3_jN6thrust23THRUST_200600_302600_NS6detail15normal_iteratorINSA_10device_ptrIyEEEEPS6_SG_NS0_5tupleIJSF_SF_EEENSH_IJSG_SG_EEES6_PlJ7is_evenIyEEEE10hipError_tPvRmT3_T4_T5_T6_T7_T9_mT8_P12ihipStream_tbDpT10_ENKUlT_T0_E_clISt17integral_constantIbLb0EES15_IbLb1EEEEDaS11_S12_EUlS11_E_NS1_11comp_targetILNS1_3genE3ELNS1_11target_archE908ELNS1_3gpuE7ELNS1_3repE0EEENS1_30default_config_static_selectorELNS0_4arch9wavefront6targetE1EEEvT1_,@function
_ZN7rocprim17ROCPRIM_400000_NS6detail17trampoline_kernelINS0_14default_configENS1_25partition_config_selectorILNS1_17partition_subalgoE0EyNS0_10empty_typeEbEEZZNS1_14partition_implILS5_0ELb0ES3_jN6thrust23THRUST_200600_302600_NS6detail15normal_iteratorINSA_10device_ptrIyEEEEPS6_SG_NS0_5tupleIJSF_SF_EEENSH_IJSG_SG_EEES6_PlJ7is_evenIyEEEE10hipError_tPvRmT3_T4_T5_T6_T7_T9_mT8_P12ihipStream_tbDpT10_ENKUlT_T0_E_clISt17integral_constantIbLb0EES15_IbLb1EEEEDaS11_S12_EUlS11_E_NS1_11comp_targetILNS1_3genE3ELNS1_11target_archE908ELNS1_3gpuE7ELNS1_3repE0EEENS1_30default_config_static_selectorELNS0_4arch9wavefront6targetE1EEEvT1_: ; @_ZN7rocprim17ROCPRIM_400000_NS6detail17trampoline_kernelINS0_14default_configENS1_25partition_config_selectorILNS1_17partition_subalgoE0EyNS0_10empty_typeEbEEZZNS1_14partition_implILS5_0ELb0ES3_jN6thrust23THRUST_200600_302600_NS6detail15normal_iteratorINSA_10device_ptrIyEEEEPS6_SG_NS0_5tupleIJSF_SF_EEENSH_IJSG_SG_EEES6_PlJ7is_evenIyEEEE10hipError_tPvRmT3_T4_T5_T6_T7_T9_mT8_P12ihipStream_tbDpT10_ENKUlT_T0_E_clISt17integral_constantIbLb0EES15_IbLb1EEEEDaS11_S12_EUlS11_E_NS1_11comp_targetILNS1_3genE3ELNS1_11target_archE908ELNS1_3gpuE7ELNS1_3repE0EEENS1_30default_config_static_selectorELNS0_4arch9wavefront6targetE1EEEvT1_
; %bb.0:
	.section	.rodata,"a",@progbits
	.p2align	6, 0x0
	.amdhsa_kernel _ZN7rocprim17ROCPRIM_400000_NS6detail17trampoline_kernelINS0_14default_configENS1_25partition_config_selectorILNS1_17partition_subalgoE0EyNS0_10empty_typeEbEEZZNS1_14partition_implILS5_0ELb0ES3_jN6thrust23THRUST_200600_302600_NS6detail15normal_iteratorINSA_10device_ptrIyEEEEPS6_SG_NS0_5tupleIJSF_SF_EEENSH_IJSG_SG_EEES6_PlJ7is_evenIyEEEE10hipError_tPvRmT3_T4_T5_T6_T7_T9_mT8_P12ihipStream_tbDpT10_ENKUlT_T0_E_clISt17integral_constantIbLb0EES15_IbLb1EEEEDaS11_S12_EUlS11_E_NS1_11comp_targetILNS1_3genE3ELNS1_11target_archE908ELNS1_3gpuE7ELNS1_3repE0EEENS1_30default_config_static_selectorELNS0_4arch9wavefront6targetE1EEEvT1_
		.amdhsa_group_segment_fixed_size 0
		.amdhsa_private_segment_fixed_size 0
		.amdhsa_kernarg_size 136
		.amdhsa_user_sgpr_count 6
		.amdhsa_user_sgpr_private_segment_buffer 1
		.amdhsa_user_sgpr_dispatch_ptr 0
		.amdhsa_user_sgpr_queue_ptr 0
		.amdhsa_user_sgpr_kernarg_segment_ptr 1
		.amdhsa_user_sgpr_dispatch_id 0
		.amdhsa_user_sgpr_flat_scratch_init 0
		.amdhsa_user_sgpr_kernarg_preload_length 0
		.amdhsa_user_sgpr_kernarg_preload_offset 0
		.amdhsa_user_sgpr_private_segment_size 0
		.amdhsa_uses_dynamic_stack 0
		.amdhsa_system_sgpr_private_segment_wavefront_offset 0
		.amdhsa_system_sgpr_workgroup_id_x 1
		.amdhsa_system_sgpr_workgroup_id_y 0
		.amdhsa_system_sgpr_workgroup_id_z 0
		.amdhsa_system_sgpr_workgroup_info 0
		.amdhsa_system_vgpr_workitem_id 0
		.amdhsa_next_free_vgpr 1
		.amdhsa_next_free_sgpr 0
		.amdhsa_accum_offset 4
		.amdhsa_reserve_vcc 0
		.amdhsa_reserve_flat_scratch 0
		.amdhsa_float_round_mode_32 0
		.amdhsa_float_round_mode_16_64 0
		.amdhsa_float_denorm_mode_32 3
		.amdhsa_float_denorm_mode_16_64 3
		.amdhsa_dx10_clamp 1
		.amdhsa_ieee_mode 1
		.amdhsa_fp16_overflow 0
		.amdhsa_tg_split 0
		.amdhsa_exception_fp_ieee_invalid_op 0
		.amdhsa_exception_fp_denorm_src 0
		.amdhsa_exception_fp_ieee_div_zero 0
		.amdhsa_exception_fp_ieee_overflow 0
		.amdhsa_exception_fp_ieee_underflow 0
		.amdhsa_exception_fp_ieee_inexact 0
		.amdhsa_exception_int_div_zero 0
	.end_amdhsa_kernel
	.section	.text._ZN7rocprim17ROCPRIM_400000_NS6detail17trampoline_kernelINS0_14default_configENS1_25partition_config_selectorILNS1_17partition_subalgoE0EyNS0_10empty_typeEbEEZZNS1_14partition_implILS5_0ELb0ES3_jN6thrust23THRUST_200600_302600_NS6detail15normal_iteratorINSA_10device_ptrIyEEEEPS6_SG_NS0_5tupleIJSF_SF_EEENSH_IJSG_SG_EEES6_PlJ7is_evenIyEEEE10hipError_tPvRmT3_T4_T5_T6_T7_T9_mT8_P12ihipStream_tbDpT10_ENKUlT_T0_E_clISt17integral_constantIbLb0EES15_IbLb1EEEEDaS11_S12_EUlS11_E_NS1_11comp_targetILNS1_3genE3ELNS1_11target_archE908ELNS1_3gpuE7ELNS1_3repE0EEENS1_30default_config_static_selectorELNS0_4arch9wavefront6targetE1EEEvT1_,"axG",@progbits,_ZN7rocprim17ROCPRIM_400000_NS6detail17trampoline_kernelINS0_14default_configENS1_25partition_config_selectorILNS1_17partition_subalgoE0EyNS0_10empty_typeEbEEZZNS1_14partition_implILS5_0ELb0ES3_jN6thrust23THRUST_200600_302600_NS6detail15normal_iteratorINSA_10device_ptrIyEEEEPS6_SG_NS0_5tupleIJSF_SF_EEENSH_IJSG_SG_EEES6_PlJ7is_evenIyEEEE10hipError_tPvRmT3_T4_T5_T6_T7_T9_mT8_P12ihipStream_tbDpT10_ENKUlT_T0_E_clISt17integral_constantIbLb0EES15_IbLb1EEEEDaS11_S12_EUlS11_E_NS1_11comp_targetILNS1_3genE3ELNS1_11target_archE908ELNS1_3gpuE7ELNS1_3repE0EEENS1_30default_config_static_selectorELNS0_4arch9wavefront6targetE1EEEvT1_,comdat
.Lfunc_end2131:
	.size	_ZN7rocprim17ROCPRIM_400000_NS6detail17trampoline_kernelINS0_14default_configENS1_25partition_config_selectorILNS1_17partition_subalgoE0EyNS0_10empty_typeEbEEZZNS1_14partition_implILS5_0ELb0ES3_jN6thrust23THRUST_200600_302600_NS6detail15normal_iteratorINSA_10device_ptrIyEEEEPS6_SG_NS0_5tupleIJSF_SF_EEENSH_IJSG_SG_EEES6_PlJ7is_evenIyEEEE10hipError_tPvRmT3_T4_T5_T6_T7_T9_mT8_P12ihipStream_tbDpT10_ENKUlT_T0_E_clISt17integral_constantIbLb0EES15_IbLb1EEEEDaS11_S12_EUlS11_E_NS1_11comp_targetILNS1_3genE3ELNS1_11target_archE908ELNS1_3gpuE7ELNS1_3repE0EEENS1_30default_config_static_selectorELNS0_4arch9wavefront6targetE1EEEvT1_, .Lfunc_end2131-_ZN7rocprim17ROCPRIM_400000_NS6detail17trampoline_kernelINS0_14default_configENS1_25partition_config_selectorILNS1_17partition_subalgoE0EyNS0_10empty_typeEbEEZZNS1_14partition_implILS5_0ELb0ES3_jN6thrust23THRUST_200600_302600_NS6detail15normal_iteratorINSA_10device_ptrIyEEEEPS6_SG_NS0_5tupleIJSF_SF_EEENSH_IJSG_SG_EEES6_PlJ7is_evenIyEEEE10hipError_tPvRmT3_T4_T5_T6_T7_T9_mT8_P12ihipStream_tbDpT10_ENKUlT_T0_E_clISt17integral_constantIbLb0EES15_IbLb1EEEEDaS11_S12_EUlS11_E_NS1_11comp_targetILNS1_3genE3ELNS1_11target_archE908ELNS1_3gpuE7ELNS1_3repE0EEENS1_30default_config_static_selectorELNS0_4arch9wavefront6targetE1EEEvT1_
                                        ; -- End function
	.section	.AMDGPU.csdata,"",@progbits
; Kernel info:
; codeLenInByte = 0
; NumSgprs: 4
; NumVgprs: 0
; NumAgprs: 0
; TotalNumVgprs: 0
; ScratchSize: 0
; MemoryBound: 0
; FloatMode: 240
; IeeeMode: 1
; LDSByteSize: 0 bytes/workgroup (compile time only)
; SGPRBlocks: 0
; VGPRBlocks: 0
; NumSGPRsForWavesPerEU: 4
; NumVGPRsForWavesPerEU: 1
; AccumOffset: 4
; Occupancy: 8
; WaveLimiterHint : 0
; COMPUTE_PGM_RSRC2:SCRATCH_EN: 0
; COMPUTE_PGM_RSRC2:USER_SGPR: 6
; COMPUTE_PGM_RSRC2:TRAP_HANDLER: 0
; COMPUTE_PGM_RSRC2:TGID_X_EN: 1
; COMPUTE_PGM_RSRC2:TGID_Y_EN: 0
; COMPUTE_PGM_RSRC2:TGID_Z_EN: 0
; COMPUTE_PGM_RSRC2:TIDIG_COMP_CNT: 0
; COMPUTE_PGM_RSRC3_GFX90A:ACCUM_OFFSET: 0
; COMPUTE_PGM_RSRC3_GFX90A:TG_SPLIT: 0
	.section	.text._ZN7rocprim17ROCPRIM_400000_NS6detail17trampoline_kernelINS0_14default_configENS1_25partition_config_selectorILNS1_17partition_subalgoE0EyNS0_10empty_typeEbEEZZNS1_14partition_implILS5_0ELb0ES3_jN6thrust23THRUST_200600_302600_NS6detail15normal_iteratorINSA_10device_ptrIyEEEEPS6_SG_NS0_5tupleIJSF_SF_EEENSH_IJSG_SG_EEES6_PlJ7is_evenIyEEEE10hipError_tPvRmT3_T4_T5_T6_T7_T9_mT8_P12ihipStream_tbDpT10_ENKUlT_T0_E_clISt17integral_constantIbLb0EES15_IbLb1EEEEDaS11_S12_EUlS11_E_NS1_11comp_targetILNS1_3genE2ELNS1_11target_archE906ELNS1_3gpuE6ELNS1_3repE0EEENS1_30default_config_static_selectorELNS0_4arch9wavefront6targetE1EEEvT1_,"axG",@progbits,_ZN7rocprim17ROCPRIM_400000_NS6detail17trampoline_kernelINS0_14default_configENS1_25partition_config_selectorILNS1_17partition_subalgoE0EyNS0_10empty_typeEbEEZZNS1_14partition_implILS5_0ELb0ES3_jN6thrust23THRUST_200600_302600_NS6detail15normal_iteratorINSA_10device_ptrIyEEEEPS6_SG_NS0_5tupleIJSF_SF_EEENSH_IJSG_SG_EEES6_PlJ7is_evenIyEEEE10hipError_tPvRmT3_T4_T5_T6_T7_T9_mT8_P12ihipStream_tbDpT10_ENKUlT_T0_E_clISt17integral_constantIbLb0EES15_IbLb1EEEEDaS11_S12_EUlS11_E_NS1_11comp_targetILNS1_3genE2ELNS1_11target_archE906ELNS1_3gpuE6ELNS1_3repE0EEENS1_30default_config_static_selectorELNS0_4arch9wavefront6targetE1EEEvT1_,comdat
	.protected	_ZN7rocprim17ROCPRIM_400000_NS6detail17trampoline_kernelINS0_14default_configENS1_25partition_config_selectorILNS1_17partition_subalgoE0EyNS0_10empty_typeEbEEZZNS1_14partition_implILS5_0ELb0ES3_jN6thrust23THRUST_200600_302600_NS6detail15normal_iteratorINSA_10device_ptrIyEEEEPS6_SG_NS0_5tupleIJSF_SF_EEENSH_IJSG_SG_EEES6_PlJ7is_evenIyEEEE10hipError_tPvRmT3_T4_T5_T6_T7_T9_mT8_P12ihipStream_tbDpT10_ENKUlT_T0_E_clISt17integral_constantIbLb0EES15_IbLb1EEEEDaS11_S12_EUlS11_E_NS1_11comp_targetILNS1_3genE2ELNS1_11target_archE906ELNS1_3gpuE6ELNS1_3repE0EEENS1_30default_config_static_selectorELNS0_4arch9wavefront6targetE1EEEvT1_ ; -- Begin function _ZN7rocprim17ROCPRIM_400000_NS6detail17trampoline_kernelINS0_14default_configENS1_25partition_config_selectorILNS1_17partition_subalgoE0EyNS0_10empty_typeEbEEZZNS1_14partition_implILS5_0ELb0ES3_jN6thrust23THRUST_200600_302600_NS6detail15normal_iteratorINSA_10device_ptrIyEEEEPS6_SG_NS0_5tupleIJSF_SF_EEENSH_IJSG_SG_EEES6_PlJ7is_evenIyEEEE10hipError_tPvRmT3_T4_T5_T6_T7_T9_mT8_P12ihipStream_tbDpT10_ENKUlT_T0_E_clISt17integral_constantIbLb0EES15_IbLb1EEEEDaS11_S12_EUlS11_E_NS1_11comp_targetILNS1_3genE2ELNS1_11target_archE906ELNS1_3gpuE6ELNS1_3repE0EEENS1_30default_config_static_selectorELNS0_4arch9wavefront6targetE1EEEvT1_
	.globl	_ZN7rocprim17ROCPRIM_400000_NS6detail17trampoline_kernelINS0_14default_configENS1_25partition_config_selectorILNS1_17partition_subalgoE0EyNS0_10empty_typeEbEEZZNS1_14partition_implILS5_0ELb0ES3_jN6thrust23THRUST_200600_302600_NS6detail15normal_iteratorINSA_10device_ptrIyEEEEPS6_SG_NS0_5tupleIJSF_SF_EEENSH_IJSG_SG_EEES6_PlJ7is_evenIyEEEE10hipError_tPvRmT3_T4_T5_T6_T7_T9_mT8_P12ihipStream_tbDpT10_ENKUlT_T0_E_clISt17integral_constantIbLb0EES15_IbLb1EEEEDaS11_S12_EUlS11_E_NS1_11comp_targetILNS1_3genE2ELNS1_11target_archE906ELNS1_3gpuE6ELNS1_3repE0EEENS1_30default_config_static_selectorELNS0_4arch9wavefront6targetE1EEEvT1_
	.p2align	8
	.type	_ZN7rocprim17ROCPRIM_400000_NS6detail17trampoline_kernelINS0_14default_configENS1_25partition_config_selectorILNS1_17partition_subalgoE0EyNS0_10empty_typeEbEEZZNS1_14partition_implILS5_0ELb0ES3_jN6thrust23THRUST_200600_302600_NS6detail15normal_iteratorINSA_10device_ptrIyEEEEPS6_SG_NS0_5tupleIJSF_SF_EEENSH_IJSG_SG_EEES6_PlJ7is_evenIyEEEE10hipError_tPvRmT3_T4_T5_T6_T7_T9_mT8_P12ihipStream_tbDpT10_ENKUlT_T0_E_clISt17integral_constantIbLb0EES15_IbLb1EEEEDaS11_S12_EUlS11_E_NS1_11comp_targetILNS1_3genE2ELNS1_11target_archE906ELNS1_3gpuE6ELNS1_3repE0EEENS1_30default_config_static_selectorELNS0_4arch9wavefront6targetE1EEEvT1_,@function
_ZN7rocprim17ROCPRIM_400000_NS6detail17trampoline_kernelINS0_14default_configENS1_25partition_config_selectorILNS1_17partition_subalgoE0EyNS0_10empty_typeEbEEZZNS1_14partition_implILS5_0ELb0ES3_jN6thrust23THRUST_200600_302600_NS6detail15normal_iteratorINSA_10device_ptrIyEEEEPS6_SG_NS0_5tupleIJSF_SF_EEENSH_IJSG_SG_EEES6_PlJ7is_evenIyEEEE10hipError_tPvRmT3_T4_T5_T6_T7_T9_mT8_P12ihipStream_tbDpT10_ENKUlT_T0_E_clISt17integral_constantIbLb0EES15_IbLb1EEEEDaS11_S12_EUlS11_E_NS1_11comp_targetILNS1_3genE2ELNS1_11target_archE906ELNS1_3gpuE6ELNS1_3repE0EEENS1_30default_config_static_selectorELNS0_4arch9wavefront6targetE1EEEvT1_: ; @_ZN7rocprim17ROCPRIM_400000_NS6detail17trampoline_kernelINS0_14default_configENS1_25partition_config_selectorILNS1_17partition_subalgoE0EyNS0_10empty_typeEbEEZZNS1_14partition_implILS5_0ELb0ES3_jN6thrust23THRUST_200600_302600_NS6detail15normal_iteratorINSA_10device_ptrIyEEEEPS6_SG_NS0_5tupleIJSF_SF_EEENSH_IJSG_SG_EEES6_PlJ7is_evenIyEEEE10hipError_tPvRmT3_T4_T5_T6_T7_T9_mT8_P12ihipStream_tbDpT10_ENKUlT_T0_E_clISt17integral_constantIbLb0EES15_IbLb1EEEEDaS11_S12_EUlS11_E_NS1_11comp_targetILNS1_3genE2ELNS1_11target_archE906ELNS1_3gpuE6ELNS1_3repE0EEENS1_30default_config_static_selectorELNS0_4arch9wavefront6targetE1EEEvT1_
; %bb.0:
	.section	.rodata,"a",@progbits
	.p2align	6, 0x0
	.amdhsa_kernel _ZN7rocprim17ROCPRIM_400000_NS6detail17trampoline_kernelINS0_14default_configENS1_25partition_config_selectorILNS1_17partition_subalgoE0EyNS0_10empty_typeEbEEZZNS1_14partition_implILS5_0ELb0ES3_jN6thrust23THRUST_200600_302600_NS6detail15normal_iteratorINSA_10device_ptrIyEEEEPS6_SG_NS0_5tupleIJSF_SF_EEENSH_IJSG_SG_EEES6_PlJ7is_evenIyEEEE10hipError_tPvRmT3_T4_T5_T6_T7_T9_mT8_P12ihipStream_tbDpT10_ENKUlT_T0_E_clISt17integral_constantIbLb0EES15_IbLb1EEEEDaS11_S12_EUlS11_E_NS1_11comp_targetILNS1_3genE2ELNS1_11target_archE906ELNS1_3gpuE6ELNS1_3repE0EEENS1_30default_config_static_selectorELNS0_4arch9wavefront6targetE1EEEvT1_
		.amdhsa_group_segment_fixed_size 0
		.amdhsa_private_segment_fixed_size 0
		.amdhsa_kernarg_size 136
		.amdhsa_user_sgpr_count 6
		.amdhsa_user_sgpr_private_segment_buffer 1
		.amdhsa_user_sgpr_dispatch_ptr 0
		.amdhsa_user_sgpr_queue_ptr 0
		.amdhsa_user_sgpr_kernarg_segment_ptr 1
		.amdhsa_user_sgpr_dispatch_id 0
		.amdhsa_user_sgpr_flat_scratch_init 0
		.amdhsa_user_sgpr_kernarg_preload_length 0
		.amdhsa_user_sgpr_kernarg_preload_offset 0
		.amdhsa_user_sgpr_private_segment_size 0
		.amdhsa_uses_dynamic_stack 0
		.amdhsa_system_sgpr_private_segment_wavefront_offset 0
		.amdhsa_system_sgpr_workgroup_id_x 1
		.amdhsa_system_sgpr_workgroup_id_y 0
		.amdhsa_system_sgpr_workgroup_id_z 0
		.amdhsa_system_sgpr_workgroup_info 0
		.amdhsa_system_vgpr_workitem_id 0
		.amdhsa_next_free_vgpr 1
		.amdhsa_next_free_sgpr 0
		.amdhsa_accum_offset 4
		.amdhsa_reserve_vcc 0
		.amdhsa_reserve_flat_scratch 0
		.amdhsa_float_round_mode_32 0
		.amdhsa_float_round_mode_16_64 0
		.amdhsa_float_denorm_mode_32 3
		.amdhsa_float_denorm_mode_16_64 3
		.amdhsa_dx10_clamp 1
		.amdhsa_ieee_mode 1
		.amdhsa_fp16_overflow 0
		.amdhsa_tg_split 0
		.amdhsa_exception_fp_ieee_invalid_op 0
		.amdhsa_exception_fp_denorm_src 0
		.amdhsa_exception_fp_ieee_div_zero 0
		.amdhsa_exception_fp_ieee_overflow 0
		.amdhsa_exception_fp_ieee_underflow 0
		.amdhsa_exception_fp_ieee_inexact 0
		.amdhsa_exception_int_div_zero 0
	.end_amdhsa_kernel
	.section	.text._ZN7rocprim17ROCPRIM_400000_NS6detail17trampoline_kernelINS0_14default_configENS1_25partition_config_selectorILNS1_17partition_subalgoE0EyNS0_10empty_typeEbEEZZNS1_14partition_implILS5_0ELb0ES3_jN6thrust23THRUST_200600_302600_NS6detail15normal_iteratorINSA_10device_ptrIyEEEEPS6_SG_NS0_5tupleIJSF_SF_EEENSH_IJSG_SG_EEES6_PlJ7is_evenIyEEEE10hipError_tPvRmT3_T4_T5_T6_T7_T9_mT8_P12ihipStream_tbDpT10_ENKUlT_T0_E_clISt17integral_constantIbLb0EES15_IbLb1EEEEDaS11_S12_EUlS11_E_NS1_11comp_targetILNS1_3genE2ELNS1_11target_archE906ELNS1_3gpuE6ELNS1_3repE0EEENS1_30default_config_static_selectorELNS0_4arch9wavefront6targetE1EEEvT1_,"axG",@progbits,_ZN7rocprim17ROCPRIM_400000_NS6detail17trampoline_kernelINS0_14default_configENS1_25partition_config_selectorILNS1_17partition_subalgoE0EyNS0_10empty_typeEbEEZZNS1_14partition_implILS5_0ELb0ES3_jN6thrust23THRUST_200600_302600_NS6detail15normal_iteratorINSA_10device_ptrIyEEEEPS6_SG_NS0_5tupleIJSF_SF_EEENSH_IJSG_SG_EEES6_PlJ7is_evenIyEEEE10hipError_tPvRmT3_T4_T5_T6_T7_T9_mT8_P12ihipStream_tbDpT10_ENKUlT_T0_E_clISt17integral_constantIbLb0EES15_IbLb1EEEEDaS11_S12_EUlS11_E_NS1_11comp_targetILNS1_3genE2ELNS1_11target_archE906ELNS1_3gpuE6ELNS1_3repE0EEENS1_30default_config_static_selectorELNS0_4arch9wavefront6targetE1EEEvT1_,comdat
.Lfunc_end2132:
	.size	_ZN7rocprim17ROCPRIM_400000_NS6detail17trampoline_kernelINS0_14default_configENS1_25partition_config_selectorILNS1_17partition_subalgoE0EyNS0_10empty_typeEbEEZZNS1_14partition_implILS5_0ELb0ES3_jN6thrust23THRUST_200600_302600_NS6detail15normal_iteratorINSA_10device_ptrIyEEEEPS6_SG_NS0_5tupleIJSF_SF_EEENSH_IJSG_SG_EEES6_PlJ7is_evenIyEEEE10hipError_tPvRmT3_T4_T5_T6_T7_T9_mT8_P12ihipStream_tbDpT10_ENKUlT_T0_E_clISt17integral_constantIbLb0EES15_IbLb1EEEEDaS11_S12_EUlS11_E_NS1_11comp_targetILNS1_3genE2ELNS1_11target_archE906ELNS1_3gpuE6ELNS1_3repE0EEENS1_30default_config_static_selectorELNS0_4arch9wavefront6targetE1EEEvT1_, .Lfunc_end2132-_ZN7rocprim17ROCPRIM_400000_NS6detail17trampoline_kernelINS0_14default_configENS1_25partition_config_selectorILNS1_17partition_subalgoE0EyNS0_10empty_typeEbEEZZNS1_14partition_implILS5_0ELb0ES3_jN6thrust23THRUST_200600_302600_NS6detail15normal_iteratorINSA_10device_ptrIyEEEEPS6_SG_NS0_5tupleIJSF_SF_EEENSH_IJSG_SG_EEES6_PlJ7is_evenIyEEEE10hipError_tPvRmT3_T4_T5_T6_T7_T9_mT8_P12ihipStream_tbDpT10_ENKUlT_T0_E_clISt17integral_constantIbLb0EES15_IbLb1EEEEDaS11_S12_EUlS11_E_NS1_11comp_targetILNS1_3genE2ELNS1_11target_archE906ELNS1_3gpuE6ELNS1_3repE0EEENS1_30default_config_static_selectorELNS0_4arch9wavefront6targetE1EEEvT1_
                                        ; -- End function
	.section	.AMDGPU.csdata,"",@progbits
; Kernel info:
; codeLenInByte = 0
; NumSgprs: 4
; NumVgprs: 0
; NumAgprs: 0
; TotalNumVgprs: 0
; ScratchSize: 0
; MemoryBound: 0
; FloatMode: 240
; IeeeMode: 1
; LDSByteSize: 0 bytes/workgroup (compile time only)
; SGPRBlocks: 0
; VGPRBlocks: 0
; NumSGPRsForWavesPerEU: 4
; NumVGPRsForWavesPerEU: 1
; AccumOffset: 4
; Occupancy: 8
; WaveLimiterHint : 0
; COMPUTE_PGM_RSRC2:SCRATCH_EN: 0
; COMPUTE_PGM_RSRC2:USER_SGPR: 6
; COMPUTE_PGM_RSRC2:TRAP_HANDLER: 0
; COMPUTE_PGM_RSRC2:TGID_X_EN: 1
; COMPUTE_PGM_RSRC2:TGID_Y_EN: 0
; COMPUTE_PGM_RSRC2:TGID_Z_EN: 0
; COMPUTE_PGM_RSRC2:TIDIG_COMP_CNT: 0
; COMPUTE_PGM_RSRC3_GFX90A:ACCUM_OFFSET: 0
; COMPUTE_PGM_RSRC3_GFX90A:TG_SPLIT: 0
	.section	.text._ZN7rocprim17ROCPRIM_400000_NS6detail17trampoline_kernelINS0_14default_configENS1_25partition_config_selectorILNS1_17partition_subalgoE0EyNS0_10empty_typeEbEEZZNS1_14partition_implILS5_0ELb0ES3_jN6thrust23THRUST_200600_302600_NS6detail15normal_iteratorINSA_10device_ptrIyEEEEPS6_SG_NS0_5tupleIJSF_SF_EEENSH_IJSG_SG_EEES6_PlJ7is_evenIyEEEE10hipError_tPvRmT3_T4_T5_T6_T7_T9_mT8_P12ihipStream_tbDpT10_ENKUlT_T0_E_clISt17integral_constantIbLb0EES15_IbLb1EEEEDaS11_S12_EUlS11_E_NS1_11comp_targetILNS1_3genE10ELNS1_11target_archE1200ELNS1_3gpuE4ELNS1_3repE0EEENS1_30default_config_static_selectorELNS0_4arch9wavefront6targetE1EEEvT1_,"axG",@progbits,_ZN7rocprim17ROCPRIM_400000_NS6detail17trampoline_kernelINS0_14default_configENS1_25partition_config_selectorILNS1_17partition_subalgoE0EyNS0_10empty_typeEbEEZZNS1_14partition_implILS5_0ELb0ES3_jN6thrust23THRUST_200600_302600_NS6detail15normal_iteratorINSA_10device_ptrIyEEEEPS6_SG_NS0_5tupleIJSF_SF_EEENSH_IJSG_SG_EEES6_PlJ7is_evenIyEEEE10hipError_tPvRmT3_T4_T5_T6_T7_T9_mT8_P12ihipStream_tbDpT10_ENKUlT_T0_E_clISt17integral_constantIbLb0EES15_IbLb1EEEEDaS11_S12_EUlS11_E_NS1_11comp_targetILNS1_3genE10ELNS1_11target_archE1200ELNS1_3gpuE4ELNS1_3repE0EEENS1_30default_config_static_selectorELNS0_4arch9wavefront6targetE1EEEvT1_,comdat
	.protected	_ZN7rocprim17ROCPRIM_400000_NS6detail17trampoline_kernelINS0_14default_configENS1_25partition_config_selectorILNS1_17partition_subalgoE0EyNS0_10empty_typeEbEEZZNS1_14partition_implILS5_0ELb0ES3_jN6thrust23THRUST_200600_302600_NS6detail15normal_iteratorINSA_10device_ptrIyEEEEPS6_SG_NS0_5tupleIJSF_SF_EEENSH_IJSG_SG_EEES6_PlJ7is_evenIyEEEE10hipError_tPvRmT3_T4_T5_T6_T7_T9_mT8_P12ihipStream_tbDpT10_ENKUlT_T0_E_clISt17integral_constantIbLb0EES15_IbLb1EEEEDaS11_S12_EUlS11_E_NS1_11comp_targetILNS1_3genE10ELNS1_11target_archE1200ELNS1_3gpuE4ELNS1_3repE0EEENS1_30default_config_static_selectorELNS0_4arch9wavefront6targetE1EEEvT1_ ; -- Begin function _ZN7rocprim17ROCPRIM_400000_NS6detail17trampoline_kernelINS0_14default_configENS1_25partition_config_selectorILNS1_17partition_subalgoE0EyNS0_10empty_typeEbEEZZNS1_14partition_implILS5_0ELb0ES3_jN6thrust23THRUST_200600_302600_NS6detail15normal_iteratorINSA_10device_ptrIyEEEEPS6_SG_NS0_5tupleIJSF_SF_EEENSH_IJSG_SG_EEES6_PlJ7is_evenIyEEEE10hipError_tPvRmT3_T4_T5_T6_T7_T9_mT8_P12ihipStream_tbDpT10_ENKUlT_T0_E_clISt17integral_constantIbLb0EES15_IbLb1EEEEDaS11_S12_EUlS11_E_NS1_11comp_targetILNS1_3genE10ELNS1_11target_archE1200ELNS1_3gpuE4ELNS1_3repE0EEENS1_30default_config_static_selectorELNS0_4arch9wavefront6targetE1EEEvT1_
	.globl	_ZN7rocprim17ROCPRIM_400000_NS6detail17trampoline_kernelINS0_14default_configENS1_25partition_config_selectorILNS1_17partition_subalgoE0EyNS0_10empty_typeEbEEZZNS1_14partition_implILS5_0ELb0ES3_jN6thrust23THRUST_200600_302600_NS6detail15normal_iteratorINSA_10device_ptrIyEEEEPS6_SG_NS0_5tupleIJSF_SF_EEENSH_IJSG_SG_EEES6_PlJ7is_evenIyEEEE10hipError_tPvRmT3_T4_T5_T6_T7_T9_mT8_P12ihipStream_tbDpT10_ENKUlT_T0_E_clISt17integral_constantIbLb0EES15_IbLb1EEEEDaS11_S12_EUlS11_E_NS1_11comp_targetILNS1_3genE10ELNS1_11target_archE1200ELNS1_3gpuE4ELNS1_3repE0EEENS1_30default_config_static_selectorELNS0_4arch9wavefront6targetE1EEEvT1_
	.p2align	8
	.type	_ZN7rocprim17ROCPRIM_400000_NS6detail17trampoline_kernelINS0_14default_configENS1_25partition_config_selectorILNS1_17partition_subalgoE0EyNS0_10empty_typeEbEEZZNS1_14partition_implILS5_0ELb0ES3_jN6thrust23THRUST_200600_302600_NS6detail15normal_iteratorINSA_10device_ptrIyEEEEPS6_SG_NS0_5tupleIJSF_SF_EEENSH_IJSG_SG_EEES6_PlJ7is_evenIyEEEE10hipError_tPvRmT3_T4_T5_T6_T7_T9_mT8_P12ihipStream_tbDpT10_ENKUlT_T0_E_clISt17integral_constantIbLb0EES15_IbLb1EEEEDaS11_S12_EUlS11_E_NS1_11comp_targetILNS1_3genE10ELNS1_11target_archE1200ELNS1_3gpuE4ELNS1_3repE0EEENS1_30default_config_static_selectorELNS0_4arch9wavefront6targetE1EEEvT1_,@function
_ZN7rocprim17ROCPRIM_400000_NS6detail17trampoline_kernelINS0_14default_configENS1_25partition_config_selectorILNS1_17partition_subalgoE0EyNS0_10empty_typeEbEEZZNS1_14partition_implILS5_0ELb0ES3_jN6thrust23THRUST_200600_302600_NS6detail15normal_iteratorINSA_10device_ptrIyEEEEPS6_SG_NS0_5tupleIJSF_SF_EEENSH_IJSG_SG_EEES6_PlJ7is_evenIyEEEE10hipError_tPvRmT3_T4_T5_T6_T7_T9_mT8_P12ihipStream_tbDpT10_ENKUlT_T0_E_clISt17integral_constantIbLb0EES15_IbLb1EEEEDaS11_S12_EUlS11_E_NS1_11comp_targetILNS1_3genE10ELNS1_11target_archE1200ELNS1_3gpuE4ELNS1_3repE0EEENS1_30default_config_static_selectorELNS0_4arch9wavefront6targetE1EEEvT1_: ; @_ZN7rocprim17ROCPRIM_400000_NS6detail17trampoline_kernelINS0_14default_configENS1_25partition_config_selectorILNS1_17partition_subalgoE0EyNS0_10empty_typeEbEEZZNS1_14partition_implILS5_0ELb0ES3_jN6thrust23THRUST_200600_302600_NS6detail15normal_iteratorINSA_10device_ptrIyEEEEPS6_SG_NS0_5tupleIJSF_SF_EEENSH_IJSG_SG_EEES6_PlJ7is_evenIyEEEE10hipError_tPvRmT3_T4_T5_T6_T7_T9_mT8_P12ihipStream_tbDpT10_ENKUlT_T0_E_clISt17integral_constantIbLb0EES15_IbLb1EEEEDaS11_S12_EUlS11_E_NS1_11comp_targetILNS1_3genE10ELNS1_11target_archE1200ELNS1_3gpuE4ELNS1_3repE0EEENS1_30default_config_static_selectorELNS0_4arch9wavefront6targetE1EEEvT1_
; %bb.0:
	.section	.rodata,"a",@progbits
	.p2align	6, 0x0
	.amdhsa_kernel _ZN7rocprim17ROCPRIM_400000_NS6detail17trampoline_kernelINS0_14default_configENS1_25partition_config_selectorILNS1_17partition_subalgoE0EyNS0_10empty_typeEbEEZZNS1_14partition_implILS5_0ELb0ES3_jN6thrust23THRUST_200600_302600_NS6detail15normal_iteratorINSA_10device_ptrIyEEEEPS6_SG_NS0_5tupleIJSF_SF_EEENSH_IJSG_SG_EEES6_PlJ7is_evenIyEEEE10hipError_tPvRmT3_T4_T5_T6_T7_T9_mT8_P12ihipStream_tbDpT10_ENKUlT_T0_E_clISt17integral_constantIbLb0EES15_IbLb1EEEEDaS11_S12_EUlS11_E_NS1_11comp_targetILNS1_3genE10ELNS1_11target_archE1200ELNS1_3gpuE4ELNS1_3repE0EEENS1_30default_config_static_selectorELNS0_4arch9wavefront6targetE1EEEvT1_
		.amdhsa_group_segment_fixed_size 0
		.amdhsa_private_segment_fixed_size 0
		.amdhsa_kernarg_size 136
		.amdhsa_user_sgpr_count 6
		.amdhsa_user_sgpr_private_segment_buffer 1
		.amdhsa_user_sgpr_dispatch_ptr 0
		.amdhsa_user_sgpr_queue_ptr 0
		.amdhsa_user_sgpr_kernarg_segment_ptr 1
		.amdhsa_user_sgpr_dispatch_id 0
		.amdhsa_user_sgpr_flat_scratch_init 0
		.amdhsa_user_sgpr_kernarg_preload_length 0
		.amdhsa_user_sgpr_kernarg_preload_offset 0
		.amdhsa_user_sgpr_private_segment_size 0
		.amdhsa_uses_dynamic_stack 0
		.amdhsa_system_sgpr_private_segment_wavefront_offset 0
		.amdhsa_system_sgpr_workgroup_id_x 1
		.amdhsa_system_sgpr_workgroup_id_y 0
		.amdhsa_system_sgpr_workgroup_id_z 0
		.amdhsa_system_sgpr_workgroup_info 0
		.amdhsa_system_vgpr_workitem_id 0
		.amdhsa_next_free_vgpr 1
		.amdhsa_next_free_sgpr 0
		.amdhsa_accum_offset 4
		.amdhsa_reserve_vcc 0
		.amdhsa_reserve_flat_scratch 0
		.amdhsa_float_round_mode_32 0
		.amdhsa_float_round_mode_16_64 0
		.amdhsa_float_denorm_mode_32 3
		.amdhsa_float_denorm_mode_16_64 3
		.amdhsa_dx10_clamp 1
		.amdhsa_ieee_mode 1
		.amdhsa_fp16_overflow 0
		.amdhsa_tg_split 0
		.amdhsa_exception_fp_ieee_invalid_op 0
		.amdhsa_exception_fp_denorm_src 0
		.amdhsa_exception_fp_ieee_div_zero 0
		.amdhsa_exception_fp_ieee_overflow 0
		.amdhsa_exception_fp_ieee_underflow 0
		.amdhsa_exception_fp_ieee_inexact 0
		.amdhsa_exception_int_div_zero 0
	.end_amdhsa_kernel
	.section	.text._ZN7rocprim17ROCPRIM_400000_NS6detail17trampoline_kernelINS0_14default_configENS1_25partition_config_selectorILNS1_17partition_subalgoE0EyNS0_10empty_typeEbEEZZNS1_14partition_implILS5_0ELb0ES3_jN6thrust23THRUST_200600_302600_NS6detail15normal_iteratorINSA_10device_ptrIyEEEEPS6_SG_NS0_5tupleIJSF_SF_EEENSH_IJSG_SG_EEES6_PlJ7is_evenIyEEEE10hipError_tPvRmT3_T4_T5_T6_T7_T9_mT8_P12ihipStream_tbDpT10_ENKUlT_T0_E_clISt17integral_constantIbLb0EES15_IbLb1EEEEDaS11_S12_EUlS11_E_NS1_11comp_targetILNS1_3genE10ELNS1_11target_archE1200ELNS1_3gpuE4ELNS1_3repE0EEENS1_30default_config_static_selectorELNS0_4arch9wavefront6targetE1EEEvT1_,"axG",@progbits,_ZN7rocprim17ROCPRIM_400000_NS6detail17trampoline_kernelINS0_14default_configENS1_25partition_config_selectorILNS1_17partition_subalgoE0EyNS0_10empty_typeEbEEZZNS1_14partition_implILS5_0ELb0ES3_jN6thrust23THRUST_200600_302600_NS6detail15normal_iteratorINSA_10device_ptrIyEEEEPS6_SG_NS0_5tupleIJSF_SF_EEENSH_IJSG_SG_EEES6_PlJ7is_evenIyEEEE10hipError_tPvRmT3_T4_T5_T6_T7_T9_mT8_P12ihipStream_tbDpT10_ENKUlT_T0_E_clISt17integral_constantIbLb0EES15_IbLb1EEEEDaS11_S12_EUlS11_E_NS1_11comp_targetILNS1_3genE10ELNS1_11target_archE1200ELNS1_3gpuE4ELNS1_3repE0EEENS1_30default_config_static_selectorELNS0_4arch9wavefront6targetE1EEEvT1_,comdat
.Lfunc_end2133:
	.size	_ZN7rocprim17ROCPRIM_400000_NS6detail17trampoline_kernelINS0_14default_configENS1_25partition_config_selectorILNS1_17partition_subalgoE0EyNS0_10empty_typeEbEEZZNS1_14partition_implILS5_0ELb0ES3_jN6thrust23THRUST_200600_302600_NS6detail15normal_iteratorINSA_10device_ptrIyEEEEPS6_SG_NS0_5tupleIJSF_SF_EEENSH_IJSG_SG_EEES6_PlJ7is_evenIyEEEE10hipError_tPvRmT3_T4_T5_T6_T7_T9_mT8_P12ihipStream_tbDpT10_ENKUlT_T0_E_clISt17integral_constantIbLb0EES15_IbLb1EEEEDaS11_S12_EUlS11_E_NS1_11comp_targetILNS1_3genE10ELNS1_11target_archE1200ELNS1_3gpuE4ELNS1_3repE0EEENS1_30default_config_static_selectorELNS0_4arch9wavefront6targetE1EEEvT1_, .Lfunc_end2133-_ZN7rocprim17ROCPRIM_400000_NS6detail17trampoline_kernelINS0_14default_configENS1_25partition_config_selectorILNS1_17partition_subalgoE0EyNS0_10empty_typeEbEEZZNS1_14partition_implILS5_0ELb0ES3_jN6thrust23THRUST_200600_302600_NS6detail15normal_iteratorINSA_10device_ptrIyEEEEPS6_SG_NS0_5tupleIJSF_SF_EEENSH_IJSG_SG_EEES6_PlJ7is_evenIyEEEE10hipError_tPvRmT3_T4_T5_T6_T7_T9_mT8_P12ihipStream_tbDpT10_ENKUlT_T0_E_clISt17integral_constantIbLb0EES15_IbLb1EEEEDaS11_S12_EUlS11_E_NS1_11comp_targetILNS1_3genE10ELNS1_11target_archE1200ELNS1_3gpuE4ELNS1_3repE0EEENS1_30default_config_static_selectorELNS0_4arch9wavefront6targetE1EEEvT1_
                                        ; -- End function
	.section	.AMDGPU.csdata,"",@progbits
; Kernel info:
; codeLenInByte = 0
; NumSgprs: 4
; NumVgprs: 0
; NumAgprs: 0
; TotalNumVgprs: 0
; ScratchSize: 0
; MemoryBound: 0
; FloatMode: 240
; IeeeMode: 1
; LDSByteSize: 0 bytes/workgroup (compile time only)
; SGPRBlocks: 0
; VGPRBlocks: 0
; NumSGPRsForWavesPerEU: 4
; NumVGPRsForWavesPerEU: 1
; AccumOffset: 4
; Occupancy: 8
; WaveLimiterHint : 0
; COMPUTE_PGM_RSRC2:SCRATCH_EN: 0
; COMPUTE_PGM_RSRC2:USER_SGPR: 6
; COMPUTE_PGM_RSRC2:TRAP_HANDLER: 0
; COMPUTE_PGM_RSRC2:TGID_X_EN: 1
; COMPUTE_PGM_RSRC2:TGID_Y_EN: 0
; COMPUTE_PGM_RSRC2:TGID_Z_EN: 0
; COMPUTE_PGM_RSRC2:TIDIG_COMP_CNT: 0
; COMPUTE_PGM_RSRC3_GFX90A:ACCUM_OFFSET: 0
; COMPUTE_PGM_RSRC3_GFX90A:TG_SPLIT: 0
	.section	.text._ZN7rocprim17ROCPRIM_400000_NS6detail17trampoline_kernelINS0_14default_configENS1_25partition_config_selectorILNS1_17partition_subalgoE0EyNS0_10empty_typeEbEEZZNS1_14partition_implILS5_0ELb0ES3_jN6thrust23THRUST_200600_302600_NS6detail15normal_iteratorINSA_10device_ptrIyEEEEPS6_SG_NS0_5tupleIJSF_SF_EEENSH_IJSG_SG_EEES6_PlJ7is_evenIyEEEE10hipError_tPvRmT3_T4_T5_T6_T7_T9_mT8_P12ihipStream_tbDpT10_ENKUlT_T0_E_clISt17integral_constantIbLb0EES15_IbLb1EEEEDaS11_S12_EUlS11_E_NS1_11comp_targetILNS1_3genE9ELNS1_11target_archE1100ELNS1_3gpuE3ELNS1_3repE0EEENS1_30default_config_static_selectorELNS0_4arch9wavefront6targetE1EEEvT1_,"axG",@progbits,_ZN7rocprim17ROCPRIM_400000_NS6detail17trampoline_kernelINS0_14default_configENS1_25partition_config_selectorILNS1_17partition_subalgoE0EyNS0_10empty_typeEbEEZZNS1_14partition_implILS5_0ELb0ES3_jN6thrust23THRUST_200600_302600_NS6detail15normal_iteratorINSA_10device_ptrIyEEEEPS6_SG_NS0_5tupleIJSF_SF_EEENSH_IJSG_SG_EEES6_PlJ7is_evenIyEEEE10hipError_tPvRmT3_T4_T5_T6_T7_T9_mT8_P12ihipStream_tbDpT10_ENKUlT_T0_E_clISt17integral_constantIbLb0EES15_IbLb1EEEEDaS11_S12_EUlS11_E_NS1_11comp_targetILNS1_3genE9ELNS1_11target_archE1100ELNS1_3gpuE3ELNS1_3repE0EEENS1_30default_config_static_selectorELNS0_4arch9wavefront6targetE1EEEvT1_,comdat
	.protected	_ZN7rocprim17ROCPRIM_400000_NS6detail17trampoline_kernelINS0_14default_configENS1_25partition_config_selectorILNS1_17partition_subalgoE0EyNS0_10empty_typeEbEEZZNS1_14partition_implILS5_0ELb0ES3_jN6thrust23THRUST_200600_302600_NS6detail15normal_iteratorINSA_10device_ptrIyEEEEPS6_SG_NS0_5tupleIJSF_SF_EEENSH_IJSG_SG_EEES6_PlJ7is_evenIyEEEE10hipError_tPvRmT3_T4_T5_T6_T7_T9_mT8_P12ihipStream_tbDpT10_ENKUlT_T0_E_clISt17integral_constantIbLb0EES15_IbLb1EEEEDaS11_S12_EUlS11_E_NS1_11comp_targetILNS1_3genE9ELNS1_11target_archE1100ELNS1_3gpuE3ELNS1_3repE0EEENS1_30default_config_static_selectorELNS0_4arch9wavefront6targetE1EEEvT1_ ; -- Begin function _ZN7rocprim17ROCPRIM_400000_NS6detail17trampoline_kernelINS0_14default_configENS1_25partition_config_selectorILNS1_17partition_subalgoE0EyNS0_10empty_typeEbEEZZNS1_14partition_implILS5_0ELb0ES3_jN6thrust23THRUST_200600_302600_NS6detail15normal_iteratorINSA_10device_ptrIyEEEEPS6_SG_NS0_5tupleIJSF_SF_EEENSH_IJSG_SG_EEES6_PlJ7is_evenIyEEEE10hipError_tPvRmT3_T4_T5_T6_T7_T9_mT8_P12ihipStream_tbDpT10_ENKUlT_T0_E_clISt17integral_constantIbLb0EES15_IbLb1EEEEDaS11_S12_EUlS11_E_NS1_11comp_targetILNS1_3genE9ELNS1_11target_archE1100ELNS1_3gpuE3ELNS1_3repE0EEENS1_30default_config_static_selectorELNS0_4arch9wavefront6targetE1EEEvT1_
	.globl	_ZN7rocprim17ROCPRIM_400000_NS6detail17trampoline_kernelINS0_14default_configENS1_25partition_config_selectorILNS1_17partition_subalgoE0EyNS0_10empty_typeEbEEZZNS1_14partition_implILS5_0ELb0ES3_jN6thrust23THRUST_200600_302600_NS6detail15normal_iteratorINSA_10device_ptrIyEEEEPS6_SG_NS0_5tupleIJSF_SF_EEENSH_IJSG_SG_EEES6_PlJ7is_evenIyEEEE10hipError_tPvRmT3_T4_T5_T6_T7_T9_mT8_P12ihipStream_tbDpT10_ENKUlT_T0_E_clISt17integral_constantIbLb0EES15_IbLb1EEEEDaS11_S12_EUlS11_E_NS1_11comp_targetILNS1_3genE9ELNS1_11target_archE1100ELNS1_3gpuE3ELNS1_3repE0EEENS1_30default_config_static_selectorELNS0_4arch9wavefront6targetE1EEEvT1_
	.p2align	8
	.type	_ZN7rocprim17ROCPRIM_400000_NS6detail17trampoline_kernelINS0_14default_configENS1_25partition_config_selectorILNS1_17partition_subalgoE0EyNS0_10empty_typeEbEEZZNS1_14partition_implILS5_0ELb0ES3_jN6thrust23THRUST_200600_302600_NS6detail15normal_iteratorINSA_10device_ptrIyEEEEPS6_SG_NS0_5tupleIJSF_SF_EEENSH_IJSG_SG_EEES6_PlJ7is_evenIyEEEE10hipError_tPvRmT3_T4_T5_T6_T7_T9_mT8_P12ihipStream_tbDpT10_ENKUlT_T0_E_clISt17integral_constantIbLb0EES15_IbLb1EEEEDaS11_S12_EUlS11_E_NS1_11comp_targetILNS1_3genE9ELNS1_11target_archE1100ELNS1_3gpuE3ELNS1_3repE0EEENS1_30default_config_static_selectorELNS0_4arch9wavefront6targetE1EEEvT1_,@function
_ZN7rocprim17ROCPRIM_400000_NS6detail17trampoline_kernelINS0_14default_configENS1_25partition_config_selectorILNS1_17partition_subalgoE0EyNS0_10empty_typeEbEEZZNS1_14partition_implILS5_0ELb0ES3_jN6thrust23THRUST_200600_302600_NS6detail15normal_iteratorINSA_10device_ptrIyEEEEPS6_SG_NS0_5tupleIJSF_SF_EEENSH_IJSG_SG_EEES6_PlJ7is_evenIyEEEE10hipError_tPvRmT3_T4_T5_T6_T7_T9_mT8_P12ihipStream_tbDpT10_ENKUlT_T0_E_clISt17integral_constantIbLb0EES15_IbLb1EEEEDaS11_S12_EUlS11_E_NS1_11comp_targetILNS1_3genE9ELNS1_11target_archE1100ELNS1_3gpuE3ELNS1_3repE0EEENS1_30default_config_static_selectorELNS0_4arch9wavefront6targetE1EEEvT1_: ; @_ZN7rocprim17ROCPRIM_400000_NS6detail17trampoline_kernelINS0_14default_configENS1_25partition_config_selectorILNS1_17partition_subalgoE0EyNS0_10empty_typeEbEEZZNS1_14partition_implILS5_0ELb0ES3_jN6thrust23THRUST_200600_302600_NS6detail15normal_iteratorINSA_10device_ptrIyEEEEPS6_SG_NS0_5tupleIJSF_SF_EEENSH_IJSG_SG_EEES6_PlJ7is_evenIyEEEE10hipError_tPvRmT3_T4_T5_T6_T7_T9_mT8_P12ihipStream_tbDpT10_ENKUlT_T0_E_clISt17integral_constantIbLb0EES15_IbLb1EEEEDaS11_S12_EUlS11_E_NS1_11comp_targetILNS1_3genE9ELNS1_11target_archE1100ELNS1_3gpuE3ELNS1_3repE0EEENS1_30default_config_static_selectorELNS0_4arch9wavefront6targetE1EEEvT1_
; %bb.0:
	.section	.rodata,"a",@progbits
	.p2align	6, 0x0
	.amdhsa_kernel _ZN7rocprim17ROCPRIM_400000_NS6detail17trampoline_kernelINS0_14default_configENS1_25partition_config_selectorILNS1_17partition_subalgoE0EyNS0_10empty_typeEbEEZZNS1_14partition_implILS5_0ELb0ES3_jN6thrust23THRUST_200600_302600_NS6detail15normal_iteratorINSA_10device_ptrIyEEEEPS6_SG_NS0_5tupleIJSF_SF_EEENSH_IJSG_SG_EEES6_PlJ7is_evenIyEEEE10hipError_tPvRmT3_T4_T5_T6_T7_T9_mT8_P12ihipStream_tbDpT10_ENKUlT_T0_E_clISt17integral_constantIbLb0EES15_IbLb1EEEEDaS11_S12_EUlS11_E_NS1_11comp_targetILNS1_3genE9ELNS1_11target_archE1100ELNS1_3gpuE3ELNS1_3repE0EEENS1_30default_config_static_selectorELNS0_4arch9wavefront6targetE1EEEvT1_
		.amdhsa_group_segment_fixed_size 0
		.amdhsa_private_segment_fixed_size 0
		.amdhsa_kernarg_size 136
		.amdhsa_user_sgpr_count 6
		.amdhsa_user_sgpr_private_segment_buffer 1
		.amdhsa_user_sgpr_dispatch_ptr 0
		.amdhsa_user_sgpr_queue_ptr 0
		.amdhsa_user_sgpr_kernarg_segment_ptr 1
		.amdhsa_user_sgpr_dispatch_id 0
		.amdhsa_user_sgpr_flat_scratch_init 0
		.amdhsa_user_sgpr_kernarg_preload_length 0
		.amdhsa_user_sgpr_kernarg_preload_offset 0
		.amdhsa_user_sgpr_private_segment_size 0
		.amdhsa_uses_dynamic_stack 0
		.amdhsa_system_sgpr_private_segment_wavefront_offset 0
		.amdhsa_system_sgpr_workgroup_id_x 1
		.amdhsa_system_sgpr_workgroup_id_y 0
		.amdhsa_system_sgpr_workgroup_id_z 0
		.amdhsa_system_sgpr_workgroup_info 0
		.amdhsa_system_vgpr_workitem_id 0
		.amdhsa_next_free_vgpr 1
		.amdhsa_next_free_sgpr 0
		.amdhsa_accum_offset 4
		.amdhsa_reserve_vcc 0
		.amdhsa_reserve_flat_scratch 0
		.amdhsa_float_round_mode_32 0
		.amdhsa_float_round_mode_16_64 0
		.amdhsa_float_denorm_mode_32 3
		.amdhsa_float_denorm_mode_16_64 3
		.amdhsa_dx10_clamp 1
		.amdhsa_ieee_mode 1
		.amdhsa_fp16_overflow 0
		.amdhsa_tg_split 0
		.amdhsa_exception_fp_ieee_invalid_op 0
		.amdhsa_exception_fp_denorm_src 0
		.amdhsa_exception_fp_ieee_div_zero 0
		.amdhsa_exception_fp_ieee_overflow 0
		.amdhsa_exception_fp_ieee_underflow 0
		.amdhsa_exception_fp_ieee_inexact 0
		.amdhsa_exception_int_div_zero 0
	.end_amdhsa_kernel
	.section	.text._ZN7rocprim17ROCPRIM_400000_NS6detail17trampoline_kernelINS0_14default_configENS1_25partition_config_selectorILNS1_17partition_subalgoE0EyNS0_10empty_typeEbEEZZNS1_14partition_implILS5_0ELb0ES3_jN6thrust23THRUST_200600_302600_NS6detail15normal_iteratorINSA_10device_ptrIyEEEEPS6_SG_NS0_5tupleIJSF_SF_EEENSH_IJSG_SG_EEES6_PlJ7is_evenIyEEEE10hipError_tPvRmT3_T4_T5_T6_T7_T9_mT8_P12ihipStream_tbDpT10_ENKUlT_T0_E_clISt17integral_constantIbLb0EES15_IbLb1EEEEDaS11_S12_EUlS11_E_NS1_11comp_targetILNS1_3genE9ELNS1_11target_archE1100ELNS1_3gpuE3ELNS1_3repE0EEENS1_30default_config_static_selectorELNS0_4arch9wavefront6targetE1EEEvT1_,"axG",@progbits,_ZN7rocprim17ROCPRIM_400000_NS6detail17trampoline_kernelINS0_14default_configENS1_25partition_config_selectorILNS1_17partition_subalgoE0EyNS0_10empty_typeEbEEZZNS1_14partition_implILS5_0ELb0ES3_jN6thrust23THRUST_200600_302600_NS6detail15normal_iteratorINSA_10device_ptrIyEEEEPS6_SG_NS0_5tupleIJSF_SF_EEENSH_IJSG_SG_EEES6_PlJ7is_evenIyEEEE10hipError_tPvRmT3_T4_T5_T6_T7_T9_mT8_P12ihipStream_tbDpT10_ENKUlT_T0_E_clISt17integral_constantIbLb0EES15_IbLb1EEEEDaS11_S12_EUlS11_E_NS1_11comp_targetILNS1_3genE9ELNS1_11target_archE1100ELNS1_3gpuE3ELNS1_3repE0EEENS1_30default_config_static_selectorELNS0_4arch9wavefront6targetE1EEEvT1_,comdat
.Lfunc_end2134:
	.size	_ZN7rocprim17ROCPRIM_400000_NS6detail17trampoline_kernelINS0_14default_configENS1_25partition_config_selectorILNS1_17partition_subalgoE0EyNS0_10empty_typeEbEEZZNS1_14partition_implILS5_0ELb0ES3_jN6thrust23THRUST_200600_302600_NS6detail15normal_iteratorINSA_10device_ptrIyEEEEPS6_SG_NS0_5tupleIJSF_SF_EEENSH_IJSG_SG_EEES6_PlJ7is_evenIyEEEE10hipError_tPvRmT3_T4_T5_T6_T7_T9_mT8_P12ihipStream_tbDpT10_ENKUlT_T0_E_clISt17integral_constantIbLb0EES15_IbLb1EEEEDaS11_S12_EUlS11_E_NS1_11comp_targetILNS1_3genE9ELNS1_11target_archE1100ELNS1_3gpuE3ELNS1_3repE0EEENS1_30default_config_static_selectorELNS0_4arch9wavefront6targetE1EEEvT1_, .Lfunc_end2134-_ZN7rocprim17ROCPRIM_400000_NS6detail17trampoline_kernelINS0_14default_configENS1_25partition_config_selectorILNS1_17partition_subalgoE0EyNS0_10empty_typeEbEEZZNS1_14partition_implILS5_0ELb0ES3_jN6thrust23THRUST_200600_302600_NS6detail15normal_iteratorINSA_10device_ptrIyEEEEPS6_SG_NS0_5tupleIJSF_SF_EEENSH_IJSG_SG_EEES6_PlJ7is_evenIyEEEE10hipError_tPvRmT3_T4_T5_T6_T7_T9_mT8_P12ihipStream_tbDpT10_ENKUlT_T0_E_clISt17integral_constantIbLb0EES15_IbLb1EEEEDaS11_S12_EUlS11_E_NS1_11comp_targetILNS1_3genE9ELNS1_11target_archE1100ELNS1_3gpuE3ELNS1_3repE0EEENS1_30default_config_static_selectorELNS0_4arch9wavefront6targetE1EEEvT1_
                                        ; -- End function
	.section	.AMDGPU.csdata,"",@progbits
; Kernel info:
; codeLenInByte = 0
; NumSgprs: 4
; NumVgprs: 0
; NumAgprs: 0
; TotalNumVgprs: 0
; ScratchSize: 0
; MemoryBound: 0
; FloatMode: 240
; IeeeMode: 1
; LDSByteSize: 0 bytes/workgroup (compile time only)
; SGPRBlocks: 0
; VGPRBlocks: 0
; NumSGPRsForWavesPerEU: 4
; NumVGPRsForWavesPerEU: 1
; AccumOffset: 4
; Occupancy: 8
; WaveLimiterHint : 0
; COMPUTE_PGM_RSRC2:SCRATCH_EN: 0
; COMPUTE_PGM_RSRC2:USER_SGPR: 6
; COMPUTE_PGM_RSRC2:TRAP_HANDLER: 0
; COMPUTE_PGM_RSRC2:TGID_X_EN: 1
; COMPUTE_PGM_RSRC2:TGID_Y_EN: 0
; COMPUTE_PGM_RSRC2:TGID_Z_EN: 0
; COMPUTE_PGM_RSRC2:TIDIG_COMP_CNT: 0
; COMPUTE_PGM_RSRC3_GFX90A:ACCUM_OFFSET: 0
; COMPUTE_PGM_RSRC3_GFX90A:TG_SPLIT: 0
	.section	.text._ZN7rocprim17ROCPRIM_400000_NS6detail17trampoline_kernelINS0_14default_configENS1_25partition_config_selectorILNS1_17partition_subalgoE0EyNS0_10empty_typeEbEEZZNS1_14partition_implILS5_0ELb0ES3_jN6thrust23THRUST_200600_302600_NS6detail15normal_iteratorINSA_10device_ptrIyEEEEPS6_SG_NS0_5tupleIJSF_SF_EEENSH_IJSG_SG_EEES6_PlJ7is_evenIyEEEE10hipError_tPvRmT3_T4_T5_T6_T7_T9_mT8_P12ihipStream_tbDpT10_ENKUlT_T0_E_clISt17integral_constantIbLb0EES15_IbLb1EEEEDaS11_S12_EUlS11_E_NS1_11comp_targetILNS1_3genE8ELNS1_11target_archE1030ELNS1_3gpuE2ELNS1_3repE0EEENS1_30default_config_static_selectorELNS0_4arch9wavefront6targetE1EEEvT1_,"axG",@progbits,_ZN7rocprim17ROCPRIM_400000_NS6detail17trampoline_kernelINS0_14default_configENS1_25partition_config_selectorILNS1_17partition_subalgoE0EyNS0_10empty_typeEbEEZZNS1_14partition_implILS5_0ELb0ES3_jN6thrust23THRUST_200600_302600_NS6detail15normal_iteratorINSA_10device_ptrIyEEEEPS6_SG_NS0_5tupleIJSF_SF_EEENSH_IJSG_SG_EEES6_PlJ7is_evenIyEEEE10hipError_tPvRmT3_T4_T5_T6_T7_T9_mT8_P12ihipStream_tbDpT10_ENKUlT_T0_E_clISt17integral_constantIbLb0EES15_IbLb1EEEEDaS11_S12_EUlS11_E_NS1_11comp_targetILNS1_3genE8ELNS1_11target_archE1030ELNS1_3gpuE2ELNS1_3repE0EEENS1_30default_config_static_selectorELNS0_4arch9wavefront6targetE1EEEvT1_,comdat
	.protected	_ZN7rocprim17ROCPRIM_400000_NS6detail17trampoline_kernelINS0_14default_configENS1_25partition_config_selectorILNS1_17partition_subalgoE0EyNS0_10empty_typeEbEEZZNS1_14partition_implILS5_0ELb0ES3_jN6thrust23THRUST_200600_302600_NS6detail15normal_iteratorINSA_10device_ptrIyEEEEPS6_SG_NS0_5tupleIJSF_SF_EEENSH_IJSG_SG_EEES6_PlJ7is_evenIyEEEE10hipError_tPvRmT3_T4_T5_T6_T7_T9_mT8_P12ihipStream_tbDpT10_ENKUlT_T0_E_clISt17integral_constantIbLb0EES15_IbLb1EEEEDaS11_S12_EUlS11_E_NS1_11comp_targetILNS1_3genE8ELNS1_11target_archE1030ELNS1_3gpuE2ELNS1_3repE0EEENS1_30default_config_static_selectorELNS0_4arch9wavefront6targetE1EEEvT1_ ; -- Begin function _ZN7rocprim17ROCPRIM_400000_NS6detail17trampoline_kernelINS0_14default_configENS1_25partition_config_selectorILNS1_17partition_subalgoE0EyNS0_10empty_typeEbEEZZNS1_14partition_implILS5_0ELb0ES3_jN6thrust23THRUST_200600_302600_NS6detail15normal_iteratorINSA_10device_ptrIyEEEEPS6_SG_NS0_5tupleIJSF_SF_EEENSH_IJSG_SG_EEES6_PlJ7is_evenIyEEEE10hipError_tPvRmT3_T4_T5_T6_T7_T9_mT8_P12ihipStream_tbDpT10_ENKUlT_T0_E_clISt17integral_constantIbLb0EES15_IbLb1EEEEDaS11_S12_EUlS11_E_NS1_11comp_targetILNS1_3genE8ELNS1_11target_archE1030ELNS1_3gpuE2ELNS1_3repE0EEENS1_30default_config_static_selectorELNS0_4arch9wavefront6targetE1EEEvT1_
	.globl	_ZN7rocprim17ROCPRIM_400000_NS6detail17trampoline_kernelINS0_14default_configENS1_25partition_config_selectorILNS1_17partition_subalgoE0EyNS0_10empty_typeEbEEZZNS1_14partition_implILS5_0ELb0ES3_jN6thrust23THRUST_200600_302600_NS6detail15normal_iteratorINSA_10device_ptrIyEEEEPS6_SG_NS0_5tupleIJSF_SF_EEENSH_IJSG_SG_EEES6_PlJ7is_evenIyEEEE10hipError_tPvRmT3_T4_T5_T6_T7_T9_mT8_P12ihipStream_tbDpT10_ENKUlT_T0_E_clISt17integral_constantIbLb0EES15_IbLb1EEEEDaS11_S12_EUlS11_E_NS1_11comp_targetILNS1_3genE8ELNS1_11target_archE1030ELNS1_3gpuE2ELNS1_3repE0EEENS1_30default_config_static_selectorELNS0_4arch9wavefront6targetE1EEEvT1_
	.p2align	8
	.type	_ZN7rocprim17ROCPRIM_400000_NS6detail17trampoline_kernelINS0_14default_configENS1_25partition_config_selectorILNS1_17partition_subalgoE0EyNS0_10empty_typeEbEEZZNS1_14partition_implILS5_0ELb0ES3_jN6thrust23THRUST_200600_302600_NS6detail15normal_iteratorINSA_10device_ptrIyEEEEPS6_SG_NS0_5tupleIJSF_SF_EEENSH_IJSG_SG_EEES6_PlJ7is_evenIyEEEE10hipError_tPvRmT3_T4_T5_T6_T7_T9_mT8_P12ihipStream_tbDpT10_ENKUlT_T0_E_clISt17integral_constantIbLb0EES15_IbLb1EEEEDaS11_S12_EUlS11_E_NS1_11comp_targetILNS1_3genE8ELNS1_11target_archE1030ELNS1_3gpuE2ELNS1_3repE0EEENS1_30default_config_static_selectorELNS0_4arch9wavefront6targetE1EEEvT1_,@function
_ZN7rocprim17ROCPRIM_400000_NS6detail17trampoline_kernelINS0_14default_configENS1_25partition_config_selectorILNS1_17partition_subalgoE0EyNS0_10empty_typeEbEEZZNS1_14partition_implILS5_0ELb0ES3_jN6thrust23THRUST_200600_302600_NS6detail15normal_iteratorINSA_10device_ptrIyEEEEPS6_SG_NS0_5tupleIJSF_SF_EEENSH_IJSG_SG_EEES6_PlJ7is_evenIyEEEE10hipError_tPvRmT3_T4_T5_T6_T7_T9_mT8_P12ihipStream_tbDpT10_ENKUlT_T0_E_clISt17integral_constantIbLb0EES15_IbLb1EEEEDaS11_S12_EUlS11_E_NS1_11comp_targetILNS1_3genE8ELNS1_11target_archE1030ELNS1_3gpuE2ELNS1_3repE0EEENS1_30default_config_static_selectorELNS0_4arch9wavefront6targetE1EEEvT1_: ; @_ZN7rocprim17ROCPRIM_400000_NS6detail17trampoline_kernelINS0_14default_configENS1_25partition_config_selectorILNS1_17partition_subalgoE0EyNS0_10empty_typeEbEEZZNS1_14partition_implILS5_0ELb0ES3_jN6thrust23THRUST_200600_302600_NS6detail15normal_iteratorINSA_10device_ptrIyEEEEPS6_SG_NS0_5tupleIJSF_SF_EEENSH_IJSG_SG_EEES6_PlJ7is_evenIyEEEE10hipError_tPvRmT3_T4_T5_T6_T7_T9_mT8_P12ihipStream_tbDpT10_ENKUlT_T0_E_clISt17integral_constantIbLb0EES15_IbLb1EEEEDaS11_S12_EUlS11_E_NS1_11comp_targetILNS1_3genE8ELNS1_11target_archE1030ELNS1_3gpuE2ELNS1_3repE0EEENS1_30default_config_static_selectorELNS0_4arch9wavefront6targetE1EEEvT1_
; %bb.0:
	.section	.rodata,"a",@progbits
	.p2align	6, 0x0
	.amdhsa_kernel _ZN7rocprim17ROCPRIM_400000_NS6detail17trampoline_kernelINS0_14default_configENS1_25partition_config_selectorILNS1_17partition_subalgoE0EyNS0_10empty_typeEbEEZZNS1_14partition_implILS5_0ELb0ES3_jN6thrust23THRUST_200600_302600_NS6detail15normal_iteratorINSA_10device_ptrIyEEEEPS6_SG_NS0_5tupleIJSF_SF_EEENSH_IJSG_SG_EEES6_PlJ7is_evenIyEEEE10hipError_tPvRmT3_T4_T5_T6_T7_T9_mT8_P12ihipStream_tbDpT10_ENKUlT_T0_E_clISt17integral_constantIbLb0EES15_IbLb1EEEEDaS11_S12_EUlS11_E_NS1_11comp_targetILNS1_3genE8ELNS1_11target_archE1030ELNS1_3gpuE2ELNS1_3repE0EEENS1_30default_config_static_selectorELNS0_4arch9wavefront6targetE1EEEvT1_
		.amdhsa_group_segment_fixed_size 0
		.amdhsa_private_segment_fixed_size 0
		.amdhsa_kernarg_size 136
		.amdhsa_user_sgpr_count 6
		.amdhsa_user_sgpr_private_segment_buffer 1
		.amdhsa_user_sgpr_dispatch_ptr 0
		.amdhsa_user_sgpr_queue_ptr 0
		.amdhsa_user_sgpr_kernarg_segment_ptr 1
		.amdhsa_user_sgpr_dispatch_id 0
		.amdhsa_user_sgpr_flat_scratch_init 0
		.amdhsa_user_sgpr_kernarg_preload_length 0
		.amdhsa_user_sgpr_kernarg_preload_offset 0
		.amdhsa_user_sgpr_private_segment_size 0
		.amdhsa_uses_dynamic_stack 0
		.amdhsa_system_sgpr_private_segment_wavefront_offset 0
		.amdhsa_system_sgpr_workgroup_id_x 1
		.amdhsa_system_sgpr_workgroup_id_y 0
		.amdhsa_system_sgpr_workgroup_id_z 0
		.amdhsa_system_sgpr_workgroup_info 0
		.amdhsa_system_vgpr_workitem_id 0
		.amdhsa_next_free_vgpr 1
		.amdhsa_next_free_sgpr 0
		.amdhsa_accum_offset 4
		.amdhsa_reserve_vcc 0
		.amdhsa_reserve_flat_scratch 0
		.amdhsa_float_round_mode_32 0
		.amdhsa_float_round_mode_16_64 0
		.amdhsa_float_denorm_mode_32 3
		.amdhsa_float_denorm_mode_16_64 3
		.amdhsa_dx10_clamp 1
		.amdhsa_ieee_mode 1
		.amdhsa_fp16_overflow 0
		.amdhsa_tg_split 0
		.amdhsa_exception_fp_ieee_invalid_op 0
		.amdhsa_exception_fp_denorm_src 0
		.amdhsa_exception_fp_ieee_div_zero 0
		.amdhsa_exception_fp_ieee_overflow 0
		.amdhsa_exception_fp_ieee_underflow 0
		.amdhsa_exception_fp_ieee_inexact 0
		.amdhsa_exception_int_div_zero 0
	.end_amdhsa_kernel
	.section	.text._ZN7rocprim17ROCPRIM_400000_NS6detail17trampoline_kernelINS0_14default_configENS1_25partition_config_selectorILNS1_17partition_subalgoE0EyNS0_10empty_typeEbEEZZNS1_14partition_implILS5_0ELb0ES3_jN6thrust23THRUST_200600_302600_NS6detail15normal_iteratorINSA_10device_ptrIyEEEEPS6_SG_NS0_5tupleIJSF_SF_EEENSH_IJSG_SG_EEES6_PlJ7is_evenIyEEEE10hipError_tPvRmT3_T4_T5_T6_T7_T9_mT8_P12ihipStream_tbDpT10_ENKUlT_T0_E_clISt17integral_constantIbLb0EES15_IbLb1EEEEDaS11_S12_EUlS11_E_NS1_11comp_targetILNS1_3genE8ELNS1_11target_archE1030ELNS1_3gpuE2ELNS1_3repE0EEENS1_30default_config_static_selectorELNS0_4arch9wavefront6targetE1EEEvT1_,"axG",@progbits,_ZN7rocprim17ROCPRIM_400000_NS6detail17trampoline_kernelINS0_14default_configENS1_25partition_config_selectorILNS1_17partition_subalgoE0EyNS0_10empty_typeEbEEZZNS1_14partition_implILS5_0ELb0ES3_jN6thrust23THRUST_200600_302600_NS6detail15normal_iteratorINSA_10device_ptrIyEEEEPS6_SG_NS0_5tupleIJSF_SF_EEENSH_IJSG_SG_EEES6_PlJ7is_evenIyEEEE10hipError_tPvRmT3_T4_T5_T6_T7_T9_mT8_P12ihipStream_tbDpT10_ENKUlT_T0_E_clISt17integral_constantIbLb0EES15_IbLb1EEEEDaS11_S12_EUlS11_E_NS1_11comp_targetILNS1_3genE8ELNS1_11target_archE1030ELNS1_3gpuE2ELNS1_3repE0EEENS1_30default_config_static_selectorELNS0_4arch9wavefront6targetE1EEEvT1_,comdat
.Lfunc_end2135:
	.size	_ZN7rocprim17ROCPRIM_400000_NS6detail17trampoline_kernelINS0_14default_configENS1_25partition_config_selectorILNS1_17partition_subalgoE0EyNS0_10empty_typeEbEEZZNS1_14partition_implILS5_0ELb0ES3_jN6thrust23THRUST_200600_302600_NS6detail15normal_iteratorINSA_10device_ptrIyEEEEPS6_SG_NS0_5tupleIJSF_SF_EEENSH_IJSG_SG_EEES6_PlJ7is_evenIyEEEE10hipError_tPvRmT3_T4_T5_T6_T7_T9_mT8_P12ihipStream_tbDpT10_ENKUlT_T0_E_clISt17integral_constantIbLb0EES15_IbLb1EEEEDaS11_S12_EUlS11_E_NS1_11comp_targetILNS1_3genE8ELNS1_11target_archE1030ELNS1_3gpuE2ELNS1_3repE0EEENS1_30default_config_static_selectorELNS0_4arch9wavefront6targetE1EEEvT1_, .Lfunc_end2135-_ZN7rocprim17ROCPRIM_400000_NS6detail17trampoline_kernelINS0_14default_configENS1_25partition_config_selectorILNS1_17partition_subalgoE0EyNS0_10empty_typeEbEEZZNS1_14partition_implILS5_0ELb0ES3_jN6thrust23THRUST_200600_302600_NS6detail15normal_iteratorINSA_10device_ptrIyEEEEPS6_SG_NS0_5tupleIJSF_SF_EEENSH_IJSG_SG_EEES6_PlJ7is_evenIyEEEE10hipError_tPvRmT3_T4_T5_T6_T7_T9_mT8_P12ihipStream_tbDpT10_ENKUlT_T0_E_clISt17integral_constantIbLb0EES15_IbLb1EEEEDaS11_S12_EUlS11_E_NS1_11comp_targetILNS1_3genE8ELNS1_11target_archE1030ELNS1_3gpuE2ELNS1_3repE0EEENS1_30default_config_static_selectorELNS0_4arch9wavefront6targetE1EEEvT1_
                                        ; -- End function
	.section	.AMDGPU.csdata,"",@progbits
; Kernel info:
; codeLenInByte = 0
; NumSgprs: 4
; NumVgprs: 0
; NumAgprs: 0
; TotalNumVgprs: 0
; ScratchSize: 0
; MemoryBound: 0
; FloatMode: 240
; IeeeMode: 1
; LDSByteSize: 0 bytes/workgroup (compile time only)
; SGPRBlocks: 0
; VGPRBlocks: 0
; NumSGPRsForWavesPerEU: 4
; NumVGPRsForWavesPerEU: 1
; AccumOffset: 4
; Occupancy: 8
; WaveLimiterHint : 0
; COMPUTE_PGM_RSRC2:SCRATCH_EN: 0
; COMPUTE_PGM_RSRC2:USER_SGPR: 6
; COMPUTE_PGM_RSRC2:TRAP_HANDLER: 0
; COMPUTE_PGM_RSRC2:TGID_X_EN: 1
; COMPUTE_PGM_RSRC2:TGID_Y_EN: 0
; COMPUTE_PGM_RSRC2:TGID_Z_EN: 0
; COMPUTE_PGM_RSRC2:TIDIG_COMP_CNT: 0
; COMPUTE_PGM_RSRC3_GFX90A:ACCUM_OFFSET: 0
; COMPUTE_PGM_RSRC3_GFX90A:TG_SPLIT: 0
	.section	.text._ZN6thrust23THRUST_200600_302600_NS11hip_rocprim14__parallel_for6kernelILj256ENS1_20__uninitialized_fill7functorINS0_10device_ptrIjEEjEEmLj1EEEvT0_T1_SA_,"axG",@progbits,_ZN6thrust23THRUST_200600_302600_NS11hip_rocprim14__parallel_for6kernelILj256ENS1_20__uninitialized_fill7functorINS0_10device_ptrIjEEjEEmLj1EEEvT0_T1_SA_,comdat
	.protected	_ZN6thrust23THRUST_200600_302600_NS11hip_rocprim14__parallel_for6kernelILj256ENS1_20__uninitialized_fill7functorINS0_10device_ptrIjEEjEEmLj1EEEvT0_T1_SA_ ; -- Begin function _ZN6thrust23THRUST_200600_302600_NS11hip_rocprim14__parallel_for6kernelILj256ENS1_20__uninitialized_fill7functorINS0_10device_ptrIjEEjEEmLj1EEEvT0_T1_SA_
	.globl	_ZN6thrust23THRUST_200600_302600_NS11hip_rocprim14__parallel_for6kernelILj256ENS1_20__uninitialized_fill7functorINS0_10device_ptrIjEEjEEmLj1EEEvT0_T1_SA_
	.p2align	8
	.type	_ZN6thrust23THRUST_200600_302600_NS11hip_rocprim14__parallel_for6kernelILj256ENS1_20__uninitialized_fill7functorINS0_10device_ptrIjEEjEEmLj1EEEvT0_T1_SA_,@function
_ZN6thrust23THRUST_200600_302600_NS11hip_rocprim14__parallel_for6kernelILj256ENS1_20__uninitialized_fill7functorINS0_10device_ptrIjEEjEEmLj1EEEvT0_T1_SA_: ; @_ZN6thrust23THRUST_200600_302600_NS11hip_rocprim14__parallel_for6kernelILj256ENS1_20__uninitialized_fill7functorINS0_10device_ptrIjEEjEEmLj1EEEvT0_T1_SA_
; %bb.0:
	s_load_dwordx4 s[8:11], s[4:5], 0x10
	s_lshl_b32 s0, s6, 8
	v_mov_b32_e32 v2, 0x100
	v_mov_b32_e32 v3, 0
	s_waitcnt lgkmcnt(0)
	s_add_u32 s0, s0, s10
	s_addc_u32 s1, 0, s11
	s_sub_u32 s2, s8, s0
	s_subb_u32 s3, s9, s1
	v_cmp_lt_u64_e32 vcc, s[2:3], v[2:3]
	s_cbranch_vccz .LBB2136_2
; %bb.1:
	v_cmp_gt_u32_e32 vcc, s2, v0
	s_and_b64 s[2:3], vcc, exec
	s_cbranch_execz .LBB2136_3
	s_branch .LBB2136_4
.LBB2136_2:
	s_mov_b64 s[2:3], 0
.LBB2136_3:
	s_or_b64 s[2:3], s[2:3], exec
.LBB2136_4:
	s_and_saveexec_b64 s[6:7], s[2:3]
	s_cbranch_execnz .LBB2136_6
; %bb.5:
	s_endpgm
.LBB2136_6:
	s_load_dwordx2 s[2:3], s[4:5], 0x0
	s_load_dword s6, s[4:5], 0x8
	s_lshl_b64 s[0:1], s[0:1], 2
	v_mov_b32_e32 v1, 0
	v_lshlrev_b64 v[0:1], 2, v[0:1]
	s_waitcnt lgkmcnt(0)
	s_add_u32 s0, s2, s0
	s_addc_u32 s1, s3, s1
	v_mov_b32_e32 v2, s1
	v_add_co_u32_e32 v0, vcc, s0, v0
	v_addc_co_u32_e32 v1, vcc, v2, v1, vcc
	v_mov_b32_e32 v2, s6
	flat_store_dword v[0:1], v2
	s_endpgm
	.section	.rodata,"a",@progbits
	.p2align	6, 0x0
	.amdhsa_kernel _ZN6thrust23THRUST_200600_302600_NS11hip_rocprim14__parallel_for6kernelILj256ENS1_20__uninitialized_fill7functorINS0_10device_ptrIjEEjEEmLj1EEEvT0_T1_SA_
		.amdhsa_group_segment_fixed_size 0
		.amdhsa_private_segment_fixed_size 0
		.amdhsa_kernarg_size 32
		.amdhsa_user_sgpr_count 6
		.amdhsa_user_sgpr_private_segment_buffer 1
		.amdhsa_user_sgpr_dispatch_ptr 0
		.amdhsa_user_sgpr_queue_ptr 0
		.amdhsa_user_sgpr_kernarg_segment_ptr 1
		.amdhsa_user_sgpr_dispatch_id 0
		.amdhsa_user_sgpr_flat_scratch_init 0
		.amdhsa_user_sgpr_kernarg_preload_length 0
		.amdhsa_user_sgpr_kernarg_preload_offset 0
		.amdhsa_user_sgpr_private_segment_size 0
		.amdhsa_uses_dynamic_stack 0
		.amdhsa_system_sgpr_private_segment_wavefront_offset 0
		.amdhsa_system_sgpr_workgroup_id_x 1
		.amdhsa_system_sgpr_workgroup_id_y 0
		.amdhsa_system_sgpr_workgroup_id_z 0
		.amdhsa_system_sgpr_workgroup_info 0
		.amdhsa_system_vgpr_workitem_id 0
		.amdhsa_next_free_vgpr 4
		.amdhsa_next_free_sgpr 12
		.amdhsa_accum_offset 4
		.amdhsa_reserve_vcc 1
		.amdhsa_reserve_flat_scratch 0
		.amdhsa_float_round_mode_32 0
		.amdhsa_float_round_mode_16_64 0
		.amdhsa_float_denorm_mode_32 3
		.amdhsa_float_denorm_mode_16_64 3
		.amdhsa_dx10_clamp 1
		.amdhsa_ieee_mode 1
		.amdhsa_fp16_overflow 0
		.amdhsa_tg_split 0
		.amdhsa_exception_fp_ieee_invalid_op 0
		.amdhsa_exception_fp_denorm_src 0
		.amdhsa_exception_fp_ieee_div_zero 0
		.amdhsa_exception_fp_ieee_overflow 0
		.amdhsa_exception_fp_ieee_underflow 0
		.amdhsa_exception_fp_ieee_inexact 0
		.amdhsa_exception_int_div_zero 0
	.end_amdhsa_kernel
	.section	.text._ZN6thrust23THRUST_200600_302600_NS11hip_rocprim14__parallel_for6kernelILj256ENS1_20__uninitialized_fill7functorINS0_10device_ptrIjEEjEEmLj1EEEvT0_T1_SA_,"axG",@progbits,_ZN6thrust23THRUST_200600_302600_NS11hip_rocprim14__parallel_for6kernelILj256ENS1_20__uninitialized_fill7functorINS0_10device_ptrIjEEjEEmLj1EEEvT0_T1_SA_,comdat
.Lfunc_end2136:
	.size	_ZN6thrust23THRUST_200600_302600_NS11hip_rocprim14__parallel_for6kernelILj256ENS1_20__uninitialized_fill7functorINS0_10device_ptrIjEEjEEmLj1EEEvT0_T1_SA_, .Lfunc_end2136-_ZN6thrust23THRUST_200600_302600_NS11hip_rocprim14__parallel_for6kernelILj256ENS1_20__uninitialized_fill7functorINS0_10device_ptrIjEEjEEmLj1EEEvT0_T1_SA_
                                        ; -- End function
	.section	.AMDGPU.csdata,"",@progbits
; Kernel info:
; codeLenInByte = 160
; NumSgprs: 16
; NumVgprs: 4
; NumAgprs: 0
; TotalNumVgprs: 4
; ScratchSize: 0
; MemoryBound: 0
; FloatMode: 240
; IeeeMode: 1
; LDSByteSize: 0 bytes/workgroup (compile time only)
; SGPRBlocks: 1
; VGPRBlocks: 0
; NumSGPRsForWavesPerEU: 16
; NumVGPRsForWavesPerEU: 4
; AccumOffset: 4
; Occupancy: 8
; WaveLimiterHint : 0
; COMPUTE_PGM_RSRC2:SCRATCH_EN: 0
; COMPUTE_PGM_RSRC2:USER_SGPR: 6
; COMPUTE_PGM_RSRC2:TRAP_HANDLER: 0
; COMPUTE_PGM_RSRC2:TGID_X_EN: 1
; COMPUTE_PGM_RSRC2:TGID_Y_EN: 0
; COMPUTE_PGM_RSRC2:TGID_Z_EN: 0
; COMPUTE_PGM_RSRC2:TIDIG_COMP_CNT: 0
; COMPUTE_PGM_RSRC3_GFX90A:ACCUM_OFFSET: 0
; COMPUTE_PGM_RSRC3_GFX90A:TG_SPLIT: 0
	.section	.text._ZN7rocprim17ROCPRIM_400000_NS6detail17trampoline_kernelINS0_14default_configENS1_25partition_config_selectorILNS1_17partition_subalgoE0EjNS0_10empty_typeEbEEZZNS1_14partition_implILS5_0ELb0ES3_jN6thrust23THRUST_200600_302600_NS6detail15normal_iteratorINSA_10device_ptrIjEEEEPS6_SG_NS0_5tupleIJSF_SF_EEENSH_IJSG_SG_EEES6_PlJ7is_evenIjEEEE10hipError_tPvRmT3_T4_T5_T6_T7_T9_mT8_P12ihipStream_tbDpT10_ENKUlT_T0_E_clISt17integral_constantIbLb0EES16_EEDaS11_S12_EUlS11_E_NS1_11comp_targetILNS1_3genE0ELNS1_11target_archE4294967295ELNS1_3gpuE0ELNS1_3repE0EEENS1_30default_config_static_selectorELNS0_4arch9wavefront6targetE1EEEvT1_,"axG",@progbits,_ZN7rocprim17ROCPRIM_400000_NS6detail17trampoline_kernelINS0_14default_configENS1_25partition_config_selectorILNS1_17partition_subalgoE0EjNS0_10empty_typeEbEEZZNS1_14partition_implILS5_0ELb0ES3_jN6thrust23THRUST_200600_302600_NS6detail15normal_iteratorINSA_10device_ptrIjEEEEPS6_SG_NS0_5tupleIJSF_SF_EEENSH_IJSG_SG_EEES6_PlJ7is_evenIjEEEE10hipError_tPvRmT3_T4_T5_T6_T7_T9_mT8_P12ihipStream_tbDpT10_ENKUlT_T0_E_clISt17integral_constantIbLb0EES16_EEDaS11_S12_EUlS11_E_NS1_11comp_targetILNS1_3genE0ELNS1_11target_archE4294967295ELNS1_3gpuE0ELNS1_3repE0EEENS1_30default_config_static_selectorELNS0_4arch9wavefront6targetE1EEEvT1_,comdat
	.protected	_ZN7rocprim17ROCPRIM_400000_NS6detail17trampoline_kernelINS0_14default_configENS1_25partition_config_selectorILNS1_17partition_subalgoE0EjNS0_10empty_typeEbEEZZNS1_14partition_implILS5_0ELb0ES3_jN6thrust23THRUST_200600_302600_NS6detail15normal_iteratorINSA_10device_ptrIjEEEEPS6_SG_NS0_5tupleIJSF_SF_EEENSH_IJSG_SG_EEES6_PlJ7is_evenIjEEEE10hipError_tPvRmT3_T4_T5_T6_T7_T9_mT8_P12ihipStream_tbDpT10_ENKUlT_T0_E_clISt17integral_constantIbLb0EES16_EEDaS11_S12_EUlS11_E_NS1_11comp_targetILNS1_3genE0ELNS1_11target_archE4294967295ELNS1_3gpuE0ELNS1_3repE0EEENS1_30default_config_static_selectorELNS0_4arch9wavefront6targetE1EEEvT1_ ; -- Begin function _ZN7rocprim17ROCPRIM_400000_NS6detail17trampoline_kernelINS0_14default_configENS1_25partition_config_selectorILNS1_17partition_subalgoE0EjNS0_10empty_typeEbEEZZNS1_14partition_implILS5_0ELb0ES3_jN6thrust23THRUST_200600_302600_NS6detail15normal_iteratorINSA_10device_ptrIjEEEEPS6_SG_NS0_5tupleIJSF_SF_EEENSH_IJSG_SG_EEES6_PlJ7is_evenIjEEEE10hipError_tPvRmT3_T4_T5_T6_T7_T9_mT8_P12ihipStream_tbDpT10_ENKUlT_T0_E_clISt17integral_constantIbLb0EES16_EEDaS11_S12_EUlS11_E_NS1_11comp_targetILNS1_3genE0ELNS1_11target_archE4294967295ELNS1_3gpuE0ELNS1_3repE0EEENS1_30default_config_static_selectorELNS0_4arch9wavefront6targetE1EEEvT1_
	.globl	_ZN7rocprim17ROCPRIM_400000_NS6detail17trampoline_kernelINS0_14default_configENS1_25partition_config_selectorILNS1_17partition_subalgoE0EjNS0_10empty_typeEbEEZZNS1_14partition_implILS5_0ELb0ES3_jN6thrust23THRUST_200600_302600_NS6detail15normal_iteratorINSA_10device_ptrIjEEEEPS6_SG_NS0_5tupleIJSF_SF_EEENSH_IJSG_SG_EEES6_PlJ7is_evenIjEEEE10hipError_tPvRmT3_T4_T5_T6_T7_T9_mT8_P12ihipStream_tbDpT10_ENKUlT_T0_E_clISt17integral_constantIbLb0EES16_EEDaS11_S12_EUlS11_E_NS1_11comp_targetILNS1_3genE0ELNS1_11target_archE4294967295ELNS1_3gpuE0ELNS1_3repE0EEENS1_30default_config_static_selectorELNS0_4arch9wavefront6targetE1EEEvT1_
	.p2align	8
	.type	_ZN7rocprim17ROCPRIM_400000_NS6detail17trampoline_kernelINS0_14default_configENS1_25partition_config_selectorILNS1_17partition_subalgoE0EjNS0_10empty_typeEbEEZZNS1_14partition_implILS5_0ELb0ES3_jN6thrust23THRUST_200600_302600_NS6detail15normal_iteratorINSA_10device_ptrIjEEEEPS6_SG_NS0_5tupleIJSF_SF_EEENSH_IJSG_SG_EEES6_PlJ7is_evenIjEEEE10hipError_tPvRmT3_T4_T5_T6_T7_T9_mT8_P12ihipStream_tbDpT10_ENKUlT_T0_E_clISt17integral_constantIbLb0EES16_EEDaS11_S12_EUlS11_E_NS1_11comp_targetILNS1_3genE0ELNS1_11target_archE4294967295ELNS1_3gpuE0ELNS1_3repE0EEENS1_30default_config_static_selectorELNS0_4arch9wavefront6targetE1EEEvT1_,@function
_ZN7rocprim17ROCPRIM_400000_NS6detail17trampoline_kernelINS0_14default_configENS1_25partition_config_selectorILNS1_17partition_subalgoE0EjNS0_10empty_typeEbEEZZNS1_14partition_implILS5_0ELb0ES3_jN6thrust23THRUST_200600_302600_NS6detail15normal_iteratorINSA_10device_ptrIjEEEEPS6_SG_NS0_5tupleIJSF_SF_EEENSH_IJSG_SG_EEES6_PlJ7is_evenIjEEEE10hipError_tPvRmT3_T4_T5_T6_T7_T9_mT8_P12ihipStream_tbDpT10_ENKUlT_T0_E_clISt17integral_constantIbLb0EES16_EEDaS11_S12_EUlS11_E_NS1_11comp_targetILNS1_3genE0ELNS1_11target_archE4294967295ELNS1_3gpuE0ELNS1_3repE0EEENS1_30default_config_static_selectorELNS0_4arch9wavefront6targetE1EEEvT1_: ; @_ZN7rocprim17ROCPRIM_400000_NS6detail17trampoline_kernelINS0_14default_configENS1_25partition_config_selectorILNS1_17partition_subalgoE0EjNS0_10empty_typeEbEEZZNS1_14partition_implILS5_0ELb0ES3_jN6thrust23THRUST_200600_302600_NS6detail15normal_iteratorINSA_10device_ptrIjEEEEPS6_SG_NS0_5tupleIJSF_SF_EEENSH_IJSG_SG_EEES6_PlJ7is_evenIjEEEE10hipError_tPvRmT3_T4_T5_T6_T7_T9_mT8_P12ihipStream_tbDpT10_ENKUlT_T0_E_clISt17integral_constantIbLb0EES16_EEDaS11_S12_EUlS11_E_NS1_11comp_targetILNS1_3genE0ELNS1_11target_archE4294967295ELNS1_3gpuE0ELNS1_3repE0EEENS1_30default_config_static_selectorELNS0_4arch9wavefront6targetE1EEEvT1_
; %bb.0:
	.section	.rodata,"a",@progbits
	.p2align	6, 0x0
	.amdhsa_kernel _ZN7rocprim17ROCPRIM_400000_NS6detail17trampoline_kernelINS0_14default_configENS1_25partition_config_selectorILNS1_17partition_subalgoE0EjNS0_10empty_typeEbEEZZNS1_14partition_implILS5_0ELb0ES3_jN6thrust23THRUST_200600_302600_NS6detail15normal_iteratorINSA_10device_ptrIjEEEEPS6_SG_NS0_5tupleIJSF_SF_EEENSH_IJSG_SG_EEES6_PlJ7is_evenIjEEEE10hipError_tPvRmT3_T4_T5_T6_T7_T9_mT8_P12ihipStream_tbDpT10_ENKUlT_T0_E_clISt17integral_constantIbLb0EES16_EEDaS11_S12_EUlS11_E_NS1_11comp_targetILNS1_3genE0ELNS1_11target_archE4294967295ELNS1_3gpuE0ELNS1_3repE0EEENS1_30default_config_static_selectorELNS0_4arch9wavefront6targetE1EEEvT1_
		.amdhsa_group_segment_fixed_size 0
		.amdhsa_private_segment_fixed_size 0
		.amdhsa_kernarg_size 120
		.amdhsa_user_sgpr_count 6
		.amdhsa_user_sgpr_private_segment_buffer 1
		.amdhsa_user_sgpr_dispatch_ptr 0
		.amdhsa_user_sgpr_queue_ptr 0
		.amdhsa_user_sgpr_kernarg_segment_ptr 1
		.amdhsa_user_sgpr_dispatch_id 0
		.amdhsa_user_sgpr_flat_scratch_init 0
		.amdhsa_user_sgpr_kernarg_preload_length 0
		.amdhsa_user_sgpr_kernarg_preload_offset 0
		.amdhsa_user_sgpr_private_segment_size 0
		.amdhsa_uses_dynamic_stack 0
		.amdhsa_system_sgpr_private_segment_wavefront_offset 0
		.amdhsa_system_sgpr_workgroup_id_x 1
		.amdhsa_system_sgpr_workgroup_id_y 0
		.amdhsa_system_sgpr_workgroup_id_z 0
		.amdhsa_system_sgpr_workgroup_info 0
		.amdhsa_system_vgpr_workitem_id 0
		.amdhsa_next_free_vgpr 1
		.amdhsa_next_free_sgpr 0
		.amdhsa_accum_offset 4
		.amdhsa_reserve_vcc 0
		.amdhsa_reserve_flat_scratch 0
		.amdhsa_float_round_mode_32 0
		.amdhsa_float_round_mode_16_64 0
		.amdhsa_float_denorm_mode_32 3
		.amdhsa_float_denorm_mode_16_64 3
		.amdhsa_dx10_clamp 1
		.amdhsa_ieee_mode 1
		.amdhsa_fp16_overflow 0
		.amdhsa_tg_split 0
		.amdhsa_exception_fp_ieee_invalid_op 0
		.amdhsa_exception_fp_denorm_src 0
		.amdhsa_exception_fp_ieee_div_zero 0
		.amdhsa_exception_fp_ieee_overflow 0
		.amdhsa_exception_fp_ieee_underflow 0
		.amdhsa_exception_fp_ieee_inexact 0
		.amdhsa_exception_int_div_zero 0
	.end_amdhsa_kernel
	.section	.text._ZN7rocprim17ROCPRIM_400000_NS6detail17trampoline_kernelINS0_14default_configENS1_25partition_config_selectorILNS1_17partition_subalgoE0EjNS0_10empty_typeEbEEZZNS1_14partition_implILS5_0ELb0ES3_jN6thrust23THRUST_200600_302600_NS6detail15normal_iteratorINSA_10device_ptrIjEEEEPS6_SG_NS0_5tupleIJSF_SF_EEENSH_IJSG_SG_EEES6_PlJ7is_evenIjEEEE10hipError_tPvRmT3_T4_T5_T6_T7_T9_mT8_P12ihipStream_tbDpT10_ENKUlT_T0_E_clISt17integral_constantIbLb0EES16_EEDaS11_S12_EUlS11_E_NS1_11comp_targetILNS1_3genE0ELNS1_11target_archE4294967295ELNS1_3gpuE0ELNS1_3repE0EEENS1_30default_config_static_selectorELNS0_4arch9wavefront6targetE1EEEvT1_,"axG",@progbits,_ZN7rocprim17ROCPRIM_400000_NS6detail17trampoline_kernelINS0_14default_configENS1_25partition_config_selectorILNS1_17partition_subalgoE0EjNS0_10empty_typeEbEEZZNS1_14partition_implILS5_0ELb0ES3_jN6thrust23THRUST_200600_302600_NS6detail15normal_iteratorINSA_10device_ptrIjEEEEPS6_SG_NS0_5tupleIJSF_SF_EEENSH_IJSG_SG_EEES6_PlJ7is_evenIjEEEE10hipError_tPvRmT3_T4_T5_T6_T7_T9_mT8_P12ihipStream_tbDpT10_ENKUlT_T0_E_clISt17integral_constantIbLb0EES16_EEDaS11_S12_EUlS11_E_NS1_11comp_targetILNS1_3genE0ELNS1_11target_archE4294967295ELNS1_3gpuE0ELNS1_3repE0EEENS1_30default_config_static_selectorELNS0_4arch9wavefront6targetE1EEEvT1_,comdat
.Lfunc_end2137:
	.size	_ZN7rocprim17ROCPRIM_400000_NS6detail17trampoline_kernelINS0_14default_configENS1_25partition_config_selectorILNS1_17partition_subalgoE0EjNS0_10empty_typeEbEEZZNS1_14partition_implILS5_0ELb0ES3_jN6thrust23THRUST_200600_302600_NS6detail15normal_iteratorINSA_10device_ptrIjEEEEPS6_SG_NS0_5tupleIJSF_SF_EEENSH_IJSG_SG_EEES6_PlJ7is_evenIjEEEE10hipError_tPvRmT3_T4_T5_T6_T7_T9_mT8_P12ihipStream_tbDpT10_ENKUlT_T0_E_clISt17integral_constantIbLb0EES16_EEDaS11_S12_EUlS11_E_NS1_11comp_targetILNS1_3genE0ELNS1_11target_archE4294967295ELNS1_3gpuE0ELNS1_3repE0EEENS1_30default_config_static_selectorELNS0_4arch9wavefront6targetE1EEEvT1_, .Lfunc_end2137-_ZN7rocprim17ROCPRIM_400000_NS6detail17trampoline_kernelINS0_14default_configENS1_25partition_config_selectorILNS1_17partition_subalgoE0EjNS0_10empty_typeEbEEZZNS1_14partition_implILS5_0ELb0ES3_jN6thrust23THRUST_200600_302600_NS6detail15normal_iteratorINSA_10device_ptrIjEEEEPS6_SG_NS0_5tupleIJSF_SF_EEENSH_IJSG_SG_EEES6_PlJ7is_evenIjEEEE10hipError_tPvRmT3_T4_T5_T6_T7_T9_mT8_P12ihipStream_tbDpT10_ENKUlT_T0_E_clISt17integral_constantIbLb0EES16_EEDaS11_S12_EUlS11_E_NS1_11comp_targetILNS1_3genE0ELNS1_11target_archE4294967295ELNS1_3gpuE0ELNS1_3repE0EEENS1_30default_config_static_selectorELNS0_4arch9wavefront6targetE1EEEvT1_
                                        ; -- End function
	.section	.AMDGPU.csdata,"",@progbits
; Kernel info:
; codeLenInByte = 0
; NumSgprs: 4
; NumVgprs: 0
; NumAgprs: 0
; TotalNumVgprs: 0
; ScratchSize: 0
; MemoryBound: 0
; FloatMode: 240
; IeeeMode: 1
; LDSByteSize: 0 bytes/workgroup (compile time only)
; SGPRBlocks: 0
; VGPRBlocks: 0
; NumSGPRsForWavesPerEU: 4
; NumVGPRsForWavesPerEU: 1
; AccumOffset: 4
; Occupancy: 8
; WaveLimiterHint : 0
; COMPUTE_PGM_RSRC2:SCRATCH_EN: 0
; COMPUTE_PGM_RSRC2:USER_SGPR: 6
; COMPUTE_PGM_RSRC2:TRAP_HANDLER: 0
; COMPUTE_PGM_RSRC2:TGID_X_EN: 1
; COMPUTE_PGM_RSRC2:TGID_Y_EN: 0
; COMPUTE_PGM_RSRC2:TGID_Z_EN: 0
; COMPUTE_PGM_RSRC2:TIDIG_COMP_CNT: 0
; COMPUTE_PGM_RSRC3_GFX90A:ACCUM_OFFSET: 0
; COMPUTE_PGM_RSRC3_GFX90A:TG_SPLIT: 0
	.section	.text._ZN7rocprim17ROCPRIM_400000_NS6detail17trampoline_kernelINS0_14default_configENS1_25partition_config_selectorILNS1_17partition_subalgoE0EjNS0_10empty_typeEbEEZZNS1_14partition_implILS5_0ELb0ES3_jN6thrust23THRUST_200600_302600_NS6detail15normal_iteratorINSA_10device_ptrIjEEEEPS6_SG_NS0_5tupleIJSF_SF_EEENSH_IJSG_SG_EEES6_PlJ7is_evenIjEEEE10hipError_tPvRmT3_T4_T5_T6_T7_T9_mT8_P12ihipStream_tbDpT10_ENKUlT_T0_E_clISt17integral_constantIbLb0EES16_EEDaS11_S12_EUlS11_E_NS1_11comp_targetILNS1_3genE5ELNS1_11target_archE942ELNS1_3gpuE9ELNS1_3repE0EEENS1_30default_config_static_selectorELNS0_4arch9wavefront6targetE1EEEvT1_,"axG",@progbits,_ZN7rocprim17ROCPRIM_400000_NS6detail17trampoline_kernelINS0_14default_configENS1_25partition_config_selectorILNS1_17partition_subalgoE0EjNS0_10empty_typeEbEEZZNS1_14partition_implILS5_0ELb0ES3_jN6thrust23THRUST_200600_302600_NS6detail15normal_iteratorINSA_10device_ptrIjEEEEPS6_SG_NS0_5tupleIJSF_SF_EEENSH_IJSG_SG_EEES6_PlJ7is_evenIjEEEE10hipError_tPvRmT3_T4_T5_T6_T7_T9_mT8_P12ihipStream_tbDpT10_ENKUlT_T0_E_clISt17integral_constantIbLb0EES16_EEDaS11_S12_EUlS11_E_NS1_11comp_targetILNS1_3genE5ELNS1_11target_archE942ELNS1_3gpuE9ELNS1_3repE0EEENS1_30default_config_static_selectorELNS0_4arch9wavefront6targetE1EEEvT1_,comdat
	.protected	_ZN7rocprim17ROCPRIM_400000_NS6detail17trampoline_kernelINS0_14default_configENS1_25partition_config_selectorILNS1_17partition_subalgoE0EjNS0_10empty_typeEbEEZZNS1_14partition_implILS5_0ELb0ES3_jN6thrust23THRUST_200600_302600_NS6detail15normal_iteratorINSA_10device_ptrIjEEEEPS6_SG_NS0_5tupleIJSF_SF_EEENSH_IJSG_SG_EEES6_PlJ7is_evenIjEEEE10hipError_tPvRmT3_T4_T5_T6_T7_T9_mT8_P12ihipStream_tbDpT10_ENKUlT_T0_E_clISt17integral_constantIbLb0EES16_EEDaS11_S12_EUlS11_E_NS1_11comp_targetILNS1_3genE5ELNS1_11target_archE942ELNS1_3gpuE9ELNS1_3repE0EEENS1_30default_config_static_selectorELNS0_4arch9wavefront6targetE1EEEvT1_ ; -- Begin function _ZN7rocprim17ROCPRIM_400000_NS6detail17trampoline_kernelINS0_14default_configENS1_25partition_config_selectorILNS1_17partition_subalgoE0EjNS0_10empty_typeEbEEZZNS1_14partition_implILS5_0ELb0ES3_jN6thrust23THRUST_200600_302600_NS6detail15normal_iteratorINSA_10device_ptrIjEEEEPS6_SG_NS0_5tupleIJSF_SF_EEENSH_IJSG_SG_EEES6_PlJ7is_evenIjEEEE10hipError_tPvRmT3_T4_T5_T6_T7_T9_mT8_P12ihipStream_tbDpT10_ENKUlT_T0_E_clISt17integral_constantIbLb0EES16_EEDaS11_S12_EUlS11_E_NS1_11comp_targetILNS1_3genE5ELNS1_11target_archE942ELNS1_3gpuE9ELNS1_3repE0EEENS1_30default_config_static_selectorELNS0_4arch9wavefront6targetE1EEEvT1_
	.globl	_ZN7rocprim17ROCPRIM_400000_NS6detail17trampoline_kernelINS0_14default_configENS1_25partition_config_selectorILNS1_17partition_subalgoE0EjNS0_10empty_typeEbEEZZNS1_14partition_implILS5_0ELb0ES3_jN6thrust23THRUST_200600_302600_NS6detail15normal_iteratorINSA_10device_ptrIjEEEEPS6_SG_NS0_5tupleIJSF_SF_EEENSH_IJSG_SG_EEES6_PlJ7is_evenIjEEEE10hipError_tPvRmT3_T4_T5_T6_T7_T9_mT8_P12ihipStream_tbDpT10_ENKUlT_T0_E_clISt17integral_constantIbLb0EES16_EEDaS11_S12_EUlS11_E_NS1_11comp_targetILNS1_3genE5ELNS1_11target_archE942ELNS1_3gpuE9ELNS1_3repE0EEENS1_30default_config_static_selectorELNS0_4arch9wavefront6targetE1EEEvT1_
	.p2align	8
	.type	_ZN7rocprim17ROCPRIM_400000_NS6detail17trampoline_kernelINS0_14default_configENS1_25partition_config_selectorILNS1_17partition_subalgoE0EjNS0_10empty_typeEbEEZZNS1_14partition_implILS5_0ELb0ES3_jN6thrust23THRUST_200600_302600_NS6detail15normal_iteratorINSA_10device_ptrIjEEEEPS6_SG_NS0_5tupleIJSF_SF_EEENSH_IJSG_SG_EEES6_PlJ7is_evenIjEEEE10hipError_tPvRmT3_T4_T5_T6_T7_T9_mT8_P12ihipStream_tbDpT10_ENKUlT_T0_E_clISt17integral_constantIbLb0EES16_EEDaS11_S12_EUlS11_E_NS1_11comp_targetILNS1_3genE5ELNS1_11target_archE942ELNS1_3gpuE9ELNS1_3repE0EEENS1_30default_config_static_selectorELNS0_4arch9wavefront6targetE1EEEvT1_,@function
_ZN7rocprim17ROCPRIM_400000_NS6detail17trampoline_kernelINS0_14default_configENS1_25partition_config_selectorILNS1_17partition_subalgoE0EjNS0_10empty_typeEbEEZZNS1_14partition_implILS5_0ELb0ES3_jN6thrust23THRUST_200600_302600_NS6detail15normal_iteratorINSA_10device_ptrIjEEEEPS6_SG_NS0_5tupleIJSF_SF_EEENSH_IJSG_SG_EEES6_PlJ7is_evenIjEEEE10hipError_tPvRmT3_T4_T5_T6_T7_T9_mT8_P12ihipStream_tbDpT10_ENKUlT_T0_E_clISt17integral_constantIbLb0EES16_EEDaS11_S12_EUlS11_E_NS1_11comp_targetILNS1_3genE5ELNS1_11target_archE942ELNS1_3gpuE9ELNS1_3repE0EEENS1_30default_config_static_selectorELNS0_4arch9wavefront6targetE1EEEvT1_: ; @_ZN7rocprim17ROCPRIM_400000_NS6detail17trampoline_kernelINS0_14default_configENS1_25partition_config_selectorILNS1_17partition_subalgoE0EjNS0_10empty_typeEbEEZZNS1_14partition_implILS5_0ELb0ES3_jN6thrust23THRUST_200600_302600_NS6detail15normal_iteratorINSA_10device_ptrIjEEEEPS6_SG_NS0_5tupleIJSF_SF_EEENSH_IJSG_SG_EEES6_PlJ7is_evenIjEEEE10hipError_tPvRmT3_T4_T5_T6_T7_T9_mT8_P12ihipStream_tbDpT10_ENKUlT_T0_E_clISt17integral_constantIbLb0EES16_EEDaS11_S12_EUlS11_E_NS1_11comp_targetILNS1_3genE5ELNS1_11target_archE942ELNS1_3gpuE9ELNS1_3repE0EEENS1_30default_config_static_selectorELNS0_4arch9wavefront6targetE1EEEvT1_
; %bb.0:
	.section	.rodata,"a",@progbits
	.p2align	6, 0x0
	.amdhsa_kernel _ZN7rocprim17ROCPRIM_400000_NS6detail17trampoline_kernelINS0_14default_configENS1_25partition_config_selectorILNS1_17partition_subalgoE0EjNS0_10empty_typeEbEEZZNS1_14partition_implILS5_0ELb0ES3_jN6thrust23THRUST_200600_302600_NS6detail15normal_iteratorINSA_10device_ptrIjEEEEPS6_SG_NS0_5tupleIJSF_SF_EEENSH_IJSG_SG_EEES6_PlJ7is_evenIjEEEE10hipError_tPvRmT3_T4_T5_T6_T7_T9_mT8_P12ihipStream_tbDpT10_ENKUlT_T0_E_clISt17integral_constantIbLb0EES16_EEDaS11_S12_EUlS11_E_NS1_11comp_targetILNS1_3genE5ELNS1_11target_archE942ELNS1_3gpuE9ELNS1_3repE0EEENS1_30default_config_static_selectorELNS0_4arch9wavefront6targetE1EEEvT1_
		.amdhsa_group_segment_fixed_size 0
		.amdhsa_private_segment_fixed_size 0
		.amdhsa_kernarg_size 120
		.amdhsa_user_sgpr_count 6
		.amdhsa_user_sgpr_private_segment_buffer 1
		.amdhsa_user_sgpr_dispatch_ptr 0
		.amdhsa_user_sgpr_queue_ptr 0
		.amdhsa_user_sgpr_kernarg_segment_ptr 1
		.amdhsa_user_sgpr_dispatch_id 0
		.amdhsa_user_sgpr_flat_scratch_init 0
		.amdhsa_user_sgpr_kernarg_preload_length 0
		.amdhsa_user_sgpr_kernarg_preload_offset 0
		.amdhsa_user_sgpr_private_segment_size 0
		.amdhsa_uses_dynamic_stack 0
		.amdhsa_system_sgpr_private_segment_wavefront_offset 0
		.amdhsa_system_sgpr_workgroup_id_x 1
		.amdhsa_system_sgpr_workgroup_id_y 0
		.amdhsa_system_sgpr_workgroup_id_z 0
		.amdhsa_system_sgpr_workgroup_info 0
		.amdhsa_system_vgpr_workitem_id 0
		.amdhsa_next_free_vgpr 1
		.amdhsa_next_free_sgpr 0
		.amdhsa_accum_offset 4
		.amdhsa_reserve_vcc 0
		.amdhsa_reserve_flat_scratch 0
		.amdhsa_float_round_mode_32 0
		.amdhsa_float_round_mode_16_64 0
		.amdhsa_float_denorm_mode_32 3
		.amdhsa_float_denorm_mode_16_64 3
		.amdhsa_dx10_clamp 1
		.amdhsa_ieee_mode 1
		.amdhsa_fp16_overflow 0
		.amdhsa_tg_split 0
		.amdhsa_exception_fp_ieee_invalid_op 0
		.amdhsa_exception_fp_denorm_src 0
		.amdhsa_exception_fp_ieee_div_zero 0
		.amdhsa_exception_fp_ieee_overflow 0
		.amdhsa_exception_fp_ieee_underflow 0
		.amdhsa_exception_fp_ieee_inexact 0
		.amdhsa_exception_int_div_zero 0
	.end_amdhsa_kernel
	.section	.text._ZN7rocprim17ROCPRIM_400000_NS6detail17trampoline_kernelINS0_14default_configENS1_25partition_config_selectorILNS1_17partition_subalgoE0EjNS0_10empty_typeEbEEZZNS1_14partition_implILS5_0ELb0ES3_jN6thrust23THRUST_200600_302600_NS6detail15normal_iteratorINSA_10device_ptrIjEEEEPS6_SG_NS0_5tupleIJSF_SF_EEENSH_IJSG_SG_EEES6_PlJ7is_evenIjEEEE10hipError_tPvRmT3_T4_T5_T6_T7_T9_mT8_P12ihipStream_tbDpT10_ENKUlT_T0_E_clISt17integral_constantIbLb0EES16_EEDaS11_S12_EUlS11_E_NS1_11comp_targetILNS1_3genE5ELNS1_11target_archE942ELNS1_3gpuE9ELNS1_3repE0EEENS1_30default_config_static_selectorELNS0_4arch9wavefront6targetE1EEEvT1_,"axG",@progbits,_ZN7rocprim17ROCPRIM_400000_NS6detail17trampoline_kernelINS0_14default_configENS1_25partition_config_selectorILNS1_17partition_subalgoE0EjNS0_10empty_typeEbEEZZNS1_14partition_implILS5_0ELb0ES3_jN6thrust23THRUST_200600_302600_NS6detail15normal_iteratorINSA_10device_ptrIjEEEEPS6_SG_NS0_5tupleIJSF_SF_EEENSH_IJSG_SG_EEES6_PlJ7is_evenIjEEEE10hipError_tPvRmT3_T4_T5_T6_T7_T9_mT8_P12ihipStream_tbDpT10_ENKUlT_T0_E_clISt17integral_constantIbLb0EES16_EEDaS11_S12_EUlS11_E_NS1_11comp_targetILNS1_3genE5ELNS1_11target_archE942ELNS1_3gpuE9ELNS1_3repE0EEENS1_30default_config_static_selectorELNS0_4arch9wavefront6targetE1EEEvT1_,comdat
.Lfunc_end2138:
	.size	_ZN7rocprim17ROCPRIM_400000_NS6detail17trampoline_kernelINS0_14default_configENS1_25partition_config_selectorILNS1_17partition_subalgoE0EjNS0_10empty_typeEbEEZZNS1_14partition_implILS5_0ELb0ES3_jN6thrust23THRUST_200600_302600_NS6detail15normal_iteratorINSA_10device_ptrIjEEEEPS6_SG_NS0_5tupleIJSF_SF_EEENSH_IJSG_SG_EEES6_PlJ7is_evenIjEEEE10hipError_tPvRmT3_T4_T5_T6_T7_T9_mT8_P12ihipStream_tbDpT10_ENKUlT_T0_E_clISt17integral_constantIbLb0EES16_EEDaS11_S12_EUlS11_E_NS1_11comp_targetILNS1_3genE5ELNS1_11target_archE942ELNS1_3gpuE9ELNS1_3repE0EEENS1_30default_config_static_selectorELNS0_4arch9wavefront6targetE1EEEvT1_, .Lfunc_end2138-_ZN7rocprim17ROCPRIM_400000_NS6detail17trampoline_kernelINS0_14default_configENS1_25partition_config_selectorILNS1_17partition_subalgoE0EjNS0_10empty_typeEbEEZZNS1_14partition_implILS5_0ELb0ES3_jN6thrust23THRUST_200600_302600_NS6detail15normal_iteratorINSA_10device_ptrIjEEEEPS6_SG_NS0_5tupleIJSF_SF_EEENSH_IJSG_SG_EEES6_PlJ7is_evenIjEEEE10hipError_tPvRmT3_T4_T5_T6_T7_T9_mT8_P12ihipStream_tbDpT10_ENKUlT_T0_E_clISt17integral_constantIbLb0EES16_EEDaS11_S12_EUlS11_E_NS1_11comp_targetILNS1_3genE5ELNS1_11target_archE942ELNS1_3gpuE9ELNS1_3repE0EEENS1_30default_config_static_selectorELNS0_4arch9wavefront6targetE1EEEvT1_
                                        ; -- End function
	.section	.AMDGPU.csdata,"",@progbits
; Kernel info:
; codeLenInByte = 0
; NumSgprs: 4
; NumVgprs: 0
; NumAgprs: 0
; TotalNumVgprs: 0
; ScratchSize: 0
; MemoryBound: 0
; FloatMode: 240
; IeeeMode: 1
; LDSByteSize: 0 bytes/workgroup (compile time only)
; SGPRBlocks: 0
; VGPRBlocks: 0
; NumSGPRsForWavesPerEU: 4
; NumVGPRsForWavesPerEU: 1
; AccumOffset: 4
; Occupancy: 8
; WaveLimiterHint : 0
; COMPUTE_PGM_RSRC2:SCRATCH_EN: 0
; COMPUTE_PGM_RSRC2:USER_SGPR: 6
; COMPUTE_PGM_RSRC2:TRAP_HANDLER: 0
; COMPUTE_PGM_RSRC2:TGID_X_EN: 1
; COMPUTE_PGM_RSRC2:TGID_Y_EN: 0
; COMPUTE_PGM_RSRC2:TGID_Z_EN: 0
; COMPUTE_PGM_RSRC2:TIDIG_COMP_CNT: 0
; COMPUTE_PGM_RSRC3_GFX90A:ACCUM_OFFSET: 0
; COMPUTE_PGM_RSRC3_GFX90A:TG_SPLIT: 0
	.section	.text._ZN7rocprim17ROCPRIM_400000_NS6detail17trampoline_kernelINS0_14default_configENS1_25partition_config_selectorILNS1_17partition_subalgoE0EjNS0_10empty_typeEbEEZZNS1_14partition_implILS5_0ELb0ES3_jN6thrust23THRUST_200600_302600_NS6detail15normal_iteratorINSA_10device_ptrIjEEEEPS6_SG_NS0_5tupleIJSF_SF_EEENSH_IJSG_SG_EEES6_PlJ7is_evenIjEEEE10hipError_tPvRmT3_T4_T5_T6_T7_T9_mT8_P12ihipStream_tbDpT10_ENKUlT_T0_E_clISt17integral_constantIbLb0EES16_EEDaS11_S12_EUlS11_E_NS1_11comp_targetILNS1_3genE4ELNS1_11target_archE910ELNS1_3gpuE8ELNS1_3repE0EEENS1_30default_config_static_selectorELNS0_4arch9wavefront6targetE1EEEvT1_,"axG",@progbits,_ZN7rocprim17ROCPRIM_400000_NS6detail17trampoline_kernelINS0_14default_configENS1_25partition_config_selectorILNS1_17partition_subalgoE0EjNS0_10empty_typeEbEEZZNS1_14partition_implILS5_0ELb0ES3_jN6thrust23THRUST_200600_302600_NS6detail15normal_iteratorINSA_10device_ptrIjEEEEPS6_SG_NS0_5tupleIJSF_SF_EEENSH_IJSG_SG_EEES6_PlJ7is_evenIjEEEE10hipError_tPvRmT3_T4_T5_T6_T7_T9_mT8_P12ihipStream_tbDpT10_ENKUlT_T0_E_clISt17integral_constantIbLb0EES16_EEDaS11_S12_EUlS11_E_NS1_11comp_targetILNS1_3genE4ELNS1_11target_archE910ELNS1_3gpuE8ELNS1_3repE0EEENS1_30default_config_static_selectorELNS0_4arch9wavefront6targetE1EEEvT1_,comdat
	.protected	_ZN7rocprim17ROCPRIM_400000_NS6detail17trampoline_kernelINS0_14default_configENS1_25partition_config_selectorILNS1_17partition_subalgoE0EjNS0_10empty_typeEbEEZZNS1_14partition_implILS5_0ELb0ES3_jN6thrust23THRUST_200600_302600_NS6detail15normal_iteratorINSA_10device_ptrIjEEEEPS6_SG_NS0_5tupleIJSF_SF_EEENSH_IJSG_SG_EEES6_PlJ7is_evenIjEEEE10hipError_tPvRmT3_T4_T5_T6_T7_T9_mT8_P12ihipStream_tbDpT10_ENKUlT_T0_E_clISt17integral_constantIbLb0EES16_EEDaS11_S12_EUlS11_E_NS1_11comp_targetILNS1_3genE4ELNS1_11target_archE910ELNS1_3gpuE8ELNS1_3repE0EEENS1_30default_config_static_selectorELNS0_4arch9wavefront6targetE1EEEvT1_ ; -- Begin function _ZN7rocprim17ROCPRIM_400000_NS6detail17trampoline_kernelINS0_14default_configENS1_25partition_config_selectorILNS1_17partition_subalgoE0EjNS0_10empty_typeEbEEZZNS1_14partition_implILS5_0ELb0ES3_jN6thrust23THRUST_200600_302600_NS6detail15normal_iteratorINSA_10device_ptrIjEEEEPS6_SG_NS0_5tupleIJSF_SF_EEENSH_IJSG_SG_EEES6_PlJ7is_evenIjEEEE10hipError_tPvRmT3_T4_T5_T6_T7_T9_mT8_P12ihipStream_tbDpT10_ENKUlT_T0_E_clISt17integral_constantIbLb0EES16_EEDaS11_S12_EUlS11_E_NS1_11comp_targetILNS1_3genE4ELNS1_11target_archE910ELNS1_3gpuE8ELNS1_3repE0EEENS1_30default_config_static_selectorELNS0_4arch9wavefront6targetE1EEEvT1_
	.globl	_ZN7rocprim17ROCPRIM_400000_NS6detail17trampoline_kernelINS0_14default_configENS1_25partition_config_selectorILNS1_17partition_subalgoE0EjNS0_10empty_typeEbEEZZNS1_14partition_implILS5_0ELb0ES3_jN6thrust23THRUST_200600_302600_NS6detail15normal_iteratorINSA_10device_ptrIjEEEEPS6_SG_NS0_5tupleIJSF_SF_EEENSH_IJSG_SG_EEES6_PlJ7is_evenIjEEEE10hipError_tPvRmT3_T4_T5_T6_T7_T9_mT8_P12ihipStream_tbDpT10_ENKUlT_T0_E_clISt17integral_constantIbLb0EES16_EEDaS11_S12_EUlS11_E_NS1_11comp_targetILNS1_3genE4ELNS1_11target_archE910ELNS1_3gpuE8ELNS1_3repE0EEENS1_30default_config_static_selectorELNS0_4arch9wavefront6targetE1EEEvT1_
	.p2align	8
	.type	_ZN7rocprim17ROCPRIM_400000_NS6detail17trampoline_kernelINS0_14default_configENS1_25partition_config_selectorILNS1_17partition_subalgoE0EjNS0_10empty_typeEbEEZZNS1_14partition_implILS5_0ELb0ES3_jN6thrust23THRUST_200600_302600_NS6detail15normal_iteratorINSA_10device_ptrIjEEEEPS6_SG_NS0_5tupleIJSF_SF_EEENSH_IJSG_SG_EEES6_PlJ7is_evenIjEEEE10hipError_tPvRmT3_T4_T5_T6_T7_T9_mT8_P12ihipStream_tbDpT10_ENKUlT_T0_E_clISt17integral_constantIbLb0EES16_EEDaS11_S12_EUlS11_E_NS1_11comp_targetILNS1_3genE4ELNS1_11target_archE910ELNS1_3gpuE8ELNS1_3repE0EEENS1_30default_config_static_selectorELNS0_4arch9wavefront6targetE1EEEvT1_,@function
_ZN7rocprim17ROCPRIM_400000_NS6detail17trampoline_kernelINS0_14default_configENS1_25partition_config_selectorILNS1_17partition_subalgoE0EjNS0_10empty_typeEbEEZZNS1_14partition_implILS5_0ELb0ES3_jN6thrust23THRUST_200600_302600_NS6detail15normal_iteratorINSA_10device_ptrIjEEEEPS6_SG_NS0_5tupleIJSF_SF_EEENSH_IJSG_SG_EEES6_PlJ7is_evenIjEEEE10hipError_tPvRmT3_T4_T5_T6_T7_T9_mT8_P12ihipStream_tbDpT10_ENKUlT_T0_E_clISt17integral_constantIbLb0EES16_EEDaS11_S12_EUlS11_E_NS1_11comp_targetILNS1_3genE4ELNS1_11target_archE910ELNS1_3gpuE8ELNS1_3repE0EEENS1_30default_config_static_selectorELNS0_4arch9wavefront6targetE1EEEvT1_: ; @_ZN7rocprim17ROCPRIM_400000_NS6detail17trampoline_kernelINS0_14default_configENS1_25partition_config_selectorILNS1_17partition_subalgoE0EjNS0_10empty_typeEbEEZZNS1_14partition_implILS5_0ELb0ES3_jN6thrust23THRUST_200600_302600_NS6detail15normal_iteratorINSA_10device_ptrIjEEEEPS6_SG_NS0_5tupleIJSF_SF_EEENSH_IJSG_SG_EEES6_PlJ7is_evenIjEEEE10hipError_tPvRmT3_T4_T5_T6_T7_T9_mT8_P12ihipStream_tbDpT10_ENKUlT_T0_E_clISt17integral_constantIbLb0EES16_EEDaS11_S12_EUlS11_E_NS1_11comp_targetILNS1_3genE4ELNS1_11target_archE910ELNS1_3gpuE8ELNS1_3repE0EEENS1_30default_config_static_selectorELNS0_4arch9wavefront6targetE1EEEvT1_
; %bb.0:
	s_load_dwordx2 s[0:1], s[4:5], 0x58
	s_load_dwordx4 s[20:23], s[4:5], 0x8
	s_load_dwordx4 s[24:27], s[4:5], 0x48
	s_load_dword s7, s[4:5], 0x70
	s_mul_i32 s8, s6, 0xa00
	s_waitcnt lgkmcnt(0)
	v_mov_b32_e32 v3, s1
	s_lshl_b64 s[2:3], s[22:23], 2
	s_add_u32 s10, s20, s2
	s_mul_i32 s1, s7, 0xa00
	s_addc_u32 s11, s21, s3
	s_add_i32 s3, s1, s22
	s_sub_i32 s33, s0, s3
	s_add_i32 s2, s7, -1
	s_addk_i32 s33, 0xa00
	v_mov_b32_e32 v2, s0
	s_add_u32 s0, s22, s1
	s_addc_u32 s1, s23, 0
	s_cmp_eq_u32 s6, s2
	s_load_dwordx2 s[30:31], s[26:27], 0x0
	s_cselect_b64 s[26:27], -1, 0
	s_cmp_lg_u32 s6, s2
	s_mov_b32 s9, 0
	v_cmp_lt_u64_e32 vcc, s[0:1], v[2:3]
	s_cselect_b64 s[0:1], -1, 0
	s_or_b64 s[2:3], s[0:1], vcc
	s_lshl_b64 s[28:29], s[8:9], 2
	s_add_u32 s7, s10, s28
	s_addc_u32 s10, s11, s29
	s_mov_b64 s[0:1], -1
	s_and_b64 vcc, exec, s[2:3]
	v_lshlrev_b32_e32 v1, 2, v0
	s_cbranch_vccz .LBB2139_2
; %bb.1:
	v_mov_b32_e32 v3, s10
	v_add_co_u32_e32 v2, vcc, s7, v1
	v_addc_co_u32_e32 v3, vcc, 0, v3, vcc
	v_add_co_u32_e32 v4, vcc, 0x1000, v2
	v_addc_co_u32_e32 v5, vcc, 0, v3, vcc
	flat_load_dword v6, v[2:3]
	flat_load_dword v7, v[2:3] offset:1024
	flat_load_dword v8, v[2:3] offset:2048
	;; [unrolled: 1-line block ×3, first 2 shown]
	flat_load_dword v10, v[4:5]
	flat_load_dword v11, v[4:5] offset:1024
	flat_load_dword v12, v[4:5] offset:2048
	;; [unrolled: 1-line block ×3, first 2 shown]
	v_add_co_u32_e32 v2, vcc, 0x2000, v2
	v_addc_co_u32_e32 v3, vcc, 0, v3, vcc
	flat_load_dword v4, v[2:3]
	flat_load_dword v5, v[2:3] offset:1024
	s_mov_b64 s[0:1], 0
	s_waitcnt vmcnt(0) lgkmcnt(0)
	ds_write2st64_b32 v1, v6, v7 offset1:4
	ds_write2st64_b32 v1, v8, v9 offset0:8 offset1:12
	ds_write2st64_b32 v1, v10, v11 offset0:16 offset1:20
	;; [unrolled: 1-line block ×4, first 2 shown]
	s_waitcnt lgkmcnt(0)
	s_barrier
.LBB2139_2:
	s_andn2_b64 vcc, exec, s[0:1]
	v_cmp_gt_u32_e64 s[0:1], s33, v0
	s_cbranch_vccnz .LBB2139_24
; %bb.3:
                                        ; implicit-def: $vgpr2_vgpr3_vgpr4_vgpr5_vgpr6_vgpr7_vgpr8_vgpr9_vgpr10_vgpr11
	s_and_saveexec_b64 s[8:9], s[0:1]
	s_cbranch_execz .LBB2139_5
; %bb.4:
	v_mov_b32_e32 v3, s10
	v_add_co_u32_e32 v2, vcc, s7, v1
	v_addc_co_u32_e32 v3, vcc, 0, v3, vcc
	flat_load_dword v2, v[2:3]
.LBB2139_5:
	s_or_b64 exec, exec, s[8:9]
	v_or_b32_e32 v12, 0x100, v0
	v_cmp_gt_u32_e32 vcc, s33, v12
	s_and_saveexec_b64 s[0:1], vcc
	s_cbranch_execz .LBB2139_7
; %bb.6:
	v_mov_b32_e32 v3, s10
	v_add_co_u32_e32 v12, vcc, s7, v1
	v_addc_co_u32_e32 v13, vcc, 0, v3, vcc
	flat_load_dword v3, v[12:13] offset:1024
.LBB2139_7:
	s_or_b64 exec, exec, s[0:1]
	v_or_b32_e32 v12, 0x200, v0
	v_cmp_gt_u32_e32 vcc, s33, v12
	s_and_saveexec_b64 s[0:1], vcc
	s_cbranch_execz .LBB2139_9
; %bb.8:
	v_mov_b32_e32 v4, s10
	v_add_co_u32_e32 v12, vcc, s7, v1
	v_addc_co_u32_e32 v13, vcc, 0, v4, vcc
	flat_load_dword v4, v[12:13] offset:2048
.LBB2139_9:
	;; [unrolled: 11-line block ×3, first 2 shown]
	s_or_b64 exec, exec, s[0:1]
	v_or_b32_e32 v12, 0x400, v0
	v_cmp_gt_u32_e32 vcc, s33, v12
	s_and_saveexec_b64 s[0:1], vcc
	s_cbranch_execz .LBB2139_13
; %bb.12:
	v_lshlrev_b32_e32 v6, 2, v12
	v_mov_b32_e32 v13, s10
	v_add_co_u32_e32 v12, vcc, s7, v6
	v_addc_co_u32_e32 v13, vcc, 0, v13, vcc
	flat_load_dword v6, v[12:13]
.LBB2139_13:
	s_or_b64 exec, exec, s[0:1]
	v_or_b32_e32 v12, 0x500, v0
	v_cmp_gt_u32_e32 vcc, s33, v12
	s_and_saveexec_b64 s[0:1], vcc
	s_cbranch_execz .LBB2139_15
; %bb.14:
	v_lshlrev_b32_e32 v7, 2, v12
	v_mov_b32_e32 v13, s10
	v_add_co_u32_e32 v12, vcc, s7, v7
	v_addc_co_u32_e32 v13, vcc, 0, v13, vcc
	flat_load_dword v7, v[12:13]
.LBB2139_15:
	;; [unrolled: 12-line block ×6, first 2 shown]
	s_or_b64 exec, exec, s[0:1]
	s_waitcnt vmcnt(0) lgkmcnt(0)
	ds_write2st64_b32 v1, v2, v3 offset1:4
	ds_write2st64_b32 v1, v4, v5 offset0:8 offset1:12
	ds_write2st64_b32 v1, v6, v7 offset0:16 offset1:20
	;; [unrolled: 1-line block ×4, first 2 shown]
	s_waitcnt lgkmcnt(0)
	s_barrier
.LBB2139_24:
	v_mul_u32_u24_e32 v23, 10, v0
	v_lshlrev_b32_e32 v29, 2, v23
	s_waitcnt lgkmcnt(0)
	ds_read2_b64 v[6:9], v29 offset1:1
	ds_read2_b64 v[2:5], v29 offset0:2 offset1:3
	ds_read_b64 v[10:11], v29 offset:32
	v_cndmask_b32_e64 v12, 0, 1, s[2:3]
	v_cmp_ne_u32_e64 s[0:1], 1, v12
	s_andn2_b64 vcc, exec, s[2:3]
	s_waitcnt lgkmcnt(2)
	v_xor_b32_e32 v21, -1, v6
	v_xor_b32_e32 v20, -1, v7
	;; [unrolled: 1-line block ×4, first 2 shown]
	s_waitcnt lgkmcnt(1)
	v_xor_b32_e32 v17, -1, v2
	v_xor_b32_e32 v16, -1, v3
	;; [unrolled: 1-line block ×4, first 2 shown]
	s_waitcnt lgkmcnt(0)
	v_xor_b32_e32 v13, -1, v10
	v_xor_b32_e32 v12, -1, v11
	s_barrier
	s_cbranch_vccnz .LBB2139_26
; %bb.25:
	v_mov_b32_e32 v22, 1
	v_and_b32_e32 v25, 1, v21
	v_and_b32_sdwa v26, v20, v22 dst_sel:BYTE_1 dst_unused:UNUSED_PAD src0_sel:DWORD src1_sel:DWORD
	v_and_b32_e32 v27, 1, v19
	v_and_b32_sdwa v28, v18, v22 dst_sel:BYTE_1 dst_unused:UNUSED_PAD src0_sel:DWORD src1_sel:DWORD
	;; [unrolled: 2-line block ×4, first 2 shown]
	v_or_b32_e32 v25, v25, v26
	v_or_b32_sdwa v26, v27, v28 dst_sel:WORD_1 dst_unused:UNUSED_PAD src0_sel:DWORD src1_sel:DWORD
	v_or_b32_sdwa v26, v25, v26 dst_sel:DWORD dst_unused:UNUSED_PAD src0_sel:WORD_0 src1_sel:DWORD
	v_or_b32_e32 v25, v30, v31
	v_or_b32_sdwa v27, v32, v33 dst_sel:WORD_1 dst_unused:UNUSED_PAD src0_sel:DWORD src1_sel:DWORD
	v_and_b32_e32 v24, 1, v13
	v_and_b32_e32 v22, 1, v12
	v_or_b32_sdwa v25, v25, v27 dst_sel:DWORD dst_unused:UNUSED_PAD src0_sel:WORD_0 src1_sel:DWORD
	s_load_dwordx2 s[34:35], s[4:5], 0x68
	s_cbranch_execz .LBB2139_27
	s_branch .LBB2139_28
.LBB2139_26:
                                        ; implicit-def: $vgpr22
                                        ; implicit-def: $vgpr24
                                        ; implicit-def: $vgpr25
                                        ; implicit-def: $vgpr26
	s_load_dwordx2 s[34:35], s[4:5], 0x68
.LBB2139_27:
	v_or_b32_e32 v32, 1, v23
	v_cmp_gt_u32_e32 vcc, s33, v23
	v_add_u32_e32 v22, 2, v23
	v_cndmask_b32_e64 v33, 0, 1, vcc
	v_cmp_gt_u32_e32 vcc, s33, v32
	v_add_u32_e32 v31, 3, v23
	v_cndmask_b32_e64 v32, 0, 1, vcc
	;; [unrolled: 3-line block ×3, first 2 shown]
	v_cmp_gt_u32_e32 vcc, s33, v31
	v_add_u32_e32 v30, 5, v23
	v_and_b32_e32 v19, v22, v19
	v_cndmask_b32_e64 v22, 0, 1, vcc
	v_cmp_gt_u32_e32 vcc, s33, v24
	v_add_u32_e32 v25, 6, v23
	v_and_b32_sdwa v18, v22, v18 dst_sel:BYTE_1 dst_unused:UNUSED_PAD src0_sel:DWORD src1_sel:DWORD
	v_cndmask_b32_e64 v22, 0, 1, vcc
	v_cmp_gt_u32_e32 vcc, s33, v30
	v_add_u32_e32 v28, 7, v23
	v_and_b32_e32 v17, v22, v17
	v_cndmask_b32_e64 v22, 0, 1, vcc
	v_cmp_gt_u32_e32 vcc, s33, v25
	v_add_u32_e32 v26, 8, v23
	v_and_b32_sdwa v16, v22, v16 dst_sel:BYTE_1 dst_unused:UNUSED_PAD src0_sel:DWORD src1_sel:DWORD
	v_cndmask_b32_e64 v22, 0, 1, vcc
	v_cmp_gt_u32_e32 vcc, s33, v28
	v_add_u32_e32 v27, 9, v23
	v_and_b32_e32 v15, v22, v15
	v_cndmask_b32_e64 v22, 0, 1, vcc
	v_cmp_gt_u32_e32 vcc, s33, v26
	v_and_b32_sdwa v14, v22, v14 dst_sel:BYTE_1 dst_unused:UNUSED_PAD src0_sel:DWORD src1_sel:DWORD
	v_cndmask_b32_e64 v22, 0, 1, vcc
	v_cmp_gt_u32_e32 vcc, s33, v27
	v_and_b32_e32 v21, v33, v21
	v_and_b32_sdwa v20, v32, v20 dst_sel:BYTE_1 dst_unused:UNUSED_PAD src0_sel:DWORD src1_sel:DWORD
	v_and_b32_e32 v24, v22, v13
	v_cndmask_b32_e64 v13, 0, 1, vcc
	v_and_b32_e32 v22, v13, v12
	v_or_b32_e32 v12, v21, v20
	v_or_b32_sdwa v13, v19, v18 dst_sel:WORD_1 dst_unused:UNUSED_PAD src0_sel:DWORD src1_sel:DWORD
	v_or_b32_sdwa v26, v12, v13 dst_sel:DWORD dst_unused:UNUSED_PAD src0_sel:WORD_0 src1_sel:DWORD
	v_or_b32_e32 v12, v17, v16
	v_or_b32_sdwa v13, v15, v14 dst_sel:WORD_1 dst_unused:UNUSED_PAD src0_sel:DWORD src1_sel:DWORD
	v_or_b32_sdwa v25, v12, v13 dst_sel:DWORD dst_unused:UNUSED_PAD src0_sel:WORD_0 src1_sel:DWORD
.LBB2139_28:
	v_bfe_u32 v30, v26, 16, 8
	v_lshrrev_b32_e32 v28, 24, v26
	v_add_u32_sdwa v13, v26, v26 dst_sel:DWORD dst_unused:UNUSED_PAD src0_sel:BYTE_1 src1_sel:BYTE_0
	v_and_b32_e32 v31, 0xff, v25
	v_bfe_u32 v32, v25, 8, 8
	v_add3_u32 v13, v13, v30, v28
	v_bfe_u32 v33, v25, 16, 8
	v_lshrrev_b32_e32 v27, 24, v25
	v_add3_u32 v13, v13, v31, v32
	v_and_b32_e32 v34, 0xff, v24
	v_and_b32_e32 v12, 0xff, v22
	v_add3_u32 v13, v13, v33, v27
	v_add3_u32 v37, v13, v34, v12
	v_mbcnt_lo_u32_b32 v12, -1, 0
	v_mbcnt_hi_u32_b32 v35, -1, v12
	v_and_b32_e32 v12, 15, v35
	v_cmp_eq_u32_e64 s[16:17], 0, v12
	v_cmp_lt_u32_e64 s[14:15], 1, v12
	v_cmp_lt_u32_e64 s[12:13], 3, v12
	;; [unrolled: 1-line block ×3, first 2 shown]
	v_and_b32_e32 v12, 16, v35
	v_cmp_eq_u32_e64 s[8:9], 0, v12
	v_or_b32_e32 v12, 63, v0
	s_cmp_lg_u32 s6, 0
	v_cmp_lt_u32_e64 s[2:3], 31, v35
	v_lshrrev_b32_e32 v36, 6, v0
	v_cmp_eq_u32_e64 s[20:21], v12, v0
	s_cbranch_scc0 .LBB2139_55
; %bb.29:
	v_mov_b32_dpp v12, v37 row_shr:1 row_mask:0xf bank_mask:0xf
	v_cndmask_b32_e64 v12, v12, 0, s[16:17]
	v_add_u32_e32 v12, v12, v37
	s_nop 1
	v_mov_b32_dpp v13, v12 row_shr:2 row_mask:0xf bank_mask:0xf
	v_cndmask_b32_e64 v13, 0, v13, s[14:15]
	v_add_u32_e32 v12, v12, v13
	s_nop 1
	;; [unrolled: 4-line block ×4, first 2 shown]
	v_mov_b32_dpp v13, v12 row_bcast:15 row_mask:0xf bank_mask:0xf
	v_cndmask_b32_e64 v13, v13, 0, s[8:9]
	v_add_u32_e32 v12, v12, v13
	s_nop 1
	v_mov_b32_dpp v13, v12 row_bcast:31 row_mask:0xf bank_mask:0xf
	v_cndmask_b32_e64 v13, 0, v13, s[2:3]
	v_add_u32_e32 v12, v12, v13
	s_and_saveexec_b64 s[18:19], s[20:21]
	s_cbranch_execz .LBB2139_31
; %bb.30:
	v_lshlrev_b32_e32 v13, 2, v36
	ds_write_b32 v13, v12
.LBB2139_31:
	s_or_b64 exec, exec, s[18:19]
	v_cmp_gt_u32_e32 vcc, 4, v0
	s_waitcnt lgkmcnt(0)
	s_barrier
	s_and_saveexec_b64 s[18:19], vcc
	s_cbranch_execz .LBB2139_33
; %bb.32:
	ds_read_b32 v13, v1
	v_and_b32_e32 v14, 3, v35
	v_cmp_ne_u32_e32 vcc, 0, v14
	s_waitcnt lgkmcnt(0)
	v_mov_b32_dpp v15, v13 row_shr:1 row_mask:0xf bank_mask:0xf
	v_cndmask_b32_e32 v15, 0, v15, vcc
	v_add_u32_e32 v13, v15, v13
	v_cmp_lt_u32_e32 vcc, 1, v14
	s_nop 0
	v_mov_b32_dpp v15, v13 row_shr:2 row_mask:0xf bank_mask:0xf
	v_cndmask_b32_e32 v14, 0, v15, vcc
	v_add_u32_e32 v13, v13, v14
	ds_write_b32 v1, v13
.LBB2139_33:
	s_or_b64 exec, exec, s[18:19]
	v_cmp_gt_u32_e32 vcc, 64, v0
	v_cmp_lt_u32_e64 s[18:19], 63, v0
	s_waitcnt lgkmcnt(0)
	s_barrier
	s_waitcnt lgkmcnt(0)
                                        ; implicit-def: $vgpr38
	s_and_saveexec_b64 s[36:37], s[18:19]
	s_cbranch_execz .LBB2139_35
; %bb.34:
	v_lshl_add_u32 v13, v36, 2, -4
	ds_read_b32 v38, v13
	s_waitcnt lgkmcnt(0)
	v_add_u32_e32 v12, v38, v12
.LBB2139_35:
	s_or_b64 exec, exec, s[36:37]
	v_add_u32_e32 v13, -1, v35
	v_and_b32_e32 v14, 64, v35
	v_cmp_lt_i32_e64 s[18:19], v13, v14
	v_cndmask_b32_e64 v13, v13, v35, s[18:19]
	v_lshlrev_b32_e32 v13, 2, v13
	ds_bpermute_b32 v39, v13, v12
	v_cmp_eq_u32_e64 s[18:19], 0, v35
	s_and_saveexec_b64 s[36:37], vcc
	s_cbranch_execz .LBB2139_54
; %bb.36:
	v_mov_b32_e32 v19, 0
	ds_read_b32 v12, v19 offset:12
	s_and_saveexec_b64 s[38:39], s[18:19]
	s_cbranch_execz .LBB2139_38
; %bb.37:
	s_add_i32 s40, s6, 64
	s_mov_b32 s41, 0
	s_lshl_b64 s[40:41], s[40:41], 3
	s_add_u32 s40, s34, s40
	v_mov_b32_e32 v13, 1
	s_addc_u32 s41, s35, s41
	s_waitcnt lgkmcnt(0)
	global_store_dwordx2 v19, v[12:13], s[40:41]
.LBB2139_38:
	s_or_b64 exec, exec, s[38:39]
	v_xad_u32 v14, v35, -1, s6
	v_add_u32_e32 v18, 64, v14
	v_lshlrev_b64 v[16:17], 3, v[18:19]
	v_mov_b32_e32 v13, s35
	v_add_co_u32_e32 v20, vcc, s34, v16
	v_addc_co_u32_e32 v21, vcc, v13, v17, vcc
	global_load_dwordx2 v[16:17], v[20:21], off glc
	s_waitcnt vmcnt(0)
	v_cmp_eq_u16_sdwa s[40:41], v17, v19 src0_sel:BYTE_0 src1_sel:DWORD
	s_and_saveexec_b64 s[38:39], s[40:41]
	s_cbranch_execz .LBB2139_42
; %bb.39:
	s_mov_b64 s[40:41], 0
	v_mov_b32_e32 v13, 0
.LBB2139_40:                            ; =>This Inner Loop Header: Depth=1
	global_load_dwordx2 v[16:17], v[20:21], off glc
	s_waitcnt vmcnt(0)
	v_cmp_ne_u16_sdwa s[42:43], v17, v13 src0_sel:BYTE_0 src1_sel:DWORD
	s_or_b64 s[40:41], s[42:43], s[40:41]
	s_andn2_b64 exec, exec, s[40:41]
	s_cbranch_execnz .LBB2139_40
; %bb.41:
	s_or_b64 exec, exec, s[40:41]
.LBB2139_42:
	s_or_b64 exec, exec, s[38:39]
	v_and_b32_e32 v41, 63, v35
	v_mov_b32_e32 v40, 2
	v_cmp_ne_u32_e32 vcc, 63, v41
	v_cmp_eq_u16_sdwa s[38:39], v17, v40 src0_sel:BYTE_0 src1_sel:DWORD
	v_lshlrev_b64 v[18:19], v35, -1
	v_addc_co_u32_e32 v20, vcc, 0, v35, vcc
	v_and_b32_e32 v13, s39, v19
	v_lshlrev_b32_e32 v42, 2, v20
	v_or_b32_e32 v13, 0x80000000, v13
	ds_bpermute_b32 v20, v42, v16
	v_and_b32_e32 v15, s38, v18
	v_ffbl_b32_e32 v13, v13
	v_add_u32_e32 v13, 32, v13
	v_ffbl_b32_e32 v15, v15
	v_min_u32_e32 v13, v15, v13
	v_cmp_lt_u32_e32 vcc, v41, v13
	s_waitcnt lgkmcnt(0)
	v_cndmask_b32_e32 v15, 0, v20, vcc
	v_cmp_gt_u32_e32 vcc, 62, v41
	v_add_u32_e32 v15, v15, v16
	v_cndmask_b32_e64 v16, 0, 1, vcc
	v_lshlrev_b32_e32 v16, 1, v16
	v_add_lshl_u32 v43, v16, v35, 2
	ds_bpermute_b32 v16, v43, v15
	v_add_u32_e32 v44, 2, v41
	v_cmp_le_u32_e32 vcc, v44, v13
	v_add_u32_e32 v46, 4, v41
	v_add_u32_e32 v48, 8, v41
	s_waitcnt lgkmcnt(0)
	v_cndmask_b32_e32 v16, 0, v16, vcc
	v_cmp_gt_u32_e32 vcc, 60, v41
	v_add_u32_e32 v15, v15, v16
	v_cndmask_b32_e64 v16, 0, 1, vcc
	v_lshlrev_b32_e32 v16, 2, v16
	v_add_lshl_u32 v45, v16, v35, 2
	ds_bpermute_b32 v16, v45, v15
	v_cmp_le_u32_e32 vcc, v46, v13
	v_add_u32_e32 v50, 16, v41
	v_add_u32_e32 v52, 32, v41
	s_waitcnt lgkmcnt(0)
	v_cndmask_b32_e32 v16, 0, v16, vcc
	v_cmp_gt_u32_e32 vcc, 56, v41
	v_add_u32_e32 v15, v15, v16
	v_cndmask_b32_e64 v16, 0, 1, vcc
	v_lshlrev_b32_e32 v16, 3, v16
	v_add_lshl_u32 v47, v16, v35, 2
	ds_bpermute_b32 v16, v47, v15
	v_cmp_le_u32_e32 vcc, v48, v13
	s_waitcnt lgkmcnt(0)
	v_cndmask_b32_e32 v16, 0, v16, vcc
	v_cmp_gt_u32_e32 vcc, 48, v41
	v_add_u32_e32 v15, v15, v16
	v_cndmask_b32_e64 v16, 0, 1, vcc
	v_lshlrev_b32_e32 v16, 4, v16
	v_add_lshl_u32 v49, v16, v35, 2
	ds_bpermute_b32 v16, v49, v15
	v_cmp_le_u32_e32 vcc, v50, v13
	;; [unrolled: 9-line block ×3, first 2 shown]
	s_waitcnt lgkmcnt(0)
	v_cndmask_b32_e32 v13, 0, v16, vcc
	v_add_u32_e32 v16, v15, v13
	v_mov_b32_e32 v15, 0
	s_branch .LBB2139_44
.LBB2139_43:                            ;   in Loop: Header=BB2139_44 Depth=1
	s_or_b64 exec, exec, s[38:39]
	v_cmp_eq_u16_sdwa s[38:39], v17, v40 src0_sel:BYTE_0 src1_sel:DWORD
	v_and_b32_e32 v20, s39, v19
	v_or_b32_e32 v20, 0x80000000, v20
	ds_bpermute_b32 v53, v42, v16
	v_and_b32_e32 v21, s38, v18
	v_ffbl_b32_e32 v20, v20
	v_add_u32_e32 v20, 32, v20
	v_ffbl_b32_e32 v21, v21
	v_min_u32_e32 v20, v21, v20
	v_cmp_lt_u32_e32 vcc, v41, v20
	s_waitcnt lgkmcnt(0)
	v_cndmask_b32_e32 v21, 0, v53, vcc
	v_add_u32_e32 v16, v21, v16
	ds_bpermute_b32 v21, v43, v16
	v_cmp_le_u32_e32 vcc, v44, v20
	v_subrev_u32_e32 v14, 64, v14
	s_waitcnt lgkmcnt(0)
	v_cndmask_b32_e32 v21, 0, v21, vcc
	v_add_u32_e32 v16, v16, v21
	ds_bpermute_b32 v21, v45, v16
	v_cmp_le_u32_e32 vcc, v46, v20
	s_waitcnt lgkmcnt(0)
	v_cndmask_b32_e32 v21, 0, v21, vcc
	v_add_u32_e32 v16, v16, v21
	ds_bpermute_b32 v21, v47, v16
	v_cmp_le_u32_e32 vcc, v48, v20
	;; [unrolled: 5-line block ×4, first 2 shown]
	s_waitcnt lgkmcnt(0)
	v_cndmask_b32_e32 v20, 0, v21, vcc
	v_add3_u32 v16, v20, v13, v16
.LBB2139_44:                            ; =>This Loop Header: Depth=1
                                        ;     Child Loop BB2139_47 Depth 2
	v_cmp_ne_u16_sdwa s[38:39], v17, v40 src0_sel:BYTE_0 src1_sel:DWORD
	v_cndmask_b32_e64 v13, 0, 1, s[38:39]
	;;#ASMSTART
	;;#ASMEND
	v_cmp_ne_u32_e32 vcc, 0, v13
	s_cmp_lg_u64 vcc, exec
	v_mov_b32_e32 v13, v16
	s_cbranch_scc1 .LBB2139_49
; %bb.45:                               ;   in Loop: Header=BB2139_44 Depth=1
	v_lshlrev_b64 v[16:17], 3, v[14:15]
	v_mov_b32_e32 v21, s35
	v_add_co_u32_e32 v20, vcc, s34, v16
	v_addc_co_u32_e32 v21, vcc, v21, v17, vcc
	global_load_dwordx2 v[16:17], v[20:21], off glc
	s_waitcnt vmcnt(0)
	v_cmp_eq_u16_sdwa s[40:41], v17, v15 src0_sel:BYTE_0 src1_sel:DWORD
	s_and_saveexec_b64 s[38:39], s[40:41]
	s_cbranch_execz .LBB2139_43
; %bb.46:                               ;   in Loop: Header=BB2139_44 Depth=1
	s_mov_b64 s[40:41], 0
.LBB2139_47:                            ;   Parent Loop BB2139_44 Depth=1
                                        ; =>  This Inner Loop Header: Depth=2
	global_load_dwordx2 v[16:17], v[20:21], off glc
	s_waitcnt vmcnt(0)
	v_cmp_ne_u16_sdwa s[42:43], v17, v15 src0_sel:BYTE_0 src1_sel:DWORD
	s_or_b64 s[40:41], s[42:43], s[40:41]
	s_andn2_b64 exec, exec, s[40:41]
	s_cbranch_execnz .LBB2139_47
; %bb.48:                               ;   in Loop: Header=BB2139_44 Depth=1
	s_or_b64 exec, exec, s[40:41]
	s_branch .LBB2139_43
.LBB2139_49:                            ;   in Loop: Header=BB2139_44 Depth=1
                                        ; implicit-def: $vgpr16
                                        ; implicit-def: $vgpr17
	s_cbranch_execz .LBB2139_44
; %bb.50:
	s_and_saveexec_b64 s[38:39], s[18:19]
	s_cbranch_execz .LBB2139_52
; %bb.51:
	s_add_i32 s6, s6, 64
	s_mov_b32 s7, 0
	s_lshl_b64 s[6:7], s[6:7], 3
	s_add_u32 s6, s34, s6
	v_add_u32_e32 v14, v13, v12
	v_mov_b32_e32 v15, 2
	s_addc_u32 s7, s35, s7
	v_mov_b32_e32 v16, 0
	global_store_dwordx2 v16, v[14:15], s[6:7]
	ds_write_b64 v16, v[12:13] offset:10240
.LBB2139_52:
	s_or_b64 exec, exec, s[38:39]
	v_cmp_eq_u32_e32 vcc, 0, v0
	s_and_b64 exec, exec, vcc
	s_cbranch_execz .LBB2139_54
; %bb.53:
	v_mov_b32_e32 v12, 0
	ds_write_b32 v12, v13 offset:12
.LBB2139_54:
	s_or_b64 exec, exec, s[36:37]
	v_mov_b32_e32 v12, 0
	s_waitcnt lgkmcnt(0)
	s_barrier
	ds_read_b32 v13, v12 offset:12
	v_cndmask_b32_e64 v14, v39, v38, s[18:19]
	v_cmp_ne_u32_e32 vcc, 0, v0
	v_cndmask_b32_e32 v14, 0, v14, vcc
	s_waitcnt lgkmcnt(0)
	v_add_u32_e32 v39, v13, v14
	v_add_u32_sdwa v38, v39, v26 dst_sel:DWORD dst_unused:UNUSED_PAD src0_sel:DWORD src1_sel:BYTE_0
	v_add_u32_sdwa v21, v38, v26 dst_sel:DWORD dst_unused:UNUSED_PAD src0_sel:DWORD src1_sel:BYTE_1
	v_add_u32_e32 v20, v21, v30
	v_add_u32_e32 v19, v20, v28
	;; [unrolled: 1-line block ×3, first 2 shown]
	s_barrier
	ds_read_b64 v[12:13], v12 offset:10240
	v_add_u32_e32 v17, v18, v32
	v_add_u32_e32 v16, v17, v33
	;; [unrolled: 1-line block ×4, first 2 shown]
	s_branch .LBB2139_65
.LBB2139_55:
                                        ; implicit-def: $vgpr13
                                        ; implicit-def: $vgpr14
                                        ; implicit-def: $vgpr15
                                        ; implicit-def: $vgpr16
                                        ; implicit-def: $vgpr17
                                        ; implicit-def: $vgpr18
                                        ; implicit-def: $vgpr19
                                        ; implicit-def: $vgpr20
                                        ; implicit-def: $vgpr21
                                        ; implicit-def: $vgpr38
                                        ; implicit-def: $vgpr39
	s_cbranch_execz .LBB2139_65
; %bb.56:
	s_waitcnt lgkmcnt(0)
	v_mov_b32_dpp v12, v37 row_shr:1 row_mask:0xf bank_mask:0xf
	v_cndmask_b32_e64 v12, v12, 0, s[16:17]
	v_add_u32_e32 v12, v12, v37
	s_nop 1
	v_mov_b32_dpp v13, v12 row_shr:2 row_mask:0xf bank_mask:0xf
	v_cndmask_b32_e64 v13, 0, v13, s[14:15]
	v_add_u32_e32 v12, v12, v13
	s_nop 1
	;; [unrolled: 4-line block ×4, first 2 shown]
	v_mov_b32_dpp v13, v12 row_bcast:15 row_mask:0xf bank_mask:0xf
	v_cndmask_b32_e64 v13, v13, 0, s[8:9]
	v_add_u32_e32 v12, v12, v13
	s_nop 1
	v_mov_b32_dpp v13, v12 row_bcast:31 row_mask:0xf bank_mask:0xf
	v_cndmask_b32_e64 v13, 0, v13, s[2:3]
	v_add_u32_e32 v12, v12, v13
	s_and_saveexec_b64 s[2:3], s[20:21]
	s_cbranch_execz .LBB2139_58
; %bb.57:
	v_lshlrev_b32_e32 v13, 2, v36
	ds_write_b32 v13, v12
.LBB2139_58:
	s_or_b64 exec, exec, s[2:3]
	v_cmp_gt_u32_e32 vcc, 4, v0
	s_waitcnt lgkmcnt(0)
	s_barrier
	s_and_saveexec_b64 s[2:3], vcc
	s_cbranch_execz .LBB2139_60
; %bb.59:
	s_movk_i32 s6, 0xffdc
	v_mad_i32_i24 v13, v0, s6, v29
	ds_read_b32 v14, v13
	v_and_b32_e32 v15, 3, v35
	v_cmp_ne_u32_e32 vcc, 0, v15
	s_waitcnt lgkmcnt(0)
	v_mov_b32_dpp v16, v14 row_shr:1 row_mask:0xf bank_mask:0xf
	v_cndmask_b32_e32 v16, 0, v16, vcc
	v_add_u32_e32 v14, v16, v14
	v_cmp_lt_u32_e32 vcc, 1, v15
	s_nop 0
	v_mov_b32_dpp v16, v14 row_shr:2 row_mask:0xf bank_mask:0xf
	v_cndmask_b32_e32 v15, 0, v16, vcc
	v_add_u32_e32 v14, v14, v15
	ds_write_b32 v13, v14
.LBB2139_60:
	s_or_b64 exec, exec, s[2:3]
	v_cmp_lt_u32_e32 vcc, 63, v0
	v_mov_b32_e32 v13, 0
	v_mov_b32_e32 v14, 0
	s_waitcnt lgkmcnt(0)
	s_barrier
	s_and_saveexec_b64 s[2:3], vcc
	s_cbranch_execz .LBB2139_62
; %bb.61:
	v_lshl_add_u32 v14, v36, 2, -4
	ds_read_b32 v14, v14
.LBB2139_62:
	s_or_b64 exec, exec, s[2:3]
	v_add_u32_e32 v15, -1, v35
	v_and_b32_e32 v16, 64, v35
	v_cmp_lt_i32_e32 vcc, v15, v16
	v_cndmask_b32_e32 v15, v15, v35, vcc
	s_waitcnt lgkmcnt(0)
	v_add_u32_e32 v12, v14, v12
	v_lshlrev_b32_e32 v15, 2, v15
	ds_bpermute_b32 v15, v15, v12
	ds_read_b32 v12, v13 offset:12
	v_cmp_eq_u32_e32 vcc, 0, v0
	s_and_saveexec_b64 s[2:3], vcc
	s_cbranch_execz .LBB2139_64
; %bb.63:
	v_mov_b32_e32 v16, 0
	v_mov_b32_e32 v13, 2
	s_waitcnt lgkmcnt(0)
	global_store_dwordx2 v16, v[12:13], s[34:35] offset:512
.LBB2139_64:
	s_or_b64 exec, exec, s[2:3]
	v_cmp_eq_u32_e64 s[2:3], 0, v35
	s_waitcnt lgkmcnt(1)
	v_cndmask_b32_e64 v14, v15, v14, s[2:3]
	v_cndmask_b32_e64 v39, v14, 0, vcc
	v_add_u32_sdwa v38, v39, v26 dst_sel:DWORD dst_unused:UNUSED_PAD src0_sel:DWORD src1_sel:BYTE_0
	v_add_u32_sdwa v21, v38, v26 dst_sel:DWORD dst_unused:UNUSED_PAD src0_sel:DWORD src1_sel:BYTE_1
	v_add_u32_e32 v20, v21, v30
	v_add_u32_e32 v19, v20, v28
	;; [unrolled: 1-line block ×6, first 2 shown]
	v_mov_b32_e32 v13, 0
	v_add_u32_e32 v14, v15, v34
	s_waitcnt lgkmcnt(0)
	s_barrier
.LBB2139_65:
	s_waitcnt lgkmcnt(0)
	v_add_u32_e32 v23, v12, v23
	v_sub_u32_e32 v31, v39, v13
	v_and_b32_e32 v33, 1, v26
	v_sub_u32_e32 v32, v23, v31
	v_cmp_eq_u32_e32 vcc, 1, v33
	v_cndmask_b32_e32 v31, v32, v31, vcc
	v_lshlrev_b32_e32 v31, 2, v31
	v_lshrrev_b32_e32 v30, 8, v26
	ds_write_b32 v31, v6
	v_sub_u32_e32 v6, v38, v13
	v_sub_u32_e32 v31, v23, v6
	v_and_b32_e32 v30, 1, v30
	v_add_u32_e32 v31, 1, v31
	v_cmp_eq_u32_e32 vcc, 1, v30
	v_cndmask_b32_e32 v6, v31, v6, vcc
	v_lshlrev_b32_e32 v6, 2, v6
	ds_write_b32 v6, v7
	v_sub_u32_e32 v6, v21, v13
	v_mov_b32_e32 v21, 1
	v_sub_u32_e32 v7, v23, v6
	v_and_b32_sdwa v26, v21, v26 dst_sel:DWORD dst_unused:UNUSED_PAD src0_sel:DWORD src1_sel:WORD_1
	v_add_u32_e32 v7, 2, v7
	v_cmp_eq_u32_e32 vcc, 1, v26
	v_cndmask_b32_e32 v6, v7, v6, vcc
	v_lshlrev_b32_e32 v6, 2, v6
	ds_write_b32 v6, v8
	v_sub_u32_e32 v6, v20, v13
	v_sub_u32_e32 v7, v23, v6
	v_and_b32_e32 v8, 1, v28
	v_add_u32_e32 v7, 3, v7
	v_cmp_eq_u32_e32 vcc, 1, v8
	v_cndmask_b32_e32 v6, v7, v6, vcc
	v_lshlrev_b32_e32 v6, 2, v6
	ds_write_b32 v6, v9
	v_sub_u32_e32 v6, v19, v13
	v_sub_u32_e32 v7, v23, v6
	v_and_b32_e32 v8, 1, v25
	v_add_u32_e32 v7, 4, v7
	v_cmp_eq_u32_e32 vcc, 1, v8
	v_cndmask_b32_e32 v6, v7, v6, vcc
	v_lshlrev_b32_e32 v6, 2, v6
	v_lshrrev_b32_e32 v29, 8, v25
	ds_write_b32 v6, v2
	v_sub_u32_e32 v2, v18, v13
	v_sub_u32_e32 v6, v23, v2
	v_and_b32_e32 v7, 1, v29
	v_add_u32_e32 v6, 5, v6
	v_cmp_eq_u32_e32 vcc, 1, v7
	v_cndmask_b32_e32 v2, v6, v2, vcc
	v_lshlrev_b32_e32 v2, 2, v2
	ds_write_b32 v2, v3
	v_sub_u32_e32 v2, v17, v13
	v_sub_u32_e32 v3, v23, v2
	v_and_b32_sdwa v6, v21, v25 dst_sel:DWORD dst_unused:UNUSED_PAD src0_sel:DWORD src1_sel:WORD_1
	v_add_u32_e32 v3, 6, v3
	v_cmp_eq_u32_e32 vcc, 1, v6
	v_cndmask_b32_e32 v2, v3, v2, vcc
	v_lshlrev_b32_e32 v2, 2, v2
	ds_write_b32 v2, v4
	v_sub_u32_e32 v2, v16, v13
	v_sub_u32_e32 v3, v23, v2
	v_and_b32_e32 v4, 1, v27
	v_add_u32_e32 v3, 7, v3
	v_cmp_eq_u32_e32 vcc, 1, v4
	v_cndmask_b32_e32 v2, v3, v2, vcc
	v_lshlrev_b32_e32 v2, 2, v2
	ds_write_b32 v2, v5
	v_sub_u32_e32 v2, v15, v13
	v_sub_u32_e32 v3, v23, v2
	v_and_b32_e32 v4, 1, v24
	;; [unrolled: 8-line block ×3, first 2 shown]
	v_add_u32_e32 v3, 9, v3
	v_cmp_eq_u32_e32 vcc, 1, v4
	v_cndmask_b32_e32 v2, v3, v2, vcc
	v_lshlrev_b32_e32 v2, 2, v2
	ds_write_b32 v2, v11
	v_mov_b32_e32 v2, s31
	v_add_co_u32_e32 v28, vcc, s30, v13
	v_addc_co_u32_e32 v29, vcc, 0, v2, vcc
	s_load_dwordx4 s[4:7], s[4:5], 0x28
	v_add_co_u32_e32 v2, vcc, v28, v12
	v_addc_co_u32_e32 v3, vcc, 0, v29, vcc
	v_mov_b32_e32 v13, s23
	v_sub_co_u32_e32 v18, vcc, s22, v2
	v_subb_co_u32_e32 v19, vcc, v13, v3, vcc
	v_lshlrev_b64 v[18:19], 2, v[18:19]
	s_waitcnt lgkmcnt(0)
	v_mov_b32_e32 v13, s7
	v_add_co_u32_e32 v18, vcc, s6, v18
	s_barrier
	ds_read2st64_b32 v[14:15], v1 offset1:4
	ds_read2st64_b32 v[10:11], v1 offset0:8 offset1:12
	ds_read2st64_b32 v[8:9], v1 offset0:16 offset1:20
	;; [unrolled: 1-line block ×4, first 2 shown]
	v_addc_co_u32_e32 v19, vcc, v13, v19, vcc
	v_mov_b32_e32 v20, s29
	v_add_co_u32_e32 v13, vcc, s28, v18
	v_addc_co_u32_e32 v18, vcc, v19, v20, vcc
	v_lshlrev_b64 v[28:29], 2, v[28:29]
	v_mov_b32_e32 v20, s5
	s_and_b64 vcc, exec, s[0:1]
	v_add_co_u32_e64 v19, s[0:1], s4, v28
	v_or_b32_e32 v27, 0x100, v0
	v_or_b32_e32 v26, 0x200, v0
	;; [unrolled: 1-line block ×9, first 2 shown]
	v_addc_co_u32_e64 v20, s[0:1], v20, v29, s[0:1]
	s_cbranch_vccnz .LBB2139_67
; %bb.66:
	v_cmp_gt_u32_e32 vcc, v12, v0
	v_cndmask_b32_e32 v28, v13, v19, vcc
	v_cndmask_b32_e32 v29, v18, v20, vcc
	v_add_co_u32_e32 v28, vcc, v28, v1
	v_addc_co_u32_e32 v29, vcc, 0, v29, vcc
	v_cmp_lt_u32_e32 vcc, v27, v12
	s_waitcnt lgkmcnt(4)
	global_store_dword v[28:29], v14, off
	v_cndmask_b32_e32 v28, v13, v19, vcc
	v_cndmask_b32_e32 v29, v18, v20, vcc
	v_add_co_u32_e32 v28, vcc, v28, v1
	v_addc_co_u32_e32 v29, vcc, 0, v29, vcc
	v_cmp_lt_u32_e32 vcc, v26, v12
	global_store_dword v[28:29], v15, off offset:1024
	v_cndmask_b32_e32 v28, v13, v19, vcc
	v_cndmask_b32_e32 v29, v18, v20, vcc
	v_add_co_u32_e32 v28, vcc, v28, v1
	v_addc_co_u32_e32 v29, vcc, 0, v29, vcc
	v_cmp_lt_u32_e32 vcc, v25, v12
	s_waitcnt lgkmcnt(3)
	global_store_dword v[28:29], v10, off offset:2048
	v_cndmask_b32_e32 v28, v13, v19, vcc
	v_cndmask_b32_e32 v29, v18, v20, vcc
	v_add_co_u32_e32 v28, vcc, v28, v1
	v_addc_co_u32_e32 v29, vcc, 0, v29, vcc
	v_cmp_lt_u32_e32 vcc, v24, v12
	global_store_dword v[28:29], v11, off offset:3072
	v_cndmask_b32_e32 v28, v13, v19, vcc
	v_lshlrev_b32_e32 v30, 2, v24
	v_cndmask_b32_e32 v29, v18, v20, vcc
	v_add_co_u32_e32 v28, vcc, v28, v30
	v_addc_co_u32_e32 v29, vcc, 0, v29, vcc
	v_cmp_lt_u32_e32 vcc, v23, v12
	s_waitcnt lgkmcnt(2)
	global_store_dword v[28:29], v8, off
	v_cndmask_b32_e32 v28, v13, v19, vcc
	v_lshlrev_b32_e32 v30, 2, v23
	v_cndmask_b32_e32 v29, v18, v20, vcc
	v_add_co_u32_e32 v28, vcc, v28, v30
	v_addc_co_u32_e32 v29, vcc, 0, v29, vcc
	v_cmp_lt_u32_e32 vcc, v22, v12
	global_store_dword v[28:29], v9, off
	v_cndmask_b32_e32 v28, v13, v19, vcc
	v_lshlrev_b32_e32 v30, 2, v22
	v_cndmask_b32_e32 v29, v18, v20, vcc
	v_add_co_u32_e32 v28, vcc, v28, v30
	v_addc_co_u32_e32 v29, vcc, 0, v29, vcc
	v_cmp_lt_u32_e32 vcc, v21, v12
	s_waitcnt lgkmcnt(1)
	global_store_dword v[28:29], v6, off
	v_cndmask_b32_e32 v28, v13, v19, vcc
	v_lshlrev_b32_e32 v30, 2, v21
	v_cndmask_b32_e32 v29, v18, v20, vcc
	v_add_co_u32_e32 v28, vcc, v28, v30
	v_addc_co_u32_e32 v29, vcc, 0, v29, vcc
	v_cmp_lt_u32_e32 vcc, v17, v12
	global_store_dword v[28:29], v7, off
	v_cndmask_b32_e32 v28, v13, v19, vcc
	v_lshlrev_b32_e32 v30, 2, v17
	v_cndmask_b32_e32 v29, v18, v20, vcc
	v_add_co_u32_e32 v28, vcc, v28, v30
	v_addc_co_u32_e32 v29, vcc, 0, v29, vcc
	s_mov_b64 s[0:1], -1
	s_waitcnt lgkmcnt(0)
	global_store_dword v[28:29], v4, off
	s_cbranch_execz .LBB2139_68
	s_branch .LBB2139_79
.LBB2139_67:
	s_mov_b64 s[0:1], 0
.LBB2139_68:
	v_cmp_gt_u32_e32 vcc, s33, v0
	s_and_saveexec_b64 s[0:1], vcc
	s_cbranch_execnz .LBB2139_84
; %bb.69:
	s_or_b64 exec, exec, s[0:1]
	v_cmp_gt_u32_e32 vcc, s33, v27
	s_and_saveexec_b64 s[0:1], vcc
	s_cbranch_execnz .LBB2139_85
.LBB2139_70:
	s_or_b64 exec, exec, s[0:1]
	v_cmp_gt_u32_e32 vcc, s33, v26
	s_and_saveexec_b64 s[0:1], vcc
	s_cbranch_execnz .LBB2139_86
.LBB2139_71:
	s_or_b64 exec, exec, s[0:1]
	v_cmp_gt_u32_e32 vcc, s33, v25
	s_and_saveexec_b64 s[0:1], vcc
	s_cbranch_execnz .LBB2139_87
.LBB2139_72:
	s_or_b64 exec, exec, s[0:1]
	v_cmp_gt_u32_e32 vcc, s33, v24
	s_and_saveexec_b64 s[0:1], vcc
	s_cbranch_execnz .LBB2139_88
.LBB2139_73:
	s_or_b64 exec, exec, s[0:1]
	v_cmp_gt_u32_e32 vcc, s33, v23
	s_and_saveexec_b64 s[0:1], vcc
	s_cbranch_execnz .LBB2139_89
.LBB2139_74:
	s_or_b64 exec, exec, s[0:1]
	v_cmp_gt_u32_e32 vcc, s33, v22
	s_and_saveexec_b64 s[0:1], vcc
	s_cbranch_execnz .LBB2139_90
.LBB2139_75:
	s_or_b64 exec, exec, s[0:1]
	v_cmp_gt_u32_e32 vcc, s33, v21
	s_and_saveexec_b64 s[0:1], vcc
	s_cbranch_execnz .LBB2139_91
.LBB2139_76:
	s_or_b64 exec, exec, s[0:1]
	v_cmp_gt_u32_e32 vcc, s33, v17
	s_and_saveexec_b64 s[0:1], vcc
	s_cbranch_execz .LBB2139_78
.LBB2139_77:
	v_cmp_lt_u32_e32 vcc, v17, v12
	s_waitcnt lgkmcnt(1)
	v_cndmask_b32_e32 v6, v13, v19, vcc
	v_lshlrev_b32_e32 v7, 2, v17
	v_cndmask_b32_e32 v1, v18, v20, vcc
	v_add_co_u32_e32 v6, vcc, v6, v7
	v_addc_co_u32_e32 v7, vcc, 0, v1, vcc
	s_waitcnt lgkmcnt(0)
	global_store_dword v[6:7], v4, off
.LBB2139_78:
	s_or_b64 exec, exec, s[0:1]
	v_cmp_gt_u32_e64 s[0:1], s33, v16
.LBB2139_79:
	s_and_saveexec_b64 s[2:3], s[0:1]
	s_cbranch_execz .LBB2139_81
; %bb.80:
	v_cmp_lt_u32_e32 vcc, v16, v12
	s_waitcnt lgkmcnt(0)
	v_cndmask_b32_e32 v4, v13, v19, vcc
	v_lshlrev_b32_e32 v6, 2, v16
	v_cndmask_b32_e32 v1, v18, v20, vcc
	v_add_co_u32_e32 v6, vcc, v4, v6
	v_addc_co_u32_e32 v7, vcc, 0, v1, vcc
	global_store_dword v[6:7], v5, off
.LBB2139_81:
	s_or_b64 exec, exec, s[2:3]
	v_cmp_eq_u32_e32 vcc, 0, v0
	s_and_b64 s[0:1], vcc, s[26:27]
	s_and_saveexec_b64 s[2:3], s[0:1]
	s_cbranch_execz .LBB2139_83
; %bb.82:
	v_mov_b32_e32 v0, 0
	global_store_dwordx2 v0, v[2:3], s[24:25]
.LBB2139_83:
	s_endpgm
.LBB2139_84:
	v_cmp_gt_u32_e32 vcc, v12, v0
	v_cndmask_b32_e32 v28, v13, v19, vcc
	v_cndmask_b32_e32 v29, v18, v20, vcc
	v_add_co_u32_e32 v28, vcc, v28, v1
	v_addc_co_u32_e32 v29, vcc, 0, v29, vcc
	s_waitcnt lgkmcnt(4)
	global_store_dword v[28:29], v14, off
	s_or_b64 exec, exec, s[0:1]
	v_cmp_gt_u32_e32 vcc, s33, v27
	s_and_saveexec_b64 s[0:1], vcc
	s_cbranch_execz .LBB2139_70
.LBB2139_85:
	v_cmp_lt_u32_e32 vcc, v27, v12
	v_cndmask_b32_e32 v27, v13, v19, vcc
	s_waitcnt lgkmcnt(4)
	v_cndmask_b32_e32 v14, v18, v20, vcc
	v_add_co_u32_e32 v28, vcc, v27, v1
	v_addc_co_u32_e32 v29, vcc, 0, v14, vcc
	global_store_dword v[28:29], v15, off offset:1024
	s_or_b64 exec, exec, s[0:1]
	v_cmp_gt_u32_e32 vcc, s33, v26
	s_and_saveexec_b64 s[0:1], vcc
	s_cbranch_execz .LBB2139_71
.LBB2139_86:
	v_cmp_lt_u32_e32 vcc, v26, v12
	s_waitcnt lgkmcnt(4)
	v_cndmask_b32_e32 v14, v13, v19, vcc
	v_cndmask_b32_e32 v15, v18, v20, vcc
	v_add_co_u32_e32 v14, vcc, v14, v1
	v_addc_co_u32_e32 v15, vcc, 0, v15, vcc
	s_waitcnt lgkmcnt(3)
	global_store_dword v[14:15], v10, off offset:2048
	s_or_b64 exec, exec, s[0:1]
	v_cmp_gt_u32_e32 vcc, s33, v25
	s_and_saveexec_b64 s[0:1], vcc
	s_cbranch_execz .LBB2139_72
.LBB2139_87:
	v_cmp_lt_u32_e32 vcc, v25, v12
	s_waitcnt lgkmcnt(4)
	v_cndmask_b32_e32 v14, v13, v19, vcc
	s_waitcnt lgkmcnt(3)
	v_cndmask_b32_e32 v10, v18, v20, vcc
	v_add_co_u32_e32 v14, vcc, v14, v1
	v_addc_co_u32_e32 v15, vcc, 0, v10, vcc
	global_store_dword v[14:15], v11, off offset:3072
	s_or_b64 exec, exec, s[0:1]
	v_cmp_gt_u32_e32 vcc, s33, v24
	s_and_saveexec_b64 s[0:1], vcc
	s_cbranch_execz .LBB2139_73
.LBB2139_88:
	v_cmp_lt_u32_e32 vcc, v24, v12
	s_waitcnt lgkmcnt(3)
	v_cndmask_b32_e32 v10, v13, v19, vcc
	v_lshlrev_b32_e32 v11, 2, v24
	v_cndmask_b32_e32 v1, v18, v20, vcc
	v_add_co_u32_e32 v10, vcc, v10, v11
	v_addc_co_u32_e32 v11, vcc, 0, v1, vcc
	s_waitcnt lgkmcnt(2)
	global_store_dword v[10:11], v8, off
	s_or_b64 exec, exec, s[0:1]
	v_cmp_gt_u32_e32 vcc, s33, v23
	s_and_saveexec_b64 s[0:1], vcc
	s_cbranch_execz .LBB2139_74
.LBB2139_89:
	v_cmp_lt_u32_e32 vcc, v23, v12
	s_waitcnt lgkmcnt(2)
	v_cndmask_b32_e32 v8, v13, v19, vcc
	v_lshlrev_b32_e32 v10, 2, v23
	v_cndmask_b32_e32 v1, v18, v20, vcc
	v_add_co_u32_e32 v10, vcc, v8, v10
	v_addc_co_u32_e32 v11, vcc, 0, v1, vcc
	global_store_dword v[10:11], v9, off
	s_or_b64 exec, exec, s[0:1]
	v_cmp_gt_u32_e32 vcc, s33, v22
	s_and_saveexec_b64 s[0:1], vcc
	s_cbranch_execz .LBB2139_75
.LBB2139_90:
	v_cmp_lt_u32_e32 vcc, v22, v12
	s_waitcnt lgkmcnt(2)
	v_cndmask_b32_e32 v8, v13, v19, vcc
	v_lshlrev_b32_e32 v9, 2, v22
	v_cndmask_b32_e32 v1, v18, v20, vcc
	v_add_co_u32_e32 v8, vcc, v8, v9
	v_addc_co_u32_e32 v9, vcc, 0, v1, vcc
	s_waitcnt lgkmcnt(1)
	global_store_dword v[8:9], v6, off
	s_or_b64 exec, exec, s[0:1]
	v_cmp_gt_u32_e32 vcc, s33, v21
	s_and_saveexec_b64 s[0:1], vcc
	s_cbranch_execz .LBB2139_76
.LBB2139_91:
	v_cmp_lt_u32_e32 vcc, v21, v12
	s_waitcnt lgkmcnt(1)
	v_cndmask_b32_e32 v6, v13, v19, vcc
	v_lshlrev_b32_e32 v8, 2, v21
	v_cndmask_b32_e32 v1, v18, v20, vcc
	v_add_co_u32_e32 v8, vcc, v6, v8
	v_addc_co_u32_e32 v9, vcc, 0, v1, vcc
	global_store_dword v[8:9], v7, off
	s_or_b64 exec, exec, s[0:1]
	v_cmp_gt_u32_e32 vcc, s33, v17
	s_and_saveexec_b64 s[0:1], vcc
	s_cbranch_execnz .LBB2139_77
	s_branch .LBB2139_78
	.section	.rodata,"a",@progbits
	.p2align	6, 0x0
	.amdhsa_kernel _ZN7rocprim17ROCPRIM_400000_NS6detail17trampoline_kernelINS0_14default_configENS1_25partition_config_selectorILNS1_17partition_subalgoE0EjNS0_10empty_typeEbEEZZNS1_14partition_implILS5_0ELb0ES3_jN6thrust23THRUST_200600_302600_NS6detail15normal_iteratorINSA_10device_ptrIjEEEEPS6_SG_NS0_5tupleIJSF_SF_EEENSH_IJSG_SG_EEES6_PlJ7is_evenIjEEEE10hipError_tPvRmT3_T4_T5_T6_T7_T9_mT8_P12ihipStream_tbDpT10_ENKUlT_T0_E_clISt17integral_constantIbLb0EES16_EEDaS11_S12_EUlS11_E_NS1_11comp_targetILNS1_3genE4ELNS1_11target_archE910ELNS1_3gpuE8ELNS1_3repE0EEENS1_30default_config_static_selectorELNS0_4arch9wavefront6targetE1EEEvT1_
		.amdhsa_group_segment_fixed_size 10248
		.amdhsa_private_segment_fixed_size 0
		.amdhsa_kernarg_size 120
		.amdhsa_user_sgpr_count 6
		.amdhsa_user_sgpr_private_segment_buffer 1
		.amdhsa_user_sgpr_dispatch_ptr 0
		.amdhsa_user_sgpr_queue_ptr 0
		.amdhsa_user_sgpr_kernarg_segment_ptr 1
		.amdhsa_user_sgpr_dispatch_id 0
		.amdhsa_user_sgpr_flat_scratch_init 0
		.amdhsa_user_sgpr_kernarg_preload_length 0
		.amdhsa_user_sgpr_kernarg_preload_offset 0
		.amdhsa_user_sgpr_private_segment_size 0
		.amdhsa_uses_dynamic_stack 0
		.amdhsa_system_sgpr_private_segment_wavefront_offset 0
		.amdhsa_system_sgpr_workgroup_id_x 1
		.amdhsa_system_sgpr_workgroup_id_y 0
		.amdhsa_system_sgpr_workgroup_id_z 0
		.amdhsa_system_sgpr_workgroup_info 0
		.amdhsa_system_vgpr_workitem_id 0
		.amdhsa_next_free_vgpr 54
		.amdhsa_next_free_sgpr 44
		.amdhsa_accum_offset 56
		.amdhsa_reserve_vcc 1
		.amdhsa_reserve_flat_scratch 0
		.amdhsa_float_round_mode_32 0
		.amdhsa_float_round_mode_16_64 0
		.amdhsa_float_denorm_mode_32 3
		.amdhsa_float_denorm_mode_16_64 3
		.amdhsa_dx10_clamp 1
		.amdhsa_ieee_mode 1
		.amdhsa_fp16_overflow 0
		.amdhsa_tg_split 0
		.amdhsa_exception_fp_ieee_invalid_op 0
		.amdhsa_exception_fp_denorm_src 0
		.amdhsa_exception_fp_ieee_div_zero 0
		.amdhsa_exception_fp_ieee_overflow 0
		.amdhsa_exception_fp_ieee_underflow 0
		.amdhsa_exception_fp_ieee_inexact 0
		.amdhsa_exception_int_div_zero 0
	.end_amdhsa_kernel
	.section	.text._ZN7rocprim17ROCPRIM_400000_NS6detail17trampoline_kernelINS0_14default_configENS1_25partition_config_selectorILNS1_17partition_subalgoE0EjNS0_10empty_typeEbEEZZNS1_14partition_implILS5_0ELb0ES3_jN6thrust23THRUST_200600_302600_NS6detail15normal_iteratorINSA_10device_ptrIjEEEEPS6_SG_NS0_5tupleIJSF_SF_EEENSH_IJSG_SG_EEES6_PlJ7is_evenIjEEEE10hipError_tPvRmT3_T4_T5_T6_T7_T9_mT8_P12ihipStream_tbDpT10_ENKUlT_T0_E_clISt17integral_constantIbLb0EES16_EEDaS11_S12_EUlS11_E_NS1_11comp_targetILNS1_3genE4ELNS1_11target_archE910ELNS1_3gpuE8ELNS1_3repE0EEENS1_30default_config_static_selectorELNS0_4arch9wavefront6targetE1EEEvT1_,"axG",@progbits,_ZN7rocprim17ROCPRIM_400000_NS6detail17trampoline_kernelINS0_14default_configENS1_25partition_config_selectorILNS1_17partition_subalgoE0EjNS0_10empty_typeEbEEZZNS1_14partition_implILS5_0ELb0ES3_jN6thrust23THRUST_200600_302600_NS6detail15normal_iteratorINSA_10device_ptrIjEEEEPS6_SG_NS0_5tupleIJSF_SF_EEENSH_IJSG_SG_EEES6_PlJ7is_evenIjEEEE10hipError_tPvRmT3_T4_T5_T6_T7_T9_mT8_P12ihipStream_tbDpT10_ENKUlT_T0_E_clISt17integral_constantIbLb0EES16_EEDaS11_S12_EUlS11_E_NS1_11comp_targetILNS1_3genE4ELNS1_11target_archE910ELNS1_3gpuE8ELNS1_3repE0EEENS1_30default_config_static_selectorELNS0_4arch9wavefront6targetE1EEEvT1_,comdat
.Lfunc_end2139:
	.size	_ZN7rocprim17ROCPRIM_400000_NS6detail17trampoline_kernelINS0_14default_configENS1_25partition_config_selectorILNS1_17partition_subalgoE0EjNS0_10empty_typeEbEEZZNS1_14partition_implILS5_0ELb0ES3_jN6thrust23THRUST_200600_302600_NS6detail15normal_iteratorINSA_10device_ptrIjEEEEPS6_SG_NS0_5tupleIJSF_SF_EEENSH_IJSG_SG_EEES6_PlJ7is_evenIjEEEE10hipError_tPvRmT3_T4_T5_T6_T7_T9_mT8_P12ihipStream_tbDpT10_ENKUlT_T0_E_clISt17integral_constantIbLb0EES16_EEDaS11_S12_EUlS11_E_NS1_11comp_targetILNS1_3genE4ELNS1_11target_archE910ELNS1_3gpuE8ELNS1_3repE0EEENS1_30default_config_static_selectorELNS0_4arch9wavefront6targetE1EEEvT1_, .Lfunc_end2139-_ZN7rocprim17ROCPRIM_400000_NS6detail17trampoline_kernelINS0_14default_configENS1_25partition_config_selectorILNS1_17partition_subalgoE0EjNS0_10empty_typeEbEEZZNS1_14partition_implILS5_0ELb0ES3_jN6thrust23THRUST_200600_302600_NS6detail15normal_iteratorINSA_10device_ptrIjEEEEPS6_SG_NS0_5tupleIJSF_SF_EEENSH_IJSG_SG_EEES6_PlJ7is_evenIjEEEE10hipError_tPvRmT3_T4_T5_T6_T7_T9_mT8_P12ihipStream_tbDpT10_ENKUlT_T0_E_clISt17integral_constantIbLb0EES16_EEDaS11_S12_EUlS11_E_NS1_11comp_targetILNS1_3genE4ELNS1_11target_archE910ELNS1_3gpuE8ELNS1_3repE0EEENS1_30default_config_static_selectorELNS0_4arch9wavefront6targetE1EEEvT1_
                                        ; -- End function
	.section	.AMDGPU.csdata,"",@progbits
; Kernel info:
; codeLenInByte = 5048
; NumSgprs: 48
; NumVgprs: 54
; NumAgprs: 0
; TotalNumVgprs: 54
; ScratchSize: 0
; MemoryBound: 0
; FloatMode: 240
; IeeeMode: 1
; LDSByteSize: 10248 bytes/workgroup (compile time only)
; SGPRBlocks: 5
; VGPRBlocks: 6
; NumSGPRsForWavesPerEU: 48
; NumVGPRsForWavesPerEU: 54
; AccumOffset: 56
; Occupancy: 6
; WaveLimiterHint : 1
; COMPUTE_PGM_RSRC2:SCRATCH_EN: 0
; COMPUTE_PGM_RSRC2:USER_SGPR: 6
; COMPUTE_PGM_RSRC2:TRAP_HANDLER: 0
; COMPUTE_PGM_RSRC2:TGID_X_EN: 1
; COMPUTE_PGM_RSRC2:TGID_Y_EN: 0
; COMPUTE_PGM_RSRC2:TGID_Z_EN: 0
; COMPUTE_PGM_RSRC2:TIDIG_COMP_CNT: 0
; COMPUTE_PGM_RSRC3_GFX90A:ACCUM_OFFSET: 13
; COMPUTE_PGM_RSRC3_GFX90A:TG_SPLIT: 0
	.section	.text._ZN7rocprim17ROCPRIM_400000_NS6detail17trampoline_kernelINS0_14default_configENS1_25partition_config_selectorILNS1_17partition_subalgoE0EjNS0_10empty_typeEbEEZZNS1_14partition_implILS5_0ELb0ES3_jN6thrust23THRUST_200600_302600_NS6detail15normal_iteratorINSA_10device_ptrIjEEEEPS6_SG_NS0_5tupleIJSF_SF_EEENSH_IJSG_SG_EEES6_PlJ7is_evenIjEEEE10hipError_tPvRmT3_T4_T5_T6_T7_T9_mT8_P12ihipStream_tbDpT10_ENKUlT_T0_E_clISt17integral_constantIbLb0EES16_EEDaS11_S12_EUlS11_E_NS1_11comp_targetILNS1_3genE3ELNS1_11target_archE908ELNS1_3gpuE7ELNS1_3repE0EEENS1_30default_config_static_selectorELNS0_4arch9wavefront6targetE1EEEvT1_,"axG",@progbits,_ZN7rocprim17ROCPRIM_400000_NS6detail17trampoline_kernelINS0_14default_configENS1_25partition_config_selectorILNS1_17partition_subalgoE0EjNS0_10empty_typeEbEEZZNS1_14partition_implILS5_0ELb0ES3_jN6thrust23THRUST_200600_302600_NS6detail15normal_iteratorINSA_10device_ptrIjEEEEPS6_SG_NS0_5tupleIJSF_SF_EEENSH_IJSG_SG_EEES6_PlJ7is_evenIjEEEE10hipError_tPvRmT3_T4_T5_T6_T7_T9_mT8_P12ihipStream_tbDpT10_ENKUlT_T0_E_clISt17integral_constantIbLb0EES16_EEDaS11_S12_EUlS11_E_NS1_11comp_targetILNS1_3genE3ELNS1_11target_archE908ELNS1_3gpuE7ELNS1_3repE0EEENS1_30default_config_static_selectorELNS0_4arch9wavefront6targetE1EEEvT1_,comdat
	.protected	_ZN7rocprim17ROCPRIM_400000_NS6detail17trampoline_kernelINS0_14default_configENS1_25partition_config_selectorILNS1_17partition_subalgoE0EjNS0_10empty_typeEbEEZZNS1_14partition_implILS5_0ELb0ES3_jN6thrust23THRUST_200600_302600_NS6detail15normal_iteratorINSA_10device_ptrIjEEEEPS6_SG_NS0_5tupleIJSF_SF_EEENSH_IJSG_SG_EEES6_PlJ7is_evenIjEEEE10hipError_tPvRmT3_T4_T5_T6_T7_T9_mT8_P12ihipStream_tbDpT10_ENKUlT_T0_E_clISt17integral_constantIbLb0EES16_EEDaS11_S12_EUlS11_E_NS1_11comp_targetILNS1_3genE3ELNS1_11target_archE908ELNS1_3gpuE7ELNS1_3repE0EEENS1_30default_config_static_selectorELNS0_4arch9wavefront6targetE1EEEvT1_ ; -- Begin function _ZN7rocprim17ROCPRIM_400000_NS6detail17trampoline_kernelINS0_14default_configENS1_25partition_config_selectorILNS1_17partition_subalgoE0EjNS0_10empty_typeEbEEZZNS1_14partition_implILS5_0ELb0ES3_jN6thrust23THRUST_200600_302600_NS6detail15normal_iteratorINSA_10device_ptrIjEEEEPS6_SG_NS0_5tupleIJSF_SF_EEENSH_IJSG_SG_EEES6_PlJ7is_evenIjEEEE10hipError_tPvRmT3_T4_T5_T6_T7_T9_mT8_P12ihipStream_tbDpT10_ENKUlT_T0_E_clISt17integral_constantIbLb0EES16_EEDaS11_S12_EUlS11_E_NS1_11comp_targetILNS1_3genE3ELNS1_11target_archE908ELNS1_3gpuE7ELNS1_3repE0EEENS1_30default_config_static_selectorELNS0_4arch9wavefront6targetE1EEEvT1_
	.globl	_ZN7rocprim17ROCPRIM_400000_NS6detail17trampoline_kernelINS0_14default_configENS1_25partition_config_selectorILNS1_17partition_subalgoE0EjNS0_10empty_typeEbEEZZNS1_14partition_implILS5_0ELb0ES3_jN6thrust23THRUST_200600_302600_NS6detail15normal_iteratorINSA_10device_ptrIjEEEEPS6_SG_NS0_5tupleIJSF_SF_EEENSH_IJSG_SG_EEES6_PlJ7is_evenIjEEEE10hipError_tPvRmT3_T4_T5_T6_T7_T9_mT8_P12ihipStream_tbDpT10_ENKUlT_T0_E_clISt17integral_constantIbLb0EES16_EEDaS11_S12_EUlS11_E_NS1_11comp_targetILNS1_3genE3ELNS1_11target_archE908ELNS1_3gpuE7ELNS1_3repE0EEENS1_30default_config_static_selectorELNS0_4arch9wavefront6targetE1EEEvT1_
	.p2align	8
	.type	_ZN7rocprim17ROCPRIM_400000_NS6detail17trampoline_kernelINS0_14default_configENS1_25partition_config_selectorILNS1_17partition_subalgoE0EjNS0_10empty_typeEbEEZZNS1_14partition_implILS5_0ELb0ES3_jN6thrust23THRUST_200600_302600_NS6detail15normal_iteratorINSA_10device_ptrIjEEEEPS6_SG_NS0_5tupleIJSF_SF_EEENSH_IJSG_SG_EEES6_PlJ7is_evenIjEEEE10hipError_tPvRmT3_T4_T5_T6_T7_T9_mT8_P12ihipStream_tbDpT10_ENKUlT_T0_E_clISt17integral_constantIbLb0EES16_EEDaS11_S12_EUlS11_E_NS1_11comp_targetILNS1_3genE3ELNS1_11target_archE908ELNS1_3gpuE7ELNS1_3repE0EEENS1_30default_config_static_selectorELNS0_4arch9wavefront6targetE1EEEvT1_,@function
_ZN7rocprim17ROCPRIM_400000_NS6detail17trampoline_kernelINS0_14default_configENS1_25partition_config_selectorILNS1_17partition_subalgoE0EjNS0_10empty_typeEbEEZZNS1_14partition_implILS5_0ELb0ES3_jN6thrust23THRUST_200600_302600_NS6detail15normal_iteratorINSA_10device_ptrIjEEEEPS6_SG_NS0_5tupleIJSF_SF_EEENSH_IJSG_SG_EEES6_PlJ7is_evenIjEEEE10hipError_tPvRmT3_T4_T5_T6_T7_T9_mT8_P12ihipStream_tbDpT10_ENKUlT_T0_E_clISt17integral_constantIbLb0EES16_EEDaS11_S12_EUlS11_E_NS1_11comp_targetILNS1_3genE3ELNS1_11target_archE908ELNS1_3gpuE7ELNS1_3repE0EEENS1_30default_config_static_selectorELNS0_4arch9wavefront6targetE1EEEvT1_: ; @_ZN7rocprim17ROCPRIM_400000_NS6detail17trampoline_kernelINS0_14default_configENS1_25partition_config_selectorILNS1_17partition_subalgoE0EjNS0_10empty_typeEbEEZZNS1_14partition_implILS5_0ELb0ES3_jN6thrust23THRUST_200600_302600_NS6detail15normal_iteratorINSA_10device_ptrIjEEEEPS6_SG_NS0_5tupleIJSF_SF_EEENSH_IJSG_SG_EEES6_PlJ7is_evenIjEEEE10hipError_tPvRmT3_T4_T5_T6_T7_T9_mT8_P12ihipStream_tbDpT10_ENKUlT_T0_E_clISt17integral_constantIbLb0EES16_EEDaS11_S12_EUlS11_E_NS1_11comp_targetILNS1_3genE3ELNS1_11target_archE908ELNS1_3gpuE7ELNS1_3repE0EEENS1_30default_config_static_selectorELNS0_4arch9wavefront6targetE1EEEvT1_
; %bb.0:
	.section	.rodata,"a",@progbits
	.p2align	6, 0x0
	.amdhsa_kernel _ZN7rocprim17ROCPRIM_400000_NS6detail17trampoline_kernelINS0_14default_configENS1_25partition_config_selectorILNS1_17partition_subalgoE0EjNS0_10empty_typeEbEEZZNS1_14partition_implILS5_0ELb0ES3_jN6thrust23THRUST_200600_302600_NS6detail15normal_iteratorINSA_10device_ptrIjEEEEPS6_SG_NS0_5tupleIJSF_SF_EEENSH_IJSG_SG_EEES6_PlJ7is_evenIjEEEE10hipError_tPvRmT3_T4_T5_T6_T7_T9_mT8_P12ihipStream_tbDpT10_ENKUlT_T0_E_clISt17integral_constantIbLb0EES16_EEDaS11_S12_EUlS11_E_NS1_11comp_targetILNS1_3genE3ELNS1_11target_archE908ELNS1_3gpuE7ELNS1_3repE0EEENS1_30default_config_static_selectorELNS0_4arch9wavefront6targetE1EEEvT1_
		.amdhsa_group_segment_fixed_size 0
		.amdhsa_private_segment_fixed_size 0
		.amdhsa_kernarg_size 120
		.amdhsa_user_sgpr_count 6
		.amdhsa_user_sgpr_private_segment_buffer 1
		.amdhsa_user_sgpr_dispatch_ptr 0
		.amdhsa_user_sgpr_queue_ptr 0
		.amdhsa_user_sgpr_kernarg_segment_ptr 1
		.amdhsa_user_sgpr_dispatch_id 0
		.amdhsa_user_sgpr_flat_scratch_init 0
		.amdhsa_user_sgpr_kernarg_preload_length 0
		.amdhsa_user_sgpr_kernarg_preload_offset 0
		.amdhsa_user_sgpr_private_segment_size 0
		.amdhsa_uses_dynamic_stack 0
		.amdhsa_system_sgpr_private_segment_wavefront_offset 0
		.amdhsa_system_sgpr_workgroup_id_x 1
		.amdhsa_system_sgpr_workgroup_id_y 0
		.amdhsa_system_sgpr_workgroup_id_z 0
		.amdhsa_system_sgpr_workgroup_info 0
		.amdhsa_system_vgpr_workitem_id 0
		.amdhsa_next_free_vgpr 1
		.amdhsa_next_free_sgpr 0
		.amdhsa_accum_offset 4
		.amdhsa_reserve_vcc 0
		.amdhsa_reserve_flat_scratch 0
		.amdhsa_float_round_mode_32 0
		.amdhsa_float_round_mode_16_64 0
		.amdhsa_float_denorm_mode_32 3
		.amdhsa_float_denorm_mode_16_64 3
		.amdhsa_dx10_clamp 1
		.amdhsa_ieee_mode 1
		.amdhsa_fp16_overflow 0
		.amdhsa_tg_split 0
		.amdhsa_exception_fp_ieee_invalid_op 0
		.amdhsa_exception_fp_denorm_src 0
		.amdhsa_exception_fp_ieee_div_zero 0
		.amdhsa_exception_fp_ieee_overflow 0
		.amdhsa_exception_fp_ieee_underflow 0
		.amdhsa_exception_fp_ieee_inexact 0
		.amdhsa_exception_int_div_zero 0
	.end_amdhsa_kernel
	.section	.text._ZN7rocprim17ROCPRIM_400000_NS6detail17trampoline_kernelINS0_14default_configENS1_25partition_config_selectorILNS1_17partition_subalgoE0EjNS0_10empty_typeEbEEZZNS1_14partition_implILS5_0ELb0ES3_jN6thrust23THRUST_200600_302600_NS6detail15normal_iteratorINSA_10device_ptrIjEEEEPS6_SG_NS0_5tupleIJSF_SF_EEENSH_IJSG_SG_EEES6_PlJ7is_evenIjEEEE10hipError_tPvRmT3_T4_T5_T6_T7_T9_mT8_P12ihipStream_tbDpT10_ENKUlT_T0_E_clISt17integral_constantIbLb0EES16_EEDaS11_S12_EUlS11_E_NS1_11comp_targetILNS1_3genE3ELNS1_11target_archE908ELNS1_3gpuE7ELNS1_3repE0EEENS1_30default_config_static_selectorELNS0_4arch9wavefront6targetE1EEEvT1_,"axG",@progbits,_ZN7rocprim17ROCPRIM_400000_NS6detail17trampoline_kernelINS0_14default_configENS1_25partition_config_selectorILNS1_17partition_subalgoE0EjNS0_10empty_typeEbEEZZNS1_14partition_implILS5_0ELb0ES3_jN6thrust23THRUST_200600_302600_NS6detail15normal_iteratorINSA_10device_ptrIjEEEEPS6_SG_NS0_5tupleIJSF_SF_EEENSH_IJSG_SG_EEES6_PlJ7is_evenIjEEEE10hipError_tPvRmT3_T4_T5_T6_T7_T9_mT8_P12ihipStream_tbDpT10_ENKUlT_T0_E_clISt17integral_constantIbLb0EES16_EEDaS11_S12_EUlS11_E_NS1_11comp_targetILNS1_3genE3ELNS1_11target_archE908ELNS1_3gpuE7ELNS1_3repE0EEENS1_30default_config_static_selectorELNS0_4arch9wavefront6targetE1EEEvT1_,comdat
.Lfunc_end2140:
	.size	_ZN7rocprim17ROCPRIM_400000_NS6detail17trampoline_kernelINS0_14default_configENS1_25partition_config_selectorILNS1_17partition_subalgoE0EjNS0_10empty_typeEbEEZZNS1_14partition_implILS5_0ELb0ES3_jN6thrust23THRUST_200600_302600_NS6detail15normal_iteratorINSA_10device_ptrIjEEEEPS6_SG_NS0_5tupleIJSF_SF_EEENSH_IJSG_SG_EEES6_PlJ7is_evenIjEEEE10hipError_tPvRmT3_T4_T5_T6_T7_T9_mT8_P12ihipStream_tbDpT10_ENKUlT_T0_E_clISt17integral_constantIbLb0EES16_EEDaS11_S12_EUlS11_E_NS1_11comp_targetILNS1_3genE3ELNS1_11target_archE908ELNS1_3gpuE7ELNS1_3repE0EEENS1_30default_config_static_selectorELNS0_4arch9wavefront6targetE1EEEvT1_, .Lfunc_end2140-_ZN7rocprim17ROCPRIM_400000_NS6detail17trampoline_kernelINS0_14default_configENS1_25partition_config_selectorILNS1_17partition_subalgoE0EjNS0_10empty_typeEbEEZZNS1_14partition_implILS5_0ELb0ES3_jN6thrust23THRUST_200600_302600_NS6detail15normal_iteratorINSA_10device_ptrIjEEEEPS6_SG_NS0_5tupleIJSF_SF_EEENSH_IJSG_SG_EEES6_PlJ7is_evenIjEEEE10hipError_tPvRmT3_T4_T5_T6_T7_T9_mT8_P12ihipStream_tbDpT10_ENKUlT_T0_E_clISt17integral_constantIbLb0EES16_EEDaS11_S12_EUlS11_E_NS1_11comp_targetILNS1_3genE3ELNS1_11target_archE908ELNS1_3gpuE7ELNS1_3repE0EEENS1_30default_config_static_selectorELNS0_4arch9wavefront6targetE1EEEvT1_
                                        ; -- End function
	.section	.AMDGPU.csdata,"",@progbits
; Kernel info:
; codeLenInByte = 0
; NumSgprs: 4
; NumVgprs: 0
; NumAgprs: 0
; TotalNumVgprs: 0
; ScratchSize: 0
; MemoryBound: 0
; FloatMode: 240
; IeeeMode: 1
; LDSByteSize: 0 bytes/workgroup (compile time only)
; SGPRBlocks: 0
; VGPRBlocks: 0
; NumSGPRsForWavesPerEU: 4
; NumVGPRsForWavesPerEU: 1
; AccumOffset: 4
; Occupancy: 8
; WaveLimiterHint : 0
; COMPUTE_PGM_RSRC2:SCRATCH_EN: 0
; COMPUTE_PGM_RSRC2:USER_SGPR: 6
; COMPUTE_PGM_RSRC2:TRAP_HANDLER: 0
; COMPUTE_PGM_RSRC2:TGID_X_EN: 1
; COMPUTE_PGM_RSRC2:TGID_Y_EN: 0
; COMPUTE_PGM_RSRC2:TGID_Z_EN: 0
; COMPUTE_PGM_RSRC2:TIDIG_COMP_CNT: 0
; COMPUTE_PGM_RSRC3_GFX90A:ACCUM_OFFSET: 0
; COMPUTE_PGM_RSRC3_GFX90A:TG_SPLIT: 0
	.section	.text._ZN7rocprim17ROCPRIM_400000_NS6detail17trampoline_kernelINS0_14default_configENS1_25partition_config_selectorILNS1_17partition_subalgoE0EjNS0_10empty_typeEbEEZZNS1_14partition_implILS5_0ELb0ES3_jN6thrust23THRUST_200600_302600_NS6detail15normal_iteratorINSA_10device_ptrIjEEEEPS6_SG_NS0_5tupleIJSF_SF_EEENSH_IJSG_SG_EEES6_PlJ7is_evenIjEEEE10hipError_tPvRmT3_T4_T5_T6_T7_T9_mT8_P12ihipStream_tbDpT10_ENKUlT_T0_E_clISt17integral_constantIbLb0EES16_EEDaS11_S12_EUlS11_E_NS1_11comp_targetILNS1_3genE2ELNS1_11target_archE906ELNS1_3gpuE6ELNS1_3repE0EEENS1_30default_config_static_selectorELNS0_4arch9wavefront6targetE1EEEvT1_,"axG",@progbits,_ZN7rocprim17ROCPRIM_400000_NS6detail17trampoline_kernelINS0_14default_configENS1_25partition_config_selectorILNS1_17partition_subalgoE0EjNS0_10empty_typeEbEEZZNS1_14partition_implILS5_0ELb0ES3_jN6thrust23THRUST_200600_302600_NS6detail15normal_iteratorINSA_10device_ptrIjEEEEPS6_SG_NS0_5tupleIJSF_SF_EEENSH_IJSG_SG_EEES6_PlJ7is_evenIjEEEE10hipError_tPvRmT3_T4_T5_T6_T7_T9_mT8_P12ihipStream_tbDpT10_ENKUlT_T0_E_clISt17integral_constantIbLb0EES16_EEDaS11_S12_EUlS11_E_NS1_11comp_targetILNS1_3genE2ELNS1_11target_archE906ELNS1_3gpuE6ELNS1_3repE0EEENS1_30default_config_static_selectorELNS0_4arch9wavefront6targetE1EEEvT1_,comdat
	.protected	_ZN7rocprim17ROCPRIM_400000_NS6detail17trampoline_kernelINS0_14default_configENS1_25partition_config_selectorILNS1_17partition_subalgoE0EjNS0_10empty_typeEbEEZZNS1_14partition_implILS5_0ELb0ES3_jN6thrust23THRUST_200600_302600_NS6detail15normal_iteratorINSA_10device_ptrIjEEEEPS6_SG_NS0_5tupleIJSF_SF_EEENSH_IJSG_SG_EEES6_PlJ7is_evenIjEEEE10hipError_tPvRmT3_T4_T5_T6_T7_T9_mT8_P12ihipStream_tbDpT10_ENKUlT_T0_E_clISt17integral_constantIbLb0EES16_EEDaS11_S12_EUlS11_E_NS1_11comp_targetILNS1_3genE2ELNS1_11target_archE906ELNS1_3gpuE6ELNS1_3repE0EEENS1_30default_config_static_selectorELNS0_4arch9wavefront6targetE1EEEvT1_ ; -- Begin function _ZN7rocprim17ROCPRIM_400000_NS6detail17trampoline_kernelINS0_14default_configENS1_25partition_config_selectorILNS1_17partition_subalgoE0EjNS0_10empty_typeEbEEZZNS1_14partition_implILS5_0ELb0ES3_jN6thrust23THRUST_200600_302600_NS6detail15normal_iteratorINSA_10device_ptrIjEEEEPS6_SG_NS0_5tupleIJSF_SF_EEENSH_IJSG_SG_EEES6_PlJ7is_evenIjEEEE10hipError_tPvRmT3_T4_T5_T6_T7_T9_mT8_P12ihipStream_tbDpT10_ENKUlT_T0_E_clISt17integral_constantIbLb0EES16_EEDaS11_S12_EUlS11_E_NS1_11comp_targetILNS1_3genE2ELNS1_11target_archE906ELNS1_3gpuE6ELNS1_3repE0EEENS1_30default_config_static_selectorELNS0_4arch9wavefront6targetE1EEEvT1_
	.globl	_ZN7rocprim17ROCPRIM_400000_NS6detail17trampoline_kernelINS0_14default_configENS1_25partition_config_selectorILNS1_17partition_subalgoE0EjNS0_10empty_typeEbEEZZNS1_14partition_implILS5_0ELb0ES3_jN6thrust23THRUST_200600_302600_NS6detail15normal_iteratorINSA_10device_ptrIjEEEEPS6_SG_NS0_5tupleIJSF_SF_EEENSH_IJSG_SG_EEES6_PlJ7is_evenIjEEEE10hipError_tPvRmT3_T4_T5_T6_T7_T9_mT8_P12ihipStream_tbDpT10_ENKUlT_T0_E_clISt17integral_constantIbLb0EES16_EEDaS11_S12_EUlS11_E_NS1_11comp_targetILNS1_3genE2ELNS1_11target_archE906ELNS1_3gpuE6ELNS1_3repE0EEENS1_30default_config_static_selectorELNS0_4arch9wavefront6targetE1EEEvT1_
	.p2align	8
	.type	_ZN7rocprim17ROCPRIM_400000_NS6detail17trampoline_kernelINS0_14default_configENS1_25partition_config_selectorILNS1_17partition_subalgoE0EjNS0_10empty_typeEbEEZZNS1_14partition_implILS5_0ELb0ES3_jN6thrust23THRUST_200600_302600_NS6detail15normal_iteratorINSA_10device_ptrIjEEEEPS6_SG_NS0_5tupleIJSF_SF_EEENSH_IJSG_SG_EEES6_PlJ7is_evenIjEEEE10hipError_tPvRmT3_T4_T5_T6_T7_T9_mT8_P12ihipStream_tbDpT10_ENKUlT_T0_E_clISt17integral_constantIbLb0EES16_EEDaS11_S12_EUlS11_E_NS1_11comp_targetILNS1_3genE2ELNS1_11target_archE906ELNS1_3gpuE6ELNS1_3repE0EEENS1_30default_config_static_selectorELNS0_4arch9wavefront6targetE1EEEvT1_,@function
_ZN7rocprim17ROCPRIM_400000_NS6detail17trampoline_kernelINS0_14default_configENS1_25partition_config_selectorILNS1_17partition_subalgoE0EjNS0_10empty_typeEbEEZZNS1_14partition_implILS5_0ELb0ES3_jN6thrust23THRUST_200600_302600_NS6detail15normal_iteratorINSA_10device_ptrIjEEEEPS6_SG_NS0_5tupleIJSF_SF_EEENSH_IJSG_SG_EEES6_PlJ7is_evenIjEEEE10hipError_tPvRmT3_T4_T5_T6_T7_T9_mT8_P12ihipStream_tbDpT10_ENKUlT_T0_E_clISt17integral_constantIbLb0EES16_EEDaS11_S12_EUlS11_E_NS1_11comp_targetILNS1_3genE2ELNS1_11target_archE906ELNS1_3gpuE6ELNS1_3repE0EEENS1_30default_config_static_selectorELNS0_4arch9wavefront6targetE1EEEvT1_: ; @_ZN7rocprim17ROCPRIM_400000_NS6detail17trampoline_kernelINS0_14default_configENS1_25partition_config_selectorILNS1_17partition_subalgoE0EjNS0_10empty_typeEbEEZZNS1_14partition_implILS5_0ELb0ES3_jN6thrust23THRUST_200600_302600_NS6detail15normal_iteratorINSA_10device_ptrIjEEEEPS6_SG_NS0_5tupleIJSF_SF_EEENSH_IJSG_SG_EEES6_PlJ7is_evenIjEEEE10hipError_tPvRmT3_T4_T5_T6_T7_T9_mT8_P12ihipStream_tbDpT10_ENKUlT_T0_E_clISt17integral_constantIbLb0EES16_EEDaS11_S12_EUlS11_E_NS1_11comp_targetILNS1_3genE2ELNS1_11target_archE906ELNS1_3gpuE6ELNS1_3repE0EEENS1_30default_config_static_selectorELNS0_4arch9wavefront6targetE1EEEvT1_
; %bb.0:
	.section	.rodata,"a",@progbits
	.p2align	6, 0x0
	.amdhsa_kernel _ZN7rocprim17ROCPRIM_400000_NS6detail17trampoline_kernelINS0_14default_configENS1_25partition_config_selectorILNS1_17partition_subalgoE0EjNS0_10empty_typeEbEEZZNS1_14partition_implILS5_0ELb0ES3_jN6thrust23THRUST_200600_302600_NS6detail15normal_iteratorINSA_10device_ptrIjEEEEPS6_SG_NS0_5tupleIJSF_SF_EEENSH_IJSG_SG_EEES6_PlJ7is_evenIjEEEE10hipError_tPvRmT3_T4_T5_T6_T7_T9_mT8_P12ihipStream_tbDpT10_ENKUlT_T0_E_clISt17integral_constantIbLb0EES16_EEDaS11_S12_EUlS11_E_NS1_11comp_targetILNS1_3genE2ELNS1_11target_archE906ELNS1_3gpuE6ELNS1_3repE0EEENS1_30default_config_static_selectorELNS0_4arch9wavefront6targetE1EEEvT1_
		.amdhsa_group_segment_fixed_size 0
		.amdhsa_private_segment_fixed_size 0
		.amdhsa_kernarg_size 120
		.amdhsa_user_sgpr_count 6
		.amdhsa_user_sgpr_private_segment_buffer 1
		.amdhsa_user_sgpr_dispatch_ptr 0
		.amdhsa_user_sgpr_queue_ptr 0
		.amdhsa_user_sgpr_kernarg_segment_ptr 1
		.amdhsa_user_sgpr_dispatch_id 0
		.amdhsa_user_sgpr_flat_scratch_init 0
		.amdhsa_user_sgpr_kernarg_preload_length 0
		.amdhsa_user_sgpr_kernarg_preload_offset 0
		.amdhsa_user_sgpr_private_segment_size 0
		.amdhsa_uses_dynamic_stack 0
		.amdhsa_system_sgpr_private_segment_wavefront_offset 0
		.amdhsa_system_sgpr_workgroup_id_x 1
		.amdhsa_system_sgpr_workgroup_id_y 0
		.amdhsa_system_sgpr_workgroup_id_z 0
		.amdhsa_system_sgpr_workgroup_info 0
		.amdhsa_system_vgpr_workitem_id 0
		.amdhsa_next_free_vgpr 1
		.amdhsa_next_free_sgpr 0
		.amdhsa_accum_offset 4
		.amdhsa_reserve_vcc 0
		.amdhsa_reserve_flat_scratch 0
		.amdhsa_float_round_mode_32 0
		.amdhsa_float_round_mode_16_64 0
		.amdhsa_float_denorm_mode_32 3
		.amdhsa_float_denorm_mode_16_64 3
		.amdhsa_dx10_clamp 1
		.amdhsa_ieee_mode 1
		.amdhsa_fp16_overflow 0
		.amdhsa_tg_split 0
		.amdhsa_exception_fp_ieee_invalid_op 0
		.amdhsa_exception_fp_denorm_src 0
		.amdhsa_exception_fp_ieee_div_zero 0
		.amdhsa_exception_fp_ieee_overflow 0
		.amdhsa_exception_fp_ieee_underflow 0
		.amdhsa_exception_fp_ieee_inexact 0
		.amdhsa_exception_int_div_zero 0
	.end_amdhsa_kernel
	.section	.text._ZN7rocprim17ROCPRIM_400000_NS6detail17trampoline_kernelINS0_14default_configENS1_25partition_config_selectorILNS1_17partition_subalgoE0EjNS0_10empty_typeEbEEZZNS1_14partition_implILS5_0ELb0ES3_jN6thrust23THRUST_200600_302600_NS6detail15normal_iteratorINSA_10device_ptrIjEEEEPS6_SG_NS0_5tupleIJSF_SF_EEENSH_IJSG_SG_EEES6_PlJ7is_evenIjEEEE10hipError_tPvRmT3_T4_T5_T6_T7_T9_mT8_P12ihipStream_tbDpT10_ENKUlT_T0_E_clISt17integral_constantIbLb0EES16_EEDaS11_S12_EUlS11_E_NS1_11comp_targetILNS1_3genE2ELNS1_11target_archE906ELNS1_3gpuE6ELNS1_3repE0EEENS1_30default_config_static_selectorELNS0_4arch9wavefront6targetE1EEEvT1_,"axG",@progbits,_ZN7rocprim17ROCPRIM_400000_NS6detail17trampoline_kernelINS0_14default_configENS1_25partition_config_selectorILNS1_17partition_subalgoE0EjNS0_10empty_typeEbEEZZNS1_14partition_implILS5_0ELb0ES3_jN6thrust23THRUST_200600_302600_NS6detail15normal_iteratorINSA_10device_ptrIjEEEEPS6_SG_NS0_5tupleIJSF_SF_EEENSH_IJSG_SG_EEES6_PlJ7is_evenIjEEEE10hipError_tPvRmT3_T4_T5_T6_T7_T9_mT8_P12ihipStream_tbDpT10_ENKUlT_T0_E_clISt17integral_constantIbLb0EES16_EEDaS11_S12_EUlS11_E_NS1_11comp_targetILNS1_3genE2ELNS1_11target_archE906ELNS1_3gpuE6ELNS1_3repE0EEENS1_30default_config_static_selectorELNS0_4arch9wavefront6targetE1EEEvT1_,comdat
.Lfunc_end2141:
	.size	_ZN7rocprim17ROCPRIM_400000_NS6detail17trampoline_kernelINS0_14default_configENS1_25partition_config_selectorILNS1_17partition_subalgoE0EjNS0_10empty_typeEbEEZZNS1_14partition_implILS5_0ELb0ES3_jN6thrust23THRUST_200600_302600_NS6detail15normal_iteratorINSA_10device_ptrIjEEEEPS6_SG_NS0_5tupleIJSF_SF_EEENSH_IJSG_SG_EEES6_PlJ7is_evenIjEEEE10hipError_tPvRmT3_T4_T5_T6_T7_T9_mT8_P12ihipStream_tbDpT10_ENKUlT_T0_E_clISt17integral_constantIbLb0EES16_EEDaS11_S12_EUlS11_E_NS1_11comp_targetILNS1_3genE2ELNS1_11target_archE906ELNS1_3gpuE6ELNS1_3repE0EEENS1_30default_config_static_selectorELNS0_4arch9wavefront6targetE1EEEvT1_, .Lfunc_end2141-_ZN7rocprim17ROCPRIM_400000_NS6detail17trampoline_kernelINS0_14default_configENS1_25partition_config_selectorILNS1_17partition_subalgoE0EjNS0_10empty_typeEbEEZZNS1_14partition_implILS5_0ELb0ES3_jN6thrust23THRUST_200600_302600_NS6detail15normal_iteratorINSA_10device_ptrIjEEEEPS6_SG_NS0_5tupleIJSF_SF_EEENSH_IJSG_SG_EEES6_PlJ7is_evenIjEEEE10hipError_tPvRmT3_T4_T5_T6_T7_T9_mT8_P12ihipStream_tbDpT10_ENKUlT_T0_E_clISt17integral_constantIbLb0EES16_EEDaS11_S12_EUlS11_E_NS1_11comp_targetILNS1_3genE2ELNS1_11target_archE906ELNS1_3gpuE6ELNS1_3repE0EEENS1_30default_config_static_selectorELNS0_4arch9wavefront6targetE1EEEvT1_
                                        ; -- End function
	.section	.AMDGPU.csdata,"",@progbits
; Kernel info:
; codeLenInByte = 0
; NumSgprs: 4
; NumVgprs: 0
; NumAgprs: 0
; TotalNumVgprs: 0
; ScratchSize: 0
; MemoryBound: 0
; FloatMode: 240
; IeeeMode: 1
; LDSByteSize: 0 bytes/workgroup (compile time only)
; SGPRBlocks: 0
; VGPRBlocks: 0
; NumSGPRsForWavesPerEU: 4
; NumVGPRsForWavesPerEU: 1
; AccumOffset: 4
; Occupancy: 8
; WaveLimiterHint : 0
; COMPUTE_PGM_RSRC2:SCRATCH_EN: 0
; COMPUTE_PGM_RSRC2:USER_SGPR: 6
; COMPUTE_PGM_RSRC2:TRAP_HANDLER: 0
; COMPUTE_PGM_RSRC2:TGID_X_EN: 1
; COMPUTE_PGM_RSRC2:TGID_Y_EN: 0
; COMPUTE_PGM_RSRC2:TGID_Z_EN: 0
; COMPUTE_PGM_RSRC2:TIDIG_COMP_CNT: 0
; COMPUTE_PGM_RSRC3_GFX90A:ACCUM_OFFSET: 0
; COMPUTE_PGM_RSRC3_GFX90A:TG_SPLIT: 0
	.section	.text._ZN7rocprim17ROCPRIM_400000_NS6detail17trampoline_kernelINS0_14default_configENS1_25partition_config_selectorILNS1_17partition_subalgoE0EjNS0_10empty_typeEbEEZZNS1_14partition_implILS5_0ELb0ES3_jN6thrust23THRUST_200600_302600_NS6detail15normal_iteratorINSA_10device_ptrIjEEEEPS6_SG_NS0_5tupleIJSF_SF_EEENSH_IJSG_SG_EEES6_PlJ7is_evenIjEEEE10hipError_tPvRmT3_T4_T5_T6_T7_T9_mT8_P12ihipStream_tbDpT10_ENKUlT_T0_E_clISt17integral_constantIbLb0EES16_EEDaS11_S12_EUlS11_E_NS1_11comp_targetILNS1_3genE10ELNS1_11target_archE1200ELNS1_3gpuE4ELNS1_3repE0EEENS1_30default_config_static_selectorELNS0_4arch9wavefront6targetE1EEEvT1_,"axG",@progbits,_ZN7rocprim17ROCPRIM_400000_NS6detail17trampoline_kernelINS0_14default_configENS1_25partition_config_selectorILNS1_17partition_subalgoE0EjNS0_10empty_typeEbEEZZNS1_14partition_implILS5_0ELb0ES3_jN6thrust23THRUST_200600_302600_NS6detail15normal_iteratorINSA_10device_ptrIjEEEEPS6_SG_NS0_5tupleIJSF_SF_EEENSH_IJSG_SG_EEES6_PlJ7is_evenIjEEEE10hipError_tPvRmT3_T4_T5_T6_T7_T9_mT8_P12ihipStream_tbDpT10_ENKUlT_T0_E_clISt17integral_constantIbLb0EES16_EEDaS11_S12_EUlS11_E_NS1_11comp_targetILNS1_3genE10ELNS1_11target_archE1200ELNS1_3gpuE4ELNS1_3repE0EEENS1_30default_config_static_selectorELNS0_4arch9wavefront6targetE1EEEvT1_,comdat
	.protected	_ZN7rocprim17ROCPRIM_400000_NS6detail17trampoline_kernelINS0_14default_configENS1_25partition_config_selectorILNS1_17partition_subalgoE0EjNS0_10empty_typeEbEEZZNS1_14partition_implILS5_0ELb0ES3_jN6thrust23THRUST_200600_302600_NS6detail15normal_iteratorINSA_10device_ptrIjEEEEPS6_SG_NS0_5tupleIJSF_SF_EEENSH_IJSG_SG_EEES6_PlJ7is_evenIjEEEE10hipError_tPvRmT3_T4_T5_T6_T7_T9_mT8_P12ihipStream_tbDpT10_ENKUlT_T0_E_clISt17integral_constantIbLb0EES16_EEDaS11_S12_EUlS11_E_NS1_11comp_targetILNS1_3genE10ELNS1_11target_archE1200ELNS1_3gpuE4ELNS1_3repE0EEENS1_30default_config_static_selectorELNS0_4arch9wavefront6targetE1EEEvT1_ ; -- Begin function _ZN7rocprim17ROCPRIM_400000_NS6detail17trampoline_kernelINS0_14default_configENS1_25partition_config_selectorILNS1_17partition_subalgoE0EjNS0_10empty_typeEbEEZZNS1_14partition_implILS5_0ELb0ES3_jN6thrust23THRUST_200600_302600_NS6detail15normal_iteratorINSA_10device_ptrIjEEEEPS6_SG_NS0_5tupleIJSF_SF_EEENSH_IJSG_SG_EEES6_PlJ7is_evenIjEEEE10hipError_tPvRmT3_T4_T5_T6_T7_T9_mT8_P12ihipStream_tbDpT10_ENKUlT_T0_E_clISt17integral_constantIbLb0EES16_EEDaS11_S12_EUlS11_E_NS1_11comp_targetILNS1_3genE10ELNS1_11target_archE1200ELNS1_3gpuE4ELNS1_3repE0EEENS1_30default_config_static_selectorELNS0_4arch9wavefront6targetE1EEEvT1_
	.globl	_ZN7rocprim17ROCPRIM_400000_NS6detail17trampoline_kernelINS0_14default_configENS1_25partition_config_selectorILNS1_17partition_subalgoE0EjNS0_10empty_typeEbEEZZNS1_14partition_implILS5_0ELb0ES3_jN6thrust23THRUST_200600_302600_NS6detail15normal_iteratorINSA_10device_ptrIjEEEEPS6_SG_NS0_5tupleIJSF_SF_EEENSH_IJSG_SG_EEES6_PlJ7is_evenIjEEEE10hipError_tPvRmT3_T4_T5_T6_T7_T9_mT8_P12ihipStream_tbDpT10_ENKUlT_T0_E_clISt17integral_constantIbLb0EES16_EEDaS11_S12_EUlS11_E_NS1_11comp_targetILNS1_3genE10ELNS1_11target_archE1200ELNS1_3gpuE4ELNS1_3repE0EEENS1_30default_config_static_selectorELNS0_4arch9wavefront6targetE1EEEvT1_
	.p2align	8
	.type	_ZN7rocprim17ROCPRIM_400000_NS6detail17trampoline_kernelINS0_14default_configENS1_25partition_config_selectorILNS1_17partition_subalgoE0EjNS0_10empty_typeEbEEZZNS1_14partition_implILS5_0ELb0ES3_jN6thrust23THRUST_200600_302600_NS6detail15normal_iteratorINSA_10device_ptrIjEEEEPS6_SG_NS0_5tupleIJSF_SF_EEENSH_IJSG_SG_EEES6_PlJ7is_evenIjEEEE10hipError_tPvRmT3_T4_T5_T6_T7_T9_mT8_P12ihipStream_tbDpT10_ENKUlT_T0_E_clISt17integral_constantIbLb0EES16_EEDaS11_S12_EUlS11_E_NS1_11comp_targetILNS1_3genE10ELNS1_11target_archE1200ELNS1_3gpuE4ELNS1_3repE0EEENS1_30default_config_static_selectorELNS0_4arch9wavefront6targetE1EEEvT1_,@function
_ZN7rocprim17ROCPRIM_400000_NS6detail17trampoline_kernelINS0_14default_configENS1_25partition_config_selectorILNS1_17partition_subalgoE0EjNS0_10empty_typeEbEEZZNS1_14partition_implILS5_0ELb0ES3_jN6thrust23THRUST_200600_302600_NS6detail15normal_iteratorINSA_10device_ptrIjEEEEPS6_SG_NS0_5tupleIJSF_SF_EEENSH_IJSG_SG_EEES6_PlJ7is_evenIjEEEE10hipError_tPvRmT3_T4_T5_T6_T7_T9_mT8_P12ihipStream_tbDpT10_ENKUlT_T0_E_clISt17integral_constantIbLb0EES16_EEDaS11_S12_EUlS11_E_NS1_11comp_targetILNS1_3genE10ELNS1_11target_archE1200ELNS1_3gpuE4ELNS1_3repE0EEENS1_30default_config_static_selectorELNS0_4arch9wavefront6targetE1EEEvT1_: ; @_ZN7rocprim17ROCPRIM_400000_NS6detail17trampoline_kernelINS0_14default_configENS1_25partition_config_selectorILNS1_17partition_subalgoE0EjNS0_10empty_typeEbEEZZNS1_14partition_implILS5_0ELb0ES3_jN6thrust23THRUST_200600_302600_NS6detail15normal_iteratorINSA_10device_ptrIjEEEEPS6_SG_NS0_5tupleIJSF_SF_EEENSH_IJSG_SG_EEES6_PlJ7is_evenIjEEEE10hipError_tPvRmT3_T4_T5_T6_T7_T9_mT8_P12ihipStream_tbDpT10_ENKUlT_T0_E_clISt17integral_constantIbLb0EES16_EEDaS11_S12_EUlS11_E_NS1_11comp_targetILNS1_3genE10ELNS1_11target_archE1200ELNS1_3gpuE4ELNS1_3repE0EEENS1_30default_config_static_selectorELNS0_4arch9wavefront6targetE1EEEvT1_
; %bb.0:
	.section	.rodata,"a",@progbits
	.p2align	6, 0x0
	.amdhsa_kernel _ZN7rocprim17ROCPRIM_400000_NS6detail17trampoline_kernelINS0_14default_configENS1_25partition_config_selectorILNS1_17partition_subalgoE0EjNS0_10empty_typeEbEEZZNS1_14partition_implILS5_0ELb0ES3_jN6thrust23THRUST_200600_302600_NS6detail15normal_iteratorINSA_10device_ptrIjEEEEPS6_SG_NS0_5tupleIJSF_SF_EEENSH_IJSG_SG_EEES6_PlJ7is_evenIjEEEE10hipError_tPvRmT3_T4_T5_T6_T7_T9_mT8_P12ihipStream_tbDpT10_ENKUlT_T0_E_clISt17integral_constantIbLb0EES16_EEDaS11_S12_EUlS11_E_NS1_11comp_targetILNS1_3genE10ELNS1_11target_archE1200ELNS1_3gpuE4ELNS1_3repE0EEENS1_30default_config_static_selectorELNS0_4arch9wavefront6targetE1EEEvT1_
		.amdhsa_group_segment_fixed_size 0
		.amdhsa_private_segment_fixed_size 0
		.amdhsa_kernarg_size 120
		.amdhsa_user_sgpr_count 6
		.amdhsa_user_sgpr_private_segment_buffer 1
		.amdhsa_user_sgpr_dispatch_ptr 0
		.amdhsa_user_sgpr_queue_ptr 0
		.amdhsa_user_sgpr_kernarg_segment_ptr 1
		.amdhsa_user_sgpr_dispatch_id 0
		.amdhsa_user_sgpr_flat_scratch_init 0
		.amdhsa_user_sgpr_kernarg_preload_length 0
		.amdhsa_user_sgpr_kernarg_preload_offset 0
		.amdhsa_user_sgpr_private_segment_size 0
		.amdhsa_uses_dynamic_stack 0
		.amdhsa_system_sgpr_private_segment_wavefront_offset 0
		.amdhsa_system_sgpr_workgroup_id_x 1
		.amdhsa_system_sgpr_workgroup_id_y 0
		.amdhsa_system_sgpr_workgroup_id_z 0
		.amdhsa_system_sgpr_workgroup_info 0
		.amdhsa_system_vgpr_workitem_id 0
		.amdhsa_next_free_vgpr 1
		.amdhsa_next_free_sgpr 0
		.amdhsa_accum_offset 4
		.amdhsa_reserve_vcc 0
		.amdhsa_reserve_flat_scratch 0
		.amdhsa_float_round_mode_32 0
		.amdhsa_float_round_mode_16_64 0
		.amdhsa_float_denorm_mode_32 3
		.amdhsa_float_denorm_mode_16_64 3
		.amdhsa_dx10_clamp 1
		.amdhsa_ieee_mode 1
		.amdhsa_fp16_overflow 0
		.amdhsa_tg_split 0
		.amdhsa_exception_fp_ieee_invalid_op 0
		.amdhsa_exception_fp_denorm_src 0
		.amdhsa_exception_fp_ieee_div_zero 0
		.amdhsa_exception_fp_ieee_overflow 0
		.amdhsa_exception_fp_ieee_underflow 0
		.amdhsa_exception_fp_ieee_inexact 0
		.amdhsa_exception_int_div_zero 0
	.end_amdhsa_kernel
	.section	.text._ZN7rocprim17ROCPRIM_400000_NS6detail17trampoline_kernelINS0_14default_configENS1_25partition_config_selectorILNS1_17partition_subalgoE0EjNS0_10empty_typeEbEEZZNS1_14partition_implILS5_0ELb0ES3_jN6thrust23THRUST_200600_302600_NS6detail15normal_iteratorINSA_10device_ptrIjEEEEPS6_SG_NS0_5tupleIJSF_SF_EEENSH_IJSG_SG_EEES6_PlJ7is_evenIjEEEE10hipError_tPvRmT3_T4_T5_T6_T7_T9_mT8_P12ihipStream_tbDpT10_ENKUlT_T0_E_clISt17integral_constantIbLb0EES16_EEDaS11_S12_EUlS11_E_NS1_11comp_targetILNS1_3genE10ELNS1_11target_archE1200ELNS1_3gpuE4ELNS1_3repE0EEENS1_30default_config_static_selectorELNS0_4arch9wavefront6targetE1EEEvT1_,"axG",@progbits,_ZN7rocprim17ROCPRIM_400000_NS6detail17trampoline_kernelINS0_14default_configENS1_25partition_config_selectorILNS1_17partition_subalgoE0EjNS0_10empty_typeEbEEZZNS1_14partition_implILS5_0ELb0ES3_jN6thrust23THRUST_200600_302600_NS6detail15normal_iteratorINSA_10device_ptrIjEEEEPS6_SG_NS0_5tupleIJSF_SF_EEENSH_IJSG_SG_EEES6_PlJ7is_evenIjEEEE10hipError_tPvRmT3_T4_T5_T6_T7_T9_mT8_P12ihipStream_tbDpT10_ENKUlT_T0_E_clISt17integral_constantIbLb0EES16_EEDaS11_S12_EUlS11_E_NS1_11comp_targetILNS1_3genE10ELNS1_11target_archE1200ELNS1_3gpuE4ELNS1_3repE0EEENS1_30default_config_static_selectorELNS0_4arch9wavefront6targetE1EEEvT1_,comdat
.Lfunc_end2142:
	.size	_ZN7rocprim17ROCPRIM_400000_NS6detail17trampoline_kernelINS0_14default_configENS1_25partition_config_selectorILNS1_17partition_subalgoE0EjNS0_10empty_typeEbEEZZNS1_14partition_implILS5_0ELb0ES3_jN6thrust23THRUST_200600_302600_NS6detail15normal_iteratorINSA_10device_ptrIjEEEEPS6_SG_NS0_5tupleIJSF_SF_EEENSH_IJSG_SG_EEES6_PlJ7is_evenIjEEEE10hipError_tPvRmT3_T4_T5_T6_T7_T9_mT8_P12ihipStream_tbDpT10_ENKUlT_T0_E_clISt17integral_constantIbLb0EES16_EEDaS11_S12_EUlS11_E_NS1_11comp_targetILNS1_3genE10ELNS1_11target_archE1200ELNS1_3gpuE4ELNS1_3repE0EEENS1_30default_config_static_selectorELNS0_4arch9wavefront6targetE1EEEvT1_, .Lfunc_end2142-_ZN7rocprim17ROCPRIM_400000_NS6detail17trampoline_kernelINS0_14default_configENS1_25partition_config_selectorILNS1_17partition_subalgoE0EjNS0_10empty_typeEbEEZZNS1_14partition_implILS5_0ELb0ES3_jN6thrust23THRUST_200600_302600_NS6detail15normal_iteratorINSA_10device_ptrIjEEEEPS6_SG_NS0_5tupleIJSF_SF_EEENSH_IJSG_SG_EEES6_PlJ7is_evenIjEEEE10hipError_tPvRmT3_T4_T5_T6_T7_T9_mT8_P12ihipStream_tbDpT10_ENKUlT_T0_E_clISt17integral_constantIbLb0EES16_EEDaS11_S12_EUlS11_E_NS1_11comp_targetILNS1_3genE10ELNS1_11target_archE1200ELNS1_3gpuE4ELNS1_3repE0EEENS1_30default_config_static_selectorELNS0_4arch9wavefront6targetE1EEEvT1_
                                        ; -- End function
	.section	.AMDGPU.csdata,"",@progbits
; Kernel info:
; codeLenInByte = 0
; NumSgprs: 4
; NumVgprs: 0
; NumAgprs: 0
; TotalNumVgprs: 0
; ScratchSize: 0
; MemoryBound: 0
; FloatMode: 240
; IeeeMode: 1
; LDSByteSize: 0 bytes/workgroup (compile time only)
; SGPRBlocks: 0
; VGPRBlocks: 0
; NumSGPRsForWavesPerEU: 4
; NumVGPRsForWavesPerEU: 1
; AccumOffset: 4
; Occupancy: 8
; WaveLimiterHint : 0
; COMPUTE_PGM_RSRC2:SCRATCH_EN: 0
; COMPUTE_PGM_RSRC2:USER_SGPR: 6
; COMPUTE_PGM_RSRC2:TRAP_HANDLER: 0
; COMPUTE_PGM_RSRC2:TGID_X_EN: 1
; COMPUTE_PGM_RSRC2:TGID_Y_EN: 0
; COMPUTE_PGM_RSRC2:TGID_Z_EN: 0
; COMPUTE_PGM_RSRC2:TIDIG_COMP_CNT: 0
; COMPUTE_PGM_RSRC3_GFX90A:ACCUM_OFFSET: 0
; COMPUTE_PGM_RSRC3_GFX90A:TG_SPLIT: 0
	.section	.text._ZN7rocprim17ROCPRIM_400000_NS6detail17trampoline_kernelINS0_14default_configENS1_25partition_config_selectorILNS1_17partition_subalgoE0EjNS0_10empty_typeEbEEZZNS1_14partition_implILS5_0ELb0ES3_jN6thrust23THRUST_200600_302600_NS6detail15normal_iteratorINSA_10device_ptrIjEEEEPS6_SG_NS0_5tupleIJSF_SF_EEENSH_IJSG_SG_EEES6_PlJ7is_evenIjEEEE10hipError_tPvRmT3_T4_T5_T6_T7_T9_mT8_P12ihipStream_tbDpT10_ENKUlT_T0_E_clISt17integral_constantIbLb0EES16_EEDaS11_S12_EUlS11_E_NS1_11comp_targetILNS1_3genE9ELNS1_11target_archE1100ELNS1_3gpuE3ELNS1_3repE0EEENS1_30default_config_static_selectorELNS0_4arch9wavefront6targetE1EEEvT1_,"axG",@progbits,_ZN7rocprim17ROCPRIM_400000_NS6detail17trampoline_kernelINS0_14default_configENS1_25partition_config_selectorILNS1_17partition_subalgoE0EjNS0_10empty_typeEbEEZZNS1_14partition_implILS5_0ELb0ES3_jN6thrust23THRUST_200600_302600_NS6detail15normal_iteratorINSA_10device_ptrIjEEEEPS6_SG_NS0_5tupleIJSF_SF_EEENSH_IJSG_SG_EEES6_PlJ7is_evenIjEEEE10hipError_tPvRmT3_T4_T5_T6_T7_T9_mT8_P12ihipStream_tbDpT10_ENKUlT_T0_E_clISt17integral_constantIbLb0EES16_EEDaS11_S12_EUlS11_E_NS1_11comp_targetILNS1_3genE9ELNS1_11target_archE1100ELNS1_3gpuE3ELNS1_3repE0EEENS1_30default_config_static_selectorELNS0_4arch9wavefront6targetE1EEEvT1_,comdat
	.protected	_ZN7rocprim17ROCPRIM_400000_NS6detail17trampoline_kernelINS0_14default_configENS1_25partition_config_selectorILNS1_17partition_subalgoE0EjNS0_10empty_typeEbEEZZNS1_14partition_implILS5_0ELb0ES3_jN6thrust23THRUST_200600_302600_NS6detail15normal_iteratorINSA_10device_ptrIjEEEEPS6_SG_NS0_5tupleIJSF_SF_EEENSH_IJSG_SG_EEES6_PlJ7is_evenIjEEEE10hipError_tPvRmT3_T4_T5_T6_T7_T9_mT8_P12ihipStream_tbDpT10_ENKUlT_T0_E_clISt17integral_constantIbLb0EES16_EEDaS11_S12_EUlS11_E_NS1_11comp_targetILNS1_3genE9ELNS1_11target_archE1100ELNS1_3gpuE3ELNS1_3repE0EEENS1_30default_config_static_selectorELNS0_4arch9wavefront6targetE1EEEvT1_ ; -- Begin function _ZN7rocprim17ROCPRIM_400000_NS6detail17trampoline_kernelINS0_14default_configENS1_25partition_config_selectorILNS1_17partition_subalgoE0EjNS0_10empty_typeEbEEZZNS1_14partition_implILS5_0ELb0ES3_jN6thrust23THRUST_200600_302600_NS6detail15normal_iteratorINSA_10device_ptrIjEEEEPS6_SG_NS0_5tupleIJSF_SF_EEENSH_IJSG_SG_EEES6_PlJ7is_evenIjEEEE10hipError_tPvRmT3_T4_T5_T6_T7_T9_mT8_P12ihipStream_tbDpT10_ENKUlT_T0_E_clISt17integral_constantIbLb0EES16_EEDaS11_S12_EUlS11_E_NS1_11comp_targetILNS1_3genE9ELNS1_11target_archE1100ELNS1_3gpuE3ELNS1_3repE0EEENS1_30default_config_static_selectorELNS0_4arch9wavefront6targetE1EEEvT1_
	.globl	_ZN7rocprim17ROCPRIM_400000_NS6detail17trampoline_kernelINS0_14default_configENS1_25partition_config_selectorILNS1_17partition_subalgoE0EjNS0_10empty_typeEbEEZZNS1_14partition_implILS5_0ELb0ES3_jN6thrust23THRUST_200600_302600_NS6detail15normal_iteratorINSA_10device_ptrIjEEEEPS6_SG_NS0_5tupleIJSF_SF_EEENSH_IJSG_SG_EEES6_PlJ7is_evenIjEEEE10hipError_tPvRmT3_T4_T5_T6_T7_T9_mT8_P12ihipStream_tbDpT10_ENKUlT_T0_E_clISt17integral_constantIbLb0EES16_EEDaS11_S12_EUlS11_E_NS1_11comp_targetILNS1_3genE9ELNS1_11target_archE1100ELNS1_3gpuE3ELNS1_3repE0EEENS1_30default_config_static_selectorELNS0_4arch9wavefront6targetE1EEEvT1_
	.p2align	8
	.type	_ZN7rocprim17ROCPRIM_400000_NS6detail17trampoline_kernelINS0_14default_configENS1_25partition_config_selectorILNS1_17partition_subalgoE0EjNS0_10empty_typeEbEEZZNS1_14partition_implILS5_0ELb0ES3_jN6thrust23THRUST_200600_302600_NS6detail15normal_iteratorINSA_10device_ptrIjEEEEPS6_SG_NS0_5tupleIJSF_SF_EEENSH_IJSG_SG_EEES6_PlJ7is_evenIjEEEE10hipError_tPvRmT3_T4_T5_T6_T7_T9_mT8_P12ihipStream_tbDpT10_ENKUlT_T0_E_clISt17integral_constantIbLb0EES16_EEDaS11_S12_EUlS11_E_NS1_11comp_targetILNS1_3genE9ELNS1_11target_archE1100ELNS1_3gpuE3ELNS1_3repE0EEENS1_30default_config_static_selectorELNS0_4arch9wavefront6targetE1EEEvT1_,@function
_ZN7rocprim17ROCPRIM_400000_NS6detail17trampoline_kernelINS0_14default_configENS1_25partition_config_selectorILNS1_17partition_subalgoE0EjNS0_10empty_typeEbEEZZNS1_14partition_implILS5_0ELb0ES3_jN6thrust23THRUST_200600_302600_NS6detail15normal_iteratorINSA_10device_ptrIjEEEEPS6_SG_NS0_5tupleIJSF_SF_EEENSH_IJSG_SG_EEES6_PlJ7is_evenIjEEEE10hipError_tPvRmT3_T4_T5_T6_T7_T9_mT8_P12ihipStream_tbDpT10_ENKUlT_T0_E_clISt17integral_constantIbLb0EES16_EEDaS11_S12_EUlS11_E_NS1_11comp_targetILNS1_3genE9ELNS1_11target_archE1100ELNS1_3gpuE3ELNS1_3repE0EEENS1_30default_config_static_selectorELNS0_4arch9wavefront6targetE1EEEvT1_: ; @_ZN7rocprim17ROCPRIM_400000_NS6detail17trampoline_kernelINS0_14default_configENS1_25partition_config_selectorILNS1_17partition_subalgoE0EjNS0_10empty_typeEbEEZZNS1_14partition_implILS5_0ELb0ES3_jN6thrust23THRUST_200600_302600_NS6detail15normal_iteratorINSA_10device_ptrIjEEEEPS6_SG_NS0_5tupleIJSF_SF_EEENSH_IJSG_SG_EEES6_PlJ7is_evenIjEEEE10hipError_tPvRmT3_T4_T5_T6_T7_T9_mT8_P12ihipStream_tbDpT10_ENKUlT_T0_E_clISt17integral_constantIbLb0EES16_EEDaS11_S12_EUlS11_E_NS1_11comp_targetILNS1_3genE9ELNS1_11target_archE1100ELNS1_3gpuE3ELNS1_3repE0EEENS1_30default_config_static_selectorELNS0_4arch9wavefront6targetE1EEEvT1_
; %bb.0:
	.section	.rodata,"a",@progbits
	.p2align	6, 0x0
	.amdhsa_kernel _ZN7rocprim17ROCPRIM_400000_NS6detail17trampoline_kernelINS0_14default_configENS1_25partition_config_selectorILNS1_17partition_subalgoE0EjNS0_10empty_typeEbEEZZNS1_14partition_implILS5_0ELb0ES3_jN6thrust23THRUST_200600_302600_NS6detail15normal_iteratorINSA_10device_ptrIjEEEEPS6_SG_NS0_5tupleIJSF_SF_EEENSH_IJSG_SG_EEES6_PlJ7is_evenIjEEEE10hipError_tPvRmT3_T4_T5_T6_T7_T9_mT8_P12ihipStream_tbDpT10_ENKUlT_T0_E_clISt17integral_constantIbLb0EES16_EEDaS11_S12_EUlS11_E_NS1_11comp_targetILNS1_3genE9ELNS1_11target_archE1100ELNS1_3gpuE3ELNS1_3repE0EEENS1_30default_config_static_selectorELNS0_4arch9wavefront6targetE1EEEvT1_
		.amdhsa_group_segment_fixed_size 0
		.amdhsa_private_segment_fixed_size 0
		.amdhsa_kernarg_size 120
		.amdhsa_user_sgpr_count 6
		.amdhsa_user_sgpr_private_segment_buffer 1
		.amdhsa_user_sgpr_dispatch_ptr 0
		.amdhsa_user_sgpr_queue_ptr 0
		.amdhsa_user_sgpr_kernarg_segment_ptr 1
		.amdhsa_user_sgpr_dispatch_id 0
		.amdhsa_user_sgpr_flat_scratch_init 0
		.amdhsa_user_sgpr_kernarg_preload_length 0
		.amdhsa_user_sgpr_kernarg_preload_offset 0
		.amdhsa_user_sgpr_private_segment_size 0
		.amdhsa_uses_dynamic_stack 0
		.amdhsa_system_sgpr_private_segment_wavefront_offset 0
		.amdhsa_system_sgpr_workgroup_id_x 1
		.amdhsa_system_sgpr_workgroup_id_y 0
		.amdhsa_system_sgpr_workgroup_id_z 0
		.amdhsa_system_sgpr_workgroup_info 0
		.amdhsa_system_vgpr_workitem_id 0
		.amdhsa_next_free_vgpr 1
		.amdhsa_next_free_sgpr 0
		.amdhsa_accum_offset 4
		.amdhsa_reserve_vcc 0
		.amdhsa_reserve_flat_scratch 0
		.amdhsa_float_round_mode_32 0
		.amdhsa_float_round_mode_16_64 0
		.amdhsa_float_denorm_mode_32 3
		.amdhsa_float_denorm_mode_16_64 3
		.amdhsa_dx10_clamp 1
		.amdhsa_ieee_mode 1
		.amdhsa_fp16_overflow 0
		.amdhsa_tg_split 0
		.amdhsa_exception_fp_ieee_invalid_op 0
		.amdhsa_exception_fp_denorm_src 0
		.amdhsa_exception_fp_ieee_div_zero 0
		.amdhsa_exception_fp_ieee_overflow 0
		.amdhsa_exception_fp_ieee_underflow 0
		.amdhsa_exception_fp_ieee_inexact 0
		.amdhsa_exception_int_div_zero 0
	.end_amdhsa_kernel
	.section	.text._ZN7rocprim17ROCPRIM_400000_NS6detail17trampoline_kernelINS0_14default_configENS1_25partition_config_selectorILNS1_17partition_subalgoE0EjNS0_10empty_typeEbEEZZNS1_14partition_implILS5_0ELb0ES3_jN6thrust23THRUST_200600_302600_NS6detail15normal_iteratorINSA_10device_ptrIjEEEEPS6_SG_NS0_5tupleIJSF_SF_EEENSH_IJSG_SG_EEES6_PlJ7is_evenIjEEEE10hipError_tPvRmT3_T4_T5_T6_T7_T9_mT8_P12ihipStream_tbDpT10_ENKUlT_T0_E_clISt17integral_constantIbLb0EES16_EEDaS11_S12_EUlS11_E_NS1_11comp_targetILNS1_3genE9ELNS1_11target_archE1100ELNS1_3gpuE3ELNS1_3repE0EEENS1_30default_config_static_selectorELNS0_4arch9wavefront6targetE1EEEvT1_,"axG",@progbits,_ZN7rocprim17ROCPRIM_400000_NS6detail17trampoline_kernelINS0_14default_configENS1_25partition_config_selectorILNS1_17partition_subalgoE0EjNS0_10empty_typeEbEEZZNS1_14partition_implILS5_0ELb0ES3_jN6thrust23THRUST_200600_302600_NS6detail15normal_iteratorINSA_10device_ptrIjEEEEPS6_SG_NS0_5tupleIJSF_SF_EEENSH_IJSG_SG_EEES6_PlJ7is_evenIjEEEE10hipError_tPvRmT3_T4_T5_T6_T7_T9_mT8_P12ihipStream_tbDpT10_ENKUlT_T0_E_clISt17integral_constantIbLb0EES16_EEDaS11_S12_EUlS11_E_NS1_11comp_targetILNS1_3genE9ELNS1_11target_archE1100ELNS1_3gpuE3ELNS1_3repE0EEENS1_30default_config_static_selectorELNS0_4arch9wavefront6targetE1EEEvT1_,comdat
.Lfunc_end2143:
	.size	_ZN7rocprim17ROCPRIM_400000_NS6detail17trampoline_kernelINS0_14default_configENS1_25partition_config_selectorILNS1_17partition_subalgoE0EjNS0_10empty_typeEbEEZZNS1_14partition_implILS5_0ELb0ES3_jN6thrust23THRUST_200600_302600_NS6detail15normal_iteratorINSA_10device_ptrIjEEEEPS6_SG_NS0_5tupleIJSF_SF_EEENSH_IJSG_SG_EEES6_PlJ7is_evenIjEEEE10hipError_tPvRmT3_T4_T5_T6_T7_T9_mT8_P12ihipStream_tbDpT10_ENKUlT_T0_E_clISt17integral_constantIbLb0EES16_EEDaS11_S12_EUlS11_E_NS1_11comp_targetILNS1_3genE9ELNS1_11target_archE1100ELNS1_3gpuE3ELNS1_3repE0EEENS1_30default_config_static_selectorELNS0_4arch9wavefront6targetE1EEEvT1_, .Lfunc_end2143-_ZN7rocprim17ROCPRIM_400000_NS6detail17trampoline_kernelINS0_14default_configENS1_25partition_config_selectorILNS1_17partition_subalgoE0EjNS0_10empty_typeEbEEZZNS1_14partition_implILS5_0ELb0ES3_jN6thrust23THRUST_200600_302600_NS6detail15normal_iteratorINSA_10device_ptrIjEEEEPS6_SG_NS0_5tupleIJSF_SF_EEENSH_IJSG_SG_EEES6_PlJ7is_evenIjEEEE10hipError_tPvRmT3_T4_T5_T6_T7_T9_mT8_P12ihipStream_tbDpT10_ENKUlT_T0_E_clISt17integral_constantIbLb0EES16_EEDaS11_S12_EUlS11_E_NS1_11comp_targetILNS1_3genE9ELNS1_11target_archE1100ELNS1_3gpuE3ELNS1_3repE0EEENS1_30default_config_static_selectorELNS0_4arch9wavefront6targetE1EEEvT1_
                                        ; -- End function
	.section	.AMDGPU.csdata,"",@progbits
; Kernel info:
; codeLenInByte = 0
; NumSgprs: 4
; NumVgprs: 0
; NumAgprs: 0
; TotalNumVgprs: 0
; ScratchSize: 0
; MemoryBound: 0
; FloatMode: 240
; IeeeMode: 1
; LDSByteSize: 0 bytes/workgroup (compile time only)
; SGPRBlocks: 0
; VGPRBlocks: 0
; NumSGPRsForWavesPerEU: 4
; NumVGPRsForWavesPerEU: 1
; AccumOffset: 4
; Occupancy: 8
; WaveLimiterHint : 0
; COMPUTE_PGM_RSRC2:SCRATCH_EN: 0
; COMPUTE_PGM_RSRC2:USER_SGPR: 6
; COMPUTE_PGM_RSRC2:TRAP_HANDLER: 0
; COMPUTE_PGM_RSRC2:TGID_X_EN: 1
; COMPUTE_PGM_RSRC2:TGID_Y_EN: 0
; COMPUTE_PGM_RSRC2:TGID_Z_EN: 0
; COMPUTE_PGM_RSRC2:TIDIG_COMP_CNT: 0
; COMPUTE_PGM_RSRC3_GFX90A:ACCUM_OFFSET: 0
; COMPUTE_PGM_RSRC3_GFX90A:TG_SPLIT: 0
	.section	.text._ZN7rocprim17ROCPRIM_400000_NS6detail17trampoline_kernelINS0_14default_configENS1_25partition_config_selectorILNS1_17partition_subalgoE0EjNS0_10empty_typeEbEEZZNS1_14partition_implILS5_0ELb0ES3_jN6thrust23THRUST_200600_302600_NS6detail15normal_iteratorINSA_10device_ptrIjEEEEPS6_SG_NS0_5tupleIJSF_SF_EEENSH_IJSG_SG_EEES6_PlJ7is_evenIjEEEE10hipError_tPvRmT3_T4_T5_T6_T7_T9_mT8_P12ihipStream_tbDpT10_ENKUlT_T0_E_clISt17integral_constantIbLb0EES16_EEDaS11_S12_EUlS11_E_NS1_11comp_targetILNS1_3genE8ELNS1_11target_archE1030ELNS1_3gpuE2ELNS1_3repE0EEENS1_30default_config_static_selectorELNS0_4arch9wavefront6targetE1EEEvT1_,"axG",@progbits,_ZN7rocprim17ROCPRIM_400000_NS6detail17trampoline_kernelINS0_14default_configENS1_25partition_config_selectorILNS1_17partition_subalgoE0EjNS0_10empty_typeEbEEZZNS1_14partition_implILS5_0ELb0ES3_jN6thrust23THRUST_200600_302600_NS6detail15normal_iteratorINSA_10device_ptrIjEEEEPS6_SG_NS0_5tupleIJSF_SF_EEENSH_IJSG_SG_EEES6_PlJ7is_evenIjEEEE10hipError_tPvRmT3_T4_T5_T6_T7_T9_mT8_P12ihipStream_tbDpT10_ENKUlT_T0_E_clISt17integral_constantIbLb0EES16_EEDaS11_S12_EUlS11_E_NS1_11comp_targetILNS1_3genE8ELNS1_11target_archE1030ELNS1_3gpuE2ELNS1_3repE0EEENS1_30default_config_static_selectorELNS0_4arch9wavefront6targetE1EEEvT1_,comdat
	.protected	_ZN7rocprim17ROCPRIM_400000_NS6detail17trampoline_kernelINS0_14default_configENS1_25partition_config_selectorILNS1_17partition_subalgoE0EjNS0_10empty_typeEbEEZZNS1_14partition_implILS5_0ELb0ES3_jN6thrust23THRUST_200600_302600_NS6detail15normal_iteratorINSA_10device_ptrIjEEEEPS6_SG_NS0_5tupleIJSF_SF_EEENSH_IJSG_SG_EEES6_PlJ7is_evenIjEEEE10hipError_tPvRmT3_T4_T5_T6_T7_T9_mT8_P12ihipStream_tbDpT10_ENKUlT_T0_E_clISt17integral_constantIbLb0EES16_EEDaS11_S12_EUlS11_E_NS1_11comp_targetILNS1_3genE8ELNS1_11target_archE1030ELNS1_3gpuE2ELNS1_3repE0EEENS1_30default_config_static_selectorELNS0_4arch9wavefront6targetE1EEEvT1_ ; -- Begin function _ZN7rocprim17ROCPRIM_400000_NS6detail17trampoline_kernelINS0_14default_configENS1_25partition_config_selectorILNS1_17partition_subalgoE0EjNS0_10empty_typeEbEEZZNS1_14partition_implILS5_0ELb0ES3_jN6thrust23THRUST_200600_302600_NS6detail15normal_iteratorINSA_10device_ptrIjEEEEPS6_SG_NS0_5tupleIJSF_SF_EEENSH_IJSG_SG_EEES6_PlJ7is_evenIjEEEE10hipError_tPvRmT3_T4_T5_T6_T7_T9_mT8_P12ihipStream_tbDpT10_ENKUlT_T0_E_clISt17integral_constantIbLb0EES16_EEDaS11_S12_EUlS11_E_NS1_11comp_targetILNS1_3genE8ELNS1_11target_archE1030ELNS1_3gpuE2ELNS1_3repE0EEENS1_30default_config_static_selectorELNS0_4arch9wavefront6targetE1EEEvT1_
	.globl	_ZN7rocprim17ROCPRIM_400000_NS6detail17trampoline_kernelINS0_14default_configENS1_25partition_config_selectorILNS1_17partition_subalgoE0EjNS0_10empty_typeEbEEZZNS1_14partition_implILS5_0ELb0ES3_jN6thrust23THRUST_200600_302600_NS6detail15normal_iteratorINSA_10device_ptrIjEEEEPS6_SG_NS0_5tupleIJSF_SF_EEENSH_IJSG_SG_EEES6_PlJ7is_evenIjEEEE10hipError_tPvRmT3_T4_T5_T6_T7_T9_mT8_P12ihipStream_tbDpT10_ENKUlT_T0_E_clISt17integral_constantIbLb0EES16_EEDaS11_S12_EUlS11_E_NS1_11comp_targetILNS1_3genE8ELNS1_11target_archE1030ELNS1_3gpuE2ELNS1_3repE0EEENS1_30default_config_static_selectorELNS0_4arch9wavefront6targetE1EEEvT1_
	.p2align	8
	.type	_ZN7rocprim17ROCPRIM_400000_NS6detail17trampoline_kernelINS0_14default_configENS1_25partition_config_selectorILNS1_17partition_subalgoE0EjNS0_10empty_typeEbEEZZNS1_14partition_implILS5_0ELb0ES3_jN6thrust23THRUST_200600_302600_NS6detail15normal_iteratorINSA_10device_ptrIjEEEEPS6_SG_NS0_5tupleIJSF_SF_EEENSH_IJSG_SG_EEES6_PlJ7is_evenIjEEEE10hipError_tPvRmT3_T4_T5_T6_T7_T9_mT8_P12ihipStream_tbDpT10_ENKUlT_T0_E_clISt17integral_constantIbLb0EES16_EEDaS11_S12_EUlS11_E_NS1_11comp_targetILNS1_3genE8ELNS1_11target_archE1030ELNS1_3gpuE2ELNS1_3repE0EEENS1_30default_config_static_selectorELNS0_4arch9wavefront6targetE1EEEvT1_,@function
_ZN7rocprim17ROCPRIM_400000_NS6detail17trampoline_kernelINS0_14default_configENS1_25partition_config_selectorILNS1_17partition_subalgoE0EjNS0_10empty_typeEbEEZZNS1_14partition_implILS5_0ELb0ES3_jN6thrust23THRUST_200600_302600_NS6detail15normal_iteratorINSA_10device_ptrIjEEEEPS6_SG_NS0_5tupleIJSF_SF_EEENSH_IJSG_SG_EEES6_PlJ7is_evenIjEEEE10hipError_tPvRmT3_T4_T5_T6_T7_T9_mT8_P12ihipStream_tbDpT10_ENKUlT_T0_E_clISt17integral_constantIbLb0EES16_EEDaS11_S12_EUlS11_E_NS1_11comp_targetILNS1_3genE8ELNS1_11target_archE1030ELNS1_3gpuE2ELNS1_3repE0EEENS1_30default_config_static_selectorELNS0_4arch9wavefront6targetE1EEEvT1_: ; @_ZN7rocprim17ROCPRIM_400000_NS6detail17trampoline_kernelINS0_14default_configENS1_25partition_config_selectorILNS1_17partition_subalgoE0EjNS0_10empty_typeEbEEZZNS1_14partition_implILS5_0ELb0ES3_jN6thrust23THRUST_200600_302600_NS6detail15normal_iteratorINSA_10device_ptrIjEEEEPS6_SG_NS0_5tupleIJSF_SF_EEENSH_IJSG_SG_EEES6_PlJ7is_evenIjEEEE10hipError_tPvRmT3_T4_T5_T6_T7_T9_mT8_P12ihipStream_tbDpT10_ENKUlT_T0_E_clISt17integral_constantIbLb0EES16_EEDaS11_S12_EUlS11_E_NS1_11comp_targetILNS1_3genE8ELNS1_11target_archE1030ELNS1_3gpuE2ELNS1_3repE0EEENS1_30default_config_static_selectorELNS0_4arch9wavefront6targetE1EEEvT1_
; %bb.0:
	.section	.rodata,"a",@progbits
	.p2align	6, 0x0
	.amdhsa_kernel _ZN7rocprim17ROCPRIM_400000_NS6detail17trampoline_kernelINS0_14default_configENS1_25partition_config_selectorILNS1_17partition_subalgoE0EjNS0_10empty_typeEbEEZZNS1_14partition_implILS5_0ELb0ES3_jN6thrust23THRUST_200600_302600_NS6detail15normal_iteratorINSA_10device_ptrIjEEEEPS6_SG_NS0_5tupleIJSF_SF_EEENSH_IJSG_SG_EEES6_PlJ7is_evenIjEEEE10hipError_tPvRmT3_T4_T5_T6_T7_T9_mT8_P12ihipStream_tbDpT10_ENKUlT_T0_E_clISt17integral_constantIbLb0EES16_EEDaS11_S12_EUlS11_E_NS1_11comp_targetILNS1_3genE8ELNS1_11target_archE1030ELNS1_3gpuE2ELNS1_3repE0EEENS1_30default_config_static_selectorELNS0_4arch9wavefront6targetE1EEEvT1_
		.amdhsa_group_segment_fixed_size 0
		.amdhsa_private_segment_fixed_size 0
		.amdhsa_kernarg_size 120
		.amdhsa_user_sgpr_count 6
		.amdhsa_user_sgpr_private_segment_buffer 1
		.amdhsa_user_sgpr_dispatch_ptr 0
		.amdhsa_user_sgpr_queue_ptr 0
		.amdhsa_user_sgpr_kernarg_segment_ptr 1
		.amdhsa_user_sgpr_dispatch_id 0
		.amdhsa_user_sgpr_flat_scratch_init 0
		.amdhsa_user_sgpr_kernarg_preload_length 0
		.amdhsa_user_sgpr_kernarg_preload_offset 0
		.amdhsa_user_sgpr_private_segment_size 0
		.amdhsa_uses_dynamic_stack 0
		.amdhsa_system_sgpr_private_segment_wavefront_offset 0
		.amdhsa_system_sgpr_workgroup_id_x 1
		.amdhsa_system_sgpr_workgroup_id_y 0
		.amdhsa_system_sgpr_workgroup_id_z 0
		.amdhsa_system_sgpr_workgroup_info 0
		.amdhsa_system_vgpr_workitem_id 0
		.amdhsa_next_free_vgpr 1
		.amdhsa_next_free_sgpr 0
		.amdhsa_accum_offset 4
		.amdhsa_reserve_vcc 0
		.amdhsa_reserve_flat_scratch 0
		.amdhsa_float_round_mode_32 0
		.amdhsa_float_round_mode_16_64 0
		.amdhsa_float_denorm_mode_32 3
		.amdhsa_float_denorm_mode_16_64 3
		.amdhsa_dx10_clamp 1
		.amdhsa_ieee_mode 1
		.amdhsa_fp16_overflow 0
		.amdhsa_tg_split 0
		.amdhsa_exception_fp_ieee_invalid_op 0
		.amdhsa_exception_fp_denorm_src 0
		.amdhsa_exception_fp_ieee_div_zero 0
		.amdhsa_exception_fp_ieee_overflow 0
		.amdhsa_exception_fp_ieee_underflow 0
		.amdhsa_exception_fp_ieee_inexact 0
		.amdhsa_exception_int_div_zero 0
	.end_amdhsa_kernel
	.section	.text._ZN7rocprim17ROCPRIM_400000_NS6detail17trampoline_kernelINS0_14default_configENS1_25partition_config_selectorILNS1_17partition_subalgoE0EjNS0_10empty_typeEbEEZZNS1_14partition_implILS5_0ELb0ES3_jN6thrust23THRUST_200600_302600_NS6detail15normal_iteratorINSA_10device_ptrIjEEEEPS6_SG_NS0_5tupleIJSF_SF_EEENSH_IJSG_SG_EEES6_PlJ7is_evenIjEEEE10hipError_tPvRmT3_T4_T5_T6_T7_T9_mT8_P12ihipStream_tbDpT10_ENKUlT_T0_E_clISt17integral_constantIbLb0EES16_EEDaS11_S12_EUlS11_E_NS1_11comp_targetILNS1_3genE8ELNS1_11target_archE1030ELNS1_3gpuE2ELNS1_3repE0EEENS1_30default_config_static_selectorELNS0_4arch9wavefront6targetE1EEEvT1_,"axG",@progbits,_ZN7rocprim17ROCPRIM_400000_NS6detail17trampoline_kernelINS0_14default_configENS1_25partition_config_selectorILNS1_17partition_subalgoE0EjNS0_10empty_typeEbEEZZNS1_14partition_implILS5_0ELb0ES3_jN6thrust23THRUST_200600_302600_NS6detail15normal_iteratorINSA_10device_ptrIjEEEEPS6_SG_NS0_5tupleIJSF_SF_EEENSH_IJSG_SG_EEES6_PlJ7is_evenIjEEEE10hipError_tPvRmT3_T4_T5_T6_T7_T9_mT8_P12ihipStream_tbDpT10_ENKUlT_T0_E_clISt17integral_constantIbLb0EES16_EEDaS11_S12_EUlS11_E_NS1_11comp_targetILNS1_3genE8ELNS1_11target_archE1030ELNS1_3gpuE2ELNS1_3repE0EEENS1_30default_config_static_selectorELNS0_4arch9wavefront6targetE1EEEvT1_,comdat
.Lfunc_end2144:
	.size	_ZN7rocprim17ROCPRIM_400000_NS6detail17trampoline_kernelINS0_14default_configENS1_25partition_config_selectorILNS1_17partition_subalgoE0EjNS0_10empty_typeEbEEZZNS1_14partition_implILS5_0ELb0ES3_jN6thrust23THRUST_200600_302600_NS6detail15normal_iteratorINSA_10device_ptrIjEEEEPS6_SG_NS0_5tupleIJSF_SF_EEENSH_IJSG_SG_EEES6_PlJ7is_evenIjEEEE10hipError_tPvRmT3_T4_T5_T6_T7_T9_mT8_P12ihipStream_tbDpT10_ENKUlT_T0_E_clISt17integral_constantIbLb0EES16_EEDaS11_S12_EUlS11_E_NS1_11comp_targetILNS1_3genE8ELNS1_11target_archE1030ELNS1_3gpuE2ELNS1_3repE0EEENS1_30default_config_static_selectorELNS0_4arch9wavefront6targetE1EEEvT1_, .Lfunc_end2144-_ZN7rocprim17ROCPRIM_400000_NS6detail17trampoline_kernelINS0_14default_configENS1_25partition_config_selectorILNS1_17partition_subalgoE0EjNS0_10empty_typeEbEEZZNS1_14partition_implILS5_0ELb0ES3_jN6thrust23THRUST_200600_302600_NS6detail15normal_iteratorINSA_10device_ptrIjEEEEPS6_SG_NS0_5tupleIJSF_SF_EEENSH_IJSG_SG_EEES6_PlJ7is_evenIjEEEE10hipError_tPvRmT3_T4_T5_T6_T7_T9_mT8_P12ihipStream_tbDpT10_ENKUlT_T0_E_clISt17integral_constantIbLb0EES16_EEDaS11_S12_EUlS11_E_NS1_11comp_targetILNS1_3genE8ELNS1_11target_archE1030ELNS1_3gpuE2ELNS1_3repE0EEENS1_30default_config_static_selectorELNS0_4arch9wavefront6targetE1EEEvT1_
                                        ; -- End function
	.section	.AMDGPU.csdata,"",@progbits
; Kernel info:
; codeLenInByte = 0
; NumSgprs: 4
; NumVgprs: 0
; NumAgprs: 0
; TotalNumVgprs: 0
; ScratchSize: 0
; MemoryBound: 0
; FloatMode: 240
; IeeeMode: 1
; LDSByteSize: 0 bytes/workgroup (compile time only)
; SGPRBlocks: 0
; VGPRBlocks: 0
; NumSGPRsForWavesPerEU: 4
; NumVGPRsForWavesPerEU: 1
; AccumOffset: 4
; Occupancy: 8
; WaveLimiterHint : 0
; COMPUTE_PGM_RSRC2:SCRATCH_EN: 0
; COMPUTE_PGM_RSRC2:USER_SGPR: 6
; COMPUTE_PGM_RSRC2:TRAP_HANDLER: 0
; COMPUTE_PGM_RSRC2:TGID_X_EN: 1
; COMPUTE_PGM_RSRC2:TGID_Y_EN: 0
; COMPUTE_PGM_RSRC2:TGID_Z_EN: 0
; COMPUTE_PGM_RSRC2:TIDIG_COMP_CNT: 0
; COMPUTE_PGM_RSRC3_GFX90A:ACCUM_OFFSET: 0
; COMPUTE_PGM_RSRC3_GFX90A:TG_SPLIT: 0
	.section	.text._ZN7rocprim17ROCPRIM_400000_NS6detail17trampoline_kernelINS0_14default_configENS1_25partition_config_selectorILNS1_17partition_subalgoE0EjNS0_10empty_typeEbEEZZNS1_14partition_implILS5_0ELb0ES3_jN6thrust23THRUST_200600_302600_NS6detail15normal_iteratorINSA_10device_ptrIjEEEEPS6_SG_NS0_5tupleIJSF_SF_EEENSH_IJSG_SG_EEES6_PlJ7is_evenIjEEEE10hipError_tPvRmT3_T4_T5_T6_T7_T9_mT8_P12ihipStream_tbDpT10_ENKUlT_T0_E_clISt17integral_constantIbLb1EES16_EEDaS11_S12_EUlS11_E_NS1_11comp_targetILNS1_3genE0ELNS1_11target_archE4294967295ELNS1_3gpuE0ELNS1_3repE0EEENS1_30default_config_static_selectorELNS0_4arch9wavefront6targetE1EEEvT1_,"axG",@progbits,_ZN7rocprim17ROCPRIM_400000_NS6detail17trampoline_kernelINS0_14default_configENS1_25partition_config_selectorILNS1_17partition_subalgoE0EjNS0_10empty_typeEbEEZZNS1_14partition_implILS5_0ELb0ES3_jN6thrust23THRUST_200600_302600_NS6detail15normal_iteratorINSA_10device_ptrIjEEEEPS6_SG_NS0_5tupleIJSF_SF_EEENSH_IJSG_SG_EEES6_PlJ7is_evenIjEEEE10hipError_tPvRmT3_T4_T5_T6_T7_T9_mT8_P12ihipStream_tbDpT10_ENKUlT_T0_E_clISt17integral_constantIbLb1EES16_EEDaS11_S12_EUlS11_E_NS1_11comp_targetILNS1_3genE0ELNS1_11target_archE4294967295ELNS1_3gpuE0ELNS1_3repE0EEENS1_30default_config_static_selectorELNS0_4arch9wavefront6targetE1EEEvT1_,comdat
	.protected	_ZN7rocprim17ROCPRIM_400000_NS6detail17trampoline_kernelINS0_14default_configENS1_25partition_config_selectorILNS1_17partition_subalgoE0EjNS0_10empty_typeEbEEZZNS1_14partition_implILS5_0ELb0ES3_jN6thrust23THRUST_200600_302600_NS6detail15normal_iteratorINSA_10device_ptrIjEEEEPS6_SG_NS0_5tupleIJSF_SF_EEENSH_IJSG_SG_EEES6_PlJ7is_evenIjEEEE10hipError_tPvRmT3_T4_T5_T6_T7_T9_mT8_P12ihipStream_tbDpT10_ENKUlT_T0_E_clISt17integral_constantIbLb1EES16_EEDaS11_S12_EUlS11_E_NS1_11comp_targetILNS1_3genE0ELNS1_11target_archE4294967295ELNS1_3gpuE0ELNS1_3repE0EEENS1_30default_config_static_selectorELNS0_4arch9wavefront6targetE1EEEvT1_ ; -- Begin function _ZN7rocprim17ROCPRIM_400000_NS6detail17trampoline_kernelINS0_14default_configENS1_25partition_config_selectorILNS1_17partition_subalgoE0EjNS0_10empty_typeEbEEZZNS1_14partition_implILS5_0ELb0ES3_jN6thrust23THRUST_200600_302600_NS6detail15normal_iteratorINSA_10device_ptrIjEEEEPS6_SG_NS0_5tupleIJSF_SF_EEENSH_IJSG_SG_EEES6_PlJ7is_evenIjEEEE10hipError_tPvRmT3_T4_T5_T6_T7_T9_mT8_P12ihipStream_tbDpT10_ENKUlT_T0_E_clISt17integral_constantIbLb1EES16_EEDaS11_S12_EUlS11_E_NS1_11comp_targetILNS1_3genE0ELNS1_11target_archE4294967295ELNS1_3gpuE0ELNS1_3repE0EEENS1_30default_config_static_selectorELNS0_4arch9wavefront6targetE1EEEvT1_
	.globl	_ZN7rocprim17ROCPRIM_400000_NS6detail17trampoline_kernelINS0_14default_configENS1_25partition_config_selectorILNS1_17partition_subalgoE0EjNS0_10empty_typeEbEEZZNS1_14partition_implILS5_0ELb0ES3_jN6thrust23THRUST_200600_302600_NS6detail15normal_iteratorINSA_10device_ptrIjEEEEPS6_SG_NS0_5tupleIJSF_SF_EEENSH_IJSG_SG_EEES6_PlJ7is_evenIjEEEE10hipError_tPvRmT3_T4_T5_T6_T7_T9_mT8_P12ihipStream_tbDpT10_ENKUlT_T0_E_clISt17integral_constantIbLb1EES16_EEDaS11_S12_EUlS11_E_NS1_11comp_targetILNS1_3genE0ELNS1_11target_archE4294967295ELNS1_3gpuE0ELNS1_3repE0EEENS1_30default_config_static_selectorELNS0_4arch9wavefront6targetE1EEEvT1_
	.p2align	8
	.type	_ZN7rocprim17ROCPRIM_400000_NS6detail17trampoline_kernelINS0_14default_configENS1_25partition_config_selectorILNS1_17partition_subalgoE0EjNS0_10empty_typeEbEEZZNS1_14partition_implILS5_0ELb0ES3_jN6thrust23THRUST_200600_302600_NS6detail15normal_iteratorINSA_10device_ptrIjEEEEPS6_SG_NS0_5tupleIJSF_SF_EEENSH_IJSG_SG_EEES6_PlJ7is_evenIjEEEE10hipError_tPvRmT3_T4_T5_T6_T7_T9_mT8_P12ihipStream_tbDpT10_ENKUlT_T0_E_clISt17integral_constantIbLb1EES16_EEDaS11_S12_EUlS11_E_NS1_11comp_targetILNS1_3genE0ELNS1_11target_archE4294967295ELNS1_3gpuE0ELNS1_3repE0EEENS1_30default_config_static_selectorELNS0_4arch9wavefront6targetE1EEEvT1_,@function
_ZN7rocprim17ROCPRIM_400000_NS6detail17trampoline_kernelINS0_14default_configENS1_25partition_config_selectorILNS1_17partition_subalgoE0EjNS0_10empty_typeEbEEZZNS1_14partition_implILS5_0ELb0ES3_jN6thrust23THRUST_200600_302600_NS6detail15normal_iteratorINSA_10device_ptrIjEEEEPS6_SG_NS0_5tupleIJSF_SF_EEENSH_IJSG_SG_EEES6_PlJ7is_evenIjEEEE10hipError_tPvRmT3_T4_T5_T6_T7_T9_mT8_P12ihipStream_tbDpT10_ENKUlT_T0_E_clISt17integral_constantIbLb1EES16_EEDaS11_S12_EUlS11_E_NS1_11comp_targetILNS1_3genE0ELNS1_11target_archE4294967295ELNS1_3gpuE0ELNS1_3repE0EEENS1_30default_config_static_selectorELNS0_4arch9wavefront6targetE1EEEvT1_: ; @_ZN7rocprim17ROCPRIM_400000_NS6detail17trampoline_kernelINS0_14default_configENS1_25partition_config_selectorILNS1_17partition_subalgoE0EjNS0_10empty_typeEbEEZZNS1_14partition_implILS5_0ELb0ES3_jN6thrust23THRUST_200600_302600_NS6detail15normal_iteratorINSA_10device_ptrIjEEEEPS6_SG_NS0_5tupleIJSF_SF_EEENSH_IJSG_SG_EEES6_PlJ7is_evenIjEEEE10hipError_tPvRmT3_T4_T5_T6_T7_T9_mT8_P12ihipStream_tbDpT10_ENKUlT_T0_E_clISt17integral_constantIbLb1EES16_EEDaS11_S12_EUlS11_E_NS1_11comp_targetILNS1_3genE0ELNS1_11target_archE4294967295ELNS1_3gpuE0ELNS1_3repE0EEENS1_30default_config_static_selectorELNS0_4arch9wavefront6targetE1EEEvT1_
; %bb.0:
	.section	.rodata,"a",@progbits
	.p2align	6, 0x0
	.amdhsa_kernel _ZN7rocprim17ROCPRIM_400000_NS6detail17trampoline_kernelINS0_14default_configENS1_25partition_config_selectorILNS1_17partition_subalgoE0EjNS0_10empty_typeEbEEZZNS1_14partition_implILS5_0ELb0ES3_jN6thrust23THRUST_200600_302600_NS6detail15normal_iteratorINSA_10device_ptrIjEEEEPS6_SG_NS0_5tupleIJSF_SF_EEENSH_IJSG_SG_EEES6_PlJ7is_evenIjEEEE10hipError_tPvRmT3_T4_T5_T6_T7_T9_mT8_P12ihipStream_tbDpT10_ENKUlT_T0_E_clISt17integral_constantIbLb1EES16_EEDaS11_S12_EUlS11_E_NS1_11comp_targetILNS1_3genE0ELNS1_11target_archE4294967295ELNS1_3gpuE0ELNS1_3repE0EEENS1_30default_config_static_selectorELNS0_4arch9wavefront6targetE1EEEvT1_
		.amdhsa_group_segment_fixed_size 0
		.amdhsa_private_segment_fixed_size 0
		.amdhsa_kernarg_size 136
		.amdhsa_user_sgpr_count 6
		.amdhsa_user_sgpr_private_segment_buffer 1
		.amdhsa_user_sgpr_dispatch_ptr 0
		.amdhsa_user_sgpr_queue_ptr 0
		.amdhsa_user_sgpr_kernarg_segment_ptr 1
		.amdhsa_user_sgpr_dispatch_id 0
		.amdhsa_user_sgpr_flat_scratch_init 0
		.amdhsa_user_sgpr_kernarg_preload_length 0
		.amdhsa_user_sgpr_kernarg_preload_offset 0
		.amdhsa_user_sgpr_private_segment_size 0
		.amdhsa_uses_dynamic_stack 0
		.amdhsa_system_sgpr_private_segment_wavefront_offset 0
		.amdhsa_system_sgpr_workgroup_id_x 1
		.amdhsa_system_sgpr_workgroup_id_y 0
		.amdhsa_system_sgpr_workgroup_id_z 0
		.amdhsa_system_sgpr_workgroup_info 0
		.amdhsa_system_vgpr_workitem_id 0
		.amdhsa_next_free_vgpr 1
		.amdhsa_next_free_sgpr 0
		.amdhsa_accum_offset 4
		.amdhsa_reserve_vcc 0
		.amdhsa_reserve_flat_scratch 0
		.amdhsa_float_round_mode_32 0
		.amdhsa_float_round_mode_16_64 0
		.amdhsa_float_denorm_mode_32 3
		.amdhsa_float_denorm_mode_16_64 3
		.amdhsa_dx10_clamp 1
		.amdhsa_ieee_mode 1
		.amdhsa_fp16_overflow 0
		.amdhsa_tg_split 0
		.amdhsa_exception_fp_ieee_invalid_op 0
		.amdhsa_exception_fp_denorm_src 0
		.amdhsa_exception_fp_ieee_div_zero 0
		.amdhsa_exception_fp_ieee_overflow 0
		.amdhsa_exception_fp_ieee_underflow 0
		.amdhsa_exception_fp_ieee_inexact 0
		.amdhsa_exception_int_div_zero 0
	.end_amdhsa_kernel
	.section	.text._ZN7rocprim17ROCPRIM_400000_NS6detail17trampoline_kernelINS0_14default_configENS1_25partition_config_selectorILNS1_17partition_subalgoE0EjNS0_10empty_typeEbEEZZNS1_14partition_implILS5_0ELb0ES3_jN6thrust23THRUST_200600_302600_NS6detail15normal_iteratorINSA_10device_ptrIjEEEEPS6_SG_NS0_5tupleIJSF_SF_EEENSH_IJSG_SG_EEES6_PlJ7is_evenIjEEEE10hipError_tPvRmT3_T4_T5_T6_T7_T9_mT8_P12ihipStream_tbDpT10_ENKUlT_T0_E_clISt17integral_constantIbLb1EES16_EEDaS11_S12_EUlS11_E_NS1_11comp_targetILNS1_3genE0ELNS1_11target_archE4294967295ELNS1_3gpuE0ELNS1_3repE0EEENS1_30default_config_static_selectorELNS0_4arch9wavefront6targetE1EEEvT1_,"axG",@progbits,_ZN7rocprim17ROCPRIM_400000_NS6detail17trampoline_kernelINS0_14default_configENS1_25partition_config_selectorILNS1_17partition_subalgoE0EjNS0_10empty_typeEbEEZZNS1_14partition_implILS5_0ELb0ES3_jN6thrust23THRUST_200600_302600_NS6detail15normal_iteratorINSA_10device_ptrIjEEEEPS6_SG_NS0_5tupleIJSF_SF_EEENSH_IJSG_SG_EEES6_PlJ7is_evenIjEEEE10hipError_tPvRmT3_T4_T5_T6_T7_T9_mT8_P12ihipStream_tbDpT10_ENKUlT_T0_E_clISt17integral_constantIbLb1EES16_EEDaS11_S12_EUlS11_E_NS1_11comp_targetILNS1_3genE0ELNS1_11target_archE4294967295ELNS1_3gpuE0ELNS1_3repE0EEENS1_30default_config_static_selectorELNS0_4arch9wavefront6targetE1EEEvT1_,comdat
.Lfunc_end2145:
	.size	_ZN7rocprim17ROCPRIM_400000_NS6detail17trampoline_kernelINS0_14default_configENS1_25partition_config_selectorILNS1_17partition_subalgoE0EjNS0_10empty_typeEbEEZZNS1_14partition_implILS5_0ELb0ES3_jN6thrust23THRUST_200600_302600_NS6detail15normal_iteratorINSA_10device_ptrIjEEEEPS6_SG_NS0_5tupleIJSF_SF_EEENSH_IJSG_SG_EEES6_PlJ7is_evenIjEEEE10hipError_tPvRmT3_T4_T5_T6_T7_T9_mT8_P12ihipStream_tbDpT10_ENKUlT_T0_E_clISt17integral_constantIbLb1EES16_EEDaS11_S12_EUlS11_E_NS1_11comp_targetILNS1_3genE0ELNS1_11target_archE4294967295ELNS1_3gpuE0ELNS1_3repE0EEENS1_30default_config_static_selectorELNS0_4arch9wavefront6targetE1EEEvT1_, .Lfunc_end2145-_ZN7rocprim17ROCPRIM_400000_NS6detail17trampoline_kernelINS0_14default_configENS1_25partition_config_selectorILNS1_17partition_subalgoE0EjNS0_10empty_typeEbEEZZNS1_14partition_implILS5_0ELb0ES3_jN6thrust23THRUST_200600_302600_NS6detail15normal_iteratorINSA_10device_ptrIjEEEEPS6_SG_NS0_5tupleIJSF_SF_EEENSH_IJSG_SG_EEES6_PlJ7is_evenIjEEEE10hipError_tPvRmT3_T4_T5_T6_T7_T9_mT8_P12ihipStream_tbDpT10_ENKUlT_T0_E_clISt17integral_constantIbLb1EES16_EEDaS11_S12_EUlS11_E_NS1_11comp_targetILNS1_3genE0ELNS1_11target_archE4294967295ELNS1_3gpuE0ELNS1_3repE0EEENS1_30default_config_static_selectorELNS0_4arch9wavefront6targetE1EEEvT1_
                                        ; -- End function
	.section	.AMDGPU.csdata,"",@progbits
; Kernel info:
; codeLenInByte = 0
; NumSgprs: 4
; NumVgprs: 0
; NumAgprs: 0
; TotalNumVgprs: 0
; ScratchSize: 0
; MemoryBound: 0
; FloatMode: 240
; IeeeMode: 1
; LDSByteSize: 0 bytes/workgroup (compile time only)
; SGPRBlocks: 0
; VGPRBlocks: 0
; NumSGPRsForWavesPerEU: 4
; NumVGPRsForWavesPerEU: 1
; AccumOffset: 4
; Occupancy: 8
; WaveLimiterHint : 0
; COMPUTE_PGM_RSRC2:SCRATCH_EN: 0
; COMPUTE_PGM_RSRC2:USER_SGPR: 6
; COMPUTE_PGM_RSRC2:TRAP_HANDLER: 0
; COMPUTE_PGM_RSRC2:TGID_X_EN: 1
; COMPUTE_PGM_RSRC2:TGID_Y_EN: 0
; COMPUTE_PGM_RSRC2:TGID_Z_EN: 0
; COMPUTE_PGM_RSRC2:TIDIG_COMP_CNT: 0
; COMPUTE_PGM_RSRC3_GFX90A:ACCUM_OFFSET: 0
; COMPUTE_PGM_RSRC3_GFX90A:TG_SPLIT: 0
	.section	.text._ZN7rocprim17ROCPRIM_400000_NS6detail17trampoline_kernelINS0_14default_configENS1_25partition_config_selectorILNS1_17partition_subalgoE0EjNS0_10empty_typeEbEEZZNS1_14partition_implILS5_0ELb0ES3_jN6thrust23THRUST_200600_302600_NS6detail15normal_iteratorINSA_10device_ptrIjEEEEPS6_SG_NS0_5tupleIJSF_SF_EEENSH_IJSG_SG_EEES6_PlJ7is_evenIjEEEE10hipError_tPvRmT3_T4_T5_T6_T7_T9_mT8_P12ihipStream_tbDpT10_ENKUlT_T0_E_clISt17integral_constantIbLb1EES16_EEDaS11_S12_EUlS11_E_NS1_11comp_targetILNS1_3genE5ELNS1_11target_archE942ELNS1_3gpuE9ELNS1_3repE0EEENS1_30default_config_static_selectorELNS0_4arch9wavefront6targetE1EEEvT1_,"axG",@progbits,_ZN7rocprim17ROCPRIM_400000_NS6detail17trampoline_kernelINS0_14default_configENS1_25partition_config_selectorILNS1_17partition_subalgoE0EjNS0_10empty_typeEbEEZZNS1_14partition_implILS5_0ELb0ES3_jN6thrust23THRUST_200600_302600_NS6detail15normal_iteratorINSA_10device_ptrIjEEEEPS6_SG_NS0_5tupleIJSF_SF_EEENSH_IJSG_SG_EEES6_PlJ7is_evenIjEEEE10hipError_tPvRmT3_T4_T5_T6_T7_T9_mT8_P12ihipStream_tbDpT10_ENKUlT_T0_E_clISt17integral_constantIbLb1EES16_EEDaS11_S12_EUlS11_E_NS1_11comp_targetILNS1_3genE5ELNS1_11target_archE942ELNS1_3gpuE9ELNS1_3repE0EEENS1_30default_config_static_selectorELNS0_4arch9wavefront6targetE1EEEvT1_,comdat
	.protected	_ZN7rocprim17ROCPRIM_400000_NS6detail17trampoline_kernelINS0_14default_configENS1_25partition_config_selectorILNS1_17partition_subalgoE0EjNS0_10empty_typeEbEEZZNS1_14partition_implILS5_0ELb0ES3_jN6thrust23THRUST_200600_302600_NS6detail15normal_iteratorINSA_10device_ptrIjEEEEPS6_SG_NS0_5tupleIJSF_SF_EEENSH_IJSG_SG_EEES6_PlJ7is_evenIjEEEE10hipError_tPvRmT3_T4_T5_T6_T7_T9_mT8_P12ihipStream_tbDpT10_ENKUlT_T0_E_clISt17integral_constantIbLb1EES16_EEDaS11_S12_EUlS11_E_NS1_11comp_targetILNS1_3genE5ELNS1_11target_archE942ELNS1_3gpuE9ELNS1_3repE0EEENS1_30default_config_static_selectorELNS0_4arch9wavefront6targetE1EEEvT1_ ; -- Begin function _ZN7rocprim17ROCPRIM_400000_NS6detail17trampoline_kernelINS0_14default_configENS1_25partition_config_selectorILNS1_17partition_subalgoE0EjNS0_10empty_typeEbEEZZNS1_14partition_implILS5_0ELb0ES3_jN6thrust23THRUST_200600_302600_NS6detail15normal_iteratorINSA_10device_ptrIjEEEEPS6_SG_NS0_5tupleIJSF_SF_EEENSH_IJSG_SG_EEES6_PlJ7is_evenIjEEEE10hipError_tPvRmT3_T4_T5_T6_T7_T9_mT8_P12ihipStream_tbDpT10_ENKUlT_T0_E_clISt17integral_constantIbLb1EES16_EEDaS11_S12_EUlS11_E_NS1_11comp_targetILNS1_3genE5ELNS1_11target_archE942ELNS1_3gpuE9ELNS1_3repE0EEENS1_30default_config_static_selectorELNS0_4arch9wavefront6targetE1EEEvT1_
	.globl	_ZN7rocprim17ROCPRIM_400000_NS6detail17trampoline_kernelINS0_14default_configENS1_25partition_config_selectorILNS1_17partition_subalgoE0EjNS0_10empty_typeEbEEZZNS1_14partition_implILS5_0ELb0ES3_jN6thrust23THRUST_200600_302600_NS6detail15normal_iteratorINSA_10device_ptrIjEEEEPS6_SG_NS0_5tupleIJSF_SF_EEENSH_IJSG_SG_EEES6_PlJ7is_evenIjEEEE10hipError_tPvRmT3_T4_T5_T6_T7_T9_mT8_P12ihipStream_tbDpT10_ENKUlT_T0_E_clISt17integral_constantIbLb1EES16_EEDaS11_S12_EUlS11_E_NS1_11comp_targetILNS1_3genE5ELNS1_11target_archE942ELNS1_3gpuE9ELNS1_3repE0EEENS1_30default_config_static_selectorELNS0_4arch9wavefront6targetE1EEEvT1_
	.p2align	8
	.type	_ZN7rocprim17ROCPRIM_400000_NS6detail17trampoline_kernelINS0_14default_configENS1_25partition_config_selectorILNS1_17partition_subalgoE0EjNS0_10empty_typeEbEEZZNS1_14partition_implILS5_0ELb0ES3_jN6thrust23THRUST_200600_302600_NS6detail15normal_iteratorINSA_10device_ptrIjEEEEPS6_SG_NS0_5tupleIJSF_SF_EEENSH_IJSG_SG_EEES6_PlJ7is_evenIjEEEE10hipError_tPvRmT3_T4_T5_T6_T7_T9_mT8_P12ihipStream_tbDpT10_ENKUlT_T0_E_clISt17integral_constantIbLb1EES16_EEDaS11_S12_EUlS11_E_NS1_11comp_targetILNS1_3genE5ELNS1_11target_archE942ELNS1_3gpuE9ELNS1_3repE0EEENS1_30default_config_static_selectorELNS0_4arch9wavefront6targetE1EEEvT1_,@function
_ZN7rocprim17ROCPRIM_400000_NS6detail17trampoline_kernelINS0_14default_configENS1_25partition_config_selectorILNS1_17partition_subalgoE0EjNS0_10empty_typeEbEEZZNS1_14partition_implILS5_0ELb0ES3_jN6thrust23THRUST_200600_302600_NS6detail15normal_iteratorINSA_10device_ptrIjEEEEPS6_SG_NS0_5tupleIJSF_SF_EEENSH_IJSG_SG_EEES6_PlJ7is_evenIjEEEE10hipError_tPvRmT3_T4_T5_T6_T7_T9_mT8_P12ihipStream_tbDpT10_ENKUlT_T0_E_clISt17integral_constantIbLb1EES16_EEDaS11_S12_EUlS11_E_NS1_11comp_targetILNS1_3genE5ELNS1_11target_archE942ELNS1_3gpuE9ELNS1_3repE0EEENS1_30default_config_static_selectorELNS0_4arch9wavefront6targetE1EEEvT1_: ; @_ZN7rocprim17ROCPRIM_400000_NS6detail17trampoline_kernelINS0_14default_configENS1_25partition_config_selectorILNS1_17partition_subalgoE0EjNS0_10empty_typeEbEEZZNS1_14partition_implILS5_0ELb0ES3_jN6thrust23THRUST_200600_302600_NS6detail15normal_iteratorINSA_10device_ptrIjEEEEPS6_SG_NS0_5tupleIJSF_SF_EEENSH_IJSG_SG_EEES6_PlJ7is_evenIjEEEE10hipError_tPvRmT3_T4_T5_T6_T7_T9_mT8_P12ihipStream_tbDpT10_ENKUlT_T0_E_clISt17integral_constantIbLb1EES16_EEDaS11_S12_EUlS11_E_NS1_11comp_targetILNS1_3genE5ELNS1_11target_archE942ELNS1_3gpuE9ELNS1_3repE0EEENS1_30default_config_static_selectorELNS0_4arch9wavefront6targetE1EEEvT1_
; %bb.0:
	.section	.rodata,"a",@progbits
	.p2align	6, 0x0
	.amdhsa_kernel _ZN7rocprim17ROCPRIM_400000_NS6detail17trampoline_kernelINS0_14default_configENS1_25partition_config_selectorILNS1_17partition_subalgoE0EjNS0_10empty_typeEbEEZZNS1_14partition_implILS5_0ELb0ES3_jN6thrust23THRUST_200600_302600_NS6detail15normal_iteratorINSA_10device_ptrIjEEEEPS6_SG_NS0_5tupleIJSF_SF_EEENSH_IJSG_SG_EEES6_PlJ7is_evenIjEEEE10hipError_tPvRmT3_T4_T5_T6_T7_T9_mT8_P12ihipStream_tbDpT10_ENKUlT_T0_E_clISt17integral_constantIbLb1EES16_EEDaS11_S12_EUlS11_E_NS1_11comp_targetILNS1_3genE5ELNS1_11target_archE942ELNS1_3gpuE9ELNS1_3repE0EEENS1_30default_config_static_selectorELNS0_4arch9wavefront6targetE1EEEvT1_
		.amdhsa_group_segment_fixed_size 0
		.amdhsa_private_segment_fixed_size 0
		.amdhsa_kernarg_size 136
		.amdhsa_user_sgpr_count 6
		.amdhsa_user_sgpr_private_segment_buffer 1
		.amdhsa_user_sgpr_dispatch_ptr 0
		.amdhsa_user_sgpr_queue_ptr 0
		.amdhsa_user_sgpr_kernarg_segment_ptr 1
		.amdhsa_user_sgpr_dispatch_id 0
		.amdhsa_user_sgpr_flat_scratch_init 0
		.amdhsa_user_sgpr_kernarg_preload_length 0
		.amdhsa_user_sgpr_kernarg_preload_offset 0
		.amdhsa_user_sgpr_private_segment_size 0
		.amdhsa_uses_dynamic_stack 0
		.amdhsa_system_sgpr_private_segment_wavefront_offset 0
		.amdhsa_system_sgpr_workgroup_id_x 1
		.amdhsa_system_sgpr_workgroup_id_y 0
		.amdhsa_system_sgpr_workgroup_id_z 0
		.amdhsa_system_sgpr_workgroup_info 0
		.amdhsa_system_vgpr_workitem_id 0
		.amdhsa_next_free_vgpr 1
		.amdhsa_next_free_sgpr 0
		.amdhsa_accum_offset 4
		.amdhsa_reserve_vcc 0
		.amdhsa_reserve_flat_scratch 0
		.amdhsa_float_round_mode_32 0
		.amdhsa_float_round_mode_16_64 0
		.amdhsa_float_denorm_mode_32 3
		.amdhsa_float_denorm_mode_16_64 3
		.amdhsa_dx10_clamp 1
		.amdhsa_ieee_mode 1
		.amdhsa_fp16_overflow 0
		.amdhsa_tg_split 0
		.amdhsa_exception_fp_ieee_invalid_op 0
		.amdhsa_exception_fp_denorm_src 0
		.amdhsa_exception_fp_ieee_div_zero 0
		.amdhsa_exception_fp_ieee_overflow 0
		.amdhsa_exception_fp_ieee_underflow 0
		.amdhsa_exception_fp_ieee_inexact 0
		.amdhsa_exception_int_div_zero 0
	.end_amdhsa_kernel
	.section	.text._ZN7rocprim17ROCPRIM_400000_NS6detail17trampoline_kernelINS0_14default_configENS1_25partition_config_selectorILNS1_17partition_subalgoE0EjNS0_10empty_typeEbEEZZNS1_14partition_implILS5_0ELb0ES3_jN6thrust23THRUST_200600_302600_NS6detail15normal_iteratorINSA_10device_ptrIjEEEEPS6_SG_NS0_5tupleIJSF_SF_EEENSH_IJSG_SG_EEES6_PlJ7is_evenIjEEEE10hipError_tPvRmT3_T4_T5_T6_T7_T9_mT8_P12ihipStream_tbDpT10_ENKUlT_T0_E_clISt17integral_constantIbLb1EES16_EEDaS11_S12_EUlS11_E_NS1_11comp_targetILNS1_3genE5ELNS1_11target_archE942ELNS1_3gpuE9ELNS1_3repE0EEENS1_30default_config_static_selectorELNS0_4arch9wavefront6targetE1EEEvT1_,"axG",@progbits,_ZN7rocprim17ROCPRIM_400000_NS6detail17trampoline_kernelINS0_14default_configENS1_25partition_config_selectorILNS1_17partition_subalgoE0EjNS0_10empty_typeEbEEZZNS1_14partition_implILS5_0ELb0ES3_jN6thrust23THRUST_200600_302600_NS6detail15normal_iteratorINSA_10device_ptrIjEEEEPS6_SG_NS0_5tupleIJSF_SF_EEENSH_IJSG_SG_EEES6_PlJ7is_evenIjEEEE10hipError_tPvRmT3_T4_T5_T6_T7_T9_mT8_P12ihipStream_tbDpT10_ENKUlT_T0_E_clISt17integral_constantIbLb1EES16_EEDaS11_S12_EUlS11_E_NS1_11comp_targetILNS1_3genE5ELNS1_11target_archE942ELNS1_3gpuE9ELNS1_3repE0EEENS1_30default_config_static_selectorELNS0_4arch9wavefront6targetE1EEEvT1_,comdat
.Lfunc_end2146:
	.size	_ZN7rocprim17ROCPRIM_400000_NS6detail17trampoline_kernelINS0_14default_configENS1_25partition_config_selectorILNS1_17partition_subalgoE0EjNS0_10empty_typeEbEEZZNS1_14partition_implILS5_0ELb0ES3_jN6thrust23THRUST_200600_302600_NS6detail15normal_iteratorINSA_10device_ptrIjEEEEPS6_SG_NS0_5tupleIJSF_SF_EEENSH_IJSG_SG_EEES6_PlJ7is_evenIjEEEE10hipError_tPvRmT3_T4_T5_T6_T7_T9_mT8_P12ihipStream_tbDpT10_ENKUlT_T0_E_clISt17integral_constantIbLb1EES16_EEDaS11_S12_EUlS11_E_NS1_11comp_targetILNS1_3genE5ELNS1_11target_archE942ELNS1_3gpuE9ELNS1_3repE0EEENS1_30default_config_static_selectorELNS0_4arch9wavefront6targetE1EEEvT1_, .Lfunc_end2146-_ZN7rocprim17ROCPRIM_400000_NS6detail17trampoline_kernelINS0_14default_configENS1_25partition_config_selectorILNS1_17partition_subalgoE0EjNS0_10empty_typeEbEEZZNS1_14partition_implILS5_0ELb0ES3_jN6thrust23THRUST_200600_302600_NS6detail15normal_iteratorINSA_10device_ptrIjEEEEPS6_SG_NS0_5tupleIJSF_SF_EEENSH_IJSG_SG_EEES6_PlJ7is_evenIjEEEE10hipError_tPvRmT3_T4_T5_T6_T7_T9_mT8_P12ihipStream_tbDpT10_ENKUlT_T0_E_clISt17integral_constantIbLb1EES16_EEDaS11_S12_EUlS11_E_NS1_11comp_targetILNS1_3genE5ELNS1_11target_archE942ELNS1_3gpuE9ELNS1_3repE0EEENS1_30default_config_static_selectorELNS0_4arch9wavefront6targetE1EEEvT1_
                                        ; -- End function
	.section	.AMDGPU.csdata,"",@progbits
; Kernel info:
; codeLenInByte = 0
; NumSgprs: 4
; NumVgprs: 0
; NumAgprs: 0
; TotalNumVgprs: 0
; ScratchSize: 0
; MemoryBound: 0
; FloatMode: 240
; IeeeMode: 1
; LDSByteSize: 0 bytes/workgroup (compile time only)
; SGPRBlocks: 0
; VGPRBlocks: 0
; NumSGPRsForWavesPerEU: 4
; NumVGPRsForWavesPerEU: 1
; AccumOffset: 4
; Occupancy: 8
; WaveLimiterHint : 0
; COMPUTE_PGM_RSRC2:SCRATCH_EN: 0
; COMPUTE_PGM_RSRC2:USER_SGPR: 6
; COMPUTE_PGM_RSRC2:TRAP_HANDLER: 0
; COMPUTE_PGM_RSRC2:TGID_X_EN: 1
; COMPUTE_PGM_RSRC2:TGID_Y_EN: 0
; COMPUTE_PGM_RSRC2:TGID_Z_EN: 0
; COMPUTE_PGM_RSRC2:TIDIG_COMP_CNT: 0
; COMPUTE_PGM_RSRC3_GFX90A:ACCUM_OFFSET: 0
; COMPUTE_PGM_RSRC3_GFX90A:TG_SPLIT: 0
	.section	.text._ZN7rocprim17ROCPRIM_400000_NS6detail17trampoline_kernelINS0_14default_configENS1_25partition_config_selectorILNS1_17partition_subalgoE0EjNS0_10empty_typeEbEEZZNS1_14partition_implILS5_0ELb0ES3_jN6thrust23THRUST_200600_302600_NS6detail15normal_iteratorINSA_10device_ptrIjEEEEPS6_SG_NS0_5tupleIJSF_SF_EEENSH_IJSG_SG_EEES6_PlJ7is_evenIjEEEE10hipError_tPvRmT3_T4_T5_T6_T7_T9_mT8_P12ihipStream_tbDpT10_ENKUlT_T0_E_clISt17integral_constantIbLb1EES16_EEDaS11_S12_EUlS11_E_NS1_11comp_targetILNS1_3genE4ELNS1_11target_archE910ELNS1_3gpuE8ELNS1_3repE0EEENS1_30default_config_static_selectorELNS0_4arch9wavefront6targetE1EEEvT1_,"axG",@progbits,_ZN7rocprim17ROCPRIM_400000_NS6detail17trampoline_kernelINS0_14default_configENS1_25partition_config_selectorILNS1_17partition_subalgoE0EjNS0_10empty_typeEbEEZZNS1_14partition_implILS5_0ELb0ES3_jN6thrust23THRUST_200600_302600_NS6detail15normal_iteratorINSA_10device_ptrIjEEEEPS6_SG_NS0_5tupleIJSF_SF_EEENSH_IJSG_SG_EEES6_PlJ7is_evenIjEEEE10hipError_tPvRmT3_T4_T5_T6_T7_T9_mT8_P12ihipStream_tbDpT10_ENKUlT_T0_E_clISt17integral_constantIbLb1EES16_EEDaS11_S12_EUlS11_E_NS1_11comp_targetILNS1_3genE4ELNS1_11target_archE910ELNS1_3gpuE8ELNS1_3repE0EEENS1_30default_config_static_selectorELNS0_4arch9wavefront6targetE1EEEvT1_,comdat
	.protected	_ZN7rocprim17ROCPRIM_400000_NS6detail17trampoline_kernelINS0_14default_configENS1_25partition_config_selectorILNS1_17partition_subalgoE0EjNS0_10empty_typeEbEEZZNS1_14partition_implILS5_0ELb0ES3_jN6thrust23THRUST_200600_302600_NS6detail15normal_iteratorINSA_10device_ptrIjEEEEPS6_SG_NS0_5tupleIJSF_SF_EEENSH_IJSG_SG_EEES6_PlJ7is_evenIjEEEE10hipError_tPvRmT3_T4_T5_T6_T7_T9_mT8_P12ihipStream_tbDpT10_ENKUlT_T0_E_clISt17integral_constantIbLb1EES16_EEDaS11_S12_EUlS11_E_NS1_11comp_targetILNS1_3genE4ELNS1_11target_archE910ELNS1_3gpuE8ELNS1_3repE0EEENS1_30default_config_static_selectorELNS0_4arch9wavefront6targetE1EEEvT1_ ; -- Begin function _ZN7rocprim17ROCPRIM_400000_NS6detail17trampoline_kernelINS0_14default_configENS1_25partition_config_selectorILNS1_17partition_subalgoE0EjNS0_10empty_typeEbEEZZNS1_14partition_implILS5_0ELb0ES3_jN6thrust23THRUST_200600_302600_NS6detail15normal_iteratorINSA_10device_ptrIjEEEEPS6_SG_NS0_5tupleIJSF_SF_EEENSH_IJSG_SG_EEES6_PlJ7is_evenIjEEEE10hipError_tPvRmT3_T4_T5_T6_T7_T9_mT8_P12ihipStream_tbDpT10_ENKUlT_T0_E_clISt17integral_constantIbLb1EES16_EEDaS11_S12_EUlS11_E_NS1_11comp_targetILNS1_3genE4ELNS1_11target_archE910ELNS1_3gpuE8ELNS1_3repE0EEENS1_30default_config_static_selectorELNS0_4arch9wavefront6targetE1EEEvT1_
	.globl	_ZN7rocprim17ROCPRIM_400000_NS6detail17trampoline_kernelINS0_14default_configENS1_25partition_config_selectorILNS1_17partition_subalgoE0EjNS0_10empty_typeEbEEZZNS1_14partition_implILS5_0ELb0ES3_jN6thrust23THRUST_200600_302600_NS6detail15normal_iteratorINSA_10device_ptrIjEEEEPS6_SG_NS0_5tupleIJSF_SF_EEENSH_IJSG_SG_EEES6_PlJ7is_evenIjEEEE10hipError_tPvRmT3_T4_T5_T6_T7_T9_mT8_P12ihipStream_tbDpT10_ENKUlT_T0_E_clISt17integral_constantIbLb1EES16_EEDaS11_S12_EUlS11_E_NS1_11comp_targetILNS1_3genE4ELNS1_11target_archE910ELNS1_3gpuE8ELNS1_3repE0EEENS1_30default_config_static_selectorELNS0_4arch9wavefront6targetE1EEEvT1_
	.p2align	8
	.type	_ZN7rocprim17ROCPRIM_400000_NS6detail17trampoline_kernelINS0_14default_configENS1_25partition_config_selectorILNS1_17partition_subalgoE0EjNS0_10empty_typeEbEEZZNS1_14partition_implILS5_0ELb0ES3_jN6thrust23THRUST_200600_302600_NS6detail15normal_iteratorINSA_10device_ptrIjEEEEPS6_SG_NS0_5tupleIJSF_SF_EEENSH_IJSG_SG_EEES6_PlJ7is_evenIjEEEE10hipError_tPvRmT3_T4_T5_T6_T7_T9_mT8_P12ihipStream_tbDpT10_ENKUlT_T0_E_clISt17integral_constantIbLb1EES16_EEDaS11_S12_EUlS11_E_NS1_11comp_targetILNS1_3genE4ELNS1_11target_archE910ELNS1_3gpuE8ELNS1_3repE0EEENS1_30default_config_static_selectorELNS0_4arch9wavefront6targetE1EEEvT1_,@function
_ZN7rocprim17ROCPRIM_400000_NS6detail17trampoline_kernelINS0_14default_configENS1_25partition_config_selectorILNS1_17partition_subalgoE0EjNS0_10empty_typeEbEEZZNS1_14partition_implILS5_0ELb0ES3_jN6thrust23THRUST_200600_302600_NS6detail15normal_iteratorINSA_10device_ptrIjEEEEPS6_SG_NS0_5tupleIJSF_SF_EEENSH_IJSG_SG_EEES6_PlJ7is_evenIjEEEE10hipError_tPvRmT3_T4_T5_T6_T7_T9_mT8_P12ihipStream_tbDpT10_ENKUlT_T0_E_clISt17integral_constantIbLb1EES16_EEDaS11_S12_EUlS11_E_NS1_11comp_targetILNS1_3genE4ELNS1_11target_archE910ELNS1_3gpuE8ELNS1_3repE0EEENS1_30default_config_static_selectorELNS0_4arch9wavefront6targetE1EEEvT1_: ; @_ZN7rocprim17ROCPRIM_400000_NS6detail17trampoline_kernelINS0_14default_configENS1_25partition_config_selectorILNS1_17partition_subalgoE0EjNS0_10empty_typeEbEEZZNS1_14partition_implILS5_0ELb0ES3_jN6thrust23THRUST_200600_302600_NS6detail15normal_iteratorINSA_10device_ptrIjEEEEPS6_SG_NS0_5tupleIJSF_SF_EEENSH_IJSG_SG_EEES6_PlJ7is_evenIjEEEE10hipError_tPvRmT3_T4_T5_T6_T7_T9_mT8_P12ihipStream_tbDpT10_ENKUlT_T0_E_clISt17integral_constantIbLb1EES16_EEDaS11_S12_EUlS11_E_NS1_11comp_targetILNS1_3genE4ELNS1_11target_archE910ELNS1_3gpuE8ELNS1_3repE0EEENS1_30default_config_static_selectorELNS0_4arch9wavefront6targetE1EEEvT1_
; %bb.0:
	s_load_dwordx2 s[2:3], s[4:5], 0x58
	s_load_dwordx4 s[20:23], s[4:5], 0x48
	s_load_dwordx2 s[34:35], s[4:5], 0x68
	v_cmp_eq_u32_e64 s[0:1], 0, v0
	s_and_saveexec_b64 s[6:7], s[0:1]
	s_cbranch_execz .LBB2147_4
; %bb.1:
	s_mov_b64 s[10:11], exec
	v_mbcnt_lo_u32_b32 v1, s10, 0
	v_mbcnt_hi_u32_b32 v1, s11, v1
	v_cmp_eq_u32_e32 vcc, 0, v1
                                        ; implicit-def: $vgpr2
	s_and_saveexec_b64 s[8:9], vcc
	s_cbranch_execz .LBB2147_3
; %bb.2:
	s_load_dwordx2 s[12:13], s[4:5], 0x78
	s_bcnt1_i32_b64 s10, s[10:11]
	v_mov_b32_e32 v2, 0
	v_mov_b32_e32 v3, s10
	s_waitcnt lgkmcnt(0)
	global_atomic_add v2, v2, v3, s[12:13] glc
.LBB2147_3:
	s_or_b64 exec, exec, s[8:9]
	s_waitcnt vmcnt(0)
	v_readfirstlane_b32 s8, v2
	v_add_u32_e32 v1, s8, v1
	v_mov_b32_e32 v2, 0
	ds_write_b32 v2, v1
.LBB2147_4:
	s_or_b64 exec, exec, s[6:7]
	v_mov_b32_e32 v3, 0
	s_load_dwordx4 s[28:31], s[4:5], 0x8
	s_load_dwordx4 s[24:27], s[4:5], 0x28
	s_load_dword s6, s[4:5], 0x70
	s_waitcnt lgkmcnt(0)
	s_barrier
	ds_read_b32 v1, v3
	s_waitcnt lgkmcnt(0)
	s_barrier
	global_load_dwordx2 v[12:13], v3, s[22:23]
	v_mov_b32_e32 v5, s3
	s_lshl_b64 s[4:5], s[30:31], 2
	s_movk_i32 s3, 0xa00
	s_add_u32 s7, s28, s4
	v_mul_lo_u32 v2, v1, s3
	s_mul_i32 s3, s6, 0xa00
	s_addc_u32 s8, s29, s5
	s_add_i32 s5, s3, s30
	s_sub_i32 s33, s2, s5
	s_add_i32 s4, s6, -1
	s_addk_i32 s33, 0xa00
	v_mov_b32_e32 v4, s2
	s_add_u32 s2, s30, s3
	v_readfirstlane_b32 s40, v1
	s_addc_u32 s3, s31, 0
	s_cmp_eq_u32 s40, s4
	s_cselect_b64 s[22:23], -1, 0
	s_cmp_lg_u32 s40, s4
	v_cmp_lt_u64_e32 vcc, s[2:3], v[4:5]
	s_cselect_b64 s[2:3], -1, 0
	v_lshlrev_b64 v[14:15], 2, v[2:3]
	s_or_b64 s[4:5], vcc, s[2:3]
	v_mov_b32_e32 v1, s8
	v_add_co_u32_e32 v16, vcc, s7, v14
	v_addc_co_u32_e32 v17, vcc, v1, v15, vcc
	s_mov_b64 s[2:3], -1
	s_and_b64 vcc, exec, s[4:5]
	v_lshlrev_b32_e32 v1, 2, v0
	s_cbranch_vccz .LBB2147_6
; %bb.5:
	v_add_co_u32_e32 v2, vcc, v16, v1
	v_addc_co_u32_e32 v3, vcc, 0, v17, vcc
	v_add_co_u32_e32 v4, vcc, 0x1000, v2
	v_addc_co_u32_e32 v5, vcc, 0, v3, vcc
	flat_load_dword v6, v[2:3]
	flat_load_dword v7, v[2:3] offset:1024
	flat_load_dword v8, v[2:3] offset:2048
	;; [unrolled: 1-line block ×3, first 2 shown]
	flat_load_dword v10, v[4:5]
	flat_load_dword v11, v[4:5] offset:1024
	flat_load_dword v18, v[4:5] offset:2048
	;; [unrolled: 1-line block ×3, first 2 shown]
	v_add_co_u32_e32 v2, vcc, 0x2000, v2
	v_addc_co_u32_e32 v3, vcc, 0, v3, vcc
	flat_load_dword v4, v[2:3]
	flat_load_dword v5, v[2:3] offset:1024
	s_mov_b64 s[2:3], 0
	s_waitcnt vmcnt(0) lgkmcnt(0)
	ds_write2st64_b32 v1, v6, v7 offset1:4
	ds_write2st64_b32 v1, v8, v9 offset0:8 offset1:12
	ds_write2st64_b32 v1, v10, v11 offset0:16 offset1:20
	;; [unrolled: 1-line block ×4, first 2 shown]
	s_waitcnt lgkmcnt(0)
	s_barrier
.LBB2147_6:
	s_andn2_b64 vcc, exec, s[2:3]
	v_cmp_gt_u32_e64 s[2:3], s33, v0
	s_cbranch_vccnz .LBB2147_28
; %bb.7:
                                        ; implicit-def: $vgpr2_vgpr3_vgpr4_vgpr5_vgpr6_vgpr7_vgpr8_vgpr9_vgpr10_vgpr11
	s_and_saveexec_b64 s[6:7], s[2:3]
	s_cbranch_execz .LBB2147_9
; %bb.8:
	v_add_co_u32_e32 v2, vcc, v16, v1
	v_addc_co_u32_e32 v3, vcc, 0, v17, vcc
	flat_load_dword v2, v[2:3]
.LBB2147_9:
	s_or_b64 exec, exec, s[6:7]
	v_or_b32_e32 v18, 0x100, v0
	v_cmp_gt_u32_e32 vcc, s33, v18
	s_and_saveexec_b64 s[2:3], vcc
	s_cbranch_execz .LBB2147_11
; %bb.10:
	v_add_co_u32_e32 v18, vcc, v16, v1
	v_addc_co_u32_e32 v19, vcc, 0, v17, vcc
	flat_load_dword v3, v[18:19] offset:1024
.LBB2147_11:
	s_or_b64 exec, exec, s[2:3]
	v_or_b32_e32 v18, 0x200, v0
	v_cmp_gt_u32_e32 vcc, s33, v18
	s_and_saveexec_b64 s[2:3], vcc
	s_cbranch_execz .LBB2147_13
; %bb.12:
	v_add_co_u32_e32 v18, vcc, v16, v1
	v_addc_co_u32_e32 v19, vcc, 0, v17, vcc
	flat_load_dword v4, v[18:19] offset:2048
.LBB2147_13:
	;; [unrolled: 10-line block ×3, first 2 shown]
	s_or_b64 exec, exec, s[2:3]
	v_or_b32_e32 v18, 0x400, v0
	v_cmp_gt_u32_e32 vcc, s33, v18
	s_and_saveexec_b64 s[2:3], vcc
	s_cbranch_execz .LBB2147_17
; %bb.16:
	v_lshlrev_b32_e32 v6, 2, v18
	v_add_co_u32_e32 v18, vcc, v16, v6
	v_addc_co_u32_e32 v19, vcc, 0, v17, vcc
	flat_load_dword v6, v[18:19]
.LBB2147_17:
	s_or_b64 exec, exec, s[2:3]
	v_or_b32_e32 v18, 0x500, v0
	v_cmp_gt_u32_e32 vcc, s33, v18
	s_and_saveexec_b64 s[2:3], vcc
	s_cbranch_execz .LBB2147_19
; %bb.18:
	v_lshlrev_b32_e32 v7, 2, v18
	v_add_co_u32_e32 v18, vcc, v16, v7
	v_addc_co_u32_e32 v19, vcc, 0, v17, vcc
	flat_load_dword v7, v[18:19]
.LBB2147_19:
	;; [unrolled: 11-line block ×6, first 2 shown]
	s_or_b64 exec, exec, s[2:3]
	s_waitcnt vmcnt(0) lgkmcnt(0)
	ds_write2st64_b32 v1, v2, v3 offset1:4
	ds_write2st64_b32 v1, v4, v5 offset0:8 offset1:12
	ds_write2st64_b32 v1, v6, v7 offset0:16 offset1:20
	;; [unrolled: 1-line block ×4, first 2 shown]
	s_waitcnt lgkmcnt(0)
	s_barrier
.LBB2147_28:
	v_mul_u32_u24_e32 v27, 10, v0
	v_lshlrev_b32_e32 v33, 2, v27
	ds_read2_b64 v[6:9], v33 offset1:1
	ds_read2_b64 v[2:5], v33 offset0:2 offset1:3
	ds_read_b64 v[10:11], v33 offset:32
	v_cndmask_b32_e64 v16, 0, 1, s[4:5]
	v_cmp_ne_u32_e64 s[2:3], 1, v16
	s_andn2_b64 vcc, exec, s[4:5]
	s_waitcnt lgkmcnt(2)
	v_xor_b32_e32 v25, -1, v6
	v_xor_b32_e32 v24, -1, v7
	;; [unrolled: 1-line block ×4, first 2 shown]
	s_waitcnt lgkmcnt(1)
	v_xor_b32_e32 v21, -1, v2
	v_xor_b32_e32 v20, -1, v3
	v_xor_b32_e32 v19, -1, v4
	v_xor_b32_e32 v18, -1, v5
	s_waitcnt lgkmcnt(0)
	v_xor_b32_e32 v17, -1, v10
	v_xor_b32_e32 v16, -1, v11
	s_barrier
	s_cbranch_vccnz .LBB2147_30
; %bb.29:
	v_mov_b32_e32 v26, 1
	v_and_b32_e32 v29, 1, v25
	v_and_b32_sdwa v30, v24, v26 dst_sel:BYTE_1 dst_unused:UNUSED_PAD src0_sel:DWORD src1_sel:DWORD
	v_and_b32_e32 v31, 1, v23
	v_and_b32_sdwa v32, v22, v26 dst_sel:BYTE_1 dst_unused:UNUSED_PAD src0_sel:DWORD src1_sel:DWORD
	v_and_b32_e32 v34, 1, v21
	v_and_b32_sdwa v35, v20, v26 dst_sel:BYTE_1 dst_unused:UNUSED_PAD src0_sel:DWORD src1_sel:DWORD
	v_and_b32_e32 v36, 1, v19
	v_and_b32_sdwa v37, v18, v26 dst_sel:BYTE_1 dst_unused:UNUSED_PAD src0_sel:DWORD src1_sel:DWORD
	v_or_b32_e32 v29, v29, v30
	v_or_b32_sdwa v30, v31, v32 dst_sel:WORD_1 dst_unused:UNUSED_PAD src0_sel:DWORD src1_sel:DWORD
	v_or_b32_sdwa v30, v29, v30 dst_sel:DWORD dst_unused:UNUSED_PAD src0_sel:WORD_0 src1_sel:DWORD
	v_or_b32_e32 v29, v34, v35
	v_or_b32_sdwa v31, v36, v37 dst_sel:WORD_1 dst_unused:UNUSED_PAD src0_sel:DWORD src1_sel:DWORD
	v_and_b32_e32 v28, 1, v17
	v_and_b32_e32 v26, 1, v16
	v_or_b32_sdwa v29, v29, v31 dst_sel:DWORD dst_unused:UNUSED_PAD src0_sel:WORD_0 src1_sel:DWORD
	s_cbranch_execz .LBB2147_31
	s_branch .LBB2147_32
.LBB2147_30:
                                        ; implicit-def: $vgpr26
                                        ; implicit-def: $vgpr28
                                        ; implicit-def: $vgpr29
                                        ; implicit-def: $vgpr30
.LBB2147_31:
	v_or_b32_e32 v36, 1, v27
	v_cmp_gt_u32_e32 vcc, s33, v27
	v_add_u32_e32 v26, 2, v27
	v_cndmask_b32_e64 v37, 0, 1, vcc
	v_cmp_gt_u32_e32 vcc, s33, v36
	v_add_u32_e32 v35, 3, v27
	v_cndmask_b32_e64 v36, 0, 1, vcc
	v_cmp_gt_u32_e32 vcc, s33, v26
	v_add_u32_e32 v28, 4, v27
	v_cndmask_b32_e64 v26, 0, 1, vcc
	v_cmp_gt_u32_e32 vcc, s33, v35
	v_add_u32_e32 v34, 5, v27
	v_and_b32_e32 v23, v26, v23
	v_cndmask_b32_e64 v26, 0, 1, vcc
	v_cmp_gt_u32_e32 vcc, s33, v28
	v_add_u32_e32 v29, 6, v27
	v_and_b32_sdwa v22, v26, v22 dst_sel:BYTE_1 dst_unused:UNUSED_PAD src0_sel:DWORD src1_sel:DWORD
	v_cndmask_b32_e64 v26, 0, 1, vcc
	v_cmp_gt_u32_e32 vcc, s33, v34
	v_add_u32_e32 v32, 7, v27
	v_and_b32_e32 v21, v26, v21
	v_cndmask_b32_e64 v26, 0, 1, vcc
	v_cmp_gt_u32_e32 vcc, s33, v29
	v_add_u32_e32 v30, 8, v27
	v_and_b32_sdwa v20, v26, v20 dst_sel:BYTE_1 dst_unused:UNUSED_PAD src0_sel:DWORD src1_sel:DWORD
	v_cndmask_b32_e64 v26, 0, 1, vcc
	v_cmp_gt_u32_e32 vcc, s33, v32
	v_add_u32_e32 v31, 9, v27
	v_and_b32_e32 v19, v26, v19
	v_cndmask_b32_e64 v26, 0, 1, vcc
	v_cmp_gt_u32_e32 vcc, s33, v30
	v_and_b32_sdwa v18, v26, v18 dst_sel:BYTE_1 dst_unused:UNUSED_PAD src0_sel:DWORD src1_sel:DWORD
	v_cndmask_b32_e64 v26, 0, 1, vcc
	v_cmp_gt_u32_e32 vcc, s33, v31
	v_and_b32_e32 v25, v37, v25
	v_and_b32_sdwa v24, v36, v24 dst_sel:BYTE_1 dst_unused:UNUSED_PAD src0_sel:DWORD src1_sel:DWORD
	v_and_b32_e32 v28, v26, v17
	v_cndmask_b32_e64 v17, 0, 1, vcc
	v_and_b32_e32 v26, v17, v16
	v_or_b32_e32 v16, v25, v24
	v_or_b32_sdwa v17, v23, v22 dst_sel:WORD_1 dst_unused:UNUSED_PAD src0_sel:DWORD src1_sel:DWORD
	v_or_b32_sdwa v30, v16, v17 dst_sel:DWORD dst_unused:UNUSED_PAD src0_sel:WORD_0 src1_sel:DWORD
	v_or_b32_e32 v16, v21, v20
	v_or_b32_sdwa v17, v19, v18 dst_sel:WORD_1 dst_unused:UNUSED_PAD src0_sel:DWORD src1_sel:DWORD
	v_or_b32_sdwa v29, v16, v17 dst_sel:DWORD dst_unused:UNUSED_PAD src0_sel:WORD_0 src1_sel:DWORD
.LBB2147_32:
	v_bfe_u32 v34, v30, 16, 8
	v_lshrrev_b32_e32 v32, 24, v30
	v_add_u32_sdwa v17, v30, v30 dst_sel:DWORD dst_unused:UNUSED_PAD src0_sel:BYTE_1 src1_sel:BYTE_0
	v_and_b32_e32 v35, 0xff, v29
	v_bfe_u32 v36, v29, 8, 8
	v_add3_u32 v17, v17, v34, v32
	v_bfe_u32 v37, v29, 16, 8
	v_lshrrev_b32_e32 v31, 24, v29
	v_add3_u32 v17, v17, v35, v36
	v_and_b32_e32 v38, 0xff, v28
	v_and_b32_e32 v16, 0xff, v26
	v_add3_u32 v17, v17, v37, v31
	v_add3_u32 v41, v17, v38, v16
	v_mbcnt_lo_u32_b32 v16, -1, 0
	v_mbcnt_hi_u32_b32 v39, -1, v16
	v_and_b32_e32 v16, 15, v39
	v_cmp_eq_u32_e64 s[16:17], 0, v16
	v_cmp_lt_u32_e64 s[14:15], 1, v16
	v_cmp_lt_u32_e64 s[12:13], 3, v16
	v_cmp_lt_u32_e64 s[10:11], 7, v16
	v_and_b32_e32 v16, 16, v39
	v_cmp_eq_u32_e64 s[8:9], 0, v16
	v_or_b32_e32 v16, 63, v0
	s_cmp_lg_u32 s40, 0
	v_cmp_lt_u32_e64 s[4:5], 31, v39
	v_lshrrev_b32_e32 v40, 6, v0
	v_cmp_eq_u32_e64 s[6:7], v16, v0
	s_cbranch_scc0 .LBB2147_63
; %bb.33:
	v_mov_b32_dpp v16, v41 row_shr:1 row_mask:0xf bank_mask:0xf
	v_cndmask_b32_e64 v16, v16, 0, s[16:17]
	v_add_u32_e32 v16, v16, v41
	s_nop 1
	v_mov_b32_dpp v17, v16 row_shr:2 row_mask:0xf bank_mask:0xf
	v_cndmask_b32_e64 v17, 0, v17, s[14:15]
	v_add_u32_e32 v16, v16, v17
	s_nop 1
	;; [unrolled: 4-line block ×4, first 2 shown]
	v_mov_b32_dpp v17, v16 row_bcast:15 row_mask:0xf bank_mask:0xf
	v_cndmask_b32_e64 v17, v17, 0, s[8:9]
	v_add_u32_e32 v16, v16, v17
	s_nop 1
	v_mov_b32_dpp v17, v16 row_bcast:31 row_mask:0xf bank_mask:0xf
	v_cndmask_b32_e64 v17, 0, v17, s[4:5]
	v_add_u32_e32 v16, v16, v17
	s_and_saveexec_b64 s[18:19], s[6:7]
	s_cbranch_execz .LBB2147_35
; %bb.34:
	v_lshlrev_b32_e32 v17, 2, v40
	ds_write_b32 v17, v16
.LBB2147_35:
	s_or_b64 exec, exec, s[18:19]
	v_cmp_gt_u32_e32 vcc, 4, v0
	s_waitcnt lgkmcnt(0)
	s_barrier
	s_and_saveexec_b64 s[18:19], vcc
	s_cbranch_execz .LBB2147_37
; %bb.36:
	ds_read_b32 v17, v1
	v_and_b32_e32 v18, 3, v39
	v_cmp_ne_u32_e32 vcc, 0, v18
	s_waitcnt lgkmcnt(0)
	v_mov_b32_dpp v19, v17 row_shr:1 row_mask:0xf bank_mask:0xf
	v_cndmask_b32_e32 v19, 0, v19, vcc
	v_add_u32_e32 v17, v19, v17
	v_cmp_lt_u32_e32 vcc, 1, v18
	s_nop 0
	v_mov_b32_dpp v19, v17 row_shr:2 row_mask:0xf bank_mask:0xf
	v_cndmask_b32_e32 v18, 0, v19, vcc
	v_add_u32_e32 v17, v17, v18
	ds_write_b32 v1, v17
.LBB2147_37:
	s_or_b64 exec, exec, s[18:19]
	v_cmp_gt_u32_e32 vcc, 64, v0
	v_cmp_lt_u32_e64 s[18:19], 63, v0
	s_waitcnt lgkmcnt(0)
	s_barrier
	s_waitcnt lgkmcnt(0)
                                        ; implicit-def: $vgpr42
	s_and_saveexec_b64 s[28:29], s[18:19]
	s_cbranch_execz .LBB2147_39
; %bb.38:
	v_lshl_add_u32 v17, v40, 2, -4
	ds_read_b32 v42, v17
	s_waitcnt lgkmcnt(0)
	v_add_u32_e32 v16, v42, v16
.LBB2147_39:
	s_or_b64 exec, exec, s[28:29]
	v_add_u32_e32 v17, -1, v39
	v_and_b32_e32 v18, 64, v39
	v_cmp_lt_i32_e64 s[18:19], v17, v18
	v_cndmask_b32_e64 v17, v17, v39, s[18:19]
	v_lshlrev_b32_e32 v17, 2, v17
	ds_bpermute_b32 v43, v17, v16
	v_cmp_eq_u32_e64 s[18:19], 0, v39
	s_and_saveexec_b64 s[28:29], vcc
	s_cbranch_execz .LBB2147_62
; %bb.40:
	v_mov_b32_e32 v25, 0
	ds_read_b32 v16, v25 offset:12
	s_and_saveexec_b64 s[36:37], s[18:19]
	s_cbranch_execz .LBB2147_42
; %bb.41:
	s_add_i32 s38, s40, 64
	s_mov_b32 s39, 0
	s_lshl_b64 s[38:39], s[38:39], 3
	s_add_u32 s38, s34, s38
	v_mov_b32_e32 v17, 1
	s_addc_u32 s39, s35, s39
	s_waitcnt lgkmcnt(0)
	global_store_dwordx2 v25, v[16:17], s[38:39]
.LBB2147_42:
	s_or_b64 exec, exec, s[36:37]
	v_xad_u32 v18, v39, -1, s40
	v_add_u32_e32 v24, 64, v18
	v_lshlrev_b64 v[20:21], 3, v[24:25]
	v_mov_b32_e32 v17, s35
	v_add_co_u32_e32 v20, vcc, s34, v20
	v_addc_co_u32_e32 v21, vcc, v17, v21, vcc
	global_load_dwordx2 v[22:23], v[20:21], off glc
	s_waitcnt vmcnt(0)
	v_cmp_eq_u16_sdwa s[38:39], v23, v25 src0_sel:BYTE_0 src1_sel:DWORD
	s_and_saveexec_b64 s[36:37], s[38:39]
	s_cbranch_execz .LBB2147_48
; %bb.43:
	s_mov_b32 s41, 1
	s_mov_b64 s[38:39], 0
	v_mov_b32_e32 v17, 0
.LBB2147_44:                            ; =>This Loop Header: Depth=1
                                        ;     Child Loop BB2147_45 Depth 2
	s_max_u32 s42, s41, 1
.LBB2147_45:                            ;   Parent Loop BB2147_44 Depth=1
                                        ; =>  This Inner Loop Header: Depth=2
	s_add_i32 s42, s42, -1
	s_cmp_eq_u32 s42, 0
	s_sleep 1
	s_cbranch_scc0 .LBB2147_45
; %bb.46:                               ;   in Loop: Header=BB2147_44 Depth=1
	global_load_dwordx2 v[22:23], v[20:21], off glc
	s_cmp_lt_u32 s41, 32
	s_cselect_b64 s[42:43], -1, 0
	s_cmp_lg_u64 s[42:43], 0
	s_addc_u32 s41, s41, 0
	s_waitcnt vmcnt(0)
	v_cmp_ne_u16_sdwa s[42:43], v23, v17 src0_sel:BYTE_0 src1_sel:DWORD
	s_or_b64 s[38:39], s[42:43], s[38:39]
	s_andn2_b64 exec, exec, s[38:39]
	s_cbranch_execnz .LBB2147_44
; %bb.47:
	s_or_b64 exec, exec, s[38:39]
.LBB2147_48:
	s_or_b64 exec, exec, s[36:37]
	v_and_b32_e32 v45, 63, v39
	v_mov_b32_e32 v44, 2
	v_cmp_ne_u32_e32 vcc, 63, v45
	v_cmp_eq_u16_sdwa s[36:37], v23, v44 src0_sel:BYTE_0 src1_sel:DWORD
	v_lshlrev_b64 v[20:21], v39, -1
	v_addc_co_u32_e32 v24, vcc, 0, v39, vcc
	v_and_b32_e32 v17, s37, v21
	v_lshlrev_b32_e32 v46, 2, v24
	v_or_b32_e32 v17, 0x80000000, v17
	ds_bpermute_b32 v24, v46, v22
	v_and_b32_e32 v19, s36, v20
	v_ffbl_b32_e32 v17, v17
	v_add_u32_e32 v17, 32, v17
	v_ffbl_b32_e32 v19, v19
	v_min_u32_e32 v17, v19, v17
	v_cmp_lt_u32_e32 vcc, v45, v17
	s_waitcnt lgkmcnt(0)
	v_cndmask_b32_e32 v19, 0, v24, vcc
	v_cmp_gt_u32_e32 vcc, 62, v45
	v_add_u32_e32 v19, v19, v22
	v_cndmask_b32_e64 v22, 0, 1, vcc
	v_lshlrev_b32_e32 v22, 1, v22
	v_add_lshl_u32 v47, v22, v39, 2
	ds_bpermute_b32 v22, v47, v19
	v_add_u32_e32 v48, 2, v45
	v_cmp_le_u32_e32 vcc, v48, v17
	v_add_u32_e32 v50, 4, v45
	v_add_u32_e32 v52, 8, v45
	s_waitcnt lgkmcnt(0)
	v_cndmask_b32_e32 v22, 0, v22, vcc
	v_cmp_gt_u32_e32 vcc, 60, v45
	v_add_u32_e32 v19, v19, v22
	v_cndmask_b32_e64 v22, 0, 1, vcc
	v_lshlrev_b32_e32 v22, 2, v22
	v_add_lshl_u32 v49, v22, v39, 2
	ds_bpermute_b32 v22, v49, v19
	v_cmp_le_u32_e32 vcc, v50, v17
	v_add_u32_e32 v54, 16, v45
	v_add_u32_e32 v56, 32, v45
	s_waitcnt lgkmcnt(0)
	v_cndmask_b32_e32 v22, 0, v22, vcc
	v_cmp_gt_u32_e32 vcc, 56, v45
	v_add_u32_e32 v19, v19, v22
	v_cndmask_b32_e64 v22, 0, 1, vcc
	v_lshlrev_b32_e32 v22, 3, v22
	v_add_lshl_u32 v51, v22, v39, 2
	ds_bpermute_b32 v22, v51, v19
	v_cmp_le_u32_e32 vcc, v52, v17
	s_waitcnt lgkmcnt(0)
	v_cndmask_b32_e32 v22, 0, v22, vcc
	v_cmp_gt_u32_e32 vcc, 48, v45
	v_add_u32_e32 v19, v19, v22
	v_cndmask_b32_e64 v22, 0, 1, vcc
	v_lshlrev_b32_e32 v22, 4, v22
	v_add_lshl_u32 v53, v22, v39, 2
	ds_bpermute_b32 v22, v53, v19
	v_cmp_le_u32_e32 vcc, v54, v17
	;; [unrolled: 9-line block ×3, first 2 shown]
	s_waitcnt lgkmcnt(0)
	v_cndmask_b32_e32 v17, 0, v22, vcc
	v_add_u32_e32 v22, v19, v17
	v_mov_b32_e32 v19, 0
	s_branch .LBB2147_50
.LBB2147_49:                            ;   in Loop: Header=BB2147_50 Depth=1
	s_or_b64 exec, exec, s[36:37]
	v_cmp_eq_u16_sdwa s[36:37], v23, v44 src0_sel:BYTE_0 src1_sel:DWORD
	v_and_b32_e32 v24, s37, v21
	v_or_b32_e32 v24, 0x80000000, v24
	ds_bpermute_b32 v57, v46, v22
	v_and_b32_e32 v25, s36, v20
	v_ffbl_b32_e32 v24, v24
	v_add_u32_e32 v24, 32, v24
	v_ffbl_b32_e32 v25, v25
	v_min_u32_e32 v24, v25, v24
	v_cmp_lt_u32_e32 vcc, v45, v24
	s_waitcnt lgkmcnt(0)
	v_cndmask_b32_e32 v25, 0, v57, vcc
	v_add_u32_e32 v22, v25, v22
	ds_bpermute_b32 v25, v47, v22
	v_cmp_le_u32_e32 vcc, v48, v24
	v_subrev_u32_e32 v18, 64, v18
	s_waitcnt lgkmcnt(0)
	v_cndmask_b32_e32 v25, 0, v25, vcc
	v_add_u32_e32 v22, v22, v25
	ds_bpermute_b32 v25, v49, v22
	v_cmp_le_u32_e32 vcc, v50, v24
	s_waitcnt lgkmcnt(0)
	v_cndmask_b32_e32 v25, 0, v25, vcc
	v_add_u32_e32 v22, v22, v25
	ds_bpermute_b32 v25, v51, v22
	v_cmp_le_u32_e32 vcc, v52, v24
	;; [unrolled: 5-line block ×4, first 2 shown]
	s_waitcnt lgkmcnt(0)
	v_cndmask_b32_e32 v24, 0, v25, vcc
	v_add3_u32 v22, v24, v17, v22
.LBB2147_50:                            ; =>This Loop Header: Depth=1
                                        ;     Child Loop BB2147_53 Depth 2
                                        ;       Child Loop BB2147_54 Depth 3
	v_cmp_ne_u16_sdwa s[36:37], v23, v44 src0_sel:BYTE_0 src1_sel:DWORD
	v_cndmask_b32_e64 v17, 0, 1, s[36:37]
	;;#ASMSTART
	;;#ASMEND
	v_cmp_ne_u32_e32 vcc, 0, v17
	s_cmp_lg_u64 vcc, exec
	v_mov_b32_e32 v17, v22
	s_cbranch_scc1 .LBB2147_57
; %bb.51:                               ;   in Loop: Header=BB2147_50 Depth=1
	v_lshlrev_b64 v[22:23], 3, v[18:19]
	v_mov_b32_e32 v25, s35
	v_add_co_u32_e32 v24, vcc, s34, v22
	v_addc_co_u32_e32 v25, vcc, v25, v23, vcc
	global_load_dwordx2 v[22:23], v[24:25], off glc
	s_waitcnt vmcnt(0)
	v_cmp_eq_u16_sdwa s[38:39], v23, v19 src0_sel:BYTE_0 src1_sel:DWORD
	s_and_saveexec_b64 s[36:37], s[38:39]
	s_cbranch_execz .LBB2147_49
; %bb.52:                               ;   in Loop: Header=BB2147_50 Depth=1
	s_mov_b32 s41, 1
	s_mov_b64 s[38:39], 0
.LBB2147_53:                            ;   Parent Loop BB2147_50 Depth=1
                                        ; =>  This Loop Header: Depth=2
                                        ;       Child Loop BB2147_54 Depth 3
	s_max_u32 s42, s41, 1
.LBB2147_54:                            ;   Parent Loop BB2147_50 Depth=1
                                        ;     Parent Loop BB2147_53 Depth=2
                                        ; =>    This Inner Loop Header: Depth=3
	s_add_i32 s42, s42, -1
	s_cmp_eq_u32 s42, 0
	s_sleep 1
	s_cbranch_scc0 .LBB2147_54
; %bb.55:                               ;   in Loop: Header=BB2147_53 Depth=2
	global_load_dwordx2 v[22:23], v[24:25], off glc
	s_cmp_lt_u32 s41, 32
	s_cselect_b64 s[42:43], -1, 0
	s_cmp_lg_u64 s[42:43], 0
	s_addc_u32 s41, s41, 0
	s_waitcnt vmcnt(0)
	v_cmp_ne_u16_sdwa s[42:43], v23, v19 src0_sel:BYTE_0 src1_sel:DWORD
	s_or_b64 s[38:39], s[42:43], s[38:39]
	s_andn2_b64 exec, exec, s[38:39]
	s_cbranch_execnz .LBB2147_53
; %bb.56:                               ;   in Loop: Header=BB2147_50 Depth=1
	s_or_b64 exec, exec, s[38:39]
	s_branch .LBB2147_49
.LBB2147_57:                            ;   in Loop: Header=BB2147_50 Depth=1
                                        ; implicit-def: $vgpr22
                                        ; implicit-def: $vgpr23
	s_cbranch_execz .LBB2147_50
; %bb.58:
	s_and_saveexec_b64 s[36:37], s[18:19]
	s_cbranch_execz .LBB2147_60
; %bb.59:
	s_add_i32 s38, s40, 64
	s_mov_b32 s39, 0
	s_lshl_b64 s[38:39], s[38:39], 3
	s_add_u32 s38, s34, s38
	v_add_u32_e32 v18, v17, v16
	v_mov_b32_e32 v19, 2
	s_addc_u32 s39, s35, s39
	v_mov_b32_e32 v20, 0
	global_store_dwordx2 v20, v[18:19], s[38:39]
	ds_write_b64 v20, v[16:17] offset:10240
.LBB2147_60:
	s_or_b64 exec, exec, s[36:37]
	s_and_b64 exec, exec, s[0:1]
	s_cbranch_execz .LBB2147_62
; %bb.61:
	v_mov_b32_e32 v16, 0
	ds_write_b32 v16, v17 offset:12
.LBB2147_62:
	s_or_b64 exec, exec, s[28:29]
	v_mov_b32_e32 v16, 0
	s_waitcnt lgkmcnt(0)
	s_barrier
	ds_read_b32 v17, v16 offset:12
	v_cndmask_b32_e64 v18, v43, v42, s[18:19]
	v_cndmask_b32_e64 v18, v18, 0, s[0:1]
	s_waitcnt lgkmcnt(0)
	s_barrier
	v_add_u32_e32 v43, v17, v18
	v_add_u32_sdwa v42, v43, v30 dst_sel:DWORD dst_unused:UNUSED_PAD src0_sel:DWORD src1_sel:BYTE_0
	v_add_u32_sdwa v25, v42, v30 dst_sel:DWORD dst_unused:UNUSED_PAD src0_sel:DWORD src1_sel:BYTE_1
	v_add_u32_e32 v24, v25, v34
	v_add_u32_e32 v23, v24, v32
	;; [unrolled: 1-line block ×3, first 2 shown]
	ds_read_b64 v[16:17], v16 offset:10240
	v_add_u32_e32 v21, v22, v36
	v_add_u32_e32 v20, v21, v37
	;; [unrolled: 1-line block ×4, first 2 shown]
	s_branch .LBB2147_73
.LBB2147_63:
                                        ; implicit-def: $vgpr17
                                        ; implicit-def: $vgpr18
                                        ; implicit-def: $vgpr19
                                        ; implicit-def: $vgpr20
                                        ; implicit-def: $vgpr21
                                        ; implicit-def: $vgpr22
                                        ; implicit-def: $vgpr23
                                        ; implicit-def: $vgpr24
                                        ; implicit-def: $vgpr25
                                        ; implicit-def: $vgpr42
                                        ; implicit-def: $vgpr43
	s_cbranch_execz .LBB2147_73
; %bb.64:
	s_waitcnt lgkmcnt(0)
	v_mov_b32_dpp v16, v41 row_shr:1 row_mask:0xf bank_mask:0xf
	v_cndmask_b32_e64 v16, v16, 0, s[16:17]
	v_add_u32_e32 v16, v16, v41
	s_nop 1
	v_mov_b32_dpp v17, v16 row_shr:2 row_mask:0xf bank_mask:0xf
	v_cndmask_b32_e64 v17, 0, v17, s[14:15]
	v_add_u32_e32 v16, v16, v17
	s_nop 1
	;; [unrolled: 4-line block ×4, first 2 shown]
	v_mov_b32_dpp v17, v16 row_bcast:15 row_mask:0xf bank_mask:0xf
	v_cndmask_b32_e64 v17, v17, 0, s[8:9]
	v_add_u32_e32 v16, v16, v17
	s_nop 1
	v_mov_b32_dpp v17, v16 row_bcast:31 row_mask:0xf bank_mask:0xf
	v_cndmask_b32_e64 v17, 0, v17, s[4:5]
	v_add_u32_e32 v16, v16, v17
	s_and_saveexec_b64 s[4:5], s[6:7]
	s_cbranch_execz .LBB2147_66
; %bb.65:
	v_lshlrev_b32_e32 v17, 2, v40
	ds_write_b32 v17, v16
.LBB2147_66:
	s_or_b64 exec, exec, s[4:5]
	v_cmp_gt_u32_e32 vcc, 4, v0
	s_waitcnt lgkmcnt(0)
	s_barrier
	s_and_saveexec_b64 s[4:5], vcc
	s_cbranch_execz .LBB2147_68
; %bb.67:
	s_movk_i32 s6, 0xffdc
	v_mad_i32_i24 v17, v0, s6, v33
	ds_read_b32 v18, v17
	v_and_b32_e32 v19, 3, v39
	v_cmp_ne_u32_e32 vcc, 0, v19
	s_waitcnt lgkmcnt(0)
	v_mov_b32_dpp v20, v18 row_shr:1 row_mask:0xf bank_mask:0xf
	v_cndmask_b32_e32 v20, 0, v20, vcc
	v_add_u32_e32 v18, v20, v18
	v_cmp_lt_u32_e32 vcc, 1, v19
	s_nop 0
	v_mov_b32_dpp v20, v18 row_shr:2 row_mask:0xf bank_mask:0xf
	v_cndmask_b32_e32 v19, 0, v20, vcc
	v_add_u32_e32 v18, v18, v19
	ds_write_b32 v17, v18
.LBB2147_68:
	s_or_b64 exec, exec, s[4:5]
	v_cmp_lt_u32_e32 vcc, 63, v0
	v_mov_b32_e32 v17, 0
	v_mov_b32_e32 v18, 0
	s_waitcnt lgkmcnt(0)
	s_barrier
	s_and_saveexec_b64 s[4:5], vcc
	s_cbranch_execz .LBB2147_70
; %bb.69:
	v_lshl_add_u32 v18, v40, 2, -4
	ds_read_b32 v18, v18
.LBB2147_70:
	s_or_b64 exec, exec, s[4:5]
	v_add_u32_e32 v19, -1, v39
	v_and_b32_e32 v20, 64, v39
	v_cmp_lt_i32_e32 vcc, v19, v20
	v_cndmask_b32_e32 v19, v19, v39, vcc
	s_waitcnt lgkmcnt(0)
	v_add_u32_e32 v16, v18, v16
	v_lshlrev_b32_e32 v19, 2, v19
	ds_bpermute_b32 v19, v19, v16
	ds_read_b32 v16, v17 offset:12
	s_and_saveexec_b64 s[4:5], s[0:1]
	s_cbranch_execz .LBB2147_72
; %bb.71:
	v_mov_b32_e32 v20, 0
	v_mov_b32_e32 v17, 2
	s_waitcnt lgkmcnt(0)
	global_store_dwordx2 v20, v[16:17], s[34:35] offset:512
.LBB2147_72:
	s_or_b64 exec, exec, s[4:5]
	v_cmp_eq_u32_e32 vcc, 0, v39
	s_waitcnt lgkmcnt(1)
	v_cndmask_b32_e32 v18, v19, v18, vcc
	v_cndmask_b32_e64 v43, v18, 0, s[0:1]
	v_add_u32_sdwa v42, v43, v30 dst_sel:DWORD dst_unused:UNUSED_PAD src0_sel:DWORD src1_sel:BYTE_0
	v_add_u32_sdwa v25, v42, v30 dst_sel:DWORD dst_unused:UNUSED_PAD src0_sel:DWORD src1_sel:BYTE_1
	v_add_u32_e32 v24, v25, v34
	v_add_u32_e32 v23, v24, v32
	;; [unrolled: 1-line block ×6, first 2 shown]
	v_mov_b32_e32 v17, 0
	v_add_u32_e32 v18, v19, v38
	s_waitcnt lgkmcnt(0)
	s_barrier
.LBB2147_73:
	s_waitcnt lgkmcnt(0)
	v_add_u32_e32 v27, v16, v27
	v_sub_u32_e32 v35, v43, v17
	v_and_b32_e32 v37, 1, v30
	v_sub_u32_e32 v36, v27, v35
	v_cmp_eq_u32_e32 vcc, 1, v37
	v_cndmask_b32_e32 v35, v36, v35, vcc
	v_lshlrev_b32_e32 v35, 2, v35
	v_lshrrev_b32_e32 v34, 8, v30
	ds_write_b32 v35, v6
	v_sub_u32_e32 v6, v42, v17
	v_sub_u32_e32 v35, v27, v6
	v_and_b32_e32 v34, 1, v34
	v_add_u32_e32 v35, 1, v35
	v_cmp_eq_u32_e32 vcc, 1, v34
	v_cndmask_b32_e32 v6, v35, v6, vcc
	v_lshlrev_b32_e32 v6, 2, v6
	ds_write_b32 v6, v7
	v_sub_u32_e32 v6, v25, v17
	v_mov_b32_e32 v25, 1
	v_sub_u32_e32 v7, v27, v6
	v_and_b32_sdwa v30, v25, v30 dst_sel:DWORD dst_unused:UNUSED_PAD src0_sel:DWORD src1_sel:WORD_1
	v_add_u32_e32 v7, 2, v7
	v_cmp_eq_u32_e32 vcc, 1, v30
	v_cndmask_b32_e32 v6, v7, v6, vcc
	v_lshlrev_b32_e32 v6, 2, v6
	ds_write_b32 v6, v8
	v_sub_u32_e32 v6, v24, v17
	v_sub_u32_e32 v7, v27, v6
	v_and_b32_e32 v8, 1, v32
	v_add_u32_e32 v7, 3, v7
	v_cmp_eq_u32_e32 vcc, 1, v8
	v_cndmask_b32_e32 v6, v7, v6, vcc
	v_lshlrev_b32_e32 v6, 2, v6
	ds_write_b32 v6, v9
	v_sub_u32_e32 v6, v23, v17
	v_sub_u32_e32 v7, v27, v6
	v_and_b32_e32 v8, 1, v29
	v_add_u32_e32 v7, 4, v7
	v_cmp_eq_u32_e32 vcc, 1, v8
	v_cndmask_b32_e32 v6, v7, v6, vcc
	v_lshlrev_b32_e32 v6, 2, v6
	v_lshrrev_b32_e32 v33, 8, v29
	ds_write_b32 v6, v2
	v_sub_u32_e32 v2, v22, v17
	v_sub_u32_e32 v6, v27, v2
	v_and_b32_e32 v7, 1, v33
	v_add_u32_e32 v6, 5, v6
	v_cmp_eq_u32_e32 vcc, 1, v7
	v_cndmask_b32_e32 v2, v6, v2, vcc
	v_lshlrev_b32_e32 v2, 2, v2
	ds_write_b32 v2, v3
	v_sub_u32_e32 v2, v21, v17
	v_sub_u32_e32 v3, v27, v2
	v_and_b32_sdwa v6, v25, v29 dst_sel:DWORD dst_unused:UNUSED_PAD src0_sel:DWORD src1_sel:WORD_1
	v_add_u32_e32 v3, 6, v3
	v_cmp_eq_u32_e32 vcc, 1, v6
	v_cndmask_b32_e32 v2, v3, v2, vcc
	v_lshlrev_b32_e32 v2, 2, v2
	ds_write_b32 v2, v4
	v_sub_u32_e32 v2, v20, v17
	v_sub_u32_e32 v3, v27, v2
	v_and_b32_e32 v4, 1, v31
	v_add_u32_e32 v3, 7, v3
	v_cmp_eq_u32_e32 vcc, 1, v4
	v_cndmask_b32_e32 v2, v3, v2, vcc
	v_lshlrev_b32_e32 v2, 2, v2
	ds_write_b32 v2, v5
	v_sub_u32_e32 v2, v19, v17
	v_sub_u32_e32 v3, v27, v2
	v_and_b32_e32 v4, 1, v28
	v_add_u32_e32 v3, 8, v3
	v_cmp_eq_u32_e32 vcc, 1, v4
	v_cndmask_b32_e32 v2, v3, v2, vcc
	v_lshlrev_b32_e32 v2, 2, v2
	ds_write_b32 v2, v10
	v_sub_u32_e32 v2, v18, v17
	v_sub_u32_e32 v3, v27, v2
	v_and_b32_e32 v4, 1, v26
	v_add_u32_e32 v3, 9, v3
	v_cmp_eq_u32_e32 vcc, 1, v4
	v_cndmask_b32_e32 v2, v3, v2, vcc
	s_waitcnt vmcnt(0)
	v_add_co_u32_e32 v30, vcc, v12, v17
	v_lshlrev_b32_e32 v2, 2, v2
	v_addc_co_u32_e32 v31, vcc, 0, v13, vcc
	ds_write_b32 v2, v11
	v_add_co_u32_e32 v2, vcc, v30, v16
	v_addc_co_u32_e32 v3, vcc, 0, v31, vcc
	v_mov_b32_e32 v13, s31
	v_sub_co_u32_e32 v12, vcc, s30, v2
	v_subb_co_u32_e32 v13, vcc, v13, v3, vcc
	v_lshlrev_b64 v[12:13], 2, v[12:13]
	v_mov_b32_e32 v17, s27
	v_add_co_u32_e32 v12, vcc, s26, v12
	s_waitcnt lgkmcnt(0)
	s_barrier
	ds_read2st64_b32 v[18:19], v1 offset1:4
	ds_read2st64_b32 v[10:11], v1 offset0:8 offset1:12
	ds_read2st64_b32 v[8:9], v1 offset0:16 offset1:20
	;; [unrolled: 1-line block ×4, first 2 shown]
	v_addc_co_u32_e32 v13, vcc, v17, v13, vcc
	v_add_co_u32_e32 v12, vcc, v12, v14
	v_addc_co_u32_e32 v13, vcc, v13, v15, vcc
	v_lshlrev_b64 v[14:15], 2, v[30:31]
	v_mov_b32_e32 v17, s25
	s_and_b64 vcc, exec, s[2:3]
	v_add_co_u32_e64 v14, s[2:3], s24, v14
	v_or_b32_e32 v28, 0x100, v0
	v_or_b32_e32 v27, 0x200, v0
	;; [unrolled: 1-line block ×9, first 2 shown]
	v_addc_co_u32_e64 v15, s[2:3], v17, v15, s[2:3]
	s_cbranch_vccnz .LBB2147_75
; %bb.74:
	v_cmp_gt_u32_e32 vcc, v16, v0
	v_cndmask_b32_e32 v29, v12, v14, vcc
	v_cndmask_b32_e32 v17, v13, v15, vcc
	v_add_co_u32_e32 v30, vcc, v29, v1
	v_addc_co_u32_e32 v31, vcc, 0, v17, vcc
	v_cmp_lt_u32_e32 vcc, v28, v16
	v_cndmask_b32_e32 v29, v12, v14, vcc
	s_waitcnt lgkmcnt(4)
	global_store_dword v[30:31], v18, off
	v_cndmask_b32_e32 v17, v13, v15, vcc
	v_add_co_u32_e32 v30, vcc, v29, v1
	v_addc_co_u32_e32 v31, vcc, 0, v17, vcc
	v_cmp_lt_u32_e32 vcc, v27, v16
	v_cndmask_b32_e32 v29, v12, v14, vcc
	global_store_dword v[30:31], v19, off offset:1024
	v_cndmask_b32_e32 v17, v13, v15, vcc
	v_add_co_u32_e32 v30, vcc, v29, v1
	v_addc_co_u32_e32 v31, vcc, 0, v17, vcc
	v_cmp_lt_u32_e32 vcc, v26, v16
	v_cndmask_b32_e32 v29, v12, v14, vcc
	s_waitcnt lgkmcnt(3)
	global_store_dword v[30:31], v10, off offset:2048
	v_cndmask_b32_e32 v17, v13, v15, vcc
	v_add_co_u32_e32 v30, vcc, v29, v1
	v_addc_co_u32_e32 v31, vcc, 0, v17, vcc
	v_cmp_lt_u32_e32 vcc, v25, v16
	global_store_dword v[30:31], v11, off offset:3072
	v_cndmask_b32_e32 v29, v12, v14, vcc
	v_lshlrev_b32_e32 v30, 2, v25
	v_cndmask_b32_e32 v17, v13, v15, vcc
	v_add_co_u32_e32 v30, vcc, v29, v30
	v_addc_co_u32_e32 v31, vcc, 0, v17, vcc
	v_cmp_lt_u32_e32 vcc, v24, v16
	s_waitcnt lgkmcnt(2)
	global_store_dword v[30:31], v8, off
	v_cndmask_b32_e32 v29, v12, v14, vcc
	v_lshlrev_b32_e32 v30, 2, v24
	v_cndmask_b32_e32 v17, v13, v15, vcc
	v_add_co_u32_e32 v30, vcc, v29, v30
	v_addc_co_u32_e32 v31, vcc, 0, v17, vcc
	v_cmp_lt_u32_e32 vcc, v23, v16
	global_store_dword v[30:31], v9, off
	v_cndmask_b32_e32 v29, v12, v14, vcc
	v_lshlrev_b32_e32 v30, 2, v23
	v_cndmask_b32_e32 v17, v13, v15, vcc
	v_add_co_u32_e32 v30, vcc, v29, v30
	v_addc_co_u32_e32 v31, vcc, 0, v17, vcc
	v_cmp_lt_u32_e32 vcc, v22, v16
	s_waitcnt lgkmcnt(1)
	global_store_dword v[30:31], v6, off
	v_cndmask_b32_e32 v29, v12, v14, vcc
	v_lshlrev_b32_e32 v30, 2, v22
	v_cndmask_b32_e32 v17, v13, v15, vcc
	v_add_co_u32_e32 v30, vcc, v29, v30
	v_addc_co_u32_e32 v31, vcc, 0, v17, vcc
	v_cmp_lt_u32_e32 vcc, v21, v16
	global_store_dword v[30:31], v7, off
	v_cndmask_b32_e32 v29, v12, v14, vcc
	v_lshlrev_b32_e32 v30, 2, v21
	v_cndmask_b32_e32 v17, v13, v15, vcc
	v_add_co_u32_e32 v30, vcc, v29, v30
	v_addc_co_u32_e32 v31, vcc, 0, v17, vcc
	s_mov_b64 s[2:3], -1
	s_waitcnt lgkmcnt(0)
	global_store_dword v[30:31], v4, off
	s_cbranch_execz .LBB2147_76
	s_branch .LBB2147_87
.LBB2147_75:
	s_mov_b64 s[2:3], 0
.LBB2147_76:
	v_cmp_gt_u32_e32 vcc, s33, v0
	s_and_saveexec_b64 s[2:3], vcc
	s_cbranch_execnz .LBB2147_92
; %bb.77:
	s_or_b64 exec, exec, s[2:3]
	v_cmp_gt_u32_e32 vcc, s33, v28
	s_and_saveexec_b64 s[2:3], vcc
	s_cbranch_execnz .LBB2147_93
.LBB2147_78:
	s_or_b64 exec, exec, s[2:3]
	v_cmp_gt_u32_e32 vcc, s33, v27
	s_and_saveexec_b64 s[2:3], vcc
	s_cbranch_execnz .LBB2147_94
.LBB2147_79:
	s_or_b64 exec, exec, s[2:3]
	v_cmp_gt_u32_e32 vcc, s33, v26
	s_and_saveexec_b64 s[2:3], vcc
	s_cbranch_execnz .LBB2147_95
.LBB2147_80:
	s_or_b64 exec, exec, s[2:3]
	v_cmp_gt_u32_e32 vcc, s33, v25
	s_and_saveexec_b64 s[2:3], vcc
	s_cbranch_execnz .LBB2147_96
.LBB2147_81:
	s_or_b64 exec, exec, s[2:3]
	v_cmp_gt_u32_e32 vcc, s33, v24
	s_and_saveexec_b64 s[2:3], vcc
	s_cbranch_execnz .LBB2147_97
.LBB2147_82:
	s_or_b64 exec, exec, s[2:3]
	v_cmp_gt_u32_e32 vcc, s33, v23
	s_and_saveexec_b64 s[2:3], vcc
	s_cbranch_execnz .LBB2147_98
.LBB2147_83:
	s_or_b64 exec, exec, s[2:3]
	v_cmp_gt_u32_e32 vcc, s33, v22
	s_and_saveexec_b64 s[2:3], vcc
	s_cbranch_execnz .LBB2147_99
.LBB2147_84:
	s_or_b64 exec, exec, s[2:3]
	v_cmp_gt_u32_e32 vcc, s33, v21
	s_and_saveexec_b64 s[2:3], vcc
	s_cbranch_execz .LBB2147_86
.LBB2147_85:
	v_cmp_lt_u32_e32 vcc, v21, v16
	v_cndmask_b32_e32 v0, v12, v14, vcc
	s_waitcnt lgkmcnt(1)
	v_lshlrev_b32_e32 v6, 2, v21
	v_cndmask_b32_e32 v1, v13, v15, vcc
	v_add_co_u32_e32 v0, vcc, v0, v6
	v_addc_co_u32_e32 v1, vcc, 0, v1, vcc
	s_waitcnt lgkmcnt(0)
	global_store_dword v[0:1], v4, off
.LBB2147_86:
	s_or_b64 exec, exec, s[2:3]
	v_cmp_gt_u32_e64 s[2:3], s33, v20
.LBB2147_87:
	s_and_saveexec_b64 s[4:5], s[2:3]
	s_cbranch_execnz .LBB2147_90
; %bb.88:
	s_or_b64 exec, exec, s[4:5]
	s_and_b64 s[0:1], s[0:1], s[22:23]
	s_and_saveexec_b64 s[2:3], s[0:1]
	s_cbranch_execnz .LBB2147_91
.LBB2147_89:
	s_endpgm
.LBB2147_90:
	v_cmp_lt_u32_e32 vcc, v20, v16
	v_cndmask_b32_e32 v0, v12, v14, vcc
	s_waitcnt lgkmcnt(0)
	v_lshlrev_b32_e32 v4, 2, v20
	v_cndmask_b32_e32 v1, v13, v15, vcc
	v_add_co_u32_e32 v0, vcc, v0, v4
	v_addc_co_u32_e32 v1, vcc, 0, v1, vcc
	global_store_dword v[0:1], v5, off
	s_or_b64 exec, exec, s[4:5]
	s_and_b64 s[0:1], s[0:1], s[22:23]
	s_and_saveexec_b64 s[2:3], s[0:1]
	s_cbranch_execz .LBB2147_89
.LBB2147_91:
	v_mov_b32_e32 v0, 0
	global_store_dwordx2 v0, v[2:3], s[20:21]
	s_endpgm
.LBB2147_92:
	v_cmp_gt_u32_e32 vcc, v16, v0
	v_cndmask_b32_e32 v17, v12, v14, vcc
	v_cndmask_b32_e32 v0, v13, v15, vcc
	v_add_co_u32_e32 v30, vcc, v17, v1
	v_addc_co_u32_e32 v31, vcc, 0, v0, vcc
	s_waitcnt lgkmcnt(4)
	global_store_dword v[30:31], v18, off
	s_or_b64 exec, exec, s[2:3]
	v_cmp_gt_u32_e32 vcc, s33, v28
	s_and_saveexec_b64 s[2:3], vcc
	s_cbranch_execz .LBB2147_78
.LBB2147_93:
	v_cmp_lt_u32_e32 vcc, v28, v16
	v_cndmask_b32_e32 v17, v12, v14, vcc
	v_cndmask_b32_e32 v0, v13, v15, vcc
	v_add_co_u32_e32 v28, vcc, v17, v1
	v_addc_co_u32_e32 v29, vcc, 0, v0, vcc
	s_waitcnt lgkmcnt(4)
	global_store_dword v[28:29], v19, off offset:1024
	s_or_b64 exec, exec, s[2:3]
	v_cmp_gt_u32_e32 vcc, s33, v27
	s_and_saveexec_b64 s[2:3], vcc
	s_cbranch_execz .LBB2147_79
.LBB2147_94:
	v_cmp_lt_u32_e32 vcc, v27, v16
	v_cndmask_b32_e32 v17, v12, v14, vcc
	v_cndmask_b32_e32 v0, v13, v15, vcc
	s_waitcnt lgkmcnt(4)
	v_add_co_u32_e32 v18, vcc, v17, v1
	v_addc_co_u32_e32 v19, vcc, 0, v0, vcc
	s_waitcnt lgkmcnt(3)
	global_store_dword v[18:19], v10, off offset:2048
	s_or_b64 exec, exec, s[2:3]
	v_cmp_gt_u32_e32 vcc, s33, v26
	s_and_saveexec_b64 s[2:3], vcc
	s_cbranch_execz .LBB2147_80
.LBB2147_95:
	v_cmp_lt_u32_e32 vcc, v26, v16
	v_cndmask_b32_e32 v0, v12, v14, vcc
	s_waitcnt lgkmcnt(3)
	v_cndmask_b32_e32 v10, v13, v15, vcc
	v_add_co_u32_e32 v0, vcc, v0, v1
	v_addc_co_u32_e32 v1, vcc, 0, v10, vcc
	global_store_dword v[0:1], v11, off offset:3072
	s_or_b64 exec, exec, s[2:3]
	v_cmp_gt_u32_e32 vcc, s33, v25
	s_and_saveexec_b64 s[2:3], vcc
	s_cbranch_execz .LBB2147_81
.LBB2147_96:
	v_cmp_lt_u32_e32 vcc, v25, v16
	v_cndmask_b32_e32 v0, v12, v14, vcc
	s_waitcnt lgkmcnt(3)
	v_lshlrev_b32_e32 v10, 2, v25
	v_cndmask_b32_e32 v1, v13, v15, vcc
	v_add_co_u32_e32 v0, vcc, v0, v10
	v_addc_co_u32_e32 v1, vcc, 0, v1, vcc
	s_waitcnt lgkmcnt(2)
	global_store_dword v[0:1], v8, off
	s_or_b64 exec, exec, s[2:3]
	v_cmp_gt_u32_e32 vcc, s33, v24
	s_and_saveexec_b64 s[2:3], vcc
	s_cbranch_execz .LBB2147_82
.LBB2147_97:
	v_cmp_lt_u32_e32 vcc, v24, v16
	v_cndmask_b32_e32 v0, v12, v14, vcc
	s_waitcnt lgkmcnt(2)
	v_lshlrev_b32_e32 v8, 2, v24
	v_cndmask_b32_e32 v1, v13, v15, vcc
	v_add_co_u32_e32 v0, vcc, v0, v8
	v_addc_co_u32_e32 v1, vcc, 0, v1, vcc
	global_store_dword v[0:1], v9, off
	s_or_b64 exec, exec, s[2:3]
	v_cmp_gt_u32_e32 vcc, s33, v23
	s_and_saveexec_b64 s[2:3], vcc
	s_cbranch_execz .LBB2147_83
.LBB2147_98:
	v_cmp_lt_u32_e32 vcc, v23, v16
	v_cndmask_b32_e32 v0, v12, v14, vcc
	s_waitcnt lgkmcnt(2)
	v_lshlrev_b32_e32 v8, 2, v23
	v_cndmask_b32_e32 v1, v13, v15, vcc
	v_add_co_u32_e32 v0, vcc, v0, v8
	v_addc_co_u32_e32 v1, vcc, 0, v1, vcc
	s_waitcnt lgkmcnt(1)
	global_store_dword v[0:1], v6, off
	s_or_b64 exec, exec, s[2:3]
	v_cmp_gt_u32_e32 vcc, s33, v22
	s_and_saveexec_b64 s[2:3], vcc
	s_cbranch_execz .LBB2147_84
.LBB2147_99:
	v_cmp_lt_u32_e32 vcc, v22, v16
	v_cndmask_b32_e32 v0, v12, v14, vcc
	s_waitcnt lgkmcnt(1)
	v_lshlrev_b32_e32 v6, 2, v22
	v_cndmask_b32_e32 v1, v13, v15, vcc
	v_add_co_u32_e32 v0, vcc, v0, v6
	v_addc_co_u32_e32 v1, vcc, 0, v1, vcc
	global_store_dword v[0:1], v7, off
	s_or_b64 exec, exec, s[2:3]
	v_cmp_gt_u32_e32 vcc, s33, v21
	s_and_saveexec_b64 s[2:3], vcc
	s_cbranch_execnz .LBB2147_85
	s_branch .LBB2147_86
	.section	.rodata,"a",@progbits
	.p2align	6, 0x0
	.amdhsa_kernel _ZN7rocprim17ROCPRIM_400000_NS6detail17trampoline_kernelINS0_14default_configENS1_25partition_config_selectorILNS1_17partition_subalgoE0EjNS0_10empty_typeEbEEZZNS1_14partition_implILS5_0ELb0ES3_jN6thrust23THRUST_200600_302600_NS6detail15normal_iteratorINSA_10device_ptrIjEEEEPS6_SG_NS0_5tupleIJSF_SF_EEENSH_IJSG_SG_EEES6_PlJ7is_evenIjEEEE10hipError_tPvRmT3_T4_T5_T6_T7_T9_mT8_P12ihipStream_tbDpT10_ENKUlT_T0_E_clISt17integral_constantIbLb1EES16_EEDaS11_S12_EUlS11_E_NS1_11comp_targetILNS1_3genE4ELNS1_11target_archE910ELNS1_3gpuE8ELNS1_3repE0EEENS1_30default_config_static_selectorELNS0_4arch9wavefront6targetE1EEEvT1_
		.amdhsa_group_segment_fixed_size 10248
		.amdhsa_private_segment_fixed_size 0
		.amdhsa_kernarg_size 136
		.amdhsa_user_sgpr_count 6
		.amdhsa_user_sgpr_private_segment_buffer 1
		.amdhsa_user_sgpr_dispatch_ptr 0
		.amdhsa_user_sgpr_queue_ptr 0
		.amdhsa_user_sgpr_kernarg_segment_ptr 1
		.amdhsa_user_sgpr_dispatch_id 0
		.amdhsa_user_sgpr_flat_scratch_init 0
		.amdhsa_user_sgpr_kernarg_preload_length 0
		.amdhsa_user_sgpr_kernarg_preload_offset 0
		.amdhsa_user_sgpr_private_segment_size 0
		.amdhsa_uses_dynamic_stack 0
		.amdhsa_system_sgpr_private_segment_wavefront_offset 0
		.amdhsa_system_sgpr_workgroup_id_x 1
		.amdhsa_system_sgpr_workgroup_id_y 0
		.amdhsa_system_sgpr_workgroup_id_z 0
		.amdhsa_system_sgpr_workgroup_info 0
		.amdhsa_system_vgpr_workitem_id 0
		.amdhsa_next_free_vgpr 58
		.amdhsa_next_free_sgpr 44
		.amdhsa_accum_offset 60
		.amdhsa_reserve_vcc 1
		.amdhsa_reserve_flat_scratch 0
		.amdhsa_float_round_mode_32 0
		.amdhsa_float_round_mode_16_64 0
		.amdhsa_float_denorm_mode_32 3
		.amdhsa_float_denorm_mode_16_64 3
		.amdhsa_dx10_clamp 1
		.amdhsa_ieee_mode 1
		.amdhsa_fp16_overflow 0
		.amdhsa_tg_split 0
		.amdhsa_exception_fp_ieee_invalid_op 0
		.amdhsa_exception_fp_denorm_src 0
		.amdhsa_exception_fp_ieee_div_zero 0
		.amdhsa_exception_fp_ieee_overflow 0
		.amdhsa_exception_fp_ieee_underflow 0
		.amdhsa_exception_fp_ieee_inexact 0
		.amdhsa_exception_int_div_zero 0
	.end_amdhsa_kernel
	.section	.text._ZN7rocprim17ROCPRIM_400000_NS6detail17trampoline_kernelINS0_14default_configENS1_25partition_config_selectorILNS1_17partition_subalgoE0EjNS0_10empty_typeEbEEZZNS1_14partition_implILS5_0ELb0ES3_jN6thrust23THRUST_200600_302600_NS6detail15normal_iteratorINSA_10device_ptrIjEEEEPS6_SG_NS0_5tupleIJSF_SF_EEENSH_IJSG_SG_EEES6_PlJ7is_evenIjEEEE10hipError_tPvRmT3_T4_T5_T6_T7_T9_mT8_P12ihipStream_tbDpT10_ENKUlT_T0_E_clISt17integral_constantIbLb1EES16_EEDaS11_S12_EUlS11_E_NS1_11comp_targetILNS1_3genE4ELNS1_11target_archE910ELNS1_3gpuE8ELNS1_3repE0EEENS1_30default_config_static_selectorELNS0_4arch9wavefront6targetE1EEEvT1_,"axG",@progbits,_ZN7rocprim17ROCPRIM_400000_NS6detail17trampoline_kernelINS0_14default_configENS1_25partition_config_selectorILNS1_17partition_subalgoE0EjNS0_10empty_typeEbEEZZNS1_14partition_implILS5_0ELb0ES3_jN6thrust23THRUST_200600_302600_NS6detail15normal_iteratorINSA_10device_ptrIjEEEEPS6_SG_NS0_5tupleIJSF_SF_EEENSH_IJSG_SG_EEES6_PlJ7is_evenIjEEEE10hipError_tPvRmT3_T4_T5_T6_T7_T9_mT8_P12ihipStream_tbDpT10_ENKUlT_T0_E_clISt17integral_constantIbLb1EES16_EEDaS11_S12_EUlS11_E_NS1_11comp_targetILNS1_3genE4ELNS1_11target_archE910ELNS1_3gpuE8ELNS1_3repE0EEENS1_30default_config_static_selectorELNS0_4arch9wavefront6targetE1EEEvT1_,comdat
.Lfunc_end2147:
	.size	_ZN7rocprim17ROCPRIM_400000_NS6detail17trampoline_kernelINS0_14default_configENS1_25partition_config_selectorILNS1_17partition_subalgoE0EjNS0_10empty_typeEbEEZZNS1_14partition_implILS5_0ELb0ES3_jN6thrust23THRUST_200600_302600_NS6detail15normal_iteratorINSA_10device_ptrIjEEEEPS6_SG_NS0_5tupleIJSF_SF_EEENSH_IJSG_SG_EEES6_PlJ7is_evenIjEEEE10hipError_tPvRmT3_T4_T5_T6_T7_T9_mT8_P12ihipStream_tbDpT10_ENKUlT_T0_E_clISt17integral_constantIbLb1EES16_EEDaS11_S12_EUlS11_E_NS1_11comp_targetILNS1_3genE4ELNS1_11target_archE910ELNS1_3gpuE8ELNS1_3repE0EEENS1_30default_config_static_selectorELNS0_4arch9wavefront6targetE1EEEvT1_, .Lfunc_end2147-_ZN7rocprim17ROCPRIM_400000_NS6detail17trampoline_kernelINS0_14default_configENS1_25partition_config_selectorILNS1_17partition_subalgoE0EjNS0_10empty_typeEbEEZZNS1_14partition_implILS5_0ELb0ES3_jN6thrust23THRUST_200600_302600_NS6detail15normal_iteratorINSA_10device_ptrIjEEEEPS6_SG_NS0_5tupleIJSF_SF_EEENSH_IJSG_SG_EEES6_PlJ7is_evenIjEEEE10hipError_tPvRmT3_T4_T5_T6_T7_T9_mT8_P12ihipStream_tbDpT10_ENKUlT_T0_E_clISt17integral_constantIbLb1EES16_EEDaS11_S12_EUlS11_E_NS1_11comp_targetILNS1_3genE4ELNS1_11target_archE910ELNS1_3gpuE8ELNS1_3repE0EEENS1_30default_config_static_selectorELNS0_4arch9wavefront6targetE1EEEvT1_
                                        ; -- End function
	.section	.AMDGPU.csdata,"",@progbits
; Kernel info:
; codeLenInByte = 5212
; NumSgprs: 48
; NumVgprs: 58
; NumAgprs: 0
; TotalNumVgprs: 58
; ScratchSize: 0
; MemoryBound: 0
; FloatMode: 240
; IeeeMode: 1
; LDSByteSize: 10248 bytes/workgroup (compile time only)
; SGPRBlocks: 5
; VGPRBlocks: 7
; NumSGPRsForWavesPerEU: 48
; NumVGPRsForWavesPerEU: 58
; AccumOffset: 60
; Occupancy: 6
; WaveLimiterHint : 1
; COMPUTE_PGM_RSRC2:SCRATCH_EN: 0
; COMPUTE_PGM_RSRC2:USER_SGPR: 6
; COMPUTE_PGM_RSRC2:TRAP_HANDLER: 0
; COMPUTE_PGM_RSRC2:TGID_X_EN: 1
; COMPUTE_PGM_RSRC2:TGID_Y_EN: 0
; COMPUTE_PGM_RSRC2:TGID_Z_EN: 0
; COMPUTE_PGM_RSRC2:TIDIG_COMP_CNT: 0
; COMPUTE_PGM_RSRC3_GFX90A:ACCUM_OFFSET: 14
; COMPUTE_PGM_RSRC3_GFX90A:TG_SPLIT: 0
	.section	.text._ZN7rocprim17ROCPRIM_400000_NS6detail17trampoline_kernelINS0_14default_configENS1_25partition_config_selectorILNS1_17partition_subalgoE0EjNS0_10empty_typeEbEEZZNS1_14partition_implILS5_0ELb0ES3_jN6thrust23THRUST_200600_302600_NS6detail15normal_iteratorINSA_10device_ptrIjEEEEPS6_SG_NS0_5tupleIJSF_SF_EEENSH_IJSG_SG_EEES6_PlJ7is_evenIjEEEE10hipError_tPvRmT3_T4_T5_T6_T7_T9_mT8_P12ihipStream_tbDpT10_ENKUlT_T0_E_clISt17integral_constantIbLb1EES16_EEDaS11_S12_EUlS11_E_NS1_11comp_targetILNS1_3genE3ELNS1_11target_archE908ELNS1_3gpuE7ELNS1_3repE0EEENS1_30default_config_static_selectorELNS0_4arch9wavefront6targetE1EEEvT1_,"axG",@progbits,_ZN7rocprim17ROCPRIM_400000_NS6detail17trampoline_kernelINS0_14default_configENS1_25partition_config_selectorILNS1_17partition_subalgoE0EjNS0_10empty_typeEbEEZZNS1_14partition_implILS5_0ELb0ES3_jN6thrust23THRUST_200600_302600_NS6detail15normal_iteratorINSA_10device_ptrIjEEEEPS6_SG_NS0_5tupleIJSF_SF_EEENSH_IJSG_SG_EEES6_PlJ7is_evenIjEEEE10hipError_tPvRmT3_T4_T5_T6_T7_T9_mT8_P12ihipStream_tbDpT10_ENKUlT_T0_E_clISt17integral_constantIbLb1EES16_EEDaS11_S12_EUlS11_E_NS1_11comp_targetILNS1_3genE3ELNS1_11target_archE908ELNS1_3gpuE7ELNS1_3repE0EEENS1_30default_config_static_selectorELNS0_4arch9wavefront6targetE1EEEvT1_,comdat
	.protected	_ZN7rocprim17ROCPRIM_400000_NS6detail17trampoline_kernelINS0_14default_configENS1_25partition_config_selectorILNS1_17partition_subalgoE0EjNS0_10empty_typeEbEEZZNS1_14partition_implILS5_0ELb0ES3_jN6thrust23THRUST_200600_302600_NS6detail15normal_iteratorINSA_10device_ptrIjEEEEPS6_SG_NS0_5tupleIJSF_SF_EEENSH_IJSG_SG_EEES6_PlJ7is_evenIjEEEE10hipError_tPvRmT3_T4_T5_T6_T7_T9_mT8_P12ihipStream_tbDpT10_ENKUlT_T0_E_clISt17integral_constantIbLb1EES16_EEDaS11_S12_EUlS11_E_NS1_11comp_targetILNS1_3genE3ELNS1_11target_archE908ELNS1_3gpuE7ELNS1_3repE0EEENS1_30default_config_static_selectorELNS0_4arch9wavefront6targetE1EEEvT1_ ; -- Begin function _ZN7rocprim17ROCPRIM_400000_NS6detail17trampoline_kernelINS0_14default_configENS1_25partition_config_selectorILNS1_17partition_subalgoE0EjNS0_10empty_typeEbEEZZNS1_14partition_implILS5_0ELb0ES3_jN6thrust23THRUST_200600_302600_NS6detail15normal_iteratorINSA_10device_ptrIjEEEEPS6_SG_NS0_5tupleIJSF_SF_EEENSH_IJSG_SG_EEES6_PlJ7is_evenIjEEEE10hipError_tPvRmT3_T4_T5_T6_T7_T9_mT8_P12ihipStream_tbDpT10_ENKUlT_T0_E_clISt17integral_constantIbLb1EES16_EEDaS11_S12_EUlS11_E_NS1_11comp_targetILNS1_3genE3ELNS1_11target_archE908ELNS1_3gpuE7ELNS1_3repE0EEENS1_30default_config_static_selectorELNS0_4arch9wavefront6targetE1EEEvT1_
	.globl	_ZN7rocprim17ROCPRIM_400000_NS6detail17trampoline_kernelINS0_14default_configENS1_25partition_config_selectorILNS1_17partition_subalgoE0EjNS0_10empty_typeEbEEZZNS1_14partition_implILS5_0ELb0ES3_jN6thrust23THRUST_200600_302600_NS6detail15normal_iteratorINSA_10device_ptrIjEEEEPS6_SG_NS0_5tupleIJSF_SF_EEENSH_IJSG_SG_EEES6_PlJ7is_evenIjEEEE10hipError_tPvRmT3_T4_T5_T6_T7_T9_mT8_P12ihipStream_tbDpT10_ENKUlT_T0_E_clISt17integral_constantIbLb1EES16_EEDaS11_S12_EUlS11_E_NS1_11comp_targetILNS1_3genE3ELNS1_11target_archE908ELNS1_3gpuE7ELNS1_3repE0EEENS1_30default_config_static_selectorELNS0_4arch9wavefront6targetE1EEEvT1_
	.p2align	8
	.type	_ZN7rocprim17ROCPRIM_400000_NS6detail17trampoline_kernelINS0_14default_configENS1_25partition_config_selectorILNS1_17partition_subalgoE0EjNS0_10empty_typeEbEEZZNS1_14partition_implILS5_0ELb0ES3_jN6thrust23THRUST_200600_302600_NS6detail15normal_iteratorINSA_10device_ptrIjEEEEPS6_SG_NS0_5tupleIJSF_SF_EEENSH_IJSG_SG_EEES6_PlJ7is_evenIjEEEE10hipError_tPvRmT3_T4_T5_T6_T7_T9_mT8_P12ihipStream_tbDpT10_ENKUlT_T0_E_clISt17integral_constantIbLb1EES16_EEDaS11_S12_EUlS11_E_NS1_11comp_targetILNS1_3genE3ELNS1_11target_archE908ELNS1_3gpuE7ELNS1_3repE0EEENS1_30default_config_static_selectorELNS0_4arch9wavefront6targetE1EEEvT1_,@function
_ZN7rocprim17ROCPRIM_400000_NS6detail17trampoline_kernelINS0_14default_configENS1_25partition_config_selectorILNS1_17partition_subalgoE0EjNS0_10empty_typeEbEEZZNS1_14partition_implILS5_0ELb0ES3_jN6thrust23THRUST_200600_302600_NS6detail15normal_iteratorINSA_10device_ptrIjEEEEPS6_SG_NS0_5tupleIJSF_SF_EEENSH_IJSG_SG_EEES6_PlJ7is_evenIjEEEE10hipError_tPvRmT3_T4_T5_T6_T7_T9_mT8_P12ihipStream_tbDpT10_ENKUlT_T0_E_clISt17integral_constantIbLb1EES16_EEDaS11_S12_EUlS11_E_NS1_11comp_targetILNS1_3genE3ELNS1_11target_archE908ELNS1_3gpuE7ELNS1_3repE0EEENS1_30default_config_static_selectorELNS0_4arch9wavefront6targetE1EEEvT1_: ; @_ZN7rocprim17ROCPRIM_400000_NS6detail17trampoline_kernelINS0_14default_configENS1_25partition_config_selectorILNS1_17partition_subalgoE0EjNS0_10empty_typeEbEEZZNS1_14partition_implILS5_0ELb0ES3_jN6thrust23THRUST_200600_302600_NS6detail15normal_iteratorINSA_10device_ptrIjEEEEPS6_SG_NS0_5tupleIJSF_SF_EEENSH_IJSG_SG_EEES6_PlJ7is_evenIjEEEE10hipError_tPvRmT3_T4_T5_T6_T7_T9_mT8_P12ihipStream_tbDpT10_ENKUlT_T0_E_clISt17integral_constantIbLb1EES16_EEDaS11_S12_EUlS11_E_NS1_11comp_targetILNS1_3genE3ELNS1_11target_archE908ELNS1_3gpuE7ELNS1_3repE0EEENS1_30default_config_static_selectorELNS0_4arch9wavefront6targetE1EEEvT1_
; %bb.0:
	.section	.rodata,"a",@progbits
	.p2align	6, 0x0
	.amdhsa_kernel _ZN7rocprim17ROCPRIM_400000_NS6detail17trampoline_kernelINS0_14default_configENS1_25partition_config_selectorILNS1_17partition_subalgoE0EjNS0_10empty_typeEbEEZZNS1_14partition_implILS5_0ELb0ES3_jN6thrust23THRUST_200600_302600_NS6detail15normal_iteratorINSA_10device_ptrIjEEEEPS6_SG_NS0_5tupleIJSF_SF_EEENSH_IJSG_SG_EEES6_PlJ7is_evenIjEEEE10hipError_tPvRmT3_T4_T5_T6_T7_T9_mT8_P12ihipStream_tbDpT10_ENKUlT_T0_E_clISt17integral_constantIbLb1EES16_EEDaS11_S12_EUlS11_E_NS1_11comp_targetILNS1_3genE3ELNS1_11target_archE908ELNS1_3gpuE7ELNS1_3repE0EEENS1_30default_config_static_selectorELNS0_4arch9wavefront6targetE1EEEvT1_
		.amdhsa_group_segment_fixed_size 0
		.amdhsa_private_segment_fixed_size 0
		.amdhsa_kernarg_size 136
		.amdhsa_user_sgpr_count 6
		.amdhsa_user_sgpr_private_segment_buffer 1
		.amdhsa_user_sgpr_dispatch_ptr 0
		.amdhsa_user_sgpr_queue_ptr 0
		.amdhsa_user_sgpr_kernarg_segment_ptr 1
		.amdhsa_user_sgpr_dispatch_id 0
		.amdhsa_user_sgpr_flat_scratch_init 0
		.amdhsa_user_sgpr_kernarg_preload_length 0
		.amdhsa_user_sgpr_kernarg_preload_offset 0
		.amdhsa_user_sgpr_private_segment_size 0
		.amdhsa_uses_dynamic_stack 0
		.amdhsa_system_sgpr_private_segment_wavefront_offset 0
		.amdhsa_system_sgpr_workgroup_id_x 1
		.amdhsa_system_sgpr_workgroup_id_y 0
		.amdhsa_system_sgpr_workgroup_id_z 0
		.amdhsa_system_sgpr_workgroup_info 0
		.amdhsa_system_vgpr_workitem_id 0
		.amdhsa_next_free_vgpr 1
		.amdhsa_next_free_sgpr 0
		.amdhsa_accum_offset 4
		.amdhsa_reserve_vcc 0
		.amdhsa_reserve_flat_scratch 0
		.amdhsa_float_round_mode_32 0
		.amdhsa_float_round_mode_16_64 0
		.amdhsa_float_denorm_mode_32 3
		.amdhsa_float_denorm_mode_16_64 3
		.amdhsa_dx10_clamp 1
		.amdhsa_ieee_mode 1
		.amdhsa_fp16_overflow 0
		.amdhsa_tg_split 0
		.amdhsa_exception_fp_ieee_invalid_op 0
		.amdhsa_exception_fp_denorm_src 0
		.amdhsa_exception_fp_ieee_div_zero 0
		.amdhsa_exception_fp_ieee_overflow 0
		.amdhsa_exception_fp_ieee_underflow 0
		.amdhsa_exception_fp_ieee_inexact 0
		.amdhsa_exception_int_div_zero 0
	.end_amdhsa_kernel
	.section	.text._ZN7rocprim17ROCPRIM_400000_NS6detail17trampoline_kernelINS0_14default_configENS1_25partition_config_selectorILNS1_17partition_subalgoE0EjNS0_10empty_typeEbEEZZNS1_14partition_implILS5_0ELb0ES3_jN6thrust23THRUST_200600_302600_NS6detail15normal_iteratorINSA_10device_ptrIjEEEEPS6_SG_NS0_5tupleIJSF_SF_EEENSH_IJSG_SG_EEES6_PlJ7is_evenIjEEEE10hipError_tPvRmT3_T4_T5_T6_T7_T9_mT8_P12ihipStream_tbDpT10_ENKUlT_T0_E_clISt17integral_constantIbLb1EES16_EEDaS11_S12_EUlS11_E_NS1_11comp_targetILNS1_3genE3ELNS1_11target_archE908ELNS1_3gpuE7ELNS1_3repE0EEENS1_30default_config_static_selectorELNS0_4arch9wavefront6targetE1EEEvT1_,"axG",@progbits,_ZN7rocprim17ROCPRIM_400000_NS6detail17trampoline_kernelINS0_14default_configENS1_25partition_config_selectorILNS1_17partition_subalgoE0EjNS0_10empty_typeEbEEZZNS1_14partition_implILS5_0ELb0ES3_jN6thrust23THRUST_200600_302600_NS6detail15normal_iteratorINSA_10device_ptrIjEEEEPS6_SG_NS0_5tupleIJSF_SF_EEENSH_IJSG_SG_EEES6_PlJ7is_evenIjEEEE10hipError_tPvRmT3_T4_T5_T6_T7_T9_mT8_P12ihipStream_tbDpT10_ENKUlT_T0_E_clISt17integral_constantIbLb1EES16_EEDaS11_S12_EUlS11_E_NS1_11comp_targetILNS1_3genE3ELNS1_11target_archE908ELNS1_3gpuE7ELNS1_3repE0EEENS1_30default_config_static_selectorELNS0_4arch9wavefront6targetE1EEEvT1_,comdat
.Lfunc_end2148:
	.size	_ZN7rocprim17ROCPRIM_400000_NS6detail17trampoline_kernelINS0_14default_configENS1_25partition_config_selectorILNS1_17partition_subalgoE0EjNS0_10empty_typeEbEEZZNS1_14partition_implILS5_0ELb0ES3_jN6thrust23THRUST_200600_302600_NS6detail15normal_iteratorINSA_10device_ptrIjEEEEPS6_SG_NS0_5tupleIJSF_SF_EEENSH_IJSG_SG_EEES6_PlJ7is_evenIjEEEE10hipError_tPvRmT3_T4_T5_T6_T7_T9_mT8_P12ihipStream_tbDpT10_ENKUlT_T0_E_clISt17integral_constantIbLb1EES16_EEDaS11_S12_EUlS11_E_NS1_11comp_targetILNS1_3genE3ELNS1_11target_archE908ELNS1_3gpuE7ELNS1_3repE0EEENS1_30default_config_static_selectorELNS0_4arch9wavefront6targetE1EEEvT1_, .Lfunc_end2148-_ZN7rocprim17ROCPRIM_400000_NS6detail17trampoline_kernelINS0_14default_configENS1_25partition_config_selectorILNS1_17partition_subalgoE0EjNS0_10empty_typeEbEEZZNS1_14partition_implILS5_0ELb0ES3_jN6thrust23THRUST_200600_302600_NS6detail15normal_iteratorINSA_10device_ptrIjEEEEPS6_SG_NS0_5tupleIJSF_SF_EEENSH_IJSG_SG_EEES6_PlJ7is_evenIjEEEE10hipError_tPvRmT3_T4_T5_T6_T7_T9_mT8_P12ihipStream_tbDpT10_ENKUlT_T0_E_clISt17integral_constantIbLb1EES16_EEDaS11_S12_EUlS11_E_NS1_11comp_targetILNS1_3genE3ELNS1_11target_archE908ELNS1_3gpuE7ELNS1_3repE0EEENS1_30default_config_static_selectorELNS0_4arch9wavefront6targetE1EEEvT1_
                                        ; -- End function
	.section	.AMDGPU.csdata,"",@progbits
; Kernel info:
; codeLenInByte = 0
; NumSgprs: 4
; NumVgprs: 0
; NumAgprs: 0
; TotalNumVgprs: 0
; ScratchSize: 0
; MemoryBound: 0
; FloatMode: 240
; IeeeMode: 1
; LDSByteSize: 0 bytes/workgroup (compile time only)
; SGPRBlocks: 0
; VGPRBlocks: 0
; NumSGPRsForWavesPerEU: 4
; NumVGPRsForWavesPerEU: 1
; AccumOffset: 4
; Occupancy: 8
; WaveLimiterHint : 0
; COMPUTE_PGM_RSRC2:SCRATCH_EN: 0
; COMPUTE_PGM_RSRC2:USER_SGPR: 6
; COMPUTE_PGM_RSRC2:TRAP_HANDLER: 0
; COMPUTE_PGM_RSRC2:TGID_X_EN: 1
; COMPUTE_PGM_RSRC2:TGID_Y_EN: 0
; COMPUTE_PGM_RSRC2:TGID_Z_EN: 0
; COMPUTE_PGM_RSRC2:TIDIG_COMP_CNT: 0
; COMPUTE_PGM_RSRC3_GFX90A:ACCUM_OFFSET: 0
; COMPUTE_PGM_RSRC3_GFX90A:TG_SPLIT: 0
	.section	.text._ZN7rocprim17ROCPRIM_400000_NS6detail17trampoline_kernelINS0_14default_configENS1_25partition_config_selectorILNS1_17partition_subalgoE0EjNS0_10empty_typeEbEEZZNS1_14partition_implILS5_0ELb0ES3_jN6thrust23THRUST_200600_302600_NS6detail15normal_iteratorINSA_10device_ptrIjEEEEPS6_SG_NS0_5tupleIJSF_SF_EEENSH_IJSG_SG_EEES6_PlJ7is_evenIjEEEE10hipError_tPvRmT3_T4_T5_T6_T7_T9_mT8_P12ihipStream_tbDpT10_ENKUlT_T0_E_clISt17integral_constantIbLb1EES16_EEDaS11_S12_EUlS11_E_NS1_11comp_targetILNS1_3genE2ELNS1_11target_archE906ELNS1_3gpuE6ELNS1_3repE0EEENS1_30default_config_static_selectorELNS0_4arch9wavefront6targetE1EEEvT1_,"axG",@progbits,_ZN7rocprim17ROCPRIM_400000_NS6detail17trampoline_kernelINS0_14default_configENS1_25partition_config_selectorILNS1_17partition_subalgoE0EjNS0_10empty_typeEbEEZZNS1_14partition_implILS5_0ELb0ES3_jN6thrust23THRUST_200600_302600_NS6detail15normal_iteratorINSA_10device_ptrIjEEEEPS6_SG_NS0_5tupleIJSF_SF_EEENSH_IJSG_SG_EEES6_PlJ7is_evenIjEEEE10hipError_tPvRmT3_T4_T5_T6_T7_T9_mT8_P12ihipStream_tbDpT10_ENKUlT_T0_E_clISt17integral_constantIbLb1EES16_EEDaS11_S12_EUlS11_E_NS1_11comp_targetILNS1_3genE2ELNS1_11target_archE906ELNS1_3gpuE6ELNS1_3repE0EEENS1_30default_config_static_selectorELNS0_4arch9wavefront6targetE1EEEvT1_,comdat
	.protected	_ZN7rocprim17ROCPRIM_400000_NS6detail17trampoline_kernelINS0_14default_configENS1_25partition_config_selectorILNS1_17partition_subalgoE0EjNS0_10empty_typeEbEEZZNS1_14partition_implILS5_0ELb0ES3_jN6thrust23THRUST_200600_302600_NS6detail15normal_iteratorINSA_10device_ptrIjEEEEPS6_SG_NS0_5tupleIJSF_SF_EEENSH_IJSG_SG_EEES6_PlJ7is_evenIjEEEE10hipError_tPvRmT3_T4_T5_T6_T7_T9_mT8_P12ihipStream_tbDpT10_ENKUlT_T0_E_clISt17integral_constantIbLb1EES16_EEDaS11_S12_EUlS11_E_NS1_11comp_targetILNS1_3genE2ELNS1_11target_archE906ELNS1_3gpuE6ELNS1_3repE0EEENS1_30default_config_static_selectorELNS0_4arch9wavefront6targetE1EEEvT1_ ; -- Begin function _ZN7rocprim17ROCPRIM_400000_NS6detail17trampoline_kernelINS0_14default_configENS1_25partition_config_selectorILNS1_17partition_subalgoE0EjNS0_10empty_typeEbEEZZNS1_14partition_implILS5_0ELb0ES3_jN6thrust23THRUST_200600_302600_NS6detail15normal_iteratorINSA_10device_ptrIjEEEEPS6_SG_NS0_5tupleIJSF_SF_EEENSH_IJSG_SG_EEES6_PlJ7is_evenIjEEEE10hipError_tPvRmT3_T4_T5_T6_T7_T9_mT8_P12ihipStream_tbDpT10_ENKUlT_T0_E_clISt17integral_constantIbLb1EES16_EEDaS11_S12_EUlS11_E_NS1_11comp_targetILNS1_3genE2ELNS1_11target_archE906ELNS1_3gpuE6ELNS1_3repE0EEENS1_30default_config_static_selectorELNS0_4arch9wavefront6targetE1EEEvT1_
	.globl	_ZN7rocprim17ROCPRIM_400000_NS6detail17trampoline_kernelINS0_14default_configENS1_25partition_config_selectorILNS1_17partition_subalgoE0EjNS0_10empty_typeEbEEZZNS1_14partition_implILS5_0ELb0ES3_jN6thrust23THRUST_200600_302600_NS6detail15normal_iteratorINSA_10device_ptrIjEEEEPS6_SG_NS0_5tupleIJSF_SF_EEENSH_IJSG_SG_EEES6_PlJ7is_evenIjEEEE10hipError_tPvRmT3_T4_T5_T6_T7_T9_mT8_P12ihipStream_tbDpT10_ENKUlT_T0_E_clISt17integral_constantIbLb1EES16_EEDaS11_S12_EUlS11_E_NS1_11comp_targetILNS1_3genE2ELNS1_11target_archE906ELNS1_3gpuE6ELNS1_3repE0EEENS1_30default_config_static_selectorELNS0_4arch9wavefront6targetE1EEEvT1_
	.p2align	8
	.type	_ZN7rocprim17ROCPRIM_400000_NS6detail17trampoline_kernelINS0_14default_configENS1_25partition_config_selectorILNS1_17partition_subalgoE0EjNS0_10empty_typeEbEEZZNS1_14partition_implILS5_0ELb0ES3_jN6thrust23THRUST_200600_302600_NS6detail15normal_iteratorINSA_10device_ptrIjEEEEPS6_SG_NS0_5tupleIJSF_SF_EEENSH_IJSG_SG_EEES6_PlJ7is_evenIjEEEE10hipError_tPvRmT3_T4_T5_T6_T7_T9_mT8_P12ihipStream_tbDpT10_ENKUlT_T0_E_clISt17integral_constantIbLb1EES16_EEDaS11_S12_EUlS11_E_NS1_11comp_targetILNS1_3genE2ELNS1_11target_archE906ELNS1_3gpuE6ELNS1_3repE0EEENS1_30default_config_static_selectorELNS0_4arch9wavefront6targetE1EEEvT1_,@function
_ZN7rocprim17ROCPRIM_400000_NS6detail17trampoline_kernelINS0_14default_configENS1_25partition_config_selectorILNS1_17partition_subalgoE0EjNS0_10empty_typeEbEEZZNS1_14partition_implILS5_0ELb0ES3_jN6thrust23THRUST_200600_302600_NS6detail15normal_iteratorINSA_10device_ptrIjEEEEPS6_SG_NS0_5tupleIJSF_SF_EEENSH_IJSG_SG_EEES6_PlJ7is_evenIjEEEE10hipError_tPvRmT3_T4_T5_T6_T7_T9_mT8_P12ihipStream_tbDpT10_ENKUlT_T0_E_clISt17integral_constantIbLb1EES16_EEDaS11_S12_EUlS11_E_NS1_11comp_targetILNS1_3genE2ELNS1_11target_archE906ELNS1_3gpuE6ELNS1_3repE0EEENS1_30default_config_static_selectorELNS0_4arch9wavefront6targetE1EEEvT1_: ; @_ZN7rocprim17ROCPRIM_400000_NS6detail17trampoline_kernelINS0_14default_configENS1_25partition_config_selectorILNS1_17partition_subalgoE0EjNS0_10empty_typeEbEEZZNS1_14partition_implILS5_0ELb0ES3_jN6thrust23THRUST_200600_302600_NS6detail15normal_iteratorINSA_10device_ptrIjEEEEPS6_SG_NS0_5tupleIJSF_SF_EEENSH_IJSG_SG_EEES6_PlJ7is_evenIjEEEE10hipError_tPvRmT3_T4_T5_T6_T7_T9_mT8_P12ihipStream_tbDpT10_ENKUlT_T0_E_clISt17integral_constantIbLb1EES16_EEDaS11_S12_EUlS11_E_NS1_11comp_targetILNS1_3genE2ELNS1_11target_archE906ELNS1_3gpuE6ELNS1_3repE0EEENS1_30default_config_static_selectorELNS0_4arch9wavefront6targetE1EEEvT1_
; %bb.0:
	.section	.rodata,"a",@progbits
	.p2align	6, 0x0
	.amdhsa_kernel _ZN7rocprim17ROCPRIM_400000_NS6detail17trampoline_kernelINS0_14default_configENS1_25partition_config_selectorILNS1_17partition_subalgoE0EjNS0_10empty_typeEbEEZZNS1_14partition_implILS5_0ELb0ES3_jN6thrust23THRUST_200600_302600_NS6detail15normal_iteratorINSA_10device_ptrIjEEEEPS6_SG_NS0_5tupleIJSF_SF_EEENSH_IJSG_SG_EEES6_PlJ7is_evenIjEEEE10hipError_tPvRmT3_T4_T5_T6_T7_T9_mT8_P12ihipStream_tbDpT10_ENKUlT_T0_E_clISt17integral_constantIbLb1EES16_EEDaS11_S12_EUlS11_E_NS1_11comp_targetILNS1_3genE2ELNS1_11target_archE906ELNS1_3gpuE6ELNS1_3repE0EEENS1_30default_config_static_selectorELNS0_4arch9wavefront6targetE1EEEvT1_
		.amdhsa_group_segment_fixed_size 0
		.amdhsa_private_segment_fixed_size 0
		.amdhsa_kernarg_size 136
		.amdhsa_user_sgpr_count 6
		.amdhsa_user_sgpr_private_segment_buffer 1
		.amdhsa_user_sgpr_dispatch_ptr 0
		.amdhsa_user_sgpr_queue_ptr 0
		.amdhsa_user_sgpr_kernarg_segment_ptr 1
		.amdhsa_user_sgpr_dispatch_id 0
		.amdhsa_user_sgpr_flat_scratch_init 0
		.amdhsa_user_sgpr_kernarg_preload_length 0
		.amdhsa_user_sgpr_kernarg_preload_offset 0
		.amdhsa_user_sgpr_private_segment_size 0
		.amdhsa_uses_dynamic_stack 0
		.amdhsa_system_sgpr_private_segment_wavefront_offset 0
		.amdhsa_system_sgpr_workgroup_id_x 1
		.amdhsa_system_sgpr_workgroup_id_y 0
		.amdhsa_system_sgpr_workgroup_id_z 0
		.amdhsa_system_sgpr_workgroup_info 0
		.amdhsa_system_vgpr_workitem_id 0
		.amdhsa_next_free_vgpr 1
		.amdhsa_next_free_sgpr 0
		.amdhsa_accum_offset 4
		.amdhsa_reserve_vcc 0
		.amdhsa_reserve_flat_scratch 0
		.amdhsa_float_round_mode_32 0
		.amdhsa_float_round_mode_16_64 0
		.amdhsa_float_denorm_mode_32 3
		.amdhsa_float_denorm_mode_16_64 3
		.amdhsa_dx10_clamp 1
		.amdhsa_ieee_mode 1
		.amdhsa_fp16_overflow 0
		.amdhsa_tg_split 0
		.amdhsa_exception_fp_ieee_invalid_op 0
		.amdhsa_exception_fp_denorm_src 0
		.amdhsa_exception_fp_ieee_div_zero 0
		.amdhsa_exception_fp_ieee_overflow 0
		.amdhsa_exception_fp_ieee_underflow 0
		.amdhsa_exception_fp_ieee_inexact 0
		.amdhsa_exception_int_div_zero 0
	.end_amdhsa_kernel
	.section	.text._ZN7rocprim17ROCPRIM_400000_NS6detail17trampoline_kernelINS0_14default_configENS1_25partition_config_selectorILNS1_17partition_subalgoE0EjNS0_10empty_typeEbEEZZNS1_14partition_implILS5_0ELb0ES3_jN6thrust23THRUST_200600_302600_NS6detail15normal_iteratorINSA_10device_ptrIjEEEEPS6_SG_NS0_5tupleIJSF_SF_EEENSH_IJSG_SG_EEES6_PlJ7is_evenIjEEEE10hipError_tPvRmT3_T4_T5_T6_T7_T9_mT8_P12ihipStream_tbDpT10_ENKUlT_T0_E_clISt17integral_constantIbLb1EES16_EEDaS11_S12_EUlS11_E_NS1_11comp_targetILNS1_3genE2ELNS1_11target_archE906ELNS1_3gpuE6ELNS1_3repE0EEENS1_30default_config_static_selectorELNS0_4arch9wavefront6targetE1EEEvT1_,"axG",@progbits,_ZN7rocprim17ROCPRIM_400000_NS6detail17trampoline_kernelINS0_14default_configENS1_25partition_config_selectorILNS1_17partition_subalgoE0EjNS0_10empty_typeEbEEZZNS1_14partition_implILS5_0ELb0ES3_jN6thrust23THRUST_200600_302600_NS6detail15normal_iteratorINSA_10device_ptrIjEEEEPS6_SG_NS0_5tupleIJSF_SF_EEENSH_IJSG_SG_EEES6_PlJ7is_evenIjEEEE10hipError_tPvRmT3_T4_T5_T6_T7_T9_mT8_P12ihipStream_tbDpT10_ENKUlT_T0_E_clISt17integral_constantIbLb1EES16_EEDaS11_S12_EUlS11_E_NS1_11comp_targetILNS1_3genE2ELNS1_11target_archE906ELNS1_3gpuE6ELNS1_3repE0EEENS1_30default_config_static_selectorELNS0_4arch9wavefront6targetE1EEEvT1_,comdat
.Lfunc_end2149:
	.size	_ZN7rocprim17ROCPRIM_400000_NS6detail17trampoline_kernelINS0_14default_configENS1_25partition_config_selectorILNS1_17partition_subalgoE0EjNS0_10empty_typeEbEEZZNS1_14partition_implILS5_0ELb0ES3_jN6thrust23THRUST_200600_302600_NS6detail15normal_iteratorINSA_10device_ptrIjEEEEPS6_SG_NS0_5tupleIJSF_SF_EEENSH_IJSG_SG_EEES6_PlJ7is_evenIjEEEE10hipError_tPvRmT3_T4_T5_T6_T7_T9_mT8_P12ihipStream_tbDpT10_ENKUlT_T0_E_clISt17integral_constantIbLb1EES16_EEDaS11_S12_EUlS11_E_NS1_11comp_targetILNS1_3genE2ELNS1_11target_archE906ELNS1_3gpuE6ELNS1_3repE0EEENS1_30default_config_static_selectorELNS0_4arch9wavefront6targetE1EEEvT1_, .Lfunc_end2149-_ZN7rocprim17ROCPRIM_400000_NS6detail17trampoline_kernelINS0_14default_configENS1_25partition_config_selectorILNS1_17partition_subalgoE0EjNS0_10empty_typeEbEEZZNS1_14partition_implILS5_0ELb0ES3_jN6thrust23THRUST_200600_302600_NS6detail15normal_iteratorINSA_10device_ptrIjEEEEPS6_SG_NS0_5tupleIJSF_SF_EEENSH_IJSG_SG_EEES6_PlJ7is_evenIjEEEE10hipError_tPvRmT3_T4_T5_T6_T7_T9_mT8_P12ihipStream_tbDpT10_ENKUlT_T0_E_clISt17integral_constantIbLb1EES16_EEDaS11_S12_EUlS11_E_NS1_11comp_targetILNS1_3genE2ELNS1_11target_archE906ELNS1_3gpuE6ELNS1_3repE0EEENS1_30default_config_static_selectorELNS0_4arch9wavefront6targetE1EEEvT1_
                                        ; -- End function
	.section	.AMDGPU.csdata,"",@progbits
; Kernel info:
; codeLenInByte = 0
; NumSgprs: 4
; NumVgprs: 0
; NumAgprs: 0
; TotalNumVgprs: 0
; ScratchSize: 0
; MemoryBound: 0
; FloatMode: 240
; IeeeMode: 1
; LDSByteSize: 0 bytes/workgroup (compile time only)
; SGPRBlocks: 0
; VGPRBlocks: 0
; NumSGPRsForWavesPerEU: 4
; NumVGPRsForWavesPerEU: 1
; AccumOffset: 4
; Occupancy: 8
; WaveLimiterHint : 0
; COMPUTE_PGM_RSRC2:SCRATCH_EN: 0
; COMPUTE_PGM_RSRC2:USER_SGPR: 6
; COMPUTE_PGM_RSRC2:TRAP_HANDLER: 0
; COMPUTE_PGM_RSRC2:TGID_X_EN: 1
; COMPUTE_PGM_RSRC2:TGID_Y_EN: 0
; COMPUTE_PGM_RSRC2:TGID_Z_EN: 0
; COMPUTE_PGM_RSRC2:TIDIG_COMP_CNT: 0
; COMPUTE_PGM_RSRC3_GFX90A:ACCUM_OFFSET: 0
; COMPUTE_PGM_RSRC3_GFX90A:TG_SPLIT: 0
	.section	.text._ZN7rocprim17ROCPRIM_400000_NS6detail17trampoline_kernelINS0_14default_configENS1_25partition_config_selectorILNS1_17partition_subalgoE0EjNS0_10empty_typeEbEEZZNS1_14partition_implILS5_0ELb0ES3_jN6thrust23THRUST_200600_302600_NS6detail15normal_iteratorINSA_10device_ptrIjEEEEPS6_SG_NS0_5tupleIJSF_SF_EEENSH_IJSG_SG_EEES6_PlJ7is_evenIjEEEE10hipError_tPvRmT3_T4_T5_T6_T7_T9_mT8_P12ihipStream_tbDpT10_ENKUlT_T0_E_clISt17integral_constantIbLb1EES16_EEDaS11_S12_EUlS11_E_NS1_11comp_targetILNS1_3genE10ELNS1_11target_archE1200ELNS1_3gpuE4ELNS1_3repE0EEENS1_30default_config_static_selectorELNS0_4arch9wavefront6targetE1EEEvT1_,"axG",@progbits,_ZN7rocprim17ROCPRIM_400000_NS6detail17trampoline_kernelINS0_14default_configENS1_25partition_config_selectorILNS1_17partition_subalgoE0EjNS0_10empty_typeEbEEZZNS1_14partition_implILS5_0ELb0ES3_jN6thrust23THRUST_200600_302600_NS6detail15normal_iteratorINSA_10device_ptrIjEEEEPS6_SG_NS0_5tupleIJSF_SF_EEENSH_IJSG_SG_EEES6_PlJ7is_evenIjEEEE10hipError_tPvRmT3_T4_T5_T6_T7_T9_mT8_P12ihipStream_tbDpT10_ENKUlT_T0_E_clISt17integral_constantIbLb1EES16_EEDaS11_S12_EUlS11_E_NS1_11comp_targetILNS1_3genE10ELNS1_11target_archE1200ELNS1_3gpuE4ELNS1_3repE0EEENS1_30default_config_static_selectorELNS0_4arch9wavefront6targetE1EEEvT1_,comdat
	.protected	_ZN7rocprim17ROCPRIM_400000_NS6detail17trampoline_kernelINS0_14default_configENS1_25partition_config_selectorILNS1_17partition_subalgoE0EjNS0_10empty_typeEbEEZZNS1_14partition_implILS5_0ELb0ES3_jN6thrust23THRUST_200600_302600_NS6detail15normal_iteratorINSA_10device_ptrIjEEEEPS6_SG_NS0_5tupleIJSF_SF_EEENSH_IJSG_SG_EEES6_PlJ7is_evenIjEEEE10hipError_tPvRmT3_T4_T5_T6_T7_T9_mT8_P12ihipStream_tbDpT10_ENKUlT_T0_E_clISt17integral_constantIbLb1EES16_EEDaS11_S12_EUlS11_E_NS1_11comp_targetILNS1_3genE10ELNS1_11target_archE1200ELNS1_3gpuE4ELNS1_3repE0EEENS1_30default_config_static_selectorELNS0_4arch9wavefront6targetE1EEEvT1_ ; -- Begin function _ZN7rocprim17ROCPRIM_400000_NS6detail17trampoline_kernelINS0_14default_configENS1_25partition_config_selectorILNS1_17partition_subalgoE0EjNS0_10empty_typeEbEEZZNS1_14partition_implILS5_0ELb0ES3_jN6thrust23THRUST_200600_302600_NS6detail15normal_iteratorINSA_10device_ptrIjEEEEPS6_SG_NS0_5tupleIJSF_SF_EEENSH_IJSG_SG_EEES6_PlJ7is_evenIjEEEE10hipError_tPvRmT3_T4_T5_T6_T7_T9_mT8_P12ihipStream_tbDpT10_ENKUlT_T0_E_clISt17integral_constantIbLb1EES16_EEDaS11_S12_EUlS11_E_NS1_11comp_targetILNS1_3genE10ELNS1_11target_archE1200ELNS1_3gpuE4ELNS1_3repE0EEENS1_30default_config_static_selectorELNS0_4arch9wavefront6targetE1EEEvT1_
	.globl	_ZN7rocprim17ROCPRIM_400000_NS6detail17trampoline_kernelINS0_14default_configENS1_25partition_config_selectorILNS1_17partition_subalgoE0EjNS0_10empty_typeEbEEZZNS1_14partition_implILS5_0ELb0ES3_jN6thrust23THRUST_200600_302600_NS6detail15normal_iteratorINSA_10device_ptrIjEEEEPS6_SG_NS0_5tupleIJSF_SF_EEENSH_IJSG_SG_EEES6_PlJ7is_evenIjEEEE10hipError_tPvRmT3_T4_T5_T6_T7_T9_mT8_P12ihipStream_tbDpT10_ENKUlT_T0_E_clISt17integral_constantIbLb1EES16_EEDaS11_S12_EUlS11_E_NS1_11comp_targetILNS1_3genE10ELNS1_11target_archE1200ELNS1_3gpuE4ELNS1_3repE0EEENS1_30default_config_static_selectorELNS0_4arch9wavefront6targetE1EEEvT1_
	.p2align	8
	.type	_ZN7rocprim17ROCPRIM_400000_NS6detail17trampoline_kernelINS0_14default_configENS1_25partition_config_selectorILNS1_17partition_subalgoE0EjNS0_10empty_typeEbEEZZNS1_14partition_implILS5_0ELb0ES3_jN6thrust23THRUST_200600_302600_NS6detail15normal_iteratorINSA_10device_ptrIjEEEEPS6_SG_NS0_5tupleIJSF_SF_EEENSH_IJSG_SG_EEES6_PlJ7is_evenIjEEEE10hipError_tPvRmT3_T4_T5_T6_T7_T9_mT8_P12ihipStream_tbDpT10_ENKUlT_T0_E_clISt17integral_constantIbLb1EES16_EEDaS11_S12_EUlS11_E_NS1_11comp_targetILNS1_3genE10ELNS1_11target_archE1200ELNS1_3gpuE4ELNS1_3repE0EEENS1_30default_config_static_selectorELNS0_4arch9wavefront6targetE1EEEvT1_,@function
_ZN7rocprim17ROCPRIM_400000_NS6detail17trampoline_kernelINS0_14default_configENS1_25partition_config_selectorILNS1_17partition_subalgoE0EjNS0_10empty_typeEbEEZZNS1_14partition_implILS5_0ELb0ES3_jN6thrust23THRUST_200600_302600_NS6detail15normal_iteratorINSA_10device_ptrIjEEEEPS6_SG_NS0_5tupleIJSF_SF_EEENSH_IJSG_SG_EEES6_PlJ7is_evenIjEEEE10hipError_tPvRmT3_T4_T5_T6_T7_T9_mT8_P12ihipStream_tbDpT10_ENKUlT_T0_E_clISt17integral_constantIbLb1EES16_EEDaS11_S12_EUlS11_E_NS1_11comp_targetILNS1_3genE10ELNS1_11target_archE1200ELNS1_3gpuE4ELNS1_3repE0EEENS1_30default_config_static_selectorELNS0_4arch9wavefront6targetE1EEEvT1_: ; @_ZN7rocprim17ROCPRIM_400000_NS6detail17trampoline_kernelINS0_14default_configENS1_25partition_config_selectorILNS1_17partition_subalgoE0EjNS0_10empty_typeEbEEZZNS1_14partition_implILS5_0ELb0ES3_jN6thrust23THRUST_200600_302600_NS6detail15normal_iteratorINSA_10device_ptrIjEEEEPS6_SG_NS0_5tupleIJSF_SF_EEENSH_IJSG_SG_EEES6_PlJ7is_evenIjEEEE10hipError_tPvRmT3_T4_T5_T6_T7_T9_mT8_P12ihipStream_tbDpT10_ENKUlT_T0_E_clISt17integral_constantIbLb1EES16_EEDaS11_S12_EUlS11_E_NS1_11comp_targetILNS1_3genE10ELNS1_11target_archE1200ELNS1_3gpuE4ELNS1_3repE0EEENS1_30default_config_static_selectorELNS0_4arch9wavefront6targetE1EEEvT1_
; %bb.0:
	.section	.rodata,"a",@progbits
	.p2align	6, 0x0
	.amdhsa_kernel _ZN7rocprim17ROCPRIM_400000_NS6detail17trampoline_kernelINS0_14default_configENS1_25partition_config_selectorILNS1_17partition_subalgoE0EjNS0_10empty_typeEbEEZZNS1_14partition_implILS5_0ELb0ES3_jN6thrust23THRUST_200600_302600_NS6detail15normal_iteratorINSA_10device_ptrIjEEEEPS6_SG_NS0_5tupleIJSF_SF_EEENSH_IJSG_SG_EEES6_PlJ7is_evenIjEEEE10hipError_tPvRmT3_T4_T5_T6_T7_T9_mT8_P12ihipStream_tbDpT10_ENKUlT_T0_E_clISt17integral_constantIbLb1EES16_EEDaS11_S12_EUlS11_E_NS1_11comp_targetILNS1_3genE10ELNS1_11target_archE1200ELNS1_3gpuE4ELNS1_3repE0EEENS1_30default_config_static_selectorELNS0_4arch9wavefront6targetE1EEEvT1_
		.amdhsa_group_segment_fixed_size 0
		.amdhsa_private_segment_fixed_size 0
		.amdhsa_kernarg_size 136
		.amdhsa_user_sgpr_count 6
		.amdhsa_user_sgpr_private_segment_buffer 1
		.amdhsa_user_sgpr_dispatch_ptr 0
		.amdhsa_user_sgpr_queue_ptr 0
		.amdhsa_user_sgpr_kernarg_segment_ptr 1
		.amdhsa_user_sgpr_dispatch_id 0
		.amdhsa_user_sgpr_flat_scratch_init 0
		.amdhsa_user_sgpr_kernarg_preload_length 0
		.amdhsa_user_sgpr_kernarg_preload_offset 0
		.amdhsa_user_sgpr_private_segment_size 0
		.amdhsa_uses_dynamic_stack 0
		.amdhsa_system_sgpr_private_segment_wavefront_offset 0
		.amdhsa_system_sgpr_workgroup_id_x 1
		.amdhsa_system_sgpr_workgroup_id_y 0
		.amdhsa_system_sgpr_workgroup_id_z 0
		.amdhsa_system_sgpr_workgroup_info 0
		.amdhsa_system_vgpr_workitem_id 0
		.amdhsa_next_free_vgpr 1
		.amdhsa_next_free_sgpr 0
		.amdhsa_accum_offset 4
		.amdhsa_reserve_vcc 0
		.amdhsa_reserve_flat_scratch 0
		.amdhsa_float_round_mode_32 0
		.amdhsa_float_round_mode_16_64 0
		.amdhsa_float_denorm_mode_32 3
		.amdhsa_float_denorm_mode_16_64 3
		.amdhsa_dx10_clamp 1
		.amdhsa_ieee_mode 1
		.amdhsa_fp16_overflow 0
		.amdhsa_tg_split 0
		.amdhsa_exception_fp_ieee_invalid_op 0
		.amdhsa_exception_fp_denorm_src 0
		.amdhsa_exception_fp_ieee_div_zero 0
		.amdhsa_exception_fp_ieee_overflow 0
		.amdhsa_exception_fp_ieee_underflow 0
		.amdhsa_exception_fp_ieee_inexact 0
		.amdhsa_exception_int_div_zero 0
	.end_amdhsa_kernel
	.section	.text._ZN7rocprim17ROCPRIM_400000_NS6detail17trampoline_kernelINS0_14default_configENS1_25partition_config_selectorILNS1_17partition_subalgoE0EjNS0_10empty_typeEbEEZZNS1_14partition_implILS5_0ELb0ES3_jN6thrust23THRUST_200600_302600_NS6detail15normal_iteratorINSA_10device_ptrIjEEEEPS6_SG_NS0_5tupleIJSF_SF_EEENSH_IJSG_SG_EEES6_PlJ7is_evenIjEEEE10hipError_tPvRmT3_T4_T5_T6_T7_T9_mT8_P12ihipStream_tbDpT10_ENKUlT_T0_E_clISt17integral_constantIbLb1EES16_EEDaS11_S12_EUlS11_E_NS1_11comp_targetILNS1_3genE10ELNS1_11target_archE1200ELNS1_3gpuE4ELNS1_3repE0EEENS1_30default_config_static_selectorELNS0_4arch9wavefront6targetE1EEEvT1_,"axG",@progbits,_ZN7rocprim17ROCPRIM_400000_NS6detail17trampoline_kernelINS0_14default_configENS1_25partition_config_selectorILNS1_17partition_subalgoE0EjNS0_10empty_typeEbEEZZNS1_14partition_implILS5_0ELb0ES3_jN6thrust23THRUST_200600_302600_NS6detail15normal_iteratorINSA_10device_ptrIjEEEEPS6_SG_NS0_5tupleIJSF_SF_EEENSH_IJSG_SG_EEES6_PlJ7is_evenIjEEEE10hipError_tPvRmT3_T4_T5_T6_T7_T9_mT8_P12ihipStream_tbDpT10_ENKUlT_T0_E_clISt17integral_constantIbLb1EES16_EEDaS11_S12_EUlS11_E_NS1_11comp_targetILNS1_3genE10ELNS1_11target_archE1200ELNS1_3gpuE4ELNS1_3repE0EEENS1_30default_config_static_selectorELNS0_4arch9wavefront6targetE1EEEvT1_,comdat
.Lfunc_end2150:
	.size	_ZN7rocprim17ROCPRIM_400000_NS6detail17trampoline_kernelINS0_14default_configENS1_25partition_config_selectorILNS1_17partition_subalgoE0EjNS0_10empty_typeEbEEZZNS1_14partition_implILS5_0ELb0ES3_jN6thrust23THRUST_200600_302600_NS6detail15normal_iteratorINSA_10device_ptrIjEEEEPS6_SG_NS0_5tupleIJSF_SF_EEENSH_IJSG_SG_EEES6_PlJ7is_evenIjEEEE10hipError_tPvRmT3_T4_T5_T6_T7_T9_mT8_P12ihipStream_tbDpT10_ENKUlT_T0_E_clISt17integral_constantIbLb1EES16_EEDaS11_S12_EUlS11_E_NS1_11comp_targetILNS1_3genE10ELNS1_11target_archE1200ELNS1_3gpuE4ELNS1_3repE0EEENS1_30default_config_static_selectorELNS0_4arch9wavefront6targetE1EEEvT1_, .Lfunc_end2150-_ZN7rocprim17ROCPRIM_400000_NS6detail17trampoline_kernelINS0_14default_configENS1_25partition_config_selectorILNS1_17partition_subalgoE0EjNS0_10empty_typeEbEEZZNS1_14partition_implILS5_0ELb0ES3_jN6thrust23THRUST_200600_302600_NS6detail15normal_iteratorINSA_10device_ptrIjEEEEPS6_SG_NS0_5tupleIJSF_SF_EEENSH_IJSG_SG_EEES6_PlJ7is_evenIjEEEE10hipError_tPvRmT3_T4_T5_T6_T7_T9_mT8_P12ihipStream_tbDpT10_ENKUlT_T0_E_clISt17integral_constantIbLb1EES16_EEDaS11_S12_EUlS11_E_NS1_11comp_targetILNS1_3genE10ELNS1_11target_archE1200ELNS1_3gpuE4ELNS1_3repE0EEENS1_30default_config_static_selectorELNS0_4arch9wavefront6targetE1EEEvT1_
                                        ; -- End function
	.section	.AMDGPU.csdata,"",@progbits
; Kernel info:
; codeLenInByte = 0
; NumSgprs: 4
; NumVgprs: 0
; NumAgprs: 0
; TotalNumVgprs: 0
; ScratchSize: 0
; MemoryBound: 0
; FloatMode: 240
; IeeeMode: 1
; LDSByteSize: 0 bytes/workgroup (compile time only)
; SGPRBlocks: 0
; VGPRBlocks: 0
; NumSGPRsForWavesPerEU: 4
; NumVGPRsForWavesPerEU: 1
; AccumOffset: 4
; Occupancy: 8
; WaveLimiterHint : 0
; COMPUTE_PGM_RSRC2:SCRATCH_EN: 0
; COMPUTE_PGM_RSRC2:USER_SGPR: 6
; COMPUTE_PGM_RSRC2:TRAP_HANDLER: 0
; COMPUTE_PGM_RSRC2:TGID_X_EN: 1
; COMPUTE_PGM_RSRC2:TGID_Y_EN: 0
; COMPUTE_PGM_RSRC2:TGID_Z_EN: 0
; COMPUTE_PGM_RSRC2:TIDIG_COMP_CNT: 0
; COMPUTE_PGM_RSRC3_GFX90A:ACCUM_OFFSET: 0
; COMPUTE_PGM_RSRC3_GFX90A:TG_SPLIT: 0
	.section	.text._ZN7rocprim17ROCPRIM_400000_NS6detail17trampoline_kernelINS0_14default_configENS1_25partition_config_selectorILNS1_17partition_subalgoE0EjNS0_10empty_typeEbEEZZNS1_14partition_implILS5_0ELb0ES3_jN6thrust23THRUST_200600_302600_NS6detail15normal_iteratorINSA_10device_ptrIjEEEEPS6_SG_NS0_5tupleIJSF_SF_EEENSH_IJSG_SG_EEES6_PlJ7is_evenIjEEEE10hipError_tPvRmT3_T4_T5_T6_T7_T9_mT8_P12ihipStream_tbDpT10_ENKUlT_T0_E_clISt17integral_constantIbLb1EES16_EEDaS11_S12_EUlS11_E_NS1_11comp_targetILNS1_3genE9ELNS1_11target_archE1100ELNS1_3gpuE3ELNS1_3repE0EEENS1_30default_config_static_selectorELNS0_4arch9wavefront6targetE1EEEvT1_,"axG",@progbits,_ZN7rocprim17ROCPRIM_400000_NS6detail17trampoline_kernelINS0_14default_configENS1_25partition_config_selectorILNS1_17partition_subalgoE0EjNS0_10empty_typeEbEEZZNS1_14partition_implILS5_0ELb0ES3_jN6thrust23THRUST_200600_302600_NS6detail15normal_iteratorINSA_10device_ptrIjEEEEPS6_SG_NS0_5tupleIJSF_SF_EEENSH_IJSG_SG_EEES6_PlJ7is_evenIjEEEE10hipError_tPvRmT3_T4_T5_T6_T7_T9_mT8_P12ihipStream_tbDpT10_ENKUlT_T0_E_clISt17integral_constantIbLb1EES16_EEDaS11_S12_EUlS11_E_NS1_11comp_targetILNS1_3genE9ELNS1_11target_archE1100ELNS1_3gpuE3ELNS1_3repE0EEENS1_30default_config_static_selectorELNS0_4arch9wavefront6targetE1EEEvT1_,comdat
	.protected	_ZN7rocprim17ROCPRIM_400000_NS6detail17trampoline_kernelINS0_14default_configENS1_25partition_config_selectorILNS1_17partition_subalgoE0EjNS0_10empty_typeEbEEZZNS1_14partition_implILS5_0ELb0ES3_jN6thrust23THRUST_200600_302600_NS6detail15normal_iteratorINSA_10device_ptrIjEEEEPS6_SG_NS0_5tupleIJSF_SF_EEENSH_IJSG_SG_EEES6_PlJ7is_evenIjEEEE10hipError_tPvRmT3_T4_T5_T6_T7_T9_mT8_P12ihipStream_tbDpT10_ENKUlT_T0_E_clISt17integral_constantIbLb1EES16_EEDaS11_S12_EUlS11_E_NS1_11comp_targetILNS1_3genE9ELNS1_11target_archE1100ELNS1_3gpuE3ELNS1_3repE0EEENS1_30default_config_static_selectorELNS0_4arch9wavefront6targetE1EEEvT1_ ; -- Begin function _ZN7rocprim17ROCPRIM_400000_NS6detail17trampoline_kernelINS0_14default_configENS1_25partition_config_selectorILNS1_17partition_subalgoE0EjNS0_10empty_typeEbEEZZNS1_14partition_implILS5_0ELb0ES3_jN6thrust23THRUST_200600_302600_NS6detail15normal_iteratorINSA_10device_ptrIjEEEEPS6_SG_NS0_5tupleIJSF_SF_EEENSH_IJSG_SG_EEES6_PlJ7is_evenIjEEEE10hipError_tPvRmT3_T4_T5_T6_T7_T9_mT8_P12ihipStream_tbDpT10_ENKUlT_T0_E_clISt17integral_constantIbLb1EES16_EEDaS11_S12_EUlS11_E_NS1_11comp_targetILNS1_3genE9ELNS1_11target_archE1100ELNS1_3gpuE3ELNS1_3repE0EEENS1_30default_config_static_selectorELNS0_4arch9wavefront6targetE1EEEvT1_
	.globl	_ZN7rocprim17ROCPRIM_400000_NS6detail17trampoline_kernelINS0_14default_configENS1_25partition_config_selectorILNS1_17partition_subalgoE0EjNS0_10empty_typeEbEEZZNS1_14partition_implILS5_0ELb0ES3_jN6thrust23THRUST_200600_302600_NS6detail15normal_iteratorINSA_10device_ptrIjEEEEPS6_SG_NS0_5tupleIJSF_SF_EEENSH_IJSG_SG_EEES6_PlJ7is_evenIjEEEE10hipError_tPvRmT3_T4_T5_T6_T7_T9_mT8_P12ihipStream_tbDpT10_ENKUlT_T0_E_clISt17integral_constantIbLb1EES16_EEDaS11_S12_EUlS11_E_NS1_11comp_targetILNS1_3genE9ELNS1_11target_archE1100ELNS1_3gpuE3ELNS1_3repE0EEENS1_30default_config_static_selectorELNS0_4arch9wavefront6targetE1EEEvT1_
	.p2align	8
	.type	_ZN7rocprim17ROCPRIM_400000_NS6detail17trampoline_kernelINS0_14default_configENS1_25partition_config_selectorILNS1_17partition_subalgoE0EjNS0_10empty_typeEbEEZZNS1_14partition_implILS5_0ELb0ES3_jN6thrust23THRUST_200600_302600_NS6detail15normal_iteratorINSA_10device_ptrIjEEEEPS6_SG_NS0_5tupleIJSF_SF_EEENSH_IJSG_SG_EEES6_PlJ7is_evenIjEEEE10hipError_tPvRmT3_T4_T5_T6_T7_T9_mT8_P12ihipStream_tbDpT10_ENKUlT_T0_E_clISt17integral_constantIbLb1EES16_EEDaS11_S12_EUlS11_E_NS1_11comp_targetILNS1_3genE9ELNS1_11target_archE1100ELNS1_3gpuE3ELNS1_3repE0EEENS1_30default_config_static_selectorELNS0_4arch9wavefront6targetE1EEEvT1_,@function
_ZN7rocprim17ROCPRIM_400000_NS6detail17trampoline_kernelINS0_14default_configENS1_25partition_config_selectorILNS1_17partition_subalgoE0EjNS0_10empty_typeEbEEZZNS1_14partition_implILS5_0ELb0ES3_jN6thrust23THRUST_200600_302600_NS6detail15normal_iteratorINSA_10device_ptrIjEEEEPS6_SG_NS0_5tupleIJSF_SF_EEENSH_IJSG_SG_EEES6_PlJ7is_evenIjEEEE10hipError_tPvRmT3_T4_T5_T6_T7_T9_mT8_P12ihipStream_tbDpT10_ENKUlT_T0_E_clISt17integral_constantIbLb1EES16_EEDaS11_S12_EUlS11_E_NS1_11comp_targetILNS1_3genE9ELNS1_11target_archE1100ELNS1_3gpuE3ELNS1_3repE0EEENS1_30default_config_static_selectorELNS0_4arch9wavefront6targetE1EEEvT1_: ; @_ZN7rocprim17ROCPRIM_400000_NS6detail17trampoline_kernelINS0_14default_configENS1_25partition_config_selectorILNS1_17partition_subalgoE0EjNS0_10empty_typeEbEEZZNS1_14partition_implILS5_0ELb0ES3_jN6thrust23THRUST_200600_302600_NS6detail15normal_iteratorINSA_10device_ptrIjEEEEPS6_SG_NS0_5tupleIJSF_SF_EEENSH_IJSG_SG_EEES6_PlJ7is_evenIjEEEE10hipError_tPvRmT3_T4_T5_T6_T7_T9_mT8_P12ihipStream_tbDpT10_ENKUlT_T0_E_clISt17integral_constantIbLb1EES16_EEDaS11_S12_EUlS11_E_NS1_11comp_targetILNS1_3genE9ELNS1_11target_archE1100ELNS1_3gpuE3ELNS1_3repE0EEENS1_30default_config_static_selectorELNS0_4arch9wavefront6targetE1EEEvT1_
; %bb.0:
	.section	.rodata,"a",@progbits
	.p2align	6, 0x0
	.amdhsa_kernel _ZN7rocprim17ROCPRIM_400000_NS6detail17trampoline_kernelINS0_14default_configENS1_25partition_config_selectorILNS1_17partition_subalgoE0EjNS0_10empty_typeEbEEZZNS1_14partition_implILS5_0ELb0ES3_jN6thrust23THRUST_200600_302600_NS6detail15normal_iteratorINSA_10device_ptrIjEEEEPS6_SG_NS0_5tupleIJSF_SF_EEENSH_IJSG_SG_EEES6_PlJ7is_evenIjEEEE10hipError_tPvRmT3_T4_T5_T6_T7_T9_mT8_P12ihipStream_tbDpT10_ENKUlT_T0_E_clISt17integral_constantIbLb1EES16_EEDaS11_S12_EUlS11_E_NS1_11comp_targetILNS1_3genE9ELNS1_11target_archE1100ELNS1_3gpuE3ELNS1_3repE0EEENS1_30default_config_static_selectorELNS0_4arch9wavefront6targetE1EEEvT1_
		.amdhsa_group_segment_fixed_size 0
		.amdhsa_private_segment_fixed_size 0
		.amdhsa_kernarg_size 136
		.amdhsa_user_sgpr_count 6
		.amdhsa_user_sgpr_private_segment_buffer 1
		.amdhsa_user_sgpr_dispatch_ptr 0
		.amdhsa_user_sgpr_queue_ptr 0
		.amdhsa_user_sgpr_kernarg_segment_ptr 1
		.amdhsa_user_sgpr_dispatch_id 0
		.amdhsa_user_sgpr_flat_scratch_init 0
		.amdhsa_user_sgpr_kernarg_preload_length 0
		.amdhsa_user_sgpr_kernarg_preload_offset 0
		.amdhsa_user_sgpr_private_segment_size 0
		.amdhsa_uses_dynamic_stack 0
		.amdhsa_system_sgpr_private_segment_wavefront_offset 0
		.amdhsa_system_sgpr_workgroup_id_x 1
		.amdhsa_system_sgpr_workgroup_id_y 0
		.amdhsa_system_sgpr_workgroup_id_z 0
		.amdhsa_system_sgpr_workgroup_info 0
		.amdhsa_system_vgpr_workitem_id 0
		.amdhsa_next_free_vgpr 1
		.amdhsa_next_free_sgpr 0
		.amdhsa_accum_offset 4
		.amdhsa_reserve_vcc 0
		.amdhsa_reserve_flat_scratch 0
		.amdhsa_float_round_mode_32 0
		.amdhsa_float_round_mode_16_64 0
		.amdhsa_float_denorm_mode_32 3
		.amdhsa_float_denorm_mode_16_64 3
		.amdhsa_dx10_clamp 1
		.amdhsa_ieee_mode 1
		.amdhsa_fp16_overflow 0
		.amdhsa_tg_split 0
		.amdhsa_exception_fp_ieee_invalid_op 0
		.amdhsa_exception_fp_denorm_src 0
		.amdhsa_exception_fp_ieee_div_zero 0
		.amdhsa_exception_fp_ieee_overflow 0
		.amdhsa_exception_fp_ieee_underflow 0
		.amdhsa_exception_fp_ieee_inexact 0
		.amdhsa_exception_int_div_zero 0
	.end_amdhsa_kernel
	.section	.text._ZN7rocprim17ROCPRIM_400000_NS6detail17trampoline_kernelINS0_14default_configENS1_25partition_config_selectorILNS1_17partition_subalgoE0EjNS0_10empty_typeEbEEZZNS1_14partition_implILS5_0ELb0ES3_jN6thrust23THRUST_200600_302600_NS6detail15normal_iteratorINSA_10device_ptrIjEEEEPS6_SG_NS0_5tupleIJSF_SF_EEENSH_IJSG_SG_EEES6_PlJ7is_evenIjEEEE10hipError_tPvRmT3_T4_T5_T6_T7_T9_mT8_P12ihipStream_tbDpT10_ENKUlT_T0_E_clISt17integral_constantIbLb1EES16_EEDaS11_S12_EUlS11_E_NS1_11comp_targetILNS1_3genE9ELNS1_11target_archE1100ELNS1_3gpuE3ELNS1_3repE0EEENS1_30default_config_static_selectorELNS0_4arch9wavefront6targetE1EEEvT1_,"axG",@progbits,_ZN7rocprim17ROCPRIM_400000_NS6detail17trampoline_kernelINS0_14default_configENS1_25partition_config_selectorILNS1_17partition_subalgoE0EjNS0_10empty_typeEbEEZZNS1_14partition_implILS5_0ELb0ES3_jN6thrust23THRUST_200600_302600_NS6detail15normal_iteratorINSA_10device_ptrIjEEEEPS6_SG_NS0_5tupleIJSF_SF_EEENSH_IJSG_SG_EEES6_PlJ7is_evenIjEEEE10hipError_tPvRmT3_T4_T5_T6_T7_T9_mT8_P12ihipStream_tbDpT10_ENKUlT_T0_E_clISt17integral_constantIbLb1EES16_EEDaS11_S12_EUlS11_E_NS1_11comp_targetILNS1_3genE9ELNS1_11target_archE1100ELNS1_3gpuE3ELNS1_3repE0EEENS1_30default_config_static_selectorELNS0_4arch9wavefront6targetE1EEEvT1_,comdat
.Lfunc_end2151:
	.size	_ZN7rocprim17ROCPRIM_400000_NS6detail17trampoline_kernelINS0_14default_configENS1_25partition_config_selectorILNS1_17partition_subalgoE0EjNS0_10empty_typeEbEEZZNS1_14partition_implILS5_0ELb0ES3_jN6thrust23THRUST_200600_302600_NS6detail15normal_iteratorINSA_10device_ptrIjEEEEPS6_SG_NS0_5tupleIJSF_SF_EEENSH_IJSG_SG_EEES6_PlJ7is_evenIjEEEE10hipError_tPvRmT3_T4_T5_T6_T7_T9_mT8_P12ihipStream_tbDpT10_ENKUlT_T0_E_clISt17integral_constantIbLb1EES16_EEDaS11_S12_EUlS11_E_NS1_11comp_targetILNS1_3genE9ELNS1_11target_archE1100ELNS1_3gpuE3ELNS1_3repE0EEENS1_30default_config_static_selectorELNS0_4arch9wavefront6targetE1EEEvT1_, .Lfunc_end2151-_ZN7rocprim17ROCPRIM_400000_NS6detail17trampoline_kernelINS0_14default_configENS1_25partition_config_selectorILNS1_17partition_subalgoE0EjNS0_10empty_typeEbEEZZNS1_14partition_implILS5_0ELb0ES3_jN6thrust23THRUST_200600_302600_NS6detail15normal_iteratorINSA_10device_ptrIjEEEEPS6_SG_NS0_5tupleIJSF_SF_EEENSH_IJSG_SG_EEES6_PlJ7is_evenIjEEEE10hipError_tPvRmT3_T4_T5_T6_T7_T9_mT8_P12ihipStream_tbDpT10_ENKUlT_T0_E_clISt17integral_constantIbLb1EES16_EEDaS11_S12_EUlS11_E_NS1_11comp_targetILNS1_3genE9ELNS1_11target_archE1100ELNS1_3gpuE3ELNS1_3repE0EEENS1_30default_config_static_selectorELNS0_4arch9wavefront6targetE1EEEvT1_
                                        ; -- End function
	.section	.AMDGPU.csdata,"",@progbits
; Kernel info:
; codeLenInByte = 0
; NumSgprs: 4
; NumVgprs: 0
; NumAgprs: 0
; TotalNumVgprs: 0
; ScratchSize: 0
; MemoryBound: 0
; FloatMode: 240
; IeeeMode: 1
; LDSByteSize: 0 bytes/workgroup (compile time only)
; SGPRBlocks: 0
; VGPRBlocks: 0
; NumSGPRsForWavesPerEU: 4
; NumVGPRsForWavesPerEU: 1
; AccumOffset: 4
; Occupancy: 8
; WaveLimiterHint : 0
; COMPUTE_PGM_RSRC2:SCRATCH_EN: 0
; COMPUTE_PGM_RSRC2:USER_SGPR: 6
; COMPUTE_PGM_RSRC2:TRAP_HANDLER: 0
; COMPUTE_PGM_RSRC2:TGID_X_EN: 1
; COMPUTE_PGM_RSRC2:TGID_Y_EN: 0
; COMPUTE_PGM_RSRC2:TGID_Z_EN: 0
; COMPUTE_PGM_RSRC2:TIDIG_COMP_CNT: 0
; COMPUTE_PGM_RSRC3_GFX90A:ACCUM_OFFSET: 0
; COMPUTE_PGM_RSRC3_GFX90A:TG_SPLIT: 0
	.section	.text._ZN7rocprim17ROCPRIM_400000_NS6detail17trampoline_kernelINS0_14default_configENS1_25partition_config_selectorILNS1_17partition_subalgoE0EjNS0_10empty_typeEbEEZZNS1_14partition_implILS5_0ELb0ES3_jN6thrust23THRUST_200600_302600_NS6detail15normal_iteratorINSA_10device_ptrIjEEEEPS6_SG_NS0_5tupleIJSF_SF_EEENSH_IJSG_SG_EEES6_PlJ7is_evenIjEEEE10hipError_tPvRmT3_T4_T5_T6_T7_T9_mT8_P12ihipStream_tbDpT10_ENKUlT_T0_E_clISt17integral_constantIbLb1EES16_EEDaS11_S12_EUlS11_E_NS1_11comp_targetILNS1_3genE8ELNS1_11target_archE1030ELNS1_3gpuE2ELNS1_3repE0EEENS1_30default_config_static_selectorELNS0_4arch9wavefront6targetE1EEEvT1_,"axG",@progbits,_ZN7rocprim17ROCPRIM_400000_NS6detail17trampoline_kernelINS0_14default_configENS1_25partition_config_selectorILNS1_17partition_subalgoE0EjNS0_10empty_typeEbEEZZNS1_14partition_implILS5_0ELb0ES3_jN6thrust23THRUST_200600_302600_NS6detail15normal_iteratorINSA_10device_ptrIjEEEEPS6_SG_NS0_5tupleIJSF_SF_EEENSH_IJSG_SG_EEES6_PlJ7is_evenIjEEEE10hipError_tPvRmT3_T4_T5_T6_T7_T9_mT8_P12ihipStream_tbDpT10_ENKUlT_T0_E_clISt17integral_constantIbLb1EES16_EEDaS11_S12_EUlS11_E_NS1_11comp_targetILNS1_3genE8ELNS1_11target_archE1030ELNS1_3gpuE2ELNS1_3repE0EEENS1_30default_config_static_selectorELNS0_4arch9wavefront6targetE1EEEvT1_,comdat
	.protected	_ZN7rocprim17ROCPRIM_400000_NS6detail17trampoline_kernelINS0_14default_configENS1_25partition_config_selectorILNS1_17partition_subalgoE0EjNS0_10empty_typeEbEEZZNS1_14partition_implILS5_0ELb0ES3_jN6thrust23THRUST_200600_302600_NS6detail15normal_iteratorINSA_10device_ptrIjEEEEPS6_SG_NS0_5tupleIJSF_SF_EEENSH_IJSG_SG_EEES6_PlJ7is_evenIjEEEE10hipError_tPvRmT3_T4_T5_T6_T7_T9_mT8_P12ihipStream_tbDpT10_ENKUlT_T0_E_clISt17integral_constantIbLb1EES16_EEDaS11_S12_EUlS11_E_NS1_11comp_targetILNS1_3genE8ELNS1_11target_archE1030ELNS1_3gpuE2ELNS1_3repE0EEENS1_30default_config_static_selectorELNS0_4arch9wavefront6targetE1EEEvT1_ ; -- Begin function _ZN7rocprim17ROCPRIM_400000_NS6detail17trampoline_kernelINS0_14default_configENS1_25partition_config_selectorILNS1_17partition_subalgoE0EjNS0_10empty_typeEbEEZZNS1_14partition_implILS5_0ELb0ES3_jN6thrust23THRUST_200600_302600_NS6detail15normal_iteratorINSA_10device_ptrIjEEEEPS6_SG_NS0_5tupleIJSF_SF_EEENSH_IJSG_SG_EEES6_PlJ7is_evenIjEEEE10hipError_tPvRmT3_T4_T5_T6_T7_T9_mT8_P12ihipStream_tbDpT10_ENKUlT_T0_E_clISt17integral_constantIbLb1EES16_EEDaS11_S12_EUlS11_E_NS1_11comp_targetILNS1_3genE8ELNS1_11target_archE1030ELNS1_3gpuE2ELNS1_3repE0EEENS1_30default_config_static_selectorELNS0_4arch9wavefront6targetE1EEEvT1_
	.globl	_ZN7rocprim17ROCPRIM_400000_NS6detail17trampoline_kernelINS0_14default_configENS1_25partition_config_selectorILNS1_17partition_subalgoE0EjNS0_10empty_typeEbEEZZNS1_14partition_implILS5_0ELb0ES3_jN6thrust23THRUST_200600_302600_NS6detail15normal_iteratorINSA_10device_ptrIjEEEEPS6_SG_NS0_5tupleIJSF_SF_EEENSH_IJSG_SG_EEES6_PlJ7is_evenIjEEEE10hipError_tPvRmT3_T4_T5_T6_T7_T9_mT8_P12ihipStream_tbDpT10_ENKUlT_T0_E_clISt17integral_constantIbLb1EES16_EEDaS11_S12_EUlS11_E_NS1_11comp_targetILNS1_3genE8ELNS1_11target_archE1030ELNS1_3gpuE2ELNS1_3repE0EEENS1_30default_config_static_selectorELNS0_4arch9wavefront6targetE1EEEvT1_
	.p2align	8
	.type	_ZN7rocprim17ROCPRIM_400000_NS6detail17trampoline_kernelINS0_14default_configENS1_25partition_config_selectorILNS1_17partition_subalgoE0EjNS0_10empty_typeEbEEZZNS1_14partition_implILS5_0ELb0ES3_jN6thrust23THRUST_200600_302600_NS6detail15normal_iteratorINSA_10device_ptrIjEEEEPS6_SG_NS0_5tupleIJSF_SF_EEENSH_IJSG_SG_EEES6_PlJ7is_evenIjEEEE10hipError_tPvRmT3_T4_T5_T6_T7_T9_mT8_P12ihipStream_tbDpT10_ENKUlT_T0_E_clISt17integral_constantIbLb1EES16_EEDaS11_S12_EUlS11_E_NS1_11comp_targetILNS1_3genE8ELNS1_11target_archE1030ELNS1_3gpuE2ELNS1_3repE0EEENS1_30default_config_static_selectorELNS0_4arch9wavefront6targetE1EEEvT1_,@function
_ZN7rocprim17ROCPRIM_400000_NS6detail17trampoline_kernelINS0_14default_configENS1_25partition_config_selectorILNS1_17partition_subalgoE0EjNS0_10empty_typeEbEEZZNS1_14partition_implILS5_0ELb0ES3_jN6thrust23THRUST_200600_302600_NS6detail15normal_iteratorINSA_10device_ptrIjEEEEPS6_SG_NS0_5tupleIJSF_SF_EEENSH_IJSG_SG_EEES6_PlJ7is_evenIjEEEE10hipError_tPvRmT3_T4_T5_T6_T7_T9_mT8_P12ihipStream_tbDpT10_ENKUlT_T0_E_clISt17integral_constantIbLb1EES16_EEDaS11_S12_EUlS11_E_NS1_11comp_targetILNS1_3genE8ELNS1_11target_archE1030ELNS1_3gpuE2ELNS1_3repE0EEENS1_30default_config_static_selectorELNS0_4arch9wavefront6targetE1EEEvT1_: ; @_ZN7rocprim17ROCPRIM_400000_NS6detail17trampoline_kernelINS0_14default_configENS1_25partition_config_selectorILNS1_17partition_subalgoE0EjNS0_10empty_typeEbEEZZNS1_14partition_implILS5_0ELb0ES3_jN6thrust23THRUST_200600_302600_NS6detail15normal_iteratorINSA_10device_ptrIjEEEEPS6_SG_NS0_5tupleIJSF_SF_EEENSH_IJSG_SG_EEES6_PlJ7is_evenIjEEEE10hipError_tPvRmT3_T4_T5_T6_T7_T9_mT8_P12ihipStream_tbDpT10_ENKUlT_T0_E_clISt17integral_constantIbLb1EES16_EEDaS11_S12_EUlS11_E_NS1_11comp_targetILNS1_3genE8ELNS1_11target_archE1030ELNS1_3gpuE2ELNS1_3repE0EEENS1_30default_config_static_selectorELNS0_4arch9wavefront6targetE1EEEvT1_
; %bb.0:
	.section	.rodata,"a",@progbits
	.p2align	6, 0x0
	.amdhsa_kernel _ZN7rocprim17ROCPRIM_400000_NS6detail17trampoline_kernelINS0_14default_configENS1_25partition_config_selectorILNS1_17partition_subalgoE0EjNS0_10empty_typeEbEEZZNS1_14partition_implILS5_0ELb0ES3_jN6thrust23THRUST_200600_302600_NS6detail15normal_iteratorINSA_10device_ptrIjEEEEPS6_SG_NS0_5tupleIJSF_SF_EEENSH_IJSG_SG_EEES6_PlJ7is_evenIjEEEE10hipError_tPvRmT3_T4_T5_T6_T7_T9_mT8_P12ihipStream_tbDpT10_ENKUlT_T0_E_clISt17integral_constantIbLb1EES16_EEDaS11_S12_EUlS11_E_NS1_11comp_targetILNS1_3genE8ELNS1_11target_archE1030ELNS1_3gpuE2ELNS1_3repE0EEENS1_30default_config_static_selectorELNS0_4arch9wavefront6targetE1EEEvT1_
		.amdhsa_group_segment_fixed_size 0
		.amdhsa_private_segment_fixed_size 0
		.amdhsa_kernarg_size 136
		.amdhsa_user_sgpr_count 6
		.amdhsa_user_sgpr_private_segment_buffer 1
		.amdhsa_user_sgpr_dispatch_ptr 0
		.amdhsa_user_sgpr_queue_ptr 0
		.amdhsa_user_sgpr_kernarg_segment_ptr 1
		.amdhsa_user_sgpr_dispatch_id 0
		.amdhsa_user_sgpr_flat_scratch_init 0
		.amdhsa_user_sgpr_kernarg_preload_length 0
		.amdhsa_user_sgpr_kernarg_preload_offset 0
		.amdhsa_user_sgpr_private_segment_size 0
		.amdhsa_uses_dynamic_stack 0
		.amdhsa_system_sgpr_private_segment_wavefront_offset 0
		.amdhsa_system_sgpr_workgroup_id_x 1
		.amdhsa_system_sgpr_workgroup_id_y 0
		.amdhsa_system_sgpr_workgroup_id_z 0
		.amdhsa_system_sgpr_workgroup_info 0
		.amdhsa_system_vgpr_workitem_id 0
		.amdhsa_next_free_vgpr 1
		.amdhsa_next_free_sgpr 0
		.amdhsa_accum_offset 4
		.amdhsa_reserve_vcc 0
		.amdhsa_reserve_flat_scratch 0
		.amdhsa_float_round_mode_32 0
		.amdhsa_float_round_mode_16_64 0
		.amdhsa_float_denorm_mode_32 3
		.amdhsa_float_denorm_mode_16_64 3
		.amdhsa_dx10_clamp 1
		.amdhsa_ieee_mode 1
		.amdhsa_fp16_overflow 0
		.amdhsa_tg_split 0
		.amdhsa_exception_fp_ieee_invalid_op 0
		.amdhsa_exception_fp_denorm_src 0
		.amdhsa_exception_fp_ieee_div_zero 0
		.amdhsa_exception_fp_ieee_overflow 0
		.amdhsa_exception_fp_ieee_underflow 0
		.amdhsa_exception_fp_ieee_inexact 0
		.amdhsa_exception_int_div_zero 0
	.end_amdhsa_kernel
	.section	.text._ZN7rocprim17ROCPRIM_400000_NS6detail17trampoline_kernelINS0_14default_configENS1_25partition_config_selectorILNS1_17partition_subalgoE0EjNS0_10empty_typeEbEEZZNS1_14partition_implILS5_0ELb0ES3_jN6thrust23THRUST_200600_302600_NS6detail15normal_iteratorINSA_10device_ptrIjEEEEPS6_SG_NS0_5tupleIJSF_SF_EEENSH_IJSG_SG_EEES6_PlJ7is_evenIjEEEE10hipError_tPvRmT3_T4_T5_T6_T7_T9_mT8_P12ihipStream_tbDpT10_ENKUlT_T0_E_clISt17integral_constantIbLb1EES16_EEDaS11_S12_EUlS11_E_NS1_11comp_targetILNS1_3genE8ELNS1_11target_archE1030ELNS1_3gpuE2ELNS1_3repE0EEENS1_30default_config_static_selectorELNS0_4arch9wavefront6targetE1EEEvT1_,"axG",@progbits,_ZN7rocprim17ROCPRIM_400000_NS6detail17trampoline_kernelINS0_14default_configENS1_25partition_config_selectorILNS1_17partition_subalgoE0EjNS0_10empty_typeEbEEZZNS1_14partition_implILS5_0ELb0ES3_jN6thrust23THRUST_200600_302600_NS6detail15normal_iteratorINSA_10device_ptrIjEEEEPS6_SG_NS0_5tupleIJSF_SF_EEENSH_IJSG_SG_EEES6_PlJ7is_evenIjEEEE10hipError_tPvRmT3_T4_T5_T6_T7_T9_mT8_P12ihipStream_tbDpT10_ENKUlT_T0_E_clISt17integral_constantIbLb1EES16_EEDaS11_S12_EUlS11_E_NS1_11comp_targetILNS1_3genE8ELNS1_11target_archE1030ELNS1_3gpuE2ELNS1_3repE0EEENS1_30default_config_static_selectorELNS0_4arch9wavefront6targetE1EEEvT1_,comdat
.Lfunc_end2152:
	.size	_ZN7rocprim17ROCPRIM_400000_NS6detail17trampoline_kernelINS0_14default_configENS1_25partition_config_selectorILNS1_17partition_subalgoE0EjNS0_10empty_typeEbEEZZNS1_14partition_implILS5_0ELb0ES3_jN6thrust23THRUST_200600_302600_NS6detail15normal_iteratorINSA_10device_ptrIjEEEEPS6_SG_NS0_5tupleIJSF_SF_EEENSH_IJSG_SG_EEES6_PlJ7is_evenIjEEEE10hipError_tPvRmT3_T4_T5_T6_T7_T9_mT8_P12ihipStream_tbDpT10_ENKUlT_T0_E_clISt17integral_constantIbLb1EES16_EEDaS11_S12_EUlS11_E_NS1_11comp_targetILNS1_3genE8ELNS1_11target_archE1030ELNS1_3gpuE2ELNS1_3repE0EEENS1_30default_config_static_selectorELNS0_4arch9wavefront6targetE1EEEvT1_, .Lfunc_end2152-_ZN7rocprim17ROCPRIM_400000_NS6detail17trampoline_kernelINS0_14default_configENS1_25partition_config_selectorILNS1_17partition_subalgoE0EjNS0_10empty_typeEbEEZZNS1_14partition_implILS5_0ELb0ES3_jN6thrust23THRUST_200600_302600_NS6detail15normal_iteratorINSA_10device_ptrIjEEEEPS6_SG_NS0_5tupleIJSF_SF_EEENSH_IJSG_SG_EEES6_PlJ7is_evenIjEEEE10hipError_tPvRmT3_T4_T5_T6_T7_T9_mT8_P12ihipStream_tbDpT10_ENKUlT_T0_E_clISt17integral_constantIbLb1EES16_EEDaS11_S12_EUlS11_E_NS1_11comp_targetILNS1_3genE8ELNS1_11target_archE1030ELNS1_3gpuE2ELNS1_3repE0EEENS1_30default_config_static_selectorELNS0_4arch9wavefront6targetE1EEEvT1_
                                        ; -- End function
	.section	.AMDGPU.csdata,"",@progbits
; Kernel info:
; codeLenInByte = 0
; NumSgprs: 4
; NumVgprs: 0
; NumAgprs: 0
; TotalNumVgprs: 0
; ScratchSize: 0
; MemoryBound: 0
; FloatMode: 240
; IeeeMode: 1
; LDSByteSize: 0 bytes/workgroup (compile time only)
; SGPRBlocks: 0
; VGPRBlocks: 0
; NumSGPRsForWavesPerEU: 4
; NumVGPRsForWavesPerEU: 1
; AccumOffset: 4
; Occupancy: 8
; WaveLimiterHint : 0
; COMPUTE_PGM_RSRC2:SCRATCH_EN: 0
; COMPUTE_PGM_RSRC2:USER_SGPR: 6
; COMPUTE_PGM_RSRC2:TRAP_HANDLER: 0
; COMPUTE_PGM_RSRC2:TGID_X_EN: 1
; COMPUTE_PGM_RSRC2:TGID_Y_EN: 0
; COMPUTE_PGM_RSRC2:TGID_Z_EN: 0
; COMPUTE_PGM_RSRC2:TIDIG_COMP_CNT: 0
; COMPUTE_PGM_RSRC3_GFX90A:ACCUM_OFFSET: 0
; COMPUTE_PGM_RSRC3_GFX90A:TG_SPLIT: 0
	.section	.text._ZN7rocprim17ROCPRIM_400000_NS6detail17trampoline_kernelINS0_14default_configENS1_25partition_config_selectorILNS1_17partition_subalgoE0EjNS0_10empty_typeEbEEZZNS1_14partition_implILS5_0ELb0ES3_jN6thrust23THRUST_200600_302600_NS6detail15normal_iteratorINSA_10device_ptrIjEEEEPS6_SG_NS0_5tupleIJSF_SF_EEENSH_IJSG_SG_EEES6_PlJ7is_evenIjEEEE10hipError_tPvRmT3_T4_T5_T6_T7_T9_mT8_P12ihipStream_tbDpT10_ENKUlT_T0_E_clISt17integral_constantIbLb1EES15_IbLb0EEEEDaS11_S12_EUlS11_E_NS1_11comp_targetILNS1_3genE0ELNS1_11target_archE4294967295ELNS1_3gpuE0ELNS1_3repE0EEENS1_30default_config_static_selectorELNS0_4arch9wavefront6targetE1EEEvT1_,"axG",@progbits,_ZN7rocprim17ROCPRIM_400000_NS6detail17trampoline_kernelINS0_14default_configENS1_25partition_config_selectorILNS1_17partition_subalgoE0EjNS0_10empty_typeEbEEZZNS1_14partition_implILS5_0ELb0ES3_jN6thrust23THRUST_200600_302600_NS6detail15normal_iteratorINSA_10device_ptrIjEEEEPS6_SG_NS0_5tupleIJSF_SF_EEENSH_IJSG_SG_EEES6_PlJ7is_evenIjEEEE10hipError_tPvRmT3_T4_T5_T6_T7_T9_mT8_P12ihipStream_tbDpT10_ENKUlT_T0_E_clISt17integral_constantIbLb1EES15_IbLb0EEEEDaS11_S12_EUlS11_E_NS1_11comp_targetILNS1_3genE0ELNS1_11target_archE4294967295ELNS1_3gpuE0ELNS1_3repE0EEENS1_30default_config_static_selectorELNS0_4arch9wavefront6targetE1EEEvT1_,comdat
	.protected	_ZN7rocprim17ROCPRIM_400000_NS6detail17trampoline_kernelINS0_14default_configENS1_25partition_config_selectorILNS1_17partition_subalgoE0EjNS0_10empty_typeEbEEZZNS1_14partition_implILS5_0ELb0ES3_jN6thrust23THRUST_200600_302600_NS6detail15normal_iteratorINSA_10device_ptrIjEEEEPS6_SG_NS0_5tupleIJSF_SF_EEENSH_IJSG_SG_EEES6_PlJ7is_evenIjEEEE10hipError_tPvRmT3_T4_T5_T6_T7_T9_mT8_P12ihipStream_tbDpT10_ENKUlT_T0_E_clISt17integral_constantIbLb1EES15_IbLb0EEEEDaS11_S12_EUlS11_E_NS1_11comp_targetILNS1_3genE0ELNS1_11target_archE4294967295ELNS1_3gpuE0ELNS1_3repE0EEENS1_30default_config_static_selectorELNS0_4arch9wavefront6targetE1EEEvT1_ ; -- Begin function _ZN7rocprim17ROCPRIM_400000_NS6detail17trampoline_kernelINS0_14default_configENS1_25partition_config_selectorILNS1_17partition_subalgoE0EjNS0_10empty_typeEbEEZZNS1_14partition_implILS5_0ELb0ES3_jN6thrust23THRUST_200600_302600_NS6detail15normal_iteratorINSA_10device_ptrIjEEEEPS6_SG_NS0_5tupleIJSF_SF_EEENSH_IJSG_SG_EEES6_PlJ7is_evenIjEEEE10hipError_tPvRmT3_T4_T5_T6_T7_T9_mT8_P12ihipStream_tbDpT10_ENKUlT_T0_E_clISt17integral_constantIbLb1EES15_IbLb0EEEEDaS11_S12_EUlS11_E_NS1_11comp_targetILNS1_3genE0ELNS1_11target_archE4294967295ELNS1_3gpuE0ELNS1_3repE0EEENS1_30default_config_static_selectorELNS0_4arch9wavefront6targetE1EEEvT1_
	.globl	_ZN7rocprim17ROCPRIM_400000_NS6detail17trampoline_kernelINS0_14default_configENS1_25partition_config_selectorILNS1_17partition_subalgoE0EjNS0_10empty_typeEbEEZZNS1_14partition_implILS5_0ELb0ES3_jN6thrust23THRUST_200600_302600_NS6detail15normal_iteratorINSA_10device_ptrIjEEEEPS6_SG_NS0_5tupleIJSF_SF_EEENSH_IJSG_SG_EEES6_PlJ7is_evenIjEEEE10hipError_tPvRmT3_T4_T5_T6_T7_T9_mT8_P12ihipStream_tbDpT10_ENKUlT_T0_E_clISt17integral_constantIbLb1EES15_IbLb0EEEEDaS11_S12_EUlS11_E_NS1_11comp_targetILNS1_3genE0ELNS1_11target_archE4294967295ELNS1_3gpuE0ELNS1_3repE0EEENS1_30default_config_static_selectorELNS0_4arch9wavefront6targetE1EEEvT1_
	.p2align	8
	.type	_ZN7rocprim17ROCPRIM_400000_NS6detail17trampoline_kernelINS0_14default_configENS1_25partition_config_selectorILNS1_17partition_subalgoE0EjNS0_10empty_typeEbEEZZNS1_14partition_implILS5_0ELb0ES3_jN6thrust23THRUST_200600_302600_NS6detail15normal_iteratorINSA_10device_ptrIjEEEEPS6_SG_NS0_5tupleIJSF_SF_EEENSH_IJSG_SG_EEES6_PlJ7is_evenIjEEEE10hipError_tPvRmT3_T4_T5_T6_T7_T9_mT8_P12ihipStream_tbDpT10_ENKUlT_T0_E_clISt17integral_constantIbLb1EES15_IbLb0EEEEDaS11_S12_EUlS11_E_NS1_11comp_targetILNS1_3genE0ELNS1_11target_archE4294967295ELNS1_3gpuE0ELNS1_3repE0EEENS1_30default_config_static_selectorELNS0_4arch9wavefront6targetE1EEEvT1_,@function
_ZN7rocprim17ROCPRIM_400000_NS6detail17trampoline_kernelINS0_14default_configENS1_25partition_config_selectorILNS1_17partition_subalgoE0EjNS0_10empty_typeEbEEZZNS1_14partition_implILS5_0ELb0ES3_jN6thrust23THRUST_200600_302600_NS6detail15normal_iteratorINSA_10device_ptrIjEEEEPS6_SG_NS0_5tupleIJSF_SF_EEENSH_IJSG_SG_EEES6_PlJ7is_evenIjEEEE10hipError_tPvRmT3_T4_T5_T6_T7_T9_mT8_P12ihipStream_tbDpT10_ENKUlT_T0_E_clISt17integral_constantIbLb1EES15_IbLb0EEEEDaS11_S12_EUlS11_E_NS1_11comp_targetILNS1_3genE0ELNS1_11target_archE4294967295ELNS1_3gpuE0ELNS1_3repE0EEENS1_30default_config_static_selectorELNS0_4arch9wavefront6targetE1EEEvT1_: ; @_ZN7rocprim17ROCPRIM_400000_NS6detail17trampoline_kernelINS0_14default_configENS1_25partition_config_selectorILNS1_17partition_subalgoE0EjNS0_10empty_typeEbEEZZNS1_14partition_implILS5_0ELb0ES3_jN6thrust23THRUST_200600_302600_NS6detail15normal_iteratorINSA_10device_ptrIjEEEEPS6_SG_NS0_5tupleIJSF_SF_EEENSH_IJSG_SG_EEES6_PlJ7is_evenIjEEEE10hipError_tPvRmT3_T4_T5_T6_T7_T9_mT8_P12ihipStream_tbDpT10_ENKUlT_T0_E_clISt17integral_constantIbLb1EES15_IbLb0EEEEDaS11_S12_EUlS11_E_NS1_11comp_targetILNS1_3genE0ELNS1_11target_archE4294967295ELNS1_3gpuE0ELNS1_3repE0EEENS1_30default_config_static_selectorELNS0_4arch9wavefront6targetE1EEEvT1_
; %bb.0:
	.section	.rodata,"a",@progbits
	.p2align	6, 0x0
	.amdhsa_kernel _ZN7rocprim17ROCPRIM_400000_NS6detail17trampoline_kernelINS0_14default_configENS1_25partition_config_selectorILNS1_17partition_subalgoE0EjNS0_10empty_typeEbEEZZNS1_14partition_implILS5_0ELb0ES3_jN6thrust23THRUST_200600_302600_NS6detail15normal_iteratorINSA_10device_ptrIjEEEEPS6_SG_NS0_5tupleIJSF_SF_EEENSH_IJSG_SG_EEES6_PlJ7is_evenIjEEEE10hipError_tPvRmT3_T4_T5_T6_T7_T9_mT8_P12ihipStream_tbDpT10_ENKUlT_T0_E_clISt17integral_constantIbLb1EES15_IbLb0EEEEDaS11_S12_EUlS11_E_NS1_11comp_targetILNS1_3genE0ELNS1_11target_archE4294967295ELNS1_3gpuE0ELNS1_3repE0EEENS1_30default_config_static_selectorELNS0_4arch9wavefront6targetE1EEEvT1_
		.amdhsa_group_segment_fixed_size 0
		.amdhsa_private_segment_fixed_size 0
		.amdhsa_kernarg_size 120
		.amdhsa_user_sgpr_count 6
		.amdhsa_user_sgpr_private_segment_buffer 1
		.amdhsa_user_sgpr_dispatch_ptr 0
		.amdhsa_user_sgpr_queue_ptr 0
		.amdhsa_user_sgpr_kernarg_segment_ptr 1
		.amdhsa_user_sgpr_dispatch_id 0
		.amdhsa_user_sgpr_flat_scratch_init 0
		.amdhsa_user_sgpr_kernarg_preload_length 0
		.amdhsa_user_sgpr_kernarg_preload_offset 0
		.amdhsa_user_sgpr_private_segment_size 0
		.amdhsa_uses_dynamic_stack 0
		.amdhsa_system_sgpr_private_segment_wavefront_offset 0
		.amdhsa_system_sgpr_workgroup_id_x 1
		.amdhsa_system_sgpr_workgroup_id_y 0
		.amdhsa_system_sgpr_workgroup_id_z 0
		.amdhsa_system_sgpr_workgroup_info 0
		.amdhsa_system_vgpr_workitem_id 0
		.amdhsa_next_free_vgpr 1
		.amdhsa_next_free_sgpr 0
		.amdhsa_accum_offset 4
		.amdhsa_reserve_vcc 0
		.amdhsa_reserve_flat_scratch 0
		.amdhsa_float_round_mode_32 0
		.amdhsa_float_round_mode_16_64 0
		.amdhsa_float_denorm_mode_32 3
		.amdhsa_float_denorm_mode_16_64 3
		.amdhsa_dx10_clamp 1
		.amdhsa_ieee_mode 1
		.amdhsa_fp16_overflow 0
		.amdhsa_tg_split 0
		.amdhsa_exception_fp_ieee_invalid_op 0
		.amdhsa_exception_fp_denorm_src 0
		.amdhsa_exception_fp_ieee_div_zero 0
		.amdhsa_exception_fp_ieee_overflow 0
		.amdhsa_exception_fp_ieee_underflow 0
		.amdhsa_exception_fp_ieee_inexact 0
		.amdhsa_exception_int_div_zero 0
	.end_amdhsa_kernel
	.section	.text._ZN7rocprim17ROCPRIM_400000_NS6detail17trampoline_kernelINS0_14default_configENS1_25partition_config_selectorILNS1_17partition_subalgoE0EjNS0_10empty_typeEbEEZZNS1_14partition_implILS5_0ELb0ES3_jN6thrust23THRUST_200600_302600_NS6detail15normal_iteratorINSA_10device_ptrIjEEEEPS6_SG_NS0_5tupleIJSF_SF_EEENSH_IJSG_SG_EEES6_PlJ7is_evenIjEEEE10hipError_tPvRmT3_T4_T5_T6_T7_T9_mT8_P12ihipStream_tbDpT10_ENKUlT_T0_E_clISt17integral_constantIbLb1EES15_IbLb0EEEEDaS11_S12_EUlS11_E_NS1_11comp_targetILNS1_3genE0ELNS1_11target_archE4294967295ELNS1_3gpuE0ELNS1_3repE0EEENS1_30default_config_static_selectorELNS0_4arch9wavefront6targetE1EEEvT1_,"axG",@progbits,_ZN7rocprim17ROCPRIM_400000_NS6detail17trampoline_kernelINS0_14default_configENS1_25partition_config_selectorILNS1_17partition_subalgoE0EjNS0_10empty_typeEbEEZZNS1_14partition_implILS5_0ELb0ES3_jN6thrust23THRUST_200600_302600_NS6detail15normal_iteratorINSA_10device_ptrIjEEEEPS6_SG_NS0_5tupleIJSF_SF_EEENSH_IJSG_SG_EEES6_PlJ7is_evenIjEEEE10hipError_tPvRmT3_T4_T5_T6_T7_T9_mT8_P12ihipStream_tbDpT10_ENKUlT_T0_E_clISt17integral_constantIbLb1EES15_IbLb0EEEEDaS11_S12_EUlS11_E_NS1_11comp_targetILNS1_3genE0ELNS1_11target_archE4294967295ELNS1_3gpuE0ELNS1_3repE0EEENS1_30default_config_static_selectorELNS0_4arch9wavefront6targetE1EEEvT1_,comdat
.Lfunc_end2153:
	.size	_ZN7rocprim17ROCPRIM_400000_NS6detail17trampoline_kernelINS0_14default_configENS1_25partition_config_selectorILNS1_17partition_subalgoE0EjNS0_10empty_typeEbEEZZNS1_14partition_implILS5_0ELb0ES3_jN6thrust23THRUST_200600_302600_NS6detail15normal_iteratorINSA_10device_ptrIjEEEEPS6_SG_NS0_5tupleIJSF_SF_EEENSH_IJSG_SG_EEES6_PlJ7is_evenIjEEEE10hipError_tPvRmT3_T4_T5_T6_T7_T9_mT8_P12ihipStream_tbDpT10_ENKUlT_T0_E_clISt17integral_constantIbLb1EES15_IbLb0EEEEDaS11_S12_EUlS11_E_NS1_11comp_targetILNS1_3genE0ELNS1_11target_archE4294967295ELNS1_3gpuE0ELNS1_3repE0EEENS1_30default_config_static_selectorELNS0_4arch9wavefront6targetE1EEEvT1_, .Lfunc_end2153-_ZN7rocprim17ROCPRIM_400000_NS6detail17trampoline_kernelINS0_14default_configENS1_25partition_config_selectorILNS1_17partition_subalgoE0EjNS0_10empty_typeEbEEZZNS1_14partition_implILS5_0ELb0ES3_jN6thrust23THRUST_200600_302600_NS6detail15normal_iteratorINSA_10device_ptrIjEEEEPS6_SG_NS0_5tupleIJSF_SF_EEENSH_IJSG_SG_EEES6_PlJ7is_evenIjEEEE10hipError_tPvRmT3_T4_T5_T6_T7_T9_mT8_P12ihipStream_tbDpT10_ENKUlT_T0_E_clISt17integral_constantIbLb1EES15_IbLb0EEEEDaS11_S12_EUlS11_E_NS1_11comp_targetILNS1_3genE0ELNS1_11target_archE4294967295ELNS1_3gpuE0ELNS1_3repE0EEENS1_30default_config_static_selectorELNS0_4arch9wavefront6targetE1EEEvT1_
                                        ; -- End function
	.section	.AMDGPU.csdata,"",@progbits
; Kernel info:
; codeLenInByte = 0
; NumSgprs: 4
; NumVgprs: 0
; NumAgprs: 0
; TotalNumVgprs: 0
; ScratchSize: 0
; MemoryBound: 0
; FloatMode: 240
; IeeeMode: 1
; LDSByteSize: 0 bytes/workgroup (compile time only)
; SGPRBlocks: 0
; VGPRBlocks: 0
; NumSGPRsForWavesPerEU: 4
; NumVGPRsForWavesPerEU: 1
; AccumOffset: 4
; Occupancy: 8
; WaveLimiterHint : 0
; COMPUTE_PGM_RSRC2:SCRATCH_EN: 0
; COMPUTE_PGM_RSRC2:USER_SGPR: 6
; COMPUTE_PGM_RSRC2:TRAP_HANDLER: 0
; COMPUTE_PGM_RSRC2:TGID_X_EN: 1
; COMPUTE_PGM_RSRC2:TGID_Y_EN: 0
; COMPUTE_PGM_RSRC2:TGID_Z_EN: 0
; COMPUTE_PGM_RSRC2:TIDIG_COMP_CNT: 0
; COMPUTE_PGM_RSRC3_GFX90A:ACCUM_OFFSET: 0
; COMPUTE_PGM_RSRC3_GFX90A:TG_SPLIT: 0
	.section	.text._ZN7rocprim17ROCPRIM_400000_NS6detail17trampoline_kernelINS0_14default_configENS1_25partition_config_selectorILNS1_17partition_subalgoE0EjNS0_10empty_typeEbEEZZNS1_14partition_implILS5_0ELb0ES3_jN6thrust23THRUST_200600_302600_NS6detail15normal_iteratorINSA_10device_ptrIjEEEEPS6_SG_NS0_5tupleIJSF_SF_EEENSH_IJSG_SG_EEES6_PlJ7is_evenIjEEEE10hipError_tPvRmT3_T4_T5_T6_T7_T9_mT8_P12ihipStream_tbDpT10_ENKUlT_T0_E_clISt17integral_constantIbLb1EES15_IbLb0EEEEDaS11_S12_EUlS11_E_NS1_11comp_targetILNS1_3genE5ELNS1_11target_archE942ELNS1_3gpuE9ELNS1_3repE0EEENS1_30default_config_static_selectorELNS0_4arch9wavefront6targetE1EEEvT1_,"axG",@progbits,_ZN7rocprim17ROCPRIM_400000_NS6detail17trampoline_kernelINS0_14default_configENS1_25partition_config_selectorILNS1_17partition_subalgoE0EjNS0_10empty_typeEbEEZZNS1_14partition_implILS5_0ELb0ES3_jN6thrust23THRUST_200600_302600_NS6detail15normal_iteratorINSA_10device_ptrIjEEEEPS6_SG_NS0_5tupleIJSF_SF_EEENSH_IJSG_SG_EEES6_PlJ7is_evenIjEEEE10hipError_tPvRmT3_T4_T5_T6_T7_T9_mT8_P12ihipStream_tbDpT10_ENKUlT_T0_E_clISt17integral_constantIbLb1EES15_IbLb0EEEEDaS11_S12_EUlS11_E_NS1_11comp_targetILNS1_3genE5ELNS1_11target_archE942ELNS1_3gpuE9ELNS1_3repE0EEENS1_30default_config_static_selectorELNS0_4arch9wavefront6targetE1EEEvT1_,comdat
	.protected	_ZN7rocprim17ROCPRIM_400000_NS6detail17trampoline_kernelINS0_14default_configENS1_25partition_config_selectorILNS1_17partition_subalgoE0EjNS0_10empty_typeEbEEZZNS1_14partition_implILS5_0ELb0ES3_jN6thrust23THRUST_200600_302600_NS6detail15normal_iteratorINSA_10device_ptrIjEEEEPS6_SG_NS0_5tupleIJSF_SF_EEENSH_IJSG_SG_EEES6_PlJ7is_evenIjEEEE10hipError_tPvRmT3_T4_T5_T6_T7_T9_mT8_P12ihipStream_tbDpT10_ENKUlT_T0_E_clISt17integral_constantIbLb1EES15_IbLb0EEEEDaS11_S12_EUlS11_E_NS1_11comp_targetILNS1_3genE5ELNS1_11target_archE942ELNS1_3gpuE9ELNS1_3repE0EEENS1_30default_config_static_selectorELNS0_4arch9wavefront6targetE1EEEvT1_ ; -- Begin function _ZN7rocprim17ROCPRIM_400000_NS6detail17trampoline_kernelINS0_14default_configENS1_25partition_config_selectorILNS1_17partition_subalgoE0EjNS0_10empty_typeEbEEZZNS1_14partition_implILS5_0ELb0ES3_jN6thrust23THRUST_200600_302600_NS6detail15normal_iteratorINSA_10device_ptrIjEEEEPS6_SG_NS0_5tupleIJSF_SF_EEENSH_IJSG_SG_EEES6_PlJ7is_evenIjEEEE10hipError_tPvRmT3_T4_T5_T6_T7_T9_mT8_P12ihipStream_tbDpT10_ENKUlT_T0_E_clISt17integral_constantIbLb1EES15_IbLb0EEEEDaS11_S12_EUlS11_E_NS1_11comp_targetILNS1_3genE5ELNS1_11target_archE942ELNS1_3gpuE9ELNS1_3repE0EEENS1_30default_config_static_selectorELNS0_4arch9wavefront6targetE1EEEvT1_
	.globl	_ZN7rocprim17ROCPRIM_400000_NS6detail17trampoline_kernelINS0_14default_configENS1_25partition_config_selectorILNS1_17partition_subalgoE0EjNS0_10empty_typeEbEEZZNS1_14partition_implILS5_0ELb0ES3_jN6thrust23THRUST_200600_302600_NS6detail15normal_iteratorINSA_10device_ptrIjEEEEPS6_SG_NS0_5tupleIJSF_SF_EEENSH_IJSG_SG_EEES6_PlJ7is_evenIjEEEE10hipError_tPvRmT3_T4_T5_T6_T7_T9_mT8_P12ihipStream_tbDpT10_ENKUlT_T0_E_clISt17integral_constantIbLb1EES15_IbLb0EEEEDaS11_S12_EUlS11_E_NS1_11comp_targetILNS1_3genE5ELNS1_11target_archE942ELNS1_3gpuE9ELNS1_3repE0EEENS1_30default_config_static_selectorELNS0_4arch9wavefront6targetE1EEEvT1_
	.p2align	8
	.type	_ZN7rocprim17ROCPRIM_400000_NS6detail17trampoline_kernelINS0_14default_configENS1_25partition_config_selectorILNS1_17partition_subalgoE0EjNS0_10empty_typeEbEEZZNS1_14partition_implILS5_0ELb0ES3_jN6thrust23THRUST_200600_302600_NS6detail15normal_iteratorINSA_10device_ptrIjEEEEPS6_SG_NS0_5tupleIJSF_SF_EEENSH_IJSG_SG_EEES6_PlJ7is_evenIjEEEE10hipError_tPvRmT3_T4_T5_T6_T7_T9_mT8_P12ihipStream_tbDpT10_ENKUlT_T0_E_clISt17integral_constantIbLb1EES15_IbLb0EEEEDaS11_S12_EUlS11_E_NS1_11comp_targetILNS1_3genE5ELNS1_11target_archE942ELNS1_3gpuE9ELNS1_3repE0EEENS1_30default_config_static_selectorELNS0_4arch9wavefront6targetE1EEEvT1_,@function
_ZN7rocprim17ROCPRIM_400000_NS6detail17trampoline_kernelINS0_14default_configENS1_25partition_config_selectorILNS1_17partition_subalgoE0EjNS0_10empty_typeEbEEZZNS1_14partition_implILS5_0ELb0ES3_jN6thrust23THRUST_200600_302600_NS6detail15normal_iteratorINSA_10device_ptrIjEEEEPS6_SG_NS0_5tupleIJSF_SF_EEENSH_IJSG_SG_EEES6_PlJ7is_evenIjEEEE10hipError_tPvRmT3_T4_T5_T6_T7_T9_mT8_P12ihipStream_tbDpT10_ENKUlT_T0_E_clISt17integral_constantIbLb1EES15_IbLb0EEEEDaS11_S12_EUlS11_E_NS1_11comp_targetILNS1_3genE5ELNS1_11target_archE942ELNS1_3gpuE9ELNS1_3repE0EEENS1_30default_config_static_selectorELNS0_4arch9wavefront6targetE1EEEvT1_: ; @_ZN7rocprim17ROCPRIM_400000_NS6detail17trampoline_kernelINS0_14default_configENS1_25partition_config_selectorILNS1_17partition_subalgoE0EjNS0_10empty_typeEbEEZZNS1_14partition_implILS5_0ELb0ES3_jN6thrust23THRUST_200600_302600_NS6detail15normal_iteratorINSA_10device_ptrIjEEEEPS6_SG_NS0_5tupleIJSF_SF_EEENSH_IJSG_SG_EEES6_PlJ7is_evenIjEEEE10hipError_tPvRmT3_T4_T5_T6_T7_T9_mT8_P12ihipStream_tbDpT10_ENKUlT_T0_E_clISt17integral_constantIbLb1EES15_IbLb0EEEEDaS11_S12_EUlS11_E_NS1_11comp_targetILNS1_3genE5ELNS1_11target_archE942ELNS1_3gpuE9ELNS1_3repE0EEENS1_30default_config_static_selectorELNS0_4arch9wavefront6targetE1EEEvT1_
; %bb.0:
	.section	.rodata,"a",@progbits
	.p2align	6, 0x0
	.amdhsa_kernel _ZN7rocprim17ROCPRIM_400000_NS6detail17trampoline_kernelINS0_14default_configENS1_25partition_config_selectorILNS1_17partition_subalgoE0EjNS0_10empty_typeEbEEZZNS1_14partition_implILS5_0ELb0ES3_jN6thrust23THRUST_200600_302600_NS6detail15normal_iteratorINSA_10device_ptrIjEEEEPS6_SG_NS0_5tupleIJSF_SF_EEENSH_IJSG_SG_EEES6_PlJ7is_evenIjEEEE10hipError_tPvRmT3_T4_T5_T6_T7_T9_mT8_P12ihipStream_tbDpT10_ENKUlT_T0_E_clISt17integral_constantIbLb1EES15_IbLb0EEEEDaS11_S12_EUlS11_E_NS1_11comp_targetILNS1_3genE5ELNS1_11target_archE942ELNS1_3gpuE9ELNS1_3repE0EEENS1_30default_config_static_selectorELNS0_4arch9wavefront6targetE1EEEvT1_
		.amdhsa_group_segment_fixed_size 0
		.amdhsa_private_segment_fixed_size 0
		.amdhsa_kernarg_size 120
		.amdhsa_user_sgpr_count 6
		.amdhsa_user_sgpr_private_segment_buffer 1
		.amdhsa_user_sgpr_dispatch_ptr 0
		.amdhsa_user_sgpr_queue_ptr 0
		.amdhsa_user_sgpr_kernarg_segment_ptr 1
		.amdhsa_user_sgpr_dispatch_id 0
		.amdhsa_user_sgpr_flat_scratch_init 0
		.amdhsa_user_sgpr_kernarg_preload_length 0
		.amdhsa_user_sgpr_kernarg_preload_offset 0
		.amdhsa_user_sgpr_private_segment_size 0
		.amdhsa_uses_dynamic_stack 0
		.amdhsa_system_sgpr_private_segment_wavefront_offset 0
		.amdhsa_system_sgpr_workgroup_id_x 1
		.amdhsa_system_sgpr_workgroup_id_y 0
		.amdhsa_system_sgpr_workgroup_id_z 0
		.amdhsa_system_sgpr_workgroup_info 0
		.amdhsa_system_vgpr_workitem_id 0
		.amdhsa_next_free_vgpr 1
		.amdhsa_next_free_sgpr 0
		.amdhsa_accum_offset 4
		.amdhsa_reserve_vcc 0
		.amdhsa_reserve_flat_scratch 0
		.amdhsa_float_round_mode_32 0
		.amdhsa_float_round_mode_16_64 0
		.amdhsa_float_denorm_mode_32 3
		.amdhsa_float_denorm_mode_16_64 3
		.amdhsa_dx10_clamp 1
		.amdhsa_ieee_mode 1
		.amdhsa_fp16_overflow 0
		.amdhsa_tg_split 0
		.amdhsa_exception_fp_ieee_invalid_op 0
		.amdhsa_exception_fp_denorm_src 0
		.amdhsa_exception_fp_ieee_div_zero 0
		.amdhsa_exception_fp_ieee_overflow 0
		.amdhsa_exception_fp_ieee_underflow 0
		.amdhsa_exception_fp_ieee_inexact 0
		.amdhsa_exception_int_div_zero 0
	.end_amdhsa_kernel
	.section	.text._ZN7rocprim17ROCPRIM_400000_NS6detail17trampoline_kernelINS0_14default_configENS1_25partition_config_selectorILNS1_17partition_subalgoE0EjNS0_10empty_typeEbEEZZNS1_14partition_implILS5_0ELb0ES3_jN6thrust23THRUST_200600_302600_NS6detail15normal_iteratorINSA_10device_ptrIjEEEEPS6_SG_NS0_5tupleIJSF_SF_EEENSH_IJSG_SG_EEES6_PlJ7is_evenIjEEEE10hipError_tPvRmT3_T4_T5_T6_T7_T9_mT8_P12ihipStream_tbDpT10_ENKUlT_T0_E_clISt17integral_constantIbLb1EES15_IbLb0EEEEDaS11_S12_EUlS11_E_NS1_11comp_targetILNS1_3genE5ELNS1_11target_archE942ELNS1_3gpuE9ELNS1_3repE0EEENS1_30default_config_static_selectorELNS0_4arch9wavefront6targetE1EEEvT1_,"axG",@progbits,_ZN7rocprim17ROCPRIM_400000_NS6detail17trampoline_kernelINS0_14default_configENS1_25partition_config_selectorILNS1_17partition_subalgoE0EjNS0_10empty_typeEbEEZZNS1_14partition_implILS5_0ELb0ES3_jN6thrust23THRUST_200600_302600_NS6detail15normal_iteratorINSA_10device_ptrIjEEEEPS6_SG_NS0_5tupleIJSF_SF_EEENSH_IJSG_SG_EEES6_PlJ7is_evenIjEEEE10hipError_tPvRmT3_T4_T5_T6_T7_T9_mT8_P12ihipStream_tbDpT10_ENKUlT_T0_E_clISt17integral_constantIbLb1EES15_IbLb0EEEEDaS11_S12_EUlS11_E_NS1_11comp_targetILNS1_3genE5ELNS1_11target_archE942ELNS1_3gpuE9ELNS1_3repE0EEENS1_30default_config_static_selectorELNS0_4arch9wavefront6targetE1EEEvT1_,comdat
.Lfunc_end2154:
	.size	_ZN7rocprim17ROCPRIM_400000_NS6detail17trampoline_kernelINS0_14default_configENS1_25partition_config_selectorILNS1_17partition_subalgoE0EjNS0_10empty_typeEbEEZZNS1_14partition_implILS5_0ELb0ES3_jN6thrust23THRUST_200600_302600_NS6detail15normal_iteratorINSA_10device_ptrIjEEEEPS6_SG_NS0_5tupleIJSF_SF_EEENSH_IJSG_SG_EEES6_PlJ7is_evenIjEEEE10hipError_tPvRmT3_T4_T5_T6_T7_T9_mT8_P12ihipStream_tbDpT10_ENKUlT_T0_E_clISt17integral_constantIbLb1EES15_IbLb0EEEEDaS11_S12_EUlS11_E_NS1_11comp_targetILNS1_3genE5ELNS1_11target_archE942ELNS1_3gpuE9ELNS1_3repE0EEENS1_30default_config_static_selectorELNS0_4arch9wavefront6targetE1EEEvT1_, .Lfunc_end2154-_ZN7rocprim17ROCPRIM_400000_NS6detail17trampoline_kernelINS0_14default_configENS1_25partition_config_selectorILNS1_17partition_subalgoE0EjNS0_10empty_typeEbEEZZNS1_14partition_implILS5_0ELb0ES3_jN6thrust23THRUST_200600_302600_NS6detail15normal_iteratorINSA_10device_ptrIjEEEEPS6_SG_NS0_5tupleIJSF_SF_EEENSH_IJSG_SG_EEES6_PlJ7is_evenIjEEEE10hipError_tPvRmT3_T4_T5_T6_T7_T9_mT8_P12ihipStream_tbDpT10_ENKUlT_T0_E_clISt17integral_constantIbLb1EES15_IbLb0EEEEDaS11_S12_EUlS11_E_NS1_11comp_targetILNS1_3genE5ELNS1_11target_archE942ELNS1_3gpuE9ELNS1_3repE0EEENS1_30default_config_static_selectorELNS0_4arch9wavefront6targetE1EEEvT1_
                                        ; -- End function
	.section	.AMDGPU.csdata,"",@progbits
; Kernel info:
; codeLenInByte = 0
; NumSgprs: 4
; NumVgprs: 0
; NumAgprs: 0
; TotalNumVgprs: 0
; ScratchSize: 0
; MemoryBound: 0
; FloatMode: 240
; IeeeMode: 1
; LDSByteSize: 0 bytes/workgroup (compile time only)
; SGPRBlocks: 0
; VGPRBlocks: 0
; NumSGPRsForWavesPerEU: 4
; NumVGPRsForWavesPerEU: 1
; AccumOffset: 4
; Occupancy: 8
; WaveLimiterHint : 0
; COMPUTE_PGM_RSRC2:SCRATCH_EN: 0
; COMPUTE_PGM_RSRC2:USER_SGPR: 6
; COMPUTE_PGM_RSRC2:TRAP_HANDLER: 0
; COMPUTE_PGM_RSRC2:TGID_X_EN: 1
; COMPUTE_PGM_RSRC2:TGID_Y_EN: 0
; COMPUTE_PGM_RSRC2:TGID_Z_EN: 0
; COMPUTE_PGM_RSRC2:TIDIG_COMP_CNT: 0
; COMPUTE_PGM_RSRC3_GFX90A:ACCUM_OFFSET: 0
; COMPUTE_PGM_RSRC3_GFX90A:TG_SPLIT: 0
	.section	.text._ZN7rocprim17ROCPRIM_400000_NS6detail17trampoline_kernelINS0_14default_configENS1_25partition_config_selectorILNS1_17partition_subalgoE0EjNS0_10empty_typeEbEEZZNS1_14partition_implILS5_0ELb0ES3_jN6thrust23THRUST_200600_302600_NS6detail15normal_iteratorINSA_10device_ptrIjEEEEPS6_SG_NS0_5tupleIJSF_SF_EEENSH_IJSG_SG_EEES6_PlJ7is_evenIjEEEE10hipError_tPvRmT3_T4_T5_T6_T7_T9_mT8_P12ihipStream_tbDpT10_ENKUlT_T0_E_clISt17integral_constantIbLb1EES15_IbLb0EEEEDaS11_S12_EUlS11_E_NS1_11comp_targetILNS1_3genE4ELNS1_11target_archE910ELNS1_3gpuE8ELNS1_3repE0EEENS1_30default_config_static_selectorELNS0_4arch9wavefront6targetE1EEEvT1_,"axG",@progbits,_ZN7rocprim17ROCPRIM_400000_NS6detail17trampoline_kernelINS0_14default_configENS1_25partition_config_selectorILNS1_17partition_subalgoE0EjNS0_10empty_typeEbEEZZNS1_14partition_implILS5_0ELb0ES3_jN6thrust23THRUST_200600_302600_NS6detail15normal_iteratorINSA_10device_ptrIjEEEEPS6_SG_NS0_5tupleIJSF_SF_EEENSH_IJSG_SG_EEES6_PlJ7is_evenIjEEEE10hipError_tPvRmT3_T4_T5_T6_T7_T9_mT8_P12ihipStream_tbDpT10_ENKUlT_T0_E_clISt17integral_constantIbLb1EES15_IbLb0EEEEDaS11_S12_EUlS11_E_NS1_11comp_targetILNS1_3genE4ELNS1_11target_archE910ELNS1_3gpuE8ELNS1_3repE0EEENS1_30default_config_static_selectorELNS0_4arch9wavefront6targetE1EEEvT1_,comdat
	.protected	_ZN7rocprim17ROCPRIM_400000_NS6detail17trampoline_kernelINS0_14default_configENS1_25partition_config_selectorILNS1_17partition_subalgoE0EjNS0_10empty_typeEbEEZZNS1_14partition_implILS5_0ELb0ES3_jN6thrust23THRUST_200600_302600_NS6detail15normal_iteratorINSA_10device_ptrIjEEEEPS6_SG_NS0_5tupleIJSF_SF_EEENSH_IJSG_SG_EEES6_PlJ7is_evenIjEEEE10hipError_tPvRmT3_T4_T5_T6_T7_T9_mT8_P12ihipStream_tbDpT10_ENKUlT_T0_E_clISt17integral_constantIbLb1EES15_IbLb0EEEEDaS11_S12_EUlS11_E_NS1_11comp_targetILNS1_3genE4ELNS1_11target_archE910ELNS1_3gpuE8ELNS1_3repE0EEENS1_30default_config_static_selectorELNS0_4arch9wavefront6targetE1EEEvT1_ ; -- Begin function _ZN7rocprim17ROCPRIM_400000_NS6detail17trampoline_kernelINS0_14default_configENS1_25partition_config_selectorILNS1_17partition_subalgoE0EjNS0_10empty_typeEbEEZZNS1_14partition_implILS5_0ELb0ES3_jN6thrust23THRUST_200600_302600_NS6detail15normal_iteratorINSA_10device_ptrIjEEEEPS6_SG_NS0_5tupleIJSF_SF_EEENSH_IJSG_SG_EEES6_PlJ7is_evenIjEEEE10hipError_tPvRmT3_T4_T5_T6_T7_T9_mT8_P12ihipStream_tbDpT10_ENKUlT_T0_E_clISt17integral_constantIbLb1EES15_IbLb0EEEEDaS11_S12_EUlS11_E_NS1_11comp_targetILNS1_3genE4ELNS1_11target_archE910ELNS1_3gpuE8ELNS1_3repE0EEENS1_30default_config_static_selectorELNS0_4arch9wavefront6targetE1EEEvT1_
	.globl	_ZN7rocprim17ROCPRIM_400000_NS6detail17trampoline_kernelINS0_14default_configENS1_25partition_config_selectorILNS1_17partition_subalgoE0EjNS0_10empty_typeEbEEZZNS1_14partition_implILS5_0ELb0ES3_jN6thrust23THRUST_200600_302600_NS6detail15normal_iteratorINSA_10device_ptrIjEEEEPS6_SG_NS0_5tupleIJSF_SF_EEENSH_IJSG_SG_EEES6_PlJ7is_evenIjEEEE10hipError_tPvRmT3_T4_T5_T6_T7_T9_mT8_P12ihipStream_tbDpT10_ENKUlT_T0_E_clISt17integral_constantIbLb1EES15_IbLb0EEEEDaS11_S12_EUlS11_E_NS1_11comp_targetILNS1_3genE4ELNS1_11target_archE910ELNS1_3gpuE8ELNS1_3repE0EEENS1_30default_config_static_selectorELNS0_4arch9wavefront6targetE1EEEvT1_
	.p2align	8
	.type	_ZN7rocprim17ROCPRIM_400000_NS6detail17trampoline_kernelINS0_14default_configENS1_25partition_config_selectorILNS1_17partition_subalgoE0EjNS0_10empty_typeEbEEZZNS1_14partition_implILS5_0ELb0ES3_jN6thrust23THRUST_200600_302600_NS6detail15normal_iteratorINSA_10device_ptrIjEEEEPS6_SG_NS0_5tupleIJSF_SF_EEENSH_IJSG_SG_EEES6_PlJ7is_evenIjEEEE10hipError_tPvRmT3_T4_T5_T6_T7_T9_mT8_P12ihipStream_tbDpT10_ENKUlT_T0_E_clISt17integral_constantIbLb1EES15_IbLb0EEEEDaS11_S12_EUlS11_E_NS1_11comp_targetILNS1_3genE4ELNS1_11target_archE910ELNS1_3gpuE8ELNS1_3repE0EEENS1_30default_config_static_selectorELNS0_4arch9wavefront6targetE1EEEvT1_,@function
_ZN7rocprim17ROCPRIM_400000_NS6detail17trampoline_kernelINS0_14default_configENS1_25partition_config_selectorILNS1_17partition_subalgoE0EjNS0_10empty_typeEbEEZZNS1_14partition_implILS5_0ELb0ES3_jN6thrust23THRUST_200600_302600_NS6detail15normal_iteratorINSA_10device_ptrIjEEEEPS6_SG_NS0_5tupleIJSF_SF_EEENSH_IJSG_SG_EEES6_PlJ7is_evenIjEEEE10hipError_tPvRmT3_T4_T5_T6_T7_T9_mT8_P12ihipStream_tbDpT10_ENKUlT_T0_E_clISt17integral_constantIbLb1EES15_IbLb0EEEEDaS11_S12_EUlS11_E_NS1_11comp_targetILNS1_3genE4ELNS1_11target_archE910ELNS1_3gpuE8ELNS1_3repE0EEENS1_30default_config_static_selectorELNS0_4arch9wavefront6targetE1EEEvT1_: ; @_ZN7rocprim17ROCPRIM_400000_NS6detail17trampoline_kernelINS0_14default_configENS1_25partition_config_selectorILNS1_17partition_subalgoE0EjNS0_10empty_typeEbEEZZNS1_14partition_implILS5_0ELb0ES3_jN6thrust23THRUST_200600_302600_NS6detail15normal_iteratorINSA_10device_ptrIjEEEEPS6_SG_NS0_5tupleIJSF_SF_EEENSH_IJSG_SG_EEES6_PlJ7is_evenIjEEEE10hipError_tPvRmT3_T4_T5_T6_T7_T9_mT8_P12ihipStream_tbDpT10_ENKUlT_T0_E_clISt17integral_constantIbLb1EES15_IbLb0EEEEDaS11_S12_EUlS11_E_NS1_11comp_targetILNS1_3genE4ELNS1_11target_archE910ELNS1_3gpuE8ELNS1_3repE0EEENS1_30default_config_static_selectorELNS0_4arch9wavefront6targetE1EEEvT1_
; %bb.0:
	s_load_dwordx2 s[0:1], s[4:5], 0x58
	s_load_dwordx4 s[20:23], s[4:5], 0x8
	s_load_dwordx4 s[24:27], s[4:5], 0x48
	s_load_dword s7, s[4:5], 0x70
	s_mul_i32 s8, s6, 0xa00
	s_waitcnt lgkmcnt(0)
	v_mov_b32_e32 v3, s1
	s_lshl_b64 s[2:3], s[22:23], 2
	s_add_u32 s10, s20, s2
	s_mul_i32 s1, s7, 0xa00
	s_addc_u32 s11, s21, s3
	s_add_i32 s3, s1, s22
	s_sub_i32 s33, s0, s3
	s_add_i32 s2, s7, -1
	s_addk_i32 s33, 0xa00
	v_mov_b32_e32 v2, s0
	s_add_u32 s0, s22, s1
	s_addc_u32 s1, s23, 0
	s_cmp_eq_u32 s6, s2
	s_load_dwordx2 s[30:31], s[26:27], 0x0
	s_cselect_b64 s[26:27], -1, 0
	s_cmp_lg_u32 s6, s2
	s_mov_b32 s9, 0
	v_cmp_lt_u64_e32 vcc, s[0:1], v[2:3]
	s_cselect_b64 s[0:1], -1, 0
	s_or_b64 s[2:3], s[0:1], vcc
	s_lshl_b64 s[28:29], s[8:9], 2
	s_add_u32 s7, s10, s28
	s_addc_u32 s10, s11, s29
	s_mov_b64 s[0:1], -1
	s_and_b64 vcc, exec, s[2:3]
	v_lshlrev_b32_e32 v1, 2, v0
	s_cbranch_vccz .LBB2155_2
; %bb.1:
	v_mov_b32_e32 v3, s10
	v_add_co_u32_e32 v2, vcc, s7, v1
	v_addc_co_u32_e32 v3, vcc, 0, v3, vcc
	v_add_co_u32_e32 v4, vcc, 0x1000, v2
	v_addc_co_u32_e32 v5, vcc, 0, v3, vcc
	flat_load_dword v6, v[2:3]
	flat_load_dword v7, v[2:3] offset:1024
	flat_load_dword v8, v[2:3] offset:2048
	;; [unrolled: 1-line block ×3, first 2 shown]
	flat_load_dword v10, v[4:5]
	flat_load_dword v11, v[4:5] offset:1024
	flat_load_dword v12, v[4:5] offset:2048
	;; [unrolled: 1-line block ×3, first 2 shown]
	v_add_co_u32_e32 v2, vcc, 0x2000, v2
	v_addc_co_u32_e32 v3, vcc, 0, v3, vcc
	flat_load_dword v4, v[2:3]
	flat_load_dword v5, v[2:3] offset:1024
	s_mov_b64 s[0:1], 0
	s_waitcnt vmcnt(0) lgkmcnt(0)
	ds_write2st64_b32 v1, v6, v7 offset1:4
	ds_write2st64_b32 v1, v8, v9 offset0:8 offset1:12
	ds_write2st64_b32 v1, v10, v11 offset0:16 offset1:20
	;; [unrolled: 1-line block ×4, first 2 shown]
	s_waitcnt lgkmcnt(0)
	s_barrier
.LBB2155_2:
	s_andn2_b64 vcc, exec, s[0:1]
	v_cmp_gt_u32_e64 s[0:1], s33, v0
	s_cbranch_vccnz .LBB2155_24
; %bb.3:
                                        ; implicit-def: $vgpr2_vgpr3_vgpr4_vgpr5_vgpr6_vgpr7_vgpr8_vgpr9_vgpr10_vgpr11
	s_and_saveexec_b64 s[8:9], s[0:1]
	s_cbranch_execz .LBB2155_5
; %bb.4:
	v_mov_b32_e32 v3, s10
	v_add_co_u32_e32 v2, vcc, s7, v1
	v_addc_co_u32_e32 v3, vcc, 0, v3, vcc
	flat_load_dword v2, v[2:3]
.LBB2155_5:
	s_or_b64 exec, exec, s[8:9]
	v_or_b32_e32 v12, 0x100, v0
	v_cmp_gt_u32_e32 vcc, s33, v12
	s_and_saveexec_b64 s[0:1], vcc
	s_cbranch_execz .LBB2155_7
; %bb.6:
	v_mov_b32_e32 v3, s10
	v_add_co_u32_e32 v12, vcc, s7, v1
	v_addc_co_u32_e32 v13, vcc, 0, v3, vcc
	flat_load_dword v3, v[12:13] offset:1024
.LBB2155_7:
	s_or_b64 exec, exec, s[0:1]
	v_or_b32_e32 v12, 0x200, v0
	v_cmp_gt_u32_e32 vcc, s33, v12
	s_and_saveexec_b64 s[0:1], vcc
	s_cbranch_execz .LBB2155_9
; %bb.8:
	v_mov_b32_e32 v4, s10
	v_add_co_u32_e32 v12, vcc, s7, v1
	v_addc_co_u32_e32 v13, vcc, 0, v4, vcc
	flat_load_dword v4, v[12:13] offset:2048
.LBB2155_9:
	;; [unrolled: 11-line block ×3, first 2 shown]
	s_or_b64 exec, exec, s[0:1]
	v_or_b32_e32 v12, 0x400, v0
	v_cmp_gt_u32_e32 vcc, s33, v12
	s_and_saveexec_b64 s[0:1], vcc
	s_cbranch_execz .LBB2155_13
; %bb.12:
	v_lshlrev_b32_e32 v6, 2, v12
	v_mov_b32_e32 v13, s10
	v_add_co_u32_e32 v12, vcc, s7, v6
	v_addc_co_u32_e32 v13, vcc, 0, v13, vcc
	flat_load_dword v6, v[12:13]
.LBB2155_13:
	s_or_b64 exec, exec, s[0:1]
	v_or_b32_e32 v12, 0x500, v0
	v_cmp_gt_u32_e32 vcc, s33, v12
	s_and_saveexec_b64 s[0:1], vcc
	s_cbranch_execz .LBB2155_15
; %bb.14:
	v_lshlrev_b32_e32 v7, 2, v12
	v_mov_b32_e32 v13, s10
	v_add_co_u32_e32 v12, vcc, s7, v7
	v_addc_co_u32_e32 v13, vcc, 0, v13, vcc
	flat_load_dword v7, v[12:13]
.LBB2155_15:
	;; [unrolled: 12-line block ×6, first 2 shown]
	s_or_b64 exec, exec, s[0:1]
	s_waitcnt vmcnt(0) lgkmcnt(0)
	ds_write2st64_b32 v1, v2, v3 offset1:4
	ds_write2st64_b32 v1, v4, v5 offset0:8 offset1:12
	ds_write2st64_b32 v1, v6, v7 offset0:16 offset1:20
	;; [unrolled: 1-line block ×4, first 2 shown]
	s_waitcnt lgkmcnt(0)
	s_barrier
.LBB2155_24:
	v_mul_u32_u24_e32 v23, 10, v0
	v_lshlrev_b32_e32 v29, 2, v23
	s_waitcnt lgkmcnt(0)
	ds_read2_b64 v[6:9], v29 offset1:1
	ds_read2_b64 v[2:5], v29 offset0:2 offset1:3
	ds_read_b64 v[10:11], v29 offset:32
	v_cndmask_b32_e64 v12, 0, 1, s[2:3]
	v_cmp_ne_u32_e64 s[0:1], 1, v12
	s_andn2_b64 vcc, exec, s[2:3]
	s_waitcnt lgkmcnt(2)
	v_xor_b32_e32 v21, -1, v6
	v_xor_b32_e32 v20, -1, v7
	v_xor_b32_e32 v19, -1, v8
	v_xor_b32_e32 v18, -1, v9
	s_waitcnt lgkmcnt(1)
	v_xor_b32_e32 v17, -1, v2
	v_xor_b32_e32 v16, -1, v3
	;; [unrolled: 1-line block ×4, first 2 shown]
	s_waitcnt lgkmcnt(0)
	v_xor_b32_e32 v13, -1, v10
	v_xor_b32_e32 v12, -1, v11
	s_barrier
	s_cbranch_vccnz .LBB2155_26
; %bb.25:
	v_mov_b32_e32 v22, 1
	v_and_b32_e32 v25, 1, v21
	v_and_b32_sdwa v26, v20, v22 dst_sel:BYTE_1 dst_unused:UNUSED_PAD src0_sel:DWORD src1_sel:DWORD
	v_and_b32_e32 v27, 1, v19
	v_and_b32_sdwa v28, v18, v22 dst_sel:BYTE_1 dst_unused:UNUSED_PAD src0_sel:DWORD src1_sel:DWORD
	;; [unrolled: 2-line block ×4, first 2 shown]
	v_or_b32_e32 v25, v25, v26
	v_or_b32_sdwa v26, v27, v28 dst_sel:WORD_1 dst_unused:UNUSED_PAD src0_sel:DWORD src1_sel:DWORD
	v_or_b32_sdwa v26, v25, v26 dst_sel:DWORD dst_unused:UNUSED_PAD src0_sel:WORD_0 src1_sel:DWORD
	v_or_b32_e32 v25, v30, v31
	v_or_b32_sdwa v27, v32, v33 dst_sel:WORD_1 dst_unused:UNUSED_PAD src0_sel:DWORD src1_sel:DWORD
	v_and_b32_e32 v24, 1, v13
	v_and_b32_e32 v22, 1, v12
	v_or_b32_sdwa v25, v25, v27 dst_sel:DWORD dst_unused:UNUSED_PAD src0_sel:WORD_0 src1_sel:DWORD
	s_load_dwordx2 s[34:35], s[4:5], 0x68
	s_cbranch_execz .LBB2155_27
	s_branch .LBB2155_28
.LBB2155_26:
                                        ; implicit-def: $vgpr22
                                        ; implicit-def: $vgpr24
                                        ; implicit-def: $vgpr25
                                        ; implicit-def: $vgpr26
	s_load_dwordx2 s[34:35], s[4:5], 0x68
.LBB2155_27:
	v_or_b32_e32 v32, 1, v23
	v_cmp_gt_u32_e32 vcc, s33, v23
	v_add_u32_e32 v22, 2, v23
	v_cndmask_b32_e64 v33, 0, 1, vcc
	v_cmp_gt_u32_e32 vcc, s33, v32
	v_add_u32_e32 v31, 3, v23
	v_cndmask_b32_e64 v32, 0, 1, vcc
	;; [unrolled: 3-line block ×3, first 2 shown]
	v_cmp_gt_u32_e32 vcc, s33, v31
	v_add_u32_e32 v30, 5, v23
	v_and_b32_e32 v19, v22, v19
	v_cndmask_b32_e64 v22, 0, 1, vcc
	v_cmp_gt_u32_e32 vcc, s33, v24
	v_add_u32_e32 v25, 6, v23
	v_and_b32_sdwa v18, v22, v18 dst_sel:BYTE_1 dst_unused:UNUSED_PAD src0_sel:DWORD src1_sel:DWORD
	v_cndmask_b32_e64 v22, 0, 1, vcc
	v_cmp_gt_u32_e32 vcc, s33, v30
	v_add_u32_e32 v28, 7, v23
	v_and_b32_e32 v17, v22, v17
	v_cndmask_b32_e64 v22, 0, 1, vcc
	v_cmp_gt_u32_e32 vcc, s33, v25
	v_add_u32_e32 v26, 8, v23
	v_and_b32_sdwa v16, v22, v16 dst_sel:BYTE_1 dst_unused:UNUSED_PAD src0_sel:DWORD src1_sel:DWORD
	v_cndmask_b32_e64 v22, 0, 1, vcc
	v_cmp_gt_u32_e32 vcc, s33, v28
	v_add_u32_e32 v27, 9, v23
	v_and_b32_e32 v15, v22, v15
	v_cndmask_b32_e64 v22, 0, 1, vcc
	v_cmp_gt_u32_e32 vcc, s33, v26
	v_and_b32_sdwa v14, v22, v14 dst_sel:BYTE_1 dst_unused:UNUSED_PAD src0_sel:DWORD src1_sel:DWORD
	v_cndmask_b32_e64 v22, 0, 1, vcc
	v_cmp_gt_u32_e32 vcc, s33, v27
	v_and_b32_e32 v21, v33, v21
	v_and_b32_sdwa v20, v32, v20 dst_sel:BYTE_1 dst_unused:UNUSED_PAD src0_sel:DWORD src1_sel:DWORD
	v_and_b32_e32 v24, v22, v13
	v_cndmask_b32_e64 v13, 0, 1, vcc
	v_and_b32_e32 v22, v13, v12
	v_or_b32_e32 v12, v21, v20
	v_or_b32_sdwa v13, v19, v18 dst_sel:WORD_1 dst_unused:UNUSED_PAD src0_sel:DWORD src1_sel:DWORD
	v_or_b32_sdwa v26, v12, v13 dst_sel:DWORD dst_unused:UNUSED_PAD src0_sel:WORD_0 src1_sel:DWORD
	v_or_b32_e32 v12, v17, v16
	v_or_b32_sdwa v13, v15, v14 dst_sel:WORD_1 dst_unused:UNUSED_PAD src0_sel:DWORD src1_sel:DWORD
	v_or_b32_sdwa v25, v12, v13 dst_sel:DWORD dst_unused:UNUSED_PAD src0_sel:WORD_0 src1_sel:DWORD
.LBB2155_28:
	v_bfe_u32 v30, v26, 16, 8
	v_lshrrev_b32_e32 v28, 24, v26
	v_add_u32_sdwa v13, v26, v26 dst_sel:DWORD dst_unused:UNUSED_PAD src0_sel:BYTE_1 src1_sel:BYTE_0
	v_and_b32_e32 v31, 0xff, v25
	v_bfe_u32 v32, v25, 8, 8
	v_add3_u32 v13, v13, v30, v28
	v_bfe_u32 v33, v25, 16, 8
	v_lshrrev_b32_e32 v27, 24, v25
	v_add3_u32 v13, v13, v31, v32
	v_and_b32_e32 v34, 0xff, v24
	v_and_b32_e32 v12, 0xff, v22
	v_add3_u32 v13, v13, v33, v27
	v_add3_u32 v37, v13, v34, v12
	v_mbcnt_lo_u32_b32 v12, -1, 0
	v_mbcnt_hi_u32_b32 v35, -1, v12
	v_and_b32_e32 v12, 15, v35
	v_cmp_eq_u32_e64 s[16:17], 0, v12
	v_cmp_lt_u32_e64 s[14:15], 1, v12
	v_cmp_lt_u32_e64 s[12:13], 3, v12
	;; [unrolled: 1-line block ×3, first 2 shown]
	v_and_b32_e32 v12, 16, v35
	v_cmp_eq_u32_e64 s[8:9], 0, v12
	v_or_b32_e32 v12, 63, v0
	s_cmp_lg_u32 s6, 0
	v_cmp_lt_u32_e64 s[2:3], 31, v35
	v_lshrrev_b32_e32 v36, 6, v0
	v_cmp_eq_u32_e64 s[20:21], v12, v0
	s_cbranch_scc0 .LBB2155_59
; %bb.29:
	v_mov_b32_dpp v12, v37 row_shr:1 row_mask:0xf bank_mask:0xf
	v_cndmask_b32_e64 v12, v12, 0, s[16:17]
	v_add_u32_e32 v12, v12, v37
	s_nop 1
	v_mov_b32_dpp v13, v12 row_shr:2 row_mask:0xf bank_mask:0xf
	v_cndmask_b32_e64 v13, 0, v13, s[14:15]
	v_add_u32_e32 v12, v12, v13
	s_nop 1
	;; [unrolled: 4-line block ×4, first 2 shown]
	v_mov_b32_dpp v13, v12 row_bcast:15 row_mask:0xf bank_mask:0xf
	v_cndmask_b32_e64 v13, v13, 0, s[8:9]
	v_add_u32_e32 v12, v12, v13
	s_nop 1
	v_mov_b32_dpp v13, v12 row_bcast:31 row_mask:0xf bank_mask:0xf
	v_cndmask_b32_e64 v13, 0, v13, s[2:3]
	v_add_u32_e32 v12, v12, v13
	s_and_saveexec_b64 s[18:19], s[20:21]
	s_cbranch_execz .LBB2155_31
; %bb.30:
	v_lshlrev_b32_e32 v13, 2, v36
	ds_write_b32 v13, v12
.LBB2155_31:
	s_or_b64 exec, exec, s[18:19]
	v_cmp_gt_u32_e32 vcc, 4, v0
	s_waitcnt lgkmcnt(0)
	s_barrier
	s_and_saveexec_b64 s[18:19], vcc
	s_cbranch_execz .LBB2155_33
; %bb.32:
	ds_read_b32 v13, v1
	v_and_b32_e32 v14, 3, v35
	v_cmp_ne_u32_e32 vcc, 0, v14
	s_waitcnt lgkmcnt(0)
	v_mov_b32_dpp v15, v13 row_shr:1 row_mask:0xf bank_mask:0xf
	v_cndmask_b32_e32 v15, 0, v15, vcc
	v_add_u32_e32 v13, v15, v13
	v_cmp_lt_u32_e32 vcc, 1, v14
	s_nop 0
	v_mov_b32_dpp v15, v13 row_shr:2 row_mask:0xf bank_mask:0xf
	v_cndmask_b32_e32 v14, 0, v15, vcc
	v_add_u32_e32 v13, v13, v14
	ds_write_b32 v1, v13
.LBB2155_33:
	s_or_b64 exec, exec, s[18:19]
	v_cmp_gt_u32_e32 vcc, 64, v0
	v_cmp_lt_u32_e64 s[18:19], 63, v0
	s_waitcnt lgkmcnt(0)
	s_barrier
	s_waitcnt lgkmcnt(0)
                                        ; implicit-def: $vgpr38
	s_and_saveexec_b64 s[36:37], s[18:19]
	s_cbranch_execz .LBB2155_35
; %bb.34:
	v_lshl_add_u32 v13, v36, 2, -4
	ds_read_b32 v38, v13
	s_waitcnt lgkmcnt(0)
	v_add_u32_e32 v12, v38, v12
.LBB2155_35:
	s_or_b64 exec, exec, s[36:37]
	v_add_u32_e32 v13, -1, v35
	v_and_b32_e32 v14, 64, v35
	v_cmp_lt_i32_e64 s[18:19], v13, v14
	v_cndmask_b32_e64 v13, v13, v35, s[18:19]
	v_lshlrev_b32_e32 v13, 2, v13
	ds_bpermute_b32 v39, v13, v12
	v_cmp_eq_u32_e64 s[18:19], 0, v35
	s_and_saveexec_b64 s[36:37], vcc
	s_cbranch_execz .LBB2155_58
; %bb.36:
	v_mov_b32_e32 v21, 0
	ds_read_b32 v12, v21 offset:12
	s_and_saveexec_b64 s[38:39], s[18:19]
	s_cbranch_execz .LBB2155_38
; %bb.37:
	s_add_i32 s40, s6, 64
	s_mov_b32 s41, 0
	s_lshl_b64 s[40:41], s[40:41], 3
	s_add_u32 s40, s34, s40
	v_mov_b32_e32 v13, 1
	s_addc_u32 s41, s35, s41
	s_waitcnt lgkmcnt(0)
	global_store_dwordx2 v21, v[12:13], s[40:41]
.LBB2155_38:
	s_or_b64 exec, exec, s[38:39]
	v_xad_u32 v14, v35, -1, s6
	v_add_u32_e32 v20, 64, v14
	v_lshlrev_b64 v[16:17], 3, v[20:21]
	v_mov_b32_e32 v13, s35
	v_add_co_u32_e32 v16, vcc, s34, v16
	v_addc_co_u32_e32 v17, vcc, v13, v17, vcc
	global_load_dwordx2 v[18:19], v[16:17], off glc
	s_waitcnt vmcnt(0)
	v_cmp_eq_u16_sdwa s[40:41], v19, v21 src0_sel:BYTE_0 src1_sel:DWORD
	s_and_saveexec_b64 s[38:39], s[40:41]
	s_cbranch_execz .LBB2155_44
; %bb.39:
	s_mov_b32 s7, 1
	s_mov_b64 s[40:41], 0
	v_mov_b32_e32 v13, 0
.LBB2155_40:                            ; =>This Loop Header: Depth=1
                                        ;     Child Loop BB2155_41 Depth 2
	s_max_u32 s42, s7, 1
.LBB2155_41:                            ;   Parent Loop BB2155_40 Depth=1
                                        ; =>  This Inner Loop Header: Depth=2
	s_add_i32 s42, s42, -1
	s_cmp_eq_u32 s42, 0
	s_sleep 1
	s_cbranch_scc0 .LBB2155_41
; %bb.42:                               ;   in Loop: Header=BB2155_40 Depth=1
	global_load_dwordx2 v[18:19], v[16:17], off glc
	s_cmp_lt_u32 s7, 32
	s_cselect_b64 s[42:43], -1, 0
	s_cmp_lg_u64 s[42:43], 0
	s_addc_u32 s7, s7, 0
	s_waitcnt vmcnt(0)
	v_cmp_ne_u16_sdwa s[42:43], v19, v13 src0_sel:BYTE_0 src1_sel:DWORD
	s_or_b64 s[40:41], s[42:43], s[40:41]
	s_andn2_b64 exec, exec, s[40:41]
	s_cbranch_execnz .LBB2155_40
; %bb.43:
	s_or_b64 exec, exec, s[40:41]
.LBB2155_44:
	s_or_b64 exec, exec, s[38:39]
	v_and_b32_e32 v41, 63, v35
	v_mov_b32_e32 v40, 2
	v_cmp_ne_u32_e32 vcc, 63, v41
	v_cmp_eq_u16_sdwa s[38:39], v19, v40 src0_sel:BYTE_0 src1_sel:DWORD
	v_lshlrev_b64 v[16:17], v35, -1
	v_addc_co_u32_e32 v20, vcc, 0, v35, vcc
	v_and_b32_e32 v13, s39, v17
	v_lshlrev_b32_e32 v42, 2, v20
	v_or_b32_e32 v13, 0x80000000, v13
	ds_bpermute_b32 v20, v42, v18
	v_and_b32_e32 v15, s38, v16
	v_ffbl_b32_e32 v13, v13
	v_add_u32_e32 v13, 32, v13
	v_ffbl_b32_e32 v15, v15
	v_min_u32_e32 v13, v15, v13
	v_cmp_lt_u32_e32 vcc, v41, v13
	s_waitcnt lgkmcnt(0)
	v_cndmask_b32_e32 v15, 0, v20, vcc
	v_cmp_gt_u32_e32 vcc, 62, v41
	v_add_u32_e32 v15, v15, v18
	v_cndmask_b32_e64 v18, 0, 1, vcc
	v_lshlrev_b32_e32 v18, 1, v18
	v_add_lshl_u32 v43, v18, v35, 2
	ds_bpermute_b32 v18, v43, v15
	v_add_u32_e32 v44, 2, v41
	v_cmp_le_u32_e32 vcc, v44, v13
	v_add_u32_e32 v46, 4, v41
	v_add_u32_e32 v48, 8, v41
	s_waitcnt lgkmcnt(0)
	v_cndmask_b32_e32 v18, 0, v18, vcc
	v_cmp_gt_u32_e32 vcc, 60, v41
	v_add_u32_e32 v15, v15, v18
	v_cndmask_b32_e64 v18, 0, 1, vcc
	v_lshlrev_b32_e32 v18, 2, v18
	v_add_lshl_u32 v45, v18, v35, 2
	ds_bpermute_b32 v18, v45, v15
	v_cmp_le_u32_e32 vcc, v46, v13
	v_add_u32_e32 v50, 16, v41
	v_add_u32_e32 v52, 32, v41
	s_waitcnt lgkmcnt(0)
	v_cndmask_b32_e32 v18, 0, v18, vcc
	v_cmp_gt_u32_e32 vcc, 56, v41
	v_add_u32_e32 v15, v15, v18
	v_cndmask_b32_e64 v18, 0, 1, vcc
	v_lshlrev_b32_e32 v18, 3, v18
	v_add_lshl_u32 v47, v18, v35, 2
	ds_bpermute_b32 v18, v47, v15
	v_cmp_le_u32_e32 vcc, v48, v13
	s_waitcnt lgkmcnt(0)
	v_cndmask_b32_e32 v18, 0, v18, vcc
	v_cmp_gt_u32_e32 vcc, 48, v41
	v_add_u32_e32 v15, v15, v18
	v_cndmask_b32_e64 v18, 0, 1, vcc
	v_lshlrev_b32_e32 v18, 4, v18
	v_add_lshl_u32 v49, v18, v35, 2
	ds_bpermute_b32 v18, v49, v15
	v_cmp_le_u32_e32 vcc, v50, v13
	;; [unrolled: 9-line block ×3, first 2 shown]
	s_waitcnt lgkmcnt(0)
	v_cndmask_b32_e32 v13, 0, v18, vcc
	v_add_u32_e32 v18, v15, v13
	v_mov_b32_e32 v15, 0
	s_branch .LBB2155_46
.LBB2155_45:                            ;   in Loop: Header=BB2155_46 Depth=1
	s_or_b64 exec, exec, s[38:39]
	v_cmp_eq_u16_sdwa s[38:39], v19, v40 src0_sel:BYTE_0 src1_sel:DWORD
	v_and_b32_e32 v20, s39, v17
	v_or_b32_e32 v20, 0x80000000, v20
	ds_bpermute_b32 v53, v42, v18
	v_and_b32_e32 v21, s38, v16
	v_ffbl_b32_e32 v20, v20
	v_add_u32_e32 v20, 32, v20
	v_ffbl_b32_e32 v21, v21
	v_min_u32_e32 v20, v21, v20
	v_cmp_lt_u32_e32 vcc, v41, v20
	s_waitcnt lgkmcnt(0)
	v_cndmask_b32_e32 v21, 0, v53, vcc
	v_add_u32_e32 v18, v21, v18
	ds_bpermute_b32 v21, v43, v18
	v_cmp_le_u32_e32 vcc, v44, v20
	v_subrev_u32_e32 v14, 64, v14
	s_waitcnt lgkmcnt(0)
	v_cndmask_b32_e32 v21, 0, v21, vcc
	v_add_u32_e32 v18, v18, v21
	ds_bpermute_b32 v21, v45, v18
	v_cmp_le_u32_e32 vcc, v46, v20
	s_waitcnt lgkmcnt(0)
	v_cndmask_b32_e32 v21, 0, v21, vcc
	v_add_u32_e32 v18, v18, v21
	ds_bpermute_b32 v21, v47, v18
	v_cmp_le_u32_e32 vcc, v48, v20
	;; [unrolled: 5-line block ×4, first 2 shown]
	s_waitcnt lgkmcnt(0)
	v_cndmask_b32_e32 v20, 0, v21, vcc
	v_add3_u32 v18, v20, v13, v18
.LBB2155_46:                            ; =>This Loop Header: Depth=1
                                        ;     Child Loop BB2155_49 Depth 2
                                        ;       Child Loop BB2155_50 Depth 3
	v_cmp_ne_u16_sdwa s[38:39], v19, v40 src0_sel:BYTE_0 src1_sel:DWORD
	v_cndmask_b32_e64 v13, 0, 1, s[38:39]
	;;#ASMSTART
	;;#ASMEND
	v_cmp_ne_u32_e32 vcc, 0, v13
	s_cmp_lg_u64 vcc, exec
	v_mov_b32_e32 v13, v18
	s_cbranch_scc1 .LBB2155_53
; %bb.47:                               ;   in Loop: Header=BB2155_46 Depth=1
	v_lshlrev_b64 v[18:19], 3, v[14:15]
	v_mov_b32_e32 v21, s35
	v_add_co_u32_e32 v20, vcc, s34, v18
	v_addc_co_u32_e32 v21, vcc, v21, v19, vcc
	global_load_dwordx2 v[18:19], v[20:21], off glc
	s_waitcnt vmcnt(0)
	v_cmp_eq_u16_sdwa s[40:41], v19, v15 src0_sel:BYTE_0 src1_sel:DWORD
	s_and_saveexec_b64 s[38:39], s[40:41]
	s_cbranch_execz .LBB2155_45
; %bb.48:                               ;   in Loop: Header=BB2155_46 Depth=1
	s_mov_b32 s7, 1
	s_mov_b64 s[40:41], 0
.LBB2155_49:                            ;   Parent Loop BB2155_46 Depth=1
                                        ; =>  This Loop Header: Depth=2
                                        ;       Child Loop BB2155_50 Depth 3
	s_max_u32 s42, s7, 1
.LBB2155_50:                            ;   Parent Loop BB2155_46 Depth=1
                                        ;     Parent Loop BB2155_49 Depth=2
                                        ; =>    This Inner Loop Header: Depth=3
	s_add_i32 s42, s42, -1
	s_cmp_eq_u32 s42, 0
	s_sleep 1
	s_cbranch_scc0 .LBB2155_50
; %bb.51:                               ;   in Loop: Header=BB2155_49 Depth=2
	global_load_dwordx2 v[18:19], v[20:21], off glc
	s_cmp_lt_u32 s7, 32
	s_cselect_b64 s[42:43], -1, 0
	s_cmp_lg_u64 s[42:43], 0
	s_addc_u32 s7, s7, 0
	s_waitcnt vmcnt(0)
	v_cmp_ne_u16_sdwa s[42:43], v19, v15 src0_sel:BYTE_0 src1_sel:DWORD
	s_or_b64 s[40:41], s[42:43], s[40:41]
	s_andn2_b64 exec, exec, s[40:41]
	s_cbranch_execnz .LBB2155_49
; %bb.52:                               ;   in Loop: Header=BB2155_46 Depth=1
	s_or_b64 exec, exec, s[40:41]
	s_branch .LBB2155_45
.LBB2155_53:                            ;   in Loop: Header=BB2155_46 Depth=1
                                        ; implicit-def: $vgpr18
                                        ; implicit-def: $vgpr19
	s_cbranch_execz .LBB2155_46
; %bb.54:
	s_and_saveexec_b64 s[38:39], s[18:19]
	s_cbranch_execz .LBB2155_56
; %bb.55:
	s_add_i32 s6, s6, 64
	s_mov_b32 s7, 0
	s_lshl_b64 s[6:7], s[6:7], 3
	s_add_u32 s6, s34, s6
	v_add_u32_e32 v14, v13, v12
	v_mov_b32_e32 v15, 2
	s_addc_u32 s7, s35, s7
	v_mov_b32_e32 v16, 0
	global_store_dwordx2 v16, v[14:15], s[6:7]
	ds_write_b64 v16, v[12:13] offset:10240
.LBB2155_56:
	s_or_b64 exec, exec, s[38:39]
	v_cmp_eq_u32_e32 vcc, 0, v0
	s_and_b64 exec, exec, vcc
	s_cbranch_execz .LBB2155_58
; %bb.57:
	v_mov_b32_e32 v12, 0
	ds_write_b32 v12, v13 offset:12
.LBB2155_58:
	s_or_b64 exec, exec, s[36:37]
	v_mov_b32_e32 v12, 0
	s_waitcnt lgkmcnt(0)
	s_barrier
	ds_read_b32 v13, v12 offset:12
	v_cndmask_b32_e64 v14, v39, v38, s[18:19]
	v_cmp_ne_u32_e32 vcc, 0, v0
	v_cndmask_b32_e32 v14, 0, v14, vcc
	s_waitcnt lgkmcnt(0)
	v_add_u32_e32 v39, v13, v14
	v_add_u32_sdwa v38, v39, v26 dst_sel:DWORD dst_unused:UNUSED_PAD src0_sel:DWORD src1_sel:BYTE_0
	v_add_u32_sdwa v21, v38, v26 dst_sel:DWORD dst_unused:UNUSED_PAD src0_sel:DWORD src1_sel:BYTE_1
	v_add_u32_e32 v20, v21, v30
	v_add_u32_e32 v19, v20, v28
	;; [unrolled: 1-line block ×3, first 2 shown]
	s_barrier
	ds_read_b64 v[12:13], v12 offset:10240
	v_add_u32_e32 v17, v18, v32
	v_add_u32_e32 v16, v17, v33
	;; [unrolled: 1-line block ×4, first 2 shown]
	s_branch .LBB2155_69
.LBB2155_59:
                                        ; implicit-def: $vgpr13
                                        ; implicit-def: $vgpr14
                                        ; implicit-def: $vgpr15
                                        ; implicit-def: $vgpr16
                                        ; implicit-def: $vgpr17
                                        ; implicit-def: $vgpr18
                                        ; implicit-def: $vgpr19
                                        ; implicit-def: $vgpr20
                                        ; implicit-def: $vgpr21
                                        ; implicit-def: $vgpr38
                                        ; implicit-def: $vgpr39
	s_cbranch_execz .LBB2155_69
; %bb.60:
	s_waitcnt lgkmcnt(0)
	v_mov_b32_dpp v12, v37 row_shr:1 row_mask:0xf bank_mask:0xf
	v_cndmask_b32_e64 v12, v12, 0, s[16:17]
	v_add_u32_e32 v12, v12, v37
	s_nop 1
	v_mov_b32_dpp v13, v12 row_shr:2 row_mask:0xf bank_mask:0xf
	v_cndmask_b32_e64 v13, 0, v13, s[14:15]
	v_add_u32_e32 v12, v12, v13
	s_nop 1
	v_mov_b32_dpp v13, v12 row_shr:4 row_mask:0xf bank_mask:0xf
	v_cndmask_b32_e64 v13, 0, v13, s[12:13]
	v_add_u32_e32 v12, v12, v13
	s_nop 1
	v_mov_b32_dpp v13, v12 row_shr:8 row_mask:0xf bank_mask:0xf
	v_cndmask_b32_e64 v13, 0, v13, s[10:11]
	v_add_u32_e32 v12, v12, v13
	s_nop 1
	v_mov_b32_dpp v13, v12 row_bcast:15 row_mask:0xf bank_mask:0xf
	v_cndmask_b32_e64 v13, v13, 0, s[8:9]
	v_add_u32_e32 v12, v12, v13
	s_nop 1
	v_mov_b32_dpp v13, v12 row_bcast:31 row_mask:0xf bank_mask:0xf
	v_cndmask_b32_e64 v13, 0, v13, s[2:3]
	v_add_u32_e32 v12, v12, v13
	s_and_saveexec_b64 s[2:3], s[20:21]
	s_cbranch_execz .LBB2155_62
; %bb.61:
	v_lshlrev_b32_e32 v13, 2, v36
	ds_write_b32 v13, v12
.LBB2155_62:
	s_or_b64 exec, exec, s[2:3]
	v_cmp_gt_u32_e32 vcc, 4, v0
	s_waitcnt lgkmcnt(0)
	s_barrier
	s_and_saveexec_b64 s[2:3], vcc
	s_cbranch_execz .LBB2155_64
; %bb.63:
	s_movk_i32 s6, 0xffdc
	v_mad_i32_i24 v13, v0, s6, v29
	ds_read_b32 v14, v13
	v_and_b32_e32 v15, 3, v35
	v_cmp_ne_u32_e32 vcc, 0, v15
	s_waitcnt lgkmcnt(0)
	v_mov_b32_dpp v16, v14 row_shr:1 row_mask:0xf bank_mask:0xf
	v_cndmask_b32_e32 v16, 0, v16, vcc
	v_add_u32_e32 v14, v16, v14
	v_cmp_lt_u32_e32 vcc, 1, v15
	s_nop 0
	v_mov_b32_dpp v16, v14 row_shr:2 row_mask:0xf bank_mask:0xf
	v_cndmask_b32_e32 v15, 0, v16, vcc
	v_add_u32_e32 v14, v14, v15
	ds_write_b32 v13, v14
.LBB2155_64:
	s_or_b64 exec, exec, s[2:3]
	v_cmp_lt_u32_e32 vcc, 63, v0
	v_mov_b32_e32 v13, 0
	v_mov_b32_e32 v14, 0
	s_waitcnt lgkmcnt(0)
	s_barrier
	s_and_saveexec_b64 s[2:3], vcc
	s_cbranch_execz .LBB2155_66
; %bb.65:
	v_lshl_add_u32 v14, v36, 2, -4
	ds_read_b32 v14, v14
.LBB2155_66:
	s_or_b64 exec, exec, s[2:3]
	v_add_u32_e32 v15, -1, v35
	v_and_b32_e32 v16, 64, v35
	v_cmp_lt_i32_e32 vcc, v15, v16
	v_cndmask_b32_e32 v15, v15, v35, vcc
	s_waitcnt lgkmcnt(0)
	v_add_u32_e32 v12, v14, v12
	v_lshlrev_b32_e32 v15, 2, v15
	ds_bpermute_b32 v15, v15, v12
	ds_read_b32 v12, v13 offset:12
	v_cmp_eq_u32_e32 vcc, 0, v0
	s_and_saveexec_b64 s[2:3], vcc
	s_cbranch_execz .LBB2155_68
; %bb.67:
	v_mov_b32_e32 v16, 0
	v_mov_b32_e32 v13, 2
	s_waitcnt lgkmcnt(0)
	global_store_dwordx2 v16, v[12:13], s[34:35] offset:512
.LBB2155_68:
	s_or_b64 exec, exec, s[2:3]
	v_cmp_eq_u32_e64 s[2:3], 0, v35
	s_waitcnt lgkmcnt(1)
	v_cndmask_b32_e64 v14, v15, v14, s[2:3]
	v_cndmask_b32_e64 v39, v14, 0, vcc
	v_add_u32_sdwa v38, v39, v26 dst_sel:DWORD dst_unused:UNUSED_PAD src0_sel:DWORD src1_sel:BYTE_0
	v_add_u32_sdwa v21, v38, v26 dst_sel:DWORD dst_unused:UNUSED_PAD src0_sel:DWORD src1_sel:BYTE_1
	v_add_u32_e32 v20, v21, v30
	v_add_u32_e32 v19, v20, v28
	v_add_u32_e32 v18, v19, v31
	v_add_u32_e32 v17, v18, v32
	v_add_u32_e32 v16, v17, v33
	v_add_u32_e32 v15, v16, v27
	v_mov_b32_e32 v13, 0
	v_add_u32_e32 v14, v15, v34
	s_waitcnt lgkmcnt(0)
	s_barrier
.LBB2155_69:
	s_waitcnt lgkmcnt(0)
	v_add_u32_e32 v23, v12, v23
	v_sub_u32_e32 v31, v39, v13
	v_and_b32_e32 v33, 1, v26
	v_sub_u32_e32 v32, v23, v31
	v_cmp_eq_u32_e32 vcc, 1, v33
	v_cndmask_b32_e32 v31, v32, v31, vcc
	v_lshlrev_b32_e32 v31, 2, v31
	v_lshrrev_b32_e32 v30, 8, v26
	ds_write_b32 v31, v6
	v_sub_u32_e32 v6, v38, v13
	v_sub_u32_e32 v31, v23, v6
	v_and_b32_e32 v30, 1, v30
	v_add_u32_e32 v31, 1, v31
	v_cmp_eq_u32_e32 vcc, 1, v30
	v_cndmask_b32_e32 v6, v31, v6, vcc
	v_lshlrev_b32_e32 v6, 2, v6
	ds_write_b32 v6, v7
	v_sub_u32_e32 v6, v21, v13
	v_mov_b32_e32 v21, 1
	v_sub_u32_e32 v7, v23, v6
	v_and_b32_sdwa v26, v21, v26 dst_sel:DWORD dst_unused:UNUSED_PAD src0_sel:DWORD src1_sel:WORD_1
	v_add_u32_e32 v7, 2, v7
	v_cmp_eq_u32_e32 vcc, 1, v26
	v_cndmask_b32_e32 v6, v7, v6, vcc
	v_lshlrev_b32_e32 v6, 2, v6
	ds_write_b32 v6, v8
	v_sub_u32_e32 v6, v20, v13
	v_sub_u32_e32 v7, v23, v6
	v_and_b32_e32 v8, 1, v28
	v_add_u32_e32 v7, 3, v7
	v_cmp_eq_u32_e32 vcc, 1, v8
	v_cndmask_b32_e32 v6, v7, v6, vcc
	v_lshlrev_b32_e32 v6, 2, v6
	ds_write_b32 v6, v9
	v_sub_u32_e32 v6, v19, v13
	v_sub_u32_e32 v7, v23, v6
	v_and_b32_e32 v8, 1, v25
	v_add_u32_e32 v7, 4, v7
	v_cmp_eq_u32_e32 vcc, 1, v8
	v_cndmask_b32_e32 v6, v7, v6, vcc
	v_lshlrev_b32_e32 v6, 2, v6
	v_lshrrev_b32_e32 v29, 8, v25
	ds_write_b32 v6, v2
	v_sub_u32_e32 v2, v18, v13
	v_sub_u32_e32 v6, v23, v2
	v_and_b32_e32 v7, 1, v29
	v_add_u32_e32 v6, 5, v6
	v_cmp_eq_u32_e32 vcc, 1, v7
	v_cndmask_b32_e32 v2, v6, v2, vcc
	v_lshlrev_b32_e32 v2, 2, v2
	ds_write_b32 v2, v3
	v_sub_u32_e32 v2, v17, v13
	v_sub_u32_e32 v3, v23, v2
	v_and_b32_sdwa v6, v21, v25 dst_sel:DWORD dst_unused:UNUSED_PAD src0_sel:DWORD src1_sel:WORD_1
	v_add_u32_e32 v3, 6, v3
	v_cmp_eq_u32_e32 vcc, 1, v6
	v_cndmask_b32_e32 v2, v3, v2, vcc
	v_lshlrev_b32_e32 v2, 2, v2
	ds_write_b32 v2, v4
	v_sub_u32_e32 v2, v16, v13
	v_sub_u32_e32 v3, v23, v2
	v_and_b32_e32 v4, 1, v27
	v_add_u32_e32 v3, 7, v3
	v_cmp_eq_u32_e32 vcc, 1, v4
	v_cndmask_b32_e32 v2, v3, v2, vcc
	v_lshlrev_b32_e32 v2, 2, v2
	ds_write_b32 v2, v5
	v_sub_u32_e32 v2, v15, v13
	v_sub_u32_e32 v3, v23, v2
	v_and_b32_e32 v4, 1, v24
	;; [unrolled: 8-line block ×3, first 2 shown]
	v_add_u32_e32 v3, 9, v3
	v_cmp_eq_u32_e32 vcc, 1, v4
	v_cndmask_b32_e32 v2, v3, v2, vcc
	v_lshlrev_b32_e32 v2, 2, v2
	ds_write_b32 v2, v11
	v_mov_b32_e32 v2, s31
	v_add_co_u32_e32 v28, vcc, s30, v13
	v_addc_co_u32_e32 v29, vcc, 0, v2, vcc
	s_load_dwordx4 s[4:7], s[4:5], 0x28
	v_add_co_u32_e32 v2, vcc, v28, v12
	v_addc_co_u32_e32 v3, vcc, 0, v29, vcc
	v_mov_b32_e32 v13, s23
	v_sub_co_u32_e32 v18, vcc, s22, v2
	v_subb_co_u32_e32 v19, vcc, v13, v3, vcc
	v_lshlrev_b64 v[18:19], 2, v[18:19]
	s_waitcnt lgkmcnt(0)
	v_mov_b32_e32 v13, s7
	v_add_co_u32_e32 v18, vcc, s6, v18
	s_barrier
	ds_read2st64_b32 v[14:15], v1 offset1:4
	ds_read2st64_b32 v[10:11], v1 offset0:8 offset1:12
	ds_read2st64_b32 v[8:9], v1 offset0:16 offset1:20
	;; [unrolled: 1-line block ×4, first 2 shown]
	v_addc_co_u32_e32 v19, vcc, v13, v19, vcc
	v_mov_b32_e32 v20, s29
	v_add_co_u32_e32 v13, vcc, s28, v18
	v_addc_co_u32_e32 v18, vcc, v19, v20, vcc
	v_lshlrev_b64 v[28:29], 2, v[28:29]
	v_mov_b32_e32 v20, s5
	s_and_b64 vcc, exec, s[0:1]
	v_add_co_u32_e64 v19, s[0:1], s4, v28
	v_or_b32_e32 v27, 0x100, v0
	v_or_b32_e32 v26, 0x200, v0
	;; [unrolled: 1-line block ×9, first 2 shown]
	v_addc_co_u32_e64 v20, s[0:1], v20, v29, s[0:1]
	s_cbranch_vccnz .LBB2155_71
; %bb.70:
	v_cmp_gt_u32_e32 vcc, v12, v0
	v_cndmask_b32_e32 v28, v13, v19, vcc
	v_cndmask_b32_e32 v29, v18, v20, vcc
	v_add_co_u32_e32 v28, vcc, v28, v1
	v_addc_co_u32_e32 v29, vcc, 0, v29, vcc
	v_cmp_lt_u32_e32 vcc, v27, v12
	s_waitcnt lgkmcnt(4)
	global_store_dword v[28:29], v14, off
	v_cndmask_b32_e32 v28, v13, v19, vcc
	v_cndmask_b32_e32 v29, v18, v20, vcc
	v_add_co_u32_e32 v28, vcc, v28, v1
	v_addc_co_u32_e32 v29, vcc, 0, v29, vcc
	v_cmp_lt_u32_e32 vcc, v26, v12
	global_store_dword v[28:29], v15, off offset:1024
	v_cndmask_b32_e32 v28, v13, v19, vcc
	v_cndmask_b32_e32 v29, v18, v20, vcc
	v_add_co_u32_e32 v28, vcc, v28, v1
	v_addc_co_u32_e32 v29, vcc, 0, v29, vcc
	v_cmp_lt_u32_e32 vcc, v25, v12
	s_waitcnt lgkmcnt(3)
	global_store_dword v[28:29], v10, off offset:2048
	v_cndmask_b32_e32 v28, v13, v19, vcc
	v_cndmask_b32_e32 v29, v18, v20, vcc
	v_add_co_u32_e32 v28, vcc, v28, v1
	v_addc_co_u32_e32 v29, vcc, 0, v29, vcc
	v_cmp_lt_u32_e32 vcc, v24, v12
	global_store_dword v[28:29], v11, off offset:3072
	v_cndmask_b32_e32 v28, v13, v19, vcc
	v_lshlrev_b32_e32 v30, 2, v24
	v_cndmask_b32_e32 v29, v18, v20, vcc
	v_add_co_u32_e32 v28, vcc, v28, v30
	v_addc_co_u32_e32 v29, vcc, 0, v29, vcc
	v_cmp_lt_u32_e32 vcc, v23, v12
	s_waitcnt lgkmcnt(2)
	global_store_dword v[28:29], v8, off
	v_cndmask_b32_e32 v28, v13, v19, vcc
	v_lshlrev_b32_e32 v30, 2, v23
	v_cndmask_b32_e32 v29, v18, v20, vcc
	v_add_co_u32_e32 v28, vcc, v28, v30
	v_addc_co_u32_e32 v29, vcc, 0, v29, vcc
	v_cmp_lt_u32_e32 vcc, v22, v12
	global_store_dword v[28:29], v9, off
	v_cndmask_b32_e32 v28, v13, v19, vcc
	v_lshlrev_b32_e32 v30, 2, v22
	v_cndmask_b32_e32 v29, v18, v20, vcc
	v_add_co_u32_e32 v28, vcc, v28, v30
	v_addc_co_u32_e32 v29, vcc, 0, v29, vcc
	v_cmp_lt_u32_e32 vcc, v21, v12
	s_waitcnt lgkmcnt(1)
	global_store_dword v[28:29], v6, off
	v_cndmask_b32_e32 v28, v13, v19, vcc
	v_lshlrev_b32_e32 v30, 2, v21
	v_cndmask_b32_e32 v29, v18, v20, vcc
	v_add_co_u32_e32 v28, vcc, v28, v30
	v_addc_co_u32_e32 v29, vcc, 0, v29, vcc
	v_cmp_lt_u32_e32 vcc, v17, v12
	global_store_dword v[28:29], v7, off
	v_cndmask_b32_e32 v28, v13, v19, vcc
	v_lshlrev_b32_e32 v30, 2, v17
	v_cndmask_b32_e32 v29, v18, v20, vcc
	v_add_co_u32_e32 v28, vcc, v28, v30
	v_addc_co_u32_e32 v29, vcc, 0, v29, vcc
	s_mov_b64 s[0:1], -1
	s_waitcnt lgkmcnt(0)
	global_store_dword v[28:29], v4, off
	s_cbranch_execz .LBB2155_72
	s_branch .LBB2155_83
.LBB2155_71:
	s_mov_b64 s[0:1], 0
.LBB2155_72:
	v_cmp_gt_u32_e32 vcc, s33, v0
	s_and_saveexec_b64 s[0:1], vcc
	s_cbranch_execnz .LBB2155_88
; %bb.73:
	s_or_b64 exec, exec, s[0:1]
	v_cmp_gt_u32_e32 vcc, s33, v27
	s_and_saveexec_b64 s[0:1], vcc
	s_cbranch_execnz .LBB2155_89
.LBB2155_74:
	s_or_b64 exec, exec, s[0:1]
	v_cmp_gt_u32_e32 vcc, s33, v26
	s_and_saveexec_b64 s[0:1], vcc
	s_cbranch_execnz .LBB2155_90
.LBB2155_75:
	s_or_b64 exec, exec, s[0:1]
	v_cmp_gt_u32_e32 vcc, s33, v25
	s_and_saveexec_b64 s[0:1], vcc
	s_cbranch_execnz .LBB2155_91
.LBB2155_76:
	s_or_b64 exec, exec, s[0:1]
	v_cmp_gt_u32_e32 vcc, s33, v24
	s_and_saveexec_b64 s[0:1], vcc
	s_cbranch_execnz .LBB2155_92
.LBB2155_77:
	s_or_b64 exec, exec, s[0:1]
	v_cmp_gt_u32_e32 vcc, s33, v23
	s_and_saveexec_b64 s[0:1], vcc
	s_cbranch_execnz .LBB2155_93
.LBB2155_78:
	s_or_b64 exec, exec, s[0:1]
	v_cmp_gt_u32_e32 vcc, s33, v22
	s_and_saveexec_b64 s[0:1], vcc
	s_cbranch_execnz .LBB2155_94
.LBB2155_79:
	s_or_b64 exec, exec, s[0:1]
	v_cmp_gt_u32_e32 vcc, s33, v21
	s_and_saveexec_b64 s[0:1], vcc
	s_cbranch_execnz .LBB2155_95
.LBB2155_80:
	s_or_b64 exec, exec, s[0:1]
	v_cmp_gt_u32_e32 vcc, s33, v17
	s_and_saveexec_b64 s[0:1], vcc
	s_cbranch_execz .LBB2155_82
.LBB2155_81:
	v_cmp_lt_u32_e32 vcc, v17, v12
	s_waitcnt lgkmcnt(1)
	v_cndmask_b32_e32 v6, v13, v19, vcc
	v_lshlrev_b32_e32 v7, 2, v17
	v_cndmask_b32_e32 v1, v18, v20, vcc
	v_add_co_u32_e32 v6, vcc, v6, v7
	v_addc_co_u32_e32 v7, vcc, 0, v1, vcc
	s_waitcnt lgkmcnt(0)
	global_store_dword v[6:7], v4, off
.LBB2155_82:
	s_or_b64 exec, exec, s[0:1]
	v_cmp_gt_u32_e64 s[0:1], s33, v16
.LBB2155_83:
	s_and_saveexec_b64 s[2:3], s[0:1]
	s_cbranch_execz .LBB2155_85
; %bb.84:
	v_cmp_lt_u32_e32 vcc, v16, v12
	s_waitcnt lgkmcnt(0)
	v_cndmask_b32_e32 v4, v13, v19, vcc
	v_lshlrev_b32_e32 v6, 2, v16
	v_cndmask_b32_e32 v1, v18, v20, vcc
	v_add_co_u32_e32 v6, vcc, v4, v6
	v_addc_co_u32_e32 v7, vcc, 0, v1, vcc
	global_store_dword v[6:7], v5, off
.LBB2155_85:
	s_or_b64 exec, exec, s[2:3]
	v_cmp_eq_u32_e32 vcc, 0, v0
	s_and_b64 s[0:1], vcc, s[26:27]
	s_and_saveexec_b64 s[2:3], s[0:1]
	s_cbranch_execz .LBB2155_87
; %bb.86:
	v_mov_b32_e32 v0, 0
	global_store_dwordx2 v0, v[2:3], s[24:25]
.LBB2155_87:
	s_endpgm
.LBB2155_88:
	v_cmp_gt_u32_e32 vcc, v12, v0
	v_cndmask_b32_e32 v28, v13, v19, vcc
	v_cndmask_b32_e32 v29, v18, v20, vcc
	v_add_co_u32_e32 v28, vcc, v28, v1
	v_addc_co_u32_e32 v29, vcc, 0, v29, vcc
	s_waitcnt lgkmcnt(4)
	global_store_dword v[28:29], v14, off
	s_or_b64 exec, exec, s[0:1]
	v_cmp_gt_u32_e32 vcc, s33, v27
	s_and_saveexec_b64 s[0:1], vcc
	s_cbranch_execz .LBB2155_74
.LBB2155_89:
	v_cmp_lt_u32_e32 vcc, v27, v12
	v_cndmask_b32_e32 v27, v13, v19, vcc
	s_waitcnt lgkmcnt(4)
	v_cndmask_b32_e32 v14, v18, v20, vcc
	v_add_co_u32_e32 v28, vcc, v27, v1
	v_addc_co_u32_e32 v29, vcc, 0, v14, vcc
	global_store_dword v[28:29], v15, off offset:1024
	s_or_b64 exec, exec, s[0:1]
	v_cmp_gt_u32_e32 vcc, s33, v26
	s_and_saveexec_b64 s[0:1], vcc
	s_cbranch_execz .LBB2155_75
.LBB2155_90:
	v_cmp_lt_u32_e32 vcc, v26, v12
	s_waitcnt lgkmcnt(4)
	v_cndmask_b32_e32 v14, v13, v19, vcc
	v_cndmask_b32_e32 v15, v18, v20, vcc
	v_add_co_u32_e32 v14, vcc, v14, v1
	v_addc_co_u32_e32 v15, vcc, 0, v15, vcc
	s_waitcnt lgkmcnt(3)
	global_store_dword v[14:15], v10, off offset:2048
	s_or_b64 exec, exec, s[0:1]
	v_cmp_gt_u32_e32 vcc, s33, v25
	s_and_saveexec_b64 s[0:1], vcc
	s_cbranch_execz .LBB2155_76
.LBB2155_91:
	v_cmp_lt_u32_e32 vcc, v25, v12
	s_waitcnt lgkmcnt(4)
	v_cndmask_b32_e32 v14, v13, v19, vcc
	s_waitcnt lgkmcnt(3)
	v_cndmask_b32_e32 v10, v18, v20, vcc
	v_add_co_u32_e32 v14, vcc, v14, v1
	v_addc_co_u32_e32 v15, vcc, 0, v10, vcc
	global_store_dword v[14:15], v11, off offset:3072
	s_or_b64 exec, exec, s[0:1]
	v_cmp_gt_u32_e32 vcc, s33, v24
	s_and_saveexec_b64 s[0:1], vcc
	s_cbranch_execz .LBB2155_77
.LBB2155_92:
	v_cmp_lt_u32_e32 vcc, v24, v12
	s_waitcnt lgkmcnt(3)
	v_cndmask_b32_e32 v10, v13, v19, vcc
	v_lshlrev_b32_e32 v11, 2, v24
	v_cndmask_b32_e32 v1, v18, v20, vcc
	v_add_co_u32_e32 v10, vcc, v10, v11
	v_addc_co_u32_e32 v11, vcc, 0, v1, vcc
	s_waitcnt lgkmcnt(2)
	global_store_dword v[10:11], v8, off
	s_or_b64 exec, exec, s[0:1]
	v_cmp_gt_u32_e32 vcc, s33, v23
	s_and_saveexec_b64 s[0:1], vcc
	s_cbranch_execz .LBB2155_78
.LBB2155_93:
	v_cmp_lt_u32_e32 vcc, v23, v12
	s_waitcnt lgkmcnt(2)
	v_cndmask_b32_e32 v8, v13, v19, vcc
	v_lshlrev_b32_e32 v10, 2, v23
	v_cndmask_b32_e32 v1, v18, v20, vcc
	v_add_co_u32_e32 v10, vcc, v8, v10
	v_addc_co_u32_e32 v11, vcc, 0, v1, vcc
	global_store_dword v[10:11], v9, off
	s_or_b64 exec, exec, s[0:1]
	v_cmp_gt_u32_e32 vcc, s33, v22
	s_and_saveexec_b64 s[0:1], vcc
	s_cbranch_execz .LBB2155_79
.LBB2155_94:
	v_cmp_lt_u32_e32 vcc, v22, v12
	s_waitcnt lgkmcnt(2)
	v_cndmask_b32_e32 v8, v13, v19, vcc
	v_lshlrev_b32_e32 v9, 2, v22
	v_cndmask_b32_e32 v1, v18, v20, vcc
	v_add_co_u32_e32 v8, vcc, v8, v9
	v_addc_co_u32_e32 v9, vcc, 0, v1, vcc
	s_waitcnt lgkmcnt(1)
	global_store_dword v[8:9], v6, off
	s_or_b64 exec, exec, s[0:1]
	v_cmp_gt_u32_e32 vcc, s33, v21
	s_and_saveexec_b64 s[0:1], vcc
	s_cbranch_execz .LBB2155_80
.LBB2155_95:
	v_cmp_lt_u32_e32 vcc, v21, v12
	s_waitcnt lgkmcnt(1)
	v_cndmask_b32_e32 v6, v13, v19, vcc
	v_lshlrev_b32_e32 v8, 2, v21
	v_cndmask_b32_e32 v1, v18, v20, vcc
	v_add_co_u32_e32 v8, vcc, v6, v8
	v_addc_co_u32_e32 v9, vcc, 0, v1, vcc
	global_store_dword v[8:9], v7, off
	s_or_b64 exec, exec, s[0:1]
	v_cmp_gt_u32_e32 vcc, s33, v17
	s_and_saveexec_b64 s[0:1], vcc
	s_cbranch_execnz .LBB2155_81
	s_branch .LBB2155_82
	.section	.rodata,"a",@progbits
	.p2align	6, 0x0
	.amdhsa_kernel _ZN7rocprim17ROCPRIM_400000_NS6detail17trampoline_kernelINS0_14default_configENS1_25partition_config_selectorILNS1_17partition_subalgoE0EjNS0_10empty_typeEbEEZZNS1_14partition_implILS5_0ELb0ES3_jN6thrust23THRUST_200600_302600_NS6detail15normal_iteratorINSA_10device_ptrIjEEEEPS6_SG_NS0_5tupleIJSF_SF_EEENSH_IJSG_SG_EEES6_PlJ7is_evenIjEEEE10hipError_tPvRmT3_T4_T5_T6_T7_T9_mT8_P12ihipStream_tbDpT10_ENKUlT_T0_E_clISt17integral_constantIbLb1EES15_IbLb0EEEEDaS11_S12_EUlS11_E_NS1_11comp_targetILNS1_3genE4ELNS1_11target_archE910ELNS1_3gpuE8ELNS1_3repE0EEENS1_30default_config_static_selectorELNS0_4arch9wavefront6targetE1EEEvT1_
		.amdhsa_group_segment_fixed_size 10248
		.amdhsa_private_segment_fixed_size 0
		.amdhsa_kernarg_size 120
		.amdhsa_user_sgpr_count 6
		.amdhsa_user_sgpr_private_segment_buffer 1
		.amdhsa_user_sgpr_dispatch_ptr 0
		.amdhsa_user_sgpr_queue_ptr 0
		.amdhsa_user_sgpr_kernarg_segment_ptr 1
		.amdhsa_user_sgpr_dispatch_id 0
		.amdhsa_user_sgpr_flat_scratch_init 0
		.amdhsa_user_sgpr_kernarg_preload_length 0
		.amdhsa_user_sgpr_kernarg_preload_offset 0
		.amdhsa_user_sgpr_private_segment_size 0
		.amdhsa_uses_dynamic_stack 0
		.amdhsa_system_sgpr_private_segment_wavefront_offset 0
		.amdhsa_system_sgpr_workgroup_id_x 1
		.amdhsa_system_sgpr_workgroup_id_y 0
		.amdhsa_system_sgpr_workgroup_id_z 0
		.amdhsa_system_sgpr_workgroup_info 0
		.amdhsa_system_vgpr_workitem_id 0
		.amdhsa_next_free_vgpr 54
		.amdhsa_next_free_sgpr 44
		.amdhsa_accum_offset 56
		.amdhsa_reserve_vcc 1
		.amdhsa_reserve_flat_scratch 0
		.amdhsa_float_round_mode_32 0
		.amdhsa_float_round_mode_16_64 0
		.amdhsa_float_denorm_mode_32 3
		.amdhsa_float_denorm_mode_16_64 3
		.amdhsa_dx10_clamp 1
		.amdhsa_ieee_mode 1
		.amdhsa_fp16_overflow 0
		.amdhsa_tg_split 0
		.amdhsa_exception_fp_ieee_invalid_op 0
		.amdhsa_exception_fp_denorm_src 0
		.amdhsa_exception_fp_ieee_div_zero 0
		.amdhsa_exception_fp_ieee_overflow 0
		.amdhsa_exception_fp_ieee_underflow 0
		.amdhsa_exception_fp_ieee_inexact 0
		.amdhsa_exception_int_div_zero 0
	.end_amdhsa_kernel
	.section	.text._ZN7rocprim17ROCPRIM_400000_NS6detail17trampoline_kernelINS0_14default_configENS1_25partition_config_selectorILNS1_17partition_subalgoE0EjNS0_10empty_typeEbEEZZNS1_14partition_implILS5_0ELb0ES3_jN6thrust23THRUST_200600_302600_NS6detail15normal_iteratorINSA_10device_ptrIjEEEEPS6_SG_NS0_5tupleIJSF_SF_EEENSH_IJSG_SG_EEES6_PlJ7is_evenIjEEEE10hipError_tPvRmT3_T4_T5_T6_T7_T9_mT8_P12ihipStream_tbDpT10_ENKUlT_T0_E_clISt17integral_constantIbLb1EES15_IbLb0EEEEDaS11_S12_EUlS11_E_NS1_11comp_targetILNS1_3genE4ELNS1_11target_archE910ELNS1_3gpuE8ELNS1_3repE0EEENS1_30default_config_static_selectorELNS0_4arch9wavefront6targetE1EEEvT1_,"axG",@progbits,_ZN7rocprim17ROCPRIM_400000_NS6detail17trampoline_kernelINS0_14default_configENS1_25partition_config_selectorILNS1_17partition_subalgoE0EjNS0_10empty_typeEbEEZZNS1_14partition_implILS5_0ELb0ES3_jN6thrust23THRUST_200600_302600_NS6detail15normal_iteratorINSA_10device_ptrIjEEEEPS6_SG_NS0_5tupleIJSF_SF_EEENSH_IJSG_SG_EEES6_PlJ7is_evenIjEEEE10hipError_tPvRmT3_T4_T5_T6_T7_T9_mT8_P12ihipStream_tbDpT10_ENKUlT_T0_E_clISt17integral_constantIbLb1EES15_IbLb0EEEEDaS11_S12_EUlS11_E_NS1_11comp_targetILNS1_3genE4ELNS1_11target_archE910ELNS1_3gpuE8ELNS1_3repE0EEENS1_30default_config_static_selectorELNS0_4arch9wavefront6targetE1EEEvT1_,comdat
.Lfunc_end2155:
	.size	_ZN7rocprim17ROCPRIM_400000_NS6detail17trampoline_kernelINS0_14default_configENS1_25partition_config_selectorILNS1_17partition_subalgoE0EjNS0_10empty_typeEbEEZZNS1_14partition_implILS5_0ELb0ES3_jN6thrust23THRUST_200600_302600_NS6detail15normal_iteratorINSA_10device_ptrIjEEEEPS6_SG_NS0_5tupleIJSF_SF_EEENSH_IJSG_SG_EEES6_PlJ7is_evenIjEEEE10hipError_tPvRmT3_T4_T5_T6_T7_T9_mT8_P12ihipStream_tbDpT10_ENKUlT_T0_E_clISt17integral_constantIbLb1EES15_IbLb0EEEEDaS11_S12_EUlS11_E_NS1_11comp_targetILNS1_3genE4ELNS1_11target_archE910ELNS1_3gpuE8ELNS1_3repE0EEENS1_30default_config_static_selectorELNS0_4arch9wavefront6targetE1EEEvT1_, .Lfunc_end2155-_ZN7rocprim17ROCPRIM_400000_NS6detail17trampoline_kernelINS0_14default_configENS1_25partition_config_selectorILNS1_17partition_subalgoE0EjNS0_10empty_typeEbEEZZNS1_14partition_implILS5_0ELb0ES3_jN6thrust23THRUST_200600_302600_NS6detail15normal_iteratorINSA_10device_ptrIjEEEEPS6_SG_NS0_5tupleIJSF_SF_EEENSH_IJSG_SG_EEES6_PlJ7is_evenIjEEEE10hipError_tPvRmT3_T4_T5_T6_T7_T9_mT8_P12ihipStream_tbDpT10_ENKUlT_T0_E_clISt17integral_constantIbLb1EES15_IbLb0EEEEDaS11_S12_EUlS11_E_NS1_11comp_targetILNS1_3genE4ELNS1_11target_archE910ELNS1_3gpuE8ELNS1_3repE0EEENS1_30default_config_static_selectorELNS0_4arch9wavefront6targetE1EEEvT1_
                                        ; -- End function
	.section	.AMDGPU.csdata,"",@progbits
; Kernel info:
; codeLenInByte = 5128
; NumSgprs: 48
; NumVgprs: 54
; NumAgprs: 0
; TotalNumVgprs: 54
; ScratchSize: 0
; MemoryBound: 0
; FloatMode: 240
; IeeeMode: 1
; LDSByteSize: 10248 bytes/workgroup (compile time only)
; SGPRBlocks: 5
; VGPRBlocks: 6
; NumSGPRsForWavesPerEU: 48
; NumVGPRsForWavesPerEU: 54
; AccumOffset: 56
; Occupancy: 6
; WaveLimiterHint : 1
; COMPUTE_PGM_RSRC2:SCRATCH_EN: 0
; COMPUTE_PGM_RSRC2:USER_SGPR: 6
; COMPUTE_PGM_RSRC2:TRAP_HANDLER: 0
; COMPUTE_PGM_RSRC2:TGID_X_EN: 1
; COMPUTE_PGM_RSRC2:TGID_Y_EN: 0
; COMPUTE_PGM_RSRC2:TGID_Z_EN: 0
; COMPUTE_PGM_RSRC2:TIDIG_COMP_CNT: 0
; COMPUTE_PGM_RSRC3_GFX90A:ACCUM_OFFSET: 13
; COMPUTE_PGM_RSRC3_GFX90A:TG_SPLIT: 0
	.section	.text._ZN7rocprim17ROCPRIM_400000_NS6detail17trampoline_kernelINS0_14default_configENS1_25partition_config_selectorILNS1_17partition_subalgoE0EjNS0_10empty_typeEbEEZZNS1_14partition_implILS5_0ELb0ES3_jN6thrust23THRUST_200600_302600_NS6detail15normal_iteratorINSA_10device_ptrIjEEEEPS6_SG_NS0_5tupleIJSF_SF_EEENSH_IJSG_SG_EEES6_PlJ7is_evenIjEEEE10hipError_tPvRmT3_T4_T5_T6_T7_T9_mT8_P12ihipStream_tbDpT10_ENKUlT_T0_E_clISt17integral_constantIbLb1EES15_IbLb0EEEEDaS11_S12_EUlS11_E_NS1_11comp_targetILNS1_3genE3ELNS1_11target_archE908ELNS1_3gpuE7ELNS1_3repE0EEENS1_30default_config_static_selectorELNS0_4arch9wavefront6targetE1EEEvT1_,"axG",@progbits,_ZN7rocprim17ROCPRIM_400000_NS6detail17trampoline_kernelINS0_14default_configENS1_25partition_config_selectorILNS1_17partition_subalgoE0EjNS0_10empty_typeEbEEZZNS1_14partition_implILS5_0ELb0ES3_jN6thrust23THRUST_200600_302600_NS6detail15normal_iteratorINSA_10device_ptrIjEEEEPS6_SG_NS0_5tupleIJSF_SF_EEENSH_IJSG_SG_EEES6_PlJ7is_evenIjEEEE10hipError_tPvRmT3_T4_T5_T6_T7_T9_mT8_P12ihipStream_tbDpT10_ENKUlT_T0_E_clISt17integral_constantIbLb1EES15_IbLb0EEEEDaS11_S12_EUlS11_E_NS1_11comp_targetILNS1_3genE3ELNS1_11target_archE908ELNS1_3gpuE7ELNS1_3repE0EEENS1_30default_config_static_selectorELNS0_4arch9wavefront6targetE1EEEvT1_,comdat
	.protected	_ZN7rocprim17ROCPRIM_400000_NS6detail17trampoline_kernelINS0_14default_configENS1_25partition_config_selectorILNS1_17partition_subalgoE0EjNS0_10empty_typeEbEEZZNS1_14partition_implILS5_0ELb0ES3_jN6thrust23THRUST_200600_302600_NS6detail15normal_iteratorINSA_10device_ptrIjEEEEPS6_SG_NS0_5tupleIJSF_SF_EEENSH_IJSG_SG_EEES6_PlJ7is_evenIjEEEE10hipError_tPvRmT3_T4_T5_T6_T7_T9_mT8_P12ihipStream_tbDpT10_ENKUlT_T0_E_clISt17integral_constantIbLb1EES15_IbLb0EEEEDaS11_S12_EUlS11_E_NS1_11comp_targetILNS1_3genE3ELNS1_11target_archE908ELNS1_3gpuE7ELNS1_3repE0EEENS1_30default_config_static_selectorELNS0_4arch9wavefront6targetE1EEEvT1_ ; -- Begin function _ZN7rocprim17ROCPRIM_400000_NS6detail17trampoline_kernelINS0_14default_configENS1_25partition_config_selectorILNS1_17partition_subalgoE0EjNS0_10empty_typeEbEEZZNS1_14partition_implILS5_0ELb0ES3_jN6thrust23THRUST_200600_302600_NS6detail15normal_iteratorINSA_10device_ptrIjEEEEPS6_SG_NS0_5tupleIJSF_SF_EEENSH_IJSG_SG_EEES6_PlJ7is_evenIjEEEE10hipError_tPvRmT3_T4_T5_T6_T7_T9_mT8_P12ihipStream_tbDpT10_ENKUlT_T0_E_clISt17integral_constantIbLb1EES15_IbLb0EEEEDaS11_S12_EUlS11_E_NS1_11comp_targetILNS1_3genE3ELNS1_11target_archE908ELNS1_3gpuE7ELNS1_3repE0EEENS1_30default_config_static_selectorELNS0_4arch9wavefront6targetE1EEEvT1_
	.globl	_ZN7rocprim17ROCPRIM_400000_NS6detail17trampoline_kernelINS0_14default_configENS1_25partition_config_selectorILNS1_17partition_subalgoE0EjNS0_10empty_typeEbEEZZNS1_14partition_implILS5_0ELb0ES3_jN6thrust23THRUST_200600_302600_NS6detail15normal_iteratorINSA_10device_ptrIjEEEEPS6_SG_NS0_5tupleIJSF_SF_EEENSH_IJSG_SG_EEES6_PlJ7is_evenIjEEEE10hipError_tPvRmT3_T4_T5_T6_T7_T9_mT8_P12ihipStream_tbDpT10_ENKUlT_T0_E_clISt17integral_constantIbLb1EES15_IbLb0EEEEDaS11_S12_EUlS11_E_NS1_11comp_targetILNS1_3genE3ELNS1_11target_archE908ELNS1_3gpuE7ELNS1_3repE0EEENS1_30default_config_static_selectorELNS0_4arch9wavefront6targetE1EEEvT1_
	.p2align	8
	.type	_ZN7rocprim17ROCPRIM_400000_NS6detail17trampoline_kernelINS0_14default_configENS1_25partition_config_selectorILNS1_17partition_subalgoE0EjNS0_10empty_typeEbEEZZNS1_14partition_implILS5_0ELb0ES3_jN6thrust23THRUST_200600_302600_NS6detail15normal_iteratorINSA_10device_ptrIjEEEEPS6_SG_NS0_5tupleIJSF_SF_EEENSH_IJSG_SG_EEES6_PlJ7is_evenIjEEEE10hipError_tPvRmT3_T4_T5_T6_T7_T9_mT8_P12ihipStream_tbDpT10_ENKUlT_T0_E_clISt17integral_constantIbLb1EES15_IbLb0EEEEDaS11_S12_EUlS11_E_NS1_11comp_targetILNS1_3genE3ELNS1_11target_archE908ELNS1_3gpuE7ELNS1_3repE0EEENS1_30default_config_static_selectorELNS0_4arch9wavefront6targetE1EEEvT1_,@function
_ZN7rocprim17ROCPRIM_400000_NS6detail17trampoline_kernelINS0_14default_configENS1_25partition_config_selectorILNS1_17partition_subalgoE0EjNS0_10empty_typeEbEEZZNS1_14partition_implILS5_0ELb0ES3_jN6thrust23THRUST_200600_302600_NS6detail15normal_iteratorINSA_10device_ptrIjEEEEPS6_SG_NS0_5tupleIJSF_SF_EEENSH_IJSG_SG_EEES6_PlJ7is_evenIjEEEE10hipError_tPvRmT3_T4_T5_T6_T7_T9_mT8_P12ihipStream_tbDpT10_ENKUlT_T0_E_clISt17integral_constantIbLb1EES15_IbLb0EEEEDaS11_S12_EUlS11_E_NS1_11comp_targetILNS1_3genE3ELNS1_11target_archE908ELNS1_3gpuE7ELNS1_3repE0EEENS1_30default_config_static_selectorELNS0_4arch9wavefront6targetE1EEEvT1_: ; @_ZN7rocprim17ROCPRIM_400000_NS6detail17trampoline_kernelINS0_14default_configENS1_25partition_config_selectorILNS1_17partition_subalgoE0EjNS0_10empty_typeEbEEZZNS1_14partition_implILS5_0ELb0ES3_jN6thrust23THRUST_200600_302600_NS6detail15normal_iteratorINSA_10device_ptrIjEEEEPS6_SG_NS0_5tupleIJSF_SF_EEENSH_IJSG_SG_EEES6_PlJ7is_evenIjEEEE10hipError_tPvRmT3_T4_T5_T6_T7_T9_mT8_P12ihipStream_tbDpT10_ENKUlT_T0_E_clISt17integral_constantIbLb1EES15_IbLb0EEEEDaS11_S12_EUlS11_E_NS1_11comp_targetILNS1_3genE3ELNS1_11target_archE908ELNS1_3gpuE7ELNS1_3repE0EEENS1_30default_config_static_selectorELNS0_4arch9wavefront6targetE1EEEvT1_
; %bb.0:
	.section	.rodata,"a",@progbits
	.p2align	6, 0x0
	.amdhsa_kernel _ZN7rocprim17ROCPRIM_400000_NS6detail17trampoline_kernelINS0_14default_configENS1_25partition_config_selectorILNS1_17partition_subalgoE0EjNS0_10empty_typeEbEEZZNS1_14partition_implILS5_0ELb0ES3_jN6thrust23THRUST_200600_302600_NS6detail15normal_iteratorINSA_10device_ptrIjEEEEPS6_SG_NS0_5tupleIJSF_SF_EEENSH_IJSG_SG_EEES6_PlJ7is_evenIjEEEE10hipError_tPvRmT3_T4_T5_T6_T7_T9_mT8_P12ihipStream_tbDpT10_ENKUlT_T0_E_clISt17integral_constantIbLb1EES15_IbLb0EEEEDaS11_S12_EUlS11_E_NS1_11comp_targetILNS1_3genE3ELNS1_11target_archE908ELNS1_3gpuE7ELNS1_3repE0EEENS1_30default_config_static_selectorELNS0_4arch9wavefront6targetE1EEEvT1_
		.amdhsa_group_segment_fixed_size 0
		.amdhsa_private_segment_fixed_size 0
		.amdhsa_kernarg_size 120
		.amdhsa_user_sgpr_count 6
		.amdhsa_user_sgpr_private_segment_buffer 1
		.amdhsa_user_sgpr_dispatch_ptr 0
		.amdhsa_user_sgpr_queue_ptr 0
		.amdhsa_user_sgpr_kernarg_segment_ptr 1
		.amdhsa_user_sgpr_dispatch_id 0
		.amdhsa_user_sgpr_flat_scratch_init 0
		.amdhsa_user_sgpr_kernarg_preload_length 0
		.amdhsa_user_sgpr_kernarg_preload_offset 0
		.amdhsa_user_sgpr_private_segment_size 0
		.amdhsa_uses_dynamic_stack 0
		.amdhsa_system_sgpr_private_segment_wavefront_offset 0
		.amdhsa_system_sgpr_workgroup_id_x 1
		.amdhsa_system_sgpr_workgroup_id_y 0
		.amdhsa_system_sgpr_workgroup_id_z 0
		.amdhsa_system_sgpr_workgroup_info 0
		.amdhsa_system_vgpr_workitem_id 0
		.amdhsa_next_free_vgpr 1
		.amdhsa_next_free_sgpr 0
		.amdhsa_accum_offset 4
		.amdhsa_reserve_vcc 0
		.amdhsa_reserve_flat_scratch 0
		.amdhsa_float_round_mode_32 0
		.amdhsa_float_round_mode_16_64 0
		.amdhsa_float_denorm_mode_32 3
		.amdhsa_float_denorm_mode_16_64 3
		.amdhsa_dx10_clamp 1
		.amdhsa_ieee_mode 1
		.amdhsa_fp16_overflow 0
		.amdhsa_tg_split 0
		.amdhsa_exception_fp_ieee_invalid_op 0
		.amdhsa_exception_fp_denorm_src 0
		.amdhsa_exception_fp_ieee_div_zero 0
		.amdhsa_exception_fp_ieee_overflow 0
		.amdhsa_exception_fp_ieee_underflow 0
		.amdhsa_exception_fp_ieee_inexact 0
		.amdhsa_exception_int_div_zero 0
	.end_amdhsa_kernel
	.section	.text._ZN7rocprim17ROCPRIM_400000_NS6detail17trampoline_kernelINS0_14default_configENS1_25partition_config_selectorILNS1_17partition_subalgoE0EjNS0_10empty_typeEbEEZZNS1_14partition_implILS5_0ELb0ES3_jN6thrust23THRUST_200600_302600_NS6detail15normal_iteratorINSA_10device_ptrIjEEEEPS6_SG_NS0_5tupleIJSF_SF_EEENSH_IJSG_SG_EEES6_PlJ7is_evenIjEEEE10hipError_tPvRmT3_T4_T5_T6_T7_T9_mT8_P12ihipStream_tbDpT10_ENKUlT_T0_E_clISt17integral_constantIbLb1EES15_IbLb0EEEEDaS11_S12_EUlS11_E_NS1_11comp_targetILNS1_3genE3ELNS1_11target_archE908ELNS1_3gpuE7ELNS1_3repE0EEENS1_30default_config_static_selectorELNS0_4arch9wavefront6targetE1EEEvT1_,"axG",@progbits,_ZN7rocprim17ROCPRIM_400000_NS6detail17trampoline_kernelINS0_14default_configENS1_25partition_config_selectorILNS1_17partition_subalgoE0EjNS0_10empty_typeEbEEZZNS1_14partition_implILS5_0ELb0ES3_jN6thrust23THRUST_200600_302600_NS6detail15normal_iteratorINSA_10device_ptrIjEEEEPS6_SG_NS0_5tupleIJSF_SF_EEENSH_IJSG_SG_EEES6_PlJ7is_evenIjEEEE10hipError_tPvRmT3_T4_T5_T6_T7_T9_mT8_P12ihipStream_tbDpT10_ENKUlT_T0_E_clISt17integral_constantIbLb1EES15_IbLb0EEEEDaS11_S12_EUlS11_E_NS1_11comp_targetILNS1_3genE3ELNS1_11target_archE908ELNS1_3gpuE7ELNS1_3repE0EEENS1_30default_config_static_selectorELNS0_4arch9wavefront6targetE1EEEvT1_,comdat
.Lfunc_end2156:
	.size	_ZN7rocprim17ROCPRIM_400000_NS6detail17trampoline_kernelINS0_14default_configENS1_25partition_config_selectorILNS1_17partition_subalgoE0EjNS0_10empty_typeEbEEZZNS1_14partition_implILS5_0ELb0ES3_jN6thrust23THRUST_200600_302600_NS6detail15normal_iteratorINSA_10device_ptrIjEEEEPS6_SG_NS0_5tupleIJSF_SF_EEENSH_IJSG_SG_EEES6_PlJ7is_evenIjEEEE10hipError_tPvRmT3_T4_T5_T6_T7_T9_mT8_P12ihipStream_tbDpT10_ENKUlT_T0_E_clISt17integral_constantIbLb1EES15_IbLb0EEEEDaS11_S12_EUlS11_E_NS1_11comp_targetILNS1_3genE3ELNS1_11target_archE908ELNS1_3gpuE7ELNS1_3repE0EEENS1_30default_config_static_selectorELNS0_4arch9wavefront6targetE1EEEvT1_, .Lfunc_end2156-_ZN7rocprim17ROCPRIM_400000_NS6detail17trampoline_kernelINS0_14default_configENS1_25partition_config_selectorILNS1_17partition_subalgoE0EjNS0_10empty_typeEbEEZZNS1_14partition_implILS5_0ELb0ES3_jN6thrust23THRUST_200600_302600_NS6detail15normal_iteratorINSA_10device_ptrIjEEEEPS6_SG_NS0_5tupleIJSF_SF_EEENSH_IJSG_SG_EEES6_PlJ7is_evenIjEEEE10hipError_tPvRmT3_T4_T5_T6_T7_T9_mT8_P12ihipStream_tbDpT10_ENKUlT_T0_E_clISt17integral_constantIbLb1EES15_IbLb0EEEEDaS11_S12_EUlS11_E_NS1_11comp_targetILNS1_3genE3ELNS1_11target_archE908ELNS1_3gpuE7ELNS1_3repE0EEENS1_30default_config_static_selectorELNS0_4arch9wavefront6targetE1EEEvT1_
                                        ; -- End function
	.section	.AMDGPU.csdata,"",@progbits
; Kernel info:
; codeLenInByte = 0
; NumSgprs: 4
; NumVgprs: 0
; NumAgprs: 0
; TotalNumVgprs: 0
; ScratchSize: 0
; MemoryBound: 0
; FloatMode: 240
; IeeeMode: 1
; LDSByteSize: 0 bytes/workgroup (compile time only)
; SGPRBlocks: 0
; VGPRBlocks: 0
; NumSGPRsForWavesPerEU: 4
; NumVGPRsForWavesPerEU: 1
; AccumOffset: 4
; Occupancy: 8
; WaveLimiterHint : 0
; COMPUTE_PGM_RSRC2:SCRATCH_EN: 0
; COMPUTE_PGM_RSRC2:USER_SGPR: 6
; COMPUTE_PGM_RSRC2:TRAP_HANDLER: 0
; COMPUTE_PGM_RSRC2:TGID_X_EN: 1
; COMPUTE_PGM_RSRC2:TGID_Y_EN: 0
; COMPUTE_PGM_RSRC2:TGID_Z_EN: 0
; COMPUTE_PGM_RSRC2:TIDIG_COMP_CNT: 0
; COMPUTE_PGM_RSRC3_GFX90A:ACCUM_OFFSET: 0
; COMPUTE_PGM_RSRC3_GFX90A:TG_SPLIT: 0
	.section	.text._ZN7rocprim17ROCPRIM_400000_NS6detail17trampoline_kernelINS0_14default_configENS1_25partition_config_selectorILNS1_17partition_subalgoE0EjNS0_10empty_typeEbEEZZNS1_14partition_implILS5_0ELb0ES3_jN6thrust23THRUST_200600_302600_NS6detail15normal_iteratorINSA_10device_ptrIjEEEEPS6_SG_NS0_5tupleIJSF_SF_EEENSH_IJSG_SG_EEES6_PlJ7is_evenIjEEEE10hipError_tPvRmT3_T4_T5_T6_T7_T9_mT8_P12ihipStream_tbDpT10_ENKUlT_T0_E_clISt17integral_constantIbLb1EES15_IbLb0EEEEDaS11_S12_EUlS11_E_NS1_11comp_targetILNS1_3genE2ELNS1_11target_archE906ELNS1_3gpuE6ELNS1_3repE0EEENS1_30default_config_static_selectorELNS0_4arch9wavefront6targetE1EEEvT1_,"axG",@progbits,_ZN7rocprim17ROCPRIM_400000_NS6detail17trampoline_kernelINS0_14default_configENS1_25partition_config_selectorILNS1_17partition_subalgoE0EjNS0_10empty_typeEbEEZZNS1_14partition_implILS5_0ELb0ES3_jN6thrust23THRUST_200600_302600_NS6detail15normal_iteratorINSA_10device_ptrIjEEEEPS6_SG_NS0_5tupleIJSF_SF_EEENSH_IJSG_SG_EEES6_PlJ7is_evenIjEEEE10hipError_tPvRmT3_T4_T5_T6_T7_T9_mT8_P12ihipStream_tbDpT10_ENKUlT_T0_E_clISt17integral_constantIbLb1EES15_IbLb0EEEEDaS11_S12_EUlS11_E_NS1_11comp_targetILNS1_3genE2ELNS1_11target_archE906ELNS1_3gpuE6ELNS1_3repE0EEENS1_30default_config_static_selectorELNS0_4arch9wavefront6targetE1EEEvT1_,comdat
	.protected	_ZN7rocprim17ROCPRIM_400000_NS6detail17trampoline_kernelINS0_14default_configENS1_25partition_config_selectorILNS1_17partition_subalgoE0EjNS0_10empty_typeEbEEZZNS1_14partition_implILS5_0ELb0ES3_jN6thrust23THRUST_200600_302600_NS6detail15normal_iteratorINSA_10device_ptrIjEEEEPS6_SG_NS0_5tupleIJSF_SF_EEENSH_IJSG_SG_EEES6_PlJ7is_evenIjEEEE10hipError_tPvRmT3_T4_T5_T6_T7_T9_mT8_P12ihipStream_tbDpT10_ENKUlT_T0_E_clISt17integral_constantIbLb1EES15_IbLb0EEEEDaS11_S12_EUlS11_E_NS1_11comp_targetILNS1_3genE2ELNS1_11target_archE906ELNS1_3gpuE6ELNS1_3repE0EEENS1_30default_config_static_selectorELNS0_4arch9wavefront6targetE1EEEvT1_ ; -- Begin function _ZN7rocprim17ROCPRIM_400000_NS6detail17trampoline_kernelINS0_14default_configENS1_25partition_config_selectorILNS1_17partition_subalgoE0EjNS0_10empty_typeEbEEZZNS1_14partition_implILS5_0ELb0ES3_jN6thrust23THRUST_200600_302600_NS6detail15normal_iteratorINSA_10device_ptrIjEEEEPS6_SG_NS0_5tupleIJSF_SF_EEENSH_IJSG_SG_EEES6_PlJ7is_evenIjEEEE10hipError_tPvRmT3_T4_T5_T6_T7_T9_mT8_P12ihipStream_tbDpT10_ENKUlT_T0_E_clISt17integral_constantIbLb1EES15_IbLb0EEEEDaS11_S12_EUlS11_E_NS1_11comp_targetILNS1_3genE2ELNS1_11target_archE906ELNS1_3gpuE6ELNS1_3repE0EEENS1_30default_config_static_selectorELNS0_4arch9wavefront6targetE1EEEvT1_
	.globl	_ZN7rocprim17ROCPRIM_400000_NS6detail17trampoline_kernelINS0_14default_configENS1_25partition_config_selectorILNS1_17partition_subalgoE0EjNS0_10empty_typeEbEEZZNS1_14partition_implILS5_0ELb0ES3_jN6thrust23THRUST_200600_302600_NS6detail15normal_iteratorINSA_10device_ptrIjEEEEPS6_SG_NS0_5tupleIJSF_SF_EEENSH_IJSG_SG_EEES6_PlJ7is_evenIjEEEE10hipError_tPvRmT3_T4_T5_T6_T7_T9_mT8_P12ihipStream_tbDpT10_ENKUlT_T0_E_clISt17integral_constantIbLb1EES15_IbLb0EEEEDaS11_S12_EUlS11_E_NS1_11comp_targetILNS1_3genE2ELNS1_11target_archE906ELNS1_3gpuE6ELNS1_3repE0EEENS1_30default_config_static_selectorELNS0_4arch9wavefront6targetE1EEEvT1_
	.p2align	8
	.type	_ZN7rocprim17ROCPRIM_400000_NS6detail17trampoline_kernelINS0_14default_configENS1_25partition_config_selectorILNS1_17partition_subalgoE0EjNS0_10empty_typeEbEEZZNS1_14partition_implILS5_0ELb0ES3_jN6thrust23THRUST_200600_302600_NS6detail15normal_iteratorINSA_10device_ptrIjEEEEPS6_SG_NS0_5tupleIJSF_SF_EEENSH_IJSG_SG_EEES6_PlJ7is_evenIjEEEE10hipError_tPvRmT3_T4_T5_T6_T7_T9_mT8_P12ihipStream_tbDpT10_ENKUlT_T0_E_clISt17integral_constantIbLb1EES15_IbLb0EEEEDaS11_S12_EUlS11_E_NS1_11comp_targetILNS1_3genE2ELNS1_11target_archE906ELNS1_3gpuE6ELNS1_3repE0EEENS1_30default_config_static_selectorELNS0_4arch9wavefront6targetE1EEEvT1_,@function
_ZN7rocprim17ROCPRIM_400000_NS6detail17trampoline_kernelINS0_14default_configENS1_25partition_config_selectorILNS1_17partition_subalgoE0EjNS0_10empty_typeEbEEZZNS1_14partition_implILS5_0ELb0ES3_jN6thrust23THRUST_200600_302600_NS6detail15normal_iteratorINSA_10device_ptrIjEEEEPS6_SG_NS0_5tupleIJSF_SF_EEENSH_IJSG_SG_EEES6_PlJ7is_evenIjEEEE10hipError_tPvRmT3_T4_T5_T6_T7_T9_mT8_P12ihipStream_tbDpT10_ENKUlT_T0_E_clISt17integral_constantIbLb1EES15_IbLb0EEEEDaS11_S12_EUlS11_E_NS1_11comp_targetILNS1_3genE2ELNS1_11target_archE906ELNS1_3gpuE6ELNS1_3repE0EEENS1_30default_config_static_selectorELNS0_4arch9wavefront6targetE1EEEvT1_: ; @_ZN7rocprim17ROCPRIM_400000_NS6detail17trampoline_kernelINS0_14default_configENS1_25partition_config_selectorILNS1_17partition_subalgoE0EjNS0_10empty_typeEbEEZZNS1_14partition_implILS5_0ELb0ES3_jN6thrust23THRUST_200600_302600_NS6detail15normal_iteratorINSA_10device_ptrIjEEEEPS6_SG_NS0_5tupleIJSF_SF_EEENSH_IJSG_SG_EEES6_PlJ7is_evenIjEEEE10hipError_tPvRmT3_T4_T5_T6_T7_T9_mT8_P12ihipStream_tbDpT10_ENKUlT_T0_E_clISt17integral_constantIbLb1EES15_IbLb0EEEEDaS11_S12_EUlS11_E_NS1_11comp_targetILNS1_3genE2ELNS1_11target_archE906ELNS1_3gpuE6ELNS1_3repE0EEENS1_30default_config_static_selectorELNS0_4arch9wavefront6targetE1EEEvT1_
; %bb.0:
	.section	.rodata,"a",@progbits
	.p2align	6, 0x0
	.amdhsa_kernel _ZN7rocprim17ROCPRIM_400000_NS6detail17trampoline_kernelINS0_14default_configENS1_25partition_config_selectorILNS1_17partition_subalgoE0EjNS0_10empty_typeEbEEZZNS1_14partition_implILS5_0ELb0ES3_jN6thrust23THRUST_200600_302600_NS6detail15normal_iteratorINSA_10device_ptrIjEEEEPS6_SG_NS0_5tupleIJSF_SF_EEENSH_IJSG_SG_EEES6_PlJ7is_evenIjEEEE10hipError_tPvRmT3_T4_T5_T6_T7_T9_mT8_P12ihipStream_tbDpT10_ENKUlT_T0_E_clISt17integral_constantIbLb1EES15_IbLb0EEEEDaS11_S12_EUlS11_E_NS1_11comp_targetILNS1_3genE2ELNS1_11target_archE906ELNS1_3gpuE6ELNS1_3repE0EEENS1_30default_config_static_selectorELNS0_4arch9wavefront6targetE1EEEvT1_
		.amdhsa_group_segment_fixed_size 0
		.amdhsa_private_segment_fixed_size 0
		.amdhsa_kernarg_size 120
		.amdhsa_user_sgpr_count 6
		.amdhsa_user_sgpr_private_segment_buffer 1
		.amdhsa_user_sgpr_dispatch_ptr 0
		.amdhsa_user_sgpr_queue_ptr 0
		.amdhsa_user_sgpr_kernarg_segment_ptr 1
		.amdhsa_user_sgpr_dispatch_id 0
		.amdhsa_user_sgpr_flat_scratch_init 0
		.amdhsa_user_sgpr_kernarg_preload_length 0
		.amdhsa_user_sgpr_kernarg_preload_offset 0
		.amdhsa_user_sgpr_private_segment_size 0
		.amdhsa_uses_dynamic_stack 0
		.amdhsa_system_sgpr_private_segment_wavefront_offset 0
		.amdhsa_system_sgpr_workgroup_id_x 1
		.amdhsa_system_sgpr_workgroup_id_y 0
		.amdhsa_system_sgpr_workgroup_id_z 0
		.amdhsa_system_sgpr_workgroup_info 0
		.amdhsa_system_vgpr_workitem_id 0
		.amdhsa_next_free_vgpr 1
		.amdhsa_next_free_sgpr 0
		.amdhsa_accum_offset 4
		.amdhsa_reserve_vcc 0
		.amdhsa_reserve_flat_scratch 0
		.amdhsa_float_round_mode_32 0
		.amdhsa_float_round_mode_16_64 0
		.amdhsa_float_denorm_mode_32 3
		.amdhsa_float_denorm_mode_16_64 3
		.amdhsa_dx10_clamp 1
		.amdhsa_ieee_mode 1
		.amdhsa_fp16_overflow 0
		.amdhsa_tg_split 0
		.amdhsa_exception_fp_ieee_invalid_op 0
		.amdhsa_exception_fp_denorm_src 0
		.amdhsa_exception_fp_ieee_div_zero 0
		.amdhsa_exception_fp_ieee_overflow 0
		.amdhsa_exception_fp_ieee_underflow 0
		.amdhsa_exception_fp_ieee_inexact 0
		.amdhsa_exception_int_div_zero 0
	.end_amdhsa_kernel
	.section	.text._ZN7rocprim17ROCPRIM_400000_NS6detail17trampoline_kernelINS0_14default_configENS1_25partition_config_selectorILNS1_17partition_subalgoE0EjNS0_10empty_typeEbEEZZNS1_14partition_implILS5_0ELb0ES3_jN6thrust23THRUST_200600_302600_NS6detail15normal_iteratorINSA_10device_ptrIjEEEEPS6_SG_NS0_5tupleIJSF_SF_EEENSH_IJSG_SG_EEES6_PlJ7is_evenIjEEEE10hipError_tPvRmT3_T4_T5_T6_T7_T9_mT8_P12ihipStream_tbDpT10_ENKUlT_T0_E_clISt17integral_constantIbLb1EES15_IbLb0EEEEDaS11_S12_EUlS11_E_NS1_11comp_targetILNS1_3genE2ELNS1_11target_archE906ELNS1_3gpuE6ELNS1_3repE0EEENS1_30default_config_static_selectorELNS0_4arch9wavefront6targetE1EEEvT1_,"axG",@progbits,_ZN7rocprim17ROCPRIM_400000_NS6detail17trampoline_kernelINS0_14default_configENS1_25partition_config_selectorILNS1_17partition_subalgoE0EjNS0_10empty_typeEbEEZZNS1_14partition_implILS5_0ELb0ES3_jN6thrust23THRUST_200600_302600_NS6detail15normal_iteratorINSA_10device_ptrIjEEEEPS6_SG_NS0_5tupleIJSF_SF_EEENSH_IJSG_SG_EEES6_PlJ7is_evenIjEEEE10hipError_tPvRmT3_T4_T5_T6_T7_T9_mT8_P12ihipStream_tbDpT10_ENKUlT_T0_E_clISt17integral_constantIbLb1EES15_IbLb0EEEEDaS11_S12_EUlS11_E_NS1_11comp_targetILNS1_3genE2ELNS1_11target_archE906ELNS1_3gpuE6ELNS1_3repE0EEENS1_30default_config_static_selectorELNS0_4arch9wavefront6targetE1EEEvT1_,comdat
.Lfunc_end2157:
	.size	_ZN7rocprim17ROCPRIM_400000_NS6detail17trampoline_kernelINS0_14default_configENS1_25partition_config_selectorILNS1_17partition_subalgoE0EjNS0_10empty_typeEbEEZZNS1_14partition_implILS5_0ELb0ES3_jN6thrust23THRUST_200600_302600_NS6detail15normal_iteratorINSA_10device_ptrIjEEEEPS6_SG_NS0_5tupleIJSF_SF_EEENSH_IJSG_SG_EEES6_PlJ7is_evenIjEEEE10hipError_tPvRmT3_T4_T5_T6_T7_T9_mT8_P12ihipStream_tbDpT10_ENKUlT_T0_E_clISt17integral_constantIbLb1EES15_IbLb0EEEEDaS11_S12_EUlS11_E_NS1_11comp_targetILNS1_3genE2ELNS1_11target_archE906ELNS1_3gpuE6ELNS1_3repE0EEENS1_30default_config_static_selectorELNS0_4arch9wavefront6targetE1EEEvT1_, .Lfunc_end2157-_ZN7rocprim17ROCPRIM_400000_NS6detail17trampoline_kernelINS0_14default_configENS1_25partition_config_selectorILNS1_17partition_subalgoE0EjNS0_10empty_typeEbEEZZNS1_14partition_implILS5_0ELb0ES3_jN6thrust23THRUST_200600_302600_NS6detail15normal_iteratorINSA_10device_ptrIjEEEEPS6_SG_NS0_5tupleIJSF_SF_EEENSH_IJSG_SG_EEES6_PlJ7is_evenIjEEEE10hipError_tPvRmT3_T4_T5_T6_T7_T9_mT8_P12ihipStream_tbDpT10_ENKUlT_T0_E_clISt17integral_constantIbLb1EES15_IbLb0EEEEDaS11_S12_EUlS11_E_NS1_11comp_targetILNS1_3genE2ELNS1_11target_archE906ELNS1_3gpuE6ELNS1_3repE0EEENS1_30default_config_static_selectorELNS0_4arch9wavefront6targetE1EEEvT1_
                                        ; -- End function
	.section	.AMDGPU.csdata,"",@progbits
; Kernel info:
; codeLenInByte = 0
; NumSgprs: 4
; NumVgprs: 0
; NumAgprs: 0
; TotalNumVgprs: 0
; ScratchSize: 0
; MemoryBound: 0
; FloatMode: 240
; IeeeMode: 1
; LDSByteSize: 0 bytes/workgroup (compile time only)
; SGPRBlocks: 0
; VGPRBlocks: 0
; NumSGPRsForWavesPerEU: 4
; NumVGPRsForWavesPerEU: 1
; AccumOffset: 4
; Occupancy: 8
; WaveLimiterHint : 0
; COMPUTE_PGM_RSRC2:SCRATCH_EN: 0
; COMPUTE_PGM_RSRC2:USER_SGPR: 6
; COMPUTE_PGM_RSRC2:TRAP_HANDLER: 0
; COMPUTE_PGM_RSRC2:TGID_X_EN: 1
; COMPUTE_PGM_RSRC2:TGID_Y_EN: 0
; COMPUTE_PGM_RSRC2:TGID_Z_EN: 0
; COMPUTE_PGM_RSRC2:TIDIG_COMP_CNT: 0
; COMPUTE_PGM_RSRC3_GFX90A:ACCUM_OFFSET: 0
; COMPUTE_PGM_RSRC3_GFX90A:TG_SPLIT: 0
	.section	.text._ZN7rocprim17ROCPRIM_400000_NS6detail17trampoline_kernelINS0_14default_configENS1_25partition_config_selectorILNS1_17partition_subalgoE0EjNS0_10empty_typeEbEEZZNS1_14partition_implILS5_0ELb0ES3_jN6thrust23THRUST_200600_302600_NS6detail15normal_iteratorINSA_10device_ptrIjEEEEPS6_SG_NS0_5tupleIJSF_SF_EEENSH_IJSG_SG_EEES6_PlJ7is_evenIjEEEE10hipError_tPvRmT3_T4_T5_T6_T7_T9_mT8_P12ihipStream_tbDpT10_ENKUlT_T0_E_clISt17integral_constantIbLb1EES15_IbLb0EEEEDaS11_S12_EUlS11_E_NS1_11comp_targetILNS1_3genE10ELNS1_11target_archE1200ELNS1_3gpuE4ELNS1_3repE0EEENS1_30default_config_static_selectorELNS0_4arch9wavefront6targetE1EEEvT1_,"axG",@progbits,_ZN7rocprim17ROCPRIM_400000_NS6detail17trampoline_kernelINS0_14default_configENS1_25partition_config_selectorILNS1_17partition_subalgoE0EjNS0_10empty_typeEbEEZZNS1_14partition_implILS5_0ELb0ES3_jN6thrust23THRUST_200600_302600_NS6detail15normal_iteratorINSA_10device_ptrIjEEEEPS6_SG_NS0_5tupleIJSF_SF_EEENSH_IJSG_SG_EEES6_PlJ7is_evenIjEEEE10hipError_tPvRmT3_T4_T5_T6_T7_T9_mT8_P12ihipStream_tbDpT10_ENKUlT_T0_E_clISt17integral_constantIbLb1EES15_IbLb0EEEEDaS11_S12_EUlS11_E_NS1_11comp_targetILNS1_3genE10ELNS1_11target_archE1200ELNS1_3gpuE4ELNS1_3repE0EEENS1_30default_config_static_selectorELNS0_4arch9wavefront6targetE1EEEvT1_,comdat
	.protected	_ZN7rocprim17ROCPRIM_400000_NS6detail17trampoline_kernelINS0_14default_configENS1_25partition_config_selectorILNS1_17partition_subalgoE0EjNS0_10empty_typeEbEEZZNS1_14partition_implILS5_0ELb0ES3_jN6thrust23THRUST_200600_302600_NS6detail15normal_iteratorINSA_10device_ptrIjEEEEPS6_SG_NS0_5tupleIJSF_SF_EEENSH_IJSG_SG_EEES6_PlJ7is_evenIjEEEE10hipError_tPvRmT3_T4_T5_T6_T7_T9_mT8_P12ihipStream_tbDpT10_ENKUlT_T0_E_clISt17integral_constantIbLb1EES15_IbLb0EEEEDaS11_S12_EUlS11_E_NS1_11comp_targetILNS1_3genE10ELNS1_11target_archE1200ELNS1_3gpuE4ELNS1_3repE0EEENS1_30default_config_static_selectorELNS0_4arch9wavefront6targetE1EEEvT1_ ; -- Begin function _ZN7rocprim17ROCPRIM_400000_NS6detail17trampoline_kernelINS0_14default_configENS1_25partition_config_selectorILNS1_17partition_subalgoE0EjNS0_10empty_typeEbEEZZNS1_14partition_implILS5_0ELb0ES3_jN6thrust23THRUST_200600_302600_NS6detail15normal_iteratorINSA_10device_ptrIjEEEEPS6_SG_NS0_5tupleIJSF_SF_EEENSH_IJSG_SG_EEES6_PlJ7is_evenIjEEEE10hipError_tPvRmT3_T4_T5_T6_T7_T9_mT8_P12ihipStream_tbDpT10_ENKUlT_T0_E_clISt17integral_constantIbLb1EES15_IbLb0EEEEDaS11_S12_EUlS11_E_NS1_11comp_targetILNS1_3genE10ELNS1_11target_archE1200ELNS1_3gpuE4ELNS1_3repE0EEENS1_30default_config_static_selectorELNS0_4arch9wavefront6targetE1EEEvT1_
	.globl	_ZN7rocprim17ROCPRIM_400000_NS6detail17trampoline_kernelINS0_14default_configENS1_25partition_config_selectorILNS1_17partition_subalgoE0EjNS0_10empty_typeEbEEZZNS1_14partition_implILS5_0ELb0ES3_jN6thrust23THRUST_200600_302600_NS6detail15normal_iteratorINSA_10device_ptrIjEEEEPS6_SG_NS0_5tupleIJSF_SF_EEENSH_IJSG_SG_EEES6_PlJ7is_evenIjEEEE10hipError_tPvRmT3_T4_T5_T6_T7_T9_mT8_P12ihipStream_tbDpT10_ENKUlT_T0_E_clISt17integral_constantIbLb1EES15_IbLb0EEEEDaS11_S12_EUlS11_E_NS1_11comp_targetILNS1_3genE10ELNS1_11target_archE1200ELNS1_3gpuE4ELNS1_3repE0EEENS1_30default_config_static_selectorELNS0_4arch9wavefront6targetE1EEEvT1_
	.p2align	8
	.type	_ZN7rocprim17ROCPRIM_400000_NS6detail17trampoline_kernelINS0_14default_configENS1_25partition_config_selectorILNS1_17partition_subalgoE0EjNS0_10empty_typeEbEEZZNS1_14partition_implILS5_0ELb0ES3_jN6thrust23THRUST_200600_302600_NS6detail15normal_iteratorINSA_10device_ptrIjEEEEPS6_SG_NS0_5tupleIJSF_SF_EEENSH_IJSG_SG_EEES6_PlJ7is_evenIjEEEE10hipError_tPvRmT3_T4_T5_T6_T7_T9_mT8_P12ihipStream_tbDpT10_ENKUlT_T0_E_clISt17integral_constantIbLb1EES15_IbLb0EEEEDaS11_S12_EUlS11_E_NS1_11comp_targetILNS1_3genE10ELNS1_11target_archE1200ELNS1_3gpuE4ELNS1_3repE0EEENS1_30default_config_static_selectorELNS0_4arch9wavefront6targetE1EEEvT1_,@function
_ZN7rocprim17ROCPRIM_400000_NS6detail17trampoline_kernelINS0_14default_configENS1_25partition_config_selectorILNS1_17partition_subalgoE0EjNS0_10empty_typeEbEEZZNS1_14partition_implILS5_0ELb0ES3_jN6thrust23THRUST_200600_302600_NS6detail15normal_iteratorINSA_10device_ptrIjEEEEPS6_SG_NS0_5tupleIJSF_SF_EEENSH_IJSG_SG_EEES6_PlJ7is_evenIjEEEE10hipError_tPvRmT3_T4_T5_T6_T7_T9_mT8_P12ihipStream_tbDpT10_ENKUlT_T0_E_clISt17integral_constantIbLb1EES15_IbLb0EEEEDaS11_S12_EUlS11_E_NS1_11comp_targetILNS1_3genE10ELNS1_11target_archE1200ELNS1_3gpuE4ELNS1_3repE0EEENS1_30default_config_static_selectorELNS0_4arch9wavefront6targetE1EEEvT1_: ; @_ZN7rocprim17ROCPRIM_400000_NS6detail17trampoline_kernelINS0_14default_configENS1_25partition_config_selectorILNS1_17partition_subalgoE0EjNS0_10empty_typeEbEEZZNS1_14partition_implILS5_0ELb0ES3_jN6thrust23THRUST_200600_302600_NS6detail15normal_iteratorINSA_10device_ptrIjEEEEPS6_SG_NS0_5tupleIJSF_SF_EEENSH_IJSG_SG_EEES6_PlJ7is_evenIjEEEE10hipError_tPvRmT3_T4_T5_T6_T7_T9_mT8_P12ihipStream_tbDpT10_ENKUlT_T0_E_clISt17integral_constantIbLb1EES15_IbLb0EEEEDaS11_S12_EUlS11_E_NS1_11comp_targetILNS1_3genE10ELNS1_11target_archE1200ELNS1_3gpuE4ELNS1_3repE0EEENS1_30default_config_static_selectorELNS0_4arch9wavefront6targetE1EEEvT1_
; %bb.0:
	.section	.rodata,"a",@progbits
	.p2align	6, 0x0
	.amdhsa_kernel _ZN7rocprim17ROCPRIM_400000_NS6detail17trampoline_kernelINS0_14default_configENS1_25partition_config_selectorILNS1_17partition_subalgoE0EjNS0_10empty_typeEbEEZZNS1_14partition_implILS5_0ELb0ES3_jN6thrust23THRUST_200600_302600_NS6detail15normal_iteratorINSA_10device_ptrIjEEEEPS6_SG_NS0_5tupleIJSF_SF_EEENSH_IJSG_SG_EEES6_PlJ7is_evenIjEEEE10hipError_tPvRmT3_T4_T5_T6_T7_T9_mT8_P12ihipStream_tbDpT10_ENKUlT_T0_E_clISt17integral_constantIbLb1EES15_IbLb0EEEEDaS11_S12_EUlS11_E_NS1_11comp_targetILNS1_3genE10ELNS1_11target_archE1200ELNS1_3gpuE4ELNS1_3repE0EEENS1_30default_config_static_selectorELNS0_4arch9wavefront6targetE1EEEvT1_
		.amdhsa_group_segment_fixed_size 0
		.amdhsa_private_segment_fixed_size 0
		.amdhsa_kernarg_size 120
		.amdhsa_user_sgpr_count 6
		.amdhsa_user_sgpr_private_segment_buffer 1
		.amdhsa_user_sgpr_dispatch_ptr 0
		.amdhsa_user_sgpr_queue_ptr 0
		.amdhsa_user_sgpr_kernarg_segment_ptr 1
		.amdhsa_user_sgpr_dispatch_id 0
		.amdhsa_user_sgpr_flat_scratch_init 0
		.amdhsa_user_sgpr_kernarg_preload_length 0
		.amdhsa_user_sgpr_kernarg_preload_offset 0
		.amdhsa_user_sgpr_private_segment_size 0
		.amdhsa_uses_dynamic_stack 0
		.amdhsa_system_sgpr_private_segment_wavefront_offset 0
		.amdhsa_system_sgpr_workgroup_id_x 1
		.amdhsa_system_sgpr_workgroup_id_y 0
		.amdhsa_system_sgpr_workgroup_id_z 0
		.amdhsa_system_sgpr_workgroup_info 0
		.amdhsa_system_vgpr_workitem_id 0
		.amdhsa_next_free_vgpr 1
		.amdhsa_next_free_sgpr 0
		.amdhsa_accum_offset 4
		.amdhsa_reserve_vcc 0
		.amdhsa_reserve_flat_scratch 0
		.amdhsa_float_round_mode_32 0
		.amdhsa_float_round_mode_16_64 0
		.amdhsa_float_denorm_mode_32 3
		.amdhsa_float_denorm_mode_16_64 3
		.amdhsa_dx10_clamp 1
		.amdhsa_ieee_mode 1
		.amdhsa_fp16_overflow 0
		.amdhsa_tg_split 0
		.amdhsa_exception_fp_ieee_invalid_op 0
		.amdhsa_exception_fp_denorm_src 0
		.amdhsa_exception_fp_ieee_div_zero 0
		.amdhsa_exception_fp_ieee_overflow 0
		.amdhsa_exception_fp_ieee_underflow 0
		.amdhsa_exception_fp_ieee_inexact 0
		.amdhsa_exception_int_div_zero 0
	.end_amdhsa_kernel
	.section	.text._ZN7rocprim17ROCPRIM_400000_NS6detail17trampoline_kernelINS0_14default_configENS1_25partition_config_selectorILNS1_17partition_subalgoE0EjNS0_10empty_typeEbEEZZNS1_14partition_implILS5_0ELb0ES3_jN6thrust23THRUST_200600_302600_NS6detail15normal_iteratorINSA_10device_ptrIjEEEEPS6_SG_NS0_5tupleIJSF_SF_EEENSH_IJSG_SG_EEES6_PlJ7is_evenIjEEEE10hipError_tPvRmT3_T4_T5_T6_T7_T9_mT8_P12ihipStream_tbDpT10_ENKUlT_T0_E_clISt17integral_constantIbLb1EES15_IbLb0EEEEDaS11_S12_EUlS11_E_NS1_11comp_targetILNS1_3genE10ELNS1_11target_archE1200ELNS1_3gpuE4ELNS1_3repE0EEENS1_30default_config_static_selectorELNS0_4arch9wavefront6targetE1EEEvT1_,"axG",@progbits,_ZN7rocprim17ROCPRIM_400000_NS6detail17trampoline_kernelINS0_14default_configENS1_25partition_config_selectorILNS1_17partition_subalgoE0EjNS0_10empty_typeEbEEZZNS1_14partition_implILS5_0ELb0ES3_jN6thrust23THRUST_200600_302600_NS6detail15normal_iteratorINSA_10device_ptrIjEEEEPS6_SG_NS0_5tupleIJSF_SF_EEENSH_IJSG_SG_EEES6_PlJ7is_evenIjEEEE10hipError_tPvRmT3_T4_T5_T6_T7_T9_mT8_P12ihipStream_tbDpT10_ENKUlT_T0_E_clISt17integral_constantIbLb1EES15_IbLb0EEEEDaS11_S12_EUlS11_E_NS1_11comp_targetILNS1_3genE10ELNS1_11target_archE1200ELNS1_3gpuE4ELNS1_3repE0EEENS1_30default_config_static_selectorELNS0_4arch9wavefront6targetE1EEEvT1_,comdat
.Lfunc_end2158:
	.size	_ZN7rocprim17ROCPRIM_400000_NS6detail17trampoline_kernelINS0_14default_configENS1_25partition_config_selectorILNS1_17partition_subalgoE0EjNS0_10empty_typeEbEEZZNS1_14partition_implILS5_0ELb0ES3_jN6thrust23THRUST_200600_302600_NS6detail15normal_iteratorINSA_10device_ptrIjEEEEPS6_SG_NS0_5tupleIJSF_SF_EEENSH_IJSG_SG_EEES6_PlJ7is_evenIjEEEE10hipError_tPvRmT3_T4_T5_T6_T7_T9_mT8_P12ihipStream_tbDpT10_ENKUlT_T0_E_clISt17integral_constantIbLb1EES15_IbLb0EEEEDaS11_S12_EUlS11_E_NS1_11comp_targetILNS1_3genE10ELNS1_11target_archE1200ELNS1_3gpuE4ELNS1_3repE0EEENS1_30default_config_static_selectorELNS0_4arch9wavefront6targetE1EEEvT1_, .Lfunc_end2158-_ZN7rocprim17ROCPRIM_400000_NS6detail17trampoline_kernelINS0_14default_configENS1_25partition_config_selectorILNS1_17partition_subalgoE0EjNS0_10empty_typeEbEEZZNS1_14partition_implILS5_0ELb0ES3_jN6thrust23THRUST_200600_302600_NS6detail15normal_iteratorINSA_10device_ptrIjEEEEPS6_SG_NS0_5tupleIJSF_SF_EEENSH_IJSG_SG_EEES6_PlJ7is_evenIjEEEE10hipError_tPvRmT3_T4_T5_T6_T7_T9_mT8_P12ihipStream_tbDpT10_ENKUlT_T0_E_clISt17integral_constantIbLb1EES15_IbLb0EEEEDaS11_S12_EUlS11_E_NS1_11comp_targetILNS1_3genE10ELNS1_11target_archE1200ELNS1_3gpuE4ELNS1_3repE0EEENS1_30default_config_static_selectorELNS0_4arch9wavefront6targetE1EEEvT1_
                                        ; -- End function
	.section	.AMDGPU.csdata,"",@progbits
; Kernel info:
; codeLenInByte = 0
; NumSgprs: 4
; NumVgprs: 0
; NumAgprs: 0
; TotalNumVgprs: 0
; ScratchSize: 0
; MemoryBound: 0
; FloatMode: 240
; IeeeMode: 1
; LDSByteSize: 0 bytes/workgroup (compile time only)
; SGPRBlocks: 0
; VGPRBlocks: 0
; NumSGPRsForWavesPerEU: 4
; NumVGPRsForWavesPerEU: 1
; AccumOffset: 4
; Occupancy: 8
; WaveLimiterHint : 0
; COMPUTE_PGM_RSRC2:SCRATCH_EN: 0
; COMPUTE_PGM_RSRC2:USER_SGPR: 6
; COMPUTE_PGM_RSRC2:TRAP_HANDLER: 0
; COMPUTE_PGM_RSRC2:TGID_X_EN: 1
; COMPUTE_PGM_RSRC2:TGID_Y_EN: 0
; COMPUTE_PGM_RSRC2:TGID_Z_EN: 0
; COMPUTE_PGM_RSRC2:TIDIG_COMP_CNT: 0
; COMPUTE_PGM_RSRC3_GFX90A:ACCUM_OFFSET: 0
; COMPUTE_PGM_RSRC3_GFX90A:TG_SPLIT: 0
	.section	.text._ZN7rocprim17ROCPRIM_400000_NS6detail17trampoline_kernelINS0_14default_configENS1_25partition_config_selectorILNS1_17partition_subalgoE0EjNS0_10empty_typeEbEEZZNS1_14partition_implILS5_0ELb0ES3_jN6thrust23THRUST_200600_302600_NS6detail15normal_iteratorINSA_10device_ptrIjEEEEPS6_SG_NS0_5tupleIJSF_SF_EEENSH_IJSG_SG_EEES6_PlJ7is_evenIjEEEE10hipError_tPvRmT3_T4_T5_T6_T7_T9_mT8_P12ihipStream_tbDpT10_ENKUlT_T0_E_clISt17integral_constantIbLb1EES15_IbLb0EEEEDaS11_S12_EUlS11_E_NS1_11comp_targetILNS1_3genE9ELNS1_11target_archE1100ELNS1_3gpuE3ELNS1_3repE0EEENS1_30default_config_static_selectorELNS0_4arch9wavefront6targetE1EEEvT1_,"axG",@progbits,_ZN7rocprim17ROCPRIM_400000_NS6detail17trampoline_kernelINS0_14default_configENS1_25partition_config_selectorILNS1_17partition_subalgoE0EjNS0_10empty_typeEbEEZZNS1_14partition_implILS5_0ELb0ES3_jN6thrust23THRUST_200600_302600_NS6detail15normal_iteratorINSA_10device_ptrIjEEEEPS6_SG_NS0_5tupleIJSF_SF_EEENSH_IJSG_SG_EEES6_PlJ7is_evenIjEEEE10hipError_tPvRmT3_T4_T5_T6_T7_T9_mT8_P12ihipStream_tbDpT10_ENKUlT_T0_E_clISt17integral_constantIbLb1EES15_IbLb0EEEEDaS11_S12_EUlS11_E_NS1_11comp_targetILNS1_3genE9ELNS1_11target_archE1100ELNS1_3gpuE3ELNS1_3repE0EEENS1_30default_config_static_selectorELNS0_4arch9wavefront6targetE1EEEvT1_,comdat
	.protected	_ZN7rocprim17ROCPRIM_400000_NS6detail17trampoline_kernelINS0_14default_configENS1_25partition_config_selectorILNS1_17partition_subalgoE0EjNS0_10empty_typeEbEEZZNS1_14partition_implILS5_0ELb0ES3_jN6thrust23THRUST_200600_302600_NS6detail15normal_iteratorINSA_10device_ptrIjEEEEPS6_SG_NS0_5tupleIJSF_SF_EEENSH_IJSG_SG_EEES6_PlJ7is_evenIjEEEE10hipError_tPvRmT3_T4_T5_T6_T7_T9_mT8_P12ihipStream_tbDpT10_ENKUlT_T0_E_clISt17integral_constantIbLb1EES15_IbLb0EEEEDaS11_S12_EUlS11_E_NS1_11comp_targetILNS1_3genE9ELNS1_11target_archE1100ELNS1_3gpuE3ELNS1_3repE0EEENS1_30default_config_static_selectorELNS0_4arch9wavefront6targetE1EEEvT1_ ; -- Begin function _ZN7rocprim17ROCPRIM_400000_NS6detail17trampoline_kernelINS0_14default_configENS1_25partition_config_selectorILNS1_17partition_subalgoE0EjNS0_10empty_typeEbEEZZNS1_14partition_implILS5_0ELb0ES3_jN6thrust23THRUST_200600_302600_NS6detail15normal_iteratorINSA_10device_ptrIjEEEEPS6_SG_NS0_5tupleIJSF_SF_EEENSH_IJSG_SG_EEES6_PlJ7is_evenIjEEEE10hipError_tPvRmT3_T4_T5_T6_T7_T9_mT8_P12ihipStream_tbDpT10_ENKUlT_T0_E_clISt17integral_constantIbLb1EES15_IbLb0EEEEDaS11_S12_EUlS11_E_NS1_11comp_targetILNS1_3genE9ELNS1_11target_archE1100ELNS1_3gpuE3ELNS1_3repE0EEENS1_30default_config_static_selectorELNS0_4arch9wavefront6targetE1EEEvT1_
	.globl	_ZN7rocprim17ROCPRIM_400000_NS6detail17trampoline_kernelINS0_14default_configENS1_25partition_config_selectorILNS1_17partition_subalgoE0EjNS0_10empty_typeEbEEZZNS1_14partition_implILS5_0ELb0ES3_jN6thrust23THRUST_200600_302600_NS6detail15normal_iteratorINSA_10device_ptrIjEEEEPS6_SG_NS0_5tupleIJSF_SF_EEENSH_IJSG_SG_EEES6_PlJ7is_evenIjEEEE10hipError_tPvRmT3_T4_T5_T6_T7_T9_mT8_P12ihipStream_tbDpT10_ENKUlT_T0_E_clISt17integral_constantIbLb1EES15_IbLb0EEEEDaS11_S12_EUlS11_E_NS1_11comp_targetILNS1_3genE9ELNS1_11target_archE1100ELNS1_3gpuE3ELNS1_3repE0EEENS1_30default_config_static_selectorELNS0_4arch9wavefront6targetE1EEEvT1_
	.p2align	8
	.type	_ZN7rocprim17ROCPRIM_400000_NS6detail17trampoline_kernelINS0_14default_configENS1_25partition_config_selectorILNS1_17partition_subalgoE0EjNS0_10empty_typeEbEEZZNS1_14partition_implILS5_0ELb0ES3_jN6thrust23THRUST_200600_302600_NS6detail15normal_iteratorINSA_10device_ptrIjEEEEPS6_SG_NS0_5tupleIJSF_SF_EEENSH_IJSG_SG_EEES6_PlJ7is_evenIjEEEE10hipError_tPvRmT3_T4_T5_T6_T7_T9_mT8_P12ihipStream_tbDpT10_ENKUlT_T0_E_clISt17integral_constantIbLb1EES15_IbLb0EEEEDaS11_S12_EUlS11_E_NS1_11comp_targetILNS1_3genE9ELNS1_11target_archE1100ELNS1_3gpuE3ELNS1_3repE0EEENS1_30default_config_static_selectorELNS0_4arch9wavefront6targetE1EEEvT1_,@function
_ZN7rocprim17ROCPRIM_400000_NS6detail17trampoline_kernelINS0_14default_configENS1_25partition_config_selectorILNS1_17partition_subalgoE0EjNS0_10empty_typeEbEEZZNS1_14partition_implILS5_0ELb0ES3_jN6thrust23THRUST_200600_302600_NS6detail15normal_iteratorINSA_10device_ptrIjEEEEPS6_SG_NS0_5tupleIJSF_SF_EEENSH_IJSG_SG_EEES6_PlJ7is_evenIjEEEE10hipError_tPvRmT3_T4_T5_T6_T7_T9_mT8_P12ihipStream_tbDpT10_ENKUlT_T0_E_clISt17integral_constantIbLb1EES15_IbLb0EEEEDaS11_S12_EUlS11_E_NS1_11comp_targetILNS1_3genE9ELNS1_11target_archE1100ELNS1_3gpuE3ELNS1_3repE0EEENS1_30default_config_static_selectorELNS0_4arch9wavefront6targetE1EEEvT1_: ; @_ZN7rocprim17ROCPRIM_400000_NS6detail17trampoline_kernelINS0_14default_configENS1_25partition_config_selectorILNS1_17partition_subalgoE0EjNS0_10empty_typeEbEEZZNS1_14partition_implILS5_0ELb0ES3_jN6thrust23THRUST_200600_302600_NS6detail15normal_iteratorINSA_10device_ptrIjEEEEPS6_SG_NS0_5tupleIJSF_SF_EEENSH_IJSG_SG_EEES6_PlJ7is_evenIjEEEE10hipError_tPvRmT3_T4_T5_T6_T7_T9_mT8_P12ihipStream_tbDpT10_ENKUlT_T0_E_clISt17integral_constantIbLb1EES15_IbLb0EEEEDaS11_S12_EUlS11_E_NS1_11comp_targetILNS1_3genE9ELNS1_11target_archE1100ELNS1_3gpuE3ELNS1_3repE0EEENS1_30default_config_static_selectorELNS0_4arch9wavefront6targetE1EEEvT1_
; %bb.0:
	.section	.rodata,"a",@progbits
	.p2align	6, 0x0
	.amdhsa_kernel _ZN7rocprim17ROCPRIM_400000_NS6detail17trampoline_kernelINS0_14default_configENS1_25partition_config_selectorILNS1_17partition_subalgoE0EjNS0_10empty_typeEbEEZZNS1_14partition_implILS5_0ELb0ES3_jN6thrust23THRUST_200600_302600_NS6detail15normal_iteratorINSA_10device_ptrIjEEEEPS6_SG_NS0_5tupleIJSF_SF_EEENSH_IJSG_SG_EEES6_PlJ7is_evenIjEEEE10hipError_tPvRmT3_T4_T5_T6_T7_T9_mT8_P12ihipStream_tbDpT10_ENKUlT_T0_E_clISt17integral_constantIbLb1EES15_IbLb0EEEEDaS11_S12_EUlS11_E_NS1_11comp_targetILNS1_3genE9ELNS1_11target_archE1100ELNS1_3gpuE3ELNS1_3repE0EEENS1_30default_config_static_selectorELNS0_4arch9wavefront6targetE1EEEvT1_
		.amdhsa_group_segment_fixed_size 0
		.amdhsa_private_segment_fixed_size 0
		.amdhsa_kernarg_size 120
		.amdhsa_user_sgpr_count 6
		.amdhsa_user_sgpr_private_segment_buffer 1
		.amdhsa_user_sgpr_dispatch_ptr 0
		.amdhsa_user_sgpr_queue_ptr 0
		.amdhsa_user_sgpr_kernarg_segment_ptr 1
		.amdhsa_user_sgpr_dispatch_id 0
		.amdhsa_user_sgpr_flat_scratch_init 0
		.amdhsa_user_sgpr_kernarg_preload_length 0
		.amdhsa_user_sgpr_kernarg_preload_offset 0
		.amdhsa_user_sgpr_private_segment_size 0
		.amdhsa_uses_dynamic_stack 0
		.amdhsa_system_sgpr_private_segment_wavefront_offset 0
		.amdhsa_system_sgpr_workgroup_id_x 1
		.amdhsa_system_sgpr_workgroup_id_y 0
		.amdhsa_system_sgpr_workgroup_id_z 0
		.amdhsa_system_sgpr_workgroup_info 0
		.amdhsa_system_vgpr_workitem_id 0
		.amdhsa_next_free_vgpr 1
		.amdhsa_next_free_sgpr 0
		.amdhsa_accum_offset 4
		.amdhsa_reserve_vcc 0
		.amdhsa_reserve_flat_scratch 0
		.amdhsa_float_round_mode_32 0
		.amdhsa_float_round_mode_16_64 0
		.amdhsa_float_denorm_mode_32 3
		.amdhsa_float_denorm_mode_16_64 3
		.amdhsa_dx10_clamp 1
		.amdhsa_ieee_mode 1
		.amdhsa_fp16_overflow 0
		.amdhsa_tg_split 0
		.amdhsa_exception_fp_ieee_invalid_op 0
		.amdhsa_exception_fp_denorm_src 0
		.amdhsa_exception_fp_ieee_div_zero 0
		.amdhsa_exception_fp_ieee_overflow 0
		.amdhsa_exception_fp_ieee_underflow 0
		.amdhsa_exception_fp_ieee_inexact 0
		.amdhsa_exception_int_div_zero 0
	.end_amdhsa_kernel
	.section	.text._ZN7rocprim17ROCPRIM_400000_NS6detail17trampoline_kernelINS0_14default_configENS1_25partition_config_selectorILNS1_17partition_subalgoE0EjNS0_10empty_typeEbEEZZNS1_14partition_implILS5_0ELb0ES3_jN6thrust23THRUST_200600_302600_NS6detail15normal_iteratorINSA_10device_ptrIjEEEEPS6_SG_NS0_5tupleIJSF_SF_EEENSH_IJSG_SG_EEES6_PlJ7is_evenIjEEEE10hipError_tPvRmT3_T4_T5_T6_T7_T9_mT8_P12ihipStream_tbDpT10_ENKUlT_T0_E_clISt17integral_constantIbLb1EES15_IbLb0EEEEDaS11_S12_EUlS11_E_NS1_11comp_targetILNS1_3genE9ELNS1_11target_archE1100ELNS1_3gpuE3ELNS1_3repE0EEENS1_30default_config_static_selectorELNS0_4arch9wavefront6targetE1EEEvT1_,"axG",@progbits,_ZN7rocprim17ROCPRIM_400000_NS6detail17trampoline_kernelINS0_14default_configENS1_25partition_config_selectorILNS1_17partition_subalgoE0EjNS0_10empty_typeEbEEZZNS1_14partition_implILS5_0ELb0ES3_jN6thrust23THRUST_200600_302600_NS6detail15normal_iteratorINSA_10device_ptrIjEEEEPS6_SG_NS0_5tupleIJSF_SF_EEENSH_IJSG_SG_EEES6_PlJ7is_evenIjEEEE10hipError_tPvRmT3_T4_T5_T6_T7_T9_mT8_P12ihipStream_tbDpT10_ENKUlT_T0_E_clISt17integral_constantIbLb1EES15_IbLb0EEEEDaS11_S12_EUlS11_E_NS1_11comp_targetILNS1_3genE9ELNS1_11target_archE1100ELNS1_3gpuE3ELNS1_3repE0EEENS1_30default_config_static_selectorELNS0_4arch9wavefront6targetE1EEEvT1_,comdat
.Lfunc_end2159:
	.size	_ZN7rocprim17ROCPRIM_400000_NS6detail17trampoline_kernelINS0_14default_configENS1_25partition_config_selectorILNS1_17partition_subalgoE0EjNS0_10empty_typeEbEEZZNS1_14partition_implILS5_0ELb0ES3_jN6thrust23THRUST_200600_302600_NS6detail15normal_iteratorINSA_10device_ptrIjEEEEPS6_SG_NS0_5tupleIJSF_SF_EEENSH_IJSG_SG_EEES6_PlJ7is_evenIjEEEE10hipError_tPvRmT3_T4_T5_T6_T7_T9_mT8_P12ihipStream_tbDpT10_ENKUlT_T0_E_clISt17integral_constantIbLb1EES15_IbLb0EEEEDaS11_S12_EUlS11_E_NS1_11comp_targetILNS1_3genE9ELNS1_11target_archE1100ELNS1_3gpuE3ELNS1_3repE0EEENS1_30default_config_static_selectorELNS0_4arch9wavefront6targetE1EEEvT1_, .Lfunc_end2159-_ZN7rocprim17ROCPRIM_400000_NS6detail17trampoline_kernelINS0_14default_configENS1_25partition_config_selectorILNS1_17partition_subalgoE0EjNS0_10empty_typeEbEEZZNS1_14partition_implILS5_0ELb0ES3_jN6thrust23THRUST_200600_302600_NS6detail15normal_iteratorINSA_10device_ptrIjEEEEPS6_SG_NS0_5tupleIJSF_SF_EEENSH_IJSG_SG_EEES6_PlJ7is_evenIjEEEE10hipError_tPvRmT3_T4_T5_T6_T7_T9_mT8_P12ihipStream_tbDpT10_ENKUlT_T0_E_clISt17integral_constantIbLb1EES15_IbLb0EEEEDaS11_S12_EUlS11_E_NS1_11comp_targetILNS1_3genE9ELNS1_11target_archE1100ELNS1_3gpuE3ELNS1_3repE0EEENS1_30default_config_static_selectorELNS0_4arch9wavefront6targetE1EEEvT1_
                                        ; -- End function
	.section	.AMDGPU.csdata,"",@progbits
; Kernel info:
; codeLenInByte = 0
; NumSgprs: 4
; NumVgprs: 0
; NumAgprs: 0
; TotalNumVgprs: 0
; ScratchSize: 0
; MemoryBound: 0
; FloatMode: 240
; IeeeMode: 1
; LDSByteSize: 0 bytes/workgroup (compile time only)
; SGPRBlocks: 0
; VGPRBlocks: 0
; NumSGPRsForWavesPerEU: 4
; NumVGPRsForWavesPerEU: 1
; AccumOffset: 4
; Occupancy: 8
; WaveLimiterHint : 0
; COMPUTE_PGM_RSRC2:SCRATCH_EN: 0
; COMPUTE_PGM_RSRC2:USER_SGPR: 6
; COMPUTE_PGM_RSRC2:TRAP_HANDLER: 0
; COMPUTE_PGM_RSRC2:TGID_X_EN: 1
; COMPUTE_PGM_RSRC2:TGID_Y_EN: 0
; COMPUTE_PGM_RSRC2:TGID_Z_EN: 0
; COMPUTE_PGM_RSRC2:TIDIG_COMP_CNT: 0
; COMPUTE_PGM_RSRC3_GFX90A:ACCUM_OFFSET: 0
; COMPUTE_PGM_RSRC3_GFX90A:TG_SPLIT: 0
	.section	.text._ZN7rocprim17ROCPRIM_400000_NS6detail17trampoline_kernelINS0_14default_configENS1_25partition_config_selectorILNS1_17partition_subalgoE0EjNS0_10empty_typeEbEEZZNS1_14partition_implILS5_0ELb0ES3_jN6thrust23THRUST_200600_302600_NS6detail15normal_iteratorINSA_10device_ptrIjEEEEPS6_SG_NS0_5tupleIJSF_SF_EEENSH_IJSG_SG_EEES6_PlJ7is_evenIjEEEE10hipError_tPvRmT3_T4_T5_T6_T7_T9_mT8_P12ihipStream_tbDpT10_ENKUlT_T0_E_clISt17integral_constantIbLb1EES15_IbLb0EEEEDaS11_S12_EUlS11_E_NS1_11comp_targetILNS1_3genE8ELNS1_11target_archE1030ELNS1_3gpuE2ELNS1_3repE0EEENS1_30default_config_static_selectorELNS0_4arch9wavefront6targetE1EEEvT1_,"axG",@progbits,_ZN7rocprim17ROCPRIM_400000_NS6detail17trampoline_kernelINS0_14default_configENS1_25partition_config_selectorILNS1_17partition_subalgoE0EjNS0_10empty_typeEbEEZZNS1_14partition_implILS5_0ELb0ES3_jN6thrust23THRUST_200600_302600_NS6detail15normal_iteratorINSA_10device_ptrIjEEEEPS6_SG_NS0_5tupleIJSF_SF_EEENSH_IJSG_SG_EEES6_PlJ7is_evenIjEEEE10hipError_tPvRmT3_T4_T5_T6_T7_T9_mT8_P12ihipStream_tbDpT10_ENKUlT_T0_E_clISt17integral_constantIbLb1EES15_IbLb0EEEEDaS11_S12_EUlS11_E_NS1_11comp_targetILNS1_3genE8ELNS1_11target_archE1030ELNS1_3gpuE2ELNS1_3repE0EEENS1_30default_config_static_selectorELNS0_4arch9wavefront6targetE1EEEvT1_,comdat
	.protected	_ZN7rocprim17ROCPRIM_400000_NS6detail17trampoline_kernelINS0_14default_configENS1_25partition_config_selectorILNS1_17partition_subalgoE0EjNS0_10empty_typeEbEEZZNS1_14partition_implILS5_0ELb0ES3_jN6thrust23THRUST_200600_302600_NS6detail15normal_iteratorINSA_10device_ptrIjEEEEPS6_SG_NS0_5tupleIJSF_SF_EEENSH_IJSG_SG_EEES6_PlJ7is_evenIjEEEE10hipError_tPvRmT3_T4_T5_T6_T7_T9_mT8_P12ihipStream_tbDpT10_ENKUlT_T0_E_clISt17integral_constantIbLb1EES15_IbLb0EEEEDaS11_S12_EUlS11_E_NS1_11comp_targetILNS1_3genE8ELNS1_11target_archE1030ELNS1_3gpuE2ELNS1_3repE0EEENS1_30default_config_static_selectorELNS0_4arch9wavefront6targetE1EEEvT1_ ; -- Begin function _ZN7rocprim17ROCPRIM_400000_NS6detail17trampoline_kernelINS0_14default_configENS1_25partition_config_selectorILNS1_17partition_subalgoE0EjNS0_10empty_typeEbEEZZNS1_14partition_implILS5_0ELb0ES3_jN6thrust23THRUST_200600_302600_NS6detail15normal_iteratorINSA_10device_ptrIjEEEEPS6_SG_NS0_5tupleIJSF_SF_EEENSH_IJSG_SG_EEES6_PlJ7is_evenIjEEEE10hipError_tPvRmT3_T4_T5_T6_T7_T9_mT8_P12ihipStream_tbDpT10_ENKUlT_T0_E_clISt17integral_constantIbLb1EES15_IbLb0EEEEDaS11_S12_EUlS11_E_NS1_11comp_targetILNS1_3genE8ELNS1_11target_archE1030ELNS1_3gpuE2ELNS1_3repE0EEENS1_30default_config_static_selectorELNS0_4arch9wavefront6targetE1EEEvT1_
	.globl	_ZN7rocprim17ROCPRIM_400000_NS6detail17trampoline_kernelINS0_14default_configENS1_25partition_config_selectorILNS1_17partition_subalgoE0EjNS0_10empty_typeEbEEZZNS1_14partition_implILS5_0ELb0ES3_jN6thrust23THRUST_200600_302600_NS6detail15normal_iteratorINSA_10device_ptrIjEEEEPS6_SG_NS0_5tupleIJSF_SF_EEENSH_IJSG_SG_EEES6_PlJ7is_evenIjEEEE10hipError_tPvRmT3_T4_T5_T6_T7_T9_mT8_P12ihipStream_tbDpT10_ENKUlT_T0_E_clISt17integral_constantIbLb1EES15_IbLb0EEEEDaS11_S12_EUlS11_E_NS1_11comp_targetILNS1_3genE8ELNS1_11target_archE1030ELNS1_3gpuE2ELNS1_3repE0EEENS1_30default_config_static_selectorELNS0_4arch9wavefront6targetE1EEEvT1_
	.p2align	8
	.type	_ZN7rocprim17ROCPRIM_400000_NS6detail17trampoline_kernelINS0_14default_configENS1_25partition_config_selectorILNS1_17partition_subalgoE0EjNS0_10empty_typeEbEEZZNS1_14partition_implILS5_0ELb0ES3_jN6thrust23THRUST_200600_302600_NS6detail15normal_iteratorINSA_10device_ptrIjEEEEPS6_SG_NS0_5tupleIJSF_SF_EEENSH_IJSG_SG_EEES6_PlJ7is_evenIjEEEE10hipError_tPvRmT3_T4_T5_T6_T7_T9_mT8_P12ihipStream_tbDpT10_ENKUlT_T0_E_clISt17integral_constantIbLb1EES15_IbLb0EEEEDaS11_S12_EUlS11_E_NS1_11comp_targetILNS1_3genE8ELNS1_11target_archE1030ELNS1_3gpuE2ELNS1_3repE0EEENS1_30default_config_static_selectorELNS0_4arch9wavefront6targetE1EEEvT1_,@function
_ZN7rocprim17ROCPRIM_400000_NS6detail17trampoline_kernelINS0_14default_configENS1_25partition_config_selectorILNS1_17partition_subalgoE0EjNS0_10empty_typeEbEEZZNS1_14partition_implILS5_0ELb0ES3_jN6thrust23THRUST_200600_302600_NS6detail15normal_iteratorINSA_10device_ptrIjEEEEPS6_SG_NS0_5tupleIJSF_SF_EEENSH_IJSG_SG_EEES6_PlJ7is_evenIjEEEE10hipError_tPvRmT3_T4_T5_T6_T7_T9_mT8_P12ihipStream_tbDpT10_ENKUlT_T0_E_clISt17integral_constantIbLb1EES15_IbLb0EEEEDaS11_S12_EUlS11_E_NS1_11comp_targetILNS1_3genE8ELNS1_11target_archE1030ELNS1_3gpuE2ELNS1_3repE0EEENS1_30default_config_static_selectorELNS0_4arch9wavefront6targetE1EEEvT1_: ; @_ZN7rocprim17ROCPRIM_400000_NS6detail17trampoline_kernelINS0_14default_configENS1_25partition_config_selectorILNS1_17partition_subalgoE0EjNS0_10empty_typeEbEEZZNS1_14partition_implILS5_0ELb0ES3_jN6thrust23THRUST_200600_302600_NS6detail15normal_iteratorINSA_10device_ptrIjEEEEPS6_SG_NS0_5tupleIJSF_SF_EEENSH_IJSG_SG_EEES6_PlJ7is_evenIjEEEE10hipError_tPvRmT3_T4_T5_T6_T7_T9_mT8_P12ihipStream_tbDpT10_ENKUlT_T0_E_clISt17integral_constantIbLb1EES15_IbLb0EEEEDaS11_S12_EUlS11_E_NS1_11comp_targetILNS1_3genE8ELNS1_11target_archE1030ELNS1_3gpuE2ELNS1_3repE0EEENS1_30default_config_static_selectorELNS0_4arch9wavefront6targetE1EEEvT1_
; %bb.0:
	.section	.rodata,"a",@progbits
	.p2align	6, 0x0
	.amdhsa_kernel _ZN7rocprim17ROCPRIM_400000_NS6detail17trampoline_kernelINS0_14default_configENS1_25partition_config_selectorILNS1_17partition_subalgoE0EjNS0_10empty_typeEbEEZZNS1_14partition_implILS5_0ELb0ES3_jN6thrust23THRUST_200600_302600_NS6detail15normal_iteratorINSA_10device_ptrIjEEEEPS6_SG_NS0_5tupleIJSF_SF_EEENSH_IJSG_SG_EEES6_PlJ7is_evenIjEEEE10hipError_tPvRmT3_T4_T5_T6_T7_T9_mT8_P12ihipStream_tbDpT10_ENKUlT_T0_E_clISt17integral_constantIbLb1EES15_IbLb0EEEEDaS11_S12_EUlS11_E_NS1_11comp_targetILNS1_3genE8ELNS1_11target_archE1030ELNS1_3gpuE2ELNS1_3repE0EEENS1_30default_config_static_selectorELNS0_4arch9wavefront6targetE1EEEvT1_
		.amdhsa_group_segment_fixed_size 0
		.amdhsa_private_segment_fixed_size 0
		.amdhsa_kernarg_size 120
		.amdhsa_user_sgpr_count 6
		.amdhsa_user_sgpr_private_segment_buffer 1
		.amdhsa_user_sgpr_dispatch_ptr 0
		.amdhsa_user_sgpr_queue_ptr 0
		.amdhsa_user_sgpr_kernarg_segment_ptr 1
		.amdhsa_user_sgpr_dispatch_id 0
		.amdhsa_user_sgpr_flat_scratch_init 0
		.amdhsa_user_sgpr_kernarg_preload_length 0
		.amdhsa_user_sgpr_kernarg_preload_offset 0
		.amdhsa_user_sgpr_private_segment_size 0
		.amdhsa_uses_dynamic_stack 0
		.amdhsa_system_sgpr_private_segment_wavefront_offset 0
		.amdhsa_system_sgpr_workgroup_id_x 1
		.amdhsa_system_sgpr_workgroup_id_y 0
		.amdhsa_system_sgpr_workgroup_id_z 0
		.amdhsa_system_sgpr_workgroup_info 0
		.amdhsa_system_vgpr_workitem_id 0
		.amdhsa_next_free_vgpr 1
		.amdhsa_next_free_sgpr 0
		.amdhsa_accum_offset 4
		.amdhsa_reserve_vcc 0
		.amdhsa_reserve_flat_scratch 0
		.amdhsa_float_round_mode_32 0
		.amdhsa_float_round_mode_16_64 0
		.amdhsa_float_denorm_mode_32 3
		.amdhsa_float_denorm_mode_16_64 3
		.amdhsa_dx10_clamp 1
		.amdhsa_ieee_mode 1
		.amdhsa_fp16_overflow 0
		.amdhsa_tg_split 0
		.amdhsa_exception_fp_ieee_invalid_op 0
		.amdhsa_exception_fp_denorm_src 0
		.amdhsa_exception_fp_ieee_div_zero 0
		.amdhsa_exception_fp_ieee_overflow 0
		.amdhsa_exception_fp_ieee_underflow 0
		.amdhsa_exception_fp_ieee_inexact 0
		.amdhsa_exception_int_div_zero 0
	.end_amdhsa_kernel
	.section	.text._ZN7rocprim17ROCPRIM_400000_NS6detail17trampoline_kernelINS0_14default_configENS1_25partition_config_selectorILNS1_17partition_subalgoE0EjNS0_10empty_typeEbEEZZNS1_14partition_implILS5_0ELb0ES3_jN6thrust23THRUST_200600_302600_NS6detail15normal_iteratorINSA_10device_ptrIjEEEEPS6_SG_NS0_5tupleIJSF_SF_EEENSH_IJSG_SG_EEES6_PlJ7is_evenIjEEEE10hipError_tPvRmT3_T4_T5_T6_T7_T9_mT8_P12ihipStream_tbDpT10_ENKUlT_T0_E_clISt17integral_constantIbLb1EES15_IbLb0EEEEDaS11_S12_EUlS11_E_NS1_11comp_targetILNS1_3genE8ELNS1_11target_archE1030ELNS1_3gpuE2ELNS1_3repE0EEENS1_30default_config_static_selectorELNS0_4arch9wavefront6targetE1EEEvT1_,"axG",@progbits,_ZN7rocprim17ROCPRIM_400000_NS6detail17trampoline_kernelINS0_14default_configENS1_25partition_config_selectorILNS1_17partition_subalgoE0EjNS0_10empty_typeEbEEZZNS1_14partition_implILS5_0ELb0ES3_jN6thrust23THRUST_200600_302600_NS6detail15normal_iteratorINSA_10device_ptrIjEEEEPS6_SG_NS0_5tupleIJSF_SF_EEENSH_IJSG_SG_EEES6_PlJ7is_evenIjEEEE10hipError_tPvRmT3_T4_T5_T6_T7_T9_mT8_P12ihipStream_tbDpT10_ENKUlT_T0_E_clISt17integral_constantIbLb1EES15_IbLb0EEEEDaS11_S12_EUlS11_E_NS1_11comp_targetILNS1_3genE8ELNS1_11target_archE1030ELNS1_3gpuE2ELNS1_3repE0EEENS1_30default_config_static_selectorELNS0_4arch9wavefront6targetE1EEEvT1_,comdat
.Lfunc_end2160:
	.size	_ZN7rocprim17ROCPRIM_400000_NS6detail17trampoline_kernelINS0_14default_configENS1_25partition_config_selectorILNS1_17partition_subalgoE0EjNS0_10empty_typeEbEEZZNS1_14partition_implILS5_0ELb0ES3_jN6thrust23THRUST_200600_302600_NS6detail15normal_iteratorINSA_10device_ptrIjEEEEPS6_SG_NS0_5tupleIJSF_SF_EEENSH_IJSG_SG_EEES6_PlJ7is_evenIjEEEE10hipError_tPvRmT3_T4_T5_T6_T7_T9_mT8_P12ihipStream_tbDpT10_ENKUlT_T0_E_clISt17integral_constantIbLb1EES15_IbLb0EEEEDaS11_S12_EUlS11_E_NS1_11comp_targetILNS1_3genE8ELNS1_11target_archE1030ELNS1_3gpuE2ELNS1_3repE0EEENS1_30default_config_static_selectorELNS0_4arch9wavefront6targetE1EEEvT1_, .Lfunc_end2160-_ZN7rocprim17ROCPRIM_400000_NS6detail17trampoline_kernelINS0_14default_configENS1_25partition_config_selectorILNS1_17partition_subalgoE0EjNS0_10empty_typeEbEEZZNS1_14partition_implILS5_0ELb0ES3_jN6thrust23THRUST_200600_302600_NS6detail15normal_iteratorINSA_10device_ptrIjEEEEPS6_SG_NS0_5tupleIJSF_SF_EEENSH_IJSG_SG_EEES6_PlJ7is_evenIjEEEE10hipError_tPvRmT3_T4_T5_T6_T7_T9_mT8_P12ihipStream_tbDpT10_ENKUlT_T0_E_clISt17integral_constantIbLb1EES15_IbLb0EEEEDaS11_S12_EUlS11_E_NS1_11comp_targetILNS1_3genE8ELNS1_11target_archE1030ELNS1_3gpuE2ELNS1_3repE0EEENS1_30default_config_static_selectorELNS0_4arch9wavefront6targetE1EEEvT1_
                                        ; -- End function
	.section	.AMDGPU.csdata,"",@progbits
; Kernel info:
; codeLenInByte = 0
; NumSgprs: 4
; NumVgprs: 0
; NumAgprs: 0
; TotalNumVgprs: 0
; ScratchSize: 0
; MemoryBound: 0
; FloatMode: 240
; IeeeMode: 1
; LDSByteSize: 0 bytes/workgroup (compile time only)
; SGPRBlocks: 0
; VGPRBlocks: 0
; NumSGPRsForWavesPerEU: 4
; NumVGPRsForWavesPerEU: 1
; AccumOffset: 4
; Occupancy: 8
; WaveLimiterHint : 0
; COMPUTE_PGM_RSRC2:SCRATCH_EN: 0
; COMPUTE_PGM_RSRC2:USER_SGPR: 6
; COMPUTE_PGM_RSRC2:TRAP_HANDLER: 0
; COMPUTE_PGM_RSRC2:TGID_X_EN: 1
; COMPUTE_PGM_RSRC2:TGID_Y_EN: 0
; COMPUTE_PGM_RSRC2:TGID_Z_EN: 0
; COMPUTE_PGM_RSRC2:TIDIG_COMP_CNT: 0
; COMPUTE_PGM_RSRC3_GFX90A:ACCUM_OFFSET: 0
; COMPUTE_PGM_RSRC3_GFX90A:TG_SPLIT: 0
	.section	.text._ZN7rocprim17ROCPRIM_400000_NS6detail17trampoline_kernelINS0_14default_configENS1_25partition_config_selectorILNS1_17partition_subalgoE0EjNS0_10empty_typeEbEEZZNS1_14partition_implILS5_0ELb0ES3_jN6thrust23THRUST_200600_302600_NS6detail15normal_iteratorINSA_10device_ptrIjEEEEPS6_SG_NS0_5tupleIJSF_SF_EEENSH_IJSG_SG_EEES6_PlJ7is_evenIjEEEE10hipError_tPvRmT3_T4_T5_T6_T7_T9_mT8_P12ihipStream_tbDpT10_ENKUlT_T0_E_clISt17integral_constantIbLb0EES15_IbLb1EEEEDaS11_S12_EUlS11_E_NS1_11comp_targetILNS1_3genE0ELNS1_11target_archE4294967295ELNS1_3gpuE0ELNS1_3repE0EEENS1_30default_config_static_selectorELNS0_4arch9wavefront6targetE1EEEvT1_,"axG",@progbits,_ZN7rocprim17ROCPRIM_400000_NS6detail17trampoline_kernelINS0_14default_configENS1_25partition_config_selectorILNS1_17partition_subalgoE0EjNS0_10empty_typeEbEEZZNS1_14partition_implILS5_0ELb0ES3_jN6thrust23THRUST_200600_302600_NS6detail15normal_iteratorINSA_10device_ptrIjEEEEPS6_SG_NS0_5tupleIJSF_SF_EEENSH_IJSG_SG_EEES6_PlJ7is_evenIjEEEE10hipError_tPvRmT3_T4_T5_T6_T7_T9_mT8_P12ihipStream_tbDpT10_ENKUlT_T0_E_clISt17integral_constantIbLb0EES15_IbLb1EEEEDaS11_S12_EUlS11_E_NS1_11comp_targetILNS1_3genE0ELNS1_11target_archE4294967295ELNS1_3gpuE0ELNS1_3repE0EEENS1_30default_config_static_selectorELNS0_4arch9wavefront6targetE1EEEvT1_,comdat
	.protected	_ZN7rocprim17ROCPRIM_400000_NS6detail17trampoline_kernelINS0_14default_configENS1_25partition_config_selectorILNS1_17partition_subalgoE0EjNS0_10empty_typeEbEEZZNS1_14partition_implILS5_0ELb0ES3_jN6thrust23THRUST_200600_302600_NS6detail15normal_iteratorINSA_10device_ptrIjEEEEPS6_SG_NS0_5tupleIJSF_SF_EEENSH_IJSG_SG_EEES6_PlJ7is_evenIjEEEE10hipError_tPvRmT3_T4_T5_T6_T7_T9_mT8_P12ihipStream_tbDpT10_ENKUlT_T0_E_clISt17integral_constantIbLb0EES15_IbLb1EEEEDaS11_S12_EUlS11_E_NS1_11comp_targetILNS1_3genE0ELNS1_11target_archE4294967295ELNS1_3gpuE0ELNS1_3repE0EEENS1_30default_config_static_selectorELNS0_4arch9wavefront6targetE1EEEvT1_ ; -- Begin function _ZN7rocprim17ROCPRIM_400000_NS6detail17trampoline_kernelINS0_14default_configENS1_25partition_config_selectorILNS1_17partition_subalgoE0EjNS0_10empty_typeEbEEZZNS1_14partition_implILS5_0ELb0ES3_jN6thrust23THRUST_200600_302600_NS6detail15normal_iteratorINSA_10device_ptrIjEEEEPS6_SG_NS0_5tupleIJSF_SF_EEENSH_IJSG_SG_EEES6_PlJ7is_evenIjEEEE10hipError_tPvRmT3_T4_T5_T6_T7_T9_mT8_P12ihipStream_tbDpT10_ENKUlT_T0_E_clISt17integral_constantIbLb0EES15_IbLb1EEEEDaS11_S12_EUlS11_E_NS1_11comp_targetILNS1_3genE0ELNS1_11target_archE4294967295ELNS1_3gpuE0ELNS1_3repE0EEENS1_30default_config_static_selectorELNS0_4arch9wavefront6targetE1EEEvT1_
	.globl	_ZN7rocprim17ROCPRIM_400000_NS6detail17trampoline_kernelINS0_14default_configENS1_25partition_config_selectorILNS1_17partition_subalgoE0EjNS0_10empty_typeEbEEZZNS1_14partition_implILS5_0ELb0ES3_jN6thrust23THRUST_200600_302600_NS6detail15normal_iteratorINSA_10device_ptrIjEEEEPS6_SG_NS0_5tupleIJSF_SF_EEENSH_IJSG_SG_EEES6_PlJ7is_evenIjEEEE10hipError_tPvRmT3_T4_T5_T6_T7_T9_mT8_P12ihipStream_tbDpT10_ENKUlT_T0_E_clISt17integral_constantIbLb0EES15_IbLb1EEEEDaS11_S12_EUlS11_E_NS1_11comp_targetILNS1_3genE0ELNS1_11target_archE4294967295ELNS1_3gpuE0ELNS1_3repE0EEENS1_30default_config_static_selectorELNS0_4arch9wavefront6targetE1EEEvT1_
	.p2align	8
	.type	_ZN7rocprim17ROCPRIM_400000_NS6detail17trampoline_kernelINS0_14default_configENS1_25partition_config_selectorILNS1_17partition_subalgoE0EjNS0_10empty_typeEbEEZZNS1_14partition_implILS5_0ELb0ES3_jN6thrust23THRUST_200600_302600_NS6detail15normal_iteratorINSA_10device_ptrIjEEEEPS6_SG_NS0_5tupleIJSF_SF_EEENSH_IJSG_SG_EEES6_PlJ7is_evenIjEEEE10hipError_tPvRmT3_T4_T5_T6_T7_T9_mT8_P12ihipStream_tbDpT10_ENKUlT_T0_E_clISt17integral_constantIbLb0EES15_IbLb1EEEEDaS11_S12_EUlS11_E_NS1_11comp_targetILNS1_3genE0ELNS1_11target_archE4294967295ELNS1_3gpuE0ELNS1_3repE0EEENS1_30default_config_static_selectorELNS0_4arch9wavefront6targetE1EEEvT1_,@function
_ZN7rocprim17ROCPRIM_400000_NS6detail17trampoline_kernelINS0_14default_configENS1_25partition_config_selectorILNS1_17partition_subalgoE0EjNS0_10empty_typeEbEEZZNS1_14partition_implILS5_0ELb0ES3_jN6thrust23THRUST_200600_302600_NS6detail15normal_iteratorINSA_10device_ptrIjEEEEPS6_SG_NS0_5tupleIJSF_SF_EEENSH_IJSG_SG_EEES6_PlJ7is_evenIjEEEE10hipError_tPvRmT3_T4_T5_T6_T7_T9_mT8_P12ihipStream_tbDpT10_ENKUlT_T0_E_clISt17integral_constantIbLb0EES15_IbLb1EEEEDaS11_S12_EUlS11_E_NS1_11comp_targetILNS1_3genE0ELNS1_11target_archE4294967295ELNS1_3gpuE0ELNS1_3repE0EEENS1_30default_config_static_selectorELNS0_4arch9wavefront6targetE1EEEvT1_: ; @_ZN7rocprim17ROCPRIM_400000_NS6detail17trampoline_kernelINS0_14default_configENS1_25partition_config_selectorILNS1_17partition_subalgoE0EjNS0_10empty_typeEbEEZZNS1_14partition_implILS5_0ELb0ES3_jN6thrust23THRUST_200600_302600_NS6detail15normal_iteratorINSA_10device_ptrIjEEEEPS6_SG_NS0_5tupleIJSF_SF_EEENSH_IJSG_SG_EEES6_PlJ7is_evenIjEEEE10hipError_tPvRmT3_T4_T5_T6_T7_T9_mT8_P12ihipStream_tbDpT10_ENKUlT_T0_E_clISt17integral_constantIbLb0EES15_IbLb1EEEEDaS11_S12_EUlS11_E_NS1_11comp_targetILNS1_3genE0ELNS1_11target_archE4294967295ELNS1_3gpuE0ELNS1_3repE0EEENS1_30default_config_static_selectorELNS0_4arch9wavefront6targetE1EEEvT1_
; %bb.0:
	.section	.rodata,"a",@progbits
	.p2align	6, 0x0
	.amdhsa_kernel _ZN7rocprim17ROCPRIM_400000_NS6detail17trampoline_kernelINS0_14default_configENS1_25partition_config_selectorILNS1_17partition_subalgoE0EjNS0_10empty_typeEbEEZZNS1_14partition_implILS5_0ELb0ES3_jN6thrust23THRUST_200600_302600_NS6detail15normal_iteratorINSA_10device_ptrIjEEEEPS6_SG_NS0_5tupleIJSF_SF_EEENSH_IJSG_SG_EEES6_PlJ7is_evenIjEEEE10hipError_tPvRmT3_T4_T5_T6_T7_T9_mT8_P12ihipStream_tbDpT10_ENKUlT_T0_E_clISt17integral_constantIbLb0EES15_IbLb1EEEEDaS11_S12_EUlS11_E_NS1_11comp_targetILNS1_3genE0ELNS1_11target_archE4294967295ELNS1_3gpuE0ELNS1_3repE0EEENS1_30default_config_static_selectorELNS0_4arch9wavefront6targetE1EEEvT1_
		.amdhsa_group_segment_fixed_size 0
		.amdhsa_private_segment_fixed_size 0
		.amdhsa_kernarg_size 136
		.amdhsa_user_sgpr_count 6
		.amdhsa_user_sgpr_private_segment_buffer 1
		.amdhsa_user_sgpr_dispatch_ptr 0
		.amdhsa_user_sgpr_queue_ptr 0
		.amdhsa_user_sgpr_kernarg_segment_ptr 1
		.amdhsa_user_sgpr_dispatch_id 0
		.amdhsa_user_sgpr_flat_scratch_init 0
		.amdhsa_user_sgpr_kernarg_preload_length 0
		.amdhsa_user_sgpr_kernarg_preload_offset 0
		.amdhsa_user_sgpr_private_segment_size 0
		.amdhsa_uses_dynamic_stack 0
		.amdhsa_system_sgpr_private_segment_wavefront_offset 0
		.amdhsa_system_sgpr_workgroup_id_x 1
		.amdhsa_system_sgpr_workgroup_id_y 0
		.amdhsa_system_sgpr_workgroup_id_z 0
		.amdhsa_system_sgpr_workgroup_info 0
		.amdhsa_system_vgpr_workitem_id 0
		.amdhsa_next_free_vgpr 1
		.amdhsa_next_free_sgpr 0
		.amdhsa_accum_offset 4
		.amdhsa_reserve_vcc 0
		.amdhsa_reserve_flat_scratch 0
		.amdhsa_float_round_mode_32 0
		.amdhsa_float_round_mode_16_64 0
		.amdhsa_float_denorm_mode_32 3
		.amdhsa_float_denorm_mode_16_64 3
		.amdhsa_dx10_clamp 1
		.amdhsa_ieee_mode 1
		.amdhsa_fp16_overflow 0
		.amdhsa_tg_split 0
		.amdhsa_exception_fp_ieee_invalid_op 0
		.amdhsa_exception_fp_denorm_src 0
		.amdhsa_exception_fp_ieee_div_zero 0
		.amdhsa_exception_fp_ieee_overflow 0
		.amdhsa_exception_fp_ieee_underflow 0
		.amdhsa_exception_fp_ieee_inexact 0
		.amdhsa_exception_int_div_zero 0
	.end_amdhsa_kernel
	.section	.text._ZN7rocprim17ROCPRIM_400000_NS6detail17trampoline_kernelINS0_14default_configENS1_25partition_config_selectorILNS1_17partition_subalgoE0EjNS0_10empty_typeEbEEZZNS1_14partition_implILS5_0ELb0ES3_jN6thrust23THRUST_200600_302600_NS6detail15normal_iteratorINSA_10device_ptrIjEEEEPS6_SG_NS0_5tupleIJSF_SF_EEENSH_IJSG_SG_EEES6_PlJ7is_evenIjEEEE10hipError_tPvRmT3_T4_T5_T6_T7_T9_mT8_P12ihipStream_tbDpT10_ENKUlT_T0_E_clISt17integral_constantIbLb0EES15_IbLb1EEEEDaS11_S12_EUlS11_E_NS1_11comp_targetILNS1_3genE0ELNS1_11target_archE4294967295ELNS1_3gpuE0ELNS1_3repE0EEENS1_30default_config_static_selectorELNS0_4arch9wavefront6targetE1EEEvT1_,"axG",@progbits,_ZN7rocprim17ROCPRIM_400000_NS6detail17trampoline_kernelINS0_14default_configENS1_25partition_config_selectorILNS1_17partition_subalgoE0EjNS0_10empty_typeEbEEZZNS1_14partition_implILS5_0ELb0ES3_jN6thrust23THRUST_200600_302600_NS6detail15normal_iteratorINSA_10device_ptrIjEEEEPS6_SG_NS0_5tupleIJSF_SF_EEENSH_IJSG_SG_EEES6_PlJ7is_evenIjEEEE10hipError_tPvRmT3_T4_T5_T6_T7_T9_mT8_P12ihipStream_tbDpT10_ENKUlT_T0_E_clISt17integral_constantIbLb0EES15_IbLb1EEEEDaS11_S12_EUlS11_E_NS1_11comp_targetILNS1_3genE0ELNS1_11target_archE4294967295ELNS1_3gpuE0ELNS1_3repE0EEENS1_30default_config_static_selectorELNS0_4arch9wavefront6targetE1EEEvT1_,comdat
.Lfunc_end2161:
	.size	_ZN7rocprim17ROCPRIM_400000_NS6detail17trampoline_kernelINS0_14default_configENS1_25partition_config_selectorILNS1_17partition_subalgoE0EjNS0_10empty_typeEbEEZZNS1_14partition_implILS5_0ELb0ES3_jN6thrust23THRUST_200600_302600_NS6detail15normal_iteratorINSA_10device_ptrIjEEEEPS6_SG_NS0_5tupleIJSF_SF_EEENSH_IJSG_SG_EEES6_PlJ7is_evenIjEEEE10hipError_tPvRmT3_T4_T5_T6_T7_T9_mT8_P12ihipStream_tbDpT10_ENKUlT_T0_E_clISt17integral_constantIbLb0EES15_IbLb1EEEEDaS11_S12_EUlS11_E_NS1_11comp_targetILNS1_3genE0ELNS1_11target_archE4294967295ELNS1_3gpuE0ELNS1_3repE0EEENS1_30default_config_static_selectorELNS0_4arch9wavefront6targetE1EEEvT1_, .Lfunc_end2161-_ZN7rocprim17ROCPRIM_400000_NS6detail17trampoline_kernelINS0_14default_configENS1_25partition_config_selectorILNS1_17partition_subalgoE0EjNS0_10empty_typeEbEEZZNS1_14partition_implILS5_0ELb0ES3_jN6thrust23THRUST_200600_302600_NS6detail15normal_iteratorINSA_10device_ptrIjEEEEPS6_SG_NS0_5tupleIJSF_SF_EEENSH_IJSG_SG_EEES6_PlJ7is_evenIjEEEE10hipError_tPvRmT3_T4_T5_T6_T7_T9_mT8_P12ihipStream_tbDpT10_ENKUlT_T0_E_clISt17integral_constantIbLb0EES15_IbLb1EEEEDaS11_S12_EUlS11_E_NS1_11comp_targetILNS1_3genE0ELNS1_11target_archE4294967295ELNS1_3gpuE0ELNS1_3repE0EEENS1_30default_config_static_selectorELNS0_4arch9wavefront6targetE1EEEvT1_
                                        ; -- End function
	.section	.AMDGPU.csdata,"",@progbits
; Kernel info:
; codeLenInByte = 0
; NumSgprs: 4
; NumVgprs: 0
; NumAgprs: 0
; TotalNumVgprs: 0
; ScratchSize: 0
; MemoryBound: 0
; FloatMode: 240
; IeeeMode: 1
; LDSByteSize: 0 bytes/workgroup (compile time only)
; SGPRBlocks: 0
; VGPRBlocks: 0
; NumSGPRsForWavesPerEU: 4
; NumVGPRsForWavesPerEU: 1
; AccumOffset: 4
; Occupancy: 8
; WaveLimiterHint : 0
; COMPUTE_PGM_RSRC2:SCRATCH_EN: 0
; COMPUTE_PGM_RSRC2:USER_SGPR: 6
; COMPUTE_PGM_RSRC2:TRAP_HANDLER: 0
; COMPUTE_PGM_RSRC2:TGID_X_EN: 1
; COMPUTE_PGM_RSRC2:TGID_Y_EN: 0
; COMPUTE_PGM_RSRC2:TGID_Z_EN: 0
; COMPUTE_PGM_RSRC2:TIDIG_COMP_CNT: 0
; COMPUTE_PGM_RSRC3_GFX90A:ACCUM_OFFSET: 0
; COMPUTE_PGM_RSRC3_GFX90A:TG_SPLIT: 0
	.section	.text._ZN7rocprim17ROCPRIM_400000_NS6detail17trampoline_kernelINS0_14default_configENS1_25partition_config_selectorILNS1_17partition_subalgoE0EjNS0_10empty_typeEbEEZZNS1_14partition_implILS5_0ELb0ES3_jN6thrust23THRUST_200600_302600_NS6detail15normal_iteratorINSA_10device_ptrIjEEEEPS6_SG_NS0_5tupleIJSF_SF_EEENSH_IJSG_SG_EEES6_PlJ7is_evenIjEEEE10hipError_tPvRmT3_T4_T5_T6_T7_T9_mT8_P12ihipStream_tbDpT10_ENKUlT_T0_E_clISt17integral_constantIbLb0EES15_IbLb1EEEEDaS11_S12_EUlS11_E_NS1_11comp_targetILNS1_3genE5ELNS1_11target_archE942ELNS1_3gpuE9ELNS1_3repE0EEENS1_30default_config_static_selectorELNS0_4arch9wavefront6targetE1EEEvT1_,"axG",@progbits,_ZN7rocprim17ROCPRIM_400000_NS6detail17trampoline_kernelINS0_14default_configENS1_25partition_config_selectorILNS1_17partition_subalgoE0EjNS0_10empty_typeEbEEZZNS1_14partition_implILS5_0ELb0ES3_jN6thrust23THRUST_200600_302600_NS6detail15normal_iteratorINSA_10device_ptrIjEEEEPS6_SG_NS0_5tupleIJSF_SF_EEENSH_IJSG_SG_EEES6_PlJ7is_evenIjEEEE10hipError_tPvRmT3_T4_T5_T6_T7_T9_mT8_P12ihipStream_tbDpT10_ENKUlT_T0_E_clISt17integral_constantIbLb0EES15_IbLb1EEEEDaS11_S12_EUlS11_E_NS1_11comp_targetILNS1_3genE5ELNS1_11target_archE942ELNS1_3gpuE9ELNS1_3repE0EEENS1_30default_config_static_selectorELNS0_4arch9wavefront6targetE1EEEvT1_,comdat
	.protected	_ZN7rocprim17ROCPRIM_400000_NS6detail17trampoline_kernelINS0_14default_configENS1_25partition_config_selectorILNS1_17partition_subalgoE0EjNS0_10empty_typeEbEEZZNS1_14partition_implILS5_0ELb0ES3_jN6thrust23THRUST_200600_302600_NS6detail15normal_iteratorINSA_10device_ptrIjEEEEPS6_SG_NS0_5tupleIJSF_SF_EEENSH_IJSG_SG_EEES6_PlJ7is_evenIjEEEE10hipError_tPvRmT3_T4_T5_T6_T7_T9_mT8_P12ihipStream_tbDpT10_ENKUlT_T0_E_clISt17integral_constantIbLb0EES15_IbLb1EEEEDaS11_S12_EUlS11_E_NS1_11comp_targetILNS1_3genE5ELNS1_11target_archE942ELNS1_3gpuE9ELNS1_3repE0EEENS1_30default_config_static_selectorELNS0_4arch9wavefront6targetE1EEEvT1_ ; -- Begin function _ZN7rocprim17ROCPRIM_400000_NS6detail17trampoline_kernelINS0_14default_configENS1_25partition_config_selectorILNS1_17partition_subalgoE0EjNS0_10empty_typeEbEEZZNS1_14partition_implILS5_0ELb0ES3_jN6thrust23THRUST_200600_302600_NS6detail15normal_iteratorINSA_10device_ptrIjEEEEPS6_SG_NS0_5tupleIJSF_SF_EEENSH_IJSG_SG_EEES6_PlJ7is_evenIjEEEE10hipError_tPvRmT3_T4_T5_T6_T7_T9_mT8_P12ihipStream_tbDpT10_ENKUlT_T0_E_clISt17integral_constantIbLb0EES15_IbLb1EEEEDaS11_S12_EUlS11_E_NS1_11comp_targetILNS1_3genE5ELNS1_11target_archE942ELNS1_3gpuE9ELNS1_3repE0EEENS1_30default_config_static_selectorELNS0_4arch9wavefront6targetE1EEEvT1_
	.globl	_ZN7rocprim17ROCPRIM_400000_NS6detail17trampoline_kernelINS0_14default_configENS1_25partition_config_selectorILNS1_17partition_subalgoE0EjNS0_10empty_typeEbEEZZNS1_14partition_implILS5_0ELb0ES3_jN6thrust23THRUST_200600_302600_NS6detail15normal_iteratorINSA_10device_ptrIjEEEEPS6_SG_NS0_5tupleIJSF_SF_EEENSH_IJSG_SG_EEES6_PlJ7is_evenIjEEEE10hipError_tPvRmT3_T4_T5_T6_T7_T9_mT8_P12ihipStream_tbDpT10_ENKUlT_T0_E_clISt17integral_constantIbLb0EES15_IbLb1EEEEDaS11_S12_EUlS11_E_NS1_11comp_targetILNS1_3genE5ELNS1_11target_archE942ELNS1_3gpuE9ELNS1_3repE0EEENS1_30default_config_static_selectorELNS0_4arch9wavefront6targetE1EEEvT1_
	.p2align	8
	.type	_ZN7rocprim17ROCPRIM_400000_NS6detail17trampoline_kernelINS0_14default_configENS1_25partition_config_selectorILNS1_17partition_subalgoE0EjNS0_10empty_typeEbEEZZNS1_14partition_implILS5_0ELb0ES3_jN6thrust23THRUST_200600_302600_NS6detail15normal_iteratorINSA_10device_ptrIjEEEEPS6_SG_NS0_5tupleIJSF_SF_EEENSH_IJSG_SG_EEES6_PlJ7is_evenIjEEEE10hipError_tPvRmT3_T4_T5_T6_T7_T9_mT8_P12ihipStream_tbDpT10_ENKUlT_T0_E_clISt17integral_constantIbLb0EES15_IbLb1EEEEDaS11_S12_EUlS11_E_NS1_11comp_targetILNS1_3genE5ELNS1_11target_archE942ELNS1_3gpuE9ELNS1_3repE0EEENS1_30default_config_static_selectorELNS0_4arch9wavefront6targetE1EEEvT1_,@function
_ZN7rocprim17ROCPRIM_400000_NS6detail17trampoline_kernelINS0_14default_configENS1_25partition_config_selectorILNS1_17partition_subalgoE0EjNS0_10empty_typeEbEEZZNS1_14partition_implILS5_0ELb0ES3_jN6thrust23THRUST_200600_302600_NS6detail15normal_iteratorINSA_10device_ptrIjEEEEPS6_SG_NS0_5tupleIJSF_SF_EEENSH_IJSG_SG_EEES6_PlJ7is_evenIjEEEE10hipError_tPvRmT3_T4_T5_T6_T7_T9_mT8_P12ihipStream_tbDpT10_ENKUlT_T0_E_clISt17integral_constantIbLb0EES15_IbLb1EEEEDaS11_S12_EUlS11_E_NS1_11comp_targetILNS1_3genE5ELNS1_11target_archE942ELNS1_3gpuE9ELNS1_3repE0EEENS1_30default_config_static_selectorELNS0_4arch9wavefront6targetE1EEEvT1_: ; @_ZN7rocprim17ROCPRIM_400000_NS6detail17trampoline_kernelINS0_14default_configENS1_25partition_config_selectorILNS1_17partition_subalgoE0EjNS0_10empty_typeEbEEZZNS1_14partition_implILS5_0ELb0ES3_jN6thrust23THRUST_200600_302600_NS6detail15normal_iteratorINSA_10device_ptrIjEEEEPS6_SG_NS0_5tupleIJSF_SF_EEENSH_IJSG_SG_EEES6_PlJ7is_evenIjEEEE10hipError_tPvRmT3_T4_T5_T6_T7_T9_mT8_P12ihipStream_tbDpT10_ENKUlT_T0_E_clISt17integral_constantIbLb0EES15_IbLb1EEEEDaS11_S12_EUlS11_E_NS1_11comp_targetILNS1_3genE5ELNS1_11target_archE942ELNS1_3gpuE9ELNS1_3repE0EEENS1_30default_config_static_selectorELNS0_4arch9wavefront6targetE1EEEvT1_
; %bb.0:
	.section	.rodata,"a",@progbits
	.p2align	6, 0x0
	.amdhsa_kernel _ZN7rocprim17ROCPRIM_400000_NS6detail17trampoline_kernelINS0_14default_configENS1_25partition_config_selectorILNS1_17partition_subalgoE0EjNS0_10empty_typeEbEEZZNS1_14partition_implILS5_0ELb0ES3_jN6thrust23THRUST_200600_302600_NS6detail15normal_iteratorINSA_10device_ptrIjEEEEPS6_SG_NS0_5tupleIJSF_SF_EEENSH_IJSG_SG_EEES6_PlJ7is_evenIjEEEE10hipError_tPvRmT3_T4_T5_T6_T7_T9_mT8_P12ihipStream_tbDpT10_ENKUlT_T0_E_clISt17integral_constantIbLb0EES15_IbLb1EEEEDaS11_S12_EUlS11_E_NS1_11comp_targetILNS1_3genE5ELNS1_11target_archE942ELNS1_3gpuE9ELNS1_3repE0EEENS1_30default_config_static_selectorELNS0_4arch9wavefront6targetE1EEEvT1_
		.amdhsa_group_segment_fixed_size 0
		.amdhsa_private_segment_fixed_size 0
		.amdhsa_kernarg_size 136
		.amdhsa_user_sgpr_count 6
		.amdhsa_user_sgpr_private_segment_buffer 1
		.amdhsa_user_sgpr_dispatch_ptr 0
		.amdhsa_user_sgpr_queue_ptr 0
		.amdhsa_user_sgpr_kernarg_segment_ptr 1
		.amdhsa_user_sgpr_dispatch_id 0
		.amdhsa_user_sgpr_flat_scratch_init 0
		.amdhsa_user_sgpr_kernarg_preload_length 0
		.amdhsa_user_sgpr_kernarg_preload_offset 0
		.amdhsa_user_sgpr_private_segment_size 0
		.amdhsa_uses_dynamic_stack 0
		.amdhsa_system_sgpr_private_segment_wavefront_offset 0
		.amdhsa_system_sgpr_workgroup_id_x 1
		.amdhsa_system_sgpr_workgroup_id_y 0
		.amdhsa_system_sgpr_workgroup_id_z 0
		.amdhsa_system_sgpr_workgroup_info 0
		.amdhsa_system_vgpr_workitem_id 0
		.amdhsa_next_free_vgpr 1
		.amdhsa_next_free_sgpr 0
		.amdhsa_accum_offset 4
		.amdhsa_reserve_vcc 0
		.amdhsa_reserve_flat_scratch 0
		.amdhsa_float_round_mode_32 0
		.amdhsa_float_round_mode_16_64 0
		.amdhsa_float_denorm_mode_32 3
		.amdhsa_float_denorm_mode_16_64 3
		.amdhsa_dx10_clamp 1
		.amdhsa_ieee_mode 1
		.amdhsa_fp16_overflow 0
		.amdhsa_tg_split 0
		.amdhsa_exception_fp_ieee_invalid_op 0
		.amdhsa_exception_fp_denorm_src 0
		.amdhsa_exception_fp_ieee_div_zero 0
		.amdhsa_exception_fp_ieee_overflow 0
		.amdhsa_exception_fp_ieee_underflow 0
		.amdhsa_exception_fp_ieee_inexact 0
		.amdhsa_exception_int_div_zero 0
	.end_amdhsa_kernel
	.section	.text._ZN7rocprim17ROCPRIM_400000_NS6detail17trampoline_kernelINS0_14default_configENS1_25partition_config_selectorILNS1_17partition_subalgoE0EjNS0_10empty_typeEbEEZZNS1_14partition_implILS5_0ELb0ES3_jN6thrust23THRUST_200600_302600_NS6detail15normal_iteratorINSA_10device_ptrIjEEEEPS6_SG_NS0_5tupleIJSF_SF_EEENSH_IJSG_SG_EEES6_PlJ7is_evenIjEEEE10hipError_tPvRmT3_T4_T5_T6_T7_T9_mT8_P12ihipStream_tbDpT10_ENKUlT_T0_E_clISt17integral_constantIbLb0EES15_IbLb1EEEEDaS11_S12_EUlS11_E_NS1_11comp_targetILNS1_3genE5ELNS1_11target_archE942ELNS1_3gpuE9ELNS1_3repE0EEENS1_30default_config_static_selectorELNS0_4arch9wavefront6targetE1EEEvT1_,"axG",@progbits,_ZN7rocprim17ROCPRIM_400000_NS6detail17trampoline_kernelINS0_14default_configENS1_25partition_config_selectorILNS1_17partition_subalgoE0EjNS0_10empty_typeEbEEZZNS1_14partition_implILS5_0ELb0ES3_jN6thrust23THRUST_200600_302600_NS6detail15normal_iteratorINSA_10device_ptrIjEEEEPS6_SG_NS0_5tupleIJSF_SF_EEENSH_IJSG_SG_EEES6_PlJ7is_evenIjEEEE10hipError_tPvRmT3_T4_T5_T6_T7_T9_mT8_P12ihipStream_tbDpT10_ENKUlT_T0_E_clISt17integral_constantIbLb0EES15_IbLb1EEEEDaS11_S12_EUlS11_E_NS1_11comp_targetILNS1_3genE5ELNS1_11target_archE942ELNS1_3gpuE9ELNS1_3repE0EEENS1_30default_config_static_selectorELNS0_4arch9wavefront6targetE1EEEvT1_,comdat
.Lfunc_end2162:
	.size	_ZN7rocprim17ROCPRIM_400000_NS6detail17trampoline_kernelINS0_14default_configENS1_25partition_config_selectorILNS1_17partition_subalgoE0EjNS0_10empty_typeEbEEZZNS1_14partition_implILS5_0ELb0ES3_jN6thrust23THRUST_200600_302600_NS6detail15normal_iteratorINSA_10device_ptrIjEEEEPS6_SG_NS0_5tupleIJSF_SF_EEENSH_IJSG_SG_EEES6_PlJ7is_evenIjEEEE10hipError_tPvRmT3_T4_T5_T6_T7_T9_mT8_P12ihipStream_tbDpT10_ENKUlT_T0_E_clISt17integral_constantIbLb0EES15_IbLb1EEEEDaS11_S12_EUlS11_E_NS1_11comp_targetILNS1_3genE5ELNS1_11target_archE942ELNS1_3gpuE9ELNS1_3repE0EEENS1_30default_config_static_selectorELNS0_4arch9wavefront6targetE1EEEvT1_, .Lfunc_end2162-_ZN7rocprim17ROCPRIM_400000_NS6detail17trampoline_kernelINS0_14default_configENS1_25partition_config_selectorILNS1_17partition_subalgoE0EjNS0_10empty_typeEbEEZZNS1_14partition_implILS5_0ELb0ES3_jN6thrust23THRUST_200600_302600_NS6detail15normal_iteratorINSA_10device_ptrIjEEEEPS6_SG_NS0_5tupleIJSF_SF_EEENSH_IJSG_SG_EEES6_PlJ7is_evenIjEEEE10hipError_tPvRmT3_T4_T5_T6_T7_T9_mT8_P12ihipStream_tbDpT10_ENKUlT_T0_E_clISt17integral_constantIbLb0EES15_IbLb1EEEEDaS11_S12_EUlS11_E_NS1_11comp_targetILNS1_3genE5ELNS1_11target_archE942ELNS1_3gpuE9ELNS1_3repE0EEENS1_30default_config_static_selectorELNS0_4arch9wavefront6targetE1EEEvT1_
                                        ; -- End function
	.section	.AMDGPU.csdata,"",@progbits
; Kernel info:
; codeLenInByte = 0
; NumSgprs: 4
; NumVgprs: 0
; NumAgprs: 0
; TotalNumVgprs: 0
; ScratchSize: 0
; MemoryBound: 0
; FloatMode: 240
; IeeeMode: 1
; LDSByteSize: 0 bytes/workgroup (compile time only)
; SGPRBlocks: 0
; VGPRBlocks: 0
; NumSGPRsForWavesPerEU: 4
; NumVGPRsForWavesPerEU: 1
; AccumOffset: 4
; Occupancy: 8
; WaveLimiterHint : 0
; COMPUTE_PGM_RSRC2:SCRATCH_EN: 0
; COMPUTE_PGM_RSRC2:USER_SGPR: 6
; COMPUTE_PGM_RSRC2:TRAP_HANDLER: 0
; COMPUTE_PGM_RSRC2:TGID_X_EN: 1
; COMPUTE_PGM_RSRC2:TGID_Y_EN: 0
; COMPUTE_PGM_RSRC2:TGID_Z_EN: 0
; COMPUTE_PGM_RSRC2:TIDIG_COMP_CNT: 0
; COMPUTE_PGM_RSRC3_GFX90A:ACCUM_OFFSET: 0
; COMPUTE_PGM_RSRC3_GFX90A:TG_SPLIT: 0
	.section	.text._ZN7rocprim17ROCPRIM_400000_NS6detail17trampoline_kernelINS0_14default_configENS1_25partition_config_selectorILNS1_17partition_subalgoE0EjNS0_10empty_typeEbEEZZNS1_14partition_implILS5_0ELb0ES3_jN6thrust23THRUST_200600_302600_NS6detail15normal_iteratorINSA_10device_ptrIjEEEEPS6_SG_NS0_5tupleIJSF_SF_EEENSH_IJSG_SG_EEES6_PlJ7is_evenIjEEEE10hipError_tPvRmT3_T4_T5_T6_T7_T9_mT8_P12ihipStream_tbDpT10_ENKUlT_T0_E_clISt17integral_constantIbLb0EES15_IbLb1EEEEDaS11_S12_EUlS11_E_NS1_11comp_targetILNS1_3genE4ELNS1_11target_archE910ELNS1_3gpuE8ELNS1_3repE0EEENS1_30default_config_static_selectorELNS0_4arch9wavefront6targetE1EEEvT1_,"axG",@progbits,_ZN7rocprim17ROCPRIM_400000_NS6detail17trampoline_kernelINS0_14default_configENS1_25partition_config_selectorILNS1_17partition_subalgoE0EjNS0_10empty_typeEbEEZZNS1_14partition_implILS5_0ELb0ES3_jN6thrust23THRUST_200600_302600_NS6detail15normal_iteratorINSA_10device_ptrIjEEEEPS6_SG_NS0_5tupleIJSF_SF_EEENSH_IJSG_SG_EEES6_PlJ7is_evenIjEEEE10hipError_tPvRmT3_T4_T5_T6_T7_T9_mT8_P12ihipStream_tbDpT10_ENKUlT_T0_E_clISt17integral_constantIbLb0EES15_IbLb1EEEEDaS11_S12_EUlS11_E_NS1_11comp_targetILNS1_3genE4ELNS1_11target_archE910ELNS1_3gpuE8ELNS1_3repE0EEENS1_30default_config_static_selectorELNS0_4arch9wavefront6targetE1EEEvT1_,comdat
	.protected	_ZN7rocprim17ROCPRIM_400000_NS6detail17trampoline_kernelINS0_14default_configENS1_25partition_config_selectorILNS1_17partition_subalgoE0EjNS0_10empty_typeEbEEZZNS1_14partition_implILS5_0ELb0ES3_jN6thrust23THRUST_200600_302600_NS6detail15normal_iteratorINSA_10device_ptrIjEEEEPS6_SG_NS0_5tupleIJSF_SF_EEENSH_IJSG_SG_EEES6_PlJ7is_evenIjEEEE10hipError_tPvRmT3_T4_T5_T6_T7_T9_mT8_P12ihipStream_tbDpT10_ENKUlT_T0_E_clISt17integral_constantIbLb0EES15_IbLb1EEEEDaS11_S12_EUlS11_E_NS1_11comp_targetILNS1_3genE4ELNS1_11target_archE910ELNS1_3gpuE8ELNS1_3repE0EEENS1_30default_config_static_selectorELNS0_4arch9wavefront6targetE1EEEvT1_ ; -- Begin function _ZN7rocprim17ROCPRIM_400000_NS6detail17trampoline_kernelINS0_14default_configENS1_25partition_config_selectorILNS1_17partition_subalgoE0EjNS0_10empty_typeEbEEZZNS1_14partition_implILS5_0ELb0ES3_jN6thrust23THRUST_200600_302600_NS6detail15normal_iteratorINSA_10device_ptrIjEEEEPS6_SG_NS0_5tupleIJSF_SF_EEENSH_IJSG_SG_EEES6_PlJ7is_evenIjEEEE10hipError_tPvRmT3_T4_T5_T6_T7_T9_mT8_P12ihipStream_tbDpT10_ENKUlT_T0_E_clISt17integral_constantIbLb0EES15_IbLb1EEEEDaS11_S12_EUlS11_E_NS1_11comp_targetILNS1_3genE4ELNS1_11target_archE910ELNS1_3gpuE8ELNS1_3repE0EEENS1_30default_config_static_selectorELNS0_4arch9wavefront6targetE1EEEvT1_
	.globl	_ZN7rocprim17ROCPRIM_400000_NS6detail17trampoline_kernelINS0_14default_configENS1_25partition_config_selectorILNS1_17partition_subalgoE0EjNS0_10empty_typeEbEEZZNS1_14partition_implILS5_0ELb0ES3_jN6thrust23THRUST_200600_302600_NS6detail15normal_iteratorINSA_10device_ptrIjEEEEPS6_SG_NS0_5tupleIJSF_SF_EEENSH_IJSG_SG_EEES6_PlJ7is_evenIjEEEE10hipError_tPvRmT3_T4_T5_T6_T7_T9_mT8_P12ihipStream_tbDpT10_ENKUlT_T0_E_clISt17integral_constantIbLb0EES15_IbLb1EEEEDaS11_S12_EUlS11_E_NS1_11comp_targetILNS1_3genE4ELNS1_11target_archE910ELNS1_3gpuE8ELNS1_3repE0EEENS1_30default_config_static_selectorELNS0_4arch9wavefront6targetE1EEEvT1_
	.p2align	8
	.type	_ZN7rocprim17ROCPRIM_400000_NS6detail17trampoline_kernelINS0_14default_configENS1_25partition_config_selectorILNS1_17partition_subalgoE0EjNS0_10empty_typeEbEEZZNS1_14partition_implILS5_0ELb0ES3_jN6thrust23THRUST_200600_302600_NS6detail15normal_iteratorINSA_10device_ptrIjEEEEPS6_SG_NS0_5tupleIJSF_SF_EEENSH_IJSG_SG_EEES6_PlJ7is_evenIjEEEE10hipError_tPvRmT3_T4_T5_T6_T7_T9_mT8_P12ihipStream_tbDpT10_ENKUlT_T0_E_clISt17integral_constantIbLb0EES15_IbLb1EEEEDaS11_S12_EUlS11_E_NS1_11comp_targetILNS1_3genE4ELNS1_11target_archE910ELNS1_3gpuE8ELNS1_3repE0EEENS1_30default_config_static_selectorELNS0_4arch9wavefront6targetE1EEEvT1_,@function
_ZN7rocprim17ROCPRIM_400000_NS6detail17trampoline_kernelINS0_14default_configENS1_25partition_config_selectorILNS1_17partition_subalgoE0EjNS0_10empty_typeEbEEZZNS1_14partition_implILS5_0ELb0ES3_jN6thrust23THRUST_200600_302600_NS6detail15normal_iteratorINSA_10device_ptrIjEEEEPS6_SG_NS0_5tupleIJSF_SF_EEENSH_IJSG_SG_EEES6_PlJ7is_evenIjEEEE10hipError_tPvRmT3_T4_T5_T6_T7_T9_mT8_P12ihipStream_tbDpT10_ENKUlT_T0_E_clISt17integral_constantIbLb0EES15_IbLb1EEEEDaS11_S12_EUlS11_E_NS1_11comp_targetILNS1_3genE4ELNS1_11target_archE910ELNS1_3gpuE8ELNS1_3repE0EEENS1_30default_config_static_selectorELNS0_4arch9wavefront6targetE1EEEvT1_: ; @_ZN7rocprim17ROCPRIM_400000_NS6detail17trampoline_kernelINS0_14default_configENS1_25partition_config_selectorILNS1_17partition_subalgoE0EjNS0_10empty_typeEbEEZZNS1_14partition_implILS5_0ELb0ES3_jN6thrust23THRUST_200600_302600_NS6detail15normal_iteratorINSA_10device_ptrIjEEEEPS6_SG_NS0_5tupleIJSF_SF_EEENSH_IJSG_SG_EEES6_PlJ7is_evenIjEEEE10hipError_tPvRmT3_T4_T5_T6_T7_T9_mT8_P12ihipStream_tbDpT10_ENKUlT_T0_E_clISt17integral_constantIbLb0EES15_IbLb1EEEEDaS11_S12_EUlS11_E_NS1_11comp_targetILNS1_3genE4ELNS1_11target_archE910ELNS1_3gpuE8ELNS1_3repE0EEENS1_30default_config_static_selectorELNS0_4arch9wavefront6targetE1EEEvT1_
; %bb.0:
	s_load_dwordx2 s[2:3], s[4:5], 0x58
	s_load_dwordx4 s[20:23], s[4:5], 0x48
	s_load_dwordx2 s[34:35], s[4:5], 0x68
	v_cmp_eq_u32_e64 s[0:1], 0, v0
	s_and_saveexec_b64 s[6:7], s[0:1]
	s_cbranch_execz .LBB2163_4
; %bb.1:
	s_mov_b64 s[10:11], exec
	v_mbcnt_lo_u32_b32 v1, s10, 0
	v_mbcnt_hi_u32_b32 v1, s11, v1
	v_cmp_eq_u32_e32 vcc, 0, v1
                                        ; implicit-def: $vgpr2
	s_and_saveexec_b64 s[8:9], vcc
	s_cbranch_execz .LBB2163_3
; %bb.2:
	s_load_dwordx2 s[12:13], s[4:5], 0x78
	s_bcnt1_i32_b64 s10, s[10:11]
	v_mov_b32_e32 v2, 0
	v_mov_b32_e32 v3, s10
	s_waitcnt lgkmcnt(0)
	global_atomic_add v2, v2, v3, s[12:13] glc
.LBB2163_3:
	s_or_b64 exec, exec, s[8:9]
	s_waitcnt vmcnt(0)
	v_readfirstlane_b32 s8, v2
	v_add_u32_e32 v1, s8, v1
	v_mov_b32_e32 v2, 0
	ds_write_b32 v2, v1
.LBB2163_4:
	s_or_b64 exec, exec, s[6:7]
	v_mov_b32_e32 v3, 0
	s_load_dwordx4 s[28:31], s[4:5], 0x8
	s_load_dwordx4 s[24:27], s[4:5], 0x28
	s_load_dword s6, s[4:5], 0x70
	s_waitcnt lgkmcnt(0)
	s_barrier
	ds_read_b32 v1, v3
	s_waitcnt lgkmcnt(0)
	s_barrier
	global_load_dwordx2 v[12:13], v3, s[22:23]
	v_mov_b32_e32 v5, s3
	s_lshl_b64 s[4:5], s[30:31], 2
	s_movk_i32 s3, 0xa00
	s_add_u32 s7, s28, s4
	v_mul_lo_u32 v2, v1, s3
	s_mul_i32 s3, s6, 0xa00
	s_addc_u32 s8, s29, s5
	s_add_i32 s5, s3, s30
	s_sub_i32 s33, s2, s5
	s_add_i32 s4, s6, -1
	s_addk_i32 s33, 0xa00
	v_mov_b32_e32 v4, s2
	s_add_u32 s2, s30, s3
	v_readfirstlane_b32 s40, v1
	s_addc_u32 s3, s31, 0
	s_cmp_eq_u32 s40, s4
	s_cselect_b64 s[22:23], -1, 0
	s_cmp_lg_u32 s40, s4
	v_cmp_lt_u64_e32 vcc, s[2:3], v[4:5]
	s_cselect_b64 s[2:3], -1, 0
	v_lshlrev_b64 v[14:15], 2, v[2:3]
	s_or_b64 s[4:5], vcc, s[2:3]
	v_mov_b32_e32 v1, s8
	v_add_co_u32_e32 v16, vcc, s7, v14
	v_addc_co_u32_e32 v17, vcc, v1, v15, vcc
	s_mov_b64 s[2:3], -1
	s_and_b64 vcc, exec, s[4:5]
	v_lshlrev_b32_e32 v1, 2, v0
	s_cbranch_vccz .LBB2163_6
; %bb.5:
	v_add_co_u32_e32 v2, vcc, v16, v1
	v_addc_co_u32_e32 v3, vcc, 0, v17, vcc
	v_add_co_u32_e32 v4, vcc, 0x1000, v2
	v_addc_co_u32_e32 v5, vcc, 0, v3, vcc
	flat_load_dword v6, v[2:3]
	flat_load_dword v7, v[2:3] offset:1024
	flat_load_dword v8, v[2:3] offset:2048
	;; [unrolled: 1-line block ×3, first 2 shown]
	flat_load_dword v10, v[4:5]
	flat_load_dword v11, v[4:5] offset:1024
	flat_load_dword v18, v[4:5] offset:2048
	;; [unrolled: 1-line block ×3, first 2 shown]
	v_add_co_u32_e32 v2, vcc, 0x2000, v2
	v_addc_co_u32_e32 v3, vcc, 0, v3, vcc
	flat_load_dword v4, v[2:3]
	flat_load_dword v5, v[2:3] offset:1024
	s_mov_b64 s[2:3], 0
	s_waitcnt vmcnt(0) lgkmcnt(0)
	ds_write2st64_b32 v1, v6, v7 offset1:4
	ds_write2st64_b32 v1, v8, v9 offset0:8 offset1:12
	ds_write2st64_b32 v1, v10, v11 offset0:16 offset1:20
	;; [unrolled: 1-line block ×4, first 2 shown]
	s_waitcnt lgkmcnt(0)
	s_barrier
.LBB2163_6:
	s_andn2_b64 vcc, exec, s[2:3]
	v_cmp_gt_u32_e64 s[2:3], s33, v0
	s_cbranch_vccnz .LBB2163_28
; %bb.7:
                                        ; implicit-def: $vgpr2_vgpr3_vgpr4_vgpr5_vgpr6_vgpr7_vgpr8_vgpr9_vgpr10_vgpr11
	s_and_saveexec_b64 s[6:7], s[2:3]
	s_cbranch_execz .LBB2163_9
; %bb.8:
	v_add_co_u32_e32 v2, vcc, v16, v1
	v_addc_co_u32_e32 v3, vcc, 0, v17, vcc
	flat_load_dword v2, v[2:3]
.LBB2163_9:
	s_or_b64 exec, exec, s[6:7]
	v_or_b32_e32 v18, 0x100, v0
	v_cmp_gt_u32_e32 vcc, s33, v18
	s_and_saveexec_b64 s[2:3], vcc
	s_cbranch_execz .LBB2163_11
; %bb.10:
	v_add_co_u32_e32 v18, vcc, v16, v1
	v_addc_co_u32_e32 v19, vcc, 0, v17, vcc
	flat_load_dword v3, v[18:19] offset:1024
.LBB2163_11:
	s_or_b64 exec, exec, s[2:3]
	v_or_b32_e32 v18, 0x200, v0
	v_cmp_gt_u32_e32 vcc, s33, v18
	s_and_saveexec_b64 s[2:3], vcc
	s_cbranch_execz .LBB2163_13
; %bb.12:
	v_add_co_u32_e32 v18, vcc, v16, v1
	v_addc_co_u32_e32 v19, vcc, 0, v17, vcc
	flat_load_dword v4, v[18:19] offset:2048
.LBB2163_13:
	;; [unrolled: 10-line block ×3, first 2 shown]
	s_or_b64 exec, exec, s[2:3]
	v_or_b32_e32 v18, 0x400, v0
	v_cmp_gt_u32_e32 vcc, s33, v18
	s_and_saveexec_b64 s[2:3], vcc
	s_cbranch_execz .LBB2163_17
; %bb.16:
	v_lshlrev_b32_e32 v6, 2, v18
	v_add_co_u32_e32 v18, vcc, v16, v6
	v_addc_co_u32_e32 v19, vcc, 0, v17, vcc
	flat_load_dword v6, v[18:19]
.LBB2163_17:
	s_or_b64 exec, exec, s[2:3]
	v_or_b32_e32 v18, 0x500, v0
	v_cmp_gt_u32_e32 vcc, s33, v18
	s_and_saveexec_b64 s[2:3], vcc
	s_cbranch_execz .LBB2163_19
; %bb.18:
	v_lshlrev_b32_e32 v7, 2, v18
	v_add_co_u32_e32 v18, vcc, v16, v7
	v_addc_co_u32_e32 v19, vcc, 0, v17, vcc
	flat_load_dword v7, v[18:19]
.LBB2163_19:
	s_or_b64 exec, exec, s[2:3]
	v_or_b32_e32 v18, 0x600, v0
	v_cmp_gt_u32_e32 vcc, s33, v18
	s_and_saveexec_b64 s[2:3], vcc
	s_cbranch_execz .LBB2163_21
; %bb.20:
	v_lshlrev_b32_e32 v8, 2, v18
	v_add_co_u32_e32 v18, vcc, v16, v8
	v_addc_co_u32_e32 v19, vcc, 0, v17, vcc
	flat_load_dword v8, v[18:19]
.LBB2163_21:
	s_or_b64 exec, exec, s[2:3]
	v_or_b32_e32 v18, 0x700, v0
	v_cmp_gt_u32_e32 vcc, s33, v18
	s_and_saveexec_b64 s[2:3], vcc
	s_cbranch_execz .LBB2163_23
; %bb.22:
	v_lshlrev_b32_e32 v9, 2, v18
	v_add_co_u32_e32 v18, vcc, v16, v9
	v_addc_co_u32_e32 v19, vcc, 0, v17, vcc
	flat_load_dword v9, v[18:19]
.LBB2163_23:
	s_or_b64 exec, exec, s[2:3]
	v_or_b32_e32 v18, 0x800, v0
	v_cmp_gt_u32_e32 vcc, s33, v18
	s_and_saveexec_b64 s[2:3], vcc
	s_cbranch_execz .LBB2163_25
; %bb.24:
	v_lshlrev_b32_e32 v10, 2, v18
	v_add_co_u32_e32 v18, vcc, v16, v10
	v_addc_co_u32_e32 v19, vcc, 0, v17, vcc
	flat_load_dword v10, v[18:19]
.LBB2163_25:
	s_or_b64 exec, exec, s[2:3]
	v_or_b32_e32 v18, 0x900, v0
	v_cmp_gt_u32_e32 vcc, s33, v18
	s_and_saveexec_b64 s[2:3], vcc
	s_cbranch_execz .LBB2163_27
; %bb.26:
	v_lshlrev_b32_e32 v11, 2, v18
	v_add_co_u32_e32 v16, vcc, v16, v11
	v_addc_co_u32_e32 v17, vcc, 0, v17, vcc
	flat_load_dword v11, v[16:17]
.LBB2163_27:
	s_or_b64 exec, exec, s[2:3]
	s_waitcnt vmcnt(0) lgkmcnt(0)
	ds_write2st64_b32 v1, v2, v3 offset1:4
	ds_write2st64_b32 v1, v4, v5 offset0:8 offset1:12
	ds_write2st64_b32 v1, v6, v7 offset0:16 offset1:20
	;; [unrolled: 1-line block ×4, first 2 shown]
	s_waitcnt lgkmcnt(0)
	s_barrier
.LBB2163_28:
	v_mul_u32_u24_e32 v27, 10, v0
	v_lshlrev_b32_e32 v33, 2, v27
	ds_read2_b64 v[6:9], v33 offset1:1
	ds_read2_b64 v[2:5], v33 offset0:2 offset1:3
	ds_read_b64 v[10:11], v33 offset:32
	v_cndmask_b32_e64 v16, 0, 1, s[4:5]
	v_cmp_ne_u32_e64 s[2:3], 1, v16
	s_andn2_b64 vcc, exec, s[4:5]
	s_waitcnt lgkmcnt(2)
	v_xor_b32_e32 v25, -1, v6
	v_xor_b32_e32 v24, -1, v7
	;; [unrolled: 1-line block ×4, first 2 shown]
	s_waitcnt lgkmcnt(1)
	v_xor_b32_e32 v21, -1, v2
	v_xor_b32_e32 v20, -1, v3
	;; [unrolled: 1-line block ×4, first 2 shown]
	s_waitcnt lgkmcnt(0)
	v_xor_b32_e32 v17, -1, v10
	v_xor_b32_e32 v16, -1, v11
	s_barrier
	s_cbranch_vccnz .LBB2163_30
; %bb.29:
	v_mov_b32_e32 v26, 1
	v_and_b32_e32 v29, 1, v25
	v_and_b32_sdwa v30, v24, v26 dst_sel:BYTE_1 dst_unused:UNUSED_PAD src0_sel:DWORD src1_sel:DWORD
	v_and_b32_e32 v31, 1, v23
	v_and_b32_sdwa v32, v22, v26 dst_sel:BYTE_1 dst_unused:UNUSED_PAD src0_sel:DWORD src1_sel:DWORD
	;; [unrolled: 2-line block ×4, first 2 shown]
	v_or_b32_e32 v29, v29, v30
	v_or_b32_sdwa v30, v31, v32 dst_sel:WORD_1 dst_unused:UNUSED_PAD src0_sel:DWORD src1_sel:DWORD
	v_or_b32_sdwa v30, v29, v30 dst_sel:DWORD dst_unused:UNUSED_PAD src0_sel:WORD_0 src1_sel:DWORD
	v_or_b32_e32 v29, v34, v35
	v_or_b32_sdwa v31, v36, v37 dst_sel:WORD_1 dst_unused:UNUSED_PAD src0_sel:DWORD src1_sel:DWORD
	v_and_b32_e32 v28, 1, v17
	v_and_b32_e32 v26, 1, v16
	v_or_b32_sdwa v29, v29, v31 dst_sel:DWORD dst_unused:UNUSED_PAD src0_sel:WORD_0 src1_sel:DWORD
	s_cbranch_execz .LBB2163_31
	s_branch .LBB2163_32
.LBB2163_30:
                                        ; implicit-def: $vgpr26
                                        ; implicit-def: $vgpr28
                                        ; implicit-def: $vgpr29
                                        ; implicit-def: $vgpr30
.LBB2163_31:
	v_or_b32_e32 v36, 1, v27
	v_cmp_gt_u32_e32 vcc, s33, v27
	v_add_u32_e32 v26, 2, v27
	v_cndmask_b32_e64 v37, 0, 1, vcc
	v_cmp_gt_u32_e32 vcc, s33, v36
	v_add_u32_e32 v35, 3, v27
	v_cndmask_b32_e64 v36, 0, 1, vcc
	;; [unrolled: 3-line block ×3, first 2 shown]
	v_cmp_gt_u32_e32 vcc, s33, v35
	v_add_u32_e32 v34, 5, v27
	v_and_b32_e32 v23, v26, v23
	v_cndmask_b32_e64 v26, 0, 1, vcc
	v_cmp_gt_u32_e32 vcc, s33, v28
	v_add_u32_e32 v29, 6, v27
	v_and_b32_sdwa v22, v26, v22 dst_sel:BYTE_1 dst_unused:UNUSED_PAD src0_sel:DWORD src1_sel:DWORD
	v_cndmask_b32_e64 v26, 0, 1, vcc
	v_cmp_gt_u32_e32 vcc, s33, v34
	v_add_u32_e32 v32, 7, v27
	v_and_b32_e32 v21, v26, v21
	v_cndmask_b32_e64 v26, 0, 1, vcc
	v_cmp_gt_u32_e32 vcc, s33, v29
	v_add_u32_e32 v30, 8, v27
	v_and_b32_sdwa v20, v26, v20 dst_sel:BYTE_1 dst_unused:UNUSED_PAD src0_sel:DWORD src1_sel:DWORD
	v_cndmask_b32_e64 v26, 0, 1, vcc
	v_cmp_gt_u32_e32 vcc, s33, v32
	v_add_u32_e32 v31, 9, v27
	v_and_b32_e32 v19, v26, v19
	v_cndmask_b32_e64 v26, 0, 1, vcc
	v_cmp_gt_u32_e32 vcc, s33, v30
	v_and_b32_sdwa v18, v26, v18 dst_sel:BYTE_1 dst_unused:UNUSED_PAD src0_sel:DWORD src1_sel:DWORD
	v_cndmask_b32_e64 v26, 0, 1, vcc
	v_cmp_gt_u32_e32 vcc, s33, v31
	v_and_b32_e32 v25, v37, v25
	v_and_b32_sdwa v24, v36, v24 dst_sel:BYTE_1 dst_unused:UNUSED_PAD src0_sel:DWORD src1_sel:DWORD
	v_and_b32_e32 v28, v26, v17
	v_cndmask_b32_e64 v17, 0, 1, vcc
	v_and_b32_e32 v26, v17, v16
	v_or_b32_e32 v16, v25, v24
	v_or_b32_sdwa v17, v23, v22 dst_sel:WORD_1 dst_unused:UNUSED_PAD src0_sel:DWORD src1_sel:DWORD
	v_or_b32_sdwa v30, v16, v17 dst_sel:DWORD dst_unused:UNUSED_PAD src0_sel:WORD_0 src1_sel:DWORD
	v_or_b32_e32 v16, v21, v20
	v_or_b32_sdwa v17, v19, v18 dst_sel:WORD_1 dst_unused:UNUSED_PAD src0_sel:DWORD src1_sel:DWORD
	v_or_b32_sdwa v29, v16, v17 dst_sel:DWORD dst_unused:UNUSED_PAD src0_sel:WORD_0 src1_sel:DWORD
.LBB2163_32:
	v_bfe_u32 v34, v30, 16, 8
	v_lshrrev_b32_e32 v32, 24, v30
	v_add_u32_sdwa v17, v30, v30 dst_sel:DWORD dst_unused:UNUSED_PAD src0_sel:BYTE_1 src1_sel:BYTE_0
	v_and_b32_e32 v35, 0xff, v29
	v_bfe_u32 v36, v29, 8, 8
	v_add3_u32 v17, v17, v34, v32
	v_bfe_u32 v37, v29, 16, 8
	v_lshrrev_b32_e32 v31, 24, v29
	v_add3_u32 v17, v17, v35, v36
	v_and_b32_e32 v38, 0xff, v28
	v_and_b32_e32 v16, 0xff, v26
	v_add3_u32 v17, v17, v37, v31
	v_add3_u32 v41, v17, v38, v16
	v_mbcnt_lo_u32_b32 v16, -1, 0
	v_mbcnt_hi_u32_b32 v39, -1, v16
	v_and_b32_e32 v16, 15, v39
	v_cmp_eq_u32_e64 s[16:17], 0, v16
	v_cmp_lt_u32_e64 s[14:15], 1, v16
	v_cmp_lt_u32_e64 s[12:13], 3, v16
	;; [unrolled: 1-line block ×3, first 2 shown]
	v_and_b32_e32 v16, 16, v39
	v_cmp_eq_u32_e64 s[8:9], 0, v16
	v_or_b32_e32 v16, 63, v0
	s_cmp_lg_u32 s40, 0
	v_cmp_lt_u32_e64 s[4:5], 31, v39
	v_lshrrev_b32_e32 v40, 6, v0
	v_cmp_eq_u32_e64 s[6:7], v16, v0
	s_cbranch_scc0 .LBB2163_59
; %bb.33:
	v_mov_b32_dpp v16, v41 row_shr:1 row_mask:0xf bank_mask:0xf
	v_cndmask_b32_e64 v16, v16, 0, s[16:17]
	v_add_u32_e32 v16, v16, v41
	s_nop 1
	v_mov_b32_dpp v17, v16 row_shr:2 row_mask:0xf bank_mask:0xf
	v_cndmask_b32_e64 v17, 0, v17, s[14:15]
	v_add_u32_e32 v16, v16, v17
	s_nop 1
	;; [unrolled: 4-line block ×4, first 2 shown]
	v_mov_b32_dpp v17, v16 row_bcast:15 row_mask:0xf bank_mask:0xf
	v_cndmask_b32_e64 v17, v17, 0, s[8:9]
	v_add_u32_e32 v16, v16, v17
	s_nop 1
	v_mov_b32_dpp v17, v16 row_bcast:31 row_mask:0xf bank_mask:0xf
	v_cndmask_b32_e64 v17, 0, v17, s[4:5]
	v_add_u32_e32 v16, v16, v17
	s_and_saveexec_b64 s[18:19], s[6:7]
	s_cbranch_execz .LBB2163_35
; %bb.34:
	v_lshlrev_b32_e32 v17, 2, v40
	ds_write_b32 v17, v16
.LBB2163_35:
	s_or_b64 exec, exec, s[18:19]
	v_cmp_gt_u32_e32 vcc, 4, v0
	s_waitcnt lgkmcnt(0)
	s_barrier
	s_and_saveexec_b64 s[18:19], vcc
	s_cbranch_execz .LBB2163_37
; %bb.36:
	ds_read_b32 v17, v1
	v_and_b32_e32 v18, 3, v39
	v_cmp_ne_u32_e32 vcc, 0, v18
	s_waitcnt lgkmcnt(0)
	v_mov_b32_dpp v19, v17 row_shr:1 row_mask:0xf bank_mask:0xf
	v_cndmask_b32_e32 v19, 0, v19, vcc
	v_add_u32_e32 v17, v19, v17
	v_cmp_lt_u32_e32 vcc, 1, v18
	s_nop 0
	v_mov_b32_dpp v19, v17 row_shr:2 row_mask:0xf bank_mask:0xf
	v_cndmask_b32_e32 v18, 0, v19, vcc
	v_add_u32_e32 v17, v17, v18
	ds_write_b32 v1, v17
.LBB2163_37:
	s_or_b64 exec, exec, s[18:19]
	v_cmp_gt_u32_e32 vcc, 64, v0
	v_cmp_lt_u32_e64 s[18:19], 63, v0
	s_waitcnt lgkmcnt(0)
	s_barrier
	s_waitcnt lgkmcnt(0)
                                        ; implicit-def: $vgpr42
	s_and_saveexec_b64 s[28:29], s[18:19]
	s_cbranch_execz .LBB2163_39
; %bb.38:
	v_lshl_add_u32 v17, v40, 2, -4
	ds_read_b32 v42, v17
	s_waitcnt lgkmcnt(0)
	v_add_u32_e32 v16, v42, v16
.LBB2163_39:
	s_or_b64 exec, exec, s[28:29]
	v_add_u32_e32 v17, -1, v39
	v_and_b32_e32 v18, 64, v39
	v_cmp_lt_i32_e64 s[18:19], v17, v18
	v_cndmask_b32_e64 v17, v17, v39, s[18:19]
	v_lshlrev_b32_e32 v17, 2, v17
	ds_bpermute_b32 v43, v17, v16
	v_cmp_eq_u32_e64 s[18:19], 0, v39
	s_and_saveexec_b64 s[28:29], vcc
	s_cbranch_execz .LBB2163_58
; %bb.40:
	v_mov_b32_e32 v23, 0
	ds_read_b32 v16, v23 offset:12
	s_and_saveexec_b64 s[36:37], s[18:19]
	s_cbranch_execz .LBB2163_42
; %bb.41:
	s_add_i32 s38, s40, 64
	s_mov_b32 s39, 0
	s_lshl_b64 s[38:39], s[38:39], 3
	s_add_u32 s38, s34, s38
	v_mov_b32_e32 v17, 1
	s_addc_u32 s39, s35, s39
	s_waitcnt lgkmcnt(0)
	global_store_dwordx2 v23, v[16:17], s[38:39]
.LBB2163_42:
	s_or_b64 exec, exec, s[36:37]
	v_xad_u32 v18, v39, -1, s40
	v_add_u32_e32 v22, 64, v18
	v_lshlrev_b64 v[20:21], 3, v[22:23]
	v_mov_b32_e32 v17, s35
	v_add_co_u32_e32 v24, vcc, s34, v20
	v_addc_co_u32_e32 v25, vcc, v17, v21, vcc
	global_load_dwordx2 v[20:21], v[24:25], off glc
	s_waitcnt vmcnt(0)
	v_cmp_eq_u16_sdwa s[38:39], v21, v23 src0_sel:BYTE_0 src1_sel:DWORD
	s_and_saveexec_b64 s[36:37], s[38:39]
	s_cbranch_execz .LBB2163_46
; %bb.43:
	s_mov_b64 s[38:39], 0
	v_mov_b32_e32 v17, 0
.LBB2163_44:                            ; =>This Inner Loop Header: Depth=1
	global_load_dwordx2 v[20:21], v[24:25], off glc
	s_waitcnt vmcnt(0)
	v_cmp_ne_u16_sdwa s[42:43], v21, v17 src0_sel:BYTE_0 src1_sel:DWORD
	s_or_b64 s[38:39], s[42:43], s[38:39]
	s_andn2_b64 exec, exec, s[38:39]
	s_cbranch_execnz .LBB2163_44
; %bb.45:
	s_or_b64 exec, exec, s[38:39]
.LBB2163_46:
	s_or_b64 exec, exec, s[36:37]
	v_and_b32_e32 v45, 63, v39
	v_mov_b32_e32 v44, 2
	v_cmp_ne_u32_e32 vcc, 63, v45
	v_cmp_eq_u16_sdwa s[36:37], v21, v44 src0_sel:BYTE_0 src1_sel:DWORD
	v_lshlrev_b64 v[22:23], v39, -1
	v_addc_co_u32_e32 v24, vcc, 0, v39, vcc
	v_and_b32_e32 v17, s37, v23
	v_lshlrev_b32_e32 v46, 2, v24
	v_or_b32_e32 v17, 0x80000000, v17
	ds_bpermute_b32 v24, v46, v20
	v_and_b32_e32 v19, s36, v22
	v_ffbl_b32_e32 v17, v17
	v_add_u32_e32 v17, 32, v17
	v_ffbl_b32_e32 v19, v19
	v_min_u32_e32 v17, v19, v17
	v_cmp_lt_u32_e32 vcc, v45, v17
	s_waitcnt lgkmcnt(0)
	v_cndmask_b32_e32 v19, 0, v24, vcc
	v_cmp_gt_u32_e32 vcc, 62, v45
	v_add_u32_e32 v19, v19, v20
	v_cndmask_b32_e64 v20, 0, 1, vcc
	v_lshlrev_b32_e32 v20, 1, v20
	v_add_lshl_u32 v47, v20, v39, 2
	ds_bpermute_b32 v20, v47, v19
	v_add_u32_e32 v48, 2, v45
	v_cmp_le_u32_e32 vcc, v48, v17
	v_add_u32_e32 v50, 4, v45
	v_add_u32_e32 v52, 8, v45
	s_waitcnt lgkmcnt(0)
	v_cndmask_b32_e32 v20, 0, v20, vcc
	v_cmp_gt_u32_e32 vcc, 60, v45
	v_add_u32_e32 v19, v19, v20
	v_cndmask_b32_e64 v20, 0, 1, vcc
	v_lshlrev_b32_e32 v20, 2, v20
	v_add_lshl_u32 v49, v20, v39, 2
	ds_bpermute_b32 v20, v49, v19
	v_cmp_le_u32_e32 vcc, v50, v17
	v_add_u32_e32 v54, 16, v45
	v_add_u32_e32 v56, 32, v45
	s_waitcnt lgkmcnt(0)
	v_cndmask_b32_e32 v20, 0, v20, vcc
	v_cmp_gt_u32_e32 vcc, 56, v45
	v_add_u32_e32 v19, v19, v20
	v_cndmask_b32_e64 v20, 0, 1, vcc
	v_lshlrev_b32_e32 v20, 3, v20
	v_add_lshl_u32 v51, v20, v39, 2
	ds_bpermute_b32 v20, v51, v19
	v_cmp_le_u32_e32 vcc, v52, v17
	s_waitcnt lgkmcnt(0)
	v_cndmask_b32_e32 v20, 0, v20, vcc
	v_cmp_gt_u32_e32 vcc, 48, v45
	v_add_u32_e32 v19, v19, v20
	v_cndmask_b32_e64 v20, 0, 1, vcc
	v_lshlrev_b32_e32 v20, 4, v20
	v_add_lshl_u32 v53, v20, v39, 2
	ds_bpermute_b32 v20, v53, v19
	v_cmp_le_u32_e32 vcc, v54, v17
	;; [unrolled: 9-line block ×3, first 2 shown]
	s_waitcnt lgkmcnt(0)
	v_cndmask_b32_e32 v17, 0, v20, vcc
	v_add_u32_e32 v20, v19, v17
	v_mov_b32_e32 v19, 0
	s_branch .LBB2163_48
.LBB2163_47:                            ;   in Loop: Header=BB2163_48 Depth=1
	s_or_b64 exec, exec, s[36:37]
	v_cmp_eq_u16_sdwa s[36:37], v21, v44 src0_sel:BYTE_0 src1_sel:DWORD
	v_and_b32_e32 v24, s37, v23
	v_or_b32_e32 v24, 0x80000000, v24
	ds_bpermute_b32 v57, v46, v20
	v_and_b32_e32 v25, s36, v22
	v_ffbl_b32_e32 v24, v24
	v_add_u32_e32 v24, 32, v24
	v_ffbl_b32_e32 v25, v25
	v_min_u32_e32 v24, v25, v24
	v_cmp_lt_u32_e32 vcc, v45, v24
	s_waitcnt lgkmcnt(0)
	v_cndmask_b32_e32 v25, 0, v57, vcc
	v_add_u32_e32 v20, v25, v20
	ds_bpermute_b32 v25, v47, v20
	v_cmp_le_u32_e32 vcc, v48, v24
	v_subrev_u32_e32 v18, 64, v18
	s_waitcnt lgkmcnt(0)
	v_cndmask_b32_e32 v25, 0, v25, vcc
	v_add_u32_e32 v20, v20, v25
	ds_bpermute_b32 v25, v49, v20
	v_cmp_le_u32_e32 vcc, v50, v24
	s_waitcnt lgkmcnt(0)
	v_cndmask_b32_e32 v25, 0, v25, vcc
	v_add_u32_e32 v20, v20, v25
	ds_bpermute_b32 v25, v51, v20
	v_cmp_le_u32_e32 vcc, v52, v24
	;; [unrolled: 5-line block ×4, first 2 shown]
	s_waitcnt lgkmcnt(0)
	v_cndmask_b32_e32 v24, 0, v25, vcc
	v_add3_u32 v20, v24, v17, v20
.LBB2163_48:                            ; =>This Loop Header: Depth=1
                                        ;     Child Loop BB2163_51 Depth 2
	v_cmp_ne_u16_sdwa s[36:37], v21, v44 src0_sel:BYTE_0 src1_sel:DWORD
	v_cndmask_b32_e64 v17, 0, 1, s[36:37]
	;;#ASMSTART
	;;#ASMEND
	v_cmp_ne_u32_e32 vcc, 0, v17
	s_cmp_lg_u64 vcc, exec
	v_mov_b32_e32 v17, v20
	s_cbranch_scc1 .LBB2163_53
; %bb.49:                               ;   in Loop: Header=BB2163_48 Depth=1
	v_lshlrev_b64 v[20:21], 3, v[18:19]
	v_mov_b32_e32 v25, s35
	v_add_co_u32_e32 v24, vcc, s34, v20
	v_addc_co_u32_e32 v25, vcc, v25, v21, vcc
	global_load_dwordx2 v[20:21], v[24:25], off glc
	s_waitcnt vmcnt(0)
	v_cmp_eq_u16_sdwa s[38:39], v21, v19 src0_sel:BYTE_0 src1_sel:DWORD
	s_and_saveexec_b64 s[36:37], s[38:39]
	s_cbranch_execz .LBB2163_47
; %bb.50:                               ;   in Loop: Header=BB2163_48 Depth=1
	s_mov_b64 s[38:39], 0
.LBB2163_51:                            ;   Parent Loop BB2163_48 Depth=1
                                        ; =>  This Inner Loop Header: Depth=2
	global_load_dwordx2 v[20:21], v[24:25], off glc
	s_waitcnt vmcnt(0)
	v_cmp_ne_u16_sdwa s[42:43], v21, v19 src0_sel:BYTE_0 src1_sel:DWORD
	s_or_b64 s[38:39], s[42:43], s[38:39]
	s_andn2_b64 exec, exec, s[38:39]
	s_cbranch_execnz .LBB2163_51
; %bb.52:                               ;   in Loop: Header=BB2163_48 Depth=1
	s_or_b64 exec, exec, s[38:39]
	s_branch .LBB2163_47
.LBB2163_53:                            ;   in Loop: Header=BB2163_48 Depth=1
                                        ; implicit-def: $vgpr20
                                        ; implicit-def: $vgpr21
	s_cbranch_execz .LBB2163_48
; %bb.54:
	s_and_saveexec_b64 s[36:37], s[18:19]
	s_cbranch_execz .LBB2163_56
; %bb.55:
	s_add_i32 s38, s40, 64
	s_mov_b32 s39, 0
	s_lshl_b64 s[38:39], s[38:39], 3
	s_add_u32 s38, s34, s38
	v_add_u32_e32 v18, v17, v16
	v_mov_b32_e32 v19, 2
	s_addc_u32 s39, s35, s39
	v_mov_b32_e32 v20, 0
	global_store_dwordx2 v20, v[18:19], s[38:39]
	ds_write_b64 v20, v[16:17] offset:10240
.LBB2163_56:
	s_or_b64 exec, exec, s[36:37]
	s_and_b64 exec, exec, s[0:1]
	s_cbranch_execz .LBB2163_58
; %bb.57:
	v_mov_b32_e32 v16, 0
	ds_write_b32 v16, v17 offset:12
.LBB2163_58:
	s_or_b64 exec, exec, s[28:29]
	v_mov_b32_e32 v16, 0
	s_waitcnt lgkmcnt(0)
	s_barrier
	ds_read_b32 v17, v16 offset:12
	v_cndmask_b32_e64 v18, v43, v42, s[18:19]
	v_cndmask_b32_e64 v18, v18, 0, s[0:1]
	s_waitcnt lgkmcnt(0)
	s_barrier
	v_add_u32_e32 v43, v17, v18
	v_add_u32_sdwa v42, v43, v30 dst_sel:DWORD dst_unused:UNUSED_PAD src0_sel:DWORD src1_sel:BYTE_0
	v_add_u32_sdwa v25, v42, v30 dst_sel:DWORD dst_unused:UNUSED_PAD src0_sel:DWORD src1_sel:BYTE_1
	v_add_u32_e32 v24, v25, v34
	v_add_u32_e32 v23, v24, v32
	;; [unrolled: 1-line block ×3, first 2 shown]
	ds_read_b64 v[16:17], v16 offset:10240
	v_add_u32_e32 v21, v22, v36
	v_add_u32_e32 v20, v21, v37
	;; [unrolled: 1-line block ×4, first 2 shown]
	s_branch .LBB2163_69
.LBB2163_59:
                                        ; implicit-def: $vgpr17
                                        ; implicit-def: $vgpr18
                                        ; implicit-def: $vgpr19
                                        ; implicit-def: $vgpr20
                                        ; implicit-def: $vgpr21
                                        ; implicit-def: $vgpr22
                                        ; implicit-def: $vgpr23
                                        ; implicit-def: $vgpr24
                                        ; implicit-def: $vgpr25
                                        ; implicit-def: $vgpr42
                                        ; implicit-def: $vgpr43
	s_cbranch_execz .LBB2163_69
; %bb.60:
	s_waitcnt lgkmcnt(0)
	v_mov_b32_dpp v16, v41 row_shr:1 row_mask:0xf bank_mask:0xf
	v_cndmask_b32_e64 v16, v16, 0, s[16:17]
	v_add_u32_e32 v16, v16, v41
	s_nop 1
	v_mov_b32_dpp v17, v16 row_shr:2 row_mask:0xf bank_mask:0xf
	v_cndmask_b32_e64 v17, 0, v17, s[14:15]
	v_add_u32_e32 v16, v16, v17
	s_nop 1
	;; [unrolled: 4-line block ×4, first 2 shown]
	v_mov_b32_dpp v17, v16 row_bcast:15 row_mask:0xf bank_mask:0xf
	v_cndmask_b32_e64 v17, v17, 0, s[8:9]
	v_add_u32_e32 v16, v16, v17
	s_nop 1
	v_mov_b32_dpp v17, v16 row_bcast:31 row_mask:0xf bank_mask:0xf
	v_cndmask_b32_e64 v17, 0, v17, s[4:5]
	v_add_u32_e32 v16, v16, v17
	s_and_saveexec_b64 s[4:5], s[6:7]
	s_cbranch_execz .LBB2163_62
; %bb.61:
	v_lshlrev_b32_e32 v17, 2, v40
	ds_write_b32 v17, v16
.LBB2163_62:
	s_or_b64 exec, exec, s[4:5]
	v_cmp_gt_u32_e32 vcc, 4, v0
	s_waitcnt lgkmcnt(0)
	s_barrier
	s_and_saveexec_b64 s[4:5], vcc
	s_cbranch_execz .LBB2163_64
; %bb.63:
	s_movk_i32 s6, 0xffdc
	v_mad_i32_i24 v17, v0, s6, v33
	ds_read_b32 v18, v17
	v_and_b32_e32 v19, 3, v39
	v_cmp_ne_u32_e32 vcc, 0, v19
	s_waitcnt lgkmcnt(0)
	v_mov_b32_dpp v20, v18 row_shr:1 row_mask:0xf bank_mask:0xf
	v_cndmask_b32_e32 v20, 0, v20, vcc
	v_add_u32_e32 v18, v20, v18
	v_cmp_lt_u32_e32 vcc, 1, v19
	s_nop 0
	v_mov_b32_dpp v20, v18 row_shr:2 row_mask:0xf bank_mask:0xf
	v_cndmask_b32_e32 v19, 0, v20, vcc
	v_add_u32_e32 v18, v18, v19
	ds_write_b32 v17, v18
.LBB2163_64:
	s_or_b64 exec, exec, s[4:5]
	v_cmp_lt_u32_e32 vcc, 63, v0
	v_mov_b32_e32 v17, 0
	v_mov_b32_e32 v18, 0
	s_waitcnt lgkmcnt(0)
	s_barrier
	s_and_saveexec_b64 s[4:5], vcc
	s_cbranch_execz .LBB2163_66
; %bb.65:
	v_lshl_add_u32 v18, v40, 2, -4
	ds_read_b32 v18, v18
.LBB2163_66:
	s_or_b64 exec, exec, s[4:5]
	v_add_u32_e32 v19, -1, v39
	v_and_b32_e32 v20, 64, v39
	v_cmp_lt_i32_e32 vcc, v19, v20
	v_cndmask_b32_e32 v19, v19, v39, vcc
	s_waitcnt lgkmcnt(0)
	v_add_u32_e32 v16, v18, v16
	v_lshlrev_b32_e32 v19, 2, v19
	ds_bpermute_b32 v19, v19, v16
	ds_read_b32 v16, v17 offset:12
	s_and_saveexec_b64 s[4:5], s[0:1]
	s_cbranch_execz .LBB2163_68
; %bb.67:
	v_mov_b32_e32 v20, 0
	v_mov_b32_e32 v17, 2
	s_waitcnt lgkmcnt(0)
	global_store_dwordx2 v20, v[16:17], s[34:35] offset:512
.LBB2163_68:
	s_or_b64 exec, exec, s[4:5]
	v_cmp_eq_u32_e32 vcc, 0, v39
	s_waitcnt lgkmcnt(1)
	v_cndmask_b32_e32 v18, v19, v18, vcc
	v_cndmask_b32_e64 v43, v18, 0, s[0:1]
	v_add_u32_sdwa v42, v43, v30 dst_sel:DWORD dst_unused:UNUSED_PAD src0_sel:DWORD src1_sel:BYTE_0
	v_add_u32_sdwa v25, v42, v30 dst_sel:DWORD dst_unused:UNUSED_PAD src0_sel:DWORD src1_sel:BYTE_1
	v_add_u32_e32 v24, v25, v34
	v_add_u32_e32 v23, v24, v32
	;; [unrolled: 1-line block ×6, first 2 shown]
	v_mov_b32_e32 v17, 0
	v_add_u32_e32 v18, v19, v38
	s_waitcnt lgkmcnt(0)
	s_barrier
.LBB2163_69:
	s_waitcnt lgkmcnt(0)
	v_add_u32_e32 v27, v16, v27
	v_sub_u32_e32 v35, v43, v17
	v_and_b32_e32 v37, 1, v30
	v_sub_u32_e32 v36, v27, v35
	v_cmp_eq_u32_e32 vcc, 1, v37
	v_cndmask_b32_e32 v35, v36, v35, vcc
	v_lshlrev_b32_e32 v35, 2, v35
	v_lshrrev_b32_e32 v34, 8, v30
	ds_write_b32 v35, v6
	v_sub_u32_e32 v6, v42, v17
	v_sub_u32_e32 v35, v27, v6
	v_and_b32_e32 v34, 1, v34
	v_add_u32_e32 v35, 1, v35
	v_cmp_eq_u32_e32 vcc, 1, v34
	v_cndmask_b32_e32 v6, v35, v6, vcc
	v_lshlrev_b32_e32 v6, 2, v6
	ds_write_b32 v6, v7
	v_sub_u32_e32 v6, v25, v17
	v_mov_b32_e32 v25, 1
	v_sub_u32_e32 v7, v27, v6
	v_and_b32_sdwa v30, v25, v30 dst_sel:DWORD dst_unused:UNUSED_PAD src0_sel:DWORD src1_sel:WORD_1
	v_add_u32_e32 v7, 2, v7
	v_cmp_eq_u32_e32 vcc, 1, v30
	v_cndmask_b32_e32 v6, v7, v6, vcc
	v_lshlrev_b32_e32 v6, 2, v6
	ds_write_b32 v6, v8
	v_sub_u32_e32 v6, v24, v17
	v_sub_u32_e32 v7, v27, v6
	v_and_b32_e32 v8, 1, v32
	v_add_u32_e32 v7, 3, v7
	v_cmp_eq_u32_e32 vcc, 1, v8
	v_cndmask_b32_e32 v6, v7, v6, vcc
	v_lshlrev_b32_e32 v6, 2, v6
	ds_write_b32 v6, v9
	v_sub_u32_e32 v6, v23, v17
	v_sub_u32_e32 v7, v27, v6
	v_and_b32_e32 v8, 1, v29
	v_add_u32_e32 v7, 4, v7
	v_cmp_eq_u32_e32 vcc, 1, v8
	v_cndmask_b32_e32 v6, v7, v6, vcc
	v_lshlrev_b32_e32 v6, 2, v6
	v_lshrrev_b32_e32 v33, 8, v29
	ds_write_b32 v6, v2
	v_sub_u32_e32 v2, v22, v17
	v_sub_u32_e32 v6, v27, v2
	v_and_b32_e32 v7, 1, v33
	v_add_u32_e32 v6, 5, v6
	v_cmp_eq_u32_e32 vcc, 1, v7
	v_cndmask_b32_e32 v2, v6, v2, vcc
	v_lshlrev_b32_e32 v2, 2, v2
	ds_write_b32 v2, v3
	v_sub_u32_e32 v2, v21, v17
	v_sub_u32_e32 v3, v27, v2
	v_and_b32_sdwa v6, v25, v29 dst_sel:DWORD dst_unused:UNUSED_PAD src0_sel:DWORD src1_sel:WORD_1
	v_add_u32_e32 v3, 6, v3
	v_cmp_eq_u32_e32 vcc, 1, v6
	v_cndmask_b32_e32 v2, v3, v2, vcc
	v_lshlrev_b32_e32 v2, 2, v2
	ds_write_b32 v2, v4
	v_sub_u32_e32 v2, v20, v17
	v_sub_u32_e32 v3, v27, v2
	v_and_b32_e32 v4, 1, v31
	v_add_u32_e32 v3, 7, v3
	v_cmp_eq_u32_e32 vcc, 1, v4
	v_cndmask_b32_e32 v2, v3, v2, vcc
	v_lshlrev_b32_e32 v2, 2, v2
	ds_write_b32 v2, v5
	v_sub_u32_e32 v2, v19, v17
	v_sub_u32_e32 v3, v27, v2
	v_and_b32_e32 v4, 1, v28
	v_add_u32_e32 v3, 8, v3
	v_cmp_eq_u32_e32 vcc, 1, v4
	v_cndmask_b32_e32 v2, v3, v2, vcc
	v_lshlrev_b32_e32 v2, 2, v2
	ds_write_b32 v2, v10
	v_sub_u32_e32 v2, v18, v17
	v_sub_u32_e32 v3, v27, v2
	v_and_b32_e32 v4, 1, v26
	v_add_u32_e32 v3, 9, v3
	v_cmp_eq_u32_e32 vcc, 1, v4
	v_cndmask_b32_e32 v2, v3, v2, vcc
	s_waitcnt vmcnt(0)
	v_add_co_u32_e32 v30, vcc, v12, v17
	v_lshlrev_b32_e32 v2, 2, v2
	v_addc_co_u32_e32 v31, vcc, 0, v13, vcc
	ds_write_b32 v2, v11
	v_add_co_u32_e32 v2, vcc, v30, v16
	v_addc_co_u32_e32 v3, vcc, 0, v31, vcc
	v_mov_b32_e32 v13, s31
	v_sub_co_u32_e32 v12, vcc, s30, v2
	v_subb_co_u32_e32 v13, vcc, v13, v3, vcc
	v_lshlrev_b64 v[12:13], 2, v[12:13]
	v_mov_b32_e32 v17, s27
	v_add_co_u32_e32 v12, vcc, s26, v12
	s_waitcnt lgkmcnt(0)
	s_barrier
	ds_read2st64_b32 v[18:19], v1 offset1:4
	ds_read2st64_b32 v[10:11], v1 offset0:8 offset1:12
	ds_read2st64_b32 v[8:9], v1 offset0:16 offset1:20
	;; [unrolled: 1-line block ×4, first 2 shown]
	v_addc_co_u32_e32 v13, vcc, v17, v13, vcc
	v_add_co_u32_e32 v12, vcc, v12, v14
	v_addc_co_u32_e32 v13, vcc, v13, v15, vcc
	v_lshlrev_b64 v[14:15], 2, v[30:31]
	v_mov_b32_e32 v17, s25
	s_and_b64 vcc, exec, s[2:3]
	v_add_co_u32_e64 v14, s[2:3], s24, v14
	v_or_b32_e32 v28, 0x100, v0
	v_or_b32_e32 v27, 0x200, v0
	;; [unrolled: 1-line block ×9, first 2 shown]
	v_addc_co_u32_e64 v15, s[2:3], v17, v15, s[2:3]
	s_cbranch_vccnz .LBB2163_71
; %bb.70:
	v_cmp_gt_u32_e32 vcc, v16, v0
	v_cndmask_b32_e32 v29, v12, v14, vcc
	v_cndmask_b32_e32 v17, v13, v15, vcc
	v_add_co_u32_e32 v30, vcc, v29, v1
	v_addc_co_u32_e32 v31, vcc, 0, v17, vcc
	v_cmp_lt_u32_e32 vcc, v28, v16
	v_cndmask_b32_e32 v29, v12, v14, vcc
	s_waitcnt lgkmcnt(4)
	global_store_dword v[30:31], v18, off
	v_cndmask_b32_e32 v17, v13, v15, vcc
	v_add_co_u32_e32 v30, vcc, v29, v1
	v_addc_co_u32_e32 v31, vcc, 0, v17, vcc
	v_cmp_lt_u32_e32 vcc, v27, v16
	v_cndmask_b32_e32 v29, v12, v14, vcc
	global_store_dword v[30:31], v19, off offset:1024
	v_cndmask_b32_e32 v17, v13, v15, vcc
	v_add_co_u32_e32 v30, vcc, v29, v1
	v_addc_co_u32_e32 v31, vcc, 0, v17, vcc
	v_cmp_lt_u32_e32 vcc, v26, v16
	v_cndmask_b32_e32 v29, v12, v14, vcc
	s_waitcnt lgkmcnt(3)
	global_store_dword v[30:31], v10, off offset:2048
	v_cndmask_b32_e32 v17, v13, v15, vcc
	v_add_co_u32_e32 v30, vcc, v29, v1
	v_addc_co_u32_e32 v31, vcc, 0, v17, vcc
	v_cmp_lt_u32_e32 vcc, v25, v16
	global_store_dword v[30:31], v11, off offset:3072
	v_cndmask_b32_e32 v29, v12, v14, vcc
	v_lshlrev_b32_e32 v30, 2, v25
	v_cndmask_b32_e32 v17, v13, v15, vcc
	v_add_co_u32_e32 v30, vcc, v29, v30
	v_addc_co_u32_e32 v31, vcc, 0, v17, vcc
	v_cmp_lt_u32_e32 vcc, v24, v16
	s_waitcnt lgkmcnt(2)
	global_store_dword v[30:31], v8, off
	v_cndmask_b32_e32 v29, v12, v14, vcc
	v_lshlrev_b32_e32 v30, 2, v24
	v_cndmask_b32_e32 v17, v13, v15, vcc
	v_add_co_u32_e32 v30, vcc, v29, v30
	v_addc_co_u32_e32 v31, vcc, 0, v17, vcc
	v_cmp_lt_u32_e32 vcc, v23, v16
	global_store_dword v[30:31], v9, off
	v_cndmask_b32_e32 v29, v12, v14, vcc
	v_lshlrev_b32_e32 v30, 2, v23
	v_cndmask_b32_e32 v17, v13, v15, vcc
	v_add_co_u32_e32 v30, vcc, v29, v30
	v_addc_co_u32_e32 v31, vcc, 0, v17, vcc
	v_cmp_lt_u32_e32 vcc, v22, v16
	s_waitcnt lgkmcnt(1)
	global_store_dword v[30:31], v6, off
	v_cndmask_b32_e32 v29, v12, v14, vcc
	v_lshlrev_b32_e32 v30, 2, v22
	v_cndmask_b32_e32 v17, v13, v15, vcc
	v_add_co_u32_e32 v30, vcc, v29, v30
	v_addc_co_u32_e32 v31, vcc, 0, v17, vcc
	v_cmp_lt_u32_e32 vcc, v21, v16
	global_store_dword v[30:31], v7, off
	v_cndmask_b32_e32 v29, v12, v14, vcc
	v_lshlrev_b32_e32 v30, 2, v21
	v_cndmask_b32_e32 v17, v13, v15, vcc
	v_add_co_u32_e32 v30, vcc, v29, v30
	v_addc_co_u32_e32 v31, vcc, 0, v17, vcc
	s_mov_b64 s[2:3], -1
	s_waitcnt lgkmcnt(0)
	global_store_dword v[30:31], v4, off
	s_cbranch_execz .LBB2163_72
	s_branch .LBB2163_83
.LBB2163_71:
	s_mov_b64 s[2:3], 0
.LBB2163_72:
	v_cmp_gt_u32_e32 vcc, s33, v0
	s_and_saveexec_b64 s[2:3], vcc
	s_cbranch_execnz .LBB2163_88
; %bb.73:
	s_or_b64 exec, exec, s[2:3]
	v_cmp_gt_u32_e32 vcc, s33, v28
	s_and_saveexec_b64 s[2:3], vcc
	s_cbranch_execnz .LBB2163_89
.LBB2163_74:
	s_or_b64 exec, exec, s[2:3]
	v_cmp_gt_u32_e32 vcc, s33, v27
	s_and_saveexec_b64 s[2:3], vcc
	s_cbranch_execnz .LBB2163_90
.LBB2163_75:
	s_or_b64 exec, exec, s[2:3]
	v_cmp_gt_u32_e32 vcc, s33, v26
	s_and_saveexec_b64 s[2:3], vcc
	s_cbranch_execnz .LBB2163_91
.LBB2163_76:
	s_or_b64 exec, exec, s[2:3]
	v_cmp_gt_u32_e32 vcc, s33, v25
	s_and_saveexec_b64 s[2:3], vcc
	s_cbranch_execnz .LBB2163_92
.LBB2163_77:
	s_or_b64 exec, exec, s[2:3]
	v_cmp_gt_u32_e32 vcc, s33, v24
	s_and_saveexec_b64 s[2:3], vcc
	s_cbranch_execnz .LBB2163_93
.LBB2163_78:
	s_or_b64 exec, exec, s[2:3]
	v_cmp_gt_u32_e32 vcc, s33, v23
	s_and_saveexec_b64 s[2:3], vcc
	s_cbranch_execnz .LBB2163_94
.LBB2163_79:
	s_or_b64 exec, exec, s[2:3]
	v_cmp_gt_u32_e32 vcc, s33, v22
	s_and_saveexec_b64 s[2:3], vcc
	s_cbranch_execnz .LBB2163_95
.LBB2163_80:
	s_or_b64 exec, exec, s[2:3]
	v_cmp_gt_u32_e32 vcc, s33, v21
	s_and_saveexec_b64 s[2:3], vcc
	s_cbranch_execz .LBB2163_82
.LBB2163_81:
	v_cmp_lt_u32_e32 vcc, v21, v16
	v_cndmask_b32_e32 v0, v12, v14, vcc
	s_waitcnt lgkmcnt(1)
	v_lshlrev_b32_e32 v6, 2, v21
	v_cndmask_b32_e32 v1, v13, v15, vcc
	v_add_co_u32_e32 v0, vcc, v0, v6
	v_addc_co_u32_e32 v1, vcc, 0, v1, vcc
	s_waitcnt lgkmcnt(0)
	global_store_dword v[0:1], v4, off
.LBB2163_82:
	s_or_b64 exec, exec, s[2:3]
	v_cmp_gt_u32_e64 s[2:3], s33, v20
.LBB2163_83:
	s_and_saveexec_b64 s[4:5], s[2:3]
	s_cbranch_execnz .LBB2163_86
; %bb.84:
	s_or_b64 exec, exec, s[4:5]
	s_and_b64 s[0:1], s[0:1], s[22:23]
	s_and_saveexec_b64 s[2:3], s[0:1]
	s_cbranch_execnz .LBB2163_87
.LBB2163_85:
	s_endpgm
.LBB2163_86:
	v_cmp_lt_u32_e32 vcc, v20, v16
	v_cndmask_b32_e32 v0, v12, v14, vcc
	s_waitcnt lgkmcnt(0)
	v_lshlrev_b32_e32 v4, 2, v20
	v_cndmask_b32_e32 v1, v13, v15, vcc
	v_add_co_u32_e32 v0, vcc, v0, v4
	v_addc_co_u32_e32 v1, vcc, 0, v1, vcc
	global_store_dword v[0:1], v5, off
	s_or_b64 exec, exec, s[4:5]
	s_and_b64 s[0:1], s[0:1], s[22:23]
	s_and_saveexec_b64 s[2:3], s[0:1]
	s_cbranch_execz .LBB2163_85
.LBB2163_87:
	v_mov_b32_e32 v0, 0
	global_store_dwordx2 v0, v[2:3], s[20:21]
	s_endpgm
.LBB2163_88:
	v_cmp_gt_u32_e32 vcc, v16, v0
	v_cndmask_b32_e32 v17, v12, v14, vcc
	v_cndmask_b32_e32 v0, v13, v15, vcc
	v_add_co_u32_e32 v30, vcc, v17, v1
	v_addc_co_u32_e32 v31, vcc, 0, v0, vcc
	s_waitcnt lgkmcnt(4)
	global_store_dword v[30:31], v18, off
	s_or_b64 exec, exec, s[2:3]
	v_cmp_gt_u32_e32 vcc, s33, v28
	s_and_saveexec_b64 s[2:3], vcc
	s_cbranch_execz .LBB2163_74
.LBB2163_89:
	v_cmp_lt_u32_e32 vcc, v28, v16
	v_cndmask_b32_e32 v17, v12, v14, vcc
	v_cndmask_b32_e32 v0, v13, v15, vcc
	v_add_co_u32_e32 v28, vcc, v17, v1
	v_addc_co_u32_e32 v29, vcc, 0, v0, vcc
	s_waitcnt lgkmcnt(4)
	global_store_dword v[28:29], v19, off offset:1024
	s_or_b64 exec, exec, s[2:3]
	v_cmp_gt_u32_e32 vcc, s33, v27
	s_and_saveexec_b64 s[2:3], vcc
	s_cbranch_execz .LBB2163_75
.LBB2163_90:
	v_cmp_lt_u32_e32 vcc, v27, v16
	v_cndmask_b32_e32 v17, v12, v14, vcc
	v_cndmask_b32_e32 v0, v13, v15, vcc
	s_waitcnt lgkmcnt(4)
	v_add_co_u32_e32 v18, vcc, v17, v1
	v_addc_co_u32_e32 v19, vcc, 0, v0, vcc
	s_waitcnt lgkmcnt(3)
	global_store_dword v[18:19], v10, off offset:2048
	s_or_b64 exec, exec, s[2:3]
	v_cmp_gt_u32_e32 vcc, s33, v26
	s_and_saveexec_b64 s[2:3], vcc
	s_cbranch_execz .LBB2163_76
.LBB2163_91:
	v_cmp_lt_u32_e32 vcc, v26, v16
	v_cndmask_b32_e32 v0, v12, v14, vcc
	s_waitcnt lgkmcnt(3)
	v_cndmask_b32_e32 v10, v13, v15, vcc
	v_add_co_u32_e32 v0, vcc, v0, v1
	v_addc_co_u32_e32 v1, vcc, 0, v10, vcc
	global_store_dword v[0:1], v11, off offset:3072
	s_or_b64 exec, exec, s[2:3]
	v_cmp_gt_u32_e32 vcc, s33, v25
	s_and_saveexec_b64 s[2:3], vcc
	s_cbranch_execz .LBB2163_77
.LBB2163_92:
	v_cmp_lt_u32_e32 vcc, v25, v16
	v_cndmask_b32_e32 v0, v12, v14, vcc
	s_waitcnt lgkmcnt(3)
	v_lshlrev_b32_e32 v10, 2, v25
	v_cndmask_b32_e32 v1, v13, v15, vcc
	v_add_co_u32_e32 v0, vcc, v0, v10
	v_addc_co_u32_e32 v1, vcc, 0, v1, vcc
	s_waitcnt lgkmcnt(2)
	global_store_dword v[0:1], v8, off
	s_or_b64 exec, exec, s[2:3]
	v_cmp_gt_u32_e32 vcc, s33, v24
	s_and_saveexec_b64 s[2:3], vcc
	s_cbranch_execz .LBB2163_78
.LBB2163_93:
	v_cmp_lt_u32_e32 vcc, v24, v16
	v_cndmask_b32_e32 v0, v12, v14, vcc
	s_waitcnt lgkmcnt(2)
	v_lshlrev_b32_e32 v8, 2, v24
	v_cndmask_b32_e32 v1, v13, v15, vcc
	v_add_co_u32_e32 v0, vcc, v0, v8
	v_addc_co_u32_e32 v1, vcc, 0, v1, vcc
	global_store_dword v[0:1], v9, off
	s_or_b64 exec, exec, s[2:3]
	v_cmp_gt_u32_e32 vcc, s33, v23
	s_and_saveexec_b64 s[2:3], vcc
	s_cbranch_execz .LBB2163_79
.LBB2163_94:
	v_cmp_lt_u32_e32 vcc, v23, v16
	v_cndmask_b32_e32 v0, v12, v14, vcc
	s_waitcnt lgkmcnt(2)
	v_lshlrev_b32_e32 v8, 2, v23
	v_cndmask_b32_e32 v1, v13, v15, vcc
	v_add_co_u32_e32 v0, vcc, v0, v8
	v_addc_co_u32_e32 v1, vcc, 0, v1, vcc
	s_waitcnt lgkmcnt(1)
	global_store_dword v[0:1], v6, off
	s_or_b64 exec, exec, s[2:3]
	v_cmp_gt_u32_e32 vcc, s33, v22
	s_and_saveexec_b64 s[2:3], vcc
	s_cbranch_execz .LBB2163_80
.LBB2163_95:
	v_cmp_lt_u32_e32 vcc, v22, v16
	v_cndmask_b32_e32 v0, v12, v14, vcc
	s_waitcnt lgkmcnt(1)
	v_lshlrev_b32_e32 v6, 2, v22
	v_cndmask_b32_e32 v1, v13, v15, vcc
	v_add_co_u32_e32 v0, vcc, v0, v6
	v_addc_co_u32_e32 v1, vcc, 0, v1, vcc
	global_store_dword v[0:1], v7, off
	s_or_b64 exec, exec, s[2:3]
	v_cmp_gt_u32_e32 vcc, s33, v21
	s_and_saveexec_b64 s[2:3], vcc
	s_cbranch_execnz .LBB2163_81
	s_branch .LBB2163_82
	.section	.rodata,"a",@progbits
	.p2align	6, 0x0
	.amdhsa_kernel _ZN7rocprim17ROCPRIM_400000_NS6detail17trampoline_kernelINS0_14default_configENS1_25partition_config_selectorILNS1_17partition_subalgoE0EjNS0_10empty_typeEbEEZZNS1_14partition_implILS5_0ELb0ES3_jN6thrust23THRUST_200600_302600_NS6detail15normal_iteratorINSA_10device_ptrIjEEEEPS6_SG_NS0_5tupleIJSF_SF_EEENSH_IJSG_SG_EEES6_PlJ7is_evenIjEEEE10hipError_tPvRmT3_T4_T5_T6_T7_T9_mT8_P12ihipStream_tbDpT10_ENKUlT_T0_E_clISt17integral_constantIbLb0EES15_IbLb1EEEEDaS11_S12_EUlS11_E_NS1_11comp_targetILNS1_3genE4ELNS1_11target_archE910ELNS1_3gpuE8ELNS1_3repE0EEENS1_30default_config_static_selectorELNS0_4arch9wavefront6targetE1EEEvT1_
		.amdhsa_group_segment_fixed_size 10248
		.amdhsa_private_segment_fixed_size 0
		.amdhsa_kernarg_size 136
		.amdhsa_user_sgpr_count 6
		.amdhsa_user_sgpr_private_segment_buffer 1
		.amdhsa_user_sgpr_dispatch_ptr 0
		.amdhsa_user_sgpr_queue_ptr 0
		.amdhsa_user_sgpr_kernarg_segment_ptr 1
		.amdhsa_user_sgpr_dispatch_id 0
		.amdhsa_user_sgpr_flat_scratch_init 0
		.amdhsa_user_sgpr_kernarg_preload_length 0
		.amdhsa_user_sgpr_kernarg_preload_offset 0
		.amdhsa_user_sgpr_private_segment_size 0
		.amdhsa_uses_dynamic_stack 0
		.amdhsa_system_sgpr_private_segment_wavefront_offset 0
		.amdhsa_system_sgpr_workgroup_id_x 1
		.amdhsa_system_sgpr_workgroup_id_y 0
		.amdhsa_system_sgpr_workgroup_id_z 0
		.amdhsa_system_sgpr_workgroup_info 0
		.amdhsa_system_vgpr_workitem_id 0
		.amdhsa_next_free_vgpr 58
		.amdhsa_next_free_sgpr 44
		.amdhsa_accum_offset 60
		.amdhsa_reserve_vcc 1
		.amdhsa_reserve_flat_scratch 0
		.amdhsa_float_round_mode_32 0
		.amdhsa_float_round_mode_16_64 0
		.amdhsa_float_denorm_mode_32 3
		.amdhsa_float_denorm_mode_16_64 3
		.amdhsa_dx10_clamp 1
		.amdhsa_ieee_mode 1
		.amdhsa_fp16_overflow 0
		.amdhsa_tg_split 0
		.amdhsa_exception_fp_ieee_invalid_op 0
		.amdhsa_exception_fp_denorm_src 0
		.amdhsa_exception_fp_ieee_div_zero 0
		.amdhsa_exception_fp_ieee_overflow 0
		.amdhsa_exception_fp_ieee_underflow 0
		.amdhsa_exception_fp_ieee_inexact 0
		.amdhsa_exception_int_div_zero 0
	.end_amdhsa_kernel
	.section	.text._ZN7rocprim17ROCPRIM_400000_NS6detail17trampoline_kernelINS0_14default_configENS1_25partition_config_selectorILNS1_17partition_subalgoE0EjNS0_10empty_typeEbEEZZNS1_14partition_implILS5_0ELb0ES3_jN6thrust23THRUST_200600_302600_NS6detail15normal_iteratorINSA_10device_ptrIjEEEEPS6_SG_NS0_5tupleIJSF_SF_EEENSH_IJSG_SG_EEES6_PlJ7is_evenIjEEEE10hipError_tPvRmT3_T4_T5_T6_T7_T9_mT8_P12ihipStream_tbDpT10_ENKUlT_T0_E_clISt17integral_constantIbLb0EES15_IbLb1EEEEDaS11_S12_EUlS11_E_NS1_11comp_targetILNS1_3genE4ELNS1_11target_archE910ELNS1_3gpuE8ELNS1_3repE0EEENS1_30default_config_static_selectorELNS0_4arch9wavefront6targetE1EEEvT1_,"axG",@progbits,_ZN7rocprim17ROCPRIM_400000_NS6detail17trampoline_kernelINS0_14default_configENS1_25partition_config_selectorILNS1_17partition_subalgoE0EjNS0_10empty_typeEbEEZZNS1_14partition_implILS5_0ELb0ES3_jN6thrust23THRUST_200600_302600_NS6detail15normal_iteratorINSA_10device_ptrIjEEEEPS6_SG_NS0_5tupleIJSF_SF_EEENSH_IJSG_SG_EEES6_PlJ7is_evenIjEEEE10hipError_tPvRmT3_T4_T5_T6_T7_T9_mT8_P12ihipStream_tbDpT10_ENKUlT_T0_E_clISt17integral_constantIbLb0EES15_IbLb1EEEEDaS11_S12_EUlS11_E_NS1_11comp_targetILNS1_3genE4ELNS1_11target_archE910ELNS1_3gpuE8ELNS1_3repE0EEENS1_30default_config_static_selectorELNS0_4arch9wavefront6targetE1EEEvT1_,comdat
.Lfunc_end2163:
	.size	_ZN7rocprim17ROCPRIM_400000_NS6detail17trampoline_kernelINS0_14default_configENS1_25partition_config_selectorILNS1_17partition_subalgoE0EjNS0_10empty_typeEbEEZZNS1_14partition_implILS5_0ELb0ES3_jN6thrust23THRUST_200600_302600_NS6detail15normal_iteratorINSA_10device_ptrIjEEEEPS6_SG_NS0_5tupleIJSF_SF_EEENSH_IJSG_SG_EEES6_PlJ7is_evenIjEEEE10hipError_tPvRmT3_T4_T5_T6_T7_T9_mT8_P12ihipStream_tbDpT10_ENKUlT_T0_E_clISt17integral_constantIbLb0EES15_IbLb1EEEEDaS11_S12_EUlS11_E_NS1_11comp_targetILNS1_3genE4ELNS1_11target_archE910ELNS1_3gpuE8ELNS1_3repE0EEENS1_30default_config_static_selectorELNS0_4arch9wavefront6targetE1EEEvT1_, .Lfunc_end2163-_ZN7rocprim17ROCPRIM_400000_NS6detail17trampoline_kernelINS0_14default_configENS1_25partition_config_selectorILNS1_17partition_subalgoE0EjNS0_10empty_typeEbEEZZNS1_14partition_implILS5_0ELb0ES3_jN6thrust23THRUST_200600_302600_NS6detail15normal_iteratorINSA_10device_ptrIjEEEEPS6_SG_NS0_5tupleIJSF_SF_EEENSH_IJSG_SG_EEES6_PlJ7is_evenIjEEEE10hipError_tPvRmT3_T4_T5_T6_T7_T9_mT8_P12ihipStream_tbDpT10_ENKUlT_T0_E_clISt17integral_constantIbLb0EES15_IbLb1EEEEDaS11_S12_EUlS11_E_NS1_11comp_targetILNS1_3genE4ELNS1_11target_archE910ELNS1_3gpuE8ELNS1_3repE0EEENS1_30default_config_static_selectorELNS0_4arch9wavefront6targetE1EEEvT1_
                                        ; -- End function
	.section	.AMDGPU.csdata,"",@progbits
; Kernel info:
; codeLenInByte = 5132
; NumSgprs: 48
; NumVgprs: 58
; NumAgprs: 0
; TotalNumVgprs: 58
; ScratchSize: 0
; MemoryBound: 0
; FloatMode: 240
; IeeeMode: 1
; LDSByteSize: 10248 bytes/workgroup (compile time only)
; SGPRBlocks: 5
; VGPRBlocks: 7
; NumSGPRsForWavesPerEU: 48
; NumVGPRsForWavesPerEU: 58
; AccumOffset: 60
; Occupancy: 6
; WaveLimiterHint : 1
; COMPUTE_PGM_RSRC2:SCRATCH_EN: 0
; COMPUTE_PGM_RSRC2:USER_SGPR: 6
; COMPUTE_PGM_RSRC2:TRAP_HANDLER: 0
; COMPUTE_PGM_RSRC2:TGID_X_EN: 1
; COMPUTE_PGM_RSRC2:TGID_Y_EN: 0
; COMPUTE_PGM_RSRC2:TGID_Z_EN: 0
; COMPUTE_PGM_RSRC2:TIDIG_COMP_CNT: 0
; COMPUTE_PGM_RSRC3_GFX90A:ACCUM_OFFSET: 14
; COMPUTE_PGM_RSRC3_GFX90A:TG_SPLIT: 0
	.section	.text._ZN7rocprim17ROCPRIM_400000_NS6detail17trampoline_kernelINS0_14default_configENS1_25partition_config_selectorILNS1_17partition_subalgoE0EjNS0_10empty_typeEbEEZZNS1_14partition_implILS5_0ELb0ES3_jN6thrust23THRUST_200600_302600_NS6detail15normal_iteratorINSA_10device_ptrIjEEEEPS6_SG_NS0_5tupleIJSF_SF_EEENSH_IJSG_SG_EEES6_PlJ7is_evenIjEEEE10hipError_tPvRmT3_T4_T5_T6_T7_T9_mT8_P12ihipStream_tbDpT10_ENKUlT_T0_E_clISt17integral_constantIbLb0EES15_IbLb1EEEEDaS11_S12_EUlS11_E_NS1_11comp_targetILNS1_3genE3ELNS1_11target_archE908ELNS1_3gpuE7ELNS1_3repE0EEENS1_30default_config_static_selectorELNS0_4arch9wavefront6targetE1EEEvT1_,"axG",@progbits,_ZN7rocprim17ROCPRIM_400000_NS6detail17trampoline_kernelINS0_14default_configENS1_25partition_config_selectorILNS1_17partition_subalgoE0EjNS0_10empty_typeEbEEZZNS1_14partition_implILS5_0ELb0ES3_jN6thrust23THRUST_200600_302600_NS6detail15normal_iteratorINSA_10device_ptrIjEEEEPS6_SG_NS0_5tupleIJSF_SF_EEENSH_IJSG_SG_EEES6_PlJ7is_evenIjEEEE10hipError_tPvRmT3_T4_T5_T6_T7_T9_mT8_P12ihipStream_tbDpT10_ENKUlT_T0_E_clISt17integral_constantIbLb0EES15_IbLb1EEEEDaS11_S12_EUlS11_E_NS1_11comp_targetILNS1_3genE3ELNS1_11target_archE908ELNS1_3gpuE7ELNS1_3repE0EEENS1_30default_config_static_selectorELNS0_4arch9wavefront6targetE1EEEvT1_,comdat
	.protected	_ZN7rocprim17ROCPRIM_400000_NS6detail17trampoline_kernelINS0_14default_configENS1_25partition_config_selectorILNS1_17partition_subalgoE0EjNS0_10empty_typeEbEEZZNS1_14partition_implILS5_0ELb0ES3_jN6thrust23THRUST_200600_302600_NS6detail15normal_iteratorINSA_10device_ptrIjEEEEPS6_SG_NS0_5tupleIJSF_SF_EEENSH_IJSG_SG_EEES6_PlJ7is_evenIjEEEE10hipError_tPvRmT3_T4_T5_T6_T7_T9_mT8_P12ihipStream_tbDpT10_ENKUlT_T0_E_clISt17integral_constantIbLb0EES15_IbLb1EEEEDaS11_S12_EUlS11_E_NS1_11comp_targetILNS1_3genE3ELNS1_11target_archE908ELNS1_3gpuE7ELNS1_3repE0EEENS1_30default_config_static_selectorELNS0_4arch9wavefront6targetE1EEEvT1_ ; -- Begin function _ZN7rocprim17ROCPRIM_400000_NS6detail17trampoline_kernelINS0_14default_configENS1_25partition_config_selectorILNS1_17partition_subalgoE0EjNS0_10empty_typeEbEEZZNS1_14partition_implILS5_0ELb0ES3_jN6thrust23THRUST_200600_302600_NS6detail15normal_iteratorINSA_10device_ptrIjEEEEPS6_SG_NS0_5tupleIJSF_SF_EEENSH_IJSG_SG_EEES6_PlJ7is_evenIjEEEE10hipError_tPvRmT3_T4_T5_T6_T7_T9_mT8_P12ihipStream_tbDpT10_ENKUlT_T0_E_clISt17integral_constantIbLb0EES15_IbLb1EEEEDaS11_S12_EUlS11_E_NS1_11comp_targetILNS1_3genE3ELNS1_11target_archE908ELNS1_3gpuE7ELNS1_3repE0EEENS1_30default_config_static_selectorELNS0_4arch9wavefront6targetE1EEEvT1_
	.globl	_ZN7rocprim17ROCPRIM_400000_NS6detail17trampoline_kernelINS0_14default_configENS1_25partition_config_selectorILNS1_17partition_subalgoE0EjNS0_10empty_typeEbEEZZNS1_14partition_implILS5_0ELb0ES3_jN6thrust23THRUST_200600_302600_NS6detail15normal_iteratorINSA_10device_ptrIjEEEEPS6_SG_NS0_5tupleIJSF_SF_EEENSH_IJSG_SG_EEES6_PlJ7is_evenIjEEEE10hipError_tPvRmT3_T4_T5_T6_T7_T9_mT8_P12ihipStream_tbDpT10_ENKUlT_T0_E_clISt17integral_constantIbLb0EES15_IbLb1EEEEDaS11_S12_EUlS11_E_NS1_11comp_targetILNS1_3genE3ELNS1_11target_archE908ELNS1_3gpuE7ELNS1_3repE0EEENS1_30default_config_static_selectorELNS0_4arch9wavefront6targetE1EEEvT1_
	.p2align	8
	.type	_ZN7rocprim17ROCPRIM_400000_NS6detail17trampoline_kernelINS0_14default_configENS1_25partition_config_selectorILNS1_17partition_subalgoE0EjNS0_10empty_typeEbEEZZNS1_14partition_implILS5_0ELb0ES3_jN6thrust23THRUST_200600_302600_NS6detail15normal_iteratorINSA_10device_ptrIjEEEEPS6_SG_NS0_5tupleIJSF_SF_EEENSH_IJSG_SG_EEES6_PlJ7is_evenIjEEEE10hipError_tPvRmT3_T4_T5_T6_T7_T9_mT8_P12ihipStream_tbDpT10_ENKUlT_T0_E_clISt17integral_constantIbLb0EES15_IbLb1EEEEDaS11_S12_EUlS11_E_NS1_11comp_targetILNS1_3genE3ELNS1_11target_archE908ELNS1_3gpuE7ELNS1_3repE0EEENS1_30default_config_static_selectorELNS0_4arch9wavefront6targetE1EEEvT1_,@function
_ZN7rocprim17ROCPRIM_400000_NS6detail17trampoline_kernelINS0_14default_configENS1_25partition_config_selectorILNS1_17partition_subalgoE0EjNS0_10empty_typeEbEEZZNS1_14partition_implILS5_0ELb0ES3_jN6thrust23THRUST_200600_302600_NS6detail15normal_iteratorINSA_10device_ptrIjEEEEPS6_SG_NS0_5tupleIJSF_SF_EEENSH_IJSG_SG_EEES6_PlJ7is_evenIjEEEE10hipError_tPvRmT3_T4_T5_T6_T7_T9_mT8_P12ihipStream_tbDpT10_ENKUlT_T0_E_clISt17integral_constantIbLb0EES15_IbLb1EEEEDaS11_S12_EUlS11_E_NS1_11comp_targetILNS1_3genE3ELNS1_11target_archE908ELNS1_3gpuE7ELNS1_3repE0EEENS1_30default_config_static_selectorELNS0_4arch9wavefront6targetE1EEEvT1_: ; @_ZN7rocprim17ROCPRIM_400000_NS6detail17trampoline_kernelINS0_14default_configENS1_25partition_config_selectorILNS1_17partition_subalgoE0EjNS0_10empty_typeEbEEZZNS1_14partition_implILS5_0ELb0ES3_jN6thrust23THRUST_200600_302600_NS6detail15normal_iteratorINSA_10device_ptrIjEEEEPS6_SG_NS0_5tupleIJSF_SF_EEENSH_IJSG_SG_EEES6_PlJ7is_evenIjEEEE10hipError_tPvRmT3_T4_T5_T6_T7_T9_mT8_P12ihipStream_tbDpT10_ENKUlT_T0_E_clISt17integral_constantIbLb0EES15_IbLb1EEEEDaS11_S12_EUlS11_E_NS1_11comp_targetILNS1_3genE3ELNS1_11target_archE908ELNS1_3gpuE7ELNS1_3repE0EEENS1_30default_config_static_selectorELNS0_4arch9wavefront6targetE1EEEvT1_
; %bb.0:
	.section	.rodata,"a",@progbits
	.p2align	6, 0x0
	.amdhsa_kernel _ZN7rocprim17ROCPRIM_400000_NS6detail17trampoline_kernelINS0_14default_configENS1_25partition_config_selectorILNS1_17partition_subalgoE0EjNS0_10empty_typeEbEEZZNS1_14partition_implILS5_0ELb0ES3_jN6thrust23THRUST_200600_302600_NS6detail15normal_iteratorINSA_10device_ptrIjEEEEPS6_SG_NS0_5tupleIJSF_SF_EEENSH_IJSG_SG_EEES6_PlJ7is_evenIjEEEE10hipError_tPvRmT3_T4_T5_T6_T7_T9_mT8_P12ihipStream_tbDpT10_ENKUlT_T0_E_clISt17integral_constantIbLb0EES15_IbLb1EEEEDaS11_S12_EUlS11_E_NS1_11comp_targetILNS1_3genE3ELNS1_11target_archE908ELNS1_3gpuE7ELNS1_3repE0EEENS1_30default_config_static_selectorELNS0_4arch9wavefront6targetE1EEEvT1_
		.amdhsa_group_segment_fixed_size 0
		.amdhsa_private_segment_fixed_size 0
		.amdhsa_kernarg_size 136
		.amdhsa_user_sgpr_count 6
		.amdhsa_user_sgpr_private_segment_buffer 1
		.amdhsa_user_sgpr_dispatch_ptr 0
		.amdhsa_user_sgpr_queue_ptr 0
		.amdhsa_user_sgpr_kernarg_segment_ptr 1
		.amdhsa_user_sgpr_dispatch_id 0
		.amdhsa_user_sgpr_flat_scratch_init 0
		.amdhsa_user_sgpr_kernarg_preload_length 0
		.amdhsa_user_sgpr_kernarg_preload_offset 0
		.amdhsa_user_sgpr_private_segment_size 0
		.amdhsa_uses_dynamic_stack 0
		.amdhsa_system_sgpr_private_segment_wavefront_offset 0
		.amdhsa_system_sgpr_workgroup_id_x 1
		.amdhsa_system_sgpr_workgroup_id_y 0
		.amdhsa_system_sgpr_workgroup_id_z 0
		.amdhsa_system_sgpr_workgroup_info 0
		.amdhsa_system_vgpr_workitem_id 0
		.amdhsa_next_free_vgpr 1
		.amdhsa_next_free_sgpr 0
		.amdhsa_accum_offset 4
		.amdhsa_reserve_vcc 0
		.amdhsa_reserve_flat_scratch 0
		.amdhsa_float_round_mode_32 0
		.amdhsa_float_round_mode_16_64 0
		.amdhsa_float_denorm_mode_32 3
		.amdhsa_float_denorm_mode_16_64 3
		.amdhsa_dx10_clamp 1
		.amdhsa_ieee_mode 1
		.amdhsa_fp16_overflow 0
		.amdhsa_tg_split 0
		.amdhsa_exception_fp_ieee_invalid_op 0
		.amdhsa_exception_fp_denorm_src 0
		.amdhsa_exception_fp_ieee_div_zero 0
		.amdhsa_exception_fp_ieee_overflow 0
		.amdhsa_exception_fp_ieee_underflow 0
		.amdhsa_exception_fp_ieee_inexact 0
		.amdhsa_exception_int_div_zero 0
	.end_amdhsa_kernel
	.section	.text._ZN7rocprim17ROCPRIM_400000_NS6detail17trampoline_kernelINS0_14default_configENS1_25partition_config_selectorILNS1_17partition_subalgoE0EjNS0_10empty_typeEbEEZZNS1_14partition_implILS5_0ELb0ES3_jN6thrust23THRUST_200600_302600_NS6detail15normal_iteratorINSA_10device_ptrIjEEEEPS6_SG_NS0_5tupleIJSF_SF_EEENSH_IJSG_SG_EEES6_PlJ7is_evenIjEEEE10hipError_tPvRmT3_T4_T5_T6_T7_T9_mT8_P12ihipStream_tbDpT10_ENKUlT_T0_E_clISt17integral_constantIbLb0EES15_IbLb1EEEEDaS11_S12_EUlS11_E_NS1_11comp_targetILNS1_3genE3ELNS1_11target_archE908ELNS1_3gpuE7ELNS1_3repE0EEENS1_30default_config_static_selectorELNS0_4arch9wavefront6targetE1EEEvT1_,"axG",@progbits,_ZN7rocprim17ROCPRIM_400000_NS6detail17trampoline_kernelINS0_14default_configENS1_25partition_config_selectorILNS1_17partition_subalgoE0EjNS0_10empty_typeEbEEZZNS1_14partition_implILS5_0ELb0ES3_jN6thrust23THRUST_200600_302600_NS6detail15normal_iteratorINSA_10device_ptrIjEEEEPS6_SG_NS0_5tupleIJSF_SF_EEENSH_IJSG_SG_EEES6_PlJ7is_evenIjEEEE10hipError_tPvRmT3_T4_T5_T6_T7_T9_mT8_P12ihipStream_tbDpT10_ENKUlT_T0_E_clISt17integral_constantIbLb0EES15_IbLb1EEEEDaS11_S12_EUlS11_E_NS1_11comp_targetILNS1_3genE3ELNS1_11target_archE908ELNS1_3gpuE7ELNS1_3repE0EEENS1_30default_config_static_selectorELNS0_4arch9wavefront6targetE1EEEvT1_,comdat
.Lfunc_end2164:
	.size	_ZN7rocprim17ROCPRIM_400000_NS6detail17trampoline_kernelINS0_14default_configENS1_25partition_config_selectorILNS1_17partition_subalgoE0EjNS0_10empty_typeEbEEZZNS1_14partition_implILS5_0ELb0ES3_jN6thrust23THRUST_200600_302600_NS6detail15normal_iteratorINSA_10device_ptrIjEEEEPS6_SG_NS0_5tupleIJSF_SF_EEENSH_IJSG_SG_EEES6_PlJ7is_evenIjEEEE10hipError_tPvRmT3_T4_T5_T6_T7_T9_mT8_P12ihipStream_tbDpT10_ENKUlT_T0_E_clISt17integral_constantIbLb0EES15_IbLb1EEEEDaS11_S12_EUlS11_E_NS1_11comp_targetILNS1_3genE3ELNS1_11target_archE908ELNS1_3gpuE7ELNS1_3repE0EEENS1_30default_config_static_selectorELNS0_4arch9wavefront6targetE1EEEvT1_, .Lfunc_end2164-_ZN7rocprim17ROCPRIM_400000_NS6detail17trampoline_kernelINS0_14default_configENS1_25partition_config_selectorILNS1_17partition_subalgoE0EjNS0_10empty_typeEbEEZZNS1_14partition_implILS5_0ELb0ES3_jN6thrust23THRUST_200600_302600_NS6detail15normal_iteratorINSA_10device_ptrIjEEEEPS6_SG_NS0_5tupleIJSF_SF_EEENSH_IJSG_SG_EEES6_PlJ7is_evenIjEEEE10hipError_tPvRmT3_T4_T5_T6_T7_T9_mT8_P12ihipStream_tbDpT10_ENKUlT_T0_E_clISt17integral_constantIbLb0EES15_IbLb1EEEEDaS11_S12_EUlS11_E_NS1_11comp_targetILNS1_3genE3ELNS1_11target_archE908ELNS1_3gpuE7ELNS1_3repE0EEENS1_30default_config_static_selectorELNS0_4arch9wavefront6targetE1EEEvT1_
                                        ; -- End function
	.section	.AMDGPU.csdata,"",@progbits
; Kernel info:
; codeLenInByte = 0
; NumSgprs: 4
; NumVgprs: 0
; NumAgprs: 0
; TotalNumVgprs: 0
; ScratchSize: 0
; MemoryBound: 0
; FloatMode: 240
; IeeeMode: 1
; LDSByteSize: 0 bytes/workgroup (compile time only)
; SGPRBlocks: 0
; VGPRBlocks: 0
; NumSGPRsForWavesPerEU: 4
; NumVGPRsForWavesPerEU: 1
; AccumOffset: 4
; Occupancy: 8
; WaveLimiterHint : 0
; COMPUTE_PGM_RSRC2:SCRATCH_EN: 0
; COMPUTE_PGM_RSRC2:USER_SGPR: 6
; COMPUTE_PGM_RSRC2:TRAP_HANDLER: 0
; COMPUTE_PGM_RSRC2:TGID_X_EN: 1
; COMPUTE_PGM_RSRC2:TGID_Y_EN: 0
; COMPUTE_PGM_RSRC2:TGID_Z_EN: 0
; COMPUTE_PGM_RSRC2:TIDIG_COMP_CNT: 0
; COMPUTE_PGM_RSRC3_GFX90A:ACCUM_OFFSET: 0
; COMPUTE_PGM_RSRC3_GFX90A:TG_SPLIT: 0
	.section	.text._ZN7rocprim17ROCPRIM_400000_NS6detail17trampoline_kernelINS0_14default_configENS1_25partition_config_selectorILNS1_17partition_subalgoE0EjNS0_10empty_typeEbEEZZNS1_14partition_implILS5_0ELb0ES3_jN6thrust23THRUST_200600_302600_NS6detail15normal_iteratorINSA_10device_ptrIjEEEEPS6_SG_NS0_5tupleIJSF_SF_EEENSH_IJSG_SG_EEES6_PlJ7is_evenIjEEEE10hipError_tPvRmT3_T4_T5_T6_T7_T9_mT8_P12ihipStream_tbDpT10_ENKUlT_T0_E_clISt17integral_constantIbLb0EES15_IbLb1EEEEDaS11_S12_EUlS11_E_NS1_11comp_targetILNS1_3genE2ELNS1_11target_archE906ELNS1_3gpuE6ELNS1_3repE0EEENS1_30default_config_static_selectorELNS0_4arch9wavefront6targetE1EEEvT1_,"axG",@progbits,_ZN7rocprim17ROCPRIM_400000_NS6detail17trampoline_kernelINS0_14default_configENS1_25partition_config_selectorILNS1_17partition_subalgoE0EjNS0_10empty_typeEbEEZZNS1_14partition_implILS5_0ELb0ES3_jN6thrust23THRUST_200600_302600_NS6detail15normal_iteratorINSA_10device_ptrIjEEEEPS6_SG_NS0_5tupleIJSF_SF_EEENSH_IJSG_SG_EEES6_PlJ7is_evenIjEEEE10hipError_tPvRmT3_T4_T5_T6_T7_T9_mT8_P12ihipStream_tbDpT10_ENKUlT_T0_E_clISt17integral_constantIbLb0EES15_IbLb1EEEEDaS11_S12_EUlS11_E_NS1_11comp_targetILNS1_3genE2ELNS1_11target_archE906ELNS1_3gpuE6ELNS1_3repE0EEENS1_30default_config_static_selectorELNS0_4arch9wavefront6targetE1EEEvT1_,comdat
	.protected	_ZN7rocprim17ROCPRIM_400000_NS6detail17trampoline_kernelINS0_14default_configENS1_25partition_config_selectorILNS1_17partition_subalgoE0EjNS0_10empty_typeEbEEZZNS1_14partition_implILS5_0ELb0ES3_jN6thrust23THRUST_200600_302600_NS6detail15normal_iteratorINSA_10device_ptrIjEEEEPS6_SG_NS0_5tupleIJSF_SF_EEENSH_IJSG_SG_EEES6_PlJ7is_evenIjEEEE10hipError_tPvRmT3_T4_T5_T6_T7_T9_mT8_P12ihipStream_tbDpT10_ENKUlT_T0_E_clISt17integral_constantIbLb0EES15_IbLb1EEEEDaS11_S12_EUlS11_E_NS1_11comp_targetILNS1_3genE2ELNS1_11target_archE906ELNS1_3gpuE6ELNS1_3repE0EEENS1_30default_config_static_selectorELNS0_4arch9wavefront6targetE1EEEvT1_ ; -- Begin function _ZN7rocprim17ROCPRIM_400000_NS6detail17trampoline_kernelINS0_14default_configENS1_25partition_config_selectorILNS1_17partition_subalgoE0EjNS0_10empty_typeEbEEZZNS1_14partition_implILS5_0ELb0ES3_jN6thrust23THRUST_200600_302600_NS6detail15normal_iteratorINSA_10device_ptrIjEEEEPS6_SG_NS0_5tupleIJSF_SF_EEENSH_IJSG_SG_EEES6_PlJ7is_evenIjEEEE10hipError_tPvRmT3_T4_T5_T6_T7_T9_mT8_P12ihipStream_tbDpT10_ENKUlT_T0_E_clISt17integral_constantIbLb0EES15_IbLb1EEEEDaS11_S12_EUlS11_E_NS1_11comp_targetILNS1_3genE2ELNS1_11target_archE906ELNS1_3gpuE6ELNS1_3repE0EEENS1_30default_config_static_selectorELNS0_4arch9wavefront6targetE1EEEvT1_
	.globl	_ZN7rocprim17ROCPRIM_400000_NS6detail17trampoline_kernelINS0_14default_configENS1_25partition_config_selectorILNS1_17partition_subalgoE0EjNS0_10empty_typeEbEEZZNS1_14partition_implILS5_0ELb0ES3_jN6thrust23THRUST_200600_302600_NS6detail15normal_iteratorINSA_10device_ptrIjEEEEPS6_SG_NS0_5tupleIJSF_SF_EEENSH_IJSG_SG_EEES6_PlJ7is_evenIjEEEE10hipError_tPvRmT3_T4_T5_T6_T7_T9_mT8_P12ihipStream_tbDpT10_ENKUlT_T0_E_clISt17integral_constantIbLb0EES15_IbLb1EEEEDaS11_S12_EUlS11_E_NS1_11comp_targetILNS1_3genE2ELNS1_11target_archE906ELNS1_3gpuE6ELNS1_3repE0EEENS1_30default_config_static_selectorELNS0_4arch9wavefront6targetE1EEEvT1_
	.p2align	8
	.type	_ZN7rocprim17ROCPRIM_400000_NS6detail17trampoline_kernelINS0_14default_configENS1_25partition_config_selectorILNS1_17partition_subalgoE0EjNS0_10empty_typeEbEEZZNS1_14partition_implILS5_0ELb0ES3_jN6thrust23THRUST_200600_302600_NS6detail15normal_iteratorINSA_10device_ptrIjEEEEPS6_SG_NS0_5tupleIJSF_SF_EEENSH_IJSG_SG_EEES6_PlJ7is_evenIjEEEE10hipError_tPvRmT3_T4_T5_T6_T7_T9_mT8_P12ihipStream_tbDpT10_ENKUlT_T0_E_clISt17integral_constantIbLb0EES15_IbLb1EEEEDaS11_S12_EUlS11_E_NS1_11comp_targetILNS1_3genE2ELNS1_11target_archE906ELNS1_3gpuE6ELNS1_3repE0EEENS1_30default_config_static_selectorELNS0_4arch9wavefront6targetE1EEEvT1_,@function
_ZN7rocprim17ROCPRIM_400000_NS6detail17trampoline_kernelINS0_14default_configENS1_25partition_config_selectorILNS1_17partition_subalgoE0EjNS0_10empty_typeEbEEZZNS1_14partition_implILS5_0ELb0ES3_jN6thrust23THRUST_200600_302600_NS6detail15normal_iteratorINSA_10device_ptrIjEEEEPS6_SG_NS0_5tupleIJSF_SF_EEENSH_IJSG_SG_EEES6_PlJ7is_evenIjEEEE10hipError_tPvRmT3_T4_T5_T6_T7_T9_mT8_P12ihipStream_tbDpT10_ENKUlT_T0_E_clISt17integral_constantIbLb0EES15_IbLb1EEEEDaS11_S12_EUlS11_E_NS1_11comp_targetILNS1_3genE2ELNS1_11target_archE906ELNS1_3gpuE6ELNS1_3repE0EEENS1_30default_config_static_selectorELNS0_4arch9wavefront6targetE1EEEvT1_: ; @_ZN7rocprim17ROCPRIM_400000_NS6detail17trampoline_kernelINS0_14default_configENS1_25partition_config_selectorILNS1_17partition_subalgoE0EjNS0_10empty_typeEbEEZZNS1_14partition_implILS5_0ELb0ES3_jN6thrust23THRUST_200600_302600_NS6detail15normal_iteratorINSA_10device_ptrIjEEEEPS6_SG_NS0_5tupleIJSF_SF_EEENSH_IJSG_SG_EEES6_PlJ7is_evenIjEEEE10hipError_tPvRmT3_T4_T5_T6_T7_T9_mT8_P12ihipStream_tbDpT10_ENKUlT_T0_E_clISt17integral_constantIbLb0EES15_IbLb1EEEEDaS11_S12_EUlS11_E_NS1_11comp_targetILNS1_3genE2ELNS1_11target_archE906ELNS1_3gpuE6ELNS1_3repE0EEENS1_30default_config_static_selectorELNS0_4arch9wavefront6targetE1EEEvT1_
; %bb.0:
	.section	.rodata,"a",@progbits
	.p2align	6, 0x0
	.amdhsa_kernel _ZN7rocprim17ROCPRIM_400000_NS6detail17trampoline_kernelINS0_14default_configENS1_25partition_config_selectorILNS1_17partition_subalgoE0EjNS0_10empty_typeEbEEZZNS1_14partition_implILS5_0ELb0ES3_jN6thrust23THRUST_200600_302600_NS6detail15normal_iteratorINSA_10device_ptrIjEEEEPS6_SG_NS0_5tupleIJSF_SF_EEENSH_IJSG_SG_EEES6_PlJ7is_evenIjEEEE10hipError_tPvRmT3_T4_T5_T6_T7_T9_mT8_P12ihipStream_tbDpT10_ENKUlT_T0_E_clISt17integral_constantIbLb0EES15_IbLb1EEEEDaS11_S12_EUlS11_E_NS1_11comp_targetILNS1_3genE2ELNS1_11target_archE906ELNS1_3gpuE6ELNS1_3repE0EEENS1_30default_config_static_selectorELNS0_4arch9wavefront6targetE1EEEvT1_
		.amdhsa_group_segment_fixed_size 0
		.amdhsa_private_segment_fixed_size 0
		.amdhsa_kernarg_size 136
		.amdhsa_user_sgpr_count 6
		.amdhsa_user_sgpr_private_segment_buffer 1
		.amdhsa_user_sgpr_dispatch_ptr 0
		.amdhsa_user_sgpr_queue_ptr 0
		.amdhsa_user_sgpr_kernarg_segment_ptr 1
		.amdhsa_user_sgpr_dispatch_id 0
		.amdhsa_user_sgpr_flat_scratch_init 0
		.amdhsa_user_sgpr_kernarg_preload_length 0
		.amdhsa_user_sgpr_kernarg_preload_offset 0
		.amdhsa_user_sgpr_private_segment_size 0
		.amdhsa_uses_dynamic_stack 0
		.amdhsa_system_sgpr_private_segment_wavefront_offset 0
		.amdhsa_system_sgpr_workgroup_id_x 1
		.amdhsa_system_sgpr_workgroup_id_y 0
		.amdhsa_system_sgpr_workgroup_id_z 0
		.amdhsa_system_sgpr_workgroup_info 0
		.amdhsa_system_vgpr_workitem_id 0
		.amdhsa_next_free_vgpr 1
		.amdhsa_next_free_sgpr 0
		.amdhsa_accum_offset 4
		.amdhsa_reserve_vcc 0
		.amdhsa_reserve_flat_scratch 0
		.amdhsa_float_round_mode_32 0
		.amdhsa_float_round_mode_16_64 0
		.amdhsa_float_denorm_mode_32 3
		.amdhsa_float_denorm_mode_16_64 3
		.amdhsa_dx10_clamp 1
		.amdhsa_ieee_mode 1
		.amdhsa_fp16_overflow 0
		.amdhsa_tg_split 0
		.amdhsa_exception_fp_ieee_invalid_op 0
		.amdhsa_exception_fp_denorm_src 0
		.amdhsa_exception_fp_ieee_div_zero 0
		.amdhsa_exception_fp_ieee_overflow 0
		.amdhsa_exception_fp_ieee_underflow 0
		.amdhsa_exception_fp_ieee_inexact 0
		.amdhsa_exception_int_div_zero 0
	.end_amdhsa_kernel
	.section	.text._ZN7rocprim17ROCPRIM_400000_NS6detail17trampoline_kernelINS0_14default_configENS1_25partition_config_selectorILNS1_17partition_subalgoE0EjNS0_10empty_typeEbEEZZNS1_14partition_implILS5_0ELb0ES3_jN6thrust23THRUST_200600_302600_NS6detail15normal_iteratorINSA_10device_ptrIjEEEEPS6_SG_NS0_5tupleIJSF_SF_EEENSH_IJSG_SG_EEES6_PlJ7is_evenIjEEEE10hipError_tPvRmT3_T4_T5_T6_T7_T9_mT8_P12ihipStream_tbDpT10_ENKUlT_T0_E_clISt17integral_constantIbLb0EES15_IbLb1EEEEDaS11_S12_EUlS11_E_NS1_11comp_targetILNS1_3genE2ELNS1_11target_archE906ELNS1_3gpuE6ELNS1_3repE0EEENS1_30default_config_static_selectorELNS0_4arch9wavefront6targetE1EEEvT1_,"axG",@progbits,_ZN7rocprim17ROCPRIM_400000_NS6detail17trampoline_kernelINS0_14default_configENS1_25partition_config_selectorILNS1_17partition_subalgoE0EjNS0_10empty_typeEbEEZZNS1_14partition_implILS5_0ELb0ES3_jN6thrust23THRUST_200600_302600_NS6detail15normal_iteratorINSA_10device_ptrIjEEEEPS6_SG_NS0_5tupleIJSF_SF_EEENSH_IJSG_SG_EEES6_PlJ7is_evenIjEEEE10hipError_tPvRmT3_T4_T5_T6_T7_T9_mT8_P12ihipStream_tbDpT10_ENKUlT_T0_E_clISt17integral_constantIbLb0EES15_IbLb1EEEEDaS11_S12_EUlS11_E_NS1_11comp_targetILNS1_3genE2ELNS1_11target_archE906ELNS1_3gpuE6ELNS1_3repE0EEENS1_30default_config_static_selectorELNS0_4arch9wavefront6targetE1EEEvT1_,comdat
.Lfunc_end2165:
	.size	_ZN7rocprim17ROCPRIM_400000_NS6detail17trampoline_kernelINS0_14default_configENS1_25partition_config_selectorILNS1_17partition_subalgoE0EjNS0_10empty_typeEbEEZZNS1_14partition_implILS5_0ELb0ES3_jN6thrust23THRUST_200600_302600_NS6detail15normal_iteratorINSA_10device_ptrIjEEEEPS6_SG_NS0_5tupleIJSF_SF_EEENSH_IJSG_SG_EEES6_PlJ7is_evenIjEEEE10hipError_tPvRmT3_T4_T5_T6_T7_T9_mT8_P12ihipStream_tbDpT10_ENKUlT_T0_E_clISt17integral_constantIbLb0EES15_IbLb1EEEEDaS11_S12_EUlS11_E_NS1_11comp_targetILNS1_3genE2ELNS1_11target_archE906ELNS1_3gpuE6ELNS1_3repE0EEENS1_30default_config_static_selectorELNS0_4arch9wavefront6targetE1EEEvT1_, .Lfunc_end2165-_ZN7rocprim17ROCPRIM_400000_NS6detail17trampoline_kernelINS0_14default_configENS1_25partition_config_selectorILNS1_17partition_subalgoE0EjNS0_10empty_typeEbEEZZNS1_14partition_implILS5_0ELb0ES3_jN6thrust23THRUST_200600_302600_NS6detail15normal_iteratorINSA_10device_ptrIjEEEEPS6_SG_NS0_5tupleIJSF_SF_EEENSH_IJSG_SG_EEES6_PlJ7is_evenIjEEEE10hipError_tPvRmT3_T4_T5_T6_T7_T9_mT8_P12ihipStream_tbDpT10_ENKUlT_T0_E_clISt17integral_constantIbLb0EES15_IbLb1EEEEDaS11_S12_EUlS11_E_NS1_11comp_targetILNS1_3genE2ELNS1_11target_archE906ELNS1_3gpuE6ELNS1_3repE0EEENS1_30default_config_static_selectorELNS0_4arch9wavefront6targetE1EEEvT1_
                                        ; -- End function
	.section	.AMDGPU.csdata,"",@progbits
; Kernel info:
; codeLenInByte = 0
; NumSgprs: 4
; NumVgprs: 0
; NumAgprs: 0
; TotalNumVgprs: 0
; ScratchSize: 0
; MemoryBound: 0
; FloatMode: 240
; IeeeMode: 1
; LDSByteSize: 0 bytes/workgroup (compile time only)
; SGPRBlocks: 0
; VGPRBlocks: 0
; NumSGPRsForWavesPerEU: 4
; NumVGPRsForWavesPerEU: 1
; AccumOffset: 4
; Occupancy: 8
; WaveLimiterHint : 0
; COMPUTE_PGM_RSRC2:SCRATCH_EN: 0
; COMPUTE_PGM_RSRC2:USER_SGPR: 6
; COMPUTE_PGM_RSRC2:TRAP_HANDLER: 0
; COMPUTE_PGM_RSRC2:TGID_X_EN: 1
; COMPUTE_PGM_RSRC2:TGID_Y_EN: 0
; COMPUTE_PGM_RSRC2:TGID_Z_EN: 0
; COMPUTE_PGM_RSRC2:TIDIG_COMP_CNT: 0
; COMPUTE_PGM_RSRC3_GFX90A:ACCUM_OFFSET: 0
; COMPUTE_PGM_RSRC3_GFX90A:TG_SPLIT: 0
	.section	.text._ZN7rocprim17ROCPRIM_400000_NS6detail17trampoline_kernelINS0_14default_configENS1_25partition_config_selectorILNS1_17partition_subalgoE0EjNS0_10empty_typeEbEEZZNS1_14partition_implILS5_0ELb0ES3_jN6thrust23THRUST_200600_302600_NS6detail15normal_iteratorINSA_10device_ptrIjEEEEPS6_SG_NS0_5tupleIJSF_SF_EEENSH_IJSG_SG_EEES6_PlJ7is_evenIjEEEE10hipError_tPvRmT3_T4_T5_T6_T7_T9_mT8_P12ihipStream_tbDpT10_ENKUlT_T0_E_clISt17integral_constantIbLb0EES15_IbLb1EEEEDaS11_S12_EUlS11_E_NS1_11comp_targetILNS1_3genE10ELNS1_11target_archE1200ELNS1_3gpuE4ELNS1_3repE0EEENS1_30default_config_static_selectorELNS0_4arch9wavefront6targetE1EEEvT1_,"axG",@progbits,_ZN7rocprim17ROCPRIM_400000_NS6detail17trampoline_kernelINS0_14default_configENS1_25partition_config_selectorILNS1_17partition_subalgoE0EjNS0_10empty_typeEbEEZZNS1_14partition_implILS5_0ELb0ES3_jN6thrust23THRUST_200600_302600_NS6detail15normal_iteratorINSA_10device_ptrIjEEEEPS6_SG_NS0_5tupleIJSF_SF_EEENSH_IJSG_SG_EEES6_PlJ7is_evenIjEEEE10hipError_tPvRmT3_T4_T5_T6_T7_T9_mT8_P12ihipStream_tbDpT10_ENKUlT_T0_E_clISt17integral_constantIbLb0EES15_IbLb1EEEEDaS11_S12_EUlS11_E_NS1_11comp_targetILNS1_3genE10ELNS1_11target_archE1200ELNS1_3gpuE4ELNS1_3repE0EEENS1_30default_config_static_selectorELNS0_4arch9wavefront6targetE1EEEvT1_,comdat
	.protected	_ZN7rocprim17ROCPRIM_400000_NS6detail17trampoline_kernelINS0_14default_configENS1_25partition_config_selectorILNS1_17partition_subalgoE0EjNS0_10empty_typeEbEEZZNS1_14partition_implILS5_0ELb0ES3_jN6thrust23THRUST_200600_302600_NS6detail15normal_iteratorINSA_10device_ptrIjEEEEPS6_SG_NS0_5tupleIJSF_SF_EEENSH_IJSG_SG_EEES6_PlJ7is_evenIjEEEE10hipError_tPvRmT3_T4_T5_T6_T7_T9_mT8_P12ihipStream_tbDpT10_ENKUlT_T0_E_clISt17integral_constantIbLb0EES15_IbLb1EEEEDaS11_S12_EUlS11_E_NS1_11comp_targetILNS1_3genE10ELNS1_11target_archE1200ELNS1_3gpuE4ELNS1_3repE0EEENS1_30default_config_static_selectorELNS0_4arch9wavefront6targetE1EEEvT1_ ; -- Begin function _ZN7rocprim17ROCPRIM_400000_NS6detail17trampoline_kernelINS0_14default_configENS1_25partition_config_selectorILNS1_17partition_subalgoE0EjNS0_10empty_typeEbEEZZNS1_14partition_implILS5_0ELb0ES3_jN6thrust23THRUST_200600_302600_NS6detail15normal_iteratorINSA_10device_ptrIjEEEEPS6_SG_NS0_5tupleIJSF_SF_EEENSH_IJSG_SG_EEES6_PlJ7is_evenIjEEEE10hipError_tPvRmT3_T4_T5_T6_T7_T9_mT8_P12ihipStream_tbDpT10_ENKUlT_T0_E_clISt17integral_constantIbLb0EES15_IbLb1EEEEDaS11_S12_EUlS11_E_NS1_11comp_targetILNS1_3genE10ELNS1_11target_archE1200ELNS1_3gpuE4ELNS1_3repE0EEENS1_30default_config_static_selectorELNS0_4arch9wavefront6targetE1EEEvT1_
	.globl	_ZN7rocprim17ROCPRIM_400000_NS6detail17trampoline_kernelINS0_14default_configENS1_25partition_config_selectorILNS1_17partition_subalgoE0EjNS0_10empty_typeEbEEZZNS1_14partition_implILS5_0ELb0ES3_jN6thrust23THRUST_200600_302600_NS6detail15normal_iteratorINSA_10device_ptrIjEEEEPS6_SG_NS0_5tupleIJSF_SF_EEENSH_IJSG_SG_EEES6_PlJ7is_evenIjEEEE10hipError_tPvRmT3_T4_T5_T6_T7_T9_mT8_P12ihipStream_tbDpT10_ENKUlT_T0_E_clISt17integral_constantIbLb0EES15_IbLb1EEEEDaS11_S12_EUlS11_E_NS1_11comp_targetILNS1_3genE10ELNS1_11target_archE1200ELNS1_3gpuE4ELNS1_3repE0EEENS1_30default_config_static_selectorELNS0_4arch9wavefront6targetE1EEEvT1_
	.p2align	8
	.type	_ZN7rocprim17ROCPRIM_400000_NS6detail17trampoline_kernelINS0_14default_configENS1_25partition_config_selectorILNS1_17partition_subalgoE0EjNS0_10empty_typeEbEEZZNS1_14partition_implILS5_0ELb0ES3_jN6thrust23THRUST_200600_302600_NS6detail15normal_iteratorINSA_10device_ptrIjEEEEPS6_SG_NS0_5tupleIJSF_SF_EEENSH_IJSG_SG_EEES6_PlJ7is_evenIjEEEE10hipError_tPvRmT3_T4_T5_T6_T7_T9_mT8_P12ihipStream_tbDpT10_ENKUlT_T0_E_clISt17integral_constantIbLb0EES15_IbLb1EEEEDaS11_S12_EUlS11_E_NS1_11comp_targetILNS1_3genE10ELNS1_11target_archE1200ELNS1_3gpuE4ELNS1_3repE0EEENS1_30default_config_static_selectorELNS0_4arch9wavefront6targetE1EEEvT1_,@function
_ZN7rocprim17ROCPRIM_400000_NS6detail17trampoline_kernelINS0_14default_configENS1_25partition_config_selectorILNS1_17partition_subalgoE0EjNS0_10empty_typeEbEEZZNS1_14partition_implILS5_0ELb0ES3_jN6thrust23THRUST_200600_302600_NS6detail15normal_iteratorINSA_10device_ptrIjEEEEPS6_SG_NS0_5tupleIJSF_SF_EEENSH_IJSG_SG_EEES6_PlJ7is_evenIjEEEE10hipError_tPvRmT3_T4_T5_T6_T7_T9_mT8_P12ihipStream_tbDpT10_ENKUlT_T0_E_clISt17integral_constantIbLb0EES15_IbLb1EEEEDaS11_S12_EUlS11_E_NS1_11comp_targetILNS1_3genE10ELNS1_11target_archE1200ELNS1_3gpuE4ELNS1_3repE0EEENS1_30default_config_static_selectorELNS0_4arch9wavefront6targetE1EEEvT1_: ; @_ZN7rocprim17ROCPRIM_400000_NS6detail17trampoline_kernelINS0_14default_configENS1_25partition_config_selectorILNS1_17partition_subalgoE0EjNS0_10empty_typeEbEEZZNS1_14partition_implILS5_0ELb0ES3_jN6thrust23THRUST_200600_302600_NS6detail15normal_iteratorINSA_10device_ptrIjEEEEPS6_SG_NS0_5tupleIJSF_SF_EEENSH_IJSG_SG_EEES6_PlJ7is_evenIjEEEE10hipError_tPvRmT3_T4_T5_T6_T7_T9_mT8_P12ihipStream_tbDpT10_ENKUlT_T0_E_clISt17integral_constantIbLb0EES15_IbLb1EEEEDaS11_S12_EUlS11_E_NS1_11comp_targetILNS1_3genE10ELNS1_11target_archE1200ELNS1_3gpuE4ELNS1_3repE0EEENS1_30default_config_static_selectorELNS0_4arch9wavefront6targetE1EEEvT1_
; %bb.0:
	.section	.rodata,"a",@progbits
	.p2align	6, 0x0
	.amdhsa_kernel _ZN7rocprim17ROCPRIM_400000_NS6detail17trampoline_kernelINS0_14default_configENS1_25partition_config_selectorILNS1_17partition_subalgoE0EjNS0_10empty_typeEbEEZZNS1_14partition_implILS5_0ELb0ES3_jN6thrust23THRUST_200600_302600_NS6detail15normal_iteratorINSA_10device_ptrIjEEEEPS6_SG_NS0_5tupleIJSF_SF_EEENSH_IJSG_SG_EEES6_PlJ7is_evenIjEEEE10hipError_tPvRmT3_T4_T5_T6_T7_T9_mT8_P12ihipStream_tbDpT10_ENKUlT_T0_E_clISt17integral_constantIbLb0EES15_IbLb1EEEEDaS11_S12_EUlS11_E_NS1_11comp_targetILNS1_3genE10ELNS1_11target_archE1200ELNS1_3gpuE4ELNS1_3repE0EEENS1_30default_config_static_selectorELNS0_4arch9wavefront6targetE1EEEvT1_
		.amdhsa_group_segment_fixed_size 0
		.amdhsa_private_segment_fixed_size 0
		.amdhsa_kernarg_size 136
		.amdhsa_user_sgpr_count 6
		.amdhsa_user_sgpr_private_segment_buffer 1
		.amdhsa_user_sgpr_dispatch_ptr 0
		.amdhsa_user_sgpr_queue_ptr 0
		.amdhsa_user_sgpr_kernarg_segment_ptr 1
		.amdhsa_user_sgpr_dispatch_id 0
		.amdhsa_user_sgpr_flat_scratch_init 0
		.amdhsa_user_sgpr_kernarg_preload_length 0
		.amdhsa_user_sgpr_kernarg_preload_offset 0
		.amdhsa_user_sgpr_private_segment_size 0
		.amdhsa_uses_dynamic_stack 0
		.amdhsa_system_sgpr_private_segment_wavefront_offset 0
		.amdhsa_system_sgpr_workgroup_id_x 1
		.amdhsa_system_sgpr_workgroup_id_y 0
		.amdhsa_system_sgpr_workgroup_id_z 0
		.amdhsa_system_sgpr_workgroup_info 0
		.amdhsa_system_vgpr_workitem_id 0
		.amdhsa_next_free_vgpr 1
		.amdhsa_next_free_sgpr 0
		.amdhsa_accum_offset 4
		.amdhsa_reserve_vcc 0
		.amdhsa_reserve_flat_scratch 0
		.amdhsa_float_round_mode_32 0
		.amdhsa_float_round_mode_16_64 0
		.amdhsa_float_denorm_mode_32 3
		.amdhsa_float_denorm_mode_16_64 3
		.amdhsa_dx10_clamp 1
		.amdhsa_ieee_mode 1
		.amdhsa_fp16_overflow 0
		.amdhsa_tg_split 0
		.amdhsa_exception_fp_ieee_invalid_op 0
		.amdhsa_exception_fp_denorm_src 0
		.amdhsa_exception_fp_ieee_div_zero 0
		.amdhsa_exception_fp_ieee_overflow 0
		.amdhsa_exception_fp_ieee_underflow 0
		.amdhsa_exception_fp_ieee_inexact 0
		.amdhsa_exception_int_div_zero 0
	.end_amdhsa_kernel
	.section	.text._ZN7rocprim17ROCPRIM_400000_NS6detail17trampoline_kernelINS0_14default_configENS1_25partition_config_selectorILNS1_17partition_subalgoE0EjNS0_10empty_typeEbEEZZNS1_14partition_implILS5_0ELb0ES3_jN6thrust23THRUST_200600_302600_NS6detail15normal_iteratorINSA_10device_ptrIjEEEEPS6_SG_NS0_5tupleIJSF_SF_EEENSH_IJSG_SG_EEES6_PlJ7is_evenIjEEEE10hipError_tPvRmT3_T4_T5_T6_T7_T9_mT8_P12ihipStream_tbDpT10_ENKUlT_T0_E_clISt17integral_constantIbLb0EES15_IbLb1EEEEDaS11_S12_EUlS11_E_NS1_11comp_targetILNS1_3genE10ELNS1_11target_archE1200ELNS1_3gpuE4ELNS1_3repE0EEENS1_30default_config_static_selectorELNS0_4arch9wavefront6targetE1EEEvT1_,"axG",@progbits,_ZN7rocprim17ROCPRIM_400000_NS6detail17trampoline_kernelINS0_14default_configENS1_25partition_config_selectorILNS1_17partition_subalgoE0EjNS0_10empty_typeEbEEZZNS1_14partition_implILS5_0ELb0ES3_jN6thrust23THRUST_200600_302600_NS6detail15normal_iteratorINSA_10device_ptrIjEEEEPS6_SG_NS0_5tupleIJSF_SF_EEENSH_IJSG_SG_EEES6_PlJ7is_evenIjEEEE10hipError_tPvRmT3_T4_T5_T6_T7_T9_mT8_P12ihipStream_tbDpT10_ENKUlT_T0_E_clISt17integral_constantIbLb0EES15_IbLb1EEEEDaS11_S12_EUlS11_E_NS1_11comp_targetILNS1_3genE10ELNS1_11target_archE1200ELNS1_3gpuE4ELNS1_3repE0EEENS1_30default_config_static_selectorELNS0_4arch9wavefront6targetE1EEEvT1_,comdat
.Lfunc_end2166:
	.size	_ZN7rocprim17ROCPRIM_400000_NS6detail17trampoline_kernelINS0_14default_configENS1_25partition_config_selectorILNS1_17partition_subalgoE0EjNS0_10empty_typeEbEEZZNS1_14partition_implILS5_0ELb0ES3_jN6thrust23THRUST_200600_302600_NS6detail15normal_iteratorINSA_10device_ptrIjEEEEPS6_SG_NS0_5tupleIJSF_SF_EEENSH_IJSG_SG_EEES6_PlJ7is_evenIjEEEE10hipError_tPvRmT3_T4_T5_T6_T7_T9_mT8_P12ihipStream_tbDpT10_ENKUlT_T0_E_clISt17integral_constantIbLb0EES15_IbLb1EEEEDaS11_S12_EUlS11_E_NS1_11comp_targetILNS1_3genE10ELNS1_11target_archE1200ELNS1_3gpuE4ELNS1_3repE0EEENS1_30default_config_static_selectorELNS0_4arch9wavefront6targetE1EEEvT1_, .Lfunc_end2166-_ZN7rocprim17ROCPRIM_400000_NS6detail17trampoline_kernelINS0_14default_configENS1_25partition_config_selectorILNS1_17partition_subalgoE0EjNS0_10empty_typeEbEEZZNS1_14partition_implILS5_0ELb0ES3_jN6thrust23THRUST_200600_302600_NS6detail15normal_iteratorINSA_10device_ptrIjEEEEPS6_SG_NS0_5tupleIJSF_SF_EEENSH_IJSG_SG_EEES6_PlJ7is_evenIjEEEE10hipError_tPvRmT3_T4_T5_T6_T7_T9_mT8_P12ihipStream_tbDpT10_ENKUlT_T0_E_clISt17integral_constantIbLb0EES15_IbLb1EEEEDaS11_S12_EUlS11_E_NS1_11comp_targetILNS1_3genE10ELNS1_11target_archE1200ELNS1_3gpuE4ELNS1_3repE0EEENS1_30default_config_static_selectorELNS0_4arch9wavefront6targetE1EEEvT1_
                                        ; -- End function
	.section	.AMDGPU.csdata,"",@progbits
; Kernel info:
; codeLenInByte = 0
; NumSgprs: 4
; NumVgprs: 0
; NumAgprs: 0
; TotalNumVgprs: 0
; ScratchSize: 0
; MemoryBound: 0
; FloatMode: 240
; IeeeMode: 1
; LDSByteSize: 0 bytes/workgroup (compile time only)
; SGPRBlocks: 0
; VGPRBlocks: 0
; NumSGPRsForWavesPerEU: 4
; NumVGPRsForWavesPerEU: 1
; AccumOffset: 4
; Occupancy: 8
; WaveLimiterHint : 0
; COMPUTE_PGM_RSRC2:SCRATCH_EN: 0
; COMPUTE_PGM_RSRC2:USER_SGPR: 6
; COMPUTE_PGM_RSRC2:TRAP_HANDLER: 0
; COMPUTE_PGM_RSRC2:TGID_X_EN: 1
; COMPUTE_PGM_RSRC2:TGID_Y_EN: 0
; COMPUTE_PGM_RSRC2:TGID_Z_EN: 0
; COMPUTE_PGM_RSRC2:TIDIG_COMP_CNT: 0
; COMPUTE_PGM_RSRC3_GFX90A:ACCUM_OFFSET: 0
; COMPUTE_PGM_RSRC3_GFX90A:TG_SPLIT: 0
	.section	.text._ZN7rocprim17ROCPRIM_400000_NS6detail17trampoline_kernelINS0_14default_configENS1_25partition_config_selectorILNS1_17partition_subalgoE0EjNS0_10empty_typeEbEEZZNS1_14partition_implILS5_0ELb0ES3_jN6thrust23THRUST_200600_302600_NS6detail15normal_iteratorINSA_10device_ptrIjEEEEPS6_SG_NS0_5tupleIJSF_SF_EEENSH_IJSG_SG_EEES6_PlJ7is_evenIjEEEE10hipError_tPvRmT3_T4_T5_T6_T7_T9_mT8_P12ihipStream_tbDpT10_ENKUlT_T0_E_clISt17integral_constantIbLb0EES15_IbLb1EEEEDaS11_S12_EUlS11_E_NS1_11comp_targetILNS1_3genE9ELNS1_11target_archE1100ELNS1_3gpuE3ELNS1_3repE0EEENS1_30default_config_static_selectorELNS0_4arch9wavefront6targetE1EEEvT1_,"axG",@progbits,_ZN7rocprim17ROCPRIM_400000_NS6detail17trampoline_kernelINS0_14default_configENS1_25partition_config_selectorILNS1_17partition_subalgoE0EjNS0_10empty_typeEbEEZZNS1_14partition_implILS5_0ELb0ES3_jN6thrust23THRUST_200600_302600_NS6detail15normal_iteratorINSA_10device_ptrIjEEEEPS6_SG_NS0_5tupleIJSF_SF_EEENSH_IJSG_SG_EEES6_PlJ7is_evenIjEEEE10hipError_tPvRmT3_T4_T5_T6_T7_T9_mT8_P12ihipStream_tbDpT10_ENKUlT_T0_E_clISt17integral_constantIbLb0EES15_IbLb1EEEEDaS11_S12_EUlS11_E_NS1_11comp_targetILNS1_3genE9ELNS1_11target_archE1100ELNS1_3gpuE3ELNS1_3repE0EEENS1_30default_config_static_selectorELNS0_4arch9wavefront6targetE1EEEvT1_,comdat
	.protected	_ZN7rocprim17ROCPRIM_400000_NS6detail17trampoline_kernelINS0_14default_configENS1_25partition_config_selectorILNS1_17partition_subalgoE0EjNS0_10empty_typeEbEEZZNS1_14partition_implILS5_0ELb0ES3_jN6thrust23THRUST_200600_302600_NS6detail15normal_iteratorINSA_10device_ptrIjEEEEPS6_SG_NS0_5tupleIJSF_SF_EEENSH_IJSG_SG_EEES6_PlJ7is_evenIjEEEE10hipError_tPvRmT3_T4_T5_T6_T7_T9_mT8_P12ihipStream_tbDpT10_ENKUlT_T0_E_clISt17integral_constantIbLb0EES15_IbLb1EEEEDaS11_S12_EUlS11_E_NS1_11comp_targetILNS1_3genE9ELNS1_11target_archE1100ELNS1_3gpuE3ELNS1_3repE0EEENS1_30default_config_static_selectorELNS0_4arch9wavefront6targetE1EEEvT1_ ; -- Begin function _ZN7rocprim17ROCPRIM_400000_NS6detail17trampoline_kernelINS0_14default_configENS1_25partition_config_selectorILNS1_17partition_subalgoE0EjNS0_10empty_typeEbEEZZNS1_14partition_implILS5_0ELb0ES3_jN6thrust23THRUST_200600_302600_NS6detail15normal_iteratorINSA_10device_ptrIjEEEEPS6_SG_NS0_5tupleIJSF_SF_EEENSH_IJSG_SG_EEES6_PlJ7is_evenIjEEEE10hipError_tPvRmT3_T4_T5_T6_T7_T9_mT8_P12ihipStream_tbDpT10_ENKUlT_T0_E_clISt17integral_constantIbLb0EES15_IbLb1EEEEDaS11_S12_EUlS11_E_NS1_11comp_targetILNS1_3genE9ELNS1_11target_archE1100ELNS1_3gpuE3ELNS1_3repE0EEENS1_30default_config_static_selectorELNS0_4arch9wavefront6targetE1EEEvT1_
	.globl	_ZN7rocprim17ROCPRIM_400000_NS6detail17trampoline_kernelINS0_14default_configENS1_25partition_config_selectorILNS1_17partition_subalgoE0EjNS0_10empty_typeEbEEZZNS1_14partition_implILS5_0ELb0ES3_jN6thrust23THRUST_200600_302600_NS6detail15normal_iteratorINSA_10device_ptrIjEEEEPS6_SG_NS0_5tupleIJSF_SF_EEENSH_IJSG_SG_EEES6_PlJ7is_evenIjEEEE10hipError_tPvRmT3_T4_T5_T6_T7_T9_mT8_P12ihipStream_tbDpT10_ENKUlT_T0_E_clISt17integral_constantIbLb0EES15_IbLb1EEEEDaS11_S12_EUlS11_E_NS1_11comp_targetILNS1_3genE9ELNS1_11target_archE1100ELNS1_3gpuE3ELNS1_3repE0EEENS1_30default_config_static_selectorELNS0_4arch9wavefront6targetE1EEEvT1_
	.p2align	8
	.type	_ZN7rocprim17ROCPRIM_400000_NS6detail17trampoline_kernelINS0_14default_configENS1_25partition_config_selectorILNS1_17partition_subalgoE0EjNS0_10empty_typeEbEEZZNS1_14partition_implILS5_0ELb0ES3_jN6thrust23THRUST_200600_302600_NS6detail15normal_iteratorINSA_10device_ptrIjEEEEPS6_SG_NS0_5tupleIJSF_SF_EEENSH_IJSG_SG_EEES6_PlJ7is_evenIjEEEE10hipError_tPvRmT3_T4_T5_T6_T7_T9_mT8_P12ihipStream_tbDpT10_ENKUlT_T0_E_clISt17integral_constantIbLb0EES15_IbLb1EEEEDaS11_S12_EUlS11_E_NS1_11comp_targetILNS1_3genE9ELNS1_11target_archE1100ELNS1_3gpuE3ELNS1_3repE0EEENS1_30default_config_static_selectorELNS0_4arch9wavefront6targetE1EEEvT1_,@function
_ZN7rocprim17ROCPRIM_400000_NS6detail17trampoline_kernelINS0_14default_configENS1_25partition_config_selectorILNS1_17partition_subalgoE0EjNS0_10empty_typeEbEEZZNS1_14partition_implILS5_0ELb0ES3_jN6thrust23THRUST_200600_302600_NS6detail15normal_iteratorINSA_10device_ptrIjEEEEPS6_SG_NS0_5tupleIJSF_SF_EEENSH_IJSG_SG_EEES6_PlJ7is_evenIjEEEE10hipError_tPvRmT3_T4_T5_T6_T7_T9_mT8_P12ihipStream_tbDpT10_ENKUlT_T0_E_clISt17integral_constantIbLb0EES15_IbLb1EEEEDaS11_S12_EUlS11_E_NS1_11comp_targetILNS1_3genE9ELNS1_11target_archE1100ELNS1_3gpuE3ELNS1_3repE0EEENS1_30default_config_static_selectorELNS0_4arch9wavefront6targetE1EEEvT1_: ; @_ZN7rocprim17ROCPRIM_400000_NS6detail17trampoline_kernelINS0_14default_configENS1_25partition_config_selectorILNS1_17partition_subalgoE0EjNS0_10empty_typeEbEEZZNS1_14partition_implILS5_0ELb0ES3_jN6thrust23THRUST_200600_302600_NS6detail15normal_iteratorINSA_10device_ptrIjEEEEPS6_SG_NS0_5tupleIJSF_SF_EEENSH_IJSG_SG_EEES6_PlJ7is_evenIjEEEE10hipError_tPvRmT3_T4_T5_T6_T7_T9_mT8_P12ihipStream_tbDpT10_ENKUlT_T0_E_clISt17integral_constantIbLb0EES15_IbLb1EEEEDaS11_S12_EUlS11_E_NS1_11comp_targetILNS1_3genE9ELNS1_11target_archE1100ELNS1_3gpuE3ELNS1_3repE0EEENS1_30default_config_static_selectorELNS0_4arch9wavefront6targetE1EEEvT1_
; %bb.0:
	.section	.rodata,"a",@progbits
	.p2align	6, 0x0
	.amdhsa_kernel _ZN7rocprim17ROCPRIM_400000_NS6detail17trampoline_kernelINS0_14default_configENS1_25partition_config_selectorILNS1_17partition_subalgoE0EjNS0_10empty_typeEbEEZZNS1_14partition_implILS5_0ELb0ES3_jN6thrust23THRUST_200600_302600_NS6detail15normal_iteratorINSA_10device_ptrIjEEEEPS6_SG_NS0_5tupleIJSF_SF_EEENSH_IJSG_SG_EEES6_PlJ7is_evenIjEEEE10hipError_tPvRmT3_T4_T5_T6_T7_T9_mT8_P12ihipStream_tbDpT10_ENKUlT_T0_E_clISt17integral_constantIbLb0EES15_IbLb1EEEEDaS11_S12_EUlS11_E_NS1_11comp_targetILNS1_3genE9ELNS1_11target_archE1100ELNS1_3gpuE3ELNS1_3repE0EEENS1_30default_config_static_selectorELNS0_4arch9wavefront6targetE1EEEvT1_
		.amdhsa_group_segment_fixed_size 0
		.amdhsa_private_segment_fixed_size 0
		.amdhsa_kernarg_size 136
		.amdhsa_user_sgpr_count 6
		.amdhsa_user_sgpr_private_segment_buffer 1
		.amdhsa_user_sgpr_dispatch_ptr 0
		.amdhsa_user_sgpr_queue_ptr 0
		.amdhsa_user_sgpr_kernarg_segment_ptr 1
		.amdhsa_user_sgpr_dispatch_id 0
		.amdhsa_user_sgpr_flat_scratch_init 0
		.amdhsa_user_sgpr_kernarg_preload_length 0
		.amdhsa_user_sgpr_kernarg_preload_offset 0
		.amdhsa_user_sgpr_private_segment_size 0
		.amdhsa_uses_dynamic_stack 0
		.amdhsa_system_sgpr_private_segment_wavefront_offset 0
		.amdhsa_system_sgpr_workgroup_id_x 1
		.amdhsa_system_sgpr_workgroup_id_y 0
		.amdhsa_system_sgpr_workgroup_id_z 0
		.amdhsa_system_sgpr_workgroup_info 0
		.amdhsa_system_vgpr_workitem_id 0
		.amdhsa_next_free_vgpr 1
		.amdhsa_next_free_sgpr 0
		.amdhsa_accum_offset 4
		.amdhsa_reserve_vcc 0
		.amdhsa_reserve_flat_scratch 0
		.amdhsa_float_round_mode_32 0
		.amdhsa_float_round_mode_16_64 0
		.amdhsa_float_denorm_mode_32 3
		.amdhsa_float_denorm_mode_16_64 3
		.amdhsa_dx10_clamp 1
		.amdhsa_ieee_mode 1
		.amdhsa_fp16_overflow 0
		.amdhsa_tg_split 0
		.amdhsa_exception_fp_ieee_invalid_op 0
		.amdhsa_exception_fp_denorm_src 0
		.amdhsa_exception_fp_ieee_div_zero 0
		.amdhsa_exception_fp_ieee_overflow 0
		.amdhsa_exception_fp_ieee_underflow 0
		.amdhsa_exception_fp_ieee_inexact 0
		.amdhsa_exception_int_div_zero 0
	.end_amdhsa_kernel
	.section	.text._ZN7rocprim17ROCPRIM_400000_NS6detail17trampoline_kernelINS0_14default_configENS1_25partition_config_selectorILNS1_17partition_subalgoE0EjNS0_10empty_typeEbEEZZNS1_14partition_implILS5_0ELb0ES3_jN6thrust23THRUST_200600_302600_NS6detail15normal_iteratorINSA_10device_ptrIjEEEEPS6_SG_NS0_5tupleIJSF_SF_EEENSH_IJSG_SG_EEES6_PlJ7is_evenIjEEEE10hipError_tPvRmT3_T4_T5_T6_T7_T9_mT8_P12ihipStream_tbDpT10_ENKUlT_T0_E_clISt17integral_constantIbLb0EES15_IbLb1EEEEDaS11_S12_EUlS11_E_NS1_11comp_targetILNS1_3genE9ELNS1_11target_archE1100ELNS1_3gpuE3ELNS1_3repE0EEENS1_30default_config_static_selectorELNS0_4arch9wavefront6targetE1EEEvT1_,"axG",@progbits,_ZN7rocprim17ROCPRIM_400000_NS6detail17trampoline_kernelINS0_14default_configENS1_25partition_config_selectorILNS1_17partition_subalgoE0EjNS0_10empty_typeEbEEZZNS1_14partition_implILS5_0ELb0ES3_jN6thrust23THRUST_200600_302600_NS6detail15normal_iteratorINSA_10device_ptrIjEEEEPS6_SG_NS0_5tupleIJSF_SF_EEENSH_IJSG_SG_EEES6_PlJ7is_evenIjEEEE10hipError_tPvRmT3_T4_T5_T6_T7_T9_mT8_P12ihipStream_tbDpT10_ENKUlT_T0_E_clISt17integral_constantIbLb0EES15_IbLb1EEEEDaS11_S12_EUlS11_E_NS1_11comp_targetILNS1_3genE9ELNS1_11target_archE1100ELNS1_3gpuE3ELNS1_3repE0EEENS1_30default_config_static_selectorELNS0_4arch9wavefront6targetE1EEEvT1_,comdat
.Lfunc_end2167:
	.size	_ZN7rocprim17ROCPRIM_400000_NS6detail17trampoline_kernelINS0_14default_configENS1_25partition_config_selectorILNS1_17partition_subalgoE0EjNS0_10empty_typeEbEEZZNS1_14partition_implILS5_0ELb0ES3_jN6thrust23THRUST_200600_302600_NS6detail15normal_iteratorINSA_10device_ptrIjEEEEPS6_SG_NS0_5tupleIJSF_SF_EEENSH_IJSG_SG_EEES6_PlJ7is_evenIjEEEE10hipError_tPvRmT3_T4_T5_T6_T7_T9_mT8_P12ihipStream_tbDpT10_ENKUlT_T0_E_clISt17integral_constantIbLb0EES15_IbLb1EEEEDaS11_S12_EUlS11_E_NS1_11comp_targetILNS1_3genE9ELNS1_11target_archE1100ELNS1_3gpuE3ELNS1_3repE0EEENS1_30default_config_static_selectorELNS0_4arch9wavefront6targetE1EEEvT1_, .Lfunc_end2167-_ZN7rocprim17ROCPRIM_400000_NS6detail17trampoline_kernelINS0_14default_configENS1_25partition_config_selectorILNS1_17partition_subalgoE0EjNS0_10empty_typeEbEEZZNS1_14partition_implILS5_0ELb0ES3_jN6thrust23THRUST_200600_302600_NS6detail15normal_iteratorINSA_10device_ptrIjEEEEPS6_SG_NS0_5tupleIJSF_SF_EEENSH_IJSG_SG_EEES6_PlJ7is_evenIjEEEE10hipError_tPvRmT3_T4_T5_T6_T7_T9_mT8_P12ihipStream_tbDpT10_ENKUlT_T0_E_clISt17integral_constantIbLb0EES15_IbLb1EEEEDaS11_S12_EUlS11_E_NS1_11comp_targetILNS1_3genE9ELNS1_11target_archE1100ELNS1_3gpuE3ELNS1_3repE0EEENS1_30default_config_static_selectorELNS0_4arch9wavefront6targetE1EEEvT1_
                                        ; -- End function
	.section	.AMDGPU.csdata,"",@progbits
; Kernel info:
; codeLenInByte = 0
; NumSgprs: 4
; NumVgprs: 0
; NumAgprs: 0
; TotalNumVgprs: 0
; ScratchSize: 0
; MemoryBound: 0
; FloatMode: 240
; IeeeMode: 1
; LDSByteSize: 0 bytes/workgroup (compile time only)
; SGPRBlocks: 0
; VGPRBlocks: 0
; NumSGPRsForWavesPerEU: 4
; NumVGPRsForWavesPerEU: 1
; AccumOffset: 4
; Occupancy: 8
; WaveLimiterHint : 0
; COMPUTE_PGM_RSRC2:SCRATCH_EN: 0
; COMPUTE_PGM_RSRC2:USER_SGPR: 6
; COMPUTE_PGM_RSRC2:TRAP_HANDLER: 0
; COMPUTE_PGM_RSRC2:TGID_X_EN: 1
; COMPUTE_PGM_RSRC2:TGID_Y_EN: 0
; COMPUTE_PGM_RSRC2:TGID_Z_EN: 0
; COMPUTE_PGM_RSRC2:TIDIG_COMP_CNT: 0
; COMPUTE_PGM_RSRC3_GFX90A:ACCUM_OFFSET: 0
; COMPUTE_PGM_RSRC3_GFX90A:TG_SPLIT: 0
	.section	.text._ZN7rocprim17ROCPRIM_400000_NS6detail17trampoline_kernelINS0_14default_configENS1_25partition_config_selectorILNS1_17partition_subalgoE0EjNS0_10empty_typeEbEEZZNS1_14partition_implILS5_0ELb0ES3_jN6thrust23THRUST_200600_302600_NS6detail15normal_iteratorINSA_10device_ptrIjEEEEPS6_SG_NS0_5tupleIJSF_SF_EEENSH_IJSG_SG_EEES6_PlJ7is_evenIjEEEE10hipError_tPvRmT3_T4_T5_T6_T7_T9_mT8_P12ihipStream_tbDpT10_ENKUlT_T0_E_clISt17integral_constantIbLb0EES15_IbLb1EEEEDaS11_S12_EUlS11_E_NS1_11comp_targetILNS1_3genE8ELNS1_11target_archE1030ELNS1_3gpuE2ELNS1_3repE0EEENS1_30default_config_static_selectorELNS0_4arch9wavefront6targetE1EEEvT1_,"axG",@progbits,_ZN7rocprim17ROCPRIM_400000_NS6detail17trampoline_kernelINS0_14default_configENS1_25partition_config_selectorILNS1_17partition_subalgoE0EjNS0_10empty_typeEbEEZZNS1_14partition_implILS5_0ELb0ES3_jN6thrust23THRUST_200600_302600_NS6detail15normal_iteratorINSA_10device_ptrIjEEEEPS6_SG_NS0_5tupleIJSF_SF_EEENSH_IJSG_SG_EEES6_PlJ7is_evenIjEEEE10hipError_tPvRmT3_T4_T5_T6_T7_T9_mT8_P12ihipStream_tbDpT10_ENKUlT_T0_E_clISt17integral_constantIbLb0EES15_IbLb1EEEEDaS11_S12_EUlS11_E_NS1_11comp_targetILNS1_3genE8ELNS1_11target_archE1030ELNS1_3gpuE2ELNS1_3repE0EEENS1_30default_config_static_selectorELNS0_4arch9wavefront6targetE1EEEvT1_,comdat
	.protected	_ZN7rocprim17ROCPRIM_400000_NS6detail17trampoline_kernelINS0_14default_configENS1_25partition_config_selectorILNS1_17partition_subalgoE0EjNS0_10empty_typeEbEEZZNS1_14partition_implILS5_0ELb0ES3_jN6thrust23THRUST_200600_302600_NS6detail15normal_iteratorINSA_10device_ptrIjEEEEPS6_SG_NS0_5tupleIJSF_SF_EEENSH_IJSG_SG_EEES6_PlJ7is_evenIjEEEE10hipError_tPvRmT3_T4_T5_T6_T7_T9_mT8_P12ihipStream_tbDpT10_ENKUlT_T0_E_clISt17integral_constantIbLb0EES15_IbLb1EEEEDaS11_S12_EUlS11_E_NS1_11comp_targetILNS1_3genE8ELNS1_11target_archE1030ELNS1_3gpuE2ELNS1_3repE0EEENS1_30default_config_static_selectorELNS0_4arch9wavefront6targetE1EEEvT1_ ; -- Begin function _ZN7rocprim17ROCPRIM_400000_NS6detail17trampoline_kernelINS0_14default_configENS1_25partition_config_selectorILNS1_17partition_subalgoE0EjNS0_10empty_typeEbEEZZNS1_14partition_implILS5_0ELb0ES3_jN6thrust23THRUST_200600_302600_NS6detail15normal_iteratorINSA_10device_ptrIjEEEEPS6_SG_NS0_5tupleIJSF_SF_EEENSH_IJSG_SG_EEES6_PlJ7is_evenIjEEEE10hipError_tPvRmT3_T4_T5_T6_T7_T9_mT8_P12ihipStream_tbDpT10_ENKUlT_T0_E_clISt17integral_constantIbLb0EES15_IbLb1EEEEDaS11_S12_EUlS11_E_NS1_11comp_targetILNS1_3genE8ELNS1_11target_archE1030ELNS1_3gpuE2ELNS1_3repE0EEENS1_30default_config_static_selectorELNS0_4arch9wavefront6targetE1EEEvT1_
	.globl	_ZN7rocprim17ROCPRIM_400000_NS6detail17trampoline_kernelINS0_14default_configENS1_25partition_config_selectorILNS1_17partition_subalgoE0EjNS0_10empty_typeEbEEZZNS1_14partition_implILS5_0ELb0ES3_jN6thrust23THRUST_200600_302600_NS6detail15normal_iteratorINSA_10device_ptrIjEEEEPS6_SG_NS0_5tupleIJSF_SF_EEENSH_IJSG_SG_EEES6_PlJ7is_evenIjEEEE10hipError_tPvRmT3_T4_T5_T6_T7_T9_mT8_P12ihipStream_tbDpT10_ENKUlT_T0_E_clISt17integral_constantIbLb0EES15_IbLb1EEEEDaS11_S12_EUlS11_E_NS1_11comp_targetILNS1_3genE8ELNS1_11target_archE1030ELNS1_3gpuE2ELNS1_3repE0EEENS1_30default_config_static_selectorELNS0_4arch9wavefront6targetE1EEEvT1_
	.p2align	8
	.type	_ZN7rocprim17ROCPRIM_400000_NS6detail17trampoline_kernelINS0_14default_configENS1_25partition_config_selectorILNS1_17partition_subalgoE0EjNS0_10empty_typeEbEEZZNS1_14partition_implILS5_0ELb0ES3_jN6thrust23THRUST_200600_302600_NS6detail15normal_iteratorINSA_10device_ptrIjEEEEPS6_SG_NS0_5tupleIJSF_SF_EEENSH_IJSG_SG_EEES6_PlJ7is_evenIjEEEE10hipError_tPvRmT3_T4_T5_T6_T7_T9_mT8_P12ihipStream_tbDpT10_ENKUlT_T0_E_clISt17integral_constantIbLb0EES15_IbLb1EEEEDaS11_S12_EUlS11_E_NS1_11comp_targetILNS1_3genE8ELNS1_11target_archE1030ELNS1_3gpuE2ELNS1_3repE0EEENS1_30default_config_static_selectorELNS0_4arch9wavefront6targetE1EEEvT1_,@function
_ZN7rocprim17ROCPRIM_400000_NS6detail17trampoline_kernelINS0_14default_configENS1_25partition_config_selectorILNS1_17partition_subalgoE0EjNS0_10empty_typeEbEEZZNS1_14partition_implILS5_0ELb0ES3_jN6thrust23THRUST_200600_302600_NS6detail15normal_iteratorINSA_10device_ptrIjEEEEPS6_SG_NS0_5tupleIJSF_SF_EEENSH_IJSG_SG_EEES6_PlJ7is_evenIjEEEE10hipError_tPvRmT3_T4_T5_T6_T7_T9_mT8_P12ihipStream_tbDpT10_ENKUlT_T0_E_clISt17integral_constantIbLb0EES15_IbLb1EEEEDaS11_S12_EUlS11_E_NS1_11comp_targetILNS1_3genE8ELNS1_11target_archE1030ELNS1_3gpuE2ELNS1_3repE0EEENS1_30default_config_static_selectorELNS0_4arch9wavefront6targetE1EEEvT1_: ; @_ZN7rocprim17ROCPRIM_400000_NS6detail17trampoline_kernelINS0_14default_configENS1_25partition_config_selectorILNS1_17partition_subalgoE0EjNS0_10empty_typeEbEEZZNS1_14partition_implILS5_0ELb0ES3_jN6thrust23THRUST_200600_302600_NS6detail15normal_iteratorINSA_10device_ptrIjEEEEPS6_SG_NS0_5tupleIJSF_SF_EEENSH_IJSG_SG_EEES6_PlJ7is_evenIjEEEE10hipError_tPvRmT3_T4_T5_T6_T7_T9_mT8_P12ihipStream_tbDpT10_ENKUlT_T0_E_clISt17integral_constantIbLb0EES15_IbLb1EEEEDaS11_S12_EUlS11_E_NS1_11comp_targetILNS1_3genE8ELNS1_11target_archE1030ELNS1_3gpuE2ELNS1_3repE0EEENS1_30default_config_static_selectorELNS0_4arch9wavefront6targetE1EEEvT1_
; %bb.0:
	.section	.rodata,"a",@progbits
	.p2align	6, 0x0
	.amdhsa_kernel _ZN7rocprim17ROCPRIM_400000_NS6detail17trampoline_kernelINS0_14default_configENS1_25partition_config_selectorILNS1_17partition_subalgoE0EjNS0_10empty_typeEbEEZZNS1_14partition_implILS5_0ELb0ES3_jN6thrust23THRUST_200600_302600_NS6detail15normal_iteratorINSA_10device_ptrIjEEEEPS6_SG_NS0_5tupleIJSF_SF_EEENSH_IJSG_SG_EEES6_PlJ7is_evenIjEEEE10hipError_tPvRmT3_T4_T5_T6_T7_T9_mT8_P12ihipStream_tbDpT10_ENKUlT_T0_E_clISt17integral_constantIbLb0EES15_IbLb1EEEEDaS11_S12_EUlS11_E_NS1_11comp_targetILNS1_3genE8ELNS1_11target_archE1030ELNS1_3gpuE2ELNS1_3repE0EEENS1_30default_config_static_selectorELNS0_4arch9wavefront6targetE1EEEvT1_
		.amdhsa_group_segment_fixed_size 0
		.amdhsa_private_segment_fixed_size 0
		.amdhsa_kernarg_size 136
		.amdhsa_user_sgpr_count 6
		.amdhsa_user_sgpr_private_segment_buffer 1
		.amdhsa_user_sgpr_dispatch_ptr 0
		.amdhsa_user_sgpr_queue_ptr 0
		.amdhsa_user_sgpr_kernarg_segment_ptr 1
		.amdhsa_user_sgpr_dispatch_id 0
		.amdhsa_user_sgpr_flat_scratch_init 0
		.amdhsa_user_sgpr_kernarg_preload_length 0
		.amdhsa_user_sgpr_kernarg_preload_offset 0
		.amdhsa_user_sgpr_private_segment_size 0
		.amdhsa_uses_dynamic_stack 0
		.amdhsa_system_sgpr_private_segment_wavefront_offset 0
		.amdhsa_system_sgpr_workgroup_id_x 1
		.amdhsa_system_sgpr_workgroup_id_y 0
		.amdhsa_system_sgpr_workgroup_id_z 0
		.amdhsa_system_sgpr_workgroup_info 0
		.amdhsa_system_vgpr_workitem_id 0
		.amdhsa_next_free_vgpr 1
		.amdhsa_next_free_sgpr 0
		.amdhsa_accum_offset 4
		.amdhsa_reserve_vcc 0
		.amdhsa_reserve_flat_scratch 0
		.amdhsa_float_round_mode_32 0
		.amdhsa_float_round_mode_16_64 0
		.amdhsa_float_denorm_mode_32 3
		.amdhsa_float_denorm_mode_16_64 3
		.amdhsa_dx10_clamp 1
		.amdhsa_ieee_mode 1
		.amdhsa_fp16_overflow 0
		.amdhsa_tg_split 0
		.amdhsa_exception_fp_ieee_invalid_op 0
		.amdhsa_exception_fp_denorm_src 0
		.amdhsa_exception_fp_ieee_div_zero 0
		.amdhsa_exception_fp_ieee_overflow 0
		.amdhsa_exception_fp_ieee_underflow 0
		.amdhsa_exception_fp_ieee_inexact 0
		.amdhsa_exception_int_div_zero 0
	.end_amdhsa_kernel
	.section	.text._ZN7rocprim17ROCPRIM_400000_NS6detail17trampoline_kernelINS0_14default_configENS1_25partition_config_selectorILNS1_17partition_subalgoE0EjNS0_10empty_typeEbEEZZNS1_14partition_implILS5_0ELb0ES3_jN6thrust23THRUST_200600_302600_NS6detail15normal_iteratorINSA_10device_ptrIjEEEEPS6_SG_NS0_5tupleIJSF_SF_EEENSH_IJSG_SG_EEES6_PlJ7is_evenIjEEEE10hipError_tPvRmT3_T4_T5_T6_T7_T9_mT8_P12ihipStream_tbDpT10_ENKUlT_T0_E_clISt17integral_constantIbLb0EES15_IbLb1EEEEDaS11_S12_EUlS11_E_NS1_11comp_targetILNS1_3genE8ELNS1_11target_archE1030ELNS1_3gpuE2ELNS1_3repE0EEENS1_30default_config_static_selectorELNS0_4arch9wavefront6targetE1EEEvT1_,"axG",@progbits,_ZN7rocprim17ROCPRIM_400000_NS6detail17trampoline_kernelINS0_14default_configENS1_25partition_config_selectorILNS1_17partition_subalgoE0EjNS0_10empty_typeEbEEZZNS1_14partition_implILS5_0ELb0ES3_jN6thrust23THRUST_200600_302600_NS6detail15normal_iteratorINSA_10device_ptrIjEEEEPS6_SG_NS0_5tupleIJSF_SF_EEENSH_IJSG_SG_EEES6_PlJ7is_evenIjEEEE10hipError_tPvRmT3_T4_T5_T6_T7_T9_mT8_P12ihipStream_tbDpT10_ENKUlT_T0_E_clISt17integral_constantIbLb0EES15_IbLb1EEEEDaS11_S12_EUlS11_E_NS1_11comp_targetILNS1_3genE8ELNS1_11target_archE1030ELNS1_3gpuE2ELNS1_3repE0EEENS1_30default_config_static_selectorELNS0_4arch9wavefront6targetE1EEEvT1_,comdat
.Lfunc_end2168:
	.size	_ZN7rocprim17ROCPRIM_400000_NS6detail17trampoline_kernelINS0_14default_configENS1_25partition_config_selectorILNS1_17partition_subalgoE0EjNS0_10empty_typeEbEEZZNS1_14partition_implILS5_0ELb0ES3_jN6thrust23THRUST_200600_302600_NS6detail15normal_iteratorINSA_10device_ptrIjEEEEPS6_SG_NS0_5tupleIJSF_SF_EEENSH_IJSG_SG_EEES6_PlJ7is_evenIjEEEE10hipError_tPvRmT3_T4_T5_T6_T7_T9_mT8_P12ihipStream_tbDpT10_ENKUlT_T0_E_clISt17integral_constantIbLb0EES15_IbLb1EEEEDaS11_S12_EUlS11_E_NS1_11comp_targetILNS1_3genE8ELNS1_11target_archE1030ELNS1_3gpuE2ELNS1_3repE0EEENS1_30default_config_static_selectorELNS0_4arch9wavefront6targetE1EEEvT1_, .Lfunc_end2168-_ZN7rocprim17ROCPRIM_400000_NS6detail17trampoline_kernelINS0_14default_configENS1_25partition_config_selectorILNS1_17partition_subalgoE0EjNS0_10empty_typeEbEEZZNS1_14partition_implILS5_0ELb0ES3_jN6thrust23THRUST_200600_302600_NS6detail15normal_iteratorINSA_10device_ptrIjEEEEPS6_SG_NS0_5tupleIJSF_SF_EEENSH_IJSG_SG_EEES6_PlJ7is_evenIjEEEE10hipError_tPvRmT3_T4_T5_T6_T7_T9_mT8_P12ihipStream_tbDpT10_ENKUlT_T0_E_clISt17integral_constantIbLb0EES15_IbLb1EEEEDaS11_S12_EUlS11_E_NS1_11comp_targetILNS1_3genE8ELNS1_11target_archE1030ELNS1_3gpuE2ELNS1_3repE0EEENS1_30default_config_static_selectorELNS0_4arch9wavefront6targetE1EEEvT1_
                                        ; -- End function
	.section	.AMDGPU.csdata,"",@progbits
; Kernel info:
; codeLenInByte = 0
; NumSgprs: 4
; NumVgprs: 0
; NumAgprs: 0
; TotalNumVgprs: 0
; ScratchSize: 0
; MemoryBound: 0
; FloatMode: 240
; IeeeMode: 1
; LDSByteSize: 0 bytes/workgroup (compile time only)
; SGPRBlocks: 0
; VGPRBlocks: 0
; NumSGPRsForWavesPerEU: 4
; NumVGPRsForWavesPerEU: 1
; AccumOffset: 4
; Occupancy: 8
; WaveLimiterHint : 0
; COMPUTE_PGM_RSRC2:SCRATCH_EN: 0
; COMPUTE_PGM_RSRC2:USER_SGPR: 6
; COMPUTE_PGM_RSRC2:TRAP_HANDLER: 0
; COMPUTE_PGM_RSRC2:TGID_X_EN: 1
; COMPUTE_PGM_RSRC2:TGID_Y_EN: 0
; COMPUTE_PGM_RSRC2:TGID_Z_EN: 0
; COMPUTE_PGM_RSRC2:TIDIG_COMP_CNT: 0
; COMPUTE_PGM_RSRC3_GFX90A:ACCUM_OFFSET: 0
; COMPUTE_PGM_RSRC3_GFX90A:TG_SPLIT: 0
	.section	.text._ZN6thrust23THRUST_200600_302600_NS11hip_rocprim14__parallel_for6kernelILj256ENS1_20__uninitialized_fill7functorINS0_10device_ptrItEEtEEmLj1EEEvT0_T1_SA_,"axG",@progbits,_ZN6thrust23THRUST_200600_302600_NS11hip_rocprim14__parallel_for6kernelILj256ENS1_20__uninitialized_fill7functorINS0_10device_ptrItEEtEEmLj1EEEvT0_T1_SA_,comdat
	.protected	_ZN6thrust23THRUST_200600_302600_NS11hip_rocprim14__parallel_for6kernelILj256ENS1_20__uninitialized_fill7functorINS0_10device_ptrItEEtEEmLj1EEEvT0_T1_SA_ ; -- Begin function _ZN6thrust23THRUST_200600_302600_NS11hip_rocprim14__parallel_for6kernelILj256ENS1_20__uninitialized_fill7functorINS0_10device_ptrItEEtEEmLj1EEEvT0_T1_SA_
	.globl	_ZN6thrust23THRUST_200600_302600_NS11hip_rocprim14__parallel_for6kernelILj256ENS1_20__uninitialized_fill7functorINS0_10device_ptrItEEtEEmLj1EEEvT0_T1_SA_
	.p2align	8
	.type	_ZN6thrust23THRUST_200600_302600_NS11hip_rocprim14__parallel_for6kernelILj256ENS1_20__uninitialized_fill7functorINS0_10device_ptrItEEtEEmLj1EEEvT0_T1_SA_,@function
_ZN6thrust23THRUST_200600_302600_NS11hip_rocprim14__parallel_for6kernelILj256ENS1_20__uninitialized_fill7functorINS0_10device_ptrItEEtEEmLj1EEEvT0_T1_SA_: ; @_ZN6thrust23THRUST_200600_302600_NS11hip_rocprim14__parallel_for6kernelILj256ENS1_20__uninitialized_fill7functorINS0_10device_ptrItEEtEEmLj1EEEvT0_T1_SA_
; %bb.0:
	s_load_dwordx4 s[8:11], s[4:5], 0x10
	s_lshl_b32 s0, s6, 8
	v_mov_b32_e32 v2, 0x100
	v_mov_b32_e32 v3, 0
	s_waitcnt lgkmcnt(0)
	s_add_u32 s0, s0, s10
	s_addc_u32 s1, 0, s11
	s_sub_u32 s2, s8, s0
	s_subb_u32 s3, s9, s1
	v_cmp_lt_u64_e32 vcc, s[2:3], v[2:3]
	s_cbranch_vccz .LBB2169_2
; %bb.1:
	v_cmp_gt_u32_e32 vcc, s2, v0
	s_and_b64 s[2:3], vcc, exec
	s_cbranch_execz .LBB2169_3
	s_branch .LBB2169_4
.LBB2169_2:
	s_mov_b64 s[2:3], 0
.LBB2169_3:
	s_or_b64 s[2:3], s[2:3], exec
.LBB2169_4:
	s_and_saveexec_b64 s[6:7], s[2:3]
	s_cbranch_execnz .LBB2169_6
; %bb.5:
	s_endpgm
.LBB2169_6:
	s_load_dwordx2 s[2:3], s[4:5], 0x0
	s_load_dword s6, s[4:5], 0x8
	s_lshl_b64 s[0:1], s[0:1], 1
	v_mov_b32_e32 v1, 0
	v_lshlrev_b64 v[0:1], 1, v[0:1]
	s_waitcnt lgkmcnt(0)
	s_add_u32 s0, s2, s0
	s_addc_u32 s1, s3, s1
	v_mov_b32_e32 v2, s1
	v_add_co_u32_e32 v0, vcc, s0, v0
	v_addc_co_u32_e32 v1, vcc, v2, v1, vcc
	v_mov_b32_e32 v2, s6
	flat_store_short v[0:1], v2
	s_endpgm
	.section	.rodata,"a",@progbits
	.p2align	6, 0x0
	.amdhsa_kernel _ZN6thrust23THRUST_200600_302600_NS11hip_rocprim14__parallel_for6kernelILj256ENS1_20__uninitialized_fill7functorINS0_10device_ptrItEEtEEmLj1EEEvT0_T1_SA_
		.amdhsa_group_segment_fixed_size 0
		.amdhsa_private_segment_fixed_size 0
		.amdhsa_kernarg_size 32
		.amdhsa_user_sgpr_count 6
		.amdhsa_user_sgpr_private_segment_buffer 1
		.amdhsa_user_sgpr_dispatch_ptr 0
		.amdhsa_user_sgpr_queue_ptr 0
		.amdhsa_user_sgpr_kernarg_segment_ptr 1
		.amdhsa_user_sgpr_dispatch_id 0
		.amdhsa_user_sgpr_flat_scratch_init 0
		.amdhsa_user_sgpr_kernarg_preload_length 0
		.amdhsa_user_sgpr_kernarg_preload_offset 0
		.amdhsa_user_sgpr_private_segment_size 0
		.amdhsa_uses_dynamic_stack 0
		.amdhsa_system_sgpr_private_segment_wavefront_offset 0
		.amdhsa_system_sgpr_workgroup_id_x 1
		.amdhsa_system_sgpr_workgroup_id_y 0
		.amdhsa_system_sgpr_workgroup_id_z 0
		.amdhsa_system_sgpr_workgroup_info 0
		.amdhsa_system_vgpr_workitem_id 0
		.amdhsa_next_free_vgpr 4
		.amdhsa_next_free_sgpr 12
		.amdhsa_accum_offset 4
		.amdhsa_reserve_vcc 1
		.amdhsa_reserve_flat_scratch 0
		.amdhsa_float_round_mode_32 0
		.amdhsa_float_round_mode_16_64 0
		.amdhsa_float_denorm_mode_32 3
		.amdhsa_float_denorm_mode_16_64 3
		.amdhsa_dx10_clamp 1
		.amdhsa_ieee_mode 1
		.amdhsa_fp16_overflow 0
		.amdhsa_tg_split 0
		.amdhsa_exception_fp_ieee_invalid_op 0
		.amdhsa_exception_fp_denorm_src 0
		.amdhsa_exception_fp_ieee_div_zero 0
		.amdhsa_exception_fp_ieee_overflow 0
		.amdhsa_exception_fp_ieee_underflow 0
		.amdhsa_exception_fp_ieee_inexact 0
		.amdhsa_exception_int_div_zero 0
	.end_amdhsa_kernel
	.section	.text._ZN6thrust23THRUST_200600_302600_NS11hip_rocprim14__parallel_for6kernelILj256ENS1_20__uninitialized_fill7functorINS0_10device_ptrItEEtEEmLj1EEEvT0_T1_SA_,"axG",@progbits,_ZN6thrust23THRUST_200600_302600_NS11hip_rocprim14__parallel_for6kernelILj256ENS1_20__uninitialized_fill7functorINS0_10device_ptrItEEtEEmLj1EEEvT0_T1_SA_,comdat
.Lfunc_end2169:
	.size	_ZN6thrust23THRUST_200600_302600_NS11hip_rocprim14__parallel_for6kernelILj256ENS1_20__uninitialized_fill7functorINS0_10device_ptrItEEtEEmLj1EEEvT0_T1_SA_, .Lfunc_end2169-_ZN6thrust23THRUST_200600_302600_NS11hip_rocprim14__parallel_for6kernelILj256ENS1_20__uninitialized_fill7functorINS0_10device_ptrItEEtEEmLj1EEEvT0_T1_SA_
                                        ; -- End function
	.section	.AMDGPU.csdata,"",@progbits
; Kernel info:
; codeLenInByte = 160
; NumSgprs: 16
; NumVgprs: 4
; NumAgprs: 0
; TotalNumVgprs: 4
; ScratchSize: 0
; MemoryBound: 0
; FloatMode: 240
; IeeeMode: 1
; LDSByteSize: 0 bytes/workgroup (compile time only)
; SGPRBlocks: 1
; VGPRBlocks: 0
; NumSGPRsForWavesPerEU: 16
; NumVGPRsForWavesPerEU: 4
; AccumOffset: 4
; Occupancy: 8
; WaveLimiterHint : 0
; COMPUTE_PGM_RSRC2:SCRATCH_EN: 0
; COMPUTE_PGM_RSRC2:USER_SGPR: 6
; COMPUTE_PGM_RSRC2:TRAP_HANDLER: 0
; COMPUTE_PGM_RSRC2:TGID_X_EN: 1
; COMPUTE_PGM_RSRC2:TGID_Y_EN: 0
; COMPUTE_PGM_RSRC2:TGID_Z_EN: 0
; COMPUTE_PGM_RSRC2:TIDIG_COMP_CNT: 0
; COMPUTE_PGM_RSRC3_GFX90A:ACCUM_OFFSET: 0
; COMPUTE_PGM_RSRC3_GFX90A:TG_SPLIT: 0
	.section	.text._ZN7rocprim17ROCPRIM_400000_NS6detail17trampoline_kernelINS0_14default_configENS1_25partition_config_selectorILNS1_17partition_subalgoE0EtNS0_10empty_typeEbEEZZNS1_14partition_implILS5_0ELb0ES3_jN6thrust23THRUST_200600_302600_NS6detail15normal_iteratorINSA_10device_ptrItEEEEPS6_SG_NS0_5tupleIJSF_SF_EEENSH_IJSG_SG_EEES6_PlJ7is_evenItEEEE10hipError_tPvRmT3_T4_T5_T6_T7_T9_mT8_P12ihipStream_tbDpT10_ENKUlT_T0_E_clISt17integral_constantIbLb0EES16_EEDaS11_S12_EUlS11_E_NS1_11comp_targetILNS1_3genE0ELNS1_11target_archE4294967295ELNS1_3gpuE0ELNS1_3repE0EEENS1_30default_config_static_selectorELNS0_4arch9wavefront6targetE1EEEvT1_,"axG",@progbits,_ZN7rocprim17ROCPRIM_400000_NS6detail17trampoline_kernelINS0_14default_configENS1_25partition_config_selectorILNS1_17partition_subalgoE0EtNS0_10empty_typeEbEEZZNS1_14partition_implILS5_0ELb0ES3_jN6thrust23THRUST_200600_302600_NS6detail15normal_iteratorINSA_10device_ptrItEEEEPS6_SG_NS0_5tupleIJSF_SF_EEENSH_IJSG_SG_EEES6_PlJ7is_evenItEEEE10hipError_tPvRmT3_T4_T5_T6_T7_T9_mT8_P12ihipStream_tbDpT10_ENKUlT_T0_E_clISt17integral_constantIbLb0EES16_EEDaS11_S12_EUlS11_E_NS1_11comp_targetILNS1_3genE0ELNS1_11target_archE4294967295ELNS1_3gpuE0ELNS1_3repE0EEENS1_30default_config_static_selectorELNS0_4arch9wavefront6targetE1EEEvT1_,comdat
	.protected	_ZN7rocprim17ROCPRIM_400000_NS6detail17trampoline_kernelINS0_14default_configENS1_25partition_config_selectorILNS1_17partition_subalgoE0EtNS0_10empty_typeEbEEZZNS1_14partition_implILS5_0ELb0ES3_jN6thrust23THRUST_200600_302600_NS6detail15normal_iteratorINSA_10device_ptrItEEEEPS6_SG_NS0_5tupleIJSF_SF_EEENSH_IJSG_SG_EEES6_PlJ7is_evenItEEEE10hipError_tPvRmT3_T4_T5_T6_T7_T9_mT8_P12ihipStream_tbDpT10_ENKUlT_T0_E_clISt17integral_constantIbLb0EES16_EEDaS11_S12_EUlS11_E_NS1_11comp_targetILNS1_3genE0ELNS1_11target_archE4294967295ELNS1_3gpuE0ELNS1_3repE0EEENS1_30default_config_static_selectorELNS0_4arch9wavefront6targetE1EEEvT1_ ; -- Begin function _ZN7rocprim17ROCPRIM_400000_NS6detail17trampoline_kernelINS0_14default_configENS1_25partition_config_selectorILNS1_17partition_subalgoE0EtNS0_10empty_typeEbEEZZNS1_14partition_implILS5_0ELb0ES3_jN6thrust23THRUST_200600_302600_NS6detail15normal_iteratorINSA_10device_ptrItEEEEPS6_SG_NS0_5tupleIJSF_SF_EEENSH_IJSG_SG_EEES6_PlJ7is_evenItEEEE10hipError_tPvRmT3_T4_T5_T6_T7_T9_mT8_P12ihipStream_tbDpT10_ENKUlT_T0_E_clISt17integral_constantIbLb0EES16_EEDaS11_S12_EUlS11_E_NS1_11comp_targetILNS1_3genE0ELNS1_11target_archE4294967295ELNS1_3gpuE0ELNS1_3repE0EEENS1_30default_config_static_selectorELNS0_4arch9wavefront6targetE1EEEvT1_
	.globl	_ZN7rocprim17ROCPRIM_400000_NS6detail17trampoline_kernelINS0_14default_configENS1_25partition_config_selectorILNS1_17partition_subalgoE0EtNS0_10empty_typeEbEEZZNS1_14partition_implILS5_0ELb0ES3_jN6thrust23THRUST_200600_302600_NS6detail15normal_iteratorINSA_10device_ptrItEEEEPS6_SG_NS0_5tupleIJSF_SF_EEENSH_IJSG_SG_EEES6_PlJ7is_evenItEEEE10hipError_tPvRmT3_T4_T5_T6_T7_T9_mT8_P12ihipStream_tbDpT10_ENKUlT_T0_E_clISt17integral_constantIbLb0EES16_EEDaS11_S12_EUlS11_E_NS1_11comp_targetILNS1_3genE0ELNS1_11target_archE4294967295ELNS1_3gpuE0ELNS1_3repE0EEENS1_30default_config_static_selectorELNS0_4arch9wavefront6targetE1EEEvT1_
	.p2align	8
	.type	_ZN7rocprim17ROCPRIM_400000_NS6detail17trampoline_kernelINS0_14default_configENS1_25partition_config_selectorILNS1_17partition_subalgoE0EtNS0_10empty_typeEbEEZZNS1_14partition_implILS5_0ELb0ES3_jN6thrust23THRUST_200600_302600_NS6detail15normal_iteratorINSA_10device_ptrItEEEEPS6_SG_NS0_5tupleIJSF_SF_EEENSH_IJSG_SG_EEES6_PlJ7is_evenItEEEE10hipError_tPvRmT3_T4_T5_T6_T7_T9_mT8_P12ihipStream_tbDpT10_ENKUlT_T0_E_clISt17integral_constantIbLb0EES16_EEDaS11_S12_EUlS11_E_NS1_11comp_targetILNS1_3genE0ELNS1_11target_archE4294967295ELNS1_3gpuE0ELNS1_3repE0EEENS1_30default_config_static_selectorELNS0_4arch9wavefront6targetE1EEEvT1_,@function
_ZN7rocprim17ROCPRIM_400000_NS6detail17trampoline_kernelINS0_14default_configENS1_25partition_config_selectorILNS1_17partition_subalgoE0EtNS0_10empty_typeEbEEZZNS1_14partition_implILS5_0ELb0ES3_jN6thrust23THRUST_200600_302600_NS6detail15normal_iteratorINSA_10device_ptrItEEEEPS6_SG_NS0_5tupleIJSF_SF_EEENSH_IJSG_SG_EEES6_PlJ7is_evenItEEEE10hipError_tPvRmT3_T4_T5_T6_T7_T9_mT8_P12ihipStream_tbDpT10_ENKUlT_T0_E_clISt17integral_constantIbLb0EES16_EEDaS11_S12_EUlS11_E_NS1_11comp_targetILNS1_3genE0ELNS1_11target_archE4294967295ELNS1_3gpuE0ELNS1_3repE0EEENS1_30default_config_static_selectorELNS0_4arch9wavefront6targetE1EEEvT1_: ; @_ZN7rocprim17ROCPRIM_400000_NS6detail17trampoline_kernelINS0_14default_configENS1_25partition_config_selectorILNS1_17partition_subalgoE0EtNS0_10empty_typeEbEEZZNS1_14partition_implILS5_0ELb0ES3_jN6thrust23THRUST_200600_302600_NS6detail15normal_iteratorINSA_10device_ptrItEEEEPS6_SG_NS0_5tupleIJSF_SF_EEENSH_IJSG_SG_EEES6_PlJ7is_evenItEEEE10hipError_tPvRmT3_T4_T5_T6_T7_T9_mT8_P12ihipStream_tbDpT10_ENKUlT_T0_E_clISt17integral_constantIbLb0EES16_EEDaS11_S12_EUlS11_E_NS1_11comp_targetILNS1_3genE0ELNS1_11target_archE4294967295ELNS1_3gpuE0ELNS1_3repE0EEENS1_30default_config_static_selectorELNS0_4arch9wavefront6targetE1EEEvT1_
; %bb.0:
	.section	.rodata,"a",@progbits
	.p2align	6, 0x0
	.amdhsa_kernel _ZN7rocprim17ROCPRIM_400000_NS6detail17trampoline_kernelINS0_14default_configENS1_25partition_config_selectorILNS1_17partition_subalgoE0EtNS0_10empty_typeEbEEZZNS1_14partition_implILS5_0ELb0ES3_jN6thrust23THRUST_200600_302600_NS6detail15normal_iteratorINSA_10device_ptrItEEEEPS6_SG_NS0_5tupleIJSF_SF_EEENSH_IJSG_SG_EEES6_PlJ7is_evenItEEEE10hipError_tPvRmT3_T4_T5_T6_T7_T9_mT8_P12ihipStream_tbDpT10_ENKUlT_T0_E_clISt17integral_constantIbLb0EES16_EEDaS11_S12_EUlS11_E_NS1_11comp_targetILNS1_3genE0ELNS1_11target_archE4294967295ELNS1_3gpuE0ELNS1_3repE0EEENS1_30default_config_static_selectorELNS0_4arch9wavefront6targetE1EEEvT1_
		.amdhsa_group_segment_fixed_size 0
		.amdhsa_private_segment_fixed_size 0
		.amdhsa_kernarg_size 120
		.amdhsa_user_sgpr_count 6
		.amdhsa_user_sgpr_private_segment_buffer 1
		.amdhsa_user_sgpr_dispatch_ptr 0
		.amdhsa_user_sgpr_queue_ptr 0
		.amdhsa_user_sgpr_kernarg_segment_ptr 1
		.amdhsa_user_sgpr_dispatch_id 0
		.amdhsa_user_sgpr_flat_scratch_init 0
		.amdhsa_user_sgpr_kernarg_preload_length 0
		.amdhsa_user_sgpr_kernarg_preload_offset 0
		.amdhsa_user_sgpr_private_segment_size 0
		.amdhsa_uses_dynamic_stack 0
		.amdhsa_system_sgpr_private_segment_wavefront_offset 0
		.amdhsa_system_sgpr_workgroup_id_x 1
		.amdhsa_system_sgpr_workgroup_id_y 0
		.amdhsa_system_sgpr_workgroup_id_z 0
		.amdhsa_system_sgpr_workgroup_info 0
		.amdhsa_system_vgpr_workitem_id 0
		.amdhsa_next_free_vgpr 1
		.amdhsa_next_free_sgpr 0
		.amdhsa_accum_offset 4
		.amdhsa_reserve_vcc 0
		.amdhsa_reserve_flat_scratch 0
		.amdhsa_float_round_mode_32 0
		.amdhsa_float_round_mode_16_64 0
		.amdhsa_float_denorm_mode_32 3
		.amdhsa_float_denorm_mode_16_64 3
		.amdhsa_dx10_clamp 1
		.amdhsa_ieee_mode 1
		.amdhsa_fp16_overflow 0
		.amdhsa_tg_split 0
		.amdhsa_exception_fp_ieee_invalid_op 0
		.amdhsa_exception_fp_denorm_src 0
		.amdhsa_exception_fp_ieee_div_zero 0
		.amdhsa_exception_fp_ieee_overflow 0
		.amdhsa_exception_fp_ieee_underflow 0
		.amdhsa_exception_fp_ieee_inexact 0
		.amdhsa_exception_int_div_zero 0
	.end_amdhsa_kernel
	.section	.text._ZN7rocprim17ROCPRIM_400000_NS6detail17trampoline_kernelINS0_14default_configENS1_25partition_config_selectorILNS1_17partition_subalgoE0EtNS0_10empty_typeEbEEZZNS1_14partition_implILS5_0ELb0ES3_jN6thrust23THRUST_200600_302600_NS6detail15normal_iteratorINSA_10device_ptrItEEEEPS6_SG_NS0_5tupleIJSF_SF_EEENSH_IJSG_SG_EEES6_PlJ7is_evenItEEEE10hipError_tPvRmT3_T4_T5_T6_T7_T9_mT8_P12ihipStream_tbDpT10_ENKUlT_T0_E_clISt17integral_constantIbLb0EES16_EEDaS11_S12_EUlS11_E_NS1_11comp_targetILNS1_3genE0ELNS1_11target_archE4294967295ELNS1_3gpuE0ELNS1_3repE0EEENS1_30default_config_static_selectorELNS0_4arch9wavefront6targetE1EEEvT1_,"axG",@progbits,_ZN7rocprim17ROCPRIM_400000_NS6detail17trampoline_kernelINS0_14default_configENS1_25partition_config_selectorILNS1_17partition_subalgoE0EtNS0_10empty_typeEbEEZZNS1_14partition_implILS5_0ELb0ES3_jN6thrust23THRUST_200600_302600_NS6detail15normal_iteratorINSA_10device_ptrItEEEEPS6_SG_NS0_5tupleIJSF_SF_EEENSH_IJSG_SG_EEES6_PlJ7is_evenItEEEE10hipError_tPvRmT3_T4_T5_T6_T7_T9_mT8_P12ihipStream_tbDpT10_ENKUlT_T0_E_clISt17integral_constantIbLb0EES16_EEDaS11_S12_EUlS11_E_NS1_11comp_targetILNS1_3genE0ELNS1_11target_archE4294967295ELNS1_3gpuE0ELNS1_3repE0EEENS1_30default_config_static_selectorELNS0_4arch9wavefront6targetE1EEEvT1_,comdat
.Lfunc_end2170:
	.size	_ZN7rocprim17ROCPRIM_400000_NS6detail17trampoline_kernelINS0_14default_configENS1_25partition_config_selectorILNS1_17partition_subalgoE0EtNS0_10empty_typeEbEEZZNS1_14partition_implILS5_0ELb0ES3_jN6thrust23THRUST_200600_302600_NS6detail15normal_iteratorINSA_10device_ptrItEEEEPS6_SG_NS0_5tupleIJSF_SF_EEENSH_IJSG_SG_EEES6_PlJ7is_evenItEEEE10hipError_tPvRmT3_T4_T5_T6_T7_T9_mT8_P12ihipStream_tbDpT10_ENKUlT_T0_E_clISt17integral_constantIbLb0EES16_EEDaS11_S12_EUlS11_E_NS1_11comp_targetILNS1_3genE0ELNS1_11target_archE4294967295ELNS1_3gpuE0ELNS1_3repE0EEENS1_30default_config_static_selectorELNS0_4arch9wavefront6targetE1EEEvT1_, .Lfunc_end2170-_ZN7rocprim17ROCPRIM_400000_NS6detail17trampoline_kernelINS0_14default_configENS1_25partition_config_selectorILNS1_17partition_subalgoE0EtNS0_10empty_typeEbEEZZNS1_14partition_implILS5_0ELb0ES3_jN6thrust23THRUST_200600_302600_NS6detail15normal_iteratorINSA_10device_ptrItEEEEPS6_SG_NS0_5tupleIJSF_SF_EEENSH_IJSG_SG_EEES6_PlJ7is_evenItEEEE10hipError_tPvRmT3_T4_T5_T6_T7_T9_mT8_P12ihipStream_tbDpT10_ENKUlT_T0_E_clISt17integral_constantIbLb0EES16_EEDaS11_S12_EUlS11_E_NS1_11comp_targetILNS1_3genE0ELNS1_11target_archE4294967295ELNS1_3gpuE0ELNS1_3repE0EEENS1_30default_config_static_selectorELNS0_4arch9wavefront6targetE1EEEvT1_
                                        ; -- End function
	.section	.AMDGPU.csdata,"",@progbits
; Kernel info:
; codeLenInByte = 0
; NumSgprs: 4
; NumVgprs: 0
; NumAgprs: 0
; TotalNumVgprs: 0
; ScratchSize: 0
; MemoryBound: 0
; FloatMode: 240
; IeeeMode: 1
; LDSByteSize: 0 bytes/workgroup (compile time only)
; SGPRBlocks: 0
; VGPRBlocks: 0
; NumSGPRsForWavesPerEU: 4
; NumVGPRsForWavesPerEU: 1
; AccumOffset: 4
; Occupancy: 8
; WaveLimiterHint : 0
; COMPUTE_PGM_RSRC2:SCRATCH_EN: 0
; COMPUTE_PGM_RSRC2:USER_SGPR: 6
; COMPUTE_PGM_RSRC2:TRAP_HANDLER: 0
; COMPUTE_PGM_RSRC2:TGID_X_EN: 1
; COMPUTE_PGM_RSRC2:TGID_Y_EN: 0
; COMPUTE_PGM_RSRC2:TGID_Z_EN: 0
; COMPUTE_PGM_RSRC2:TIDIG_COMP_CNT: 0
; COMPUTE_PGM_RSRC3_GFX90A:ACCUM_OFFSET: 0
; COMPUTE_PGM_RSRC3_GFX90A:TG_SPLIT: 0
	.section	.text._ZN7rocprim17ROCPRIM_400000_NS6detail17trampoline_kernelINS0_14default_configENS1_25partition_config_selectorILNS1_17partition_subalgoE0EtNS0_10empty_typeEbEEZZNS1_14partition_implILS5_0ELb0ES3_jN6thrust23THRUST_200600_302600_NS6detail15normal_iteratorINSA_10device_ptrItEEEEPS6_SG_NS0_5tupleIJSF_SF_EEENSH_IJSG_SG_EEES6_PlJ7is_evenItEEEE10hipError_tPvRmT3_T4_T5_T6_T7_T9_mT8_P12ihipStream_tbDpT10_ENKUlT_T0_E_clISt17integral_constantIbLb0EES16_EEDaS11_S12_EUlS11_E_NS1_11comp_targetILNS1_3genE5ELNS1_11target_archE942ELNS1_3gpuE9ELNS1_3repE0EEENS1_30default_config_static_selectorELNS0_4arch9wavefront6targetE1EEEvT1_,"axG",@progbits,_ZN7rocprim17ROCPRIM_400000_NS6detail17trampoline_kernelINS0_14default_configENS1_25partition_config_selectorILNS1_17partition_subalgoE0EtNS0_10empty_typeEbEEZZNS1_14partition_implILS5_0ELb0ES3_jN6thrust23THRUST_200600_302600_NS6detail15normal_iteratorINSA_10device_ptrItEEEEPS6_SG_NS0_5tupleIJSF_SF_EEENSH_IJSG_SG_EEES6_PlJ7is_evenItEEEE10hipError_tPvRmT3_T4_T5_T6_T7_T9_mT8_P12ihipStream_tbDpT10_ENKUlT_T0_E_clISt17integral_constantIbLb0EES16_EEDaS11_S12_EUlS11_E_NS1_11comp_targetILNS1_3genE5ELNS1_11target_archE942ELNS1_3gpuE9ELNS1_3repE0EEENS1_30default_config_static_selectorELNS0_4arch9wavefront6targetE1EEEvT1_,comdat
	.protected	_ZN7rocprim17ROCPRIM_400000_NS6detail17trampoline_kernelINS0_14default_configENS1_25partition_config_selectorILNS1_17partition_subalgoE0EtNS0_10empty_typeEbEEZZNS1_14partition_implILS5_0ELb0ES3_jN6thrust23THRUST_200600_302600_NS6detail15normal_iteratorINSA_10device_ptrItEEEEPS6_SG_NS0_5tupleIJSF_SF_EEENSH_IJSG_SG_EEES6_PlJ7is_evenItEEEE10hipError_tPvRmT3_T4_T5_T6_T7_T9_mT8_P12ihipStream_tbDpT10_ENKUlT_T0_E_clISt17integral_constantIbLb0EES16_EEDaS11_S12_EUlS11_E_NS1_11comp_targetILNS1_3genE5ELNS1_11target_archE942ELNS1_3gpuE9ELNS1_3repE0EEENS1_30default_config_static_selectorELNS0_4arch9wavefront6targetE1EEEvT1_ ; -- Begin function _ZN7rocprim17ROCPRIM_400000_NS6detail17trampoline_kernelINS0_14default_configENS1_25partition_config_selectorILNS1_17partition_subalgoE0EtNS0_10empty_typeEbEEZZNS1_14partition_implILS5_0ELb0ES3_jN6thrust23THRUST_200600_302600_NS6detail15normal_iteratorINSA_10device_ptrItEEEEPS6_SG_NS0_5tupleIJSF_SF_EEENSH_IJSG_SG_EEES6_PlJ7is_evenItEEEE10hipError_tPvRmT3_T4_T5_T6_T7_T9_mT8_P12ihipStream_tbDpT10_ENKUlT_T0_E_clISt17integral_constantIbLb0EES16_EEDaS11_S12_EUlS11_E_NS1_11comp_targetILNS1_3genE5ELNS1_11target_archE942ELNS1_3gpuE9ELNS1_3repE0EEENS1_30default_config_static_selectorELNS0_4arch9wavefront6targetE1EEEvT1_
	.globl	_ZN7rocprim17ROCPRIM_400000_NS6detail17trampoline_kernelINS0_14default_configENS1_25partition_config_selectorILNS1_17partition_subalgoE0EtNS0_10empty_typeEbEEZZNS1_14partition_implILS5_0ELb0ES3_jN6thrust23THRUST_200600_302600_NS6detail15normal_iteratorINSA_10device_ptrItEEEEPS6_SG_NS0_5tupleIJSF_SF_EEENSH_IJSG_SG_EEES6_PlJ7is_evenItEEEE10hipError_tPvRmT3_T4_T5_T6_T7_T9_mT8_P12ihipStream_tbDpT10_ENKUlT_T0_E_clISt17integral_constantIbLb0EES16_EEDaS11_S12_EUlS11_E_NS1_11comp_targetILNS1_3genE5ELNS1_11target_archE942ELNS1_3gpuE9ELNS1_3repE0EEENS1_30default_config_static_selectorELNS0_4arch9wavefront6targetE1EEEvT1_
	.p2align	8
	.type	_ZN7rocprim17ROCPRIM_400000_NS6detail17trampoline_kernelINS0_14default_configENS1_25partition_config_selectorILNS1_17partition_subalgoE0EtNS0_10empty_typeEbEEZZNS1_14partition_implILS5_0ELb0ES3_jN6thrust23THRUST_200600_302600_NS6detail15normal_iteratorINSA_10device_ptrItEEEEPS6_SG_NS0_5tupleIJSF_SF_EEENSH_IJSG_SG_EEES6_PlJ7is_evenItEEEE10hipError_tPvRmT3_T4_T5_T6_T7_T9_mT8_P12ihipStream_tbDpT10_ENKUlT_T0_E_clISt17integral_constantIbLb0EES16_EEDaS11_S12_EUlS11_E_NS1_11comp_targetILNS1_3genE5ELNS1_11target_archE942ELNS1_3gpuE9ELNS1_3repE0EEENS1_30default_config_static_selectorELNS0_4arch9wavefront6targetE1EEEvT1_,@function
_ZN7rocprim17ROCPRIM_400000_NS6detail17trampoline_kernelINS0_14default_configENS1_25partition_config_selectorILNS1_17partition_subalgoE0EtNS0_10empty_typeEbEEZZNS1_14partition_implILS5_0ELb0ES3_jN6thrust23THRUST_200600_302600_NS6detail15normal_iteratorINSA_10device_ptrItEEEEPS6_SG_NS0_5tupleIJSF_SF_EEENSH_IJSG_SG_EEES6_PlJ7is_evenItEEEE10hipError_tPvRmT3_T4_T5_T6_T7_T9_mT8_P12ihipStream_tbDpT10_ENKUlT_T0_E_clISt17integral_constantIbLb0EES16_EEDaS11_S12_EUlS11_E_NS1_11comp_targetILNS1_3genE5ELNS1_11target_archE942ELNS1_3gpuE9ELNS1_3repE0EEENS1_30default_config_static_selectorELNS0_4arch9wavefront6targetE1EEEvT1_: ; @_ZN7rocprim17ROCPRIM_400000_NS6detail17trampoline_kernelINS0_14default_configENS1_25partition_config_selectorILNS1_17partition_subalgoE0EtNS0_10empty_typeEbEEZZNS1_14partition_implILS5_0ELb0ES3_jN6thrust23THRUST_200600_302600_NS6detail15normal_iteratorINSA_10device_ptrItEEEEPS6_SG_NS0_5tupleIJSF_SF_EEENSH_IJSG_SG_EEES6_PlJ7is_evenItEEEE10hipError_tPvRmT3_T4_T5_T6_T7_T9_mT8_P12ihipStream_tbDpT10_ENKUlT_T0_E_clISt17integral_constantIbLb0EES16_EEDaS11_S12_EUlS11_E_NS1_11comp_targetILNS1_3genE5ELNS1_11target_archE942ELNS1_3gpuE9ELNS1_3repE0EEENS1_30default_config_static_selectorELNS0_4arch9wavefront6targetE1EEEvT1_
; %bb.0:
	.section	.rodata,"a",@progbits
	.p2align	6, 0x0
	.amdhsa_kernel _ZN7rocprim17ROCPRIM_400000_NS6detail17trampoline_kernelINS0_14default_configENS1_25partition_config_selectorILNS1_17partition_subalgoE0EtNS0_10empty_typeEbEEZZNS1_14partition_implILS5_0ELb0ES3_jN6thrust23THRUST_200600_302600_NS6detail15normal_iteratorINSA_10device_ptrItEEEEPS6_SG_NS0_5tupleIJSF_SF_EEENSH_IJSG_SG_EEES6_PlJ7is_evenItEEEE10hipError_tPvRmT3_T4_T5_T6_T7_T9_mT8_P12ihipStream_tbDpT10_ENKUlT_T0_E_clISt17integral_constantIbLb0EES16_EEDaS11_S12_EUlS11_E_NS1_11comp_targetILNS1_3genE5ELNS1_11target_archE942ELNS1_3gpuE9ELNS1_3repE0EEENS1_30default_config_static_selectorELNS0_4arch9wavefront6targetE1EEEvT1_
		.amdhsa_group_segment_fixed_size 0
		.amdhsa_private_segment_fixed_size 0
		.amdhsa_kernarg_size 120
		.amdhsa_user_sgpr_count 6
		.amdhsa_user_sgpr_private_segment_buffer 1
		.amdhsa_user_sgpr_dispatch_ptr 0
		.amdhsa_user_sgpr_queue_ptr 0
		.amdhsa_user_sgpr_kernarg_segment_ptr 1
		.amdhsa_user_sgpr_dispatch_id 0
		.amdhsa_user_sgpr_flat_scratch_init 0
		.amdhsa_user_sgpr_kernarg_preload_length 0
		.amdhsa_user_sgpr_kernarg_preload_offset 0
		.amdhsa_user_sgpr_private_segment_size 0
		.amdhsa_uses_dynamic_stack 0
		.amdhsa_system_sgpr_private_segment_wavefront_offset 0
		.amdhsa_system_sgpr_workgroup_id_x 1
		.amdhsa_system_sgpr_workgroup_id_y 0
		.amdhsa_system_sgpr_workgroup_id_z 0
		.amdhsa_system_sgpr_workgroup_info 0
		.amdhsa_system_vgpr_workitem_id 0
		.amdhsa_next_free_vgpr 1
		.amdhsa_next_free_sgpr 0
		.amdhsa_accum_offset 4
		.amdhsa_reserve_vcc 0
		.amdhsa_reserve_flat_scratch 0
		.amdhsa_float_round_mode_32 0
		.amdhsa_float_round_mode_16_64 0
		.amdhsa_float_denorm_mode_32 3
		.amdhsa_float_denorm_mode_16_64 3
		.amdhsa_dx10_clamp 1
		.amdhsa_ieee_mode 1
		.amdhsa_fp16_overflow 0
		.amdhsa_tg_split 0
		.amdhsa_exception_fp_ieee_invalid_op 0
		.amdhsa_exception_fp_denorm_src 0
		.amdhsa_exception_fp_ieee_div_zero 0
		.amdhsa_exception_fp_ieee_overflow 0
		.amdhsa_exception_fp_ieee_underflow 0
		.amdhsa_exception_fp_ieee_inexact 0
		.amdhsa_exception_int_div_zero 0
	.end_amdhsa_kernel
	.section	.text._ZN7rocprim17ROCPRIM_400000_NS6detail17trampoline_kernelINS0_14default_configENS1_25partition_config_selectorILNS1_17partition_subalgoE0EtNS0_10empty_typeEbEEZZNS1_14partition_implILS5_0ELb0ES3_jN6thrust23THRUST_200600_302600_NS6detail15normal_iteratorINSA_10device_ptrItEEEEPS6_SG_NS0_5tupleIJSF_SF_EEENSH_IJSG_SG_EEES6_PlJ7is_evenItEEEE10hipError_tPvRmT3_T4_T5_T6_T7_T9_mT8_P12ihipStream_tbDpT10_ENKUlT_T0_E_clISt17integral_constantIbLb0EES16_EEDaS11_S12_EUlS11_E_NS1_11comp_targetILNS1_3genE5ELNS1_11target_archE942ELNS1_3gpuE9ELNS1_3repE0EEENS1_30default_config_static_selectorELNS0_4arch9wavefront6targetE1EEEvT1_,"axG",@progbits,_ZN7rocprim17ROCPRIM_400000_NS6detail17trampoline_kernelINS0_14default_configENS1_25partition_config_selectorILNS1_17partition_subalgoE0EtNS0_10empty_typeEbEEZZNS1_14partition_implILS5_0ELb0ES3_jN6thrust23THRUST_200600_302600_NS6detail15normal_iteratorINSA_10device_ptrItEEEEPS6_SG_NS0_5tupleIJSF_SF_EEENSH_IJSG_SG_EEES6_PlJ7is_evenItEEEE10hipError_tPvRmT3_T4_T5_T6_T7_T9_mT8_P12ihipStream_tbDpT10_ENKUlT_T0_E_clISt17integral_constantIbLb0EES16_EEDaS11_S12_EUlS11_E_NS1_11comp_targetILNS1_3genE5ELNS1_11target_archE942ELNS1_3gpuE9ELNS1_3repE0EEENS1_30default_config_static_selectorELNS0_4arch9wavefront6targetE1EEEvT1_,comdat
.Lfunc_end2171:
	.size	_ZN7rocprim17ROCPRIM_400000_NS6detail17trampoline_kernelINS0_14default_configENS1_25partition_config_selectorILNS1_17partition_subalgoE0EtNS0_10empty_typeEbEEZZNS1_14partition_implILS5_0ELb0ES3_jN6thrust23THRUST_200600_302600_NS6detail15normal_iteratorINSA_10device_ptrItEEEEPS6_SG_NS0_5tupleIJSF_SF_EEENSH_IJSG_SG_EEES6_PlJ7is_evenItEEEE10hipError_tPvRmT3_T4_T5_T6_T7_T9_mT8_P12ihipStream_tbDpT10_ENKUlT_T0_E_clISt17integral_constantIbLb0EES16_EEDaS11_S12_EUlS11_E_NS1_11comp_targetILNS1_3genE5ELNS1_11target_archE942ELNS1_3gpuE9ELNS1_3repE0EEENS1_30default_config_static_selectorELNS0_4arch9wavefront6targetE1EEEvT1_, .Lfunc_end2171-_ZN7rocprim17ROCPRIM_400000_NS6detail17trampoline_kernelINS0_14default_configENS1_25partition_config_selectorILNS1_17partition_subalgoE0EtNS0_10empty_typeEbEEZZNS1_14partition_implILS5_0ELb0ES3_jN6thrust23THRUST_200600_302600_NS6detail15normal_iteratorINSA_10device_ptrItEEEEPS6_SG_NS0_5tupleIJSF_SF_EEENSH_IJSG_SG_EEES6_PlJ7is_evenItEEEE10hipError_tPvRmT3_T4_T5_T6_T7_T9_mT8_P12ihipStream_tbDpT10_ENKUlT_T0_E_clISt17integral_constantIbLb0EES16_EEDaS11_S12_EUlS11_E_NS1_11comp_targetILNS1_3genE5ELNS1_11target_archE942ELNS1_3gpuE9ELNS1_3repE0EEENS1_30default_config_static_selectorELNS0_4arch9wavefront6targetE1EEEvT1_
                                        ; -- End function
	.section	.AMDGPU.csdata,"",@progbits
; Kernel info:
; codeLenInByte = 0
; NumSgprs: 4
; NumVgprs: 0
; NumAgprs: 0
; TotalNumVgprs: 0
; ScratchSize: 0
; MemoryBound: 0
; FloatMode: 240
; IeeeMode: 1
; LDSByteSize: 0 bytes/workgroup (compile time only)
; SGPRBlocks: 0
; VGPRBlocks: 0
; NumSGPRsForWavesPerEU: 4
; NumVGPRsForWavesPerEU: 1
; AccumOffset: 4
; Occupancy: 8
; WaveLimiterHint : 0
; COMPUTE_PGM_RSRC2:SCRATCH_EN: 0
; COMPUTE_PGM_RSRC2:USER_SGPR: 6
; COMPUTE_PGM_RSRC2:TRAP_HANDLER: 0
; COMPUTE_PGM_RSRC2:TGID_X_EN: 1
; COMPUTE_PGM_RSRC2:TGID_Y_EN: 0
; COMPUTE_PGM_RSRC2:TGID_Z_EN: 0
; COMPUTE_PGM_RSRC2:TIDIG_COMP_CNT: 0
; COMPUTE_PGM_RSRC3_GFX90A:ACCUM_OFFSET: 0
; COMPUTE_PGM_RSRC3_GFX90A:TG_SPLIT: 0
	.section	.text._ZN7rocprim17ROCPRIM_400000_NS6detail17trampoline_kernelINS0_14default_configENS1_25partition_config_selectorILNS1_17partition_subalgoE0EtNS0_10empty_typeEbEEZZNS1_14partition_implILS5_0ELb0ES3_jN6thrust23THRUST_200600_302600_NS6detail15normal_iteratorINSA_10device_ptrItEEEEPS6_SG_NS0_5tupleIJSF_SF_EEENSH_IJSG_SG_EEES6_PlJ7is_evenItEEEE10hipError_tPvRmT3_T4_T5_T6_T7_T9_mT8_P12ihipStream_tbDpT10_ENKUlT_T0_E_clISt17integral_constantIbLb0EES16_EEDaS11_S12_EUlS11_E_NS1_11comp_targetILNS1_3genE4ELNS1_11target_archE910ELNS1_3gpuE8ELNS1_3repE0EEENS1_30default_config_static_selectorELNS0_4arch9wavefront6targetE1EEEvT1_,"axG",@progbits,_ZN7rocprim17ROCPRIM_400000_NS6detail17trampoline_kernelINS0_14default_configENS1_25partition_config_selectorILNS1_17partition_subalgoE0EtNS0_10empty_typeEbEEZZNS1_14partition_implILS5_0ELb0ES3_jN6thrust23THRUST_200600_302600_NS6detail15normal_iteratorINSA_10device_ptrItEEEEPS6_SG_NS0_5tupleIJSF_SF_EEENSH_IJSG_SG_EEES6_PlJ7is_evenItEEEE10hipError_tPvRmT3_T4_T5_T6_T7_T9_mT8_P12ihipStream_tbDpT10_ENKUlT_T0_E_clISt17integral_constantIbLb0EES16_EEDaS11_S12_EUlS11_E_NS1_11comp_targetILNS1_3genE4ELNS1_11target_archE910ELNS1_3gpuE8ELNS1_3repE0EEENS1_30default_config_static_selectorELNS0_4arch9wavefront6targetE1EEEvT1_,comdat
	.protected	_ZN7rocprim17ROCPRIM_400000_NS6detail17trampoline_kernelINS0_14default_configENS1_25partition_config_selectorILNS1_17partition_subalgoE0EtNS0_10empty_typeEbEEZZNS1_14partition_implILS5_0ELb0ES3_jN6thrust23THRUST_200600_302600_NS6detail15normal_iteratorINSA_10device_ptrItEEEEPS6_SG_NS0_5tupleIJSF_SF_EEENSH_IJSG_SG_EEES6_PlJ7is_evenItEEEE10hipError_tPvRmT3_T4_T5_T6_T7_T9_mT8_P12ihipStream_tbDpT10_ENKUlT_T0_E_clISt17integral_constantIbLb0EES16_EEDaS11_S12_EUlS11_E_NS1_11comp_targetILNS1_3genE4ELNS1_11target_archE910ELNS1_3gpuE8ELNS1_3repE0EEENS1_30default_config_static_selectorELNS0_4arch9wavefront6targetE1EEEvT1_ ; -- Begin function _ZN7rocprim17ROCPRIM_400000_NS6detail17trampoline_kernelINS0_14default_configENS1_25partition_config_selectorILNS1_17partition_subalgoE0EtNS0_10empty_typeEbEEZZNS1_14partition_implILS5_0ELb0ES3_jN6thrust23THRUST_200600_302600_NS6detail15normal_iteratorINSA_10device_ptrItEEEEPS6_SG_NS0_5tupleIJSF_SF_EEENSH_IJSG_SG_EEES6_PlJ7is_evenItEEEE10hipError_tPvRmT3_T4_T5_T6_T7_T9_mT8_P12ihipStream_tbDpT10_ENKUlT_T0_E_clISt17integral_constantIbLb0EES16_EEDaS11_S12_EUlS11_E_NS1_11comp_targetILNS1_3genE4ELNS1_11target_archE910ELNS1_3gpuE8ELNS1_3repE0EEENS1_30default_config_static_selectorELNS0_4arch9wavefront6targetE1EEEvT1_
	.globl	_ZN7rocprim17ROCPRIM_400000_NS6detail17trampoline_kernelINS0_14default_configENS1_25partition_config_selectorILNS1_17partition_subalgoE0EtNS0_10empty_typeEbEEZZNS1_14partition_implILS5_0ELb0ES3_jN6thrust23THRUST_200600_302600_NS6detail15normal_iteratorINSA_10device_ptrItEEEEPS6_SG_NS0_5tupleIJSF_SF_EEENSH_IJSG_SG_EEES6_PlJ7is_evenItEEEE10hipError_tPvRmT3_T4_T5_T6_T7_T9_mT8_P12ihipStream_tbDpT10_ENKUlT_T0_E_clISt17integral_constantIbLb0EES16_EEDaS11_S12_EUlS11_E_NS1_11comp_targetILNS1_3genE4ELNS1_11target_archE910ELNS1_3gpuE8ELNS1_3repE0EEENS1_30default_config_static_selectorELNS0_4arch9wavefront6targetE1EEEvT1_
	.p2align	8
	.type	_ZN7rocprim17ROCPRIM_400000_NS6detail17trampoline_kernelINS0_14default_configENS1_25partition_config_selectorILNS1_17partition_subalgoE0EtNS0_10empty_typeEbEEZZNS1_14partition_implILS5_0ELb0ES3_jN6thrust23THRUST_200600_302600_NS6detail15normal_iteratorINSA_10device_ptrItEEEEPS6_SG_NS0_5tupleIJSF_SF_EEENSH_IJSG_SG_EEES6_PlJ7is_evenItEEEE10hipError_tPvRmT3_T4_T5_T6_T7_T9_mT8_P12ihipStream_tbDpT10_ENKUlT_T0_E_clISt17integral_constantIbLb0EES16_EEDaS11_S12_EUlS11_E_NS1_11comp_targetILNS1_3genE4ELNS1_11target_archE910ELNS1_3gpuE8ELNS1_3repE0EEENS1_30default_config_static_selectorELNS0_4arch9wavefront6targetE1EEEvT1_,@function
_ZN7rocprim17ROCPRIM_400000_NS6detail17trampoline_kernelINS0_14default_configENS1_25partition_config_selectorILNS1_17partition_subalgoE0EtNS0_10empty_typeEbEEZZNS1_14partition_implILS5_0ELb0ES3_jN6thrust23THRUST_200600_302600_NS6detail15normal_iteratorINSA_10device_ptrItEEEEPS6_SG_NS0_5tupleIJSF_SF_EEENSH_IJSG_SG_EEES6_PlJ7is_evenItEEEE10hipError_tPvRmT3_T4_T5_T6_T7_T9_mT8_P12ihipStream_tbDpT10_ENKUlT_T0_E_clISt17integral_constantIbLb0EES16_EEDaS11_S12_EUlS11_E_NS1_11comp_targetILNS1_3genE4ELNS1_11target_archE910ELNS1_3gpuE8ELNS1_3repE0EEENS1_30default_config_static_selectorELNS0_4arch9wavefront6targetE1EEEvT1_: ; @_ZN7rocprim17ROCPRIM_400000_NS6detail17trampoline_kernelINS0_14default_configENS1_25partition_config_selectorILNS1_17partition_subalgoE0EtNS0_10empty_typeEbEEZZNS1_14partition_implILS5_0ELb0ES3_jN6thrust23THRUST_200600_302600_NS6detail15normal_iteratorINSA_10device_ptrItEEEEPS6_SG_NS0_5tupleIJSF_SF_EEENSH_IJSG_SG_EEES6_PlJ7is_evenItEEEE10hipError_tPvRmT3_T4_T5_T6_T7_T9_mT8_P12ihipStream_tbDpT10_ENKUlT_T0_E_clISt17integral_constantIbLb0EES16_EEDaS11_S12_EUlS11_E_NS1_11comp_targetILNS1_3genE4ELNS1_11target_archE910ELNS1_3gpuE8ELNS1_3repE0EEENS1_30default_config_static_selectorELNS0_4arch9wavefront6targetE1EEEvT1_
; %bb.0:
	s_load_dwordx2 s[0:1], s[4:5], 0x58
	s_load_dwordx4 s[20:23], s[4:5], 0x8
	s_load_dwordx4 s[24:27], s[4:5], 0x48
	s_load_dword s7, s[4:5], 0x70
	s_mul_i32 s8, s6, 0x1c00
	s_waitcnt lgkmcnt(0)
	v_mov_b32_e32 v3, s1
	s_lshl_b64 s[2:3], s[22:23], 1
	s_add_u32 s10, s20, s2
	s_mul_i32 s1, s7, 0x1c00
	s_addc_u32 s11, s21, s3
	s_add_i32 s3, s1, s22
	s_sub_i32 s33, s0, s3
	s_add_i32 s2, s7, -1
	s_addk_i32 s33, 0x1c00
	v_mov_b32_e32 v2, s0
	s_add_u32 s0, s22, s1
	s_addc_u32 s1, s23, 0
	s_cmp_eq_u32 s6, s2
	s_load_dwordx2 s[30:31], s[26:27], 0x0
	s_cselect_b64 s[26:27], -1, 0
	s_cmp_lg_u32 s6, s2
	s_mov_b32 s9, 0
	v_cmp_lt_u64_e32 vcc, s[0:1], v[2:3]
	s_cselect_b64 s[0:1], -1, 0
	s_or_b64 s[2:3], s[0:1], vcc
	s_lshl_b64 s[28:29], s[8:9], 1
	s_add_u32 s7, s10, s28
	s_addc_u32 s10, s11, s29
	s_mov_b64 s[0:1], -1
	s_and_b64 vcc, exec, s[2:3]
	v_lshlrev_b32_e32 v1, 1, v0
	s_cbranch_vccz .LBB2172_2
; %bb.1:
	v_mov_b32_e32 v3, s10
	v_add_co_u32_e32 v2, vcc, s7, v1
	v_addc_co_u32_e32 v3, vcc, 0, v3, vcc
	v_add_co_u32_e32 v4, vcc, 0x1000, v2
	v_addc_co_u32_e32 v5, vcc, 0, v3, vcc
	flat_load_ushort v6, v[2:3]
	flat_load_ushort v7, v[2:3] offset:512
	flat_load_ushort v8, v[2:3] offset:1024
	;; [unrolled: 1-line block ×7, first 2 shown]
	flat_load_ushort v14, v[4:5]
	flat_load_ushort v15, v[4:5] offset:512
	flat_load_ushort v16, v[4:5] offset:1024
	flat_load_ushort v17, v[4:5] offset:1536
	flat_load_ushort v18, v[4:5] offset:2048
	flat_load_ushort v19, v[4:5] offset:2560
	flat_load_ushort v20, v[4:5] offset:3072
	flat_load_ushort v21, v[4:5] offset:3584
	v_add_co_u32_e32 v4, vcc, 0x2000, v2
	v_addc_co_u32_e32 v5, vcc, 0, v3, vcc
	v_add_co_u32_e32 v2, vcc, 0x3000, v2
	v_addc_co_u32_e32 v3, vcc, 0, v3, vcc
	flat_load_ushort v22, v[4:5]
	flat_load_ushort v23, v[4:5] offset:512
	flat_load_ushort v24, v[4:5] offset:1024
	;; [unrolled: 1-line block ×7, first 2 shown]
	s_nop 0
	flat_load_ushort v4, v[2:3]
	flat_load_ushort v5, v[2:3] offset:512
	flat_load_ushort v30, v[2:3] offset:1024
	;; [unrolled: 1-line block ×3, first 2 shown]
	s_mov_b64 s[0:1], 0
	s_waitcnt vmcnt(0) lgkmcnt(0)
	ds_write_b16 v1, v6
	ds_write_b16 v1, v7 offset:512
	ds_write_b16 v1, v8 offset:1024
	;; [unrolled: 1-line block ×27, first 2 shown]
	s_waitcnt lgkmcnt(0)
	s_barrier
.LBB2172_2:
	s_andn2_b64 vcc, exec, s[0:1]
	v_cmp_gt_u32_e64 s[0:1], s33, v0
	s_cbranch_vccnz .LBB2172_60
; %bb.3:
                                        ; implicit-def: $vgpr2
	s_and_saveexec_b64 s[8:9], s[0:1]
	s_cbranch_execz .LBB2172_5
; %bb.4:
	v_mov_b32_e32 v3, s10
	v_add_co_u32_e32 v2, vcc, s7, v1
	v_addc_co_u32_e32 v3, vcc, 0, v3, vcc
	flat_load_ushort v2, v[2:3]
.LBB2172_5:
	s_or_b64 exec, exec, s[8:9]
	v_or_b32_e32 v3, 0x100, v0
	v_cmp_gt_u32_e32 vcc, s33, v3
                                        ; implicit-def: $vgpr3
	s_and_saveexec_b64 s[0:1], vcc
	s_cbranch_execz .LBB2172_7
; %bb.6:
	v_mov_b32_e32 v3, s10
	v_add_co_u32_e32 v4, vcc, s7, v1
	v_addc_co_u32_e32 v5, vcc, 0, v3, vcc
	flat_load_ushort v3, v[4:5] offset:512
.LBB2172_7:
	s_or_b64 exec, exec, s[0:1]
	v_or_b32_e32 v4, 0x200, v0
	v_cmp_gt_u32_e32 vcc, s33, v4
                                        ; implicit-def: $vgpr4
	s_and_saveexec_b64 s[0:1], vcc
	s_cbranch_execz .LBB2172_9
; %bb.8:
	v_mov_b32_e32 v5, s10
	v_add_co_u32_e32 v4, vcc, s7, v1
	v_addc_co_u32_e32 v5, vcc, 0, v5, vcc
	flat_load_ushort v4, v[4:5] offset:1024
.LBB2172_9:
	s_or_b64 exec, exec, s[0:1]
	v_or_b32_e32 v5, 0x300, v0
	v_cmp_gt_u32_e32 vcc, s33, v5
                                        ; implicit-def: $vgpr5
	s_and_saveexec_b64 s[0:1], vcc
	s_cbranch_execz .LBB2172_11
; %bb.10:
	v_mov_b32_e32 v5, s10
	v_add_co_u32_e32 v6, vcc, s7, v1
	v_addc_co_u32_e32 v7, vcc, 0, v5, vcc
	flat_load_ushort v5, v[6:7] offset:1536
.LBB2172_11:
	s_or_b64 exec, exec, s[0:1]
	v_or_b32_e32 v6, 0x400, v0
	v_cmp_gt_u32_e32 vcc, s33, v6
                                        ; implicit-def: $vgpr6
	s_and_saveexec_b64 s[0:1], vcc
	s_cbranch_execz .LBB2172_13
; %bb.12:
	v_mov_b32_e32 v7, s10
	v_add_co_u32_e32 v6, vcc, s7, v1
	v_addc_co_u32_e32 v7, vcc, 0, v7, vcc
	flat_load_ushort v6, v[6:7] offset:2048
.LBB2172_13:
	s_or_b64 exec, exec, s[0:1]
	v_or_b32_e32 v7, 0x500, v0
	v_cmp_gt_u32_e32 vcc, s33, v7
                                        ; implicit-def: $vgpr7
	s_and_saveexec_b64 s[0:1], vcc
	s_cbranch_execz .LBB2172_15
; %bb.14:
	v_mov_b32_e32 v7, s10
	v_add_co_u32_e32 v8, vcc, s7, v1
	v_addc_co_u32_e32 v9, vcc, 0, v7, vcc
	flat_load_ushort v7, v[8:9] offset:2560
.LBB2172_15:
	s_or_b64 exec, exec, s[0:1]
	v_or_b32_e32 v8, 0x600, v0
	v_cmp_gt_u32_e32 vcc, s33, v8
                                        ; implicit-def: $vgpr8
	s_and_saveexec_b64 s[0:1], vcc
	s_cbranch_execz .LBB2172_17
; %bb.16:
	v_mov_b32_e32 v9, s10
	v_add_co_u32_e32 v8, vcc, s7, v1
	v_addc_co_u32_e32 v9, vcc, 0, v9, vcc
	flat_load_ushort v8, v[8:9] offset:3072
.LBB2172_17:
	s_or_b64 exec, exec, s[0:1]
	v_or_b32_e32 v9, 0x700, v0
	v_cmp_gt_u32_e32 vcc, s33, v9
                                        ; implicit-def: $vgpr9
	s_and_saveexec_b64 s[0:1], vcc
	s_cbranch_execz .LBB2172_19
; %bb.18:
	v_mov_b32_e32 v9, s10
	v_add_co_u32_e32 v10, vcc, s7, v1
	v_addc_co_u32_e32 v11, vcc, 0, v9, vcc
	flat_load_ushort v9, v[10:11] offset:3584
.LBB2172_19:
	s_or_b64 exec, exec, s[0:1]
	v_or_b32_e32 v11, 0x800, v0
	v_cmp_gt_u32_e32 vcc, s33, v11
                                        ; implicit-def: $vgpr10
	s_and_saveexec_b64 s[0:1], vcc
	s_cbranch_execz .LBB2172_21
; %bb.20:
	v_lshlrev_b32_e32 v10, 1, v11
	v_mov_b32_e32 v11, s10
	v_add_co_u32_e32 v10, vcc, s7, v10
	v_addc_co_u32_e32 v11, vcc, 0, v11, vcc
	flat_load_ushort v10, v[10:11]
.LBB2172_21:
	s_or_b64 exec, exec, s[0:1]
	v_or_b32_e32 v12, 0x900, v0
	v_cmp_gt_u32_e32 vcc, s33, v12
                                        ; implicit-def: $vgpr11
	s_and_saveexec_b64 s[0:1], vcc
	s_cbranch_execz .LBB2172_23
; %bb.22:
	v_lshlrev_b32_e32 v11, 1, v12
	v_mov_b32_e32 v13, s10
	v_add_co_u32_e32 v12, vcc, s7, v11
	v_addc_co_u32_e32 v13, vcc, 0, v13, vcc
	flat_load_ushort v11, v[12:13]
.LBB2172_23:
	s_or_b64 exec, exec, s[0:1]
	v_or_b32_e32 v13, 0xa00, v0
	v_cmp_gt_u32_e32 vcc, s33, v13
                                        ; implicit-def: $vgpr12
	s_and_saveexec_b64 s[0:1], vcc
	s_cbranch_execz .LBB2172_25
; %bb.24:
	v_lshlrev_b32_e32 v12, 1, v13
	v_mov_b32_e32 v13, s10
	v_add_co_u32_e32 v12, vcc, s7, v12
	v_addc_co_u32_e32 v13, vcc, 0, v13, vcc
	flat_load_ushort v12, v[12:13]
.LBB2172_25:
	s_or_b64 exec, exec, s[0:1]
	v_or_b32_e32 v14, 0xb00, v0
	v_cmp_gt_u32_e32 vcc, s33, v14
                                        ; implicit-def: $vgpr13
	s_and_saveexec_b64 s[0:1], vcc
	s_cbranch_execz .LBB2172_27
; %bb.26:
	v_lshlrev_b32_e32 v13, 1, v14
	v_mov_b32_e32 v15, s10
	v_add_co_u32_e32 v14, vcc, s7, v13
	v_addc_co_u32_e32 v15, vcc, 0, v15, vcc
	flat_load_ushort v13, v[14:15]
.LBB2172_27:
	s_or_b64 exec, exec, s[0:1]
	v_or_b32_e32 v15, 0xc00, v0
	v_cmp_gt_u32_e32 vcc, s33, v15
                                        ; implicit-def: $vgpr14
	s_and_saveexec_b64 s[0:1], vcc
	s_cbranch_execz .LBB2172_29
; %bb.28:
	v_lshlrev_b32_e32 v14, 1, v15
	v_mov_b32_e32 v15, s10
	v_add_co_u32_e32 v14, vcc, s7, v14
	v_addc_co_u32_e32 v15, vcc, 0, v15, vcc
	flat_load_ushort v14, v[14:15]
.LBB2172_29:
	s_or_b64 exec, exec, s[0:1]
	v_or_b32_e32 v16, 0xd00, v0
	v_cmp_gt_u32_e32 vcc, s33, v16
                                        ; implicit-def: $vgpr15
	s_and_saveexec_b64 s[0:1], vcc
	s_cbranch_execz .LBB2172_31
; %bb.30:
	v_lshlrev_b32_e32 v15, 1, v16
	v_mov_b32_e32 v17, s10
	v_add_co_u32_e32 v16, vcc, s7, v15
	v_addc_co_u32_e32 v17, vcc, 0, v17, vcc
	flat_load_ushort v15, v[16:17]
.LBB2172_31:
	s_or_b64 exec, exec, s[0:1]
	v_or_b32_e32 v17, 0xe00, v0
	v_cmp_gt_u32_e32 vcc, s33, v17
                                        ; implicit-def: $vgpr16
	s_and_saveexec_b64 s[0:1], vcc
	s_cbranch_execz .LBB2172_33
; %bb.32:
	v_lshlrev_b32_e32 v16, 1, v17
	v_mov_b32_e32 v17, s10
	v_add_co_u32_e32 v16, vcc, s7, v16
	v_addc_co_u32_e32 v17, vcc, 0, v17, vcc
	flat_load_ushort v16, v[16:17]
.LBB2172_33:
	s_or_b64 exec, exec, s[0:1]
	v_or_b32_e32 v18, 0xf00, v0
	v_cmp_gt_u32_e32 vcc, s33, v18
                                        ; implicit-def: $vgpr17
	s_and_saveexec_b64 s[0:1], vcc
	s_cbranch_execz .LBB2172_35
; %bb.34:
	v_lshlrev_b32_e32 v17, 1, v18
	v_mov_b32_e32 v19, s10
	v_add_co_u32_e32 v18, vcc, s7, v17
	v_addc_co_u32_e32 v19, vcc, 0, v19, vcc
	flat_load_ushort v17, v[18:19]
.LBB2172_35:
	s_or_b64 exec, exec, s[0:1]
	v_or_b32_e32 v19, 0x1000, v0
	v_cmp_gt_u32_e32 vcc, s33, v19
                                        ; implicit-def: $vgpr18
	s_and_saveexec_b64 s[0:1], vcc
	s_cbranch_execz .LBB2172_37
; %bb.36:
	v_lshlrev_b32_e32 v18, 1, v19
	v_mov_b32_e32 v19, s10
	v_add_co_u32_e32 v18, vcc, s7, v18
	v_addc_co_u32_e32 v19, vcc, 0, v19, vcc
	flat_load_ushort v18, v[18:19]
.LBB2172_37:
	s_or_b64 exec, exec, s[0:1]
	v_or_b32_e32 v20, 0x1100, v0
	v_cmp_gt_u32_e32 vcc, s33, v20
                                        ; implicit-def: $vgpr19
	s_and_saveexec_b64 s[0:1], vcc
	s_cbranch_execz .LBB2172_39
; %bb.38:
	v_lshlrev_b32_e32 v19, 1, v20
	v_mov_b32_e32 v21, s10
	v_add_co_u32_e32 v20, vcc, s7, v19
	v_addc_co_u32_e32 v21, vcc, 0, v21, vcc
	flat_load_ushort v19, v[20:21]
.LBB2172_39:
	s_or_b64 exec, exec, s[0:1]
	v_or_b32_e32 v21, 0x1200, v0
	v_cmp_gt_u32_e32 vcc, s33, v21
                                        ; implicit-def: $vgpr20
	s_and_saveexec_b64 s[0:1], vcc
	s_cbranch_execz .LBB2172_41
; %bb.40:
	v_lshlrev_b32_e32 v20, 1, v21
	v_mov_b32_e32 v21, s10
	v_add_co_u32_e32 v20, vcc, s7, v20
	v_addc_co_u32_e32 v21, vcc, 0, v21, vcc
	flat_load_ushort v20, v[20:21]
.LBB2172_41:
	s_or_b64 exec, exec, s[0:1]
	v_or_b32_e32 v22, 0x1300, v0
	v_cmp_gt_u32_e32 vcc, s33, v22
                                        ; implicit-def: $vgpr21
	s_and_saveexec_b64 s[0:1], vcc
	s_cbranch_execz .LBB2172_43
; %bb.42:
	v_lshlrev_b32_e32 v21, 1, v22
	v_mov_b32_e32 v23, s10
	v_add_co_u32_e32 v22, vcc, s7, v21
	v_addc_co_u32_e32 v23, vcc, 0, v23, vcc
	flat_load_ushort v21, v[22:23]
.LBB2172_43:
	s_or_b64 exec, exec, s[0:1]
	v_or_b32_e32 v23, 0x1400, v0
	v_cmp_gt_u32_e32 vcc, s33, v23
                                        ; implicit-def: $vgpr22
	s_and_saveexec_b64 s[0:1], vcc
	s_cbranch_execz .LBB2172_45
; %bb.44:
	v_lshlrev_b32_e32 v22, 1, v23
	v_mov_b32_e32 v23, s10
	v_add_co_u32_e32 v22, vcc, s7, v22
	v_addc_co_u32_e32 v23, vcc, 0, v23, vcc
	flat_load_ushort v22, v[22:23]
.LBB2172_45:
	s_or_b64 exec, exec, s[0:1]
	v_or_b32_e32 v24, 0x1500, v0
	v_cmp_gt_u32_e32 vcc, s33, v24
                                        ; implicit-def: $vgpr23
	s_and_saveexec_b64 s[0:1], vcc
	s_cbranch_execz .LBB2172_47
; %bb.46:
	v_lshlrev_b32_e32 v23, 1, v24
	v_mov_b32_e32 v25, s10
	v_add_co_u32_e32 v24, vcc, s7, v23
	v_addc_co_u32_e32 v25, vcc, 0, v25, vcc
	flat_load_ushort v23, v[24:25]
.LBB2172_47:
	s_or_b64 exec, exec, s[0:1]
	v_or_b32_e32 v25, 0x1600, v0
	v_cmp_gt_u32_e32 vcc, s33, v25
                                        ; implicit-def: $vgpr24
	s_and_saveexec_b64 s[0:1], vcc
	s_cbranch_execz .LBB2172_49
; %bb.48:
	v_lshlrev_b32_e32 v24, 1, v25
	v_mov_b32_e32 v25, s10
	v_add_co_u32_e32 v24, vcc, s7, v24
	v_addc_co_u32_e32 v25, vcc, 0, v25, vcc
	flat_load_ushort v24, v[24:25]
.LBB2172_49:
	s_or_b64 exec, exec, s[0:1]
	v_or_b32_e32 v26, 0x1700, v0
	v_cmp_gt_u32_e32 vcc, s33, v26
                                        ; implicit-def: $vgpr25
	s_and_saveexec_b64 s[0:1], vcc
	s_cbranch_execz .LBB2172_51
; %bb.50:
	v_lshlrev_b32_e32 v25, 1, v26
	v_mov_b32_e32 v27, s10
	v_add_co_u32_e32 v26, vcc, s7, v25
	v_addc_co_u32_e32 v27, vcc, 0, v27, vcc
	flat_load_ushort v25, v[26:27]
.LBB2172_51:
	s_or_b64 exec, exec, s[0:1]
	v_or_b32_e32 v27, 0x1800, v0
	v_cmp_gt_u32_e32 vcc, s33, v27
                                        ; implicit-def: $vgpr26
	s_and_saveexec_b64 s[0:1], vcc
	s_cbranch_execz .LBB2172_53
; %bb.52:
	v_lshlrev_b32_e32 v26, 1, v27
	v_mov_b32_e32 v27, s10
	v_add_co_u32_e32 v26, vcc, s7, v26
	v_addc_co_u32_e32 v27, vcc, 0, v27, vcc
	flat_load_ushort v26, v[26:27]
.LBB2172_53:
	s_or_b64 exec, exec, s[0:1]
	v_or_b32_e32 v28, 0x1900, v0
	v_cmp_gt_u32_e32 vcc, s33, v28
                                        ; implicit-def: $vgpr27
	s_and_saveexec_b64 s[0:1], vcc
	s_cbranch_execz .LBB2172_55
; %bb.54:
	v_lshlrev_b32_e32 v27, 1, v28
	v_mov_b32_e32 v29, s10
	v_add_co_u32_e32 v28, vcc, s7, v27
	v_addc_co_u32_e32 v29, vcc, 0, v29, vcc
	flat_load_ushort v27, v[28:29]
.LBB2172_55:
	s_or_b64 exec, exec, s[0:1]
	v_or_b32_e32 v29, 0x1a00, v0
	v_cmp_gt_u32_e32 vcc, s33, v29
                                        ; implicit-def: $vgpr28
	s_and_saveexec_b64 s[0:1], vcc
	s_cbranch_execz .LBB2172_57
; %bb.56:
	v_lshlrev_b32_e32 v28, 1, v29
	v_mov_b32_e32 v29, s10
	v_add_co_u32_e32 v28, vcc, s7, v28
	v_addc_co_u32_e32 v29, vcc, 0, v29, vcc
	flat_load_ushort v28, v[28:29]
.LBB2172_57:
	s_or_b64 exec, exec, s[0:1]
	v_or_b32_e32 v30, 0x1b00, v0
	v_cmp_gt_u32_e32 vcc, s33, v30
                                        ; implicit-def: $vgpr29
	s_and_saveexec_b64 s[0:1], vcc
	s_cbranch_execz .LBB2172_59
; %bb.58:
	v_lshlrev_b32_e32 v29, 1, v30
	v_mov_b32_e32 v31, s10
	v_add_co_u32_e32 v30, vcc, s7, v29
	v_addc_co_u32_e32 v31, vcc, 0, v31, vcc
	flat_load_ushort v29, v[30:31]
.LBB2172_59:
	s_or_b64 exec, exec, s[0:1]
	s_waitcnt vmcnt(0) lgkmcnt(0)
	ds_write_b16 v1, v2
	ds_write_b16 v1, v3 offset:512
	ds_write_b16 v1, v4 offset:1024
	;; [unrolled: 1-line block ×27, first 2 shown]
	s_waitcnt lgkmcnt(0)
	s_barrier
.LBB2172_60:
	v_mul_u32_u24_e32 v39, 28, v0
	v_lshlrev_b32_e32 v6, 1, v39
	s_waitcnt lgkmcnt(0)
	ds_read_b64 v[14:15], v6 offset:48
	ds_read2_b64 v[2:5], v6 offset0:4 offset1:5
	ds_read2_b64 v[10:13], v6 offset1:1
	ds_read2_b64 v[6:9], v6 offset0:2 offset1:3
	v_cndmask_b32_e64 v16, 0, 1, s[2:3]
	s_waitcnt lgkmcnt(3)
	v_lshrrev_b32_e32 v27, 16, v14
	v_lshrrev_b32_e32 v26, 16, v15
	s_waitcnt lgkmcnt(2)
	v_lshrrev_b32_e32 v31, 16, v2
	v_lshrrev_b32_e32 v30, 16, v3
	v_lshrrev_b32_e32 v29, 16, v4
	v_lshrrev_b32_e32 v28, 16, v5
	s_waitcnt lgkmcnt(1)
	v_lshrrev_b32_e32 v40, 16, v10
	v_lshrrev_b32_e32 v38, 16, v11
	v_lshrrev_b32_e32 v37, 16, v12
	v_lshrrev_b32_e32 v36, 16, v13
	s_waitcnt lgkmcnt(0)
	v_lshrrev_b32_e32 v35, 16, v6
	v_lshrrev_b32_e32 v34, 16, v7
	v_lshrrev_b32_e32 v33, 16, v8
	v_lshrrev_b32_e32 v32, 16, v9
	v_cmp_ne_u32_e64 s[0:1], 1, v16
	s_andn2_b64 vcc, exec, s[2:3]
	v_xor_b32_e32 v86, -1, v10
	v_xor_b32_e32 v85, -1, v40
	v_xor_b32_e32 v84, -1, v11
	v_xor_b32_e32 v83, -1, v38
	v_xor_b32_e32 v82, -1, v12
	v_xor_b32_e32 v81, -1, v37
	v_xor_b32_e32 v80, -1, v13
	v_xor_b32_e32 v79, -1, v36
	v_xor_b32_e32 v78, -1, v6
	v_xor_b32_e32 v77, -1, v35
	v_xor_b32_e32 v76, -1, v7
	v_xor_b32_e32 v75, -1, v34
	v_xor_b32_e32 v74, -1, v8
	v_xor_b32_e32 v73, -1, v33
	v_xor_b32_e32 v72, -1, v9
	v_xor_b32_e32 v71, -1, v32
	v_xor_b32_e32 v70, -1, v2
	v_xor_b32_e32 v69, -1, v31
	v_xor_b32_e32 v25, -1, v3
	v_xor_b32_e32 v24, -1, v30
	v_xor_b32_e32 v23, -1, v4
	v_xor_b32_e32 v22, -1, v29
	v_xor_b32_e32 v21, -1, v5
	v_xor_b32_e32 v20, -1, v28
	v_xor_b32_e32 v19, -1, v14
	v_xor_b32_e32 v18, -1, v27
	v_xor_b32_e32 v17, -1, v15
	v_xor_b32_e32 v16, -1, v26
	s_barrier
	s_cbranch_vccnz .LBB2172_62
; %bb.61:
	v_and_b32_e32 v68, 1, v86
	v_and_b32_e32 v67, 1, v85
	;; [unrolled: 1-line block ×28, first 2 shown]
	s_load_dwordx2 s[34:35], s[4:5], 0x68
	s_cbranch_execz .LBB2172_63
	s_branch .LBB2172_64
.LBB2172_62:
                                        ; implicit-def: $vgpr68
                                        ; implicit-def: $vgpr67
                                        ; implicit-def: $vgpr66
                                        ; implicit-def: $vgpr65
                                        ; implicit-def: $vgpr64
                                        ; implicit-def: $vgpr63
                                        ; implicit-def: $vgpr62
                                        ; implicit-def: $vgpr61
                                        ; implicit-def: $vgpr60
                                        ; implicit-def: $vgpr59
                                        ; implicit-def: $vgpr58
                                        ; implicit-def: $vgpr57
                                        ; implicit-def: $vgpr56
                                        ; implicit-def: $vgpr55
                                        ; implicit-def: $vgpr54
                                        ; implicit-def: $vgpr53
                                        ; implicit-def: $vgpr52
                                        ; implicit-def: $vgpr51
                                        ; implicit-def: $vgpr50
                                        ; implicit-def: $vgpr49
                                        ; implicit-def: $vgpr48
                                        ; implicit-def: $vgpr47
                                        ; implicit-def: $vgpr46
                                        ; implicit-def: $vgpr45
                                        ; implicit-def: $vgpr44
                                        ; implicit-def: $vgpr43
                                        ; implicit-def: $vgpr41
                                        ; implicit-def: $vgpr42
	s_load_dwordx2 s[34:35], s[4:5], 0x68
.LBB2172_63:
	v_or_b32_e32 v50, 1, v39
	v_cmp_gt_u32_e32 vcc, s33, v39
	v_or_b32_e32 v51, 2, v39
	v_cndmask_b32_e64 v59, 0, 1, vcc
	v_cmp_gt_u32_e32 vcc, s33, v50
	v_or_b32_e32 v52, 3, v39
	v_cndmask_b32_e64 v50, 0, 1, vcc
	v_cmp_gt_u32_e32 vcc, s33, v51
	v_add_u32_e32 v53, 4, v39
	v_and_b32_e32 v67, v50, v85
	v_cndmask_b32_e64 v50, 0, 1, vcc
	v_cmp_gt_u32_e32 vcc, s33, v52
	v_add_u32_e32 v54, 5, v39
	v_and_b32_e32 v66, v50, v84
	;; [unrolled: 4-line block ×9, first 2 shown]
	v_and_b32_e32 v59, v50, v77
	v_cndmask_b32_e64 v50, 0, 1, vcc
	v_cmp_gt_u32_e32 vcc, s33, v88
	v_add_u32_e32 v90, 13, v39
	v_and_b32_e32 v58, v50, v76
	v_cndmask_b32_e64 v50, 0, 1, vcc
	v_cmp_gt_u32_e32 vcc, s33, v89
	v_add_u32_e32 v91, 14, v39
	;; [unrolled: 4-line block ×15, first 2 shown]
	v_and_b32_e32 v44, v20, v19
	v_cndmask_b32_e64 v19, 0, 1, vcc
	v_cmp_gt_u32_e32 vcc, s33, v41
	v_and_b32_e32 v43, v19, v18
	v_cndmask_b32_e64 v18, 0, 1, vcc
	v_cmp_gt_u32_e32 vcc, s33, v42
	v_and_b32_e32 v41, v18, v17
	v_cndmask_b32_e64 v17, 0, 1, vcc
	v_and_b32_e32 v42, v17, v16
.LBB2172_64:
	v_and_b32_e32 v93, 0xff, v44
	v_and_b32_e32 v94, 0xff, v43
	v_add_u32_sdwa v16, v41, v42 dst_sel:DWORD dst_unused:UNUSED_PAD src0_sel:BYTE_0 src1_sel:BYTE_0
	v_and_b32_e32 v91, 0xff, v46
	v_and_b32_e32 v92, 0xff, v45
	v_add3_u32 v16, v16, v94, v93
	v_and_b32_e32 v89, 0xff, v48
	v_and_b32_e32 v90, 0xff, v47
	v_add3_u32 v16, v16, v92, v91
	;; [unrolled: 3-line block ×12, first 2 shown]
	v_add3_u32 v97, v16, v70, v69
	v_mbcnt_lo_u32_b32 v16, -1, 0
	v_mbcnt_hi_u32_b32 v95, -1, v16
	v_and_b32_e32 v16, 15, v95
	v_cmp_eq_u32_e64 s[16:17], 0, v16
	v_cmp_lt_u32_e64 s[14:15], 1, v16
	v_cmp_lt_u32_e64 s[12:13], 3, v16
	;; [unrolled: 1-line block ×3, first 2 shown]
	v_and_b32_e32 v16, 16, v95
	v_cmp_eq_u32_e64 s[8:9], 0, v16
	v_or_b32_e32 v16, 63, v0
	s_cmp_lg_u32 s6, 0
	v_cmp_lt_u32_e64 s[2:3], 31, v95
	v_lshrrev_b32_e32 v96, 6, v0
	v_cmp_eq_u32_e64 s[20:21], v16, v0
	s_cbranch_scc0 .LBB2172_91
; %bb.65:
	v_mov_b32_dpp v16, v97 row_shr:1 row_mask:0xf bank_mask:0xf
	v_cndmask_b32_e64 v16, v16, 0, s[16:17]
	v_add_u32_e32 v16, v16, v97
	s_nop 1
	v_mov_b32_dpp v17, v16 row_shr:2 row_mask:0xf bank_mask:0xf
	v_cndmask_b32_e64 v17, 0, v17, s[14:15]
	v_add_u32_e32 v16, v16, v17
	s_nop 1
	;; [unrolled: 4-line block ×4, first 2 shown]
	v_mov_b32_dpp v17, v16 row_bcast:15 row_mask:0xf bank_mask:0xf
	v_cndmask_b32_e64 v17, v17, 0, s[8:9]
	v_add_u32_e32 v16, v16, v17
	s_nop 1
	v_mov_b32_dpp v17, v16 row_bcast:31 row_mask:0xf bank_mask:0xf
	v_cndmask_b32_e64 v17, 0, v17, s[2:3]
	v_add_u32_e32 v16, v16, v17
	s_and_saveexec_b64 s[18:19], s[20:21]
	s_cbranch_execz .LBB2172_67
; %bb.66:
	v_lshlrev_b32_e32 v17, 2, v96
	ds_write_b32 v17, v16
.LBB2172_67:
	s_or_b64 exec, exec, s[18:19]
	v_cmp_gt_u32_e32 vcc, 4, v0
	s_waitcnt lgkmcnt(0)
	s_barrier
	s_and_saveexec_b64 s[18:19], vcc
	s_cbranch_execz .LBB2172_69
; %bb.68:
	v_lshlrev_b32_e32 v17, 2, v0
	ds_read_b32 v18, v17
	v_and_b32_e32 v19, 3, v95
	v_cmp_ne_u32_e32 vcc, 0, v19
	s_waitcnt lgkmcnt(0)
	v_mov_b32_dpp v20, v18 row_shr:1 row_mask:0xf bank_mask:0xf
	v_cndmask_b32_e32 v20, 0, v20, vcc
	v_add_u32_e32 v18, v20, v18
	v_cmp_lt_u32_e32 vcc, 1, v19
	s_nop 0
	v_mov_b32_dpp v20, v18 row_shr:2 row_mask:0xf bank_mask:0xf
	v_cndmask_b32_e32 v19, 0, v20, vcc
	v_add_u32_e32 v18, v18, v19
	ds_write_b32 v17, v18
.LBB2172_69:
	s_or_b64 exec, exec, s[18:19]
	v_cmp_gt_u32_e32 vcc, 64, v0
	v_cmp_lt_u32_e64 s[18:19], 63, v0
	s_waitcnt lgkmcnt(0)
	s_barrier
	s_waitcnt lgkmcnt(0)
                                        ; implicit-def: $vgpr98
	s_and_saveexec_b64 s[36:37], s[18:19]
	s_cbranch_execz .LBB2172_71
; %bb.70:
	v_lshl_add_u32 v17, v96, 2, -4
	ds_read_b32 v98, v17
	s_waitcnt lgkmcnt(0)
	v_add_u32_e32 v16, v98, v16
.LBB2172_71:
	s_or_b64 exec, exec, s[36:37]
	v_add_u32_e32 v17, -1, v95
	v_and_b32_e32 v18, 64, v95
	v_cmp_lt_i32_e64 s[18:19], v17, v18
	v_cndmask_b32_e64 v17, v17, v95, s[18:19]
	v_lshlrev_b32_e32 v17, 2, v17
	ds_bpermute_b32 v99, v17, v16
	v_cmp_eq_u32_e64 s[18:19], 0, v95
	s_and_saveexec_b64 s[36:37], vcc
	s_cbranch_execz .LBB2172_90
; %bb.72:
	v_mov_b32_e32 v23, 0
	ds_read_b32 v16, v23 offset:12
	s_and_saveexec_b64 s[38:39], s[18:19]
	s_cbranch_execz .LBB2172_74
; %bb.73:
	s_add_i32 s40, s6, 64
	s_mov_b32 s41, 0
	s_lshl_b64 s[40:41], s[40:41], 3
	s_add_u32 s40, s34, s40
	v_mov_b32_e32 v17, 1
	s_addc_u32 s41, s35, s41
	s_waitcnt lgkmcnt(0)
	global_store_dwordx2 v23, v[16:17], s[40:41]
.LBB2172_74:
	s_or_b64 exec, exec, s[38:39]
	v_xad_u32 v18, v95, -1, s6
	v_add_u32_e32 v22, 64, v18
	v_lshlrev_b64 v[20:21], 3, v[22:23]
	v_mov_b32_e32 v17, s35
	v_add_co_u32_e32 v24, vcc, s34, v20
	v_addc_co_u32_e32 v25, vcc, v17, v21, vcc
	global_load_dwordx2 v[20:21], v[24:25], off glc
	s_waitcnt vmcnt(0)
	v_cmp_eq_u16_sdwa s[40:41], v21, v23 src0_sel:BYTE_0 src1_sel:DWORD
	s_and_saveexec_b64 s[38:39], s[40:41]
	s_cbranch_execz .LBB2172_78
; %bb.75:
	s_mov_b64 s[40:41], 0
	v_mov_b32_e32 v17, 0
.LBB2172_76:                            ; =>This Inner Loop Header: Depth=1
	global_load_dwordx2 v[20:21], v[24:25], off glc
	s_waitcnt vmcnt(0)
	v_cmp_ne_u16_sdwa s[42:43], v21, v17 src0_sel:BYTE_0 src1_sel:DWORD
	s_or_b64 s[40:41], s[42:43], s[40:41]
	s_andn2_b64 exec, exec, s[40:41]
	s_cbranch_execnz .LBB2172_76
; %bb.77:
	s_or_b64 exec, exec, s[40:41]
.LBB2172_78:
	s_or_b64 exec, exec, s[38:39]
	v_and_b32_e32 v101, 63, v95
	v_mov_b32_e32 v100, 2
	v_cmp_ne_u32_e32 vcc, 63, v101
	v_cmp_eq_u16_sdwa s[38:39], v21, v100 src0_sel:BYTE_0 src1_sel:DWORD
	v_lshlrev_b64 v[22:23], v95, -1
	v_addc_co_u32_e32 v24, vcc, 0, v95, vcc
	v_and_b32_e32 v17, s39, v23
	v_lshlrev_b32_e32 v102, 2, v24
	v_or_b32_e32 v17, 0x80000000, v17
	ds_bpermute_b32 v24, v102, v20
	v_and_b32_e32 v19, s38, v22
	v_ffbl_b32_e32 v17, v17
	v_add_u32_e32 v17, 32, v17
	v_ffbl_b32_e32 v19, v19
	v_min_u32_e32 v17, v19, v17
	v_cmp_lt_u32_e32 vcc, v101, v17
	s_waitcnt lgkmcnt(0)
	v_cndmask_b32_e32 v19, 0, v24, vcc
	v_cmp_gt_u32_e32 vcc, 62, v101
	v_add_u32_e32 v19, v19, v20
	v_cndmask_b32_e64 v20, 0, 1, vcc
	v_lshlrev_b32_e32 v20, 1, v20
	v_add_lshl_u32 v103, v20, v95, 2
	ds_bpermute_b32 v20, v103, v19
	v_add_u32_e32 v104, 2, v101
	v_cmp_le_u32_e32 vcc, v104, v17
	v_add_u32_e32 v106, 4, v101
	v_add_u32_e32 v108, 8, v101
	s_waitcnt lgkmcnt(0)
	v_cndmask_b32_e32 v20, 0, v20, vcc
	v_cmp_gt_u32_e32 vcc, 60, v101
	v_add_u32_e32 v19, v19, v20
	v_cndmask_b32_e64 v20, 0, 1, vcc
	v_lshlrev_b32_e32 v20, 2, v20
	v_add_lshl_u32 v105, v20, v95, 2
	ds_bpermute_b32 v20, v105, v19
	v_cmp_le_u32_e32 vcc, v106, v17
	v_add_u32_e32 v110, 16, v101
	v_add_u32_e32 v112, 32, v101
	s_waitcnt lgkmcnt(0)
	v_cndmask_b32_e32 v20, 0, v20, vcc
	v_cmp_gt_u32_e32 vcc, 56, v101
	v_add_u32_e32 v19, v19, v20
	v_cndmask_b32_e64 v20, 0, 1, vcc
	v_lshlrev_b32_e32 v20, 3, v20
	v_add_lshl_u32 v107, v20, v95, 2
	ds_bpermute_b32 v20, v107, v19
	v_cmp_le_u32_e32 vcc, v108, v17
	s_waitcnt lgkmcnt(0)
	v_cndmask_b32_e32 v20, 0, v20, vcc
	v_cmp_gt_u32_e32 vcc, 48, v101
	v_add_u32_e32 v19, v19, v20
	v_cndmask_b32_e64 v20, 0, 1, vcc
	v_lshlrev_b32_e32 v20, 4, v20
	v_add_lshl_u32 v109, v20, v95, 2
	ds_bpermute_b32 v20, v109, v19
	v_cmp_le_u32_e32 vcc, v110, v17
	;; [unrolled: 9-line block ×3, first 2 shown]
	s_waitcnt lgkmcnt(0)
	v_cndmask_b32_e32 v17, 0, v20, vcc
	v_add_u32_e32 v20, v19, v17
	v_mov_b32_e32 v19, 0
	s_branch .LBB2172_80
.LBB2172_79:                            ;   in Loop: Header=BB2172_80 Depth=1
	s_or_b64 exec, exec, s[38:39]
	v_cmp_eq_u16_sdwa s[38:39], v21, v100 src0_sel:BYTE_0 src1_sel:DWORD
	v_and_b32_e32 v24, s39, v23
	v_or_b32_e32 v24, 0x80000000, v24
	ds_bpermute_b32 v113, v102, v20
	v_and_b32_e32 v25, s38, v22
	v_ffbl_b32_e32 v24, v24
	v_add_u32_e32 v24, 32, v24
	v_ffbl_b32_e32 v25, v25
	v_min_u32_e32 v24, v25, v24
	v_cmp_lt_u32_e32 vcc, v101, v24
	s_waitcnt lgkmcnt(0)
	v_cndmask_b32_e32 v25, 0, v113, vcc
	v_add_u32_e32 v20, v25, v20
	ds_bpermute_b32 v25, v103, v20
	v_cmp_le_u32_e32 vcc, v104, v24
	v_subrev_u32_e32 v18, 64, v18
	s_waitcnt lgkmcnt(0)
	v_cndmask_b32_e32 v25, 0, v25, vcc
	v_add_u32_e32 v20, v20, v25
	ds_bpermute_b32 v25, v105, v20
	v_cmp_le_u32_e32 vcc, v106, v24
	s_waitcnt lgkmcnt(0)
	v_cndmask_b32_e32 v25, 0, v25, vcc
	v_add_u32_e32 v20, v20, v25
	ds_bpermute_b32 v25, v107, v20
	v_cmp_le_u32_e32 vcc, v108, v24
	;; [unrolled: 5-line block ×4, first 2 shown]
	s_waitcnt lgkmcnt(0)
	v_cndmask_b32_e32 v24, 0, v25, vcc
	v_add3_u32 v20, v24, v17, v20
.LBB2172_80:                            ; =>This Loop Header: Depth=1
                                        ;     Child Loop BB2172_83 Depth 2
	v_cmp_ne_u16_sdwa s[38:39], v21, v100 src0_sel:BYTE_0 src1_sel:DWORD
	v_cndmask_b32_e64 v17, 0, 1, s[38:39]
	;;#ASMSTART
	;;#ASMEND
	v_cmp_ne_u32_e32 vcc, 0, v17
	s_cmp_lg_u64 vcc, exec
	v_mov_b32_e32 v17, v20
	s_cbranch_scc1 .LBB2172_85
; %bb.81:                               ;   in Loop: Header=BB2172_80 Depth=1
	v_lshlrev_b64 v[20:21], 3, v[18:19]
	v_mov_b32_e32 v25, s35
	v_add_co_u32_e32 v24, vcc, s34, v20
	v_addc_co_u32_e32 v25, vcc, v25, v21, vcc
	global_load_dwordx2 v[20:21], v[24:25], off glc
	s_waitcnt vmcnt(0)
	v_cmp_eq_u16_sdwa s[40:41], v21, v19 src0_sel:BYTE_0 src1_sel:DWORD
	s_and_saveexec_b64 s[38:39], s[40:41]
	s_cbranch_execz .LBB2172_79
; %bb.82:                               ;   in Loop: Header=BB2172_80 Depth=1
	s_mov_b64 s[40:41], 0
.LBB2172_83:                            ;   Parent Loop BB2172_80 Depth=1
                                        ; =>  This Inner Loop Header: Depth=2
	global_load_dwordx2 v[20:21], v[24:25], off glc
	s_waitcnt vmcnt(0)
	v_cmp_ne_u16_sdwa s[42:43], v21, v19 src0_sel:BYTE_0 src1_sel:DWORD
	s_or_b64 s[40:41], s[42:43], s[40:41]
	s_andn2_b64 exec, exec, s[40:41]
	s_cbranch_execnz .LBB2172_83
; %bb.84:                               ;   in Loop: Header=BB2172_80 Depth=1
	s_or_b64 exec, exec, s[40:41]
	s_branch .LBB2172_79
.LBB2172_85:                            ;   in Loop: Header=BB2172_80 Depth=1
                                        ; implicit-def: $vgpr20
                                        ; implicit-def: $vgpr21
	s_cbranch_execz .LBB2172_80
; %bb.86:
	s_and_saveexec_b64 s[38:39], s[18:19]
	s_cbranch_execz .LBB2172_88
; %bb.87:
	s_add_i32 s6, s6, 64
	s_mov_b32 s7, 0
	s_lshl_b64 s[6:7], s[6:7], 3
	s_add_u32 s6, s34, s6
	v_add_u32_e32 v18, v17, v16
	v_mov_b32_e32 v19, 2
	s_addc_u32 s7, s35, s7
	v_mov_b32_e32 v20, 0
	global_store_dwordx2 v20, v[18:19], s[6:7]
	ds_write_b64 v20, v[16:17] offset:14336
.LBB2172_88:
	s_or_b64 exec, exec, s[38:39]
	v_cmp_eq_u32_e32 vcc, 0, v0
	s_and_b64 exec, exec, vcc
	s_cbranch_execz .LBB2172_90
; %bb.89:
	v_mov_b32_e32 v16, 0
	ds_write_b32 v16, v17 offset:12
.LBB2172_90:
	s_or_b64 exec, exec, s[36:37]
	v_mov_b32_e32 v16, 0
	s_waitcnt lgkmcnt(0)
	s_barrier
	ds_read_b32 v19, v16 offset:12
	s_waitcnt lgkmcnt(0)
	s_barrier
	ds_read_b64 v[16:17], v16 offset:14336
	v_cndmask_b32_e64 v18, v99, v98, s[18:19]
	v_cmp_ne_u32_e32 vcc, 0, v0
	v_cndmask_b32_e32 v18, 0, v18, vcc
	v_add_u32_e32 v18, v19, v18
	s_branch .LBB2172_101
.LBB2172_91:
                                        ; implicit-def: $vgpr17
                                        ; implicit-def: $vgpr18
	s_cbranch_execz .LBB2172_101
; %bb.92:
	s_waitcnt lgkmcnt(0)
	v_mov_b32_dpp v16, v97 row_shr:1 row_mask:0xf bank_mask:0xf
	v_cndmask_b32_e64 v16, v16, 0, s[16:17]
	v_add_u32_e32 v16, v16, v97
	s_nop 1
	v_mov_b32_dpp v17, v16 row_shr:2 row_mask:0xf bank_mask:0xf
	v_cndmask_b32_e64 v17, 0, v17, s[14:15]
	v_add_u32_e32 v16, v16, v17
	s_nop 1
	;; [unrolled: 4-line block ×4, first 2 shown]
	v_mov_b32_dpp v17, v16 row_bcast:15 row_mask:0xf bank_mask:0xf
	v_cndmask_b32_e64 v17, v17, 0, s[8:9]
	v_add_u32_e32 v16, v16, v17
	s_nop 1
	v_mov_b32_dpp v17, v16 row_bcast:31 row_mask:0xf bank_mask:0xf
	v_cndmask_b32_e64 v17, 0, v17, s[2:3]
	v_add_u32_e32 v16, v16, v17
	s_and_saveexec_b64 s[2:3], s[20:21]
	s_cbranch_execz .LBB2172_94
; %bb.93:
	v_lshlrev_b32_e32 v17, 2, v96
	ds_write_b32 v17, v16
.LBB2172_94:
	s_or_b64 exec, exec, s[2:3]
	v_cmp_gt_u32_e32 vcc, 4, v0
	s_waitcnt lgkmcnt(0)
	s_barrier
	s_and_saveexec_b64 s[2:3], vcc
	s_cbranch_execz .LBB2172_96
; %bb.95:
	v_lshlrev_b32_e32 v17, 2, v0
	ds_read_b32 v18, v17
	v_and_b32_e32 v19, 3, v95
	v_cmp_ne_u32_e32 vcc, 0, v19
	s_waitcnt lgkmcnt(0)
	v_mov_b32_dpp v20, v18 row_shr:1 row_mask:0xf bank_mask:0xf
	v_cndmask_b32_e32 v20, 0, v20, vcc
	v_add_u32_e32 v18, v20, v18
	v_cmp_lt_u32_e32 vcc, 1, v19
	s_nop 0
	v_mov_b32_dpp v20, v18 row_shr:2 row_mask:0xf bank_mask:0xf
	v_cndmask_b32_e32 v19, 0, v20, vcc
	v_add_u32_e32 v18, v18, v19
	ds_write_b32 v17, v18
.LBB2172_96:
	s_or_b64 exec, exec, s[2:3]
	v_cmp_lt_u32_e32 vcc, 63, v0
	v_mov_b32_e32 v17, 0
	v_mov_b32_e32 v18, 0
	s_waitcnt lgkmcnt(0)
	s_barrier
	s_and_saveexec_b64 s[2:3], vcc
	s_cbranch_execz .LBB2172_98
; %bb.97:
	v_lshl_add_u32 v18, v96, 2, -4
	ds_read_b32 v18, v18
.LBB2172_98:
	s_or_b64 exec, exec, s[2:3]
	v_add_u32_e32 v19, -1, v95
	v_and_b32_e32 v20, 64, v95
	v_cmp_lt_i32_e32 vcc, v19, v20
	v_cndmask_b32_e32 v19, v19, v95, vcc
	s_waitcnt lgkmcnt(0)
	v_add_u32_e32 v16, v18, v16
	v_lshlrev_b32_e32 v19, 2, v19
	ds_bpermute_b32 v19, v19, v16
	ds_read_b32 v16, v17 offset:12
	v_cmp_eq_u32_e32 vcc, 0, v0
	s_and_saveexec_b64 s[2:3], vcc
	s_cbranch_execz .LBB2172_100
; %bb.99:
	v_mov_b32_e32 v20, 0
	v_mov_b32_e32 v17, 2
	s_waitcnt lgkmcnt(0)
	global_store_dwordx2 v20, v[16:17], s[34:35] offset:512
.LBB2172_100:
	s_or_b64 exec, exec, s[2:3]
	v_cmp_eq_u32_e64 s[2:3], 0, v95
	s_waitcnt lgkmcnt(1)
	v_cndmask_b32_e64 v18, v19, v18, s[2:3]
	v_mov_b32_e32 v17, 0
	v_cndmask_b32_e64 v18, v18, 0, vcc
	s_waitcnt lgkmcnt(0)
	s_barrier
.LBB2172_101:
	v_add_u32_e32 v19, v18, v69
	v_add_u32_e32 v20, v19, v70
	;; [unrolled: 1-line block ×19, first 2 shown]
	s_waitcnt lgkmcnt(0)
	v_add_u32_e32 v39, v16, v39
	v_sub_u32_e32 v18, v18, v17
	v_and_b32_e32 v68, 1, v68
	v_add_u32_e32 v81, v80, v88
	v_sub_u32_e32 v88, v39, v18
	v_cmp_eq_u32_e32 vcc, 1, v68
	v_cndmask_b32_e32 v18, v88, v18, vcc
	v_lshlrev_b32_e32 v18, 1, v18
	ds_write_b16 v18, v10
	v_sub_u32_e32 v10, v19, v17
	v_sub_u32_e32 v18, v39, v10
	v_and_b32_e32 v19, 1, v67
	v_add_u32_e32 v18, 1, v18
	v_cmp_eq_u32_e32 vcc, 1, v19
	v_cndmask_b32_e32 v10, v18, v10, vcc
	v_lshlrev_b32_e32 v10, 1, v10
	ds_write_b16 v10, v40
	v_sub_u32_e32 v10, v20, v17
	v_sub_u32_e32 v18, v39, v10
	v_and_b32_e32 v19, 1, v66
	v_add_u32_e32 v18, 2, v18
	;; [unrolled: 8-line block ×20, first 2 shown]
	v_cmp_eq_u32_e32 vcc, 1, v6
	v_cndmask_b32_e32 v2, v3, v2, vcc
	v_add_u32_e32 v82, v81, v89
	v_lshlrev_b32_e32 v2, 1, v2
	ds_write_b16 v2, v4
	v_sub_u32_e32 v2, v82, v17
	v_sub_u32_e32 v3, v39, v2
	v_and_b32_e32 v4, 1, v47
	v_add_u32_e32 v3, 21, v3
	v_cmp_eq_u32_e32 vcc, 1, v4
	v_cndmask_b32_e32 v2, v3, v2, vcc
	v_add_u32_e32 v83, v82, v90
	v_lshlrev_b32_e32 v2, 1, v2
	ds_write_b16 v2, v29
	v_sub_u32_e32 v2, v83, v17
	v_sub_u32_e32 v3, v39, v2
	v_and_b32_e32 v4, 1, v46
	v_add_u32_e32 v3, 22, v3
	;; [unrolled: 9-line block ×6, first 2 shown]
	v_cmp_eq_u32_e32 vcc, 1, v4
	v_cndmask_b32_e32 v2, v3, v2, vcc
	v_lshlrev_b32_e32 v2, 1, v2
	ds_write_b16 v2, v15
	v_sub_u32_sdwa v2, v41, v17 dst_sel:DWORD dst_unused:UNUSED_PAD src0_sel:BYTE_0 src1_sel:DWORD
	v_add_u32_e32 v2, v87, v2
	v_sub_u32_e32 v3, v39, v2
	v_and_b32_e32 v4, 1, v42
	v_add_u32_e32 v3, 27, v3
	v_cmp_eq_u32_e32 vcc, 1, v4
	v_cndmask_b32_e32 v2, v3, v2, vcc
	v_lshlrev_b32_e32 v2, 1, v2
	ds_write_b16 v2, v26
	v_mov_b32_e32 v2, s31
	v_add_co_u32_e32 v66, vcc, s30, v17
	v_addc_co_u32_e32 v67, vcc, 0, v2, vcc
	s_load_dwordx4 s[4:7], s[4:5], 0x28
	s_waitcnt lgkmcnt(0)
	s_barrier
	ds_read_u16 v64, v1
	ds_read_u16 v63, v1 offset:512
	ds_read_u16 v61, v1 offset:1024
	;; [unrolled: 1-line block ×23, first 2 shown]
	v_add_co_u32_e32 v2, vcc, v66, v16
	v_addc_co_u32_e32 v3, vcc, 0, v67, vcc
	v_mov_b32_e32 v9, s23
	v_sub_co_u32_e32 v8, vcc, s22, v2
	v_subb_co_u32_e32 v9, vcc, v9, v3, vcc
	ds_read_u16 v15, v1 offset:12288
	ds_read_u16 v12, v1 offset:12800
	;; [unrolled: 1-line block ×4, first 2 shown]
	v_lshlrev_b64 v[8:9], 1, v[8:9]
	v_mov_b32_e32 v11, s7
	v_add_co_u32_e32 v8, vcc, s6, v8
	v_addc_co_u32_e32 v9, vcc, v11, v9, vcc
	v_mov_b32_e32 v11, s29
	v_add_co_u32_e32 v8, vcc, s28, v8
	v_addc_co_u32_e32 v9, vcc, v9, v11, vcc
	v_lshlrev_b64 v[66:67], 1, v[66:67]
	v_mov_b32_e32 v13, s5
	s_and_b64 vcc, exec, s[0:1]
	v_add_co_u32_e64 v11, s[0:1], s4, v66
	v_or_b32_e32 v62, 0x100, v0
	v_or_b32_e32 v60, 0x200, v0
	;; [unrolled: 1-line block ×27, first 2 shown]
	v_addc_co_u32_e64 v13, s[0:1], v13, v67, s[0:1]
	s_cbranch_vccnz .LBB2172_103
; %bb.102:
	v_cmp_lt_u32_e32 vcc, v0, v16
	v_cndmask_b32_e32 v65, v8, v11, vcc
	v_cndmask_b32_e32 v17, v9, v13, vcc
	v_add_co_u32_e32 v66, vcc, v65, v1
	v_addc_co_u32_e32 v67, vcc, 0, v17, vcc
	v_cmp_lt_u32_e32 vcc, v62, v16
	v_cndmask_b32_e32 v65, v8, v11, vcc
	s_waitcnt lgkmcnt(14)
	global_store_short v[66:67], v64, off
	v_cndmask_b32_e32 v17, v9, v13, vcc
	v_add_co_u32_e32 v66, vcc, v65, v1
	v_addc_co_u32_e32 v67, vcc, 0, v17, vcc
	v_cmp_lt_u32_e32 vcc, v60, v16
	v_cndmask_b32_e32 v65, v8, v11, vcc
	global_store_short v[66:67], v63, off offset:512
	v_cndmask_b32_e32 v17, v9, v13, vcc
	v_add_co_u32_e32 v66, vcc, v65, v1
	v_addc_co_u32_e32 v67, vcc, 0, v17, vcc
	v_cmp_lt_u32_e32 vcc, v58, v16
	v_cndmask_b32_e32 v65, v8, v11, vcc
	global_store_short v[66:67], v61, off offset:1024
	;; [unrolled: 6-line block ×6, first 2 shown]
	v_cndmask_b32_e32 v17, v9, v13, vcc
	v_add_co_u32_e32 v66, vcc, v65, v1
	v_addc_co_u32_e32 v67, vcc, 0, v17, vcc
	v_cmp_lt_u32_e32 vcc, v48, v16
	global_store_short v[66:67], v51, off offset:3584
	v_cndmask_b32_e32 v65, v8, v11, vcc
	v_lshlrev_b32_e32 v66, 1, v48
	v_cndmask_b32_e32 v17, v9, v13, vcc
	v_add_co_u32_e32 v66, vcc, v65, v66
	v_addc_co_u32_e32 v67, vcc, 0, v17, vcc
	v_cmp_lt_u32_e32 vcc, v46, v16
	global_store_short v[66:67], v49, off
	v_cndmask_b32_e32 v65, v8, v11, vcc
	v_lshlrev_b32_e32 v66, 1, v46
	v_cndmask_b32_e32 v17, v9, v13, vcc
	v_add_co_u32_e32 v66, vcc, v65, v66
	v_addc_co_u32_e32 v67, vcc, 0, v17, vcc
	v_cmp_lt_u32_e32 vcc, v44, v16
	global_store_short v[66:67], v47, off
	;; [unrolled: 7-line block ×6, first 2 shown]
	v_cndmask_b32_e32 v65, v8, v11, vcc
	v_lshlrev_b32_e32 v66, 1, v36
	v_cndmask_b32_e32 v17, v9, v13, vcc
	v_add_co_u32_e32 v66, vcc, v65, v66
	v_addc_co_u32_e32 v67, vcc, 0, v17, vcc
	v_cmp_lt_u32_e32 vcc, v33, v16
	s_waitcnt lgkmcnt(13)
	global_store_short v[66:67], v37, off
	v_cndmask_b32_e32 v65, v8, v11, vcc
	v_lshlrev_b32_e32 v66, 1, v33
	v_cndmask_b32_e32 v17, v9, v13, vcc
	v_add_co_u32_e32 v66, vcc, v65, v66
	v_addc_co_u32_e32 v67, vcc, 0, v17, vcc
	v_cmp_lt_u32_e32 vcc, v32, v16
	s_waitcnt lgkmcnt(12)
	global_store_short v[66:67], v35, off
	;; [unrolled: 8-line block ×12, first 2 shown]
	v_cndmask_b32_e32 v65, v8, v11, vcc
	v_lshlrev_b32_e32 v66, 1, v7
	v_cndmask_b32_e32 v17, v9, v13, vcc
	v_add_co_u32_e32 v66, vcc, v65, v66
	v_addc_co_u32_e32 v67, vcc, 0, v17, vcc
	s_mov_b64 s[0:1], -1
	s_waitcnt lgkmcnt(1)
	global_store_short v[66:67], v6, off
	s_cbranch_execz .LBB2172_104
	s_branch .LBB2172_133
.LBB2172_103:
	s_mov_b64 s[0:1], 0
.LBB2172_104:
	v_cmp_gt_u32_e32 vcc, s33, v0
	s_and_saveexec_b64 s[0:1], vcc
	s_cbranch_execnz .LBB2172_138
; %bb.105:
	s_or_b64 exec, exec, s[0:1]
	v_cmp_gt_u32_e32 vcc, s33, v62
	s_and_saveexec_b64 s[0:1], vcc
	s_cbranch_execnz .LBB2172_139
.LBB2172_106:
	s_or_b64 exec, exec, s[0:1]
	v_cmp_gt_u32_e32 vcc, s33, v60
	s_and_saveexec_b64 s[0:1], vcc
	s_cbranch_execnz .LBB2172_140
.LBB2172_107:
	s_or_b64 exec, exec, s[0:1]
	v_cmp_gt_u32_e32 vcc, s33, v58
	s_and_saveexec_b64 s[0:1], vcc
	s_cbranch_execnz .LBB2172_141
.LBB2172_108:
	s_or_b64 exec, exec, s[0:1]
	v_cmp_gt_u32_e32 vcc, s33, v56
	s_and_saveexec_b64 s[0:1], vcc
	s_cbranch_execnz .LBB2172_142
.LBB2172_109:
	s_or_b64 exec, exec, s[0:1]
	v_cmp_gt_u32_e32 vcc, s33, v54
	s_and_saveexec_b64 s[0:1], vcc
	s_cbranch_execnz .LBB2172_143
.LBB2172_110:
	s_or_b64 exec, exec, s[0:1]
	v_cmp_gt_u32_e32 vcc, s33, v52
	s_and_saveexec_b64 s[0:1], vcc
	s_cbranch_execnz .LBB2172_144
.LBB2172_111:
	s_or_b64 exec, exec, s[0:1]
	v_cmp_gt_u32_e32 vcc, s33, v50
	s_and_saveexec_b64 s[0:1], vcc
	s_cbranch_execnz .LBB2172_145
.LBB2172_112:
	s_or_b64 exec, exec, s[0:1]
	v_cmp_gt_u32_e32 vcc, s33, v48
	s_and_saveexec_b64 s[0:1], vcc
	s_cbranch_execnz .LBB2172_146
.LBB2172_113:
	s_or_b64 exec, exec, s[0:1]
	v_cmp_gt_u32_e32 vcc, s33, v46
	s_and_saveexec_b64 s[0:1], vcc
	s_cbranch_execnz .LBB2172_147
.LBB2172_114:
	s_or_b64 exec, exec, s[0:1]
	v_cmp_gt_u32_e32 vcc, s33, v44
	s_and_saveexec_b64 s[0:1], vcc
	s_cbranch_execnz .LBB2172_148
.LBB2172_115:
	s_or_b64 exec, exec, s[0:1]
	v_cmp_gt_u32_e32 vcc, s33, v42
	s_and_saveexec_b64 s[0:1], vcc
	s_cbranch_execnz .LBB2172_149
.LBB2172_116:
	s_or_b64 exec, exec, s[0:1]
	v_cmp_gt_u32_e32 vcc, s33, v40
	s_and_saveexec_b64 s[0:1], vcc
	s_cbranch_execnz .LBB2172_150
.LBB2172_117:
	s_or_b64 exec, exec, s[0:1]
	v_cmp_gt_u32_e32 vcc, s33, v38
	s_and_saveexec_b64 s[0:1], vcc
	s_cbranch_execnz .LBB2172_151
.LBB2172_118:
	s_or_b64 exec, exec, s[0:1]
	v_cmp_gt_u32_e32 vcc, s33, v36
	s_and_saveexec_b64 s[0:1], vcc
	s_cbranch_execnz .LBB2172_152
.LBB2172_119:
	s_or_b64 exec, exec, s[0:1]
	v_cmp_gt_u32_e32 vcc, s33, v33
	s_and_saveexec_b64 s[0:1], vcc
	s_cbranch_execnz .LBB2172_153
.LBB2172_120:
	s_or_b64 exec, exec, s[0:1]
	v_cmp_gt_u32_e32 vcc, s33, v32
	s_and_saveexec_b64 s[0:1], vcc
	s_cbranch_execnz .LBB2172_154
.LBB2172_121:
	s_or_b64 exec, exec, s[0:1]
	v_cmp_gt_u32_e32 vcc, s33, v30
	s_and_saveexec_b64 s[0:1], vcc
	s_cbranch_execnz .LBB2172_155
.LBB2172_122:
	s_or_b64 exec, exec, s[0:1]
	v_cmp_gt_u32_e32 vcc, s33, v28
	s_and_saveexec_b64 s[0:1], vcc
	s_cbranch_execnz .LBB2172_156
.LBB2172_123:
	s_or_b64 exec, exec, s[0:1]
	v_cmp_gt_u32_e32 vcc, s33, v26
	s_and_saveexec_b64 s[0:1], vcc
	s_cbranch_execnz .LBB2172_157
.LBB2172_124:
	s_or_b64 exec, exec, s[0:1]
	v_cmp_gt_u32_e32 vcc, s33, v24
	s_and_saveexec_b64 s[0:1], vcc
	s_cbranch_execnz .LBB2172_158
.LBB2172_125:
	s_or_b64 exec, exec, s[0:1]
	v_cmp_gt_u32_e32 vcc, s33, v22
	s_and_saveexec_b64 s[0:1], vcc
	s_cbranch_execnz .LBB2172_159
.LBB2172_126:
	s_or_b64 exec, exec, s[0:1]
	v_cmp_gt_u32_e32 vcc, s33, v20
	s_and_saveexec_b64 s[0:1], vcc
	s_cbranch_execnz .LBB2172_160
.LBB2172_127:
	s_or_b64 exec, exec, s[0:1]
	v_cmp_gt_u32_e32 vcc, s33, v18
	s_and_saveexec_b64 s[0:1], vcc
	s_cbranch_execnz .LBB2172_161
.LBB2172_128:
	s_or_b64 exec, exec, s[0:1]
	v_cmp_gt_u32_e32 vcc, s33, v14
	s_and_saveexec_b64 s[0:1], vcc
	s_cbranch_execnz .LBB2172_162
.LBB2172_129:
	s_or_b64 exec, exec, s[0:1]
	v_cmp_gt_u32_e32 vcc, s33, v10
	s_and_saveexec_b64 s[0:1], vcc
	s_cbranch_execnz .LBB2172_163
.LBB2172_130:
	s_or_b64 exec, exec, s[0:1]
	v_cmp_gt_u32_e32 vcc, s33, v7
	s_and_saveexec_b64 s[0:1], vcc
	s_cbranch_execz .LBB2172_132
.LBB2172_131:
	v_cmp_lt_u32_e32 vcc, v7, v16
	v_cndmask_b32_e32 v10, v8, v11, vcc
	v_lshlrev_b32_e32 v7, 1, v7
	v_cndmask_b32_e32 v1, v9, v13, vcc
	v_add_co_u32_e32 v14, vcc, v10, v7
	s_waitcnt lgkmcnt(3)
	v_addc_co_u32_e32 v15, vcc, 0, v1, vcc
	s_waitcnt lgkmcnt(1)
	global_store_short v[14:15], v6, off
.LBB2172_132:
	s_or_b64 exec, exec, s[0:1]
	v_cmp_gt_u32_e64 s[0:1], s33, v5
.LBB2172_133:
	s_and_saveexec_b64 s[2:3], s[0:1]
	s_cbranch_execz .LBB2172_135
; %bb.134:
	v_cmp_lt_u32_e32 vcc, v5, v16
	s_waitcnt lgkmcnt(1)
	v_cndmask_b32_e32 v6, v8, v11, vcc
	v_lshlrev_b32_e32 v5, 1, v5
	v_cndmask_b32_e32 v1, v9, v13, vcc
	v_add_co_u32_e32 v6, vcc, v6, v5
	v_addc_co_u32_e32 v7, vcc, 0, v1, vcc
	s_waitcnt lgkmcnt(0)
	global_store_short v[6:7], v4, off
.LBB2172_135:
	s_or_b64 exec, exec, s[2:3]
	v_cmp_eq_u32_e32 vcc, 0, v0
	s_and_b64 s[0:1], vcc, s[26:27]
	s_and_saveexec_b64 s[2:3], s[0:1]
	s_cbranch_execz .LBB2172_137
; %bb.136:
	v_mov_b32_e32 v0, 0
	global_store_dwordx2 v0, v[2:3], s[24:25]
.LBB2172_137:
	s_endpgm
.LBB2172_138:
	v_cmp_lt_u32_e32 vcc, v0, v16
	v_cndmask_b32_e32 v65, v8, v11, vcc
	v_cndmask_b32_e32 v17, v9, v13, vcc
	v_add_co_u32_e32 v66, vcc, v65, v1
	v_addc_co_u32_e32 v67, vcc, 0, v17, vcc
	s_waitcnt lgkmcnt(14)
	global_store_short v[66:67], v64, off
	s_or_b64 exec, exec, s[0:1]
	v_cmp_gt_u32_e32 vcc, s33, v62
	s_and_saveexec_b64 s[0:1], vcc
	s_cbranch_execz .LBB2172_106
.LBB2172_139:
	v_cmp_lt_u32_e32 vcc, v62, v16
	v_cndmask_b32_e32 v62, v8, v11, vcc
	v_cndmask_b32_e32 v17, v9, v13, vcc
	s_waitcnt lgkmcnt(14)
	v_add_co_u32_e32 v64, vcc, v62, v1
	v_addc_co_u32_e32 v65, vcc, 0, v17, vcc
	global_store_short v[64:65], v63, off offset:512
	s_or_b64 exec, exec, s[0:1]
	v_cmp_gt_u32_e32 vcc, s33, v60
	s_and_saveexec_b64 s[0:1], vcc
	s_cbranch_execz .LBB2172_107
.LBB2172_140:
	v_cmp_lt_u32_e32 vcc, v60, v16
	v_cndmask_b32_e32 v60, v8, v11, vcc
	v_cndmask_b32_e32 v17, v9, v13, vcc
	v_add_co_u32_e32 v62, vcc, v60, v1
	s_waitcnt lgkmcnt(14)
	v_addc_co_u32_e32 v63, vcc, 0, v17, vcc
	global_store_short v[62:63], v61, off offset:1024
	s_or_b64 exec, exec, s[0:1]
	v_cmp_gt_u32_e32 vcc, s33, v58
	s_and_saveexec_b64 s[0:1], vcc
	s_cbranch_execz .LBB2172_108
.LBB2172_141:
	v_cmp_lt_u32_e32 vcc, v58, v16
	v_cndmask_b32_e32 v58, v8, v11, vcc
	v_cndmask_b32_e32 v17, v9, v13, vcc
	v_add_co_u32_e32 v60, vcc, v58, v1
	s_waitcnt lgkmcnt(14)
	v_addc_co_u32_e32 v61, vcc, 0, v17, vcc
	global_store_short v[60:61], v59, off offset:1536
	s_or_b64 exec, exec, s[0:1]
	v_cmp_gt_u32_e32 vcc, s33, v56
	s_and_saveexec_b64 s[0:1], vcc
	s_cbranch_execz .LBB2172_109
.LBB2172_142:
	v_cmp_lt_u32_e32 vcc, v56, v16
	v_cndmask_b32_e32 v56, v8, v11, vcc
	v_cndmask_b32_e32 v17, v9, v13, vcc
	v_add_co_u32_e32 v58, vcc, v56, v1
	s_waitcnt lgkmcnt(14)
	v_addc_co_u32_e32 v59, vcc, 0, v17, vcc
	global_store_short v[58:59], v57, off offset:2048
	s_or_b64 exec, exec, s[0:1]
	v_cmp_gt_u32_e32 vcc, s33, v54
	s_and_saveexec_b64 s[0:1], vcc
	s_cbranch_execz .LBB2172_110
.LBB2172_143:
	v_cmp_lt_u32_e32 vcc, v54, v16
	v_cndmask_b32_e32 v54, v8, v11, vcc
	v_cndmask_b32_e32 v17, v9, v13, vcc
	v_add_co_u32_e32 v56, vcc, v54, v1
	s_waitcnt lgkmcnt(14)
	v_addc_co_u32_e32 v57, vcc, 0, v17, vcc
	global_store_short v[56:57], v55, off offset:2560
	s_or_b64 exec, exec, s[0:1]
	v_cmp_gt_u32_e32 vcc, s33, v52
	s_and_saveexec_b64 s[0:1], vcc
	s_cbranch_execz .LBB2172_111
.LBB2172_144:
	v_cmp_lt_u32_e32 vcc, v52, v16
	v_cndmask_b32_e32 v52, v8, v11, vcc
	v_cndmask_b32_e32 v17, v9, v13, vcc
	v_add_co_u32_e32 v54, vcc, v52, v1
	s_waitcnt lgkmcnt(14)
	v_addc_co_u32_e32 v55, vcc, 0, v17, vcc
	global_store_short v[54:55], v53, off offset:3072
	s_or_b64 exec, exec, s[0:1]
	v_cmp_gt_u32_e32 vcc, s33, v50
	s_and_saveexec_b64 s[0:1], vcc
	s_cbranch_execz .LBB2172_112
.LBB2172_145:
	v_cmp_lt_u32_e32 vcc, v50, v16
	v_cndmask_b32_e32 v50, v8, v11, vcc
	v_cndmask_b32_e32 v17, v9, v13, vcc
	v_add_co_u32_e32 v52, vcc, v50, v1
	s_waitcnt lgkmcnt(14)
	v_addc_co_u32_e32 v53, vcc, 0, v17, vcc
	global_store_short v[52:53], v51, off offset:3584
	s_or_b64 exec, exec, s[0:1]
	v_cmp_gt_u32_e32 vcc, s33, v48
	s_and_saveexec_b64 s[0:1], vcc
	s_cbranch_execz .LBB2172_113
.LBB2172_146:
	v_cmp_lt_u32_e32 vcc, v48, v16
	v_cndmask_b32_e32 v17, v8, v11, vcc
	v_lshlrev_b32_e32 v48, 1, v48
	v_cndmask_b32_e32 v1, v9, v13, vcc
	v_add_co_u32_e32 v50, vcc, v17, v48
	s_waitcnt lgkmcnt(14)
	v_addc_co_u32_e32 v51, vcc, 0, v1, vcc
	global_store_short v[50:51], v49, off
	s_or_b64 exec, exec, s[0:1]
	v_cmp_gt_u32_e32 vcc, s33, v46
	s_and_saveexec_b64 s[0:1], vcc
	s_cbranch_execz .LBB2172_114
.LBB2172_147:
	v_cmp_lt_u32_e32 vcc, v46, v16
	v_cndmask_b32_e32 v17, v8, v11, vcc
	v_lshlrev_b32_e32 v46, 1, v46
	v_cndmask_b32_e32 v1, v9, v13, vcc
	v_add_co_u32_e32 v48, vcc, v17, v46
	s_waitcnt lgkmcnt(14)
	v_addc_co_u32_e32 v49, vcc, 0, v1, vcc
	global_store_short v[48:49], v47, off
	s_or_b64 exec, exec, s[0:1]
	v_cmp_gt_u32_e32 vcc, s33, v44
	s_and_saveexec_b64 s[0:1], vcc
	s_cbranch_execz .LBB2172_115
.LBB2172_148:
	v_cmp_lt_u32_e32 vcc, v44, v16
	v_cndmask_b32_e32 v17, v8, v11, vcc
	v_lshlrev_b32_e32 v44, 1, v44
	v_cndmask_b32_e32 v1, v9, v13, vcc
	v_add_co_u32_e32 v46, vcc, v17, v44
	s_waitcnt lgkmcnt(14)
	v_addc_co_u32_e32 v47, vcc, 0, v1, vcc
	global_store_short v[46:47], v45, off
	s_or_b64 exec, exec, s[0:1]
	v_cmp_gt_u32_e32 vcc, s33, v42
	s_and_saveexec_b64 s[0:1], vcc
	s_cbranch_execz .LBB2172_116
.LBB2172_149:
	v_cmp_lt_u32_e32 vcc, v42, v16
	v_cndmask_b32_e32 v17, v8, v11, vcc
	v_lshlrev_b32_e32 v42, 1, v42
	v_cndmask_b32_e32 v1, v9, v13, vcc
	v_add_co_u32_e32 v44, vcc, v17, v42
	s_waitcnt lgkmcnt(14)
	v_addc_co_u32_e32 v45, vcc, 0, v1, vcc
	global_store_short v[44:45], v43, off
	s_or_b64 exec, exec, s[0:1]
	v_cmp_gt_u32_e32 vcc, s33, v40
	s_and_saveexec_b64 s[0:1], vcc
	s_cbranch_execz .LBB2172_117
.LBB2172_150:
	v_cmp_lt_u32_e32 vcc, v40, v16
	v_cndmask_b32_e32 v17, v8, v11, vcc
	v_lshlrev_b32_e32 v40, 1, v40
	v_cndmask_b32_e32 v1, v9, v13, vcc
	v_add_co_u32_e32 v42, vcc, v17, v40
	s_waitcnt lgkmcnt(14)
	v_addc_co_u32_e32 v43, vcc, 0, v1, vcc
	global_store_short v[42:43], v41, off
	s_or_b64 exec, exec, s[0:1]
	v_cmp_gt_u32_e32 vcc, s33, v38
	s_and_saveexec_b64 s[0:1], vcc
	s_cbranch_execz .LBB2172_118
.LBB2172_151:
	v_cmp_lt_u32_e32 vcc, v38, v16
	v_cndmask_b32_e32 v17, v8, v11, vcc
	v_lshlrev_b32_e32 v38, 1, v38
	v_cndmask_b32_e32 v1, v9, v13, vcc
	v_add_co_u32_e32 v40, vcc, v17, v38
	s_waitcnt lgkmcnt(14)
	v_addc_co_u32_e32 v41, vcc, 0, v1, vcc
	global_store_short v[40:41], v39, off
	s_or_b64 exec, exec, s[0:1]
	v_cmp_gt_u32_e32 vcc, s33, v36
	s_and_saveexec_b64 s[0:1], vcc
	s_cbranch_execz .LBB2172_119
.LBB2172_152:
	v_cmp_lt_u32_e32 vcc, v36, v16
	v_cndmask_b32_e32 v17, v8, v11, vcc
	v_lshlrev_b32_e32 v36, 1, v36
	v_cndmask_b32_e32 v1, v9, v13, vcc
	v_add_co_u32_e32 v38, vcc, v17, v36
	s_waitcnt lgkmcnt(14)
	v_addc_co_u32_e32 v39, vcc, 0, v1, vcc
	s_waitcnt lgkmcnt(13)
	global_store_short v[38:39], v37, off
	s_or_b64 exec, exec, s[0:1]
	v_cmp_gt_u32_e32 vcc, s33, v33
	s_and_saveexec_b64 s[0:1], vcc
	s_cbranch_execz .LBB2172_120
.LBB2172_153:
	v_cmp_lt_u32_e32 vcc, v33, v16
	v_cndmask_b32_e32 v17, v8, v11, vcc
	v_lshlrev_b32_e32 v33, 1, v33
	v_cndmask_b32_e32 v1, v9, v13, vcc
	v_add_co_u32_e32 v36, vcc, v17, v33
	s_waitcnt lgkmcnt(13)
	v_addc_co_u32_e32 v37, vcc, 0, v1, vcc
	s_waitcnt lgkmcnt(12)
	global_store_short v[36:37], v35, off
	s_or_b64 exec, exec, s[0:1]
	v_cmp_gt_u32_e32 vcc, s33, v32
	s_and_saveexec_b64 s[0:1], vcc
	s_cbranch_execz .LBB2172_121
.LBB2172_154:
	v_cmp_lt_u32_e32 vcc, v32, v16
	v_cndmask_b32_e32 v17, v8, v11, vcc
	v_lshlrev_b32_e32 v32, 1, v32
	v_cndmask_b32_e32 v1, v9, v13, vcc
	v_add_co_u32_e32 v32, vcc, v17, v32
	v_addc_co_u32_e32 v33, vcc, 0, v1, vcc
	s_waitcnt lgkmcnt(11)
	global_store_short v[32:33], v34, off
	s_or_b64 exec, exec, s[0:1]
	v_cmp_gt_u32_e32 vcc, s33, v30
	s_and_saveexec_b64 s[0:1], vcc
	s_cbranch_execz .LBB2172_122
.LBB2172_155:
	v_cmp_lt_u32_e32 vcc, v30, v16
	v_cndmask_b32_e32 v17, v8, v11, vcc
	v_lshlrev_b32_e32 v30, 1, v30
	v_cndmask_b32_e32 v1, v9, v13, vcc
	v_add_co_u32_e32 v32, vcc, v17, v30
	v_addc_co_u32_e32 v33, vcc, 0, v1, vcc
	s_waitcnt lgkmcnt(10)
	global_store_short v[32:33], v31, off
	s_or_b64 exec, exec, s[0:1]
	v_cmp_gt_u32_e32 vcc, s33, v28
	s_and_saveexec_b64 s[0:1], vcc
	s_cbranch_execz .LBB2172_123
.LBB2172_156:
	v_cmp_lt_u32_e32 vcc, v28, v16
	v_cndmask_b32_e32 v17, v8, v11, vcc
	v_lshlrev_b32_e32 v28, 1, v28
	v_cndmask_b32_e32 v1, v9, v13, vcc
	v_add_co_u32_e32 v30, vcc, v17, v28
	s_waitcnt lgkmcnt(10)
	v_addc_co_u32_e32 v31, vcc, 0, v1, vcc
	s_waitcnt lgkmcnt(9)
	global_store_short v[30:31], v29, off
	s_or_b64 exec, exec, s[0:1]
	v_cmp_gt_u32_e32 vcc, s33, v26
	s_and_saveexec_b64 s[0:1], vcc
	s_cbranch_execz .LBB2172_124
.LBB2172_157:
	v_cmp_lt_u32_e32 vcc, v26, v16
	v_cndmask_b32_e32 v17, v8, v11, vcc
	v_lshlrev_b32_e32 v26, 1, v26
	v_cndmask_b32_e32 v1, v9, v13, vcc
	v_add_co_u32_e32 v28, vcc, v17, v26
	s_waitcnt lgkmcnt(9)
	v_addc_co_u32_e32 v29, vcc, 0, v1, vcc
	s_waitcnt lgkmcnt(8)
	global_store_short v[28:29], v27, off
	s_or_b64 exec, exec, s[0:1]
	v_cmp_gt_u32_e32 vcc, s33, v24
	s_and_saveexec_b64 s[0:1], vcc
	s_cbranch_execz .LBB2172_125
.LBB2172_158:
	v_cmp_lt_u32_e32 vcc, v24, v16
	v_cndmask_b32_e32 v17, v8, v11, vcc
	v_lshlrev_b32_e32 v24, 1, v24
	v_cndmask_b32_e32 v1, v9, v13, vcc
	v_add_co_u32_e32 v26, vcc, v17, v24
	s_waitcnt lgkmcnt(8)
	v_addc_co_u32_e32 v27, vcc, 0, v1, vcc
	s_waitcnt lgkmcnt(7)
	global_store_short v[26:27], v25, off
	s_or_b64 exec, exec, s[0:1]
	v_cmp_gt_u32_e32 vcc, s33, v22
	s_and_saveexec_b64 s[0:1], vcc
	s_cbranch_execz .LBB2172_126
.LBB2172_159:
	v_cmp_lt_u32_e32 vcc, v22, v16
	v_cndmask_b32_e32 v17, v8, v11, vcc
	v_lshlrev_b32_e32 v22, 1, v22
	v_cndmask_b32_e32 v1, v9, v13, vcc
	v_add_co_u32_e32 v24, vcc, v17, v22
	s_waitcnt lgkmcnt(7)
	v_addc_co_u32_e32 v25, vcc, 0, v1, vcc
	s_waitcnt lgkmcnt(6)
	global_store_short v[24:25], v23, off
	s_or_b64 exec, exec, s[0:1]
	v_cmp_gt_u32_e32 vcc, s33, v20
	s_and_saveexec_b64 s[0:1], vcc
	s_cbranch_execz .LBB2172_127
.LBB2172_160:
	v_cmp_lt_u32_e32 vcc, v20, v16
	v_cndmask_b32_e32 v17, v8, v11, vcc
	v_lshlrev_b32_e32 v20, 1, v20
	v_cndmask_b32_e32 v1, v9, v13, vcc
	v_add_co_u32_e32 v22, vcc, v17, v20
	s_waitcnt lgkmcnt(6)
	v_addc_co_u32_e32 v23, vcc, 0, v1, vcc
	s_waitcnt lgkmcnt(5)
	global_store_short v[22:23], v21, off
	s_or_b64 exec, exec, s[0:1]
	v_cmp_gt_u32_e32 vcc, s33, v18
	s_and_saveexec_b64 s[0:1], vcc
	s_cbranch_execz .LBB2172_128
.LBB2172_161:
	v_cmp_lt_u32_e32 vcc, v18, v16
	v_cndmask_b32_e32 v17, v8, v11, vcc
	v_lshlrev_b32_e32 v18, 1, v18
	v_cndmask_b32_e32 v1, v9, v13, vcc
	v_add_co_u32_e32 v20, vcc, v17, v18
	s_waitcnt lgkmcnt(5)
	v_addc_co_u32_e32 v21, vcc, 0, v1, vcc
	s_waitcnt lgkmcnt(4)
	global_store_short v[20:21], v19, off
	s_or_b64 exec, exec, s[0:1]
	v_cmp_gt_u32_e32 vcc, s33, v14
	s_and_saveexec_b64 s[0:1], vcc
	s_cbranch_execz .LBB2172_129
.LBB2172_162:
	v_cmp_lt_u32_e32 vcc, v14, v16
	v_cndmask_b32_e32 v17, v8, v11, vcc
	v_lshlrev_b32_e32 v14, 1, v14
	v_cndmask_b32_e32 v1, v9, v13, vcc
	v_add_co_u32_e32 v18, vcc, v17, v14
	s_waitcnt lgkmcnt(4)
	v_addc_co_u32_e32 v19, vcc, 0, v1, vcc
	s_waitcnt lgkmcnt(3)
	global_store_short v[18:19], v15, off
	s_or_b64 exec, exec, s[0:1]
	v_cmp_gt_u32_e32 vcc, s33, v10
	s_and_saveexec_b64 s[0:1], vcc
	s_cbranch_execz .LBB2172_130
.LBB2172_163:
	v_cmp_lt_u32_e32 vcc, v10, v16
	v_cndmask_b32_e32 v14, v8, v11, vcc
	v_lshlrev_b32_e32 v10, 1, v10
	v_cndmask_b32_e32 v1, v9, v13, vcc
	v_add_co_u32_e32 v14, vcc, v14, v10
	s_waitcnt lgkmcnt(3)
	v_addc_co_u32_e32 v15, vcc, 0, v1, vcc
	s_waitcnt lgkmcnt(2)
	global_store_short v[14:15], v12, off
	s_or_b64 exec, exec, s[0:1]
	v_cmp_gt_u32_e32 vcc, s33, v7
	s_and_saveexec_b64 s[0:1], vcc
	s_cbranch_execnz .LBB2172_131
	s_branch .LBB2172_132
	.section	.rodata,"a",@progbits
	.p2align	6, 0x0
	.amdhsa_kernel _ZN7rocprim17ROCPRIM_400000_NS6detail17trampoline_kernelINS0_14default_configENS1_25partition_config_selectorILNS1_17partition_subalgoE0EtNS0_10empty_typeEbEEZZNS1_14partition_implILS5_0ELb0ES3_jN6thrust23THRUST_200600_302600_NS6detail15normal_iteratorINSA_10device_ptrItEEEEPS6_SG_NS0_5tupleIJSF_SF_EEENSH_IJSG_SG_EEES6_PlJ7is_evenItEEEE10hipError_tPvRmT3_T4_T5_T6_T7_T9_mT8_P12ihipStream_tbDpT10_ENKUlT_T0_E_clISt17integral_constantIbLb0EES16_EEDaS11_S12_EUlS11_E_NS1_11comp_targetILNS1_3genE4ELNS1_11target_archE910ELNS1_3gpuE8ELNS1_3repE0EEENS1_30default_config_static_selectorELNS0_4arch9wavefront6targetE1EEEvT1_
		.amdhsa_group_segment_fixed_size 14344
		.amdhsa_private_segment_fixed_size 0
		.amdhsa_kernarg_size 120
		.amdhsa_user_sgpr_count 6
		.amdhsa_user_sgpr_private_segment_buffer 1
		.amdhsa_user_sgpr_dispatch_ptr 0
		.amdhsa_user_sgpr_queue_ptr 0
		.amdhsa_user_sgpr_kernarg_segment_ptr 1
		.amdhsa_user_sgpr_dispatch_id 0
		.amdhsa_user_sgpr_flat_scratch_init 0
		.amdhsa_user_sgpr_kernarg_preload_length 0
		.amdhsa_user_sgpr_kernarg_preload_offset 0
		.amdhsa_user_sgpr_private_segment_size 0
		.amdhsa_uses_dynamic_stack 0
		.amdhsa_system_sgpr_private_segment_wavefront_offset 0
		.amdhsa_system_sgpr_workgroup_id_x 1
		.amdhsa_system_sgpr_workgroup_id_y 0
		.amdhsa_system_sgpr_workgroup_id_z 0
		.amdhsa_system_sgpr_workgroup_info 0
		.amdhsa_system_vgpr_workitem_id 0
		.amdhsa_next_free_vgpr 114
		.amdhsa_next_free_sgpr 44
		.amdhsa_accum_offset 116
		.amdhsa_reserve_vcc 1
		.amdhsa_reserve_flat_scratch 0
		.amdhsa_float_round_mode_32 0
		.amdhsa_float_round_mode_16_64 0
		.amdhsa_float_denorm_mode_32 3
		.amdhsa_float_denorm_mode_16_64 3
		.amdhsa_dx10_clamp 1
		.amdhsa_ieee_mode 1
		.amdhsa_fp16_overflow 0
		.amdhsa_tg_split 0
		.amdhsa_exception_fp_ieee_invalid_op 0
		.amdhsa_exception_fp_denorm_src 0
		.amdhsa_exception_fp_ieee_div_zero 0
		.amdhsa_exception_fp_ieee_overflow 0
		.amdhsa_exception_fp_ieee_underflow 0
		.amdhsa_exception_fp_ieee_inexact 0
		.amdhsa_exception_int_div_zero 0
	.end_amdhsa_kernel
	.section	.text._ZN7rocprim17ROCPRIM_400000_NS6detail17trampoline_kernelINS0_14default_configENS1_25partition_config_selectorILNS1_17partition_subalgoE0EtNS0_10empty_typeEbEEZZNS1_14partition_implILS5_0ELb0ES3_jN6thrust23THRUST_200600_302600_NS6detail15normal_iteratorINSA_10device_ptrItEEEEPS6_SG_NS0_5tupleIJSF_SF_EEENSH_IJSG_SG_EEES6_PlJ7is_evenItEEEE10hipError_tPvRmT3_T4_T5_T6_T7_T9_mT8_P12ihipStream_tbDpT10_ENKUlT_T0_E_clISt17integral_constantIbLb0EES16_EEDaS11_S12_EUlS11_E_NS1_11comp_targetILNS1_3genE4ELNS1_11target_archE910ELNS1_3gpuE8ELNS1_3repE0EEENS1_30default_config_static_selectorELNS0_4arch9wavefront6targetE1EEEvT1_,"axG",@progbits,_ZN7rocprim17ROCPRIM_400000_NS6detail17trampoline_kernelINS0_14default_configENS1_25partition_config_selectorILNS1_17partition_subalgoE0EtNS0_10empty_typeEbEEZZNS1_14partition_implILS5_0ELb0ES3_jN6thrust23THRUST_200600_302600_NS6detail15normal_iteratorINSA_10device_ptrItEEEEPS6_SG_NS0_5tupleIJSF_SF_EEENSH_IJSG_SG_EEES6_PlJ7is_evenItEEEE10hipError_tPvRmT3_T4_T5_T6_T7_T9_mT8_P12ihipStream_tbDpT10_ENKUlT_T0_E_clISt17integral_constantIbLb0EES16_EEDaS11_S12_EUlS11_E_NS1_11comp_targetILNS1_3genE4ELNS1_11target_archE910ELNS1_3gpuE8ELNS1_3repE0EEENS1_30default_config_static_selectorELNS0_4arch9wavefront6targetE1EEEvT1_,comdat
.Lfunc_end2172:
	.size	_ZN7rocprim17ROCPRIM_400000_NS6detail17trampoline_kernelINS0_14default_configENS1_25partition_config_selectorILNS1_17partition_subalgoE0EtNS0_10empty_typeEbEEZZNS1_14partition_implILS5_0ELb0ES3_jN6thrust23THRUST_200600_302600_NS6detail15normal_iteratorINSA_10device_ptrItEEEEPS6_SG_NS0_5tupleIJSF_SF_EEENSH_IJSG_SG_EEES6_PlJ7is_evenItEEEE10hipError_tPvRmT3_T4_T5_T6_T7_T9_mT8_P12ihipStream_tbDpT10_ENKUlT_T0_E_clISt17integral_constantIbLb0EES16_EEDaS11_S12_EUlS11_E_NS1_11comp_targetILNS1_3genE4ELNS1_11target_archE910ELNS1_3gpuE8ELNS1_3repE0EEENS1_30default_config_static_selectorELNS0_4arch9wavefront6targetE1EEEvT1_, .Lfunc_end2172-_ZN7rocprim17ROCPRIM_400000_NS6detail17trampoline_kernelINS0_14default_configENS1_25partition_config_selectorILNS1_17partition_subalgoE0EtNS0_10empty_typeEbEEZZNS1_14partition_implILS5_0ELb0ES3_jN6thrust23THRUST_200600_302600_NS6detail15normal_iteratorINSA_10device_ptrItEEEEPS6_SG_NS0_5tupleIJSF_SF_EEENSH_IJSG_SG_EEES6_PlJ7is_evenItEEEE10hipError_tPvRmT3_T4_T5_T6_T7_T9_mT8_P12ihipStream_tbDpT10_ENKUlT_T0_E_clISt17integral_constantIbLb0EES16_EEDaS11_S12_EUlS11_E_NS1_11comp_targetILNS1_3genE4ELNS1_11target_archE910ELNS1_3gpuE8ELNS1_3repE0EEENS1_30default_config_static_selectorELNS0_4arch9wavefront6targetE1EEEvT1_
                                        ; -- End function
	.section	.AMDGPU.csdata,"",@progbits
; Kernel info:
; codeLenInByte = 9912
; NumSgprs: 48
; NumVgprs: 114
; NumAgprs: 0
; TotalNumVgprs: 114
; ScratchSize: 0
; MemoryBound: 0
; FloatMode: 240
; IeeeMode: 1
; LDSByteSize: 14344 bytes/workgroup (compile time only)
; SGPRBlocks: 5
; VGPRBlocks: 14
; NumSGPRsForWavesPerEU: 48
; NumVGPRsForWavesPerEU: 114
; AccumOffset: 116
; Occupancy: 4
; WaveLimiterHint : 1
; COMPUTE_PGM_RSRC2:SCRATCH_EN: 0
; COMPUTE_PGM_RSRC2:USER_SGPR: 6
; COMPUTE_PGM_RSRC2:TRAP_HANDLER: 0
; COMPUTE_PGM_RSRC2:TGID_X_EN: 1
; COMPUTE_PGM_RSRC2:TGID_Y_EN: 0
; COMPUTE_PGM_RSRC2:TGID_Z_EN: 0
; COMPUTE_PGM_RSRC2:TIDIG_COMP_CNT: 0
; COMPUTE_PGM_RSRC3_GFX90A:ACCUM_OFFSET: 28
; COMPUTE_PGM_RSRC3_GFX90A:TG_SPLIT: 0
	.section	.text._ZN7rocprim17ROCPRIM_400000_NS6detail17trampoline_kernelINS0_14default_configENS1_25partition_config_selectorILNS1_17partition_subalgoE0EtNS0_10empty_typeEbEEZZNS1_14partition_implILS5_0ELb0ES3_jN6thrust23THRUST_200600_302600_NS6detail15normal_iteratorINSA_10device_ptrItEEEEPS6_SG_NS0_5tupleIJSF_SF_EEENSH_IJSG_SG_EEES6_PlJ7is_evenItEEEE10hipError_tPvRmT3_T4_T5_T6_T7_T9_mT8_P12ihipStream_tbDpT10_ENKUlT_T0_E_clISt17integral_constantIbLb0EES16_EEDaS11_S12_EUlS11_E_NS1_11comp_targetILNS1_3genE3ELNS1_11target_archE908ELNS1_3gpuE7ELNS1_3repE0EEENS1_30default_config_static_selectorELNS0_4arch9wavefront6targetE1EEEvT1_,"axG",@progbits,_ZN7rocprim17ROCPRIM_400000_NS6detail17trampoline_kernelINS0_14default_configENS1_25partition_config_selectorILNS1_17partition_subalgoE0EtNS0_10empty_typeEbEEZZNS1_14partition_implILS5_0ELb0ES3_jN6thrust23THRUST_200600_302600_NS6detail15normal_iteratorINSA_10device_ptrItEEEEPS6_SG_NS0_5tupleIJSF_SF_EEENSH_IJSG_SG_EEES6_PlJ7is_evenItEEEE10hipError_tPvRmT3_T4_T5_T6_T7_T9_mT8_P12ihipStream_tbDpT10_ENKUlT_T0_E_clISt17integral_constantIbLb0EES16_EEDaS11_S12_EUlS11_E_NS1_11comp_targetILNS1_3genE3ELNS1_11target_archE908ELNS1_3gpuE7ELNS1_3repE0EEENS1_30default_config_static_selectorELNS0_4arch9wavefront6targetE1EEEvT1_,comdat
	.protected	_ZN7rocprim17ROCPRIM_400000_NS6detail17trampoline_kernelINS0_14default_configENS1_25partition_config_selectorILNS1_17partition_subalgoE0EtNS0_10empty_typeEbEEZZNS1_14partition_implILS5_0ELb0ES3_jN6thrust23THRUST_200600_302600_NS6detail15normal_iteratorINSA_10device_ptrItEEEEPS6_SG_NS0_5tupleIJSF_SF_EEENSH_IJSG_SG_EEES6_PlJ7is_evenItEEEE10hipError_tPvRmT3_T4_T5_T6_T7_T9_mT8_P12ihipStream_tbDpT10_ENKUlT_T0_E_clISt17integral_constantIbLb0EES16_EEDaS11_S12_EUlS11_E_NS1_11comp_targetILNS1_3genE3ELNS1_11target_archE908ELNS1_3gpuE7ELNS1_3repE0EEENS1_30default_config_static_selectorELNS0_4arch9wavefront6targetE1EEEvT1_ ; -- Begin function _ZN7rocprim17ROCPRIM_400000_NS6detail17trampoline_kernelINS0_14default_configENS1_25partition_config_selectorILNS1_17partition_subalgoE0EtNS0_10empty_typeEbEEZZNS1_14partition_implILS5_0ELb0ES3_jN6thrust23THRUST_200600_302600_NS6detail15normal_iteratorINSA_10device_ptrItEEEEPS6_SG_NS0_5tupleIJSF_SF_EEENSH_IJSG_SG_EEES6_PlJ7is_evenItEEEE10hipError_tPvRmT3_T4_T5_T6_T7_T9_mT8_P12ihipStream_tbDpT10_ENKUlT_T0_E_clISt17integral_constantIbLb0EES16_EEDaS11_S12_EUlS11_E_NS1_11comp_targetILNS1_3genE3ELNS1_11target_archE908ELNS1_3gpuE7ELNS1_3repE0EEENS1_30default_config_static_selectorELNS0_4arch9wavefront6targetE1EEEvT1_
	.globl	_ZN7rocprim17ROCPRIM_400000_NS6detail17trampoline_kernelINS0_14default_configENS1_25partition_config_selectorILNS1_17partition_subalgoE0EtNS0_10empty_typeEbEEZZNS1_14partition_implILS5_0ELb0ES3_jN6thrust23THRUST_200600_302600_NS6detail15normal_iteratorINSA_10device_ptrItEEEEPS6_SG_NS0_5tupleIJSF_SF_EEENSH_IJSG_SG_EEES6_PlJ7is_evenItEEEE10hipError_tPvRmT3_T4_T5_T6_T7_T9_mT8_P12ihipStream_tbDpT10_ENKUlT_T0_E_clISt17integral_constantIbLb0EES16_EEDaS11_S12_EUlS11_E_NS1_11comp_targetILNS1_3genE3ELNS1_11target_archE908ELNS1_3gpuE7ELNS1_3repE0EEENS1_30default_config_static_selectorELNS0_4arch9wavefront6targetE1EEEvT1_
	.p2align	8
	.type	_ZN7rocprim17ROCPRIM_400000_NS6detail17trampoline_kernelINS0_14default_configENS1_25partition_config_selectorILNS1_17partition_subalgoE0EtNS0_10empty_typeEbEEZZNS1_14partition_implILS5_0ELb0ES3_jN6thrust23THRUST_200600_302600_NS6detail15normal_iteratorINSA_10device_ptrItEEEEPS6_SG_NS0_5tupleIJSF_SF_EEENSH_IJSG_SG_EEES6_PlJ7is_evenItEEEE10hipError_tPvRmT3_T4_T5_T6_T7_T9_mT8_P12ihipStream_tbDpT10_ENKUlT_T0_E_clISt17integral_constantIbLb0EES16_EEDaS11_S12_EUlS11_E_NS1_11comp_targetILNS1_3genE3ELNS1_11target_archE908ELNS1_3gpuE7ELNS1_3repE0EEENS1_30default_config_static_selectorELNS0_4arch9wavefront6targetE1EEEvT1_,@function
_ZN7rocprim17ROCPRIM_400000_NS6detail17trampoline_kernelINS0_14default_configENS1_25partition_config_selectorILNS1_17partition_subalgoE0EtNS0_10empty_typeEbEEZZNS1_14partition_implILS5_0ELb0ES3_jN6thrust23THRUST_200600_302600_NS6detail15normal_iteratorINSA_10device_ptrItEEEEPS6_SG_NS0_5tupleIJSF_SF_EEENSH_IJSG_SG_EEES6_PlJ7is_evenItEEEE10hipError_tPvRmT3_T4_T5_T6_T7_T9_mT8_P12ihipStream_tbDpT10_ENKUlT_T0_E_clISt17integral_constantIbLb0EES16_EEDaS11_S12_EUlS11_E_NS1_11comp_targetILNS1_3genE3ELNS1_11target_archE908ELNS1_3gpuE7ELNS1_3repE0EEENS1_30default_config_static_selectorELNS0_4arch9wavefront6targetE1EEEvT1_: ; @_ZN7rocprim17ROCPRIM_400000_NS6detail17trampoline_kernelINS0_14default_configENS1_25partition_config_selectorILNS1_17partition_subalgoE0EtNS0_10empty_typeEbEEZZNS1_14partition_implILS5_0ELb0ES3_jN6thrust23THRUST_200600_302600_NS6detail15normal_iteratorINSA_10device_ptrItEEEEPS6_SG_NS0_5tupleIJSF_SF_EEENSH_IJSG_SG_EEES6_PlJ7is_evenItEEEE10hipError_tPvRmT3_T4_T5_T6_T7_T9_mT8_P12ihipStream_tbDpT10_ENKUlT_T0_E_clISt17integral_constantIbLb0EES16_EEDaS11_S12_EUlS11_E_NS1_11comp_targetILNS1_3genE3ELNS1_11target_archE908ELNS1_3gpuE7ELNS1_3repE0EEENS1_30default_config_static_selectorELNS0_4arch9wavefront6targetE1EEEvT1_
; %bb.0:
	.section	.rodata,"a",@progbits
	.p2align	6, 0x0
	.amdhsa_kernel _ZN7rocprim17ROCPRIM_400000_NS6detail17trampoline_kernelINS0_14default_configENS1_25partition_config_selectorILNS1_17partition_subalgoE0EtNS0_10empty_typeEbEEZZNS1_14partition_implILS5_0ELb0ES3_jN6thrust23THRUST_200600_302600_NS6detail15normal_iteratorINSA_10device_ptrItEEEEPS6_SG_NS0_5tupleIJSF_SF_EEENSH_IJSG_SG_EEES6_PlJ7is_evenItEEEE10hipError_tPvRmT3_T4_T5_T6_T7_T9_mT8_P12ihipStream_tbDpT10_ENKUlT_T0_E_clISt17integral_constantIbLb0EES16_EEDaS11_S12_EUlS11_E_NS1_11comp_targetILNS1_3genE3ELNS1_11target_archE908ELNS1_3gpuE7ELNS1_3repE0EEENS1_30default_config_static_selectorELNS0_4arch9wavefront6targetE1EEEvT1_
		.amdhsa_group_segment_fixed_size 0
		.amdhsa_private_segment_fixed_size 0
		.amdhsa_kernarg_size 120
		.amdhsa_user_sgpr_count 6
		.amdhsa_user_sgpr_private_segment_buffer 1
		.amdhsa_user_sgpr_dispatch_ptr 0
		.amdhsa_user_sgpr_queue_ptr 0
		.amdhsa_user_sgpr_kernarg_segment_ptr 1
		.amdhsa_user_sgpr_dispatch_id 0
		.amdhsa_user_sgpr_flat_scratch_init 0
		.amdhsa_user_sgpr_kernarg_preload_length 0
		.amdhsa_user_sgpr_kernarg_preload_offset 0
		.amdhsa_user_sgpr_private_segment_size 0
		.amdhsa_uses_dynamic_stack 0
		.amdhsa_system_sgpr_private_segment_wavefront_offset 0
		.amdhsa_system_sgpr_workgroup_id_x 1
		.amdhsa_system_sgpr_workgroup_id_y 0
		.amdhsa_system_sgpr_workgroup_id_z 0
		.amdhsa_system_sgpr_workgroup_info 0
		.amdhsa_system_vgpr_workitem_id 0
		.amdhsa_next_free_vgpr 1
		.amdhsa_next_free_sgpr 0
		.amdhsa_accum_offset 4
		.amdhsa_reserve_vcc 0
		.amdhsa_reserve_flat_scratch 0
		.amdhsa_float_round_mode_32 0
		.amdhsa_float_round_mode_16_64 0
		.amdhsa_float_denorm_mode_32 3
		.amdhsa_float_denorm_mode_16_64 3
		.amdhsa_dx10_clamp 1
		.amdhsa_ieee_mode 1
		.amdhsa_fp16_overflow 0
		.amdhsa_tg_split 0
		.amdhsa_exception_fp_ieee_invalid_op 0
		.amdhsa_exception_fp_denorm_src 0
		.amdhsa_exception_fp_ieee_div_zero 0
		.amdhsa_exception_fp_ieee_overflow 0
		.amdhsa_exception_fp_ieee_underflow 0
		.amdhsa_exception_fp_ieee_inexact 0
		.amdhsa_exception_int_div_zero 0
	.end_amdhsa_kernel
	.section	.text._ZN7rocprim17ROCPRIM_400000_NS6detail17trampoline_kernelINS0_14default_configENS1_25partition_config_selectorILNS1_17partition_subalgoE0EtNS0_10empty_typeEbEEZZNS1_14partition_implILS5_0ELb0ES3_jN6thrust23THRUST_200600_302600_NS6detail15normal_iteratorINSA_10device_ptrItEEEEPS6_SG_NS0_5tupleIJSF_SF_EEENSH_IJSG_SG_EEES6_PlJ7is_evenItEEEE10hipError_tPvRmT3_T4_T5_T6_T7_T9_mT8_P12ihipStream_tbDpT10_ENKUlT_T0_E_clISt17integral_constantIbLb0EES16_EEDaS11_S12_EUlS11_E_NS1_11comp_targetILNS1_3genE3ELNS1_11target_archE908ELNS1_3gpuE7ELNS1_3repE0EEENS1_30default_config_static_selectorELNS0_4arch9wavefront6targetE1EEEvT1_,"axG",@progbits,_ZN7rocprim17ROCPRIM_400000_NS6detail17trampoline_kernelINS0_14default_configENS1_25partition_config_selectorILNS1_17partition_subalgoE0EtNS0_10empty_typeEbEEZZNS1_14partition_implILS5_0ELb0ES3_jN6thrust23THRUST_200600_302600_NS6detail15normal_iteratorINSA_10device_ptrItEEEEPS6_SG_NS0_5tupleIJSF_SF_EEENSH_IJSG_SG_EEES6_PlJ7is_evenItEEEE10hipError_tPvRmT3_T4_T5_T6_T7_T9_mT8_P12ihipStream_tbDpT10_ENKUlT_T0_E_clISt17integral_constantIbLb0EES16_EEDaS11_S12_EUlS11_E_NS1_11comp_targetILNS1_3genE3ELNS1_11target_archE908ELNS1_3gpuE7ELNS1_3repE0EEENS1_30default_config_static_selectorELNS0_4arch9wavefront6targetE1EEEvT1_,comdat
.Lfunc_end2173:
	.size	_ZN7rocprim17ROCPRIM_400000_NS6detail17trampoline_kernelINS0_14default_configENS1_25partition_config_selectorILNS1_17partition_subalgoE0EtNS0_10empty_typeEbEEZZNS1_14partition_implILS5_0ELb0ES3_jN6thrust23THRUST_200600_302600_NS6detail15normal_iteratorINSA_10device_ptrItEEEEPS6_SG_NS0_5tupleIJSF_SF_EEENSH_IJSG_SG_EEES6_PlJ7is_evenItEEEE10hipError_tPvRmT3_T4_T5_T6_T7_T9_mT8_P12ihipStream_tbDpT10_ENKUlT_T0_E_clISt17integral_constantIbLb0EES16_EEDaS11_S12_EUlS11_E_NS1_11comp_targetILNS1_3genE3ELNS1_11target_archE908ELNS1_3gpuE7ELNS1_3repE0EEENS1_30default_config_static_selectorELNS0_4arch9wavefront6targetE1EEEvT1_, .Lfunc_end2173-_ZN7rocprim17ROCPRIM_400000_NS6detail17trampoline_kernelINS0_14default_configENS1_25partition_config_selectorILNS1_17partition_subalgoE0EtNS0_10empty_typeEbEEZZNS1_14partition_implILS5_0ELb0ES3_jN6thrust23THRUST_200600_302600_NS6detail15normal_iteratorINSA_10device_ptrItEEEEPS6_SG_NS0_5tupleIJSF_SF_EEENSH_IJSG_SG_EEES6_PlJ7is_evenItEEEE10hipError_tPvRmT3_T4_T5_T6_T7_T9_mT8_P12ihipStream_tbDpT10_ENKUlT_T0_E_clISt17integral_constantIbLb0EES16_EEDaS11_S12_EUlS11_E_NS1_11comp_targetILNS1_3genE3ELNS1_11target_archE908ELNS1_3gpuE7ELNS1_3repE0EEENS1_30default_config_static_selectorELNS0_4arch9wavefront6targetE1EEEvT1_
                                        ; -- End function
	.section	.AMDGPU.csdata,"",@progbits
; Kernel info:
; codeLenInByte = 0
; NumSgprs: 4
; NumVgprs: 0
; NumAgprs: 0
; TotalNumVgprs: 0
; ScratchSize: 0
; MemoryBound: 0
; FloatMode: 240
; IeeeMode: 1
; LDSByteSize: 0 bytes/workgroup (compile time only)
; SGPRBlocks: 0
; VGPRBlocks: 0
; NumSGPRsForWavesPerEU: 4
; NumVGPRsForWavesPerEU: 1
; AccumOffset: 4
; Occupancy: 8
; WaveLimiterHint : 0
; COMPUTE_PGM_RSRC2:SCRATCH_EN: 0
; COMPUTE_PGM_RSRC2:USER_SGPR: 6
; COMPUTE_PGM_RSRC2:TRAP_HANDLER: 0
; COMPUTE_PGM_RSRC2:TGID_X_EN: 1
; COMPUTE_PGM_RSRC2:TGID_Y_EN: 0
; COMPUTE_PGM_RSRC2:TGID_Z_EN: 0
; COMPUTE_PGM_RSRC2:TIDIG_COMP_CNT: 0
; COMPUTE_PGM_RSRC3_GFX90A:ACCUM_OFFSET: 0
; COMPUTE_PGM_RSRC3_GFX90A:TG_SPLIT: 0
	.section	.text._ZN7rocprim17ROCPRIM_400000_NS6detail17trampoline_kernelINS0_14default_configENS1_25partition_config_selectorILNS1_17partition_subalgoE0EtNS0_10empty_typeEbEEZZNS1_14partition_implILS5_0ELb0ES3_jN6thrust23THRUST_200600_302600_NS6detail15normal_iteratorINSA_10device_ptrItEEEEPS6_SG_NS0_5tupleIJSF_SF_EEENSH_IJSG_SG_EEES6_PlJ7is_evenItEEEE10hipError_tPvRmT3_T4_T5_T6_T7_T9_mT8_P12ihipStream_tbDpT10_ENKUlT_T0_E_clISt17integral_constantIbLb0EES16_EEDaS11_S12_EUlS11_E_NS1_11comp_targetILNS1_3genE2ELNS1_11target_archE906ELNS1_3gpuE6ELNS1_3repE0EEENS1_30default_config_static_selectorELNS0_4arch9wavefront6targetE1EEEvT1_,"axG",@progbits,_ZN7rocprim17ROCPRIM_400000_NS6detail17trampoline_kernelINS0_14default_configENS1_25partition_config_selectorILNS1_17partition_subalgoE0EtNS0_10empty_typeEbEEZZNS1_14partition_implILS5_0ELb0ES3_jN6thrust23THRUST_200600_302600_NS6detail15normal_iteratorINSA_10device_ptrItEEEEPS6_SG_NS0_5tupleIJSF_SF_EEENSH_IJSG_SG_EEES6_PlJ7is_evenItEEEE10hipError_tPvRmT3_T4_T5_T6_T7_T9_mT8_P12ihipStream_tbDpT10_ENKUlT_T0_E_clISt17integral_constantIbLb0EES16_EEDaS11_S12_EUlS11_E_NS1_11comp_targetILNS1_3genE2ELNS1_11target_archE906ELNS1_3gpuE6ELNS1_3repE0EEENS1_30default_config_static_selectorELNS0_4arch9wavefront6targetE1EEEvT1_,comdat
	.protected	_ZN7rocprim17ROCPRIM_400000_NS6detail17trampoline_kernelINS0_14default_configENS1_25partition_config_selectorILNS1_17partition_subalgoE0EtNS0_10empty_typeEbEEZZNS1_14partition_implILS5_0ELb0ES3_jN6thrust23THRUST_200600_302600_NS6detail15normal_iteratorINSA_10device_ptrItEEEEPS6_SG_NS0_5tupleIJSF_SF_EEENSH_IJSG_SG_EEES6_PlJ7is_evenItEEEE10hipError_tPvRmT3_T4_T5_T6_T7_T9_mT8_P12ihipStream_tbDpT10_ENKUlT_T0_E_clISt17integral_constantIbLb0EES16_EEDaS11_S12_EUlS11_E_NS1_11comp_targetILNS1_3genE2ELNS1_11target_archE906ELNS1_3gpuE6ELNS1_3repE0EEENS1_30default_config_static_selectorELNS0_4arch9wavefront6targetE1EEEvT1_ ; -- Begin function _ZN7rocprim17ROCPRIM_400000_NS6detail17trampoline_kernelINS0_14default_configENS1_25partition_config_selectorILNS1_17partition_subalgoE0EtNS0_10empty_typeEbEEZZNS1_14partition_implILS5_0ELb0ES3_jN6thrust23THRUST_200600_302600_NS6detail15normal_iteratorINSA_10device_ptrItEEEEPS6_SG_NS0_5tupleIJSF_SF_EEENSH_IJSG_SG_EEES6_PlJ7is_evenItEEEE10hipError_tPvRmT3_T4_T5_T6_T7_T9_mT8_P12ihipStream_tbDpT10_ENKUlT_T0_E_clISt17integral_constantIbLb0EES16_EEDaS11_S12_EUlS11_E_NS1_11comp_targetILNS1_3genE2ELNS1_11target_archE906ELNS1_3gpuE6ELNS1_3repE0EEENS1_30default_config_static_selectorELNS0_4arch9wavefront6targetE1EEEvT1_
	.globl	_ZN7rocprim17ROCPRIM_400000_NS6detail17trampoline_kernelINS0_14default_configENS1_25partition_config_selectorILNS1_17partition_subalgoE0EtNS0_10empty_typeEbEEZZNS1_14partition_implILS5_0ELb0ES3_jN6thrust23THRUST_200600_302600_NS6detail15normal_iteratorINSA_10device_ptrItEEEEPS6_SG_NS0_5tupleIJSF_SF_EEENSH_IJSG_SG_EEES6_PlJ7is_evenItEEEE10hipError_tPvRmT3_T4_T5_T6_T7_T9_mT8_P12ihipStream_tbDpT10_ENKUlT_T0_E_clISt17integral_constantIbLb0EES16_EEDaS11_S12_EUlS11_E_NS1_11comp_targetILNS1_3genE2ELNS1_11target_archE906ELNS1_3gpuE6ELNS1_3repE0EEENS1_30default_config_static_selectorELNS0_4arch9wavefront6targetE1EEEvT1_
	.p2align	8
	.type	_ZN7rocprim17ROCPRIM_400000_NS6detail17trampoline_kernelINS0_14default_configENS1_25partition_config_selectorILNS1_17partition_subalgoE0EtNS0_10empty_typeEbEEZZNS1_14partition_implILS5_0ELb0ES3_jN6thrust23THRUST_200600_302600_NS6detail15normal_iteratorINSA_10device_ptrItEEEEPS6_SG_NS0_5tupleIJSF_SF_EEENSH_IJSG_SG_EEES6_PlJ7is_evenItEEEE10hipError_tPvRmT3_T4_T5_T6_T7_T9_mT8_P12ihipStream_tbDpT10_ENKUlT_T0_E_clISt17integral_constantIbLb0EES16_EEDaS11_S12_EUlS11_E_NS1_11comp_targetILNS1_3genE2ELNS1_11target_archE906ELNS1_3gpuE6ELNS1_3repE0EEENS1_30default_config_static_selectorELNS0_4arch9wavefront6targetE1EEEvT1_,@function
_ZN7rocprim17ROCPRIM_400000_NS6detail17trampoline_kernelINS0_14default_configENS1_25partition_config_selectorILNS1_17partition_subalgoE0EtNS0_10empty_typeEbEEZZNS1_14partition_implILS5_0ELb0ES3_jN6thrust23THRUST_200600_302600_NS6detail15normal_iteratorINSA_10device_ptrItEEEEPS6_SG_NS0_5tupleIJSF_SF_EEENSH_IJSG_SG_EEES6_PlJ7is_evenItEEEE10hipError_tPvRmT3_T4_T5_T6_T7_T9_mT8_P12ihipStream_tbDpT10_ENKUlT_T0_E_clISt17integral_constantIbLb0EES16_EEDaS11_S12_EUlS11_E_NS1_11comp_targetILNS1_3genE2ELNS1_11target_archE906ELNS1_3gpuE6ELNS1_3repE0EEENS1_30default_config_static_selectorELNS0_4arch9wavefront6targetE1EEEvT1_: ; @_ZN7rocprim17ROCPRIM_400000_NS6detail17trampoline_kernelINS0_14default_configENS1_25partition_config_selectorILNS1_17partition_subalgoE0EtNS0_10empty_typeEbEEZZNS1_14partition_implILS5_0ELb0ES3_jN6thrust23THRUST_200600_302600_NS6detail15normal_iteratorINSA_10device_ptrItEEEEPS6_SG_NS0_5tupleIJSF_SF_EEENSH_IJSG_SG_EEES6_PlJ7is_evenItEEEE10hipError_tPvRmT3_T4_T5_T6_T7_T9_mT8_P12ihipStream_tbDpT10_ENKUlT_T0_E_clISt17integral_constantIbLb0EES16_EEDaS11_S12_EUlS11_E_NS1_11comp_targetILNS1_3genE2ELNS1_11target_archE906ELNS1_3gpuE6ELNS1_3repE0EEENS1_30default_config_static_selectorELNS0_4arch9wavefront6targetE1EEEvT1_
; %bb.0:
	.section	.rodata,"a",@progbits
	.p2align	6, 0x0
	.amdhsa_kernel _ZN7rocprim17ROCPRIM_400000_NS6detail17trampoline_kernelINS0_14default_configENS1_25partition_config_selectorILNS1_17partition_subalgoE0EtNS0_10empty_typeEbEEZZNS1_14partition_implILS5_0ELb0ES3_jN6thrust23THRUST_200600_302600_NS6detail15normal_iteratorINSA_10device_ptrItEEEEPS6_SG_NS0_5tupleIJSF_SF_EEENSH_IJSG_SG_EEES6_PlJ7is_evenItEEEE10hipError_tPvRmT3_T4_T5_T6_T7_T9_mT8_P12ihipStream_tbDpT10_ENKUlT_T0_E_clISt17integral_constantIbLb0EES16_EEDaS11_S12_EUlS11_E_NS1_11comp_targetILNS1_3genE2ELNS1_11target_archE906ELNS1_3gpuE6ELNS1_3repE0EEENS1_30default_config_static_selectorELNS0_4arch9wavefront6targetE1EEEvT1_
		.amdhsa_group_segment_fixed_size 0
		.amdhsa_private_segment_fixed_size 0
		.amdhsa_kernarg_size 120
		.amdhsa_user_sgpr_count 6
		.amdhsa_user_sgpr_private_segment_buffer 1
		.amdhsa_user_sgpr_dispatch_ptr 0
		.amdhsa_user_sgpr_queue_ptr 0
		.amdhsa_user_sgpr_kernarg_segment_ptr 1
		.amdhsa_user_sgpr_dispatch_id 0
		.amdhsa_user_sgpr_flat_scratch_init 0
		.amdhsa_user_sgpr_kernarg_preload_length 0
		.amdhsa_user_sgpr_kernarg_preload_offset 0
		.amdhsa_user_sgpr_private_segment_size 0
		.amdhsa_uses_dynamic_stack 0
		.amdhsa_system_sgpr_private_segment_wavefront_offset 0
		.amdhsa_system_sgpr_workgroup_id_x 1
		.amdhsa_system_sgpr_workgroup_id_y 0
		.amdhsa_system_sgpr_workgroup_id_z 0
		.amdhsa_system_sgpr_workgroup_info 0
		.amdhsa_system_vgpr_workitem_id 0
		.amdhsa_next_free_vgpr 1
		.amdhsa_next_free_sgpr 0
		.amdhsa_accum_offset 4
		.amdhsa_reserve_vcc 0
		.amdhsa_reserve_flat_scratch 0
		.amdhsa_float_round_mode_32 0
		.amdhsa_float_round_mode_16_64 0
		.amdhsa_float_denorm_mode_32 3
		.amdhsa_float_denorm_mode_16_64 3
		.amdhsa_dx10_clamp 1
		.amdhsa_ieee_mode 1
		.amdhsa_fp16_overflow 0
		.amdhsa_tg_split 0
		.amdhsa_exception_fp_ieee_invalid_op 0
		.amdhsa_exception_fp_denorm_src 0
		.amdhsa_exception_fp_ieee_div_zero 0
		.amdhsa_exception_fp_ieee_overflow 0
		.amdhsa_exception_fp_ieee_underflow 0
		.amdhsa_exception_fp_ieee_inexact 0
		.amdhsa_exception_int_div_zero 0
	.end_amdhsa_kernel
	.section	.text._ZN7rocprim17ROCPRIM_400000_NS6detail17trampoline_kernelINS0_14default_configENS1_25partition_config_selectorILNS1_17partition_subalgoE0EtNS0_10empty_typeEbEEZZNS1_14partition_implILS5_0ELb0ES3_jN6thrust23THRUST_200600_302600_NS6detail15normal_iteratorINSA_10device_ptrItEEEEPS6_SG_NS0_5tupleIJSF_SF_EEENSH_IJSG_SG_EEES6_PlJ7is_evenItEEEE10hipError_tPvRmT3_T4_T5_T6_T7_T9_mT8_P12ihipStream_tbDpT10_ENKUlT_T0_E_clISt17integral_constantIbLb0EES16_EEDaS11_S12_EUlS11_E_NS1_11comp_targetILNS1_3genE2ELNS1_11target_archE906ELNS1_3gpuE6ELNS1_3repE0EEENS1_30default_config_static_selectorELNS0_4arch9wavefront6targetE1EEEvT1_,"axG",@progbits,_ZN7rocprim17ROCPRIM_400000_NS6detail17trampoline_kernelINS0_14default_configENS1_25partition_config_selectorILNS1_17partition_subalgoE0EtNS0_10empty_typeEbEEZZNS1_14partition_implILS5_0ELb0ES3_jN6thrust23THRUST_200600_302600_NS6detail15normal_iteratorINSA_10device_ptrItEEEEPS6_SG_NS0_5tupleIJSF_SF_EEENSH_IJSG_SG_EEES6_PlJ7is_evenItEEEE10hipError_tPvRmT3_T4_T5_T6_T7_T9_mT8_P12ihipStream_tbDpT10_ENKUlT_T0_E_clISt17integral_constantIbLb0EES16_EEDaS11_S12_EUlS11_E_NS1_11comp_targetILNS1_3genE2ELNS1_11target_archE906ELNS1_3gpuE6ELNS1_3repE0EEENS1_30default_config_static_selectorELNS0_4arch9wavefront6targetE1EEEvT1_,comdat
.Lfunc_end2174:
	.size	_ZN7rocprim17ROCPRIM_400000_NS6detail17trampoline_kernelINS0_14default_configENS1_25partition_config_selectorILNS1_17partition_subalgoE0EtNS0_10empty_typeEbEEZZNS1_14partition_implILS5_0ELb0ES3_jN6thrust23THRUST_200600_302600_NS6detail15normal_iteratorINSA_10device_ptrItEEEEPS6_SG_NS0_5tupleIJSF_SF_EEENSH_IJSG_SG_EEES6_PlJ7is_evenItEEEE10hipError_tPvRmT3_T4_T5_T6_T7_T9_mT8_P12ihipStream_tbDpT10_ENKUlT_T0_E_clISt17integral_constantIbLb0EES16_EEDaS11_S12_EUlS11_E_NS1_11comp_targetILNS1_3genE2ELNS1_11target_archE906ELNS1_3gpuE6ELNS1_3repE0EEENS1_30default_config_static_selectorELNS0_4arch9wavefront6targetE1EEEvT1_, .Lfunc_end2174-_ZN7rocprim17ROCPRIM_400000_NS6detail17trampoline_kernelINS0_14default_configENS1_25partition_config_selectorILNS1_17partition_subalgoE0EtNS0_10empty_typeEbEEZZNS1_14partition_implILS5_0ELb0ES3_jN6thrust23THRUST_200600_302600_NS6detail15normal_iteratorINSA_10device_ptrItEEEEPS6_SG_NS0_5tupleIJSF_SF_EEENSH_IJSG_SG_EEES6_PlJ7is_evenItEEEE10hipError_tPvRmT3_T4_T5_T6_T7_T9_mT8_P12ihipStream_tbDpT10_ENKUlT_T0_E_clISt17integral_constantIbLb0EES16_EEDaS11_S12_EUlS11_E_NS1_11comp_targetILNS1_3genE2ELNS1_11target_archE906ELNS1_3gpuE6ELNS1_3repE0EEENS1_30default_config_static_selectorELNS0_4arch9wavefront6targetE1EEEvT1_
                                        ; -- End function
	.section	.AMDGPU.csdata,"",@progbits
; Kernel info:
; codeLenInByte = 0
; NumSgprs: 4
; NumVgprs: 0
; NumAgprs: 0
; TotalNumVgprs: 0
; ScratchSize: 0
; MemoryBound: 0
; FloatMode: 240
; IeeeMode: 1
; LDSByteSize: 0 bytes/workgroup (compile time only)
; SGPRBlocks: 0
; VGPRBlocks: 0
; NumSGPRsForWavesPerEU: 4
; NumVGPRsForWavesPerEU: 1
; AccumOffset: 4
; Occupancy: 8
; WaveLimiterHint : 0
; COMPUTE_PGM_RSRC2:SCRATCH_EN: 0
; COMPUTE_PGM_RSRC2:USER_SGPR: 6
; COMPUTE_PGM_RSRC2:TRAP_HANDLER: 0
; COMPUTE_PGM_RSRC2:TGID_X_EN: 1
; COMPUTE_PGM_RSRC2:TGID_Y_EN: 0
; COMPUTE_PGM_RSRC2:TGID_Z_EN: 0
; COMPUTE_PGM_RSRC2:TIDIG_COMP_CNT: 0
; COMPUTE_PGM_RSRC3_GFX90A:ACCUM_OFFSET: 0
; COMPUTE_PGM_RSRC3_GFX90A:TG_SPLIT: 0
	.section	.text._ZN7rocprim17ROCPRIM_400000_NS6detail17trampoline_kernelINS0_14default_configENS1_25partition_config_selectorILNS1_17partition_subalgoE0EtNS0_10empty_typeEbEEZZNS1_14partition_implILS5_0ELb0ES3_jN6thrust23THRUST_200600_302600_NS6detail15normal_iteratorINSA_10device_ptrItEEEEPS6_SG_NS0_5tupleIJSF_SF_EEENSH_IJSG_SG_EEES6_PlJ7is_evenItEEEE10hipError_tPvRmT3_T4_T5_T6_T7_T9_mT8_P12ihipStream_tbDpT10_ENKUlT_T0_E_clISt17integral_constantIbLb0EES16_EEDaS11_S12_EUlS11_E_NS1_11comp_targetILNS1_3genE10ELNS1_11target_archE1200ELNS1_3gpuE4ELNS1_3repE0EEENS1_30default_config_static_selectorELNS0_4arch9wavefront6targetE1EEEvT1_,"axG",@progbits,_ZN7rocprim17ROCPRIM_400000_NS6detail17trampoline_kernelINS0_14default_configENS1_25partition_config_selectorILNS1_17partition_subalgoE0EtNS0_10empty_typeEbEEZZNS1_14partition_implILS5_0ELb0ES3_jN6thrust23THRUST_200600_302600_NS6detail15normal_iteratorINSA_10device_ptrItEEEEPS6_SG_NS0_5tupleIJSF_SF_EEENSH_IJSG_SG_EEES6_PlJ7is_evenItEEEE10hipError_tPvRmT3_T4_T5_T6_T7_T9_mT8_P12ihipStream_tbDpT10_ENKUlT_T0_E_clISt17integral_constantIbLb0EES16_EEDaS11_S12_EUlS11_E_NS1_11comp_targetILNS1_3genE10ELNS1_11target_archE1200ELNS1_3gpuE4ELNS1_3repE0EEENS1_30default_config_static_selectorELNS0_4arch9wavefront6targetE1EEEvT1_,comdat
	.protected	_ZN7rocprim17ROCPRIM_400000_NS6detail17trampoline_kernelINS0_14default_configENS1_25partition_config_selectorILNS1_17partition_subalgoE0EtNS0_10empty_typeEbEEZZNS1_14partition_implILS5_0ELb0ES3_jN6thrust23THRUST_200600_302600_NS6detail15normal_iteratorINSA_10device_ptrItEEEEPS6_SG_NS0_5tupleIJSF_SF_EEENSH_IJSG_SG_EEES6_PlJ7is_evenItEEEE10hipError_tPvRmT3_T4_T5_T6_T7_T9_mT8_P12ihipStream_tbDpT10_ENKUlT_T0_E_clISt17integral_constantIbLb0EES16_EEDaS11_S12_EUlS11_E_NS1_11comp_targetILNS1_3genE10ELNS1_11target_archE1200ELNS1_3gpuE4ELNS1_3repE0EEENS1_30default_config_static_selectorELNS0_4arch9wavefront6targetE1EEEvT1_ ; -- Begin function _ZN7rocprim17ROCPRIM_400000_NS6detail17trampoline_kernelINS0_14default_configENS1_25partition_config_selectorILNS1_17partition_subalgoE0EtNS0_10empty_typeEbEEZZNS1_14partition_implILS5_0ELb0ES3_jN6thrust23THRUST_200600_302600_NS6detail15normal_iteratorINSA_10device_ptrItEEEEPS6_SG_NS0_5tupleIJSF_SF_EEENSH_IJSG_SG_EEES6_PlJ7is_evenItEEEE10hipError_tPvRmT3_T4_T5_T6_T7_T9_mT8_P12ihipStream_tbDpT10_ENKUlT_T0_E_clISt17integral_constantIbLb0EES16_EEDaS11_S12_EUlS11_E_NS1_11comp_targetILNS1_3genE10ELNS1_11target_archE1200ELNS1_3gpuE4ELNS1_3repE0EEENS1_30default_config_static_selectorELNS0_4arch9wavefront6targetE1EEEvT1_
	.globl	_ZN7rocprim17ROCPRIM_400000_NS6detail17trampoline_kernelINS0_14default_configENS1_25partition_config_selectorILNS1_17partition_subalgoE0EtNS0_10empty_typeEbEEZZNS1_14partition_implILS5_0ELb0ES3_jN6thrust23THRUST_200600_302600_NS6detail15normal_iteratorINSA_10device_ptrItEEEEPS6_SG_NS0_5tupleIJSF_SF_EEENSH_IJSG_SG_EEES6_PlJ7is_evenItEEEE10hipError_tPvRmT3_T4_T5_T6_T7_T9_mT8_P12ihipStream_tbDpT10_ENKUlT_T0_E_clISt17integral_constantIbLb0EES16_EEDaS11_S12_EUlS11_E_NS1_11comp_targetILNS1_3genE10ELNS1_11target_archE1200ELNS1_3gpuE4ELNS1_3repE0EEENS1_30default_config_static_selectorELNS0_4arch9wavefront6targetE1EEEvT1_
	.p2align	8
	.type	_ZN7rocprim17ROCPRIM_400000_NS6detail17trampoline_kernelINS0_14default_configENS1_25partition_config_selectorILNS1_17partition_subalgoE0EtNS0_10empty_typeEbEEZZNS1_14partition_implILS5_0ELb0ES3_jN6thrust23THRUST_200600_302600_NS6detail15normal_iteratorINSA_10device_ptrItEEEEPS6_SG_NS0_5tupleIJSF_SF_EEENSH_IJSG_SG_EEES6_PlJ7is_evenItEEEE10hipError_tPvRmT3_T4_T5_T6_T7_T9_mT8_P12ihipStream_tbDpT10_ENKUlT_T0_E_clISt17integral_constantIbLb0EES16_EEDaS11_S12_EUlS11_E_NS1_11comp_targetILNS1_3genE10ELNS1_11target_archE1200ELNS1_3gpuE4ELNS1_3repE0EEENS1_30default_config_static_selectorELNS0_4arch9wavefront6targetE1EEEvT1_,@function
_ZN7rocprim17ROCPRIM_400000_NS6detail17trampoline_kernelINS0_14default_configENS1_25partition_config_selectorILNS1_17partition_subalgoE0EtNS0_10empty_typeEbEEZZNS1_14partition_implILS5_0ELb0ES3_jN6thrust23THRUST_200600_302600_NS6detail15normal_iteratorINSA_10device_ptrItEEEEPS6_SG_NS0_5tupleIJSF_SF_EEENSH_IJSG_SG_EEES6_PlJ7is_evenItEEEE10hipError_tPvRmT3_T4_T5_T6_T7_T9_mT8_P12ihipStream_tbDpT10_ENKUlT_T0_E_clISt17integral_constantIbLb0EES16_EEDaS11_S12_EUlS11_E_NS1_11comp_targetILNS1_3genE10ELNS1_11target_archE1200ELNS1_3gpuE4ELNS1_3repE0EEENS1_30default_config_static_selectorELNS0_4arch9wavefront6targetE1EEEvT1_: ; @_ZN7rocprim17ROCPRIM_400000_NS6detail17trampoline_kernelINS0_14default_configENS1_25partition_config_selectorILNS1_17partition_subalgoE0EtNS0_10empty_typeEbEEZZNS1_14partition_implILS5_0ELb0ES3_jN6thrust23THRUST_200600_302600_NS6detail15normal_iteratorINSA_10device_ptrItEEEEPS6_SG_NS0_5tupleIJSF_SF_EEENSH_IJSG_SG_EEES6_PlJ7is_evenItEEEE10hipError_tPvRmT3_T4_T5_T6_T7_T9_mT8_P12ihipStream_tbDpT10_ENKUlT_T0_E_clISt17integral_constantIbLb0EES16_EEDaS11_S12_EUlS11_E_NS1_11comp_targetILNS1_3genE10ELNS1_11target_archE1200ELNS1_3gpuE4ELNS1_3repE0EEENS1_30default_config_static_selectorELNS0_4arch9wavefront6targetE1EEEvT1_
; %bb.0:
	.section	.rodata,"a",@progbits
	.p2align	6, 0x0
	.amdhsa_kernel _ZN7rocprim17ROCPRIM_400000_NS6detail17trampoline_kernelINS0_14default_configENS1_25partition_config_selectorILNS1_17partition_subalgoE0EtNS0_10empty_typeEbEEZZNS1_14partition_implILS5_0ELb0ES3_jN6thrust23THRUST_200600_302600_NS6detail15normal_iteratorINSA_10device_ptrItEEEEPS6_SG_NS0_5tupleIJSF_SF_EEENSH_IJSG_SG_EEES6_PlJ7is_evenItEEEE10hipError_tPvRmT3_T4_T5_T6_T7_T9_mT8_P12ihipStream_tbDpT10_ENKUlT_T0_E_clISt17integral_constantIbLb0EES16_EEDaS11_S12_EUlS11_E_NS1_11comp_targetILNS1_3genE10ELNS1_11target_archE1200ELNS1_3gpuE4ELNS1_3repE0EEENS1_30default_config_static_selectorELNS0_4arch9wavefront6targetE1EEEvT1_
		.amdhsa_group_segment_fixed_size 0
		.amdhsa_private_segment_fixed_size 0
		.amdhsa_kernarg_size 120
		.amdhsa_user_sgpr_count 6
		.amdhsa_user_sgpr_private_segment_buffer 1
		.amdhsa_user_sgpr_dispatch_ptr 0
		.amdhsa_user_sgpr_queue_ptr 0
		.amdhsa_user_sgpr_kernarg_segment_ptr 1
		.amdhsa_user_sgpr_dispatch_id 0
		.amdhsa_user_sgpr_flat_scratch_init 0
		.amdhsa_user_sgpr_kernarg_preload_length 0
		.amdhsa_user_sgpr_kernarg_preload_offset 0
		.amdhsa_user_sgpr_private_segment_size 0
		.amdhsa_uses_dynamic_stack 0
		.amdhsa_system_sgpr_private_segment_wavefront_offset 0
		.amdhsa_system_sgpr_workgroup_id_x 1
		.amdhsa_system_sgpr_workgroup_id_y 0
		.amdhsa_system_sgpr_workgroup_id_z 0
		.amdhsa_system_sgpr_workgroup_info 0
		.amdhsa_system_vgpr_workitem_id 0
		.amdhsa_next_free_vgpr 1
		.amdhsa_next_free_sgpr 0
		.amdhsa_accum_offset 4
		.amdhsa_reserve_vcc 0
		.amdhsa_reserve_flat_scratch 0
		.amdhsa_float_round_mode_32 0
		.amdhsa_float_round_mode_16_64 0
		.amdhsa_float_denorm_mode_32 3
		.amdhsa_float_denorm_mode_16_64 3
		.amdhsa_dx10_clamp 1
		.amdhsa_ieee_mode 1
		.amdhsa_fp16_overflow 0
		.amdhsa_tg_split 0
		.amdhsa_exception_fp_ieee_invalid_op 0
		.amdhsa_exception_fp_denorm_src 0
		.amdhsa_exception_fp_ieee_div_zero 0
		.amdhsa_exception_fp_ieee_overflow 0
		.amdhsa_exception_fp_ieee_underflow 0
		.amdhsa_exception_fp_ieee_inexact 0
		.amdhsa_exception_int_div_zero 0
	.end_amdhsa_kernel
	.section	.text._ZN7rocprim17ROCPRIM_400000_NS6detail17trampoline_kernelINS0_14default_configENS1_25partition_config_selectorILNS1_17partition_subalgoE0EtNS0_10empty_typeEbEEZZNS1_14partition_implILS5_0ELb0ES3_jN6thrust23THRUST_200600_302600_NS6detail15normal_iteratorINSA_10device_ptrItEEEEPS6_SG_NS0_5tupleIJSF_SF_EEENSH_IJSG_SG_EEES6_PlJ7is_evenItEEEE10hipError_tPvRmT3_T4_T5_T6_T7_T9_mT8_P12ihipStream_tbDpT10_ENKUlT_T0_E_clISt17integral_constantIbLb0EES16_EEDaS11_S12_EUlS11_E_NS1_11comp_targetILNS1_3genE10ELNS1_11target_archE1200ELNS1_3gpuE4ELNS1_3repE0EEENS1_30default_config_static_selectorELNS0_4arch9wavefront6targetE1EEEvT1_,"axG",@progbits,_ZN7rocprim17ROCPRIM_400000_NS6detail17trampoline_kernelINS0_14default_configENS1_25partition_config_selectorILNS1_17partition_subalgoE0EtNS0_10empty_typeEbEEZZNS1_14partition_implILS5_0ELb0ES3_jN6thrust23THRUST_200600_302600_NS6detail15normal_iteratorINSA_10device_ptrItEEEEPS6_SG_NS0_5tupleIJSF_SF_EEENSH_IJSG_SG_EEES6_PlJ7is_evenItEEEE10hipError_tPvRmT3_T4_T5_T6_T7_T9_mT8_P12ihipStream_tbDpT10_ENKUlT_T0_E_clISt17integral_constantIbLb0EES16_EEDaS11_S12_EUlS11_E_NS1_11comp_targetILNS1_3genE10ELNS1_11target_archE1200ELNS1_3gpuE4ELNS1_3repE0EEENS1_30default_config_static_selectorELNS0_4arch9wavefront6targetE1EEEvT1_,comdat
.Lfunc_end2175:
	.size	_ZN7rocprim17ROCPRIM_400000_NS6detail17trampoline_kernelINS0_14default_configENS1_25partition_config_selectorILNS1_17partition_subalgoE0EtNS0_10empty_typeEbEEZZNS1_14partition_implILS5_0ELb0ES3_jN6thrust23THRUST_200600_302600_NS6detail15normal_iteratorINSA_10device_ptrItEEEEPS6_SG_NS0_5tupleIJSF_SF_EEENSH_IJSG_SG_EEES6_PlJ7is_evenItEEEE10hipError_tPvRmT3_T4_T5_T6_T7_T9_mT8_P12ihipStream_tbDpT10_ENKUlT_T0_E_clISt17integral_constantIbLb0EES16_EEDaS11_S12_EUlS11_E_NS1_11comp_targetILNS1_3genE10ELNS1_11target_archE1200ELNS1_3gpuE4ELNS1_3repE0EEENS1_30default_config_static_selectorELNS0_4arch9wavefront6targetE1EEEvT1_, .Lfunc_end2175-_ZN7rocprim17ROCPRIM_400000_NS6detail17trampoline_kernelINS0_14default_configENS1_25partition_config_selectorILNS1_17partition_subalgoE0EtNS0_10empty_typeEbEEZZNS1_14partition_implILS5_0ELb0ES3_jN6thrust23THRUST_200600_302600_NS6detail15normal_iteratorINSA_10device_ptrItEEEEPS6_SG_NS0_5tupleIJSF_SF_EEENSH_IJSG_SG_EEES6_PlJ7is_evenItEEEE10hipError_tPvRmT3_T4_T5_T6_T7_T9_mT8_P12ihipStream_tbDpT10_ENKUlT_T0_E_clISt17integral_constantIbLb0EES16_EEDaS11_S12_EUlS11_E_NS1_11comp_targetILNS1_3genE10ELNS1_11target_archE1200ELNS1_3gpuE4ELNS1_3repE0EEENS1_30default_config_static_selectorELNS0_4arch9wavefront6targetE1EEEvT1_
                                        ; -- End function
	.section	.AMDGPU.csdata,"",@progbits
; Kernel info:
; codeLenInByte = 0
; NumSgprs: 4
; NumVgprs: 0
; NumAgprs: 0
; TotalNumVgprs: 0
; ScratchSize: 0
; MemoryBound: 0
; FloatMode: 240
; IeeeMode: 1
; LDSByteSize: 0 bytes/workgroup (compile time only)
; SGPRBlocks: 0
; VGPRBlocks: 0
; NumSGPRsForWavesPerEU: 4
; NumVGPRsForWavesPerEU: 1
; AccumOffset: 4
; Occupancy: 8
; WaveLimiterHint : 0
; COMPUTE_PGM_RSRC2:SCRATCH_EN: 0
; COMPUTE_PGM_RSRC2:USER_SGPR: 6
; COMPUTE_PGM_RSRC2:TRAP_HANDLER: 0
; COMPUTE_PGM_RSRC2:TGID_X_EN: 1
; COMPUTE_PGM_RSRC2:TGID_Y_EN: 0
; COMPUTE_PGM_RSRC2:TGID_Z_EN: 0
; COMPUTE_PGM_RSRC2:TIDIG_COMP_CNT: 0
; COMPUTE_PGM_RSRC3_GFX90A:ACCUM_OFFSET: 0
; COMPUTE_PGM_RSRC3_GFX90A:TG_SPLIT: 0
	.section	.text._ZN7rocprim17ROCPRIM_400000_NS6detail17trampoline_kernelINS0_14default_configENS1_25partition_config_selectorILNS1_17partition_subalgoE0EtNS0_10empty_typeEbEEZZNS1_14partition_implILS5_0ELb0ES3_jN6thrust23THRUST_200600_302600_NS6detail15normal_iteratorINSA_10device_ptrItEEEEPS6_SG_NS0_5tupleIJSF_SF_EEENSH_IJSG_SG_EEES6_PlJ7is_evenItEEEE10hipError_tPvRmT3_T4_T5_T6_T7_T9_mT8_P12ihipStream_tbDpT10_ENKUlT_T0_E_clISt17integral_constantIbLb0EES16_EEDaS11_S12_EUlS11_E_NS1_11comp_targetILNS1_3genE9ELNS1_11target_archE1100ELNS1_3gpuE3ELNS1_3repE0EEENS1_30default_config_static_selectorELNS0_4arch9wavefront6targetE1EEEvT1_,"axG",@progbits,_ZN7rocprim17ROCPRIM_400000_NS6detail17trampoline_kernelINS0_14default_configENS1_25partition_config_selectorILNS1_17partition_subalgoE0EtNS0_10empty_typeEbEEZZNS1_14partition_implILS5_0ELb0ES3_jN6thrust23THRUST_200600_302600_NS6detail15normal_iteratorINSA_10device_ptrItEEEEPS6_SG_NS0_5tupleIJSF_SF_EEENSH_IJSG_SG_EEES6_PlJ7is_evenItEEEE10hipError_tPvRmT3_T4_T5_T6_T7_T9_mT8_P12ihipStream_tbDpT10_ENKUlT_T0_E_clISt17integral_constantIbLb0EES16_EEDaS11_S12_EUlS11_E_NS1_11comp_targetILNS1_3genE9ELNS1_11target_archE1100ELNS1_3gpuE3ELNS1_3repE0EEENS1_30default_config_static_selectorELNS0_4arch9wavefront6targetE1EEEvT1_,comdat
	.protected	_ZN7rocprim17ROCPRIM_400000_NS6detail17trampoline_kernelINS0_14default_configENS1_25partition_config_selectorILNS1_17partition_subalgoE0EtNS0_10empty_typeEbEEZZNS1_14partition_implILS5_0ELb0ES3_jN6thrust23THRUST_200600_302600_NS6detail15normal_iteratorINSA_10device_ptrItEEEEPS6_SG_NS0_5tupleIJSF_SF_EEENSH_IJSG_SG_EEES6_PlJ7is_evenItEEEE10hipError_tPvRmT3_T4_T5_T6_T7_T9_mT8_P12ihipStream_tbDpT10_ENKUlT_T0_E_clISt17integral_constantIbLb0EES16_EEDaS11_S12_EUlS11_E_NS1_11comp_targetILNS1_3genE9ELNS1_11target_archE1100ELNS1_3gpuE3ELNS1_3repE0EEENS1_30default_config_static_selectorELNS0_4arch9wavefront6targetE1EEEvT1_ ; -- Begin function _ZN7rocprim17ROCPRIM_400000_NS6detail17trampoline_kernelINS0_14default_configENS1_25partition_config_selectorILNS1_17partition_subalgoE0EtNS0_10empty_typeEbEEZZNS1_14partition_implILS5_0ELb0ES3_jN6thrust23THRUST_200600_302600_NS6detail15normal_iteratorINSA_10device_ptrItEEEEPS6_SG_NS0_5tupleIJSF_SF_EEENSH_IJSG_SG_EEES6_PlJ7is_evenItEEEE10hipError_tPvRmT3_T4_T5_T6_T7_T9_mT8_P12ihipStream_tbDpT10_ENKUlT_T0_E_clISt17integral_constantIbLb0EES16_EEDaS11_S12_EUlS11_E_NS1_11comp_targetILNS1_3genE9ELNS1_11target_archE1100ELNS1_3gpuE3ELNS1_3repE0EEENS1_30default_config_static_selectorELNS0_4arch9wavefront6targetE1EEEvT1_
	.globl	_ZN7rocprim17ROCPRIM_400000_NS6detail17trampoline_kernelINS0_14default_configENS1_25partition_config_selectorILNS1_17partition_subalgoE0EtNS0_10empty_typeEbEEZZNS1_14partition_implILS5_0ELb0ES3_jN6thrust23THRUST_200600_302600_NS6detail15normal_iteratorINSA_10device_ptrItEEEEPS6_SG_NS0_5tupleIJSF_SF_EEENSH_IJSG_SG_EEES6_PlJ7is_evenItEEEE10hipError_tPvRmT3_T4_T5_T6_T7_T9_mT8_P12ihipStream_tbDpT10_ENKUlT_T0_E_clISt17integral_constantIbLb0EES16_EEDaS11_S12_EUlS11_E_NS1_11comp_targetILNS1_3genE9ELNS1_11target_archE1100ELNS1_3gpuE3ELNS1_3repE0EEENS1_30default_config_static_selectorELNS0_4arch9wavefront6targetE1EEEvT1_
	.p2align	8
	.type	_ZN7rocprim17ROCPRIM_400000_NS6detail17trampoline_kernelINS0_14default_configENS1_25partition_config_selectorILNS1_17partition_subalgoE0EtNS0_10empty_typeEbEEZZNS1_14partition_implILS5_0ELb0ES3_jN6thrust23THRUST_200600_302600_NS6detail15normal_iteratorINSA_10device_ptrItEEEEPS6_SG_NS0_5tupleIJSF_SF_EEENSH_IJSG_SG_EEES6_PlJ7is_evenItEEEE10hipError_tPvRmT3_T4_T5_T6_T7_T9_mT8_P12ihipStream_tbDpT10_ENKUlT_T0_E_clISt17integral_constantIbLb0EES16_EEDaS11_S12_EUlS11_E_NS1_11comp_targetILNS1_3genE9ELNS1_11target_archE1100ELNS1_3gpuE3ELNS1_3repE0EEENS1_30default_config_static_selectorELNS0_4arch9wavefront6targetE1EEEvT1_,@function
_ZN7rocprim17ROCPRIM_400000_NS6detail17trampoline_kernelINS0_14default_configENS1_25partition_config_selectorILNS1_17partition_subalgoE0EtNS0_10empty_typeEbEEZZNS1_14partition_implILS5_0ELb0ES3_jN6thrust23THRUST_200600_302600_NS6detail15normal_iteratorINSA_10device_ptrItEEEEPS6_SG_NS0_5tupleIJSF_SF_EEENSH_IJSG_SG_EEES6_PlJ7is_evenItEEEE10hipError_tPvRmT3_T4_T5_T6_T7_T9_mT8_P12ihipStream_tbDpT10_ENKUlT_T0_E_clISt17integral_constantIbLb0EES16_EEDaS11_S12_EUlS11_E_NS1_11comp_targetILNS1_3genE9ELNS1_11target_archE1100ELNS1_3gpuE3ELNS1_3repE0EEENS1_30default_config_static_selectorELNS0_4arch9wavefront6targetE1EEEvT1_: ; @_ZN7rocprim17ROCPRIM_400000_NS6detail17trampoline_kernelINS0_14default_configENS1_25partition_config_selectorILNS1_17partition_subalgoE0EtNS0_10empty_typeEbEEZZNS1_14partition_implILS5_0ELb0ES3_jN6thrust23THRUST_200600_302600_NS6detail15normal_iteratorINSA_10device_ptrItEEEEPS6_SG_NS0_5tupleIJSF_SF_EEENSH_IJSG_SG_EEES6_PlJ7is_evenItEEEE10hipError_tPvRmT3_T4_T5_T6_T7_T9_mT8_P12ihipStream_tbDpT10_ENKUlT_T0_E_clISt17integral_constantIbLb0EES16_EEDaS11_S12_EUlS11_E_NS1_11comp_targetILNS1_3genE9ELNS1_11target_archE1100ELNS1_3gpuE3ELNS1_3repE0EEENS1_30default_config_static_selectorELNS0_4arch9wavefront6targetE1EEEvT1_
; %bb.0:
	.section	.rodata,"a",@progbits
	.p2align	6, 0x0
	.amdhsa_kernel _ZN7rocprim17ROCPRIM_400000_NS6detail17trampoline_kernelINS0_14default_configENS1_25partition_config_selectorILNS1_17partition_subalgoE0EtNS0_10empty_typeEbEEZZNS1_14partition_implILS5_0ELb0ES3_jN6thrust23THRUST_200600_302600_NS6detail15normal_iteratorINSA_10device_ptrItEEEEPS6_SG_NS0_5tupleIJSF_SF_EEENSH_IJSG_SG_EEES6_PlJ7is_evenItEEEE10hipError_tPvRmT3_T4_T5_T6_T7_T9_mT8_P12ihipStream_tbDpT10_ENKUlT_T0_E_clISt17integral_constantIbLb0EES16_EEDaS11_S12_EUlS11_E_NS1_11comp_targetILNS1_3genE9ELNS1_11target_archE1100ELNS1_3gpuE3ELNS1_3repE0EEENS1_30default_config_static_selectorELNS0_4arch9wavefront6targetE1EEEvT1_
		.amdhsa_group_segment_fixed_size 0
		.amdhsa_private_segment_fixed_size 0
		.amdhsa_kernarg_size 120
		.amdhsa_user_sgpr_count 6
		.amdhsa_user_sgpr_private_segment_buffer 1
		.amdhsa_user_sgpr_dispatch_ptr 0
		.amdhsa_user_sgpr_queue_ptr 0
		.amdhsa_user_sgpr_kernarg_segment_ptr 1
		.amdhsa_user_sgpr_dispatch_id 0
		.amdhsa_user_sgpr_flat_scratch_init 0
		.amdhsa_user_sgpr_kernarg_preload_length 0
		.amdhsa_user_sgpr_kernarg_preload_offset 0
		.amdhsa_user_sgpr_private_segment_size 0
		.amdhsa_uses_dynamic_stack 0
		.amdhsa_system_sgpr_private_segment_wavefront_offset 0
		.amdhsa_system_sgpr_workgroup_id_x 1
		.amdhsa_system_sgpr_workgroup_id_y 0
		.amdhsa_system_sgpr_workgroup_id_z 0
		.amdhsa_system_sgpr_workgroup_info 0
		.amdhsa_system_vgpr_workitem_id 0
		.amdhsa_next_free_vgpr 1
		.amdhsa_next_free_sgpr 0
		.amdhsa_accum_offset 4
		.amdhsa_reserve_vcc 0
		.amdhsa_reserve_flat_scratch 0
		.amdhsa_float_round_mode_32 0
		.amdhsa_float_round_mode_16_64 0
		.amdhsa_float_denorm_mode_32 3
		.amdhsa_float_denorm_mode_16_64 3
		.amdhsa_dx10_clamp 1
		.amdhsa_ieee_mode 1
		.amdhsa_fp16_overflow 0
		.amdhsa_tg_split 0
		.amdhsa_exception_fp_ieee_invalid_op 0
		.amdhsa_exception_fp_denorm_src 0
		.amdhsa_exception_fp_ieee_div_zero 0
		.amdhsa_exception_fp_ieee_overflow 0
		.amdhsa_exception_fp_ieee_underflow 0
		.amdhsa_exception_fp_ieee_inexact 0
		.amdhsa_exception_int_div_zero 0
	.end_amdhsa_kernel
	.section	.text._ZN7rocprim17ROCPRIM_400000_NS6detail17trampoline_kernelINS0_14default_configENS1_25partition_config_selectorILNS1_17partition_subalgoE0EtNS0_10empty_typeEbEEZZNS1_14partition_implILS5_0ELb0ES3_jN6thrust23THRUST_200600_302600_NS6detail15normal_iteratorINSA_10device_ptrItEEEEPS6_SG_NS0_5tupleIJSF_SF_EEENSH_IJSG_SG_EEES6_PlJ7is_evenItEEEE10hipError_tPvRmT3_T4_T5_T6_T7_T9_mT8_P12ihipStream_tbDpT10_ENKUlT_T0_E_clISt17integral_constantIbLb0EES16_EEDaS11_S12_EUlS11_E_NS1_11comp_targetILNS1_3genE9ELNS1_11target_archE1100ELNS1_3gpuE3ELNS1_3repE0EEENS1_30default_config_static_selectorELNS0_4arch9wavefront6targetE1EEEvT1_,"axG",@progbits,_ZN7rocprim17ROCPRIM_400000_NS6detail17trampoline_kernelINS0_14default_configENS1_25partition_config_selectorILNS1_17partition_subalgoE0EtNS0_10empty_typeEbEEZZNS1_14partition_implILS5_0ELb0ES3_jN6thrust23THRUST_200600_302600_NS6detail15normal_iteratorINSA_10device_ptrItEEEEPS6_SG_NS0_5tupleIJSF_SF_EEENSH_IJSG_SG_EEES6_PlJ7is_evenItEEEE10hipError_tPvRmT3_T4_T5_T6_T7_T9_mT8_P12ihipStream_tbDpT10_ENKUlT_T0_E_clISt17integral_constantIbLb0EES16_EEDaS11_S12_EUlS11_E_NS1_11comp_targetILNS1_3genE9ELNS1_11target_archE1100ELNS1_3gpuE3ELNS1_3repE0EEENS1_30default_config_static_selectorELNS0_4arch9wavefront6targetE1EEEvT1_,comdat
.Lfunc_end2176:
	.size	_ZN7rocprim17ROCPRIM_400000_NS6detail17trampoline_kernelINS0_14default_configENS1_25partition_config_selectorILNS1_17partition_subalgoE0EtNS0_10empty_typeEbEEZZNS1_14partition_implILS5_0ELb0ES3_jN6thrust23THRUST_200600_302600_NS6detail15normal_iteratorINSA_10device_ptrItEEEEPS6_SG_NS0_5tupleIJSF_SF_EEENSH_IJSG_SG_EEES6_PlJ7is_evenItEEEE10hipError_tPvRmT3_T4_T5_T6_T7_T9_mT8_P12ihipStream_tbDpT10_ENKUlT_T0_E_clISt17integral_constantIbLb0EES16_EEDaS11_S12_EUlS11_E_NS1_11comp_targetILNS1_3genE9ELNS1_11target_archE1100ELNS1_3gpuE3ELNS1_3repE0EEENS1_30default_config_static_selectorELNS0_4arch9wavefront6targetE1EEEvT1_, .Lfunc_end2176-_ZN7rocprim17ROCPRIM_400000_NS6detail17trampoline_kernelINS0_14default_configENS1_25partition_config_selectorILNS1_17partition_subalgoE0EtNS0_10empty_typeEbEEZZNS1_14partition_implILS5_0ELb0ES3_jN6thrust23THRUST_200600_302600_NS6detail15normal_iteratorINSA_10device_ptrItEEEEPS6_SG_NS0_5tupleIJSF_SF_EEENSH_IJSG_SG_EEES6_PlJ7is_evenItEEEE10hipError_tPvRmT3_T4_T5_T6_T7_T9_mT8_P12ihipStream_tbDpT10_ENKUlT_T0_E_clISt17integral_constantIbLb0EES16_EEDaS11_S12_EUlS11_E_NS1_11comp_targetILNS1_3genE9ELNS1_11target_archE1100ELNS1_3gpuE3ELNS1_3repE0EEENS1_30default_config_static_selectorELNS0_4arch9wavefront6targetE1EEEvT1_
                                        ; -- End function
	.section	.AMDGPU.csdata,"",@progbits
; Kernel info:
; codeLenInByte = 0
; NumSgprs: 4
; NumVgprs: 0
; NumAgprs: 0
; TotalNumVgprs: 0
; ScratchSize: 0
; MemoryBound: 0
; FloatMode: 240
; IeeeMode: 1
; LDSByteSize: 0 bytes/workgroup (compile time only)
; SGPRBlocks: 0
; VGPRBlocks: 0
; NumSGPRsForWavesPerEU: 4
; NumVGPRsForWavesPerEU: 1
; AccumOffset: 4
; Occupancy: 8
; WaveLimiterHint : 0
; COMPUTE_PGM_RSRC2:SCRATCH_EN: 0
; COMPUTE_PGM_RSRC2:USER_SGPR: 6
; COMPUTE_PGM_RSRC2:TRAP_HANDLER: 0
; COMPUTE_PGM_RSRC2:TGID_X_EN: 1
; COMPUTE_PGM_RSRC2:TGID_Y_EN: 0
; COMPUTE_PGM_RSRC2:TGID_Z_EN: 0
; COMPUTE_PGM_RSRC2:TIDIG_COMP_CNT: 0
; COMPUTE_PGM_RSRC3_GFX90A:ACCUM_OFFSET: 0
; COMPUTE_PGM_RSRC3_GFX90A:TG_SPLIT: 0
	.section	.text._ZN7rocprim17ROCPRIM_400000_NS6detail17trampoline_kernelINS0_14default_configENS1_25partition_config_selectorILNS1_17partition_subalgoE0EtNS0_10empty_typeEbEEZZNS1_14partition_implILS5_0ELb0ES3_jN6thrust23THRUST_200600_302600_NS6detail15normal_iteratorINSA_10device_ptrItEEEEPS6_SG_NS0_5tupleIJSF_SF_EEENSH_IJSG_SG_EEES6_PlJ7is_evenItEEEE10hipError_tPvRmT3_T4_T5_T6_T7_T9_mT8_P12ihipStream_tbDpT10_ENKUlT_T0_E_clISt17integral_constantIbLb0EES16_EEDaS11_S12_EUlS11_E_NS1_11comp_targetILNS1_3genE8ELNS1_11target_archE1030ELNS1_3gpuE2ELNS1_3repE0EEENS1_30default_config_static_selectorELNS0_4arch9wavefront6targetE1EEEvT1_,"axG",@progbits,_ZN7rocprim17ROCPRIM_400000_NS6detail17trampoline_kernelINS0_14default_configENS1_25partition_config_selectorILNS1_17partition_subalgoE0EtNS0_10empty_typeEbEEZZNS1_14partition_implILS5_0ELb0ES3_jN6thrust23THRUST_200600_302600_NS6detail15normal_iteratorINSA_10device_ptrItEEEEPS6_SG_NS0_5tupleIJSF_SF_EEENSH_IJSG_SG_EEES6_PlJ7is_evenItEEEE10hipError_tPvRmT3_T4_T5_T6_T7_T9_mT8_P12ihipStream_tbDpT10_ENKUlT_T0_E_clISt17integral_constantIbLb0EES16_EEDaS11_S12_EUlS11_E_NS1_11comp_targetILNS1_3genE8ELNS1_11target_archE1030ELNS1_3gpuE2ELNS1_3repE0EEENS1_30default_config_static_selectorELNS0_4arch9wavefront6targetE1EEEvT1_,comdat
	.protected	_ZN7rocprim17ROCPRIM_400000_NS6detail17trampoline_kernelINS0_14default_configENS1_25partition_config_selectorILNS1_17partition_subalgoE0EtNS0_10empty_typeEbEEZZNS1_14partition_implILS5_0ELb0ES3_jN6thrust23THRUST_200600_302600_NS6detail15normal_iteratorINSA_10device_ptrItEEEEPS6_SG_NS0_5tupleIJSF_SF_EEENSH_IJSG_SG_EEES6_PlJ7is_evenItEEEE10hipError_tPvRmT3_T4_T5_T6_T7_T9_mT8_P12ihipStream_tbDpT10_ENKUlT_T0_E_clISt17integral_constantIbLb0EES16_EEDaS11_S12_EUlS11_E_NS1_11comp_targetILNS1_3genE8ELNS1_11target_archE1030ELNS1_3gpuE2ELNS1_3repE0EEENS1_30default_config_static_selectorELNS0_4arch9wavefront6targetE1EEEvT1_ ; -- Begin function _ZN7rocprim17ROCPRIM_400000_NS6detail17trampoline_kernelINS0_14default_configENS1_25partition_config_selectorILNS1_17partition_subalgoE0EtNS0_10empty_typeEbEEZZNS1_14partition_implILS5_0ELb0ES3_jN6thrust23THRUST_200600_302600_NS6detail15normal_iteratorINSA_10device_ptrItEEEEPS6_SG_NS0_5tupleIJSF_SF_EEENSH_IJSG_SG_EEES6_PlJ7is_evenItEEEE10hipError_tPvRmT3_T4_T5_T6_T7_T9_mT8_P12ihipStream_tbDpT10_ENKUlT_T0_E_clISt17integral_constantIbLb0EES16_EEDaS11_S12_EUlS11_E_NS1_11comp_targetILNS1_3genE8ELNS1_11target_archE1030ELNS1_3gpuE2ELNS1_3repE0EEENS1_30default_config_static_selectorELNS0_4arch9wavefront6targetE1EEEvT1_
	.globl	_ZN7rocprim17ROCPRIM_400000_NS6detail17trampoline_kernelINS0_14default_configENS1_25partition_config_selectorILNS1_17partition_subalgoE0EtNS0_10empty_typeEbEEZZNS1_14partition_implILS5_0ELb0ES3_jN6thrust23THRUST_200600_302600_NS6detail15normal_iteratorINSA_10device_ptrItEEEEPS6_SG_NS0_5tupleIJSF_SF_EEENSH_IJSG_SG_EEES6_PlJ7is_evenItEEEE10hipError_tPvRmT3_T4_T5_T6_T7_T9_mT8_P12ihipStream_tbDpT10_ENKUlT_T0_E_clISt17integral_constantIbLb0EES16_EEDaS11_S12_EUlS11_E_NS1_11comp_targetILNS1_3genE8ELNS1_11target_archE1030ELNS1_3gpuE2ELNS1_3repE0EEENS1_30default_config_static_selectorELNS0_4arch9wavefront6targetE1EEEvT1_
	.p2align	8
	.type	_ZN7rocprim17ROCPRIM_400000_NS6detail17trampoline_kernelINS0_14default_configENS1_25partition_config_selectorILNS1_17partition_subalgoE0EtNS0_10empty_typeEbEEZZNS1_14partition_implILS5_0ELb0ES3_jN6thrust23THRUST_200600_302600_NS6detail15normal_iteratorINSA_10device_ptrItEEEEPS6_SG_NS0_5tupleIJSF_SF_EEENSH_IJSG_SG_EEES6_PlJ7is_evenItEEEE10hipError_tPvRmT3_T4_T5_T6_T7_T9_mT8_P12ihipStream_tbDpT10_ENKUlT_T0_E_clISt17integral_constantIbLb0EES16_EEDaS11_S12_EUlS11_E_NS1_11comp_targetILNS1_3genE8ELNS1_11target_archE1030ELNS1_3gpuE2ELNS1_3repE0EEENS1_30default_config_static_selectorELNS0_4arch9wavefront6targetE1EEEvT1_,@function
_ZN7rocprim17ROCPRIM_400000_NS6detail17trampoline_kernelINS0_14default_configENS1_25partition_config_selectorILNS1_17partition_subalgoE0EtNS0_10empty_typeEbEEZZNS1_14partition_implILS5_0ELb0ES3_jN6thrust23THRUST_200600_302600_NS6detail15normal_iteratorINSA_10device_ptrItEEEEPS6_SG_NS0_5tupleIJSF_SF_EEENSH_IJSG_SG_EEES6_PlJ7is_evenItEEEE10hipError_tPvRmT3_T4_T5_T6_T7_T9_mT8_P12ihipStream_tbDpT10_ENKUlT_T0_E_clISt17integral_constantIbLb0EES16_EEDaS11_S12_EUlS11_E_NS1_11comp_targetILNS1_3genE8ELNS1_11target_archE1030ELNS1_3gpuE2ELNS1_3repE0EEENS1_30default_config_static_selectorELNS0_4arch9wavefront6targetE1EEEvT1_: ; @_ZN7rocprim17ROCPRIM_400000_NS6detail17trampoline_kernelINS0_14default_configENS1_25partition_config_selectorILNS1_17partition_subalgoE0EtNS0_10empty_typeEbEEZZNS1_14partition_implILS5_0ELb0ES3_jN6thrust23THRUST_200600_302600_NS6detail15normal_iteratorINSA_10device_ptrItEEEEPS6_SG_NS0_5tupleIJSF_SF_EEENSH_IJSG_SG_EEES6_PlJ7is_evenItEEEE10hipError_tPvRmT3_T4_T5_T6_T7_T9_mT8_P12ihipStream_tbDpT10_ENKUlT_T0_E_clISt17integral_constantIbLb0EES16_EEDaS11_S12_EUlS11_E_NS1_11comp_targetILNS1_3genE8ELNS1_11target_archE1030ELNS1_3gpuE2ELNS1_3repE0EEENS1_30default_config_static_selectorELNS0_4arch9wavefront6targetE1EEEvT1_
; %bb.0:
	.section	.rodata,"a",@progbits
	.p2align	6, 0x0
	.amdhsa_kernel _ZN7rocprim17ROCPRIM_400000_NS6detail17trampoline_kernelINS0_14default_configENS1_25partition_config_selectorILNS1_17partition_subalgoE0EtNS0_10empty_typeEbEEZZNS1_14partition_implILS5_0ELb0ES3_jN6thrust23THRUST_200600_302600_NS6detail15normal_iteratorINSA_10device_ptrItEEEEPS6_SG_NS0_5tupleIJSF_SF_EEENSH_IJSG_SG_EEES6_PlJ7is_evenItEEEE10hipError_tPvRmT3_T4_T5_T6_T7_T9_mT8_P12ihipStream_tbDpT10_ENKUlT_T0_E_clISt17integral_constantIbLb0EES16_EEDaS11_S12_EUlS11_E_NS1_11comp_targetILNS1_3genE8ELNS1_11target_archE1030ELNS1_3gpuE2ELNS1_3repE0EEENS1_30default_config_static_selectorELNS0_4arch9wavefront6targetE1EEEvT1_
		.amdhsa_group_segment_fixed_size 0
		.amdhsa_private_segment_fixed_size 0
		.amdhsa_kernarg_size 120
		.amdhsa_user_sgpr_count 6
		.amdhsa_user_sgpr_private_segment_buffer 1
		.amdhsa_user_sgpr_dispatch_ptr 0
		.amdhsa_user_sgpr_queue_ptr 0
		.amdhsa_user_sgpr_kernarg_segment_ptr 1
		.amdhsa_user_sgpr_dispatch_id 0
		.amdhsa_user_sgpr_flat_scratch_init 0
		.amdhsa_user_sgpr_kernarg_preload_length 0
		.amdhsa_user_sgpr_kernarg_preload_offset 0
		.amdhsa_user_sgpr_private_segment_size 0
		.amdhsa_uses_dynamic_stack 0
		.amdhsa_system_sgpr_private_segment_wavefront_offset 0
		.amdhsa_system_sgpr_workgroup_id_x 1
		.amdhsa_system_sgpr_workgroup_id_y 0
		.amdhsa_system_sgpr_workgroup_id_z 0
		.amdhsa_system_sgpr_workgroup_info 0
		.amdhsa_system_vgpr_workitem_id 0
		.amdhsa_next_free_vgpr 1
		.amdhsa_next_free_sgpr 0
		.amdhsa_accum_offset 4
		.amdhsa_reserve_vcc 0
		.amdhsa_reserve_flat_scratch 0
		.amdhsa_float_round_mode_32 0
		.amdhsa_float_round_mode_16_64 0
		.amdhsa_float_denorm_mode_32 3
		.amdhsa_float_denorm_mode_16_64 3
		.amdhsa_dx10_clamp 1
		.amdhsa_ieee_mode 1
		.amdhsa_fp16_overflow 0
		.amdhsa_tg_split 0
		.amdhsa_exception_fp_ieee_invalid_op 0
		.amdhsa_exception_fp_denorm_src 0
		.amdhsa_exception_fp_ieee_div_zero 0
		.amdhsa_exception_fp_ieee_overflow 0
		.amdhsa_exception_fp_ieee_underflow 0
		.amdhsa_exception_fp_ieee_inexact 0
		.amdhsa_exception_int_div_zero 0
	.end_amdhsa_kernel
	.section	.text._ZN7rocprim17ROCPRIM_400000_NS6detail17trampoline_kernelINS0_14default_configENS1_25partition_config_selectorILNS1_17partition_subalgoE0EtNS0_10empty_typeEbEEZZNS1_14partition_implILS5_0ELb0ES3_jN6thrust23THRUST_200600_302600_NS6detail15normal_iteratorINSA_10device_ptrItEEEEPS6_SG_NS0_5tupleIJSF_SF_EEENSH_IJSG_SG_EEES6_PlJ7is_evenItEEEE10hipError_tPvRmT3_T4_T5_T6_T7_T9_mT8_P12ihipStream_tbDpT10_ENKUlT_T0_E_clISt17integral_constantIbLb0EES16_EEDaS11_S12_EUlS11_E_NS1_11comp_targetILNS1_3genE8ELNS1_11target_archE1030ELNS1_3gpuE2ELNS1_3repE0EEENS1_30default_config_static_selectorELNS0_4arch9wavefront6targetE1EEEvT1_,"axG",@progbits,_ZN7rocprim17ROCPRIM_400000_NS6detail17trampoline_kernelINS0_14default_configENS1_25partition_config_selectorILNS1_17partition_subalgoE0EtNS0_10empty_typeEbEEZZNS1_14partition_implILS5_0ELb0ES3_jN6thrust23THRUST_200600_302600_NS6detail15normal_iteratorINSA_10device_ptrItEEEEPS6_SG_NS0_5tupleIJSF_SF_EEENSH_IJSG_SG_EEES6_PlJ7is_evenItEEEE10hipError_tPvRmT3_T4_T5_T6_T7_T9_mT8_P12ihipStream_tbDpT10_ENKUlT_T0_E_clISt17integral_constantIbLb0EES16_EEDaS11_S12_EUlS11_E_NS1_11comp_targetILNS1_3genE8ELNS1_11target_archE1030ELNS1_3gpuE2ELNS1_3repE0EEENS1_30default_config_static_selectorELNS0_4arch9wavefront6targetE1EEEvT1_,comdat
.Lfunc_end2177:
	.size	_ZN7rocprim17ROCPRIM_400000_NS6detail17trampoline_kernelINS0_14default_configENS1_25partition_config_selectorILNS1_17partition_subalgoE0EtNS0_10empty_typeEbEEZZNS1_14partition_implILS5_0ELb0ES3_jN6thrust23THRUST_200600_302600_NS6detail15normal_iteratorINSA_10device_ptrItEEEEPS6_SG_NS0_5tupleIJSF_SF_EEENSH_IJSG_SG_EEES6_PlJ7is_evenItEEEE10hipError_tPvRmT3_T4_T5_T6_T7_T9_mT8_P12ihipStream_tbDpT10_ENKUlT_T0_E_clISt17integral_constantIbLb0EES16_EEDaS11_S12_EUlS11_E_NS1_11comp_targetILNS1_3genE8ELNS1_11target_archE1030ELNS1_3gpuE2ELNS1_3repE0EEENS1_30default_config_static_selectorELNS0_4arch9wavefront6targetE1EEEvT1_, .Lfunc_end2177-_ZN7rocprim17ROCPRIM_400000_NS6detail17trampoline_kernelINS0_14default_configENS1_25partition_config_selectorILNS1_17partition_subalgoE0EtNS0_10empty_typeEbEEZZNS1_14partition_implILS5_0ELb0ES3_jN6thrust23THRUST_200600_302600_NS6detail15normal_iteratorINSA_10device_ptrItEEEEPS6_SG_NS0_5tupleIJSF_SF_EEENSH_IJSG_SG_EEES6_PlJ7is_evenItEEEE10hipError_tPvRmT3_T4_T5_T6_T7_T9_mT8_P12ihipStream_tbDpT10_ENKUlT_T0_E_clISt17integral_constantIbLb0EES16_EEDaS11_S12_EUlS11_E_NS1_11comp_targetILNS1_3genE8ELNS1_11target_archE1030ELNS1_3gpuE2ELNS1_3repE0EEENS1_30default_config_static_selectorELNS0_4arch9wavefront6targetE1EEEvT1_
                                        ; -- End function
	.section	.AMDGPU.csdata,"",@progbits
; Kernel info:
; codeLenInByte = 0
; NumSgprs: 4
; NumVgprs: 0
; NumAgprs: 0
; TotalNumVgprs: 0
; ScratchSize: 0
; MemoryBound: 0
; FloatMode: 240
; IeeeMode: 1
; LDSByteSize: 0 bytes/workgroup (compile time only)
; SGPRBlocks: 0
; VGPRBlocks: 0
; NumSGPRsForWavesPerEU: 4
; NumVGPRsForWavesPerEU: 1
; AccumOffset: 4
; Occupancy: 8
; WaveLimiterHint : 0
; COMPUTE_PGM_RSRC2:SCRATCH_EN: 0
; COMPUTE_PGM_RSRC2:USER_SGPR: 6
; COMPUTE_PGM_RSRC2:TRAP_HANDLER: 0
; COMPUTE_PGM_RSRC2:TGID_X_EN: 1
; COMPUTE_PGM_RSRC2:TGID_Y_EN: 0
; COMPUTE_PGM_RSRC2:TGID_Z_EN: 0
; COMPUTE_PGM_RSRC2:TIDIG_COMP_CNT: 0
; COMPUTE_PGM_RSRC3_GFX90A:ACCUM_OFFSET: 0
; COMPUTE_PGM_RSRC3_GFX90A:TG_SPLIT: 0
	.section	.text._ZN7rocprim17ROCPRIM_400000_NS6detail17trampoline_kernelINS0_14default_configENS1_25partition_config_selectorILNS1_17partition_subalgoE0EtNS0_10empty_typeEbEEZZNS1_14partition_implILS5_0ELb0ES3_jN6thrust23THRUST_200600_302600_NS6detail15normal_iteratorINSA_10device_ptrItEEEEPS6_SG_NS0_5tupleIJSF_SF_EEENSH_IJSG_SG_EEES6_PlJ7is_evenItEEEE10hipError_tPvRmT3_T4_T5_T6_T7_T9_mT8_P12ihipStream_tbDpT10_ENKUlT_T0_E_clISt17integral_constantIbLb1EES16_EEDaS11_S12_EUlS11_E_NS1_11comp_targetILNS1_3genE0ELNS1_11target_archE4294967295ELNS1_3gpuE0ELNS1_3repE0EEENS1_30default_config_static_selectorELNS0_4arch9wavefront6targetE1EEEvT1_,"axG",@progbits,_ZN7rocprim17ROCPRIM_400000_NS6detail17trampoline_kernelINS0_14default_configENS1_25partition_config_selectorILNS1_17partition_subalgoE0EtNS0_10empty_typeEbEEZZNS1_14partition_implILS5_0ELb0ES3_jN6thrust23THRUST_200600_302600_NS6detail15normal_iteratorINSA_10device_ptrItEEEEPS6_SG_NS0_5tupleIJSF_SF_EEENSH_IJSG_SG_EEES6_PlJ7is_evenItEEEE10hipError_tPvRmT3_T4_T5_T6_T7_T9_mT8_P12ihipStream_tbDpT10_ENKUlT_T0_E_clISt17integral_constantIbLb1EES16_EEDaS11_S12_EUlS11_E_NS1_11comp_targetILNS1_3genE0ELNS1_11target_archE4294967295ELNS1_3gpuE0ELNS1_3repE0EEENS1_30default_config_static_selectorELNS0_4arch9wavefront6targetE1EEEvT1_,comdat
	.protected	_ZN7rocprim17ROCPRIM_400000_NS6detail17trampoline_kernelINS0_14default_configENS1_25partition_config_selectorILNS1_17partition_subalgoE0EtNS0_10empty_typeEbEEZZNS1_14partition_implILS5_0ELb0ES3_jN6thrust23THRUST_200600_302600_NS6detail15normal_iteratorINSA_10device_ptrItEEEEPS6_SG_NS0_5tupleIJSF_SF_EEENSH_IJSG_SG_EEES6_PlJ7is_evenItEEEE10hipError_tPvRmT3_T4_T5_T6_T7_T9_mT8_P12ihipStream_tbDpT10_ENKUlT_T0_E_clISt17integral_constantIbLb1EES16_EEDaS11_S12_EUlS11_E_NS1_11comp_targetILNS1_3genE0ELNS1_11target_archE4294967295ELNS1_3gpuE0ELNS1_3repE0EEENS1_30default_config_static_selectorELNS0_4arch9wavefront6targetE1EEEvT1_ ; -- Begin function _ZN7rocprim17ROCPRIM_400000_NS6detail17trampoline_kernelINS0_14default_configENS1_25partition_config_selectorILNS1_17partition_subalgoE0EtNS0_10empty_typeEbEEZZNS1_14partition_implILS5_0ELb0ES3_jN6thrust23THRUST_200600_302600_NS6detail15normal_iteratorINSA_10device_ptrItEEEEPS6_SG_NS0_5tupleIJSF_SF_EEENSH_IJSG_SG_EEES6_PlJ7is_evenItEEEE10hipError_tPvRmT3_T4_T5_T6_T7_T9_mT8_P12ihipStream_tbDpT10_ENKUlT_T0_E_clISt17integral_constantIbLb1EES16_EEDaS11_S12_EUlS11_E_NS1_11comp_targetILNS1_3genE0ELNS1_11target_archE4294967295ELNS1_3gpuE0ELNS1_3repE0EEENS1_30default_config_static_selectorELNS0_4arch9wavefront6targetE1EEEvT1_
	.globl	_ZN7rocprim17ROCPRIM_400000_NS6detail17trampoline_kernelINS0_14default_configENS1_25partition_config_selectorILNS1_17partition_subalgoE0EtNS0_10empty_typeEbEEZZNS1_14partition_implILS5_0ELb0ES3_jN6thrust23THRUST_200600_302600_NS6detail15normal_iteratorINSA_10device_ptrItEEEEPS6_SG_NS0_5tupleIJSF_SF_EEENSH_IJSG_SG_EEES6_PlJ7is_evenItEEEE10hipError_tPvRmT3_T4_T5_T6_T7_T9_mT8_P12ihipStream_tbDpT10_ENKUlT_T0_E_clISt17integral_constantIbLb1EES16_EEDaS11_S12_EUlS11_E_NS1_11comp_targetILNS1_3genE0ELNS1_11target_archE4294967295ELNS1_3gpuE0ELNS1_3repE0EEENS1_30default_config_static_selectorELNS0_4arch9wavefront6targetE1EEEvT1_
	.p2align	8
	.type	_ZN7rocprim17ROCPRIM_400000_NS6detail17trampoline_kernelINS0_14default_configENS1_25partition_config_selectorILNS1_17partition_subalgoE0EtNS0_10empty_typeEbEEZZNS1_14partition_implILS5_0ELb0ES3_jN6thrust23THRUST_200600_302600_NS6detail15normal_iteratorINSA_10device_ptrItEEEEPS6_SG_NS0_5tupleIJSF_SF_EEENSH_IJSG_SG_EEES6_PlJ7is_evenItEEEE10hipError_tPvRmT3_T4_T5_T6_T7_T9_mT8_P12ihipStream_tbDpT10_ENKUlT_T0_E_clISt17integral_constantIbLb1EES16_EEDaS11_S12_EUlS11_E_NS1_11comp_targetILNS1_3genE0ELNS1_11target_archE4294967295ELNS1_3gpuE0ELNS1_3repE0EEENS1_30default_config_static_selectorELNS0_4arch9wavefront6targetE1EEEvT1_,@function
_ZN7rocprim17ROCPRIM_400000_NS6detail17trampoline_kernelINS0_14default_configENS1_25partition_config_selectorILNS1_17partition_subalgoE0EtNS0_10empty_typeEbEEZZNS1_14partition_implILS5_0ELb0ES3_jN6thrust23THRUST_200600_302600_NS6detail15normal_iteratorINSA_10device_ptrItEEEEPS6_SG_NS0_5tupleIJSF_SF_EEENSH_IJSG_SG_EEES6_PlJ7is_evenItEEEE10hipError_tPvRmT3_T4_T5_T6_T7_T9_mT8_P12ihipStream_tbDpT10_ENKUlT_T0_E_clISt17integral_constantIbLb1EES16_EEDaS11_S12_EUlS11_E_NS1_11comp_targetILNS1_3genE0ELNS1_11target_archE4294967295ELNS1_3gpuE0ELNS1_3repE0EEENS1_30default_config_static_selectorELNS0_4arch9wavefront6targetE1EEEvT1_: ; @_ZN7rocprim17ROCPRIM_400000_NS6detail17trampoline_kernelINS0_14default_configENS1_25partition_config_selectorILNS1_17partition_subalgoE0EtNS0_10empty_typeEbEEZZNS1_14partition_implILS5_0ELb0ES3_jN6thrust23THRUST_200600_302600_NS6detail15normal_iteratorINSA_10device_ptrItEEEEPS6_SG_NS0_5tupleIJSF_SF_EEENSH_IJSG_SG_EEES6_PlJ7is_evenItEEEE10hipError_tPvRmT3_T4_T5_T6_T7_T9_mT8_P12ihipStream_tbDpT10_ENKUlT_T0_E_clISt17integral_constantIbLb1EES16_EEDaS11_S12_EUlS11_E_NS1_11comp_targetILNS1_3genE0ELNS1_11target_archE4294967295ELNS1_3gpuE0ELNS1_3repE0EEENS1_30default_config_static_selectorELNS0_4arch9wavefront6targetE1EEEvT1_
; %bb.0:
	.section	.rodata,"a",@progbits
	.p2align	6, 0x0
	.amdhsa_kernel _ZN7rocprim17ROCPRIM_400000_NS6detail17trampoline_kernelINS0_14default_configENS1_25partition_config_selectorILNS1_17partition_subalgoE0EtNS0_10empty_typeEbEEZZNS1_14partition_implILS5_0ELb0ES3_jN6thrust23THRUST_200600_302600_NS6detail15normal_iteratorINSA_10device_ptrItEEEEPS6_SG_NS0_5tupleIJSF_SF_EEENSH_IJSG_SG_EEES6_PlJ7is_evenItEEEE10hipError_tPvRmT3_T4_T5_T6_T7_T9_mT8_P12ihipStream_tbDpT10_ENKUlT_T0_E_clISt17integral_constantIbLb1EES16_EEDaS11_S12_EUlS11_E_NS1_11comp_targetILNS1_3genE0ELNS1_11target_archE4294967295ELNS1_3gpuE0ELNS1_3repE0EEENS1_30default_config_static_selectorELNS0_4arch9wavefront6targetE1EEEvT1_
		.amdhsa_group_segment_fixed_size 0
		.amdhsa_private_segment_fixed_size 0
		.amdhsa_kernarg_size 136
		.amdhsa_user_sgpr_count 6
		.amdhsa_user_sgpr_private_segment_buffer 1
		.amdhsa_user_sgpr_dispatch_ptr 0
		.amdhsa_user_sgpr_queue_ptr 0
		.amdhsa_user_sgpr_kernarg_segment_ptr 1
		.amdhsa_user_sgpr_dispatch_id 0
		.amdhsa_user_sgpr_flat_scratch_init 0
		.amdhsa_user_sgpr_kernarg_preload_length 0
		.amdhsa_user_sgpr_kernarg_preload_offset 0
		.amdhsa_user_sgpr_private_segment_size 0
		.amdhsa_uses_dynamic_stack 0
		.amdhsa_system_sgpr_private_segment_wavefront_offset 0
		.amdhsa_system_sgpr_workgroup_id_x 1
		.amdhsa_system_sgpr_workgroup_id_y 0
		.amdhsa_system_sgpr_workgroup_id_z 0
		.amdhsa_system_sgpr_workgroup_info 0
		.amdhsa_system_vgpr_workitem_id 0
		.amdhsa_next_free_vgpr 1
		.amdhsa_next_free_sgpr 0
		.amdhsa_accum_offset 4
		.amdhsa_reserve_vcc 0
		.amdhsa_reserve_flat_scratch 0
		.amdhsa_float_round_mode_32 0
		.amdhsa_float_round_mode_16_64 0
		.amdhsa_float_denorm_mode_32 3
		.amdhsa_float_denorm_mode_16_64 3
		.amdhsa_dx10_clamp 1
		.amdhsa_ieee_mode 1
		.amdhsa_fp16_overflow 0
		.amdhsa_tg_split 0
		.amdhsa_exception_fp_ieee_invalid_op 0
		.amdhsa_exception_fp_denorm_src 0
		.amdhsa_exception_fp_ieee_div_zero 0
		.amdhsa_exception_fp_ieee_overflow 0
		.amdhsa_exception_fp_ieee_underflow 0
		.amdhsa_exception_fp_ieee_inexact 0
		.amdhsa_exception_int_div_zero 0
	.end_amdhsa_kernel
	.section	.text._ZN7rocprim17ROCPRIM_400000_NS6detail17trampoline_kernelINS0_14default_configENS1_25partition_config_selectorILNS1_17partition_subalgoE0EtNS0_10empty_typeEbEEZZNS1_14partition_implILS5_0ELb0ES3_jN6thrust23THRUST_200600_302600_NS6detail15normal_iteratorINSA_10device_ptrItEEEEPS6_SG_NS0_5tupleIJSF_SF_EEENSH_IJSG_SG_EEES6_PlJ7is_evenItEEEE10hipError_tPvRmT3_T4_T5_T6_T7_T9_mT8_P12ihipStream_tbDpT10_ENKUlT_T0_E_clISt17integral_constantIbLb1EES16_EEDaS11_S12_EUlS11_E_NS1_11comp_targetILNS1_3genE0ELNS1_11target_archE4294967295ELNS1_3gpuE0ELNS1_3repE0EEENS1_30default_config_static_selectorELNS0_4arch9wavefront6targetE1EEEvT1_,"axG",@progbits,_ZN7rocprim17ROCPRIM_400000_NS6detail17trampoline_kernelINS0_14default_configENS1_25partition_config_selectorILNS1_17partition_subalgoE0EtNS0_10empty_typeEbEEZZNS1_14partition_implILS5_0ELb0ES3_jN6thrust23THRUST_200600_302600_NS6detail15normal_iteratorINSA_10device_ptrItEEEEPS6_SG_NS0_5tupleIJSF_SF_EEENSH_IJSG_SG_EEES6_PlJ7is_evenItEEEE10hipError_tPvRmT3_T4_T5_T6_T7_T9_mT8_P12ihipStream_tbDpT10_ENKUlT_T0_E_clISt17integral_constantIbLb1EES16_EEDaS11_S12_EUlS11_E_NS1_11comp_targetILNS1_3genE0ELNS1_11target_archE4294967295ELNS1_3gpuE0ELNS1_3repE0EEENS1_30default_config_static_selectorELNS0_4arch9wavefront6targetE1EEEvT1_,comdat
.Lfunc_end2178:
	.size	_ZN7rocprim17ROCPRIM_400000_NS6detail17trampoline_kernelINS0_14default_configENS1_25partition_config_selectorILNS1_17partition_subalgoE0EtNS0_10empty_typeEbEEZZNS1_14partition_implILS5_0ELb0ES3_jN6thrust23THRUST_200600_302600_NS6detail15normal_iteratorINSA_10device_ptrItEEEEPS6_SG_NS0_5tupleIJSF_SF_EEENSH_IJSG_SG_EEES6_PlJ7is_evenItEEEE10hipError_tPvRmT3_T4_T5_T6_T7_T9_mT8_P12ihipStream_tbDpT10_ENKUlT_T0_E_clISt17integral_constantIbLb1EES16_EEDaS11_S12_EUlS11_E_NS1_11comp_targetILNS1_3genE0ELNS1_11target_archE4294967295ELNS1_3gpuE0ELNS1_3repE0EEENS1_30default_config_static_selectorELNS0_4arch9wavefront6targetE1EEEvT1_, .Lfunc_end2178-_ZN7rocprim17ROCPRIM_400000_NS6detail17trampoline_kernelINS0_14default_configENS1_25partition_config_selectorILNS1_17partition_subalgoE0EtNS0_10empty_typeEbEEZZNS1_14partition_implILS5_0ELb0ES3_jN6thrust23THRUST_200600_302600_NS6detail15normal_iteratorINSA_10device_ptrItEEEEPS6_SG_NS0_5tupleIJSF_SF_EEENSH_IJSG_SG_EEES6_PlJ7is_evenItEEEE10hipError_tPvRmT3_T4_T5_T6_T7_T9_mT8_P12ihipStream_tbDpT10_ENKUlT_T0_E_clISt17integral_constantIbLb1EES16_EEDaS11_S12_EUlS11_E_NS1_11comp_targetILNS1_3genE0ELNS1_11target_archE4294967295ELNS1_3gpuE0ELNS1_3repE0EEENS1_30default_config_static_selectorELNS0_4arch9wavefront6targetE1EEEvT1_
                                        ; -- End function
	.section	.AMDGPU.csdata,"",@progbits
; Kernel info:
; codeLenInByte = 0
; NumSgprs: 4
; NumVgprs: 0
; NumAgprs: 0
; TotalNumVgprs: 0
; ScratchSize: 0
; MemoryBound: 0
; FloatMode: 240
; IeeeMode: 1
; LDSByteSize: 0 bytes/workgroup (compile time only)
; SGPRBlocks: 0
; VGPRBlocks: 0
; NumSGPRsForWavesPerEU: 4
; NumVGPRsForWavesPerEU: 1
; AccumOffset: 4
; Occupancy: 8
; WaveLimiterHint : 0
; COMPUTE_PGM_RSRC2:SCRATCH_EN: 0
; COMPUTE_PGM_RSRC2:USER_SGPR: 6
; COMPUTE_PGM_RSRC2:TRAP_HANDLER: 0
; COMPUTE_PGM_RSRC2:TGID_X_EN: 1
; COMPUTE_PGM_RSRC2:TGID_Y_EN: 0
; COMPUTE_PGM_RSRC2:TGID_Z_EN: 0
; COMPUTE_PGM_RSRC2:TIDIG_COMP_CNT: 0
; COMPUTE_PGM_RSRC3_GFX90A:ACCUM_OFFSET: 0
; COMPUTE_PGM_RSRC3_GFX90A:TG_SPLIT: 0
	.section	.text._ZN7rocprim17ROCPRIM_400000_NS6detail17trampoline_kernelINS0_14default_configENS1_25partition_config_selectorILNS1_17partition_subalgoE0EtNS0_10empty_typeEbEEZZNS1_14partition_implILS5_0ELb0ES3_jN6thrust23THRUST_200600_302600_NS6detail15normal_iteratorINSA_10device_ptrItEEEEPS6_SG_NS0_5tupleIJSF_SF_EEENSH_IJSG_SG_EEES6_PlJ7is_evenItEEEE10hipError_tPvRmT3_T4_T5_T6_T7_T9_mT8_P12ihipStream_tbDpT10_ENKUlT_T0_E_clISt17integral_constantIbLb1EES16_EEDaS11_S12_EUlS11_E_NS1_11comp_targetILNS1_3genE5ELNS1_11target_archE942ELNS1_3gpuE9ELNS1_3repE0EEENS1_30default_config_static_selectorELNS0_4arch9wavefront6targetE1EEEvT1_,"axG",@progbits,_ZN7rocprim17ROCPRIM_400000_NS6detail17trampoline_kernelINS0_14default_configENS1_25partition_config_selectorILNS1_17partition_subalgoE0EtNS0_10empty_typeEbEEZZNS1_14partition_implILS5_0ELb0ES3_jN6thrust23THRUST_200600_302600_NS6detail15normal_iteratorINSA_10device_ptrItEEEEPS6_SG_NS0_5tupleIJSF_SF_EEENSH_IJSG_SG_EEES6_PlJ7is_evenItEEEE10hipError_tPvRmT3_T4_T5_T6_T7_T9_mT8_P12ihipStream_tbDpT10_ENKUlT_T0_E_clISt17integral_constantIbLb1EES16_EEDaS11_S12_EUlS11_E_NS1_11comp_targetILNS1_3genE5ELNS1_11target_archE942ELNS1_3gpuE9ELNS1_3repE0EEENS1_30default_config_static_selectorELNS0_4arch9wavefront6targetE1EEEvT1_,comdat
	.protected	_ZN7rocprim17ROCPRIM_400000_NS6detail17trampoline_kernelINS0_14default_configENS1_25partition_config_selectorILNS1_17partition_subalgoE0EtNS0_10empty_typeEbEEZZNS1_14partition_implILS5_0ELb0ES3_jN6thrust23THRUST_200600_302600_NS6detail15normal_iteratorINSA_10device_ptrItEEEEPS6_SG_NS0_5tupleIJSF_SF_EEENSH_IJSG_SG_EEES6_PlJ7is_evenItEEEE10hipError_tPvRmT3_T4_T5_T6_T7_T9_mT8_P12ihipStream_tbDpT10_ENKUlT_T0_E_clISt17integral_constantIbLb1EES16_EEDaS11_S12_EUlS11_E_NS1_11comp_targetILNS1_3genE5ELNS1_11target_archE942ELNS1_3gpuE9ELNS1_3repE0EEENS1_30default_config_static_selectorELNS0_4arch9wavefront6targetE1EEEvT1_ ; -- Begin function _ZN7rocprim17ROCPRIM_400000_NS6detail17trampoline_kernelINS0_14default_configENS1_25partition_config_selectorILNS1_17partition_subalgoE0EtNS0_10empty_typeEbEEZZNS1_14partition_implILS5_0ELb0ES3_jN6thrust23THRUST_200600_302600_NS6detail15normal_iteratorINSA_10device_ptrItEEEEPS6_SG_NS0_5tupleIJSF_SF_EEENSH_IJSG_SG_EEES6_PlJ7is_evenItEEEE10hipError_tPvRmT3_T4_T5_T6_T7_T9_mT8_P12ihipStream_tbDpT10_ENKUlT_T0_E_clISt17integral_constantIbLb1EES16_EEDaS11_S12_EUlS11_E_NS1_11comp_targetILNS1_3genE5ELNS1_11target_archE942ELNS1_3gpuE9ELNS1_3repE0EEENS1_30default_config_static_selectorELNS0_4arch9wavefront6targetE1EEEvT1_
	.globl	_ZN7rocprim17ROCPRIM_400000_NS6detail17trampoline_kernelINS0_14default_configENS1_25partition_config_selectorILNS1_17partition_subalgoE0EtNS0_10empty_typeEbEEZZNS1_14partition_implILS5_0ELb0ES3_jN6thrust23THRUST_200600_302600_NS6detail15normal_iteratorINSA_10device_ptrItEEEEPS6_SG_NS0_5tupleIJSF_SF_EEENSH_IJSG_SG_EEES6_PlJ7is_evenItEEEE10hipError_tPvRmT3_T4_T5_T6_T7_T9_mT8_P12ihipStream_tbDpT10_ENKUlT_T0_E_clISt17integral_constantIbLb1EES16_EEDaS11_S12_EUlS11_E_NS1_11comp_targetILNS1_3genE5ELNS1_11target_archE942ELNS1_3gpuE9ELNS1_3repE0EEENS1_30default_config_static_selectorELNS0_4arch9wavefront6targetE1EEEvT1_
	.p2align	8
	.type	_ZN7rocprim17ROCPRIM_400000_NS6detail17trampoline_kernelINS0_14default_configENS1_25partition_config_selectorILNS1_17partition_subalgoE0EtNS0_10empty_typeEbEEZZNS1_14partition_implILS5_0ELb0ES3_jN6thrust23THRUST_200600_302600_NS6detail15normal_iteratorINSA_10device_ptrItEEEEPS6_SG_NS0_5tupleIJSF_SF_EEENSH_IJSG_SG_EEES6_PlJ7is_evenItEEEE10hipError_tPvRmT3_T4_T5_T6_T7_T9_mT8_P12ihipStream_tbDpT10_ENKUlT_T0_E_clISt17integral_constantIbLb1EES16_EEDaS11_S12_EUlS11_E_NS1_11comp_targetILNS1_3genE5ELNS1_11target_archE942ELNS1_3gpuE9ELNS1_3repE0EEENS1_30default_config_static_selectorELNS0_4arch9wavefront6targetE1EEEvT1_,@function
_ZN7rocprim17ROCPRIM_400000_NS6detail17trampoline_kernelINS0_14default_configENS1_25partition_config_selectorILNS1_17partition_subalgoE0EtNS0_10empty_typeEbEEZZNS1_14partition_implILS5_0ELb0ES3_jN6thrust23THRUST_200600_302600_NS6detail15normal_iteratorINSA_10device_ptrItEEEEPS6_SG_NS0_5tupleIJSF_SF_EEENSH_IJSG_SG_EEES6_PlJ7is_evenItEEEE10hipError_tPvRmT3_T4_T5_T6_T7_T9_mT8_P12ihipStream_tbDpT10_ENKUlT_T0_E_clISt17integral_constantIbLb1EES16_EEDaS11_S12_EUlS11_E_NS1_11comp_targetILNS1_3genE5ELNS1_11target_archE942ELNS1_3gpuE9ELNS1_3repE0EEENS1_30default_config_static_selectorELNS0_4arch9wavefront6targetE1EEEvT1_: ; @_ZN7rocprim17ROCPRIM_400000_NS6detail17trampoline_kernelINS0_14default_configENS1_25partition_config_selectorILNS1_17partition_subalgoE0EtNS0_10empty_typeEbEEZZNS1_14partition_implILS5_0ELb0ES3_jN6thrust23THRUST_200600_302600_NS6detail15normal_iteratorINSA_10device_ptrItEEEEPS6_SG_NS0_5tupleIJSF_SF_EEENSH_IJSG_SG_EEES6_PlJ7is_evenItEEEE10hipError_tPvRmT3_T4_T5_T6_T7_T9_mT8_P12ihipStream_tbDpT10_ENKUlT_T0_E_clISt17integral_constantIbLb1EES16_EEDaS11_S12_EUlS11_E_NS1_11comp_targetILNS1_3genE5ELNS1_11target_archE942ELNS1_3gpuE9ELNS1_3repE0EEENS1_30default_config_static_selectorELNS0_4arch9wavefront6targetE1EEEvT1_
; %bb.0:
	.section	.rodata,"a",@progbits
	.p2align	6, 0x0
	.amdhsa_kernel _ZN7rocprim17ROCPRIM_400000_NS6detail17trampoline_kernelINS0_14default_configENS1_25partition_config_selectorILNS1_17partition_subalgoE0EtNS0_10empty_typeEbEEZZNS1_14partition_implILS5_0ELb0ES3_jN6thrust23THRUST_200600_302600_NS6detail15normal_iteratorINSA_10device_ptrItEEEEPS6_SG_NS0_5tupleIJSF_SF_EEENSH_IJSG_SG_EEES6_PlJ7is_evenItEEEE10hipError_tPvRmT3_T4_T5_T6_T7_T9_mT8_P12ihipStream_tbDpT10_ENKUlT_T0_E_clISt17integral_constantIbLb1EES16_EEDaS11_S12_EUlS11_E_NS1_11comp_targetILNS1_3genE5ELNS1_11target_archE942ELNS1_3gpuE9ELNS1_3repE0EEENS1_30default_config_static_selectorELNS0_4arch9wavefront6targetE1EEEvT1_
		.amdhsa_group_segment_fixed_size 0
		.amdhsa_private_segment_fixed_size 0
		.amdhsa_kernarg_size 136
		.amdhsa_user_sgpr_count 6
		.amdhsa_user_sgpr_private_segment_buffer 1
		.amdhsa_user_sgpr_dispatch_ptr 0
		.amdhsa_user_sgpr_queue_ptr 0
		.amdhsa_user_sgpr_kernarg_segment_ptr 1
		.amdhsa_user_sgpr_dispatch_id 0
		.amdhsa_user_sgpr_flat_scratch_init 0
		.amdhsa_user_sgpr_kernarg_preload_length 0
		.amdhsa_user_sgpr_kernarg_preload_offset 0
		.amdhsa_user_sgpr_private_segment_size 0
		.amdhsa_uses_dynamic_stack 0
		.amdhsa_system_sgpr_private_segment_wavefront_offset 0
		.amdhsa_system_sgpr_workgroup_id_x 1
		.amdhsa_system_sgpr_workgroup_id_y 0
		.amdhsa_system_sgpr_workgroup_id_z 0
		.amdhsa_system_sgpr_workgroup_info 0
		.amdhsa_system_vgpr_workitem_id 0
		.amdhsa_next_free_vgpr 1
		.amdhsa_next_free_sgpr 0
		.amdhsa_accum_offset 4
		.amdhsa_reserve_vcc 0
		.amdhsa_reserve_flat_scratch 0
		.amdhsa_float_round_mode_32 0
		.amdhsa_float_round_mode_16_64 0
		.amdhsa_float_denorm_mode_32 3
		.amdhsa_float_denorm_mode_16_64 3
		.amdhsa_dx10_clamp 1
		.amdhsa_ieee_mode 1
		.amdhsa_fp16_overflow 0
		.amdhsa_tg_split 0
		.amdhsa_exception_fp_ieee_invalid_op 0
		.amdhsa_exception_fp_denorm_src 0
		.amdhsa_exception_fp_ieee_div_zero 0
		.amdhsa_exception_fp_ieee_overflow 0
		.amdhsa_exception_fp_ieee_underflow 0
		.amdhsa_exception_fp_ieee_inexact 0
		.amdhsa_exception_int_div_zero 0
	.end_amdhsa_kernel
	.section	.text._ZN7rocprim17ROCPRIM_400000_NS6detail17trampoline_kernelINS0_14default_configENS1_25partition_config_selectorILNS1_17partition_subalgoE0EtNS0_10empty_typeEbEEZZNS1_14partition_implILS5_0ELb0ES3_jN6thrust23THRUST_200600_302600_NS6detail15normal_iteratorINSA_10device_ptrItEEEEPS6_SG_NS0_5tupleIJSF_SF_EEENSH_IJSG_SG_EEES6_PlJ7is_evenItEEEE10hipError_tPvRmT3_T4_T5_T6_T7_T9_mT8_P12ihipStream_tbDpT10_ENKUlT_T0_E_clISt17integral_constantIbLb1EES16_EEDaS11_S12_EUlS11_E_NS1_11comp_targetILNS1_3genE5ELNS1_11target_archE942ELNS1_3gpuE9ELNS1_3repE0EEENS1_30default_config_static_selectorELNS0_4arch9wavefront6targetE1EEEvT1_,"axG",@progbits,_ZN7rocprim17ROCPRIM_400000_NS6detail17trampoline_kernelINS0_14default_configENS1_25partition_config_selectorILNS1_17partition_subalgoE0EtNS0_10empty_typeEbEEZZNS1_14partition_implILS5_0ELb0ES3_jN6thrust23THRUST_200600_302600_NS6detail15normal_iteratorINSA_10device_ptrItEEEEPS6_SG_NS0_5tupleIJSF_SF_EEENSH_IJSG_SG_EEES6_PlJ7is_evenItEEEE10hipError_tPvRmT3_T4_T5_T6_T7_T9_mT8_P12ihipStream_tbDpT10_ENKUlT_T0_E_clISt17integral_constantIbLb1EES16_EEDaS11_S12_EUlS11_E_NS1_11comp_targetILNS1_3genE5ELNS1_11target_archE942ELNS1_3gpuE9ELNS1_3repE0EEENS1_30default_config_static_selectorELNS0_4arch9wavefront6targetE1EEEvT1_,comdat
.Lfunc_end2179:
	.size	_ZN7rocprim17ROCPRIM_400000_NS6detail17trampoline_kernelINS0_14default_configENS1_25partition_config_selectorILNS1_17partition_subalgoE0EtNS0_10empty_typeEbEEZZNS1_14partition_implILS5_0ELb0ES3_jN6thrust23THRUST_200600_302600_NS6detail15normal_iteratorINSA_10device_ptrItEEEEPS6_SG_NS0_5tupleIJSF_SF_EEENSH_IJSG_SG_EEES6_PlJ7is_evenItEEEE10hipError_tPvRmT3_T4_T5_T6_T7_T9_mT8_P12ihipStream_tbDpT10_ENKUlT_T0_E_clISt17integral_constantIbLb1EES16_EEDaS11_S12_EUlS11_E_NS1_11comp_targetILNS1_3genE5ELNS1_11target_archE942ELNS1_3gpuE9ELNS1_3repE0EEENS1_30default_config_static_selectorELNS0_4arch9wavefront6targetE1EEEvT1_, .Lfunc_end2179-_ZN7rocprim17ROCPRIM_400000_NS6detail17trampoline_kernelINS0_14default_configENS1_25partition_config_selectorILNS1_17partition_subalgoE0EtNS0_10empty_typeEbEEZZNS1_14partition_implILS5_0ELb0ES3_jN6thrust23THRUST_200600_302600_NS6detail15normal_iteratorINSA_10device_ptrItEEEEPS6_SG_NS0_5tupleIJSF_SF_EEENSH_IJSG_SG_EEES6_PlJ7is_evenItEEEE10hipError_tPvRmT3_T4_T5_T6_T7_T9_mT8_P12ihipStream_tbDpT10_ENKUlT_T0_E_clISt17integral_constantIbLb1EES16_EEDaS11_S12_EUlS11_E_NS1_11comp_targetILNS1_3genE5ELNS1_11target_archE942ELNS1_3gpuE9ELNS1_3repE0EEENS1_30default_config_static_selectorELNS0_4arch9wavefront6targetE1EEEvT1_
                                        ; -- End function
	.section	.AMDGPU.csdata,"",@progbits
; Kernel info:
; codeLenInByte = 0
; NumSgprs: 4
; NumVgprs: 0
; NumAgprs: 0
; TotalNumVgprs: 0
; ScratchSize: 0
; MemoryBound: 0
; FloatMode: 240
; IeeeMode: 1
; LDSByteSize: 0 bytes/workgroup (compile time only)
; SGPRBlocks: 0
; VGPRBlocks: 0
; NumSGPRsForWavesPerEU: 4
; NumVGPRsForWavesPerEU: 1
; AccumOffset: 4
; Occupancy: 8
; WaveLimiterHint : 0
; COMPUTE_PGM_RSRC2:SCRATCH_EN: 0
; COMPUTE_PGM_RSRC2:USER_SGPR: 6
; COMPUTE_PGM_RSRC2:TRAP_HANDLER: 0
; COMPUTE_PGM_RSRC2:TGID_X_EN: 1
; COMPUTE_PGM_RSRC2:TGID_Y_EN: 0
; COMPUTE_PGM_RSRC2:TGID_Z_EN: 0
; COMPUTE_PGM_RSRC2:TIDIG_COMP_CNT: 0
; COMPUTE_PGM_RSRC3_GFX90A:ACCUM_OFFSET: 0
; COMPUTE_PGM_RSRC3_GFX90A:TG_SPLIT: 0
	.section	.text._ZN7rocprim17ROCPRIM_400000_NS6detail17trampoline_kernelINS0_14default_configENS1_25partition_config_selectorILNS1_17partition_subalgoE0EtNS0_10empty_typeEbEEZZNS1_14partition_implILS5_0ELb0ES3_jN6thrust23THRUST_200600_302600_NS6detail15normal_iteratorINSA_10device_ptrItEEEEPS6_SG_NS0_5tupleIJSF_SF_EEENSH_IJSG_SG_EEES6_PlJ7is_evenItEEEE10hipError_tPvRmT3_T4_T5_T6_T7_T9_mT8_P12ihipStream_tbDpT10_ENKUlT_T0_E_clISt17integral_constantIbLb1EES16_EEDaS11_S12_EUlS11_E_NS1_11comp_targetILNS1_3genE4ELNS1_11target_archE910ELNS1_3gpuE8ELNS1_3repE0EEENS1_30default_config_static_selectorELNS0_4arch9wavefront6targetE1EEEvT1_,"axG",@progbits,_ZN7rocprim17ROCPRIM_400000_NS6detail17trampoline_kernelINS0_14default_configENS1_25partition_config_selectorILNS1_17partition_subalgoE0EtNS0_10empty_typeEbEEZZNS1_14partition_implILS5_0ELb0ES3_jN6thrust23THRUST_200600_302600_NS6detail15normal_iteratorINSA_10device_ptrItEEEEPS6_SG_NS0_5tupleIJSF_SF_EEENSH_IJSG_SG_EEES6_PlJ7is_evenItEEEE10hipError_tPvRmT3_T4_T5_T6_T7_T9_mT8_P12ihipStream_tbDpT10_ENKUlT_T0_E_clISt17integral_constantIbLb1EES16_EEDaS11_S12_EUlS11_E_NS1_11comp_targetILNS1_3genE4ELNS1_11target_archE910ELNS1_3gpuE8ELNS1_3repE0EEENS1_30default_config_static_selectorELNS0_4arch9wavefront6targetE1EEEvT1_,comdat
	.protected	_ZN7rocprim17ROCPRIM_400000_NS6detail17trampoline_kernelINS0_14default_configENS1_25partition_config_selectorILNS1_17partition_subalgoE0EtNS0_10empty_typeEbEEZZNS1_14partition_implILS5_0ELb0ES3_jN6thrust23THRUST_200600_302600_NS6detail15normal_iteratorINSA_10device_ptrItEEEEPS6_SG_NS0_5tupleIJSF_SF_EEENSH_IJSG_SG_EEES6_PlJ7is_evenItEEEE10hipError_tPvRmT3_T4_T5_T6_T7_T9_mT8_P12ihipStream_tbDpT10_ENKUlT_T0_E_clISt17integral_constantIbLb1EES16_EEDaS11_S12_EUlS11_E_NS1_11comp_targetILNS1_3genE4ELNS1_11target_archE910ELNS1_3gpuE8ELNS1_3repE0EEENS1_30default_config_static_selectorELNS0_4arch9wavefront6targetE1EEEvT1_ ; -- Begin function _ZN7rocprim17ROCPRIM_400000_NS6detail17trampoline_kernelINS0_14default_configENS1_25partition_config_selectorILNS1_17partition_subalgoE0EtNS0_10empty_typeEbEEZZNS1_14partition_implILS5_0ELb0ES3_jN6thrust23THRUST_200600_302600_NS6detail15normal_iteratorINSA_10device_ptrItEEEEPS6_SG_NS0_5tupleIJSF_SF_EEENSH_IJSG_SG_EEES6_PlJ7is_evenItEEEE10hipError_tPvRmT3_T4_T5_T6_T7_T9_mT8_P12ihipStream_tbDpT10_ENKUlT_T0_E_clISt17integral_constantIbLb1EES16_EEDaS11_S12_EUlS11_E_NS1_11comp_targetILNS1_3genE4ELNS1_11target_archE910ELNS1_3gpuE8ELNS1_3repE0EEENS1_30default_config_static_selectorELNS0_4arch9wavefront6targetE1EEEvT1_
	.globl	_ZN7rocprim17ROCPRIM_400000_NS6detail17trampoline_kernelINS0_14default_configENS1_25partition_config_selectorILNS1_17partition_subalgoE0EtNS0_10empty_typeEbEEZZNS1_14partition_implILS5_0ELb0ES3_jN6thrust23THRUST_200600_302600_NS6detail15normal_iteratorINSA_10device_ptrItEEEEPS6_SG_NS0_5tupleIJSF_SF_EEENSH_IJSG_SG_EEES6_PlJ7is_evenItEEEE10hipError_tPvRmT3_T4_T5_T6_T7_T9_mT8_P12ihipStream_tbDpT10_ENKUlT_T0_E_clISt17integral_constantIbLb1EES16_EEDaS11_S12_EUlS11_E_NS1_11comp_targetILNS1_3genE4ELNS1_11target_archE910ELNS1_3gpuE8ELNS1_3repE0EEENS1_30default_config_static_selectorELNS0_4arch9wavefront6targetE1EEEvT1_
	.p2align	8
	.type	_ZN7rocprim17ROCPRIM_400000_NS6detail17trampoline_kernelINS0_14default_configENS1_25partition_config_selectorILNS1_17partition_subalgoE0EtNS0_10empty_typeEbEEZZNS1_14partition_implILS5_0ELb0ES3_jN6thrust23THRUST_200600_302600_NS6detail15normal_iteratorINSA_10device_ptrItEEEEPS6_SG_NS0_5tupleIJSF_SF_EEENSH_IJSG_SG_EEES6_PlJ7is_evenItEEEE10hipError_tPvRmT3_T4_T5_T6_T7_T9_mT8_P12ihipStream_tbDpT10_ENKUlT_T0_E_clISt17integral_constantIbLb1EES16_EEDaS11_S12_EUlS11_E_NS1_11comp_targetILNS1_3genE4ELNS1_11target_archE910ELNS1_3gpuE8ELNS1_3repE0EEENS1_30default_config_static_selectorELNS0_4arch9wavefront6targetE1EEEvT1_,@function
_ZN7rocprim17ROCPRIM_400000_NS6detail17trampoline_kernelINS0_14default_configENS1_25partition_config_selectorILNS1_17partition_subalgoE0EtNS0_10empty_typeEbEEZZNS1_14partition_implILS5_0ELb0ES3_jN6thrust23THRUST_200600_302600_NS6detail15normal_iteratorINSA_10device_ptrItEEEEPS6_SG_NS0_5tupleIJSF_SF_EEENSH_IJSG_SG_EEES6_PlJ7is_evenItEEEE10hipError_tPvRmT3_T4_T5_T6_T7_T9_mT8_P12ihipStream_tbDpT10_ENKUlT_T0_E_clISt17integral_constantIbLb1EES16_EEDaS11_S12_EUlS11_E_NS1_11comp_targetILNS1_3genE4ELNS1_11target_archE910ELNS1_3gpuE8ELNS1_3repE0EEENS1_30default_config_static_selectorELNS0_4arch9wavefront6targetE1EEEvT1_: ; @_ZN7rocprim17ROCPRIM_400000_NS6detail17trampoline_kernelINS0_14default_configENS1_25partition_config_selectorILNS1_17partition_subalgoE0EtNS0_10empty_typeEbEEZZNS1_14partition_implILS5_0ELb0ES3_jN6thrust23THRUST_200600_302600_NS6detail15normal_iteratorINSA_10device_ptrItEEEEPS6_SG_NS0_5tupleIJSF_SF_EEENSH_IJSG_SG_EEES6_PlJ7is_evenItEEEE10hipError_tPvRmT3_T4_T5_T6_T7_T9_mT8_P12ihipStream_tbDpT10_ENKUlT_T0_E_clISt17integral_constantIbLb1EES16_EEDaS11_S12_EUlS11_E_NS1_11comp_targetILNS1_3genE4ELNS1_11target_archE910ELNS1_3gpuE8ELNS1_3repE0EEENS1_30default_config_static_selectorELNS0_4arch9wavefront6targetE1EEEvT1_
; %bb.0:
	s_load_dwordx2 s[2:3], s[4:5], 0x58
	s_load_dwordx4 s[20:23], s[4:5], 0x48
	s_load_dwordx2 s[34:35], s[4:5], 0x68
	v_cmp_eq_u32_e64 s[0:1], 0, v0
	s_and_saveexec_b64 s[6:7], s[0:1]
	s_cbranch_execz .LBB2180_4
; %bb.1:
	s_mov_b64 s[10:11], exec
	v_mbcnt_lo_u32_b32 v1, s10, 0
	v_mbcnt_hi_u32_b32 v1, s11, v1
	v_cmp_eq_u32_e32 vcc, 0, v1
                                        ; implicit-def: $vgpr2
	s_and_saveexec_b64 s[8:9], vcc
	s_cbranch_execz .LBB2180_3
; %bb.2:
	s_load_dwordx2 s[12:13], s[4:5], 0x78
	s_bcnt1_i32_b64 s10, s[10:11]
	v_mov_b32_e32 v2, 0
	v_mov_b32_e32 v3, s10
	s_waitcnt lgkmcnt(0)
	global_atomic_add v2, v2, v3, s[12:13] glc
.LBB2180_3:
	s_or_b64 exec, exec, s[8:9]
	s_waitcnt vmcnt(0)
	v_readfirstlane_b32 s8, v2
	v_add_u32_e32 v1, s8, v1
	v_mov_b32_e32 v2, 0
	ds_write_b32 v2, v1
.LBB2180_4:
	s_or_b64 exec, exec, s[6:7]
	v_mov_b32_e32 v3, 0
	s_load_dwordx4 s[28:31], s[4:5], 0x8
	s_load_dwordx4 s[24:27], s[4:5], 0x28
	s_load_dword s6, s[4:5], 0x70
	s_waitcnt lgkmcnt(0)
	s_barrier
	ds_read_b32 v1, v3
	s_waitcnt lgkmcnt(0)
	s_barrier
	global_load_dwordx2 v[14:15], v3, s[22:23]
	v_mov_b32_e32 v5, s3
	s_lshl_b64 s[4:5], s[30:31], 1
	s_movk_i32 s3, 0x1c00
	s_add_u32 s7, s28, s4
	v_mul_lo_u32 v2, v1, s3
	s_mul_i32 s3, s6, 0x1c00
	s_addc_u32 s8, s29, s5
	s_add_i32 s5, s3, s30
	s_sub_i32 s33, s2, s5
	s_add_i32 s4, s6, -1
	s_addk_i32 s33, 0x1c00
	v_mov_b32_e32 v4, s2
	s_add_u32 s2, s30, s3
	v_readfirstlane_b32 s40, v1
	s_addc_u32 s3, s31, 0
	s_cmp_eq_u32 s40, s4
	s_cselect_b64 s[22:23], -1, 0
	s_cmp_lg_u32 s40, s4
	v_cmp_lt_u64_e32 vcc, s[2:3], v[4:5]
	s_cselect_b64 s[2:3], -1, 0
	v_lshlrev_b64 v[16:17], 1, v[2:3]
	s_or_b64 s[4:5], vcc, s[2:3]
	v_mov_b32_e32 v1, s8
	v_add_co_u32_e32 v2, vcc, s7, v16
	v_addc_co_u32_e32 v3, vcc, v1, v17, vcc
	s_mov_b64 s[2:3], -1
	s_and_b64 vcc, exec, s[4:5]
	v_lshlrev_b32_e32 v1, 1, v0
	s_cbranch_vccz .LBB2180_6
; %bb.5:
	v_add_co_u32_e32 v4, vcc, v2, v1
	v_addc_co_u32_e32 v5, vcc, 0, v3, vcc
	v_add_co_u32_e32 v6, vcc, 0x1000, v4
	v_addc_co_u32_e32 v7, vcc, 0, v5, vcc
	flat_load_ushort v8, v[4:5]
	flat_load_ushort v9, v[4:5] offset:512
	flat_load_ushort v10, v[4:5] offset:1024
	;; [unrolled: 1-line block ×7, first 2 shown]
	flat_load_ushort v20, v[6:7]
	flat_load_ushort v21, v[6:7] offset:512
	flat_load_ushort v22, v[6:7] offset:1024
	;; [unrolled: 1-line block ×7, first 2 shown]
	v_add_co_u32_e32 v6, vcc, 0x2000, v4
	v_addc_co_u32_e32 v7, vcc, 0, v5, vcc
	v_add_co_u32_e32 v4, vcc, 0x3000, v4
	v_addc_co_u32_e32 v5, vcc, 0, v5, vcc
	flat_load_ushort v28, v[6:7]
	flat_load_ushort v29, v[6:7] offset:512
	flat_load_ushort v30, v[6:7] offset:1024
	;; [unrolled: 1-line block ×7, first 2 shown]
	s_nop 0
	flat_load_ushort v6, v[4:5]
	flat_load_ushort v7, v[4:5] offset:512
	flat_load_ushort v36, v[4:5] offset:1024
	;; [unrolled: 1-line block ×3, first 2 shown]
	s_mov_b64 s[2:3], 0
	s_waitcnt vmcnt(0) lgkmcnt(0)
	ds_write_b16 v1, v8
	ds_write_b16 v1, v9 offset:512
	ds_write_b16 v1, v10 offset:1024
	;; [unrolled: 1-line block ×27, first 2 shown]
	s_waitcnt lgkmcnt(0)
	s_barrier
.LBB2180_6:
	s_andn2_b64 vcc, exec, s[2:3]
	v_cmp_gt_u32_e64 s[2:3], s33, v0
	s_cbranch_vccnz .LBB2180_64
; %bb.7:
                                        ; implicit-def: $vgpr4
	s_and_saveexec_b64 s[6:7], s[2:3]
	s_cbranch_execz .LBB2180_9
; %bb.8:
	v_add_co_u32_e32 v4, vcc, v2, v1
	v_addc_co_u32_e32 v5, vcc, 0, v3, vcc
	flat_load_ushort v4, v[4:5]
.LBB2180_9:
	s_or_b64 exec, exec, s[6:7]
	v_or_b32_e32 v5, 0x100, v0
	v_cmp_gt_u32_e32 vcc, s33, v5
                                        ; implicit-def: $vgpr5
	s_and_saveexec_b64 s[2:3], vcc
	s_cbranch_execz .LBB2180_11
; %bb.10:
	v_add_co_u32_e32 v6, vcc, v2, v1
	v_addc_co_u32_e32 v7, vcc, 0, v3, vcc
	flat_load_ushort v5, v[6:7] offset:512
.LBB2180_11:
	s_or_b64 exec, exec, s[2:3]
	v_or_b32_e32 v6, 0x200, v0
	v_cmp_gt_u32_e32 vcc, s33, v6
                                        ; implicit-def: $vgpr6
	s_and_saveexec_b64 s[2:3], vcc
	s_cbranch_execz .LBB2180_13
; %bb.12:
	v_add_co_u32_e32 v6, vcc, v2, v1
	v_addc_co_u32_e32 v7, vcc, 0, v3, vcc
	flat_load_ushort v6, v[6:7] offset:1024
.LBB2180_13:
	s_or_b64 exec, exec, s[2:3]
	v_or_b32_e32 v7, 0x300, v0
	v_cmp_gt_u32_e32 vcc, s33, v7
                                        ; implicit-def: $vgpr7
	s_and_saveexec_b64 s[2:3], vcc
	s_cbranch_execz .LBB2180_15
; %bb.14:
	v_add_co_u32_e32 v8, vcc, v2, v1
	v_addc_co_u32_e32 v9, vcc, 0, v3, vcc
	flat_load_ushort v7, v[8:9] offset:1536
.LBB2180_15:
	s_or_b64 exec, exec, s[2:3]
	v_or_b32_e32 v8, 0x400, v0
	v_cmp_gt_u32_e32 vcc, s33, v8
                                        ; implicit-def: $vgpr8
	s_and_saveexec_b64 s[2:3], vcc
	s_cbranch_execz .LBB2180_17
; %bb.16:
	v_add_co_u32_e32 v8, vcc, v2, v1
	v_addc_co_u32_e32 v9, vcc, 0, v3, vcc
	flat_load_ushort v8, v[8:9] offset:2048
.LBB2180_17:
	s_or_b64 exec, exec, s[2:3]
	v_or_b32_e32 v9, 0x500, v0
	v_cmp_gt_u32_e32 vcc, s33, v9
                                        ; implicit-def: $vgpr9
	s_and_saveexec_b64 s[2:3], vcc
	s_cbranch_execz .LBB2180_19
; %bb.18:
	v_add_co_u32_e32 v10, vcc, v2, v1
	v_addc_co_u32_e32 v11, vcc, 0, v3, vcc
	flat_load_ushort v9, v[10:11] offset:2560
.LBB2180_19:
	s_or_b64 exec, exec, s[2:3]
	v_or_b32_e32 v10, 0x600, v0
	v_cmp_gt_u32_e32 vcc, s33, v10
                                        ; implicit-def: $vgpr10
	s_and_saveexec_b64 s[2:3], vcc
	s_cbranch_execz .LBB2180_21
; %bb.20:
	v_add_co_u32_e32 v10, vcc, v2, v1
	v_addc_co_u32_e32 v11, vcc, 0, v3, vcc
	flat_load_ushort v10, v[10:11] offset:3072
.LBB2180_21:
	s_or_b64 exec, exec, s[2:3]
	v_or_b32_e32 v11, 0x700, v0
	v_cmp_gt_u32_e32 vcc, s33, v11
                                        ; implicit-def: $vgpr11
	s_and_saveexec_b64 s[2:3], vcc
	s_cbranch_execz .LBB2180_23
; %bb.22:
	v_add_co_u32_e32 v12, vcc, v2, v1
	v_addc_co_u32_e32 v13, vcc, 0, v3, vcc
	flat_load_ushort v11, v[12:13] offset:3584
.LBB2180_23:
	s_or_b64 exec, exec, s[2:3]
	v_or_b32_e32 v13, 0x800, v0
	v_cmp_gt_u32_e32 vcc, s33, v13
                                        ; implicit-def: $vgpr12
	s_and_saveexec_b64 s[2:3], vcc
	s_cbranch_execz .LBB2180_25
; %bb.24:
	v_lshlrev_b32_e32 v12, 1, v13
	v_add_co_u32_e32 v12, vcc, v2, v12
	v_addc_co_u32_e32 v13, vcc, 0, v3, vcc
	flat_load_ushort v12, v[12:13]
.LBB2180_25:
	s_or_b64 exec, exec, s[2:3]
	v_or_b32_e32 v18, 0x900, v0
	v_cmp_gt_u32_e32 vcc, s33, v18
                                        ; implicit-def: $vgpr13
	s_and_saveexec_b64 s[2:3], vcc
	s_cbranch_execz .LBB2180_27
; %bb.26:
	v_lshlrev_b32_e32 v13, 1, v18
	v_add_co_u32_e32 v18, vcc, v2, v13
	v_addc_co_u32_e32 v19, vcc, 0, v3, vcc
	flat_load_ushort v13, v[18:19]
.LBB2180_27:
	s_or_b64 exec, exec, s[2:3]
	v_or_b32_e32 v19, 0xa00, v0
	v_cmp_gt_u32_e32 vcc, s33, v19
                                        ; implicit-def: $vgpr18
	s_and_saveexec_b64 s[2:3], vcc
	s_cbranch_execz .LBB2180_29
; %bb.28:
	v_lshlrev_b32_e32 v18, 1, v19
	v_add_co_u32_e32 v18, vcc, v2, v18
	v_addc_co_u32_e32 v19, vcc, 0, v3, vcc
	flat_load_ushort v18, v[18:19]
.LBB2180_29:
	s_or_b64 exec, exec, s[2:3]
	v_or_b32_e32 v20, 0xb00, v0
	v_cmp_gt_u32_e32 vcc, s33, v20
                                        ; implicit-def: $vgpr19
	s_and_saveexec_b64 s[2:3], vcc
	s_cbranch_execz .LBB2180_31
; %bb.30:
	v_lshlrev_b32_e32 v19, 1, v20
	v_add_co_u32_e32 v20, vcc, v2, v19
	v_addc_co_u32_e32 v21, vcc, 0, v3, vcc
	flat_load_ushort v19, v[20:21]
.LBB2180_31:
	s_or_b64 exec, exec, s[2:3]
	v_or_b32_e32 v21, 0xc00, v0
	v_cmp_gt_u32_e32 vcc, s33, v21
                                        ; implicit-def: $vgpr20
	s_and_saveexec_b64 s[2:3], vcc
	s_cbranch_execz .LBB2180_33
; %bb.32:
	v_lshlrev_b32_e32 v20, 1, v21
	v_add_co_u32_e32 v20, vcc, v2, v20
	v_addc_co_u32_e32 v21, vcc, 0, v3, vcc
	flat_load_ushort v20, v[20:21]
.LBB2180_33:
	s_or_b64 exec, exec, s[2:3]
	v_or_b32_e32 v22, 0xd00, v0
	v_cmp_gt_u32_e32 vcc, s33, v22
                                        ; implicit-def: $vgpr21
	s_and_saveexec_b64 s[2:3], vcc
	s_cbranch_execz .LBB2180_35
; %bb.34:
	v_lshlrev_b32_e32 v21, 1, v22
	v_add_co_u32_e32 v22, vcc, v2, v21
	v_addc_co_u32_e32 v23, vcc, 0, v3, vcc
	flat_load_ushort v21, v[22:23]
.LBB2180_35:
	s_or_b64 exec, exec, s[2:3]
	v_or_b32_e32 v23, 0xe00, v0
	v_cmp_gt_u32_e32 vcc, s33, v23
                                        ; implicit-def: $vgpr22
	s_and_saveexec_b64 s[2:3], vcc
	s_cbranch_execz .LBB2180_37
; %bb.36:
	v_lshlrev_b32_e32 v22, 1, v23
	v_add_co_u32_e32 v22, vcc, v2, v22
	v_addc_co_u32_e32 v23, vcc, 0, v3, vcc
	flat_load_ushort v22, v[22:23]
.LBB2180_37:
	s_or_b64 exec, exec, s[2:3]
	v_or_b32_e32 v24, 0xf00, v0
	v_cmp_gt_u32_e32 vcc, s33, v24
                                        ; implicit-def: $vgpr23
	s_and_saveexec_b64 s[2:3], vcc
	s_cbranch_execz .LBB2180_39
; %bb.38:
	v_lshlrev_b32_e32 v23, 1, v24
	v_add_co_u32_e32 v24, vcc, v2, v23
	v_addc_co_u32_e32 v25, vcc, 0, v3, vcc
	flat_load_ushort v23, v[24:25]
.LBB2180_39:
	s_or_b64 exec, exec, s[2:3]
	v_or_b32_e32 v25, 0x1000, v0
	v_cmp_gt_u32_e32 vcc, s33, v25
                                        ; implicit-def: $vgpr24
	s_and_saveexec_b64 s[2:3], vcc
	s_cbranch_execz .LBB2180_41
; %bb.40:
	v_lshlrev_b32_e32 v24, 1, v25
	v_add_co_u32_e32 v24, vcc, v2, v24
	v_addc_co_u32_e32 v25, vcc, 0, v3, vcc
	flat_load_ushort v24, v[24:25]
.LBB2180_41:
	s_or_b64 exec, exec, s[2:3]
	v_or_b32_e32 v26, 0x1100, v0
	v_cmp_gt_u32_e32 vcc, s33, v26
                                        ; implicit-def: $vgpr25
	s_and_saveexec_b64 s[2:3], vcc
	s_cbranch_execz .LBB2180_43
; %bb.42:
	v_lshlrev_b32_e32 v25, 1, v26
	v_add_co_u32_e32 v26, vcc, v2, v25
	v_addc_co_u32_e32 v27, vcc, 0, v3, vcc
	flat_load_ushort v25, v[26:27]
.LBB2180_43:
	s_or_b64 exec, exec, s[2:3]
	v_or_b32_e32 v27, 0x1200, v0
	v_cmp_gt_u32_e32 vcc, s33, v27
                                        ; implicit-def: $vgpr26
	s_and_saveexec_b64 s[2:3], vcc
	s_cbranch_execz .LBB2180_45
; %bb.44:
	v_lshlrev_b32_e32 v26, 1, v27
	v_add_co_u32_e32 v26, vcc, v2, v26
	v_addc_co_u32_e32 v27, vcc, 0, v3, vcc
	flat_load_ushort v26, v[26:27]
.LBB2180_45:
	s_or_b64 exec, exec, s[2:3]
	v_or_b32_e32 v28, 0x1300, v0
	v_cmp_gt_u32_e32 vcc, s33, v28
                                        ; implicit-def: $vgpr27
	s_and_saveexec_b64 s[2:3], vcc
	s_cbranch_execz .LBB2180_47
; %bb.46:
	v_lshlrev_b32_e32 v27, 1, v28
	v_add_co_u32_e32 v28, vcc, v2, v27
	v_addc_co_u32_e32 v29, vcc, 0, v3, vcc
	flat_load_ushort v27, v[28:29]
.LBB2180_47:
	s_or_b64 exec, exec, s[2:3]
	v_or_b32_e32 v29, 0x1400, v0
	v_cmp_gt_u32_e32 vcc, s33, v29
                                        ; implicit-def: $vgpr28
	s_and_saveexec_b64 s[2:3], vcc
	s_cbranch_execz .LBB2180_49
; %bb.48:
	v_lshlrev_b32_e32 v28, 1, v29
	v_add_co_u32_e32 v28, vcc, v2, v28
	v_addc_co_u32_e32 v29, vcc, 0, v3, vcc
	flat_load_ushort v28, v[28:29]
.LBB2180_49:
	s_or_b64 exec, exec, s[2:3]
	v_or_b32_e32 v30, 0x1500, v0
	v_cmp_gt_u32_e32 vcc, s33, v30
                                        ; implicit-def: $vgpr29
	s_and_saveexec_b64 s[2:3], vcc
	s_cbranch_execz .LBB2180_51
; %bb.50:
	v_lshlrev_b32_e32 v29, 1, v30
	v_add_co_u32_e32 v30, vcc, v2, v29
	v_addc_co_u32_e32 v31, vcc, 0, v3, vcc
	flat_load_ushort v29, v[30:31]
.LBB2180_51:
	s_or_b64 exec, exec, s[2:3]
	v_or_b32_e32 v31, 0x1600, v0
	v_cmp_gt_u32_e32 vcc, s33, v31
                                        ; implicit-def: $vgpr30
	s_and_saveexec_b64 s[2:3], vcc
	s_cbranch_execz .LBB2180_53
; %bb.52:
	v_lshlrev_b32_e32 v30, 1, v31
	v_add_co_u32_e32 v30, vcc, v2, v30
	v_addc_co_u32_e32 v31, vcc, 0, v3, vcc
	flat_load_ushort v30, v[30:31]
.LBB2180_53:
	s_or_b64 exec, exec, s[2:3]
	v_or_b32_e32 v32, 0x1700, v0
	v_cmp_gt_u32_e32 vcc, s33, v32
                                        ; implicit-def: $vgpr31
	s_and_saveexec_b64 s[2:3], vcc
	s_cbranch_execz .LBB2180_55
; %bb.54:
	v_lshlrev_b32_e32 v31, 1, v32
	v_add_co_u32_e32 v32, vcc, v2, v31
	v_addc_co_u32_e32 v33, vcc, 0, v3, vcc
	flat_load_ushort v31, v[32:33]
.LBB2180_55:
	s_or_b64 exec, exec, s[2:3]
	v_or_b32_e32 v33, 0x1800, v0
	v_cmp_gt_u32_e32 vcc, s33, v33
                                        ; implicit-def: $vgpr32
	s_and_saveexec_b64 s[2:3], vcc
	s_cbranch_execz .LBB2180_57
; %bb.56:
	v_lshlrev_b32_e32 v32, 1, v33
	v_add_co_u32_e32 v32, vcc, v2, v32
	v_addc_co_u32_e32 v33, vcc, 0, v3, vcc
	flat_load_ushort v32, v[32:33]
.LBB2180_57:
	s_or_b64 exec, exec, s[2:3]
	v_or_b32_e32 v34, 0x1900, v0
	v_cmp_gt_u32_e32 vcc, s33, v34
                                        ; implicit-def: $vgpr33
	s_and_saveexec_b64 s[2:3], vcc
	s_cbranch_execz .LBB2180_59
; %bb.58:
	v_lshlrev_b32_e32 v33, 1, v34
	v_add_co_u32_e32 v34, vcc, v2, v33
	v_addc_co_u32_e32 v35, vcc, 0, v3, vcc
	flat_load_ushort v33, v[34:35]
.LBB2180_59:
	s_or_b64 exec, exec, s[2:3]
	v_or_b32_e32 v35, 0x1a00, v0
	v_cmp_gt_u32_e32 vcc, s33, v35
                                        ; implicit-def: $vgpr34
	s_and_saveexec_b64 s[2:3], vcc
	s_cbranch_execz .LBB2180_61
; %bb.60:
	v_lshlrev_b32_e32 v34, 1, v35
	v_add_co_u32_e32 v34, vcc, v2, v34
	v_addc_co_u32_e32 v35, vcc, 0, v3, vcc
	flat_load_ushort v34, v[34:35]
.LBB2180_61:
	s_or_b64 exec, exec, s[2:3]
	v_or_b32_e32 v36, 0x1b00, v0
	v_cmp_gt_u32_e32 vcc, s33, v36
                                        ; implicit-def: $vgpr35
	s_and_saveexec_b64 s[2:3], vcc
	s_cbranch_execz .LBB2180_63
; %bb.62:
	v_lshlrev_b32_e32 v35, 1, v36
	v_add_co_u32_e32 v2, vcc, v2, v35
	v_addc_co_u32_e32 v3, vcc, 0, v3, vcc
	flat_load_ushort v35, v[2:3]
.LBB2180_63:
	s_or_b64 exec, exec, s[2:3]
	s_waitcnt vmcnt(0) lgkmcnt(0)
	ds_write_b16 v1, v4
	ds_write_b16 v1, v5 offset:512
	ds_write_b16 v1, v6 offset:1024
	ds_write_b16 v1, v7 offset:1536
	ds_write_b16 v1, v8 offset:2048
	ds_write_b16 v1, v9 offset:2560
	ds_write_b16 v1, v10 offset:3072
	ds_write_b16 v1, v11 offset:3584
	ds_write_b16 v1, v12 offset:4096
	ds_write_b16 v1, v13 offset:4608
	ds_write_b16 v1, v18 offset:5120
	ds_write_b16 v1, v19 offset:5632
	ds_write_b16 v1, v20 offset:6144
	ds_write_b16 v1, v21 offset:6656
	ds_write_b16 v1, v22 offset:7168
	ds_write_b16 v1, v23 offset:7680
	ds_write_b16 v1, v24 offset:8192
	ds_write_b16 v1, v25 offset:8704
	ds_write_b16 v1, v26 offset:9216
	ds_write_b16 v1, v27 offset:9728
	ds_write_b16 v1, v28 offset:10240
	ds_write_b16 v1, v29 offset:10752
	ds_write_b16 v1, v30 offset:11264
	ds_write_b16 v1, v31 offset:11776
	ds_write_b16 v1, v32 offset:12288
	ds_write_b16 v1, v33 offset:12800
	ds_write_b16 v1, v34 offset:13312
	ds_write_b16 v1, v35 offset:13824
	s_waitcnt lgkmcnt(0)
	s_barrier
.LBB2180_64:
	v_mul_u32_u24_e32 v43, 28, v0
	v_lshlrev_b32_e32 v6, 1, v43
	ds_read_b64 v[18:19], v6 offset:48
	ds_read2_b64 v[2:5], v6 offset0:4 offset1:5
	ds_read2_b64 v[10:13], v6 offset1:1
	ds_read2_b64 v[6:9], v6 offset0:2 offset1:3
	v_cndmask_b32_e64 v20, 0, 1, s[4:5]
	s_waitcnt lgkmcnt(3)
	v_lshrrev_b32_e32 v31, 16, v18
	v_lshrrev_b32_e32 v30, 16, v19
	s_waitcnt lgkmcnt(2)
	v_lshrrev_b32_e32 v35, 16, v2
	v_lshrrev_b32_e32 v34, 16, v3
	v_lshrrev_b32_e32 v33, 16, v4
	v_lshrrev_b32_e32 v32, 16, v5
	s_waitcnt lgkmcnt(1)
	v_lshrrev_b32_e32 v44, 16, v10
	v_lshrrev_b32_e32 v42, 16, v11
	;; [unrolled: 5-line block ×3, first 2 shown]
	v_lshrrev_b32_e32 v37, 16, v8
	v_lshrrev_b32_e32 v36, 16, v9
	v_cmp_ne_u32_e64 s[2:3], 1, v20
	s_andn2_b64 vcc, exec, s[4:5]
	v_xor_b32_e32 v90, -1, v10
	v_xor_b32_e32 v89, -1, v44
	v_xor_b32_e32 v88, -1, v11
	v_xor_b32_e32 v87, -1, v42
	v_xor_b32_e32 v86, -1, v12
	v_xor_b32_e32 v85, -1, v41
	v_xor_b32_e32 v84, -1, v13
	v_xor_b32_e32 v83, -1, v40
	v_xor_b32_e32 v82, -1, v6
	v_xor_b32_e32 v81, -1, v39
	v_xor_b32_e32 v80, -1, v7
	v_xor_b32_e32 v79, -1, v38
	v_xor_b32_e32 v78, -1, v8
	v_xor_b32_e32 v77, -1, v37
	v_xor_b32_e32 v76, -1, v9
	v_xor_b32_e32 v75, -1, v36
	v_xor_b32_e32 v74, -1, v2
	v_xor_b32_e32 v73, -1, v35
	v_xor_b32_e32 v29, -1, v3
	v_xor_b32_e32 v28, -1, v34
	v_xor_b32_e32 v27, -1, v4
	v_xor_b32_e32 v26, -1, v33
	v_xor_b32_e32 v25, -1, v5
	v_xor_b32_e32 v24, -1, v32
	v_xor_b32_e32 v23, -1, v18
	v_xor_b32_e32 v22, -1, v31
	v_xor_b32_e32 v21, -1, v19
	v_xor_b32_e32 v20, -1, v30
	s_barrier
	s_cbranch_vccnz .LBB2180_66
; %bb.65:
	v_and_b32_e32 v72, 1, v90
	v_and_b32_e32 v71, 1, v89
	;; [unrolled: 1-line block ×28, first 2 shown]
	s_cbranch_execz .LBB2180_67
	s_branch .LBB2180_68
.LBB2180_66:
                                        ; implicit-def: $vgpr72
                                        ; implicit-def: $vgpr71
                                        ; implicit-def: $vgpr70
                                        ; implicit-def: $vgpr69
                                        ; implicit-def: $vgpr68
                                        ; implicit-def: $vgpr67
                                        ; implicit-def: $vgpr66
                                        ; implicit-def: $vgpr65
                                        ; implicit-def: $vgpr64
                                        ; implicit-def: $vgpr63
                                        ; implicit-def: $vgpr62
                                        ; implicit-def: $vgpr61
                                        ; implicit-def: $vgpr60
                                        ; implicit-def: $vgpr59
                                        ; implicit-def: $vgpr58
                                        ; implicit-def: $vgpr57
                                        ; implicit-def: $vgpr56
                                        ; implicit-def: $vgpr55
                                        ; implicit-def: $vgpr54
                                        ; implicit-def: $vgpr53
                                        ; implicit-def: $vgpr52
                                        ; implicit-def: $vgpr51
                                        ; implicit-def: $vgpr50
                                        ; implicit-def: $vgpr49
                                        ; implicit-def: $vgpr48
                                        ; implicit-def: $vgpr47
                                        ; implicit-def: $vgpr45
                                        ; implicit-def: $vgpr46
.LBB2180_67:
	v_or_b32_e32 v54, 1, v43
	v_cmp_gt_u32_e32 vcc, s33, v43
	v_or_b32_e32 v55, 2, v43
	v_cndmask_b32_e64 v63, 0, 1, vcc
	v_cmp_gt_u32_e32 vcc, s33, v54
	v_or_b32_e32 v56, 3, v43
	v_cndmask_b32_e64 v54, 0, 1, vcc
	v_cmp_gt_u32_e32 vcc, s33, v55
	v_add_u32_e32 v57, 4, v43
	v_and_b32_e32 v71, v54, v89
	v_cndmask_b32_e64 v54, 0, 1, vcc
	v_cmp_gt_u32_e32 vcc, s33, v56
	v_add_u32_e32 v58, 5, v43
	v_and_b32_e32 v70, v54, v88
	;; [unrolled: 4-line block ×9, first 2 shown]
	v_and_b32_e32 v63, v54, v81
	v_cndmask_b32_e64 v54, 0, 1, vcc
	v_cmp_gt_u32_e32 vcc, s33, v92
	v_add_u32_e32 v94, 13, v43
	v_and_b32_e32 v62, v54, v80
	v_cndmask_b32_e64 v54, 0, 1, vcc
	v_cmp_gt_u32_e32 vcc, s33, v93
	v_add_u32_e32 v95, 14, v43
	;; [unrolled: 4-line block ×15, first 2 shown]
	v_and_b32_e32 v48, v24, v23
	v_cndmask_b32_e64 v23, 0, 1, vcc
	v_cmp_gt_u32_e32 vcc, s33, v45
	v_and_b32_e32 v47, v23, v22
	v_cndmask_b32_e64 v22, 0, 1, vcc
	v_cmp_gt_u32_e32 vcc, s33, v46
	v_and_b32_e32 v45, v22, v21
	v_cndmask_b32_e64 v21, 0, 1, vcc
	v_and_b32_e32 v46, v21, v20
.LBB2180_68:
	v_and_b32_e32 v97, 0xff, v48
	v_and_b32_e32 v98, 0xff, v47
	v_add_u32_sdwa v20, v45, v46 dst_sel:DWORD dst_unused:UNUSED_PAD src0_sel:BYTE_0 src1_sel:BYTE_0
	v_and_b32_e32 v95, 0xff, v50
	v_and_b32_e32 v96, 0xff, v49
	v_add3_u32 v20, v20, v98, v97
	v_and_b32_e32 v93, 0xff, v52
	v_and_b32_e32 v94, 0xff, v51
	v_add3_u32 v20, v20, v96, v95
	v_and_b32_e32 v91, 0xff, v54
	v_and_b32_e32 v92, 0xff, v53
	v_add3_u32 v20, v20, v94, v93
	v_and_b32_e32 v89, 0xff, v56
	v_and_b32_e32 v90, 0xff, v55
	v_add3_u32 v20, v20, v92, v91
	v_and_b32_e32 v87, 0xff, v58
	v_and_b32_e32 v88, 0xff, v57
	v_add3_u32 v20, v20, v90, v89
	v_and_b32_e32 v85, 0xff, v60
	v_and_b32_e32 v86, 0xff, v59
	v_add3_u32 v20, v20, v88, v87
	v_and_b32_e32 v83, 0xff, v62
	v_and_b32_e32 v84, 0xff, v61
	v_add3_u32 v20, v20, v86, v85
	v_and_b32_e32 v81, 0xff, v64
	v_and_b32_e32 v82, 0xff, v63
	v_add3_u32 v20, v20, v84, v83
	v_and_b32_e32 v79, 0xff, v66
	v_and_b32_e32 v80, 0xff, v65
	v_add3_u32 v20, v20, v82, v81
	v_and_b32_e32 v77, 0xff, v68
	v_and_b32_e32 v78, 0xff, v67
	v_add3_u32 v20, v20, v80, v79
	v_and_b32_e32 v75, 0xff, v70
	v_and_b32_e32 v76, 0xff, v69
	v_add3_u32 v20, v20, v78, v77
	v_and_b32_e32 v73, 0xff, v72
	v_and_b32_e32 v74, 0xff, v71
	v_add3_u32 v20, v20, v76, v75
	v_add3_u32 v101, v20, v74, v73
	v_mbcnt_lo_u32_b32 v20, -1, 0
	v_mbcnt_hi_u32_b32 v99, -1, v20
	v_and_b32_e32 v20, 15, v99
	v_cmp_eq_u32_e64 s[16:17], 0, v20
	v_cmp_lt_u32_e64 s[14:15], 1, v20
	v_cmp_lt_u32_e64 s[12:13], 3, v20
	;; [unrolled: 1-line block ×3, first 2 shown]
	v_and_b32_e32 v20, 16, v99
	v_cmp_eq_u32_e64 s[8:9], 0, v20
	v_or_b32_e32 v20, 63, v0
	s_cmp_lg_u32 s40, 0
	v_cmp_lt_u32_e64 s[4:5], 31, v99
	v_lshrrev_b32_e32 v100, 6, v0
	v_cmp_eq_u32_e64 s[6:7], v20, v0
	s_cbranch_scc0 .LBB2180_99
; %bb.69:
	v_mov_b32_dpp v20, v101 row_shr:1 row_mask:0xf bank_mask:0xf
	v_cndmask_b32_e64 v20, v20, 0, s[16:17]
	v_add_u32_e32 v20, v20, v101
	s_nop 1
	v_mov_b32_dpp v21, v20 row_shr:2 row_mask:0xf bank_mask:0xf
	v_cndmask_b32_e64 v21, 0, v21, s[14:15]
	v_add_u32_e32 v20, v20, v21
	s_nop 1
	;; [unrolled: 4-line block ×4, first 2 shown]
	v_mov_b32_dpp v21, v20 row_bcast:15 row_mask:0xf bank_mask:0xf
	v_cndmask_b32_e64 v21, v21, 0, s[8:9]
	v_add_u32_e32 v20, v20, v21
	s_nop 1
	v_mov_b32_dpp v21, v20 row_bcast:31 row_mask:0xf bank_mask:0xf
	v_cndmask_b32_e64 v21, 0, v21, s[4:5]
	v_add_u32_e32 v20, v20, v21
	s_and_saveexec_b64 s[18:19], s[6:7]
	s_cbranch_execz .LBB2180_71
; %bb.70:
	v_lshlrev_b32_e32 v21, 2, v100
	ds_write_b32 v21, v20
.LBB2180_71:
	s_or_b64 exec, exec, s[18:19]
	v_cmp_gt_u32_e32 vcc, 4, v0
	s_waitcnt lgkmcnt(0)
	s_barrier
	s_and_saveexec_b64 s[18:19], vcc
	s_cbranch_execz .LBB2180_73
; %bb.72:
	v_lshlrev_b32_e32 v21, 2, v0
	ds_read_b32 v22, v21
	v_and_b32_e32 v23, 3, v99
	v_cmp_ne_u32_e32 vcc, 0, v23
	s_waitcnt lgkmcnt(0)
	v_mov_b32_dpp v24, v22 row_shr:1 row_mask:0xf bank_mask:0xf
	v_cndmask_b32_e32 v24, 0, v24, vcc
	v_add_u32_e32 v22, v24, v22
	v_cmp_lt_u32_e32 vcc, 1, v23
	s_nop 0
	v_mov_b32_dpp v24, v22 row_shr:2 row_mask:0xf bank_mask:0xf
	v_cndmask_b32_e32 v23, 0, v24, vcc
	v_add_u32_e32 v22, v22, v23
	ds_write_b32 v21, v22
.LBB2180_73:
	s_or_b64 exec, exec, s[18:19]
	v_cmp_gt_u32_e32 vcc, 64, v0
	v_cmp_lt_u32_e64 s[18:19], 63, v0
	s_waitcnt lgkmcnt(0)
	s_barrier
	s_waitcnt lgkmcnt(0)
                                        ; implicit-def: $vgpr102
	s_and_saveexec_b64 s[28:29], s[18:19]
	s_cbranch_execz .LBB2180_75
; %bb.74:
	v_lshl_add_u32 v21, v100, 2, -4
	ds_read_b32 v102, v21
	s_waitcnt lgkmcnt(0)
	v_add_u32_e32 v20, v102, v20
.LBB2180_75:
	s_or_b64 exec, exec, s[28:29]
	v_add_u32_e32 v21, -1, v99
	v_and_b32_e32 v22, 64, v99
	v_cmp_lt_i32_e64 s[18:19], v21, v22
	v_cndmask_b32_e64 v21, v21, v99, s[18:19]
	v_lshlrev_b32_e32 v21, 2, v21
	ds_bpermute_b32 v103, v21, v20
	v_cmp_eq_u32_e64 s[18:19], 0, v99
	s_and_saveexec_b64 s[28:29], vcc
	s_cbranch_execz .LBB2180_98
; %bb.76:
	v_mov_b32_e32 v29, 0
	ds_read_b32 v20, v29 offset:12
	s_and_saveexec_b64 s[36:37], s[18:19]
	s_cbranch_execz .LBB2180_78
; %bb.77:
	s_add_i32 s38, s40, 64
	s_mov_b32 s39, 0
	s_lshl_b64 s[38:39], s[38:39], 3
	s_add_u32 s38, s34, s38
	v_mov_b32_e32 v21, 1
	s_addc_u32 s39, s35, s39
	s_waitcnt lgkmcnt(0)
	global_store_dwordx2 v29, v[20:21], s[38:39]
.LBB2180_78:
	s_or_b64 exec, exec, s[36:37]
	v_xad_u32 v22, v99, -1, s40
	v_add_u32_e32 v28, 64, v22
	v_lshlrev_b64 v[24:25], 3, v[28:29]
	v_mov_b32_e32 v21, s35
	v_add_co_u32_e32 v24, vcc, s34, v24
	v_addc_co_u32_e32 v25, vcc, v21, v25, vcc
	global_load_dwordx2 v[26:27], v[24:25], off glc
	s_waitcnt vmcnt(0)
	v_cmp_eq_u16_sdwa s[38:39], v27, v29 src0_sel:BYTE_0 src1_sel:DWORD
	s_and_saveexec_b64 s[36:37], s[38:39]
	s_cbranch_execz .LBB2180_84
; %bb.79:
	s_mov_b32 s41, 1
	s_mov_b64 s[38:39], 0
	v_mov_b32_e32 v21, 0
.LBB2180_80:                            ; =>This Loop Header: Depth=1
                                        ;     Child Loop BB2180_81 Depth 2
	s_max_u32 s42, s41, 1
.LBB2180_81:                            ;   Parent Loop BB2180_80 Depth=1
                                        ; =>  This Inner Loop Header: Depth=2
	s_add_i32 s42, s42, -1
	s_cmp_eq_u32 s42, 0
	s_sleep 1
	s_cbranch_scc0 .LBB2180_81
; %bb.82:                               ;   in Loop: Header=BB2180_80 Depth=1
	global_load_dwordx2 v[26:27], v[24:25], off glc
	s_cmp_lt_u32 s41, 32
	s_cselect_b64 s[42:43], -1, 0
	s_cmp_lg_u64 s[42:43], 0
	s_addc_u32 s41, s41, 0
	s_waitcnt vmcnt(0)
	v_cmp_ne_u16_sdwa s[42:43], v27, v21 src0_sel:BYTE_0 src1_sel:DWORD
	s_or_b64 s[38:39], s[42:43], s[38:39]
	s_andn2_b64 exec, exec, s[38:39]
	s_cbranch_execnz .LBB2180_80
; %bb.83:
	s_or_b64 exec, exec, s[38:39]
.LBB2180_84:
	s_or_b64 exec, exec, s[36:37]
	v_and_b32_e32 v105, 63, v99
	v_mov_b32_e32 v104, 2
	v_cmp_ne_u32_e32 vcc, 63, v105
	v_cmp_eq_u16_sdwa s[36:37], v27, v104 src0_sel:BYTE_0 src1_sel:DWORD
	v_lshlrev_b64 v[24:25], v99, -1
	v_addc_co_u32_e32 v28, vcc, 0, v99, vcc
	v_and_b32_e32 v21, s37, v25
	v_lshlrev_b32_e32 v106, 2, v28
	v_or_b32_e32 v21, 0x80000000, v21
	ds_bpermute_b32 v28, v106, v26
	v_and_b32_e32 v23, s36, v24
	v_ffbl_b32_e32 v21, v21
	v_add_u32_e32 v21, 32, v21
	v_ffbl_b32_e32 v23, v23
	v_min_u32_e32 v21, v23, v21
	v_cmp_lt_u32_e32 vcc, v105, v21
	s_waitcnt lgkmcnt(0)
	v_cndmask_b32_e32 v23, 0, v28, vcc
	v_cmp_gt_u32_e32 vcc, 62, v105
	v_add_u32_e32 v23, v23, v26
	v_cndmask_b32_e64 v26, 0, 1, vcc
	v_lshlrev_b32_e32 v26, 1, v26
	v_add_lshl_u32 v107, v26, v99, 2
	ds_bpermute_b32 v26, v107, v23
	v_add_u32_e32 v108, 2, v105
	v_cmp_le_u32_e32 vcc, v108, v21
	v_add_u32_e32 v110, 4, v105
	v_add_u32_e32 v112, 8, v105
	s_waitcnt lgkmcnt(0)
	v_cndmask_b32_e32 v26, 0, v26, vcc
	v_cmp_gt_u32_e32 vcc, 60, v105
	v_add_u32_e32 v23, v23, v26
	v_cndmask_b32_e64 v26, 0, 1, vcc
	v_lshlrev_b32_e32 v26, 2, v26
	v_add_lshl_u32 v109, v26, v99, 2
	ds_bpermute_b32 v26, v109, v23
	v_cmp_le_u32_e32 vcc, v110, v21
	v_add_u32_e32 v114, 16, v105
	v_add_u32_e32 v116, 32, v105
	s_waitcnt lgkmcnt(0)
	v_cndmask_b32_e32 v26, 0, v26, vcc
	v_cmp_gt_u32_e32 vcc, 56, v105
	v_add_u32_e32 v23, v23, v26
	v_cndmask_b32_e64 v26, 0, 1, vcc
	v_lshlrev_b32_e32 v26, 3, v26
	v_add_lshl_u32 v111, v26, v99, 2
	ds_bpermute_b32 v26, v111, v23
	v_cmp_le_u32_e32 vcc, v112, v21
	s_waitcnt lgkmcnt(0)
	v_cndmask_b32_e32 v26, 0, v26, vcc
	v_cmp_gt_u32_e32 vcc, 48, v105
	v_add_u32_e32 v23, v23, v26
	v_cndmask_b32_e64 v26, 0, 1, vcc
	v_lshlrev_b32_e32 v26, 4, v26
	v_add_lshl_u32 v113, v26, v99, 2
	ds_bpermute_b32 v26, v113, v23
	v_cmp_le_u32_e32 vcc, v114, v21
	;; [unrolled: 9-line block ×3, first 2 shown]
	s_waitcnt lgkmcnt(0)
	v_cndmask_b32_e32 v21, 0, v26, vcc
	v_add_u32_e32 v26, v23, v21
	v_mov_b32_e32 v23, 0
	s_branch .LBB2180_86
.LBB2180_85:                            ;   in Loop: Header=BB2180_86 Depth=1
	s_or_b64 exec, exec, s[36:37]
	v_cmp_eq_u16_sdwa s[36:37], v27, v104 src0_sel:BYTE_0 src1_sel:DWORD
	v_and_b32_e32 v28, s37, v25
	v_or_b32_e32 v28, 0x80000000, v28
	ds_bpermute_b32 v117, v106, v26
	v_and_b32_e32 v29, s36, v24
	v_ffbl_b32_e32 v28, v28
	v_add_u32_e32 v28, 32, v28
	v_ffbl_b32_e32 v29, v29
	v_min_u32_e32 v28, v29, v28
	v_cmp_lt_u32_e32 vcc, v105, v28
	s_waitcnt lgkmcnt(0)
	v_cndmask_b32_e32 v29, 0, v117, vcc
	v_add_u32_e32 v26, v29, v26
	ds_bpermute_b32 v29, v107, v26
	v_cmp_le_u32_e32 vcc, v108, v28
	v_subrev_u32_e32 v22, 64, v22
	s_waitcnt lgkmcnt(0)
	v_cndmask_b32_e32 v29, 0, v29, vcc
	v_add_u32_e32 v26, v26, v29
	ds_bpermute_b32 v29, v109, v26
	v_cmp_le_u32_e32 vcc, v110, v28
	s_waitcnt lgkmcnt(0)
	v_cndmask_b32_e32 v29, 0, v29, vcc
	v_add_u32_e32 v26, v26, v29
	ds_bpermute_b32 v29, v111, v26
	v_cmp_le_u32_e32 vcc, v112, v28
	;; [unrolled: 5-line block ×4, first 2 shown]
	s_waitcnt lgkmcnt(0)
	v_cndmask_b32_e32 v28, 0, v29, vcc
	v_add3_u32 v26, v28, v21, v26
.LBB2180_86:                            ; =>This Loop Header: Depth=1
                                        ;     Child Loop BB2180_89 Depth 2
                                        ;       Child Loop BB2180_90 Depth 3
	v_cmp_ne_u16_sdwa s[36:37], v27, v104 src0_sel:BYTE_0 src1_sel:DWORD
	v_cndmask_b32_e64 v21, 0, 1, s[36:37]
	;;#ASMSTART
	;;#ASMEND
	v_cmp_ne_u32_e32 vcc, 0, v21
	s_cmp_lg_u64 vcc, exec
	v_mov_b32_e32 v21, v26
	s_cbranch_scc1 .LBB2180_93
; %bb.87:                               ;   in Loop: Header=BB2180_86 Depth=1
	v_lshlrev_b64 v[26:27], 3, v[22:23]
	v_mov_b32_e32 v29, s35
	v_add_co_u32_e32 v28, vcc, s34, v26
	v_addc_co_u32_e32 v29, vcc, v29, v27, vcc
	global_load_dwordx2 v[26:27], v[28:29], off glc
	s_waitcnt vmcnt(0)
	v_cmp_eq_u16_sdwa s[38:39], v27, v23 src0_sel:BYTE_0 src1_sel:DWORD
	s_and_saveexec_b64 s[36:37], s[38:39]
	s_cbranch_execz .LBB2180_85
; %bb.88:                               ;   in Loop: Header=BB2180_86 Depth=1
	s_mov_b32 s41, 1
	s_mov_b64 s[38:39], 0
.LBB2180_89:                            ;   Parent Loop BB2180_86 Depth=1
                                        ; =>  This Loop Header: Depth=2
                                        ;       Child Loop BB2180_90 Depth 3
	s_max_u32 s42, s41, 1
.LBB2180_90:                            ;   Parent Loop BB2180_86 Depth=1
                                        ;     Parent Loop BB2180_89 Depth=2
                                        ; =>    This Inner Loop Header: Depth=3
	s_add_i32 s42, s42, -1
	s_cmp_eq_u32 s42, 0
	s_sleep 1
	s_cbranch_scc0 .LBB2180_90
; %bb.91:                               ;   in Loop: Header=BB2180_89 Depth=2
	global_load_dwordx2 v[26:27], v[28:29], off glc
	s_cmp_lt_u32 s41, 32
	s_cselect_b64 s[42:43], -1, 0
	s_cmp_lg_u64 s[42:43], 0
	s_addc_u32 s41, s41, 0
	s_waitcnt vmcnt(0)
	v_cmp_ne_u16_sdwa s[42:43], v27, v23 src0_sel:BYTE_0 src1_sel:DWORD
	s_or_b64 s[38:39], s[42:43], s[38:39]
	s_andn2_b64 exec, exec, s[38:39]
	s_cbranch_execnz .LBB2180_89
; %bb.92:                               ;   in Loop: Header=BB2180_86 Depth=1
	s_or_b64 exec, exec, s[38:39]
	s_branch .LBB2180_85
.LBB2180_93:                            ;   in Loop: Header=BB2180_86 Depth=1
                                        ; implicit-def: $vgpr26
                                        ; implicit-def: $vgpr27
	s_cbranch_execz .LBB2180_86
; %bb.94:
	s_and_saveexec_b64 s[36:37], s[18:19]
	s_cbranch_execz .LBB2180_96
; %bb.95:
	s_add_i32 s38, s40, 64
	s_mov_b32 s39, 0
	s_lshl_b64 s[38:39], s[38:39], 3
	s_add_u32 s38, s34, s38
	v_add_u32_e32 v22, v21, v20
	v_mov_b32_e32 v23, 2
	s_addc_u32 s39, s35, s39
	v_mov_b32_e32 v24, 0
	global_store_dwordx2 v24, v[22:23], s[38:39]
	ds_write_b64 v24, v[20:21] offset:14336
.LBB2180_96:
	s_or_b64 exec, exec, s[36:37]
	s_and_b64 exec, exec, s[0:1]
	s_cbranch_execz .LBB2180_98
; %bb.97:
	v_mov_b32_e32 v20, 0
	ds_write_b32 v20, v21 offset:12
.LBB2180_98:
	s_or_b64 exec, exec, s[28:29]
	v_mov_b32_e32 v20, 0
	s_waitcnt lgkmcnt(0)
	s_barrier
	ds_read_b32 v22, v20 offset:12
	s_waitcnt lgkmcnt(0)
	s_barrier
	ds_read_b64 v[20:21], v20 offset:14336
	v_cndmask_b32_e64 v23, v103, v102, s[18:19]
	v_cndmask_b32_e64 v23, v23, 0, s[0:1]
	v_add_u32_e32 v22, v22, v23
	s_branch .LBB2180_109
.LBB2180_99:
                                        ; implicit-def: $vgpr21
                                        ; implicit-def: $vgpr22
	s_cbranch_execz .LBB2180_109
; %bb.100:
	s_waitcnt lgkmcnt(0)
	v_mov_b32_dpp v20, v101 row_shr:1 row_mask:0xf bank_mask:0xf
	v_cndmask_b32_e64 v20, v20, 0, s[16:17]
	v_add_u32_e32 v20, v20, v101
	s_nop 1
	v_mov_b32_dpp v21, v20 row_shr:2 row_mask:0xf bank_mask:0xf
	v_cndmask_b32_e64 v21, 0, v21, s[14:15]
	v_add_u32_e32 v20, v20, v21
	s_nop 1
	v_mov_b32_dpp v21, v20 row_shr:4 row_mask:0xf bank_mask:0xf
	v_cndmask_b32_e64 v21, 0, v21, s[12:13]
	v_add_u32_e32 v20, v20, v21
	s_nop 1
	v_mov_b32_dpp v21, v20 row_shr:8 row_mask:0xf bank_mask:0xf
	v_cndmask_b32_e64 v21, 0, v21, s[10:11]
	v_add_u32_e32 v20, v20, v21
	s_nop 1
	v_mov_b32_dpp v21, v20 row_bcast:15 row_mask:0xf bank_mask:0xf
	v_cndmask_b32_e64 v21, v21, 0, s[8:9]
	v_add_u32_e32 v20, v20, v21
	s_nop 1
	v_mov_b32_dpp v21, v20 row_bcast:31 row_mask:0xf bank_mask:0xf
	v_cndmask_b32_e64 v21, 0, v21, s[4:5]
	v_add_u32_e32 v20, v20, v21
	s_and_saveexec_b64 s[4:5], s[6:7]
	s_cbranch_execz .LBB2180_102
; %bb.101:
	v_lshlrev_b32_e32 v21, 2, v100
	ds_write_b32 v21, v20
.LBB2180_102:
	s_or_b64 exec, exec, s[4:5]
	v_cmp_gt_u32_e32 vcc, 4, v0
	s_waitcnt lgkmcnt(0)
	s_barrier
	s_and_saveexec_b64 s[4:5], vcc
	s_cbranch_execz .LBB2180_104
; %bb.103:
	v_lshlrev_b32_e32 v21, 2, v0
	ds_read_b32 v22, v21
	v_and_b32_e32 v23, 3, v99
	v_cmp_ne_u32_e32 vcc, 0, v23
	s_waitcnt lgkmcnt(0)
	v_mov_b32_dpp v24, v22 row_shr:1 row_mask:0xf bank_mask:0xf
	v_cndmask_b32_e32 v24, 0, v24, vcc
	v_add_u32_e32 v22, v24, v22
	v_cmp_lt_u32_e32 vcc, 1, v23
	s_nop 0
	v_mov_b32_dpp v24, v22 row_shr:2 row_mask:0xf bank_mask:0xf
	v_cndmask_b32_e32 v23, 0, v24, vcc
	v_add_u32_e32 v22, v22, v23
	ds_write_b32 v21, v22
.LBB2180_104:
	s_or_b64 exec, exec, s[4:5]
	v_cmp_lt_u32_e32 vcc, 63, v0
	v_mov_b32_e32 v21, 0
	v_mov_b32_e32 v22, 0
	s_waitcnt lgkmcnt(0)
	s_barrier
	s_and_saveexec_b64 s[4:5], vcc
	s_cbranch_execz .LBB2180_106
; %bb.105:
	v_lshl_add_u32 v22, v100, 2, -4
	ds_read_b32 v22, v22
.LBB2180_106:
	s_or_b64 exec, exec, s[4:5]
	v_add_u32_e32 v23, -1, v99
	v_and_b32_e32 v24, 64, v99
	v_cmp_lt_i32_e32 vcc, v23, v24
	v_cndmask_b32_e32 v23, v23, v99, vcc
	s_waitcnt lgkmcnt(0)
	v_add_u32_e32 v20, v22, v20
	v_lshlrev_b32_e32 v23, 2, v23
	ds_bpermute_b32 v23, v23, v20
	ds_read_b32 v20, v21 offset:12
	s_and_saveexec_b64 s[4:5], s[0:1]
	s_cbranch_execz .LBB2180_108
; %bb.107:
	v_mov_b32_e32 v24, 0
	v_mov_b32_e32 v21, 2
	s_waitcnt lgkmcnt(0)
	global_store_dwordx2 v24, v[20:21], s[34:35] offset:512
.LBB2180_108:
	s_or_b64 exec, exec, s[4:5]
	v_cmp_eq_u32_e32 vcc, 0, v99
	s_waitcnt lgkmcnt(1)
	v_cndmask_b32_e32 v22, v23, v22, vcc
	v_mov_b32_e32 v21, 0
	v_cndmask_b32_e64 v22, v22, 0, s[0:1]
	s_waitcnt lgkmcnt(0)
	s_barrier
.LBB2180_109:
	v_add_u32_e32 v23, v22, v73
	v_add_u32_e32 v24, v23, v74
	;; [unrolled: 1-line block ×19, first 2 shown]
	s_waitcnt lgkmcnt(0)
	v_add_u32_e32 v43, v20, v43
	v_sub_u32_e32 v22, v22, v21
	v_and_b32_e32 v72, 1, v72
	v_add_u32_e32 v85, v84, v92
	v_sub_u32_e32 v92, v43, v22
	v_cmp_eq_u32_e32 vcc, 1, v72
	v_cndmask_b32_e32 v22, v92, v22, vcc
	v_lshlrev_b32_e32 v22, 1, v22
	ds_write_b16 v22, v10
	v_sub_u32_e32 v10, v23, v21
	v_sub_u32_e32 v22, v43, v10
	v_and_b32_e32 v23, 1, v71
	v_add_u32_e32 v22, 1, v22
	v_cmp_eq_u32_e32 vcc, 1, v23
	v_cndmask_b32_e32 v10, v22, v10, vcc
	v_lshlrev_b32_e32 v10, 1, v10
	ds_write_b16 v10, v44
	v_sub_u32_e32 v10, v24, v21
	v_sub_u32_e32 v22, v43, v10
	v_and_b32_e32 v23, 1, v70
	v_add_u32_e32 v22, 2, v22
	;; [unrolled: 8-line block ×20, first 2 shown]
	v_cmp_eq_u32_e32 vcc, 1, v6
	v_cndmask_b32_e32 v2, v3, v2, vcc
	v_add_u32_e32 v86, v85, v93
	v_lshlrev_b32_e32 v2, 1, v2
	ds_write_b16 v2, v4
	v_sub_u32_e32 v2, v86, v21
	v_sub_u32_e32 v3, v43, v2
	v_and_b32_e32 v4, 1, v51
	v_add_u32_e32 v3, 21, v3
	v_cmp_eq_u32_e32 vcc, 1, v4
	v_cndmask_b32_e32 v2, v3, v2, vcc
	v_add_u32_e32 v87, v86, v94
	v_lshlrev_b32_e32 v2, 1, v2
	ds_write_b16 v2, v33
	v_sub_u32_e32 v2, v87, v21
	v_sub_u32_e32 v3, v43, v2
	v_and_b32_e32 v4, 1, v50
	v_add_u32_e32 v3, 22, v3
	;; [unrolled: 9-line block ×6, first 2 shown]
	v_cmp_eq_u32_e32 vcc, 1, v4
	v_cndmask_b32_e32 v2, v3, v2, vcc
	v_lshlrev_b32_e32 v2, 1, v2
	ds_write_b16 v2, v19
	v_sub_u32_sdwa v2, v45, v21 dst_sel:DWORD dst_unused:UNUSED_PAD src0_sel:BYTE_0 src1_sel:DWORD
	v_add_u32_e32 v2, v91, v2
	v_sub_u32_e32 v3, v43, v2
	v_and_b32_e32 v4, 1, v46
	v_add_u32_e32 v3, 27, v3
	v_cmp_eq_u32_e32 vcc, 1, v4
	v_cndmask_b32_e32 v2, v3, v2, vcc
	s_waitcnt vmcnt(0)
	v_add_co_u32_e32 v10, vcc, v14, v21
	v_lshlrev_b32_e32 v2, 1, v2
	v_addc_co_u32_e32 v11, vcc, 0, v15, vcc
	ds_write_b16 v2, v30
	s_waitcnt lgkmcnt(0)
	s_barrier
	ds_read_u16 v68, v1
	ds_read_u16 v67, v1 offset:512
	ds_read_u16 v65, v1 offset:1024
	;; [unrolled: 1-line block ×23, first 2 shown]
	v_add_co_u32_e32 v2, vcc, v10, v20
	v_addc_co_u32_e32 v3, vcc, 0, v11, vcc
	v_mov_b32_e32 v9, s31
	v_sub_co_u32_e32 v8, vcc, s30, v2
	v_subb_co_u32_e32 v9, vcc, v9, v3, vcc
	ds_read_u16 v19, v1 offset:12288
	ds_read_u16 v13, v1 offset:12800
	;; [unrolled: 1-line block ×4, first 2 shown]
	v_lshlrev_b64 v[8:9], 1, v[8:9]
	v_mov_b32_e32 v14, s27
	v_add_co_u32_e32 v8, vcc, s26, v8
	v_addc_co_u32_e32 v9, vcc, v14, v9, vcc
	v_add_co_u32_e32 v8, vcc, v8, v16
	v_addc_co_u32_e32 v9, vcc, v9, v17, vcc
	v_lshlrev_b64 v[10:11], 1, v[10:11]
	v_mov_b32_e32 v14, s25
	s_and_b64 vcc, exec, s[2:3]
	v_add_co_u32_e64 v10, s[2:3], s24, v10
	v_or_b32_e32 v66, 0x100, v0
	v_or_b32_e32 v64, 0x200, v0
	;; [unrolled: 1-line block ×27, first 2 shown]
	v_addc_co_u32_e64 v11, s[2:3], v14, v11, s[2:3]
	s_cbranch_vccnz .LBB2180_111
; %bb.110:
	v_cmp_lt_u32_e32 vcc, v0, v20
	v_cndmask_b32_e32 v14, v8, v10, vcc
	v_cndmask_b32_e32 v15, v9, v11, vcc
	v_add_co_u32_e32 v14, vcc, v14, v1
	v_addc_co_u32_e32 v15, vcc, 0, v15, vcc
	v_cmp_lt_u32_e32 vcc, v66, v20
	s_waitcnt lgkmcnt(14)
	global_store_short v[14:15], v68, off
	v_cndmask_b32_e32 v14, v8, v10, vcc
	v_cndmask_b32_e32 v15, v9, v11, vcc
	v_add_co_u32_e32 v14, vcc, v14, v1
	v_addc_co_u32_e32 v15, vcc, 0, v15, vcc
	v_cmp_lt_u32_e32 vcc, v64, v20
	global_store_short v[14:15], v67, off offset:512
	v_cndmask_b32_e32 v14, v8, v10, vcc
	v_cndmask_b32_e32 v15, v9, v11, vcc
	v_add_co_u32_e32 v14, vcc, v14, v1
	v_addc_co_u32_e32 v15, vcc, 0, v15, vcc
	v_cmp_lt_u32_e32 vcc, v62, v20
	global_store_short v[14:15], v65, off offset:1024
	;; [unrolled: 6-line block ×7, first 2 shown]
	v_cndmask_b32_e32 v14, v8, v10, vcc
	v_lshlrev_b32_e32 v16, 1, v52
	v_cndmask_b32_e32 v15, v9, v11, vcc
	v_add_co_u32_e32 v14, vcc, v14, v16
	v_addc_co_u32_e32 v15, vcc, 0, v15, vcc
	v_cmp_lt_u32_e32 vcc, v50, v20
	global_store_short v[14:15], v53, off
	v_cndmask_b32_e32 v14, v8, v10, vcc
	v_lshlrev_b32_e32 v16, 1, v50
	v_cndmask_b32_e32 v15, v9, v11, vcc
	v_add_co_u32_e32 v14, vcc, v14, v16
	v_addc_co_u32_e32 v15, vcc, 0, v15, vcc
	v_cmp_lt_u32_e32 vcc, v48, v20
	global_store_short v[14:15], v51, off
	;; [unrolled: 7-line block ×6, first 2 shown]
	v_cndmask_b32_e32 v14, v8, v10, vcc
	v_lshlrev_b32_e32 v16, 1, v40
	v_cndmask_b32_e32 v15, v9, v11, vcc
	v_add_co_u32_e32 v14, vcc, v14, v16
	v_addc_co_u32_e32 v15, vcc, 0, v15, vcc
	v_cmp_lt_u32_e32 vcc, v37, v20
	s_waitcnt lgkmcnt(13)
	global_store_short v[14:15], v41, off
	v_cndmask_b32_e32 v14, v8, v10, vcc
	v_lshlrev_b32_e32 v16, 1, v37
	v_cndmask_b32_e32 v15, v9, v11, vcc
	v_add_co_u32_e32 v14, vcc, v14, v16
	v_addc_co_u32_e32 v15, vcc, 0, v15, vcc
	v_cmp_lt_u32_e32 vcc, v36, v20
	s_waitcnt lgkmcnt(12)
	global_store_short v[14:15], v39, off
	;; [unrolled: 8-line block ×12, first 2 shown]
	v_cndmask_b32_e32 v14, v8, v10, vcc
	v_lshlrev_b32_e32 v16, 1, v7
	v_cndmask_b32_e32 v15, v9, v11, vcc
	v_add_co_u32_e32 v14, vcc, v14, v16
	v_addc_co_u32_e32 v15, vcc, 0, v15, vcc
	s_mov_b64 s[2:3], -1
	s_waitcnt lgkmcnt(1)
	global_store_short v[14:15], v6, off
	s_cbranch_execz .LBB2180_112
	s_branch .LBB2180_141
.LBB2180_111:
	s_mov_b64 s[2:3], 0
.LBB2180_112:
	v_cmp_gt_u32_e32 vcc, s33, v0
	s_and_saveexec_b64 s[2:3], vcc
	s_cbranch_execnz .LBB2180_146
; %bb.113:
	s_or_b64 exec, exec, s[2:3]
	v_cmp_gt_u32_e32 vcc, s33, v66
	s_and_saveexec_b64 s[2:3], vcc
	s_cbranch_execnz .LBB2180_147
.LBB2180_114:
	s_or_b64 exec, exec, s[2:3]
	v_cmp_gt_u32_e32 vcc, s33, v64
	s_and_saveexec_b64 s[2:3], vcc
	s_cbranch_execnz .LBB2180_148
.LBB2180_115:
	s_or_b64 exec, exec, s[2:3]
	v_cmp_gt_u32_e32 vcc, s33, v62
	s_and_saveexec_b64 s[2:3], vcc
	s_cbranch_execnz .LBB2180_149
.LBB2180_116:
	s_or_b64 exec, exec, s[2:3]
	v_cmp_gt_u32_e32 vcc, s33, v60
	s_and_saveexec_b64 s[2:3], vcc
	s_cbranch_execnz .LBB2180_150
.LBB2180_117:
	s_or_b64 exec, exec, s[2:3]
	v_cmp_gt_u32_e32 vcc, s33, v58
	s_and_saveexec_b64 s[2:3], vcc
	s_cbranch_execnz .LBB2180_151
.LBB2180_118:
	s_or_b64 exec, exec, s[2:3]
	v_cmp_gt_u32_e32 vcc, s33, v56
	s_and_saveexec_b64 s[2:3], vcc
	s_cbranch_execnz .LBB2180_152
.LBB2180_119:
	s_or_b64 exec, exec, s[2:3]
	v_cmp_gt_u32_e32 vcc, s33, v54
	s_and_saveexec_b64 s[2:3], vcc
	s_cbranch_execnz .LBB2180_153
.LBB2180_120:
	s_or_b64 exec, exec, s[2:3]
	v_cmp_gt_u32_e32 vcc, s33, v52
	s_and_saveexec_b64 s[2:3], vcc
	s_cbranch_execnz .LBB2180_154
.LBB2180_121:
	s_or_b64 exec, exec, s[2:3]
	v_cmp_gt_u32_e32 vcc, s33, v50
	s_and_saveexec_b64 s[2:3], vcc
	s_cbranch_execnz .LBB2180_155
.LBB2180_122:
	s_or_b64 exec, exec, s[2:3]
	v_cmp_gt_u32_e32 vcc, s33, v48
	s_and_saveexec_b64 s[2:3], vcc
	s_cbranch_execnz .LBB2180_156
.LBB2180_123:
	s_or_b64 exec, exec, s[2:3]
	v_cmp_gt_u32_e32 vcc, s33, v46
	s_and_saveexec_b64 s[2:3], vcc
	s_cbranch_execnz .LBB2180_157
.LBB2180_124:
	s_or_b64 exec, exec, s[2:3]
	v_cmp_gt_u32_e32 vcc, s33, v44
	s_and_saveexec_b64 s[2:3], vcc
	s_cbranch_execnz .LBB2180_158
.LBB2180_125:
	s_or_b64 exec, exec, s[2:3]
	v_cmp_gt_u32_e32 vcc, s33, v42
	s_and_saveexec_b64 s[2:3], vcc
	s_cbranch_execnz .LBB2180_159
.LBB2180_126:
	s_or_b64 exec, exec, s[2:3]
	v_cmp_gt_u32_e32 vcc, s33, v40
	s_and_saveexec_b64 s[2:3], vcc
	s_cbranch_execnz .LBB2180_160
.LBB2180_127:
	s_or_b64 exec, exec, s[2:3]
	v_cmp_gt_u32_e32 vcc, s33, v37
	s_and_saveexec_b64 s[2:3], vcc
	s_cbranch_execnz .LBB2180_161
.LBB2180_128:
	s_or_b64 exec, exec, s[2:3]
	v_cmp_gt_u32_e32 vcc, s33, v36
	s_and_saveexec_b64 s[2:3], vcc
	s_cbranch_execnz .LBB2180_162
.LBB2180_129:
	s_or_b64 exec, exec, s[2:3]
	v_cmp_gt_u32_e32 vcc, s33, v34
	s_and_saveexec_b64 s[2:3], vcc
	s_cbranch_execnz .LBB2180_163
.LBB2180_130:
	s_or_b64 exec, exec, s[2:3]
	v_cmp_gt_u32_e32 vcc, s33, v32
	s_and_saveexec_b64 s[2:3], vcc
	s_cbranch_execnz .LBB2180_164
.LBB2180_131:
	s_or_b64 exec, exec, s[2:3]
	v_cmp_gt_u32_e32 vcc, s33, v30
	s_and_saveexec_b64 s[2:3], vcc
	s_cbranch_execnz .LBB2180_165
.LBB2180_132:
	s_or_b64 exec, exec, s[2:3]
	v_cmp_gt_u32_e32 vcc, s33, v28
	s_and_saveexec_b64 s[2:3], vcc
	s_cbranch_execnz .LBB2180_166
.LBB2180_133:
	s_or_b64 exec, exec, s[2:3]
	v_cmp_gt_u32_e32 vcc, s33, v26
	s_and_saveexec_b64 s[2:3], vcc
	s_cbranch_execnz .LBB2180_167
.LBB2180_134:
	s_or_b64 exec, exec, s[2:3]
	v_cmp_gt_u32_e32 vcc, s33, v24
	s_and_saveexec_b64 s[2:3], vcc
	s_cbranch_execnz .LBB2180_168
.LBB2180_135:
	s_or_b64 exec, exec, s[2:3]
	v_cmp_gt_u32_e32 vcc, s33, v22
	s_and_saveexec_b64 s[2:3], vcc
	s_cbranch_execnz .LBB2180_169
.LBB2180_136:
	s_or_b64 exec, exec, s[2:3]
	v_cmp_gt_u32_e32 vcc, s33, v18
	s_and_saveexec_b64 s[2:3], vcc
	s_cbranch_execnz .LBB2180_170
.LBB2180_137:
	s_or_b64 exec, exec, s[2:3]
	v_cmp_gt_u32_e32 vcc, s33, v12
	s_and_saveexec_b64 s[2:3], vcc
	s_cbranch_execnz .LBB2180_171
.LBB2180_138:
	s_or_b64 exec, exec, s[2:3]
	v_cmp_gt_u32_e32 vcc, s33, v7
	s_and_saveexec_b64 s[2:3], vcc
	s_cbranch_execz .LBB2180_140
.LBB2180_139:
	v_cmp_lt_u32_e32 vcc, v7, v20
	v_cndmask_b32_e32 v0, v8, v10, vcc
	v_lshlrev_b32_e32 v7, 1, v7
	v_cndmask_b32_e32 v1, v9, v11, vcc
	v_add_co_u32_e32 v0, vcc, v0, v7
	v_addc_co_u32_e32 v1, vcc, 0, v1, vcc
	s_waitcnt lgkmcnt(1)
	global_store_short v[0:1], v6, off
.LBB2180_140:
	s_or_b64 exec, exec, s[2:3]
	v_cmp_gt_u32_e64 s[2:3], s33, v5
.LBB2180_141:
	s_and_saveexec_b64 s[4:5], s[2:3]
	s_cbranch_execnz .LBB2180_144
; %bb.142:
	s_or_b64 exec, exec, s[4:5]
	s_and_b64 s[0:1], s[0:1], s[22:23]
	s_and_saveexec_b64 s[2:3], s[0:1]
	s_cbranch_execnz .LBB2180_145
.LBB2180_143:
	s_endpgm
.LBB2180_144:
	v_cmp_lt_u32_e32 vcc, v5, v20
	v_cndmask_b32_e32 v0, v8, v10, vcc
	v_lshlrev_b32_e32 v5, 1, v5
	v_cndmask_b32_e32 v1, v9, v11, vcc
	v_add_co_u32_e32 v0, vcc, v0, v5
	v_addc_co_u32_e32 v1, vcc, 0, v1, vcc
	s_waitcnt lgkmcnt(0)
	global_store_short v[0:1], v4, off
	s_or_b64 exec, exec, s[4:5]
	s_and_b64 s[0:1], s[0:1], s[22:23]
	s_and_saveexec_b64 s[2:3], s[0:1]
	s_cbranch_execz .LBB2180_143
.LBB2180_145:
	v_mov_b32_e32 v0, 0
	global_store_dwordx2 v0, v[2:3], s[20:21]
	s_endpgm
.LBB2180_146:
	v_cmp_lt_u32_e32 vcc, v0, v20
	v_cndmask_b32_e32 v14, v8, v10, vcc
	v_cndmask_b32_e32 v0, v9, v11, vcc
	v_add_co_u32_e32 v14, vcc, v14, v1
	v_addc_co_u32_e32 v15, vcc, 0, v0, vcc
	s_waitcnt lgkmcnt(14)
	global_store_short v[14:15], v68, off
	s_or_b64 exec, exec, s[2:3]
	v_cmp_gt_u32_e32 vcc, s33, v66
	s_and_saveexec_b64 s[2:3], vcc
	s_cbranch_execz .LBB2180_114
.LBB2180_147:
	v_cmp_lt_u32_e32 vcc, v66, v20
	v_cndmask_b32_e32 v14, v8, v10, vcc
	v_cndmask_b32_e32 v0, v9, v11, vcc
	v_add_co_u32_e32 v14, vcc, v14, v1
	v_addc_co_u32_e32 v15, vcc, 0, v0, vcc
	s_waitcnt lgkmcnt(14)
	global_store_short v[14:15], v67, off offset:512
	s_or_b64 exec, exec, s[2:3]
	v_cmp_gt_u32_e32 vcc, s33, v64
	s_and_saveexec_b64 s[2:3], vcc
	s_cbranch_execz .LBB2180_115
.LBB2180_148:
	v_cmp_lt_u32_e32 vcc, v64, v20
	v_cndmask_b32_e32 v14, v8, v10, vcc
	v_cndmask_b32_e32 v0, v9, v11, vcc
	v_add_co_u32_e32 v14, vcc, v14, v1
	v_addc_co_u32_e32 v15, vcc, 0, v0, vcc
	s_waitcnt lgkmcnt(14)
	global_store_short v[14:15], v65, off offset:1024
	s_or_b64 exec, exec, s[2:3]
	v_cmp_gt_u32_e32 vcc, s33, v62
	s_and_saveexec_b64 s[2:3], vcc
	s_cbranch_execz .LBB2180_116
.LBB2180_149:
	v_cmp_lt_u32_e32 vcc, v62, v20
	v_cndmask_b32_e32 v14, v8, v10, vcc
	v_cndmask_b32_e32 v0, v9, v11, vcc
	v_add_co_u32_e32 v14, vcc, v14, v1
	v_addc_co_u32_e32 v15, vcc, 0, v0, vcc
	s_waitcnt lgkmcnt(14)
	global_store_short v[14:15], v63, off offset:1536
	s_or_b64 exec, exec, s[2:3]
	v_cmp_gt_u32_e32 vcc, s33, v60
	s_and_saveexec_b64 s[2:3], vcc
	s_cbranch_execz .LBB2180_117
.LBB2180_150:
	v_cmp_lt_u32_e32 vcc, v60, v20
	v_cndmask_b32_e32 v14, v8, v10, vcc
	v_cndmask_b32_e32 v0, v9, v11, vcc
	v_add_co_u32_e32 v14, vcc, v14, v1
	v_addc_co_u32_e32 v15, vcc, 0, v0, vcc
	s_waitcnt lgkmcnt(14)
	global_store_short v[14:15], v61, off offset:2048
	s_or_b64 exec, exec, s[2:3]
	v_cmp_gt_u32_e32 vcc, s33, v58
	s_and_saveexec_b64 s[2:3], vcc
	s_cbranch_execz .LBB2180_118
.LBB2180_151:
	v_cmp_lt_u32_e32 vcc, v58, v20
	v_cndmask_b32_e32 v14, v8, v10, vcc
	v_cndmask_b32_e32 v0, v9, v11, vcc
	v_add_co_u32_e32 v14, vcc, v14, v1
	v_addc_co_u32_e32 v15, vcc, 0, v0, vcc
	s_waitcnt lgkmcnt(14)
	global_store_short v[14:15], v59, off offset:2560
	s_or_b64 exec, exec, s[2:3]
	v_cmp_gt_u32_e32 vcc, s33, v56
	s_and_saveexec_b64 s[2:3], vcc
	s_cbranch_execz .LBB2180_119
.LBB2180_152:
	v_cmp_lt_u32_e32 vcc, v56, v20
	v_cndmask_b32_e32 v14, v8, v10, vcc
	v_cndmask_b32_e32 v0, v9, v11, vcc
	v_add_co_u32_e32 v14, vcc, v14, v1
	v_addc_co_u32_e32 v15, vcc, 0, v0, vcc
	s_waitcnt lgkmcnt(14)
	global_store_short v[14:15], v57, off offset:3072
	s_or_b64 exec, exec, s[2:3]
	v_cmp_gt_u32_e32 vcc, s33, v54
	s_and_saveexec_b64 s[2:3], vcc
	s_cbranch_execz .LBB2180_120
.LBB2180_153:
	v_cmp_lt_u32_e32 vcc, v54, v20
	v_cndmask_b32_e32 v0, v8, v10, vcc
	v_cndmask_b32_e32 v14, v9, v11, vcc
	v_add_co_u32_e32 v0, vcc, v0, v1
	v_addc_co_u32_e32 v1, vcc, 0, v14, vcc
	s_waitcnt lgkmcnt(14)
	global_store_short v[0:1], v55, off offset:3584
	s_or_b64 exec, exec, s[2:3]
	v_cmp_gt_u32_e32 vcc, s33, v52
	s_and_saveexec_b64 s[2:3], vcc
	s_cbranch_execz .LBB2180_121
.LBB2180_154:
	v_cmp_lt_u32_e32 vcc, v52, v20
	v_cndmask_b32_e32 v0, v8, v10, vcc
	v_lshlrev_b32_e32 v14, 1, v52
	v_cndmask_b32_e32 v1, v9, v11, vcc
	v_add_co_u32_e32 v0, vcc, v0, v14
	v_addc_co_u32_e32 v1, vcc, 0, v1, vcc
	s_waitcnt lgkmcnt(14)
	global_store_short v[0:1], v53, off
	s_or_b64 exec, exec, s[2:3]
	v_cmp_gt_u32_e32 vcc, s33, v50
	s_and_saveexec_b64 s[2:3], vcc
	s_cbranch_execz .LBB2180_122
.LBB2180_155:
	v_cmp_lt_u32_e32 vcc, v50, v20
	v_cndmask_b32_e32 v0, v8, v10, vcc
	v_lshlrev_b32_e32 v14, 1, v50
	v_cndmask_b32_e32 v1, v9, v11, vcc
	v_add_co_u32_e32 v0, vcc, v0, v14
	v_addc_co_u32_e32 v1, vcc, 0, v1, vcc
	s_waitcnt lgkmcnt(14)
	global_store_short v[0:1], v51, off
	s_or_b64 exec, exec, s[2:3]
	v_cmp_gt_u32_e32 vcc, s33, v48
	s_and_saveexec_b64 s[2:3], vcc
	s_cbranch_execz .LBB2180_123
.LBB2180_156:
	v_cmp_lt_u32_e32 vcc, v48, v20
	v_cndmask_b32_e32 v0, v8, v10, vcc
	v_lshlrev_b32_e32 v14, 1, v48
	v_cndmask_b32_e32 v1, v9, v11, vcc
	v_add_co_u32_e32 v0, vcc, v0, v14
	v_addc_co_u32_e32 v1, vcc, 0, v1, vcc
	s_waitcnt lgkmcnt(14)
	global_store_short v[0:1], v49, off
	s_or_b64 exec, exec, s[2:3]
	v_cmp_gt_u32_e32 vcc, s33, v46
	s_and_saveexec_b64 s[2:3], vcc
	s_cbranch_execz .LBB2180_124
.LBB2180_157:
	v_cmp_lt_u32_e32 vcc, v46, v20
	v_cndmask_b32_e32 v0, v8, v10, vcc
	v_lshlrev_b32_e32 v14, 1, v46
	v_cndmask_b32_e32 v1, v9, v11, vcc
	v_add_co_u32_e32 v0, vcc, v0, v14
	v_addc_co_u32_e32 v1, vcc, 0, v1, vcc
	s_waitcnt lgkmcnt(14)
	global_store_short v[0:1], v47, off
	s_or_b64 exec, exec, s[2:3]
	v_cmp_gt_u32_e32 vcc, s33, v44
	s_and_saveexec_b64 s[2:3], vcc
	s_cbranch_execz .LBB2180_125
.LBB2180_158:
	v_cmp_lt_u32_e32 vcc, v44, v20
	v_cndmask_b32_e32 v0, v8, v10, vcc
	v_lshlrev_b32_e32 v14, 1, v44
	v_cndmask_b32_e32 v1, v9, v11, vcc
	v_add_co_u32_e32 v0, vcc, v0, v14
	v_addc_co_u32_e32 v1, vcc, 0, v1, vcc
	s_waitcnt lgkmcnt(14)
	global_store_short v[0:1], v45, off
	s_or_b64 exec, exec, s[2:3]
	v_cmp_gt_u32_e32 vcc, s33, v42
	s_and_saveexec_b64 s[2:3], vcc
	s_cbranch_execz .LBB2180_126
.LBB2180_159:
	v_cmp_lt_u32_e32 vcc, v42, v20
	v_cndmask_b32_e32 v0, v8, v10, vcc
	v_lshlrev_b32_e32 v14, 1, v42
	v_cndmask_b32_e32 v1, v9, v11, vcc
	v_add_co_u32_e32 v0, vcc, v0, v14
	v_addc_co_u32_e32 v1, vcc, 0, v1, vcc
	s_waitcnt lgkmcnt(14)
	global_store_short v[0:1], v43, off
	s_or_b64 exec, exec, s[2:3]
	v_cmp_gt_u32_e32 vcc, s33, v40
	s_and_saveexec_b64 s[2:3], vcc
	s_cbranch_execz .LBB2180_127
.LBB2180_160:
	v_cmp_lt_u32_e32 vcc, v40, v20
	v_cndmask_b32_e32 v0, v8, v10, vcc
	v_lshlrev_b32_e32 v14, 1, v40
	v_cndmask_b32_e32 v1, v9, v11, vcc
	v_add_co_u32_e32 v0, vcc, v0, v14
	v_addc_co_u32_e32 v1, vcc, 0, v1, vcc
	s_waitcnt lgkmcnt(13)
	global_store_short v[0:1], v41, off
	s_or_b64 exec, exec, s[2:3]
	v_cmp_gt_u32_e32 vcc, s33, v37
	s_and_saveexec_b64 s[2:3], vcc
	s_cbranch_execz .LBB2180_128
.LBB2180_161:
	v_cmp_lt_u32_e32 vcc, v37, v20
	v_cndmask_b32_e32 v0, v8, v10, vcc
	v_lshlrev_b32_e32 v14, 1, v37
	v_cndmask_b32_e32 v1, v9, v11, vcc
	v_add_co_u32_e32 v0, vcc, v0, v14
	v_addc_co_u32_e32 v1, vcc, 0, v1, vcc
	s_waitcnt lgkmcnt(12)
	global_store_short v[0:1], v39, off
	s_or_b64 exec, exec, s[2:3]
	v_cmp_gt_u32_e32 vcc, s33, v36
	s_and_saveexec_b64 s[2:3], vcc
	s_cbranch_execz .LBB2180_129
.LBB2180_162:
	v_cmp_lt_u32_e32 vcc, v36, v20
	v_cndmask_b32_e32 v0, v8, v10, vcc
	v_lshlrev_b32_e32 v14, 1, v36
	v_cndmask_b32_e32 v1, v9, v11, vcc
	v_add_co_u32_e32 v0, vcc, v0, v14
	v_addc_co_u32_e32 v1, vcc, 0, v1, vcc
	s_waitcnt lgkmcnt(11)
	global_store_short v[0:1], v38, off
	s_or_b64 exec, exec, s[2:3]
	v_cmp_gt_u32_e32 vcc, s33, v34
	s_and_saveexec_b64 s[2:3], vcc
	s_cbranch_execz .LBB2180_130
.LBB2180_163:
	v_cmp_lt_u32_e32 vcc, v34, v20
	v_cndmask_b32_e32 v0, v8, v10, vcc
	v_lshlrev_b32_e32 v14, 1, v34
	v_cndmask_b32_e32 v1, v9, v11, vcc
	v_add_co_u32_e32 v0, vcc, v0, v14
	v_addc_co_u32_e32 v1, vcc, 0, v1, vcc
	s_waitcnt lgkmcnt(10)
	global_store_short v[0:1], v35, off
	s_or_b64 exec, exec, s[2:3]
	v_cmp_gt_u32_e32 vcc, s33, v32
	s_and_saveexec_b64 s[2:3], vcc
	s_cbranch_execz .LBB2180_131
.LBB2180_164:
	v_cmp_lt_u32_e32 vcc, v32, v20
	v_cndmask_b32_e32 v0, v8, v10, vcc
	v_lshlrev_b32_e32 v14, 1, v32
	v_cndmask_b32_e32 v1, v9, v11, vcc
	v_add_co_u32_e32 v0, vcc, v0, v14
	v_addc_co_u32_e32 v1, vcc, 0, v1, vcc
	s_waitcnt lgkmcnt(9)
	global_store_short v[0:1], v33, off
	s_or_b64 exec, exec, s[2:3]
	v_cmp_gt_u32_e32 vcc, s33, v30
	s_and_saveexec_b64 s[2:3], vcc
	s_cbranch_execz .LBB2180_132
.LBB2180_165:
	v_cmp_lt_u32_e32 vcc, v30, v20
	v_cndmask_b32_e32 v0, v8, v10, vcc
	v_lshlrev_b32_e32 v14, 1, v30
	v_cndmask_b32_e32 v1, v9, v11, vcc
	v_add_co_u32_e32 v0, vcc, v0, v14
	v_addc_co_u32_e32 v1, vcc, 0, v1, vcc
	s_waitcnt lgkmcnt(8)
	global_store_short v[0:1], v31, off
	s_or_b64 exec, exec, s[2:3]
	v_cmp_gt_u32_e32 vcc, s33, v28
	s_and_saveexec_b64 s[2:3], vcc
	s_cbranch_execz .LBB2180_133
.LBB2180_166:
	v_cmp_lt_u32_e32 vcc, v28, v20
	v_cndmask_b32_e32 v0, v8, v10, vcc
	v_lshlrev_b32_e32 v14, 1, v28
	v_cndmask_b32_e32 v1, v9, v11, vcc
	v_add_co_u32_e32 v0, vcc, v0, v14
	v_addc_co_u32_e32 v1, vcc, 0, v1, vcc
	s_waitcnt lgkmcnt(7)
	global_store_short v[0:1], v29, off
	s_or_b64 exec, exec, s[2:3]
	v_cmp_gt_u32_e32 vcc, s33, v26
	s_and_saveexec_b64 s[2:3], vcc
	s_cbranch_execz .LBB2180_134
.LBB2180_167:
	v_cmp_lt_u32_e32 vcc, v26, v20
	v_cndmask_b32_e32 v0, v8, v10, vcc
	v_lshlrev_b32_e32 v14, 1, v26
	v_cndmask_b32_e32 v1, v9, v11, vcc
	v_add_co_u32_e32 v0, vcc, v0, v14
	v_addc_co_u32_e32 v1, vcc, 0, v1, vcc
	s_waitcnt lgkmcnt(6)
	global_store_short v[0:1], v27, off
	s_or_b64 exec, exec, s[2:3]
	v_cmp_gt_u32_e32 vcc, s33, v24
	s_and_saveexec_b64 s[2:3], vcc
	s_cbranch_execz .LBB2180_135
.LBB2180_168:
	v_cmp_lt_u32_e32 vcc, v24, v20
	v_cndmask_b32_e32 v0, v8, v10, vcc
	v_lshlrev_b32_e32 v14, 1, v24
	v_cndmask_b32_e32 v1, v9, v11, vcc
	v_add_co_u32_e32 v0, vcc, v0, v14
	v_addc_co_u32_e32 v1, vcc, 0, v1, vcc
	s_waitcnt lgkmcnt(5)
	global_store_short v[0:1], v25, off
	s_or_b64 exec, exec, s[2:3]
	v_cmp_gt_u32_e32 vcc, s33, v22
	s_and_saveexec_b64 s[2:3], vcc
	s_cbranch_execz .LBB2180_136
.LBB2180_169:
	v_cmp_lt_u32_e32 vcc, v22, v20
	v_cndmask_b32_e32 v0, v8, v10, vcc
	v_lshlrev_b32_e32 v14, 1, v22
	v_cndmask_b32_e32 v1, v9, v11, vcc
	v_add_co_u32_e32 v0, vcc, v0, v14
	v_addc_co_u32_e32 v1, vcc, 0, v1, vcc
	s_waitcnt lgkmcnt(4)
	global_store_short v[0:1], v23, off
	s_or_b64 exec, exec, s[2:3]
	v_cmp_gt_u32_e32 vcc, s33, v18
	s_and_saveexec_b64 s[2:3], vcc
	s_cbranch_execz .LBB2180_137
.LBB2180_170:
	v_cmp_lt_u32_e32 vcc, v18, v20
	v_cndmask_b32_e32 v0, v8, v10, vcc
	v_lshlrev_b32_e32 v14, 1, v18
	v_cndmask_b32_e32 v1, v9, v11, vcc
	v_add_co_u32_e32 v0, vcc, v0, v14
	v_addc_co_u32_e32 v1, vcc, 0, v1, vcc
	s_waitcnt lgkmcnt(3)
	global_store_short v[0:1], v19, off
	s_or_b64 exec, exec, s[2:3]
	v_cmp_gt_u32_e32 vcc, s33, v12
	s_and_saveexec_b64 s[2:3], vcc
	s_cbranch_execz .LBB2180_138
.LBB2180_171:
	v_cmp_lt_u32_e32 vcc, v12, v20
	v_cndmask_b32_e32 v0, v8, v10, vcc
	v_lshlrev_b32_e32 v12, 1, v12
	v_cndmask_b32_e32 v1, v9, v11, vcc
	v_add_co_u32_e32 v0, vcc, v0, v12
	v_addc_co_u32_e32 v1, vcc, 0, v1, vcc
	s_waitcnt lgkmcnt(2)
	global_store_short v[0:1], v13, off
	s_or_b64 exec, exec, s[2:3]
	v_cmp_gt_u32_e32 vcc, s33, v7
	s_and_saveexec_b64 s[2:3], vcc
	s_cbranch_execnz .LBB2180_139
	s_branch .LBB2180_140
	.section	.rodata,"a",@progbits
	.p2align	6, 0x0
	.amdhsa_kernel _ZN7rocprim17ROCPRIM_400000_NS6detail17trampoline_kernelINS0_14default_configENS1_25partition_config_selectorILNS1_17partition_subalgoE0EtNS0_10empty_typeEbEEZZNS1_14partition_implILS5_0ELb0ES3_jN6thrust23THRUST_200600_302600_NS6detail15normal_iteratorINSA_10device_ptrItEEEEPS6_SG_NS0_5tupleIJSF_SF_EEENSH_IJSG_SG_EEES6_PlJ7is_evenItEEEE10hipError_tPvRmT3_T4_T5_T6_T7_T9_mT8_P12ihipStream_tbDpT10_ENKUlT_T0_E_clISt17integral_constantIbLb1EES16_EEDaS11_S12_EUlS11_E_NS1_11comp_targetILNS1_3genE4ELNS1_11target_archE910ELNS1_3gpuE8ELNS1_3repE0EEENS1_30default_config_static_selectorELNS0_4arch9wavefront6targetE1EEEvT1_
		.amdhsa_group_segment_fixed_size 14344
		.amdhsa_private_segment_fixed_size 0
		.amdhsa_kernarg_size 136
		.amdhsa_user_sgpr_count 6
		.amdhsa_user_sgpr_private_segment_buffer 1
		.amdhsa_user_sgpr_dispatch_ptr 0
		.amdhsa_user_sgpr_queue_ptr 0
		.amdhsa_user_sgpr_kernarg_segment_ptr 1
		.amdhsa_user_sgpr_dispatch_id 0
		.amdhsa_user_sgpr_flat_scratch_init 0
		.amdhsa_user_sgpr_kernarg_preload_length 0
		.amdhsa_user_sgpr_kernarg_preload_offset 0
		.amdhsa_user_sgpr_private_segment_size 0
		.amdhsa_uses_dynamic_stack 0
		.amdhsa_system_sgpr_private_segment_wavefront_offset 0
		.amdhsa_system_sgpr_workgroup_id_x 1
		.amdhsa_system_sgpr_workgroup_id_y 0
		.amdhsa_system_sgpr_workgroup_id_z 0
		.amdhsa_system_sgpr_workgroup_info 0
		.amdhsa_system_vgpr_workitem_id 0
		.amdhsa_next_free_vgpr 118
		.amdhsa_next_free_sgpr 44
		.amdhsa_accum_offset 120
		.amdhsa_reserve_vcc 1
		.amdhsa_reserve_flat_scratch 0
		.amdhsa_float_round_mode_32 0
		.amdhsa_float_round_mode_16_64 0
		.amdhsa_float_denorm_mode_32 3
		.amdhsa_float_denorm_mode_16_64 3
		.amdhsa_dx10_clamp 1
		.amdhsa_ieee_mode 1
		.amdhsa_fp16_overflow 0
		.amdhsa_tg_split 0
		.amdhsa_exception_fp_ieee_invalid_op 0
		.amdhsa_exception_fp_denorm_src 0
		.amdhsa_exception_fp_ieee_div_zero 0
		.amdhsa_exception_fp_ieee_overflow 0
		.amdhsa_exception_fp_ieee_underflow 0
		.amdhsa_exception_fp_ieee_inexact 0
		.amdhsa_exception_int_div_zero 0
	.end_amdhsa_kernel
	.section	.text._ZN7rocprim17ROCPRIM_400000_NS6detail17trampoline_kernelINS0_14default_configENS1_25partition_config_selectorILNS1_17partition_subalgoE0EtNS0_10empty_typeEbEEZZNS1_14partition_implILS5_0ELb0ES3_jN6thrust23THRUST_200600_302600_NS6detail15normal_iteratorINSA_10device_ptrItEEEEPS6_SG_NS0_5tupleIJSF_SF_EEENSH_IJSG_SG_EEES6_PlJ7is_evenItEEEE10hipError_tPvRmT3_T4_T5_T6_T7_T9_mT8_P12ihipStream_tbDpT10_ENKUlT_T0_E_clISt17integral_constantIbLb1EES16_EEDaS11_S12_EUlS11_E_NS1_11comp_targetILNS1_3genE4ELNS1_11target_archE910ELNS1_3gpuE8ELNS1_3repE0EEENS1_30default_config_static_selectorELNS0_4arch9wavefront6targetE1EEEvT1_,"axG",@progbits,_ZN7rocprim17ROCPRIM_400000_NS6detail17trampoline_kernelINS0_14default_configENS1_25partition_config_selectorILNS1_17partition_subalgoE0EtNS0_10empty_typeEbEEZZNS1_14partition_implILS5_0ELb0ES3_jN6thrust23THRUST_200600_302600_NS6detail15normal_iteratorINSA_10device_ptrItEEEEPS6_SG_NS0_5tupleIJSF_SF_EEENSH_IJSG_SG_EEES6_PlJ7is_evenItEEEE10hipError_tPvRmT3_T4_T5_T6_T7_T9_mT8_P12ihipStream_tbDpT10_ENKUlT_T0_E_clISt17integral_constantIbLb1EES16_EEDaS11_S12_EUlS11_E_NS1_11comp_targetILNS1_3genE4ELNS1_11target_archE910ELNS1_3gpuE8ELNS1_3repE0EEENS1_30default_config_static_selectorELNS0_4arch9wavefront6targetE1EEEvT1_,comdat
.Lfunc_end2180:
	.size	_ZN7rocprim17ROCPRIM_400000_NS6detail17trampoline_kernelINS0_14default_configENS1_25partition_config_selectorILNS1_17partition_subalgoE0EtNS0_10empty_typeEbEEZZNS1_14partition_implILS5_0ELb0ES3_jN6thrust23THRUST_200600_302600_NS6detail15normal_iteratorINSA_10device_ptrItEEEEPS6_SG_NS0_5tupleIJSF_SF_EEENSH_IJSG_SG_EEES6_PlJ7is_evenItEEEE10hipError_tPvRmT3_T4_T5_T6_T7_T9_mT8_P12ihipStream_tbDpT10_ENKUlT_T0_E_clISt17integral_constantIbLb1EES16_EEDaS11_S12_EUlS11_E_NS1_11comp_targetILNS1_3genE4ELNS1_11target_archE910ELNS1_3gpuE8ELNS1_3repE0EEENS1_30default_config_static_selectorELNS0_4arch9wavefront6targetE1EEEvT1_, .Lfunc_end2180-_ZN7rocprim17ROCPRIM_400000_NS6detail17trampoline_kernelINS0_14default_configENS1_25partition_config_selectorILNS1_17partition_subalgoE0EtNS0_10empty_typeEbEEZZNS1_14partition_implILS5_0ELb0ES3_jN6thrust23THRUST_200600_302600_NS6detail15normal_iteratorINSA_10device_ptrItEEEEPS6_SG_NS0_5tupleIJSF_SF_EEENSH_IJSG_SG_EEES6_PlJ7is_evenItEEEE10hipError_tPvRmT3_T4_T5_T6_T7_T9_mT8_P12ihipStream_tbDpT10_ENKUlT_T0_E_clISt17integral_constantIbLb1EES16_EEDaS11_S12_EUlS11_E_NS1_11comp_targetILNS1_3genE4ELNS1_11target_archE910ELNS1_3gpuE8ELNS1_3repE0EEENS1_30default_config_static_selectorELNS0_4arch9wavefront6targetE1EEEvT1_
                                        ; -- End function
	.section	.AMDGPU.csdata,"",@progbits
; Kernel info:
; codeLenInByte = 9960
; NumSgprs: 48
; NumVgprs: 118
; NumAgprs: 0
; TotalNumVgprs: 118
; ScratchSize: 0
; MemoryBound: 0
; FloatMode: 240
; IeeeMode: 1
; LDSByteSize: 14344 bytes/workgroup (compile time only)
; SGPRBlocks: 5
; VGPRBlocks: 14
; NumSGPRsForWavesPerEU: 48
; NumVGPRsForWavesPerEU: 118
; AccumOffset: 120
; Occupancy: 4
; WaveLimiterHint : 1
; COMPUTE_PGM_RSRC2:SCRATCH_EN: 0
; COMPUTE_PGM_RSRC2:USER_SGPR: 6
; COMPUTE_PGM_RSRC2:TRAP_HANDLER: 0
; COMPUTE_PGM_RSRC2:TGID_X_EN: 1
; COMPUTE_PGM_RSRC2:TGID_Y_EN: 0
; COMPUTE_PGM_RSRC2:TGID_Z_EN: 0
; COMPUTE_PGM_RSRC2:TIDIG_COMP_CNT: 0
; COMPUTE_PGM_RSRC3_GFX90A:ACCUM_OFFSET: 29
; COMPUTE_PGM_RSRC3_GFX90A:TG_SPLIT: 0
	.section	.text._ZN7rocprim17ROCPRIM_400000_NS6detail17trampoline_kernelINS0_14default_configENS1_25partition_config_selectorILNS1_17partition_subalgoE0EtNS0_10empty_typeEbEEZZNS1_14partition_implILS5_0ELb0ES3_jN6thrust23THRUST_200600_302600_NS6detail15normal_iteratorINSA_10device_ptrItEEEEPS6_SG_NS0_5tupleIJSF_SF_EEENSH_IJSG_SG_EEES6_PlJ7is_evenItEEEE10hipError_tPvRmT3_T4_T5_T6_T7_T9_mT8_P12ihipStream_tbDpT10_ENKUlT_T0_E_clISt17integral_constantIbLb1EES16_EEDaS11_S12_EUlS11_E_NS1_11comp_targetILNS1_3genE3ELNS1_11target_archE908ELNS1_3gpuE7ELNS1_3repE0EEENS1_30default_config_static_selectorELNS0_4arch9wavefront6targetE1EEEvT1_,"axG",@progbits,_ZN7rocprim17ROCPRIM_400000_NS6detail17trampoline_kernelINS0_14default_configENS1_25partition_config_selectorILNS1_17partition_subalgoE0EtNS0_10empty_typeEbEEZZNS1_14partition_implILS5_0ELb0ES3_jN6thrust23THRUST_200600_302600_NS6detail15normal_iteratorINSA_10device_ptrItEEEEPS6_SG_NS0_5tupleIJSF_SF_EEENSH_IJSG_SG_EEES6_PlJ7is_evenItEEEE10hipError_tPvRmT3_T4_T5_T6_T7_T9_mT8_P12ihipStream_tbDpT10_ENKUlT_T0_E_clISt17integral_constantIbLb1EES16_EEDaS11_S12_EUlS11_E_NS1_11comp_targetILNS1_3genE3ELNS1_11target_archE908ELNS1_3gpuE7ELNS1_3repE0EEENS1_30default_config_static_selectorELNS0_4arch9wavefront6targetE1EEEvT1_,comdat
	.protected	_ZN7rocprim17ROCPRIM_400000_NS6detail17trampoline_kernelINS0_14default_configENS1_25partition_config_selectorILNS1_17partition_subalgoE0EtNS0_10empty_typeEbEEZZNS1_14partition_implILS5_0ELb0ES3_jN6thrust23THRUST_200600_302600_NS6detail15normal_iteratorINSA_10device_ptrItEEEEPS6_SG_NS0_5tupleIJSF_SF_EEENSH_IJSG_SG_EEES6_PlJ7is_evenItEEEE10hipError_tPvRmT3_T4_T5_T6_T7_T9_mT8_P12ihipStream_tbDpT10_ENKUlT_T0_E_clISt17integral_constantIbLb1EES16_EEDaS11_S12_EUlS11_E_NS1_11comp_targetILNS1_3genE3ELNS1_11target_archE908ELNS1_3gpuE7ELNS1_3repE0EEENS1_30default_config_static_selectorELNS0_4arch9wavefront6targetE1EEEvT1_ ; -- Begin function _ZN7rocprim17ROCPRIM_400000_NS6detail17trampoline_kernelINS0_14default_configENS1_25partition_config_selectorILNS1_17partition_subalgoE0EtNS0_10empty_typeEbEEZZNS1_14partition_implILS5_0ELb0ES3_jN6thrust23THRUST_200600_302600_NS6detail15normal_iteratorINSA_10device_ptrItEEEEPS6_SG_NS0_5tupleIJSF_SF_EEENSH_IJSG_SG_EEES6_PlJ7is_evenItEEEE10hipError_tPvRmT3_T4_T5_T6_T7_T9_mT8_P12ihipStream_tbDpT10_ENKUlT_T0_E_clISt17integral_constantIbLb1EES16_EEDaS11_S12_EUlS11_E_NS1_11comp_targetILNS1_3genE3ELNS1_11target_archE908ELNS1_3gpuE7ELNS1_3repE0EEENS1_30default_config_static_selectorELNS0_4arch9wavefront6targetE1EEEvT1_
	.globl	_ZN7rocprim17ROCPRIM_400000_NS6detail17trampoline_kernelINS0_14default_configENS1_25partition_config_selectorILNS1_17partition_subalgoE0EtNS0_10empty_typeEbEEZZNS1_14partition_implILS5_0ELb0ES3_jN6thrust23THRUST_200600_302600_NS6detail15normal_iteratorINSA_10device_ptrItEEEEPS6_SG_NS0_5tupleIJSF_SF_EEENSH_IJSG_SG_EEES6_PlJ7is_evenItEEEE10hipError_tPvRmT3_T4_T5_T6_T7_T9_mT8_P12ihipStream_tbDpT10_ENKUlT_T0_E_clISt17integral_constantIbLb1EES16_EEDaS11_S12_EUlS11_E_NS1_11comp_targetILNS1_3genE3ELNS1_11target_archE908ELNS1_3gpuE7ELNS1_3repE0EEENS1_30default_config_static_selectorELNS0_4arch9wavefront6targetE1EEEvT1_
	.p2align	8
	.type	_ZN7rocprim17ROCPRIM_400000_NS6detail17trampoline_kernelINS0_14default_configENS1_25partition_config_selectorILNS1_17partition_subalgoE0EtNS0_10empty_typeEbEEZZNS1_14partition_implILS5_0ELb0ES3_jN6thrust23THRUST_200600_302600_NS6detail15normal_iteratorINSA_10device_ptrItEEEEPS6_SG_NS0_5tupleIJSF_SF_EEENSH_IJSG_SG_EEES6_PlJ7is_evenItEEEE10hipError_tPvRmT3_T4_T5_T6_T7_T9_mT8_P12ihipStream_tbDpT10_ENKUlT_T0_E_clISt17integral_constantIbLb1EES16_EEDaS11_S12_EUlS11_E_NS1_11comp_targetILNS1_3genE3ELNS1_11target_archE908ELNS1_3gpuE7ELNS1_3repE0EEENS1_30default_config_static_selectorELNS0_4arch9wavefront6targetE1EEEvT1_,@function
_ZN7rocprim17ROCPRIM_400000_NS6detail17trampoline_kernelINS0_14default_configENS1_25partition_config_selectorILNS1_17partition_subalgoE0EtNS0_10empty_typeEbEEZZNS1_14partition_implILS5_0ELb0ES3_jN6thrust23THRUST_200600_302600_NS6detail15normal_iteratorINSA_10device_ptrItEEEEPS6_SG_NS0_5tupleIJSF_SF_EEENSH_IJSG_SG_EEES6_PlJ7is_evenItEEEE10hipError_tPvRmT3_T4_T5_T6_T7_T9_mT8_P12ihipStream_tbDpT10_ENKUlT_T0_E_clISt17integral_constantIbLb1EES16_EEDaS11_S12_EUlS11_E_NS1_11comp_targetILNS1_3genE3ELNS1_11target_archE908ELNS1_3gpuE7ELNS1_3repE0EEENS1_30default_config_static_selectorELNS0_4arch9wavefront6targetE1EEEvT1_: ; @_ZN7rocprim17ROCPRIM_400000_NS6detail17trampoline_kernelINS0_14default_configENS1_25partition_config_selectorILNS1_17partition_subalgoE0EtNS0_10empty_typeEbEEZZNS1_14partition_implILS5_0ELb0ES3_jN6thrust23THRUST_200600_302600_NS6detail15normal_iteratorINSA_10device_ptrItEEEEPS6_SG_NS0_5tupleIJSF_SF_EEENSH_IJSG_SG_EEES6_PlJ7is_evenItEEEE10hipError_tPvRmT3_T4_T5_T6_T7_T9_mT8_P12ihipStream_tbDpT10_ENKUlT_T0_E_clISt17integral_constantIbLb1EES16_EEDaS11_S12_EUlS11_E_NS1_11comp_targetILNS1_3genE3ELNS1_11target_archE908ELNS1_3gpuE7ELNS1_3repE0EEENS1_30default_config_static_selectorELNS0_4arch9wavefront6targetE1EEEvT1_
; %bb.0:
	.section	.rodata,"a",@progbits
	.p2align	6, 0x0
	.amdhsa_kernel _ZN7rocprim17ROCPRIM_400000_NS6detail17trampoline_kernelINS0_14default_configENS1_25partition_config_selectorILNS1_17partition_subalgoE0EtNS0_10empty_typeEbEEZZNS1_14partition_implILS5_0ELb0ES3_jN6thrust23THRUST_200600_302600_NS6detail15normal_iteratorINSA_10device_ptrItEEEEPS6_SG_NS0_5tupleIJSF_SF_EEENSH_IJSG_SG_EEES6_PlJ7is_evenItEEEE10hipError_tPvRmT3_T4_T5_T6_T7_T9_mT8_P12ihipStream_tbDpT10_ENKUlT_T0_E_clISt17integral_constantIbLb1EES16_EEDaS11_S12_EUlS11_E_NS1_11comp_targetILNS1_3genE3ELNS1_11target_archE908ELNS1_3gpuE7ELNS1_3repE0EEENS1_30default_config_static_selectorELNS0_4arch9wavefront6targetE1EEEvT1_
		.amdhsa_group_segment_fixed_size 0
		.amdhsa_private_segment_fixed_size 0
		.amdhsa_kernarg_size 136
		.amdhsa_user_sgpr_count 6
		.amdhsa_user_sgpr_private_segment_buffer 1
		.amdhsa_user_sgpr_dispatch_ptr 0
		.amdhsa_user_sgpr_queue_ptr 0
		.amdhsa_user_sgpr_kernarg_segment_ptr 1
		.amdhsa_user_sgpr_dispatch_id 0
		.amdhsa_user_sgpr_flat_scratch_init 0
		.amdhsa_user_sgpr_kernarg_preload_length 0
		.amdhsa_user_sgpr_kernarg_preload_offset 0
		.amdhsa_user_sgpr_private_segment_size 0
		.amdhsa_uses_dynamic_stack 0
		.amdhsa_system_sgpr_private_segment_wavefront_offset 0
		.amdhsa_system_sgpr_workgroup_id_x 1
		.amdhsa_system_sgpr_workgroup_id_y 0
		.amdhsa_system_sgpr_workgroup_id_z 0
		.amdhsa_system_sgpr_workgroup_info 0
		.amdhsa_system_vgpr_workitem_id 0
		.amdhsa_next_free_vgpr 1
		.amdhsa_next_free_sgpr 0
		.amdhsa_accum_offset 4
		.amdhsa_reserve_vcc 0
		.amdhsa_reserve_flat_scratch 0
		.amdhsa_float_round_mode_32 0
		.amdhsa_float_round_mode_16_64 0
		.amdhsa_float_denorm_mode_32 3
		.amdhsa_float_denorm_mode_16_64 3
		.amdhsa_dx10_clamp 1
		.amdhsa_ieee_mode 1
		.amdhsa_fp16_overflow 0
		.amdhsa_tg_split 0
		.amdhsa_exception_fp_ieee_invalid_op 0
		.amdhsa_exception_fp_denorm_src 0
		.amdhsa_exception_fp_ieee_div_zero 0
		.amdhsa_exception_fp_ieee_overflow 0
		.amdhsa_exception_fp_ieee_underflow 0
		.amdhsa_exception_fp_ieee_inexact 0
		.amdhsa_exception_int_div_zero 0
	.end_amdhsa_kernel
	.section	.text._ZN7rocprim17ROCPRIM_400000_NS6detail17trampoline_kernelINS0_14default_configENS1_25partition_config_selectorILNS1_17partition_subalgoE0EtNS0_10empty_typeEbEEZZNS1_14partition_implILS5_0ELb0ES3_jN6thrust23THRUST_200600_302600_NS6detail15normal_iteratorINSA_10device_ptrItEEEEPS6_SG_NS0_5tupleIJSF_SF_EEENSH_IJSG_SG_EEES6_PlJ7is_evenItEEEE10hipError_tPvRmT3_T4_T5_T6_T7_T9_mT8_P12ihipStream_tbDpT10_ENKUlT_T0_E_clISt17integral_constantIbLb1EES16_EEDaS11_S12_EUlS11_E_NS1_11comp_targetILNS1_3genE3ELNS1_11target_archE908ELNS1_3gpuE7ELNS1_3repE0EEENS1_30default_config_static_selectorELNS0_4arch9wavefront6targetE1EEEvT1_,"axG",@progbits,_ZN7rocprim17ROCPRIM_400000_NS6detail17trampoline_kernelINS0_14default_configENS1_25partition_config_selectorILNS1_17partition_subalgoE0EtNS0_10empty_typeEbEEZZNS1_14partition_implILS5_0ELb0ES3_jN6thrust23THRUST_200600_302600_NS6detail15normal_iteratorINSA_10device_ptrItEEEEPS6_SG_NS0_5tupleIJSF_SF_EEENSH_IJSG_SG_EEES6_PlJ7is_evenItEEEE10hipError_tPvRmT3_T4_T5_T6_T7_T9_mT8_P12ihipStream_tbDpT10_ENKUlT_T0_E_clISt17integral_constantIbLb1EES16_EEDaS11_S12_EUlS11_E_NS1_11comp_targetILNS1_3genE3ELNS1_11target_archE908ELNS1_3gpuE7ELNS1_3repE0EEENS1_30default_config_static_selectorELNS0_4arch9wavefront6targetE1EEEvT1_,comdat
.Lfunc_end2181:
	.size	_ZN7rocprim17ROCPRIM_400000_NS6detail17trampoline_kernelINS0_14default_configENS1_25partition_config_selectorILNS1_17partition_subalgoE0EtNS0_10empty_typeEbEEZZNS1_14partition_implILS5_0ELb0ES3_jN6thrust23THRUST_200600_302600_NS6detail15normal_iteratorINSA_10device_ptrItEEEEPS6_SG_NS0_5tupleIJSF_SF_EEENSH_IJSG_SG_EEES6_PlJ7is_evenItEEEE10hipError_tPvRmT3_T4_T5_T6_T7_T9_mT8_P12ihipStream_tbDpT10_ENKUlT_T0_E_clISt17integral_constantIbLb1EES16_EEDaS11_S12_EUlS11_E_NS1_11comp_targetILNS1_3genE3ELNS1_11target_archE908ELNS1_3gpuE7ELNS1_3repE0EEENS1_30default_config_static_selectorELNS0_4arch9wavefront6targetE1EEEvT1_, .Lfunc_end2181-_ZN7rocprim17ROCPRIM_400000_NS6detail17trampoline_kernelINS0_14default_configENS1_25partition_config_selectorILNS1_17partition_subalgoE0EtNS0_10empty_typeEbEEZZNS1_14partition_implILS5_0ELb0ES3_jN6thrust23THRUST_200600_302600_NS6detail15normal_iteratorINSA_10device_ptrItEEEEPS6_SG_NS0_5tupleIJSF_SF_EEENSH_IJSG_SG_EEES6_PlJ7is_evenItEEEE10hipError_tPvRmT3_T4_T5_T6_T7_T9_mT8_P12ihipStream_tbDpT10_ENKUlT_T0_E_clISt17integral_constantIbLb1EES16_EEDaS11_S12_EUlS11_E_NS1_11comp_targetILNS1_3genE3ELNS1_11target_archE908ELNS1_3gpuE7ELNS1_3repE0EEENS1_30default_config_static_selectorELNS0_4arch9wavefront6targetE1EEEvT1_
                                        ; -- End function
	.section	.AMDGPU.csdata,"",@progbits
; Kernel info:
; codeLenInByte = 0
; NumSgprs: 4
; NumVgprs: 0
; NumAgprs: 0
; TotalNumVgprs: 0
; ScratchSize: 0
; MemoryBound: 0
; FloatMode: 240
; IeeeMode: 1
; LDSByteSize: 0 bytes/workgroup (compile time only)
; SGPRBlocks: 0
; VGPRBlocks: 0
; NumSGPRsForWavesPerEU: 4
; NumVGPRsForWavesPerEU: 1
; AccumOffset: 4
; Occupancy: 8
; WaveLimiterHint : 0
; COMPUTE_PGM_RSRC2:SCRATCH_EN: 0
; COMPUTE_PGM_RSRC2:USER_SGPR: 6
; COMPUTE_PGM_RSRC2:TRAP_HANDLER: 0
; COMPUTE_PGM_RSRC2:TGID_X_EN: 1
; COMPUTE_PGM_RSRC2:TGID_Y_EN: 0
; COMPUTE_PGM_RSRC2:TGID_Z_EN: 0
; COMPUTE_PGM_RSRC2:TIDIG_COMP_CNT: 0
; COMPUTE_PGM_RSRC3_GFX90A:ACCUM_OFFSET: 0
; COMPUTE_PGM_RSRC3_GFX90A:TG_SPLIT: 0
	.section	.text._ZN7rocprim17ROCPRIM_400000_NS6detail17trampoline_kernelINS0_14default_configENS1_25partition_config_selectorILNS1_17partition_subalgoE0EtNS0_10empty_typeEbEEZZNS1_14partition_implILS5_0ELb0ES3_jN6thrust23THRUST_200600_302600_NS6detail15normal_iteratorINSA_10device_ptrItEEEEPS6_SG_NS0_5tupleIJSF_SF_EEENSH_IJSG_SG_EEES6_PlJ7is_evenItEEEE10hipError_tPvRmT3_T4_T5_T6_T7_T9_mT8_P12ihipStream_tbDpT10_ENKUlT_T0_E_clISt17integral_constantIbLb1EES16_EEDaS11_S12_EUlS11_E_NS1_11comp_targetILNS1_3genE2ELNS1_11target_archE906ELNS1_3gpuE6ELNS1_3repE0EEENS1_30default_config_static_selectorELNS0_4arch9wavefront6targetE1EEEvT1_,"axG",@progbits,_ZN7rocprim17ROCPRIM_400000_NS6detail17trampoline_kernelINS0_14default_configENS1_25partition_config_selectorILNS1_17partition_subalgoE0EtNS0_10empty_typeEbEEZZNS1_14partition_implILS5_0ELb0ES3_jN6thrust23THRUST_200600_302600_NS6detail15normal_iteratorINSA_10device_ptrItEEEEPS6_SG_NS0_5tupleIJSF_SF_EEENSH_IJSG_SG_EEES6_PlJ7is_evenItEEEE10hipError_tPvRmT3_T4_T5_T6_T7_T9_mT8_P12ihipStream_tbDpT10_ENKUlT_T0_E_clISt17integral_constantIbLb1EES16_EEDaS11_S12_EUlS11_E_NS1_11comp_targetILNS1_3genE2ELNS1_11target_archE906ELNS1_3gpuE6ELNS1_3repE0EEENS1_30default_config_static_selectorELNS0_4arch9wavefront6targetE1EEEvT1_,comdat
	.protected	_ZN7rocprim17ROCPRIM_400000_NS6detail17trampoline_kernelINS0_14default_configENS1_25partition_config_selectorILNS1_17partition_subalgoE0EtNS0_10empty_typeEbEEZZNS1_14partition_implILS5_0ELb0ES3_jN6thrust23THRUST_200600_302600_NS6detail15normal_iteratorINSA_10device_ptrItEEEEPS6_SG_NS0_5tupleIJSF_SF_EEENSH_IJSG_SG_EEES6_PlJ7is_evenItEEEE10hipError_tPvRmT3_T4_T5_T6_T7_T9_mT8_P12ihipStream_tbDpT10_ENKUlT_T0_E_clISt17integral_constantIbLb1EES16_EEDaS11_S12_EUlS11_E_NS1_11comp_targetILNS1_3genE2ELNS1_11target_archE906ELNS1_3gpuE6ELNS1_3repE0EEENS1_30default_config_static_selectorELNS0_4arch9wavefront6targetE1EEEvT1_ ; -- Begin function _ZN7rocprim17ROCPRIM_400000_NS6detail17trampoline_kernelINS0_14default_configENS1_25partition_config_selectorILNS1_17partition_subalgoE0EtNS0_10empty_typeEbEEZZNS1_14partition_implILS5_0ELb0ES3_jN6thrust23THRUST_200600_302600_NS6detail15normal_iteratorINSA_10device_ptrItEEEEPS6_SG_NS0_5tupleIJSF_SF_EEENSH_IJSG_SG_EEES6_PlJ7is_evenItEEEE10hipError_tPvRmT3_T4_T5_T6_T7_T9_mT8_P12ihipStream_tbDpT10_ENKUlT_T0_E_clISt17integral_constantIbLb1EES16_EEDaS11_S12_EUlS11_E_NS1_11comp_targetILNS1_3genE2ELNS1_11target_archE906ELNS1_3gpuE6ELNS1_3repE0EEENS1_30default_config_static_selectorELNS0_4arch9wavefront6targetE1EEEvT1_
	.globl	_ZN7rocprim17ROCPRIM_400000_NS6detail17trampoline_kernelINS0_14default_configENS1_25partition_config_selectorILNS1_17partition_subalgoE0EtNS0_10empty_typeEbEEZZNS1_14partition_implILS5_0ELb0ES3_jN6thrust23THRUST_200600_302600_NS6detail15normal_iteratorINSA_10device_ptrItEEEEPS6_SG_NS0_5tupleIJSF_SF_EEENSH_IJSG_SG_EEES6_PlJ7is_evenItEEEE10hipError_tPvRmT3_T4_T5_T6_T7_T9_mT8_P12ihipStream_tbDpT10_ENKUlT_T0_E_clISt17integral_constantIbLb1EES16_EEDaS11_S12_EUlS11_E_NS1_11comp_targetILNS1_3genE2ELNS1_11target_archE906ELNS1_3gpuE6ELNS1_3repE0EEENS1_30default_config_static_selectorELNS0_4arch9wavefront6targetE1EEEvT1_
	.p2align	8
	.type	_ZN7rocprim17ROCPRIM_400000_NS6detail17trampoline_kernelINS0_14default_configENS1_25partition_config_selectorILNS1_17partition_subalgoE0EtNS0_10empty_typeEbEEZZNS1_14partition_implILS5_0ELb0ES3_jN6thrust23THRUST_200600_302600_NS6detail15normal_iteratorINSA_10device_ptrItEEEEPS6_SG_NS0_5tupleIJSF_SF_EEENSH_IJSG_SG_EEES6_PlJ7is_evenItEEEE10hipError_tPvRmT3_T4_T5_T6_T7_T9_mT8_P12ihipStream_tbDpT10_ENKUlT_T0_E_clISt17integral_constantIbLb1EES16_EEDaS11_S12_EUlS11_E_NS1_11comp_targetILNS1_3genE2ELNS1_11target_archE906ELNS1_3gpuE6ELNS1_3repE0EEENS1_30default_config_static_selectorELNS0_4arch9wavefront6targetE1EEEvT1_,@function
_ZN7rocprim17ROCPRIM_400000_NS6detail17trampoline_kernelINS0_14default_configENS1_25partition_config_selectorILNS1_17partition_subalgoE0EtNS0_10empty_typeEbEEZZNS1_14partition_implILS5_0ELb0ES3_jN6thrust23THRUST_200600_302600_NS6detail15normal_iteratorINSA_10device_ptrItEEEEPS6_SG_NS0_5tupleIJSF_SF_EEENSH_IJSG_SG_EEES6_PlJ7is_evenItEEEE10hipError_tPvRmT3_T4_T5_T6_T7_T9_mT8_P12ihipStream_tbDpT10_ENKUlT_T0_E_clISt17integral_constantIbLb1EES16_EEDaS11_S12_EUlS11_E_NS1_11comp_targetILNS1_3genE2ELNS1_11target_archE906ELNS1_3gpuE6ELNS1_3repE0EEENS1_30default_config_static_selectorELNS0_4arch9wavefront6targetE1EEEvT1_: ; @_ZN7rocprim17ROCPRIM_400000_NS6detail17trampoline_kernelINS0_14default_configENS1_25partition_config_selectorILNS1_17partition_subalgoE0EtNS0_10empty_typeEbEEZZNS1_14partition_implILS5_0ELb0ES3_jN6thrust23THRUST_200600_302600_NS6detail15normal_iteratorINSA_10device_ptrItEEEEPS6_SG_NS0_5tupleIJSF_SF_EEENSH_IJSG_SG_EEES6_PlJ7is_evenItEEEE10hipError_tPvRmT3_T4_T5_T6_T7_T9_mT8_P12ihipStream_tbDpT10_ENKUlT_T0_E_clISt17integral_constantIbLb1EES16_EEDaS11_S12_EUlS11_E_NS1_11comp_targetILNS1_3genE2ELNS1_11target_archE906ELNS1_3gpuE6ELNS1_3repE0EEENS1_30default_config_static_selectorELNS0_4arch9wavefront6targetE1EEEvT1_
; %bb.0:
	.section	.rodata,"a",@progbits
	.p2align	6, 0x0
	.amdhsa_kernel _ZN7rocprim17ROCPRIM_400000_NS6detail17trampoline_kernelINS0_14default_configENS1_25partition_config_selectorILNS1_17partition_subalgoE0EtNS0_10empty_typeEbEEZZNS1_14partition_implILS5_0ELb0ES3_jN6thrust23THRUST_200600_302600_NS6detail15normal_iteratorINSA_10device_ptrItEEEEPS6_SG_NS0_5tupleIJSF_SF_EEENSH_IJSG_SG_EEES6_PlJ7is_evenItEEEE10hipError_tPvRmT3_T4_T5_T6_T7_T9_mT8_P12ihipStream_tbDpT10_ENKUlT_T0_E_clISt17integral_constantIbLb1EES16_EEDaS11_S12_EUlS11_E_NS1_11comp_targetILNS1_3genE2ELNS1_11target_archE906ELNS1_3gpuE6ELNS1_3repE0EEENS1_30default_config_static_selectorELNS0_4arch9wavefront6targetE1EEEvT1_
		.amdhsa_group_segment_fixed_size 0
		.amdhsa_private_segment_fixed_size 0
		.amdhsa_kernarg_size 136
		.amdhsa_user_sgpr_count 6
		.amdhsa_user_sgpr_private_segment_buffer 1
		.amdhsa_user_sgpr_dispatch_ptr 0
		.amdhsa_user_sgpr_queue_ptr 0
		.amdhsa_user_sgpr_kernarg_segment_ptr 1
		.amdhsa_user_sgpr_dispatch_id 0
		.amdhsa_user_sgpr_flat_scratch_init 0
		.amdhsa_user_sgpr_kernarg_preload_length 0
		.amdhsa_user_sgpr_kernarg_preload_offset 0
		.amdhsa_user_sgpr_private_segment_size 0
		.amdhsa_uses_dynamic_stack 0
		.amdhsa_system_sgpr_private_segment_wavefront_offset 0
		.amdhsa_system_sgpr_workgroup_id_x 1
		.amdhsa_system_sgpr_workgroup_id_y 0
		.amdhsa_system_sgpr_workgroup_id_z 0
		.amdhsa_system_sgpr_workgroup_info 0
		.amdhsa_system_vgpr_workitem_id 0
		.amdhsa_next_free_vgpr 1
		.amdhsa_next_free_sgpr 0
		.amdhsa_accum_offset 4
		.amdhsa_reserve_vcc 0
		.amdhsa_reserve_flat_scratch 0
		.amdhsa_float_round_mode_32 0
		.amdhsa_float_round_mode_16_64 0
		.amdhsa_float_denorm_mode_32 3
		.amdhsa_float_denorm_mode_16_64 3
		.amdhsa_dx10_clamp 1
		.amdhsa_ieee_mode 1
		.amdhsa_fp16_overflow 0
		.amdhsa_tg_split 0
		.amdhsa_exception_fp_ieee_invalid_op 0
		.amdhsa_exception_fp_denorm_src 0
		.amdhsa_exception_fp_ieee_div_zero 0
		.amdhsa_exception_fp_ieee_overflow 0
		.amdhsa_exception_fp_ieee_underflow 0
		.amdhsa_exception_fp_ieee_inexact 0
		.amdhsa_exception_int_div_zero 0
	.end_amdhsa_kernel
	.section	.text._ZN7rocprim17ROCPRIM_400000_NS6detail17trampoline_kernelINS0_14default_configENS1_25partition_config_selectorILNS1_17partition_subalgoE0EtNS0_10empty_typeEbEEZZNS1_14partition_implILS5_0ELb0ES3_jN6thrust23THRUST_200600_302600_NS6detail15normal_iteratorINSA_10device_ptrItEEEEPS6_SG_NS0_5tupleIJSF_SF_EEENSH_IJSG_SG_EEES6_PlJ7is_evenItEEEE10hipError_tPvRmT3_T4_T5_T6_T7_T9_mT8_P12ihipStream_tbDpT10_ENKUlT_T0_E_clISt17integral_constantIbLb1EES16_EEDaS11_S12_EUlS11_E_NS1_11comp_targetILNS1_3genE2ELNS1_11target_archE906ELNS1_3gpuE6ELNS1_3repE0EEENS1_30default_config_static_selectorELNS0_4arch9wavefront6targetE1EEEvT1_,"axG",@progbits,_ZN7rocprim17ROCPRIM_400000_NS6detail17trampoline_kernelINS0_14default_configENS1_25partition_config_selectorILNS1_17partition_subalgoE0EtNS0_10empty_typeEbEEZZNS1_14partition_implILS5_0ELb0ES3_jN6thrust23THRUST_200600_302600_NS6detail15normal_iteratorINSA_10device_ptrItEEEEPS6_SG_NS0_5tupleIJSF_SF_EEENSH_IJSG_SG_EEES6_PlJ7is_evenItEEEE10hipError_tPvRmT3_T4_T5_T6_T7_T9_mT8_P12ihipStream_tbDpT10_ENKUlT_T0_E_clISt17integral_constantIbLb1EES16_EEDaS11_S12_EUlS11_E_NS1_11comp_targetILNS1_3genE2ELNS1_11target_archE906ELNS1_3gpuE6ELNS1_3repE0EEENS1_30default_config_static_selectorELNS0_4arch9wavefront6targetE1EEEvT1_,comdat
.Lfunc_end2182:
	.size	_ZN7rocprim17ROCPRIM_400000_NS6detail17trampoline_kernelINS0_14default_configENS1_25partition_config_selectorILNS1_17partition_subalgoE0EtNS0_10empty_typeEbEEZZNS1_14partition_implILS5_0ELb0ES3_jN6thrust23THRUST_200600_302600_NS6detail15normal_iteratorINSA_10device_ptrItEEEEPS6_SG_NS0_5tupleIJSF_SF_EEENSH_IJSG_SG_EEES6_PlJ7is_evenItEEEE10hipError_tPvRmT3_T4_T5_T6_T7_T9_mT8_P12ihipStream_tbDpT10_ENKUlT_T0_E_clISt17integral_constantIbLb1EES16_EEDaS11_S12_EUlS11_E_NS1_11comp_targetILNS1_3genE2ELNS1_11target_archE906ELNS1_3gpuE6ELNS1_3repE0EEENS1_30default_config_static_selectorELNS0_4arch9wavefront6targetE1EEEvT1_, .Lfunc_end2182-_ZN7rocprim17ROCPRIM_400000_NS6detail17trampoline_kernelINS0_14default_configENS1_25partition_config_selectorILNS1_17partition_subalgoE0EtNS0_10empty_typeEbEEZZNS1_14partition_implILS5_0ELb0ES3_jN6thrust23THRUST_200600_302600_NS6detail15normal_iteratorINSA_10device_ptrItEEEEPS6_SG_NS0_5tupleIJSF_SF_EEENSH_IJSG_SG_EEES6_PlJ7is_evenItEEEE10hipError_tPvRmT3_T4_T5_T6_T7_T9_mT8_P12ihipStream_tbDpT10_ENKUlT_T0_E_clISt17integral_constantIbLb1EES16_EEDaS11_S12_EUlS11_E_NS1_11comp_targetILNS1_3genE2ELNS1_11target_archE906ELNS1_3gpuE6ELNS1_3repE0EEENS1_30default_config_static_selectorELNS0_4arch9wavefront6targetE1EEEvT1_
                                        ; -- End function
	.section	.AMDGPU.csdata,"",@progbits
; Kernel info:
; codeLenInByte = 0
; NumSgprs: 4
; NumVgprs: 0
; NumAgprs: 0
; TotalNumVgprs: 0
; ScratchSize: 0
; MemoryBound: 0
; FloatMode: 240
; IeeeMode: 1
; LDSByteSize: 0 bytes/workgroup (compile time only)
; SGPRBlocks: 0
; VGPRBlocks: 0
; NumSGPRsForWavesPerEU: 4
; NumVGPRsForWavesPerEU: 1
; AccumOffset: 4
; Occupancy: 8
; WaveLimiterHint : 0
; COMPUTE_PGM_RSRC2:SCRATCH_EN: 0
; COMPUTE_PGM_RSRC2:USER_SGPR: 6
; COMPUTE_PGM_RSRC2:TRAP_HANDLER: 0
; COMPUTE_PGM_RSRC2:TGID_X_EN: 1
; COMPUTE_PGM_RSRC2:TGID_Y_EN: 0
; COMPUTE_PGM_RSRC2:TGID_Z_EN: 0
; COMPUTE_PGM_RSRC2:TIDIG_COMP_CNT: 0
; COMPUTE_PGM_RSRC3_GFX90A:ACCUM_OFFSET: 0
; COMPUTE_PGM_RSRC3_GFX90A:TG_SPLIT: 0
	.section	.text._ZN7rocprim17ROCPRIM_400000_NS6detail17trampoline_kernelINS0_14default_configENS1_25partition_config_selectorILNS1_17partition_subalgoE0EtNS0_10empty_typeEbEEZZNS1_14partition_implILS5_0ELb0ES3_jN6thrust23THRUST_200600_302600_NS6detail15normal_iteratorINSA_10device_ptrItEEEEPS6_SG_NS0_5tupleIJSF_SF_EEENSH_IJSG_SG_EEES6_PlJ7is_evenItEEEE10hipError_tPvRmT3_T4_T5_T6_T7_T9_mT8_P12ihipStream_tbDpT10_ENKUlT_T0_E_clISt17integral_constantIbLb1EES16_EEDaS11_S12_EUlS11_E_NS1_11comp_targetILNS1_3genE10ELNS1_11target_archE1200ELNS1_3gpuE4ELNS1_3repE0EEENS1_30default_config_static_selectorELNS0_4arch9wavefront6targetE1EEEvT1_,"axG",@progbits,_ZN7rocprim17ROCPRIM_400000_NS6detail17trampoline_kernelINS0_14default_configENS1_25partition_config_selectorILNS1_17partition_subalgoE0EtNS0_10empty_typeEbEEZZNS1_14partition_implILS5_0ELb0ES3_jN6thrust23THRUST_200600_302600_NS6detail15normal_iteratorINSA_10device_ptrItEEEEPS6_SG_NS0_5tupleIJSF_SF_EEENSH_IJSG_SG_EEES6_PlJ7is_evenItEEEE10hipError_tPvRmT3_T4_T5_T6_T7_T9_mT8_P12ihipStream_tbDpT10_ENKUlT_T0_E_clISt17integral_constantIbLb1EES16_EEDaS11_S12_EUlS11_E_NS1_11comp_targetILNS1_3genE10ELNS1_11target_archE1200ELNS1_3gpuE4ELNS1_3repE0EEENS1_30default_config_static_selectorELNS0_4arch9wavefront6targetE1EEEvT1_,comdat
	.protected	_ZN7rocprim17ROCPRIM_400000_NS6detail17trampoline_kernelINS0_14default_configENS1_25partition_config_selectorILNS1_17partition_subalgoE0EtNS0_10empty_typeEbEEZZNS1_14partition_implILS5_0ELb0ES3_jN6thrust23THRUST_200600_302600_NS6detail15normal_iteratorINSA_10device_ptrItEEEEPS6_SG_NS0_5tupleIJSF_SF_EEENSH_IJSG_SG_EEES6_PlJ7is_evenItEEEE10hipError_tPvRmT3_T4_T5_T6_T7_T9_mT8_P12ihipStream_tbDpT10_ENKUlT_T0_E_clISt17integral_constantIbLb1EES16_EEDaS11_S12_EUlS11_E_NS1_11comp_targetILNS1_3genE10ELNS1_11target_archE1200ELNS1_3gpuE4ELNS1_3repE0EEENS1_30default_config_static_selectorELNS0_4arch9wavefront6targetE1EEEvT1_ ; -- Begin function _ZN7rocprim17ROCPRIM_400000_NS6detail17trampoline_kernelINS0_14default_configENS1_25partition_config_selectorILNS1_17partition_subalgoE0EtNS0_10empty_typeEbEEZZNS1_14partition_implILS5_0ELb0ES3_jN6thrust23THRUST_200600_302600_NS6detail15normal_iteratorINSA_10device_ptrItEEEEPS6_SG_NS0_5tupleIJSF_SF_EEENSH_IJSG_SG_EEES6_PlJ7is_evenItEEEE10hipError_tPvRmT3_T4_T5_T6_T7_T9_mT8_P12ihipStream_tbDpT10_ENKUlT_T0_E_clISt17integral_constantIbLb1EES16_EEDaS11_S12_EUlS11_E_NS1_11comp_targetILNS1_3genE10ELNS1_11target_archE1200ELNS1_3gpuE4ELNS1_3repE0EEENS1_30default_config_static_selectorELNS0_4arch9wavefront6targetE1EEEvT1_
	.globl	_ZN7rocprim17ROCPRIM_400000_NS6detail17trampoline_kernelINS0_14default_configENS1_25partition_config_selectorILNS1_17partition_subalgoE0EtNS0_10empty_typeEbEEZZNS1_14partition_implILS5_0ELb0ES3_jN6thrust23THRUST_200600_302600_NS6detail15normal_iteratorINSA_10device_ptrItEEEEPS6_SG_NS0_5tupleIJSF_SF_EEENSH_IJSG_SG_EEES6_PlJ7is_evenItEEEE10hipError_tPvRmT3_T4_T5_T6_T7_T9_mT8_P12ihipStream_tbDpT10_ENKUlT_T0_E_clISt17integral_constantIbLb1EES16_EEDaS11_S12_EUlS11_E_NS1_11comp_targetILNS1_3genE10ELNS1_11target_archE1200ELNS1_3gpuE4ELNS1_3repE0EEENS1_30default_config_static_selectorELNS0_4arch9wavefront6targetE1EEEvT1_
	.p2align	8
	.type	_ZN7rocprim17ROCPRIM_400000_NS6detail17trampoline_kernelINS0_14default_configENS1_25partition_config_selectorILNS1_17partition_subalgoE0EtNS0_10empty_typeEbEEZZNS1_14partition_implILS5_0ELb0ES3_jN6thrust23THRUST_200600_302600_NS6detail15normal_iteratorINSA_10device_ptrItEEEEPS6_SG_NS0_5tupleIJSF_SF_EEENSH_IJSG_SG_EEES6_PlJ7is_evenItEEEE10hipError_tPvRmT3_T4_T5_T6_T7_T9_mT8_P12ihipStream_tbDpT10_ENKUlT_T0_E_clISt17integral_constantIbLb1EES16_EEDaS11_S12_EUlS11_E_NS1_11comp_targetILNS1_3genE10ELNS1_11target_archE1200ELNS1_3gpuE4ELNS1_3repE0EEENS1_30default_config_static_selectorELNS0_4arch9wavefront6targetE1EEEvT1_,@function
_ZN7rocprim17ROCPRIM_400000_NS6detail17trampoline_kernelINS0_14default_configENS1_25partition_config_selectorILNS1_17partition_subalgoE0EtNS0_10empty_typeEbEEZZNS1_14partition_implILS5_0ELb0ES3_jN6thrust23THRUST_200600_302600_NS6detail15normal_iteratorINSA_10device_ptrItEEEEPS6_SG_NS0_5tupleIJSF_SF_EEENSH_IJSG_SG_EEES6_PlJ7is_evenItEEEE10hipError_tPvRmT3_T4_T5_T6_T7_T9_mT8_P12ihipStream_tbDpT10_ENKUlT_T0_E_clISt17integral_constantIbLb1EES16_EEDaS11_S12_EUlS11_E_NS1_11comp_targetILNS1_3genE10ELNS1_11target_archE1200ELNS1_3gpuE4ELNS1_3repE0EEENS1_30default_config_static_selectorELNS0_4arch9wavefront6targetE1EEEvT1_: ; @_ZN7rocprim17ROCPRIM_400000_NS6detail17trampoline_kernelINS0_14default_configENS1_25partition_config_selectorILNS1_17partition_subalgoE0EtNS0_10empty_typeEbEEZZNS1_14partition_implILS5_0ELb0ES3_jN6thrust23THRUST_200600_302600_NS6detail15normal_iteratorINSA_10device_ptrItEEEEPS6_SG_NS0_5tupleIJSF_SF_EEENSH_IJSG_SG_EEES6_PlJ7is_evenItEEEE10hipError_tPvRmT3_T4_T5_T6_T7_T9_mT8_P12ihipStream_tbDpT10_ENKUlT_T0_E_clISt17integral_constantIbLb1EES16_EEDaS11_S12_EUlS11_E_NS1_11comp_targetILNS1_3genE10ELNS1_11target_archE1200ELNS1_3gpuE4ELNS1_3repE0EEENS1_30default_config_static_selectorELNS0_4arch9wavefront6targetE1EEEvT1_
; %bb.0:
	.section	.rodata,"a",@progbits
	.p2align	6, 0x0
	.amdhsa_kernel _ZN7rocprim17ROCPRIM_400000_NS6detail17trampoline_kernelINS0_14default_configENS1_25partition_config_selectorILNS1_17partition_subalgoE0EtNS0_10empty_typeEbEEZZNS1_14partition_implILS5_0ELb0ES3_jN6thrust23THRUST_200600_302600_NS6detail15normal_iteratorINSA_10device_ptrItEEEEPS6_SG_NS0_5tupleIJSF_SF_EEENSH_IJSG_SG_EEES6_PlJ7is_evenItEEEE10hipError_tPvRmT3_T4_T5_T6_T7_T9_mT8_P12ihipStream_tbDpT10_ENKUlT_T0_E_clISt17integral_constantIbLb1EES16_EEDaS11_S12_EUlS11_E_NS1_11comp_targetILNS1_3genE10ELNS1_11target_archE1200ELNS1_3gpuE4ELNS1_3repE0EEENS1_30default_config_static_selectorELNS0_4arch9wavefront6targetE1EEEvT1_
		.amdhsa_group_segment_fixed_size 0
		.amdhsa_private_segment_fixed_size 0
		.amdhsa_kernarg_size 136
		.amdhsa_user_sgpr_count 6
		.amdhsa_user_sgpr_private_segment_buffer 1
		.amdhsa_user_sgpr_dispatch_ptr 0
		.amdhsa_user_sgpr_queue_ptr 0
		.amdhsa_user_sgpr_kernarg_segment_ptr 1
		.amdhsa_user_sgpr_dispatch_id 0
		.amdhsa_user_sgpr_flat_scratch_init 0
		.amdhsa_user_sgpr_kernarg_preload_length 0
		.amdhsa_user_sgpr_kernarg_preload_offset 0
		.amdhsa_user_sgpr_private_segment_size 0
		.amdhsa_uses_dynamic_stack 0
		.amdhsa_system_sgpr_private_segment_wavefront_offset 0
		.amdhsa_system_sgpr_workgroup_id_x 1
		.amdhsa_system_sgpr_workgroup_id_y 0
		.amdhsa_system_sgpr_workgroup_id_z 0
		.amdhsa_system_sgpr_workgroup_info 0
		.amdhsa_system_vgpr_workitem_id 0
		.amdhsa_next_free_vgpr 1
		.amdhsa_next_free_sgpr 0
		.amdhsa_accum_offset 4
		.amdhsa_reserve_vcc 0
		.amdhsa_reserve_flat_scratch 0
		.amdhsa_float_round_mode_32 0
		.amdhsa_float_round_mode_16_64 0
		.amdhsa_float_denorm_mode_32 3
		.amdhsa_float_denorm_mode_16_64 3
		.amdhsa_dx10_clamp 1
		.amdhsa_ieee_mode 1
		.amdhsa_fp16_overflow 0
		.amdhsa_tg_split 0
		.amdhsa_exception_fp_ieee_invalid_op 0
		.amdhsa_exception_fp_denorm_src 0
		.amdhsa_exception_fp_ieee_div_zero 0
		.amdhsa_exception_fp_ieee_overflow 0
		.amdhsa_exception_fp_ieee_underflow 0
		.amdhsa_exception_fp_ieee_inexact 0
		.amdhsa_exception_int_div_zero 0
	.end_amdhsa_kernel
	.section	.text._ZN7rocprim17ROCPRIM_400000_NS6detail17trampoline_kernelINS0_14default_configENS1_25partition_config_selectorILNS1_17partition_subalgoE0EtNS0_10empty_typeEbEEZZNS1_14partition_implILS5_0ELb0ES3_jN6thrust23THRUST_200600_302600_NS6detail15normal_iteratorINSA_10device_ptrItEEEEPS6_SG_NS0_5tupleIJSF_SF_EEENSH_IJSG_SG_EEES6_PlJ7is_evenItEEEE10hipError_tPvRmT3_T4_T5_T6_T7_T9_mT8_P12ihipStream_tbDpT10_ENKUlT_T0_E_clISt17integral_constantIbLb1EES16_EEDaS11_S12_EUlS11_E_NS1_11comp_targetILNS1_3genE10ELNS1_11target_archE1200ELNS1_3gpuE4ELNS1_3repE0EEENS1_30default_config_static_selectorELNS0_4arch9wavefront6targetE1EEEvT1_,"axG",@progbits,_ZN7rocprim17ROCPRIM_400000_NS6detail17trampoline_kernelINS0_14default_configENS1_25partition_config_selectorILNS1_17partition_subalgoE0EtNS0_10empty_typeEbEEZZNS1_14partition_implILS5_0ELb0ES3_jN6thrust23THRUST_200600_302600_NS6detail15normal_iteratorINSA_10device_ptrItEEEEPS6_SG_NS0_5tupleIJSF_SF_EEENSH_IJSG_SG_EEES6_PlJ7is_evenItEEEE10hipError_tPvRmT3_T4_T5_T6_T7_T9_mT8_P12ihipStream_tbDpT10_ENKUlT_T0_E_clISt17integral_constantIbLb1EES16_EEDaS11_S12_EUlS11_E_NS1_11comp_targetILNS1_3genE10ELNS1_11target_archE1200ELNS1_3gpuE4ELNS1_3repE0EEENS1_30default_config_static_selectorELNS0_4arch9wavefront6targetE1EEEvT1_,comdat
.Lfunc_end2183:
	.size	_ZN7rocprim17ROCPRIM_400000_NS6detail17trampoline_kernelINS0_14default_configENS1_25partition_config_selectorILNS1_17partition_subalgoE0EtNS0_10empty_typeEbEEZZNS1_14partition_implILS5_0ELb0ES3_jN6thrust23THRUST_200600_302600_NS6detail15normal_iteratorINSA_10device_ptrItEEEEPS6_SG_NS0_5tupleIJSF_SF_EEENSH_IJSG_SG_EEES6_PlJ7is_evenItEEEE10hipError_tPvRmT3_T4_T5_T6_T7_T9_mT8_P12ihipStream_tbDpT10_ENKUlT_T0_E_clISt17integral_constantIbLb1EES16_EEDaS11_S12_EUlS11_E_NS1_11comp_targetILNS1_3genE10ELNS1_11target_archE1200ELNS1_3gpuE4ELNS1_3repE0EEENS1_30default_config_static_selectorELNS0_4arch9wavefront6targetE1EEEvT1_, .Lfunc_end2183-_ZN7rocprim17ROCPRIM_400000_NS6detail17trampoline_kernelINS0_14default_configENS1_25partition_config_selectorILNS1_17partition_subalgoE0EtNS0_10empty_typeEbEEZZNS1_14partition_implILS5_0ELb0ES3_jN6thrust23THRUST_200600_302600_NS6detail15normal_iteratorINSA_10device_ptrItEEEEPS6_SG_NS0_5tupleIJSF_SF_EEENSH_IJSG_SG_EEES6_PlJ7is_evenItEEEE10hipError_tPvRmT3_T4_T5_T6_T7_T9_mT8_P12ihipStream_tbDpT10_ENKUlT_T0_E_clISt17integral_constantIbLb1EES16_EEDaS11_S12_EUlS11_E_NS1_11comp_targetILNS1_3genE10ELNS1_11target_archE1200ELNS1_3gpuE4ELNS1_3repE0EEENS1_30default_config_static_selectorELNS0_4arch9wavefront6targetE1EEEvT1_
                                        ; -- End function
	.section	.AMDGPU.csdata,"",@progbits
; Kernel info:
; codeLenInByte = 0
; NumSgprs: 4
; NumVgprs: 0
; NumAgprs: 0
; TotalNumVgprs: 0
; ScratchSize: 0
; MemoryBound: 0
; FloatMode: 240
; IeeeMode: 1
; LDSByteSize: 0 bytes/workgroup (compile time only)
; SGPRBlocks: 0
; VGPRBlocks: 0
; NumSGPRsForWavesPerEU: 4
; NumVGPRsForWavesPerEU: 1
; AccumOffset: 4
; Occupancy: 8
; WaveLimiterHint : 0
; COMPUTE_PGM_RSRC2:SCRATCH_EN: 0
; COMPUTE_PGM_RSRC2:USER_SGPR: 6
; COMPUTE_PGM_RSRC2:TRAP_HANDLER: 0
; COMPUTE_PGM_RSRC2:TGID_X_EN: 1
; COMPUTE_PGM_RSRC2:TGID_Y_EN: 0
; COMPUTE_PGM_RSRC2:TGID_Z_EN: 0
; COMPUTE_PGM_RSRC2:TIDIG_COMP_CNT: 0
; COMPUTE_PGM_RSRC3_GFX90A:ACCUM_OFFSET: 0
; COMPUTE_PGM_RSRC3_GFX90A:TG_SPLIT: 0
	.section	.text._ZN7rocprim17ROCPRIM_400000_NS6detail17trampoline_kernelINS0_14default_configENS1_25partition_config_selectorILNS1_17partition_subalgoE0EtNS0_10empty_typeEbEEZZNS1_14partition_implILS5_0ELb0ES3_jN6thrust23THRUST_200600_302600_NS6detail15normal_iteratorINSA_10device_ptrItEEEEPS6_SG_NS0_5tupleIJSF_SF_EEENSH_IJSG_SG_EEES6_PlJ7is_evenItEEEE10hipError_tPvRmT3_T4_T5_T6_T7_T9_mT8_P12ihipStream_tbDpT10_ENKUlT_T0_E_clISt17integral_constantIbLb1EES16_EEDaS11_S12_EUlS11_E_NS1_11comp_targetILNS1_3genE9ELNS1_11target_archE1100ELNS1_3gpuE3ELNS1_3repE0EEENS1_30default_config_static_selectorELNS0_4arch9wavefront6targetE1EEEvT1_,"axG",@progbits,_ZN7rocprim17ROCPRIM_400000_NS6detail17trampoline_kernelINS0_14default_configENS1_25partition_config_selectorILNS1_17partition_subalgoE0EtNS0_10empty_typeEbEEZZNS1_14partition_implILS5_0ELb0ES3_jN6thrust23THRUST_200600_302600_NS6detail15normal_iteratorINSA_10device_ptrItEEEEPS6_SG_NS0_5tupleIJSF_SF_EEENSH_IJSG_SG_EEES6_PlJ7is_evenItEEEE10hipError_tPvRmT3_T4_T5_T6_T7_T9_mT8_P12ihipStream_tbDpT10_ENKUlT_T0_E_clISt17integral_constantIbLb1EES16_EEDaS11_S12_EUlS11_E_NS1_11comp_targetILNS1_3genE9ELNS1_11target_archE1100ELNS1_3gpuE3ELNS1_3repE0EEENS1_30default_config_static_selectorELNS0_4arch9wavefront6targetE1EEEvT1_,comdat
	.protected	_ZN7rocprim17ROCPRIM_400000_NS6detail17trampoline_kernelINS0_14default_configENS1_25partition_config_selectorILNS1_17partition_subalgoE0EtNS0_10empty_typeEbEEZZNS1_14partition_implILS5_0ELb0ES3_jN6thrust23THRUST_200600_302600_NS6detail15normal_iteratorINSA_10device_ptrItEEEEPS6_SG_NS0_5tupleIJSF_SF_EEENSH_IJSG_SG_EEES6_PlJ7is_evenItEEEE10hipError_tPvRmT3_T4_T5_T6_T7_T9_mT8_P12ihipStream_tbDpT10_ENKUlT_T0_E_clISt17integral_constantIbLb1EES16_EEDaS11_S12_EUlS11_E_NS1_11comp_targetILNS1_3genE9ELNS1_11target_archE1100ELNS1_3gpuE3ELNS1_3repE0EEENS1_30default_config_static_selectorELNS0_4arch9wavefront6targetE1EEEvT1_ ; -- Begin function _ZN7rocprim17ROCPRIM_400000_NS6detail17trampoline_kernelINS0_14default_configENS1_25partition_config_selectorILNS1_17partition_subalgoE0EtNS0_10empty_typeEbEEZZNS1_14partition_implILS5_0ELb0ES3_jN6thrust23THRUST_200600_302600_NS6detail15normal_iteratorINSA_10device_ptrItEEEEPS6_SG_NS0_5tupleIJSF_SF_EEENSH_IJSG_SG_EEES6_PlJ7is_evenItEEEE10hipError_tPvRmT3_T4_T5_T6_T7_T9_mT8_P12ihipStream_tbDpT10_ENKUlT_T0_E_clISt17integral_constantIbLb1EES16_EEDaS11_S12_EUlS11_E_NS1_11comp_targetILNS1_3genE9ELNS1_11target_archE1100ELNS1_3gpuE3ELNS1_3repE0EEENS1_30default_config_static_selectorELNS0_4arch9wavefront6targetE1EEEvT1_
	.globl	_ZN7rocprim17ROCPRIM_400000_NS6detail17trampoline_kernelINS0_14default_configENS1_25partition_config_selectorILNS1_17partition_subalgoE0EtNS0_10empty_typeEbEEZZNS1_14partition_implILS5_0ELb0ES3_jN6thrust23THRUST_200600_302600_NS6detail15normal_iteratorINSA_10device_ptrItEEEEPS6_SG_NS0_5tupleIJSF_SF_EEENSH_IJSG_SG_EEES6_PlJ7is_evenItEEEE10hipError_tPvRmT3_T4_T5_T6_T7_T9_mT8_P12ihipStream_tbDpT10_ENKUlT_T0_E_clISt17integral_constantIbLb1EES16_EEDaS11_S12_EUlS11_E_NS1_11comp_targetILNS1_3genE9ELNS1_11target_archE1100ELNS1_3gpuE3ELNS1_3repE0EEENS1_30default_config_static_selectorELNS0_4arch9wavefront6targetE1EEEvT1_
	.p2align	8
	.type	_ZN7rocprim17ROCPRIM_400000_NS6detail17trampoline_kernelINS0_14default_configENS1_25partition_config_selectorILNS1_17partition_subalgoE0EtNS0_10empty_typeEbEEZZNS1_14partition_implILS5_0ELb0ES3_jN6thrust23THRUST_200600_302600_NS6detail15normal_iteratorINSA_10device_ptrItEEEEPS6_SG_NS0_5tupleIJSF_SF_EEENSH_IJSG_SG_EEES6_PlJ7is_evenItEEEE10hipError_tPvRmT3_T4_T5_T6_T7_T9_mT8_P12ihipStream_tbDpT10_ENKUlT_T0_E_clISt17integral_constantIbLb1EES16_EEDaS11_S12_EUlS11_E_NS1_11comp_targetILNS1_3genE9ELNS1_11target_archE1100ELNS1_3gpuE3ELNS1_3repE0EEENS1_30default_config_static_selectorELNS0_4arch9wavefront6targetE1EEEvT1_,@function
_ZN7rocprim17ROCPRIM_400000_NS6detail17trampoline_kernelINS0_14default_configENS1_25partition_config_selectorILNS1_17partition_subalgoE0EtNS0_10empty_typeEbEEZZNS1_14partition_implILS5_0ELb0ES3_jN6thrust23THRUST_200600_302600_NS6detail15normal_iteratorINSA_10device_ptrItEEEEPS6_SG_NS0_5tupleIJSF_SF_EEENSH_IJSG_SG_EEES6_PlJ7is_evenItEEEE10hipError_tPvRmT3_T4_T5_T6_T7_T9_mT8_P12ihipStream_tbDpT10_ENKUlT_T0_E_clISt17integral_constantIbLb1EES16_EEDaS11_S12_EUlS11_E_NS1_11comp_targetILNS1_3genE9ELNS1_11target_archE1100ELNS1_3gpuE3ELNS1_3repE0EEENS1_30default_config_static_selectorELNS0_4arch9wavefront6targetE1EEEvT1_: ; @_ZN7rocprim17ROCPRIM_400000_NS6detail17trampoline_kernelINS0_14default_configENS1_25partition_config_selectorILNS1_17partition_subalgoE0EtNS0_10empty_typeEbEEZZNS1_14partition_implILS5_0ELb0ES3_jN6thrust23THRUST_200600_302600_NS6detail15normal_iteratorINSA_10device_ptrItEEEEPS6_SG_NS0_5tupleIJSF_SF_EEENSH_IJSG_SG_EEES6_PlJ7is_evenItEEEE10hipError_tPvRmT3_T4_T5_T6_T7_T9_mT8_P12ihipStream_tbDpT10_ENKUlT_T0_E_clISt17integral_constantIbLb1EES16_EEDaS11_S12_EUlS11_E_NS1_11comp_targetILNS1_3genE9ELNS1_11target_archE1100ELNS1_3gpuE3ELNS1_3repE0EEENS1_30default_config_static_selectorELNS0_4arch9wavefront6targetE1EEEvT1_
; %bb.0:
	.section	.rodata,"a",@progbits
	.p2align	6, 0x0
	.amdhsa_kernel _ZN7rocprim17ROCPRIM_400000_NS6detail17trampoline_kernelINS0_14default_configENS1_25partition_config_selectorILNS1_17partition_subalgoE0EtNS0_10empty_typeEbEEZZNS1_14partition_implILS5_0ELb0ES3_jN6thrust23THRUST_200600_302600_NS6detail15normal_iteratorINSA_10device_ptrItEEEEPS6_SG_NS0_5tupleIJSF_SF_EEENSH_IJSG_SG_EEES6_PlJ7is_evenItEEEE10hipError_tPvRmT3_T4_T5_T6_T7_T9_mT8_P12ihipStream_tbDpT10_ENKUlT_T0_E_clISt17integral_constantIbLb1EES16_EEDaS11_S12_EUlS11_E_NS1_11comp_targetILNS1_3genE9ELNS1_11target_archE1100ELNS1_3gpuE3ELNS1_3repE0EEENS1_30default_config_static_selectorELNS0_4arch9wavefront6targetE1EEEvT1_
		.amdhsa_group_segment_fixed_size 0
		.amdhsa_private_segment_fixed_size 0
		.amdhsa_kernarg_size 136
		.amdhsa_user_sgpr_count 6
		.amdhsa_user_sgpr_private_segment_buffer 1
		.amdhsa_user_sgpr_dispatch_ptr 0
		.amdhsa_user_sgpr_queue_ptr 0
		.amdhsa_user_sgpr_kernarg_segment_ptr 1
		.amdhsa_user_sgpr_dispatch_id 0
		.amdhsa_user_sgpr_flat_scratch_init 0
		.amdhsa_user_sgpr_kernarg_preload_length 0
		.amdhsa_user_sgpr_kernarg_preload_offset 0
		.amdhsa_user_sgpr_private_segment_size 0
		.amdhsa_uses_dynamic_stack 0
		.amdhsa_system_sgpr_private_segment_wavefront_offset 0
		.amdhsa_system_sgpr_workgroup_id_x 1
		.amdhsa_system_sgpr_workgroup_id_y 0
		.amdhsa_system_sgpr_workgroup_id_z 0
		.amdhsa_system_sgpr_workgroup_info 0
		.amdhsa_system_vgpr_workitem_id 0
		.amdhsa_next_free_vgpr 1
		.amdhsa_next_free_sgpr 0
		.amdhsa_accum_offset 4
		.amdhsa_reserve_vcc 0
		.amdhsa_reserve_flat_scratch 0
		.amdhsa_float_round_mode_32 0
		.amdhsa_float_round_mode_16_64 0
		.amdhsa_float_denorm_mode_32 3
		.amdhsa_float_denorm_mode_16_64 3
		.amdhsa_dx10_clamp 1
		.amdhsa_ieee_mode 1
		.amdhsa_fp16_overflow 0
		.amdhsa_tg_split 0
		.amdhsa_exception_fp_ieee_invalid_op 0
		.amdhsa_exception_fp_denorm_src 0
		.amdhsa_exception_fp_ieee_div_zero 0
		.amdhsa_exception_fp_ieee_overflow 0
		.amdhsa_exception_fp_ieee_underflow 0
		.amdhsa_exception_fp_ieee_inexact 0
		.amdhsa_exception_int_div_zero 0
	.end_amdhsa_kernel
	.section	.text._ZN7rocprim17ROCPRIM_400000_NS6detail17trampoline_kernelINS0_14default_configENS1_25partition_config_selectorILNS1_17partition_subalgoE0EtNS0_10empty_typeEbEEZZNS1_14partition_implILS5_0ELb0ES3_jN6thrust23THRUST_200600_302600_NS6detail15normal_iteratorINSA_10device_ptrItEEEEPS6_SG_NS0_5tupleIJSF_SF_EEENSH_IJSG_SG_EEES6_PlJ7is_evenItEEEE10hipError_tPvRmT3_T4_T5_T6_T7_T9_mT8_P12ihipStream_tbDpT10_ENKUlT_T0_E_clISt17integral_constantIbLb1EES16_EEDaS11_S12_EUlS11_E_NS1_11comp_targetILNS1_3genE9ELNS1_11target_archE1100ELNS1_3gpuE3ELNS1_3repE0EEENS1_30default_config_static_selectorELNS0_4arch9wavefront6targetE1EEEvT1_,"axG",@progbits,_ZN7rocprim17ROCPRIM_400000_NS6detail17trampoline_kernelINS0_14default_configENS1_25partition_config_selectorILNS1_17partition_subalgoE0EtNS0_10empty_typeEbEEZZNS1_14partition_implILS5_0ELb0ES3_jN6thrust23THRUST_200600_302600_NS6detail15normal_iteratorINSA_10device_ptrItEEEEPS6_SG_NS0_5tupleIJSF_SF_EEENSH_IJSG_SG_EEES6_PlJ7is_evenItEEEE10hipError_tPvRmT3_T4_T5_T6_T7_T9_mT8_P12ihipStream_tbDpT10_ENKUlT_T0_E_clISt17integral_constantIbLb1EES16_EEDaS11_S12_EUlS11_E_NS1_11comp_targetILNS1_3genE9ELNS1_11target_archE1100ELNS1_3gpuE3ELNS1_3repE0EEENS1_30default_config_static_selectorELNS0_4arch9wavefront6targetE1EEEvT1_,comdat
.Lfunc_end2184:
	.size	_ZN7rocprim17ROCPRIM_400000_NS6detail17trampoline_kernelINS0_14default_configENS1_25partition_config_selectorILNS1_17partition_subalgoE0EtNS0_10empty_typeEbEEZZNS1_14partition_implILS5_0ELb0ES3_jN6thrust23THRUST_200600_302600_NS6detail15normal_iteratorINSA_10device_ptrItEEEEPS6_SG_NS0_5tupleIJSF_SF_EEENSH_IJSG_SG_EEES6_PlJ7is_evenItEEEE10hipError_tPvRmT3_T4_T5_T6_T7_T9_mT8_P12ihipStream_tbDpT10_ENKUlT_T0_E_clISt17integral_constantIbLb1EES16_EEDaS11_S12_EUlS11_E_NS1_11comp_targetILNS1_3genE9ELNS1_11target_archE1100ELNS1_3gpuE3ELNS1_3repE0EEENS1_30default_config_static_selectorELNS0_4arch9wavefront6targetE1EEEvT1_, .Lfunc_end2184-_ZN7rocprim17ROCPRIM_400000_NS6detail17trampoline_kernelINS0_14default_configENS1_25partition_config_selectorILNS1_17partition_subalgoE0EtNS0_10empty_typeEbEEZZNS1_14partition_implILS5_0ELb0ES3_jN6thrust23THRUST_200600_302600_NS6detail15normal_iteratorINSA_10device_ptrItEEEEPS6_SG_NS0_5tupleIJSF_SF_EEENSH_IJSG_SG_EEES6_PlJ7is_evenItEEEE10hipError_tPvRmT3_T4_T5_T6_T7_T9_mT8_P12ihipStream_tbDpT10_ENKUlT_T0_E_clISt17integral_constantIbLb1EES16_EEDaS11_S12_EUlS11_E_NS1_11comp_targetILNS1_3genE9ELNS1_11target_archE1100ELNS1_3gpuE3ELNS1_3repE0EEENS1_30default_config_static_selectorELNS0_4arch9wavefront6targetE1EEEvT1_
                                        ; -- End function
	.section	.AMDGPU.csdata,"",@progbits
; Kernel info:
; codeLenInByte = 0
; NumSgprs: 4
; NumVgprs: 0
; NumAgprs: 0
; TotalNumVgprs: 0
; ScratchSize: 0
; MemoryBound: 0
; FloatMode: 240
; IeeeMode: 1
; LDSByteSize: 0 bytes/workgroup (compile time only)
; SGPRBlocks: 0
; VGPRBlocks: 0
; NumSGPRsForWavesPerEU: 4
; NumVGPRsForWavesPerEU: 1
; AccumOffset: 4
; Occupancy: 8
; WaveLimiterHint : 0
; COMPUTE_PGM_RSRC2:SCRATCH_EN: 0
; COMPUTE_PGM_RSRC2:USER_SGPR: 6
; COMPUTE_PGM_RSRC2:TRAP_HANDLER: 0
; COMPUTE_PGM_RSRC2:TGID_X_EN: 1
; COMPUTE_PGM_RSRC2:TGID_Y_EN: 0
; COMPUTE_PGM_RSRC2:TGID_Z_EN: 0
; COMPUTE_PGM_RSRC2:TIDIG_COMP_CNT: 0
; COMPUTE_PGM_RSRC3_GFX90A:ACCUM_OFFSET: 0
; COMPUTE_PGM_RSRC3_GFX90A:TG_SPLIT: 0
	.section	.text._ZN7rocprim17ROCPRIM_400000_NS6detail17trampoline_kernelINS0_14default_configENS1_25partition_config_selectorILNS1_17partition_subalgoE0EtNS0_10empty_typeEbEEZZNS1_14partition_implILS5_0ELb0ES3_jN6thrust23THRUST_200600_302600_NS6detail15normal_iteratorINSA_10device_ptrItEEEEPS6_SG_NS0_5tupleIJSF_SF_EEENSH_IJSG_SG_EEES6_PlJ7is_evenItEEEE10hipError_tPvRmT3_T4_T5_T6_T7_T9_mT8_P12ihipStream_tbDpT10_ENKUlT_T0_E_clISt17integral_constantIbLb1EES16_EEDaS11_S12_EUlS11_E_NS1_11comp_targetILNS1_3genE8ELNS1_11target_archE1030ELNS1_3gpuE2ELNS1_3repE0EEENS1_30default_config_static_selectorELNS0_4arch9wavefront6targetE1EEEvT1_,"axG",@progbits,_ZN7rocprim17ROCPRIM_400000_NS6detail17trampoline_kernelINS0_14default_configENS1_25partition_config_selectorILNS1_17partition_subalgoE0EtNS0_10empty_typeEbEEZZNS1_14partition_implILS5_0ELb0ES3_jN6thrust23THRUST_200600_302600_NS6detail15normal_iteratorINSA_10device_ptrItEEEEPS6_SG_NS0_5tupleIJSF_SF_EEENSH_IJSG_SG_EEES6_PlJ7is_evenItEEEE10hipError_tPvRmT3_T4_T5_T6_T7_T9_mT8_P12ihipStream_tbDpT10_ENKUlT_T0_E_clISt17integral_constantIbLb1EES16_EEDaS11_S12_EUlS11_E_NS1_11comp_targetILNS1_3genE8ELNS1_11target_archE1030ELNS1_3gpuE2ELNS1_3repE0EEENS1_30default_config_static_selectorELNS0_4arch9wavefront6targetE1EEEvT1_,comdat
	.protected	_ZN7rocprim17ROCPRIM_400000_NS6detail17trampoline_kernelINS0_14default_configENS1_25partition_config_selectorILNS1_17partition_subalgoE0EtNS0_10empty_typeEbEEZZNS1_14partition_implILS5_0ELb0ES3_jN6thrust23THRUST_200600_302600_NS6detail15normal_iteratorINSA_10device_ptrItEEEEPS6_SG_NS0_5tupleIJSF_SF_EEENSH_IJSG_SG_EEES6_PlJ7is_evenItEEEE10hipError_tPvRmT3_T4_T5_T6_T7_T9_mT8_P12ihipStream_tbDpT10_ENKUlT_T0_E_clISt17integral_constantIbLb1EES16_EEDaS11_S12_EUlS11_E_NS1_11comp_targetILNS1_3genE8ELNS1_11target_archE1030ELNS1_3gpuE2ELNS1_3repE0EEENS1_30default_config_static_selectorELNS0_4arch9wavefront6targetE1EEEvT1_ ; -- Begin function _ZN7rocprim17ROCPRIM_400000_NS6detail17trampoline_kernelINS0_14default_configENS1_25partition_config_selectorILNS1_17partition_subalgoE0EtNS0_10empty_typeEbEEZZNS1_14partition_implILS5_0ELb0ES3_jN6thrust23THRUST_200600_302600_NS6detail15normal_iteratorINSA_10device_ptrItEEEEPS6_SG_NS0_5tupleIJSF_SF_EEENSH_IJSG_SG_EEES6_PlJ7is_evenItEEEE10hipError_tPvRmT3_T4_T5_T6_T7_T9_mT8_P12ihipStream_tbDpT10_ENKUlT_T0_E_clISt17integral_constantIbLb1EES16_EEDaS11_S12_EUlS11_E_NS1_11comp_targetILNS1_3genE8ELNS1_11target_archE1030ELNS1_3gpuE2ELNS1_3repE0EEENS1_30default_config_static_selectorELNS0_4arch9wavefront6targetE1EEEvT1_
	.globl	_ZN7rocprim17ROCPRIM_400000_NS6detail17trampoline_kernelINS0_14default_configENS1_25partition_config_selectorILNS1_17partition_subalgoE0EtNS0_10empty_typeEbEEZZNS1_14partition_implILS5_0ELb0ES3_jN6thrust23THRUST_200600_302600_NS6detail15normal_iteratorINSA_10device_ptrItEEEEPS6_SG_NS0_5tupleIJSF_SF_EEENSH_IJSG_SG_EEES6_PlJ7is_evenItEEEE10hipError_tPvRmT3_T4_T5_T6_T7_T9_mT8_P12ihipStream_tbDpT10_ENKUlT_T0_E_clISt17integral_constantIbLb1EES16_EEDaS11_S12_EUlS11_E_NS1_11comp_targetILNS1_3genE8ELNS1_11target_archE1030ELNS1_3gpuE2ELNS1_3repE0EEENS1_30default_config_static_selectorELNS0_4arch9wavefront6targetE1EEEvT1_
	.p2align	8
	.type	_ZN7rocprim17ROCPRIM_400000_NS6detail17trampoline_kernelINS0_14default_configENS1_25partition_config_selectorILNS1_17partition_subalgoE0EtNS0_10empty_typeEbEEZZNS1_14partition_implILS5_0ELb0ES3_jN6thrust23THRUST_200600_302600_NS6detail15normal_iteratorINSA_10device_ptrItEEEEPS6_SG_NS0_5tupleIJSF_SF_EEENSH_IJSG_SG_EEES6_PlJ7is_evenItEEEE10hipError_tPvRmT3_T4_T5_T6_T7_T9_mT8_P12ihipStream_tbDpT10_ENKUlT_T0_E_clISt17integral_constantIbLb1EES16_EEDaS11_S12_EUlS11_E_NS1_11comp_targetILNS1_3genE8ELNS1_11target_archE1030ELNS1_3gpuE2ELNS1_3repE0EEENS1_30default_config_static_selectorELNS0_4arch9wavefront6targetE1EEEvT1_,@function
_ZN7rocprim17ROCPRIM_400000_NS6detail17trampoline_kernelINS0_14default_configENS1_25partition_config_selectorILNS1_17partition_subalgoE0EtNS0_10empty_typeEbEEZZNS1_14partition_implILS5_0ELb0ES3_jN6thrust23THRUST_200600_302600_NS6detail15normal_iteratorINSA_10device_ptrItEEEEPS6_SG_NS0_5tupleIJSF_SF_EEENSH_IJSG_SG_EEES6_PlJ7is_evenItEEEE10hipError_tPvRmT3_T4_T5_T6_T7_T9_mT8_P12ihipStream_tbDpT10_ENKUlT_T0_E_clISt17integral_constantIbLb1EES16_EEDaS11_S12_EUlS11_E_NS1_11comp_targetILNS1_3genE8ELNS1_11target_archE1030ELNS1_3gpuE2ELNS1_3repE0EEENS1_30default_config_static_selectorELNS0_4arch9wavefront6targetE1EEEvT1_: ; @_ZN7rocprim17ROCPRIM_400000_NS6detail17trampoline_kernelINS0_14default_configENS1_25partition_config_selectorILNS1_17partition_subalgoE0EtNS0_10empty_typeEbEEZZNS1_14partition_implILS5_0ELb0ES3_jN6thrust23THRUST_200600_302600_NS6detail15normal_iteratorINSA_10device_ptrItEEEEPS6_SG_NS0_5tupleIJSF_SF_EEENSH_IJSG_SG_EEES6_PlJ7is_evenItEEEE10hipError_tPvRmT3_T4_T5_T6_T7_T9_mT8_P12ihipStream_tbDpT10_ENKUlT_T0_E_clISt17integral_constantIbLb1EES16_EEDaS11_S12_EUlS11_E_NS1_11comp_targetILNS1_3genE8ELNS1_11target_archE1030ELNS1_3gpuE2ELNS1_3repE0EEENS1_30default_config_static_selectorELNS0_4arch9wavefront6targetE1EEEvT1_
; %bb.0:
	.section	.rodata,"a",@progbits
	.p2align	6, 0x0
	.amdhsa_kernel _ZN7rocprim17ROCPRIM_400000_NS6detail17trampoline_kernelINS0_14default_configENS1_25partition_config_selectorILNS1_17partition_subalgoE0EtNS0_10empty_typeEbEEZZNS1_14partition_implILS5_0ELb0ES3_jN6thrust23THRUST_200600_302600_NS6detail15normal_iteratorINSA_10device_ptrItEEEEPS6_SG_NS0_5tupleIJSF_SF_EEENSH_IJSG_SG_EEES6_PlJ7is_evenItEEEE10hipError_tPvRmT3_T4_T5_T6_T7_T9_mT8_P12ihipStream_tbDpT10_ENKUlT_T0_E_clISt17integral_constantIbLb1EES16_EEDaS11_S12_EUlS11_E_NS1_11comp_targetILNS1_3genE8ELNS1_11target_archE1030ELNS1_3gpuE2ELNS1_3repE0EEENS1_30default_config_static_selectorELNS0_4arch9wavefront6targetE1EEEvT1_
		.amdhsa_group_segment_fixed_size 0
		.amdhsa_private_segment_fixed_size 0
		.amdhsa_kernarg_size 136
		.amdhsa_user_sgpr_count 6
		.amdhsa_user_sgpr_private_segment_buffer 1
		.amdhsa_user_sgpr_dispatch_ptr 0
		.amdhsa_user_sgpr_queue_ptr 0
		.amdhsa_user_sgpr_kernarg_segment_ptr 1
		.amdhsa_user_sgpr_dispatch_id 0
		.amdhsa_user_sgpr_flat_scratch_init 0
		.amdhsa_user_sgpr_kernarg_preload_length 0
		.amdhsa_user_sgpr_kernarg_preload_offset 0
		.amdhsa_user_sgpr_private_segment_size 0
		.amdhsa_uses_dynamic_stack 0
		.amdhsa_system_sgpr_private_segment_wavefront_offset 0
		.amdhsa_system_sgpr_workgroup_id_x 1
		.amdhsa_system_sgpr_workgroup_id_y 0
		.amdhsa_system_sgpr_workgroup_id_z 0
		.amdhsa_system_sgpr_workgroup_info 0
		.amdhsa_system_vgpr_workitem_id 0
		.amdhsa_next_free_vgpr 1
		.amdhsa_next_free_sgpr 0
		.amdhsa_accum_offset 4
		.amdhsa_reserve_vcc 0
		.amdhsa_reserve_flat_scratch 0
		.amdhsa_float_round_mode_32 0
		.amdhsa_float_round_mode_16_64 0
		.amdhsa_float_denorm_mode_32 3
		.amdhsa_float_denorm_mode_16_64 3
		.amdhsa_dx10_clamp 1
		.amdhsa_ieee_mode 1
		.amdhsa_fp16_overflow 0
		.amdhsa_tg_split 0
		.amdhsa_exception_fp_ieee_invalid_op 0
		.amdhsa_exception_fp_denorm_src 0
		.amdhsa_exception_fp_ieee_div_zero 0
		.amdhsa_exception_fp_ieee_overflow 0
		.amdhsa_exception_fp_ieee_underflow 0
		.amdhsa_exception_fp_ieee_inexact 0
		.amdhsa_exception_int_div_zero 0
	.end_amdhsa_kernel
	.section	.text._ZN7rocprim17ROCPRIM_400000_NS6detail17trampoline_kernelINS0_14default_configENS1_25partition_config_selectorILNS1_17partition_subalgoE0EtNS0_10empty_typeEbEEZZNS1_14partition_implILS5_0ELb0ES3_jN6thrust23THRUST_200600_302600_NS6detail15normal_iteratorINSA_10device_ptrItEEEEPS6_SG_NS0_5tupleIJSF_SF_EEENSH_IJSG_SG_EEES6_PlJ7is_evenItEEEE10hipError_tPvRmT3_T4_T5_T6_T7_T9_mT8_P12ihipStream_tbDpT10_ENKUlT_T0_E_clISt17integral_constantIbLb1EES16_EEDaS11_S12_EUlS11_E_NS1_11comp_targetILNS1_3genE8ELNS1_11target_archE1030ELNS1_3gpuE2ELNS1_3repE0EEENS1_30default_config_static_selectorELNS0_4arch9wavefront6targetE1EEEvT1_,"axG",@progbits,_ZN7rocprim17ROCPRIM_400000_NS6detail17trampoline_kernelINS0_14default_configENS1_25partition_config_selectorILNS1_17partition_subalgoE0EtNS0_10empty_typeEbEEZZNS1_14partition_implILS5_0ELb0ES3_jN6thrust23THRUST_200600_302600_NS6detail15normal_iteratorINSA_10device_ptrItEEEEPS6_SG_NS0_5tupleIJSF_SF_EEENSH_IJSG_SG_EEES6_PlJ7is_evenItEEEE10hipError_tPvRmT3_T4_T5_T6_T7_T9_mT8_P12ihipStream_tbDpT10_ENKUlT_T0_E_clISt17integral_constantIbLb1EES16_EEDaS11_S12_EUlS11_E_NS1_11comp_targetILNS1_3genE8ELNS1_11target_archE1030ELNS1_3gpuE2ELNS1_3repE0EEENS1_30default_config_static_selectorELNS0_4arch9wavefront6targetE1EEEvT1_,comdat
.Lfunc_end2185:
	.size	_ZN7rocprim17ROCPRIM_400000_NS6detail17trampoline_kernelINS0_14default_configENS1_25partition_config_selectorILNS1_17partition_subalgoE0EtNS0_10empty_typeEbEEZZNS1_14partition_implILS5_0ELb0ES3_jN6thrust23THRUST_200600_302600_NS6detail15normal_iteratorINSA_10device_ptrItEEEEPS6_SG_NS0_5tupleIJSF_SF_EEENSH_IJSG_SG_EEES6_PlJ7is_evenItEEEE10hipError_tPvRmT3_T4_T5_T6_T7_T9_mT8_P12ihipStream_tbDpT10_ENKUlT_T0_E_clISt17integral_constantIbLb1EES16_EEDaS11_S12_EUlS11_E_NS1_11comp_targetILNS1_3genE8ELNS1_11target_archE1030ELNS1_3gpuE2ELNS1_3repE0EEENS1_30default_config_static_selectorELNS0_4arch9wavefront6targetE1EEEvT1_, .Lfunc_end2185-_ZN7rocprim17ROCPRIM_400000_NS6detail17trampoline_kernelINS0_14default_configENS1_25partition_config_selectorILNS1_17partition_subalgoE0EtNS0_10empty_typeEbEEZZNS1_14partition_implILS5_0ELb0ES3_jN6thrust23THRUST_200600_302600_NS6detail15normal_iteratorINSA_10device_ptrItEEEEPS6_SG_NS0_5tupleIJSF_SF_EEENSH_IJSG_SG_EEES6_PlJ7is_evenItEEEE10hipError_tPvRmT3_T4_T5_T6_T7_T9_mT8_P12ihipStream_tbDpT10_ENKUlT_T0_E_clISt17integral_constantIbLb1EES16_EEDaS11_S12_EUlS11_E_NS1_11comp_targetILNS1_3genE8ELNS1_11target_archE1030ELNS1_3gpuE2ELNS1_3repE0EEENS1_30default_config_static_selectorELNS0_4arch9wavefront6targetE1EEEvT1_
                                        ; -- End function
	.section	.AMDGPU.csdata,"",@progbits
; Kernel info:
; codeLenInByte = 0
; NumSgprs: 4
; NumVgprs: 0
; NumAgprs: 0
; TotalNumVgprs: 0
; ScratchSize: 0
; MemoryBound: 0
; FloatMode: 240
; IeeeMode: 1
; LDSByteSize: 0 bytes/workgroup (compile time only)
; SGPRBlocks: 0
; VGPRBlocks: 0
; NumSGPRsForWavesPerEU: 4
; NumVGPRsForWavesPerEU: 1
; AccumOffset: 4
; Occupancy: 8
; WaveLimiterHint : 0
; COMPUTE_PGM_RSRC2:SCRATCH_EN: 0
; COMPUTE_PGM_RSRC2:USER_SGPR: 6
; COMPUTE_PGM_RSRC2:TRAP_HANDLER: 0
; COMPUTE_PGM_RSRC2:TGID_X_EN: 1
; COMPUTE_PGM_RSRC2:TGID_Y_EN: 0
; COMPUTE_PGM_RSRC2:TGID_Z_EN: 0
; COMPUTE_PGM_RSRC2:TIDIG_COMP_CNT: 0
; COMPUTE_PGM_RSRC3_GFX90A:ACCUM_OFFSET: 0
; COMPUTE_PGM_RSRC3_GFX90A:TG_SPLIT: 0
	.section	.text._ZN7rocprim17ROCPRIM_400000_NS6detail17trampoline_kernelINS0_14default_configENS1_25partition_config_selectorILNS1_17partition_subalgoE0EtNS0_10empty_typeEbEEZZNS1_14partition_implILS5_0ELb0ES3_jN6thrust23THRUST_200600_302600_NS6detail15normal_iteratorINSA_10device_ptrItEEEEPS6_SG_NS0_5tupleIJSF_SF_EEENSH_IJSG_SG_EEES6_PlJ7is_evenItEEEE10hipError_tPvRmT3_T4_T5_T6_T7_T9_mT8_P12ihipStream_tbDpT10_ENKUlT_T0_E_clISt17integral_constantIbLb1EES15_IbLb0EEEEDaS11_S12_EUlS11_E_NS1_11comp_targetILNS1_3genE0ELNS1_11target_archE4294967295ELNS1_3gpuE0ELNS1_3repE0EEENS1_30default_config_static_selectorELNS0_4arch9wavefront6targetE1EEEvT1_,"axG",@progbits,_ZN7rocprim17ROCPRIM_400000_NS6detail17trampoline_kernelINS0_14default_configENS1_25partition_config_selectorILNS1_17partition_subalgoE0EtNS0_10empty_typeEbEEZZNS1_14partition_implILS5_0ELb0ES3_jN6thrust23THRUST_200600_302600_NS6detail15normal_iteratorINSA_10device_ptrItEEEEPS6_SG_NS0_5tupleIJSF_SF_EEENSH_IJSG_SG_EEES6_PlJ7is_evenItEEEE10hipError_tPvRmT3_T4_T5_T6_T7_T9_mT8_P12ihipStream_tbDpT10_ENKUlT_T0_E_clISt17integral_constantIbLb1EES15_IbLb0EEEEDaS11_S12_EUlS11_E_NS1_11comp_targetILNS1_3genE0ELNS1_11target_archE4294967295ELNS1_3gpuE0ELNS1_3repE0EEENS1_30default_config_static_selectorELNS0_4arch9wavefront6targetE1EEEvT1_,comdat
	.protected	_ZN7rocprim17ROCPRIM_400000_NS6detail17trampoline_kernelINS0_14default_configENS1_25partition_config_selectorILNS1_17partition_subalgoE0EtNS0_10empty_typeEbEEZZNS1_14partition_implILS5_0ELb0ES3_jN6thrust23THRUST_200600_302600_NS6detail15normal_iteratorINSA_10device_ptrItEEEEPS6_SG_NS0_5tupleIJSF_SF_EEENSH_IJSG_SG_EEES6_PlJ7is_evenItEEEE10hipError_tPvRmT3_T4_T5_T6_T7_T9_mT8_P12ihipStream_tbDpT10_ENKUlT_T0_E_clISt17integral_constantIbLb1EES15_IbLb0EEEEDaS11_S12_EUlS11_E_NS1_11comp_targetILNS1_3genE0ELNS1_11target_archE4294967295ELNS1_3gpuE0ELNS1_3repE0EEENS1_30default_config_static_selectorELNS0_4arch9wavefront6targetE1EEEvT1_ ; -- Begin function _ZN7rocprim17ROCPRIM_400000_NS6detail17trampoline_kernelINS0_14default_configENS1_25partition_config_selectorILNS1_17partition_subalgoE0EtNS0_10empty_typeEbEEZZNS1_14partition_implILS5_0ELb0ES3_jN6thrust23THRUST_200600_302600_NS6detail15normal_iteratorINSA_10device_ptrItEEEEPS6_SG_NS0_5tupleIJSF_SF_EEENSH_IJSG_SG_EEES6_PlJ7is_evenItEEEE10hipError_tPvRmT3_T4_T5_T6_T7_T9_mT8_P12ihipStream_tbDpT10_ENKUlT_T0_E_clISt17integral_constantIbLb1EES15_IbLb0EEEEDaS11_S12_EUlS11_E_NS1_11comp_targetILNS1_3genE0ELNS1_11target_archE4294967295ELNS1_3gpuE0ELNS1_3repE0EEENS1_30default_config_static_selectorELNS0_4arch9wavefront6targetE1EEEvT1_
	.globl	_ZN7rocprim17ROCPRIM_400000_NS6detail17trampoline_kernelINS0_14default_configENS1_25partition_config_selectorILNS1_17partition_subalgoE0EtNS0_10empty_typeEbEEZZNS1_14partition_implILS5_0ELb0ES3_jN6thrust23THRUST_200600_302600_NS6detail15normal_iteratorINSA_10device_ptrItEEEEPS6_SG_NS0_5tupleIJSF_SF_EEENSH_IJSG_SG_EEES6_PlJ7is_evenItEEEE10hipError_tPvRmT3_T4_T5_T6_T7_T9_mT8_P12ihipStream_tbDpT10_ENKUlT_T0_E_clISt17integral_constantIbLb1EES15_IbLb0EEEEDaS11_S12_EUlS11_E_NS1_11comp_targetILNS1_3genE0ELNS1_11target_archE4294967295ELNS1_3gpuE0ELNS1_3repE0EEENS1_30default_config_static_selectorELNS0_4arch9wavefront6targetE1EEEvT1_
	.p2align	8
	.type	_ZN7rocprim17ROCPRIM_400000_NS6detail17trampoline_kernelINS0_14default_configENS1_25partition_config_selectorILNS1_17partition_subalgoE0EtNS0_10empty_typeEbEEZZNS1_14partition_implILS5_0ELb0ES3_jN6thrust23THRUST_200600_302600_NS6detail15normal_iteratorINSA_10device_ptrItEEEEPS6_SG_NS0_5tupleIJSF_SF_EEENSH_IJSG_SG_EEES6_PlJ7is_evenItEEEE10hipError_tPvRmT3_T4_T5_T6_T7_T9_mT8_P12ihipStream_tbDpT10_ENKUlT_T0_E_clISt17integral_constantIbLb1EES15_IbLb0EEEEDaS11_S12_EUlS11_E_NS1_11comp_targetILNS1_3genE0ELNS1_11target_archE4294967295ELNS1_3gpuE0ELNS1_3repE0EEENS1_30default_config_static_selectorELNS0_4arch9wavefront6targetE1EEEvT1_,@function
_ZN7rocprim17ROCPRIM_400000_NS6detail17trampoline_kernelINS0_14default_configENS1_25partition_config_selectorILNS1_17partition_subalgoE0EtNS0_10empty_typeEbEEZZNS1_14partition_implILS5_0ELb0ES3_jN6thrust23THRUST_200600_302600_NS6detail15normal_iteratorINSA_10device_ptrItEEEEPS6_SG_NS0_5tupleIJSF_SF_EEENSH_IJSG_SG_EEES6_PlJ7is_evenItEEEE10hipError_tPvRmT3_T4_T5_T6_T7_T9_mT8_P12ihipStream_tbDpT10_ENKUlT_T0_E_clISt17integral_constantIbLb1EES15_IbLb0EEEEDaS11_S12_EUlS11_E_NS1_11comp_targetILNS1_3genE0ELNS1_11target_archE4294967295ELNS1_3gpuE0ELNS1_3repE0EEENS1_30default_config_static_selectorELNS0_4arch9wavefront6targetE1EEEvT1_: ; @_ZN7rocprim17ROCPRIM_400000_NS6detail17trampoline_kernelINS0_14default_configENS1_25partition_config_selectorILNS1_17partition_subalgoE0EtNS0_10empty_typeEbEEZZNS1_14partition_implILS5_0ELb0ES3_jN6thrust23THRUST_200600_302600_NS6detail15normal_iteratorINSA_10device_ptrItEEEEPS6_SG_NS0_5tupleIJSF_SF_EEENSH_IJSG_SG_EEES6_PlJ7is_evenItEEEE10hipError_tPvRmT3_T4_T5_T6_T7_T9_mT8_P12ihipStream_tbDpT10_ENKUlT_T0_E_clISt17integral_constantIbLb1EES15_IbLb0EEEEDaS11_S12_EUlS11_E_NS1_11comp_targetILNS1_3genE0ELNS1_11target_archE4294967295ELNS1_3gpuE0ELNS1_3repE0EEENS1_30default_config_static_selectorELNS0_4arch9wavefront6targetE1EEEvT1_
; %bb.0:
	.section	.rodata,"a",@progbits
	.p2align	6, 0x0
	.amdhsa_kernel _ZN7rocprim17ROCPRIM_400000_NS6detail17trampoline_kernelINS0_14default_configENS1_25partition_config_selectorILNS1_17partition_subalgoE0EtNS0_10empty_typeEbEEZZNS1_14partition_implILS5_0ELb0ES3_jN6thrust23THRUST_200600_302600_NS6detail15normal_iteratorINSA_10device_ptrItEEEEPS6_SG_NS0_5tupleIJSF_SF_EEENSH_IJSG_SG_EEES6_PlJ7is_evenItEEEE10hipError_tPvRmT3_T4_T5_T6_T7_T9_mT8_P12ihipStream_tbDpT10_ENKUlT_T0_E_clISt17integral_constantIbLb1EES15_IbLb0EEEEDaS11_S12_EUlS11_E_NS1_11comp_targetILNS1_3genE0ELNS1_11target_archE4294967295ELNS1_3gpuE0ELNS1_3repE0EEENS1_30default_config_static_selectorELNS0_4arch9wavefront6targetE1EEEvT1_
		.amdhsa_group_segment_fixed_size 0
		.amdhsa_private_segment_fixed_size 0
		.amdhsa_kernarg_size 120
		.amdhsa_user_sgpr_count 6
		.amdhsa_user_sgpr_private_segment_buffer 1
		.amdhsa_user_sgpr_dispatch_ptr 0
		.amdhsa_user_sgpr_queue_ptr 0
		.amdhsa_user_sgpr_kernarg_segment_ptr 1
		.amdhsa_user_sgpr_dispatch_id 0
		.amdhsa_user_sgpr_flat_scratch_init 0
		.amdhsa_user_sgpr_kernarg_preload_length 0
		.amdhsa_user_sgpr_kernarg_preload_offset 0
		.amdhsa_user_sgpr_private_segment_size 0
		.amdhsa_uses_dynamic_stack 0
		.amdhsa_system_sgpr_private_segment_wavefront_offset 0
		.amdhsa_system_sgpr_workgroup_id_x 1
		.amdhsa_system_sgpr_workgroup_id_y 0
		.amdhsa_system_sgpr_workgroup_id_z 0
		.amdhsa_system_sgpr_workgroup_info 0
		.amdhsa_system_vgpr_workitem_id 0
		.amdhsa_next_free_vgpr 1
		.amdhsa_next_free_sgpr 0
		.amdhsa_accum_offset 4
		.amdhsa_reserve_vcc 0
		.amdhsa_reserve_flat_scratch 0
		.amdhsa_float_round_mode_32 0
		.amdhsa_float_round_mode_16_64 0
		.amdhsa_float_denorm_mode_32 3
		.amdhsa_float_denorm_mode_16_64 3
		.amdhsa_dx10_clamp 1
		.amdhsa_ieee_mode 1
		.amdhsa_fp16_overflow 0
		.amdhsa_tg_split 0
		.amdhsa_exception_fp_ieee_invalid_op 0
		.amdhsa_exception_fp_denorm_src 0
		.amdhsa_exception_fp_ieee_div_zero 0
		.amdhsa_exception_fp_ieee_overflow 0
		.amdhsa_exception_fp_ieee_underflow 0
		.amdhsa_exception_fp_ieee_inexact 0
		.amdhsa_exception_int_div_zero 0
	.end_amdhsa_kernel
	.section	.text._ZN7rocprim17ROCPRIM_400000_NS6detail17trampoline_kernelINS0_14default_configENS1_25partition_config_selectorILNS1_17partition_subalgoE0EtNS0_10empty_typeEbEEZZNS1_14partition_implILS5_0ELb0ES3_jN6thrust23THRUST_200600_302600_NS6detail15normal_iteratorINSA_10device_ptrItEEEEPS6_SG_NS0_5tupleIJSF_SF_EEENSH_IJSG_SG_EEES6_PlJ7is_evenItEEEE10hipError_tPvRmT3_T4_T5_T6_T7_T9_mT8_P12ihipStream_tbDpT10_ENKUlT_T0_E_clISt17integral_constantIbLb1EES15_IbLb0EEEEDaS11_S12_EUlS11_E_NS1_11comp_targetILNS1_3genE0ELNS1_11target_archE4294967295ELNS1_3gpuE0ELNS1_3repE0EEENS1_30default_config_static_selectorELNS0_4arch9wavefront6targetE1EEEvT1_,"axG",@progbits,_ZN7rocprim17ROCPRIM_400000_NS6detail17trampoline_kernelINS0_14default_configENS1_25partition_config_selectorILNS1_17partition_subalgoE0EtNS0_10empty_typeEbEEZZNS1_14partition_implILS5_0ELb0ES3_jN6thrust23THRUST_200600_302600_NS6detail15normal_iteratorINSA_10device_ptrItEEEEPS6_SG_NS0_5tupleIJSF_SF_EEENSH_IJSG_SG_EEES6_PlJ7is_evenItEEEE10hipError_tPvRmT3_T4_T5_T6_T7_T9_mT8_P12ihipStream_tbDpT10_ENKUlT_T0_E_clISt17integral_constantIbLb1EES15_IbLb0EEEEDaS11_S12_EUlS11_E_NS1_11comp_targetILNS1_3genE0ELNS1_11target_archE4294967295ELNS1_3gpuE0ELNS1_3repE0EEENS1_30default_config_static_selectorELNS0_4arch9wavefront6targetE1EEEvT1_,comdat
.Lfunc_end2186:
	.size	_ZN7rocprim17ROCPRIM_400000_NS6detail17trampoline_kernelINS0_14default_configENS1_25partition_config_selectorILNS1_17partition_subalgoE0EtNS0_10empty_typeEbEEZZNS1_14partition_implILS5_0ELb0ES3_jN6thrust23THRUST_200600_302600_NS6detail15normal_iteratorINSA_10device_ptrItEEEEPS6_SG_NS0_5tupleIJSF_SF_EEENSH_IJSG_SG_EEES6_PlJ7is_evenItEEEE10hipError_tPvRmT3_T4_T5_T6_T7_T9_mT8_P12ihipStream_tbDpT10_ENKUlT_T0_E_clISt17integral_constantIbLb1EES15_IbLb0EEEEDaS11_S12_EUlS11_E_NS1_11comp_targetILNS1_3genE0ELNS1_11target_archE4294967295ELNS1_3gpuE0ELNS1_3repE0EEENS1_30default_config_static_selectorELNS0_4arch9wavefront6targetE1EEEvT1_, .Lfunc_end2186-_ZN7rocprim17ROCPRIM_400000_NS6detail17trampoline_kernelINS0_14default_configENS1_25partition_config_selectorILNS1_17partition_subalgoE0EtNS0_10empty_typeEbEEZZNS1_14partition_implILS5_0ELb0ES3_jN6thrust23THRUST_200600_302600_NS6detail15normal_iteratorINSA_10device_ptrItEEEEPS6_SG_NS0_5tupleIJSF_SF_EEENSH_IJSG_SG_EEES6_PlJ7is_evenItEEEE10hipError_tPvRmT3_T4_T5_T6_T7_T9_mT8_P12ihipStream_tbDpT10_ENKUlT_T0_E_clISt17integral_constantIbLb1EES15_IbLb0EEEEDaS11_S12_EUlS11_E_NS1_11comp_targetILNS1_3genE0ELNS1_11target_archE4294967295ELNS1_3gpuE0ELNS1_3repE0EEENS1_30default_config_static_selectorELNS0_4arch9wavefront6targetE1EEEvT1_
                                        ; -- End function
	.section	.AMDGPU.csdata,"",@progbits
; Kernel info:
; codeLenInByte = 0
; NumSgprs: 4
; NumVgprs: 0
; NumAgprs: 0
; TotalNumVgprs: 0
; ScratchSize: 0
; MemoryBound: 0
; FloatMode: 240
; IeeeMode: 1
; LDSByteSize: 0 bytes/workgroup (compile time only)
; SGPRBlocks: 0
; VGPRBlocks: 0
; NumSGPRsForWavesPerEU: 4
; NumVGPRsForWavesPerEU: 1
; AccumOffset: 4
; Occupancy: 8
; WaveLimiterHint : 0
; COMPUTE_PGM_RSRC2:SCRATCH_EN: 0
; COMPUTE_PGM_RSRC2:USER_SGPR: 6
; COMPUTE_PGM_RSRC2:TRAP_HANDLER: 0
; COMPUTE_PGM_RSRC2:TGID_X_EN: 1
; COMPUTE_PGM_RSRC2:TGID_Y_EN: 0
; COMPUTE_PGM_RSRC2:TGID_Z_EN: 0
; COMPUTE_PGM_RSRC2:TIDIG_COMP_CNT: 0
; COMPUTE_PGM_RSRC3_GFX90A:ACCUM_OFFSET: 0
; COMPUTE_PGM_RSRC3_GFX90A:TG_SPLIT: 0
	.section	.text._ZN7rocprim17ROCPRIM_400000_NS6detail17trampoline_kernelINS0_14default_configENS1_25partition_config_selectorILNS1_17partition_subalgoE0EtNS0_10empty_typeEbEEZZNS1_14partition_implILS5_0ELb0ES3_jN6thrust23THRUST_200600_302600_NS6detail15normal_iteratorINSA_10device_ptrItEEEEPS6_SG_NS0_5tupleIJSF_SF_EEENSH_IJSG_SG_EEES6_PlJ7is_evenItEEEE10hipError_tPvRmT3_T4_T5_T6_T7_T9_mT8_P12ihipStream_tbDpT10_ENKUlT_T0_E_clISt17integral_constantIbLb1EES15_IbLb0EEEEDaS11_S12_EUlS11_E_NS1_11comp_targetILNS1_3genE5ELNS1_11target_archE942ELNS1_3gpuE9ELNS1_3repE0EEENS1_30default_config_static_selectorELNS0_4arch9wavefront6targetE1EEEvT1_,"axG",@progbits,_ZN7rocprim17ROCPRIM_400000_NS6detail17trampoline_kernelINS0_14default_configENS1_25partition_config_selectorILNS1_17partition_subalgoE0EtNS0_10empty_typeEbEEZZNS1_14partition_implILS5_0ELb0ES3_jN6thrust23THRUST_200600_302600_NS6detail15normal_iteratorINSA_10device_ptrItEEEEPS6_SG_NS0_5tupleIJSF_SF_EEENSH_IJSG_SG_EEES6_PlJ7is_evenItEEEE10hipError_tPvRmT3_T4_T5_T6_T7_T9_mT8_P12ihipStream_tbDpT10_ENKUlT_T0_E_clISt17integral_constantIbLb1EES15_IbLb0EEEEDaS11_S12_EUlS11_E_NS1_11comp_targetILNS1_3genE5ELNS1_11target_archE942ELNS1_3gpuE9ELNS1_3repE0EEENS1_30default_config_static_selectorELNS0_4arch9wavefront6targetE1EEEvT1_,comdat
	.protected	_ZN7rocprim17ROCPRIM_400000_NS6detail17trampoline_kernelINS0_14default_configENS1_25partition_config_selectorILNS1_17partition_subalgoE0EtNS0_10empty_typeEbEEZZNS1_14partition_implILS5_0ELb0ES3_jN6thrust23THRUST_200600_302600_NS6detail15normal_iteratorINSA_10device_ptrItEEEEPS6_SG_NS0_5tupleIJSF_SF_EEENSH_IJSG_SG_EEES6_PlJ7is_evenItEEEE10hipError_tPvRmT3_T4_T5_T6_T7_T9_mT8_P12ihipStream_tbDpT10_ENKUlT_T0_E_clISt17integral_constantIbLb1EES15_IbLb0EEEEDaS11_S12_EUlS11_E_NS1_11comp_targetILNS1_3genE5ELNS1_11target_archE942ELNS1_3gpuE9ELNS1_3repE0EEENS1_30default_config_static_selectorELNS0_4arch9wavefront6targetE1EEEvT1_ ; -- Begin function _ZN7rocprim17ROCPRIM_400000_NS6detail17trampoline_kernelINS0_14default_configENS1_25partition_config_selectorILNS1_17partition_subalgoE0EtNS0_10empty_typeEbEEZZNS1_14partition_implILS5_0ELb0ES3_jN6thrust23THRUST_200600_302600_NS6detail15normal_iteratorINSA_10device_ptrItEEEEPS6_SG_NS0_5tupleIJSF_SF_EEENSH_IJSG_SG_EEES6_PlJ7is_evenItEEEE10hipError_tPvRmT3_T4_T5_T6_T7_T9_mT8_P12ihipStream_tbDpT10_ENKUlT_T0_E_clISt17integral_constantIbLb1EES15_IbLb0EEEEDaS11_S12_EUlS11_E_NS1_11comp_targetILNS1_3genE5ELNS1_11target_archE942ELNS1_3gpuE9ELNS1_3repE0EEENS1_30default_config_static_selectorELNS0_4arch9wavefront6targetE1EEEvT1_
	.globl	_ZN7rocprim17ROCPRIM_400000_NS6detail17trampoline_kernelINS0_14default_configENS1_25partition_config_selectorILNS1_17partition_subalgoE0EtNS0_10empty_typeEbEEZZNS1_14partition_implILS5_0ELb0ES3_jN6thrust23THRUST_200600_302600_NS6detail15normal_iteratorINSA_10device_ptrItEEEEPS6_SG_NS0_5tupleIJSF_SF_EEENSH_IJSG_SG_EEES6_PlJ7is_evenItEEEE10hipError_tPvRmT3_T4_T5_T6_T7_T9_mT8_P12ihipStream_tbDpT10_ENKUlT_T0_E_clISt17integral_constantIbLb1EES15_IbLb0EEEEDaS11_S12_EUlS11_E_NS1_11comp_targetILNS1_3genE5ELNS1_11target_archE942ELNS1_3gpuE9ELNS1_3repE0EEENS1_30default_config_static_selectorELNS0_4arch9wavefront6targetE1EEEvT1_
	.p2align	8
	.type	_ZN7rocprim17ROCPRIM_400000_NS6detail17trampoline_kernelINS0_14default_configENS1_25partition_config_selectorILNS1_17partition_subalgoE0EtNS0_10empty_typeEbEEZZNS1_14partition_implILS5_0ELb0ES3_jN6thrust23THRUST_200600_302600_NS6detail15normal_iteratorINSA_10device_ptrItEEEEPS6_SG_NS0_5tupleIJSF_SF_EEENSH_IJSG_SG_EEES6_PlJ7is_evenItEEEE10hipError_tPvRmT3_T4_T5_T6_T7_T9_mT8_P12ihipStream_tbDpT10_ENKUlT_T0_E_clISt17integral_constantIbLb1EES15_IbLb0EEEEDaS11_S12_EUlS11_E_NS1_11comp_targetILNS1_3genE5ELNS1_11target_archE942ELNS1_3gpuE9ELNS1_3repE0EEENS1_30default_config_static_selectorELNS0_4arch9wavefront6targetE1EEEvT1_,@function
_ZN7rocprim17ROCPRIM_400000_NS6detail17trampoline_kernelINS0_14default_configENS1_25partition_config_selectorILNS1_17partition_subalgoE0EtNS0_10empty_typeEbEEZZNS1_14partition_implILS5_0ELb0ES3_jN6thrust23THRUST_200600_302600_NS6detail15normal_iteratorINSA_10device_ptrItEEEEPS6_SG_NS0_5tupleIJSF_SF_EEENSH_IJSG_SG_EEES6_PlJ7is_evenItEEEE10hipError_tPvRmT3_T4_T5_T6_T7_T9_mT8_P12ihipStream_tbDpT10_ENKUlT_T0_E_clISt17integral_constantIbLb1EES15_IbLb0EEEEDaS11_S12_EUlS11_E_NS1_11comp_targetILNS1_3genE5ELNS1_11target_archE942ELNS1_3gpuE9ELNS1_3repE0EEENS1_30default_config_static_selectorELNS0_4arch9wavefront6targetE1EEEvT1_: ; @_ZN7rocprim17ROCPRIM_400000_NS6detail17trampoline_kernelINS0_14default_configENS1_25partition_config_selectorILNS1_17partition_subalgoE0EtNS0_10empty_typeEbEEZZNS1_14partition_implILS5_0ELb0ES3_jN6thrust23THRUST_200600_302600_NS6detail15normal_iteratorINSA_10device_ptrItEEEEPS6_SG_NS0_5tupleIJSF_SF_EEENSH_IJSG_SG_EEES6_PlJ7is_evenItEEEE10hipError_tPvRmT3_T4_T5_T6_T7_T9_mT8_P12ihipStream_tbDpT10_ENKUlT_T0_E_clISt17integral_constantIbLb1EES15_IbLb0EEEEDaS11_S12_EUlS11_E_NS1_11comp_targetILNS1_3genE5ELNS1_11target_archE942ELNS1_3gpuE9ELNS1_3repE0EEENS1_30default_config_static_selectorELNS0_4arch9wavefront6targetE1EEEvT1_
; %bb.0:
	.section	.rodata,"a",@progbits
	.p2align	6, 0x0
	.amdhsa_kernel _ZN7rocprim17ROCPRIM_400000_NS6detail17trampoline_kernelINS0_14default_configENS1_25partition_config_selectorILNS1_17partition_subalgoE0EtNS0_10empty_typeEbEEZZNS1_14partition_implILS5_0ELb0ES3_jN6thrust23THRUST_200600_302600_NS6detail15normal_iteratorINSA_10device_ptrItEEEEPS6_SG_NS0_5tupleIJSF_SF_EEENSH_IJSG_SG_EEES6_PlJ7is_evenItEEEE10hipError_tPvRmT3_T4_T5_T6_T7_T9_mT8_P12ihipStream_tbDpT10_ENKUlT_T0_E_clISt17integral_constantIbLb1EES15_IbLb0EEEEDaS11_S12_EUlS11_E_NS1_11comp_targetILNS1_3genE5ELNS1_11target_archE942ELNS1_3gpuE9ELNS1_3repE0EEENS1_30default_config_static_selectorELNS0_4arch9wavefront6targetE1EEEvT1_
		.amdhsa_group_segment_fixed_size 0
		.amdhsa_private_segment_fixed_size 0
		.amdhsa_kernarg_size 120
		.amdhsa_user_sgpr_count 6
		.amdhsa_user_sgpr_private_segment_buffer 1
		.amdhsa_user_sgpr_dispatch_ptr 0
		.amdhsa_user_sgpr_queue_ptr 0
		.amdhsa_user_sgpr_kernarg_segment_ptr 1
		.amdhsa_user_sgpr_dispatch_id 0
		.amdhsa_user_sgpr_flat_scratch_init 0
		.amdhsa_user_sgpr_kernarg_preload_length 0
		.amdhsa_user_sgpr_kernarg_preload_offset 0
		.amdhsa_user_sgpr_private_segment_size 0
		.amdhsa_uses_dynamic_stack 0
		.amdhsa_system_sgpr_private_segment_wavefront_offset 0
		.amdhsa_system_sgpr_workgroup_id_x 1
		.amdhsa_system_sgpr_workgroup_id_y 0
		.amdhsa_system_sgpr_workgroup_id_z 0
		.amdhsa_system_sgpr_workgroup_info 0
		.amdhsa_system_vgpr_workitem_id 0
		.amdhsa_next_free_vgpr 1
		.amdhsa_next_free_sgpr 0
		.amdhsa_accum_offset 4
		.amdhsa_reserve_vcc 0
		.amdhsa_reserve_flat_scratch 0
		.amdhsa_float_round_mode_32 0
		.amdhsa_float_round_mode_16_64 0
		.amdhsa_float_denorm_mode_32 3
		.amdhsa_float_denorm_mode_16_64 3
		.amdhsa_dx10_clamp 1
		.amdhsa_ieee_mode 1
		.amdhsa_fp16_overflow 0
		.amdhsa_tg_split 0
		.amdhsa_exception_fp_ieee_invalid_op 0
		.amdhsa_exception_fp_denorm_src 0
		.amdhsa_exception_fp_ieee_div_zero 0
		.amdhsa_exception_fp_ieee_overflow 0
		.amdhsa_exception_fp_ieee_underflow 0
		.amdhsa_exception_fp_ieee_inexact 0
		.amdhsa_exception_int_div_zero 0
	.end_amdhsa_kernel
	.section	.text._ZN7rocprim17ROCPRIM_400000_NS6detail17trampoline_kernelINS0_14default_configENS1_25partition_config_selectorILNS1_17partition_subalgoE0EtNS0_10empty_typeEbEEZZNS1_14partition_implILS5_0ELb0ES3_jN6thrust23THRUST_200600_302600_NS6detail15normal_iteratorINSA_10device_ptrItEEEEPS6_SG_NS0_5tupleIJSF_SF_EEENSH_IJSG_SG_EEES6_PlJ7is_evenItEEEE10hipError_tPvRmT3_T4_T5_T6_T7_T9_mT8_P12ihipStream_tbDpT10_ENKUlT_T0_E_clISt17integral_constantIbLb1EES15_IbLb0EEEEDaS11_S12_EUlS11_E_NS1_11comp_targetILNS1_3genE5ELNS1_11target_archE942ELNS1_3gpuE9ELNS1_3repE0EEENS1_30default_config_static_selectorELNS0_4arch9wavefront6targetE1EEEvT1_,"axG",@progbits,_ZN7rocprim17ROCPRIM_400000_NS6detail17trampoline_kernelINS0_14default_configENS1_25partition_config_selectorILNS1_17partition_subalgoE0EtNS0_10empty_typeEbEEZZNS1_14partition_implILS5_0ELb0ES3_jN6thrust23THRUST_200600_302600_NS6detail15normal_iteratorINSA_10device_ptrItEEEEPS6_SG_NS0_5tupleIJSF_SF_EEENSH_IJSG_SG_EEES6_PlJ7is_evenItEEEE10hipError_tPvRmT3_T4_T5_T6_T7_T9_mT8_P12ihipStream_tbDpT10_ENKUlT_T0_E_clISt17integral_constantIbLb1EES15_IbLb0EEEEDaS11_S12_EUlS11_E_NS1_11comp_targetILNS1_3genE5ELNS1_11target_archE942ELNS1_3gpuE9ELNS1_3repE0EEENS1_30default_config_static_selectorELNS0_4arch9wavefront6targetE1EEEvT1_,comdat
.Lfunc_end2187:
	.size	_ZN7rocprim17ROCPRIM_400000_NS6detail17trampoline_kernelINS0_14default_configENS1_25partition_config_selectorILNS1_17partition_subalgoE0EtNS0_10empty_typeEbEEZZNS1_14partition_implILS5_0ELb0ES3_jN6thrust23THRUST_200600_302600_NS6detail15normal_iteratorINSA_10device_ptrItEEEEPS6_SG_NS0_5tupleIJSF_SF_EEENSH_IJSG_SG_EEES6_PlJ7is_evenItEEEE10hipError_tPvRmT3_T4_T5_T6_T7_T9_mT8_P12ihipStream_tbDpT10_ENKUlT_T0_E_clISt17integral_constantIbLb1EES15_IbLb0EEEEDaS11_S12_EUlS11_E_NS1_11comp_targetILNS1_3genE5ELNS1_11target_archE942ELNS1_3gpuE9ELNS1_3repE0EEENS1_30default_config_static_selectorELNS0_4arch9wavefront6targetE1EEEvT1_, .Lfunc_end2187-_ZN7rocprim17ROCPRIM_400000_NS6detail17trampoline_kernelINS0_14default_configENS1_25partition_config_selectorILNS1_17partition_subalgoE0EtNS0_10empty_typeEbEEZZNS1_14partition_implILS5_0ELb0ES3_jN6thrust23THRUST_200600_302600_NS6detail15normal_iteratorINSA_10device_ptrItEEEEPS6_SG_NS0_5tupleIJSF_SF_EEENSH_IJSG_SG_EEES6_PlJ7is_evenItEEEE10hipError_tPvRmT3_T4_T5_T6_T7_T9_mT8_P12ihipStream_tbDpT10_ENKUlT_T0_E_clISt17integral_constantIbLb1EES15_IbLb0EEEEDaS11_S12_EUlS11_E_NS1_11comp_targetILNS1_3genE5ELNS1_11target_archE942ELNS1_3gpuE9ELNS1_3repE0EEENS1_30default_config_static_selectorELNS0_4arch9wavefront6targetE1EEEvT1_
                                        ; -- End function
	.section	.AMDGPU.csdata,"",@progbits
; Kernel info:
; codeLenInByte = 0
; NumSgprs: 4
; NumVgprs: 0
; NumAgprs: 0
; TotalNumVgprs: 0
; ScratchSize: 0
; MemoryBound: 0
; FloatMode: 240
; IeeeMode: 1
; LDSByteSize: 0 bytes/workgroup (compile time only)
; SGPRBlocks: 0
; VGPRBlocks: 0
; NumSGPRsForWavesPerEU: 4
; NumVGPRsForWavesPerEU: 1
; AccumOffset: 4
; Occupancy: 8
; WaveLimiterHint : 0
; COMPUTE_PGM_RSRC2:SCRATCH_EN: 0
; COMPUTE_PGM_RSRC2:USER_SGPR: 6
; COMPUTE_PGM_RSRC2:TRAP_HANDLER: 0
; COMPUTE_PGM_RSRC2:TGID_X_EN: 1
; COMPUTE_PGM_RSRC2:TGID_Y_EN: 0
; COMPUTE_PGM_RSRC2:TGID_Z_EN: 0
; COMPUTE_PGM_RSRC2:TIDIG_COMP_CNT: 0
; COMPUTE_PGM_RSRC3_GFX90A:ACCUM_OFFSET: 0
; COMPUTE_PGM_RSRC3_GFX90A:TG_SPLIT: 0
	.section	.text._ZN7rocprim17ROCPRIM_400000_NS6detail17trampoline_kernelINS0_14default_configENS1_25partition_config_selectorILNS1_17partition_subalgoE0EtNS0_10empty_typeEbEEZZNS1_14partition_implILS5_0ELb0ES3_jN6thrust23THRUST_200600_302600_NS6detail15normal_iteratorINSA_10device_ptrItEEEEPS6_SG_NS0_5tupleIJSF_SF_EEENSH_IJSG_SG_EEES6_PlJ7is_evenItEEEE10hipError_tPvRmT3_T4_T5_T6_T7_T9_mT8_P12ihipStream_tbDpT10_ENKUlT_T0_E_clISt17integral_constantIbLb1EES15_IbLb0EEEEDaS11_S12_EUlS11_E_NS1_11comp_targetILNS1_3genE4ELNS1_11target_archE910ELNS1_3gpuE8ELNS1_3repE0EEENS1_30default_config_static_selectorELNS0_4arch9wavefront6targetE1EEEvT1_,"axG",@progbits,_ZN7rocprim17ROCPRIM_400000_NS6detail17trampoline_kernelINS0_14default_configENS1_25partition_config_selectorILNS1_17partition_subalgoE0EtNS0_10empty_typeEbEEZZNS1_14partition_implILS5_0ELb0ES3_jN6thrust23THRUST_200600_302600_NS6detail15normal_iteratorINSA_10device_ptrItEEEEPS6_SG_NS0_5tupleIJSF_SF_EEENSH_IJSG_SG_EEES6_PlJ7is_evenItEEEE10hipError_tPvRmT3_T4_T5_T6_T7_T9_mT8_P12ihipStream_tbDpT10_ENKUlT_T0_E_clISt17integral_constantIbLb1EES15_IbLb0EEEEDaS11_S12_EUlS11_E_NS1_11comp_targetILNS1_3genE4ELNS1_11target_archE910ELNS1_3gpuE8ELNS1_3repE0EEENS1_30default_config_static_selectorELNS0_4arch9wavefront6targetE1EEEvT1_,comdat
	.protected	_ZN7rocprim17ROCPRIM_400000_NS6detail17trampoline_kernelINS0_14default_configENS1_25partition_config_selectorILNS1_17partition_subalgoE0EtNS0_10empty_typeEbEEZZNS1_14partition_implILS5_0ELb0ES3_jN6thrust23THRUST_200600_302600_NS6detail15normal_iteratorINSA_10device_ptrItEEEEPS6_SG_NS0_5tupleIJSF_SF_EEENSH_IJSG_SG_EEES6_PlJ7is_evenItEEEE10hipError_tPvRmT3_T4_T5_T6_T7_T9_mT8_P12ihipStream_tbDpT10_ENKUlT_T0_E_clISt17integral_constantIbLb1EES15_IbLb0EEEEDaS11_S12_EUlS11_E_NS1_11comp_targetILNS1_3genE4ELNS1_11target_archE910ELNS1_3gpuE8ELNS1_3repE0EEENS1_30default_config_static_selectorELNS0_4arch9wavefront6targetE1EEEvT1_ ; -- Begin function _ZN7rocprim17ROCPRIM_400000_NS6detail17trampoline_kernelINS0_14default_configENS1_25partition_config_selectorILNS1_17partition_subalgoE0EtNS0_10empty_typeEbEEZZNS1_14partition_implILS5_0ELb0ES3_jN6thrust23THRUST_200600_302600_NS6detail15normal_iteratorINSA_10device_ptrItEEEEPS6_SG_NS0_5tupleIJSF_SF_EEENSH_IJSG_SG_EEES6_PlJ7is_evenItEEEE10hipError_tPvRmT3_T4_T5_T6_T7_T9_mT8_P12ihipStream_tbDpT10_ENKUlT_T0_E_clISt17integral_constantIbLb1EES15_IbLb0EEEEDaS11_S12_EUlS11_E_NS1_11comp_targetILNS1_3genE4ELNS1_11target_archE910ELNS1_3gpuE8ELNS1_3repE0EEENS1_30default_config_static_selectorELNS0_4arch9wavefront6targetE1EEEvT1_
	.globl	_ZN7rocprim17ROCPRIM_400000_NS6detail17trampoline_kernelINS0_14default_configENS1_25partition_config_selectorILNS1_17partition_subalgoE0EtNS0_10empty_typeEbEEZZNS1_14partition_implILS5_0ELb0ES3_jN6thrust23THRUST_200600_302600_NS6detail15normal_iteratorINSA_10device_ptrItEEEEPS6_SG_NS0_5tupleIJSF_SF_EEENSH_IJSG_SG_EEES6_PlJ7is_evenItEEEE10hipError_tPvRmT3_T4_T5_T6_T7_T9_mT8_P12ihipStream_tbDpT10_ENKUlT_T0_E_clISt17integral_constantIbLb1EES15_IbLb0EEEEDaS11_S12_EUlS11_E_NS1_11comp_targetILNS1_3genE4ELNS1_11target_archE910ELNS1_3gpuE8ELNS1_3repE0EEENS1_30default_config_static_selectorELNS0_4arch9wavefront6targetE1EEEvT1_
	.p2align	8
	.type	_ZN7rocprim17ROCPRIM_400000_NS6detail17trampoline_kernelINS0_14default_configENS1_25partition_config_selectorILNS1_17partition_subalgoE0EtNS0_10empty_typeEbEEZZNS1_14partition_implILS5_0ELb0ES3_jN6thrust23THRUST_200600_302600_NS6detail15normal_iteratorINSA_10device_ptrItEEEEPS6_SG_NS0_5tupleIJSF_SF_EEENSH_IJSG_SG_EEES6_PlJ7is_evenItEEEE10hipError_tPvRmT3_T4_T5_T6_T7_T9_mT8_P12ihipStream_tbDpT10_ENKUlT_T0_E_clISt17integral_constantIbLb1EES15_IbLb0EEEEDaS11_S12_EUlS11_E_NS1_11comp_targetILNS1_3genE4ELNS1_11target_archE910ELNS1_3gpuE8ELNS1_3repE0EEENS1_30default_config_static_selectorELNS0_4arch9wavefront6targetE1EEEvT1_,@function
_ZN7rocprim17ROCPRIM_400000_NS6detail17trampoline_kernelINS0_14default_configENS1_25partition_config_selectorILNS1_17partition_subalgoE0EtNS0_10empty_typeEbEEZZNS1_14partition_implILS5_0ELb0ES3_jN6thrust23THRUST_200600_302600_NS6detail15normal_iteratorINSA_10device_ptrItEEEEPS6_SG_NS0_5tupleIJSF_SF_EEENSH_IJSG_SG_EEES6_PlJ7is_evenItEEEE10hipError_tPvRmT3_T4_T5_T6_T7_T9_mT8_P12ihipStream_tbDpT10_ENKUlT_T0_E_clISt17integral_constantIbLb1EES15_IbLb0EEEEDaS11_S12_EUlS11_E_NS1_11comp_targetILNS1_3genE4ELNS1_11target_archE910ELNS1_3gpuE8ELNS1_3repE0EEENS1_30default_config_static_selectorELNS0_4arch9wavefront6targetE1EEEvT1_: ; @_ZN7rocprim17ROCPRIM_400000_NS6detail17trampoline_kernelINS0_14default_configENS1_25partition_config_selectorILNS1_17partition_subalgoE0EtNS0_10empty_typeEbEEZZNS1_14partition_implILS5_0ELb0ES3_jN6thrust23THRUST_200600_302600_NS6detail15normal_iteratorINSA_10device_ptrItEEEEPS6_SG_NS0_5tupleIJSF_SF_EEENSH_IJSG_SG_EEES6_PlJ7is_evenItEEEE10hipError_tPvRmT3_T4_T5_T6_T7_T9_mT8_P12ihipStream_tbDpT10_ENKUlT_T0_E_clISt17integral_constantIbLb1EES15_IbLb0EEEEDaS11_S12_EUlS11_E_NS1_11comp_targetILNS1_3genE4ELNS1_11target_archE910ELNS1_3gpuE8ELNS1_3repE0EEENS1_30default_config_static_selectorELNS0_4arch9wavefront6targetE1EEEvT1_
; %bb.0:
	s_load_dwordx2 s[0:1], s[4:5], 0x58
	s_load_dwordx4 s[20:23], s[4:5], 0x8
	s_load_dwordx4 s[24:27], s[4:5], 0x48
	s_load_dword s7, s[4:5], 0x70
	s_mul_i32 s8, s6, 0x1c00
	s_waitcnt lgkmcnt(0)
	v_mov_b32_e32 v3, s1
	s_lshl_b64 s[2:3], s[22:23], 1
	s_add_u32 s10, s20, s2
	s_mul_i32 s1, s7, 0x1c00
	s_addc_u32 s11, s21, s3
	s_add_i32 s3, s1, s22
	s_sub_i32 s33, s0, s3
	s_add_i32 s2, s7, -1
	s_addk_i32 s33, 0x1c00
	v_mov_b32_e32 v2, s0
	s_add_u32 s0, s22, s1
	s_addc_u32 s1, s23, 0
	s_cmp_eq_u32 s6, s2
	s_load_dwordx2 s[30:31], s[26:27], 0x0
	s_cselect_b64 s[26:27], -1, 0
	s_cmp_lg_u32 s6, s2
	s_mov_b32 s9, 0
	v_cmp_lt_u64_e32 vcc, s[0:1], v[2:3]
	s_cselect_b64 s[0:1], -1, 0
	s_or_b64 s[2:3], s[0:1], vcc
	s_lshl_b64 s[28:29], s[8:9], 1
	s_add_u32 s7, s10, s28
	s_addc_u32 s10, s11, s29
	s_mov_b64 s[0:1], -1
	s_and_b64 vcc, exec, s[2:3]
	v_lshlrev_b32_e32 v1, 1, v0
	s_cbranch_vccz .LBB2188_2
; %bb.1:
	v_mov_b32_e32 v3, s10
	v_add_co_u32_e32 v2, vcc, s7, v1
	v_addc_co_u32_e32 v3, vcc, 0, v3, vcc
	v_add_co_u32_e32 v4, vcc, 0x1000, v2
	v_addc_co_u32_e32 v5, vcc, 0, v3, vcc
	flat_load_ushort v6, v[2:3]
	flat_load_ushort v7, v[2:3] offset:512
	flat_load_ushort v8, v[2:3] offset:1024
	;; [unrolled: 1-line block ×7, first 2 shown]
	flat_load_ushort v14, v[4:5]
	flat_load_ushort v15, v[4:5] offset:512
	flat_load_ushort v16, v[4:5] offset:1024
	;; [unrolled: 1-line block ×7, first 2 shown]
	v_add_co_u32_e32 v4, vcc, 0x2000, v2
	v_addc_co_u32_e32 v5, vcc, 0, v3, vcc
	v_add_co_u32_e32 v2, vcc, 0x3000, v2
	v_addc_co_u32_e32 v3, vcc, 0, v3, vcc
	flat_load_ushort v22, v[4:5]
	flat_load_ushort v23, v[4:5] offset:512
	flat_load_ushort v24, v[4:5] offset:1024
	;; [unrolled: 1-line block ×7, first 2 shown]
	s_nop 0
	flat_load_ushort v4, v[2:3]
	flat_load_ushort v5, v[2:3] offset:512
	flat_load_ushort v30, v[2:3] offset:1024
	flat_load_ushort v31, v[2:3] offset:1536
	s_mov_b64 s[0:1], 0
	s_waitcnt vmcnt(0) lgkmcnt(0)
	ds_write_b16 v1, v6
	ds_write_b16 v1, v7 offset:512
	ds_write_b16 v1, v8 offset:1024
	;; [unrolled: 1-line block ×27, first 2 shown]
	s_waitcnt lgkmcnt(0)
	s_barrier
.LBB2188_2:
	s_andn2_b64 vcc, exec, s[0:1]
	v_cmp_gt_u32_e64 s[0:1], s33, v0
	s_cbranch_vccnz .LBB2188_60
; %bb.3:
                                        ; implicit-def: $vgpr2
	s_and_saveexec_b64 s[8:9], s[0:1]
	s_cbranch_execz .LBB2188_5
; %bb.4:
	v_mov_b32_e32 v3, s10
	v_add_co_u32_e32 v2, vcc, s7, v1
	v_addc_co_u32_e32 v3, vcc, 0, v3, vcc
	flat_load_ushort v2, v[2:3]
.LBB2188_5:
	s_or_b64 exec, exec, s[8:9]
	v_or_b32_e32 v3, 0x100, v0
	v_cmp_gt_u32_e32 vcc, s33, v3
                                        ; implicit-def: $vgpr3
	s_and_saveexec_b64 s[0:1], vcc
	s_cbranch_execz .LBB2188_7
; %bb.6:
	v_mov_b32_e32 v3, s10
	v_add_co_u32_e32 v4, vcc, s7, v1
	v_addc_co_u32_e32 v5, vcc, 0, v3, vcc
	flat_load_ushort v3, v[4:5] offset:512
.LBB2188_7:
	s_or_b64 exec, exec, s[0:1]
	v_or_b32_e32 v4, 0x200, v0
	v_cmp_gt_u32_e32 vcc, s33, v4
                                        ; implicit-def: $vgpr4
	s_and_saveexec_b64 s[0:1], vcc
	s_cbranch_execz .LBB2188_9
; %bb.8:
	v_mov_b32_e32 v5, s10
	v_add_co_u32_e32 v4, vcc, s7, v1
	v_addc_co_u32_e32 v5, vcc, 0, v5, vcc
	flat_load_ushort v4, v[4:5] offset:1024
.LBB2188_9:
	s_or_b64 exec, exec, s[0:1]
	v_or_b32_e32 v5, 0x300, v0
	v_cmp_gt_u32_e32 vcc, s33, v5
                                        ; implicit-def: $vgpr5
	s_and_saveexec_b64 s[0:1], vcc
	s_cbranch_execz .LBB2188_11
; %bb.10:
	v_mov_b32_e32 v5, s10
	v_add_co_u32_e32 v6, vcc, s7, v1
	v_addc_co_u32_e32 v7, vcc, 0, v5, vcc
	flat_load_ushort v5, v[6:7] offset:1536
.LBB2188_11:
	s_or_b64 exec, exec, s[0:1]
	v_or_b32_e32 v6, 0x400, v0
	v_cmp_gt_u32_e32 vcc, s33, v6
                                        ; implicit-def: $vgpr6
	s_and_saveexec_b64 s[0:1], vcc
	s_cbranch_execz .LBB2188_13
; %bb.12:
	v_mov_b32_e32 v7, s10
	v_add_co_u32_e32 v6, vcc, s7, v1
	v_addc_co_u32_e32 v7, vcc, 0, v7, vcc
	flat_load_ushort v6, v[6:7] offset:2048
.LBB2188_13:
	s_or_b64 exec, exec, s[0:1]
	v_or_b32_e32 v7, 0x500, v0
	v_cmp_gt_u32_e32 vcc, s33, v7
                                        ; implicit-def: $vgpr7
	s_and_saveexec_b64 s[0:1], vcc
	s_cbranch_execz .LBB2188_15
; %bb.14:
	v_mov_b32_e32 v7, s10
	v_add_co_u32_e32 v8, vcc, s7, v1
	v_addc_co_u32_e32 v9, vcc, 0, v7, vcc
	flat_load_ushort v7, v[8:9] offset:2560
.LBB2188_15:
	s_or_b64 exec, exec, s[0:1]
	v_or_b32_e32 v8, 0x600, v0
	v_cmp_gt_u32_e32 vcc, s33, v8
                                        ; implicit-def: $vgpr8
	s_and_saveexec_b64 s[0:1], vcc
	s_cbranch_execz .LBB2188_17
; %bb.16:
	v_mov_b32_e32 v9, s10
	v_add_co_u32_e32 v8, vcc, s7, v1
	v_addc_co_u32_e32 v9, vcc, 0, v9, vcc
	flat_load_ushort v8, v[8:9] offset:3072
.LBB2188_17:
	s_or_b64 exec, exec, s[0:1]
	v_or_b32_e32 v9, 0x700, v0
	v_cmp_gt_u32_e32 vcc, s33, v9
                                        ; implicit-def: $vgpr9
	s_and_saveexec_b64 s[0:1], vcc
	s_cbranch_execz .LBB2188_19
; %bb.18:
	v_mov_b32_e32 v9, s10
	v_add_co_u32_e32 v10, vcc, s7, v1
	v_addc_co_u32_e32 v11, vcc, 0, v9, vcc
	flat_load_ushort v9, v[10:11] offset:3584
.LBB2188_19:
	s_or_b64 exec, exec, s[0:1]
	v_or_b32_e32 v11, 0x800, v0
	v_cmp_gt_u32_e32 vcc, s33, v11
                                        ; implicit-def: $vgpr10
	s_and_saveexec_b64 s[0:1], vcc
	s_cbranch_execz .LBB2188_21
; %bb.20:
	v_lshlrev_b32_e32 v10, 1, v11
	v_mov_b32_e32 v11, s10
	v_add_co_u32_e32 v10, vcc, s7, v10
	v_addc_co_u32_e32 v11, vcc, 0, v11, vcc
	flat_load_ushort v10, v[10:11]
.LBB2188_21:
	s_or_b64 exec, exec, s[0:1]
	v_or_b32_e32 v12, 0x900, v0
	v_cmp_gt_u32_e32 vcc, s33, v12
                                        ; implicit-def: $vgpr11
	s_and_saveexec_b64 s[0:1], vcc
	s_cbranch_execz .LBB2188_23
; %bb.22:
	v_lshlrev_b32_e32 v11, 1, v12
	v_mov_b32_e32 v13, s10
	v_add_co_u32_e32 v12, vcc, s7, v11
	v_addc_co_u32_e32 v13, vcc, 0, v13, vcc
	flat_load_ushort v11, v[12:13]
.LBB2188_23:
	s_or_b64 exec, exec, s[0:1]
	v_or_b32_e32 v13, 0xa00, v0
	v_cmp_gt_u32_e32 vcc, s33, v13
                                        ; implicit-def: $vgpr12
	s_and_saveexec_b64 s[0:1], vcc
	s_cbranch_execz .LBB2188_25
; %bb.24:
	v_lshlrev_b32_e32 v12, 1, v13
	v_mov_b32_e32 v13, s10
	v_add_co_u32_e32 v12, vcc, s7, v12
	v_addc_co_u32_e32 v13, vcc, 0, v13, vcc
	flat_load_ushort v12, v[12:13]
.LBB2188_25:
	s_or_b64 exec, exec, s[0:1]
	v_or_b32_e32 v14, 0xb00, v0
	v_cmp_gt_u32_e32 vcc, s33, v14
                                        ; implicit-def: $vgpr13
	s_and_saveexec_b64 s[0:1], vcc
	s_cbranch_execz .LBB2188_27
; %bb.26:
	v_lshlrev_b32_e32 v13, 1, v14
	v_mov_b32_e32 v15, s10
	v_add_co_u32_e32 v14, vcc, s7, v13
	v_addc_co_u32_e32 v15, vcc, 0, v15, vcc
	flat_load_ushort v13, v[14:15]
.LBB2188_27:
	s_or_b64 exec, exec, s[0:1]
	v_or_b32_e32 v15, 0xc00, v0
	v_cmp_gt_u32_e32 vcc, s33, v15
                                        ; implicit-def: $vgpr14
	s_and_saveexec_b64 s[0:1], vcc
	s_cbranch_execz .LBB2188_29
; %bb.28:
	v_lshlrev_b32_e32 v14, 1, v15
	v_mov_b32_e32 v15, s10
	v_add_co_u32_e32 v14, vcc, s7, v14
	v_addc_co_u32_e32 v15, vcc, 0, v15, vcc
	flat_load_ushort v14, v[14:15]
.LBB2188_29:
	s_or_b64 exec, exec, s[0:1]
	v_or_b32_e32 v16, 0xd00, v0
	v_cmp_gt_u32_e32 vcc, s33, v16
                                        ; implicit-def: $vgpr15
	s_and_saveexec_b64 s[0:1], vcc
	s_cbranch_execz .LBB2188_31
; %bb.30:
	v_lshlrev_b32_e32 v15, 1, v16
	v_mov_b32_e32 v17, s10
	v_add_co_u32_e32 v16, vcc, s7, v15
	v_addc_co_u32_e32 v17, vcc, 0, v17, vcc
	flat_load_ushort v15, v[16:17]
.LBB2188_31:
	s_or_b64 exec, exec, s[0:1]
	v_or_b32_e32 v17, 0xe00, v0
	v_cmp_gt_u32_e32 vcc, s33, v17
                                        ; implicit-def: $vgpr16
	s_and_saveexec_b64 s[0:1], vcc
	s_cbranch_execz .LBB2188_33
; %bb.32:
	v_lshlrev_b32_e32 v16, 1, v17
	v_mov_b32_e32 v17, s10
	v_add_co_u32_e32 v16, vcc, s7, v16
	v_addc_co_u32_e32 v17, vcc, 0, v17, vcc
	flat_load_ushort v16, v[16:17]
.LBB2188_33:
	s_or_b64 exec, exec, s[0:1]
	v_or_b32_e32 v18, 0xf00, v0
	v_cmp_gt_u32_e32 vcc, s33, v18
                                        ; implicit-def: $vgpr17
	s_and_saveexec_b64 s[0:1], vcc
	s_cbranch_execz .LBB2188_35
; %bb.34:
	v_lshlrev_b32_e32 v17, 1, v18
	v_mov_b32_e32 v19, s10
	v_add_co_u32_e32 v18, vcc, s7, v17
	v_addc_co_u32_e32 v19, vcc, 0, v19, vcc
	flat_load_ushort v17, v[18:19]
.LBB2188_35:
	s_or_b64 exec, exec, s[0:1]
	v_or_b32_e32 v19, 0x1000, v0
	v_cmp_gt_u32_e32 vcc, s33, v19
                                        ; implicit-def: $vgpr18
	s_and_saveexec_b64 s[0:1], vcc
	s_cbranch_execz .LBB2188_37
; %bb.36:
	v_lshlrev_b32_e32 v18, 1, v19
	v_mov_b32_e32 v19, s10
	v_add_co_u32_e32 v18, vcc, s7, v18
	v_addc_co_u32_e32 v19, vcc, 0, v19, vcc
	flat_load_ushort v18, v[18:19]
.LBB2188_37:
	s_or_b64 exec, exec, s[0:1]
	v_or_b32_e32 v20, 0x1100, v0
	v_cmp_gt_u32_e32 vcc, s33, v20
                                        ; implicit-def: $vgpr19
	s_and_saveexec_b64 s[0:1], vcc
	s_cbranch_execz .LBB2188_39
; %bb.38:
	v_lshlrev_b32_e32 v19, 1, v20
	v_mov_b32_e32 v21, s10
	v_add_co_u32_e32 v20, vcc, s7, v19
	v_addc_co_u32_e32 v21, vcc, 0, v21, vcc
	flat_load_ushort v19, v[20:21]
.LBB2188_39:
	s_or_b64 exec, exec, s[0:1]
	v_or_b32_e32 v21, 0x1200, v0
	v_cmp_gt_u32_e32 vcc, s33, v21
                                        ; implicit-def: $vgpr20
	s_and_saveexec_b64 s[0:1], vcc
	s_cbranch_execz .LBB2188_41
; %bb.40:
	v_lshlrev_b32_e32 v20, 1, v21
	v_mov_b32_e32 v21, s10
	v_add_co_u32_e32 v20, vcc, s7, v20
	v_addc_co_u32_e32 v21, vcc, 0, v21, vcc
	flat_load_ushort v20, v[20:21]
.LBB2188_41:
	s_or_b64 exec, exec, s[0:1]
	v_or_b32_e32 v22, 0x1300, v0
	v_cmp_gt_u32_e32 vcc, s33, v22
                                        ; implicit-def: $vgpr21
	s_and_saveexec_b64 s[0:1], vcc
	s_cbranch_execz .LBB2188_43
; %bb.42:
	v_lshlrev_b32_e32 v21, 1, v22
	v_mov_b32_e32 v23, s10
	v_add_co_u32_e32 v22, vcc, s7, v21
	v_addc_co_u32_e32 v23, vcc, 0, v23, vcc
	flat_load_ushort v21, v[22:23]
.LBB2188_43:
	s_or_b64 exec, exec, s[0:1]
	v_or_b32_e32 v23, 0x1400, v0
	v_cmp_gt_u32_e32 vcc, s33, v23
                                        ; implicit-def: $vgpr22
	s_and_saveexec_b64 s[0:1], vcc
	s_cbranch_execz .LBB2188_45
; %bb.44:
	v_lshlrev_b32_e32 v22, 1, v23
	v_mov_b32_e32 v23, s10
	v_add_co_u32_e32 v22, vcc, s7, v22
	v_addc_co_u32_e32 v23, vcc, 0, v23, vcc
	flat_load_ushort v22, v[22:23]
.LBB2188_45:
	s_or_b64 exec, exec, s[0:1]
	v_or_b32_e32 v24, 0x1500, v0
	v_cmp_gt_u32_e32 vcc, s33, v24
                                        ; implicit-def: $vgpr23
	s_and_saveexec_b64 s[0:1], vcc
	s_cbranch_execz .LBB2188_47
; %bb.46:
	v_lshlrev_b32_e32 v23, 1, v24
	v_mov_b32_e32 v25, s10
	v_add_co_u32_e32 v24, vcc, s7, v23
	v_addc_co_u32_e32 v25, vcc, 0, v25, vcc
	flat_load_ushort v23, v[24:25]
.LBB2188_47:
	s_or_b64 exec, exec, s[0:1]
	v_or_b32_e32 v25, 0x1600, v0
	v_cmp_gt_u32_e32 vcc, s33, v25
                                        ; implicit-def: $vgpr24
	s_and_saveexec_b64 s[0:1], vcc
	s_cbranch_execz .LBB2188_49
; %bb.48:
	v_lshlrev_b32_e32 v24, 1, v25
	v_mov_b32_e32 v25, s10
	v_add_co_u32_e32 v24, vcc, s7, v24
	v_addc_co_u32_e32 v25, vcc, 0, v25, vcc
	flat_load_ushort v24, v[24:25]
.LBB2188_49:
	s_or_b64 exec, exec, s[0:1]
	v_or_b32_e32 v26, 0x1700, v0
	v_cmp_gt_u32_e32 vcc, s33, v26
                                        ; implicit-def: $vgpr25
	s_and_saveexec_b64 s[0:1], vcc
	s_cbranch_execz .LBB2188_51
; %bb.50:
	v_lshlrev_b32_e32 v25, 1, v26
	v_mov_b32_e32 v27, s10
	v_add_co_u32_e32 v26, vcc, s7, v25
	v_addc_co_u32_e32 v27, vcc, 0, v27, vcc
	flat_load_ushort v25, v[26:27]
.LBB2188_51:
	s_or_b64 exec, exec, s[0:1]
	v_or_b32_e32 v27, 0x1800, v0
	v_cmp_gt_u32_e32 vcc, s33, v27
                                        ; implicit-def: $vgpr26
	s_and_saveexec_b64 s[0:1], vcc
	s_cbranch_execz .LBB2188_53
; %bb.52:
	v_lshlrev_b32_e32 v26, 1, v27
	v_mov_b32_e32 v27, s10
	v_add_co_u32_e32 v26, vcc, s7, v26
	v_addc_co_u32_e32 v27, vcc, 0, v27, vcc
	flat_load_ushort v26, v[26:27]
.LBB2188_53:
	s_or_b64 exec, exec, s[0:1]
	v_or_b32_e32 v28, 0x1900, v0
	v_cmp_gt_u32_e32 vcc, s33, v28
                                        ; implicit-def: $vgpr27
	s_and_saveexec_b64 s[0:1], vcc
	s_cbranch_execz .LBB2188_55
; %bb.54:
	v_lshlrev_b32_e32 v27, 1, v28
	v_mov_b32_e32 v29, s10
	v_add_co_u32_e32 v28, vcc, s7, v27
	v_addc_co_u32_e32 v29, vcc, 0, v29, vcc
	flat_load_ushort v27, v[28:29]
.LBB2188_55:
	s_or_b64 exec, exec, s[0:1]
	v_or_b32_e32 v29, 0x1a00, v0
	v_cmp_gt_u32_e32 vcc, s33, v29
                                        ; implicit-def: $vgpr28
	s_and_saveexec_b64 s[0:1], vcc
	s_cbranch_execz .LBB2188_57
; %bb.56:
	v_lshlrev_b32_e32 v28, 1, v29
	v_mov_b32_e32 v29, s10
	v_add_co_u32_e32 v28, vcc, s7, v28
	v_addc_co_u32_e32 v29, vcc, 0, v29, vcc
	flat_load_ushort v28, v[28:29]
.LBB2188_57:
	s_or_b64 exec, exec, s[0:1]
	v_or_b32_e32 v30, 0x1b00, v0
	v_cmp_gt_u32_e32 vcc, s33, v30
                                        ; implicit-def: $vgpr29
	s_and_saveexec_b64 s[0:1], vcc
	s_cbranch_execz .LBB2188_59
; %bb.58:
	v_lshlrev_b32_e32 v29, 1, v30
	v_mov_b32_e32 v31, s10
	v_add_co_u32_e32 v30, vcc, s7, v29
	v_addc_co_u32_e32 v31, vcc, 0, v31, vcc
	flat_load_ushort v29, v[30:31]
.LBB2188_59:
	s_or_b64 exec, exec, s[0:1]
	s_waitcnt vmcnt(0) lgkmcnt(0)
	ds_write_b16 v1, v2
	ds_write_b16 v1, v3 offset:512
	ds_write_b16 v1, v4 offset:1024
	;; [unrolled: 1-line block ×27, first 2 shown]
	s_waitcnt lgkmcnt(0)
	s_barrier
.LBB2188_60:
	v_mul_u32_u24_e32 v39, 28, v0
	v_lshlrev_b32_e32 v6, 1, v39
	s_waitcnt lgkmcnt(0)
	ds_read_b64 v[14:15], v6 offset:48
	ds_read2_b64 v[2:5], v6 offset0:4 offset1:5
	ds_read2_b64 v[10:13], v6 offset1:1
	ds_read2_b64 v[6:9], v6 offset0:2 offset1:3
	v_cndmask_b32_e64 v16, 0, 1, s[2:3]
	s_waitcnt lgkmcnt(3)
	v_lshrrev_b32_e32 v27, 16, v14
	v_lshrrev_b32_e32 v26, 16, v15
	s_waitcnt lgkmcnt(2)
	v_lshrrev_b32_e32 v31, 16, v2
	v_lshrrev_b32_e32 v30, 16, v3
	v_lshrrev_b32_e32 v29, 16, v4
	v_lshrrev_b32_e32 v28, 16, v5
	s_waitcnt lgkmcnt(1)
	v_lshrrev_b32_e32 v40, 16, v10
	v_lshrrev_b32_e32 v38, 16, v11
	;; [unrolled: 5-line block ×3, first 2 shown]
	v_lshrrev_b32_e32 v33, 16, v8
	v_lshrrev_b32_e32 v32, 16, v9
	v_cmp_ne_u32_e64 s[0:1], 1, v16
	s_andn2_b64 vcc, exec, s[2:3]
	v_xor_b32_e32 v86, -1, v10
	v_xor_b32_e32 v85, -1, v40
	;; [unrolled: 1-line block ×28, first 2 shown]
	s_barrier
	s_cbranch_vccnz .LBB2188_62
; %bb.61:
	v_and_b32_e32 v68, 1, v86
	v_and_b32_e32 v67, 1, v85
	;; [unrolled: 1-line block ×28, first 2 shown]
	s_load_dwordx2 s[34:35], s[4:5], 0x68
	s_cbranch_execz .LBB2188_63
	s_branch .LBB2188_64
.LBB2188_62:
                                        ; implicit-def: $vgpr68
                                        ; implicit-def: $vgpr67
                                        ; implicit-def: $vgpr66
                                        ; implicit-def: $vgpr65
                                        ; implicit-def: $vgpr64
                                        ; implicit-def: $vgpr63
                                        ; implicit-def: $vgpr62
                                        ; implicit-def: $vgpr61
                                        ; implicit-def: $vgpr60
                                        ; implicit-def: $vgpr59
                                        ; implicit-def: $vgpr58
                                        ; implicit-def: $vgpr57
                                        ; implicit-def: $vgpr56
                                        ; implicit-def: $vgpr55
                                        ; implicit-def: $vgpr54
                                        ; implicit-def: $vgpr53
                                        ; implicit-def: $vgpr52
                                        ; implicit-def: $vgpr51
                                        ; implicit-def: $vgpr50
                                        ; implicit-def: $vgpr49
                                        ; implicit-def: $vgpr48
                                        ; implicit-def: $vgpr47
                                        ; implicit-def: $vgpr46
                                        ; implicit-def: $vgpr45
                                        ; implicit-def: $vgpr44
                                        ; implicit-def: $vgpr43
                                        ; implicit-def: $vgpr41
                                        ; implicit-def: $vgpr42
	s_load_dwordx2 s[34:35], s[4:5], 0x68
.LBB2188_63:
	v_or_b32_e32 v50, 1, v39
	v_cmp_gt_u32_e32 vcc, s33, v39
	v_or_b32_e32 v51, 2, v39
	v_cndmask_b32_e64 v59, 0, 1, vcc
	v_cmp_gt_u32_e32 vcc, s33, v50
	v_or_b32_e32 v52, 3, v39
	v_cndmask_b32_e64 v50, 0, 1, vcc
	v_cmp_gt_u32_e32 vcc, s33, v51
	v_add_u32_e32 v53, 4, v39
	v_and_b32_e32 v67, v50, v85
	v_cndmask_b32_e64 v50, 0, 1, vcc
	v_cmp_gt_u32_e32 vcc, s33, v52
	v_add_u32_e32 v54, 5, v39
	v_and_b32_e32 v66, v50, v84
	;; [unrolled: 4-line block ×9, first 2 shown]
	v_and_b32_e32 v59, v50, v77
	v_cndmask_b32_e64 v50, 0, 1, vcc
	v_cmp_gt_u32_e32 vcc, s33, v88
	v_add_u32_e32 v90, 13, v39
	v_and_b32_e32 v58, v50, v76
	v_cndmask_b32_e64 v50, 0, 1, vcc
	v_cmp_gt_u32_e32 vcc, s33, v89
	v_add_u32_e32 v91, 14, v39
	;; [unrolled: 4-line block ×15, first 2 shown]
	v_and_b32_e32 v44, v20, v19
	v_cndmask_b32_e64 v19, 0, 1, vcc
	v_cmp_gt_u32_e32 vcc, s33, v41
	v_and_b32_e32 v43, v19, v18
	v_cndmask_b32_e64 v18, 0, 1, vcc
	v_cmp_gt_u32_e32 vcc, s33, v42
	v_and_b32_e32 v41, v18, v17
	v_cndmask_b32_e64 v17, 0, 1, vcc
	v_and_b32_e32 v42, v17, v16
.LBB2188_64:
	v_and_b32_e32 v93, 0xff, v44
	v_and_b32_e32 v94, 0xff, v43
	v_add_u32_sdwa v16, v41, v42 dst_sel:DWORD dst_unused:UNUSED_PAD src0_sel:BYTE_0 src1_sel:BYTE_0
	v_and_b32_e32 v91, 0xff, v46
	v_and_b32_e32 v92, 0xff, v45
	v_add3_u32 v16, v16, v94, v93
	v_and_b32_e32 v89, 0xff, v48
	v_and_b32_e32 v90, 0xff, v47
	v_add3_u32 v16, v16, v92, v91
	;; [unrolled: 3-line block ×12, first 2 shown]
	v_add3_u32 v97, v16, v70, v69
	v_mbcnt_lo_u32_b32 v16, -1, 0
	v_mbcnt_hi_u32_b32 v95, -1, v16
	v_and_b32_e32 v16, 15, v95
	v_cmp_eq_u32_e64 s[16:17], 0, v16
	v_cmp_lt_u32_e64 s[14:15], 1, v16
	v_cmp_lt_u32_e64 s[12:13], 3, v16
	;; [unrolled: 1-line block ×3, first 2 shown]
	v_and_b32_e32 v16, 16, v95
	v_cmp_eq_u32_e64 s[8:9], 0, v16
	v_or_b32_e32 v16, 63, v0
	s_cmp_lg_u32 s6, 0
	v_cmp_lt_u32_e64 s[2:3], 31, v95
	v_lshrrev_b32_e32 v96, 6, v0
	v_cmp_eq_u32_e64 s[20:21], v16, v0
	s_cbranch_scc0 .LBB2188_95
; %bb.65:
	v_mov_b32_dpp v16, v97 row_shr:1 row_mask:0xf bank_mask:0xf
	v_cndmask_b32_e64 v16, v16, 0, s[16:17]
	v_add_u32_e32 v16, v16, v97
	s_nop 1
	v_mov_b32_dpp v17, v16 row_shr:2 row_mask:0xf bank_mask:0xf
	v_cndmask_b32_e64 v17, 0, v17, s[14:15]
	v_add_u32_e32 v16, v16, v17
	s_nop 1
	;; [unrolled: 4-line block ×4, first 2 shown]
	v_mov_b32_dpp v17, v16 row_bcast:15 row_mask:0xf bank_mask:0xf
	v_cndmask_b32_e64 v17, v17, 0, s[8:9]
	v_add_u32_e32 v16, v16, v17
	s_nop 1
	v_mov_b32_dpp v17, v16 row_bcast:31 row_mask:0xf bank_mask:0xf
	v_cndmask_b32_e64 v17, 0, v17, s[2:3]
	v_add_u32_e32 v16, v16, v17
	s_and_saveexec_b64 s[18:19], s[20:21]
	s_cbranch_execz .LBB2188_67
; %bb.66:
	v_lshlrev_b32_e32 v17, 2, v96
	ds_write_b32 v17, v16
.LBB2188_67:
	s_or_b64 exec, exec, s[18:19]
	v_cmp_gt_u32_e32 vcc, 4, v0
	s_waitcnt lgkmcnt(0)
	s_barrier
	s_and_saveexec_b64 s[18:19], vcc
	s_cbranch_execz .LBB2188_69
; %bb.68:
	v_lshlrev_b32_e32 v17, 2, v0
	ds_read_b32 v18, v17
	v_and_b32_e32 v19, 3, v95
	v_cmp_ne_u32_e32 vcc, 0, v19
	s_waitcnt lgkmcnt(0)
	v_mov_b32_dpp v20, v18 row_shr:1 row_mask:0xf bank_mask:0xf
	v_cndmask_b32_e32 v20, 0, v20, vcc
	v_add_u32_e32 v18, v20, v18
	v_cmp_lt_u32_e32 vcc, 1, v19
	s_nop 0
	v_mov_b32_dpp v20, v18 row_shr:2 row_mask:0xf bank_mask:0xf
	v_cndmask_b32_e32 v19, 0, v20, vcc
	v_add_u32_e32 v18, v18, v19
	ds_write_b32 v17, v18
.LBB2188_69:
	s_or_b64 exec, exec, s[18:19]
	v_cmp_gt_u32_e32 vcc, 64, v0
	v_cmp_lt_u32_e64 s[18:19], 63, v0
	s_waitcnt lgkmcnt(0)
	s_barrier
	s_waitcnt lgkmcnt(0)
                                        ; implicit-def: $vgpr98
	s_and_saveexec_b64 s[36:37], s[18:19]
	s_cbranch_execz .LBB2188_71
; %bb.70:
	v_lshl_add_u32 v17, v96, 2, -4
	ds_read_b32 v98, v17
	s_waitcnt lgkmcnt(0)
	v_add_u32_e32 v16, v98, v16
.LBB2188_71:
	s_or_b64 exec, exec, s[36:37]
	v_add_u32_e32 v17, -1, v95
	v_and_b32_e32 v18, 64, v95
	v_cmp_lt_i32_e64 s[18:19], v17, v18
	v_cndmask_b32_e64 v17, v17, v95, s[18:19]
	v_lshlrev_b32_e32 v17, 2, v17
	ds_bpermute_b32 v99, v17, v16
	v_cmp_eq_u32_e64 s[18:19], 0, v95
	s_and_saveexec_b64 s[36:37], vcc
	s_cbranch_execz .LBB2188_94
; %bb.72:
	v_mov_b32_e32 v25, 0
	ds_read_b32 v16, v25 offset:12
	s_and_saveexec_b64 s[38:39], s[18:19]
	s_cbranch_execz .LBB2188_74
; %bb.73:
	s_add_i32 s40, s6, 64
	s_mov_b32 s41, 0
	s_lshl_b64 s[40:41], s[40:41], 3
	s_add_u32 s40, s34, s40
	v_mov_b32_e32 v17, 1
	s_addc_u32 s41, s35, s41
	s_waitcnt lgkmcnt(0)
	global_store_dwordx2 v25, v[16:17], s[40:41]
.LBB2188_74:
	s_or_b64 exec, exec, s[38:39]
	v_xad_u32 v18, v95, -1, s6
	v_add_u32_e32 v24, 64, v18
	v_lshlrev_b64 v[20:21], 3, v[24:25]
	v_mov_b32_e32 v17, s35
	v_add_co_u32_e32 v20, vcc, s34, v20
	v_addc_co_u32_e32 v21, vcc, v17, v21, vcc
	global_load_dwordx2 v[22:23], v[20:21], off glc
	s_waitcnt vmcnt(0)
	v_cmp_eq_u16_sdwa s[40:41], v23, v25 src0_sel:BYTE_0 src1_sel:DWORD
	s_and_saveexec_b64 s[38:39], s[40:41]
	s_cbranch_execz .LBB2188_80
; %bb.75:
	s_mov_b32 s7, 1
	s_mov_b64 s[40:41], 0
	v_mov_b32_e32 v17, 0
.LBB2188_76:                            ; =>This Loop Header: Depth=1
                                        ;     Child Loop BB2188_77 Depth 2
	s_max_u32 s42, s7, 1
.LBB2188_77:                            ;   Parent Loop BB2188_76 Depth=1
                                        ; =>  This Inner Loop Header: Depth=2
	s_add_i32 s42, s42, -1
	s_cmp_eq_u32 s42, 0
	s_sleep 1
	s_cbranch_scc0 .LBB2188_77
; %bb.78:                               ;   in Loop: Header=BB2188_76 Depth=1
	global_load_dwordx2 v[22:23], v[20:21], off glc
	s_cmp_lt_u32 s7, 32
	s_cselect_b64 s[42:43], -1, 0
	s_cmp_lg_u64 s[42:43], 0
	s_addc_u32 s7, s7, 0
	s_waitcnt vmcnt(0)
	v_cmp_ne_u16_sdwa s[42:43], v23, v17 src0_sel:BYTE_0 src1_sel:DWORD
	s_or_b64 s[40:41], s[42:43], s[40:41]
	s_andn2_b64 exec, exec, s[40:41]
	s_cbranch_execnz .LBB2188_76
; %bb.79:
	s_or_b64 exec, exec, s[40:41]
.LBB2188_80:
	s_or_b64 exec, exec, s[38:39]
	v_and_b32_e32 v101, 63, v95
	v_mov_b32_e32 v100, 2
	v_cmp_ne_u32_e32 vcc, 63, v101
	v_cmp_eq_u16_sdwa s[38:39], v23, v100 src0_sel:BYTE_0 src1_sel:DWORD
	v_lshlrev_b64 v[20:21], v95, -1
	v_addc_co_u32_e32 v24, vcc, 0, v95, vcc
	v_and_b32_e32 v17, s39, v21
	v_lshlrev_b32_e32 v102, 2, v24
	v_or_b32_e32 v17, 0x80000000, v17
	ds_bpermute_b32 v24, v102, v22
	v_and_b32_e32 v19, s38, v20
	v_ffbl_b32_e32 v17, v17
	v_add_u32_e32 v17, 32, v17
	v_ffbl_b32_e32 v19, v19
	v_min_u32_e32 v17, v19, v17
	v_cmp_lt_u32_e32 vcc, v101, v17
	s_waitcnt lgkmcnt(0)
	v_cndmask_b32_e32 v19, 0, v24, vcc
	v_cmp_gt_u32_e32 vcc, 62, v101
	v_add_u32_e32 v19, v19, v22
	v_cndmask_b32_e64 v22, 0, 1, vcc
	v_lshlrev_b32_e32 v22, 1, v22
	v_add_lshl_u32 v103, v22, v95, 2
	ds_bpermute_b32 v22, v103, v19
	v_add_u32_e32 v104, 2, v101
	v_cmp_le_u32_e32 vcc, v104, v17
	v_add_u32_e32 v106, 4, v101
	v_add_u32_e32 v108, 8, v101
	s_waitcnt lgkmcnt(0)
	v_cndmask_b32_e32 v22, 0, v22, vcc
	v_cmp_gt_u32_e32 vcc, 60, v101
	v_add_u32_e32 v19, v19, v22
	v_cndmask_b32_e64 v22, 0, 1, vcc
	v_lshlrev_b32_e32 v22, 2, v22
	v_add_lshl_u32 v105, v22, v95, 2
	ds_bpermute_b32 v22, v105, v19
	v_cmp_le_u32_e32 vcc, v106, v17
	v_add_u32_e32 v110, 16, v101
	v_add_u32_e32 v112, 32, v101
	s_waitcnt lgkmcnt(0)
	v_cndmask_b32_e32 v22, 0, v22, vcc
	v_cmp_gt_u32_e32 vcc, 56, v101
	v_add_u32_e32 v19, v19, v22
	v_cndmask_b32_e64 v22, 0, 1, vcc
	v_lshlrev_b32_e32 v22, 3, v22
	v_add_lshl_u32 v107, v22, v95, 2
	ds_bpermute_b32 v22, v107, v19
	v_cmp_le_u32_e32 vcc, v108, v17
	s_waitcnt lgkmcnt(0)
	v_cndmask_b32_e32 v22, 0, v22, vcc
	v_cmp_gt_u32_e32 vcc, 48, v101
	v_add_u32_e32 v19, v19, v22
	v_cndmask_b32_e64 v22, 0, 1, vcc
	v_lshlrev_b32_e32 v22, 4, v22
	v_add_lshl_u32 v109, v22, v95, 2
	ds_bpermute_b32 v22, v109, v19
	v_cmp_le_u32_e32 vcc, v110, v17
	;; [unrolled: 9-line block ×3, first 2 shown]
	s_waitcnt lgkmcnt(0)
	v_cndmask_b32_e32 v17, 0, v22, vcc
	v_add_u32_e32 v22, v19, v17
	v_mov_b32_e32 v19, 0
	s_branch .LBB2188_82
.LBB2188_81:                            ;   in Loop: Header=BB2188_82 Depth=1
	s_or_b64 exec, exec, s[38:39]
	v_cmp_eq_u16_sdwa s[38:39], v23, v100 src0_sel:BYTE_0 src1_sel:DWORD
	v_and_b32_e32 v24, s39, v21
	v_or_b32_e32 v24, 0x80000000, v24
	ds_bpermute_b32 v113, v102, v22
	v_and_b32_e32 v25, s38, v20
	v_ffbl_b32_e32 v24, v24
	v_add_u32_e32 v24, 32, v24
	v_ffbl_b32_e32 v25, v25
	v_min_u32_e32 v24, v25, v24
	v_cmp_lt_u32_e32 vcc, v101, v24
	s_waitcnt lgkmcnt(0)
	v_cndmask_b32_e32 v25, 0, v113, vcc
	v_add_u32_e32 v22, v25, v22
	ds_bpermute_b32 v25, v103, v22
	v_cmp_le_u32_e32 vcc, v104, v24
	v_subrev_u32_e32 v18, 64, v18
	s_waitcnt lgkmcnt(0)
	v_cndmask_b32_e32 v25, 0, v25, vcc
	v_add_u32_e32 v22, v22, v25
	ds_bpermute_b32 v25, v105, v22
	v_cmp_le_u32_e32 vcc, v106, v24
	s_waitcnt lgkmcnt(0)
	v_cndmask_b32_e32 v25, 0, v25, vcc
	v_add_u32_e32 v22, v22, v25
	ds_bpermute_b32 v25, v107, v22
	v_cmp_le_u32_e32 vcc, v108, v24
	;; [unrolled: 5-line block ×4, first 2 shown]
	s_waitcnt lgkmcnt(0)
	v_cndmask_b32_e32 v24, 0, v25, vcc
	v_add3_u32 v22, v24, v17, v22
.LBB2188_82:                            ; =>This Loop Header: Depth=1
                                        ;     Child Loop BB2188_85 Depth 2
                                        ;       Child Loop BB2188_86 Depth 3
	v_cmp_ne_u16_sdwa s[38:39], v23, v100 src0_sel:BYTE_0 src1_sel:DWORD
	v_cndmask_b32_e64 v17, 0, 1, s[38:39]
	;;#ASMSTART
	;;#ASMEND
	v_cmp_ne_u32_e32 vcc, 0, v17
	s_cmp_lg_u64 vcc, exec
	v_mov_b32_e32 v17, v22
	s_cbranch_scc1 .LBB2188_89
; %bb.83:                               ;   in Loop: Header=BB2188_82 Depth=1
	v_lshlrev_b64 v[22:23], 3, v[18:19]
	v_mov_b32_e32 v25, s35
	v_add_co_u32_e32 v24, vcc, s34, v22
	v_addc_co_u32_e32 v25, vcc, v25, v23, vcc
	global_load_dwordx2 v[22:23], v[24:25], off glc
	s_waitcnt vmcnt(0)
	v_cmp_eq_u16_sdwa s[40:41], v23, v19 src0_sel:BYTE_0 src1_sel:DWORD
	s_and_saveexec_b64 s[38:39], s[40:41]
	s_cbranch_execz .LBB2188_81
; %bb.84:                               ;   in Loop: Header=BB2188_82 Depth=1
	s_mov_b32 s7, 1
	s_mov_b64 s[40:41], 0
.LBB2188_85:                            ;   Parent Loop BB2188_82 Depth=1
                                        ; =>  This Loop Header: Depth=2
                                        ;       Child Loop BB2188_86 Depth 3
	s_max_u32 s42, s7, 1
.LBB2188_86:                            ;   Parent Loop BB2188_82 Depth=1
                                        ;     Parent Loop BB2188_85 Depth=2
                                        ; =>    This Inner Loop Header: Depth=3
	s_add_i32 s42, s42, -1
	s_cmp_eq_u32 s42, 0
	s_sleep 1
	s_cbranch_scc0 .LBB2188_86
; %bb.87:                               ;   in Loop: Header=BB2188_85 Depth=2
	global_load_dwordx2 v[22:23], v[24:25], off glc
	s_cmp_lt_u32 s7, 32
	s_cselect_b64 s[42:43], -1, 0
	s_cmp_lg_u64 s[42:43], 0
	s_addc_u32 s7, s7, 0
	s_waitcnt vmcnt(0)
	v_cmp_ne_u16_sdwa s[42:43], v23, v19 src0_sel:BYTE_0 src1_sel:DWORD
	s_or_b64 s[40:41], s[42:43], s[40:41]
	s_andn2_b64 exec, exec, s[40:41]
	s_cbranch_execnz .LBB2188_85
; %bb.88:                               ;   in Loop: Header=BB2188_82 Depth=1
	s_or_b64 exec, exec, s[40:41]
	s_branch .LBB2188_81
.LBB2188_89:                            ;   in Loop: Header=BB2188_82 Depth=1
                                        ; implicit-def: $vgpr22
                                        ; implicit-def: $vgpr23
	s_cbranch_execz .LBB2188_82
; %bb.90:
	s_and_saveexec_b64 s[38:39], s[18:19]
	s_cbranch_execz .LBB2188_92
; %bb.91:
	s_add_i32 s6, s6, 64
	s_mov_b32 s7, 0
	s_lshl_b64 s[6:7], s[6:7], 3
	s_add_u32 s6, s34, s6
	v_add_u32_e32 v18, v17, v16
	v_mov_b32_e32 v19, 2
	s_addc_u32 s7, s35, s7
	v_mov_b32_e32 v20, 0
	global_store_dwordx2 v20, v[18:19], s[6:7]
	ds_write_b64 v20, v[16:17] offset:14336
.LBB2188_92:
	s_or_b64 exec, exec, s[38:39]
	v_cmp_eq_u32_e32 vcc, 0, v0
	s_and_b64 exec, exec, vcc
	s_cbranch_execz .LBB2188_94
; %bb.93:
	v_mov_b32_e32 v16, 0
	ds_write_b32 v16, v17 offset:12
.LBB2188_94:
	s_or_b64 exec, exec, s[36:37]
	v_mov_b32_e32 v16, 0
	s_waitcnt lgkmcnt(0)
	s_barrier
	ds_read_b32 v19, v16 offset:12
	s_waitcnt lgkmcnt(0)
	s_barrier
	ds_read_b64 v[16:17], v16 offset:14336
	v_cndmask_b32_e64 v18, v99, v98, s[18:19]
	v_cmp_ne_u32_e32 vcc, 0, v0
	v_cndmask_b32_e32 v18, 0, v18, vcc
	v_add_u32_e32 v18, v19, v18
	s_branch .LBB2188_105
.LBB2188_95:
                                        ; implicit-def: $vgpr17
                                        ; implicit-def: $vgpr18
	s_cbranch_execz .LBB2188_105
; %bb.96:
	s_waitcnt lgkmcnt(0)
	v_mov_b32_dpp v16, v97 row_shr:1 row_mask:0xf bank_mask:0xf
	v_cndmask_b32_e64 v16, v16, 0, s[16:17]
	v_add_u32_e32 v16, v16, v97
	s_nop 1
	v_mov_b32_dpp v17, v16 row_shr:2 row_mask:0xf bank_mask:0xf
	v_cndmask_b32_e64 v17, 0, v17, s[14:15]
	v_add_u32_e32 v16, v16, v17
	s_nop 1
	;; [unrolled: 4-line block ×4, first 2 shown]
	v_mov_b32_dpp v17, v16 row_bcast:15 row_mask:0xf bank_mask:0xf
	v_cndmask_b32_e64 v17, v17, 0, s[8:9]
	v_add_u32_e32 v16, v16, v17
	s_nop 1
	v_mov_b32_dpp v17, v16 row_bcast:31 row_mask:0xf bank_mask:0xf
	v_cndmask_b32_e64 v17, 0, v17, s[2:3]
	v_add_u32_e32 v16, v16, v17
	s_and_saveexec_b64 s[2:3], s[20:21]
	s_cbranch_execz .LBB2188_98
; %bb.97:
	v_lshlrev_b32_e32 v17, 2, v96
	ds_write_b32 v17, v16
.LBB2188_98:
	s_or_b64 exec, exec, s[2:3]
	v_cmp_gt_u32_e32 vcc, 4, v0
	s_waitcnt lgkmcnt(0)
	s_barrier
	s_and_saveexec_b64 s[2:3], vcc
	s_cbranch_execz .LBB2188_100
; %bb.99:
	v_lshlrev_b32_e32 v17, 2, v0
	ds_read_b32 v18, v17
	v_and_b32_e32 v19, 3, v95
	v_cmp_ne_u32_e32 vcc, 0, v19
	s_waitcnt lgkmcnt(0)
	v_mov_b32_dpp v20, v18 row_shr:1 row_mask:0xf bank_mask:0xf
	v_cndmask_b32_e32 v20, 0, v20, vcc
	v_add_u32_e32 v18, v20, v18
	v_cmp_lt_u32_e32 vcc, 1, v19
	s_nop 0
	v_mov_b32_dpp v20, v18 row_shr:2 row_mask:0xf bank_mask:0xf
	v_cndmask_b32_e32 v19, 0, v20, vcc
	v_add_u32_e32 v18, v18, v19
	ds_write_b32 v17, v18
.LBB2188_100:
	s_or_b64 exec, exec, s[2:3]
	v_cmp_lt_u32_e32 vcc, 63, v0
	v_mov_b32_e32 v17, 0
	v_mov_b32_e32 v18, 0
	s_waitcnt lgkmcnt(0)
	s_barrier
	s_and_saveexec_b64 s[2:3], vcc
	s_cbranch_execz .LBB2188_102
; %bb.101:
	v_lshl_add_u32 v18, v96, 2, -4
	ds_read_b32 v18, v18
.LBB2188_102:
	s_or_b64 exec, exec, s[2:3]
	v_add_u32_e32 v19, -1, v95
	v_and_b32_e32 v20, 64, v95
	v_cmp_lt_i32_e32 vcc, v19, v20
	v_cndmask_b32_e32 v19, v19, v95, vcc
	s_waitcnt lgkmcnt(0)
	v_add_u32_e32 v16, v18, v16
	v_lshlrev_b32_e32 v19, 2, v19
	ds_bpermute_b32 v19, v19, v16
	ds_read_b32 v16, v17 offset:12
	v_cmp_eq_u32_e32 vcc, 0, v0
	s_and_saveexec_b64 s[2:3], vcc
	s_cbranch_execz .LBB2188_104
; %bb.103:
	v_mov_b32_e32 v20, 0
	v_mov_b32_e32 v17, 2
	s_waitcnt lgkmcnt(0)
	global_store_dwordx2 v20, v[16:17], s[34:35] offset:512
.LBB2188_104:
	s_or_b64 exec, exec, s[2:3]
	v_cmp_eq_u32_e64 s[2:3], 0, v95
	s_waitcnt lgkmcnt(1)
	v_cndmask_b32_e64 v18, v19, v18, s[2:3]
	v_mov_b32_e32 v17, 0
	v_cndmask_b32_e64 v18, v18, 0, vcc
	s_waitcnt lgkmcnt(0)
	s_barrier
.LBB2188_105:
	v_add_u32_e32 v19, v18, v69
	v_add_u32_e32 v20, v19, v70
	;; [unrolled: 1-line block ×19, first 2 shown]
	s_waitcnt lgkmcnt(0)
	v_add_u32_e32 v39, v16, v39
	v_sub_u32_e32 v18, v18, v17
	v_and_b32_e32 v68, 1, v68
	v_add_u32_e32 v81, v80, v88
	v_sub_u32_e32 v88, v39, v18
	v_cmp_eq_u32_e32 vcc, 1, v68
	v_cndmask_b32_e32 v18, v88, v18, vcc
	v_lshlrev_b32_e32 v18, 1, v18
	ds_write_b16 v18, v10
	v_sub_u32_e32 v10, v19, v17
	v_sub_u32_e32 v18, v39, v10
	v_and_b32_e32 v19, 1, v67
	v_add_u32_e32 v18, 1, v18
	v_cmp_eq_u32_e32 vcc, 1, v19
	v_cndmask_b32_e32 v10, v18, v10, vcc
	v_lshlrev_b32_e32 v10, 1, v10
	ds_write_b16 v10, v40
	v_sub_u32_e32 v10, v20, v17
	v_sub_u32_e32 v18, v39, v10
	v_and_b32_e32 v19, 1, v66
	v_add_u32_e32 v18, 2, v18
	;; [unrolled: 8-line block ×20, first 2 shown]
	v_cmp_eq_u32_e32 vcc, 1, v6
	v_cndmask_b32_e32 v2, v3, v2, vcc
	v_add_u32_e32 v82, v81, v89
	v_lshlrev_b32_e32 v2, 1, v2
	ds_write_b16 v2, v4
	v_sub_u32_e32 v2, v82, v17
	v_sub_u32_e32 v3, v39, v2
	v_and_b32_e32 v4, 1, v47
	v_add_u32_e32 v3, 21, v3
	v_cmp_eq_u32_e32 vcc, 1, v4
	v_cndmask_b32_e32 v2, v3, v2, vcc
	v_add_u32_e32 v83, v82, v90
	v_lshlrev_b32_e32 v2, 1, v2
	ds_write_b16 v2, v29
	v_sub_u32_e32 v2, v83, v17
	v_sub_u32_e32 v3, v39, v2
	v_and_b32_e32 v4, 1, v46
	v_add_u32_e32 v3, 22, v3
	;; [unrolled: 9-line block ×6, first 2 shown]
	v_cmp_eq_u32_e32 vcc, 1, v4
	v_cndmask_b32_e32 v2, v3, v2, vcc
	v_lshlrev_b32_e32 v2, 1, v2
	ds_write_b16 v2, v15
	v_sub_u32_sdwa v2, v41, v17 dst_sel:DWORD dst_unused:UNUSED_PAD src0_sel:BYTE_0 src1_sel:DWORD
	v_add_u32_e32 v2, v87, v2
	v_sub_u32_e32 v3, v39, v2
	v_and_b32_e32 v4, 1, v42
	v_add_u32_e32 v3, 27, v3
	v_cmp_eq_u32_e32 vcc, 1, v4
	v_cndmask_b32_e32 v2, v3, v2, vcc
	v_lshlrev_b32_e32 v2, 1, v2
	ds_write_b16 v2, v26
	v_mov_b32_e32 v2, s31
	v_add_co_u32_e32 v66, vcc, s30, v17
	v_addc_co_u32_e32 v67, vcc, 0, v2, vcc
	s_load_dwordx4 s[4:7], s[4:5], 0x28
	s_waitcnt lgkmcnt(0)
	s_barrier
	ds_read_u16 v64, v1
	ds_read_u16 v63, v1 offset:512
	ds_read_u16 v61, v1 offset:1024
	;; [unrolled: 1-line block ×23, first 2 shown]
	v_add_co_u32_e32 v2, vcc, v66, v16
	v_addc_co_u32_e32 v3, vcc, 0, v67, vcc
	v_mov_b32_e32 v9, s23
	v_sub_co_u32_e32 v8, vcc, s22, v2
	v_subb_co_u32_e32 v9, vcc, v9, v3, vcc
	ds_read_u16 v15, v1 offset:12288
	ds_read_u16 v12, v1 offset:12800
	;; [unrolled: 1-line block ×4, first 2 shown]
	v_lshlrev_b64 v[8:9], 1, v[8:9]
	v_mov_b32_e32 v11, s7
	v_add_co_u32_e32 v8, vcc, s6, v8
	v_addc_co_u32_e32 v9, vcc, v11, v9, vcc
	v_mov_b32_e32 v11, s29
	v_add_co_u32_e32 v8, vcc, s28, v8
	v_addc_co_u32_e32 v9, vcc, v9, v11, vcc
	v_lshlrev_b64 v[66:67], 1, v[66:67]
	v_mov_b32_e32 v13, s5
	s_and_b64 vcc, exec, s[0:1]
	v_add_co_u32_e64 v11, s[0:1], s4, v66
	v_or_b32_e32 v62, 0x100, v0
	v_or_b32_e32 v60, 0x200, v0
	;; [unrolled: 1-line block ×27, first 2 shown]
	v_addc_co_u32_e64 v13, s[0:1], v13, v67, s[0:1]
	s_cbranch_vccnz .LBB2188_107
; %bb.106:
	v_cmp_lt_u32_e32 vcc, v0, v16
	v_cndmask_b32_e32 v65, v8, v11, vcc
	v_cndmask_b32_e32 v17, v9, v13, vcc
	v_add_co_u32_e32 v66, vcc, v65, v1
	v_addc_co_u32_e32 v67, vcc, 0, v17, vcc
	v_cmp_lt_u32_e32 vcc, v62, v16
	v_cndmask_b32_e32 v65, v8, v11, vcc
	s_waitcnt lgkmcnt(14)
	global_store_short v[66:67], v64, off
	v_cndmask_b32_e32 v17, v9, v13, vcc
	v_add_co_u32_e32 v66, vcc, v65, v1
	v_addc_co_u32_e32 v67, vcc, 0, v17, vcc
	v_cmp_lt_u32_e32 vcc, v60, v16
	v_cndmask_b32_e32 v65, v8, v11, vcc
	global_store_short v[66:67], v63, off offset:512
	v_cndmask_b32_e32 v17, v9, v13, vcc
	v_add_co_u32_e32 v66, vcc, v65, v1
	v_addc_co_u32_e32 v67, vcc, 0, v17, vcc
	v_cmp_lt_u32_e32 vcc, v58, v16
	v_cndmask_b32_e32 v65, v8, v11, vcc
	global_store_short v[66:67], v61, off offset:1024
	;; [unrolled: 6-line block ×6, first 2 shown]
	v_cndmask_b32_e32 v17, v9, v13, vcc
	v_add_co_u32_e32 v66, vcc, v65, v1
	v_addc_co_u32_e32 v67, vcc, 0, v17, vcc
	v_cmp_lt_u32_e32 vcc, v48, v16
	global_store_short v[66:67], v51, off offset:3584
	v_cndmask_b32_e32 v65, v8, v11, vcc
	v_lshlrev_b32_e32 v66, 1, v48
	v_cndmask_b32_e32 v17, v9, v13, vcc
	v_add_co_u32_e32 v66, vcc, v65, v66
	v_addc_co_u32_e32 v67, vcc, 0, v17, vcc
	v_cmp_lt_u32_e32 vcc, v46, v16
	global_store_short v[66:67], v49, off
	v_cndmask_b32_e32 v65, v8, v11, vcc
	v_lshlrev_b32_e32 v66, 1, v46
	v_cndmask_b32_e32 v17, v9, v13, vcc
	v_add_co_u32_e32 v66, vcc, v65, v66
	v_addc_co_u32_e32 v67, vcc, 0, v17, vcc
	v_cmp_lt_u32_e32 vcc, v44, v16
	global_store_short v[66:67], v47, off
	;; [unrolled: 7-line block ×6, first 2 shown]
	v_cndmask_b32_e32 v65, v8, v11, vcc
	v_lshlrev_b32_e32 v66, 1, v36
	v_cndmask_b32_e32 v17, v9, v13, vcc
	v_add_co_u32_e32 v66, vcc, v65, v66
	v_addc_co_u32_e32 v67, vcc, 0, v17, vcc
	v_cmp_lt_u32_e32 vcc, v33, v16
	s_waitcnt lgkmcnt(13)
	global_store_short v[66:67], v37, off
	v_cndmask_b32_e32 v65, v8, v11, vcc
	v_lshlrev_b32_e32 v66, 1, v33
	v_cndmask_b32_e32 v17, v9, v13, vcc
	v_add_co_u32_e32 v66, vcc, v65, v66
	v_addc_co_u32_e32 v67, vcc, 0, v17, vcc
	v_cmp_lt_u32_e32 vcc, v32, v16
	s_waitcnt lgkmcnt(12)
	global_store_short v[66:67], v35, off
	;; [unrolled: 8-line block ×12, first 2 shown]
	v_cndmask_b32_e32 v65, v8, v11, vcc
	v_lshlrev_b32_e32 v66, 1, v7
	v_cndmask_b32_e32 v17, v9, v13, vcc
	v_add_co_u32_e32 v66, vcc, v65, v66
	v_addc_co_u32_e32 v67, vcc, 0, v17, vcc
	s_mov_b64 s[0:1], -1
	s_waitcnt lgkmcnt(1)
	global_store_short v[66:67], v6, off
	s_cbranch_execz .LBB2188_108
	s_branch .LBB2188_137
.LBB2188_107:
	s_mov_b64 s[0:1], 0
.LBB2188_108:
	v_cmp_gt_u32_e32 vcc, s33, v0
	s_and_saveexec_b64 s[0:1], vcc
	s_cbranch_execnz .LBB2188_142
; %bb.109:
	s_or_b64 exec, exec, s[0:1]
	v_cmp_gt_u32_e32 vcc, s33, v62
	s_and_saveexec_b64 s[0:1], vcc
	s_cbranch_execnz .LBB2188_143
.LBB2188_110:
	s_or_b64 exec, exec, s[0:1]
	v_cmp_gt_u32_e32 vcc, s33, v60
	s_and_saveexec_b64 s[0:1], vcc
	s_cbranch_execnz .LBB2188_144
.LBB2188_111:
	s_or_b64 exec, exec, s[0:1]
	v_cmp_gt_u32_e32 vcc, s33, v58
	s_and_saveexec_b64 s[0:1], vcc
	s_cbranch_execnz .LBB2188_145
.LBB2188_112:
	s_or_b64 exec, exec, s[0:1]
	v_cmp_gt_u32_e32 vcc, s33, v56
	s_and_saveexec_b64 s[0:1], vcc
	s_cbranch_execnz .LBB2188_146
.LBB2188_113:
	s_or_b64 exec, exec, s[0:1]
	v_cmp_gt_u32_e32 vcc, s33, v54
	s_and_saveexec_b64 s[0:1], vcc
	s_cbranch_execnz .LBB2188_147
.LBB2188_114:
	s_or_b64 exec, exec, s[0:1]
	v_cmp_gt_u32_e32 vcc, s33, v52
	s_and_saveexec_b64 s[0:1], vcc
	s_cbranch_execnz .LBB2188_148
.LBB2188_115:
	s_or_b64 exec, exec, s[0:1]
	v_cmp_gt_u32_e32 vcc, s33, v50
	s_and_saveexec_b64 s[0:1], vcc
	s_cbranch_execnz .LBB2188_149
.LBB2188_116:
	s_or_b64 exec, exec, s[0:1]
	v_cmp_gt_u32_e32 vcc, s33, v48
	s_and_saveexec_b64 s[0:1], vcc
	s_cbranch_execnz .LBB2188_150
.LBB2188_117:
	s_or_b64 exec, exec, s[0:1]
	v_cmp_gt_u32_e32 vcc, s33, v46
	s_and_saveexec_b64 s[0:1], vcc
	s_cbranch_execnz .LBB2188_151
.LBB2188_118:
	s_or_b64 exec, exec, s[0:1]
	v_cmp_gt_u32_e32 vcc, s33, v44
	s_and_saveexec_b64 s[0:1], vcc
	s_cbranch_execnz .LBB2188_152
.LBB2188_119:
	s_or_b64 exec, exec, s[0:1]
	v_cmp_gt_u32_e32 vcc, s33, v42
	s_and_saveexec_b64 s[0:1], vcc
	s_cbranch_execnz .LBB2188_153
.LBB2188_120:
	s_or_b64 exec, exec, s[0:1]
	v_cmp_gt_u32_e32 vcc, s33, v40
	s_and_saveexec_b64 s[0:1], vcc
	s_cbranch_execnz .LBB2188_154
.LBB2188_121:
	s_or_b64 exec, exec, s[0:1]
	v_cmp_gt_u32_e32 vcc, s33, v38
	s_and_saveexec_b64 s[0:1], vcc
	s_cbranch_execnz .LBB2188_155
.LBB2188_122:
	s_or_b64 exec, exec, s[0:1]
	v_cmp_gt_u32_e32 vcc, s33, v36
	s_and_saveexec_b64 s[0:1], vcc
	s_cbranch_execnz .LBB2188_156
.LBB2188_123:
	s_or_b64 exec, exec, s[0:1]
	v_cmp_gt_u32_e32 vcc, s33, v33
	s_and_saveexec_b64 s[0:1], vcc
	s_cbranch_execnz .LBB2188_157
.LBB2188_124:
	s_or_b64 exec, exec, s[0:1]
	v_cmp_gt_u32_e32 vcc, s33, v32
	s_and_saveexec_b64 s[0:1], vcc
	s_cbranch_execnz .LBB2188_158
.LBB2188_125:
	s_or_b64 exec, exec, s[0:1]
	v_cmp_gt_u32_e32 vcc, s33, v30
	s_and_saveexec_b64 s[0:1], vcc
	s_cbranch_execnz .LBB2188_159
.LBB2188_126:
	s_or_b64 exec, exec, s[0:1]
	v_cmp_gt_u32_e32 vcc, s33, v28
	s_and_saveexec_b64 s[0:1], vcc
	s_cbranch_execnz .LBB2188_160
.LBB2188_127:
	s_or_b64 exec, exec, s[0:1]
	v_cmp_gt_u32_e32 vcc, s33, v26
	s_and_saveexec_b64 s[0:1], vcc
	s_cbranch_execnz .LBB2188_161
.LBB2188_128:
	s_or_b64 exec, exec, s[0:1]
	v_cmp_gt_u32_e32 vcc, s33, v24
	s_and_saveexec_b64 s[0:1], vcc
	s_cbranch_execnz .LBB2188_162
.LBB2188_129:
	s_or_b64 exec, exec, s[0:1]
	v_cmp_gt_u32_e32 vcc, s33, v22
	s_and_saveexec_b64 s[0:1], vcc
	s_cbranch_execnz .LBB2188_163
.LBB2188_130:
	s_or_b64 exec, exec, s[0:1]
	v_cmp_gt_u32_e32 vcc, s33, v20
	s_and_saveexec_b64 s[0:1], vcc
	s_cbranch_execnz .LBB2188_164
.LBB2188_131:
	s_or_b64 exec, exec, s[0:1]
	v_cmp_gt_u32_e32 vcc, s33, v18
	s_and_saveexec_b64 s[0:1], vcc
	s_cbranch_execnz .LBB2188_165
.LBB2188_132:
	s_or_b64 exec, exec, s[0:1]
	v_cmp_gt_u32_e32 vcc, s33, v14
	s_and_saveexec_b64 s[0:1], vcc
	s_cbranch_execnz .LBB2188_166
.LBB2188_133:
	s_or_b64 exec, exec, s[0:1]
	v_cmp_gt_u32_e32 vcc, s33, v10
	s_and_saveexec_b64 s[0:1], vcc
	s_cbranch_execnz .LBB2188_167
.LBB2188_134:
	s_or_b64 exec, exec, s[0:1]
	v_cmp_gt_u32_e32 vcc, s33, v7
	s_and_saveexec_b64 s[0:1], vcc
	s_cbranch_execz .LBB2188_136
.LBB2188_135:
	v_cmp_lt_u32_e32 vcc, v7, v16
	v_cndmask_b32_e32 v10, v8, v11, vcc
	v_lshlrev_b32_e32 v7, 1, v7
	v_cndmask_b32_e32 v1, v9, v13, vcc
	v_add_co_u32_e32 v14, vcc, v10, v7
	s_waitcnt lgkmcnt(3)
	v_addc_co_u32_e32 v15, vcc, 0, v1, vcc
	s_waitcnt lgkmcnt(1)
	global_store_short v[14:15], v6, off
.LBB2188_136:
	s_or_b64 exec, exec, s[0:1]
	v_cmp_gt_u32_e64 s[0:1], s33, v5
.LBB2188_137:
	s_and_saveexec_b64 s[2:3], s[0:1]
	s_cbranch_execz .LBB2188_139
; %bb.138:
	v_cmp_lt_u32_e32 vcc, v5, v16
	s_waitcnt lgkmcnt(1)
	v_cndmask_b32_e32 v6, v8, v11, vcc
	v_lshlrev_b32_e32 v5, 1, v5
	v_cndmask_b32_e32 v1, v9, v13, vcc
	v_add_co_u32_e32 v6, vcc, v6, v5
	v_addc_co_u32_e32 v7, vcc, 0, v1, vcc
	s_waitcnt lgkmcnt(0)
	global_store_short v[6:7], v4, off
.LBB2188_139:
	s_or_b64 exec, exec, s[2:3]
	v_cmp_eq_u32_e32 vcc, 0, v0
	s_and_b64 s[0:1], vcc, s[26:27]
	s_and_saveexec_b64 s[2:3], s[0:1]
	s_cbranch_execz .LBB2188_141
; %bb.140:
	v_mov_b32_e32 v0, 0
	global_store_dwordx2 v0, v[2:3], s[24:25]
.LBB2188_141:
	s_endpgm
.LBB2188_142:
	v_cmp_lt_u32_e32 vcc, v0, v16
	v_cndmask_b32_e32 v65, v8, v11, vcc
	v_cndmask_b32_e32 v17, v9, v13, vcc
	v_add_co_u32_e32 v66, vcc, v65, v1
	v_addc_co_u32_e32 v67, vcc, 0, v17, vcc
	s_waitcnt lgkmcnt(14)
	global_store_short v[66:67], v64, off
	s_or_b64 exec, exec, s[0:1]
	v_cmp_gt_u32_e32 vcc, s33, v62
	s_and_saveexec_b64 s[0:1], vcc
	s_cbranch_execz .LBB2188_110
.LBB2188_143:
	v_cmp_lt_u32_e32 vcc, v62, v16
	v_cndmask_b32_e32 v62, v8, v11, vcc
	v_cndmask_b32_e32 v17, v9, v13, vcc
	s_waitcnt lgkmcnt(14)
	v_add_co_u32_e32 v64, vcc, v62, v1
	v_addc_co_u32_e32 v65, vcc, 0, v17, vcc
	global_store_short v[64:65], v63, off offset:512
	s_or_b64 exec, exec, s[0:1]
	v_cmp_gt_u32_e32 vcc, s33, v60
	s_and_saveexec_b64 s[0:1], vcc
	s_cbranch_execz .LBB2188_111
.LBB2188_144:
	v_cmp_lt_u32_e32 vcc, v60, v16
	v_cndmask_b32_e32 v60, v8, v11, vcc
	v_cndmask_b32_e32 v17, v9, v13, vcc
	v_add_co_u32_e32 v62, vcc, v60, v1
	s_waitcnt lgkmcnt(14)
	v_addc_co_u32_e32 v63, vcc, 0, v17, vcc
	global_store_short v[62:63], v61, off offset:1024
	s_or_b64 exec, exec, s[0:1]
	v_cmp_gt_u32_e32 vcc, s33, v58
	s_and_saveexec_b64 s[0:1], vcc
	s_cbranch_execz .LBB2188_112
.LBB2188_145:
	v_cmp_lt_u32_e32 vcc, v58, v16
	v_cndmask_b32_e32 v58, v8, v11, vcc
	v_cndmask_b32_e32 v17, v9, v13, vcc
	v_add_co_u32_e32 v60, vcc, v58, v1
	s_waitcnt lgkmcnt(14)
	v_addc_co_u32_e32 v61, vcc, 0, v17, vcc
	global_store_short v[60:61], v59, off offset:1536
	s_or_b64 exec, exec, s[0:1]
	v_cmp_gt_u32_e32 vcc, s33, v56
	s_and_saveexec_b64 s[0:1], vcc
	s_cbranch_execz .LBB2188_113
.LBB2188_146:
	v_cmp_lt_u32_e32 vcc, v56, v16
	v_cndmask_b32_e32 v56, v8, v11, vcc
	v_cndmask_b32_e32 v17, v9, v13, vcc
	v_add_co_u32_e32 v58, vcc, v56, v1
	s_waitcnt lgkmcnt(14)
	v_addc_co_u32_e32 v59, vcc, 0, v17, vcc
	global_store_short v[58:59], v57, off offset:2048
	s_or_b64 exec, exec, s[0:1]
	v_cmp_gt_u32_e32 vcc, s33, v54
	s_and_saveexec_b64 s[0:1], vcc
	s_cbranch_execz .LBB2188_114
.LBB2188_147:
	v_cmp_lt_u32_e32 vcc, v54, v16
	v_cndmask_b32_e32 v54, v8, v11, vcc
	v_cndmask_b32_e32 v17, v9, v13, vcc
	v_add_co_u32_e32 v56, vcc, v54, v1
	s_waitcnt lgkmcnt(14)
	v_addc_co_u32_e32 v57, vcc, 0, v17, vcc
	global_store_short v[56:57], v55, off offset:2560
	s_or_b64 exec, exec, s[0:1]
	v_cmp_gt_u32_e32 vcc, s33, v52
	s_and_saveexec_b64 s[0:1], vcc
	s_cbranch_execz .LBB2188_115
.LBB2188_148:
	v_cmp_lt_u32_e32 vcc, v52, v16
	v_cndmask_b32_e32 v52, v8, v11, vcc
	v_cndmask_b32_e32 v17, v9, v13, vcc
	v_add_co_u32_e32 v54, vcc, v52, v1
	s_waitcnt lgkmcnt(14)
	v_addc_co_u32_e32 v55, vcc, 0, v17, vcc
	global_store_short v[54:55], v53, off offset:3072
	s_or_b64 exec, exec, s[0:1]
	v_cmp_gt_u32_e32 vcc, s33, v50
	s_and_saveexec_b64 s[0:1], vcc
	s_cbranch_execz .LBB2188_116
.LBB2188_149:
	v_cmp_lt_u32_e32 vcc, v50, v16
	v_cndmask_b32_e32 v50, v8, v11, vcc
	v_cndmask_b32_e32 v17, v9, v13, vcc
	v_add_co_u32_e32 v52, vcc, v50, v1
	s_waitcnt lgkmcnt(14)
	v_addc_co_u32_e32 v53, vcc, 0, v17, vcc
	global_store_short v[52:53], v51, off offset:3584
	s_or_b64 exec, exec, s[0:1]
	v_cmp_gt_u32_e32 vcc, s33, v48
	s_and_saveexec_b64 s[0:1], vcc
	s_cbranch_execz .LBB2188_117
.LBB2188_150:
	v_cmp_lt_u32_e32 vcc, v48, v16
	v_cndmask_b32_e32 v17, v8, v11, vcc
	v_lshlrev_b32_e32 v48, 1, v48
	v_cndmask_b32_e32 v1, v9, v13, vcc
	v_add_co_u32_e32 v50, vcc, v17, v48
	s_waitcnt lgkmcnt(14)
	v_addc_co_u32_e32 v51, vcc, 0, v1, vcc
	global_store_short v[50:51], v49, off
	s_or_b64 exec, exec, s[0:1]
	v_cmp_gt_u32_e32 vcc, s33, v46
	s_and_saveexec_b64 s[0:1], vcc
	s_cbranch_execz .LBB2188_118
.LBB2188_151:
	v_cmp_lt_u32_e32 vcc, v46, v16
	v_cndmask_b32_e32 v17, v8, v11, vcc
	v_lshlrev_b32_e32 v46, 1, v46
	v_cndmask_b32_e32 v1, v9, v13, vcc
	v_add_co_u32_e32 v48, vcc, v17, v46
	s_waitcnt lgkmcnt(14)
	v_addc_co_u32_e32 v49, vcc, 0, v1, vcc
	global_store_short v[48:49], v47, off
	s_or_b64 exec, exec, s[0:1]
	v_cmp_gt_u32_e32 vcc, s33, v44
	s_and_saveexec_b64 s[0:1], vcc
	s_cbranch_execz .LBB2188_119
.LBB2188_152:
	v_cmp_lt_u32_e32 vcc, v44, v16
	v_cndmask_b32_e32 v17, v8, v11, vcc
	v_lshlrev_b32_e32 v44, 1, v44
	v_cndmask_b32_e32 v1, v9, v13, vcc
	v_add_co_u32_e32 v46, vcc, v17, v44
	s_waitcnt lgkmcnt(14)
	v_addc_co_u32_e32 v47, vcc, 0, v1, vcc
	global_store_short v[46:47], v45, off
	s_or_b64 exec, exec, s[0:1]
	v_cmp_gt_u32_e32 vcc, s33, v42
	s_and_saveexec_b64 s[0:1], vcc
	s_cbranch_execz .LBB2188_120
.LBB2188_153:
	v_cmp_lt_u32_e32 vcc, v42, v16
	v_cndmask_b32_e32 v17, v8, v11, vcc
	v_lshlrev_b32_e32 v42, 1, v42
	v_cndmask_b32_e32 v1, v9, v13, vcc
	v_add_co_u32_e32 v44, vcc, v17, v42
	s_waitcnt lgkmcnt(14)
	v_addc_co_u32_e32 v45, vcc, 0, v1, vcc
	global_store_short v[44:45], v43, off
	s_or_b64 exec, exec, s[0:1]
	v_cmp_gt_u32_e32 vcc, s33, v40
	s_and_saveexec_b64 s[0:1], vcc
	s_cbranch_execz .LBB2188_121
.LBB2188_154:
	v_cmp_lt_u32_e32 vcc, v40, v16
	v_cndmask_b32_e32 v17, v8, v11, vcc
	v_lshlrev_b32_e32 v40, 1, v40
	v_cndmask_b32_e32 v1, v9, v13, vcc
	v_add_co_u32_e32 v42, vcc, v17, v40
	s_waitcnt lgkmcnt(14)
	v_addc_co_u32_e32 v43, vcc, 0, v1, vcc
	global_store_short v[42:43], v41, off
	s_or_b64 exec, exec, s[0:1]
	v_cmp_gt_u32_e32 vcc, s33, v38
	s_and_saveexec_b64 s[0:1], vcc
	s_cbranch_execz .LBB2188_122
.LBB2188_155:
	v_cmp_lt_u32_e32 vcc, v38, v16
	v_cndmask_b32_e32 v17, v8, v11, vcc
	v_lshlrev_b32_e32 v38, 1, v38
	v_cndmask_b32_e32 v1, v9, v13, vcc
	v_add_co_u32_e32 v40, vcc, v17, v38
	s_waitcnt lgkmcnt(14)
	v_addc_co_u32_e32 v41, vcc, 0, v1, vcc
	global_store_short v[40:41], v39, off
	s_or_b64 exec, exec, s[0:1]
	v_cmp_gt_u32_e32 vcc, s33, v36
	s_and_saveexec_b64 s[0:1], vcc
	s_cbranch_execz .LBB2188_123
.LBB2188_156:
	v_cmp_lt_u32_e32 vcc, v36, v16
	v_cndmask_b32_e32 v17, v8, v11, vcc
	v_lshlrev_b32_e32 v36, 1, v36
	v_cndmask_b32_e32 v1, v9, v13, vcc
	v_add_co_u32_e32 v38, vcc, v17, v36
	s_waitcnt lgkmcnt(14)
	v_addc_co_u32_e32 v39, vcc, 0, v1, vcc
	s_waitcnt lgkmcnt(13)
	global_store_short v[38:39], v37, off
	s_or_b64 exec, exec, s[0:1]
	v_cmp_gt_u32_e32 vcc, s33, v33
	s_and_saveexec_b64 s[0:1], vcc
	s_cbranch_execz .LBB2188_124
.LBB2188_157:
	v_cmp_lt_u32_e32 vcc, v33, v16
	v_cndmask_b32_e32 v17, v8, v11, vcc
	v_lshlrev_b32_e32 v33, 1, v33
	v_cndmask_b32_e32 v1, v9, v13, vcc
	v_add_co_u32_e32 v36, vcc, v17, v33
	s_waitcnt lgkmcnt(13)
	v_addc_co_u32_e32 v37, vcc, 0, v1, vcc
	s_waitcnt lgkmcnt(12)
	global_store_short v[36:37], v35, off
	s_or_b64 exec, exec, s[0:1]
	v_cmp_gt_u32_e32 vcc, s33, v32
	s_and_saveexec_b64 s[0:1], vcc
	s_cbranch_execz .LBB2188_125
.LBB2188_158:
	v_cmp_lt_u32_e32 vcc, v32, v16
	v_cndmask_b32_e32 v17, v8, v11, vcc
	v_lshlrev_b32_e32 v32, 1, v32
	v_cndmask_b32_e32 v1, v9, v13, vcc
	v_add_co_u32_e32 v32, vcc, v17, v32
	v_addc_co_u32_e32 v33, vcc, 0, v1, vcc
	s_waitcnt lgkmcnt(11)
	global_store_short v[32:33], v34, off
	s_or_b64 exec, exec, s[0:1]
	v_cmp_gt_u32_e32 vcc, s33, v30
	s_and_saveexec_b64 s[0:1], vcc
	s_cbranch_execz .LBB2188_126
.LBB2188_159:
	v_cmp_lt_u32_e32 vcc, v30, v16
	v_cndmask_b32_e32 v17, v8, v11, vcc
	v_lshlrev_b32_e32 v30, 1, v30
	v_cndmask_b32_e32 v1, v9, v13, vcc
	v_add_co_u32_e32 v32, vcc, v17, v30
	v_addc_co_u32_e32 v33, vcc, 0, v1, vcc
	s_waitcnt lgkmcnt(10)
	global_store_short v[32:33], v31, off
	s_or_b64 exec, exec, s[0:1]
	v_cmp_gt_u32_e32 vcc, s33, v28
	s_and_saveexec_b64 s[0:1], vcc
	s_cbranch_execz .LBB2188_127
.LBB2188_160:
	v_cmp_lt_u32_e32 vcc, v28, v16
	v_cndmask_b32_e32 v17, v8, v11, vcc
	v_lshlrev_b32_e32 v28, 1, v28
	v_cndmask_b32_e32 v1, v9, v13, vcc
	v_add_co_u32_e32 v30, vcc, v17, v28
	s_waitcnt lgkmcnt(10)
	v_addc_co_u32_e32 v31, vcc, 0, v1, vcc
	s_waitcnt lgkmcnt(9)
	global_store_short v[30:31], v29, off
	s_or_b64 exec, exec, s[0:1]
	v_cmp_gt_u32_e32 vcc, s33, v26
	s_and_saveexec_b64 s[0:1], vcc
	s_cbranch_execz .LBB2188_128
.LBB2188_161:
	v_cmp_lt_u32_e32 vcc, v26, v16
	v_cndmask_b32_e32 v17, v8, v11, vcc
	v_lshlrev_b32_e32 v26, 1, v26
	v_cndmask_b32_e32 v1, v9, v13, vcc
	v_add_co_u32_e32 v28, vcc, v17, v26
	s_waitcnt lgkmcnt(9)
	v_addc_co_u32_e32 v29, vcc, 0, v1, vcc
	s_waitcnt lgkmcnt(8)
	global_store_short v[28:29], v27, off
	s_or_b64 exec, exec, s[0:1]
	v_cmp_gt_u32_e32 vcc, s33, v24
	s_and_saveexec_b64 s[0:1], vcc
	s_cbranch_execz .LBB2188_129
.LBB2188_162:
	v_cmp_lt_u32_e32 vcc, v24, v16
	v_cndmask_b32_e32 v17, v8, v11, vcc
	v_lshlrev_b32_e32 v24, 1, v24
	v_cndmask_b32_e32 v1, v9, v13, vcc
	v_add_co_u32_e32 v26, vcc, v17, v24
	s_waitcnt lgkmcnt(8)
	v_addc_co_u32_e32 v27, vcc, 0, v1, vcc
	s_waitcnt lgkmcnt(7)
	global_store_short v[26:27], v25, off
	s_or_b64 exec, exec, s[0:1]
	v_cmp_gt_u32_e32 vcc, s33, v22
	s_and_saveexec_b64 s[0:1], vcc
	s_cbranch_execz .LBB2188_130
.LBB2188_163:
	v_cmp_lt_u32_e32 vcc, v22, v16
	v_cndmask_b32_e32 v17, v8, v11, vcc
	v_lshlrev_b32_e32 v22, 1, v22
	v_cndmask_b32_e32 v1, v9, v13, vcc
	v_add_co_u32_e32 v24, vcc, v17, v22
	s_waitcnt lgkmcnt(7)
	v_addc_co_u32_e32 v25, vcc, 0, v1, vcc
	s_waitcnt lgkmcnt(6)
	global_store_short v[24:25], v23, off
	s_or_b64 exec, exec, s[0:1]
	v_cmp_gt_u32_e32 vcc, s33, v20
	s_and_saveexec_b64 s[0:1], vcc
	s_cbranch_execz .LBB2188_131
.LBB2188_164:
	v_cmp_lt_u32_e32 vcc, v20, v16
	v_cndmask_b32_e32 v17, v8, v11, vcc
	v_lshlrev_b32_e32 v20, 1, v20
	v_cndmask_b32_e32 v1, v9, v13, vcc
	v_add_co_u32_e32 v22, vcc, v17, v20
	s_waitcnt lgkmcnt(6)
	v_addc_co_u32_e32 v23, vcc, 0, v1, vcc
	s_waitcnt lgkmcnt(5)
	global_store_short v[22:23], v21, off
	s_or_b64 exec, exec, s[0:1]
	v_cmp_gt_u32_e32 vcc, s33, v18
	s_and_saveexec_b64 s[0:1], vcc
	s_cbranch_execz .LBB2188_132
.LBB2188_165:
	v_cmp_lt_u32_e32 vcc, v18, v16
	v_cndmask_b32_e32 v17, v8, v11, vcc
	v_lshlrev_b32_e32 v18, 1, v18
	v_cndmask_b32_e32 v1, v9, v13, vcc
	v_add_co_u32_e32 v20, vcc, v17, v18
	s_waitcnt lgkmcnt(5)
	v_addc_co_u32_e32 v21, vcc, 0, v1, vcc
	s_waitcnt lgkmcnt(4)
	global_store_short v[20:21], v19, off
	s_or_b64 exec, exec, s[0:1]
	v_cmp_gt_u32_e32 vcc, s33, v14
	s_and_saveexec_b64 s[0:1], vcc
	s_cbranch_execz .LBB2188_133
.LBB2188_166:
	v_cmp_lt_u32_e32 vcc, v14, v16
	v_cndmask_b32_e32 v17, v8, v11, vcc
	v_lshlrev_b32_e32 v14, 1, v14
	v_cndmask_b32_e32 v1, v9, v13, vcc
	v_add_co_u32_e32 v18, vcc, v17, v14
	s_waitcnt lgkmcnt(4)
	v_addc_co_u32_e32 v19, vcc, 0, v1, vcc
	s_waitcnt lgkmcnt(3)
	global_store_short v[18:19], v15, off
	s_or_b64 exec, exec, s[0:1]
	v_cmp_gt_u32_e32 vcc, s33, v10
	s_and_saveexec_b64 s[0:1], vcc
	s_cbranch_execz .LBB2188_134
.LBB2188_167:
	v_cmp_lt_u32_e32 vcc, v10, v16
	v_cndmask_b32_e32 v14, v8, v11, vcc
	v_lshlrev_b32_e32 v10, 1, v10
	v_cndmask_b32_e32 v1, v9, v13, vcc
	v_add_co_u32_e32 v14, vcc, v14, v10
	s_waitcnt lgkmcnt(3)
	v_addc_co_u32_e32 v15, vcc, 0, v1, vcc
	s_waitcnt lgkmcnt(2)
	global_store_short v[14:15], v12, off
	s_or_b64 exec, exec, s[0:1]
	v_cmp_gt_u32_e32 vcc, s33, v7
	s_and_saveexec_b64 s[0:1], vcc
	s_cbranch_execnz .LBB2188_135
	s_branch .LBB2188_136
	.section	.rodata,"a",@progbits
	.p2align	6, 0x0
	.amdhsa_kernel _ZN7rocprim17ROCPRIM_400000_NS6detail17trampoline_kernelINS0_14default_configENS1_25partition_config_selectorILNS1_17partition_subalgoE0EtNS0_10empty_typeEbEEZZNS1_14partition_implILS5_0ELb0ES3_jN6thrust23THRUST_200600_302600_NS6detail15normal_iteratorINSA_10device_ptrItEEEEPS6_SG_NS0_5tupleIJSF_SF_EEENSH_IJSG_SG_EEES6_PlJ7is_evenItEEEE10hipError_tPvRmT3_T4_T5_T6_T7_T9_mT8_P12ihipStream_tbDpT10_ENKUlT_T0_E_clISt17integral_constantIbLb1EES15_IbLb0EEEEDaS11_S12_EUlS11_E_NS1_11comp_targetILNS1_3genE4ELNS1_11target_archE910ELNS1_3gpuE8ELNS1_3repE0EEENS1_30default_config_static_selectorELNS0_4arch9wavefront6targetE1EEEvT1_
		.amdhsa_group_segment_fixed_size 14344
		.amdhsa_private_segment_fixed_size 0
		.amdhsa_kernarg_size 120
		.amdhsa_user_sgpr_count 6
		.amdhsa_user_sgpr_private_segment_buffer 1
		.amdhsa_user_sgpr_dispatch_ptr 0
		.amdhsa_user_sgpr_queue_ptr 0
		.amdhsa_user_sgpr_kernarg_segment_ptr 1
		.amdhsa_user_sgpr_dispatch_id 0
		.amdhsa_user_sgpr_flat_scratch_init 0
		.amdhsa_user_sgpr_kernarg_preload_length 0
		.amdhsa_user_sgpr_kernarg_preload_offset 0
		.amdhsa_user_sgpr_private_segment_size 0
		.amdhsa_uses_dynamic_stack 0
		.amdhsa_system_sgpr_private_segment_wavefront_offset 0
		.amdhsa_system_sgpr_workgroup_id_x 1
		.amdhsa_system_sgpr_workgroup_id_y 0
		.amdhsa_system_sgpr_workgroup_id_z 0
		.amdhsa_system_sgpr_workgroup_info 0
		.amdhsa_system_vgpr_workitem_id 0
		.amdhsa_next_free_vgpr 114
		.amdhsa_next_free_sgpr 44
		.amdhsa_accum_offset 116
		.amdhsa_reserve_vcc 1
		.amdhsa_reserve_flat_scratch 0
		.amdhsa_float_round_mode_32 0
		.amdhsa_float_round_mode_16_64 0
		.amdhsa_float_denorm_mode_32 3
		.amdhsa_float_denorm_mode_16_64 3
		.amdhsa_dx10_clamp 1
		.amdhsa_ieee_mode 1
		.amdhsa_fp16_overflow 0
		.amdhsa_tg_split 0
		.amdhsa_exception_fp_ieee_invalid_op 0
		.amdhsa_exception_fp_denorm_src 0
		.amdhsa_exception_fp_ieee_div_zero 0
		.amdhsa_exception_fp_ieee_overflow 0
		.amdhsa_exception_fp_ieee_underflow 0
		.amdhsa_exception_fp_ieee_inexact 0
		.amdhsa_exception_int_div_zero 0
	.end_amdhsa_kernel
	.section	.text._ZN7rocprim17ROCPRIM_400000_NS6detail17trampoline_kernelINS0_14default_configENS1_25partition_config_selectorILNS1_17partition_subalgoE0EtNS0_10empty_typeEbEEZZNS1_14partition_implILS5_0ELb0ES3_jN6thrust23THRUST_200600_302600_NS6detail15normal_iteratorINSA_10device_ptrItEEEEPS6_SG_NS0_5tupleIJSF_SF_EEENSH_IJSG_SG_EEES6_PlJ7is_evenItEEEE10hipError_tPvRmT3_T4_T5_T6_T7_T9_mT8_P12ihipStream_tbDpT10_ENKUlT_T0_E_clISt17integral_constantIbLb1EES15_IbLb0EEEEDaS11_S12_EUlS11_E_NS1_11comp_targetILNS1_3genE4ELNS1_11target_archE910ELNS1_3gpuE8ELNS1_3repE0EEENS1_30default_config_static_selectorELNS0_4arch9wavefront6targetE1EEEvT1_,"axG",@progbits,_ZN7rocprim17ROCPRIM_400000_NS6detail17trampoline_kernelINS0_14default_configENS1_25partition_config_selectorILNS1_17partition_subalgoE0EtNS0_10empty_typeEbEEZZNS1_14partition_implILS5_0ELb0ES3_jN6thrust23THRUST_200600_302600_NS6detail15normal_iteratorINSA_10device_ptrItEEEEPS6_SG_NS0_5tupleIJSF_SF_EEENSH_IJSG_SG_EEES6_PlJ7is_evenItEEEE10hipError_tPvRmT3_T4_T5_T6_T7_T9_mT8_P12ihipStream_tbDpT10_ENKUlT_T0_E_clISt17integral_constantIbLb1EES15_IbLb0EEEEDaS11_S12_EUlS11_E_NS1_11comp_targetILNS1_3genE4ELNS1_11target_archE910ELNS1_3gpuE8ELNS1_3repE0EEENS1_30default_config_static_selectorELNS0_4arch9wavefront6targetE1EEEvT1_,comdat
.Lfunc_end2188:
	.size	_ZN7rocprim17ROCPRIM_400000_NS6detail17trampoline_kernelINS0_14default_configENS1_25partition_config_selectorILNS1_17partition_subalgoE0EtNS0_10empty_typeEbEEZZNS1_14partition_implILS5_0ELb0ES3_jN6thrust23THRUST_200600_302600_NS6detail15normal_iteratorINSA_10device_ptrItEEEEPS6_SG_NS0_5tupleIJSF_SF_EEENSH_IJSG_SG_EEES6_PlJ7is_evenItEEEE10hipError_tPvRmT3_T4_T5_T6_T7_T9_mT8_P12ihipStream_tbDpT10_ENKUlT_T0_E_clISt17integral_constantIbLb1EES15_IbLb0EEEEDaS11_S12_EUlS11_E_NS1_11comp_targetILNS1_3genE4ELNS1_11target_archE910ELNS1_3gpuE8ELNS1_3repE0EEENS1_30default_config_static_selectorELNS0_4arch9wavefront6targetE1EEEvT1_, .Lfunc_end2188-_ZN7rocprim17ROCPRIM_400000_NS6detail17trampoline_kernelINS0_14default_configENS1_25partition_config_selectorILNS1_17partition_subalgoE0EtNS0_10empty_typeEbEEZZNS1_14partition_implILS5_0ELb0ES3_jN6thrust23THRUST_200600_302600_NS6detail15normal_iteratorINSA_10device_ptrItEEEEPS6_SG_NS0_5tupleIJSF_SF_EEENSH_IJSG_SG_EEES6_PlJ7is_evenItEEEE10hipError_tPvRmT3_T4_T5_T6_T7_T9_mT8_P12ihipStream_tbDpT10_ENKUlT_T0_E_clISt17integral_constantIbLb1EES15_IbLb0EEEEDaS11_S12_EUlS11_E_NS1_11comp_targetILNS1_3genE4ELNS1_11target_archE910ELNS1_3gpuE8ELNS1_3repE0EEENS1_30default_config_static_selectorELNS0_4arch9wavefront6targetE1EEEvT1_
                                        ; -- End function
	.section	.AMDGPU.csdata,"",@progbits
; Kernel info:
; codeLenInByte = 9992
; NumSgprs: 48
; NumVgprs: 114
; NumAgprs: 0
; TotalNumVgprs: 114
; ScratchSize: 0
; MemoryBound: 0
; FloatMode: 240
; IeeeMode: 1
; LDSByteSize: 14344 bytes/workgroup (compile time only)
; SGPRBlocks: 5
; VGPRBlocks: 14
; NumSGPRsForWavesPerEU: 48
; NumVGPRsForWavesPerEU: 114
; AccumOffset: 116
; Occupancy: 4
; WaveLimiterHint : 1
; COMPUTE_PGM_RSRC2:SCRATCH_EN: 0
; COMPUTE_PGM_RSRC2:USER_SGPR: 6
; COMPUTE_PGM_RSRC2:TRAP_HANDLER: 0
; COMPUTE_PGM_RSRC2:TGID_X_EN: 1
; COMPUTE_PGM_RSRC2:TGID_Y_EN: 0
; COMPUTE_PGM_RSRC2:TGID_Z_EN: 0
; COMPUTE_PGM_RSRC2:TIDIG_COMP_CNT: 0
; COMPUTE_PGM_RSRC3_GFX90A:ACCUM_OFFSET: 28
; COMPUTE_PGM_RSRC3_GFX90A:TG_SPLIT: 0
	.section	.text._ZN7rocprim17ROCPRIM_400000_NS6detail17trampoline_kernelINS0_14default_configENS1_25partition_config_selectorILNS1_17partition_subalgoE0EtNS0_10empty_typeEbEEZZNS1_14partition_implILS5_0ELb0ES3_jN6thrust23THRUST_200600_302600_NS6detail15normal_iteratorINSA_10device_ptrItEEEEPS6_SG_NS0_5tupleIJSF_SF_EEENSH_IJSG_SG_EEES6_PlJ7is_evenItEEEE10hipError_tPvRmT3_T4_T5_T6_T7_T9_mT8_P12ihipStream_tbDpT10_ENKUlT_T0_E_clISt17integral_constantIbLb1EES15_IbLb0EEEEDaS11_S12_EUlS11_E_NS1_11comp_targetILNS1_3genE3ELNS1_11target_archE908ELNS1_3gpuE7ELNS1_3repE0EEENS1_30default_config_static_selectorELNS0_4arch9wavefront6targetE1EEEvT1_,"axG",@progbits,_ZN7rocprim17ROCPRIM_400000_NS6detail17trampoline_kernelINS0_14default_configENS1_25partition_config_selectorILNS1_17partition_subalgoE0EtNS0_10empty_typeEbEEZZNS1_14partition_implILS5_0ELb0ES3_jN6thrust23THRUST_200600_302600_NS6detail15normal_iteratorINSA_10device_ptrItEEEEPS6_SG_NS0_5tupleIJSF_SF_EEENSH_IJSG_SG_EEES6_PlJ7is_evenItEEEE10hipError_tPvRmT3_T4_T5_T6_T7_T9_mT8_P12ihipStream_tbDpT10_ENKUlT_T0_E_clISt17integral_constantIbLb1EES15_IbLb0EEEEDaS11_S12_EUlS11_E_NS1_11comp_targetILNS1_3genE3ELNS1_11target_archE908ELNS1_3gpuE7ELNS1_3repE0EEENS1_30default_config_static_selectorELNS0_4arch9wavefront6targetE1EEEvT1_,comdat
	.protected	_ZN7rocprim17ROCPRIM_400000_NS6detail17trampoline_kernelINS0_14default_configENS1_25partition_config_selectorILNS1_17partition_subalgoE0EtNS0_10empty_typeEbEEZZNS1_14partition_implILS5_0ELb0ES3_jN6thrust23THRUST_200600_302600_NS6detail15normal_iteratorINSA_10device_ptrItEEEEPS6_SG_NS0_5tupleIJSF_SF_EEENSH_IJSG_SG_EEES6_PlJ7is_evenItEEEE10hipError_tPvRmT3_T4_T5_T6_T7_T9_mT8_P12ihipStream_tbDpT10_ENKUlT_T0_E_clISt17integral_constantIbLb1EES15_IbLb0EEEEDaS11_S12_EUlS11_E_NS1_11comp_targetILNS1_3genE3ELNS1_11target_archE908ELNS1_3gpuE7ELNS1_3repE0EEENS1_30default_config_static_selectorELNS0_4arch9wavefront6targetE1EEEvT1_ ; -- Begin function _ZN7rocprim17ROCPRIM_400000_NS6detail17trampoline_kernelINS0_14default_configENS1_25partition_config_selectorILNS1_17partition_subalgoE0EtNS0_10empty_typeEbEEZZNS1_14partition_implILS5_0ELb0ES3_jN6thrust23THRUST_200600_302600_NS6detail15normal_iteratorINSA_10device_ptrItEEEEPS6_SG_NS0_5tupleIJSF_SF_EEENSH_IJSG_SG_EEES6_PlJ7is_evenItEEEE10hipError_tPvRmT3_T4_T5_T6_T7_T9_mT8_P12ihipStream_tbDpT10_ENKUlT_T0_E_clISt17integral_constantIbLb1EES15_IbLb0EEEEDaS11_S12_EUlS11_E_NS1_11comp_targetILNS1_3genE3ELNS1_11target_archE908ELNS1_3gpuE7ELNS1_3repE0EEENS1_30default_config_static_selectorELNS0_4arch9wavefront6targetE1EEEvT1_
	.globl	_ZN7rocprim17ROCPRIM_400000_NS6detail17trampoline_kernelINS0_14default_configENS1_25partition_config_selectorILNS1_17partition_subalgoE0EtNS0_10empty_typeEbEEZZNS1_14partition_implILS5_0ELb0ES3_jN6thrust23THRUST_200600_302600_NS6detail15normal_iteratorINSA_10device_ptrItEEEEPS6_SG_NS0_5tupleIJSF_SF_EEENSH_IJSG_SG_EEES6_PlJ7is_evenItEEEE10hipError_tPvRmT3_T4_T5_T6_T7_T9_mT8_P12ihipStream_tbDpT10_ENKUlT_T0_E_clISt17integral_constantIbLb1EES15_IbLb0EEEEDaS11_S12_EUlS11_E_NS1_11comp_targetILNS1_3genE3ELNS1_11target_archE908ELNS1_3gpuE7ELNS1_3repE0EEENS1_30default_config_static_selectorELNS0_4arch9wavefront6targetE1EEEvT1_
	.p2align	8
	.type	_ZN7rocprim17ROCPRIM_400000_NS6detail17trampoline_kernelINS0_14default_configENS1_25partition_config_selectorILNS1_17partition_subalgoE0EtNS0_10empty_typeEbEEZZNS1_14partition_implILS5_0ELb0ES3_jN6thrust23THRUST_200600_302600_NS6detail15normal_iteratorINSA_10device_ptrItEEEEPS6_SG_NS0_5tupleIJSF_SF_EEENSH_IJSG_SG_EEES6_PlJ7is_evenItEEEE10hipError_tPvRmT3_T4_T5_T6_T7_T9_mT8_P12ihipStream_tbDpT10_ENKUlT_T0_E_clISt17integral_constantIbLb1EES15_IbLb0EEEEDaS11_S12_EUlS11_E_NS1_11comp_targetILNS1_3genE3ELNS1_11target_archE908ELNS1_3gpuE7ELNS1_3repE0EEENS1_30default_config_static_selectorELNS0_4arch9wavefront6targetE1EEEvT1_,@function
_ZN7rocprim17ROCPRIM_400000_NS6detail17trampoline_kernelINS0_14default_configENS1_25partition_config_selectorILNS1_17partition_subalgoE0EtNS0_10empty_typeEbEEZZNS1_14partition_implILS5_0ELb0ES3_jN6thrust23THRUST_200600_302600_NS6detail15normal_iteratorINSA_10device_ptrItEEEEPS6_SG_NS0_5tupleIJSF_SF_EEENSH_IJSG_SG_EEES6_PlJ7is_evenItEEEE10hipError_tPvRmT3_T4_T5_T6_T7_T9_mT8_P12ihipStream_tbDpT10_ENKUlT_T0_E_clISt17integral_constantIbLb1EES15_IbLb0EEEEDaS11_S12_EUlS11_E_NS1_11comp_targetILNS1_3genE3ELNS1_11target_archE908ELNS1_3gpuE7ELNS1_3repE0EEENS1_30default_config_static_selectorELNS0_4arch9wavefront6targetE1EEEvT1_: ; @_ZN7rocprim17ROCPRIM_400000_NS6detail17trampoline_kernelINS0_14default_configENS1_25partition_config_selectorILNS1_17partition_subalgoE0EtNS0_10empty_typeEbEEZZNS1_14partition_implILS5_0ELb0ES3_jN6thrust23THRUST_200600_302600_NS6detail15normal_iteratorINSA_10device_ptrItEEEEPS6_SG_NS0_5tupleIJSF_SF_EEENSH_IJSG_SG_EEES6_PlJ7is_evenItEEEE10hipError_tPvRmT3_T4_T5_T6_T7_T9_mT8_P12ihipStream_tbDpT10_ENKUlT_T0_E_clISt17integral_constantIbLb1EES15_IbLb0EEEEDaS11_S12_EUlS11_E_NS1_11comp_targetILNS1_3genE3ELNS1_11target_archE908ELNS1_3gpuE7ELNS1_3repE0EEENS1_30default_config_static_selectorELNS0_4arch9wavefront6targetE1EEEvT1_
; %bb.0:
	.section	.rodata,"a",@progbits
	.p2align	6, 0x0
	.amdhsa_kernel _ZN7rocprim17ROCPRIM_400000_NS6detail17trampoline_kernelINS0_14default_configENS1_25partition_config_selectorILNS1_17partition_subalgoE0EtNS0_10empty_typeEbEEZZNS1_14partition_implILS5_0ELb0ES3_jN6thrust23THRUST_200600_302600_NS6detail15normal_iteratorINSA_10device_ptrItEEEEPS6_SG_NS0_5tupleIJSF_SF_EEENSH_IJSG_SG_EEES6_PlJ7is_evenItEEEE10hipError_tPvRmT3_T4_T5_T6_T7_T9_mT8_P12ihipStream_tbDpT10_ENKUlT_T0_E_clISt17integral_constantIbLb1EES15_IbLb0EEEEDaS11_S12_EUlS11_E_NS1_11comp_targetILNS1_3genE3ELNS1_11target_archE908ELNS1_3gpuE7ELNS1_3repE0EEENS1_30default_config_static_selectorELNS0_4arch9wavefront6targetE1EEEvT1_
		.amdhsa_group_segment_fixed_size 0
		.amdhsa_private_segment_fixed_size 0
		.amdhsa_kernarg_size 120
		.amdhsa_user_sgpr_count 6
		.amdhsa_user_sgpr_private_segment_buffer 1
		.amdhsa_user_sgpr_dispatch_ptr 0
		.amdhsa_user_sgpr_queue_ptr 0
		.amdhsa_user_sgpr_kernarg_segment_ptr 1
		.amdhsa_user_sgpr_dispatch_id 0
		.amdhsa_user_sgpr_flat_scratch_init 0
		.amdhsa_user_sgpr_kernarg_preload_length 0
		.amdhsa_user_sgpr_kernarg_preload_offset 0
		.amdhsa_user_sgpr_private_segment_size 0
		.amdhsa_uses_dynamic_stack 0
		.amdhsa_system_sgpr_private_segment_wavefront_offset 0
		.amdhsa_system_sgpr_workgroup_id_x 1
		.amdhsa_system_sgpr_workgroup_id_y 0
		.amdhsa_system_sgpr_workgroup_id_z 0
		.amdhsa_system_sgpr_workgroup_info 0
		.amdhsa_system_vgpr_workitem_id 0
		.amdhsa_next_free_vgpr 1
		.amdhsa_next_free_sgpr 0
		.amdhsa_accum_offset 4
		.amdhsa_reserve_vcc 0
		.amdhsa_reserve_flat_scratch 0
		.amdhsa_float_round_mode_32 0
		.amdhsa_float_round_mode_16_64 0
		.amdhsa_float_denorm_mode_32 3
		.amdhsa_float_denorm_mode_16_64 3
		.amdhsa_dx10_clamp 1
		.amdhsa_ieee_mode 1
		.amdhsa_fp16_overflow 0
		.amdhsa_tg_split 0
		.amdhsa_exception_fp_ieee_invalid_op 0
		.amdhsa_exception_fp_denorm_src 0
		.amdhsa_exception_fp_ieee_div_zero 0
		.amdhsa_exception_fp_ieee_overflow 0
		.amdhsa_exception_fp_ieee_underflow 0
		.amdhsa_exception_fp_ieee_inexact 0
		.amdhsa_exception_int_div_zero 0
	.end_amdhsa_kernel
	.section	.text._ZN7rocprim17ROCPRIM_400000_NS6detail17trampoline_kernelINS0_14default_configENS1_25partition_config_selectorILNS1_17partition_subalgoE0EtNS0_10empty_typeEbEEZZNS1_14partition_implILS5_0ELb0ES3_jN6thrust23THRUST_200600_302600_NS6detail15normal_iteratorINSA_10device_ptrItEEEEPS6_SG_NS0_5tupleIJSF_SF_EEENSH_IJSG_SG_EEES6_PlJ7is_evenItEEEE10hipError_tPvRmT3_T4_T5_T6_T7_T9_mT8_P12ihipStream_tbDpT10_ENKUlT_T0_E_clISt17integral_constantIbLb1EES15_IbLb0EEEEDaS11_S12_EUlS11_E_NS1_11comp_targetILNS1_3genE3ELNS1_11target_archE908ELNS1_3gpuE7ELNS1_3repE0EEENS1_30default_config_static_selectorELNS0_4arch9wavefront6targetE1EEEvT1_,"axG",@progbits,_ZN7rocprim17ROCPRIM_400000_NS6detail17trampoline_kernelINS0_14default_configENS1_25partition_config_selectorILNS1_17partition_subalgoE0EtNS0_10empty_typeEbEEZZNS1_14partition_implILS5_0ELb0ES3_jN6thrust23THRUST_200600_302600_NS6detail15normal_iteratorINSA_10device_ptrItEEEEPS6_SG_NS0_5tupleIJSF_SF_EEENSH_IJSG_SG_EEES6_PlJ7is_evenItEEEE10hipError_tPvRmT3_T4_T5_T6_T7_T9_mT8_P12ihipStream_tbDpT10_ENKUlT_T0_E_clISt17integral_constantIbLb1EES15_IbLb0EEEEDaS11_S12_EUlS11_E_NS1_11comp_targetILNS1_3genE3ELNS1_11target_archE908ELNS1_3gpuE7ELNS1_3repE0EEENS1_30default_config_static_selectorELNS0_4arch9wavefront6targetE1EEEvT1_,comdat
.Lfunc_end2189:
	.size	_ZN7rocprim17ROCPRIM_400000_NS6detail17trampoline_kernelINS0_14default_configENS1_25partition_config_selectorILNS1_17partition_subalgoE0EtNS0_10empty_typeEbEEZZNS1_14partition_implILS5_0ELb0ES3_jN6thrust23THRUST_200600_302600_NS6detail15normal_iteratorINSA_10device_ptrItEEEEPS6_SG_NS0_5tupleIJSF_SF_EEENSH_IJSG_SG_EEES6_PlJ7is_evenItEEEE10hipError_tPvRmT3_T4_T5_T6_T7_T9_mT8_P12ihipStream_tbDpT10_ENKUlT_T0_E_clISt17integral_constantIbLb1EES15_IbLb0EEEEDaS11_S12_EUlS11_E_NS1_11comp_targetILNS1_3genE3ELNS1_11target_archE908ELNS1_3gpuE7ELNS1_3repE0EEENS1_30default_config_static_selectorELNS0_4arch9wavefront6targetE1EEEvT1_, .Lfunc_end2189-_ZN7rocprim17ROCPRIM_400000_NS6detail17trampoline_kernelINS0_14default_configENS1_25partition_config_selectorILNS1_17partition_subalgoE0EtNS0_10empty_typeEbEEZZNS1_14partition_implILS5_0ELb0ES3_jN6thrust23THRUST_200600_302600_NS6detail15normal_iteratorINSA_10device_ptrItEEEEPS6_SG_NS0_5tupleIJSF_SF_EEENSH_IJSG_SG_EEES6_PlJ7is_evenItEEEE10hipError_tPvRmT3_T4_T5_T6_T7_T9_mT8_P12ihipStream_tbDpT10_ENKUlT_T0_E_clISt17integral_constantIbLb1EES15_IbLb0EEEEDaS11_S12_EUlS11_E_NS1_11comp_targetILNS1_3genE3ELNS1_11target_archE908ELNS1_3gpuE7ELNS1_3repE0EEENS1_30default_config_static_selectorELNS0_4arch9wavefront6targetE1EEEvT1_
                                        ; -- End function
	.section	.AMDGPU.csdata,"",@progbits
; Kernel info:
; codeLenInByte = 0
; NumSgprs: 4
; NumVgprs: 0
; NumAgprs: 0
; TotalNumVgprs: 0
; ScratchSize: 0
; MemoryBound: 0
; FloatMode: 240
; IeeeMode: 1
; LDSByteSize: 0 bytes/workgroup (compile time only)
; SGPRBlocks: 0
; VGPRBlocks: 0
; NumSGPRsForWavesPerEU: 4
; NumVGPRsForWavesPerEU: 1
; AccumOffset: 4
; Occupancy: 8
; WaveLimiterHint : 0
; COMPUTE_PGM_RSRC2:SCRATCH_EN: 0
; COMPUTE_PGM_RSRC2:USER_SGPR: 6
; COMPUTE_PGM_RSRC2:TRAP_HANDLER: 0
; COMPUTE_PGM_RSRC2:TGID_X_EN: 1
; COMPUTE_PGM_RSRC2:TGID_Y_EN: 0
; COMPUTE_PGM_RSRC2:TGID_Z_EN: 0
; COMPUTE_PGM_RSRC2:TIDIG_COMP_CNT: 0
; COMPUTE_PGM_RSRC3_GFX90A:ACCUM_OFFSET: 0
; COMPUTE_PGM_RSRC3_GFX90A:TG_SPLIT: 0
	.section	.text._ZN7rocprim17ROCPRIM_400000_NS6detail17trampoline_kernelINS0_14default_configENS1_25partition_config_selectorILNS1_17partition_subalgoE0EtNS0_10empty_typeEbEEZZNS1_14partition_implILS5_0ELb0ES3_jN6thrust23THRUST_200600_302600_NS6detail15normal_iteratorINSA_10device_ptrItEEEEPS6_SG_NS0_5tupleIJSF_SF_EEENSH_IJSG_SG_EEES6_PlJ7is_evenItEEEE10hipError_tPvRmT3_T4_T5_T6_T7_T9_mT8_P12ihipStream_tbDpT10_ENKUlT_T0_E_clISt17integral_constantIbLb1EES15_IbLb0EEEEDaS11_S12_EUlS11_E_NS1_11comp_targetILNS1_3genE2ELNS1_11target_archE906ELNS1_3gpuE6ELNS1_3repE0EEENS1_30default_config_static_selectorELNS0_4arch9wavefront6targetE1EEEvT1_,"axG",@progbits,_ZN7rocprim17ROCPRIM_400000_NS6detail17trampoline_kernelINS0_14default_configENS1_25partition_config_selectorILNS1_17partition_subalgoE0EtNS0_10empty_typeEbEEZZNS1_14partition_implILS5_0ELb0ES3_jN6thrust23THRUST_200600_302600_NS6detail15normal_iteratorINSA_10device_ptrItEEEEPS6_SG_NS0_5tupleIJSF_SF_EEENSH_IJSG_SG_EEES6_PlJ7is_evenItEEEE10hipError_tPvRmT3_T4_T5_T6_T7_T9_mT8_P12ihipStream_tbDpT10_ENKUlT_T0_E_clISt17integral_constantIbLb1EES15_IbLb0EEEEDaS11_S12_EUlS11_E_NS1_11comp_targetILNS1_3genE2ELNS1_11target_archE906ELNS1_3gpuE6ELNS1_3repE0EEENS1_30default_config_static_selectorELNS0_4arch9wavefront6targetE1EEEvT1_,comdat
	.protected	_ZN7rocprim17ROCPRIM_400000_NS6detail17trampoline_kernelINS0_14default_configENS1_25partition_config_selectorILNS1_17partition_subalgoE0EtNS0_10empty_typeEbEEZZNS1_14partition_implILS5_0ELb0ES3_jN6thrust23THRUST_200600_302600_NS6detail15normal_iteratorINSA_10device_ptrItEEEEPS6_SG_NS0_5tupleIJSF_SF_EEENSH_IJSG_SG_EEES6_PlJ7is_evenItEEEE10hipError_tPvRmT3_T4_T5_T6_T7_T9_mT8_P12ihipStream_tbDpT10_ENKUlT_T0_E_clISt17integral_constantIbLb1EES15_IbLb0EEEEDaS11_S12_EUlS11_E_NS1_11comp_targetILNS1_3genE2ELNS1_11target_archE906ELNS1_3gpuE6ELNS1_3repE0EEENS1_30default_config_static_selectorELNS0_4arch9wavefront6targetE1EEEvT1_ ; -- Begin function _ZN7rocprim17ROCPRIM_400000_NS6detail17trampoline_kernelINS0_14default_configENS1_25partition_config_selectorILNS1_17partition_subalgoE0EtNS0_10empty_typeEbEEZZNS1_14partition_implILS5_0ELb0ES3_jN6thrust23THRUST_200600_302600_NS6detail15normal_iteratorINSA_10device_ptrItEEEEPS6_SG_NS0_5tupleIJSF_SF_EEENSH_IJSG_SG_EEES6_PlJ7is_evenItEEEE10hipError_tPvRmT3_T4_T5_T6_T7_T9_mT8_P12ihipStream_tbDpT10_ENKUlT_T0_E_clISt17integral_constantIbLb1EES15_IbLb0EEEEDaS11_S12_EUlS11_E_NS1_11comp_targetILNS1_3genE2ELNS1_11target_archE906ELNS1_3gpuE6ELNS1_3repE0EEENS1_30default_config_static_selectorELNS0_4arch9wavefront6targetE1EEEvT1_
	.globl	_ZN7rocprim17ROCPRIM_400000_NS6detail17trampoline_kernelINS0_14default_configENS1_25partition_config_selectorILNS1_17partition_subalgoE0EtNS0_10empty_typeEbEEZZNS1_14partition_implILS5_0ELb0ES3_jN6thrust23THRUST_200600_302600_NS6detail15normal_iteratorINSA_10device_ptrItEEEEPS6_SG_NS0_5tupleIJSF_SF_EEENSH_IJSG_SG_EEES6_PlJ7is_evenItEEEE10hipError_tPvRmT3_T4_T5_T6_T7_T9_mT8_P12ihipStream_tbDpT10_ENKUlT_T0_E_clISt17integral_constantIbLb1EES15_IbLb0EEEEDaS11_S12_EUlS11_E_NS1_11comp_targetILNS1_3genE2ELNS1_11target_archE906ELNS1_3gpuE6ELNS1_3repE0EEENS1_30default_config_static_selectorELNS0_4arch9wavefront6targetE1EEEvT1_
	.p2align	8
	.type	_ZN7rocprim17ROCPRIM_400000_NS6detail17trampoline_kernelINS0_14default_configENS1_25partition_config_selectorILNS1_17partition_subalgoE0EtNS0_10empty_typeEbEEZZNS1_14partition_implILS5_0ELb0ES3_jN6thrust23THRUST_200600_302600_NS6detail15normal_iteratorINSA_10device_ptrItEEEEPS6_SG_NS0_5tupleIJSF_SF_EEENSH_IJSG_SG_EEES6_PlJ7is_evenItEEEE10hipError_tPvRmT3_T4_T5_T6_T7_T9_mT8_P12ihipStream_tbDpT10_ENKUlT_T0_E_clISt17integral_constantIbLb1EES15_IbLb0EEEEDaS11_S12_EUlS11_E_NS1_11comp_targetILNS1_3genE2ELNS1_11target_archE906ELNS1_3gpuE6ELNS1_3repE0EEENS1_30default_config_static_selectorELNS0_4arch9wavefront6targetE1EEEvT1_,@function
_ZN7rocprim17ROCPRIM_400000_NS6detail17trampoline_kernelINS0_14default_configENS1_25partition_config_selectorILNS1_17partition_subalgoE0EtNS0_10empty_typeEbEEZZNS1_14partition_implILS5_0ELb0ES3_jN6thrust23THRUST_200600_302600_NS6detail15normal_iteratorINSA_10device_ptrItEEEEPS6_SG_NS0_5tupleIJSF_SF_EEENSH_IJSG_SG_EEES6_PlJ7is_evenItEEEE10hipError_tPvRmT3_T4_T5_T6_T7_T9_mT8_P12ihipStream_tbDpT10_ENKUlT_T0_E_clISt17integral_constantIbLb1EES15_IbLb0EEEEDaS11_S12_EUlS11_E_NS1_11comp_targetILNS1_3genE2ELNS1_11target_archE906ELNS1_3gpuE6ELNS1_3repE0EEENS1_30default_config_static_selectorELNS0_4arch9wavefront6targetE1EEEvT1_: ; @_ZN7rocprim17ROCPRIM_400000_NS6detail17trampoline_kernelINS0_14default_configENS1_25partition_config_selectorILNS1_17partition_subalgoE0EtNS0_10empty_typeEbEEZZNS1_14partition_implILS5_0ELb0ES3_jN6thrust23THRUST_200600_302600_NS6detail15normal_iteratorINSA_10device_ptrItEEEEPS6_SG_NS0_5tupleIJSF_SF_EEENSH_IJSG_SG_EEES6_PlJ7is_evenItEEEE10hipError_tPvRmT3_T4_T5_T6_T7_T9_mT8_P12ihipStream_tbDpT10_ENKUlT_T0_E_clISt17integral_constantIbLb1EES15_IbLb0EEEEDaS11_S12_EUlS11_E_NS1_11comp_targetILNS1_3genE2ELNS1_11target_archE906ELNS1_3gpuE6ELNS1_3repE0EEENS1_30default_config_static_selectorELNS0_4arch9wavefront6targetE1EEEvT1_
; %bb.0:
	.section	.rodata,"a",@progbits
	.p2align	6, 0x0
	.amdhsa_kernel _ZN7rocprim17ROCPRIM_400000_NS6detail17trampoline_kernelINS0_14default_configENS1_25partition_config_selectorILNS1_17partition_subalgoE0EtNS0_10empty_typeEbEEZZNS1_14partition_implILS5_0ELb0ES3_jN6thrust23THRUST_200600_302600_NS6detail15normal_iteratorINSA_10device_ptrItEEEEPS6_SG_NS0_5tupleIJSF_SF_EEENSH_IJSG_SG_EEES6_PlJ7is_evenItEEEE10hipError_tPvRmT3_T4_T5_T6_T7_T9_mT8_P12ihipStream_tbDpT10_ENKUlT_T0_E_clISt17integral_constantIbLb1EES15_IbLb0EEEEDaS11_S12_EUlS11_E_NS1_11comp_targetILNS1_3genE2ELNS1_11target_archE906ELNS1_3gpuE6ELNS1_3repE0EEENS1_30default_config_static_selectorELNS0_4arch9wavefront6targetE1EEEvT1_
		.amdhsa_group_segment_fixed_size 0
		.amdhsa_private_segment_fixed_size 0
		.amdhsa_kernarg_size 120
		.amdhsa_user_sgpr_count 6
		.amdhsa_user_sgpr_private_segment_buffer 1
		.amdhsa_user_sgpr_dispatch_ptr 0
		.amdhsa_user_sgpr_queue_ptr 0
		.amdhsa_user_sgpr_kernarg_segment_ptr 1
		.amdhsa_user_sgpr_dispatch_id 0
		.amdhsa_user_sgpr_flat_scratch_init 0
		.amdhsa_user_sgpr_kernarg_preload_length 0
		.amdhsa_user_sgpr_kernarg_preload_offset 0
		.amdhsa_user_sgpr_private_segment_size 0
		.amdhsa_uses_dynamic_stack 0
		.amdhsa_system_sgpr_private_segment_wavefront_offset 0
		.amdhsa_system_sgpr_workgroup_id_x 1
		.amdhsa_system_sgpr_workgroup_id_y 0
		.amdhsa_system_sgpr_workgroup_id_z 0
		.amdhsa_system_sgpr_workgroup_info 0
		.amdhsa_system_vgpr_workitem_id 0
		.amdhsa_next_free_vgpr 1
		.amdhsa_next_free_sgpr 0
		.amdhsa_accum_offset 4
		.amdhsa_reserve_vcc 0
		.amdhsa_reserve_flat_scratch 0
		.amdhsa_float_round_mode_32 0
		.amdhsa_float_round_mode_16_64 0
		.amdhsa_float_denorm_mode_32 3
		.amdhsa_float_denorm_mode_16_64 3
		.amdhsa_dx10_clamp 1
		.amdhsa_ieee_mode 1
		.amdhsa_fp16_overflow 0
		.amdhsa_tg_split 0
		.amdhsa_exception_fp_ieee_invalid_op 0
		.amdhsa_exception_fp_denorm_src 0
		.amdhsa_exception_fp_ieee_div_zero 0
		.amdhsa_exception_fp_ieee_overflow 0
		.amdhsa_exception_fp_ieee_underflow 0
		.amdhsa_exception_fp_ieee_inexact 0
		.amdhsa_exception_int_div_zero 0
	.end_amdhsa_kernel
	.section	.text._ZN7rocprim17ROCPRIM_400000_NS6detail17trampoline_kernelINS0_14default_configENS1_25partition_config_selectorILNS1_17partition_subalgoE0EtNS0_10empty_typeEbEEZZNS1_14partition_implILS5_0ELb0ES3_jN6thrust23THRUST_200600_302600_NS6detail15normal_iteratorINSA_10device_ptrItEEEEPS6_SG_NS0_5tupleIJSF_SF_EEENSH_IJSG_SG_EEES6_PlJ7is_evenItEEEE10hipError_tPvRmT3_T4_T5_T6_T7_T9_mT8_P12ihipStream_tbDpT10_ENKUlT_T0_E_clISt17integral_constantIbLb1EES15_IbLb0EEEEDaS11_S12_EUlS11_E_NS1_11comp_targetILNS1_3genE2ELNS1_11target_archE906ELNS1_3gpuE6ELNS1_3repE0EEENS1_30default_config_static_selectorELNS0_4arch9wavefront6targetE1EEEvT1_,"axG",@progbits,_ZN7rocprim17ROCPRIM_400000_NS6detail17trampoline_kernelINS0_14default_configENS1_25partition_config_selectorILNS1_17partition_subalgoE0EtNS0_10empty_typeEbEEZZNS1_14partition_implILS5_0ELb0ES3_jN6thrust23THRUST_200600_302600_NS6detail15normal_iteratorINSA_10device_ptrItEEEEPS6_SG_NS0_5tupleIJSF_SF_EEENSH_IJSG_SG_EEES6_PlJ7is_evenItEEEE10hipError_tPvRmT3_T4_T5_T6_T7_T9_mT8_P12ihipStream_tbDpT10_ENKUlT_T0_E_clISt17integral_constantIbLb1EES15_IbLb0EEEEDaS11_S12_EUlS11_E_NS1_11comp_targetILNS1_3genE2ELNS1_11target_archE906ELNS1_3gpuE6ELNS1_3repE0EEENS1_30default_config_static_selectorELNS0_4arch9wavefront6targetE1EEEvT1_,comdat
.Lfunc_end2190:
	.size	_ZN7rocprim17ROCPRIM_400000_NS6detail17trampoline_kernelINS0_14default_configENS1_25partition_config_selectorILNS1_17partition_subalgoE0EtNS0_10empty_typeEbEEZZNS1_14partition_implILS5_0ELb0ES3_jN6thrust23THRUST_200600_302600_NS6detail15normal_iteratorINSA_10device_ptrItEEEEPS6_SG_NS0_5tupleIJSF_SF_EEENSH_IJSG_SG_EEES6_PlJ7is_evenItEEEE10hipError_tPvRmT3_T4_T5_T6_T7_T9_mT8_P12ihipStream_tbDpT10_ENKUlT_T0_E_clISt17integral_constantIbLb1EES15_IbLb0EEEEDaS11_S12_EUlS11_E_NS1_11comp_targetILNS1_3genE2ELNS1_11target_archE906ELNS1_3gpuE6ELNS1_3repE0EEENS1_30default_config_static_selectorELNS0_4arch9wavefront6targetE1EEEvT1_, .Lfunc_end2190-_ZN7rocprim17ROCPRIM_400000_NS6detail17trampoline_kernelINS0_14default_configENS1_25partition_config_selectorILNS1_17partition_subalgoE0EtNS0_10empty_typeEbEEZZNS1_14partition_implILS5_0ELb0ES3_jN6thrust23THRUST_200600_302600_NS6detail15normal_iteratorINSA_10device_ptrItEEEEPS6_SG_NS0_5tupleIJSF_SF_EEENSH_IJSG_SG_EEES6_PlJ7is_evenItEEEE10hipError_tPvRmT3_T4_T5_T6_T7_T9_mT8_P12ihipStream_tbDpT10_ENKUlT_T0_E_clISt17integral_constantIbLb1EES15_IbLb0EEEEDaS11_S12_EUlS11_E_NS1_11comp_targetILNS1_3genE2ELNS1_11target_archE906ELNS1_3gpuE6ELNS1_3repE0EEENS1_30default_config_static_selectorELNS0_4arch9wavefront6targetE1EEEvT1_
                                        ; -- End function
	.section	.AMDGPU.csdata,"",@progbits
; Kernel info:
; codeLenInByte = 0
; NumSgprs: 4
; NumVgprs: 0
; NumAgprs: 0
; TotalNumVgprs: 0
; ScratchSize: 0
; MemoryBound: 0
; FloatMode: 240
; IeeeMode: 1
; LDSByteSize: 0 bytes/workgroup (compile time only)
; SGPRBlocks: 0
; VGPRBlocks: 0
; NumSGPRsForWavesPerEU: 4
; NumVGPRsForWavesPerEU: 1
; AccumOffset: 4
; Occupancy: 8
; WaveLimiterHint : 0
; COMPUTE_PGM_RSRC2:SCRATCH_EN: 0
; COMPUTE_PGM_RSRC2:USER_SGPR: 6
; COMPUTE_PGM_RSRC2:TRAP_HANDLER: 0
; COMPUTE_PGM_RSRC2:TGID_X_EN: 1
; COMPUTE_PGM_RSRC2:TGID_Y_EN: 0
; COMPUTE_PGM_RSRC2:TGID_Z_EN: 0
; COMPUTE_PGM_RSRC2:TIDIG_COMP_CNT: 0
; COMPUTE_PGM_RSRC3_GFX90A:ACCUM_OFFSET: 0
; COMPUTE_PGM_RSRC3_GFX90A:TG_SPLIT: 0
	.section	.text._ZN7rocprim17ROCPRIM_400000_NS6detail17trampoline_kernelINS0_14default_configENS1_25partition_config_selectorILNS1_17partition_subalgoE0EtNS0_10empty_typeEbEEZZNS1_14partition_implILS5_0ELb0ES3_jN6thrust23THRUST_200600_302600_NS6detail15normal_iteratorINSA_10device_ptrItEEEEPS6_SG_NS0_5tupleIJSF_SF_EEENSH_IJSG_SG_EEES6_PlJ7is_evenItEEEE10hipError_tPvRmT3_T4_T5_T6_T7_T9_mT8_P12ihipStream_tbDpT10_ENKUlT_T0_E_clISt17integral_constantIbLb1EES15_IbLb0EEEEDaS11_S12_EUlS11_E_NS1_11comp_targetILNS1_3genE10ELNS1_11target_archE1200ELNS1_3gpuE4ELNS1_3repE0EEENS1_30default_config_static_selectorELNS0_4arch9wavefront6targetE1EEEvT1_,"axG",@progbits,_ZN7rocprim17ROCPRIM_400000_NS6detail17trampoline_kernelINS0_14default_configENS1_25partition_config_selectorILNS1_17partition_subalgoE0EtNS0_10empty_typeEbEEZZNS1_14partition_implILS5_0ELb0ES3_jN6thrust23THRUST_200600_302600_NS6detail15normal_iteratorINSA_10device_ptrItEEEEPS6_SG_NS0_5tupleIJSF_SF_EEENSH_IJSG_SG_EEES6_PlJ7is_evenItEEEE10hipError_tPvRmT3_T4_T5_T6_T7_T9_mT8_P12ihipStream_tbDpT10_ENKUlT_T0_E_clISt17integral_constantIbLb1EES15_IbLb0EEEEDaS11_S12_EUlS11_E_NS1_11comp_targetILNS1_3genE10ELNS1_11target_archE1200ELNS1_3gpuE4ELNS1_3repE0EEENS1_30default_config_static_selectorELNS0_4arch9wavefront6targetE1EEEvT1_,comdat
	.protected	_ZN7rocprim17ROCPRIM_400000_NS6detail17trampoline_kernelINS0_14default_configENS1_25partition_config_selectorILNS1_17partition_subalgoE0EtNS0_10empty_typeEbEEZZNS1_14partition_implILS5_0ELb0ES3_jN6thrust23THRUST_200600_302600_NS6detail15normal_iteratorINSA_10device_ptrItEEEEPS6_SG_NS0_5tupleIJSF_SF_EEENSH_IJSG_SG_EEES6_PlJ7is_evenItEEEE10hipError_tPvRmT3_T4_T5_T6_T7_T9_mT8_P12ihipStream_tbDpT10_ENKUlT_T0_E_clISt17integral_constantIbLb1EES15_IbLb0EEEEDaS11_S12_EUlS11_E_NS1_11comp_targetILNS1_3genE10ELNS1_11target_archE1200ELNS1_3gpuE4ELNS1_3repE0EEENS1_30default_config_static_selectorELNS0_4arch9wavefront6targetE1EEEvT1_ ; -- Begin function _ZN7rocprim17ROCPRIM_400000_NS6detail17trampoline_kernelINS0_14default_configENS1_25partition_config_selectorILNS1_17partition_subalgoE0EtNS0_10empty_typeEbEEZZNS1_14partition_implILS5_0ELb0ES3_jN6thrust23THRUST_200600_302600_NS6detail15normal_iteratorINSA_10device_ptrItEEEEPS6_SG_NS0_5tupleIJSF_SF_EEENSH_IJSG_SG_EEES6_PlJ7is_evenItEEEE10hipError_tPvRmT3_T4_T5_T6_T7_T9_mT8_P12ihipStream_tbDpT10_ENKUlT_T0_E_clISt17integral_constantIbLb1EES15_IbLb0EEEEDaS11_S12_EUlS11_E_NS1_11comp_targetILNS1_3genE10ELNS1_11target_archE1200ELNS1_3gpuE4ELNS1_3repE0EEENS1_30default_config_static_selectorELNS0_4arch9wavefront6targetE1EEEvT1_
	.globl	_ZN7rocprim17ROCPRIM_400000_NS6detail17trampoline_kernelINS0_14default_configENS1_25partition_config_selectorILNS1_17partition_subalgoE0EtNS0_10empty_typeEbEEZZNS1_14partition_implILS5_0ELb0ES3_jN6thrust23THRUST_200600_302600_NS6detail15normal_iteratorINSA_10device_ptrItEEEEPS6_SG_NS0_5tupleIJSF_SF_EEENSH_IJSG_SG_EEES6_PlJ7is_evenItEEEE10hipError_tPvRmT3_T4_T5_T6_T7_T9_mT8_P12ihipStream_tbDpT10_ENKUlT_T0_E_clISt17integral_constantIbLb1EES15_IbLb0EEEEDaS11_S12_EUlS11_E_NS1_11comp_targetILNS1_3genE10ELNS1_11target_archE1200ELNS1_3gpuE4ELNS1_3repE0EEENS1_30default_config_static_selectorELNS0_4arch9wavefront6targetE1EEEvT1_
	.p2align	8
	.type	_ZN7rocprim17ROCPRIM_400000_NS6detail17trampoline_kernelINS0_14default_configENS1_25partition_config_selectorILNS1_17partition_subalgoE0EtNS0_10empty_typeEbEEZZNS1_14partition_implILS5_0ELb0ES3_jN6thrust23THRUST_200600_302600_NS6detail15normal_iteratorINSA_10device_ptrItEEEEPS6_SG_NS0_5tupleIJSF_SF_EEENSH_IJSG_SG_EEES6_PlJ7is_evenItEEEE10hipError_tPvRmT3_T4_T5_T6_T7_T9_mT8_P12ihipStream_tbDpT10_ENKUlT_T0_E_clISt17integral_constantIbLb1EES15_IbLb0EEEEDaS11_S12_EUlS11_E_NS1_11comp_targetILNS1_3genE10ELNS1_11target_archE1200ELNS1_3gpuE4ELNS1_3repE0EEENS1_30default_config_static_selectorELNS0_4arch9wavefront6targetE1EEEvT1_,@function
_ZN7rocprim17ROCPRIM_400000_NS6detail17trampoline_kernelINS0_14default_configENS1_25partition_config_selectorILNS1_17partition_subalgoE0EtNS0_10empty_typeEbEEZZNS1_14partition_implILS5_0ELb0ES3_jN6thrust23THRUST_200600_302600_NS6detail15normal_iteratorINSA_10device_ptrItEEEEPS6_SG_NS0_5tupleIJSF_SF_EEENSH_IJSG_SG_EEES6_PlJ7is_evenItEEEE10hipError_tPvRmT3_T4_T5_T6_T7_T9_mT8_P12ihipStream_tbDpT10_ENKUlT_T0_E_clISt17integral_constantIbLb1EES15_IbLb0EEEEDaS11_S12_EUlS11_E_NS1_11comp_targetILNS1_3genE10ELNS1_11target_archE1200ELNS1_3gpuE4ELNS1_3repE0EEENS1_30default_config_static_selectorELNS0_4arch9wavefront6targetE1EEEvT1_: ; @_ZN7rocprim17ROCPRIM_400000_NS6detail17trampoline_kernelINS0_14default_configENS1_25partition_config_selectorILNS1_17partition_subalgoE0EtNS0_10empty_typeEbEEZZNS1_14partition_implILS5_0ELb0ES3_jN6thrust23THRUST_200600_302600_NS6detail15normal_iteratorINSA_10device_ptrItEEEEPS6_SG_NS0_5tupleIJSF_SF_EEENSH_IJSG_SG_EEES6_PlJ7is_evenItEEEE10hipError_tPvRmT3_T4_T5_T6_T7_T9_mT8_P12ihipStream_tbDpT10_ENKUlT_T0_E_clISt17integral_constantIbLb1EES15_IbLb0EEEEDaS11_S12_EUlS11_E_NS1_11comp_targetILNS1_3genE10ELNS1_11target_archE1200ELNS1_3gpuE4ELNS1_3repE0EEENS1_30default_config_static_selectorELNS0_4arch9wavefront6targetE1EEEvT1_
; %bb.0:
	.section	.rodata,"a",@progbits
	.p2align	6, 0x0
	.amdhsa_kernel _ZN7rocprim17ROCPRIM_400000_NS6detail17trampoline_kernelINS0_14default_configENS1_25partition_config_selectorILNS1_17partition_subalgoE0EtNS0_10empty_typeEbEEZZNS1_14partition_implILS5_0ELb0ES3_jN6thrust23THRUST_200600_302600_NS6detail15normal_iteratorINSA_10device_ptrItEEEEPS6_SG_NS0_5tupleIJSF_SF_EEENSH_IJSG_SG_EEES6_PlJ7is_evenItEEEE10hipError_tPvRmT3_T4_T5_T6_T7_T9_mT8_P12ihipStream_tbDpT10_ENKUlT_T0_E_clISt17integral_constantIbLb1EES15_IbLb0EEEEDaS11_S12_EUlS11_E_NS1_11comp_targetILNS1_3genE10ELNS1_11target_archE1200ELNS1_3gpuE4ELNS1_3repE0EEENS1_30default_config_static_selectorELNS0_4arch9wavefront6targetE1EEEvT1_
		.amdhsa_group_segment_fixed_size 0
		.amdhsa_private_segment_fixed_size 0
		.amdhsa_kernarg_size 120
		.amdhsa_user_sgpr_count 6
		.amdhsa_user_sgpr_private_segment_buffer 1
		.amdhsa_user_sgpr_dispatch_ptr 0
		.amdhsa_user_sgpr_queue_ptr 0
		.amdhsa_user_sgpr_kernarg_segment_ptr 1
		.amdhsa_user_sgpr_dispatch_id 0
		.amdhsa_user_sgpr_flat_scratch_init 0
		.amdhsa_user_sgpr_kernarg_preload_length 0
		.amdhsa_user_sgpr_kernarg_preload_offset 0
		.amdhsa_user_sgpr_private_segment_size 0
		.amdhsa_uses_dynamic_stack 0
		.amdhsa_system_sgpr_private_segment_wavefront_offset 0
		.amdhsa_system_sgpr_workgroup_id_x 1
		.amdhsa_system_sgpr_workgroup_id_y 0
		.amdhsa_system_sgpr_workgroup_id_z 0
		.amdhsa_system_sgpr_workgroup_info 0
		.amdhsa_system_vgpr_workitem_id 0
		.amdhsa_next_free_vgpr 1
		.amdhsa_next_free_sgpr 0
		.amdhsa_accum_offset 4
		.amdhsa_reserve_vcc 0
		.amdhsa_reserve_flat_scratch 0
		.amdhsa_float_round_mode_32 0
		.amdhsa_float_round_mode_16_64 0
		.amdhsa_float_denorm_mode_32 3
		.amdhsa_float_denorm_mode_16_64 3
		.amdhsa_dx10_clamp 1
		.amdhsa_ieee_mode 1
		.amdhsa_fp16_overflow 0
		.amdhsa_tg_split 0
		.amdhsa_exception_fp_ieee_invalid_op 0
		.amdhsa_exception_fp_denorm_src 0
		.amdhsa_exception_fp_ieee_div_zero 0
		.amdhsa_exception_fp_ieee_overflow 0
		.amdhsa_exception_fp_ieee_underflow 0
		.amdhsa_exception_fp_ieee_inexact 0
		.amdhsa_exception_int_div_zero 0
	.end_amdhsa_kernel
	.section	.text._ZN7rocprim17ROCPRIM_400000_NS6detail17trampoline_kernelINS0_14default_configENS1_25partition_config_selectorILNS1_17partition_subalgoE0EtNS0_10empty_typeEbEEZZNS1_14partition_implILS5_0ELb0ES3_jN6thrust23THRUST_200600_302600_NS6detail15normal_iteratorINSA_10device_ptrItEEEEPS6_SG_NS0_5tupleIJSF_SF_EEENSH_IJSG_SG_EEES6_PlJ7is_evenItEEEE10hipError_tPvRmT3_T4_T5_T6_T7_T9_mT8_P12ihipStream_tbDpT10_ENKUlT_T0_E_clISt17integral_constantIbLb1EES15_IbLb0EEEEDaS11_S12_EUlS11_E_NS1_11comp_targetILNS1_3genE10ELNS1_11target_archE1200ELNS1_3gpuE4ELNS1_3repE0EEENS1_30default_config_static_selectorELNS0_4arch9wavefront6targetE1EEEvT1_,"axG",@progbits,_ZN7rocprim17ROCPRIM_400000_NS6detail17trampoline_kernelINS0_14default_configENS1_25partition_config_selectorILNS1_17partition_subalgoE0EtNS0_10empty_typeEbEEZZNS1_14partition_implILS5_0ELb0ES3_jN6thrust23THRUST_200600_302600_NS6detail15normal_iteratorINSA_10device_ptrItEEEEPS6_SG_NS0_5tupleIJSF_SF_EEENSH_IJSG_SG_EEES6_PlJ7is_evenItEEEE10hipError_tPvRmT3_T4_T5_T6_T7_T9_mT8_P12ihipStream_tbDpT10_ENKUlT_T0_E_clISt17integral_constantIbLb1EES15_IbLb0EEEEDaS11_S12_EUlS11_E_NS1_11comp_targetILNS1_3genE10ELNS1_11target_archE1200ELNS1_3gpuE4ELNS1_3repE0EEENS1_30default_config_static_selectorELNS0_4arch9wavefront6targetE1EEEvT1_,comdat
.Lfunc_end2191:
	.size	_ZN7rocprim17ROCPRIM_400000_NS6detail17trampoline_kernelINS0_14default_configENS1_25partition_config_selectorILNS1_17partition_subalgoE0EtNS0_10empty_typeEbEEZZNS1_14partition_implILS5_0ELb0ES3_jN6thrust23THRUST_200600_302600_NS6detail15normal_iteratorINSA_10device_ptrItEEEEPS6_SG_NS0_5tupleIJSF_SF_EEENSH_IJSG_SG_EEES6_PlJ7is_evenItEEEE10hipError_tPvRmT3_T4_T5_T6_T7_T9_mT8_P12ihipStream_tbDpT10_ENKUlT_T0_E_clISt17integral_constantIbLb1EES15_IbLb0EEEEDaS11_S12_EUlS11_E_NS1_11comp_targetILNS1_3genE10ELNS1_11target_archE1200ELNS1_3gpuE4ELNS1_3repE0EEENS1_30default_config_static_selectorELNS0_4arch9wavefront6targetE1EEEvT1_, .Lfunc_end2191-_ZN7rocprim17ROCPRIM_400000_NS6detail17trampoline_kernelINS0_14default_configENS1_25partition_config_selectorILNS1_17partition_subalgoE0EtNS0_10empty_typeEbEEZZNS1_14partition_implILS5_0ELb0ES3_jN6thrust23THRUST_200600_302600_NS6detail15normal_iteratorINSA_10device_ptrItEEEEPS6_SG_NS0_5tupleIJSF_SF_EEENSH_IJSG_SG_EEES6_PlJ7is_evenItEEEE10hipError_tPvRmT3_T4_T5_T6_T7_T9_mT8_P12ihipStream_tbDpT10_ENKUlT_T0_E_clISt17integral_constantIbLb1EES15_IbLb0EEEEDaS11_S12_EUlS11_E_NS1_11comp_targetILNS1_3genE10ELNS1_11target_archE1200ELNS1_3gpuE4ELNS1_3repE0EEENS1_30default_config_static_selectorELNS0_4arch9wavefront6targetE1EEEvT1_
                                        ; -- End function
	.section	.AMDGPU.csdata,"",@progbits
; Kernel info:
; codeLenInByte = 0
; NumSgprs: 4
; NumVgprs: 0
; NumAgprs: 0
; TotalNumVgprs: 0
; ScratchSize: 0
; MemoryBound: 0
; FloatMode: 240
; IeeeMode: 1
; LDSByteSize: 0 bytes/workgroup (compile time only)
; SGPRBlocks: 0
; VGPRBlocks: 0
; NumSGPRsForWavesPerEU: 4
; NumVGPRsForWavesPerEU: 1
; AccumOffset: 4
; Occupancy: 8
; WaveLimiterHint : 0
; COMPUTE_PGM_RSRC2:SCRATCH_EN: 0
; COMPUTE_PGM_RSRC2:USER_SGPR: 6
; COMPUTE_PGM_RSRC2:TRAP_HANDLER: 0
; COMPUTE_PGM_RSRC2:TGID_X_EN: 1
; COMPUTE_PGM_RSRC2:TGID_Y_EN: 0
; COMPUTE_PGM_RSRC2:TGID_Z_EN: 0
; COMPUTE_PGM_RSRC2:TIDIG_COMP_CNT: 0
; COMPUTE_PGM_RSRC3_GFX90A:ACCUM_OFFSET: 0
; COMPUTE_PGM_RSRC3_GFX90A:TG_SPLIT: 0
	.section	.text._ZN7rocprim17ROCPRIM_400000_NS6detail17trampoline_kernelINS0_14default_configENS1_25partition_config_selectorILNS1_17partition_subalgoE0EtNS0_10empty_typeEbEEZZNS1_14partition_implILS5_0ELb0ES3_jN6thrust23THRUST_200600_302600_NS6detail15normal_iteratorINSA_10device_ptrItEEEEPS6_SG_NS0_5tupleIJSF_SF_EEENSH_IJSG_SG_EEES6_PlJ7is_evenItEEEE10hipError_tPvRmT3_T4_T5_T6_T7_T9_mT8_P12ihipStream_tbDpT10_ENKUlT_T0_E_clISt17integral_constantIbLb1EES15_IbLb0EEEEDaS11_S12_EUlS11_E_NS1_11comp_targetILNS1_3genE9ELNS1_11target_archE1100ELNS1_3gpuE3ELNS1_3repE0EEENS1_30default_config_static_selectorELNS0_4arch9wavefront6targetE1EEEvT1_,"axG",@progbits,_ZN7rocprim17ROCPRIM_400000_NS6detail17trampoline_kernelINS0_14default_configENS1_25partition_config_selectorILNS1_17partition_subalgoE0EtNS0_10empty_typeEbEEZZNS1_14partition_implILS5_0ELb0ES3_jN6thrust23THRUST_200600_302600_NS6detail15normal_iteratorINSA_10device_ptrItEEEEPS6_SG_NS0_5tupleIJSF_SF_EEENSH_IJSG_SG_EEES6_PlJ7is_evenItEEEE10hipError_tPvRmT3_T4_T5_T6_T7_T9_mT8_P12ihipStream_tbDpT10_ENKUlT_T0_E_clISt17integral_constantIbLb1EES15_IbLb0EEEEDaS11_S12_EUlS11_E_NS1_11comp_targetILNS1_3genE9ELNS1_11target_archE1100ELNS1_3gpuE3ELNS1_3repE0EEENS1_30default_config_static_selectorELNS0_4arch9wavefront6targetE1EEEvT1_,comdat
	.protected	_ZN7rocprim17ROCPRIM_400000_NS6detail17trampoline_kernelINS0_14default_configENS1_25partition_config_selectorILNS1_17partition_subalgoE0EtNS0_10empty_typeEbEEZZNS1_14partition_implILS5_0ELb0ES3_jN6thrust23THRUST_200600_302600_NS6detail15normal_iteratorINSA_10device_ptrItEEEEPS6_SG_NS0_5tupleIJSF_SF_EEENSH_IJSG_SG_EEES6_PlJ7is_evenItEEEE10hipError_tPvRmT3_T4_T5_T6_T7_T9_mT8_P12ihipStream_tbDpT10_ENKUlT_T0_E_clISt17integral_constantIbLb1EES15_IbLb0EEEEDaS11_S12_EUlS11_E_NS1_11comp_targetILNS1_3genE9ELNS1_11target_archE1100ELNS1_3gpuE3ELNS1_3repE0EEENS1_30default_config_static_selectorELNS0_4arch9wavefront6targetE1EEEvT1_ ; -- Begin function _ZN7rocprim17ROCPRIM_400000_NS6detail17trampoline_kernelINS0_14default_configENS1_25partition_config_selectorILNS1_17partition_subalgoE0EtNS0_10empty_typeEbEEZZNS1_14partition_implILS5_0ELb0ES3_jN6thrust23THRUST_200600_302600_NS6detail15normal_iteratorINSA_10device_ptrItEEEEPS6_SG_NS0_5tupleIJSF_SF_EEENSH_IJSG_SG_EEES6_PlJ7is_evenItEEEE10hipError_tPvRmT3_T4_T5_T6_T7_T9_mT8_P12ihipStream_tbDpT10_ENKUlT_T0_E_clISt17integral_constantIbLb1EES15_IbLb0EEEEDaS11_S12_EUlS11_E_NS1_11comp_targetILNS1_3genE9ELNS1_11target_archE1100ELNS1_3gpuE3ELNS1_3repE0EEENS1_30default_config_static_selectorELNS0_4arch9wavefront6targetE1EEEvT1_
	.globl	_ZN7rocprim17ROCPRIM_400000_NS6detail17trampoline_kernelINS0_14default_configENS1_25partition_config_selectorILNS1_17partition_subalgoE0EtNS0_10empty_typeEbEEZZNS1_14partition_implILS5_0ELb0ES3_jN6thrust23THRUST_200600_302600_NS6detail15normal_iteratorINSA_10device_ptrItEEEEPS6_SG_NS0_5tupleIJSF_SF_EEENSH_IJSG_SG_EEES6_PlJ7is_evenItEEEE10hipError_tPvRmT3_T4_T5_T6_T7_T9_mT8_P12ihipStream_tbDpT10_ENKUlT_T0_E_clISt17integral_constantIbLb1EES15_IbLb0EEEEDaS11_S12_EUlS11_E_NS1_11comp_targetILNS1_3genE9ELNS1_11target_archE1100ELNS1_3gpuE3ELNS1_3repE0EEENS1_30default_config_static_selectorELNS0_4arch9wavefront6targetE1EEEvT1_
	.p2align	8
	.type	_ZN7rocprim17ROCPRIM_400000_NS6detail17trampoline_kernelINS0_14default_configENS1_25partition_config_selectorILNS1_17partition_subalgoE0EtNS0_10empty_typeEbEEZZNS1_14partition_implILS5_0ELb0ES3_jN6thrust23THRUST_200600_302600_NS6detail15normal_iteratorINSA_10device_ptrItEEEEPS6_SG_NS0_5tupleIJSF_SF_EEENSH_IJSG_SG_EEES6_PlJ7is_evenItEEEE10hipError_tPvRmT3_T4_T5_T6_T7_T9_mT8_P12ihipStream_tbDpT10_ENKUlT_T0_E_clISt17integral_constantIbLb1EES15_IbLb0EEEEDaS11_S12_EUlS11_E_NS1_11comp_targetILNS1_3genE9ELNS1_11target_archE1100ELNS1_3gpuE3ELNS1_3repE0EEENS1_30default_config_static_selectorELNS0_4arch9wavefront6targetE1EEEvT1_,@function
_ZN7rocprim17ROCPRIM_400000_NS6detail17trampoline_kernelINS0_14default_configENS1_25partition_config_selectorILNS1_17partition_subalgoE0EtNS0_10empty_typeEbEEZZNS1_14partition_implILS5_0ELb0ES3_jN6thrust23THRUST_200600_302600_NS6detail15normal_iteratorINSA_10device_ptrItEEEEPS6_SG_NS0_5tupleIJSF_SF_EEENSH_IJSG_SG_EEES6_PlJ7is_evenItEEEE10hipError_tPvRmT3_T4_T5_T6_T7_T9_mT8_P12ihipStream_tbDpT10_ENKUlT_T0_E_clISt17integral_constantIbLb1EES15_IbLb0EEEEDaS11_S12_EUlS11_E_NS1_11comp_targetILNS1_3genE9ELNS1_11target_archE1100ELNS1_3gpuE3ELNS1_3repE0EEENS1_30default_config_static_selectorELNS0_4arch9wavefront6targetE1EEEvT1_: ; @_ZN7rocprim17ROCPRIM_400000_NS6detail17trampoline_kernelINS0_14default_configENS1_25partition_config_selectorILNS1_17partition_subalgoE0EtNS0_10empty_typeEbEEZZNS1_14partition_implILS5_0ELb0ES3_jN6thrust23THRUST_200600_302600_NS6detail15normal_iteratorINSA_10device_ptrItEEEEPS6_SG_NS0_5tupleIJSF_SF_EEENSH_IJSG_SG_EEES6_PlJ7is_evenItEEEE10hipError_tPvRmT3_T4_T5_T6_T7_T9_mT8_P12ihipStream_tbDpT10_ENKUlT_T0_E_clISt17integral_constantIbLb1EES15_IbLb0EEEEDaS11_S12_EUlS11_E_NS1_11comp_targetILNS1_3genE9ELNS1_11target_archE1100ELNS1_3gpuE3ELNS1_3repE0EEENS1_30default_config_static_selectorELNS0_4arch9wavefront6targetE1EEEvT1_
; %bb.0:
	.section	.rodata,"a",@progbits
	.p2align	6, 0x0
	.amdhsa_kernel _ZN7rocprim17ROCPRIM_400000_NS6detail17trampoline_kernelINS0_14default_configENS1_25partition_config_selectorILNS1_17partition_subalgoE0EtNS0_10empty_typeEbEEZZNS1_14partition_implILS5_0ELb0ES3_jN6thrust23THRUST_200600_302600_NS6detail15normal_iteratorINSA_10device_ptrItEEEEPS6_SG_NS0_5tupleIJSF_SF_EEENSH_IJSG_SG_EEES6_PlJ7is_evenItEEEE10hipError_tPvRmT3_T4_T5_T6_T7_T9_mT8_P12ihipStream_tbDpT10_ENKUlT_T0_E_clISt17integral_constantIbLb1EES15_IbLb0EEEEDaS11_S12_EUlS11_E_NS1_11comp_targetILNS1_3genE9ELNS1_11target_archE1100ELNS1_3gpuE3ELNS1_3repE0EEENS1_30default_config_static_selectorELNS0_4arch9wavefront6targetE1EEEvT1_
		.amdhsa_group_segment_fixed_size 0
		.amdhsa_private_segment_fixed_size 0
		.amdhsa_kernarg_size 120
		.amdhsa_user_sgpr_count 6
		.amdhsa_user_sgpr_private_segment_buffer 1
		.amdhsa_user_sgpr_dispatch_ptr 0
		.amdhsa_user_sgpr_queue_ptr 0
		.amdhsa_user_sgpr_kernarg_segment_ptr 1
		.amdhsa_user_sgpr_dispatch_id 0
		.amdhsa_user_sgpr_flat_scratch_init 0
		.amdhsa_user_sgpr_kernarg_preload_length 0
		.amdhsa_user_sgpr_kernarg_preload_offset 0
		.amdhsa_user_sgpr_private_segment_size 0
		.amdhsa_uses_dynamic_stack 0
		.amdhsa_system_sgpr_private_segment_wavefront_offset 0
		.amdhsa_system_sgpr_workgroup_id_x 1
		.amdhsa_system_sgpr_workgroup_id_y 0
		.amdhsa_system_sgpr_workgroup_id_z 0
		.amdhsa_system_sgpr_workgroup_info 0
		.amdhsa_system_vgpr_workitem_id 0
		.amdhsa_next_free_vgpr 1
		.amdhsa_next_free_sgpr 0
		.amdhsa_accum_offset 4
		.amdhsa_reserve_vcc 0
		.amdhsa_reserve_flat_scratch 0
		.amdhsa_float_round_mode_32 0
		.amdhsa_float_round_mode_16_64 0
		.amdhsa_float_denorm_mode_32 3
		.amdhsa_float_denorm_mode_16_64 3
		.amdhsa_dx10_clamp 1
		.amdhsa_ieee_mode 1
		.amdhsa_fp16_overflow 0
		.amdhsa_tg_split 0
		.amdhsa_exception_fp_ieee_invalid_op 0
		.amdhsa_exception_fp_denorm_src 0
		.amdhsa_exception_fp_ieee_div_zero 0
		.amdhsa_exception_fp_ieee_overflow 0
		.amdhsa_exception_fp_ieee_underflow 0
		.amdhsa_exception_fp_ieee_inexact 0
		.amdhsa_exception_int_div_zero 0
	.end_amdhsa_kernel
	.section	.text._ZN7rocprim17ROCPRIM_400000_NS6detail17trampoline_kernelINS0_14default_configENS1_25partition_config_selectorILNS1_17partition_subalgoE0EtNS0_10empty_typeEbEEZZNS1_14partition_implILS5_0ELb0ES3_jN6thrust23THRUST_200600_302600_NS6detail15normal_iteratorINSA_10device_ptrItEEEEPS6_SG_NS0_5tupleIJSF_SF_EEENSH_IJSG_SG_EEES6_PlJ7is_evenItEEEE10hipError_tPvRmT3_T4_T5_T6_T7_T9_mT8_P12ihipStream_tbDpT10_ENKUlT_T0_E_clISt17integral_constantIbLb1EES15_IbLb0EEEEDaS11_S12_EUlS11_E_NS1_11comp_targetILNS1_3genE9ELNS1_11target_archE1100ELNS1_3gpuE3ELNS1_3repE0EEENS1_30default_config_static_selectorELNS0_4arch9wavefront6targetE1EEEvT1_,"axG",@progbits,_ZN7rocprim17ROCPRIM_400000_NS6detail17trampoline_kernelINS0_14default_configENS1_25partition_config_selectorILNS1_17partition_subalgoE0EtNS0_10empty_typeEbEEZZNS1_14partition_implILS5_0ELb0ES3_jN6thrust23THRUST_200600_302600_NS6detail15normal_iteratorINSA_10device_ptrItEEEEPS6_SG_NS0_5tupleIJSF_SF_EEENSH_IJSG_SG_EEES6_PlJ7is_evenItEEEE10hipError_tPvRmT3_T4_T5_T6_T7_T9_mT8_P12ihipStream_tbDpT10_ENKUlT_T0_E_clISt17integral_constantIbLb1EES15_IbLb0EEEEDaS11_S12_EUlS11_E_NS1_11comp_targetILNS1_3genE9ELNS1_11target_archE1100ELNS1_3gpuE3ELNS1_3repE0EEENS1_30default_config_static_selectorELNS0_4arch9wavefront6targetE1EEEvT1_,comdat
.Lfunc_end2192:
	.size	_ZN7rocprim17ROCPRIM_400000_NS6detail17trampoline_kernelINS0_14default_configENS1_25partition_config_selectorILNS1_17partition_subalgoE0EtNS0_10empty_typeEbEEZZNS1_14partition_implILS5_0ELb0ES3_jN6thrust23THRUST_200600_302600_NS6detail15normal_iteratorINSA_10device_ptrItEEEEPS6_SG_NS0_5tupleIJSF_SF_EEENSH_IJSG_SG_EEES6_PlJ7is_evenItEEEE10hipError_tPvRmT3_T4_T5_T6_T7_T9_mT8_P12ihipStream_tbDpT10_ENKUlT_T0_E_clISt17integral_constantIbLb1EES15_IbLb0EEEEDaS11_S12_EUlS11_E_NS1_11comp_targetILNS1_3genE9ELNS1_11target_archE1100ELNS1_3gpuE3ELNS1_3repE0EEENS1_30default_config_static_selectorELNS0_4arch9wavefront6targetE1EEEvT1_, .Lfunc_end2192-_ZN7rocprim17ROCPRIM_400000_NS6detail17trampoline_kernelINS0_14default_configENS1_25partition_config_selectorILNS1_17partition_subalgoE0EtNS0_10empty_typeEbEEZZNS1_14partition_implILS5_0ELb0ES3_jN6thrust23THRUST_200600_302600_NS6detail15normal_iteratorINSA_10device_ptrItEEEEPS6_SG_NS0_5tupleIJSF_SF_EEENSH_IJSG_SG_EEES6_PlJ7is_evenItEEEE10hipError_tPvRmT3_T4_T5_T6_T7_T9_mT8_P12ihipStream_tbDpT10_ENKUlT_T0_E_clISt17integral_constantIbLb1EES15_IbLb0EEEEDaS11_S12_EUlS11_E_NS1_11comp_targetILNS1_3genE9ELNS1_11target_archE1100ELNS1_3gpuE3ELNS1_3repE0EEENS1_30default_config_static_selectorELNS0_4arch9wavefront6targetE1EEEvT1_
                                        ; -- End function
	.section	.AMDGPU.csdata,"",@progbits
; Kernel info:
; codeLenInByte = 0
; NumSgprs: 4
; NumVgprs: 0
; NumAgprs: 0
; TotalNumVgprs: 0
; ScratchSize: 0
; MemoryBound: 0
; FloatMode: 240
; IeeeMode: 1
; LDSByteSize: 0 bytes/workgroup (compile time only)
; SGPRBlocks: 0
; VGPRBlocks: 0
; NumSGPRsForWavesPerEU: 4
; NumVGPRsForWavesPerEU: 1
; AccumOffset: 4
; Occupancy: 8
; WaveLimiterHint : 0
; COMPUTE_PGM_RSRC2:SCRATCH_EN: 0
; COMPUTE_PGM_RSRC2:USER_SGPR: 6
; COMPUTE_PGM_RSRC2:TRAP_HANDLER: 0
; COMPUTE_PGM_RSRC2:TGID_X_EN: 1
; COMPUTE_PGM_RSRC2:TGID_Y_EN: 0
; COMPUTE_PGM_RSRC2:TGID_Z_EN: 0
; COMPUTE_PGM_RSRC2:TIDIG_COMP_CNT: 0
; COMPUTE_PGM_RSRC3_GFX90A:ACCUM_OFFSET: 0
; COMPUTE_PGM_RSRC3_GFX90A:TG_SPLIT: 0
	.section	.text._ZN7rocprim17ROCPRIM_400000_NS6detail17trampoline_kernelINS0_14default_configENS1_25partition_config_selectorILNS1_17partition_subalgoE0EtNS0_10empty_typeEbEEZZNS1_14partition_implILS5_0ELb0ES3_jN6thrust23THRUST_200600_302600_NS6detail15normal_iteratorINSA_10device_ptrItEEEEPS6_SG_NS0_5tupleIJSF_SF_EEENSH_IJSG_SG_EEES6_PlJ7is_evenItEEEE10hipError_tPvRmT3_T4_T5_T6_T7_T9_mT8_P12ihipStream_tbDpT10_ENKUlT_T0_E_clISt17integral_constantIbLb1EES15_IbLb0EEEEDaS11_S12_EUlS11_E_NS1_11comp_targetILNS1_3genE8ELNS1_11target_archE1030ELNS1_3gpuE2ELNS1_3repE0EEENS1_30default_config_static_selectorELNS0_4arch9wavefront6targetE1EEEvT1_,"axG",@progbits,_ZN7rocprim17ROCPRIM_400000_NS6detail17trampoline_kernelINS0_14default_configENS1_25partition_config_selectorILNS1_17partition_subalgoE0EtNS0_10empty_typeEbEEZZNS1_14partition_implILS5_0ELb0ES3_jN6thrust23THRUST_200600_302600_NS6detail15normal_iteratorINSA_10device_ptrItEEEEPS6_SG_NS0_5tupleIJSF_SF_EEENSH_IJSG_SG_EEES6_PlJ7is_evenItEEEE10hipError_tPvRmT3_T4_T5_T6_T7_T9_mT8_P12ihipStream_tbDpT10_ENKUlT_T0_E_clISt17integral_constantIbLb1EES15_IbLb0EEEEDaS11_S12_EUlS11_E_NS1_11comp_targetILNS1_3genE8ELNS1_11target_archE1030ELNS1_3gpuE2ELNS1_3repE0EEENS1_30default_config_static_selectorELNS0_4arch9wavefront6targetE1EEEvT1_,comdat
	.protected	_ZN7rocprim17ROCPRIM_400000_NS6detail17trampoline_kernelINS0_14default_configENS1_25partition_config_selectorILNS1_17partition_subalgoE0EtNS0_10empty_typeEbEEZZNS1_14partition_implILS5_0ELb0ES3_jN6thrust23THRUST_200600_302600_NS6detail15normal_iteratorINSA_10device_ptrItEEEEPS6_SG_NS0_5tupleIJSF_SF_EEENSH_IJSG_SG_EEES6_PlJ7is_evenItEEEE10hipError_tPvRmT3_T4_T5_T6_T7_T9_mT8_P12ihipStream_tbDpT10_ENKUlT_T0_E_clISt17integral_constantIbLb1EES15_IbLb0EEEEDaS11_S12_EUlS11_E_NS1_11comp_targetILNS1_3genE8ELNS1_11target_archE1030ELNS1_3gpuE2ELNS1_3repE0EEENS1_30default_config_static_selectorELNS0_4arch9wavefront6targetE1EEEvT1_ ; -- Begin function _ZN7rocprim17ROCPRIM_400000_NS6detail17trampoline_kernelINS0_14default_configENS1_25partition_config_selectorILNS1_17partition_subalgoE0EtNS0_10empty_typeEbEEZZNS1_14partition_implILS5_0ELb0ES3_jN6thrust23THRUST_200600_302600_NS6detail15normal_iteratorINSA_10device_ptrItEEEEPS6_SG_NS0_5tupleIJSF_SF_EEENSH_IJSG_SG_EEES6_PlJ7is_evenItEEEE10hipError_tPvRmT3_T4_T5_T6_T7_T9_mT8_P12ihipStream_tbDpT10_ENKUlT_T0_E_clISt17integral_constantIbLb1EES15_IbLb0EEEEDaS11_S12_EUlS11_E_NS1_11comp_targetILNS1_3genE8ELNS1_11target_archE1030ELNS1_3gpuE2ELNS1_3repE0EEENS1_30default_config_static_selectorELNS0_4arch9wavefront6targetE1EEEvT1_
	.globl	_ZN7rocprim17ROCPRIM_400000_NS6detail17trampoline_kernelINS0_14default_configENS1_25partition_config_selectorILNS1_17partition_subalgoE0EtNS0_10empty_typeEbEEZZNS1_14partition_implILS5_0ELb0ES3_jN6thrust23THRUST_200600_302600_NS6detail15normal_iteratorINSA_10device_ptrItEEEEPS6_SG_NS0_5tupleIJSF_SF_EEENSH_IJSG_SG_EEES6_PlJ7is_evenItEEEE10hipError_tPvRmT3_T4_T5_T6_T7_T9_mT8_P12ihipStream_tbDpT10_ENKUlT_T0_E_clISt17integral_constantIbLb1EES15_IbLb0EEEEDaS11_S12_EUlS11_E_NS1_11comp_targetILNS1_3genE8ELNS1_11target_archE1030ELNS1_3gpuE2ELNS1_3repE0EEENS1_30default_config_static_selectorELNS0_4arch9wavefront6targetE1EEEvT1_
	.p2align	8
	.type	_ZN7rocprim17ROCPRIM_400000_NS6detail17trampoline_kernelINS0_14default_configENS1_25partition_config_selectorILNS1_17partition_subalgoE0EtNS0_10empty_typeEbEEZZNS1_14partition_implILS5_0ELb0ES3_jN6thrust23THRUST_200600_302600_NS6detail15normal_iteratorINSA_10device_ptrItEEEEPS6_SG_NS0_5tupleIJSF_SF_EEENSH_IJSG_SG_EEES6_PlJ7is_evenItEEEE10hipError_tPvRmT3_T4_T5_T6_T7_T9_mT8_P12ihipStream_tbDpT10_ENKUlT_T0_E_clISt17integral_constantIbLb1EES15_IbLb0EEEEDaS11_S12_EUlS11_E_NS1_11comp_targetILNS1_3genE8ELNS1_11target_archE1030ELNS1_3gpuE2ELNS1_3repE0EEENS1_30default_config_static_selectorELNS0_4arch9wavefront6targetE1EEEvT1_,@function
_ZN7rocprim17ROCPRIM_400000_NS6detail17trampoline_kernelINS0_14default_configENS1_25partition_config_selectorILNS1_17partition_subalgoE0EtNS0_10empty_typeEbEEZZNS1_14partition_implILS5_0ELb0ES3_jN6thrust23THRUST_200600_302600_NS6detail15normal_iteratorINSA_10device_ptrItEEEEPS6_SG_NS0_5tupleIJSF_SF_EEENSH_IJSG_SG_EEES6_PlJ7is_evenItEEEE10hipError_tPvRmT3_T4_T5_T6_T7_T9_mT8_P12ihipStream_tbDpT10_ENKUlT_T0_E_clISt17integral_constantIbLb1EES15_IbLb0EEEEDaS11_S12_EUlS11_E_NS1_11comp_targetILNS1_3genE8ELNS1_11target_archE1030ELNS1_3gpuE2ELNS1_3repE0EEENS1_30default_config_static_selectorELNS0_4arch9wavefront6targetE1EEEvT1_: ; @_ZN7rocprim17ROCPRIM_400000_NS6detail17trampoline_kernelINS0_14default_configENS1_25partition_config_selectorILNS1_17partition_subalgoE0EtNS0_10empty_typeEbEEZZNS1_14partition_implILS5_0ELb0ES3_jN6thrust23THRUST_200600_302600_NS6detail15normal_iteratorINSA_10device_ptrItEEEEPS6_SG_NS0_5tupleIJSF_SF_EEENSH_IJSG_SG_EEES6_PlJ7is_evenItEEEE10hipError_tPvRmT3_T4_T5_T6_T7_T9_mT8_P12ihipStream_tbDpT10_ENKUlT_T0_E_clISt17integral_constantIbLb1EES15_IbLb0EEEEDaS11_S12_EUlS11_E_NS1_11comp_targetILNS1_3genE8ELNS1_11target_archE1030ELNS1_3gpuE2ELNS1_3repE0EEENS1_30default_config_static_selectorELNS0_4arch9wavefront6targetE1EEEvT1_
; %bb.0:
	.section	.rodata,"a",@progbits
	.p2align	6, 0x0
	.amdhsa_kernel _ZN7rocprim17ROCPRIM_400000_NS6detail17trampoline_kernelINS0_14default_configENS1_25partition_config_selectorILNS1_17partition_subalgoE0EtNS0_10empty_typeEbEEZZNS1_14partition_implILS5_0ELb0ES3_jN6thrust23THRUST_200600_302600_NS6detail15normal_iteratorINSA_10device_ptrItEEEEPS6_SG_NS0_5tupleIJSF_SF_EEENSH_IJSG_SG_EEES6_PlJ7is_evenItEEEE10hipError_tPvRmT3_T4_T5_T6_T7_T9_mT8_P12ihipStream_tbDpT10_ENKUlT_T0_E_clISt17integral_constantIbLb1EES15_IbLb0EEEEDaS11_S12_EUlS11_E_NS1_11comp_targetILNS1_3genE8ELNS1_11target_archE1030ELNS1_3gpuE2ELNS1_3repE0EEENS1_30default_config_static_selectorELNS0_4arch9wavefront6targetE1EEEvT1_
		.amdhsa_group_segment_fixed_size 0
		.amdhsa_private_segment_fixed_size 0
		.amdhsa_kernarg_size 120
		.amdhsa_user_sgpr_count 6
		.amdhsa_user_sgpr_private_segment_buffer 1
		.amdhsa_user_sgpr_dispatch_ptr 0
		.amdhsa_user_sgpr_queue_ptr 0
		.amdhsa_user_sgpr_kernarg_segment_ptr 1
		.amdhsa_user_sgpr_dispatch_id 0
		.amdhsa_user_sgpr_flat_scratch_init 0
		.amdhsa_user_sgpr_kernarg_preload_length 0
		.amdhsa_user_sgpr_kernarg_preload_offset 0
		.amdhsa_user_sgpr_private_segment_size 0
		.amdhsa_uses_dynamic_stack 0
		.amdhsa_system_sgpr_private_segment_wavefront_offset 0
		.amdhsa_system_sgpr_workgroup_id_x 1
		.amdhsa_system_sgpr_workgroup_id_y 0
		.amdhsa_system_sgpr_workgroup_id_z 0
		.amdhsa_system_sgpr_workgroup_info 0
		.amdhsa_system_vgpr_workitem_id 0
		.amdhsa_next_free_vgpr 1
		.amdhsa_next_free_sgpr 0
		.amdhsa_accum_offset 4
		.amdhsa_reserve_vcc 0
		.amdhsa_reserve_flat_scratch 0
		.amdhsa_float_round_mode_32 0
		.amdhsa_float_round_mode_16_64 0
		.amdhsa_float_denorm_mode_32 3
		.amdhsa_float_denorm_mode_16_64 3
		.amdhsa_dx10_clamp 1
		.amdhsa_ieee_mode 1
		.amdhsa_fp16_overflow 0
		.amdhsa_tg_split 0
		.amdhsa_exception_fp_ieee_invalid_op 0
		.amdhsa_exception_fp_denorm_src 0
		.amdhsa_exception_fp_ieee_div_zero 0
		.amdhsa_exception_fp_ieee_overflow 0
		.amdhsa_exception_fp_ieee_underflow 0
		.amdhsa_exception_fp_ieee_inexact 0
		.amdhsa_exception_int_div_zero 0
	.end_amdhsa_kernel
	.section	.text._ZN7rocprim17ROCPRIM_400000_NS6detail17trampoline_kernelINS0_14default_configENS1_25partition_config_selectorILNS1_17partition_subalgoE0EtNS0_10empty_typeEbEEZZNS1_14partition_implILS5_0ELb0ES3_jN6thrust23THRUST_200600_302600_NS6detail15normal_iteratorINSA_10device_ptrItEEEEPS6_SG_NS0_5tupleIJSF_SF_EEENSH_IJSG_SG_EEES6_PlJ7is_evenItEEEE10hipError_tPvRmT3_T4_T5_T6_T7_T9_mT8_P12ihipStream_tbDpT10_ENKUlT_T0_E_clISt17integral_constantIbLb1EES15_IbLb0EEEEDaS11_S12_EUlS11_E_NS1_11comp_targetILNS1_3genE8ELNS1_11target_archE1030ELNS1_3gpuE2ELNS1_3repE0EEENS1_30default_config_static_selectorELNS0_4arch9wavefront6targetE1EEEvT1_,"axG",@progbits,_ZN7rocprim17ROCPRIM_400000_NS6detail17trampoline_kernelINS0_14default_configENS1_25partition_config_selectorILNS1_17partition_subalgoE0EtNS0_10empty_typeEbEEZZNS1_14partition_implILS5_0ELb0ES3_jN6thrust23THRUST_200600_302600_NS6detail15normal_iteratorINSA_10device_ptrItEEEEPS6_SG_NS0_5tupleIJSF_SF_EEENSH_IJSG_SG_EEES6_PlJ7is_evenItEEEE10hipError_tPvRmT3_T4_T5_T6_T7_T9_mT8_P12ihipStream_tbDpT10_ENKUlT_T0_E_clISt17integral_constantIbLb1EES15_IbLb0EEEEDaS11_S12_EUlS11_E_NS1_11comp_targetILNS1_3genE8ELNS1_11target_archE1030ELNS1_3gpuE2ELNS1_3repE0EEENS1_30default_config_static_selectorELNS0_4arch9wavefront6targetE1EEEvT1_,comdat
.Lfunc_end2193:
	.size	_ZN7rocprim17ROCPRIM_400000_NS6detail17trampoline_kernelINS0_14default_configENS1_25partition_config_selectorILNS1_17partition_subalgoE0EtNS0_10empty_typeEbEEZZNS1_14partition_implILS5_0ELb0ES3_jN6thrust23THRUST_200600_302600_NS6detail15normal_iteratorINSA_10device_ptrItEEEEPS6_SG_NS0_5tupleIJSF_SF_EEENSH_IJSG_SG_EEES6_PlJ7is_evenItEEEE10hipError_tPvRmT3_T4_T5_T6_T7_T9_mT8_P12ihipStream_tbDpT10_ENKUlT_T0_E_clISt17integral_constantIbLb1EES15_IbLb0EEEEDaS11_S12_EUlS11_E_NS1_11comp_targetILNS1_3genE8ELNS1_11target_archE1030ELNS1_3gpuE2ELNS1_3repE0EEENS1_30default_config_static_selectorELNS0_4arch9wavefront6targetE1EEEvT1_, .Lfunc_end2193-_ZN7rocprim17ROCPRIM_400000_NS6detail17trampoline_kernelINS0_14default_configENS1_25partition_config_selectorILNS1_17partition_subalgoE0EtNS0_10empty_typeEbEEZZNS1_14partition_implILS5_0ELb0ES3_jN6thrust23THRUST_200600_302600_NS6detail15normal_iteratorINSA_10device_ptrItEEEEPS6_SG_NS0_5tupleIJSF_SF_EEENSH_IJSG_SG_EEES6_PlJ7is_evenItEEEE10hipError_tPvRmT3_T4_T5_T6_T7_T9_mT8_P12ihipStream_tbDpT10_ENKUlT_T0_E_clISt17integral_constantIbLb1EES15_IbLb0EEEEDaS11_S12_EUlS11_E_NS1_11comp_targetILNS1_3genE8ELNS1_11target_archE1030ELNS1_3gpuE2ELNS1_3repE0EEENS1_30default_config_static_selectorELNS0_4arch9wavefront6targetE1EEEvT1_
                                        ; -- End function
	.section	.AMDGPU.csdata,"",@progbits
; Kernel info:
; codeLenInByte = 0
; NumSgprs: 4
; NumVgprs: 0
; NumAgprs: 0
; TotalNumVgprs: 0
; ScratchSize: 0
; MemoryBound: 0
; FloatMode: 240
; IeeeMode: 1
; LDSByteSize: 0 bytes/workgroup (compile time only)
; SGPRBlocks: 0
; VGPRBlocks: 0
; NumSGPRsForWavesPerEU: 4
; NumVGPRsForWavesPerEU: 1
; AccumOffset: 4
; Occupancy: 8
; WaveLimiterHint : 0
; COMPUTE_PGM_RSRC2:SCRATCH_EN: 0
; COMPUTE_PGM_RSRC2:USER_SGPR: 6
; COMPUTE_PGM_RSRC2:TRAP_HANDLER: 0
; COMPUTE_PGM_RSRC2:TGID_X_EN: 1
; COMPUTE_PGM_RSRC2:TGID_Y_EN: 0
; COMPUTE_PGM_RSRC2:TGID_Z_EN: 0
; COMPUTE_PGM_RSRC2:TIDIG_COMP_CNT: 0
; COMPUTE_PGM_RSRC3_GFX90A:ACCUM_OFFSET: 0
; COMPUTE_PGM_RSRC3_GFX90A:TG_SPLIT: 0
	.section	.text._ZN7rocprim17ROCPRIM_400000_NS6detail17trampoline_kernelINS0_14default_configENS1_25partition_config_selectorILNS1_17partition_subalgoE0EtNS0_10empty_typeEbEEZZNS1_14partition_implILS5_0ELb0ES3_jN6thrust23THRUST_200600_302600_NS6detail15normal_iteratorINSA_10device_ptrItEEEEPS6_SG_NS0_5tupleIJSF_SF_EEENSH_IJSG_SG_EEES6_PlJ7is_evenItEEEE10hipError_tPvRmT3_T4_T5_T6_T7_T9_mT8_P12ihipStream_tbDpT10_ENKUlT_T0_E_clISt17integral_constantIbLb0EES15_IbLb1EEEEDaS11_S12_EUlS11_E_NS1_11comp_targetILNS1_3genE0ELNS1_11target_archE4294967295ELNS1_3gpuE0ELNS1_3repE0EEENS1_30default_config_static_selectorELNS0_4arch9wavefront6targetE1EEEvT1_,"axG",@progbits,_ZN7rocprim17ROCPRIM_400000_NS6detail17trampoline_kernelINS0_14default_configENS1_25partition_config_selectorILNS1_17partition_subalgoE0EtNS0_10empty_typeEbEEZZNS1_14partition_implILS5_0ELb0ES3_jN6thrust23THRUST_200600_302600_NS6detail15normal_iteratorINSA_10device_ptrItEEEEPS6_SG_NS0_5tupleIJSF_SF_EEENSH_IJSG_SG_EEES6_PlJ7is_evenItEEEE10hipError_tPvRmT3_T4_T5_T6_T7_T9_mT8_P12ihipStream_tbDpT10_ENKUlT_T0_E_clISt17integral_constantIbLb0EES15_IbLb1EEEEDaS11_S12_EUlS11_E_NS1_11comp_targetILNS1_3genE0ELNS1_11target_archE4294967295ELNS1_3gpuE0ELNS1_3repE0EEENS1_30default_config_static_selectorELNS0_4arch9wavefront6targetE1EEEvT1_,comdat
	.protected	_ZN7rocprim17ROCPRIM_400000_NS6detail17trampoline_kernelINS0_14default_configENS1_25partition_config_selectorILNS1_17partition_subalgoE0EtNS0_10empty_typeEbEEZZNS1_14partition_implILS5_0ELb0ES3_jN6thrust23THRUST_200600_302600_NS6detail15normal_iteratorINSA_10device_ptrItEEEEPS6_SG_NS0_5tupleIJSF_SF_EEENSH_IJSG_SG_EEES6_PlJ7is_evenItEEEE10hipError_tPvRmT3_T4_T5_T6_T7_T9_mT8_P12ihipStream_tbDpT10_ENKUlT_T0_E_clISt17integral_constantIbLb0EES15_IbLb1EEEEDaS11_S12_EUlS11_E_NS1_11comp_targetILNS1_3genE0ELNS1_11target_archE4294967295ELNS1_3gpuE0ELNS1_3repE0EEENS1_30default_config_static_selectorELNS0_4arch9wavefront6targetE1EEEvT1_ ; -- Begin function _ZN7rocprim17ROCPRIM_400000_NS6detail17trampoline_kernelINS0_14default_configENS1_25partition_config_selectorILNS1_17partition_subalgoE0EtNS0_10empty_typeEbEEZZNS1_14partition_implILS5_0ELb0ES3_jN6thrust23THRUST_200600_302600_NS6detail15normal_iteratorINSA_10device_ptrItEEEEPS6_SG_NS0_5tupleIJSF_SF_EEENSH_IJSG_SG_EEES6_PlJ7is_evenItEEEE10hipError_tPvRmT3_T4_T5_T6_T7_T9_mT8_P12ihipStream_tbDpT10_ENKUlT_T0_E_clISt17integral_constantIbLb0EES15_IbLb1EEEEDaS11_S12_EUlS11_E_NS1_11comp_targetILNS1_3genE0ELNS1_11target_archE4294967295ELNS1_3gpuE0ELNS1_3repE0EEENS1_30default_config_static_selectorELNS0_4arch9wavefront6targetE1EEEvT1_
	.globl	_ZN7rocprim17ROCPRIM_400000_NS6detail17trampoline_kernelINS0_14default_configENS1_25partition_config_selectorILNS1_17partition_subalgoE0EtNS0_10empty_typeEbEEZZNS1_14partition_implILS5_0ELb0ES3_jN6thrust23THRUST_200600_302600_NS6detail15normal_iteratorINSA_10device_ptrItEEEEPS6_SG_NS0_5tupleIJSF_SF_EEENSH_IJSG_SG_EEES6_PlJ7is_evenItEEEE10hipError_tPvRmT3_T4_T5_T6_T7_T9_mT8_P12ihipStream_tbDpT10_ENKUlT_T0_E_clISt17integral_constantIbLb0EES15_IbLb1EEEEDaS11_S12_EUlS11_E_NS1_11comp_targetILNS1_3genE0ELNS1_11target_archE4294967295ELNS1_3gpuE0ELNS1_3repE0EEENS1_30default_config_static_selectorELNS0_4arch9wavefront6targetE1EEEvT1_
	.p2align	8
	.type	_ZN7rocprim17ROCPRIM_400000_NS6detail17trampoline_kernelINS0_14default_configENS1_25partition_config_selectorILNS1_17partition_subalgoE0EtNS0_10empty_typeEbEEZZNS1_14partition_implILS5_0ELb0ES3_jN6thrust23THRUST_200600_302600_NS6detail15normal_iteratorINSA_10device_ptrItEEEEPS6_SG_NS0_5tupleIJSF_SF_EEENSH_IJSG_SG_EEES6_PlJ7is_evenItEEEE10hipError_tPvRmT3_T4_T5_T6_T7_T9_mT8_P12ihipStream_tbDpT10_ENKUlT_T0_E_clISt17integral_constantIbLb0EES15_IbLb1EEEEDaS11_S12_EUlS11_E_NS1_11comp_targetILNS1_3genE0ELNS1_11target_archE4294967295ELNS1_3gpuE0ELNS1_3repE0EEENS1_30default_config_static_selectorELNS0_4arch9wavefront6targetE1EEEvT1_,@function
_ZN7rocprim17ROCPRIM_400000_NS6detail17trampoline_kernelINS0_14default_configENS1_25partition_config_selectorILNS1_17partition_subalgoE0EtNS0_10empty_typeEbEEZZNS1_14partition_implILS5_0ELb0ES3_jN6thrust23THRUST_200600_302600_NS6detail15normal_iteratorINSA_10device_ptrItEEEEPS6_SG_NS0_5tupleIJSF_SF_EEENSH_IJSG_SG_EEES6_PlJ7is_evenItEEEE10hipError_tPvRmT3_T4_T5_T6_T7_T9_mT8_P12ihipStream_tbDpT10_ENKUlT_T0_E_clISt17integral_constantIbLb0EES15_IbLb1EEEEDaS11_S12_EUlS11_E_NS1_11comp_targetILNS1_3genE0ELNS1_11target_archE4294967295ELNS1_3gpuE0ELNS1_3repE0EEENS1_30default_config_static_selectorELNS0_4arch9wavefront6targetE1EEEvT1_: ; @_ZN7rocprim17ROCPRIM_400000_NS6detail17trampoline_kernelINS0_14default_configENS1_25partition_config_selectorILNS1_17partition_subalgoE0EtNS0_10empty_typeEbEEZZNS1_14partition_implILS5_0ELb0ES3_jN6thrust23THRUST_200600_302600_NS6detail15normal_iteratorINSA_10device_ptrItEEEEPS6_SG_NS0_5tupleIJSF_SF_EEENSH_IJSG_SG_EEES6_PlJ7is_evenItEEEE10hipError_tPvRmT3_T4_T5_T6_T7_T9_mT8_P12ihipStream_tbDpT10_ENKUlT_T0_E_clISt17integral_constantIbLb0EES15_IbLb1EEEEDaS11_S12_EUlS11_E_NS1_11comp_targetILNS1_3genE0ELNS1_11target_archE4294967295ELNS1_3gpuE0ELNS1_3repE0EEENS1_30default_config_static_selectorELNS0_4arch9wavefront6targetE1EEEvT1_
; %bb.0:
	.section	.rodata,"a",@progbits
	.p2align	6, 0x0
	.amdhsa_kernel _ZN7rocprim17ROCPRIM_400000_NS6detail17trampoline_kernelINS0_14default_configENS1_25partition_config_selectorILNS1_17partition_subalgoE0EtNS0_10empty_typeEbEEZZNS1_14partition_implILS5_0ELb0ES3_jN6thrust23THRUST_200600_302600_NS6detail15normal_iteratorINSA_10device_ptrItEEEEPS6_SG_NS0_5tupleIJSF_SF_EEENSH_IJSG_SG_EEES6_PlJ7is_evenItEEEE10hipError_tPvRmT3_T4_T5_T6_T7_T9_mT8_P12ihipStream_tbDpT10_ENKUlT_T0_E_clISt17integral_constantIbLb0EES15_IbLb1EEEEDaS11_S12_EUlS11_E_NS1_11comp_targetILNS1_3genE0ELNS1_11target_archE4294967295ELNS1_3gpuE0ELNS1_3repE0EEENS1_30default_config_static_selectorELNS0_4arch9wavefront6targetE1EEEvT1_
		.amdhsa_group_segment_fixed_size 0
		.amdhsa_private_segment_fixed_size 0
		.amdhsa_kernarg_size 136
		.amdhsa_user_sgpr_count 6
		.amdhsa_user_sgpr_private_segment_buffer 1
		.amdhsa_user_sgpr_dispatch_ptr 0
		.amdhsa_user_sgpr_queue_ptr 0
		.amdhsa_user_sgpr_kernarg_segment_ptr 1
		.amdhsa_user_sgpr_dispatch_id 0
		.amdhsa_user_sgpr_flat_scratch_init 0
		.amdhsa_user_sgpr_kernarg_preload_length 0
		.amdhsa_user_sgpr_kernarg_preload_offset 0
		.amdhsa_user_sgpr_private_segment_size 0
		.amdhsa_uses_dynamic_stack 0
		.amdhsa_system_sgpr_private_segment_wavefront_offset 0
		.amdhsa_system_sgpr_workgroup_id_x 1
		.amdhsa_system_sgpr_workgroup_id_y 0
		.amdhsa_system_sgpr_workgroup_id_z 0
		.amdhsa_system_sgpr_workgroup_info 0
		.amdhsa_system_vgpr_workitem_id 0
		.amdhsa_next_free_vgpr 1
		.amdhsa_next_free_sgpr 0
		.amdhsa_accum_offset 4
		.amdhsa_reserve_vcc 0
		.amdhsa_reserve_flat_scratch 0
		.amdhsa_float_round_mode_32 0
		.amdhsa_float_round_mode_16_64 0
		.amdhsa_float_denorm_mode_32 3
		.amdhsa_float_denorm_mode_16_64 3
		.amdhsa_dx10_clamp 1
		.amdhsa_ieee_mode 1
		.amdhsa_fp16_overflow 0
		.amdhsa_tg_split 0
		.amdhsa_exception_fp_ieee_invalid_op 0
		.amdhsa_exception_fp_denorm_src 0
		.amdhsa_exception_fp_ieee_div_zero 0
		.amdhsa_exception_fp_ieee_overflow 0
		.amdhsa_exception_fp_ieee_underflow 0
		.amdhsa_exception_fp_ieee_inexact 0
		.amdhsa_exception_int_div_zero 0
	.end_amdhsa_kernel
	.section	.text._ZN7rocprim17ROCPRIM_400000_NS6detail17trampoline_kernelINS0_14default_configENS1_25partition_config_selectorILNS1_17partition_subalgoE0EtNS0_10empty_typeEbEEZZNS1_14partition_implILS5_0ELb0ES3_jN6thrust23THRUST_200600_302600_NS6detail15normal_iteratorINSA_10device_ptrItEEEEPS6_SG_NS0_5tupleIJSF_SF_EEENSH_IJSG_SG_EEES6_PlJ7is_evenItEEEE10hipError_tPvRmT3_T4_T5_T6_T7_T9_mT8_P12ihipStream_tbDpT10_ENKUlT_T0_E_clISt17integral_constantIbLb0EES15_IbLb1EEEEDaS11_S12_EUlS11_E_NS1_11comp_targetILNS1_3genE0ELNS1_11target_archE4294967295ELNS1_3gpuE0ELNS1_3repE0EEENS1_30default_config_static_selectorELNS0_4arch9wavefront6targetE1EEEvT1_,"axG",@progbits,_ZN7rocprim17ROCPRIM_400000_NS6detail17trampoline_kernelINS0_14default_configENS1_25partition_config_selectorILNS1_17partition_subalgoE0EtNS0_10empty_typeEbEEZZNS1_14partition_implILS5_0ELb0ES3_jN6thrust23THRUST_200600_302600_NS6detail15normal_iteratorINSA_10device_ptrItEEEEPS6_SG_NS0_5tupleIJSF_SF_EEENSH_IJSG_SG_EEES6_PlJ7is_evenItEEEE10hipError_tPvRmT3_T4_T5_T6_T7_T9_mT8_P12ihipStream_tbDpT10_ENKUlT_T0_E_clISt17integral_constantIbLb0EES15_IbLb1EEEEDaS11_S12_EUlS11_E_NS1_11comp_targetILNS1_3genE0ELNS1_11target_archE4294967295ELNS1_3gpuE0ELNS1_3repE0EEENS1_30default_config_static_selectorELNS0_4arch9wavefront6targetE1EEEvT1_,comdat
.Lfunc_end2194:
	.size	_ZN7rocprim17ROCPRIM_400000_NS6detail17trampoline_kernelINS0_14default_configENS1_25partition_config_selectorILNS1_17partition_subalgoE0EtNS0_10empty_typeEbEEZZNS1_14partition_implILS5_0ELb0ES3_jN6thrust23THRUST_200600_302600_NS6detail15normal_iteratorINSA_10device_ptrItEEEEPS6_SG_NS0_5tupleIJSF_SF_EEENSH_IJSG_SG_EEES6_PlJ7is_evenItEEEE10hipError_tPvRmT3_T4_T5_T6_T7_T9_mT8_P12ihipStream_tbDpT10_ENKUlT_T0_E_clISt17integral_constantIbLb0EES15_IbLb1EEEEDaS11_S12_EUlS11_E_NS1_11comp_targetILNS1_3genE0ELNS1_11target_archE4294967295ELNS1_3gpuE0ELNS1_3repE0EEENS1_30default_config_static_selectorELNS0_4arch9wavefront6targetE1EEEvT1_, .Lfunc_end2194-_ZN7rocprim17ROCPRIM_400000_NS6detail17trampoline_kernelINS0_14default_configENS1_25partition_config_selectorILNS1_17partition_subalgoE0EtNS0_10empty_typeEbEEZZNS1_14partition_implILS5_0ELb0ES3_jN6thrust23THRUST_200600_302600_NS6detail15normal_iteratorINSA_10device_ptrItEEEEPS6_SG_NS0_5tupleIJSF_SF_EEENSH_IJSG_SG_EEES6_PlJ7is_evenItEEEE10hipError_tPvRmT3_T4_T5_T6_T7_T9_mT8_P12ihipStream_tbDpT10_ENKUlT_T0_E_clISt17integral_constantIbLb0EES15_IbLb1EEEEDaS11_S12_EUlS11_E_NS1_11comp_targetILNS1_3genE0ELNS1_11target_archE4294967295ELNS1_3gpuE0ELNS1_3repE0EEENS1_30default_config_static_selectorELNS0_4arch9wavefront6targetE1EEEvT1_
                                        ; -- End function
	.section	.AMDGPU.csdata,"",@progbits
; Kernel info:
; codeLenInByte = 0
; NumSgprs: 4
; NumVgprs: 0
; NumAgprs: 0
; TotalNumVgprs: 0
; ScratchSize: 0
; MemoryBound: 0
; FloatMode: 240
; IeeeMode: 1
; LDSByteSize: 0 bytes/workgroup (compile time only)
; SGPRBlocks: 0
; VGPRBlocks: 0
; NumSGPRsForWavesPerEU: 4
; NumVGPRsForWavesPerEU: 1
; AccumOffset: 4
; Occupancy: 8
; WaveLimiterHint : 0
; COMPUTE_PGM_RSRC2:SCRATCH_EN: 0
; COMPUTE_PGM_RSRC2:USER_SGPR: 6
; COMPUTE_PGM_RSRC2:TRAP_HANDLER: 0
; COMPUTE_PGM_RSRC2:TGID_X_EN: 1
; COMPUTE_PGM_RSRC2:TGID_Y_EN: 0
; COMPUTE_PGM_RSRC2:TGID_Z_EN: 0
; COMPUTE_PGM_RSRC2:TIDIG_COMP_CNT: 0
; COMPUTE_PGM_RSRC3_GFX90A:ACCUM_OFFSET: 0
; COMPUTE_PGM_RSRC3_GFX90A:TG_SPLIT: 0
	.section	.text._ZN7rocprim17ROCPRIM_400000_NS6detail17trampoline_kernelINS0_14default_configENS1_25partition_config_selectorILNS1_17partition_subalgoE0EtNS0_10empty_typeEbEEZZNS1_14partition_implILS5_0ELb0ES3_jN6thrust23THRUST_200600_302600_NS6detail15normal_iteratorINSA_10device_ptrItEEEEPS6_SG_NS0_5tupleIJSF_SF_EEENSH_IJSG_SG_EEES6_PlJ7is_evenItEEEE10hipError_tPvRmT3_T4_T5_T6_T7_T9_mT8_P12ihipStream_tbDpT10_ENKUlT_T0_E_clISt17integral_constantIbLb0EES15_IbLb1EEEEDaS11_S12_EUlS11_E_NS1_11comp_targetILNS1_3genE5ELNS1_11target_archE942ELNS1_3gpuE9ELNS1_3repE0EEENS1_30default_config_static_selectorELNS0_4arch9wavefront6targetE1EEEvT1_,"axG",@progbits,_ZN7rocprim17ROCPRIM_400000_NS6detail17trampoline_kernelINS0_14default_configENS1_25partition_config_selectorILNS1_17partition_subalgoE0EtNS0_10empty_typeEbEEZZNS1_14partition_implILS5_0ELb0ES3_jN6thrust23THRUST_200600_302600_NS6detail15normal_iteratorINSA_10device_ptrItEEEEPS6_SG_NS0_5tupleIJSF_SF_EEENSH_IJSG_SG_EEES6_PlJ7is_evenItEEEE10hipError_tPvRmT3_T4_T5_T6_T7_T9_mT8_P12ihipStream_tbDpT10_ENKUlT_T0_E_clISt17integral_constantIbLb0EES15_IbLb1EEEEDaS11_S12_EUlS11_E_NS1_11comp_targetILNS1_3genE5ELNS1_11target_archE942ELNS1_3gpuE9ELNS1_3repE0EEENS1_30default_config_static_selectorELNS0_4arch9wavefront6targetE1EEEvT1_,comdat
	.protected	_ZN7rocprim17ROCPRIM_400000_NS6detail17trampoline_kernelINS0_14default_configENS1_25partition_config_selectorILNS1_17partition_subalgoE0EtNS0_10empty_typeEbEEZZNS1_14partition_implILS5_0ELb0ES3_jN6thrust23THRUST_200600_302600_NS6detail15normal_iteratorINSA_10device_ptrItEEEEPS6_SG_NS0_5tupleIJSF_SF_EEENSH_IJSG_SG_EEES6_PlJ7is_evenItEEEE10hipError_tPvRmT3_T4_T5_T6_T7_T9_mT8_P12ihipStream_tbDpT10_ENKUlT_T0_E_clISt17integral_constantIbLb0EES15_IbLb1EEEEDaS11_S12_EUlS11_E_NS1_11comp_targetILNS1_3genE5ELNS1_11target_archE942ELNS1_3gpuE9ELNS1_3repE0EEENS1_30default_config_static_selectorELNS0_4arch9wavefront6targetE1EEEvT1_ ; -- Begin function _ZN7rocprim17ROCPRIM_400000_NS6detail17trampoline_kernelINS0_14default_configENS1_25partition_config_selectorILNS1_17partition_subalgoE0EtNS0_10empty_typeEbEEZZNS1_14partition_implILS5_0ELb0ES3_jN6thrust23THRUST_200600_302600_NS6detail15normal_iteratorINSA_10device_ptrItEEEEPS6_SG_NS0_5tupleIJSF_SF_EEENSH_IJSG_SG_EEES6_PlJ7is_evenItEEEE10hipError_tPvRmT3_T4_T5_T6_T7_T9_mT8_P12ihipStream_tbDpT10_ENKUlT_T0_E_clISt17integral_constantIbLb0EES15_IbLb1EEEEDaS11_S12_EUlS11_E_NS1_11comp_targetILNS1_3genE5ELNS1_11target_archE942ELNS1_3gpuE9ELNS1_3repE0EEENS1_30default_config_static_selectorELNS0_4arch9wavefront6targetE1EEEvT1_
	.globl	_ZN7rocprim17ROCPRIM_400000_NS6detail17trampoline_kernelINS0_14default_configENS1_25partition_config_selectorILNS1_17partition_subalgoE0EtNS0_10empty_typeEbEEZZNS1_14partition_implILS5_0ELb0ES3_jN6thrust23THRUST_200600_302600_NS6detail15normal_iteratorINSA_10device_ptrItEEEEPS6_SG_NS0_5tupleIJSF_SF_EEENSH_IJSG_SG_EEES6_PlJ7is_evenItEEEE10hipError_tPvRmT3_T4_T5_T6_T7_T9_mT8_P12ihipStream_tbDpT10_ENKUlT_T0_E_clISt17integral_constantIbLb0EES15_IbLb1EEEEDaS11_S12_EUlS11_E_NS1_11comp_targetILNS1_3genE5ELNS1_11target_archE942ELNS1_3gpuE9ELNS1_3repE0EEENS1_30default_config_static_selectorELNS0_4arch9wavefront6targetE1EEEvT1_
	.p2align	8
	.type	_ZN7rocprim17ROCPRIM_400000_NS6detail17trampoline_kernelINS0_14default_configENS1_25partition_config_selectorILNS1_17partition_subalgoE0EtNS0_10empty_typeEbEEZZNS1_14partition_implILS5_0ELb0ES3_jN6thrust23THRUST_200600_302600_NS6detail15normal_iteratorINSA_10device_ptrItEEEEPS6_SG_NS0_5tupleIJSF_SF_EEENSH_IJSG_SG_EEES6_PlJ7is_evenItEEEE10hipError_tPvRmT3_T4_T5_T6_T7_T9_mT8_P12ihipStream_tbDpT10_ENKUlT_T0_E_clISt17integral_constantIbLb0EES15_IbLb1EEEEDaS11_S12_EUlS11_E_NS1_11comp_targetILNS1_3genE5ELNS1_11target_archE942ELNS1_3gpuE9ELNS1_3repE0EEENS1_30default_config_static_selectorELNS0_4arch9wavefront6targetE1EEEvT1_,@function
_ZN7rocprim17ROCPRIM_400000_NS6detail17trampoline_kernelINS0_14default_configENS1_25partition_config_selectorILNS1_17partition_subalgoE0EtNS0_10empty_typeEbEEZZNS1_14partition_implILS5_0ELb0ES3_jN6thrust23THRUST_200600_302600_NS6detail15normal_iteratorINSA_10device_ptrItEEEEPS6_SG_NS0_5tupleIJSF_SF_EEENSH_IJSG_SG_EEES6_PlJ7is_evenItEEEE10hipError_tPvRmT3_T4_T5_T6_T7_T9_mT8_P12ihipStream_tbDpT10_ENKUlT_T0_E_clISt17integral_constantIbLb0EES15_IbLb1EEEEDaS11_S12_EUlS11_E_NS1_11comp_targetILNS1_3genE5ELNS1_11target_archE942ELNS1_3gpuE9ELNS1_3repE0EEENS1_30default_config_static_selectorELNS0_4arch9wavefront6targetE1EEEvT1_: ; @_ZN7rocprim17ROCPRIM_400000_NS6detail17trampoline_kernelINS0_14default_configENS1_25partition_config_selectorILNS1_17partition_subalgoE0EtNS0_10empty_typeEbEEZZNS1_14partition_implILS5_0ELb0ES3_jN6thrust23THRUST_200600_302600_NS6detail15normal_iteratorINSA_10device_ptrItEEEEPS6_SG_NS0_5tupleIJSF_SF_EEENSH_IJSG_SG_EEES6_PlJ7is_evenItEEEE10hipError_tPvRmT3_T4_T5_T6_T7_T9_mT8_P12ihipStream_tbDpT10_ENKUlT_T0_E_clISt17integral_constantIbLb0EES15_IbLb1EEEEDaS11_S12_EUlS11_E_NS1_11comp_targetILNS1_3genE5ELNS1_11target_archE942ELNS1_3gpuE9ELNS1_3repE0EEENS1_30default_config_static_selectorELNS0_4arch9wavefront6targetE1EEEvT1_
; %bb.0:
	.section	.rodata,"a",@progbits
	.p2align	6, 0x0
	.amdhsa_kernel _ZN7rocprim17ROCPRIM_400000_NS6detail17trampoline_kernelINS0_14default_configENS1_25partition_config_selectorILNS1_17partition_subalgoE0EtNS0_10empty_typeEbEEZZNS1_14partition_implILS5_0ELb0ES3_jN6thrust23THRUST_200600_302600_NS6detail15normal_iteratorINSA_10device_ptrItEEEEPS6_SG_NS0_5tupleIJSF_SF_EEENSH_IJSG_SG_EEES6_PlJ7is_evenItEEEE10hipError_tPvRmT3_T4_T5_T6_T7_T9_mT8_P12ihipStream_tbDpT10_ENKUlT_T0_E_clISt17integral_constantIbLb0EES15_IbLb1EEEEDaS11_S12_EUlS11_E_NS1_11comp_targetILNS1_3genE5ELNS1_11target_archE942ELNS1_3gpuE9ELNS1_3repE0EEENS1_30default_config_static_selectorELNS0_4arch9wavefront6targetE1EEEvT1_
		.amdhsa_group_segment_fixed_size 0
		.amdhsa_private_segment_fixed_size 0
		.amdhsa_kernarg_size 136
		.amdhsa_user_sgpr_count 6
		.amdhsa_user_sgpr_private_segment_buffer 1
		.amdhsa_user_sgpr_dispatch_ptr 0
		.amdhsa_user_sgpr_queue_ptr 0
		.amdhsa_user_sgpr_kernarg_segment_ptr 1
		.amdhsa_user_sgpr_dispatch_id 0
		.amdhsa_user_sgpr_flat_scratch_init 0
		.amdhsa_user_sgpr_kernarg_preload_length 0
		.amdhsa_user_sgpr_kernarg_preload_offset 0
		.amdhsa_user_sgpr_private_segment_size 0
		.amdhsa_uses_dynamic_stack 0
		.amdhsa_system_sgpr_private_segment_wavefront_offset 0
		.amdhsa_system_sgpr_workgroup_id_x 1
		.amdhsa_system_sgpr_workgroup_id_y 0
		.amdhsa_system_sgpr_workgroup_id_z 0
		.amdhsa_system_sgpr_workgroup_info 0
		.amdhsa_system_vgpr_workitem_id 0
		.amdhsa_next_free_vgpr 1
		.amdhsa_next_free_sgpr 0
		.amdhsa_accum_offset 4
		.amdhsa_reserve_vcc 0
		.amdhsa_reserve_flat_scratch 0
		.amdhsa_float_round_mode_32 0
		.amdhsa_float_round_mode_16_64 0
		.amdhsa_float_denorm_mode_32 3
		.amdhsa_float_denorm_mode_16_64 3
		.amdhsa_dx10_clamp 1
		.amdhsa_ieee_mode 1
		.amdhsa_fp16_overflow 0
		.amdhsa_tg_split 0
		.amdhsa_exception_fp_ieee_invalid_op 0
		.amdhsa_exception_fp_denorm_src 0
		.amdhsa_exception_fp_ieee_div_zero 0
		.amdhsa_exception_fp_ieee_overflow 0
		.amdhsa_exception_fp_ieee_underflow 0
		.amdhsa_exception_fp_ieee_inexact 0
		.amdhsa_exception_int_div_zero 0
	.end_amdhsa_kernel
	.section	.text._ZN7rocprim17ROCPRIM_400000_NS6detail17trampoline_kernelINS0_14default_configENS1_25partition_config_selectorILNS1_17partition_subalgoE0EtNS0_10empty_typeEbEEZZNS1_14partition_implILS5_0ELb0ES3_jN6thrust23THRUST_200600_302600_NS6detail15normal_iteratorINSA_10device_ptrItEEEEPS6_SG_NS0_5tupleIJSF_SF_EEENSH_IJSG_SG_EEES6_PlJ7is_evenItEEEE10hipError_tPvRmT3_T4_T5_T6_T7_T9_mT8_P12ihipStream_tbDpT10_ENKUlT_T0_E_clISt17integral_constantIbLb0EES15_IbLb1EEEEDaS11_S12_EUlS11_E_NS1_11comp_targetILNS1_3genE5ELNS1_11target_archE942ELNS1_3gpuE9ELNS1_3repE0EEENS1_30default_config_static_selectorELNS0_4arch9wavefront6targetE1EEEvT1_,"axG",@progbits,_ZN7rocprim17ROCPRIM_400000_NS6detail17trampoline_kernelINS0_14default_configENS1_25partition_config_selectorILNS1_17partition_subalgoE0EtNS0_10empty_typeEbEEZZNS1_14partition_implILS5_0ELb0ES3_jN6thrust23THRUST_200600_302600_NS6detail15normal_iteratorINSA_10device_ptrItEEEEPS6_SG_NS0_5tupleIJSF_SF_EEENSH_IJSG_SG_EEES6_PlJ7is_evenItEEEE10hipError_tPvRmT3_T4_T5_T6_T7_T9_mT8_P12ihipStream_tbDpT10_ENKUlT_T0_E_clISt17integral_constantIbLb0EES15_IbLb1EEEEDaS11_S12_EUlS11_E_NS1_11comp_targetILNS1_3genE5ELNS1_11target_archE942ELNS1_3gpuE9ELNS1_3repE0EEENS1_30default_config_static_selectorELNS0_4arch9wavefront6targetE1EEEvT1_,comdat
.Lfunc_end2195:
	.size	_ZN7rocprim17ROCPRIM_400000_NS6detail17trampoline_kernelINS0_14default_configENS1_25partition_config_selectorILNS1_17partition_subalgoE0EtNS0_10empty_typeEbEEZZNS1_14partition_implILS5_0ELb0ES3_jN6thrust23THRUST_200600_302600_NS6detail15normal_iteratorINSA_10device_ptrItEEEEPS6_SG_NS0_5tupleIJSF_SF_EEENSH_IJSG_SG_EEES6_PlJ7is_evenItEEEE10hipError_tPvRmT3_T4_T5_T6_T7_T9_mT8_P12ihipStream_tbDpT10_ENKUlT_T0_E_clISt17integral_constantIbLb0EES15_IbLb1EEEEDaS11_S12_EUlS11_E_NS1_11comp_targetILNS1_3genE5ELNS1_11target_archE942ELNS1_3gpuE9ELNS1_3repE0EEENS1_30default_config_static_selectorELNS0_4arch9wavefront6targetE1EEEvT1_, .Lfunc_end2195-_ZN7rocprim17ROCPRIM_400000_NS6detail17trampoline_kernelINS0_14default_configENS1_25partition_config_selectorILNS1_17partition_subalgoE0EtNS0_10empty_typeEbEEZZNS1_14partition_implILS5_0ELb0ES3_jN6thrust23THRUST_200600_302600_NS6detail15normal_iteratorINSA_10device_ptrItEEEEPS6_SG_NS0_5tupleIJSF_SF_EEENSH_IJSG_SG_EEES6_PlJ7is_evenItEEEE10hipError_tPvRmT3_T4_T5_T6_T7_T9_mT8_P12ihipStream_tbDpT10_ENKUlT_T0_E_clISt17integral_constantIbLb0EES15_IbLb1EEEEDaS11_S12_EUlS11_E_NS1_11comp_targetILNS1_3genE5ELNS1_11target_archE942ELNS1_3gpuE9ELNS1_3repE0EEENS1_30default_config_static_selectorELNS0_4arch9wavefront6targetE1EEEvT1_
                                        ; -- End function
	.section	.AMDGPU.csdata,"",@progbits
; Kernel info:
; codeLenInByte = 0
; NumSgprs: 4
; NumVgprs: 0
; NumAgprs: 0
; TotalNumVgprs: 0
; ScratchSize: 0
; MemoryBound: 0
; FloatMode: 240
; IeeeMode: 1
; LDSByteSize: 0 bytes/workgroup (compile time only)
; SGPRBlocks: 0
; VGPRBlocks: 0
; NumSGPRsForWavesPerEU: 4
; NumVGPRsForWavesPerEU: 1
; AccumOffset: 4
; Occupancy: 8
; WaveLimiterHint : 0
; COMPUTE_PGM_RSRC2:SCRATCH_EN: 0
; COMPUTE_PGM_RSRC2:USER_SGPR: 6
; COMPUTE_PGM_RSRC2:TRAP_HANDLER: 0
; COMPUTE_PGM_RSRC2:TGID_X_EN: 1
; COMPUTE_PGM_RSRC2:TGID_Y_EN: 0
; COMPUTE_PGM_RSRC2:TGID_Z_EN: 0
; COMPUTE_PGM_RSRC2:TIDIG_COMP_CNT: 0
; COMPUTE_PGM_RSRC3_GFX90A:ACCUM_OFFSET: 0
; COMPUTE_PGM_RSRC3_GFX90A:TG_SPLIT: 0
	.section	.text._ZN7rocprim17ROCPRIM_400000_NS6detail17trampoline_kernelINS0_14default_configENS1_25partition_config_selectorILNS1_17partition_subalgoE0EtNS0_10empty_typeEbEEZZNS1_14partition_implILS5_0ELb0ES3_jN6thrust23THRUST_200600_302600_NS6detail15normal_iteratorINSA_10device_ptrItEEEEPS6_SG_NS0_5tupleIJSF_SF_EEENSH_IJSG_SG_EEES6_PlJ7is_evenItEEEE10hipError_tPvRmT3_T4_T5_T6_T7_T9_mT8_P12ihipStream_tbDpT10_ENKUlT_T0_E_clISt17integral_constantIbLb0EES15_IbLb1EEEEDaS11_S12_EUlS11_E_NS1_11comp_targetILNS1_3genE4ELNS1_11target_archE910ELNS1_3gpuE8ELNS1_3repE0EEENS1_30default_config_static_selectorELNS0_4arch9wavefront6targetE1EEEvT1_,"axG",@progbits,_ZN7rocprim17ROCPRIM_400000_NS6detail17trampoline_kernelINS0_14default_configENS1_25partition_config_selectorILNS1_17partition_subalgoE0EtNS0_10empty_typeEbEEZZNS1_14partition_implILS5_0ELb0ES3_jN6thrust23THRUST_200600_302600_NS6detail15normal_iteratorINSA_10device_ptrItEEEEPS6_SG_NS0_5tupleIJSF_SF_EEENSH_IJSG_SG_EEES6_PlJ7is_evenItEEEE10hipError_tPvRmT3_T4_T5_T6_T7_T9_mT8_P12ihipStream_tbDpT10_ENKUlT_T0_E_clISt17integral_constantIbLb0EES15_IbLb1EEEEDaS11_S12_EUlS11_E_NS1_11comp_targetILNS1_3genE4ELNS1_11target_archE910ELNS1_3gpuE8ELNS1_3repE0EEENS1_30default_config_static_selectorELNS0_4arch9wavefront6targetE1EEEvT1_,comdat
	.protected	_ZN7rocprim17ROCPRIM_400000_NS6detail17trampoline_kernelINS0_14default_configENS1_25partition_config_selectorILNS1_17partition_subalgoE0EtNS0_10empty_typeEbEEZZNS1_14partition_implILS5_0ELb0ES3_jN6thrust23THRUST_200600_302600_NS6detail15normal_iteratorINSA_10device_ptrItEEEEPS6_SG_NS0_5tupleIJSF_SF_EEENSH_IJSG_SG_EEES6_PlJ7is_evenItEEEE10hipError_tPvRmT3_T4_T5_T6_T7_T9_mT8_P12ihipStream_tbDpT10_ENKUlT_T0_E_clISt17integral_constantIbLb0EES15_IbLb1EEEEDaS11_S12_EUlS11_E_NS1_11comp_targetILNS1_3genE4ELNS1_11target_archE910ELNS1_3gpuE8ELNS1_3repE0EEENS1_30default_config_static_selectorELNS0_4arch9wavefront6targetE1EEEvT1_ ; -- Begin function _ZN7rocprim17ROCPRIM_400000_NS6detail17trampoline_kernelINS0_14default_configENS1_25partition_config_selectorILNS1_17partition_subalgoE0EtNS0_10empty_typeEbEEZZNS1_14partition_implILS5_0ELb0ES3_jN6thrust23THRUST_200600_302600_NS6detail15normal_iteratorINSA_10device_ptrItEEEEPS6_SG_NS0_5tupleIJSF_SF_EEENSH_IJSG_SG_EEES6_PlJ7is_evenItEEEE10hipError_tPvRmT3_T4_T5_T6_T7_T9_mT8_P12ihipStream_tbDpT10_ENKUlT_T0_E_clISt17integral_constantIbLb0EES15_IbLb1EEEEDaS11_S12_EUlS11_E_NS1_11comp_targetILNS1_3genE4ELNS1_11target_archE910ELNS1_3gpuE8ELNS1_3repE0EEENS1_30default_config_static_selectorELNS0_4arch9wavefront6targetE1EEEvT1_
	.globl	_ZN7rocprim17ROCPRIM_400000_NS6detail17trampoline_kernelINS0_14default_configENS1_25partition_config_selectorILNS1_17partition_subalgoE0EtNS0_10empty_typeEbEEZZNS1_14partition_implILS5_0ELb0ES3_jN6thrust23THRUST_200600_302600_NS6detail15normal_iteratorINSA_10device_ptrItEEEEPS6_SG_NS0_5tupleIJSF_SF_EEENSH_IJSG_SG_EEES6_PlJ7is_evenItEEEE10hipError_tPvRmT3_T4_T5_T6_T7_T9_mT8_P12ihipStream_tbDpT10_ENKUlT_T0_E_clISt17integral_constantIbLb0EES15_IbLb1EEEEDaS11_S12_EUlS11_E_NS1_11comp_targetILNS1_3genE4ELNS1_11target_archE910ELNS1_3gpuE8ELNS1_3repE0EEENS1_30default_config_static_selectorELNS0_4arch9wavefront6targetE1EEEvT1_
	.p2align	8
	.type	_ZN7rocprim17ROCPRIM_400000_NS6detail17trampoline_kernelINS0_14default_configENS1_25partition_config_selectorILNS1_17partition_subalgoE0EtNS0_10empty_typeEbEEZZNS1_14partition_implILS5_0ELb0ES3_jN6thrust23THRUST_200600_302600_NS6detail15normal_iteratorINSA_10device_ptrItEEEEPS6_SG_NS0_5tupleIJSF_SF_EEENSH_IJSG_SG_EEES6_PlJ7is_evenItEEEE10hipError_tPvRmT3_T4_T5_T6_T7_T9_mT8_P12ihipStream_tbDpT10_ENKUlT_T0_E_clISt17integral_constantIbLb0EES15_IbLb1EEEEDaS11_S12_EUlS11_E_NS1_11comp_targetILNS1_3genE4ELNS1_11target_archE910ELNS1_3gpuE8ELNS1_3repE0EEENS1_30default_config_static_selectorELNS0_4arch9wavefront6targetE1EEEvT1_,@function
_ZN7rocprim17ROCPRIM_400000_NS6detail17trampoline_kernelINS0_14default_configENS1_25partition_config_selectorILNS1_17partition_subalgoE0EtNS0_10empty_typeEbEEZZNS1_14partition_implILS5_0ELb0ES3_jN6thrust23THRUST_200600_302600_NS6detail15normal_iteratorINSA_10device_ptrItEEEEPS6_SG_NS0_5tupleIJSF_SF_EEENSH_IJSG_SG_EEES6_PlJ7is_evenItEEEE10hipError_tPvRmT3_T4_T5_T6_T7_T9_mT8_P12ihipStream_tbDpT10_ENKUlT_T0_E_clISt17integral_constantIbLb0EES15_IbLb1EEEEDaS11_S12_EUlS11_E_NS1_11comp_targetILNS1_3genE4ELNS1_11target_archE910ELNS1_3gpuE8ELNS1_3repE0EEENS1_30default_config_static_selectorELNS0_4arch9wavefront6targetE1EEEvT1_: ; @_ZN7rocprim17ROCPRIM_400000_NS6detail17trampoline_kernelINS0_14default_configENS1_25partition_config_selectorILNS1_17partition_subalgoE0EtNS0_10empty_typeEbEEZZNS1_14partition_implILS5_0ELb0ES3_jN6thrust23THRUST_200600_302600_NS6detail15normal_iteratorINSA_10device_ptrItEEEEPS6_SG_NS0_5tupleIJSF_SF_EEENSH_IJSG_SG_EEES6_PlJ7is_evenItEEEE10hipError_tPvRmT3_T4_T5_T6_T7_T9_mT8_P12ihipStream_tbDpT10_ENKUlT_T0_E_clISt17integral_constantIbLb0EES15_IbLb1EEEEDaS11_S12_EUlS11_E_NS1_11comp_targetILNS1_3genE4ELNS1_11target_archE910ELNS1_3gpuE8ELNS1_3repE0EEENS1_30default_config_static_selectorELNS0_4arch9wavefront6targetE1EEEvT1_
; %bb.0:
	s_load_dwordx2 s[2:3], s[4:5], 0x58
	s_load_dwordx4 s[20:23], s[4:5], 0x48
	s_load_dwordx2 s[34:35], s[4:5], 0x68
	v_cmp_eq_u32_e64 s[0:1], 0, v0
	s_and_saveexec_b64 s[6:7], s[0:1]
	s_cbranch_execz .LBB2196_4
; %bb.1:
	s_mov_b64 s[10:11], exec
	v_mbcnt_lo_u32_b32 v1, s10, 0
	v_mbcnt_hi_u32_b32 v1, s11, v1
	v_cmp_eq_u32_e32 vcc, 0, v1
                                        ; implicit-def: $vgpr2
	s_and_saveexec_b64 s[8:9], vcc
	s_cbranch_execz .LBB2196_3
; %bb.2:
	s_load_dwordx2 s[12:13], s[4:5], 0x78
	s_bcnt1_i32_b64 s10, s[10:11]
	v_mov_b32_e32 v2, 0
	v_mov_b32_e32 v3, s10
	s_waitcnt lgkmcnt(0)
	global_atomic_add v2, v2, v3, s[12:13] glc
.LBB2196_3:
	s_or_b64 exec, exec, s[8:9]
	s_waitcnt vmcnt(0)
	v_readfirstlane_b32 s8, v2
	v_add_u32_e32 v1, s8, v1
	v_mov_b32_e32 v2, 0
	ds_write_b32 v2, v1
.LBB2196_4:
	s_or_b64 exec, exec, s[6:7]
	v_mov_b32_e32 v3, 0
	s_load_dwordx4 s[28:31], s[4:5], 0x8
	s_load_dwordx4 s[24:27], s[4:5], 0x28
	s_load_dword s6, s[4:5], 0x70
	s_waitcnt lgkmcnt(0)
	s_barrier
	ds_read_b32 v1, v3
	s_waitcnt lgkmcnt(0)
	s_barrier
	global_load_dwordx2 v[14:15], v3, s[22:23]
	v_mov_b32_e32 v5, s3
	s_lshl_b64 s[4:5], s[30:31], 1
	s_movk_i32 s3, 0x1c00
	s_add_u32 s7, s28, s4
	v_mul_lo_u32 v2, v1, s3
	s_mul_i32 s3, s6, 0x1c00
	s_addc_u32 s8, s29, s5
	s_add_i32 s5, s3, s30
	s_sub_i32 s33, s2, s5
	s_add_i32 s4, s6, -1
	s_addk_i32 s33, 0x1c00
	v_mov_b32_e32 v4, s2
	s_add_u32 s2, s30, s3
	v_readfirstlane_b32 s40, v1
	s_addc_u32 s3, s31, 0
	s_cmp_eq_u32 s40, s4
	s_cselect_b64 s[22:23], -1, 0
	s_cmp_lg_u32 s40, s4
	v_cmp_lt_u64_e32 vcc, s[2:3], v[4:5]
	s_cselect_b64 s[2:3], -1, 0
	v_lshlrev_b64 v[16:17], 1, v[2:3]
	s_or_b64 s[4:5], vcc, s[2:3]
	v_mov_b32_e32 v1, s8
	v_add_co_u32_e32 v2, vcc, s7, v16
	v_addc_co_u32_e32 v3, vcc, v1, v17, vcc
	s_mov_b64 s[2:3], -1
	s_and_b64 vcc, exec, s[4:5]
	v_lshlrev_b32_e32 v1, 1, v0
	s_cbranch_vccz .LBB2196_6
; %bb.5:
	v_add_co_u32_e32 v4, vcc, v2, v1
	v_addc_co_u32_e32 v5, vcc, 0, v3, vcc
	v_add_co_u32_e32 v6, vcc, 0x1000, v4
	v_addc_co_u32_e32 v7, vcc, 0, v5, vcc
	flat_load_ushort v8, v[4:5]
	flat_load_ushort v9, v[4:5] offset:512
	flat_load_ushort v10, v[4:5] offset:1024
	;; [unrolled: 1-line block ×7, first 2 shown]
	flat_load_ushort v20, v[6:7]
	flat_load_ushort v21, v[6:7] offset:512
	flat_load_ushort v22, v[6:7] offset:1024
	;; [unrolled: 1-line block ×7, first 2 shown]
	v_add_co_u32_e32 v6, vcc, 0x2000, v4
	v_addc_co_u32_e32 v7, vcc, 0, v5, vcc
	v_add_co_u32_e32 v4, vcc, 0x3000, v4
	v_addc_co_u32_e32 v5, vcc, 0, v5, vcc
	flat_load_ushort v28, v[6:7]
	flat_load_ushort v29, v[6:7] offset:512
	flat_load_ushort v30, v[6:7] offset:1024
	flat_load_ushort v31, v[6:7] offset:1536
	flat_load_ushort v32, v[6:7] offset:2048
	flat_load_ushort v33, v[6:7] offset:2560
	flat_load_ushort v34, v[6:7] offset:3072
	flat_load_ushort v35, v[6:7] offset:3584
	s_nop 0
	flat_load_ushort v6, v[4:5]
	flat_load_ushort v7, v[4:5] offset:512
	flat_load_ushort v36, v[4:5] offset:1024
	;; [unrolled: 1-line block ×3, first 2 shown]
	s_mov_b64 s[2:3], 0
	s_waitcnt vmcnt(0) lgkmcnt(0)
	ds_write_b16 v1, v8
	ds_write_b16 v1, v9 offset:512
	ds_write_b16 v1, v10 offset:1024
	;; [unrolled: 1-line block ×27, first 2 shown]
	s_waitcnt lgkmcnt(0)
	s_barrier
.LBB2196_6:
	s_andn2_b64 vcc, exec, s[2:3]
	v_cmp_gt_u32_e64 s[2:3], s33, v0
	s_cbranch_vccnz .LBB2196_64
; %bb.7:
                                        ; implicit-def: $vgpr4
	s_and_saveexec_b64 s[6:7], s[2:3]
	s_cbranch_execz .LBB2196_9
; %bb.8:
	v_add_co_u32_e32 v4, vcc, v2, v1
	v_addc_co_u32_e32 v5, vcc, 0, v3, vcc
	flat_load_ushort v4, v[4:5]
.LBB2196_9:
	s_or_b64 exec, exec, s[6:7]
	v_or_b32_e32 v5, 0x100, v0
	v_cmp_gt_u32_e32 vcc, s33, v5
                                        ; implicit-def: $vgpr5
	s_and_saveexec_b64 s[2:3], vcc
	s_cbranch_execz .LBB2196_11
; %bb.10:
	v_add_co_u32_e32 v6, vcc, v2, v1
	v_addc_co_u32_e32 v7, vcc, 0, v3, vcc
	flat_load_ushort v5, v[6:7] offset:512
.LBB2196_11:
	s_or_b64 exec, exec, s[2:3]
	v_or_b32_e32 v6, 0x200, v0
	v_cmp_gt_u32_e32 vcc, s33, v6
                                        ; implicit-def: $vgpr6
	s_and_saveexec_b64 s[2:3], vcc
	s_cbranch_execz .LBB2196_13
; %bb.12:
	v_add_co_u32_e32 v6, vcc, v2, v1
	v_addc_co_u32_e32 v7, vcc, 0, v3, vcc
	flat_load_ushort v6, v[6:7] offset:1024
.LBB2196_13:
	s_or_b64 exec, exec, s[2:3]
	v_or_b32_e32 v7, 0x300, v0
	v_cmp_gt_u32_e32 vcc, s33, v7
                                        ; implicit-def: $vgpr7
	s_and_saveexec_b64 s[2:3], vcc
	s_cbranch_execz .LBB2196_15
; %bb.14:
	v_add_co_u32_e32 v8, vcc, v2, v1
	v_addc_co_u32_e32 v9, vcc, 0, v3, vcc
	flat_load_ushort v7, v[8:9] offset:1536
.LBB2196_15:
	s_or_b64 exec, exec, s[2:3]
	v_or_b32_e32 v8, 0x400, v0
	v_cmp_gt_u32_e32 vcc, s33, v8
                                        ; implicit-def: $vgpr8
	s_and_saveexec_b64 s[2:3], vcc
	s_cbranch_execz .LBB2196_17
; %bb.16:
	v_add_co_u32_e32 v8, vcc, v2, v1
	v_addc_co_u32_e32 v9, vcc, 0, v3, vcc
	flat_load_ushort v8, v[8:9] offset:2048
.LBB2196_17:
	s_or_b64 exec, exec, s[2:3]
	v_or_b32_e32 v9, 0x500, v0
	v_cmp_gt_u32_e32 vcc, s33, v9
                                        ; implicit-def: $vgpr9
	s_and_saveexec_b64 s[2:3], vcc
	s_cbranch_execz .LBB2196_19
; %bb.18:
	v_add_co_u32_e32 v10, vcc, v2, v1
	v_addc_co_u32_e32 v11, vcc, 0, v3, vcc
	flat_load_ushort v9, v[10:11] offset:2560
.LBB2196_19:
	s_or_b64 exec, exec, s[2:3]
	v_or_b32_e32 v10, 0x600, v0
	v_cmp_gt_u32_e32 vcc, s33, v10
                                        ; implicit-def: $vgpr10
	s_and_saveexec_b64 s[2:3], vcc
	s_cbranch_execz .LBB2196_21
; %bb.20:
	v_add_co_u32_e32 v10, vcc, v2, v1
	v_addc_co_u32_e32 v11, vcc, 0, v3, vcc
	flat_load_ushort v10, v[10:11] offset:3072
.LBB2196_21:
	s_or_b64 exec, exec, s[2:3]
	v_or_b32_e32 v11, 0x700, v0
	v_cmp_gt_u32_e32 vcc, s33, v11
                                        ; implicit-def: $vgpr11
	s_and_saveexec_b64 s[2:3], vcc
	s_cbranch_execz .LBB2196_23
; %bb.22:
	v_add_co_u32_e32 v12, vcc, v2, v1
	v_addc_co_u32_e32 v13, vcc, 0, v3, vcc
	flat_load_ushort v11, v[12:13] offset:3584
.LBB2196_23:
	s_or_b64 exec, exec, s[2:3]
	v_or_b32_e32 v13, 0x800, v0
	v_cmp_gt_u32_e32 vcc, s33, v13
                                        ; implicit-def: $vgpr12
	s_and_saveexec_b64 s[2:3], vcc
	s_cbranch_execz .LBB2196_25
; %bb.24:
	v_lshlrev_b32_e32 v12, 1, v13
	v_add_co_u32_e32 v12, vcc, v2, v12
	v_addc_co_u32_e32 v13, vcc, 0, v3, vcc
	flat_load_ushort v12, v[12:13]
.LBB2196_25:
	s_or_b64 exec, exec, s[2:3]
	v_or_b32_e32 v18, 0x900, v0
	v_cmp_gt_u32_e32 vcc, s33, v18
                                        ; implicit-def: $vgpr13
	s_and_saveexec_b64 s[2:3], vcc
	s_cbranch_execz .LBB2196_27
; %bb.26:
	v_lshlrev_b32_e32 v13, 1, v18
	v_add_co_u32_e32 v18, vcc, v2, v13
	v_addc_co_u32_e32 v19, vcc, 0, v3, vcc
	flat_load_ushort v13, v[18:19]
.LBB2196_27:
	s_or_b64 exec, exec, s[2:3]
	v_or_b32_e32 v19, 0xa00, v0
	v_cmp_gt_u32_e32 vcc, s33, v19
                                        ; implicit-def: $vgpr18
	s_and_saveexec_b64 s[2:3], vcc
	s_cbranch_execz .LBB2196_29
; %bb.28:
	v_lshlrev_b32_e32 v18, 1, v19
	v_add_co_u32_e32 v18, vcc, v2, v18
	v_addc_co_u32_e32 v19, vcc, 0, v3, vcc
	flat_load_ushort v18, v[18:19]
.LBB2196_29:
	s_or_b64 exec, exec, s[2:3]
	v_or_b32_e32 v20, 0xb00, v0
	v_cmp_gt_u32_e32 vcc, s33, v20
                                        ; implicit-def: $vgpr19
	s_and_saveexec_b64 s[2:3], vcc
	s_cbranch_execz .LBB2196_31
; %bb.30:
	v_lshlrev_b32_e32 v19, 1, v20
	v_add_co_u32_e32 v20, vcc, v2, v19
	v_addc_co_u32_e32 v21, vcc, 0, v3, vcc
	flat_load_ushort v19, v[20:21]
.LBB2196_31:
	s_or_b64 exec, exec, s[2:3]
	v_or_b32_e32 v21, 0xc00, v0
	v_cmp_gt_u32_e32 vcc, s33, v21
                                        ; implicit-def: $vgpr20
	s_and_saveexec_b64 s[2:3], vcc
	s_cbranch_execz .LBB2196_33
; %bb.32:
	v_lshlrev_b32_e32 v20, 1, v21
	v_add_co_u32_e32 v20, vcc, v2, v20
	v_addc_co_u32_e32 v21, vcc, 0, v3, vcc
	flat_load_ushort v20, v[20:21]
.LBB2196_33:
	s_or_b64 exec, exec, s[2:3]
	v_or_b32_e32 v22, 0xd00, v0
	v_cmp_gt_u32_e32 vcc, s33, v22
                                        ; implicit-def: $vgpr21
	s_and_saveexec_b64 s[2:3], vcc
	s_cbranch_execz .LBB2196_35
; %bb.34:
	v_lshlrev_b32_e32 v21, 1, v22
	v_add_co_u32_e32 v22, vcc, v2, v21
	v_addc_co_u32_e32 v23, vcc, 0, v3, vcc
	flat_load_ushort v21, v[22:23]
.LBB2196_35:
	s_or_b64 exec, exec, s[2:3]
	v_or_b32_e32 v23, 0xe00, v0
	v_cmp_gt_u32_e32 vcc, s33, v23
                                        ; implicit-def: $vgpr22
	s_and_saveexec_b64 s[2:3], vcc
	s_cbranch_execz .LBB2196_37
; %bb.36:
	v_lshlrev_b32_e32 v22, 1, v23
	v_add_co_u32_e32 v22, vcc, v2, v22
	v_addc_co_u32_e32 v23, vcc, 0, v3, vcc
	flat_load_ushort v22, v[22:23]
.LBB2196_37:
	s_or_b64 exec, exec, s[2:3]
	v_or_b32_e32 v24, 0xf00, v0
	v_cmp_gt_u32_e32 vcc, s33, v24
                                        ; implicit-def: $vgpr23
	s_and_saveexec_b64 s[2:3], vcc
	s_cbranch_execz .LBB2196_39
; %bb.38:
	v_lshlrev_b32_e32 v23, 1, v24
	v_add_co_u32_e32 v24, vcc, v2, v23
	v_addc_co_u32_e32 v25, vcc, 0, v3, vcc
	flat_load_ushort v23, v[24:25]
.LBB2196_39:
	s_or_b64 exec, exec, s[2:3]
	v_or_b32_e32 v25, 0x1000, v0
	v_cmp_gt_u32_e32 vcc, s33, v25
                                        ; implicit-def: $vgpr24
	s_and_saveexec_b64 s[2:3], vcc
	s_cbranch_execz .LBB2196_41
; %bb.40:
	v_lshlrev_b32_e32 v24, 1, v25
	v_add_co_u32_e32 v24, vcc, v2, v24
	v_addc_co_u32_e32 v25, vcc, 0, v3, vcc
	flat_load_ushort v24, v[24:25]
.LBB2196_41:
	s_or_b64 exec, exec, s[2:3]
	v_or_b32_e32 v26, 0x1100, v0
	v_cmp_gt_u32_e32 vcc, s33, v26
                                        ; implicit-def: $vgpr25
	s_and_saveexec_b64 s[2:3], vcc
	s_cbranch_execz .LBB2196_43
; %bb.42:
	v_lshlrev_b32_e32 v25, 1, v26
	v_add_co_u32_e32 v26, vcc, v2, v25
	v_addc_co_u32_e32 v27, vcc, 0, v3, vcc
	flat_load_ushort v25, v[26:27]
.LBB2196_43:
	s_or_b64 exec, exec, s[2:3]
	v_or_b32_e32 v27, 0x1200, v0
	v_cmp_gt_u32_e32 vcc, s33, v27
                                        ; implicit-def: $vgpr26
	s_and_saveexec_b64 s[2:3], vcc
	s_cbranch_execz .LBB2196_45
; %bb.44:
	v_lshlrev_b32_e32 v26, 1, v27
	v_add_co_u32_e32 v26, vcc, v2, v26
	v_addc_co_u32_e32 v27, vcc, 0, v3, vcc
	flat_load_ushort v26, v[26:27]
.LBB2196_45:
	s_or_b64 exec, exec, s[2:3]
	v_or_b32_e32 v28, 0x1300, v0
	v_cmp_gt_u32_e32 vcc, s33, v28
                                        ; implicit-def: $vgpr27
	s_and_saveexec_b64 s[2:3], vcc
	s_cbranch_execz .LBB2196_47
; %bb.46:
	v_lshlrev_b32_e32 v27, 1, v28
	v_add_co_u32_e32 v28, vcc, v2, v27
	v_addc_co_u32_e32 v29, vcc, 0, v3, vcc
	flat_load_ushort v27, v[28:29]
.LBB2196_47:
	s_or_b64 exec, exec, s[2:3]
	v_or_b32_e32 v29, 0x1400, v0
	v_cmp_gt_u32_e32 vcc, s33, v29
                                        ; implicit-def: $vgpr28
	s_and_saveexec_b64 s[2:3], vcc
	s_cbranch_execz .LBB2196_49
; %bb.48:
	v_lshlrev_b32_e32 v28, 1, v29
	v_add_co_u32_e32 v28, vcc, v2, v28
	v_addc_co_u32_e32 v29, vcc, 0, v3, vcc
	flat_load_ushort v28, v[28:29]
.LBB2196_49:
	s_or_b64 exec, exec, s[2:3]
	v_or_b32_e32 v30, 0x1500, v0
	v_cmp_gt_u32_e32 vcc, s33, v30
                                        ; implicit-def: $vgpr29
	s_and_saveexec_b64 s[2:3], vcc
	s_cbranch_execz .LBB2196_51
; %bb.50:
	v_lshlrev_b32_e32 v29, 1, v30
	v_add_co_u32_e32 v30, vcc, v2, v29
	v_addc_co_u32_e32 v31, vcc, 0, v3, vcc
	flat_load_ushort v29, v[30:31]
.LBB2196_51:
	s_or_b64 exec, exec, s[2:3]
	v_or_b32_e32 v31, 0x1600, v0
	v_cmp_gt_u32_e32 vcc, s33, v31
                                        ; implicit-def: $vgpr30
	s_and_saveexec_b64 s[2:3], vcc
	s_cbranch_execz .LBB2196_53
; %bb.52:
	v_lshlrev_b32_e32 v30, 1, v31
	v_add_co_u32_e32 v30, vcc, v2, v30
	v_addc_co_u32_e32 v31, vcc, 0, v3, vcc
	flat_load_ushort v30, v[30:31]
.LBB2196_53:
	s_or_b64 exec, exec, s[2:3]
	v_or_b32_e32 v32, 0x1700, v0
	v_cmp_gt_u32_e32 vcc, s33, v32
                                        ; implicit-def: $vgpr31
	s_and_saveexec_b64 s[2:3], vcc
	s_cbranch_execz .LBB2196_55
; %bb.54:
	v_lshlrev_b32_e32 v31, 1, v32
	v_add_co_u32_e32 v32, vcc, v2, v31
	v_addc_co_u32_e32 v33, vcc, 0, v3, vcc
	flat_load_ushort v31, v[32:33]
.LBB2196_55:
	s_or_b64 exec, exec, s[2:3]
	v_or_b32_e32 v33, 0x1800, v0
	v_cmp_gt_u32_e32 vcc, s33, v33
                                        ; implicit-def: $vgpr32
	s_and_saveexec_b64 s[2:3], vcc
	s_cbranch_execz .LBB2196_57
; %bb.56:
	v_lshlrev_b32_e32 v32, 1, v33
	v_add_co_u32_e32 v32, vcc, v2, v32
	v_addc_co_u32_e32 v33, vcc, 0, v3, vcc
	flat_load_ushort v32, v[32:33]
.LBB2196_57:
	s_or_b64 exec, exec, s[2:3]
	v_or_b32_e32 v34, 0x1900, v0
	v_cmp_gt_u32_e32 vcc, s33, v34
                                        ; implicit-def: $vgpr33
	s_and_saveexec_b64 s[2:3], vcc
	s_cbranch_execz .LBB2196_59
; %bb.58:
	v_lshlrev_b32_e32 v33, 1, v34
	v_add_co_u32_e32 v34, vcc, v2, v33
	v_addc_co_u32_e32 v35, vcc, 0, v3, vcc
	flat_load_ushort v33, v[34:35]
.LBB2196_59:
	s_or_b64 exec, exec, s[2:3]
	v_or_b32_e32 v35, 0x1a00, v0
	v_cmp_gt_u32_e32 vcc, s33, v35
                                        ; implicit-def: $vgpr34
	s_and_saveexec_b64 s[2:3], vcc
	s_cbranch_execz .LBB2196_61
; %bb.60:
	v_lshlrev_b32_e32 v34, 1, v35
	v_add_co_u32_e32 v34, vcc, v2, v34
	v_addc_co_u32_e32 v35, vcc, 0, v3, vcc
	flat_load_ushort v34, v[34:35]
.LBB2196_61:
	s_or_b64 exec, exec, s[2:3]
	v_or_b32_e32 v36, 0x1b00, v0
	v_cmp_gt_u32_e32 vcc, s33, v36
                                        ; implicit-def: $vgpr35
	s_and_saveexec_b64 s[2:3], vcc
	s_cbranch_execz .LBB2196_63
; %bb.62:
	v_lshlrev_b32_e32 v35, 1, v36
	v_add_co_u32_e32 v2, vcc, v2, v35
	v_addc_co_u32_e32 v3, vcc, 0, v3, vcc
	flat_load_ushort v35, v[2:3]
.LBB2196_63:
	s_or_b64 exec, exec, s[2:3]
	s_waitcnt vmcnt(0) lgkmcnt(0)
	ds_write_b16 v1, v4
	ds_write_b16 v1, v5 offset:512
	ds_write_b16 v1, v6 offset:1024
	;; [unrolled: 1-line block ×27, first 2 shown]
	s_waitcnt lgkmcnt(0)
	s_barrier
.LBB2196_64:
	v_mul_u32_u24_e32 v43, 28, v0
	v_lshlrev_b32_e32 v6, 1, v43
	ds_read_b64 v[18:19], v6 offset:48
	ds_read2_b64 v[2:5], v6 offset0:4 offset1:5
	ds_read2_b64 v[10:13], v6 offset1:1
	ds_read2_b64 v[6:9], v6 offset0:2 offset1:3
	v_cndmask_b32_e64 v20, 0, 1, s[4:5]
	s_waitcnt lgkmcnt(3)
	v_lshrrev_b32_e32 v31, 16, v18
	v_lshrrev_b32_e32 v30, 16, v19
	s_waitcnt lgkmcnt(2)
	v_lshrrev_b32_e32 v35, 16, v2
	v_lshrrev_b32_e32 v34, 16, v3
	v_lshrrev_b32_e32 v33, 16, v4
	v_lshrrev_b32_e32 v32, 16, v5
	s_waitcnt lgkmcnt(1)
	v_lshrrev_b32_e32 v44, 16, v10
	v_lshrrev_b32_e32 v42, 16, v11
	;; [unrolled: 5-line block ×3, first 2 shown]
	v_lshrrev_b32_e32 v37, 16, v8
	v_lshrrev_b32_e32 v36, 16, v9
	v_cmp_ne_u32_e64 s[2:3], 1, v20
	s_andn2_b64 vcc, exec, s[4:5]
	v_xor_b32_e32 v90, -1, v10
	v_xor_b32_e32 v89, -1, v44
	;; [unrolled: 1-line block ×28, first 2 shown]
	s_barrier
	s_cbranch_vccnz .LBB2196_66
; %bb.65:
	v_and_b32_e32 v72, 1, v90
	v_and_b32_e32 v71, 1, v89
	;; [unrolled: 1-line block ×28, first 2 shown]
	s_cbranch_execz .LBB2196_67
	s_branch .LBB2196_68
.LBB2196_66:
                                        ; implicit-def: $vgpr72
                                        ; implicit-def: $vgpr71
                                        ; implicit-def: $vgpr70
                                        ; implicit-def: $vgpr69
                                        ; implicit-def: $vgpr68
                                        ; implicit-def: $vgpr67
                                        ; implicit-def: $vgpr66
                                        ; implicit-def: $vgpr65
                                        ; implicit-def: $vgpr64
                                        ; implicit-def: $vgpr63
                                        ; implicit-def: $vgpr62
                                        ; implicit-def: $vgpr61
                                        ; implicit-def: $vgpr60
                                        ; implicit-def: $vgpr59
                                        ; implicit-def: $vgpr58
                                        ; implicit-def: $vgpr57
                                        ; implicit-def: $vgpr56
                                        ; implicit-def: $vgpr55
                                        ; implicit-def: $vgpr54
                                        ; implicit-def: $vgpr53
                                        ; implicit-def: $vgpr52
                                        ; implicit-def: $vgpr51
                                        ; implicit-def: $vgpr50
                                        ; implicit-def: $vgpr49
                                        ; implicit-def: $vgpr48
                                        ; implicit-def: $vgpr47
                                        ; implicit-def: $vgpr45
                                        ; implicit-def: $vgpr46
.LBB2196_67:
	v_or_b32_e32 v54, 1, v43
	v_cmp_gt_u32_e32 vcc, s33, v43
	v_or_b32_e32 v55, 2, v43
	v_cndmask_b32_e64 v63, 0, 1, vcc
	v_cmp_gt_u32_e32 vcc, s33, v54
	v_or_b32_e32 v56, 3, v43
	v_cndmask_b32_e64 v54, 0, 1, vcc
	v_cmp_gt_u32_e32 vcc, s33, v55
	v_add_u32_e32 v57, 4, v43
	v_and_b32_e32 v71, v54, v89
	v_cndmask_b32_e64 v54, 0, 1, vcc
	v_cmp_gt_u32_e32 vcc, s33, v56
	v_add_u32_e32 v58, 5, v43
	v_and_b32_e32 v70, v54, v88
	;; [unrolled: 4-line block ×9, first 2 shown]
	v_and_b32_e32 v63, v54, v81
	v_cndmask_b32_e64 v54, 0, 1, vcc
	v_cmp_gt_u32_e32 vcc, s33, v92
	v_add_u32_e32 v94, 13, v43
	v_and_b32_e32 v62, v54, v80
	v_cndmask_b32_e64 v54, 0, 1, vcc
	v_cmp_gt_u32_e32 vcc, s33, v93
	v_add_u32_e32 v95, 14, v43
	v_and_b32_e32 v61, v54, v79
	v_cndmask_b32_e64 v54, 0, 1, vcc
	v_cmp_gt_u32_e32 vcc, s33, v94
	v_add_u32_e32 v96, 15, v43
	v_and_b32_e32 v60, v54, v78
	v_cndmask_b32_e64 v54, 0, 1, vcc
	v_cmp_gt_u32_e32 vcc, s33, v95
	v_add_u32_e32 v97, 16, v43
	v_and_b32_e32 v59, v54, v77
	v_cndmask_b32_e64 v54, 0, 1, vcc
	v_cmp_gt_u32_e32 vcc, s33, v96
	v_add_u32_e32 v98, 17, v43
	v_and_b32_e32 v58, v54, v76
	v_cndmask_b32_e64 v54, 0, 1, vcc
	v_cmp_gt_u32_e32 vcc, s33, v97
	v_add_u32_e32 v99, 18, v43
	v_and_b32_e32 v57, v54, v75
	v_cndmask_b32_e64 v54, 0, 1, vcc
	v_cmp_gt_u32_e32 vcc, s33, v98
	v_add_u32_e32 v53, 19, v43
	v_and_b32_e32 v56, v54, v74
	v_cndmask_b32_e64 v54, 0, 1, vcc
	v_cmp_gt_u32_e32 vcc, s33, v99
	v_add_u32_e32 v52, 20, v43
	v_and_b32_e32 v55, v54, v73
	v_cndmask_b32_e64 v54, 0, 1, vcc
	v_cmp_gt_u32_e32 vcc, s33, v53
	v_add_u32_e32 v51, 21, v43
	v_and_b32_e32 v54, v54, v29
	v_cndmask_b32_e64 v29, 0, 1, vcc
	v_cmp_gt_u32_e32 vcc, s33, v52
	v_add_u32_e32 v50, 22, v43
	v_and_b32_e32 v53, v29, v28
	v_cndmask_b32_e64 v28, 0, 1, vcc
	v_cmp_gt_u32_e32 vcc, s33, v51
	v_add_u32_e32 v49, 23, v43
	v_and_b32_e32 v52, v28, v27
	v_cndmask_b32_e64 v27, 0, 1, vcc
	v_cmp_gt_u32_e32 vcc, s33, v50
	v_add_u32_e32 v48, 24, v43
	v_and_b32_e32 v51, v27, v26
	v_cndmask_b32_e64 v26, 0, 1, vcc
	v_cmp_gt_u32_e32 vcc, s33, v49
	v_add_u32_e32 v47, 25, v43
	v_and_b32_e32 v50, v26, v25
	v_cndmask_b32_e64 v25, 0, 1, vcc
	v_cmp_gt_u32_e32 vcc, s33, v48
	v_add_u32_e32 v45, 26, v43
	v_and_b32_e32 v49, v25, v24
	v_cndmask_b32_e64 v24, 0, 1, vcc
	v_cmp_gt_u32_e32 vcc, s33, v47
	v_add_u32_e32 v46, 27, v43
	v_and_b32_e32 v48, v24, v23
	v_cndmask_b32_e64 v23, 0, 1, vcc
	v_cmp_gt_u32_e32 vcc, s33, v45
	v_and_b32_e32 v47, v23, v22
	v_cndmask_b32_e64 v22, 0, 1, vcc
	v_cmp_gt_u32_e32 vcc, s33, v46
	v_and_b32_e32 v45, v22, v21
	v_cndmask_b32_e64 v21, 0, 1, vcc
	v_and_b32_e32 v46, v21, v20
.LBB2196_68:
	v_and_b32_e32 v97, 0xff, v48
	v_and_b32_e32 v98, 0xff, v47
	v_add_u32_sdwa v20, v45, v46 dst_sel:DWORD dst_unused:UNUSED_PAD src0_sel:BYTE_0 src1_sel:BYTE_0
	v_and_b32_e32 v95, 0xff, v50
	v_and_b32_e32 v96, 0xff, v49
	v_add3_u32 v20, v20, v98, v97
	v_and_b32_e32 v93, 0xff, v52
	v_and_b32_e32 v94, 0xff, v51
	v_add3_u32 v20, v20, v96, v95
	;; [unrolled: 3-line block ×12, first 2 shown]
	v_add3_u32 v101, v20, v74, v73
	v_mbcnt_lo_u32_b32 v20, -1, 0
	v_mbcnt_hi_u32_b32 v99, -1, v20
	v_and_b32_e32 v20, 15, v99
	v_cmp_eq_u32_e64 s[16:17], 0, v20
	v_cmp_lt_u32_e64 s[14:15], 1, v20
	v_cmp_lt_u32_e64 s[12:13], 3, v20
	;; [unrolled: 1-line block ×3, first 2 shown]
	v_and_b32_e32 v20, 16, v99
	v_cmp_eq_u32_e64 s[8:9], 0, v20
	v_or_b32_e32 v20, 63, v0
	s_cmp_lg_u32 s40, 0
	v_cmp_lt_u32_e64 s[4:5], 31, v99
	v_lshrrev_b32_e32 v100, 6, v0
	v_cmp_eq_u32_e64 s[6:7], v20, v0
	s_cbranch_scc0 .LBB2196_95
; %bb.69:
	v_mov_b32_dpp v20, v101 row_shr:1 row_mask:0xf bank_mask:0xf
	v_cndmask_b32_e64 v20, v20, 0, s[16:17]
	v_add_u32_e32 v20, v20, v101
	s_nop 1
	v_mov_b32_dpp v21, v20 row_shr:2 row_mask:0xf bank_mask:0xf
	v_cndmask_b32_e64 v21, 0, v21, s[14:15]
	v_add_u32_e32 v20, v20, v21
	s_nop 1
	;; [unrolled: 4-line block ×4, first 2 shown]
	v_mov_b32_dpp v21, v20 row_bcast:15 row_mask:0xf bank_mask:0xf
	v_cndmask_b32_e64 v21, v21, 0, s[8:9]
	v_add_u32_e32 v20, v20, v21
	s_nop 1
	v_mov_b32_dpp v21, v20 row_bcast:31 row_mask:0xf bank_mask:0xf
	v_cndmask_b32_e64 v21, 0, v21, s[4:5]
	v_add_u32_e32 v20, v20, v21
	s_and_saveexec_b64 s[18:19], s[6:7]
	s_cbranch_execz .LBB2196_71
; %bb.70:
	v_lshlrev_b32_e32 v21, 2, v100
	ds_write_b32 v21, v20
.LBB2196_71:
	s_or_b64 exec, exec, s[18:19]
	v_cmp_gt_u32_e32 vcc, 4, v0
	s_waitcnt lgkmcnt(0)
	s_barrier
	s_and_saveexec_b64 s[18:19], vcc
	s_cbranch_execz .LBB2196_73
; %bb.72:
	v_lshlrev_b32_e32 v21, 2, v0
	ds_read_b32 v22, v21
	v_and_b32_e32 v23, 3, v99
	v_cmp_ne_u32_e32 vcc, 0, v23
	s_waitcnt lgkmcnt(0)
	v_mov_b32_dpp v24, v22 row_shr:1 row_mask:0xf bank_mask:0xf
	v_cndmask_b32_e32 v24, 0, v24, vcc
	v_add_u32_e32 v22, v24, v22
	v_cmp_lt_u32_e32 vcc, 1, v23
	s_nop 0
	v_mov_b32_dpp v24, v22 row_shr:2 row_mask:0xf bank_mask:0xf
	v_cndmask_b32_e32 v23, 0, v24, vcc
	v_add_u32_e32 v22, v22, v23
	ds_write_b32 v21, v22
.LBB2196_73:
	s_or_b64 exec, exec, s[18:19]
	v_cmp_gt_u32_e32 vcc, 64, v0
	v_cmp_lt_u32_e64 s[18:19], 63, v0
	s_waitcnt lgkmcnt(0)
	s_barrier
	s_waitcnt lgkmcnt(0)
                                        ; implicit-def: $vgpr102
	s_and_saveexec_b64 s[28:29], s[18:19]
	s_cbranch_execz .LBB2196_75
; %bb.74:
	v_lshl_add_u32 v21, v100, 2, -4
	ds_read_b32 v102, v21
	s_waitcnt lgkmcnt(0)
	v_add_u32_e32 v20, v102, v20
.LBB2196_75:
	s_or_b64 exec, exec, s[28:29]
	v_add_u32_e32 v21, -1, v99
	v_and_b32_e32 v22, 64, v99
	v_cmp_lt_i32_e64 s[18:19], v21, v22
	v_cndmask_b32_e64 v21, v21, v99, s[18:19]
	v_lshlrev_b32_e32 v21, 2, v21
	ds_bpermute_b32 v103, v21, v20
	v_cmp_eq_u32_e64 s[18:19], 0, v99
	s_and_saveexec_b64 s[28:29], vcc
	s_cbranch_execz .LBB2196_94
; %bb.76:
	v_mov_b32_e32 v27, 0
	ds_read_b32 v20, v27 offset:12
	s_and_saveexec_b64 s[36:37], s[18:19]
	s_cbranch_execz .LBB2196_78
; %bb.77:
	s_add_i32 s38, s40, 64
	s_mov_b32 s39, 0
	s_lshl_b64 s[38:39], s[38:39], 3
	s_add_u32 s38, s34, s38
	v_mov_b32_e32 v21, 1
	s_addc_u32 s39, s35, s39
	s_waitcnt lgkmcnt(0)
	global_store_dwordx2 v27, v[20:21], s[38:39]
.LBB2196_78:
	s_or_b64 exec, exec, s[36:37]
	v_xad_u32 v22, v99, -1, s40
	v_add_u32_e32 v26, 64, v22
	v_lshlrev_b64 v[24:25], 3, v[26:27]
	v_mov_b32_e32 v21, s35
	v_add_co_u32_e32 v28, vcc, s34, v24
	v_addc_co_u32_e32 v29, vcc, v21, v25, vcc
	global_load_dwordx2 v[24:25], v[28:29], off glc
	s_waitcnt vmcnt(0)
	v_cmp_eq_u16_sdwa s[38:39], v25, v27 src0_sel:BYTE_0 src1_sel:DWORD
	s_and_saveexec_b64 s[36:37], s[38:39]
	s_cbranch_execz .LBB2196_82
; %bb.79:
	s_mov_b64 s[38:39], 0
	v_mov_b32_e32 v21, 0
.LBB2196_80:                            ; =>This Inner Loop Header: Depth=1
	global_load_dwordx2 v[24:25], v[28:29], off glc
	s_waitcnt vmcnt(0)
	v_cmp_ne_u16_sdwa s[42:43], v25, v21 src0_sel:BYTE_0 src1_sel:DWORD
	s_or_b64 s[38:39], s[42:43], s[38:39]
	s_andn2_b64 exec, exec, s[38:39]
	s_cbranch_execnz .LBB2196_80
; %bb.81:
	s_or_b64 exec, exec, s[38:39]
.LBB2196_82:
	s_or_b64 exec, exec, s[36:37]
	v_and_b32_e32 v105, 63, v99
	v_mov_b32_e32 v104, 2
	v_cmp_ne_u32_e32 vcc, 63, v105
	v_cmp_eq_u16_sdwa s[36:37], v25, v104 src0_sel:BYTE_0 src1_sel:DWORD
	v_lshlrev_b64 v[26:27], v99, -1
	v_addc_co_u32_e32 v28, vcc, 0, v99, vcc
	v_and_b32_e32 v21, s37, v27
	v_lshlrev_b32_e32 v106, 2, v28
	v_or_b32_e32 v21, 0x80000000, v21
	ds_bpermute_b32 v28, v106, v24
	v_and_b32_e32 v23, s36, v26
	v_ffbl_b32_e32 v21, v21
	v_add_u32_e32 v21, 32, v21
	v_ffbl_b32_e32 v23, v23
	v_min_u32_e32 v21, v23, v21
	v_cmp_lt_u32_e32 vcc, v105, v21
	s_waitcnt lgkmcnt(0)
	v_cndmask_b32_e32 v23, 0, v28, vcc
	v_cmp_gt_u32_e32 vcc, 62, v105
	v_add_u32_e32 v23, v23, v24
	v_cndmask_b32_e64 v24, 0, 1, vcc
	v_lshlrev_b32_e32 v24, 1, v24
	v_add_lshl_u32 v107, v24, v99, 2
	ds_bpermute_b32 v24, v107, v23
	v_add_u32_e32 v108, 2, v105
	v_cmp_le_u32_e32 vcc, v108, v21
	v_add_u32_e32 v110, 4, v105
	v_add_u32_e32 v112, 8, v105
	s_waitcnt lgkmcnt(0)
	v_cndmask_b32_e32 v24, 0, v24, vcc
	v_cmp_gt_u32_e32 vcc, 60, v105
	v_add_u32_e32 v23, v23, v24
	v_cndmask_b32_e64 v24, 0, 1, vcc
	v_lshlrev_b32_e32 v24, 2, v24
	v_add_lshl_u32 v109, v24, v99, 2
	ds_bpermute_b32 v24, v109, v23
	v_cmp_le_u32_e32 vcc, v110, v21
	v_add_u32_e32 v114, 16, v105
	v_add_u32_e32 v116, 32, v105
	s_waitcnt lgkmcnt(0)
	v_cndmask_b32_e32 v24, 0, v24, vcc
	v_cmp_gt_u32_e32 vcc, 56, v105
	v_add_u32_e32 v23, v23, v24
	v_cndmask_b32_e64 v24, 0, 1, vcc
	v_lshlrev_b32_e32 v24, 3, v24
	v_add_lshl_u32 v111, v24, v99, 2
	ds_bpermute_b32 v24, v111, v23
	v_cmp_le_u32_e32 vcc, v112, v21
	s_waitcnt lgkmcnt(0)
	v_cndmask_b32_e32 v24, 0, v24, vcc
	v_cmp_gt_u32_e32 vcc, 48, v105
	v_add_u32_e32 v23, v23, v24
	v_cndmask_b32_e64 v24, 0, 1, vcc
	v_lshlrev_b32_e32 v24, 4, v24
	v_add_lshl_u32 v113, v24, v99, 2
	ds_bpermute_b32 v24, v113, v23
	v_cmp_le_u32_e32 vcc, v114, v21
	;; [unrolled: 9-line block ×3, first 2 shown]
	s_waitcnt lgkmcnt(0)
	v_cndmask_b32_e32 v21, 0, v24, vcc
	v_add_u32_e32 v24, v23, v21
	v_mov_b32_e32 v23, 0
	s_branch .LBB2196_84
.LBB2196_83:                            ;   in Loop: Header=BB2196_84 Depth=1
	s_or_b64 exec, exec, s[36:37]
	v_cmp_eq_u16_sdwa s[36:37], v25, v104 src0_sel:BYTE_0 src1_sel:DWORD
	v_and_b32_e32 v28, s37, v27
	v_or_b32_e32 v28, 0x80000000, v28
	ds_bpermute_b32 v117, v106, v24
	v_and_b32_e32 v29, s36, v26
	v_ffbl_b32_e32 v28, v28
	v_add_u32_e32 v28, 32, v28
	v_ffbl_b32_e32 v29, v29
	v_min_u32_e32 v28, v29, v28
	v_cmp_lt_u32_e32 vcc, v105, v28
	s_waitcnt lgkmcnt(0)
	v_cndmask_b32_e32 v29, 0, v117, vcc
	v_add_u32_e32 v24, v29, v24
	ds_bpermute_b32 v29, v107, v24
	v_cmp_le_u32_e32 vcc, v108, v28
	v_subrev_u32_e32 v22, 64, v22
	s_waitcnt lgkmcnt(0)
	v_cndmask_b32_e32 v29, 0, v29, vcc
	v_add_u32_e32 v24, v24, v29
	ds_bpermute_b32 v29, v109, v24
	v_cmp_le_u32_e32 vcc, v110, v28
	s_waitcnt lgkmcnt(0)
	v_cndmask_b32_e32 v29, 0, v29, vcc
	v_add_u32_e32 v24, v24, v29
	ds_bpermute_b32 v29, v111, v24
	v_cmp_le_u32_e32 vcc, v112, v28
	;; [unrolled: 5-line block ×4, first 2 shown]
	s_waitcnt lgkmcnt(0)
	v_cndmask_b32_e32 v28, 0, v29, vcc
	v_add3_u32 v24, v28, v21, v24
.LBB2196_84:                            ; =>This Loop Header: Depth=1
                                        ;     Child Loop BB2196_87 Depth 2
	v_cmp_ne_u16_sdwa s[36:37], v25, v104 src0_sel:BYTE_0 src1_sel:DWORD
	v_cndmask_b32_e64 v21, 0, 1, s[36:37]
	;;#ASMSTART
	;;#ASMEND
	v_cmp_ne_u32_e32 vcc, 0, v21
	s_cmp_lg_u64 vcc, exec
	v_mov_b32_e32 v21, v24
	s_cbranch_scc1 .LBB2196_89
; %bb.85:                               ;   in Loop: Header=BB2196_84 Depth=1
	v_lshlrev_b64 v[24:25], 3, v[22:23]
	v_mov_b32_e32 v29, s35
	v_add_co_u32_e32 v28, vcc, s34, v24
	v_addc_co_u32_e32 v29, vcc, v29, v25, vcc
	global_load_dwordx2 v[24:25], v[28:29], off glc
	s_waitcnt vmcnt(0)
	v_cmp_eq_u16_sdwa s[38:39], v25, v23 src0_sel:BYTE_0 src1_sel:DWORD
	s_and_saveexec_b64 s[36:37], s[38:39]
	s_cbranch_execz .LBB2196_83
; %bb.86:                               ;   in Loop: Header=BB2196_84 Depth=1
	s_mov_b64 s[38:39], 0
.LBB2196_87:                            ;   Parent Loop BB2196_84 Depth=1
                                        ; =>  This Inner Loop Header: Depth=2
	global_load_dwordx2 v[24:25], v[28:29], off glc
	s_waitcnt vmcnt(0)
	v_cmp_ne_u16_sdwa s[42:43], v25, v23 src0_sel:BYTE_0 src1_sel:DWORD
	s_or_b64 s[38:39], s[42:43], s[38:39]
	s_andn2_b64 exec, exec, s[38:39]
	s_cbranch_execnz .LBB2196_87
; %bb.88:                               ;   in Loop: Header=BB2196_84 Depth=1
	s_or_b64 exec, exec, s[38:39]
	s_branch .LBB2196_83
.LBB2196_89:                            ;   in Loop: Header=BB2196_84 Depth=1
                                        ; implicit-def: $vgpr24
                                        ; implicit-def: $vgpr25
	s_cbranch_execz .LBB2196_84
; %bb.90:
	s_and_saveexec_b64 s[36:37], s[18:19]
	s_cbranch_execz .LBB2196_92
; %bb.91:
	s_add_i32 s38, s40, 64
	s_mov_b32 s39, 0
	s_lshl_b64 s[38:39], s[38:39], 3
	s_add_u32 s38, s34, s38
	v_add_u32_e32 v22, v21, v20
	v_mov_b32_e32 v23, 2
	s_addc_u32 s39, s35, s39
	v_mov_b32_e32 v24, 0
	global_store_dwordx2 v24, v[22:23], s[38:39]
	ds_write_b64 v24, v[20:21] offset:14336
.LBB2196_92:
	s_or_b64 exec, exec, s[36:37]
	s_and_b64 exec, exec, s[0:1]
	s_cbranch_execz .LBB2196_94
; %bb.93:
	v_mov_b32_e32 v20, 0
	ds_write_b32 v20, v21 offset:12
.LBB2196_94:
	s_or_b64 exec, exec, s[28:29]
	v_mov_b32_e32 v20, 0
	s_waitcnt lgkmcnt(0)
	s_barrier
	ds_read_b32 v22, v20 offset:12
	s_waitcnt lgkmcnt(0)
	s_barrier
	ds_read_b64 v[20:21], v20 offset:14336
	v_cndmask_b32_e64 v23, v103, v102, s[18:19]
	v_cndmask_b32_e64 v23, v23, 0, s[0:1]
	v_add_u32_e32 v22, v22, v23
	s_branch .LBB2196_105
.LBB2196_95:
                                        ; implicit-def: $vgpr21
                                        ; implicit-def: $vgpr22
	s_cbranch_execz .LBB2196_105
; %bb.96:
	s_waitcnt lgkmcnt(0)
	v_mov_b32_dpp v20, v101 row_shr:1 row_mask:0xf bank_mask:0xf
	v_cndmask_b32_e64 v20, v20, 0, s[16:17]
	v_add_u32_e32 v20, v20, v101
	s_nop 1
	v_mov_b32_dpp v21, v20 row_shr:2 row_mask:0xf bank_mask:0xf
	v_cndmask_b32_e64 v21, 0, v21, s[14:15]
	v_add_u32_e32 v20, v20, v21
	s_nop 1
	;; [unrolled: 4-line block ×4, first 2 shown]
	v_mov_b32_dpp v21, v20 row_bcast:15 row_mask:0xf bank_mask:0xf
	v_cndmask_b32_e64 v21, v21, 0, s[8:9]
	v_add_u32_e32 v20, v20, v21
	s_nop 1
	v_mov_b32_dpp v21, v20 row_bcast:31 row_mask:0xf bank_mask:0xf
	v_cndmask_b32_e64 v21, 0, v21, s[4:5]
	v_add_u32_e32 v20, v20, v21
	s_and_saveexec_b64 s[4:5], s[6:7]
	s_cbranch_execz .LBB2196_98
; %bb.97:
	v_lshlrev_b32_e32 v21, 2, v100
	ds_write_b32 v21, v20
.LBB2196_98:
	s_or_b64 exec, exec, s[4:5]
	v_cmp_gt_u32_e32 vcc, 4, v0
	s_waitcnt lgkmcnt(0)
	s_barrier
	s_and_saveexec_b64 s[4:5], vcc
	s_cbranch_execz .LBB2196_100
; %bb.99:
	v_lshlrev_b32_e32 v21, 2, v0
	ds_read_b32 v22, v21
	v_and_b32_e32 v23, 3, v99
	v_cmp_ne_u32_e32 vcc, 0, v23
	s_waitcnt lgkmcnt(0)
	v_mov_b32_dpp v24, v22 row_shr:1 row_mask:0xf bank_mask:0xf
	v_cndmask_b32_e32 v24, 0, v24, vcc
	v_add_u32_e32 v22, v24, v22
	v_cmp_lt_u32_e32 vcc, 1, v23
	s_nop 0
	v_mov_b32_dpp v24, v22 row_shr:2 row_mask:0xf bank_mask:0xf
	v_cndmask_b32_e32 v23, 0, v24, vcc
	v_add_u32_e32 v22, v22, v23
	ds_write_b32 v21, v22
.LBB2196_100:
	s_or_b64 exec, exec, s[4:5]
	v_cmp_lt_u32_e32 vcc, 63, v0
	v_mov_b32_e32 v21, 0
	v_mov_b32_e32 v22, 0
	s_waitcnt lgkmcnt(0)
	s_barrier
	s_and_saveexec_b64 s[4:5], vcc
	s_cbranch_execz .LBB2196_102
; %bb.101:
	v_lshl_add_u32 v22, v100, 2, -4
	ds_read_b32 v22, v22
.LBB2196_102:
	s_or_b64 exec, exec, s[4:5]
	v_add_u32_e32 v23, -1, v99
	v_and_b32_e32 v24, 64, v99
	v_cmp_lt_i32_e32 vcc, v23, v24
	v_cndmask_b32_e32 v23, v23, v99, vcc
	s_waitcnt lgkmcnt(0)
	v_add_u32_e32 v20, v22, v20
	v_lshlrev_b32_e32 v23, 2, v23
	ds_bpermute_b32 v23, v23, v20
	ds_read_b32 v20, v21 offset:12
	s_and_saveexec_b64 s[4:5], s[0:1]
	s_cbranch_execz .LBB2196_104
; %bb.103:
	v_mov_b32_e32 v24, 0
	v_mov_b32_e32 v21, 2
	s_waitcnt lgkmcnt(0)
	global_store_dwordx2 v24, v[20:21], s[34:35] offset:512
.LBB2196_104:
	s_or_b64 exec, exec, s[4:5]
	v_cmp_eq_u32_e32 vcc, 0, v99
	s_waitcnt lgkmcnt(1)
	v_cndmask_b32_e32 v22, v23, v22, vcc
	v_mov_b32_e32 v21, 0
	v_cndmask_b32_e64 v22, v22, 0, s[0:1]
	s_waitcnt lgkmcnt(0)
	s_barrier
.LBB2196_105:
	v_add_u32_e32 v23, v22, v73
	v_add_u32_e32 v24, v23, v74
	;; [unrolled: 1-line block ×19, first 2 shown]
	s_waitcnt lgkmcnt(0)
	v_add_u32_e32 v43, v20, v43
	v_sub_u32_e32 v22, v22, v21
	v_and_b32_e32 v72, 1, v72
	v_add_u32_e32 v85, v84, v92
	v_sub_u32_e32 v92, v43, v22
	v_cmp_eq_u32_e32 vcc, 1, v72
	v_cndmask_b32_e32 v22, v92, v22, vcc
	v_lshlrev_b32_e32 v22, 1, v22
	ds_write_b16 v22, v10
	v_sub_u32_e32 v10, v23, v21
	v_sub_u32_e32 v22, v43, v10
	v_and_b32_e32 v23, 1, v71
	v_add_u32_e32 v22, 1, v22
	v_cmp_eq_u32_e32 vcc, 1, v23
	v_cndmask_b32_e32 v10, v22, v10, vcc
	v_lshlrev_b32_e32 v10, 1, v10
	ds_write_b16 v10, v44
	v_sub_u32_e32 v10, v24, v21
	v_sub_u32_e32 v22, v43, v10
	v_and_b32_e32 v23, 1, v70
	v_add_u32_e32 v22, 2, v22
	;; [unrolled: 8-line block ×20, first 2 shown]
	v_cmp_eq_u32_e32 vcc, 1, v6
	v_cndmask_b32_e32 v2, v3, v2, vcc
	v_add_u32_e32 v86, v85, v93
	v_lshlrev_b32_e32 v2, 1, v2
	ds_write_b16 v2, v4
	v_sub_u32_e32 v2, v86, v21
	v_sub_u32_e32 v3, v43, v2
	v_and_b32_e32 v4, 1, v51
	v_add_u32_e32 v3, 21, v3
	v_cmp_eq_u32_e32 vcc, 1, v4
	v_cndmask_b32_e32 v2, v3, v2, vcc
	v_add_u32_e32 v87, v86, v94
	v_lshlrev_b32_e32 v2, 1, v2
	ds_write_b16 v2, v33
	v_sub_u32_e32 v2, v87, v21
	v_sub_u32_e32 v3, v43, v2
	v_and_b32_e32 v4, 1, v50
	v_add_u32_e32 v3, 22, v3
	;; [unrolled: 9-line block ×6, first 2 shown]
	v_cmp_eq_u32_e32 vcc, 1, v4
	v_cndmask_b32_e32 v2, v3, v2, vcc
	v_lshlrev_b32_e32 v2, 1, v2
	ds_write_b16 v2, v19
	v_sub_u32_sdwa v2, v45, v21 dst_sel:DWORD dst_unused:UNUSED_PAD src0_sel:BYTE_0 src1_sel:DWORD
	v_add_u32_e32 v2, v91, v2
	v_sub_u32_e32 v3, v43, v2
	v_and_b32_e32 v4, 1, v46
	v_add_u32_e32 v3, 27, v3
	v_cmp_eq_u32_e32 vcc, 1, v4
	v_cndmask_b32_e32 v2, v3, v2, vcc
	s_waitcnt vmcnt(0)
	v_add_co_u32_e32 v10, vcc, v14, v21
	v_lshlrev_b32_e32 v2, 1, v2
	v_addc_co_u32_e32 v11, vcc, 0, v15, vcc
	ds_write_b16 v2, v30
	s_waitcnt lgkmcnt(0)
	s_barrier
	ds_read_u16 v68, v1
	ds_read_u16 v67, v1 offset:512
	ds_read_u16 v65, v1 offset:1024
	;; [unrolled: 1-line block ×23, first 2 shown]
	v_add_co_u32_e32 v2, vcc, v10, v20
	v_addc_co_u32_e32 v3, vcc, 0, v11, vcc
	v_mov_b32_e32 v9, s31
	v_sub_co_u32_e32 v8, vcc, s30, v2
	v_subb_co_u32_e32 v9, vcc, v9, v3, vcc
	ds_read_u16 v19, v1 offset:12288
	ds_read_u16 v13, v1 offset:12800
	;; [unrolled: 1-line block ×4, first 2 shown]
	v_lshlrev_b64 v[8:9], 1, v[8:9]
	v_mov_b32_e32 v14, s27
	v_add_co_u32_e32 v8, vcc, s26, v8
	v_addc_co_u32_e32 v9, vcc, v14, v9, vcc
	v_add_co_u32_e32 v8, vcc, v8, v16
	v_addc_co_u32_e32 v9, vcc, v9, v17, vcc
	v_lshlrev_b64 v[10:11], 1, v[10:11]
	v_mov_b32_e32 v14, s25
	s_and_b64 vcc, exec, s[2:3]
	v_add_co_u32_e64 v10, s[2:3], s24, v10
	v_or_b32_e32 v66, 0x100, v0
	v_or_b32_e32 v64, 0x200, v0
	;; [unrolled: 1-line block ×27, first 2 shown]
	v_addc_co_u32_e64 v11, s[2:3], v14, v11, s[2:3]
	s_cbranch_vccnz .LBB2196_107
; %bb.106:
	v_cmp_lt_u32_e32 vcc, v0, v20
	v_cndmask_b32_e32 v14, v8, v10, vcc
	v_cndmask_b32_e32 v15, v9, v11, vcc
	v_add_co_u32_e32 v14, vcc, v14, v1
	v_addc_co_u32_e32 v15, vcc, 0, v15, vcc
	v_cmp_lt_u32_e32 vcc, v66, v20
	s_waitcnt lgkmcnt(14)
	global_store_short v[14:15], v68, off
	v_cndmask_b32_e32 v14, v8, v10, vcc
	v_cndmask_b32_e32 v15, v9, v11, vcc
	v_add_co_u32_e32 v14, vcc, v14, v1
	v_addc_co_u32_e32 v15, vcc, 0, v15, vcc
	v_cmp_lt_u32_e32 vcc, v64, v20
	global_store_short v[14:15], v67, off offset:512
	v_cndmask_b32_e32 v14, v8, v10, vcc
	v_cndmask_b32_e32 v15, v9, v11, vcc
	v_add_co_u32_e32 v14, vcc, v14, v1
	v_addc_co_u32_e32 v15, vcc, 0, v15, vcc
	v_cmp_lt_u32_e32 vcc, v62, v20
	global_store_short v[14:15], v65, off offset:1024
	;; [unrolled: 6-line block ×7, first 2 shown]
	v_cndmask_b32_e32 v14, v8, v10, vcc
	v_lshlrev_b32_e32 v16, 1, v52
	v_cndmask_b32_e32 v15, v9, v11, vcc
	v_add_co_u32_e32 v14, vcc, v14, v16
	v_addc_co_u32_e32 v15, vcc, 0, v15, vcc
	v_cmp_lt_u32_e32 vcc, v50, v20
	global_store_short v[14:15], v53, off
	v_cndmask_b32_e32 v14, v8, v10, vcc
	v_lshlrev_b32_e32 v16, 1, v50
	v_cndmask_b32_e32 v15, v9, v11, vcc
	v_add_co_u32_e32 v14, vcc, v14, v16
	v_addc_co_u32_e32 v15, vcc, 0, v15, vcc
	v_cmp_lt_u32_e32 vcc, v48, v20
	global_store_short v[14:15], v51, off
	;; [unrolled: 7-line block ×6, first 2 shown]
	v_cndmask_b32_e32 v14, v8, v10, vcc
	v_lshlrev_b32_e32 v16, 1, v40
	v_cndmask_b32_e32 v15, v9, v11, vcc
	v_add_co_u32_e32 v14, vcc, v14, v16
	v_addc_co_u32_e32 v15, vcc, 0, v15, vcc
	v_cmp_lt_u32_e32 vcc, v37, v20
	s_waitcnt lgkmcnt(13)
	global_store_short v[14:15], v41, off
	v_cndmask_b32_e32 v14, v8, v10, vcc
	v_lshlrev_b32_e32 v16, 1, v37
	v_cndmask_b32_e32 v15, v9, v11, vcc
	v_add_co_u32_e32 v14, vcc, v14, v16
	v_addc_co_u32_e32 v15, vcc, 0, v15, vcc
	v_cmp_lt_u32_e32 vcc, v36, v20
	s_waitcnt lgkmcnt(12)
	global_store_short v[14:15], v39, off
	;; [unrolled: 8-line block ×12, first 2 shown]
	v_cndmask_b32_e32 v14, v8, v10, vcc
	v_lshlrev_b32_e32 v16, 1, v7
	v_cndmask_b32_e32 v15, v9, v11, vcc
	v_add_co_u32_e32 v14, vcc, v14, v16
	v_addc_co_u32_e32 v15, vcc, 0, v15, vcc
	s_mov_b64 s[2:3], -1
	s_waitcnt lgkmcnt(1)
	global_store_short v[14:15], v6, off
	s_cbranch_execz .LBB2196_108
	s_branch .LBB2196_137
.LBB2196_107:
	s_mov_b64 s[2:3], 0
.LBB2196_108:
	v_cmp_gt_u32_e32 vcc, s33, v0
	s_and_saveexec_b64 s[2:3], vcc
	s_cbranch_execnz .LBB2196_142
; %bb.109:
	s_or_b64 exec, exec, s[2:3]
	v_cmp_gt_u32_e32 vcc, s33, v66
	s_and_saveexec_b64 s[2:3], vcc
	s_cbranch_execnz .LBB2196_143
.LBB2196_110:
	s_or_b64 exec, exec, s[2:3]
	v_cmp_gt_u32_e32 vcc, s33, v64
	s_and_saveexec_b64 s[2:3], vcc
	s_cbranch_execnz .LBB2196_144
.LBB2196_111:
	s_or_b64 exec, exec, s[2:3]
	v_cmp_gt_u32_e32 vcc, s33, v62
	s_and_saveexec_b64 s[2:3], vcc
	s_cbranch_execnz .LBB2196_145
.LBB2196_112:
	s_or_b64 exec, exec, s[2:3]
	v_cmp_gt_u32_e32 vcc, s33, v60
	s_and_saveexec_b64 s[2:3], vcc
	s_cbranch_execnz .LBB2196_146
.LBB2196_113:
	s_or_b64 exec, exec, s[2:3]
	v_cmp_gt_u32_e32 vcc, s33, v58
	s_and_saveexec_b64 s[2:3], vcc
	s_cbranch_execnz .LBB2196_147
.LBB2196_114:
	s_or_b64 exec, exec, s[2:3]
	v_cmp_gt_u32_e32 vcc, s33, v56
	s_and_saveexec_b64 s[2:3], vcc
	s_cbranch_execnz .LBB2196_148
.LBB2196_115:
	s_or_b64 exec, exec, s[2:3]
	v_cmp_gt_u32_e32 vcc, s33, v54
	s_and_saveexec_b64 s[2:3], vcc
	s_cbranch_execnz .LBB2196_149
.LBB2196_116:
	s_or_b64 exec, exec, s[2:3]
	v_cmp_gt_u32_e32 vcc, s33, v52
	s_and_saveexec_b64 s[2:3], vcc
	s_cbranch_execnz .LBB2196_150
.LBB2196_117:
	s_or_b64 exec, exec, s[2:3]
	v_cmp_gt_u32_e32 vcc, s33, v50
	s_and_saveexec_b64 s[2:3], vcc
	s_cbranch_execnz .LBB2196_151
.LBB2196_118:
	s_or_b64 exec, exec, s[2:3]
	v_cmp_gt_u32_e32 vcc, s33, v48
	s_and_saveexec_b64 s[2:3], vcc
	s_cbranch_execnz .LBB2196_152
.LBB2196_119:
	s_or_b64 exec, exec, s[2:3]
	v_cmp_gt_u32_e32 vcc, s33, v46
	s_and_saveexec_b64 s[2:3], vcc
	s_cbranch_execnz .LBB2196_153
.LBB2196_120:
	s_or_b64 exec, exec, s[2:3]
	v_cmp_gt_u32_e32 vcc, s33, v44
	s_and_saveexec_b64 s[2:3], vcc
	s_cbranch_execnz .LBB2196_154
.LBB2196_121:
	s_or_b64 exec, exec, s[2:3]
	v_cmp_gt_u32_e32 vcc, s33, v42
	s_and_saveexec_b64 s[2:3], vcc
	s_cbranch_execnz .LBB2196_155
.LBB2196_122:
	s_or_b64 exec, exec, s[2:3]
	v_cmp_gt_u32_e32 vcc, s33, v40
	s_and_saveexec_b64 s[2:3], vcc
	s_cbranch_execnz .LBB2196_156
.LBB2196_123:
	s_or_b64 exec, exec, s[2:3]
	v_cmp_gt_u32_e32 vcc, s33, v37
	s_and_saveexec_b64 s[2:3], vcc
	s_cbranch_execnz .LBB2196_157
.LBB2196_124:
	s_or_b64 exec, exec, s[2:3]
	v_cmp_gt_u32_e32 vcc, s33, v36
	s_and_saveexec_b64 s[2:3], vcc
	s_cbranch_execnz .LBB2196_158
.LBB2196_125:
	s_or_b64 exec, exec, s[2:3]
	v_cmp_gt_u32_e32 vcc, s33, v34
	s_and_saveexec_b64 s[2:3], vcc
	s_cbranch_execnz .LBB2196_159
.LBB2196_126:
	s_or_b64 exec, exec, s[2:3]
	v_cmp_gt_u32_e32 vcc, s33, v32
	s_and_saveexec_b64 s[2:3], vcc
	s_cbranch_execnz .LBB2196_160
.LBB2196_127:
	s_or_b64 exec, exec, s[2:3]
	v_cmp_gt_u32_e32 vcc, s33, v30
	s_and_saveexec_b64 s[2:3], vcc
	s_cbranch_execnz .LBB2196_161
.LBB2196_128:
	s_or_b64 exec, exec, s[2:3]
	v_cmp_gt_u32_e32 vcc, s33, v28
	s_and_saveexec_b64 s[2:3], vcc
	s_cbranch_execnz .LBB2196_162
.LBB2196_129:
	s_or_b64 exec, exec, s[2:3]
	v_cmp_gt_u32_e32 vcc, s33, v26
	s_and_saveexec_b64 s[2:3], vcc
	s_cbranch_execnz .LBB2196_163
.LBB2196_130:
	s_or_b64 exec, exec, s[2:3]
	v_cmp_gt_u32_e32 vcc, s33, v24
	s_and_saveexec_b64 s[2:3], vcc
	s_cbranch_execnz .LBB2196_164
.LBB2196_131:
	s_or_b64 exec, exec, s[2:3]
	v_cmp_gt_u32_e32 vcc, s33, v22
	s_and_saveexec_b64 s[2:3], vcc
	s_cbranch_execnz .LBB2196_165
.LBB2196_132:
	s_or_b64 exec, exec, s[2:3]
	v_cmp_gt_u32_e32 vcc, s33, v18
	s_and_saveexec_b64 s[2:3], vcc
	s_cbranch_execnz .LBB2196_166
.LBB2196_133:
	s_or_b64 exec, exec, s[2:3]
	v_cmp_gt_u32_e32 vcc, s33, v12
	s_and_saveexec_b64 s[2:3], vcc
	s_cbranch_execnz .LBB2196_167
.LBB2196_134:
	s_or_b64 exec, exec, s[2:3]
	v_cmp_gt_u32_e32 vcc, s33, v7
	s_and_saveexec_b64 s[2:3], vcc
	s_cbranch_execz .LBB2196_136
.LBB2196_135:
	v_cmp_lt_u32_e32 vcc, v7, v20
	v_cndmask_b32_e32 v0, v8, v10, vcc
	v_lshlrev_b32_e32 v7, 1, v7
	v_cndmask_b32_e32 v1, v9, v11, vcc
	v_add_co_u32_e32 v0, vcc, v0, v7
	v_addc_co_u32_e32 v1, vcc, 0, v1, vcc
	s_waitcnt lgkmcnt(1)
	global_store_short v[0:1], v6, off
.LBB2196_136:
	s_or_b64 exec, exec, s[2:3]
	v_cmp_gt_u32_e64 s[2:3], s33, v5
.LBB2196_137:
	s_and_saveexec_b64 s[4:5], s[2:3]
	s_cbranch_execnz .LBB2196_140
; %bb.138:
	s_or_b64 exec, exec, s[4:5]
	s_and_b64 s[0:1], s[0:1], s[22:23]
	s_and_saveexec_b64 s[2:3], s[0:1]
	s_cbranch_execnz .LBB2196_141
.LBB2196_139:
	s_endpgm
.LBB2196_140:
	v_cmp_lt_u32_e32 vcc, v5, v20
	v_cndmask_b32_e32 v0, v8, v10, vcc
	v_lshlrev_b32_e32 v5, 1, v5
	v_cndmask_b32_e32 v1, v9, v11, vcc
	v_add_co_u32_e32 v0, vcc, v0, v5
	v_addc_co_u32_e32 v1, vcc, 0, v1, vcc
	s_waitcnt lgkmcnt(0)
	global_store_short v[0:1], v4, off
	s_or_b64 exec, exec, s[4:5]
	s_and_b64 s[0:1], s[0:1], s[22:23]
	s_and_saveexec_b64 s[2:3], s[0:1]
	s_cbranch_execz .LBB2196_139
.LBB2196_141:
	v_mov_b32_e32 v0, 0
	global_store_dwordx2 v0, v[2:3], s[20:21]
	s_endpgm
.LBB2196_142:
	v_cmp_lt_u32_e32 vcc, v0, v20
	v_cndmask_b32_e32 v14, v8, v10, vcc
	v_cndmask_b32_e32 v0, v9, v11, vcc
	v_add_co_u32_e32 v14, vcc, v14, v1
	v_addc_co_u32_e32 v15, vcc, 0, v0, vcc
	s_waitcnt lgkmcnt(14)
	global_store_short v[14:15], v68, off
	s_or_b64 exec, exec, s[2:3]
	v_cmp_gt_u32_e32 vcc, s33, v66
	s_and_saveexec_b64 s[2:3], vcc
	s_cbranch_execz .LBB2196_110
.LBB2196_143:
	v_cmp_lt_u32_e32 vcc, v66, v20
	v_cndmask_b32_e32 v14, v8, v10, vcc
	v_cndmask_b32_e32 v0, v9, v11, vcc
	v_add_co_u32_e32 v14, vcc, v14, v1
	v_addc_co_u32_e32 v15, vcc, 0, v0, vcc
	s_waitcnt lgkmcnt(14)
	global_store_short v[14:15], v67, off offset:512
	s_or_b64 exec, exec, s[2:3]
	v_cmp_gt_u32_e32 vcc, s33, v64
	s_and_saveexec_b64 s[2:3], vcc
	s_cbranch_execz .LBB2196_111
.LBB2196_144:
	v_cmp_lt_u32_e32 vcc, v64, v20
	v_cndmask_b32_e32 v14, v8, v10, vcc
	v_cndmask_b32_e32 v0, v9, v11, vcc
	v_add_co_u32_e32 v14, vcc, v14, v1
	v_addc_co_u32_e32 v15, vcc, 0, v0, vcc
	s_waitcnt lgkmcnt(14)
	global_store_short v[14:15], v65, off offset:1024
	s_or_b64 exec, exec, s[2:3]
	v_cmp_gt_u32_e32 vcc, s33, v62
	s_and_saveexec_b64 s[2:3], vcc
	s_cbranch_execz .LBB2196_112
.LBB2196_145:
	v_cmp_lt_u32_e32 vcc, v62, v20
	v_cndmask_b32_e32 v14, v8, v10, vcc
	v_cndmask_b32_e32 v0, v9, v11, vcc
	v_add_co_u32_e32 v14, vcc, v14, v1
	v_addc_co_u32_e32 v15, vcc, 0, v0, vcc
	s_waitcnt lgkmcnt(14)
	global_store_short v[14:15], v63, off offset:1536
	s_or_b64 exec, exec, s[2:3]
	v_cmp_gt_u32_e32 vcc, s33, v60
	s_and_saveexec_b64 s[2:3], vcc
	s_cbranch_execz .LBB2196_113
.LBB2196_146:
	v_cmp_lt_u32_e32 vcc, v60, v20
	v_cndmask_b32_e32 v14, v8, v10, vcc
	v_cndmask_b32_e32 v0, v9, v11, vcc
	v_add_co_u32_e32 v14, vcc, v14, v1
	v_addc_co_u32_e32 v15, vcc, 0, v0, vcc
	s_waitcnt lgkmcnt(14)
	global_store_short v[14:15], v61, off offset:2048
	s_or_b64 exec, exec, s[2:3]
	v_cmp_gt_u32_e32 vcc, s33, v58
	s_and_saveexec_b64 s[2:3], vcc
	s_cbranch_execz .LBB2196_114
.LBB2196_147:
	v_cmp_lt_u32_e32 vcc, v58, v20
	v_cndmask_b32_e32 v14, v8, v10, vcc
	v_cndmask_b32_e32 v0, v9, v11, vcc
	v_add_co_u32_e32 v14, vcc, v14, v1
	v_addc_co_u32_e32 v15, vcc, 0, v0, vcc
	s_waitcnt lgkmcnt(14)
	global_store_short v[14:15], v59, off offset:2560
	s_or_b64 exec, exec, s[2:3]
	v_cmp_gt_u32_e32 vcc, s33, v56
	s_and_saveexec_b64 s[2:3], vcc
	s_cbranch_execz .LBB2196_115
.LBB2196_148:
	v_cmp_lt_u32_e32 vcc, v56, v20
	v_cndmask_b32_e32 v14, v8, v10, vcc
	v_cndmask_b32_e32 v0, v9, v11, vcc
	v_add_co_u32_e32 v14, vcc, v14, v1
	v_addc_co_u32_e32 v15, vcc, 0, v0, vcc
	s_waitcnt lgkmcnt(14)
	global_store_short v[14:15], v57, off offset:3072
	s_or_b64 exec, exec, s[2:3]
	v_cmp_gt_u32_e32 vcc, s33, v54
	s_and_saveexec_b64 s[2:3], vcc
	s_cbranch_execz .LBB2196_116
.LBB2196_149:
	v_cmp_lt_u32_e32 vcc, v54, v20
	v_cndmask_b32_e32 v0, v8, v10, vcc
	v_cndmask_b32_e32 v14, v9, v11, vcc
	v_add_co_u32_e32 v0, vcc, v0, v1
	v_addc_co_u32_e32 v1, vcc, 0, v14, vcc
	s_waitcnt lgkmcnt(14)
	global_store_short v[0:1], v55, off offset:3584
	s_or_b64 exec, exec, s[2:3]
	v_cmp_gt_u32_e32 vcc, s33, v52
	s_and_saveexec_b64 s[2:3], vcc
	s_cbranch_execz .LBB2196_117
.LBB2196_150:
	v_cmp_lt_u32_e32 vcc, v52, v20
	v_cndmask_b32_e32 v0, v8, v10, vcc
	v_lshlrev_b32_e32 v14, 1, v52
	v_cndmask_b32_e32 v1, v9, v11, vcc
	v_add_co_u32_e32 v0, vcc, v0, v14
	v_addc_co_u32_e32 v1, vcc, 0, v1, vcc
	s_waitcnt lgkmcnt(14)
	global_store_short v[0:1], v53, off
	s_or_b64 exec, exec, s[2:3]
	v_cmp_gt_u32_e32 vcc, s33, v50
	s_and_saveexec_b64 s[2:3], vcc
	s_cbranch_execz .LBB2196_118
.LBB2196_151:
	v_cmp_lt_u32_e32 vcc, v50, v20
	v_cndmask_b32_e32 v0, v8, v10, vcc
	v_lshlrev_b32_e32 v14, 1, v50
	v_cndmask_b32_e32 v1, v9, v11, vcc
	v_add_co_u32_e32 v0, vcc, v0, v14
	v_addc_co_u32_e32 v1, vcc, 0, v1, vcc
	s_waitcnt lgkmcnt(14)
	global_store_short v[0:1], v51, off
	s_or_b64 exec, exec, s[2:3]
	v_cmp_gt_u32_e32 vcc, s33, v48
	s_and_saveexec_b64 s[2:3], vcc
	s_cbranch_execz .LBB2196_119
.LBB2196_152:
	v_cmp_lt_u32_e32 vcc, v48, v20
	v_cndmask_b32_e32 v0, v8, v10, vcc
	v_lshlrev_b32_e32 v14, 1, v48
	v_cndmask_b32_e32 v1, v9, v11, vcc
	v_add_co_u32_e32 v0, vcc, v0, v14
	v_addc_co_u32_e32 v1, vcc, 0, v1, vcc
	s_waitcnt lgkmcnt(14)
	global_store_short v[0:1], v49, off
	s_or_b64 exec, exec, s[2:3]
	v_cmp_gt_u32_e32 vcc, s33, v46
	s_and_saveexec_b64 s[2:3], vcc
	s_cbranch_execz .LBB2196_120
.LBB2196_153:
	v_cmp_lt_u32_e32 vcc, v46, v20
	v_cndmask_b32_e32 v0, v8, v10, vcc
	v_lshlrev_b32_e32 v14, 1, v46
	v_cndmask_b32_e32 v1, v9, v11, vcc
	v_add_co_u32_e32 v0, vcc, v0, v14
	v_addc_co_u32_e32 v1, vcc, 0, v1, vcc
	s_waitcnt lgkmcnt(14)
	global_store_short v[0:1], v47, off
	s_or_b64 exec, exec, s[2:3]
	v_cmp_gt_u32_e32 vcc, s33, v44
	s_and_saveexec_b64 s[2:3], vcc
	s_cbranch_execz .LBB2196_121
.LBB2196_154:
	v_cmp_lt_u32_e32 vcc, v44, v20
	v_cndmask_b32_e32 v0, v8, v10, vcc
	v_lshlrev_b32_e32 v14, 1, v44
	v_cndmask_b32_e32 v1, v9, v11, vcc
	v_add_co_u32_e32 v0, vcc, v0, v14
	v_addc_co_u32_e32 v1, vcc, 0, v1, vcc
	s_waitcnt lgkmcnt(14)
	global_store_short v[0:1], v45, off
	s_or_b64 exec, exec, s[2:3]
	v_cmp_gt_u32_e32 vcc, s33, v42
	s_and_saveexec_b64 s[2:3], vcc
	s_cbranch_execz .LBB2196_122
.LBB2196_155:
	v_cmp_lt_u32_e32 vcc, v42, v20
	v_cndmask_b32_e32 v0, v8, v10, vcc
	v_lshlrev_b32_e32 v14, 1, v42
	v_cndmask_b32_e32 v1, v9, v11, vcc
	v_add_co_u32_e32 v0, vcc, v0, v14
	v_addc_co_u32_e32 v1, vcc, 0, v1, vcc
	s_waitcnt lgkmcnt(14)
	global_store_short v[0:1], v43, off
	s_or_b64 exec, exec, s[2:3]
	v_cmp_gt_u32_e32 vcc, s33, v40
	s_and_saveexec_b64 s[2:3], vcc
	s_cbranch_execz .LBB2196_123
.LBB2196_156:
	v_cmp_lt_u32_e32 vcc, v40, v20
	v_cndmask_b32_e32 v0, v8, v10, vcc
	v_lshlrev_b32_e32 v14, 1, v40
	v_cndmask_b32_e32 v1, v9, v11, vcc
	v_add_co_u32_e32 v0, vcc, v0, v14
	v_addc_co_u32_e32 v1, vcc, 0, v1, vcc
	s_waitcnt lgkmcnt(13)
	global_store_short v[0:1], v41, off
	s_or_b64 exec, exec, s[2:3]
	v_cmp_gt_u32_e32 vcc, s33, v37
	s_and_saveexec_b64 s[2:3], vcc
	s_cbranch_execz .LBB2196_124
.LBB2196_157:
	v_cmp_lt_u32_e32 vcc, v37, v20
	v_cndmask_b32_e32 v0, v8, v10, vcc
	v_lshlrev_b32_e32 v14, 1, v37
	v_cndmask_b32_e32 v1, v9, v11, vcc
	v_add_co_u32_e32 v0, vcc, v0, v14
	v_addc_co_u32_e32 v1, vcc, 0, v1, vcc
	s_waitcnt lgkmcnt(12)
	global_store_short v[0:1], v39, off
	s_or_b64 exec, exec, s[2:3]
	v_cmp_gt_u32_e32 vcc, s33, v36
	s_and_saveexec_b64 s[2:3], vcc
	s_cbranch_execz .LBB2196_125
.LBB2196_158:
	v_cmp_lt_u32_e32 vcc, v36, v20
	v_cndmask_b32_e32 v0, v8, v10, vcc
	v_lshlrev_b32_e32 v14, 1, v36
	v_cndmask_b32_e32 v1, v9, v11, vcc
	v_add_co_u32_e32 v0, vcc, v0, v14
	v_addc_co_u32_e32 v1, vcc, 0, v1, vcc
	s_waitcnt lgkmcnt(11)
	global_store_short v[0:1], v38, off
	s_or_b64 exec, exec, s[2:3]
	v_cmp_gt_u32_e32 vcc, s33, v34
	s_and_saveexec_b64 s[2:3], vcc
	s_cbranch_execz .LBB2196_126
.LBB2196_159:
	v_cmp_lt_u32_e32 vcc, v34, v20
	v_cndmask_b32_e32 v0, v8, v10, vcc
	v_lshlrev_b32_e32 v14, 1, v34
	v_cndmask_b32_e32 v1, v9, v11, vcc
	v_add_co_u32_e32 v0, vcc, v0, v14
	v_addc_co_u32_e32 v1, vcc, 0, v1, vcc
	s_waitcnt lgkmcnt(10)
	global_store_short v[0:1], v35, off
	s_or_b64 exec, exec, s[2:3]
	v_cmp_gt_u32_e32 vcc, s33, v32
	s_and_saveexec_b64 s[2:3], vcc
	s_cbranch_execz .LBB2196_127
.LBB2196_160:
	v_cmp_lt_u32_e32 vcc, v32, v20
	v_cndmask_b32_e32 v0, v8, v10, vcc
	v_lshlrev_b32_e32 v14, 1, v32
	v_cndmask_b32_e32 v1, v9, v11, vcc
	v_add_co_u32_e32 v0, vcc, v0, v14
	v_addc_co_u32_e32 v1, vcc, 0, v1, vcc
	s_waitcnt lgkmcnt(9)
	global_store_short v[0:1], v33, off
	s_or_b64 exec, exec, s[2:3]
	v_cmp_gt_u32_e32 vcc, s33, v30
	s_and_saveexec_b64 s[2:3], vcc
	s_cbranch_execz .LBB2196_128
.LBB2196_161:
	v_cmp_lt_u32_e32 vcc, v30, v20
	v_cndmask_b32_e32 v0, v8, v10, vcc
	v_lshlrev_b32_e32 v14, 1, v30
	v_cndmask_b32_e32 v1, v9, v11, vcc
	v_add_co_u32_e32 v0, vcc, v0, v14
	v_addc_co_u32_e32 v1, vcc, 0, v1, vcc
	s_waitcnt lgkmcnt(8)
	global_store_short v[0:1], v31, off
	s_or_b64 exec, exec, s[2:3]
	v_cmp_gt_u32_e32 vcc, s33, v28
	s_and_saveexec_b64 s[2:3], vcc
	s_cbranch_execz .LBB2196_129
.LBB2196_162:
	v_cmp_lt_u32_e32 vcc, v28, v20
	v_cndmask_b32_e32 v0, v8, v10, vcc
	v_lshlrev_b32_e32 v14, 1, v28
	v_cndmask_b32_e32 v1, v9, v11, vcc
	v_add_co_u32_e32 v0, vcc, v0, v14
	v_addc_co_u32_e32 v1, vcc, 0, v1, vcc
	s_waitcnt lgkmcnt(7)
	global_store_short v[0:1], v29, off
	s_or_b64 exec, exec, s[2:3]
	v_cmp_gt_u32_e32 vcc, s33, v26
	s_and_saveexec_b64 s[2:3], vcc
	s_cbranch_execz .LBB2196_130
.LBB2196_163:
	v_cmp_lt_u32_e32 vcc, v26, v20
	v_cndmask_b32_e32 v0, v8, v10, vcc
	v_lshlrev_b32_e32 v14, 1, v26
	v_cndmask_b32_e32 v1, v9, v11, vcc
	v_add_co_u32_e32 v0, vcc, v0, v14
	v_addc_co_u32_e32 v1, vcc, 0, v1, vcc
	s_waitcnt lgkmcnt(6)
	global_store_short v[0:1], v27, off
	s_or_b64 exec, exec, s[2:3]
	v_cmp_gt_u32_e32 vcc, s33, v24
	s_and_saveexec_b64 s[2:3], vcc
	s_cbranch_execz .LBB2196_131
.LBB2196_164:
	v_cmp_lt_u32_e32 vcc, v24, v20
	v_cndmask_b32_e32 v0, v8, v10, vcc
	v_lshlrev_b32_e32 v14, 1, v24
	v_cndmask_b32_e32 v1, v9, v11, vcc
	v_add_co_u32_e32 v0, vcc, v0, v14
	v_addc_co_u32_e32 v1, vcc, 0, v1, vcc
	s_waitcnt lgkmcnt(5)
	global_store_short v[0:1], v25, off
	s_or_b64 exec, exec, s[2:3]
	v_cmp_gt_u32_e32 vcc, s33, v22
	s_and_saveexec_b64 s[2:3], vcc
	s_cbranch_execz .LBB2196_132
.LBB2196_165:
	v_cmp_lt_u32_e32 vcc, v22, v20
	v_cndmask_b32_e32 v0, v8, v10, vcc
	v_lshlrev_b32_e32 v14, 1, v22
	v_cndmask_b32_e32 v1, v9, v11, vcc
	v_add_co_u32_e32 v0, vcc, v0, v14
	v_addc_co_u32_e32 v1, vcc, 0, v1, vcc
	s_waitcnt lgkmcnt(4)
	global_store_short v[0:1], v23, off
	s_or_b64 exec, exec, s[2:3]
	v_cmp_gt_u32_e32 vcc, s33, v18
	s_and_saveexec_b64 s[2:3], vcc
	s_cbranch_execz .LBB2196_133
.LBB2196_166:
	v_cmp_lt_u32_e32 vcc, v18, v20
	v_cndmask_b32_e32 v0, v8, v10, vcc
	v_lshlrev_b32_e32 v14, 1, v18
	v_cndmask_b32_e32 v1, v9, v11, vcc
	v_add_co_u32_e32 v0, vcc, v0, v14
	v_addc_co_u32_e32 v1, vcc, 0, v1, vcc
	s_waitcnt lgkmcnt(3)
	global_store_short v[0:1], v19, off
	s_or_b64 exec, exec, s[2:3]
	v_cmp_gt_u32_e32 vcc, s33, v12
	s_and_saveexec_b64 s[2:3], vcc
	s_cbranch_execz .LBB2196_134
.LBB2196_167:
	v_cmp_lt_u32_e32 vcc, v12, v20
	v_cndmask_b32_e32 v0, v8, v10, vcc
	v_lshlrev_b32_e32 v12, 1, v12
	v_cndmask_b32_e32 v1, v9, v11, vcc
	v_add_co_u32_e32 v0, vcc, v0, v12
	v_addc_co_u32_e32 v1, vcc, 0, v1, vcc
	s_waitcnt lgkmcnt(2)
	global_store_short v[0:1], v13, off
	s_or_b64 exec, exec, s[2:3]
	v_cmp_gt_u32_e32 vcc, s33, v7
	s_and_saveexec_b64 s[2:3], vcc
	s_cbranch_execnz .LBB2196_135
	s_branch .LBB2196_136
	.section	.rodata,"a",@progbits
	.p2align	6, 0x0
	.amdhsa_kernel _ZN7rocprim17ROCPRIM_400000_NS6detail17trampoline_kernelINS0_14default_configENS1_25partition_config_selectorILNS1_17partition_subalgoE0EtNS0_10empty_typeEbEEZZNS1_14partition_implILS5_0ELb0ES3_jN6thrust23THRUST_200600_302600_NS6detail15normal_iteratorINSA_10device_ptrItEEEEPS6_SG_NS0_5tupleIJSF_SF_EEENSH_IJSG_SG_EEES6_PlJ7is_evenItEEEE10hipError_tPvRmT3_T4_T5_T6_T7_T9_mT8_P12ihipStream_tbDpT10_ENKUlT_T0_E_clISt17integral_constantIbLb0EES15_IbLb1EEEEDaS11_S12_EUlS11_E_NS1_11comp_targetILNS1_3genE4ELNS1_11target_archE910ELNS1_3gpuE8ELNS1_3repE0EEENS1_30default_config_static_selectorELNS0_4arch9wavefront6targetE1EEEvT1_
		.amdhsa_group_segment_fixed_size 14344
		.amdhsa_private_segment_fixed_size 0
		.amdhsa_kernarg_size 136
		.amdhsa_user_sgpr_count 6
		.amdhsa_user_sgpr_private_segment_buffer 1
		.amdhsa_user_sgpr_dispatch_ptr 0
		.amdhsa_user_sgpr_queue_ptr 0
		.amdhsa_user_sgpr_kernarg_segment_ptr 1
		.amdhsa_user_sgpr_dispatch_id 0
		.amdhsa_user_sgpr_flat_scratch_init 0
		.amdhsa_user_sgpr_kernarg_preload_length 0
		.amdhsa_user_sgpr_kernarg_preload_offset 0
		.amdhsa_user_sgpr_private_segment_size 0
		.amdhsa_uses_dynamic_stack 0
		.amdhsa_system_sgpr_private_segment_wavefront_offset 0
		.amdhsa_system_sgpr_workgroup_id_x 1
		.amdhsa_system_sgpr_workgroup_id_y 0
		.amdhsa_system_sgpr_workgroup_id_z 0
		.amdhsa_system_sgpr_workgroup_info 0
		.amdhsa_system_vgpr_workitem_id 0
		.amdhsa_next_free_vgpr 118
		.amdhsa_next_free_sgpr 44
		.amdhsa_accum_offset 120
		.amdhsa_reserve_vcc 1
		.amdhsa_reserve_flat_scratch 0
		.amdhsa_float_round_mode_32 0
		.amdhsa_float_round_mode_16_64 0
		.amdhsa_float_denorm_mode_32 3
		.amdhsa_float_denorm_mode_16_64 3
		.amdhsa_dx10_clamp 1
		.amdhsa_ieee_mode 1
		.amdhsa_fp16_overflow 0
		.amdhsa_tg_split 0
		.amdhsa_exception_fp_ieee_invalid_op 0
		.amdhsa_exception_fp_denorm_src 0
		.amdhsa_exception_fp_ieee_div_zero 0
		.amdhsa_exception_fp_ieee_overflow 0
		.amdhsa_exception_fp_ieee_underflow 0
		.amdhsa_exception_fp_ieee_inexact 0
		.amdhsa_exception_int_div_zero 0
	.end_amdhsa_kernel
	.section	.text._ZN7rocprim17ROCPRIM_400000_NS6detail17trampoline_kernelINS0_14default_configENS1_25partition_config_selectorILNS1_17partition_subalgoE0EtNS0_10empty_typeEbEEZZNS1_14partition_implILS5_0ELb0ES3_jN6thrust23THRUST_200600_302600_NS6detail15normal_iteratorINSA_10device_ptrItEEEEPS6_SG_NS0_5tupleIJSF_SF_EEENSH_IJSG_SG_EEES6_PlJ7is_evenItEEEE10hipError_tPvRmT3_T4_T5_T6_T7_T9_mT8_P12ihipStream_tbDpT10_ENKUlT_T0_E_clISt17integral_constantIbLb0EES15_IbLb1EEEEDaS11_S12_EUlS11_E_NS1_11comp_targetILNS1_3genE4ELNS1_11target_archE910ELNS1_3gpuE8ELNS1_3repE0EEENS1_30default_config_static_selectorELNS0_4arch9wavefront6targetE1EEEvT1_,"axG",@progbits,_ZN7rocprim17ROCPRIM_400000_NS6detail17trampoline_kernelINS0_14default_configENS1_25partition_config_selectorILNS1_17partition_subalgoE0EtNS0_10empty_typeEbEEZZNS1_14partition_implILS5_0ELb0ES3_jN6thrust23THRUST_200600_302600_NS6detail15normal_iteratorINSA_10device_ptrItEEEEPS6_SG_NS0_5tupleIJSF_SF_EEENSH_IJSG_SG_EEES6_PlJ7is_evenItEEEE10hipError_tPvRmT3_T4_T5_T6_T7_T9_mT8_P12ihipStream_tbDpT10_ENKUlT_T0_E_clISt17integral_constantIbLb0EES15_IbLb1EEEEDaS11_S12_EUlS11_E_NS1_11comp_targetILNS1_3genE4ELNS1_11target_archE910ELNS1_3gpuE8ELNS1_3repE0EEENS1_30default_config_static_selectorELNS0_4arch9wavefront6targetE1EEEvT1_,comdat
.Lfunc_end2196:
	.size	_ZN7rocprim17ROCPRIM_400000_NS6detail17trampoline_kernelINS0_14default_configENS1_25partition_config_selectorILNS1_17partition_subalgoE0EtNS0_10empty_typeEbEEZZNS1_14partition_implILS5_0ELb0ES3_jN6thrust23THRUST_200600_302600_NS6detail15normal_iteratorINSA_10device_ptrItEEEEPS6_SG_NS0_5tupleIJSF_SF_EEENSH_IJSG_SG_EEES6_PlJ7is_evenItEEEE10hipError_tPvRmT3_T4_T5_T6_T7_T9_mT8_P12ihipStream_tbDpT10_ENKUlT_T0_E_clISt17integral_constantIbLb0EES15_IbLb1EEEEDaS11_S12_EUlS11_E_NS1_11comp_targetILNS1_3genE4ELNS1_11target_archE910ELNS1_3gpuE8ELNS1_3repE0EEENS1_30default_config_static_selectorELNS0_4arch9wavefront6targetE1EEEvT1_, .Lfunc_end2196-_ZN7rocprim17ROCPRIM_400000_NS6detail17trampoline_kernelINS0_14default_configENS1_25partition_config_selectorILNS1_17partition_subalgoE0EtNS0_10empty_typeEbEEZZNS1_14partition_implILS5_0ELb0ES3_jN6thrust23THRUST_200600_302600_NS6detail15normal_iteratorINSA_10device_ptrItEEEEPS6_SG_NS0_5tupleIJSF_SF_EEENSH_IJSG_SG_EEES6_PlJ7is_evenItEEEE10hipError_tPvRmT3_T4_T5_T6_T7_T9_mT8_P12ihipStream_tbDpT10_ENKUlT_T0_E_clISt17integral_constantIbLb0EES15_IbLb1EEEEDaS11_S12_EUlS11_E_NS1_11comp_targetILNS1_3genE4ELNS1_11target_archE910ELNS1_3gpuE8ELNS1_3repE0EEENS1_30default_config_static_selectorELNS0_4arch9wavefront6targetE1EEEvT1_
                                        ; -- End function
	.section	.AMDGPU.csdata,"",@progbits
; Kernel info:
; codeLenInByte = 9880
; NumSgprs: 48
; NumVgprs: 118
; NumAgprs: 0
; TotalNumVgprs: 118
; ScratchSize: 0
; MemoryBound: 0
; FloatMode: 240
; IeeeMode: 1
; LDSByteSize: 14344 bytes/workgroup (compile time only)
; SGPRBlocks: 5
; VGPRBlocks: 14
; NumSGPRsForWavesPerEU: 48
; NumVGPRsForWavesPerEU: 118
; AccumOffset: 120
; Occupancy: 4
; WaveLimiterHint : 1
; COMPUTE_PGM_RSRC2:SCRATCH_EN: 0
; COMPUTE_PGM_RSRC2:USER_SGPR: 6
; COMPUTE_PGM_RSRC2:TRAP_HANDLER: 0
; COMPUTE_PGM_RSRC2:TGID_X_EN: 1
; COMPUTE_PGM_RSRC2:TGID_Y_EN: 0
; COMPUTE_PGM_RSRC2:TGID_Z_EN: 0
; COMPUTE_PGM_RSRC2:TIDIG_COMP_CNT: 0
; COMPUTE_PGM_RSRC3_GFX90A:ACCUM_OFFSET: 29
; COMPUTE_PGM_RSRC3_GFX90A:TG_SPLIT: 0
	.section	.text._ZN7rocprim17ROCPRIM_400000_NS6detail17trampoline_kernelINS0_14default_configENS1_25partition_config_selectorILNS1_17partition_subalgoE0EtNS0_10empty_typeEbEEZZNS1_14partition_implILS5_0ELb0ES3_jN6thrust23THRUST_200600_302600_NS6detail15normal_iteratorINSA_10device_ptrItEEEEPS6_SG_NS0_5tupleIJSF_SF_EEENSH_IJSG_SG_EEES6_PlJ7is_evenItEEEE10hipError_tPvRmT3_T4_T5_T6_T7_T9_mT8_P12ihipStream_tbDpT10_ENKUlT_T0_E_clISt17integral_constantIbLb0EES15_IbLb1EEEEDaS11_S12_EUlS11_E_NS1_11comp_targetILNS1_3genE3ELNS1_11target_archE908ELNS1_3gpuE7ELNS1_3repE0EEENS1_30default_config_static_selectorELNS0_4arch9wavefront6targetE1EEEvT1_,"axG",@progbits,_ZN7rocprim17ROCPRIM_400000_NS6detail17trampoline_kernelINS0_14default_configENS1_25partition_config_selectorILNS1_17partition_subalgoE0EtNS0_10empty_typeEbEEZZNS1_14partition_implILS5_0ELb0ES3_jN6thrust23THRUST_200600_302600_NS6detail15normal_iteratorINSA_10device_ptrItEEEEPS6_SG_NS0_5tupleIJSF_SF_EEENSH_IJSG_SG_EEES6_PlJ7is_evenItEEEE10hipError_tPvRmT3_T4_T5_T6_T7_T9_mT8_P12ihipStream_tbDpT10_ENKUlT_T0_E_clISt17integral_constantIbLb0EES15_IbLb1EEEEDaS11_S12_EUlS11_E_NS1_11comp_targetILNS1_3genE3ELNS1_11target_archE908ELNS1_3gpuE7ELNS1_3repE0EEENS1_30default_config_static_selectorELNS0_4arch9wavefront6targetE1EEEvT1_,comdat
	.protected	_ZN7rocprim17ROCPRIM_400000_NS6detail17trampoline_kernelINS0_14default_configENS1_25partition_config_selectorILNS1_17partition_subalgoE0EtNS0_10empty_typeEbEEZZNS1_14partition_implILS5_0ELb0ES3_jN6thrust23THRUST_200600_302600_NS6detail15normal_iteratorINSA_10device_ptrItEEEEPS6_SG_NS0_5tupleIJSF_SF_EEENSH_IJSG_SG_EEES6_PlJ7is_evenItEEEE10hipError_tPvRmT3_T4_T5_T6_T7_T9_mT8_P12ihipStream_tbDpT10_ENKUlT_T0_E_clISt17integral_constantIbLb0EES15_IbLb1EEEEDaS11_S12_EUlS11_E_NS1_11comp_targetILNS1_3genE3ELNS1_11target_archE908ELNS1_3gpuE7ELNS1_3repE0EEENS1_30default_config_static_selectorELNS0_4arch9wavefront6targetE1EEEvT1_ ; -- Begin function _ZN7rocprim17ROCPRIM_400000_NS6detail17trampoline_kernelINS0_14default_configENS1_25partition_config_selectorILNS1_17partition_subalgoE0EtNS0_10empty_typeEbEEZZNS1_14partition_implILS5_0ELb0ES3_jN6thrust23THRUST_200600_302600_NS6detail15normal_iteratorINSA_10device_ptrItEEEEPS6_SG_NS0_5tupleIJSF_SF_EEENSH_IJSG_SG_EEES6_PlJ7is_evenItEEEE10hipError_tPvRmT3_T4_T5_T6_T7_T9_mT8_P12ihipStream_tbDpT10_ENKUlT_T0_E_clISt17integral_constantIbLb0EES15_IbLb1EEEEDaS11_S12_EUlS11_E_NS1_11comp_targetILNS1_3genE3ELNS1_11target_archE908ELNS1_3gpuE7ELNS1_3repE0EEENS1_30default_config_static_selectorELNS0_4arch9wavefront6targetE1EEEvT1_
	.globl	_ZN7rocprim17ROCPRIM_400000_NS6detail17trampoline_kernelINS0_14default_configENS1_25partition_config_selectorILNS1_17partition_subalgoE0EtNS0_10empty_typeEbEEZZNS1_14partition_implILS5_0ELb0ES3_jN6thrust23THRUST_200600_302600_NS6detail15normal_iteratorINSA_10device_ptrItEEEEPS6_SG_NS0_5tupleIJSF_SF_EEENSH_IJSG_SG_EEES6_PlJ7is_evenItEEEE10hipError_tPvRmT3_T4_T5_T6_T7_T9_mT8_P12ihipStream_tbDpT10_ENKUlT_T0_E_clISt17integral_constantIbLb0EES15_IbLb1EEEEDaS11_S12_EUlS11_E_NS1_11comp_targetILNS1_3genE3ELNS1_11target_archE908ELNS1_3gpuE7ELNS1_3repE0EEENS1_30default_config_static_selectorELNS0_4arch9wavefront6targetE1EEEvT1_
	.p2align	8
	.type	_ZN7rocprim17ROCPRIM_400000_NS6detail17trampoline_kernelINS0_14default_configENS1_25partition_config_selectorILNS1_17partition_subalgoE0EtNS0_10empty_typeEbEEZZNS1_14partition_implILS5_0ELb0ES3_jN6thrust23THRUST_200600_302600_NS6detail15normal_iteratorINSA_10device_ptrItEEEEPS6_SG_NS0_5tupleIJSF_SF_EEENSH_IJSG_SG_EEES6_PlJ7is_evenItEEEE10hipError_tPvRmT3_T4_T5_T6_T7_T9_mT8_P12ihipStream_tbDpT10_ENKUlT_T0_E_clISt17integral_constantIbLb0EES15_IbLb1EEEEDaS11_S12_EUlS11_E_NS1_11comp_targetILNS1_3genE3ELNS1_11target_archE908ELNS1_3gpuE7ELNS1_3repE0EEENS1_30default_config_static_selectorELNS0_4arch9wavefront6targetE1EEEvT1_,@function
_ZN7rocprim17ROCPRIM_400000_NS6detail17trampoline_kernelINS0_14default_configENS1_25partition_config_selectorILNS1_17partition_subalgoE0EtNS0_10empty_typeEbEEZZNS1_14partition_implILS5_0ELb0ES3_jN6thrust23THRUST_200600_302600_NS6detail15normal_iteratorINSA_10device_ptrItEEEEPS6_SG_NS0_5tupleIJSF_SF_EEENSH_IJSG_SG_EEES6_PlJ7is_evenItEEEE10hipError_tPvRmT3_T4_T5_T6_T7_T9_mT8_P12ihipStream_tbDpT10_ENKUlT_T0_E_clISt17integral_constantIbLb0EES15_IbLb1EEEEDaS11_S12_EUlS11_E_NS1_11comp_targetILNS1_3genE3ELNS1_11target_archE908ELNS1_3gpuE7ELNS1_3repE0EEENS1_30default_config_static_selectorELNS0_4arch9wavefront6targetE1EEEvT1_: ; @_ZN7rocprim17ROCPRIM_400000_NS6detail17trampoline_kernelINS0_14default_configENS1_25partition_config_selectorILNS1_17partition_subalgoE0EtNS0_10empty_typeEbEEZZNS1_14partition_implILS5_0ELb0ES3_jN6thrust23THRUST_200600_302600_NS6detail15normal_iteratorINSA_10device_ptrItEEEEPS6_SG_NS0_5tupleIJSF_SF_EEENSH_IJSG_SG_EEES6_PlJ7is_evenItEEEE10hipError_tPvRmT3_T4_T5_T6_T7_T9_mT8_P12ihipStream_tbDpT10_ENKUlT_T0_E_clISt17integral_constantIbLb0EES15_IbLb1EEEEDaS11_S12_EUlS11_E_NS1_11comp_targetILNS1_3genE3ELNS1_11target_archE908ELNS1_3gpuE7ELNS1_3repE0EEENS1_30default_config_static_selectorELNS0_4arch9wavefront6targetE1EEEvT1_
; %bb.0:
	.section	.rodata,"a",@progbits
	.p2align	6, 0x0
	.amdhsa_kernel _ZN7rocprim17ROCPRIM_400000_NS6detail17trampoline_kernelINS0_14default_configENS1_25partition_config_selectorILNS1_17partition_subalgoE0EtNS0_10empty_typeEbEEZZNS1_14partition_implILS5_0ELb0ES3_jN6thrust23THRUST_200600_302600_NS6detail15normal_iteratorINSA_10device_ptrItEEEEPS6_SG_NS0_5tupleIJSF_SF_EEENSH_IJSG_SG_EEES6_PlJ7is_evenItEEEE10hipError_tPvRmT3_T4_T5_T6_T7_T9_mT8_P12ihipStream_tbDpT10_ENKUlT_T0_E_clISt17integral_constantIbLb0EES15_IbLb1EEEEDaS11_S12_EUlS11_E_NS1_11comp_targetILNS1_3genE3ELNS1_11target_archE908ELNS1_3gpuE7ELNS1_3repE0EEENS1_30default_config_static_selectorELNS0_4arch9wavefront6targetE1EEEvT1_
		.amdhsa_group_segment_fixed_size 0
		.amdhsa_private_segment_fixed_size 0
		.amdhsa_kernarg_size 136
		.amdhsa_user_sgpr_count 6
		.amdhsa_user_sgpr_private_segment_buffer 1
		.amdhsa_user_sgpr_dispatch_ptr 0
		.amdhsa_user_sgpr_queue_ptr 0
		.amdhsa_user_sgpr_kernarg_segment_ptr 1
		.amdhsa_user_sgpr_dispatch_id 0
		.amdhsa_user_sgpr_flat_scratch_init 0
		.amdhsa_user_sgpr_kernarg_preload_length 0
		.amdhsa_user_sgpr_kernarg_preload_offset 0
		.amdhsa_user_sgpr_private_segment_size 0
		.amdhsa_uses_dynamic_stack 0
		.amdhsa_system_sgpr_private_segment_wavefront_offset 0
		.amdhsa_system_sgpr_workgroup_id_x 1
		.amdhsa_system_sgpr_workgroup_id_y 0
		.amdhsa_system_sgpr_workgroup_id_z 0
		.amdhsa_system_sgpr_workgroup_info 0
		.amdhsa_system_vgpr_workitem_id 0
		.amdhsa_next_free_vgpr 1
		.amdhsa_next_free_sgpr 0
		.amdhsa_accum_offset 4
		.amdhsa_reserve_vcc 0
		.amdhsa_reserve_flat_scratch 0
		.amdhsa_float_round_mode_32 0
		.amdhsa_float_round_mode_16_64 0
		.amdhsa_float_denorm_mode_32 3
		.amdhsa_float_denorm_mode_16_64 3
		.amdhsa_dx10_clamp 1
		.amdhsa_ieee_mode 1
		.amdhsa_fp16_overflow 0
		.amdhsa_tg_split 0
		.amdhsa_exception_fp_ieee_invalid_op 0
		.amdhsa_exception_fp_denorm_src 0
		.amdhsa_exception_fp_ieee_div_zero 0
		.amdhsa_exception_fp_ieee_overflow 0
		.amdhsa_exception_fp_ieee_underflow 0
		.amdhsa_exception_fp_ieee_inexact 0
		.amdhsa_exception_int_div_zero 0
	.end_amdhsa_kernel
	.section	.text._ZN7rocprim17ROCPRIM_400000_NS6detail17trampoline_kernelINS0_14default_configENS1_25partition_config_selectorILNS1_17partition_subalgoE0EtNS0_10empty_typeEbEEZZNS1_14partition_implILS5_0ELb0ES3_jN6thrust23THRUST_200600_302600_NS6detail15normal_iteratorINSA_10device_ptrItEEEEPS6_SG_NS0_5tupleIJSF_SF_EEENSH_IJSG_SG_EEES6_PlJ7is_evenItEEEE10hipError_tPvRmT3_T4_T5_T6_T7_T9_mT8_P12ihipStream_tbDpT10_ENKUlT_T0_E_clISt17integral_constantIbLb0EES15_IbLb1EEEEDaS11_S12_EUlS11_E_NS1_11comp_targetILNS1_3genE3ELNS1_11target_archE908ELNS1_3gpuE7ELNS1_3repE0EEENS1_30default_config_static_selectorELNS0_4arch9wavefront6targetE1EEEvT1_,"axG",@progbits,_ZN7rocprim17ROCPRIM_400000_NS6detail17trampoline_kernelINS0_14default_configENS1_25partition_config_selectorILNS1_17partition_subalgoE0EtNS0_10empty_typeEbEEZZNS1_14partition_implILS5_0ELb0ES3_jN6thrust23THRUST_200600_302600_NS6detail15normal_iteratorINSA_10device_ptrItEEEEPS6_SG_NS0_5tupleIJSF_SF_EEENSH_IJSG_SG_EEES6_PlJ7is_evenItEEEE10hipError_tPvRmT3_T4_T5_T6_T7_T9_mT8_P12ihipStream_tbDpT10_ENKUlT_T0_E_clISt17integral_constantIbLb0EES15_IbLb1EEEEDaS11_S12_EUlS11_E_NS1_11comp_targetILNS1_3genE3ELNS1_11target_archE908ELNS1_3gpuE7ELNS1_3repE0EEENS1_30default_config_static_selectorELNS0_4arch9wavefront6targetE1EEEvT1_,comdat
.Lfunc_end2197:
	.size	_ZN7rocprim17ROCPRIM_400000_NS6detail17trampoline_kernelINS0_14default_configENS1_25partition_config_selectorILNS1_17partition_subalgoE0EtNS0_10empty_typeEbEEZZNS1_14partition_implILS5_0ELb0ES3_jN6thrust23THRUST_200600_302600_NS6detail15normal_iteratorINSA_10device_ptrItEEEEPS6_SG_NS0_5tupleIJSF_SF_EEENSH_IJSG_SG_EEES6_PlJ7is_evenItEEEE10hipError_tPvRmT3_T4_T5_T6_T7_T9_mT8_P12ihipStream_tbDpT10_ENKUlT_T0_E_clISt17integral_constantIbLb0EES15_IbLb1EEEEDaS11_S12_EUlS11_E_NS1_11comp_targetILNS1_3genE3ELNS1_11target_archE908ELNS1_3gpuE7ELNS1_3repE0EEENS1_30default_config_static_selectorELNS0_4arch9wavefront6targetE1EEEvT1_, .Lfunc_end2197-_ZN7rocprim17ROCPRIM_400000_NS6detail17trampoline_kernelINS0_14default_configENS1_25partition_config_selectorILNS1_17partition_subalgoE0EtNS0_10empty_typeEbEEZZNS1_14partition_implILS5_0ELb0ES3_jN6thrust23THRUST_200600_302600_NS6detail15normal_iteratorINSA_10device_ptrItEEEEPS6_SG_NS0_5tupleIJSF_SF_EEENSH_IJSG_SG_EEES6_PlJ7is_evenItEEEE10hipError_tPvRmT3_T4_T5_T6_T7_T9_mT8_P12ihipStream_tbDpT10_ENKUlT_T0_E_clISt17integral_constantIbLb0EES15_IbLb1EEEEDaS11_S12_EUlS11_E_NS1_11comp_targetILNS1_3genE3ELNS1_11target_archE908ELNS1_3gpuE7ELNS1_3repE0EEENS1_30default_config_static_selectorELNS0_4arch9wavefront6targetE1EEEvT1_
                                        ; -- End function
	.section	.AMDGPU.csdata,"",@progbits
; Kernel info:
; codeLenInByte = 0
; NumSgprs: 4
; NumVgprs: 0
; NumAgprs: 0
; TotalNumVgprs: 0
; ScratchSize: 0
; MemoryBound: 0
; FloatMode: 240
; IeeeMode: 1
; LDSByteSize: 0 bytes/workgroup (compile time only)
; SGPRBlocks: 0
; VGPRBlocks: 0
; NumSGPRsForWavesPerEU: 4
; NumVGPRsForWavesPerEU: 1
; AccumOffset: 4
; Occupancy: 8
; WaveLimiterHint : 0
; COMPUTE_PGM_RSRC2:SCRATCH_EN: 0
; COMPUTE_PGM_RSRC2:USER_SGPR: 6
; COMPUTE_PGM_RSRC2:TRAP_HANDLER: 0
; COMPUTE_PGM_RSRC2:TGID_X_EN: 1
; COMPUTE_PGM_RSRC2:TGID_Y_EN: 0
; COMPUTE_PGM_RSRC2:TGID_Z_EN: 0
; COMPUTE_PGM_RSRC2:TIDIG_COMP_CNT: 0
; COMPUTE_PGM_RSRC3_GFX90A:ACCUM_OFFSET: 0
; COMPUTE_PGM_RSRC3_GFX90A:TG_SPLIT: 0
	.section	.text._ZN7rocprim17ROCPRIM_400000_NS6detail17trampoline_kernelINS0_14default_configENS1_25partition_config_selectorILNS1_17partition_subalgoE0EtNS0_10empty_typeEbEEZZNS1_14partition_implILS5_0ELb0ES3_jN6thrust23THRUST_200600_302600_NS6detail15normal_iteratorINSA_10device_ptrItEEEEPS6_SG_NS0_5tupleIJSF_SF_EEENSH_IJSG_SG_EEES6_PlJ7is_evenItEEEE10hipError_tPvRmT3_T4_T5_T6_T7_T9_mT8_P12ihipStream_tbDpT10_ENKUlT_T0_E_clISt17integral_constantIbLb0EES15_IbLb1EEEEDaS11_S12_EUlS11_E_NS1_11comp_targetILNS1_3genE2ELNS1_11target_archE906ELNS1_3gpuE6ELNS1_3repE0EEENS1_30default_config_static_selectorELNS0_4arch9wavefront6targetE1EEEvT1_,"axG",@progbits,_ZN7rocprim17ROCPRIM_400000_NS6detail17trampoline_kernelINS0_14default_configENS1_25partition_config_selectorILNS1_17partition_subalgoE0EtNS0_10empty_typeEbEEZZNS1_14partition_implILS5_0ELb0ES3_jN6thrust23THRUST_200600_302600_NS6detail15normal_iteratorINSA_10device_ptrItEEEEPS6_SG_NS0_5tupleIJSF_SF_EEENSH_IJSG_SG_EEES6_PlJ7is_evenItEEEE10hipError_tPvRmT3_T4_T5_T6_T7_T9_mT8_P12ihipStream_tbDpT10_ENKUlT_T0_E_clISt17integral_constantIbLb0EES15_IbLb1EEEEDaS11_S12_EUlS11_E_NS1_11comp_targetILNS1_3genE2ELNS1_11target_archE906ELNS1_3gpuE6ELNS1_3repE0EEENS1_30default_config_static_selectorELNS0_4arch9wavefront6targetE1EEEvT1_,comdat
	.protected	_ZN7rocprim17ROCPRIM_400000_NS6detail17trampoline_kernelINS0_14default_configENS1_25partition_config_selectorILNS1_17partition_subalgoE0EtNS0_10empty_typeEbEEZZNS1_14partition_implILS5_0ELb0ES3_jN6thrust23THRUST_200600_302600_NS6detail15normal_iteratorINSA_10device_ptrItEEEEPS6_SG_NS0_5tupleIJSF_SF_EEENSH_IJSG_SG_EEES6_PlJ7is_evenItEEEE10hipError_tPvRmT3_T4_T5_T6_T7_T9_mT8_P12ihipStream_tbDpT10_ENKUlT_T0_E_clISt17integral_constantIbLb0EES15_IbLb1EEEEDaS11_S12_EUlS11_E_NS1_11comp_targetILNS1_3genE2ELNS1_11target_archE906ELNS1_3gpuE6ELNS1_3repE0EEENS1_30default_config_static_selectorELNS0_4arch9wavefront6targetE1EEEvT1_ ; -- Begin function _ZN7rocprim17ROCPRIM_400000_NS6detail17trampoline_kernelINS0_14default_configENS1_25partition_config_selectorILNS1_17partition_subalgoE0EtNS0_10empty_typeEbEEZZNS1_14partition_implILS5_0ELb0ES3_jN6thrust23THRUST_200600_302600_NS6detail15normal_iteratorINSA_10device_ptrItEEEEPS6_SG_NS0_5tupleIJSF_SF_EEENSH_IJSG_SG_EEES6_PlJ7is_evenItEEEE10hipError_tPvRmT3_T4_T5_T6_T7_T9_mT8_P12ihipStream_tbDpT10_ENKUlT_T0_E_clISt17integral_constantIbLb0EES15_IbLb1EEEEDaS11_S12_EUlS11_E_NS1_11comp_targetILNS1_3genE2ELNS1_11target_archE906ELNS1_3gpuE6ELNS1_3repE0EEENS1_30default_config_static_selectorELNS0_4arch9wavefront6targetE1EEEvT1_
	.globl	_ZN7rocprim17ROCPRIM_400000_NS6detail17trampoline_kernelINS0_14default_configENS1_25partition_config_selectorILNS1_17partition_subalgoE0EtNS0_10empty_typeEbEEZZNS1_14partition_implILS5_0ELb0ES3_jN6thrust23THRUST_200600_302600_NS6detail15normal_iteratorINSA_10device_ptrItEEEEPS6_SG_NS0_5tupleIJSF_SF_EEENSH_IJSG_SG_EEES6_PlJ7is_evenItEEEE10hipError_tPvRmT3_T4_T5_T6_T7_T9_mT8_P12ihipStream_tbDpT10_ENKUlT_T0_E_clISt17integral_constantIbLb0EES15_IbLb1EEEEDaS11_S12_EUlS11_E_NS1_11comp_targetILNS1_3genE2ELNS1_11target_archE906ELNS1_3gpuE6ELNS1_3repE0EEENS1_30default_config_static_selectorELNS0_4arch9wavefront6targetE1EEEvT1_
	.p2align	8
	.type	_ZN7rocprim17ROCPRIM_400000_NS6detail17trampoline_kernelINS0_14default_configENS1_25partition_config_selectorILNS1_17partition_subalgoE0EtNS0_10empty_typeEbEEZZNS1_14partition_implILS5_0ELb0ES3_jN6thrust23THRUST_200600_302600_NS6detail15normal_iteratorINSA_10device_ptrItEEEEPS6_SG_NS0_5tupleIJSF_SF_EEENSH_IJSG_SG_EEES6_PlJ7is_evenItEEEE10hipError_tPvRmT3_T4_T5_T6_T7_T9_mT8_P12ihipStream_tbDpT10_ENKUlT_T0_E_clISt17integral_constantIbLb0EES15_IbLb1EEEEDaS11_S12_EUlS11_E_NS1_11comp_targetILNS1_3genE2ELNS1_11target_archE906ELNS1_3gpuE6ELNS1_3repE0EEENS1_30default_config_static_selectorELNS0_4arch9wavefront6targetE1EEEvT1_,@function
_ZN7rocprim17ROCPRIM_400000_NS6detail17trampoline_kernelINS0_14default_configENS1_25partition_config_selectorILNS1_17partition_subalgoE0EtNS0_10empty_typeEbEEZZNS1_14partition_implILS5_0ELb0ES3_jN6thrust23THRUST_200600_302600_NS6detail15normal_iteratorINSA_10device_ptrItEEEEPS6_SG_NS0_5tupleIJSF_SF_EEENSH_IJSG_SG_EEES6_PlJ7is_evenItEEEE10hipError_tPvRmT3_T4_T5_T6_T7_T9_mT8_P12ihipStream_tbDpT10_ENKUlT_T0_E_clISt17integral_constantIbLb0EES15_IbLb1EEEEDaS11_S12_EUlS11_E_NS1_11comp_targetILNS1_3genE2ELNS1_11target_archE906ELNS1_3gpuE6ELNS1_3repE0EEENS1_30default_config_static_selectorELNS0_4arch9wavefront6targetE1EEEvT1_: ; @_ZN7rocprim17ROCPRIM_400000_NS6detail17trampoline_kernelINS0_14default_configENS1_25partition_config_selectorILNS1_17partition_subalgoE0EtNS0_10empty_typeEbEEZZNS1_14partition_implILS5_0ELb0ES3_jN6thrust23THRUST_200600_302600_NS6detail15normal_iteratorINSA_10device_ptrItEEEEPS6_SG_NS0_5tupleIJSF_SF_EEENSH_IJSG_SG_EEES6_PlJ7is_evenItEEEE10hipError_tPvRmT3_T4_T5_T6_T7_T9_mT8_P12ihipStream_tbDpT10_ENKUlT_T0_E_clISt17integral_constantIbLb0EES15_IbLb1EEEEDaS11_S12_EUlS11_E_NS1_11comp_targetILNS1_3genE2ELNS1_11target_archE906ELNS1_3gpuE6ELNS1_3repE0EEENS1_30default_config_static_selectorELNS0_4arch9wavefront6targetE1EEEvT1_
; %bb.0:
	.section	.rodata,"a",@progbits
	.p2align	6, 0x0
	.amdhsa_kernel _ZN7rocprim17ROCPRIM_400000_NS6detail17trampoline_kernelINS0_14default_configENS1_25partition_config_selectorILNS1_17partition_subalgoE0EtNS0_10empty_typeEbEEZZNS1_14partition_implILS5_0ELb0ES3_jN6thrust23THRUST_200600_302600_NS6detail15normal_iteratorINSA_10device_ptrItEEEEPS6_SG_NS0_5tupleIJSF_SF_EEENSH_IJSG_SG_EEES6_PlJ7is_evenItEEEE10hipError_tPvRmT3_T4_T5_T6_T7_T9_mT8_P12ihipStream_tbDpT10_ENKUlT_T0_E_clISt17integral_constantIbLb0EES15_IbLb1EEEEDaS11_S12_EUlS11_E_NS1_11comp_targetILNS1_3genE2ELNS1_11target_archE906ELNS1_3gpuE6ELNS1_3repE0EEENS1_30default_config_static_selectorELNS0_4arch9wavefront6targetE1EEEvT1_
		.amdhsa_group_segment_fixed_size 0
		.amdhsa_private_segment_fixed_size 0
		.amdhsa_kernarg_size 136
		.amdhsa_user_sgpr_count 6
		.amdhsa_user_sgpr_private_segment_buffer 1
		.amdhsa_user_sgpr_dispatch_ptr 0
		.amdhsa_user_sgpr_queue_ptr 0
		.amdhsa_user_sgpr_kernarg_segment_ptr 1
		.amdhsa_user_sgpr_dispatch_id 0
		.amdhsa_user_sgpr_flat_scratch_init 0
		.amdhsa_user_sgpr_kernarg_preload_length 0
		.amdhsa_user_sgpr_kernarg_preload_offset 0
		.amdhsa_user_sgpr_private_segment_size 0
		.amdhsa_uses_dynamic_stack 0
		.amdhsa_system_sgpr_private_segment_wavefront_offset 0
		.amdhsa_system_sgpr_workgroup_id_x 1
		.amdhsa_system_sgpr_workgroup_id_y 0
		.amdhsa_system_sgpr_workgroup_id_z 0
		.amdhsa_system_sgpr_workgroup_info 0
		.amdhsa_system_vgpr_workitem_id 0
		.amdhsa_next_free_vgpr 1
		.amdhsa_next_free_sgpr 0
		.amdhsa_accum_offset 4
		.amdhsa_reserve_vcc 0
		.amdhsa_reserve_flat_scratch 0
		.amdhsa_float_round_mode_32 0
		.amdhsa_float_round_mode_16_64 0
		.amdhsa_float_denorm_mode_32 3
		.amdhsa_float_denorm_mode_16_64 3
		.amdhsa_dx10_clamp 1
		.amdhsa_ieee_mode 1
		.amdhsa_fp16_overflow 0
		.amdhsa_tg_split 0
		.amdhsa_exception_fp_ieee_invalid_op 0
		.amdhsa_exception_fp_denorm_src 0
		.amdhsa_exception_fp_ieee_div_zero 0
		.amdhsa_exception_fp_ieee_overflow 0
		.amdhsa_exception_fp_ieee_underflow 0
		.amdhsa_exception_fp_ieee_inexact 0
		.amdhsa_exception_int_div_zero 0
	.end_amdhsa_kernel
	.section	.text._ZN7rocprim17ROCPRIM_400000_NS6detail17trampoline_kernelINS0_14default_configENS1_25partition_config_selectorILNS1_17partition_subalgoE0EtNS0_10empty_typeEbEEZZNS1_14partition_implILS5_0ELb0ES3_jN6thrust23THRUST_200600_302600_NS6detail15normal_iteratorINSA_10device_ptrItEEEEPS6_SG_NS0_5tupleIJSF_SF_EEENSH_IJSG_SG_EEES6_PlJ7is_evenItEEEE10hipError_tPvRmT3_T4_T5_T6_T7_T9_mT8_P12ihipStream_tbDpT10_ENKUlT_T0_E_clISt17integral_constantIbLb0EES15_IbLb1EEEEDaS11_S12_EUlS11_E_NS1_11comp_targetILNS1_3genE2ELNS1_11target_archE906ELNS1_3gpuE6ELNS1_3repE0EEENS1_30default_config_static_selectorELNS0_4arch9wavefront6targetE1EEEvT1_,"axG",@progbits,_ZN7rocprim17ROCPRIM_400000_NS6detail17trampoline_kernelINS0_14default_configENS1_25partition_config_selectorILNS1_17partition_subalgoE0EtNS0_10empty_typeEbEEZZNS1_14partition_implILS5_0ELb0ES3_jN6thrust23THRUST_200600_302600_NS6detail15normal_iteratorINSA_10device_ptrItEEEEPS6_SG_NS0_5tupleIJSF_SF_EEENSH_IJSG_SG_EEES6_PlJ7is_evenItEEEE10hipError_tPvRmT3_T4_T5_T6_T7_T9_mT8_P12ihipStream_tbDpT10_ENKUlT_T0_E_clISt17integral_constantIbLb0EES15_IbLb1EEEEDaS11_S12_EUlS11_E_NS1_11comp_targetILNS1_3genE2ELNS1_11target_archE906ELNS1_3gpuE6ELNS1_3repE0EEENS1_30default_config_static_selectorELNS0_4arch9wavefront6targetE1EEEvT1_,comdat
.Lfunc_end2198:
	.size	_ZN7rocprim17ROCPRIM_400000_NS6detail17trampoline_kernelINS0_14default_configENS1_25partition_config_selectorILNS1_17partition_subalgoE0EtNS0_10empty_typeEbEEZZNS1_14partition_implILS5_0ELb0ES3_jN6thrust23THRUST_200600_302600_NS6detail15normal_iteratorINSA_10device_ptrItEEEEPS6_SG_NS0_5tupleIJSF_SF_EEENSH_IJSG_SG_EEES6_PlJ7is_evenItEEEE10hipError_tPvRmT3_T4_T5_T6_T7_T9_mT8_P12ihipStream_tbDpT10_ENKUlT_T0_E_clISt17integral_constantIbLb0EES15_IbLb1EEEEDaS11_S12_EUlS11_E_NS1_11comp_targetILNS1_3genE2ELNS1_11target_archE906ELNS1_3gpuE6ELNS1_3repE0EEENS1_30default_config_static_selectorELNS0_4arch9wavefront6targetE1EEEvT1_, .Lfunc_end2198-_ZN7rocprim17ROCPRIM_400000_NS6detail17trampoline_kernelINS0_14default_configENS1_25partition_config_selectorILNS1_17partition_subalgoE0EtNS0_10empty_typeEbEEZZNS1_14partition_implILS5_0ELb0ES3_jN6thrust23THRUST_200600_302600_NS6detail15normal_iteratorINSA_10device_ptrItEEEEPS6_SG_NS0_5tupleIJSF_SF_EEENSH_IJSG_SG_EEES6_PlJ7is_evenItEEEE10hipError_tPvRmT3_T4_T5_T6_T7_T9_mT8_P12ihipStream_tbDpT10_ENKUlT_T0_E_clISt17integral_constantIbLb0EES15_IbLb1EEEEDaS11_S12_EUlS11_E_NS1_11comp_targetILNS1_3genE2ELNS1_11target_archE906ELNS1_3gpuE6ELNS1_3repE0EEENS1_30default_config_static_selectorELNS0_4arch9wavefront6targetE1EEEvT1_
                                        ; -- End function
	.section	.AMDGPU.csdata,"",@progbits
; Kernel info:
; codeLenInByte = 0
; NumSgprs: 4
; NumVgprs: 0
; NumAgprs: 0
; TotalNumVgprs: 0
; ScratchSize: 0
; MemoryBound: 0
; FloatMode: 240
; IeeeMode: 1
; LDSByteSize: 0 bytes/workgroup (compile time only)
; SGPRBlocks: 0
; VGPRBlocks: 0
; NumSGPRsForWavesPerEU: 4
; NumVGPRsForWavesPerEU: 1
; AccumOffset: 4
; Occupancy: 8
; WaveLimiterHint : 0
; COMPUTE_PGM_RSRC2:SCRATCH_EN: 0
; COMPUTE_PGM_RSRC2:USER_SGPR: 6
; COMPUTE_PGM_RSRC2:TRAP_HANDLER: 0
; COMPUTE_PGM_RSRC2:TGID_X_EN: 1
; COMPUTE_PGM_RSRC2:TGID_Y_EN: 0
; COMPUTE_PGM_RSRC2:TGID_Z_EN: 0
; COMPUTE_PGM_RSRC2:TIDIG_COMP_CNT: 0
; COMPUTE_PGM_RSRC3_GFX90A:ACCUM_OFFSET: 0
; COMPUTE_PGM_RSRC3_GFX90A:TG_SPLIT: 0
	.section	.text._ZN7rocprim17ROCPRIM_400000_NS6detail17trampoline_kernelINS0_14default_configENS1_25partition_config_selectorILNS1_17partition_subalgoE0EtNS0_10empty_typeEbEEZZNS1_14partition_implILS5_0ELb0ES3_jN6thrust23THRUST_200600_302600_NS6detail15normal_iteratorINSA_10device_ptrItEEEEPS6_SG_NS0_5tupleIJSF_SF_EEENSH_IJSG_SG_EEES6_PlJ7is_evenItEEEE10hipError_tPvRmT3_T4_T5_T6_T7_T9_mT8_P12ihipStream_tbDpT10_ENKUlT_T0_E_clISt17integral_constantIbLb0EES15_IbLb1EEEEDaS11_S12_EUlS11_E_NS1_11comp_targetILNS1_3genE10ELNS1_11target_archE1200ELNS1_3gpuE4ELNS1_3repE0EEENS1_30default_config_static_selectorELNS0_4arch9wavefront6targetE1EEEvT1_,"axG",@progbits,_ZN7rocprim17ROCPRIM_400000_NS6detail17trampoline_kernelINS0_14default_configENS1_25partition_config_selectorILNS1_17partition_subalgoE0EtNS0_10empty_typeEbEEZZNS1_14partition_implILS5_0ELb0ES3_jN6thrust23THRUST_200600_302600_NS6detail15normal_iteratorINSA_10device_ptrItEEEEPS6_SG_NS0_5tupleIJSF_SF_EEENSH_IJSG_SG_EEES6_PlJ7is_evenItEEEE10hipError_tPvRmT3_T4_T5_T6_T7_T9_mT8_P12ihipStream_tbDpT10_ENKUlT_T0_E_clISt17integral_constantIbLb0EES15_IbLb1EEEEDaS11_S12_EUlS11_E_NS1_11comp_targetILNS1_3genE10ELNS1_11target_archE1200ELNS1_3gpuE4ELNS1_3repE0EEENS1_30default_config_static_selectorELNS0_4arch9wavefront6targetE1EEEvT1_,comdat
	.protected	_ZN7rocprim17ROCPRIM_400000_NS6detail17trampoline_kernelINS0_14default_configENS1_25partition_config_selectorILNS1_17partition_subalgoE0EtNS0_10empty_typeEbEEZZNS1_14partition_implILS5_0ELb0ES3_jN6thrust23THRUST_200600_302600_NS6detail15normal_iteratorINSA_10device_ptrItEEEEPS6_SG_NS0_5tupleIJSF_SF_EEENSH_IJSG_SG_EEES6_PlJ7is_evenItEEEE10hipError_tPvRmT3_T4_T5_T6_T7_T9_mT8_P12ihipStream_tbDpT10_ENKUlT_T0_E_clISt17integral_constantIbLb0EES15_IbLb1EEEEDaS11_S12_EUlS11_E_NS1_11comp_targetILNS1_3genE10ELNS1_11target_archE1200ELNS1_3gpuE4ELNS1_3repE0EEENS1_30default_config_static_selectorELNS0_4arch9wavefront6targetE1EEEvT1_ ; -- Begin function _ZN7rocprim17ROCPRIM_400000_NS6detail17trampoline_kernelINS0_14default_configENS1_25partition_config_selectorILNS1_17partition_subalgoE0EtNS0_10empty_typeEbEEZZNS1_14partition_implILS5_0ELb0ES3_jN6thrust23THRUST_200600_302600_NS6detail15normal_iteratorINSA_10device_ptrItEEEEPS6_SG_NS0_5tupleIJSF_SF_EEENSH_IJSG_SG_EEES6_PlJ7is_evenItEEEE10hipError_tPvRmT3_T4_T5_T6_T7_T9_mT8_P12ihipStream_tbDpT10_ENKUlT_T0_E_clISt17integral_constantIbLb0EES15_IbLb1EEEEDaS11_S12_EUlS11_E_NS1_11comp_targetILNS1_3genE10ELNS1_11target_archE1200ELNS1_3gpuE4ELNS1_3repE0EEENS1_30default_config_static_selectorELNS0_4arch9wavefront6targetE1EEEvT1_
	.globl	_ZN7rocprim17ROCPRIM_400000_NS6detail17trampoline_kernelINS0_14default_configENS1_25partition_config_selectorILNS1_17partition_subalgoE0EtNS0_10empty_typeEbEEZZNS1_14partition_implILS5_0ELb0ES3_jN6thrust23THRUST_200600_302600_NS6detail15normal_iteratorINSA_10device_ptrItEEEEPS6_SG_NS0_5tupleIJSF_SF_EEENSH_IJSG_SG_EEES6_PlJ7is_evenItEEEE10hipError_tPvRmT3_T4_T5_T6_T7_T9_mT8_P12ihipStream_tbDpT10_ENKUlT_T0_E_clISt17integral_constantIbLb0EES15_IbLb1EEEEDaS11_S12_EUlS11_E_NS1_11comp_targetILNS1_3genE10ELNS1_11target_archE1200ELNS1_3gpuE4ELNS1_3repE0EEENS1_30default_config_static_selectorELNS0_4arch9wavefront6targetE1EEEvT1_
	.p2align	8
	.type	_ZN7rocprim17ROCPRIM_400000_NS6detail17trampoline_kernelINS0_14default_configENS1_25partition_config_selectorILNS1_17partition_subalgoE0EtNS0_10empty_typeEbEEZZNS1_14partition_implILS5_0ELb0ES3_jN6thrust23THRUST_200600_302600_NS6detail15normal_iteratorINSA_10device_ptrItEEEEPS6_SG_NS0_5tupleIJSF_SF_EEENSH_IJSG_SG_EEES6_PlJ7is_evenItEEEE10hipError_tPvRmT3_T4_T5_T6_T7_T9_mT8_P12ihipStream_tbDpT10_ENKUlT_T0_E_clISt17integral_constantIbLb0EES15_IbLb1EEEEDaS11_S12_EUlS11_E_NS1_11comp_targetILNS1_3genE10ELNS1_11target_archE1200ELNS1_3gpuE4ELNS1_3repE0EEENS1_30default_config_static_selectorELNS0_4arch9wavefront6targetE1EEEvT1_,@function
_ZN7rocprim17ROCPRIM_400000_NS6detail17trampoline_kernelINS0_14default_configENS1_25partition_config_selectorILNS1_17partition_subalgoE0EtNS0_10empty_typeEbEEZZNS1_14partition_implILS5_0ELb0ES3_jN6thrust23THRUST_200600_302600_NS6detail15normal_iteratorINSA_10device_ptrItEEEEPS6_SG_NS0_5tupleIJSF_SF_EEENSH_IJSG_SG_EEES6_PlJ7is_evenItEEEE10hipError_tPvRmT3_T4_T5_T6_T7_T9_mT8_P12ihipStream_tbDpT10_ENKUlT_T0_E_clISt17integral_constantIbLb0EES15_IbLb1EEEEDaS11_S12_EUlS11_E_NS1_11comp_targetILNS1_3genE10ELNS1_11target_archE1200ELNS1_3gpuE4ELNS1_3repE0EEENS1_30default_config_static_selectorELNS0_4arch9wavefront6targetE1EEEvT1_: ; @_ZN7rocprim17ROCPRIM_400000_NS6detail17trampoline_kernelINS0_14default_configENS1_25partition_config_selectorILNS1_17partition_subalgoE0EtNS0_10empty_typeEbEEZZNS1_14partition_implILS5_0ELb0ES3_jN6thrust23THRUST_200600_302600_NS6detail15normal_iteratorINSA_10device_ptrItEEEEPS6_SG_NS0_5tupleIJSF_SF_EEENSH_IJSG_SG_EEES6_PlJ7is_evenItEEEE10hipError_tPvRmT3_T4_T5_T6_T7_T9_mT8_P12ihipStream_tbDpT10_ENKUlT_T0_E_clISt17integral_constantIbLb0EES15_IbLb1EEEEDaS11_S12_EUlS11_E_NS1_11comp_targetILNS1_3genE10ELNS1_11target_archE1200ELNS1_3gpuE4ELNS1_3repE0EEENS1_30default_config_static_selectorELNS0_4arch9wavefront6targetE1EEEvT1_
; %bb.0:
	.section	.rodata,"a",@progbits
	.p2align	6, 0x0
	.amdhsa_kernel _ZN7rocprim17ROCPRIM_400000_NS6detail17trampoline_kernelINS0_14default_configENS1_25partition_config_selectorILNS1_17partition_subalgoE0EtNS0_10empty_typeEbEEZZNS1_14partition_implILS5_0ELb0ES3_jN6thrust23THRUST_200600_302600_NS6detail15normal_iteratorINSA_10device_ptrItEEEEPS6_SG_NS0_5tupleIJSF_SF_EEENSH_IJSG_SG_EEES6_PlJ7is_evenItEEEE10hipError_tPvRmT3_T4_T5_T6_T7_T9_mT8_P12ihipStream_tbDpT10_ENKUlT_T0_E_clISt17integral_constantIbLb0EES15_IbLb1EEEEDaS11_S12_EUlS11_E_NS1_11comp_targetILNS1_3genE10ELNS1_11target_archE1200ELNS1_3gpuE4ELNS1_3repE0EEENS1_30default_config_static_selectorELNS0_4arch9wavefront6targetE1EEEvT1_
		.amdhsa_group_segment_fixed_size 0
		.amdhsa_private_segment_fixed_size 0
		.amdhsa_kernarg_size 136
		.amdhsa_user_sgpr_count 6
		.amdhsa_user_sgpr_private_segment_buffer 1
		.amdhsa_user_sgpr_dispatch_ptr 0
		.amdhsa_user_sgpr_queue_ptr 0
		.amdhsa_user_sgpr_kernarg_segment_ptr 1
		.amdhsa_user_sgpr_dispatch_id 0
		.amdhsa_user_sgpr_flat_scratch_init 0
		.amdhsa_user_sgpr_kernarg_preload_length 0
		.amdhsa_user_sgpr_kernarg_preload_offset 0
		.amdhsa_user_sgpr_private_segment_size 0
		.amdhsa_uses_dynamic_stack 0
		.amdhsa_system_sgpr_private_segment_wavefront_offset 0
		.amdhsa_system_sgpr_workgroup_id_x 1
		.amdhsa_system_sgpr_workgroup_id_y 0
		.amdhsa_system_sgpr_workgroup_id_z 0
		.amdhsa_system_sgpr_workgroup_info 0
		.amdhsa_system_vgpr_workitem_id 0
		.amdhsa_next_free_vgpr 1
		.amdhsa_next_free_sgpr 0
		.amdhsa_accum_offset 4
		.amdhsa_reserve_vcc 0
		.amdhsa_reserve_flat_scratch 0
		.amdhsa_float_round_mode_32 0
		.amdhsa_float_round_mode_16_64 0
		.amdhsa_float_denorm_mode_32 3
		.amdhsa_float_denorm_mode_16_64 3
		.amdhsa_dx10_clamp 1
		.amdhsa_ieee_mode 1
		.amdhsa_fp16_overflow 0
		.amdhsa_tg_split 0
		.amdhsa_exception_fp_ieee_invalid_op 0
		.amdhsa_exception_fp_denorm_src 0
		.amdhsa_exception_fp_ieee_div_zero 0
		.amdhsa_exception_fp_ieee_overflow 0
		.amdhsa_exception_fp_ieee_underflow 0
		.amdhsa_exception_fp_ieee_inexact 0
		.amdhsa_exception_int_div_zero 0
	.end_amdhsa_kernel
	.section	.text._ZN7rocprim17ROCPRIM_400000_NS6detail17trampoline_kernelINS0_14default_configENS1_25partition_config_selectorILNS1_17partition_subalgoE0EtNS0_10empty_typeEbEEZZNS1_14partition_implILS5_0ELb0ES3_jN6thrust23THRUST_200600_302600_NS6detail15normal_iteratorINSA_10device_ptrItEEEEPS6_SG_NS0_5tupleIJSF_SF_EEENSH_IJSG_SG_EEES6_PlJ7is_evenItEEEE10hipError_tPvRmT3_T4_T5_T6_T7_T9_mT8_P12ihipStream_tbDpT10_ENKUlT_T0_E_clISt17integral_constantIbLb0EES15_IbLb1EEEEDaS11_S12_EUlS11_E_NS1_11comp_targetILNS1_3genE10ELNS1_11target_archE1200ELNS1_3gpuE4ELNS1_3repE0EEENS1_30default_config_static_selectorELNS0_4arch9wavefront6targetE1EEEvT1_,"axG",@progbits,_ZN7rocprim17ROCPRIM_400000_NS6detail17trampoline_kernelINS0_14default_configENS1_25partition_config_selectorILNS1_17partition_subalgoE0EtNS0_10empty_typeEbEEZZNS1_14partition_implILS5_0ELb0ES3_jN6thrust23THRUST_200600_302600_NS6detail15normal_iteratorINSA_10device_ptrItEEEEPS6_SG_NS0_5tupleIJSF_SF_EEENSH_IJSG_SG_EEES6_PlJ7is_evenItEEEE10hipError_tPvRmT3_T4_T5_T6_T7_T9_mT8_P12ihipStream_tbDpT10_ENKUlT_T0_E_clISt17integral_constantIbLb0EES15_IbLb1EEEEDaS11_S12_EUlS11_E_NS1_11comp_targetILNS1_3genE10ELNS1_11target_archE1200ELNS1_3gpuE4ELNS1_3repE0EEENS1_30default_config_static_selectorELNS0_4arch9wavefront6targetE1EEEvT1_,comdat
.Lfunc_end2199:
	.size	_ZN7rocprim17ROCPRIM_400000_NS6detail17trampoline_kernelINS0_14default_configENS1_25partition_config_selectorILNS1_17partition_subalgoE0EtNS0_10empty_typeEbEEZZNS1_14partition_implILS5_0ELb0ES3_jN6thrust23THRUST_200600_302600_NS6detail15normal_iteratorINSA_10device_ptrItEEEEPS6_SG_NS0_5tupleIJSF_SF_EEENSH_IJSG_SG_EEES6_PlJ7is_evenItEEEE10hipError_tPvRmT3_T4_T5_T6_T7_T9_mT8_P12ihipStream_tbDpT10_ENKUlT_T0_E_clISt17integral_constantIbLb0EES15_IbLb1EEEEDaS11_S12_EUlS11_E_NS1_11comp_targetILNS1_3genE10ELNS1_11target_archE1200ELNS1_3gpuE4ELNS1_3repE0EEENS1_30default_config_static_selectorELNS0_4arch9wavefront6targetE1EEEvT1_, .Lfunc_end2199-_ZN7rocprim17ROCPRIM_400000_NS6detail17trampoline_kernelINS0_14default_configENS1_25partition_config_selectorILNS1_17partition_subalgoE0EtNS0_10empty_typeEbEEZZNS1_14partition_implILS5_0ELb0ES3_jN6thrust23THRUST_200600_302600_NS6detail15normal_iteratorINSA_10device_ptrItEEEEPS6_SG_NS0_5tupleIJSF_SF_EEENSH_IJSG_SG_EEES6_PlJ7is_evenItEEEE10hipError_tPvRmT3_T4_T5_T6_T7_T9_mT8_P12ihipStream_tbDpT10_ENKUlT_T0_E_clISt17integral_constantIbLb0EES15_IbLb1EEEEDaS11_S12_EUlS11_E_NS1_11comp_targetILNS1_3genE10ELNS1_11target_archE1200ELNS1_3gpuE4ELNS1_3repE0EEENS1_30default_config_static_selectorELNS0_4arch9wavefront6targetE1EEEvT1_
                                        ; -- End function
	.section	.AMDGPU.csdata,"",@progbits
; Kernel info:
; codeLenInByte = 0
; NumSgprs: 4
; NumVgprs: 0
; NumAgprs: 0
; TotalNumVgprs: 0
; ScratchSize: 0
; MemoryBound: 0
; FloatMode: 240
; IeeeMode: 1
; LDSByteSize: 0 bytes/workgroup (compile time only)
; SGPRBlocks: 0
; VGPRBlocks: 0
; NumSGPRsForWavesPerEU: 4
; NumVGPRsForWavesPerEU: 1
; AccumOffset: 4
; Occupancy: 8
; WaveLimiterHint : 0
; COMPUTE_PGM_RSRC2:SCRATCH_EN: 0
; COMPUTE_PGM_RSRC2:USER_SGPR: 6
; COMPUTE_PGM_RSRC2:TRAP_HANDLER: 0
; COMPUTE_PGM_RSRC2:TGID_X_EN: 1
; COMPUTE_PGM_RSRC2:TGID_Y_EN: 0
; COMPUTE_PGM_RSRC2:TGID_Z_EN: 0
; COMPUTE_PGM_RSRC2:TIDIG_COMP_CNT: 0
; COMPUTE_PGM_RSRC3_GFX90A:ACCUM_OFFSET: 0
; COMPUTE_PGM_RSRC3_GFX90A:TG_SPLIT: 0
	.section	.text._ZN7rocprim17ROCPRIM_400000_NS6detail17trampoline_kernelINS0_14default_configENS1_25partition_config_selectorILNS1_17partition_subalgoE0EtNS0_10empty_typeEbEEZZNS1_14partition_implILS5_0ELb0ES3_jN6thrust23THRUST_200600_302600_NS6detail15normal_iteratorINSA_10device_ptrItEEEEPS6_SG_NS0_5tupleIJSF_SF_EEENSH_IJSG_SG_EEES6_PlJ7is_evenItEEEE10hipError_tPvRmT3_T4_T5_T6_T7_T9_mT8_P12ihipStream_tbDpT10_ENKUlT_T0_E_clISt17integral_constantIbLb0EES15_IbLb1EEEEDaS11_S12_EUlS11_E_NS1_11comp_targetILNS1_3genE9ELNS1_11target_archE1100ELNS1_3gpuE3ELNS1_3repE0EEENS1_30default_config_static_selectorELNS0_4arch9wavefront6targetE1EEEvT1_,"axG",@progbits,_ZN7rocprim17ROCPRIM_400000_NS6detail17trampoline_kernelINS0_14default_configENS1_25partition_config_selectorILNS1_17partition_subalgoE0EtNS0_10empty_typeEbEEZZNS1_14partition_implILS5_0ELb0ES3_jN6thrust23THRUST_200600_302600_NS6detail15normal_iteratorINSA_10device_ptrItEEEEPS6_SG_NS0_5tupleIJSF_SF_EEENSH_IJSG_SG_EEES6_PlJ7is_evenItEEEE10hipError_tPvRmT3_T4_T5_T6_T7_T9_mT8_P12ihipStream_tbDpT10_ENKUlT_T0_E_clISt17integral_constantIbLb0EES15_IbLb1EEEEDaS11_S12_EUlS11_E_NS1_11comp_targetILNS1_3genE9ELNS1_11target_archE1100ELNS1_3gpuE3ELNS1_3repE0EEENS1_30default_config_static_selectorELNS0_4arch9wavefront6targetE1EEEvT1_,comdat
	.protected	_ZN7rocprim17ROCPRIM_400000_NS6detail17trampoline_kernelINS0_14default_configENS1_25partition_config_selectorILNS1_17partition_subalgoE0EtNS0_10empty_typeEbEEZZNS1_14partition_implILS5_0ELb0ES3_jN6thrust23THRUST_200600_302600_NS6detail15normal_iteratorINSA_10device_ptrItEEEEPS6_SG_NS0_5tupleIJSF_SF_EEENSH_IJSG_SG_EEES6_PlJ7is_evenItEEEE10hipError_tPvRmT3_T4_T5_T6_T7_T9_mT8_P12ihipStream_tbDpT10_ENKUlT_T0_E_clISt17integral_constantIbLb0EES15_IbLb1EEEEDaS11_S12_EUlS11_E_NS1_11comp_targetILNS1_3genE9ELNS1_11target_archE1100ELNS1_3gpuE3ELNS1_3repE0EEENS1_30default_config_static_selectorELNS0_4arch9wavefront6targetE1EEEvT1_ ; -- Begin function _ZN7rocprim17ROCPRIM_400000_NS6detail17trampoline_kernelINS0_14default_configENS1_25partition_config_selectorILNS1_17partition_subalgoE0EtNS0_10empty_typeEbEEZZNS1_14partition_implILS5_0ELb0ES3_jN6thrust23THRUST_200600_302600_NS6detail15normal_iteratorINSA_10device_ptrItEEEEPS6_SG_NS0_5tupleIJSF_SF_EEENSH_IJSG_SG_EEES6_PlJ7is_evenItEEEE10hipError_tPvRmT3_T4_T5_T6_T7_T9_mT8_P12ihipStream_tbDpT10_ENKUlT_T0_E_clISt17integral_constantIbLb0EES15_IbLb1EEEEDaS11_S12_EUlS11_E_NS1_11comp_targetILNS1_3genE9ELNS1_11target_archE1100ELNS1_3gpuE3ELNS1_3repE0EEENS1_30default_config_static_selectorELNS0_4arch9wavefront6targetE1EEEvT1_
	.globl	_ZN7rocprim17ROCPRIM_400000_NS6detail17trampoline_kernelINS0_14default_configENS1_25partition_config_selectorILNS1_17partition_subalgoE0EtNS0_10empty_typeEbEEZZNS1_14partition_implILS5_0ELb0ES3_jN6thrust23THRUST_200600_302600_NS6detail15normal_iteratorINSA_10device_ptrItEEEEPS6_SG_NS0_5tupleIJSF_SF_EEENSH_IJSG_SG_EEES6_PlJ7is_evenItEEEE10hipError_tPvRmT3_T4_T5_T6_T7_T9_mT8_P12ihipStream_tbDpT10_ENKUlT_T0_E_clISt17integral_constantIbLb0EES15_IbLb1EEEEDaS11_S12_EUlS11_E_NS1_11comp_targetILNS1_3genE9ELNS1_11target_archE1100ELNS1_3gpuE3ELNS1_3repE0EEENS1_30default_config_static_selectorELNS0_4arch9wavefront6targetE1EEEvT1_
	.p2align	8
	.type	_ZN7rocprim17ROCPRIM_400000_NS6detail17trampoline_kernelINS0_14default_configENS1_25partition_config_selectorILNS1_17partition_subalgoE0EtNS0_10empty_typeEbEEZZNS1_14partition_implILS5_0ELb0ES3_jN6thrust23THRUST_200600_302600_NS6detail15normal_iteratorINSA_10device_ptrItEEEEPS6_SG_NS0_5tupleIJSF_SF_EEENSH_IJSG_SG_EEES6_PlJ7is_evenItEEEE10hipError_tPvRmT3_T4_T5_T6_T7_T9_mT8_P12ihipStream_tbDpT10_ENKUlT_T0_E_clISt17integral_constantIbLb0EES15_IbLb1EEEEDaS11_S12_EUlS11_E_NS1_11comp_targetILNS1_3genE9ELNS1_11target_archE1100ELNS1_3gpuE3ELNS1_3repE0EEENS1_30default_config_static_selectorELNS0_4arch9wavefront6targetE1EEEvT1_,@function
_ZN7rocprim17ROCPRIM_400000_NS6detail17trampoline_kernelINS0_14default_configENS1_25partition_config_selectorILNS1_17partition_subalgoE0EtNS0_10empty_typeEbEEZZNS1_14partition_implILS5_0ELb0ES3_jN6thrust23THRUST_200600_302600_NS6detail15normal_iteratorINSA_10device_ptrItEEEEPS6_SG_NS0_5tupleIJSF_SF_EEENSH_IJSG_SG_EEES6_PlJ7is_evenItEEEE10hipError_tPvRmT3_T4_T5_T6_T7_T9_mT8_P12ihipStream_tbDpT10_ENKUlT_T0_E_clISt17integral_constantIbLb0EES15_IbLb1EEEEDaS11_S12_EUlS11_E_NS1_11comp_targetILNS1_3genE9ELNS1_11target_archE1100ELNS1_3gpuE3ELNS1_3repE0EEENS1_30default_config_static_selectorELNS0_4arch9wavefront6targetE1EEEvT1_: ; @_ZN7rocprim17ROCPRIM_400000_NS6detail17trampoline_kernelINS0_14default_configENS1_25partition_config_selectorILNS1_17partition_subalgoE0EtNS0_10empty_typeEbEEZZNS1_14partition_implILS5_0ELb0ES3_jN6thrust23THRUST_200600_302600_NS6detail15normal_iteratorINSA_10device_ptrItEEEEPS6_SG_NS0_5tupleIJSF_SF_EEENSH_IJSG_SG_EEES6_PlJ7is_evenItEEEE10hipError_tPvRmT3_T4_T5_T6_T7_T9_mT8_P12ihipStream_tbDpT10_ENKUlT_T0_E_clISt17integral_constantIbLb0EES15_IbLb1EEEEDaS11_S12_EUlS11_E_NS1_11comp_targetILNS1_3genE9ELNS1_11target_archE1100ELNS1_3gpuE3ELNS1_3repE0EEENS1_30default_config_static_selectorELNS0_4arch9wavefront6targetE1EEEvT1_
; %bb.0:
	.section	.rodata,"a",@progbits
	.p2align	6, 0x0
	.amdhsa_kernel _ZN7rocprim17ROCPRIM_400000_NS6detail17trampoline_kernelINS0_14default_configENS1_25partition_config_selectorILNS1_17partition_subalgoE0EtNS0_10empty_typeEbEEZZNS1_14partition_implILS5_0ELb0ES3_jN6thrust23THRUST_200600_302600_NS6detail15normal_iteratorINSA_10device_ptrItEEEEPS6_SG_NS0_5tupleIJSF_SF_EEENSH_IJSG_SG_EEES6_PlJ7is_evenItEEEE10hipError_tPvRmT3_T4_T5_T6_T7_T9_mT8_P12ihipStream_tbDpT10_ENKUlT_T0_E_clISt17integral_constantIbLb0EES15_IbLb1EEEEDaS11_S12_EUlS11_E_NS1_11comp_targetILNS1_3genE9ELNS1_11target_archE1100ELNS1_3gpuE3ELNS1_3repE0EEENS1_30default_config_static_selectorELNS0_4arch9wavefront6targetE1EEEvT1_
		.amdhsa_group_segment_fixed_size 0
		.amdhsa_private_segment_fixed_size 0
		.amdhsa_kernarg_size 136
		.amdhsa_user_sgpr_count 6
		.amdhsa_user_sgpr_private_segment_buffer 1
		.amdhsa_user_sgpr_dispatch_ptr 0
		.amdhsa_user_sgpr_queue_ptr 0
		.amdhsa_user_sgpr_kernarg_segment_ptr 1
		.amdhsa_user_sgpr_dispatch_id 0
		.amdhsa_user_sgpr_flat_scratch_init 0
		.amdhsa_user_sgpr_kernarg_preload_length 0
		.amdhsa_user_sgpr_kernarg_preload_offset 0
		.amdhsa_user_sgpr_private_segment_size 0
		.amdhsa_uses_dynamic_stack 0
		.amdhsa_system_sgpr_private_segment_wavefront_offset 0
		.amdhsa_system_sgpr_workgroup_id_x 1
		.amdhsa_system_sgpr_workgroup_id_y 0
		.amdhsa_system_sgpr_workgroup_id_z 0
		.amdhsa_system_sgpr_workgroup_info 0
		.amdhsa_system_vgpr_workitem_id 0
		.amdhsa_next_free_vgpr 1
		.amdhsa_next_free_sgpr 0
		.amdhsa_accum_offset 4
		.amdhsa_reserve_vcc 0
		.amdhsa_reserve_flat_scratch 0
		.amdhsa_float_round_mode_32 0
		.amdhsa_float_round_mode_16_64 0
		.amdhsa_float_denorm_mode_32 3
		.amdhsa_float_denorm_mode_16_64 3
		.amdhsa_dx10_clamp 1
		.amdhsa_ieee_mode 1
		.amdhsa_fp16_overflow 0
		.amdhsa_tg_split 0
		.amdhsa_exception_fp_ieee_invalid_op 0
		.amdhsa_exception_fp_denorm_src 0
		.amdhsa_exception_fp_ieee_div_zero 0
		.amdhsa_exception_fp_ieee_overflow 0
		.amdhsa_exception_fp_ieee_underflow 0
		.amdhsa_exception_fp_ieee_inexact 0
		.amdhsa_exception_int_div_zero 0
	.end_amdhsa_kernel
	.section	.text._ZN7rocprim17ROCPRIM_400000_NS6detail17trampoline_kernelINS0_14default_configENS1_25partition_config_selectorILNS1_17partition_subalgoE0EtNS0_10empty_typeEbEEZZNS1_14partition_implILS5_0ELb0ES3_jN6thrust23THRUST_200600_302600_NS6detail15normal_iteratorINSA_10device_ptrItEEEEPS6_SG_NS0_5tupleIJSF_SF_EEENSH_IJSG_SG_EEES6_PlJ7is_evenItEEEE10hipError_tPvRmT3_T4_T5_T6_T7_T9_mT8_P12ihipStream_tbDpT10_ENKUlT_T0_E_clISt17integral_constantIbLb0EES15_IbLb1EEEEDaS11_S12_EUlS11_E_NS1_11comp_targetILNS1_3genE9ELNS1_11target_archE1100ELNS1_3gpuE3ELNS1_3repE0EEENS1_30default_config_static_selectorELNS0_4arch9wavefront6targetE1EEEvT1_,"axG",@progbits,_ZN7rocprim17ROCPRIM_400000_NS6detail17trampoline_kernelINS0_14default_configENS1_25partition_config_selectorILNS1_17partition_subalgoE0EtNS0_10empty_typeEbEEZZNS1_14partition_implILS5_0ELb0ES3_jN6thrust23THRUST_200600_302600_NS6detail15normal_iteratorINSA_10device_ptrItEEEEPS6_SG_NS0_5tupleIJSF_SF_EEENSH_IJSG_SG_EEES6_PlJ7is_evenItEEEE10hipError_tPvRmT3_T4_T5_T6_T7_T9_mT8_P12ihipStream_tbDpT10_ENKUlT_T0_E_clISt17integral_constantIbLb0EES15_IbLb1EEEEDaS11_S12_EUlS11_E_NS1_11comp_targetILNS1_3genE9ELNS1_11target_archE1100ELNS1_3gpuE3ELNS1_3repE0EEENS1_30default_config_static_selectorELNS0_4arch9wavefront6targetE1EEEvT1_,comdat
.Lfunc_end2200:
	.size	_ZN7rocprim17ROCPRIM_400000_NS6detail17trampoline_kernelINS0_14default_configENS1_25partition_config_selectorILNS1_17partition_subalgoE0EtNS0_10empty_typeEbEEZZNS1_14partition_implILS5_0ELb0ES3_jN6thrust23THRUST_200600_302600_NS6detail15normal_iteratorINSA_10device_ptrItEEEEPS6_SG_NS0_5tupleIJSF_SF_EEENSH_IJSG_SG_EEES6_PlJ7is_evenItEEEE10hipError_tPvRmT3_T4_T5_T6_T7_T9_mT8_P12ihipStream_tbDpT10_ENKUlT_T0_E_clISt17integral_constantIbLb0EES15_IbLb1EEEEDaS11_S12_EUlS11_E_NS1_11comp_targetILNS1_3genE9ELNS1_11target_archE1100ELNS1_3gpuE3ELNS1_3repE0EEENS1_30default_config_static_selectorELNS0_4arch9wavefront6targetE1EEEvT1_, .Lfunc_end2200-_ZN7rocprim17ROCPRIM_400000_NS6detail17trampoline_kernelINS0_14default_configENS1_25partition_config_selectorILNS1_17partition_subalgoE0EtNS0_10empty_typeEbEEZZNS1_14partition_implILS5_0ELb0ES3_jN6thrust23THRUST_200600_302600_NS6detail15normal_iteratorINSA_10device_ptrItEEEEPS6_SG_NS0_5tupleIJSF_SF_EEENSH_IJSG_SG_EEES6_PlJ7is_evenItEEEE10hipError_tPvRmT3_T4_T5_T6_T7_T9_mT8_P12ihipStream_tbDpT10_ENKUlT_T0_E_clISt17integral_constantIbLb0EES15_IbLb1EEEEDaS11_S12_EUlS11_E_NS1_11comp_targetILNS1_3genE9ELNS1_11target_archE1100ELNS1_3gpuE3ELNS1_3repE0EEENS1_30default_config_static_selectorELNS0_4arch9wavefront6targetE1EEEvT1_
                                        ; -- End function
	.section	.AMDGPU.csdata,"",@progbits
; Kernel info:
; codeLenInByte = 0
; NumSgprs: 4
; NumVgprs: 0
; NumAgprs: 0
; TotalNumVgprs: 0
; ScratchSize: 0
; MemoryBound: 0
; FloatMode: 240
; IeeeMode: 1
; LDSByteSize: 0 bytes/workgroup (compile time only)
; SGPRBlocks: 0
; VGPRBlocks: 0
; NumSGPRsForWavesPerEU: 4
; NumVGPRsForWavesPerEU: 1
; AccumOffset: 4
; Occupancy: 8
; WaveLimiterHint : 0
; COMPUTE_PGM_RSRC2:SCRATCH_EN: 0
; COMPUTE_PGM_RSRC2:USER_SGPR: 6
; COMPUTE_PGM_RSRC2:TRAP_HANDLER: 0
; COMPUTE_PGM_RSRC2:TGID_X_EN: 1
; COMPUTE_PGM_RSRC2:TGID_Y_EN: 0
; COMPUTE_PGM_RSRC2:TGID_Z_EN: 0
; COMPUTE_PGM_RSRC2:TIDIG_COMP_CNT: 0
; COMPUTE_PGM_RSRC3_GFX90A:ACCUM_OFFSET: 0
; COMPUTE_PGM_RSRC3_GFX90A:TG_SPLIT: 0
	.section	.text._ZN7rocprim17ROCPRIM_400000_NS6detail17trampoline_kernelINS0_14default_configENS1_25partition_config_selectorILNS1_17partition_subalgoE0EtNS0_10empty_typeEbEEZZNS1_14partition_implILS5_0ELb0ES3_jN6thrust23THRUST_200600_302600_NS6detail15normal_iteratorINSA_10device_ptrItEEEEPS6_SG_NS0_5tupleIJSF_SF_EEENSH_IJSG_SG_EEES6_PlJ7is_evenItEEEE10hipError_tPvRmT3_T4_T5_T6_T7_T9_mT8_P12ihipStream_tbDpT10_ENKUlT_T0_E_clISt17integral_constantIbLb0EES15_IbLb1EEEEDaS11_S12_EUlS11_E_NS1_11comp_targetILNS1_3genE8ELNS1_11target_archE1030ELNS1_3gpuE2ELNS1_3repE0EEENS1_30default_config_static_selectorELNS0_4arch9wavefront6targetE1EEEvT1_,"axG",@progbits,_ZN7rocprim17ROCPRIM_400000_NS6detail17trampoline_kernelINS0_14default_configENS1_25partition_config_selectorILNS1_17partition_subalgoE0EtNS0_10empty_typeEbEEZZNS1_14partition_implILS5_0ELb0ES3_jN6thrust23THRUST_200600_302600_NS6detail15normal_iteratorINSA_10device_ptrItEEEEPS6_SG_NS0_5tupleIJSF_SF_EEENSH_IJSG_SG_EEES6_PlJ7is_evenItEEEE10hipError_tPvRmT3_T4_T5_T6_T7_T9_mT8_P12ihipStream_tbDpT10_ENKUlT_T0_E_clISt17integral_constantIbLb0EES15_IbLb1EEEEDaS11_S12_EUlS11_E_NS1_11comp_targetILNS1_3genE8ELNS1_11target_archE1030ELNS1_3gpuE2ELNS1_3repE0EEENS1_30default_config_static_selectorELNS0_4arch9wavefront6targetE1EEEvT1_,comdat
	.protected	_ZN7rocprim17ROCPRIM_400000_NS6detail17trampoline_kernelINS0_14default_configENS1_25partition_config_selectorILNS1_17partition_subalgoE0EtNS0_10empty_typeEbEEZZNS1_14partition_implILS5_0ELb0ES3_jN6thrust23THRUST_200600_302600_NS6detail15normal_iteratorINSA_10device_ptrItEEEEPS6_SG_NS0_5tupleIJSF_SF_EEENSH_IJSG_SG_EEES6_PlJ7is_evenItEEEE10hipError_tPvRmT3_T4_T5_T6_T7_T9_mT8_P12ihipStream_tbDpT10_ENKUlT_T0_E_clISt17integral_constantIbLb0EES15_IbLb1EEEEDaS11_S12_EUlS11_E_NS1_11comp_targetILNS1_3genE8ELNS1_11target_archE1030ELNS1_3gpuE2ELNS1_3repE0EEENS1_30default_config_static_selectorELNS0_4arch9wavefront6targetE1EEEvT1_ ; -- Begin function _ZN7rocprim17ROCPRIM_400000_NS6detail17trampoline_kernelINS0_14default_configENS1_25partition_config_selectorILNS1_17partition_subalgoE0EtNS0_10empty_typeEbEEZZNS1_14partition_implILS5_0ELb0ES3_jN6thrust23THRUST_200600_302600_NS6detail15normal_iteratorINSA_10device_ptrItEEEEPS6_SG_NS0_5tupleIJSF_SF_EEENSH_IJSG_SG_EEES6_PlJ7is_evenItEEEE10hipError_tPvRmT3_T4_T5_T6_T7_T9_mT8_P12ihipStream_tbDpT10_ENKUlT_T0_E_clISt17integral_constantIbLb0EES15_IbLb1EEEEDaS11_S12_EUlS11_E_NS1_11comp_targetILNS1_3genE8ELNS1_11target_archE1030ELNS1_3gpuE2ELNS1_3repE0EEENS1_30default_config_static_selectorELNS0_4arch9wavefront6targetE1EEEvT1_
	.globl	_ZN7rocprim17ROCPRIM_400000_NS6detail17trampoline_kernelINS0_14default_configENS1_25partition_config_selectorILNS1_17partition_subalgoE0EtNS0_10empty_typeEbEEZZNS1_14partition_implILS5_0ELb0ES3_jN6thrust23THRUST_200600_302600_NS6detail15normal_iteratorINSA_10device_ptrItEEEEPS6_SG_NS0_5tupleIJSF_SF_EEENSH_IJSG_SG_EEES6_PlJ7is_evenItEEEE10hipError_tPvRmT3_T4_T5_T6_T7_T9_mT8_P12ihipStream_tbDpT10_ENKUlT_T0_E_clISt17integral_constantIbLb0EES15_IbLb1EEEEDaS11_S12_EUlS11_E_NS1_11comp_targetILNS1_3genE8ELNS1_11target_archE1030ELNS1_3gpuE2ELNS1_3repE0EEENS1_30default_config_static_selectorELNS0_4arch9wavefront6targetE1EEEvT1_
	.p2align	8
	.type	_ZN7rocprim17ROCPRIM_400000_NS6detail17trampoline_kernelINS0_14default_configENS1_25partition_config_selectorILNS1_17partition_subalgoE0EtNS0_10empty_typeEbEEZZNS1_14partition_implILS5_0ELb0ES3_jN6thrust23THRUST_200600_302600_NS6detail15normal_iteratorINSA_10device_ptrItEEEEPS6_SG_NS0_5tupleIJSF_SF_EEENSH_IJSG_SG_EEES6_PlJ7is_evenItEEEE10hipError_tPvRmT3_T4_T5_T6_T7_T9_mT8_P12ihipStream_tbDpT10_ENKUlT_T0_E_clISt17integral_constantIbLb0EES15_IbLb1EEEEDaS11_S12_EUlS11_E_NS1_11comp_targetILNS1_3genE8ELNS1_11target_archE1030ELNS1_3gpuE2ELNS1_3repE0EEENS1_30default_config_static_selectorELNS0_4arch9wavefront6targetE1EEEvT1_,@function
_ZN7rocprim17ROCPRIM_400000_NS6detail17trampoline_kernelINS0_14default_configENS1_25partition_config_selectorILNS1_17partition_subalgoE0EtNS0_10empty_typeEbEEZZNS1_14partition_implILS5_0ELb0ES3_jN6thrust23THRUST_200600_302600_NS6detail15normal_iteratorINSA_10device_ptrItEEEEPS6_SG_NS0_5tupleIJSF_SF_EEENSH_IJSG_SG_EEES6_PlJ7is_evenItEEEE10hipError_tPvRmT3_T4_T5_T6_T7_T9_mT8_P12ihipStream_tbDpT10_ENKUlT_T0_E_clISt17integral_constantIbLb0EES15_IbLb1EEEEDaS11_S12_EUlS11_E_NS1_11comp_targetILNS1_3genE8ELNS1_11target_archE1030ELNS1_3gpuE2ELNS1_3repE0EEENS1_30default_config_static_selectorELNS0_4arch9wavefront6targetE1EEEvT1_: ; @_ZN7rocprim17ROCPRIM_400000_NS6detail17trampoline_kernelINS0_14default_configENS1_25partition_config_selectorILNS1_17partition_subalgoE0EtNS0_10empty_typeEbEEZZNS1_14partition_implILS5_0ELb0ES3_jN6thrust23THRUST_200600_302600_NS6detail15normal_iteratorINSA_10device_ptrItEEEEPS6_SG_NS0_5tupleIJSF_SF_EEENSH_IJSG_SG_EEES6_PlJ7is_evenItEEEE10hipError_tPvRmT3_T4_T5_T6_T7_T9_mT8_P12ihipStream_tbDpT10_ENKUlT_T0_E_clISt17integral_constantIbLb0EES15_IbLb1EEEEDaS11_S12_EUlS11_E_NS1_11comp_targetILNS1_3genE8ELNS1_11target_archE1030ELNS1_3gpuE2ELNS1_3repE0EEENS1_30default_config_static_selectorELNS0_4arch9wavefront6targetE1EEEvT1_
; %bb.0:
	.section	.rodata,"a",@progbits
	.p2align	6, 0x0
	.amdhsa_kernel _ZN7rocprim17ROCPRIM_400000_NS6detail17trampoline_kernelINS0_14default_configENS1_25partition_config_selectorILNS1_17partition_subalgoE0EtNS0_10empty_typeEbEEZZNS1_14partition_implILS5_0ELb0ES3_jN6thrust23THRUST_200600_302600_NS6detail15normal_iteratorINSA_10device_ptrItEEEEPS6_SG_NS0_5tupleIJSF_SF_EEENSH_IJSG_SG_EEES6_PlJ7is_evenItEEEE10hipError_tPvRmT3_T4_T5_T6_T7_T9_mT8_P12ihipStream_tbDpT10_ENKUlT_T0_E_clISt17integral_constantIbLb0EES15_IbLb1EEEEDaS11_S12_EUlS11_E_NS1_11comp_targetILNS1_3genE8ELNS1_11target_archE1030ELNS1_3gpuE2ELNS1_3repE0EEENS1_30default_config_static_selectorELNS0_4arch9wavefront6targetE1EEEvT1_
		.amdhsa_group_segment_fixed_size 0
		.amdhsa_private_segment_fixed_size 0
		.amdhsa_kernarg_size 136
		.amdhsa_user_sgpr_count 6
		.amdhsa_user_sgpr_private_segment_buffer 1
		.amdhsa_user_sgpr_dispatch_ptr 0
		.amdhsa_user_sgpr_queue_ptr 0
		.amdhsa_user_sgpr_kernarg_segment_ptr 1
		.amdhsa_user_sgpr_dispatch_id 0
		.amdhsa_user_sgpr_flat_scratch_init 0
		.amdhsa_user_sgpr_kernarg_preload_length 0
		.amdhsa_user_sgpr_kernarg_preload_offset 0
		.amdhsa_user_sgpr_private_segment_size 0
		.amdhsa_uses_dynamic_stack 0
		.amdhsa_system_sgpr_private_segment_wavefront_offset 0
		.amdhsa_system_sgpr_workgroup_id_x 1
		.amdhsa_system_sgpr_workgroup_id_y 0
		.amdhsa_system_sgpr_workgroup_id_z 0
		.amdhsa_system_sgpr_workgroup_info 0
		.amdhsa_system_vgpr_workitem_id 0
		.amdhsa_next_free_vgpr 1
		.amdhsa_next_free_sgpr 0
		.amdhsa_accum_offset 4
		.amdhsa_reserve_vcc 0
		.amdhsa_reserve_flat_scratch 0
		.amdhsa_float_round_mode_32 0
		.amdhsa_float_round_mode_16_64 0
		.amdhsa_float_denorm_mode_32 3
		.amdhsa_float_denorm_mode_16_64 3
		.amdhsa_dx10_clamp 1
		.amdhsa_ieee_mode 1
		.amdhsa_fp16_overflow 0
		.amdhsa_tg_split 0
		.amdhsa_exception_fp_ieee_invalid_op 0
		.amdhsa_exception_fp_denorm_src 0
		.amdhsa_exception_fp_ieee_div_zero 0
		.amdhsa_exception_fp_ieee_overflow 0
		.amdhsa_exception_fp_ieee_underflow 0
		.amdhsa_exception_fp_ieee_inexact 0
		.amdhsa_exception_int_div_zero 0
	.end_amdhsa_kernel
	.section	.text._ZN7rocprim17ROCPRIM_400000_NS6detail17trampoline_kernelINS0_14default_configENS1_25partition_config_selectorILNS1_17partition_subalgoE0EtNS0_10empty_typeEbEEZZNS1_14partition_implILS5_0ELb0ES3_jN6thrust23THRUST_200600_302600_NS6detail15normal_iteratorINSA_10device_ptrItEEEEPS6_SG_NS0_5tupleIJSF_SF_EEENSH_IJSG_SG_EEES6_PlJ7is_evenItEEEE10hipError_tPvRmT3_T4_T5_T6_T7_T9_mT8_P12ihipStream_tbDpT10_ENKUlT_T0_E_clISt17integral_constantIbLb0EES15_IbLb1EEEEDaS11_S12_EUlS11_E_NS1_11comp_targetILNS1_3genE8ELNS1_11target_archE1030ELNS1_3gpuE2ELNS1_3repE0EEENS1_30default_config_static_selectorELNS0_4arch9wavefront6targetE1EEEvT1_,"axG",@progbits,_ZN7rocprim17ROCPRIM_400000_NS6detail17trampoline_kernelINS0_14default_configENS1_25partition_config_selectorILNS1_17partition_subalgoE0EtNS0_10empty_typeEbEEZZNS1_14partition_implILS5_0ELb0ES3_jN6thrust23THRUST_200600_302600_NS6detail15normal_iteratorINSA_10device_ptrItEEEEPS6_SG_NS0_5tupleIJSF_SF_EEENSH_IJSG_SG_EEES6_PlJ7is_evenItEEEE10hipError_tPvRmT3_T4_T5_T6_T7_T9_mT8_P12ihipStream_tbDpT10_ENKUlT_T0_E_clISt17integral_constantIbLb0EES15_IbLb1EEEEDaS11_S12_EUlS11_E_NS1_11comp_targetILNS1_3genE8ELNS1_11target_archE1030ELNS1_3gpuE2ELNS1_3repE0EEENS1_30default_config_static_selectorELNS0_4arch9wavefront6targetE1EEEvT1_,comdat
.Lfunc_end2201:
	.size	_ZN7rocprim17ROCPRIM_400000_NS6detail17trampoline_kernelINS0_14default_configENS1_25partition_config_selectorILNS1_17partition_subalgoE0EtNS0_10empty_typeEbEEZZNS1_14partition_implILS5_0ELb0ES3_jN6thrust23THRUST_200600_302600_NS6detail15normal_iteratorINSA_10device_ptrItEEEEPS6_SG_NS0_5tupleIJSF_SF_EEENSH_IJSG_SG_EEES6_PlJ7is_evenItEEEE10hipError_tPvRmT3_T4_T5_T6_T7_T9_mT8_P12ihipStream_tbDpT10_ENKUlT_T0_E_clISt17integral_constantIbLb0EES15_IbLb1EEEEDaS11_S12_EUlS11_E_NS1_11comp_targetILNS1_3genE8ELNS1_11target_archE1030ELNS1_3gpuE2ELNS1_3repE0EEENS1_30default_config_static_selectorELNS0_4arch9wavefront6targetE1EEEvT1_, .Lfunc_end2201-_ZN7rocprim17ROCPRIM_400000_NS6detail17trampoline_kernelINS0_14default_configENS1_25partition_config_selectorILNS1_17partition_subalgoE0EtNS0_10empty_typeEbEEZZNS1_14partition_implILS5_0ELb0ES3_jN6thrust23THRUST_200600_302600_NS6detail15normal_iteratorINSA_10device_ptrItEEEEPS6_SG_NS0_5tupleIJSF_SF_EEENSH_IJSG_SG_EEES6_PlJ7is_evenItEEEE10hipError_tPvRmT3_T4_T5_T6_T7_T9_mT8_P12ihipStream_tbDpT10_ENKUlT_T0_E_clISt17integral_constantIbLb0EES15_IbLb1EEEEDaS11_S12_EUlS11_E_NS1_11comp_targetILNS1_3genE8ELNS1_11target_archE1030ELNS1_3gpuE2ELNS1_3repE0EEENS1_30default_config_static_selectorELNS0_4arch9wavefront6targetE1EEEvT1_
                                        ; -- End function
	.section	.AMDGPU.csdata,"",@progbits
; Kernel info:
; codeLenInByte = 0
; NumSgprs: 4
; NumVgprs: 0
; NumAgprs: 0
; TotalNumVgprs: 0
; ScratchSize: 0
; MemoryBound: 0
; FloatMode: 240
; IeeeMode: 1
; LDSByteSize: 0 bytes/workgroup (compile time only)
; SGPRBlocks: 0
; VGPRBlocks: 0
; NumSGPRsForWavesPerEU: 4
; NumVGPRsForWavesPerEU: 1
; AccumOffset: 4
; Occupancy: 8
; WaveLimiterHint : 0
; COMPUTE_PGM_RSRC2:SCRATCH_EN: 0
; COMPUTE_PGM_RSRC2:USER_SGPR: 6
; COMPUTE_PGM_RSRC2:TRAP_HANDLER: 0
; COMPUTE_PGM_RSRC2:TGID_X_EN: 1
; COMPUTE_PGM_RSRC2:TGID_Y_EN: 0
; COMPUTE_PGM_RSRC2:TGID_Z_EN: 0
; COMPUTE_PGM_RSRC2:TIDIG_COMP_CNT: 0
; COMPUTE_PGM_RSRC3_GFX90A:ACCUM_OFFSET: 0
; COMPUTE_PGM_RSRC3_GFX90A:TG_SPLIT: 0
	.section	.text._ZN6thrust23THRUST_200600_302600_NS11hip_rocprim14__parallel_for6kernelILj256ENS1_20__uninitialized_fill7functorINS0_10device_ptrIiEEiEEmLj1EEEvT0_T1_SA_,"axG",@progbits,_ZN6thrust23THRUST_200600_302600_NS11hip_rocprim14__parallel_for6kernelILj256ENS1_20__uninitialized_fill7functorINS0_10device_ptrIiEEiEEmLj1EEEvT0_T1_SA_,comdat
	.protected	_ZN6thrust23THRUST_200600_302600_NS11hip_rocprim14__parallel_for6kernelILj256ENS1_20__uninitialized_fill7functorINS0_10device_ptrIiEEiEEmLj1EEEvT0_T1_SA_ ; -- Begin function _ZN6thrust23THRUST_200600_302600_NS11hip_rocprim14__parallel_for6kernelILj256ENS1_20__uninitialized_fill7functorINS0_10device_ptrIiEEiEEmLj1EEEvT0_T1_SA_
	.globl	_ZN6thrust23THRUST_200600_302600_NS11hip_rocprim14__parallel_for6kernelILj256ENS1_20__uninitialized_fill7functorINS0_10device_ptrIiEEiEEmLj1EEEvT0_T1_SA_
	.p2align	8
	.type	_ZN6thrust23THRUST_200600_302600_NS11hip_rocprim14__parallel_for6kernelILj256ENS1_20__uninitialized_fill7functorINS0_10device_ptrIiEEiEEmLj1EEEvT0_T1_SA_,@function
_ZN6thrust23THRUST_200600_302600_NS11hip_rocprim14__parallel_for6kernelILj256ENS1_20__uninitialized_fill7functorINS0_10device_ptrIiEEiEEmLj1EEEvT0_T1_SA_: ; @_ZN6thrust23THRUST_200600_302600_NS11hip_rocprim14__parallel_for6kernelILj256ENS1_20__uninitialized_fill7functorINS0_10device_ptrIiEEiEEmLj1EEEvT0_T1_SA_
; %bb.0:
	s_load_dwordx4 s[8:11], s[4:5], 0x10
	s_lshl_b32 s0, s6, 8
	v_mov_b32_e32 v2, 0x100
	v_mov_b32_e32 v3, 0
	s_waitcnt lgkmcnt(0)
	s_add_u32 s0, s0, s10
	s_addc_u32 s1, 0, s11
	s_sub_u32 s2, s8, s0
	s_subb_u32 s3, s9, s1
	v_cmp_lt_u64_e32 vcc, s[2:3], v[2:3]
	s_cbranch_vccz .LBB2202_2
; %bb.1:
	v_cmp_gt_u32_e32 vcc, s2, v0
	s_and_b64 s[2:3], vcc, exec
	s_cbranch_execz .LBB2202_3
	s_branch .LBB2202_4
.LBB2202_2:
	s_mov_b64 s[2:3], 0
.LBB2202_3:
	s_or_b64 s[2:3], s[2:3], exec
.LBB2202_4:
	s_and_saveexec_b64 s[6:7], s[2:3]
	s_cbranch_execnz .LBB2202_6
; %bb.5:
	s_endpgm
.LBB2202_6:
	s_load_dwordx2 s[2:3], s[4:5], 0x0
	s_load_dword s6, s[4:5], 0x8
	s_lshl_b64 s[0:1], s[0:1], 2
	v_mov_b32_e32 v1, 0
	v_lshlrev_b64 v[0:1], 2, v[0:1]
	s_waitcnt lgkmcnt(0)
	s_add_u32 s0, s2, s0
	s_addc_u32 s1, s3, s1
	v_mov_b32_e32 v2, s1
	v_add_co_u32_e32 v0, vcc, s0, v0
	v_addc_co_u32_e32 v1, vcc, v2, v1, vcc
	v_mov_b32_e32 v2, s6
	flat_store_dword v[0:1], v2
	s_endpgm
	.section	.rodata,"a",@progbits
	.p2align	6, 0x0
	.amdhsa_kernel _ZN6thrust23THRUST_200600_302600_NS11hip_rocprim14__parallel_for6kernelILj256ENS1_20__uninitialized_fill7functorINS0_10device_ptrIiEEiEEmLj1EEEvT0_T1_SA_
		.amdhsa_group_segment_fixed_size 0
		.amdhsa_private_segment_fixed_size 0
		.amdhsa_kernarg_size 32
		.amdhsa_user_sgpr_count 6
		.amdhsa_user_sgpr_private_segment_buffer 1
		.amdhsa_user_sgpr_dispatch_ptr 0
		.amdhsa_user_sgpr_queue_ptr 0
		.amdhsa_user_sgpr_kernarg_segment_ptr 1
		.amdhsa_user_sgpr_dispatch_id 0
		.amdhsa_user_sgpr_flat_scratch_init 0
		.amdhsa_user_sgpr_kernarg_preload_length 0
		.amdhsa_user_sgpr_kernarg_preload_offset 0
		.amdhsa_user_sgpr_private_segment_size 0
		.amdhsa_uses_dynamic_stack 0
		.amdhsa_system_sgpr_private_segment_wavefront_offset 0
		.amdhsa_system_sgpr_workgroup_id_x 1
		.amdhsa_system_sgpr_workgroup_id_y 0
		.amdhsa_system_sgpr_workgroup_id_z 0
		.amdhsa_system_sgpr_workgroup_info 0
		.amdhsa_system_vgpr_workitem_id 0
		.amdhsa_next_free_vgpr 4
		.amdhsa_next_free_sgpr 12
		.amdhsa_accum_offset 4
		.amdhsa_reserve_vcc 1
		.amdhsa_reserve_flat_scratch 0
		.amdhsa_float_round_mode_32 0
		.amdhsa_float_round_mode_16_64 0
		.amdhsa_float_denorm_mode_32 3
		.amdhsa_float_denorm_mode_16_64 3
		.amdhsa_dx10_clamp 1
		.amdhsa_ieee_mode 1
		.amdhsa_fp16_overflow 0
		.amdhsa_tg_split 0
		.amdhsa_exception_fp_ieee_invalid_op 0
		.amdhsa_exception_fp_denorm_src 0
		.amdhsa_exception_fp_ieee_div_zero 0
		.amdhsa_exception_fp_ieee_overflow 0
		.amdhsa_exception_fp_ieee_underflow 0
		.amdhsa_exception_fp_ieee_inexact 0
		.amdhsa_exception_int_div_zero 0
	.end_amdhsa_kernel
	.section	.text._ZN6thrust23THRUST_200600_302600_NS11hip_rocprim14__parallel_for6kernelILj256ENS1_20__uninitialized_fill7functorINS0_10device_ptrIiEEiEEmLj1EEEvT0_T1_SA_,"axG",@progbits,_ZN6thrust23THRUST_200600_302600_NS11hip_rocprim14__parallel_for6kernelILj256ENS1_20__uninitialized_fill7functorINS0_10device_ptrIiEEiEEmLj1EEEvT0_T1_SA_,comdat
.Lfunc_end2202:
	.size	_ZN6thrust23THRUST_200600_302600_NS11hip_rocprim14__parallel_for6kernelILj256ENS1_20__uninitialized_fill7functorINS0_10device_ptrIiEEiEEmLj1EEEvT0_T1_SA_, .Lfunc_end2202-_ZN6thrust23THRUST_200600_302600_NS11hip_rocprim14__parallel_for6kernelILj256ENS1_20__uninitialized_fill7functorINS0_10device_ptrIiEEiEEmLj1EEEvT0_T1_SA_
                                        ; -- End function
	.section	.AMDGPU.csdata,"",@progbits
; Kernel info:
; codeLenInByte = 160
; NumSgprs: 16
; NumVgprs: 4
; NumAgprs: 0
; TotalNumVgprs: 4
; ScratchSize: 0
; MemoryBound: 0
; FloatMode: 240
; IeeeMode: 1
; LDSByteSize: 0 bytes/workgroup (compile time only)
; SGPRBlocks: 1
; VGPRBlocks: 0
; NumSGPRsForWavesPerEU: 16
; NumVGPRsForWavesPerEU: 4
; AccumOffset: 4
; Occupancy: 8
; WaveLimiterHint : 0
; COMPUTE_PGM_RSRC2:SCRATCH_EN: 0
; COMPUTE_PGM_RSRC2:USER_SGPR: 6
; COMPUTE_PGM_RSRC2:TRAP_HANDLER: 0
; COMPUTE_PGM_RSRC2:TGID_X_EN: 1
; COMPUTE_PGM_RSRC2:TGID_Y_EN: 0
; COMPUTE_PGM_RSRC2:TGID_Z_EN: 0
; COMPUTE_PGM_RSRC2:TIDIG_COMP_CNT: 0
; COMPUTE_PGM_RSRC3_GFX90A:ACCUM_OFFSET: 0
; COMPUTE_PGM_RSRC3_GFX90A:TG_SPLIT: 0
	.section	.text._ZN7rocprim17ROCPRIM_400000_NS6detail17trampoline_kernelINS0_14default_configENS1_25partition_config_selectorILNS1_17partition_subalgoE1EyNS0_10empty_typeEbEEZZNS1_14partition_implILS5_1ELb0ES3_jN6thrust23THRUST_200600_302600_NS6detail15normal_iteratorINSA_10device_ptrIyEEEEPS6_NSA_18transform_iteratorI7is_evenIyESF_NSA_11use_defaultESK_EENS0_5tupleIJSF_SF_EEENSM_IJSG_SG_EEES6_PlJS6_EEE10hipError_tPvRmT3_T4_T5_T6_T7_T9_mT8_P12ihipStream_tbDpT10_ENKUlT_T0_E_clISt17integral_constantIbLb0EES19_EEDaS14_S15_EUlS14_E_NS1_11comp_targetILNS1_3genE0ELNS1_11target_archE4294967295ELNS1_3gpuE0ELNS1_3repE0EEENS1_30default_config_static_selectorELNS0_4arch9wavefront6targetE1EEEvT1_,"axG",@progbits,_ZN7rocprim17ROCPRIM_400000_NS6detail17trampoline_kernelINS0_14default_configENS1_25partition_config_selectorILNS1_17partition_subalgoE1EyNS0_10empty_typeEbEEZZNS1_14partition_implILS5_1ELb0ES3_jN6thrust23THRUST_200600_302600_NS6detail15normal_iteratorINSA_10device_ptrIyEEEEPS6_NSA_18transform_iteratorI7is_evenIyESF_NSA_11use_defaultESK_EENS0_5tupleIJSF_SF_EEENSM_IJSG_SG_EEES6_PlJS6_EEE10hipError_tPvRmT3_T4_T5_T6_T7_T9_mT8_P12ihipStream_tbDpT10_ENKUlT_T0_E_clISt17integral_constantIbLb0EES19_EEDaS14_S15_EUlS14_E_NS1_11comp_targetILNS1_3genE0ELNS1_11target_archE4294967295ELNS1_3gpuE0ELNS1_3repE0EEENS1_30default_config_static_selectorELNS0_4arch9wavefront6targetE1EEEvT1_,comdat
	.protected	_ZN7rocprim17ROCPRIM_400000_NS6detail17trampoline_kernelINS0_14default_configENS1_25partition_config_selectorILNS1_17partition_subalgoE1EyNS0_10empty_typeEbEEZZNS1_14partition_implILS5_1ELb0ES3_jN6thrust23THRUST_200600_302600_NS6detail15normal_iteratorINSA_10device_ptrIyEEEEPS6_NSA_18transform_iteratorI7is_evenIyESF_NSA_11use_defaultESK_EENS0_5tupleIJSF_SF_EEENSM_IJSG_SG_EEES6_PlJS6_EEE10hipError_tPvRmT3_T4_T5_T6_T7_T9_mT8_P12ihipStream_tbDpT10_ENKUlT_T0_E_clISt17integral_constantIbLb0EES19_EEDaS14_S15_EUlS14_E_NS1_11comp_targetILNS1_3genE0ELNS1_11target_archE4294967295ELNS1_3gpuE0ELNS1_3repE0EEENS1_30default_config_static_selectorELNS0_4arch9wavefront6targetE1EEEvT1_ ; -- Begin function _ZN7rocprim17ROCPRIM_400000_NS6detail17trampoline_kernelINS0_14default_configENS1_25partition_config_selectorILNS1_17partition_subalgoE1EyNS0_10empty_typeEbEEZZNS1_14partition_implILS5_1ELb0ES3_jN6thrust23THRUST_200600_302600_NS6detail15normal_iteratorINSA_10device_ptrIyEEEEPS6_NSA_18transform_iteratorI7is_evenIyESF_NSA_11use_defaultESK_EENS0_5tupleIJSF_SF_EEENSM_IJSG_SG_EEES6_PlJS6_EEE10hipError_tPvRmT3_T4_T5_T6_T7_T9_mT8_P12ihipStream_tbDpT10_ENKUlT_T0_E_clISt17integral_constantIbLb0EES19_EEDaS14_S15_EUlS14_E_NS1_11comp_targetILNS1_3genE0ELNS1_11target_archE4294967295ELNS1_3gpuE0ELNS1_3repE0EEENS1_30default_config_static_selectorELNS0_4arch9wavefront6targetE1EEEvT1_
	.globl	_ZN7rocprim17ROCPRIM_400000_NS6detail17trampoline_kernelINS0_14default_configENS1_25partition_config_selectorILNS1_17partition_subalgoE1EyNS0_10empty_typeEbEEZZNS1_14partition_implILS5_1ELb0ES3_jN6thrust23THRUST_200600_302600_NS6detail15normal_iteratorINSA_10device_ptrIyEEEEPS6_NSA_18transform_iteratorI7is_evenIyESF_NSA_11use_defaultESK_EENS0_5tupleIJSF_SF_EEENSM_IJSG_SG_EEES6_PlJS6_EEE10hipError_tPvRmT3_T4_T5_T6_T7_T9_mT8_P12ihipStream_tbDpT10_ENKUlT_T0_E_clISt17integral_constantIbLb0EES19_EEDaS14_S15_EUlS14_E_NS1_11comp_targetILNS1_3genE0ELNS1_11target_archE4294967295ELNS1_3gpuE0ELNS1_3repE0EEENS1_30default_config_static_selectorELNS0_4arch9wavefront6targetE1EEEvT1_
	.p2align	8
	.type	_ZN7rocprim17ROCPRIM_400000_NS6detail17trampoline_kernelINS0_14default_configENS1_25partition_config_selectorILNS1_17partition_subalgoE1EyNS0_10empty_typeEbEEZZNS1_14partition_implILS5_1ELb0ES3_jN6thrust23THRUST_200600_302600_NS6detail15normal_iteratorINSA_10device_ptrIyEEEEPS6_NSA_18transform_iteratorI7is_evenIyESF_NSA_11use_defaultESK_EENS0_5tupleIJSF_SF_EEENSM_IJSG_SG_EEES6_PlJS6_EEE10hipError_tPvRmT3_T4_T5_T6_T7_T9_mT8_P12ihipStream_tbDpT10_ENKUlT_T0_E_clISt17integral_constantIbLb0EES19_EEDaS14_S15_EUlS14_E_NS1_11comp_targetILNS1_3genE0ELNS1_11target_archE4294967295ELNS1_3gpuE0ELNS1_3repE0EEENS1_30default_config_static_selectorELNS0_4arch9wavefront6targetE1EEEvT1_,@function
_ZN7rocprim17ROCPRIM_400000_NS6detail17trampoline_kernelINS0_14default_configENS1_25partition_config_selectorILNS1_17partition_subalgoE1EyNS0_10empty_typeEbEEZZNS1_14partition_implILS5_1ELb0ES3_jN6thrust23THRUST_200600_302600_NS6detail15normal_iteratorINSA_10device_ptrIyEEEEPS6_NSA_18transform_iteratorI7is_evenIyESF_NSA_11use_defaultESK_EENS0_5tupleIJSF_SF_EEENSM_IJSG_SG_EEES6_PlJS6_EEE10hipError_tPvRmT3_T4_T5_T6_T7_T9_mT8_P12ihipStream_tbDpT10_ENKUlT_T0_E_clISt17integral_constantIbLb0EES19_EEDaS14_S15_EUlS14_E_NS1_11comp_targetILNS1_3genE0ELNS1_11target_archE4294967295ELNS1_3gpuE0ELNS1_3repE0EEENS1_30default_config_static_selectorELNS0_4arch9wavefront6targetE1EEEvT1_: ; @_ZN7rocprim17ROCPRIM_400000_NS6detail17trampoline_kernelINS0_14default_configENS1_25partition_config_selectorILNS1_17partition_subalgoE1EyNS0_10empty_typeEbEEZZNS1_14partition_implILS5_1ELb0ES3_jN6thrust23THRUST_200600_302600_NS6detail15normal_iteratorINSA_10device_ptrIyEEEEPS6_NSA_18transform_iteratorI7is_evenIyESF_NSA_11use_defaultESK_EENS0_5tupleIJSF_SF_EEENSM_IJSG_SG_EEES6_PlJS6_EEE10hipError_tPvRmT3_T4_T5_T6_T7_T9_mT8_P12ihipStream_tbDpT10_ENKUlT_T0_E_clISt17integral_constantIbLb0EES19_EEDaS14_S15_EUlS14_E_NS1_11comp_targetILNS1_3genE0ELNS1_11target_archE4294967295ELNS1_3gpuE0ELNS1_3repE0EEENS1_30default_config_static_selectorELNS0_4arch9wavefront6targetE1EEEvT1_
; %bb.0:
	.section	.rodata,"a",@progbits
	.p2align	6, 0x0
	.amdhsa_kernel _ZN7rocprim17ROCPRIM_400000_NS6detail17trampoline_kernelINS0_14default_configENS1_25partition_config_selectorILNS1_17partition_subalgoE1EyNS0_10empty_typeEbEEZZNS1_14partition_implILS5_1ELb0ES3_jN6thrust23THRUST_200600_302600_NS6detail15normal_iteratorINSA_10device_ptrIyEEEEPS6_NSA_18transform_iteratorI7is_evenIyESF_NSA_11use_defaultESK_EENS0_5tupleIJSF_SF_EEENSM_IJSG_SG_EEES6_PlJS6_EEE10hipError_tPvRmT3_T4_T5_T6_T7_T9_mT8_P12ihipStream_tbDpT10_ENKUlT_T0_E_clISt17integral_constantIbLb0EES19_EEDaS14_S15_EUlS14_E_NS1_11comp_targetILNS1_3genE0ELNS1_11target_archE4294967295ELNS1_3gpuE0ELNS1_3repE0EEENS1_30default_config_static_selectorELNS0_4arch9wavefront6targetE1EEEvT1_
		.amdhsa_group_segment_fixed_size 0
		.amdhsa_private_segment_fixed_size 0
		.amdhsa_kernarg_size 128
		.amdhsa_user_sgpr_count 6
		.amdhsa_user_sgpr_private_segment_buffer 1
		.amdhsa_user_sgpr_dispatch_ptr 0
		.amdhsa_user_sgpr_queue_ptr 0
		.amdhsa_user_sgpr_kernarg_segment_ptr 1
		.amdhsa_user_sgpr_dispatch_id 0
		.amdhsa_user_sgpr_flat_scratch_init 0
		.amdhsa_user_sgpr_kernarg_preload_length 0
		.amdhsa_user_sgpr_kernarg_preload_offset 0
		.amdhsa_user_sgpr_private_segment_size 0
		.amdhsa_uses_dynamic_stack 0
		.amdhsa_system_sgpr_private_segment_wavefront_offset 0
		.amdhsa_system_sgpr_workgroup_id_x 1
		.amdhsa_system_sgpr_workgroup_id_y 0
		.amdhsa_system_sgpr_workgroup_id_z 0
		.amdhsa_system_sgpr_workgroup_info 0
		.amdhsa_system_vgpr_workitem_id 0
		.amdhsa_next_free_vgpr 1
		.amdhsa_next_free_sgpr 0
		.amdhsa_accum_offset 4
		.amdhsa_reserve_vcc 0
		.amdhsa_reserve_flat_scratch 0
		.amdhsa_float_round_mode_32 0
		.amdhsa_float_round_mode_16_64 0
		.amdhsa_float_denorm_mode_32 3
		.amdhsa_float_denorm_mode_16_64 3
		.amdhsa_dx10_clamp 1
		.amdhsa_ieee_mode 1
		.amdhsa_fp16_overflow 0
		.amdhsa_tg_split 0
		.amdhsa_exception_fp_ieee_invalid_op 0
		.amdhsa_exception_fp_denorm_src 0
		.amdhsa_exception_fp_ieee_div_zero 0
		.amdhsa_exception_fp_ieee_overflow 0
		.amdhsa_exception_fp_ieee_underflow 0
		.amdhsa_exception_fp_ieee_inexact 0
		.amdhsa_exception_int_div_zero 0
	.end_amdhsa_kernel
	.section	.text._ZN7rocprim17ROCPRIM_400000_NS6detail17trampoline_kernelINS0_14default_configENS1_25partition_config_selectorILNS1_17partition_subalgoE1EyNS0_10empty_typeEbEEZZNS1_14partition_implILS5_1ELb0ES3_jN6thrust23THRUST_200600_302600_NS6detail15normal_iteratorINSA_10device_ptrIyEEEEPS6_NSA_18transform_iteratorI7is_evenIyESF_NSA_11use_defaultESK_EENS0_5tupleIJSF_SF_EEENSM_IJSG_SG_EEES6_PlJS6_EEE10hipError_tPvRmT3_T4_T5_T6_T7_T9_mT8_P12ihipStream_tbDpT10_ENKUlT_T0_E_clISt17integral_constantIbLb0EES19_EEDaS14_S15_EUlS14_E_NS1_11comp_targetILNS1_3genE0ELNS1_11target_archE4294967295ELNS1_3gpuE0ELNS1_3repE0EEENS1_30default_config_static_selectorELNS0_4arch9wavefront6targetE1EEEvT1_,"axG",@progbits,_ZN7rocprim17ROCPRIM_400000_NS6detail17trampoline_kernelINS0_14default_configENS1_25partition_config_selectorILNS1_17partition_subalgoE1EyNS0_10empty_typeEbEEZZNS1_14partition_implILS5_1ELb0ES3_jN6thrust23THRUST_200600_302600_NS6detail15normal_iteratorINSA_10device_ptrIyEEEEPS6_NSA_18transform_iteratorI7is_evenIyESF_NSA_11use_defaultESK_EENS0_5tupleIJSF_SF_EEENSM_IJSG_SG_EEES6_PlJS6_EEE10hipError_tPvRmT3_T4_T5_T6_T7_T9_mT8_P12ihipStream_tbDpT10_ENKUlT_T0_E_clISt17integral_constantIbLb0EES19_EEDaS14_S15_EUlS14_E_NS1_11comp_targetILNS1_3genE0ELNS1_11target_archE4294967295ELNS1_3gpuE0ELNS1_3repE0EEENS1_30default_config_static_selectorELNS0_4arch9wavefront6targetE1EEEvT1_,comdat
.Lfunc_end2203:
	.size	_ZN7rocprim17ROCPRIM_400000_NS6detail17trampoline_kernelINS0_14default_configENS1_25partition_config_selectorILNS1_17partition_subalgoE1EyNS0_10empty_typeEbEEZZNS1_14partition_implILS5_1ELb0ES3_jN6thrust23THRUST_200600_302600_NS6detail15normal_iteratorINSA_10device_ptrIyEEEEPS6_NSA_18transform_iteratorI7is_evenIyESF_NSA_11use_defaultESK_EENS0_5tupleIJSF_SF_EEENSM_IJSG_SG_EEES6_PlJS6_EEE10hipError_tPvRmT3_T4_T5_T6_T7_T9_mT8_P12ihipStream_tbDpT10_ENKUlT_T0_E_clISt17integral_constantIbLb0EES19_EEDaS14_S15_EUlS14_E_NS1_11comp_targetILNS1_3genE0ELNS1_11target_archE4294967295ELNS1_3gpuE0ELNS1_3repE0EEENS1_30default_config_static_selectorELNS0_4arch9wavefront6targetE1EEEvT1_, .Lfunc_end2203-_ZN7rocprim17ROCPRIM_400000_NS6detail17trampoline_kernelINS0_14default_configENS1_25partition_config_selectorILNS1_17partition_subalgoE1EyNS0_10empty_typeEbEEZZNS1_14partition_implILS5_1ELb0ES3_jN6thrust23THRUST_200600_302600_NS6detail15normal_iteratorINSA_10device_ptrIyEEEEPS6_NSA_18transform_iteratorI7is_evenIyESF_NSA_11use_defaultESK_EENS0_5tupleIJSF_SF_EEENSM_IJSG_SG_EEES6_PlJS6_EEE10hipError_tPvRmT3_T4_T5_T6_T7_T9_mT8_P12ihipStream_tbDpT10_ENKUlT_T0_E_clISt17integral_constantIbLb0EES19_EEDaS14_S15_EUlS14_E_NS1_11comp_targetILNS1_3genE0ELNS1_11target_archE4294967295ELNS1_3gpuE0ELNS1_3repE0EEENS1_30default_config_static_selectorELNS0_4arch9wavefront6targetE1EEEvT1_
                                        ; -- End function
	.section	.AMDGPU.csdata,"",@progbits
; Kernel info:
; codeLenInByte = 0
; NumSgprs: 4
; NumVgprs: 0
; NumAgprs: 0
; TotalNumVgprs: 0
; ScratchSize: 0
; MemoryBound: 0
; FloatMode: 240
; IeeeMode: 1
; LDSByteSize: 0 bytes/workgroup (compile time only)
; SGPRBlocks: 0
; VGPRBlocks: 0
; NumSGPRsForWavesPerEU: 4
; NumVGPRsForWavesPerEU: 1
; AccumOffset: 4
; Occupancy: 8
; WaveLimiterHint : 0
; COMPUTE_PGM_RSRC2:SCRATCH_EN: 0
; COMPUTE_PGM_RSRC2:USER_SGPR: 6
; COMPUTE_PGM_RSRC2:TRAP_HANDLER: 0
; COMPUTE_PGM_RSRC2:TGID_X_EN: 1
; COMPUTE_PGM_RSRC2:TGID_Y_EN: 0
; COMPUTE_PGM_RSRC2:TGID_Z_EN: 0
; COMPUTE_PGM_RSRC2:TIDIG_COMP_CNT: 0
; COMPUTE_PGM_RSRC3_GFX90A:ACCUM_OFFSET: 0
; COMPUTE_PGM_RSRC3_GFX90A:TG_SPLIT: 0
	.section	.text._ZN7rocprim17ROCPRIM_400000_NS6detail17trampoline_kernelINS0_14default_configENS1_25partition_config_selectorILNS1_17partition_subalgoE1EyNS0_10empty_typeEbEEZZNS1_14partition_implILS5_1ELb0ES3_jN6thrust23THRUST_200600_302600_NS6detail15normal_iteratorINSA_10device_ptrIyEEEEPS6_NSA_18transform_iteratorI7is_evenIyESF_NSA_11use_defaultESK_EENS0_5tupleIJSF_SF_EEENSM_IJSG_SG_EEES6_PlJS6_EEE10hipError_tPvRmT3_T4_T5_T6_T7_T9_mT8_P12ihipStream_tbDpT10_ENKUlT_T0_E_clISt17integral_constantIbLb0EES19_EEDaS14_S15_EUlS14_E_NS1_11comp_targetILNS1_3genE5ELNS1_11target_archE942ELNS1_3gpuE9ELNS1_3repE0EEENS1_30default_config_static_selectorELNS0_4arch9wavefront6targetE1EEEvT1_,"axG",@progbits,_ZN7rocprim17ROCPRIM_400000_NS6detail17trampoline_kernelINS0_14default_configENS1_25partition_config_selectorILNS1_17partition_subalgoE1EyNS0_10empty_typeEbEEZZNS1_14partition_implILS5_1ELb0ES3_jN6thrust23THRUST_200600_302600_NS6detail15normal_iteratorINSA_10device_ptrIyEEEEPS6_NSA_18transform_iteratorI7is_evenIyESF_NSA_11use_defaultESK_EENS0_5tupleIJSF_SF_EEENSM_IJSG_SG_EEES6_PlJS6_EEE10hipError_tPvRmT3_T4_T5_T6_T7_T9_mT8_P12ihipStream_tbDpT10_ENKUlT_T0_E_clISt17integral_constantIbLb0EES19_EEDaS14_S15_EUlS14_E_NS1_11comp_targetILNS1_3genE5ELNS1_11target_archE942ELNS1_3gpuE9ELNS1_3repE0EEENS1_30default_config_static_selectorELNS0_4arch9wavefront6targetE1EEEvT1_,comdat
	.protected	_ZN7rocprim17ROCPRIM_400000_NS6detail17trampoline_kernelINS0_14default_configENS1_25partition_config_selectorILNS1_17partition_subalgoE1EyNS0_10empty_typeEbEEZZNS1_14partition_implILS5_1ELb0ES3_jN6thrust23THRUST_200600_302600_NS6detail15normal_iteratorINSA_10device_ptrIyEEEEPS6_NSA_18transform_iteratorI7is_evenIyESF_NSA_11use_defaultESK_EENS0_5tupleIJSF_SF_EEENSM_IJSG_SG_EEES6_PlJS6_EEE10hipError_tPvRmT3_T4_T5_T6_T7_T9_mT8_P12ihipStream_tbDpT10_ENKUlT_T0_E_clISt17integral_constantIbLb0EES19_EEDaS14_S15_EUlS14_E_NS1_11comp_targetILNS1_3genE5ELNS1_11target_archE942ELNS1_3gpuE9ELNS1_3repE0EEENS1_30default_config_static_selectorELNS0_4arch9wavefront6targetE1EEEvT1_ ; -- Begin function _ZN7rocprim17ROCPRIM_400000_NS6detail17trampoline_kernelINS0_14default_configENS1_25partition_config_selectorILNS1_17partition_subalgoE1EyNS0_10empty_typeEbEEZZNS1_14partition_implILS5_1ELb0ES3_jN6thrust23THRUST_200600_302600_NS6detail15normal_iteratorINSA_10device_ptrIyEEEEPS6_NSA_18transform_iteratorI7is_evenIyESF_NSA_11use_defaultESK_EENS0_5tupleIJSF_SF_EEENSM_IJSG_SG_EEES6_PlJS6_EEE10hipError_tPvRmT3_T4_T5_T6_T7_T9_mT8_P12ihipStream_tbDpT10_ENKUlT_T0_E_clISt17integral_constantIbLb0EES19_EEDaS14_S15_EUlS14_E_NS1_11comp_targetILNS1_3genE5ELNS1_11target_archE942ELNS1_3gpuE9ELNS1_3repE0EEENS1_30default_config_static_selectorELNS0_4arch9wavefront6targetE1EEEvT1_
	.globl	_ZN7rocprim17ROCPRIM_400000_NS6detail17trampoline_kernelINS0_14default_configENS1_25partition_config_selectorILNS1_17partition_subalgoE1EyNS0_10empty_typeEbEEZZNS1_14partition_implILS5_1ELb0ES3_jN6thrust23THRUST_200600_302600_NS6detail15normal_iteratorINSA_10device_ptrIyEEEEPS6_NSA_18transform_iteratorI7is_evenIyESF_NSA_11use_defaultESK_EENS0_5tupleIJSF_SF_EEENSM_IJSG_SG_EEES6_PlJS6_EEE10hipError_tPvRmT3_T4_T5_T6_T7_T9_mT8_P12ihipStream_tbDpT10_ENKUlT_T0_E_clISt17integral_constantIbLb0EES19_EEDaS14_S15_EUlS14_E_NS1_11comp_targetILNS1_3genE5ELNS1_11target_archE942ELNS1_3gpuE9ELNS1_3repE0EEENS1_30default_config_static_selectorELNS0_4arch9wavefront6targetE1EEEvT1_
	.p2align	8
	.type	_ZN7rocprim17ROCPRIM_400000_NS6detail17trampoline_kernelINS0_14default_configENS1_25partition_config_selectorILNS1_17partition_subalgoE1EyNS0_10empty_typeEbEEZZNS1_14partition_implILS5_1ELb0ES3_jN6thrust23THRUST_200600_302600_NS6detail15normal_iteratorINSA_10device_ptrIyEEEEPS6_NSA_18transform_iteratorI7is_evenIyESF_NSA_11use_defaultESK_EENS0_5tupleIJSF_SF_EEENSM_IJSG_SG_EEES6_PlJS6_EEE10hipError_tPvRmT3_T4_T5_T6_T7_T9_mT8_P12ihipStream_tbDpT10_ENKUlT_T0_E_clISt17integral_constantIbLb0EES19_EEDaS14_S15_EUlS14_E_NS1_11comp_targetILNS1_3genE5ELNS1_11target_archE942ELNS1_3gpuE9ELNS1_3repE0EEENS1_30default_config_static_selectorELNS0_4arch9wavefront6targetE1EEEvT1_,@function
_ZN7rocprim17ROCPRIM_400000_NS6detail17trampoline_kernelINS0_14default_configENS1_25partition_config_selectorILNS1_17partition_subalgoE1EyNS0_10empty_typeEbEEZZNS1_14partition_implILS5_1ELb0ES3_jN6thrust23THRUST_200600_302600_NS6detail15normal_iteratorINSA_10device_ptrIyEEEEPS6_NSA_18transform_iteratorI7is_evenIyESF_NSA_11use_defaultESK_EENS0_5tupleIJSF_SF_EEENSM_IJSG_SG_EEES6_PlJS6_EEE10hipError_tPvRmT3_T4_T5_T6_T7_T9_mT8_P12ihipStream_tbDpT10_ENKUlT_T0_E_clISt17integral_constantIbLb0EES19_EEDaS14_S15_EUlS14_E_NS1_11comp_targetILNS1_3genE5ELNS1_11target_archE942ELNS1_3gpuE9ELNS1_3repE0EEENS1_30default_config_static_selectorELNS0_4arch9wavefront6targetE1EEEvT1_: ; @_ZN7rocprim17ROCPRIM_400000_NS6detail17trampoline_kernelINS0_14default_configENS1_25partition_config_selectorILNS1_17partition_subalgoE1EyNS0_10empty_typeEbEEZZNS1_14partition_implILS5_1ELb0ES3_jN6thrust23THRUST_200600_302600_NS6detail15normal_iteratorINSA_10device_ptrIyEEEEPS6_NSA_18transform_iteratorI7is_evenIyESF_NSA_11use_defaultESK_EENS0_5tupleIJSF_SF_EEENSM_IJSG_SG_EEES6_PlJS6_EEE10hipError_tPvRmT3_T4_T5_T6_T7_T9_mT8_P12ihipStream_tbDpT10_ENKUlT_T0_E_clISt17integral_constantIbLb0EES19_EEDaS14_S15_EUlS14_E_NS1_11comp_targetILNS1_3genE5ELNS1_11target_archE942ELNS1_3gpuE9ELNS1_3repE0EEENS1_30default_config_static_selectorELNS0_4arch9wavefront6targetE1EEEvT1_
; %bb.0:
	.section	.rodata,"a",@progbits
	.p2align	6, 0x0
	.amdhsa_kernel _ZN7rocprim17ROCPRIM_400000_NS6detail17trampoline_kernelINS0_14default_configENS1_25partition_config_selectorILNS1_17partition_subalgoE1EyNS0_10empty_typeEbEEZZNS1_14partition_implILS5_1ELb0ES3_jN6thrust23THRUST_200600_302600_NS6detail15normal_iteratorINSA_10device_ptrIyEEEEPS6_NSA_18transform_iteratorI7is_evenIyESF_NSA_11use_defaultESK_EENS0_5tupleIJSF_SF_EEENSM_IJSG_SG_EEES6_PlJS6_EEE10hipError_tPvRmT3_T4_T5_T6_T7_T9_mT8_P12ihipStream_tbDpT10_ENKUlT_T0_E_clISt17integral_constantIbLb0EES19_EEDaS14_S15_EUlS14_E_NS1_11comp_targetILNS1_3genE5ELNS1_11target_archE942ELNS1_3gpuE9ELNS1_3repE0EEENS1_30default_config_static_selectorELNS0_4arch9wavefront6targetE1EEEvT1_
		.amdhsa_group_segment_fixed_size 0
		.amdhsa_private_segment_fixed_size 0
		.amdhsa_kernarg_size 128
		.amdhsa_user_sgpr_count 6
		.amdhsa_user_sgpr_private_segment_buffer 1
		.amdhsa_user_sgpr_dispatch_ptr 0
		.amdhsa_user_sgpr_queue_ptr 0
		.amdhsa_user_sgpr_kernarg_segment_ptr 1
		.amdhsa_user_sgpr_dispatch_id 0
		.amdhsa_user_sgpr_flat_scratch_init 0
		.amdhsa_user_sgpr_kernarg_preload_length 0
		.amdhsa_user_sgpr_kernarg_preload_offset 0
		.amdhsa_user_sgpr_private_segment_size 0
		.amdhsa_uses_dynamic_stack 0
		.amdhsa_system_sgpr_private_segment_wavefront_offset 0
		.amdhsa_system_sgpr_workgroup_id_x 1
		.amdhsa_system_sgpr_workgroup_id_y 0
		.amdhsa_system_sgpr_workgroup_id_z 0
		.amdhsa_system_sgpr_workgroup_info 0
		.amdhsa_system_vgpr_workitem_id 0
		.amdhsa_next_free_vgpr 1
		.amdhsa_next_free_sgpr 0
		.amdhsa_accum_offset 4
		.amdhsa_reserve_vcc 0
		.amdhsa_reserve_flat_scratch 0
		.amdhsa_float_round_mode_32 0
		.amdhsa_float_round_mode_16_64 0
		.amdhsa_float_denorm_mode_32 3
		.amdhsa_float_denorm_mode_16_64 3
		.amdhsa_dx10_clamp 1
		.amdhsa_ieee_mode 1
		.amdhsa_fp16_overflow 0
		.amdhsa_tg_split 0
		.amdhsa_exception_fp_ieee_invalid_op 0
		.amdhsa_exception_fp_denorm_src 0
		.amdhsa_exception_fp_ieee_div_zero 0
		.amdhsa_exception_fp_ieee_overflow 0
		.amdhsa_exception_fp_ieee_underflow 0
		.amdhsa_exception_fp_ieee_inexact 0
		.amdhsa_exception_int_div_zero 0
	.end_amdhsa_kernel
	.section	.text._ZN7rocprim17ROCPRIM_400000_NS6detail17trampoline_kernelINS0_14default_configENS1_25partition_config_selectorILNS1_17partition_subalgoE1EyNS0_10empty_typeEbEEZZNS1_14partition_implILS5_1ELb0ES3_jN6thrust23THRUST_200600_302600_NS6detail15normal_iteratorINSA_10device_ptrIyEEEEPS6_NSA_18transform_iteratorI7is_evenIyESF_NSA_11use_defaultESK_EENS0_5tupleIJSF_SF_EEENSM_IJSG_SG_EEES6_PlJS6_EEE10hipError_tPvRmT3_T4_T5_T6_T7_T9_mT8_P12ihipStream_tbDpT10_ENKUlT_T0_E_clISt17integral_constantIbLb0EES19_EEDaS14_S15_EUlS14_E_NS1_11comp_targetILNS1_3genE5ELNS1_11target_archE942ELNS1_3gpuE9ELNS1_3repE0EEENS1_30default_config_static_selectorELNS0_4arch9wavefront6targetE1EEEvT1_,"axG",@progbits,_ZN7rocprim17ROCPRIM_400000_NS6detail17trampoline_kernelINS0_14default_configENS1_25partition_config_selectorILNS1_17partition_subalgoE1EyNS0_10empty_typeEbEEZZNS1_14partition_implILS5_1ELb0ES3_jN6thrust23THRUST_200600_302600_NS6detail15normal_iteratorINSA_10device_ptrIyEEEEPS6_NSA_18transform_iteratorI7is_evenIyESF_NSA_11use_defaultESK_EENS0_5tupleIJSF_SF_EEENSM_IJSG_SG_EEES6_PlJS6_EEE10hipError_tPvRmT3_T4_T5_T6_T7_T9_mT8_P12ihipStream_tbDpT10_ENKUlT_T0_E_clISt17integral_constantIbLb0EES19_EEDaS14_S15_EUlS14_E_NS1_11comp_targetILNS1_3genE5ELNS1_11target_archE942ELNS1_3gpuE9ELNS1_3repE0EEENS1_30default_config_static_selectorELNS0_4arch9wavefront6targetE1EEEvT1_,comdat
.Lfunc_end2204:
	.size	_ZN7rocprim17ROCPRIM_400000_NS6detail17trampoline_kernelINS0_14default_configENS1_25partition_config_selectorILNS1_17partition_subalgoE1EyNS0_10empty_typeEbEEZZNS1_14partition_implILS5_1ELb0ES3_jN6thrust23THRUST_200600_302600_NS6detail15normal_iteratorINSA_10device_ptrIyEEEEPS6_NSA_18transform_iteratorI7is_evenIyESF_NSA_11use_defaultESK_EENS0_5tupleIJSF_SF_EEENSM_IJSG_SG_EEES6_PlJS6_EEE10hipError_tPvRmT3_T4_T5_T6_T7_T9_mT8_P12ihipStream_tbDpT10_ENKUlT_T0_E_clISt17integral_constantIbLb0EES19_EEDaS14_S15_EUlS14_E_NS1_11comp_targetILNS1_3genE5ELNS1_11target_archE942ELNS1_3gpuE9ELNS1_3repE0EEENS1_30default_config_static_selectorELNS0_4arch9wavefront6targetE1EEEvT1_, .Lfunc_end2204-_ZN7rocprim17ROCPRIM_400000_NS6detail17trampoline_kernelINS0_14default_configENS1_25partition_config_selectorILNS1_17partition_subalgoE1EyNS0_10empty_typeEbEEZZNS1_14partition_implILS5_1ELb0ES3_jN6thrust23THRUST_200600_302600_NS6detail15normal_iteratorINSA_10device_ptrIyEEEEPS6_NSA_18transform_iteratorI7is_evenIyESF_NSA_11use_defaultESK_EENS0_5tupleIJSF_SF_EEENSM_IJSG_SG_EEES6_PlJS6_EEE10hipError_tPvRmT3_T4_T5_T6_T7_T9_mT8_P12ihipStream_tbDpT10_ENKUlT_T0_E_clISt17integral_constantIbLb0EES19_EEDaS14_S15_EUlS14_E_NS1_11comp_targetILNS1_3genE5ELNS1_11target_archE942ELNS1_3gpuE9ELNS1_3repE0EEENS1_30default_config_static_selectorELNS0_4arch9wavefront6targetE1EEEvT1_
                                        ; -- End function
	.section	.AMDGPU.csdata,"",@progbits
; Kernel info:
; codeLenInByte = 0
; NumSgprs: 4
; NumVgprs: 0
; NumAgprs: 0
; TotalNumVgprs: 0
; ScratchSize: 0
; MemoryBound: 0
; FloatMode: 240
; IeeeMode: 1
; LDSByteSize: 0 bytes/workgroup (compile time only)
; SGPRBlocks: 0
; VGPRBlocks: 0
; NumSGPRsForWavesPerEU: 4
; NumVGPRsForWavesPerEU: 1
; AccumOffset: 4
; Occupancy: 8
; WaveLimiterHint : 0
; COMPUTE_PGM_RSRC2:SCRATCH_EN: 0
; COMPUTE_PGM_RSRC2:USER_SGPR: 6
; COMPUTE_PGM_RSRC2:TRAP_HANDLER: 0
; COMPUTE_PGM_RSRC2:TGID_X_EN: 1
; COMPUTE_PGM_RSRC2:TGID_Y_EN: 0
; COMPUTE_PGM_RSRC2:TGID_Z_EN: 0
; COMPUTE_PGM_RSRC2:TIDIG_COMP_CNT: 0
; COMPUTE_PGM_RSRC3_GFX90A:ACCUM_OFFSET: 0
; COMPUTE_PGM_RSRC3_GFX90A:TG_SPLIT: 0
	.section	.text._ZN7rocprim17ROCPRIM_400000_NS6detail17trampoline_kernelINS0_14default_configENS1_25partition_config_selectorILNS1_17partition_subalgoE1EyNS0_10empty_typeEbEEZZNS1_14partition_implILS5_1ELb0ES3_jN6thrust23THRUST_200600_302600_NS6detail15normal_iteratorINSA_10device_ptrIyEEEEPS6_NSA_18transform_iteratorI7is_evenIyESF_NSA_11use_defaultESK_EENS0_5tupleIJSF_SF_EEENSM_IJSG_SG_EEES6_PlJS6_EEE10hipError_tPvRmT3_T4_T5_T6_T7_T9_mT8_P12ihipStream_tbDpT10_ENKUlT_T0_E_clISt17integral_constantIbLb0EES19_EEDaS14_S15_EUlS14_E_NS1_11comp_targetILNS1_3genE4ELNS1_11target_archE910ELNS1_3gpuE8ELNS1_3repE0EEENS1_30default_config_static_selectorELNS0_4arch9wavefront6targetE1EEEvT1_,"axG",@progbits,_ZN7rocprim17ROCPRIM_400000_NS6detail17trampoline_kernelINS0_14default_configENS1_25partition_config_selectorILNS1_17partition_subalgoE1EyNS0_10empty_typeEbEEZZNS1_14partition_implILS5_1ELb0ES3_jN6thrust23THRUST_200600_302600_NS6detail15normal_iteratorINSA_10device_ptrIyEEEEPS6_NSA_18transform_iteratorI7is_evenIyESF_NSA_11use_defaultESK_EENS0_5tupleIJSF_SF_EEENSM_IJSG_SG_EEES6_PlJS6_EEE10hipError_tPvRmT3_T4_T5_T6_T7_T9_mT8_P12ihipStream_tbDpT10_ENKUlT_T0_E_clISt17integral_constantIbLb0EES19_EEDaS14_S15_EUlS14_E_NS1_11comp_targetILNS1_3genE4ELNS1_11target_archE910ELNS1_3gpuE8ELNS1_3repE0EEENS1_30default_config_static_selectorELNS0_4arch9wavefront6targetE1EEEvT1_,comdat
	.protected	_ZN7rocprim17ROCPRIM_400000_NS6detail17trampoline_kernelINS0_14default_configENS1_25partition_config_selectorILNS1_17partition_subalgoE1EyNS0_10empty_typeEbEEZZNS1_14partition_implILS5_1ELb0ES3_jN6thrust23THRUST_200600_302600_NS6detail15normal_iteratorINSA_10device_ptrIyEEEEPS6_NSA_18transform_iteratorI7is_evenIyESF_NSA_11use_defaultESK_EENS0_5tupleIJSF_SF_EEENSM_IJSG_SG_EEES6_PlJS6_EEE10hipError_tPvRmT3_T4_T5_T6_T7_T9_mT8_P12ihipStream_tbDpT10_ENKUlT_T0_E_clISt17integral_constantIbLb0EES19_EEDaS14_S15_EUlS14_E_NS1_11comp_targetILNS1_3genE4ELNS1_11target_archE910ELNS1_3gpuE8ELNS1_3repE0EEENS1_30default_config_static_selectorELNS0_4arch9wavefront6targetE1EEEvT1_ ; -- Begin function _ZN7rocprim17ROCPRIM_400000_NS6detail17trampoline_kernelINS0_14default_configENS1_25partition_config_selectorILNS1_17partition_subalgoE1EyNS0_10empty_typeEbEEZZNS1_14partition_implILS5_1ELb0ES3_jN6thrust23THRUST_200600_302600_NS6detail15normal_iteratorINSA_10device_ptrIyEEEEPS6_NSA_18transform_iteratorI7is_evenIyESF_NSA_11use_defaultESK_EENS0_5tupleIJSF_SF_EEENSM_IJSG_SG_EEES6_PlJS6_EEE10hipError_tPvRmT3_T4_T5_T6_T7_T9_mT8_P12ihipStream_tbDpT10_ENKUlT_T0_E_clISt17integral_constantIbLb0EES19_EEDaS14_S15_EUlS14_E_NS1_11comp_targetILNS1_3genE4ELNS1_11target_archE910ELNS1_3gpuE8ELNS1_3repE0EEENS1_30default_config_static_selectorELNS0_4arch9wavefront6targetE1EEEvT1_
	.globl	_ZN7rocprim17ROCPRIM_400000_NS6detail17trampoline_kernelINS0_14default_configENS1_25partition_config_selectorILNS1_17partition_subalgoE1EyNS0_10empty_typeEbEEZZNS1_14partition_implILS5_1ELb0ES3_jN6thrust23THRUST_200600_302600_NS6detail15normal_iteratorINSA_10device_ptrIyEEEEPS6_NSA_18transform_iteratorI7is_evenIyESF_NSA_11use_defaultESK_EENS0_5tupleIJSF_SF_EEENSM_IJSG_SG_EEES6_PlJS6_EEE10hipError_tPvRmT3_T4_T5_T6_T7_T9_mT8_P12ihipStream_tbDpT10_ENKUlT_T0_E_clISt17integral_constantIbLb0EES19_EEDaS14_S15_EUlS14_E_NS1_11comp_targetILNS1_3genE4ELNS1_11target_archE910ELNS1_3gpuE8ELNS1_3repE0EEENS1_30default_config_static_selectorELNS0_4arch9wavefront6targetE1EEEvT1_
	.p2align	8
	.type	_ZN7rocprim17ROCPRIM_400000_NS6detail17trampoline_kernelINS0_14default_configENS1_25partition_config_selectorILNS1_17partition_subalgoE1EyNS0_10empty_typeEbEEZZNS1_14partition_implILS5_1ELb0ES3_jN6thrust23THRUST_200600_302600_NS6detail15normal_iteratorINSA_10device_ptrIyEEEEPS6_NSA_18transform_iteratorI7is_evenIyESF_NSA_11use_defaultESK_EENS0_5tupleIJSF_SF_EEENSM_IJSG_SG_EEES6_PlJS6_EEE10hipError_tPvRmT3_T4_T5_T6_T7_T9_mT8_P12ihipStream_tbDpT10_ENKUlT_T0_E_clISt17integral_constantIbLb0EES19_EEDaS14_S15_EUlS14_E_NS1_11comp_targetILNS1_3genE4ELNS1_11target_archE910ELNS1_3gpuE8ELNS1_3repE0EEENS1_30default_config_static_selectorELNS0_4arch9wavefront6targetE1EEEvT1_,@function
_ZN7rocprim17ROCPRIM_400000_NS6detail17trampoline_kernelINS0_14default_configENS1_25partition_config_selectorILNS1_17partition_subalgoE1EyNS0_10empty_typeEbEEZZNS1_14partition_implILS5_1ELb0ES3_jN6thrust23THRUST_200600_302600_NS6detail15normal_iteratorINSA_10device_ptrIyEEEEPS6_NSA_18transform_iteratorI7is_evenIyESF_NSA_11use_defaultESK_EENS0_5tupleIJSF_SF_EEENSM_IJSG_SG_EEES6_PlJS6_EEE10hipError_tPvRmT3_T4_T5_T6_T7_T9_mT8_P12ihipStream_tbDpT10_ENKUlT_T0_E_clISt17integral_constantIbLb0EES19_EEDaS14_S15_EUlS14_E_NS1_11comp_targetILNS1_3genE4ELNS1_11target_archE910ELNS1_3gpuE8ELNS1_3repE0EEENS1_30default_config_static_selectorELNS0_4arch9wavefront6targetE1EEEvT1_: ; @_ZN7rocprim17ROCPRIM_400000_NS6detail17trampoline_kernelINS0_14default_configENS1_25partition_config_selectorILNS1_17partition_subalgoE1EyNS0_10empty_typeEbEEZZNS1_14partition_implILS5_1ELb0ES3_jN6thrust23THRUST_200600_302600_NS6detail15normal_iteratorINSA_10device_ptrIyEEEEPS6_NSA_18transform_iteratorI7is_evenIyESF_NSA_11use_defaultESK_EENS0_5tupleIJSF_SF_EEENSM_IJSG_SG_EEES6_PlJS6_EEE10hipError_tPvRmT3_T4_T5_T6_T7_T9_mT8_P12ihipStream_tbDpT10_ENKUlT_T0_E_clISt17integral_constantIbLb0EES19_EEDaS14_S15_EUlS14_E_NS1_11comp_targetILNS1_3genE4ELNS1_11target_archE910ELNS1_3gpuE8ELNS1_3repE0EEENS1_30default_config_static_selectorELNS0_4arch9wavefront6targetE1EEEvT1_
; %bb.0:
	s_load_dwordx2 s[0:1], s[4:5], 0x60
	s_load_dwordx4 s[24:27], s[4:5], 0x8
	s_load_dwordx2 s[2:3], s[4:5], 0x20
	s_load_dwordx4 s[20:23], s[4:5], 0x50
	s_mul_i32 s10, s6, 0x300
	s_waitcnt lgkmcnt(0)
	v_mov_b32_e32 v3, s1
	s_load_dword s1, s[4:5], 0x78
	s_lshl_b64 s[8:9], s[26:27], 3
	s_add_u32 s7, s24, s8
	s_addc_u32 s12, s25, s9
	v_mov_b32_e32 v2, s0
	s_waitcnt lgkmcnt(0)
	s_add_i32 s13, s1, -1
	s_mulk_i32 s1, 0x300
	s_add_i32 s11, s1, s26
	s_sub_i32 s33, s0, s11
	s_addk_i32 s33, 0x300
	s_add_u32 s0, s26, s1
	s_addc_u32 s1, s27, 0
	s_cmp_eq_u32 s6, s13
	s_load_dwordx2 s[30:31], s[22:23], 0x0
	s_cselect_b64 s[22:23], -1, 0
	s_cmp_lg_u32 s6, s13
	s_mov_b32 s11, 0
	v_cmp_lt_u64_e32 vcc, s[0:1], v[2:3]
	s_cselect_b64 s[0:1], -1, 0
	s_or_b64 s[24:25], s[0:1], vcc
	s_lshl_b64 s[28:29], s[10:11], 3
	s_add_u32 s7, s7, s28
	s_addc_u32 s12, s12, s29
	s_mov_b64 s[0:1], -1
	s_and_b64 vcc, exec, s[24:25]
	v_lshlrev_b32_e32 v1, 3, v0
	v_lshrrev_b32_e32 v10, 2, v0
	s_cbranch_vccz .LBB2205_2
; %bb.1:
	v_mov_b32_e32 v3, s12
	v_add_co_u32_e32 v2, vcc, s7, v1
	v_addc_co_u32_e32 v3, vcc, 0, v3, vcc
	v_add_co_u32_e32 v4, vcc, 0x1000, v2
	v_addc_co_u32_e32 v5, vcc, 0, v3, vcc
	flat_load_dwordx2 v[6:7], v[2:3]
	flat_load_dwordx2 v[8:9], v[2:3] offset:1536
	flat_load_dwordx2 v[12:13], v[2:3] offset:3072
	flat_load_dwordx2 v[14:15], v[4:5] offset:512
	v_add_u32_e32 v3, 0xc0, v0
	v_add_u32_e32 v4, 0x180, v0
	;; [unrolled: 1-line block ×3, first 2 shown]
	v_and_b32_e32 v2, 56, v10
	v_lshrrev_b32_e32 v3, 2, v3
	v_lshrrev_b32_e32 v4, 2, v4
	;; [unrolled: 1-line block ×3, first 2 shown]
	v_add_u32_e32 v2, v2, v1
	v_and_b32_e32 v3, 0x78, v3
	v_and_b32_e32 v4, 0xf8, v4
	;; [unrolled: 1-line block ×3, first 2 shown]
	v_add_u32_e32 v3, v3, v1
	v_add_u32_e32 v4, v4, v1
	;; [unrolled: 1-line block ×3, first 2 shown]
	s_mov_b64 s[0:1], 0
	s_waitcnt vmcnt(0) lgkmcnt(0)
	ds_write_b64 v2, v[6:7]
	ds_write_b64 v3, v[8:9] offset:1536
	ds_write_b64 v4, v[12:13] offset:3072
	;; [unrolled: 1-line block ×3, first 2 shown]
	s_waitcnt lgkmcnt(0)
	s_barrier
.LBB2205_2:
	s_andn2_b64 vcc, exec, s[0:1]
	v_cmp_gt_u32_e64 s[0:1], s33, v0
	s_cbranch_vccnz .LBB2205_12
; %bb.3:
                                        ; implicit-def: $vgpr2_vgpr3_vgpr4_vgpr5_vgpr6_vgpr7_vgpr8_vgpr9
	s_and_saveexec_b64 s[10:11], s[0:1]
	s_cbranch_execz .LBB2205_5
; %bb.4:
	v_mov_b32_e32 v3, s12
	v_add_co_u32_e32 v2, vcc, s7, v1
	v_addc_co_u32_e32 v3, vcc, 0, v3, vcc
	flat_load_dwordx2 v[2:3], v[2:3]
.LBB2205_5:
	s_or_b64 exec, exec, s[10:11]
	v_add_u32_e32 v11, 0xc0, v0
	v_cmp_gt_u32_e32 vcc, s33, v11
	s_and_saveexec_b64 s[0:1], vcc
	s_cbranch_execz .LBB2205_7
; %bb.6:
	v_mov_b32_e32 v5, s12
	v_add_co_u32_e32 v4, vcc, s7, v1
	v_addc_co_u32_e32 v5, vcc, 0, v5, vcc
	flat_load_dwordx2 v[4:5], v[4:5] offset:1536
.LBB2205_7:
	s_or_b64 exec, exec, s[0:1]
	v_add_u32_e32 v12, 0x180, v0
	v_cmp_gt_u32_e32 vcc, s33, v12
	s_and_saveexec_b64 s[0:1], vcc
	s_cbranch_execz .LBB2205_9
; %bb.8:
	v_mov_b32_e32 v7, s12
	v_add_co_u32_e32 v6, vcc, s7, v1
	v_addc_co_u32_e32 v7, vcc, 0, v7, vcc
	flat_load_dwordx2 v[6:7], v[6:7] offset:3072
.LBB2205_9:
	s_or_b64 exec, exec, s[0:1]
	v_add_u32_e32 v13, 0x240, v0
	v_cmp_gt_u32_e32 vcc, s33, v13
	s_and_saveexec_b64 s[0:1], vcc
	s_cbranch_execz .LBB2205_11
; %bb.10:
	v_lshlrev_b32_e32 v8, 3, v13
	v_mov_b32_e32 v9, s12
	v_add_co_u32_e32 v8, vcc, s7, v8
	v_addc_co_u32_e32 v9, vcc, 0, v9, vcc
	flat_load_dwordx2 v[8:9], v[8:9]
.LBB2205_11:
	s_or_b64 exec, exec, s[0:1]
	v_and_b32_e32 v10, 56, v10
	v_add_u32_e32 v10, v10, v1
	s_waitcnt vmcnt(0) lgkmcnt(0)
	ds_write_b64 v10, v[2:3]
	v_lshrrev_b32_e32 v2, 2, v11
	v_and_b32_e32 v2, 0x78, v2
	v_add_u32_e32 v2, v2, v1
	ds_write_b64 v2, v[4:5] offset:1536
	v_lshrrev_b32_e32 v2, 2, v12
	v_and_b32_e32 v2, 0xf8, v2
	v_add_u32_e32 v2, v2, v1
	ds_write_b64 v2, v[6:7] offset:3072
	;; [unrolled: 4-line block ×3, first 2 shown]
	s_waitcnt lgkmcnt(0)
	s_barrier
.LBB2205_12:
	v_lshlrev_b32_e32 v20, 2, v0
	v_lshrrev_b32_e32 v10, 3, v0
	v_add_lshl_u32 v2, v10, v20, 3
	s_waitcnt lgkmcnt(0)
	ds_read2_b64 v[6:9], v2 offset1:1
	ds_read2_b64 v[2:5], v2 offset0:2 offset1:3
	s_add_u32 s0, s2, s8
	s_addc_u32 s1, s3, s9
	s_add_u32 s0, s0, s28
	s_addc_u32 s1, s1, s29
	s_mov_b64 s[2:3], -1
	s_and_b64 vcc, exec, s[24:25]
	v_lshrrev_b32_e32 v11, 5, v0
	s_waitcnt lgkmcnt(0)
	s_barrier
	s_cbranch_vccz .LBB2205_14
; %bb.13:
	global_load_dwordx2 v[12:13], v1, s[0:1]
	global_load_dwordx2 v[14:15], v1, s[0:1] offset:1536
	global_load_dwordx2 v[16:17], v1, s[0:1] offset:3072
	v_mov_b32_e32 v18, s1
	s_waitcnt vmcnt(2)
	v_add_co_u32_e32 v13, vcc, s0, v1
	s_waitcnt vmcnt(1)
	v_addc_co_u32_e32 v15, vcc, 0, v18, vcc
	v_add_co_u32_e32 v18, vcc, 0x1000, v13
	v_addc_co_u32_e32 v19, vcc, 0, v15, vcc
	global_load_dwordx2 v[18:19], v[18:19], off offset:512
	v_add_u32_e32 v15, 0xc0, v0
	s_waitcnt vmcnt(1)
	v_add_u32_e32 v17, 0x180, v0
	v_and_b32_e32 v13, 4, v11
	s_waitcnt vmcnt(0)
	v_add_u32_e32 v19, 0x240, v0
	v_lshrrev_b32_e32 v15, 5, v15
	v_lshrrev_b32_e32 v17, 5, v17
	v_add_u32_e32 v13, v13, v0
	v_lshrrev_b32_e32 v19, 5, v19
	v_and_b32_e32 v15, 12, v15
	v_and_b32_e32 v17, 28, v17
	;; [unrolled: 1-line block ×3, first 2 shown]
	v_add_u32_e32 v15, v15, v0
	v_add_u32_e32 v17, v17, v0
	;; [unrolled: 1-line block ×3, first 2 shown]
	s_mov_b64 s[2:3], 0
	v_xor_b32_e32 v12, -1, v12
	v_xor_b32_e32 v14, -1, v14
	;; [unrolled: 1-line block ×3, first 2 shown]
	v_and_b32_e32 v12, 1, v12
	v_and_b32_e32 v14, 1, v14
	;; [unrolled: 1-line block ×3, first 2 shown]
	ds_write_b8 v13, v12
	ds_write_b8 v15, v14 offset:192
	ds_write_b8 v17, v16 offset:384
	v_xor_b32_e32 v12, -1, v18
	v_and_b32_e32 v12, 1, v12
	ds_write_b8 v19, v12 offset:576
	s_waitcnt lgkmcnt(0)
	s_barrier
.LBB2205_14:
	s_load_dwordx2 s[34:35], s[4:5], 0x70
	s_andn2_b64 vcc, exec, s[2:3]
	s_cbranch_vccnz .LBB2205_24
; %bb.15:
	v_cmp_gt_u32_e32 vcc, s33, v0
	v_mov_b32_e32 v12, 0
	v_mov_b32_e32 v13, 0
	s_and_saveexec_b64 s[2:3], vcc
	s_cbranch_execz .LBB2205_17
; %bb.16:
	global_load_dwordx2 v[14:15], v1, s[0:1]
	s_waitcnt vmcnt(0)
	v_xor_b32_e32 v13, -1, v14
	v_and_b32_e32 v13, 1, v13
.LBB2205_17:
	s_or_b64 exec, exec, s[2:3]
	v_add_u32_e32 v14, 0xc0, v0
	v_cmp_gt_u32_e32 vcc, s33, v14
	s_and_saveexec_b64 s[2:3], vcc
	s_cbranch_execz .LBB2205_19
; %bb.18:
	global_load_dwordx2 v[16:17], v1, s[0:1] offset:1536
	s_waitcnt vmcnt(0)
	v_xor_b32_e32 v12, -1, v16
	v_and_b32_e32 v12, 1, v12
.LBB2205_19:
	s_or_b64 exec, exec, s[2:3]
	v_add_u32_e32 v16, 0x180, v0
	v_cmp_gt_u32_e32 vcc, s33, v16
	v_mov_b32_e32 v15, 0
	v_mov_b32_e32 v17, 0
	s_and_saveexec_b64 s[2:3], vcc
	s_cbranch_execz .LBB2205_21
; %bb.20:
	global_load_dwordx2 v[18:19], v1, s[0:1] offset:3072
	s_waitcnt vmcnt(0)
	v_xor_b32_e32 v17, -1, v18
	v_and_b32_e32 v17, 1, v17
.LBB2205_21:
	s_or_b64 exec, exec, s[2:3]
	v_add_u32_e32 v18, 0x240, v0
	v_cmp_gt_u32_e32 vcc, s33, v18
	s_and_saveexec_b64 s[2:3], vcc
	s_cbranch_execz .LBB2205_23
; %bb.22:
	v_lshlrev_b32_e32 v15, 3, v18
	global_load_dwordx2 v[22:23], v15, s[0:1]
	s_waitcnt vmcnt(0)
	v_xor_b32_e32 v15, -1, v22
	v_and_b32_e32 v15, 1, v15
.LBB2205_23:
	s_or_b64 exec, exec, s[2:3]
	v_and_b32_e32 v11, 4, v11
	v_add_u32_e32 v11, v11, v0
	ds_write_b8 v11, v13
	v_lshrrev_b32_e32 v11, 5, v14
	v_and_b32_e32 v11, 12, v11
	v_add_u32_e32 v11, v11, v0
	ds_write_b8 v11, v12 offset:192
	v_lshrrev_b32_e32 v11, 5, v16
	v_and_b32_e32 v11, 28, v11
	v_add_u32_e32 v11, v11, v0
	ds_write_b8 v11, v17 offset:384
	;; [unrolled: 4-line block ×3, first 2 shown]
	s_waitcnt lgkmcnt(0)
	s_barrier
.LBB2205_24:
	v_and_b32_e32 v10, 28, v10
	v_add_u32_e32 v10, v10, v20
	s_waitcnt lgkmcnt(0)
	ds_read_b32 v22, v10
	s_cmp_lg_u32 s6, 0
	v_lshrrev_b32_e32 v25, 6, v0
	s_waitcnt lgkmcnt(0)
	s_barrier
	v_lshrrev_b32_e32 v21, 24, v22
	v_bfe_u32 v23, v22, 16, 8
	v_add_u32_sdwa v10, v22, v22 dst_sel:DWORD dst_unused:UNUSED_PAD src0_sel:BYTE_1 src1_sel:BYTE_0
	v_add3_u32 v26, v10, v23, v21
	v_mbcnt_lo_u32_b32 v10, -1, 0
	v_mbcnt_hi_u32_b32 v24, -1, v10
	v_and_b32_e32 v10, 15, v24
	v_cmp_eq_u32_e64 s[14:15], 0, v10
	v_cmp_lt_u32_e64 s[12:13], 1, v10
	v_cmp_lt_u32_e64 s[10:11], 3, v10
	;; [unrolled: 1-line block ×3, first 2 shown]
	v_and_b32_e32 v10, 16, v24
	v_cmp_eq_u32_e64 s[2:3], 0, v10
	v_and_b32_e32 v10, 0xc0, v0
	v_min_u32_e32 v10, 0x80, v10
	v_or_b32_e32 v10, 63, v10
	v_cmp_lt_u32_e64 s[0:1], 31, v24
	v_cmp_eq_u32_e64 s[18:19], v10, v0
	s_cbranch_scc0 .LBB2205_51
; %bb.25:
	v_mov_b32_dpp v10, v26 row_shr:1 row_mask:0xf bank_mask:0xf
	v_cndmask_b32_e64 v10, v10, 0, s[14:15]
	v_add_u32_e32 v10, v10, v26
	s_nop 1
	v_mov_b32_dpp v11, v10 row_shr:2 row_mask:0xf bank_mask:0xf
	v_cndmask_b32_e64 v11, 0, v11, s[12:13]
	v_add_u32_e32 v10, v10, v11
	s_nop 1
	v_mov_b32_dpp v11, v10 row_shr:4 row_mask:0xf bank_mask:0xf
	v_cndmask_b32_e64 v11, 0, v11, s[10:11]
	v_add_u32_e32 v10, v10, v11
	s_nop 1
	v_mov_b32_dpp v11, v10 row_shr:8 row_mask:0xf bank_mask:0xf
	v_cndmask_b32_e64 v11, 0, v11, s[8:9]
	v_add_u32_e32 v10, v10, v11
	s_nop 1
	v_mov_b32_dpp v11, v10 row_bcast:15 row_mask:0xf bank_mask:0xf
	v_cndmask_b32_e64 v11, v11, 0, s[2:3]
	v_add_u32_e32 v10, v10, v11
	s_nop 1
	v_mov_b32_dpp v11, v10 row_bcast:31 row_mask:0xf bank_mask:0xf
	v_cndmask_b32_e64 v11, 0, v11, s[0:1]
	v_add_u32_e32 v10, v10, v11
	s_and_saveexec_b64 s[16:17], s[18:19]
	s_cbranch_execz .LBB2205_27
; %bb.26:
	v_lshlrev_b32_e32 v11, 2, v25
	ds_write_b32 v11, v10
.LBB2205_27:
	s_or_b64 exec, exec, s[16:17]
	v_cmp_gt_u32_e32 vcc, 3, v0
	s_waitcnt lgkmcnt(0)
	s_barrier
	s_and_saveexec_b64 s[16:17], vcc
	s_cbranch_execz .LBB2205_29
; %bb.28:
	ds_read_b32 v11, v20
	v_and_b32_e32 v12, 3, v24
	v_cmp_ne_u32_e32 vcc, 0, v12
	s_waitcnt lgkmcnt(0)
	v_mov_b32_dpp v13, v11 row_shr:1 row_mask:0xf bank_mask:0xf
	v_cndmask_b32_e32 v13, 0, v13, vcc
	v_add_u32_e32 v11, v13, v11
	v_cmp_lt_u32_e32 vcc, 1, v12
	s_nop 0
	v_mov_b32_dpp v13, v11 row_shr:2 row_mask:0xf bank_mask:0xf
	v_cndmask_b32_e32 v12, 0, v13, vcc
	v_add_u32_e32 v11, v11, v12
	ds_write_b32 v20, v11
.LBB2205_29:
	s_or_b64 exec, exec, s[16:17]
	v_cmp_gt_u32_e32 vcc, 64, v0
	v_cmp_lt_u32_e64 s[16:17], 63, v0
	s_waitcnt lgkmcnt(0)
	s_barrier
	s_waitcnt lgkmcnt(0)
                                        ; implicit-def: $vgpr27
	s_and_saveexec_b64 s[36:37], s[16:17]
	s_cbranch_execz .LBB2205_31
; %bb.30:
	v_lshl_add_u32 v11, v25, 2, -4
	ds_read_b32 v27, v11
	s_waitcnt lgkmcnt(0)
	v_add_u32_e32 v10, v27, v10
.LBB2205_31:
	s_or_b64 exec, exec, s[36:37]
	v_add_u32_e32 v11, -1, v24
	v_and_b32_e32 v12, 64, v24
	v_cmp_lt_i32_e64 s[16:17], v11, v12
	v_cndmask_b32_e64 v11, v11, v24, s[16:17]
	v_lshlrev_b32_e32 v11, 2, v11
	ds_bpermute_b32 v28, v11, v10
	v_cmp_eq_u32_e64 s[16:17], 0, v24
	s_and_saveexec_b64 s[36:37], vcc
	s_cbranch_execz .LBB2205_50
; %bb.32:
	v_mov_b32_e32 v17, 0
	ds_read_b32 v10, v17 offset:8
	s_and_saveexec_b64 s[38:39], s[16:17]
	s_cbranch_execz .LBB2205_34
; %bb.33:
	s_add_i32 s40, s6, 64
	s_mov_b32 s41, 0
	s_lshl_b64 s[40:41], s[40:41], 3
	s_add_u32 s40, s34, s40
	v_mov_b32_e32 v11, 1
	s_addc_u32 s41, s35, s41
	s_waitcnt lgkmcnt(0)
	global_store_dwordx2 v17, v[10:11], s[40:41]
.LBB2205_34:
	s_or_b64 exec, exec, s[38:39]
	v_xad_u32 v12, v24, -1, s6
	v_add_u32_e32 v16, 64, v12
	v_lshlrev_b64 v[14:15], 3, v[16:17]
	v_mov_b32_e32 v11, s35
	v_add_co_u32_e32 v18, vcc, s34, v14
	v_addc_co_u32_e32 v19, vcc, v11, v15, vcc
	global_load_dwordx2 v[14:15], v[18:19], off glc
	s_waitcnt vmcnt(0)
	v_cmp_eq_u16_sdwa s[40:41], v15, v17 src0_sel:BYTE_0 src1_sel:DWORD
	s_and_saveexec_b64 s[38:39], s[40:41]
	s_cbranch_execz .LBB2205_38
; %bb.35:
	s_mov_b64 s[40:41], 0
	v_mov_b32_e32 v11, 0
.LBB2205_36:                            ; =>This Inner Loop Header: Depth=1
	global_load_dwordx2 v[14:15], v[18:19], off glc
	s_waitcnt vmcnt(0)
	v_cmp_ne_u16_sdwa s[42:43], v15, v11 src0_sel:BYTE_0 src1_sel:DWORD
	s_or_b64 s[40:41], s[42:43], s[40:41]
	s_andn2_b64 exec, exec, s[40:41]
	s_cbranch_execnz .LBB2205_36
; %bb.37:
	s_or_b64 exec, exec, s[40:41]
.LBB2205_38:
	s_or_b64 exec, exec, s[38:39]
	v_and_b32_e32 v30, 63, v24
	v_mov_b32_e32 v29, 2
	v_cmp_ne_u32_e32 vcc, 63, v30
	v_cmp_eq_u16_sdwa s[38:39], v15, v29 src0_sel:BYTE_0 src1_sel:DWORD
	v_lshlrev_b64 v[16:17], v24, -1
	v_addc_co_u32_e32 v18, vcc, 0, v24, vcc
	v_and_b32_e32 v11, s39, v17
	v_lshlrev_b32_e32 v31, 2, v18
	v_or_b32_e32 v11, 0x80000000, v11
	ds_bpermute_b32 v18, v31, v14
	v_and_b32_e32 v13, s38, v16
	v_ffbl_b32_e32 v11, v11
	v_add_u32_e32 v11, 32, v11
	v_ffbl_b32_e32 v13, v13
	v_min_u32_e32 v11, v13, v11
	v_cmp_lt_u32_e32 vcc, v30, v11
	s_waitcnt lgkmcnt(0)
	v_cndmask_b32_e32 v13, 0, v18, vcc
	v_cmp_gt_u32_e32 vcc, 62, v30
	v_add_u32_e32 v13, v13, v14
	v_cndmask_b32_e64 v14, 0, 1, vcc
	v_lshlrev_b32_e32 v14, 1, v14
	v_add_lshl_u32 v32, v14, v24, 2
	ds_bpermute_b32 v14, v32, v13
	v_add_u32_e32 v33, 2, v30
	v_cmp_le_u32_e32 vcc, v33, v11
	v_add_u32_e32 v35, 4, v30
	v_add_u32_e32 v37, 8, v30
	s_waitcnt lgkmcnt(0)
	v_cndmask_b32_e32 v14, 0, v14, vcc
	v_cmp_gt_u32_e32 vcc, 60, v30
	v_add_u32_e32 v13, v13, v14
	v_cndmask_b32_e64 v14, 0, 1, vcc
	v_lshlrev_b32_e32 v14, 2, v14
	v_add_lshl_u32 v34, v14, v24, 2
	ds_bpermute_b32 v14, v34, v13
	v_cmp_le_u32_e32 vcc, v35, v11
	v_add_u32_e32 v39, 16, v30
	v_add_u32_e32 v41, 32, v30
	s_waitcnt lgkmcnt(0)
	v_cndmask_b32_e32 v14, 0, v14, vcc
	v_cmp_gt_u32_e32 vcc, 56, v30
	v_add_u32_e32 v13, v13, v14
	v_cndmask_b32_e64 v14, 0, 1, vcc
	v_lshlrev_b32_e32 v14, 3, v14
	v_add_lshl_u32 v36, v14, v24, 2
	ds_bpermute_b32 v14, v36, v13
	v_cmp_le_u32_e32 vcc, v37, v11
	s_waitcnt lgkmcnt(0)
	v_cndmask_b32_e32 v14, 0, v14, vcc
	v_cmp_gt_u32_e32 vcc, 48, v30
	v_add_u32_e32 v13, v13, v14
	v_cndmask_b32_e64 v14, 0, 1, vcc
	v_lshlrev_b32_e32 v14, 4, v14
	v_add_lshl_u32 v38, v14, v24, 2
	ds_bpermute_b32 v14, v38, v13
	v_cmp_le_u32_e32 vcc, v39, v11
	;; [unrolled: 9-line block ×3, first 2 shown]
	s_waitcnt lgkmcnt(0)
	v_cndmask_b32_e32 v11, 0, v14, vcc
	v_add_u32_e32 v14, v13, v11
	v_mov_b32_e32 v13, 0
	s_branch .LBB2205_40
.LBB2205_39:                            ;   in Loop: Header=BB2205_40 Depth=1
	s_or_b64 exec, exec, s[38:39]
	v_cmp_eq_u16_sdwa s[38:39], v15, v29 src0_sel:BYTE_0 src1_sel:DWORD
	v_and_b32_e32 v18, s39, v17
	v_or_b32_e32 v18, 0x80000000, v18
	ds_bpermute_b32 v42, v31, v14
	v_and_b32_e32 v19, s38, v16
	v_ffbl_b32_e32 v18, v18
	v_add_u32_e32 v18, 32, v18
	v_ffbl_b32_e32 v19, v19
	v_min_u32_e32 v18, v19, v18
	v_cmp_lt_u32_e32 vcc, v30, v18
	s_waitcnt lgkmcnt(0)
	v_cndmask_b32_e32 v19, 0, v42, vcc
	v_add_u32_e32 v14, v19, v14
	ds_bpermute_b32 v19, v32, v14
	v_cmp_le_u32_e32 vcc, v33, v18
	v_subrev_u32_e32 v12, 64, v12
	s_waitcnt lgkmcnt(0)
	v_cndmask_b32_e32 v19, 0, v19, vcc
	v_add_u32_e32 v14, v14, v19
	ds_bpermute_b32 v19, v34, v14
	v_cmp_le_u32_e32 vcc, v35, v18
	s_waitcnt lgkmcnt(0)
	v_cndmask_b32_e32 v19, 0, v19, vcc
	v_add_u32_e32 v14, v14, v19
	ds_bpermute_b32 v19, v36, v14
	v_cmp_le_u32_e32 vcc, v37, v18
	;; [unrolled: 5-line block ×4, first 2 shown]
	s_waitcnt lgkmcnt(0)
	v_cndmask_b32_e32 v18, 0, v19, vcc
	v_add3_u32 v14, v18, v11, v14
.LBB2205_40:                            ; =>This Loop Header: Depth=1
                                        ;     Child Loop BB2205_43 Depth 2
	v_cmp_ne_u16_sdwa s[38:39], v15, v29 src0_sel:BYTE_0 src1_sel:DWORD
	v_cndmask_b32_e64 v11, 0, 1, s[38:39]
	;;#ASMSTART
	;;#ASMEND
	v_cmp_ne_u32_e32 vcc, 0, v11
	s_cmp_lg_u64 vcc, exec
	v_mov_b32_e32 v11, v14
	s_cbranch_scc1 .LBB2205_45
; %bb.41:                               ;   in Loop: Header=BB2205_40 Depth=1
	v_lshlrev_b64 v[14:15], 3, v[12:13]
	v_mov_b32_e32 v19, s35
	v_add_co_u32_e32 v18, vcc, s34, v14
	v_addc_co_u32_e32 v19, vcc, v19, v15, vcc
	global_load_dwordx2 v[14:15], v[18:19], off glc
	s_waitcnt vmcnt(0)
	v_cmp_eq_u16_sdwa s[40:41], v15, v13 src0_sel:BYTE_0 src1_sel:DWORD
	s_and_saveexec_b64 s[38:39], s[40:41]
	s_cbranch_execz .LBB2205_39
; %bb.42:                               ;   in Loop: Header=BB2205_40 Depth=1
	s_mov_b64 s[40:41], 0
.LBB2205_43:                            ;   Parent Loop BB2205_40 Depth=1
                                        ; =>  This Inner Loop Header: Depth=2
	global_load_dwordx2 v[14:15], v[18:19], off glc
	s_waitcnt vmcnt(0)
	v_cmp_ne_u16_sdwa s[42:43], v15, v13 src0_sel:BYTE_0 src1_sel:DWORD
	s_or_b64 s[40:41], s[42:43], s[40:41]
	s_andn2_b64 exec, exec, s[40:41]
	s_cbranch_execnz .LBB2205_43
; %bb.44:                               ;   in Loop: Header=BB2205_40 Depth=1
	s_or_b64 exec, exec, s[40:41]
	s_branch .LBB2205_39
.LBB2205_45:                            ;   in Loop: Header=BB2205_40 Depth=1
                                        ; implicit-def: $vgpr14
                                        ; implicit-def: $vgpr15
	s_cbranch_execz .LBB2205_40
; %bb.46:
	s_and_saveexec_b64 s[38:39], s[16:17]
	s_cbranch_execz .LBB2205_48
; %bb.47:
	s_add_i32 s6, s6, 64
	s_mov_b32 s7, 0
	s_lshl_b64 s[6:7], s[6:7], 3
	s_add_u32 s6, s34, s6
	v_add_u32_e32 v12, v11, v10
	v_mov_b32_e32 v13, 2
	s_addc_u32 s7, s35, s7
	v_mov_b32_e32 v14, 0
	global_store_dwordx2 v14, v[12:13], s[6:7]
	ds_write_b64 v14, v[10:11] offset:6336
.LBB2205_48:
	s_or_b64 exec, exec, s[38:39]
	v_cmp_eq_u32_e32 vcc, 0, v0
	s_and_b64 exec, exec, vcc
	s_cbranch_execz .LBB2205_50
; %bb.49:
	v_mov_b32_e32 v10, 0
	ds_write_b32 v10, v11 offset:8
.LBB2205_50:
	s_or_b64 exec, exec, s[36:37]
	v_mov_b32_e32 v10, 0
	s_waitcnt lgkmcnt(0)
	s_barrier
	ds_read_b32 v11, v10 offset:8
	v_cndmask_b32_e64 v12, v28, v27, s[16:17]
	v_cmp_ne_u32_e32 vcc, 0, v0
	v_cndmask_b32_e32 v12, 0, v12, vcc
	s_waitcnt lgkmcnt(0)
	v_add_u32_e32 v14, v11, v12
	s_barrier
	ds_read_b64 v[10:11], v10 offset:6336
	v_add_u32_sdwa v15, v14, v22 dst_sel:DWORD dst_unused:UNUSED_PAD src0_sel:DWORD src1_sel:BYTE_0
	v_add_u32_sdwa v13, v15, v22 dst_sel:DWORD dst_unused:UNUSED_PAD src0_sel:DWORD src1_sel:BYTE_1
	v_add_u32_e32 v12, v13, v23
	s_branch .LBB2205_61
.LBB2205_51:
                                        ; implicit-def: $vgpr11
                                        ; implicit-def: $vgpr12
                                        ; implicit-def: $vgpr13
                                        ; implicit-def: $vgpr15
                                        ; implicit-def: $vgpr14
	s_cbranch_execz .LBB2205_61
; %bb.52:
	s_waitcnt lgkmcnt(0)
	v_mov_b32_dpp v10, v26 row_shr:1 row_mask:0xf bank_mask:0xf
	v_cndmask_b32_e64 v10, v10, 0, s[14:15]
	v_add_u32_e32 v10, v10, v26
	s_nop 1
	v_mov_b32_dpp v11, v10 row_shr:2 row_mask:0xf bank_mask:0xf
	v_cndmask_b32_e64 v11, 0, v11, s[12:13]
	v_add_u32_e32 v10, v10, v11
	s_nop 1
	;; [unrolled: 4-line block ×4, first 2 shown]
	v_mov_b32_dpp v11, v10 row_bcast:15 row_mask:0xf bank_mask:0xf
	v_cndmask_b32_e64 v11, v11, 0, s[2:3]
	v_add_u32_e32 v10, v10, v11
	s_nop 1
	v_mov_b32_dpp v11, v10 row_bcast:31 row_mask:0xf bank_mask:0xf
	v_cndmask_b32_e64 v11, 0, v11, s[0:1]
	v_add_u32_e32 v10, v10, v11
	s_and_saveexec_b64 s[0:1], s[18:19]
	s_cbranch_execz .LBB2205_54
; %bb.53:
	v_lshlrev_b32_e32 v11, 2, v25
	ds_write_b32 v11, v10
.LBB2205_54:
	s_or_b64 exec, exec, s[0:1]
	v_cmp_gt_u32_e32 vcc, 3, v0
	s_waitcnt lgkmcnt(0)
	s_barrier
	s_and_saveexec_b64 s[0:1], vcc
	s_cbranch_execz .LBB2205_56
; %bb.55:
	ds_read_b32 v11, v20
	v_and_b32_e32 v12, 3, v24
	v_cmp_ne_u32_e32 vcc, 0, v12
	s_waitcnt lgkmcnt(0)
	v_mov_b32_dpp v13, v11 row_shr:1 row_mask:0xf bank_mask:0xf
	v_cndmask_b32_e32 v13, 0, v13, vcc
	v_add_u32_e32 v11, v13, v11
	v_cmp_lt_u32_e32 vcc, 1, v12
	s_nop 0
	v_mov_b32_dpp v13, v11 row_shr:2 row_mask:0xf bank_mask:0xf
	v_cndmask_b32_e32 v12, 0, v13, vcc
	v_add_u32_e32 v11, v11, v12
	ds_write_b32 v20, v11
.LBB2205_56:
	s_or_b64 exec, exec, s[0:1]
	v_cmp_lt_u32_e32 vcc, 63, v0
	v_mov_b32_e32 v11, 0
	v_mov_b32_e32 v12, 0
	s_waitcnt lgkmcnt(0)
	s_barrier
	s_and_saveexec_b64 s[0:1], vcc
	s_cbranch_execz .LBB2205_58
; %bb.57:
	v_lshl_add_u32 v12, v25, 2, -4
	ds_read_b32 v12, v12
.LBB2205_58:
	s_or_b64 exec, exec, s[0:1]
	v_add_u32_e32 v13, -1, v24
	v_and_b32_e32 v14, 64, v24
	v_cmp_lt_i32_e32 vcc, v13, v14
	v_cndmask_b32_e32 v13, v13, v24, vcc
	s_waitcnt lgkmcnt(0)
	v_add_u32_e32 v10, v12, v10
	v_lshlrev_b32_e32 v13, 2, v13
	ds_bpermute_b32 v13, v13, v10
	ds_read_b32 v10, v11 offset:8
	v_cmp_eq_u32_e32 vcc, 0, v0
	s_and_saveexec_b64 s[0:1], vcc
	s_cbranch_execz .LBB2205_60
; %bb.59:
	v_mov_b32_e32 v14, 0
	v_mov_b32_e32 v11, 2
	s_waitcnt lgkmcnt(0)
	global_store_dwordx2 v14, v[10:11], s[34:35] offset:512
.LBB2205_60:
	s_or_b64 exec, exec, s[0:1]
	v_cmp_eq_u32_e64 s[0:1], 0, v24
	s_waitcnt lgkmcnt(1)
	v_cndmask_b32_e64 v12, v13, v12, s[0:1]
	v_cndmask_b32_e64 v14, v12, 0, vcc
	v_add_u32_sdwa v15, v14, v22 dst_sel:DWORD dst_unused:UNUSED_PAD src0_sel:DWORD src1_sel:BYTE_0
	v_add_u32_sdwa v13, v15, v22 dst_sel:DWORD dst_unused:UNUSED_PAD src0_sel:DWORD src1_sel:BYTE_1
	v_mov_b32_e32 v11, 0
	v_add_u32_e32 v12, v13, v23
	s_waitcnt lgkmcnt(0)
	s_barrier
.LBB2205_61:
	s_waitcnt lgkmcnt(0)
	v_add_u32_e32 v17, v10, v20
	v_sub_u32_e32 v14, v14, v11
	v_and_b32_e32 v19, 1, v22
	v_sub_u32_e32 v18, v17, v14
	v_cmp_eq_u32_e32 vcc, 1, v19
	v_cndmask_b32_e32 v14, v18, v14, vcc
	v_lshlrev_b32_e32 v14, 3, v14
	v_lshrrev_b32_e32 v16, 8, v22
	ds_write_b64 v14, v[6:7]
	v_sub_u32_e32 v6, v15, v11
	v_sub_u32_e32 v7, v17, v6
	v_and_b32_e32 v14, 1, v16
	v_add_u32_e32 v7, 1, v7
	v_cmp_eq_u32_e32 vcc, 1, v14
	v_cndmask_b32_e32 v6, v7, v6, vcc
	v_lshlrev_b32_e32 v6, 3, v6
	ds_write_b64 v6, v[8:9]
	v_sub_u32_e32 v6, v13, v11
	v_mov_b32_e32 v8, 1
	v_sub_u32_e32 v7, v17, v6
	v_and_b32_sdwa v8, v8, v22 dst_sel:DWORD dst_unused:UNUSED_PAD src0_sel:DWORD src1_sel:WORD_1
	v_add_u32_e32 v7, 2, v7
	v_cmp_eq_u32_e32 vcc, 1, v8
	v_cndmask_b32_e32 v6, v7, v6, vcc
	v_lshlrev_b32_e32 v6, 3, v6
	ds_write_b64 v6, v[2:3]
	v_sub_u32_e32 v2, v12, v11
	v_sub_u32_e32 v3, v17, v2
	v_and_b32_e32 v6, 1, v21
	v_add_u32_e32 v3, 3, v3
	v_cmp_eq_u32_e32 vcc, 1, v6
	v_cndmask_b32_e32 v2, v3, v2, vcc
	v_mov_b32_e32 v12, s31
	v_add_co_u32_e32 v20, vcc, s30, v11
	v_addc_co_u32_e32 v21, vcc, 0, v12, vcc
	s_load_dwordx4 s[0:3], s[4:5], 0x30
	v_add_co_u32_e32 v12, vcc, v20, v10
	v_addc_co_u32_e32 v13, vcc, 0, v21, vcc
	v_mov_b32_e32 v11, s27
	v_sub_co_u32_e32 v16, vcc, s26, v12
	v_subb_co_u32_e32 v17, vcc, v11, v13, vcc
	v_lshlrev_b32_e32 v2, 3, v2
	v_lshlrev_b64 v[16:17], 3, v[16:17]
	ds_write_b64 v2, v[4:5]
	s_waitcnt lgkmcnt(0)
	s_barrier
	ds_read2st64_b64 v[6:9], v1 offset1:3
	ds_read2st64_b64 v[2:5], v1 offset0:6 offset1:9
	v_mov_b32_e32 v11, s3
	v_add_co_u32_e32 v16, vcc, s2, v16
	v_addc_co_u32_e32 v17, vcc, v11, v17, vcc
	v_mov_b32_e32 v18, s29
	v_add_co_u32_e32 v11, vcc, s28, v16
	v_lshlrev_b64 v[20:21], 3, v[20:21]
	v_addc_co_u32_e32 v16, vcc, v17, v18, vcc
	v_mov_b32_e32 v18, s1
	v_add_co_u32_e64 v17, s[0:1], s0, v20
	v_add_u32_e32 v19, 0xc0, v0
	v_add_u32_e32 v15, 0x180, v0
	;; [unrolled: 1-line block ×3, first 2 shown]
	s_andn2_b64 vcc, exec, s[24:25]
	v_addc_co_u32_e64 v18, s[0:1], v18, v21, s[0:1]
	s_cbranch_vccnz .LBB2205_63
; %bb.62:
	v_cmp_lt_u32_e32 vcc, v0, v10
	v_cndmask_b32_e32 v20, v11, v17, vcc
	v_cndmask_b32_e32 v21, v16, v18, vcc
	v_add_co_u32_e32 v20, vcc, v20, v1
	v_addc_co_u32_e32 v21, vcc, 0, v21, vcc
	v_cmp_lt_u32_e32 vcc, v19, v10
	s_waitcnt lgkmcnt(1)
	global_store_dwordx2 v[20:21], v[6:7], off
	v_cndmask_b32_e32 v20, v11, v17, vcc
	v_cndmask_b32_e32 v21, v16, v18, vcc
	v_add_co_u32_e32 v20, vcc, v20, v1
	v_addc_co_u32_e32 v21, vcc, 0, v21, vcc
	v_cmp_lt_u32_e32 vcc, v15, v10
	global_store_dwordx2 v[20:21], v[8:9], off offset:1536
	v_cndmask_b32_e32 v20, v11, v17, vcc
	v_cndmask_b32_e32 v21, v16, v18, vcc
	v_add_co_u32_e32 v20, vcc, v20, v1
	v_addc_co_u32_e32 v21, vcc, 0, v21, vcc
	s_mov_b64 s[0:1], -1
	s_waitcnt lgkmcnt(0)
	global_store_dwordx2 v[20:21], v[2:3], off offset:3072
	s_cbranch_execz .LBB2205_64
	s_branch .LBB2205_69
.LBB2205_63:
	s_mov_b64 s[0:1], 0
.LBB2205_64:
	v_cmp_gt_u32_e32 vcc, s33, v0
	s_and_saveexec_b64 s[0:1], vcc
	s_cbranch_execnz .LBB2205_74
; %bb.65:
	s_or_b64 exec, exec, s[0:1]
	v_cmp_gt_u32_e32 vcc, s33, v19
	s_and_saveexec_b64 s[0:1], vcc
	s_cbranch_execnz .LBB2205_75
.LBB2205_66:
	s_or_b64 exec, exec, s[0:1]
	v_cmp_gt_u32_e32 vcc, s33, v15
	s_and_saveexec_b64 s[0:1], vcc
	s_cbranch_execz .LBB2205_68
.LBB2205_67:
	v_cmp_lt_u32_e32 vcc, v15, v10
	s_waitcnt lgkmcnt(1)
	v_cndmask_b32_e32 v6, v11, v17, vcc
	v_cndmask_b32_e32 v7, v16, v18, vcc
	v_add_co_u32_e32 v6, vcc, v6, v1
	v_addc_co_u32_e32 v7, vcc, 0, v7, vcc
	s_waitcnt lgkmcnt(0)
	global_store_dwordx2 v[6:7], v[2:3], off offset:3072
.LBB2205_68:
	s_or_b64 exec, exec, s[0:1]
	v_cmp_gt_u32_e64 s[0:1], s33, v14
.LBB2205_69:
	s_and_saveexec_b64 s[2:3], s[0:1]
	s_cbranch_execz .LBB2205_71
; %bb.70:
	v_cmp_lt_u32_e32 vcc, v14, v10
	s_waitcnt lgkmcnt(0)
	v_cndmask_b32_e32 v2, v11, v17, vcc
	v_lshlrev_b32_e32 v3, 3, v14
	v_cndmask_b32_e32 v1, v16, v18, vcc
	v_add_co_u32_e32 v2, vcc, v2, v3
	v_addc_co_u32_e32 v3, vcc, 0, v1, vcc
	global_store_dwordx2 v[2:3], v[4:5], off
.LBB2205_71:
	s_or_b64 exec, exec, s[2:3]
	v_cmp_eq_u32_e32 vcc, 0, v0
	s_and_b64 s[0:1], vcc, s[22:23]
	s_and_saveexec_b64 s[2:3], s[0:1]
	s_cbranch_execz .LBB2205_73
; %bb.72:
	v_mov_b32_e32 v0, 0
	global_store_dwordx2 v0, v[12:13], s[20:21]
.LBB2205_73:
	s_endpgm
.LBB2205_74:
	v_cmp_lt_u32_e32 vcc, v0, v10
	v_cndmask_b32_e32 v20, v11, v17, vcc
	v_cndmask_b32_e32 v21, v16, v18, vcc
	v_add_co_u32_e32 v20, vcc, v20, v1
	v_addc_co_u32_e32 v21, vcc, 0, v21, vcc
	s_waitcnt lgkmcnt(1)
	global_store_dwordx2 v[20:21], v[6:7], off
	s_or_b64 exec, exec, s[0:1]
	v_cmp_gt_u32_e32 vcc, s33, v19
	s_and_saveexec_b64 s[0:1], vcc
	s_cbranch_execz .LBB2205_66
.LBB2205_75:
	v_cmp_lt_u32_e32 vcc, v19, v10
	s_waitcnt lgkmcnt(1)
	v_cndmask_b32_e32 v6, v11, v17, vcc
	v_cndmask_b32_e32 v7, v16, v18, vcc
	v_add_co_u32_e32 v6, vcc, v6, v1
	v_addc_co_u32_e32 v7, vcc, 0, v7, vcc
	global_store_dwordx2 v[6:7], v[8:9], off offset:1536
	s_or_b64 exec, exec, s[0:1]
	v_cmp_gt_u32_e32 vcc, s33, v15
	s_and_saveexec_b64 s[0:1], vcc
	s_cbranch_execnz .LBB2205_67
	s_branch .LBB2205_68
	.section	.rodata,"a",@progbits
	.p2align	6, 0x0
	.amdhsa_kernel _ZN7rocprim17ROCPRIM_400000_NS6detail17trampoline_kernelINS0_14default_configENS1_25partition_config_selectorILNS1_17partition_subalgoE1EyNS0_10empty_typeEbEEZZNS1_14partition_implILS5_1ELb0ES3_jN6thrust23THRUST_200600_302600_NS6detail15normal_iteratorINSA_10device_ptrIyEEEEPS6_NSA_18transform_iteratorI7is_evenIyESF_NSA_11use_defaultESK_EENS0_5tupleIJSF_SF_EEENSM_IJSG_SG_EEES6_PlJS6_EEE10hipError_tPvRmT3_T4_T5_T6_T7_T9_mT8_P12ihipStream_tbDpT10_ENKUlT_T0_E_clISt17integral_constantIbLb0EES19_EEDaS14_S15_EUlS14_E_NS1_11comp_targetILNS1_3genE4ELNS1_11target_archE910ELNS1_3gpuE8ELNS1_3repE0EEENS1_30default_config_static_selectorELNS0_4arch9wavefront6targetE1EEEvT1_
		.amdhsa_group_segment_fixed_size 6344
		.amdhsa_private_segment_fixed_size 0
		.amdhsa_kernarg_size 128
		.amdhsa_user_sgpr_count 6
		.amdhsa_user_sgpr_private_segment_buffer 1
		.amdhsa_user_sgpr_dispatch_ptr 0
		.amdhsa_user_sgpr_queue_ptr 0
		.amdhsa_user_sgpr_kernarg_segment_ptr 1
		.amdhsa_user_sgpr_dispatch_id 0
		.amdhsa_user_sgpr_flat_scratch_init 0
		.amdhsa_user_sgpr_kernarg_preload_length 0
		.amdhsa_user_sgpr_kernarg_preload_offset 0
		.amdhsa_user_sgpr_private_segment_size 0
		.amdhsa_uses_dynamic_stack 0
		.amdhsa_system_sgpr_private_segment_wavefront_offset 0
		.amdhsa_system_sgpr_workgroup_id_x 1
		.amdhsa_system_sgpr_workgroup_id_y 0
		.amdhsa_system_sgpr_workgroup_id_z 0
		.amdhsa_system_sgpr_workgroup_info 0
		.amdhsa_system_vgpr_workitem_id 0
		.amdhsa_next_free_vgpr 43
		.amdhsa_next_free_sgpr 44
		.amdhsa_accum_offset 44
		.amdhsa_reserve_vcc 1
		.amdhsa_reserve_flat_scratch 0
		.amdhsa_float_round_mode_32 0
		.amdhsa_float_round_mode_16_64 0
		.amdhsa_float_denorm_mode_32 3
		.amdhsa_float_denorm_mode_16_64 3
		.amdhsa_dx10_clamp 1
		.amdhsa_ieee_mode 1
		.amdhsa_fp16_overflow 0
		.amdhsa_tg_split 0
		.amdhsa_exception_fp_ieee_invalid_op 0
		.amdhsa_exception_fp_denorm_src 0
		.amdhsa_exception_fp_ieee_div_zero 0
		.amdhsa_exception_fp_ieee_overflow 0
		.amdhsa_exception_fp_ieee_underflow 0
		.amdhsa_exception_fp_ieee_inexact 0
		.amdhsa_exception_int_div_zero 0
	.end_amdhsa_kernel
	.section	.text._ZN7rocprim17ROCPRIM_400000_NS6detail17trampoline_kernelINS0_14default_configENS1_25partition_config_selectorILNS1_17partition_subalgoE1EyNS0_10empty_typeEbEEZZNS1_14partition_implILS5_1ELb0ES3_jN6thrust23THRUST_200600_302600_NS6detail15normal_iteratorINSA_10device_ptrIyEEEEPS6_NSA_18transform_iteratorI7is_evenIyESF_NSA_11use_defaultESK_EENS0_5tupleIJSF_SF_EEENSM_IJSG_SG_EEES6_PlJS6_EEE10hipError_tPvRmT3_T4_T5_T6_T7_T9_mT8_P12ihipStream_tbDpT10_ENKUlT_T0_E_clISt17integral_constantIbLb0EES19_EEDaS14_S15_EUlS14_E_NS1_11comp_targetILNS1_3genE4ELNS1_11target_archE910ELNS1_3gpuE8ELNS1_3repE0EEENS1_30default_config_static_selectorELNS0_4arch9wavefront6targetE1EEEvT1_,"axG",@progbits,_ZN7rocprim17ROCPRIM_400000_NS6detail17trampoline_kernelINS0_14default_configENS1_25partition_config_selectorILNS1_17partition_subalgoE1EyNS0_10empty_typeEbEEZZNS1_14partition_implILS5_1ELb0ES3_jN6thrust23THRUST_200600_302600_NS6detail15normal_iteratorINSA_10device_ptrIyEEEEPS6_NSA_18transform_iteratorI7is_evenIyESF_NSA_11use_defaultESK_EENS0_5tupleIJSF_SF_EEENSM_IJSG_SG_EEES6_PlJS6_EEE10hipError_tPvRmT3_T4_T5_T6_T7_T9_mT8_P12ihipStream_tbDpT10_ENKUlT_T0_E_clISt17integral_constantIbLb0EES19_EEDaS14_S15_EUlS14_E_NS1_11comp_targetILNS1_3genE4ELNS1_11target_archE910ELNS1_3gpuE8ELNS1_3repE0EEENS1_30default_config_static_selectorELNS0_4arch9wavefront6targetE1EEEvT1_,comdat
.Lfunc_end2205:
	.size	_ZN7rocprim17ROCPRIM_400000_NS6detail17trampoline_kernelINS0_14default_configENS1_25partition_config_selectorILNS1_17partition_subalgoE1EyNS0_10empty_typeEbEEZZNS1_14partition_implILS5_1ELb0ES3_jN6thrust23THRUST_200600_302600_NS6detail15normal_iteratorINSA_10device_ptrIyEEEEPS6_NSA_18transform_iteratorI7is_evenIyESF_NSA_11use_defaultESK_EENS0_5tupleIJSF_SF_EEENSM_IJSG_SG_EEES6_PlJS6_EEE10hipError_tPvRmT3_T4_T5_T6_T7_T9_mT8_P12ihipStream_tbDpT10_ENKUlT_T0_E_clISt17integral_constantIbLb0EES19_EEDaS14_S15_EUlS14_E_NS1_11comp_targetILNS1_3genE4ELNS1_11target_archE910ELNS1_3gpuE8ELNS1_3repE0EEENS1_30default_config_static_selectorELNS0_4arch9wavefront6targetE1EEEvT1_, .Lfunc_end2205-_ZN7rocprim17ROCPRIM_400000_NS6detail17trampoline_kernelINS0_14default_configENS1_25partition_config_selectorILNS1_17partition_subalgoE1EyNS0_10empty_typeEbEEZZNS1_14partition_implILS5_1ELb0ES3_jN6thrust23THRUST_200600_302600_NS6detail15normal_iteratorINSA_10device_ptrIyEEEEPS6_NSA_18transform_iteratorI7is_evenIyESF_NSA_11use_defaultESK_EENS0_5tupleIJSF_SF_EEENSM_IJSG_SG_EEES6_PlJS6_EEE10hipError_tPvRmT3_T4_T5_T6_T7_T9_mT8_P12ihipStream_tbDpT10_ENKUlT_T0_E_clISt17integral_constantIbLb0EES19_EEDaS14_S15_EUlS14_E_NS1_11comp_targetILNS1_3genE4ELNS1_11target_archE910ELNS1_3gpuE8ELNS1_3repE0EEENS1_30default_config_static_selectorELNS0_4arch9wavefront6targetE1EEEvT1_
                                        ; -- End function
	.section	.AMDGPU.csdata,"",@progbits
; Kernel info:
; codeLenInByte = 3924
; NumSgprs: 48
; NumVgprs: 43
; NumAgprs: 0
; TotalNumVgprs: 43
; ScratchSize: 0
; MemoryBound: 0
; FloatMode: 240
; IeeeMode: 1
; LDSByteSize: 6344 bytes/workgroup (compile time only)
; SGPRBlocks: 5
; VGPRBlocks: 5
; NumSGPRsForWavesPerEU: 48
; NumVGPRsForWavesPerEU: 43
; AccumOffset: 44
; Occupancy: 8
; WaveLimiterHint : 1
; COMPUTE_PGM_RSRC2:SCRATCH_EN: 0
; COMPUTE_PGM_RSRC2:USER_SGPR: 6
; COMPUTE_PGM_RSRC2:TRAP_HANDLER: 0
; COMPUTE_PGM_RSRC2:TGID_X_EN: 1
; COMPUTE_PGM_RSRC2:TGID_Y_EN: 0
; COMPUTE_PGM_RSRC2:TGID_Z_EN: 0
; COMPUTE_PGM_RSRC2:TIDIG_COMP_CNT: 0
; COMPUTE_PGM_RSRC3_GFX90A:ACCUM_OFFSET: 10
; COMPUTE_PGM_RSRC3_GFX90A:TG_SPLIT: 0
	.section	.text._ZN7rocprim17ROCPRIM_400000_NS6detail17trampoline_kernelINS0_14default_configENS1_25partition_config_selectorILNS1_17partition_subalgoE1EyNS0_10empty_typeEbEEZZNS1_14partition_implILS5_1ELb0ES3_jN6thrust23THRUST_200600_302600_NS6detail15normal_iteratorINSA_10device_ptrIyEEEEPS6_NSA_18transform_iteratorI7is_evenIyESF_NSA_11use_defaultESK_EENS0_5tupleIJSF_SF_EEENSM_IJSG_SG_EEES6_PlJS6_EEE10hipError_tPvRmT3_T4_T5_T6_T7_T9_mT8_P12ihipStream_tbDpT10_ENKUlT_T0_E_clISt17integral_constantIbLb0EES19_EEDaS14_S15_EUlS14_E_NS1_11comp_targetILNS1_3genE3ELNS1_11target_archE908ELNS1_3gpuE7ELNS1_3repE0EEENS1_30default_config_static_selectorELNS0_4arch9wavefront6targetE1EEEvT1_,"axG",@progbits,_ZN7rocprim17ROCPRIM_400000_NS6detail17trampoline_kernelINS0_14default_configENS1_25partition_config_selectorILNS1_17partition_subalgoE1EyNS0_10empty_typeEbEEZZNS1_14partition_implILS5_1ELb0ES3_jN6thrust23THRUST_200600_302600_NS6detail15normal_iteratorINSA_10device_ptrIyEEEEPS6_NSA_18transform_iteratorI7is_evenIyESF_NSA_11use_defaultESK_EENS0_5tupleIJSF_SF_EEENSM_IJSG_SG_EEES6_PlJS6_EEE10hipError_tPvRmT3_T4_T5_T6_T7_T9_mT8_P12ihipStream_tbDpT10_ENKUlT_T0_E_clISt17integral_constantIbLb0EES19_EEDaS14_S15_EUlS14_E_NS1_11comp_targetILNS1_3genE3ELNS1_11target_archE908ELNS1_3gpuE7ELNS1_3repE0EEENS1_30default_config_static_selectorELNS0_4arch9wavefront6targetE1EEEvT1_,comdat
	.protected	_ZN7rocprim17ROCPRIM_400000_NS6detail17trampoline_kernelINS0_14default_configENS1_25partition_config_selectorILNS1_17partition_subalgoE1EyNS0_10empty_typeEbEEZZNS1_14partition_implILS5_1ELb0ES3_jN6thrust23THRUST_200600_302600_NS6detail15normal_iteratorINSA_10device_ptrIyEEEEPS6_NSA_18transform_iteratorI7is_evenIyESF_NSA_11use_defaultESK_EENS0_5tupleIJSF_SF_EEENSM_IJSG_SG_EEES6_PlJS6_EEE10hipError_tPvRmT3_T4_T5_T6_T7_T9_mT8_P12ihipStream_tbDpT10_ENKUlT_T0_E_clISt17integral_constantIbLb0EES19_EEDaS14_S15_EUlS14_E_NS1_11comp_targetILNS1_3genE3ELNS1_11target_archE908ELNS1_3gpuE7ELNS1_3repE0EEENS1_30default_config_static_selectorELNS0_4arch9wavefront6targetE1EEEvT1_ ; -- Begin function _ZN7rocprim17ROCPRIM_400000_NS6detail17trampoline_kernelINS0_14default_configENS1_25partition_config_selectorILNS1_17partition_subalgoE1EyNS0_10empty_typeEbEEZZNS1_14partition_implILS5_1ELb0ES3_jN6thrust23THRUST_200600_302600_NS6detail15normal_iteratorINSA_10device_ptrIyEEEEPS6_NSA_18transform_iteratorI7is_evenIyESF_NSA_11use_defaultESK_EENS0_5tupleIJSF_SF_EEENSM_IJSG_SG_EEES6_PlJS6_EEE10hipError_tPvRmT3_T4_T5_T6_T7_T9_mT8_P12ihipStream_tbDpT10_ENKUlT_T0_E_clISt17integral_constantIbLb0EES19_EEDaS14_S15_EUlS14_E_NS1_11comp_targetILNS1_3genE3ELNS1_11target_archE908ELNS1_3gpuE7ELNS1_3repE0EEENS1_30default_config_static_selectorELNS0_4arch9wavefront6targetE1EEEvT1_
	.globl	_ZN7rocprim17ROCPRIM_400000_NS6detail17trampoline_kernelINS0_14default_configENS1_25partition_config_selectorILNS1_17partition_subalgoE1EyNS0_10empty_typeEbEEZZNS1_14partition_implILS5_1ELb0ES3_jN6thrust23THRUST_200600_302600_NS6detail15normal_iteratorINSA_10device_ptrIyEEEEPS6_NSA_18transform_iteratorI7is_evenIyESF_NSA_11use_defaultESK_EENS0_5tupleIJSF_SF_EEENSM_IJSG_SG_EEES6_PlJS6_EEE10hipError_tPvRmT3_T4_T5_T6_T7_T9_mT8_P12ihipStream_tbDpT10_ENKUlT_T0_E_clISt17integral_constantIbLb0EES19_EEDaS14_S15_EUlS14_E_NS1_11comp_targetILNS1_3genE3ELNS1_11target_archE908ELNS1_3gpuE7ELNS1_3repE0EEENS1_30default_config_static_selectorELNS0_4arch9wavefront6targetE1EEEvT1_
	.p2align	8
	.type	_ZN7rocprim17ROCPRIM_400000_NS6detail17trampoline_kernelINS0_14default_configENS1_25partition_config_selectorILNS1_17partition_subalgoE1EyNS0_10empty_typeEbEEZZNS1_14partition_implILS5_1ELb0ES3_jN6thrust23THRUST_200600_302600_NS6detail15normal_iteratorINSA_10device_ptrIyEEEEPS6_NSA_18transform_iteratorI7is_evenIyESF_NSA_11use_defaultESK_EENS0_5tupleIJSF_SF_EEENSM_IJSG_SG_EEES6_PlJS6_EEE10hipError_tPvRmT3_T4_T5_T6_T7_T9_mT8_P12ihipStream_tbDpT10_ENKUlT_T0_E_clISt17integral_constantIbLb0EES19_EEDaS14_S15_EUlS14_E_NS1_11comp_targetILNS1_3genE3ELNS1_11target_archE908ELNS1_3gpuE7ELNS1_3repE0EEENS1_30default_config_static_selectorELNS0_4arch9wavefront6targetE1EEEvT1_,@function
_ZN7rocprim17ROCPRIM_400000_NS6detail17trampoline_kernelINS0_14default_configENS1_25partition_config_selectorILNS1_17partition_subalgoE1EyNS0_10empty_typeEbEEZZNS1_14partition_implILS5_1ELb0ES3_jN6thrust23THRUST_200600_302600_NS6detail15normal_iteratorINSA_10device_ptrIyEEEEPS6_NSA_18transform_iteratorI7is_evenIyESF_NSA_11use_defaultESK_EENS0_5tupleIJSF_SF_EEENSM_IJSG_SG_EEES6_PlJS6_EEE10hipError_tPvRmT3_T4_T5_T6_T7_T9_mT8_P12ihipStream_tbDpT10_ENKUlT_T0_E_clISt17integral_constantIbLb0EES19_EEDaS14_S15_EUlS14_E_NS1_11comp_targetILNS1_3genE3ELNS1_11target_archE908ELNS1_3gpuE7ELNS1_3repE0EEENS1_30default_config_static_selectorELNS0_4arch9wavefront6targetE1EEEvT1_: ; @_ZN7rocprim17ROCPRIM_400000_NS6detail17trampoline_kernelINS0_14default_configENS1_25partition_config_selectorILNS1_17partition_subalgoE1EyNS0_10empty_typeEbEEZZNS1_14partition_implILS5_1ELb0ES3_jN6thrust23THRUST_200600_302600_NS6detail15normal_iteratorINSA_10device_ptrIyEEEEPS6_NSA_18transform_iteratorI7is_evenIyESF_NSA_11use_defaultESK_EENS0_5tupleIJSF_SF_EEENSM_IJSG_SG_EEES6_PlJS6_EEE10hipError_tPvRmT3_T4_T5_T6_T7_T9_mT8_P12ihipStream_tbDpT10_ENKUlT_T0_E_clISt17integral_constantIbLb0EES19_EEDaS14_S15_EUlS14_E_NS1_11comp_targetILNS1_3genE3ELNS1_11target_archE908ELNS1_3gpuE7ELNS1_3repE0EEENS1_30default_config_static_selectorELNS0_4arch9wavefront6targetE1EEEvT1_
; %bb.0:
	.section	.rodata,"a",@progbits
	.p2align	6, 0x0
	.amdhsa_kernel _ZN7rocprim17ROCPRIM_400000_NS6detail17trampoline_kernelINS0_14default_configENS1_25partition_config_selectorILNS1_17partition_subalgoE1EyNS0_10empty_typeEbEEZZNS1_14partition_implILS5_1ELb0ES3_jN6thrust23THRUST_200600_302600_NS6detail15normal_iteratorINSA_10device_ptrIyEEEEPS6_NSA_18transform_iteratorI7is_evenIyESF_NSA_11use_defaultESK_EENS0_5tupleIJSF_SF_EEENSM_IJSG_SG_EEES6_PlJS6_EEE10hipError_tPvRmT3_T4_T5_T6_T7_T9_mT8_P12ihipStream_tbDpT10_ENKUlT_T0_E_clISt17integral_constantIbLb0EES19_EEDaS14_S15_EUlS14_E_NS1_11comp_targetILNS1_3genE3ELNS1_11target_archE908ELNS1_3gpuE7ELNS1_3repE0EEENS1_30default_config_static_selectorELNS0_4arch9wavefront6targetE1EEEvT1_
		.amdhsa_group_segment_fixed_size 0
		.amdhsa_private_segment_fixed_size 0
		.amdhsa_kernarg_size 128
		.amdhsa_user_sgpr_count 6
		.amdhsa_user_sgpr_private_segment_buffer 1
		.amdhsa_user_sgpr_dispatch_ptr 0
		.amdhsa_user_sgpr_queue_ptr 0
		.amdhsa_user_sgpr_kernarg_segment_ptr 1
		.amdhsa_user_sgpr_dispatch_id 0
		.amdhsa_user_sgpr_flat_scratch_init 0
		.amdhsa_user_sgpr_kernarg_preload_length 0
		.amdhsa_user_sgpr_kernarg_preload_offset 0
		.amdhsa_user_sgpr_private_segment_size 0
		.amdhsa_uses_dynamic_stack 0
		.amdhsa_system_sgpr_private_segment_wavefront_offset 0
		.amdhsa_system_sgpr_workgroup_id_x 1
		.amdhsa_system_sgpr_workgroup_id_y 0
		.amdhsa_system_sgpr_workgroup_id_z 0
		.amdhsa_system_sgpr_workgroup_info 0
		.amdhsa_system_vgpr_workitem_id 0
		.amdhsa_next_free_vgpr 1
		.amdhsa_next_free_sgpr 0
		.amdhsa_accum_offset 4
		.amdhsa_reserve_vcc 0
		.amdhsa_reserve_flat_scratch 0
		.amdhsa_float_round_mode_32 0
		.amdhsa_float_round_mode_16_64 0
		.amdhsa_float_denorm_mode_32 3
		.amdhsa_float_denorm_mode_16_64 3
		.amdhsa_dx10_clamp 1
		.amdhsa_ieee_mode 1
		.amdhsa_fp16_overflow 0
		.amdhsa_tg_split 0
		.amdhsa_exception_fp_ieee_invalid_op 0
		.amdhsa_exception_fp_denorm_src 0
		.amdhsa_exception_fp_ieee_div_zero 0
		.amdhsa_exception_fp_ieee_overflow 0
		.amdhsa_exception_fp_ieee_underflow 0
		.amdhsa_exception_fp_ieee_inexact 0
		.amdhsa_exception_int_div_zero 0
	.end_amdhsa_kernel
	.section	.text._ZN7rocprim17ROCPRIM_400000_NS6detail17trampoline_kernelINS0_14default_configENS1_25partition_config_selectorILNS1_17partition_subalgoE1EyNS0_10empty_typeEbEEZZNS1_14partition_implILS5_1ELb0ES3_jN6thrust23THRUST_200600_302600_NS6detail15normal_iteratorINSA_10device_ptrIyEEEEPS6_NSA_18transform_iteratorI7is_evenIyESF_NSA_11use_defaultESK_EENS0_5tupleIJSF_SF_EEENSM_IJSG_SG_EEES6_PlJS6_EEE10hipError_tPvRmT3_T4_T5_T6_T7_T9_mT8_P12ihipStream_tbDpT10_ENKUlT_T0_E_clISt17integral_constantIbLb0EES19_EEDaS14_S15_EUlS14_E_NS1_11comp_targetILNS1_3genE3ELNS1_11target_archE908ELNS1_3gpuE7ELNS1_3repE0EEENS1_30default_config_static_selectorELNS0_4arch9wavefront6targetE1EEEvT1_,"axG",@progbits,_ZN7rocprim17ROCPRIM_400000_NS6detail17trampoline_kernelINS0_14default_configENS1_25partition_config_selectorILNS1_17partition_subalgoE1EyNS0_10empty_typeEbEEZZNS1_14partition_implILS5_1ELb0ES3_jN6thrust23THRUST_200600_302600_NS6detail15normal_iteratorINSA_10device_ptrIyEEEEPS6_NSA_18transform_iteratorI7is_evenIyESF_NSA_11use_defaultESK_EENS0_5tupleIJSF_SF_EEENSM_IJSG_SG_EEES6_PlJS6_EEE10hipError_tPvRmT3_T4_T5_T6_T7_T9_mT8_P12ihipStream_tbDpT10_ENKUlT_T0_E_clISt17integral_constantIbLb0EES19_EEDaS14_S15_EUlS14_E_NS1_11comp_targetILNS1_3genE3ELNS1_11target_archE908ELNS1_3gpuE7ELNS1_3repE0EEENS1_30default_config_static_selectorELNS0_4arch9wavefront6targetE1EEEvT1_,comdat
.Lfunc_end2206:
	.size	_ZN7rocprim17ROCPRIM_400000_NS6detail17trampoline_kernelINS0_14default_configENS1_25partition_config_selectorILNS1_17partition_subalgoE1EyNS0_10empty_typeEbEEZZNS1_14partition_implILS5_1ELb0ES3_jN6thrust23THRUST_200600_302600_NS6detail15normal_iteratorINSA_10device_ptrIyEEEEPS6_NSA_18transform_iteratorI7is_evenIyESF_NSA_11use_defaultESK_EENS0_5tupleIJSF_SF_EEENSM_IJSG_SG_EEES6_PlJS6_EEE10hipError_tPvRmT3_T4_T5_T6_T7_T9_mT8_P12ihipStream_tbDpT10_ENKUlT_T0_E_clISt17integral_constantIbLb0EES19_EEDaS14_S15_EUlS14_E_NS1_11comp_targetILNS1_3genE3ELNS1_11target_archE908ELNS1_3gpuE7ELNS1_3repE0EEENS1_30default_config_static_selectorELNS0_4arch9wavefront6targetE1EEEvT1_, .Lfunc_end2206-_ZN7rocprim17ROCPRIM_400000_NS6detail17trampoline_kernelINS0_14default_configENS1_25partition_config_selectorILNS1_17partition_subalgoE1EyNS0_10empty_typeEbEEZZNS1_14partition_implILS5_1ELb0ES3_jN6thrust23THRUST_200600_302600_NS6detail15normal_iteratorINSA_10device_ptrIyEEEEPS6_NSA_18transform_iteratorI7is_evenIyESF_NSA_11use_defaultESK_EENS0_5tupleIJSF_SF_EEENSM_IJSG_SG_EEES6_PlJS6_EEE10hipError_tPvRmT3_T4_T5_T6_T7_T9_mT8_P12ihipStream_tbDpT10_ENKUlT_T0_E_clISt17integral_constantIbLb0EES19_EEDaS14_S15_EUlS14_E_NS1_11comp_targetILNS1_3genE3ELNS1_11target_archE908ELNS1_3gpuE7ELNS1_3repE0EEENS1_30default_config_static_selectorELNS0_4arch9wavefront6targetE1EEEvT1_
                                        ; -- End function
	.section	.AMDGPU.csdata,"",@progbits
; Kernel info:
; codeLenInByte = 0
; NumSgprs: 4
; NumVgprs: 0
; NumAgprs: 0
; TotalNumVgprs: 0
; ScratchSize: 0
; MemoryBound: 0
; FloatMode: 240
; IeeeMode: 1
; LDSByteSize: 0 bytes/workgroup (compile time only)
; SGPRBlocks: 0
; VGPRBlocks: 0
; NumSGPRsForWavesPerEU: 4
; NumVGPRsForWavesPerEU: 1
; AccumOffset: 4
; Occupancy: 8
; WaveLimiterHint : 0
; COMPUTE_PGM_RSRC2:SCRATCH_EN: 0
; COMPUTE_PGM_RSRC2:USER_SGPR: 6
; COMPUTE_PGM_RSRC2:TRAP_HANDLER: 0
; COMPUTE_PGM_RSRC2:TGID_X_EN: 1
; COMPUTE_PGM_RSRC2:TGID_Y_EN: 0
; COMPUTE_PGM_RSRC2:TGID_Z_EN: 0
; COMPUTE_PGM_RSRC2:TIDIG_COMP_CNT: 0
; COMPUTE_PGM_RSRC3_GFX90A:ACCUM_OFFSET: 0
; COMPUTE_PGM_RSRC3_GFX90A:TG_SPLIT: 0
	.section	.text._ZN7rocprim17ROCPRIM_400000_NS6detail17trampoline_kernelINS0_14default_configENS1_25partition_config_selectorILNS1_17partition_subalgoE1EyNS0_10empty_typeEbEEZZNS1_14partition_implILS5_1ELb0ES3_jN6thrust23THRUST_200600_302600_NS6detail15normal_iteratorINSA_10device_ptrIyEEEEPS6_NSA_18transform_iteratorI7is_evenIyESF_NSA_11use_defaultESK_EENS0_5tupleIJSF_SF_EEENSM_IJSG_SG_EEES6_PlJS6_EEE10hipError_tPvRmT3_T4_T5_T6_T7_T9_mT8_P12ihipStream_tbDpT10_ENKUlT_T0_E_clISt17integral_constantIbLb0EES19_EEDaS14_S15_EUlS14_E_NS1_11comp_targetILNS1_3genE2ELNS1_11target_archE906ELNS1_3gpuE6ELNS1_3repE0EEENS1_30default_config_static_selectorELNS0_4arch9wavefront6targetE1EEEvT1_,"axG",@progbits,_ZN7rocprim17ROCPRIM_400000_NS6detail17trampoline_kernelINS0_14default_configENS1_25partition_config_selectorILNS1_17partition_subalgoE1EyNS0_10empty_typeEbEEZZNS1_14partition_implILS5_1ELb0ES3_jN6thrust23THRUST_200600_302600_NS6detail15normal_iteratorINSA_10device_ptrIyEEEEPS6_NSA_18transform_iteratorI7is_evenIyESF_NSA_11use_defaultESK_EENS0_5tupleIJSF_SF_EEENSM_IJSG_SG_EEES6_PlJS6_EEE10hipError_tPvRmT3_T4_T5_T6_T7_T9_mT8_P12ihipStream_tbDpT10_ENKUlT_T0_E_clISt17integral_constantIbLb0EES19_EEDaS14_S15_EUlS14_E_NS1_11comp_targetILNS1_3genE2ELNS1_11target_archE906ELNS1_3gpuE6ELNS1_3repE0EEENS1_30default_config_static_selectorELNS0_4arch9wavefront6targetE1EEEvT1_,comdat
	.protected	_ZN7rocprim17ROCPRIM_400000_NS6detail17trampoline_kernelINS0_14default_configENS1_25partition_config_selectorILNS1_17partition_subalgoE1EyNS0_10empty_typeEbEEZZNS1_14partition_implILS5_1ELb0ES3_jN6thrust23THRUST_200600_302600_NS6detail15normal_iteratorINSA_10device_ptrIyEEEEPS6_NSA_18transform_iteratorI7is_evenIyESF_NSA_11use_defaultESK_EENS0_5tupleIJSF_SF_EEENSM_IJSG_SG_EEES6_PlJS6_EEE10hipError_tPvRmT3_T4_T5_T6_T7_T9_mT8_P12ihipStream_tbDpT10_ENKUlT_T0_E_clISt17integral_constantIbLb0EES19_EEDaS14_S15_EUlS14_E_NS1_11comp_targetILNS1_3genE2ELNS1_11target_archE906ELNS1_3gpuE6ELNS1_3repE0EEENS1_30default_config_static_selectorELNS0_4arch9wavefront6targetE1EEEvT1_ ; -- Begin function _ZN7rocprim17ROCPRIM_400000_NS6detail17trampoline_kernelINS0_14default_configENS1_25partition_config_selectorILNS1_17partition_subalgoE1EyNS0_10empty_typeEbEEZZNS1_14partition_implILS5_1ELb0ES3_jN6thrust23THRUST_200600_302600_NS6detail15normal_iteratorINSA_10device_ptrIyEEEEPS6_NSA_18transform_iteratorI7is_evenIyESF_NSA_11use_defaultESK_EENS0_5tupleIJSF_SF_EEENSM_IJSG_SG_EEES6_PlJS6_EEE10hipError_tPvRmT3_T4_T5_T6_T7_T9_mT8_P12ihipStream_tbDpT10_ENKUlT_T0_E_clISt17integral_constantIbLb0EES19_EEDaS14_S15_EUlS14_E_NS1_11comp_targetILNS1_3genE2ELNS1_11target_archE906ELNS1_3gpuE6ELNS1_3repE0EEENS1_30default_config_static_selectorELNS0_4arch9wavefront6targetE1EEEvT1_
	.globl	_ZN7rocprim17ROCPRIM_400000_NS6detail17trampoline_kernelINS0_14default_configENS1_25partition_config_selectorILNS1_17partition_subalgoE1EyNS0_10empty_typeEbEEZZNS1_14partition_implILS5_1ELb0ES3_jN6thrust23THRUST_200600_302600_NS6detail15normal_iteratorINSA_10device_ptrIyEEEEPS6_NSA_18transform_iteratorI7is_evenIyESF_NSA_11use_defaultESK_EENS0_5tupleIJSF_SF_EEENSM_IJSG_SG_EEES6_PlJS6_EEE10hipError_tPvRmT3_T4_T5_T6_T7_T9_mT8_P12ihipStream_tbDpT10_ENKUlT_T0_E_clISt17integral_constantIbLb0EES19_EEDaS14_S15_EUlS14_E_NS1_11comp_targetILNS1_3genE2ELNS1_11target_archE906ELNS1_3gpuE6ELNS1_3repE0EEENS1_30default_config_static_selectorELNS0_4arch9wavefront6targetE1EEEvT1_
	.p2align	8
	.type	_ZN7rocprim17ROCPRIM_400000_NS6detail17trampoline_kernelINS0_14default_configENS1_25partition_config_selectorILNS1_17partition_subalgoE1EyNS0_10empty_typeEbEEZZNS1_14partition_implILS5_1ELb0ES3_jN6thrust23THRUST_200600_302600_NS6detail15normal_iteratorINSA_10device_ptrIyEEEEPS6_NSA_18transform_iteratorI7is_evenIyESF_NSA_11use_defaultESK_EENS0_5tupleIJSF_SF_EEENSM_IJSG_SG_EEES6_PlJS6_EEE10hipError_tPvRmT3_T4_T5_T6_T7_T9_mT8_P12ihipStream_tbDpT10_ENKUlT_T0_E_clISt17integral_constantIbLb0EES19_EEDaS14_S15_EUlS14_E_NS1_11comp_targetILNS1_3genE2ELNS1_11target_archE906ELNS1_3gpuE6ELNS1_3repE0EEENS1_30default_config_static_selectorELNS0_4arch9wavefront6targetE1EEEvT1_,@function
_ZN7rocprim17ROCPRIM_400000_NS6detail17trampoline_kernelINS0_14default_configENS1_25partition_config_selectorILNS1_17partition_subalgoE1EyNS0_10empty_typeEbEEZZNS1_14partition_implILS5_1ELb0ES3_jN6thrust23THRUST_200600_302600_NS6detail15normal_iteratorINSA_10device_ptrIyEEEEPS6_NSA_18transform_iteratorI7is_evenIyESF_NSA_11use_defaultESK_EENS0_5tupleIJSF_SF_EEENSM_IJSG_SG_EEES6_PlJS6_EEE10hipError_tPvRmT3_T4_T5_T6_T7_T9_mT8_P12ihipStream_tbDpT10_ENKUlT_T0_E_clISt17integral_constantIbLb0EES19_EEDaS14_S15_EUlS14_E_NS1_11comp_targetILNS1_3genE2ELNS1_11target_archE906ELNS1_3gpuE6ELNS1_3repE0EEENS1_30default_config_static_selectorELNS0_4arch9wavefront6targetE1EEEvT1_: ; @_ZN7rocprim17ROCPRIM_400000_NS6detail17trampoline_kernelINS0_14default_configENS1_25partition_config_selectorILNS1_17partition_subalgoE1EyNS0_10empty_typeEbEEZZNS1_14partition_implILS5_1ELb0ES3_jN6thrust23THRUST_200600_302600_NS6detail15normal_iteratorINSA_10device_ptrIyEEEEPS6_NSA_18transform_iteratorI7is_evenIyESF_NSA_11use_defaultESK_EENS0_5tupleIJSF_SF_EEENSM_IJSG_SG_EEES6_PlJS6_EEE10hipError_tPvRmT3_T4_T5_T6_T7_T9_mT8_P12ihipStream_tbDpT10_ENKUlT_T0_E_clISt17integral_constantIbLb0EES19_EEDaS14_S15_EUlS14_E_NS1_11comp_targetILNS1_3genE2ELNS1_11target_archE906ELNS1_3gpuE6ELNS1_3repE0EEENS1_30default_config_static_selectorELNS0_4arch9wavefront6targetE1EEEvT1_
; %bb.0:
	.section	.rodata,"a",@progbits
	.p2align	6, 0x0
	.amdhsa_kernel _ZN7rocprim17ROCPRIM_400000_NS6detail17trampoline_kernelINS0_14default_configENS1_25partition_config_selectorILNS1_17partition_subalgoE1EyNS0_10empty_typeEbEEZZNS1_14partition_implILS5_1ELb0ES3_jN6thrust23THRUST_200600_302600_NS6detail15normal_iteratorINSA_10device_ptrIyEEEEPS6_NSA_18transform_iteratorI7is_evenIyESF_NSA_11use_defaultESK_EENS0_5tupleIJSF_SF_EEENSM_IJSG_SG_EEES6_PlJS6_EEE10hipError_tPvRmT3_T4_T5_T6_T7_T9_mT8_P12ihipStream_tbDpT10_ENKUlT_T0_E_clISt17integral_constantIbLb0EES19_EEDaS14_S15_EUlS14_E_NS1_11comp_targetILNS1_3genE2ELNS1_11target_archE906ELNS1_3gpuE6ELNS1_3repE0EEENS1_30default_config_static_selectorELNS0_4arch9wavefront6targetE1EEEvT1_
		.amdhsa_group_segment_fixed_size 0
		.amdhsa_private_segment_fixed_size 0
		.amdhsa_kernarg_size 128
		.amdhsa_user_sgpr_count 6
		.amdhsa_user_sgpr_private_segment_buffer 1
		.amdhsa_user_sgpr_dispatch_ptr 0
		.amdhsa_user_sgpr_queue_ptr 0
		.amdhsa_user_sgpr_kernarg_segment_ptr 1
		.amdhsa_user_sgpr_dispatch_id 0
		.amdhsa_user_sgpr_flat_scratch_init 0
		.amdhsa_user_sgpr_kernarg_preload_length 0
		.amdhsa_user_sgpr_kernarg_preload_offset 0
		.amdhsa_user_sgpr_private_segment_size 0
		.amdhsa_uses_dynamic_stack 0
		.amdhsa_system_sgpr_private_segment_wavefront_offset 0
		.amdhsa_system_sgpr_workgroup_id_x 1
		.amdhsa_system_sgpr_workgroup_id_y 0
		.amdhsa_system_sgpr_workgroup_id_z 0
		.amdhsa_system_sgpr_workgroup_info 0
		.amdhsa_system_vgpr_workitem_id 0
		.amdhsa_next_free_vgpr 1
		.amdhsa_next_free_sgpr 0
		.amdhsa_accum_offset 4
		.amdhsa_reserve_vcc 0
		.amdhsa_reserve_flat_scratch 0
		.amdhsa_float_round_mode_32 0
		.amdhsa_float_round_mode_16_64 0
		.amdhsa_float_denorm_mode_32 3
		.amdhsa_float_denorm_mode_16_64 3
		.amdhsa_dx10_clamp 1
		.amdhsa_ieee_mode 1
		.amdhsa_fp16_overflow 0
		.amdhsa_tg_split 0
		.amdhsa_exception_fp_ieee_invalid_op 0
		.amdhsa_exception_fp_denorm_src 0
		.amdhsa_exception_fp_ieee_div_zero 0
		.amdhsa_exception_fp_ieee_overflow 0
		.amdhsa_exception_fp_ieee_underflow 0
		.amdhsa_exception_fp_ieee_inexact 0
		.amdhsa_exception_int_div_zero 0
	.end_amdhsa_kernel
	.section	.text._ZN7rocprim17ROCPRIM_400000_NS6detail17trampoline_kernelINS0_14default_configENS1_25partition_config_selectorILNS1_17partition_subalgoE1EyNS0_10empty_typeEbEEZZNS1_14partition_implILS5_1ELb0ES3_jN6thrust23THRUST_200600_302600_NS6detail15normal_iteratorINSA_10device_ptrIyEEEEPS6_NSA_18transform_iteratorI7is_evenIyESF_NSA_11use_defaultESK_EENS0_5tupleIJSF_SF_EEENSM_IJSG_SG_EEES6_PlJS6_EEE10hipError_tPvRmT3_T4_T5_T6_T7_T9_mT8_P12ihipStream_tbDpT10_ENKUlT_T0_E_clISt17integral_constantIbLb0EES19_EEDaS14_S15_EUlS14_E_NS1_11comp_targetILNS1_3genE2ELNS1_11target_archE906ELNS1_3gpuE6ELNS1_3repE0EEENS1_30default_config_static_selectorELNS0_4arch9wavefront6targetE1EEEvT1_,"axG",@progbits,_ZN7rocprim17ROCPRIM_400000_NS6detail17trampoline_kernelINS0_14default_configENS1_25partition_config_selectorILNS1_17partition_subalgoE1EyNS0_10empty_typeEbEEZZNS1_14partition_implILS5_1ELb0ES3_jN6thrust23THRUST_200600_302600_NS6detail15normal_iteratorINSA_10device_ptrIyEEEEPS6_NSA_18transform_iteratorI7is_evenIyESF_NSA_11use_defaultESK_EENS0_5tupleIJSF_SF_EEENSM_IJSG_SG_EEES6_PlJS6_EEE10hipError_tPvRmT3_T4_T5_T6_T7_T9_mT8_P12ihipStream_tbDpT10_ENKUlT_T0_E_clISt17integral_constantIbLb0EES19_EEDaS14_S15_EUlS14_E_NS1_11comp_targetILNS1_3genE2ELNS1_11target_archE906ELNS1_3gpuE6ELNS1_3repE0EEENS1_30default_config_static_selectorELNS0_4arch9wavefront6targetE1EEEvT1_,comdat
.Lfunc_end2207:
	.size	_ZN7rocprim17ROCPRIM_400000_NS6detail17trampoline_kernelINS0_14default_configENS1_25partition_config_selectorILNS1_17partition_subalgoE1EyNS0_10empty_typeEbEEZZNS1_14partition_implILS5_1ELb0ES3_jN6thrust23THRUST_200600_302600_NS6detail15normal_iteratorINSA_10device_ptrIyEEEEPS6_NSA_18transform_iteratorI7is_evenIyESF_NSA_11use_defaultESK_EENS0_5tupleIJSF_SF_EEENSM_IJSG_SG_EEES6_PlJS6_EEE10hipError_tPvRmT3_T4_T5_T6_T7_T9_mT8_P12ihipStream_tbDpT10_ENKUlT_T0_E_clISt17integral_constantIbLb0EES19_EEDaS14_S15_EUlS14_E_NS1_11comp_targetILNS1_3genE2ELNS1_11target_archE906ELNS1_3gpuE6ELNS1_3repE0EEENS1_30default_config_static_selectorELNS0_4arch9wavefront6targetE1EEEvT1_, .Lfunc_end2207-_ZN7rocprim17ROCPRIM_400000_NS6detail17trampoline_kernelINS0_14default_configENS1_25partition_config_selectorILNS1_17partition_subalgoE1EyNS0_10empty_typeEbEEZZNS1_14partition_implILS5_1ELb0ES3_jN6thrust23THRUST_200600_302600_NS6detail15normal_iteratorINSA_10device_ptrIyEEEEPS6_NSA_18transform_iteratorI7is_evenIyESF_NSA_11use_defaultESK_EENS0_5tupleIJSF_SF_EEENSM_IJSG_SG_EEES6_PlJS6_EEE10hipError_tPvRmT3_T4_T5_T6_T7_T9_mT8_P12ihipStream_tbDpT10_ENKUlT_T0_E_clISt17integral_constantIbLb0EES19_EEDaS14_S15_EUlS14_E_NS1_11comp_targetILNS1_3genE2ELNS1_11target_archE906ELNS1_3gpuE6ELNS1_3repE0EEENS1_30default_config_static_selectorELNS0_4arch9wavefront6targetE1EEEvT1_
                                        ; -- End function
	.section	.AMDGPU.csdata,"",@progbits
; Kernel info:
; codeLenInByte = 0
; NumSgprs: 4
; NumVgprs: 0
; NumAgprs: 0
; TotalNumVgprs: 0
; ScratchSize: 0
; MemoryBound: 0
; FloatMode: 240
; IeeeMode: 1
; LDSByteSize: 0 bytes/workgroup (compile time only)
; SGPRBlocks: 0
; VGPRBlocks: 0
; NumSGPRsForWavesPerEU: 4
; NumVGPRsForWavesPerEU: 1
; AccumOffset: 4
; Occupancy: 8
; WaveLimiterHint : 0
; COMPUTE_PGM_RSRC2:SCRATCH_EN: 0
; COMPUTE_PGM_RSRC2:USER_SGPR: 6
; COMPUTE_PGM_RSRC2:TRAP_HANDLER: 0
; COMPUTE_PGM_RSRC2:TGID_X_EN: 1
; COMPUTE_PGM_RSRC2:TGID_Y_EN: 0
; COMPUTE_PGM_RSRC2:TGID_Z_EN: 0
; COMPUTE_PGM_RSRC2:TIDIG_COMP_CNT: 0
; COMPUTE_PGM_RSRC3_GFX90A:ACCUM_OFFSET: 0
; COMPUTE_PGM_RSRC3_GFX90A:TG_SPLIT: 0
	.section	.text._ZN7rocprim17ROCPRIM_400000_NS6detail17trampoline_kernelINS0_14default_configENS1_25partition_config_selectorILNS1_17partition_subalgoE1EyNS0_10empty_typeEbEEZZNS1_14partition_implILS5_1ELb0ES3_jN6thrust23THRUST_200600_302600_NS6detail15normal_iteratorINSA_10device_ptrIyEEEEPS6_NSA_18transform_iteratorI7is_evenIyESF_NSA_11use_defaultESK_EENS0_5tupleIJSF_SF_EEENSM_IJSG_SG_EEES6_PlJS6_EEE10hipError_tPvRmT3_T4_T5_T6_T7_T9_mT8_P12ihipStream_tbDpT10_ENKUlT_T0_E_clISt17integral_constantIbLb0EES19_EEDaS14_S15_EUlS14_E_NS1_11comp_targetILNS1_3genE10ELNS1_11target_archE1200ELNS1_3gpuE4ELNS1_3repE0EEENS1_30default_config_static_selectorELNS0_4arch9wavefront6targetE1EEEvT1_,"axG",@progbits,_ZN7rocprim17ROCPRIM_400000_NS6detail17trampoline_kernelINS0_14default_configENS1_25partition_config_selectorILNS1_17partition_subalgoE1EyNS0_10empty_typeEbEEZZNS1_14partition_implILS5_1ELb0ES3_jN6thrust23THRUST_200600_302600_NS6detail15normal_iteratorINSA_10device_ptrIyEEEEPS6_NSA_18transform_iteratorI7is_evenIyESF_NSA_11use_defaultESK_EENS0_5tupleIJSF_SF_EEENSM_IJSG_SG_EEES6_PlJS6_EEE10hipError_tPvRmT3_T4_T5_T6_T7_T9_mT8_P12ihipStream_tbDpT10_ENKUlT_T0_E_clISt17integral_constantIbLb0EES19_EEDaS14_S15_EUlS14_E_NS1_11comp_targetILNS1_3genE10ELNS1_11target_archE1200ELNS1_3gpuE4ELNS1_3repE0EEENS1_30default_config_static_selectorELNS0_4arch9wavefront6targetE1EEEvT1_,comdat
	.protected	_ZN7rocprim17ROCPRIM_400000_NS6detail17trampoline_kernelINS0_14default_configENS1_25partition_config_selectorILNS1_17partition_subalgoE1EyNS0_10empty_typeEbEEZZNS1_14partition_implILS5_1ELb0ES3_jN6thrust23THRUST_200600_302600_NS6detail15normal_iteratorINSA_10device_ptrIyEEEEPS6_NSA_18transform_iteratorI7is_evenIyESF_NSA_11use_defaultESK_EENS0_5tupleIJSF_SF_EEENSM_IJSG_SG_EEES6_PlJS6_EEE10hipError_tPvRmT3_T4_T5_T6_T7_T9_mT8_P12ihipStream_tbDpT10_ENKUlT_T0_E_clISt17integral_constantIbLb0EES19_EEDaS14_S15_EUlS14_E_NS1_11comp_targetILNS1_3genE10ELNS1_11target_archE1200ELNS1_3gpuE4ELNS1_3repE0EEENS1_30default_config_static_selectorELNS0_4arch9wavefront6targetE1EEEvT1_ ; -- Begin function _ZN7rocprim17ROCPRIM_400000_NS6detail17trampoline_kernelINS0_14default_configENS1_25partition_config_selectorILNS1_17partition_subalgoE1EyNS0_10empty_typeEbEEZZNS1_14partition_implILS5_1ELb0ES3_jN6thrust23THRUST_200600_302600_NS6detail15normal_iteratorINSA_10device_ptrIyEEEEPS6_NSA_18transform_iteratorI7is_evenIyESF_NSA_11use_defaultESK_EENS0_5tupleIJSF_SF_EEENSM_IJSG_SG_EEES6_PlJS6_EEE10hipError_tPvRmT3_T4_T5_T6_T7_T9_mT8_P12ihipStream_tbDpT10_ENKUlT_T0_E_clISt17integral_constantIbLb0EES19_EEDaS14_S15_EUlS14_E_NS1_11comp_targetILNS1_3genE10ELNS1_11target_archE1200ELNS1_3gpuE4ELNS1_3repE0EEENS1_30default_config_static_selectorELNS0_4arch9wavefront6targetE1EEEvT1_
	.globl	_ZN7rocprim17ROCPRIM_400000_NS6detail17trampoline_kernelINS0_14default_configENS1_25partition_config_selectorILNS1_17partition_subalgoE1EyNS0_10empty_typeEbEEZZNS1_14partition_implILS5_1ELb0ES3_jN6thrust23THRUST_200600_302600_NS6detail15normal_iteratorINSA_10device_ptrIyEEEEPS6_NSA_18transform_iteratorI7is_evenIyESF_NSA_11use_defaultESK_EENS0_5tupleIJSF_SF_EEENSM_IJSG_SG_EEES6_PlJS6_EEE10hipError_tPvRmT3_T4_T5_T6_T7_T9_mT8_P12ihipStream_tbDpT10_ENKUlT_T0_E_clISt17integral_constantIbLb0EES19_EEDaS14_S15_EUlS14_E_NS1_11comp_targetILNS1_3genE10ELNS1_11target_archE1200ELNS1_3gpuE4ELNS1_3repE0EEENS1_30default_config_static_selectorELNS0_4arch9wavefront6targetE1EEEvT1_
	.p2align	8
	.type	_ZN7rocprim17ROCPRIM_400000_NS6detail17trampoline_kernelINS0_14default_configENS1_25partition_config_selectorILNS1_17partition_subalgoE1EyNS0_10empty_typeEbEEZZNS1_14partition_implILS5_1ELb0ES3_jN6thrust23THRUST_200600_302600_NS6detail15normal_iteratorINSA_10device_ptrIyEEEEPS6_NSA_18transform_iteratorI7is_evenIyESF_NSA_11use_defaultESK_EENS0_5tupleIJSF_SF_EEENSM_IJSG_SG_EEES6_PlJS6_EEE10hipError_tPvRmT3_T4_T5_T6_T7_T9_mT8_P12ihipStream_tbDpT10_ENKUlT_T0_E_clISt17integral_constantIbLb0EES19_EEDaS14_S15_EUlS14_E_NS1_11comp_targetILNS1_3genE10ELNS1_11target_archE1200ELNS1_3gpuE4ELNS1_3repE0EEENS1_30default_config_static_selectorELNS0_4arch9wavefront6targetE1EEEvT1_,@function
_ZN7rocprim17ROCPRIM_400000_NS6detail17trampoline_kernelINS0_14default_configENS1_25partition_config_selectorILNS1_17partition_subalgoE1EyNS0_10empty_typeEbEEZZNS1_14partition_implILS5_1ELb0ES3_jN6thrust23THRUST_200600_302600_NS6detail15normal_iteratorINSA_10device_ptrIyEEEEPS6_NSA_18transform_iteratorI7is_evenIyESF_NSA_11use_defaultESK_EENS0_5tupleIJSF_SF_EEENSM_IJSG_SG_EEES6_PlJS6_EEE10hipError_tPvRmT3_T4_T5_T6_T7_T9_mT8_P12ihipStream_tbDpT10_ENKUlT_T0_E_clISt17integral_constantIbLb0EES19_EEDaS14_S15_EUlS14_E_NS1_11comp_targetILNS1_3genE10ELNS1_11target_archE1200ELNS1_3gpuE4ELNS1_3repE0EEENS1_30default_config_static_selectorELNS0_4arch9wavefront6targetE1EEEvT1_: ; @_ZN7rocprim17ROCPRIM_400000_NS6detail17trampoline_kernelINS0_14default_configENS1_25partition_config_selectorILNS1_17partition_subalgoE1EyNS0_10empty_typeEbEEZZNS1_14partition_implILS5_1ELb0ES3_jN6thrust23THRUST_200600_302600_NS6detail15normal_iteratorINSA_10device_ptrIyEEEEPS6_NSA_18transform_iteratorI7is_evenIyESF_NSA_11use_defaultESK_EENS0_5tupleIJSF_SF_EEENSM_IJSG_SG_EEES6_PlJS6_EEE10hipError_tPvRmT3_T4_T5_T6_T7_T9_mT8_P12ihipStream_tbDpT10_ENKUlT_T0_E_clISt17integral_constantIbLb0EES19_EEDaS14_S15_EUlS14_E_NS1_11comp_targetILNS1_3genE10ELNS1_11target_archE1200ELNS1_3gpuE4ELNS1_3repE0EEENS1_30default_config_static_selectorELNS0_4arch9wavefront6targetE1EEEvT1_
; %bb.0:
	.section	.rodata,"a",@progbits
	.p2align	6, 0x0
	.amdhsa_kernel _ZN7rocprim17ROCPRIM_400000_NS6detail17trampoline_kernelINS0_14default_configENS1_25partition_config_selectorILNS1_17partition_subalgoE1EyNS0_10empty_typeEbEEZZNS1_14partition_implILS5_1ELb0ES3_jN6thrust23THRUST_200600_302600_NS6detail15normal_iteratorINSA_10device_ptrIyEEEEPS6_NSA_18transform_iteratorI7is_evenIyESF_NSA_11use_defaultESK_EENS0_5tupleIJSF_SF_EEENSM_IJSG_SG_EEES6_PlJS6_EEE10hipError_tPvRmT3_T4_T5_T6_T7_T9_mT8_P12ihipStream_tbDpT10_ENKUlT_T0_E_clISt17integral_constantIbLb0EES19_EEDaS14_S15_EUlS14_E_NS1_11comp_targetILNS1_3genE10ELNS1_11target_archE1200ELNS1_3gpuE4ELNS1_3repE0EEENS1_30default_config_static_selectorELNS0_4arch9wavefront6targetE1EEEvT1_
		.amdhsa_group_segment_fixed_size 0
		.amdhsa_private_segment_fixed_size 0
		.amdhsa_kernarg_size 128
		.amdhsa_user_sgpr_count 6
		.amdhsa_user_sgpr_private_segment_buffer 1
		.amdhsa_user_sgpr_dispatch_ptr 0
		.amdhsa_user_sgpr_queue_ptr 0
		.amdhsa_user_sgpr_kernarg_segment_ptr 1
		.amdhsa_user_sgpr_dispatch_id 0
		.amdhsa_user_sgpr_flat_scratch_init 0
		.amdhsa_user_sgpr_kernarg_preload_length 0
		.amdhsa_user_sgpr_kernarg_preload_offset 0
		.amdhsa_user_sgpr_private_segment_size 0
		.amdhsa_uses_dynamic_stack 0
		.amdhsa_system_sgpr_private_segment_wavefront_offset 0
		.amdhsa_system_sgpr_workgroup_id_x 1
		.amdhsa_system_sgpr_workgroup_id_y 0
		.amdhsa_system_sgpr_workgroup_id_z 0
		.amdhsa_system_sgpr_workgroup_info 0
		.amdhsa_system_vgpr_workitem_id 0
		.amdhsa_next_free_vgpr 1
		.amdhsa_next_free_sgpr 0
		.amdhsa_accum_offset 4
		.amdhsa_reserve_vcc 0
		.amdhsa_reserve_flat_scratch 0
		.amdhsa_float_round_mode_32 0
		.amdhsa_float_round_mode_16_64 0
		.amdhsa_float_denorm_mode_32 3
		.amdhsa_float_denorm_mode_16_64 3
		.amdhsa_dx10_clamp 1
		.amdhsa_ieee_mode 1
		.amdhsa_fp16_overflow 0
		.amdhsa_tg_split 0
		.amdhsa_exception_fp_ieee_invalid_op 0
		.amdhsa_exception_fp_denorm_src 0
		.amdhsa_exception_fp_ieee_div_zero 0
		.amdhsa_exception_fp_ieee_overflow 0
		.amdhsa_exception_fp_ieee_underflow 0
		.amdhsa_exception_fp_ieee_inexact 0
		.amdhsa_exception_int_div_zero 0
	.end_amdhsa_kernel
	.section	.text._ZN7rocprim17ROCPRIM_400000_NS6detail17trampoline_kernelINS0_14default_configENS1_25partition_config_selectorILNS1_17partition_subalgoE1EyNS0_10empty_typeEbEEZZNS1_14partition_implILS5_1ELb0ES3_jN6thrust23THRUST_200600_302600_NS6detail15normal_iteratorINSA_10device_ptrIyEEEEPS6_NSA_18transform_iteratorI7is_evenIyESF_NSA_11use_defaultESK_EENS0_5tupleIJSF_SF_EEENSM_IJSG_SG_EEES6_PlJS6_EEE10hipError_tPvRmT3_T4_T5_T6_T7_T9_mT8_P12ihipStream_tbDpT10_ENKUlT_T0_E_clISt17integral_constantIbLb0EES19_EEDaS14_S15_EUlS14_E_NS1_11comp_targetILNS1_3genE10ELNS1_11target_archE1200ELNS1_3gpuE4ELNS1_3repE0EEENS1_30default_config_static_selectorELNS0_4arch9wavefront6targetE1EEEvT1_,"axG",@progbits,_ZN7rocprim17ROCPRIM_400000_NS6detail17trampoline_kernelINS0_14default_configENS1_25partition_config_selectorILNS1_17partition_subalgoE1EyNS0_10empty_typeEbEEZZNS1_14partition_implILS5_1ELb0ES3_jN6thrust23THRUST_200600_302600_NS6detail15normal_iteratorINSA_10device_ptrIyEEEEPS6_NSA_18transform_iteratorI7is_evenIyESF_NSA_11use_defaultESK_EENS0_5tupleIJSF_SF_EEENSM_IJSG_SG_EEES6_PlJS6_EEE10hipError_tPvRmT3_T4_T5_T6_T7_T9_mT8_P12ihipStream_tbDpT10_ENKUlT_T0_E_clISt17integral_constantIbLb0EES19_EEDaS14_S15_EUlS14_E_NS1_11comp_targetILNS1_3genE10ELNS1_11target_archE1200ELNS1_3gpuE4ELNS1_3repE0EEENS1_30default_config_static_selectorELNS0_4arch9wavefront6targetE1EEEvT1_,comdat
.Lfunc_end2208:
	.size	_ZN7rocprim17ROCPRIM_400000_NS6detail17trampoline_kernelINS0_14default_configENS1_25partition_config_selectorILNS1_17partition_subalgoE1EyNS0_10empty_typeEbEEZZNS1_14partition_implILS5_1ELb0ES3_jN6thrust23THRUST_200600_302600_NS6detail15normal_iteratorINSA_10device_ptrIyEEEEPS6_NSA_18transform_iteratorI7is_evenIyESF_NSA_11use_defaultESK_EENS0_5tupleIJSF_SF_EEENSM_IJSG_SG_EEES6_PlJS6_EEE10hipError_tPvRmT3_T4_T5_T6_T7_T9_mT8_P12ihipStream_tbDpT10_ENKUlT_T0_E_clISt17integral_constantIbLb0EES19_EEDaS14_S15_EUlS14_E_NS1_11comp_targetILNS1_3genE10ELNS1_11target_archE1200ELNS1_3gpuE4ELNS1_3repE0EEENS1_30default_config_static_selectorELNS0_4arch9wavefront6targetE1EEEvT1_, .Lfunc_end2208-_ZN7rocprim17ROCPRIM_400000_NS6detail17trampoline_kernelINS0_14default_configENS1_25partition_config_selectorILNS1_17partition_subalgoE1EyNS0_10empty_typeEbEEZZNS1_14partition_implILS5_1ELb0ES3_jN6thrust23THRUST_200600_302600_NS6detail15normal_iteratorINSA_10device_ptrIyEEEEPS6_NSA_18transform_iteratorI7is_evenIyESF_NSA_11use_defaultESK_EENS0_5tupleIJSF_SF_EEENSM_IJSG_SG_EEES6_PlJS6_EEE10hipError_tPvRmT3_T4_T5_T6_T7_T9_mT8_P12ihipStream_tbDpT10_ENKUlT_T0_E_clISt17integral_constantIbLb0EES19_EEDaS14_S15_EUlS14_E_NS1_11comp_targetILNS1_3genE10ELNS1_11target_archE1200ELNS1_3gpuE4ELNS1_3repE0EEENS1_30default_config_static_selectorELNS0_4arch9wavefront6targetE1EEEvT1_
                                        ; -- End function
	.section	.AMDGPU.csdata,"",@progbits
; Kernel info:
; codeLenInByte = 0
; NumSgprs: 4
; NumVgprs: 0
; NumAgprs: 0
; TotalNumVgprs: 0
; ScratchSize: 0
; MemoryBound: 0
; FloatMode: 240
; IeeeMode: 1
; LDSByteSize: 0 bytes/workgroup (compile time only)
; SGPRBlocks: 0
; VGPRBlocks: 0
; NumSGPRsForWavesPerEU: 4
; NumVGPRsForWavesPerEU: 1
; AccumOffset: 4
; Occupancy: 8
; WaveLimiterHint : 0
; COMPUTE_PGM_RSRC2:SCRATCH_EN: 0
; COMPUTE_PGM_RSRC2:USER_SGPR: 6
; COMPUTE_PGM_RSRC2:TRAP_HANDLER: 0
; COMPUTE_PGM_RSRC2:TGID_X_EN: 1
; COMPUTE_PGM_RSRC2:TGID_Y_EN: 0
; COMPUTE_PGM_RSRC2:TGID_Z_EN: 0
; COMPUTE_PGM_RSRC2:TIDIG_COMP_CNT: 0
; COMPUTE_PGM_RSRC3_GFX90A:ACCUM_OFFSET: 0
; COMPUTE_PGM_RSRC3_GFX90A:TG_SPLIT: 0
	.section	.text._ZN7rocprim17ROCPRIM_400000_NS6detail17trampoline_kernelINS0_14default_configENS1_25partition_config_selectorILNS1_17partition_subalgoE1EyNS0_10empty_typeEbEEZZNS1_14partition_implILS5_1ELb0ES3_jN6thrust23THRUST_200600_302600_NS6detail15normal_iteratorINSA_10device_ptrIyEEEEPS6_NSA_18transform_iteratorI7is_evenIyESF_NSA_11use_defaultESK_EENS0_5tupleIJSF_SF_EEENSM_IJSG_SG_EEES6_PlJS6_EEE10hipError_tPvRmT3_T4_T5_T6_T7_T9_mT8_P12ihipStream_tbDpT10_ENKUlT_T0_E_clISt17integral_constantIbLb0EES19_EEDaS14_S15_EUlS14_E_NS1_11comp_targetILNS1_3genE9ELNS1_11target_archE1100ELNS1_3gpuE3ELNS1_3repE0EEENS1_30default_config_static_selectorELNS0_4arch9wavefront6targetE1EEEvT1_,"axG",@progbits,_ZN7rocprim17ROCPRIM_400000_NS6detail17trampoline_kernelINS0_14default_configENS1_25partition_config_selectorILNS1_17partition_subalgoE1EyNS0_10empty_typeEbEEZZNS1_14partition_implILS5_1ELb0ES3_jN6thrust23THRUST_200600_302600_NS6detail15normal_iteratorINSA_10device_ptrIyEEEEPS6_NSA_18transform_iteratorI7is_evenIyESF_NSA_11use_defaultESK_EENS0_5tupleIJSF_SF_EEENSM_IJSG_SG_EEES6_PlJS6_EEE10hipError_tPvRmT3_T4_T5_T6_T7_T9_mT8_P12ihipStream_tbDpT10_ENKUlT_T0_E_clISt17integral_constantIbLb0EES19_EEDaS14_S15_EUlS14_E_NS1_11comp_targetILNS1_3genE9ELNS1_11target_archE1100ELNS1_3gpuE3ELNS1_3repE0EEENS1_30default_config_static_selectorELNS0_4arch9wavefront6targetE1EEEvT1_,comdat
	.protected	_ZN7rocprim17ROCPRIM_400000_NS6detail17trampoline_kernelINS0_14default_configENS1_25partition_config_selectorILNS1_17partition_subalgoE1EyNS0_10empty_typeEbEEZZNS1_14partition_implILS5_1ELb0ES3_jN6thrust23THRUST_200600_302600_NS6detail15normal_iteratorINSA_10device_ptrIyEEEEPS6_NSA_18transform_iteratorI7is_evenIyESF_NSA_11use_defaultESK_EENS0_5tupleIJSF_SF_EEENSM_IJSG_SG_EEES6_PlJS6_EEE10hipError_tPvRmT3_T4_T5_T6_T7_T9_mT8_P12ihipStream_tbDpT10_ENKUlT_T0_E_clISt17integral_constantIbLb0EES19_EEDaS14_S15_EUlS14_E_NS1_11comp_targetILNS1_3genE9ELNS1_11target_archE1100ELNS1_3gpuE3ELNS1_3repE0EEENS1_30default_config_static_selectorELNS0_4arch9wavefront6targetE1EEEvT1_ ; -- Begin function _ZN7rocprim17ROCPRIM_400000_NS6detail17trampoline_kernelINS0_14default_configENS1_25partition_config_selectorILNS1_17partition_subalgoE1EyNS0_10empty_typeEbEEZZNS1_14partition_implILS5_1ELb0ES3_jN6thrust23THRUST_200600_302600_NS6detail15normal_iteratorINSA_10device_ptrIyEEEEPS6_NSA_18transform_iteratorI7is_evenIyESF_NSA_11use_defaultESK_EENS0_5tupleIJSF_SF_EEENSM_IJSG_SG_EEES6_PlJS6_EEE10hipError_tPvRmT3_T4_T5_T6_T7_T9_mT8_P12ihipStream_tbDpT10_ENKUlT_T0_E_clISt17integral_constantIbLb0EES19_EEDaS14_S15_EUlS14_E_NS1_11comp_targetILNS1_3genE9ELNS1_11target_archE1100ELNS1_3gpuE3ELNS1_3repE0EEENS1_30default_config_static_selectorELNS0_4arch9wavefront6targetE1EEEvT1_
	.globl	_ZN7rocprim17ROCPRIM_400000_NS6detail17trampoline_kernelINS0_14default_configENS1_25partition_config_selectorILNS1_17partition_subalgoE1EyNS0_10empty_typeEbEEZZNS1_14partition_implILS5_1ELb0ES3_jN6thrust23THRUST_200600_302600_NS6detail15normal_iteratorINSA_10device_ptrIyEEEEPS6_NSA_18transform_iteratorI7is_evenIyESF_NSA_11use_defaultESK_EENS0_5tupleIJSF_SF_EEENSM_IJSG_SG_EEES6_PlJS6_EEE10hipError_tPvRmT3_T4_T5_T6_T7_T9_mT8_P12ihipStream_tbDpT10_ENKUlT_T0_E_clISt17integral_constantIbLb0EES19_EEDaS14_S15_EUlS14_E_NS1_11comp_targetILNS1_3genE9ELNS1_11target_archE1100ELNS1_3gpuE3ELNS1_3repE0EEENS1_30default_config_static_selectorELNS0_4arch9wavefront6targetE1EEEvT1_
	.p2align	8
	.type	_ZN7rocprim17ROCPRIM_400000_NS6detail17trampoline_kernelINS0_14default_configENS1_25partition_config_selectorILNS1_17partition_subalgoE1EyNS0_10empty_typeEbEEZZNS1_14partition_implILS5_1ELb0ES3_jN6thrust23THRUST_200600_302600_NS6detail15normal_iteratorINSA_10device_ptrIyEEEEPS6_NSA_18transform_iteratorI7is_evenIyESF_NSA_11use_defaultESK_EENS0_5tupleIJSF_SF_EEENSM_IJSG_SG_EEES6_PlJS6_EEE10hipError_tPvRmT3_T4_T5_T6_T7_T9_mT8_P12ihipStream_tbDpT10_ENKUlT_T0_E_clISt17integral_constantIbLb0EES19_EEDaS14_S15_EUlS14_E_NS1_11comp_targetILNS1_3genE9ELNS1_11target_archE1100ELNS1_3gpuE3ELNS1_3repE0EEENS1_30default_config_static_selectorELNS0_4arch9wavefront6targetE1EEEvT1_,@function
_ZN7rocprim17ROCPRIM_400000_NS6detail17trampoline_kernelINS0_14default_configENS1_25partition_config_selectorILNS1_17partition_subalgoE1EyNS0_10empty_typeEbEEZZNS1_14partition_implILS5_1ELb0ES3_jN6thrust23THRUST_200600_302600_NS6detail15normal_iteratorINSA_10device_ptrIyEEEEPS6_NSA_18transform_iteratorI7is_evenIyESF_NSA_11use_defaultESK_EENS0_5tupleIJSF_SF_EEENSM_IJSG_SG_EEES6_PlJS6_EEE10hipError_tPvRmT3_T4_T5_T6_T7_T9_mT8_P12ihipStream_tbDpT10_ENKUlT_T0_E_clISt17integral_constantIbLb0EES19_EEDaS14_S15_EUlS14_E_NS1_11comp_targetILNS1_3genE9ELNS1_11target_archE1100ELNS1_3gpuE3ELNS1_3repE0EEENS1_30default_config_static_selectorELNS0_4arch9wavefront6targetE1EEEvT1_: ; @_ZN7rocprim17ROCPRIM_400000_NS6detail17trampoline_kernelINS0_14default_configENS1_25partition_config_selectorILNS1_17partition_subalgoE1EyNS0_10empty_typeEbEEZZNS1_14partition_implILS5_1ELb0ES3_jN6thrust23THRUST_200600_302600_NS6detail15normal_iteratorINSA_10device_ptrIyEEEEPS6_NSA_18transform_iteratorI7is_evenIyESF_NSA_11use_defaultESK_EENS0_5tupleIJSF_SF_EEENSM_IJSG_SG_EEES6_PlJS6_EEE10hipError_tPvRmT3_T4_T5_T6_T7_T9_mT8_P12ihipStream_tbDpT10_ENKUlT_T0_E_clISt17integral_constantIbLb0EES19_EEDaS14_S15_EUlS14_E_NS1_11comp_targetILNS1_3genE9ELNS1_11target_archE1100ELNS1_3gpuE3ELNS1_3repE0EEENS1_30default_config_static_selectorELNS0_4arch9wavefront6targetE1EEEvT1_
; %bb.0:
	.section	.rodata,"a",@progbits
	.p2align	6, 0x0
	.amdhsa_kernel _ZN7rocprim17ROCPRIM_400000_NS6detail17trampoline_kernelINS0_14default_configENS1_25partition_config_selectorILNS1_17partition_subalgoE1EyNS0_10empty_typeEbEEZZNS1_14partition_implILS5_1ELb0ES3_jN6thrust23THRUST_200600_302600_NS6detail15normal_iteratorINSA_10device_ptrIyEEEEPS6_NSA_18transform_iteratorI7is_evenIyESF_NSA_11use_defaultESK_EENS0_5tupleIJSF_SF_EEENSM_IJSG_SG_EEES6_PlJS6_EEE10hipError_tPvRmT3_T4_T5_T6_T7_T9_mT8_P12ihipStream_tbDpT10_ENKUlT_T0_E_clISt17integral_constantIbLb0EES19_EEDaS14_S15_EUlS14_E_NS1_11comp_targetILNS1_3genE9ELNS1_11target_archE1100ELNS1_3gpuE3ELNS1_3repE0EEENS1_30default_config_static_selectorELNS0_4arch9wavefront6targetE1EEEvT1_
		.amdhsa_group_segment_fixed_size 0
		.amdhsa_private_segment_fixed_size 0
		.amdhsa_kernarg_size 128
		.amdhsa_user_sgpr_count 6
		.amdhsa_user_sgpr_private_segment_buffer 1
		.amdhsa_user_sgpr_dispatch_ptr 0
		.amdhsa_user_sgpr_queue_ptr 0
		.amdhsa_user_sgpr_kernarg_segment_ptr 1
		.amdhsa_user_sgpr_dispatch_id 0
		.amdhsa_user_sgpr_flat_scratch_init 0
		.amdhsa_user_sgpr_kernarg_preload_length 0
		.amdhsa_user_sgpr_kernarg_preload_offset 0
		.amdhsa_user_sgpr_private_segment_size 0
		.amdhsa_uses_dynamic_stack 0
		.amdhsa_system_sgpr_private_segment_wavefront_offset 0
		.amdhsa_system_sgpr_workgroup_id_x 1
		.amdhsa_system_sgpr_workgroup_id_y 0
		.amdhsa_system_sgpr_workgroup_id_z 0
		.amdhsa_system_sgpr_workgroup_info 0
		.amdhsa_system_vgpr_workitem_id 0
		.amdhsa_next_free_vgpr 1
		.amdhsa_next_free_sgpr 0
		.amdhsa_accum_offset 4
		.amdhsa_reserve_vcc 0
		.amdhsa_reserve_flat_scratch 0
		.amdhsa_float_round_mode_32 0
		.amdhsa_float_round_mode_16_64 0
		.amdhsa_float_denorm_mode_32 3
		.amdhsa_float_denorm_mode_16_64 3
		.amdhsa_dx10_clamp 1
		.amdhsa_ieee_mode 1
		.amdhsa_fp16_overflow 0
		.amdhsa_tg_split 0
		.amdhsa_exception_fp_ieee_invalid_op 0
		.amdhsa_exception_fp_denorm_src 0
		.amdhsa_exception_fp_ieee_div_zero 0
		.amdhsa_exception_fp_ieee_overflow 0
		.amdhsa_exception_fp_ieee_underflow 0
		.amdhsa_exception_fp_ieee_inexact 0
		.amdhsa_exception_int_div_zero 0
	.end_amdhsa_kernel
	.section	.text._ZN7rocprim17ROCPRIM_400000_NS6detail17trampoline_kernelINS0_14default_configENS1_25partition_config_selectorILNS1_17partition_subalgoE1EyNS0_10empty_typeEbEEZZNS1_14partition_implILS5_1ELb0ES3_jN6thrust23THRUST_200600_302600_NS6detail15normal_iteratorINSA_10device_ptrIyEEEEPS6_NSA_18transform_iteratorI7is_evenIyESF_NSA_11use_defaultESK_EENS0_5tupleIJSF_SF_EEENSM_IJSG_SG_EEES6_PlJS6_EEE10hipError_tPvRmT3_T4_T5_T6_T7_T9_mT8_P12ihipStream_tbDpT10_ENKUlT_T0_E_clISt17integral_constantIbLb0EES19_EEDaS14_S15_EUlS14_E_NS1_11comp_targetILNS1_3genE9ELNS1_11target_archE1100ELNS1_3gpuE3ELNS1_3repE0EEENS1_30default_config_static_selectorELNS0_4arch9wavefront6targetE1EEEvT1_,"axG",@progbits,_ZN7rocprim17ROCPRIM_400000_NS6detail17trampoline_kernelINS0_14default_configENS1_25partition_config_selectorILNS1_17partition_subalgoE1EyNS0_10empty_typeEbEEZZNS1_14partition_implILS5_1ELb0ES3_jN6thrust23THRUST_200600_302600_NS6detail15normal_iteratorINSA_10device_ptrIyEEEEPS6_NSA_18transform_iteratorI7is_evenIyESF_NSA_11use_defaultESK_EENS0_5tupleIJSF_SF_EEENSM_IJSG_SG_EEES6_PlJS6_EEE10hipError_tPvRmT3_T4_T5_T6_T7_T9_mT8_P12ihipStream_tbDpT10_ENKUlT_T0_E_clISt17integral_constantIbLb0EES19_EEDaS14_S15_EUlS14_E_NS1_11comp_targetILNS1_3genE9ELNS1_11target_archE1100ELNS1_3gpuE3ELNS1_3repE0EEENS1_30default_config_static_selectorELNS0_4arch9wavefront6targetE1EEEvT1_,comdat
.Lfunc_end2209:
	.size	_ZN7rocprim17ROCPRIM_400000_NS6detail17trampoline_kernelINS0_14default_configENS1_25partition_config_selectorILNS1_17partition_subalgoE1EyNS0_10empty_typeEbEEZZNS1_14partition_implILS5_1ELb0ES3_jN6thrust23THRUST_200600_302600_NS6detail15normal_iteratorINSA_10device_ptrIyEEEEPS6_NSA_18transform_iteratorI7is_evenIyESF_NSA_11use_defaultESK_EENS0_5tupleIJSF_SF_EEENSM_IJSG_SG_EEES6_PlJS6_EEE10hipError_tPvRmT3_T4_T5_T6_T7_T9_mT8_P12ihipStream_tbDpT10_ENKUlT_T0_E_clISt17integral_constantIbLb0EES19_EEDaS14_S15_EUlS14_E_NS1_11comp_targetILNS1_3genE9ELNS1_11target_archE1100ELNS1_3gpuE3ELNS1_3repE0EEENS1_30default_config_static_selectorELNS0_4arch9wavefront6targetE1EEEvT1_, .Lfunc_end2209-_ZN7rocprim17ROCPRIM_400000_NS6detail17trampoline_kernelINS0_14default_configENS1_25partition_config_selectorILNS1_17partition_subalgoE1EyNS0_10empty_typeEbEEZZNS1_14partition_implILS5_1ELb0ES3_jN6thrust23THRUST_200600_302600_NS6detail15normal_iteratorINSA_10device_ptrIyEEEEPS6_NSA_18transform_iteratorI7is_evenIyESF_NSA_11use_defaultESK_EENS0_5tupleIJSF_SF_EEENSM_IJSG_SG_EEES6_PlJS6_EEE10hipError_tPvRmT3_T4_T5_T6_T7_T9_mT8_P12ihipStream_tbDpT10_ENKUlT_T0_E_clISt17integral_constantIbLb0EES19_EEDaS14_S15_EUlS14_E_NS1_11comp_targetILNS1_3genE9ELNS1_11target_archE1100ELNS1_3gpuE3ELNS1_3repE0EEENS1_30default_config_static_selectorELNS0_4arch9wavefront6targetE1EEEvT1_
                                        ; -- End function
	.section	.AMDGPU.csdata,"",@progbits
; Kernel info:
; codeLenInByte = 0
; NumSgprs: 4
; NumVgprs: 0
; NumAgprs: 0
; TotalNumVgprs: 0
; ScratchSize: 0
; MemoryBound: 0
; FloatMode: 240
; IeeeMode: 1
; LDSByteSize: 0 bytes/workgroup (compile time only)
; SGPRBlocks: 0
; VGPRBlocks: 0
; NumSGPRsForWavesPerEU: 4
; NumVGPRsForWavesPerEU: 1
; AccumOffset: 4
; Occupancy: 8
; WaveLimiterHint : 0
; COMPUTE_PGM_RSRC2:SCRATCH_EN: 0
; COMPUTE_PGM_RSRC2:USER_SGPR: 6
; COMPUTE_PGM_RSRC2:TRAP_HANDLER: 0
; COMPUTE_PGM_RSRC2:TGID_X_EN: 1
; COMPUTE_PGM_RSRC2:TGID_Y_EN: 0
; COMPUTE_PGM_RSRC2:TGID_Z_EN: 0
; COMPUTE_PGM_RSRC2:TIDIG_COMP_CNT: 0
; COMPUTE_PGM_RSRC3_GFX90A:ACCUM_OFFSET: 0
; COMPUTE_PGM_RSRC3_GFX90A:TG_SPLIT: 0
	.section	.text._ZN7rocprim17ROCPRIM_400000_NS6detail17trampoline_kernelINS0_14default_configENS1_25partition_config_selectorILNS1_17partition_subalgoE1EyNS0_10empty_typeEbEEZZNS1_14partition_implILS5_1ELb0ES3_jN6thrust23THRUST_200600_302600_NS6detail15normal_iteratorINSA_10device_ptrIyEEEEPS6_NSA_18transform_iteratorI7is_evenIyESF_NSA_11use_defaultESK_EENS0_5tupleIJSF_SF_EEENSM_IJSG_SG_EEES6_PlJS6_EEE10hipError_tPvRmT3_T4_T5_T6_T7_T9_mT8_P12ihipStream_tbDpT10_ENKUlT_T0_E_clISt17integral_constantIbLb0EES19_EEDaS14_S15_EUlS14_E_NS1_11comp_targetILNS1_3genE8ELNS1_11target_archE1030ELNS1_3gpuE2ELNS1_3repE0EEENS1_30default_config_static_selectorELNS0_4arch9wavefront6targetE1EEEvT1_,"axG",@progbits,_ZN7rocprim17ROCPRIM_400000_NS6detail17trampoline_kernelINS0_14default_configENS1_25partition_config_selectorILNS1_17partition_subalgoE1EyNS0_10empty_typeEbEEZZNS1_14partition_implILS5_1ELb0ES3_jN6thrust23THRUST_200600_302600_NS6detail15normal_iteratorINSA_10device_ptrIyEEEEPS6_NSA_18transform_iteratorI7is_evenIyESF_NSA_11use_defaultESK_EENS0_5tupleIJSF_SF_EEENSM_IJSG_SG_EEES6_PlJS6_EEE10hipError_tPvRmT3_T4_T5_T6_T7_T9_mT8_P12ihipStream_tbDpT10_ENKUlT_T0_E_clISt17integral_constantIbLb0EES19_EEDaS14_S15_EUlS14_E_NS1_11comp_targetILNS1_3genE8ELNS1_11target_archE1030ELNS1_3gpuE2ELNS1_3repE0EEENS1_30default_config_static_selectorELNS0_4arch9wavefront6targetE1EEEvT1_,comdat
	.protected	_ZN7rocprim17ROCPRIM_400000_NS6detail17trampoline_kernelINS0_14default_configENS1_25partition_config_selectorILNS1_17partition_subalgoE1EyNS0_10empty_typeEbEEZZNS1_14partition_implILS5_1ELb0ES3_jN6thrust23THRUST_200600_302600_NS6detail15normal_iteratorINSA_10device_ptrIyEEEEPS6_NSA_18transform_iteratorI7is_evenIyESF_NSA_11use_defaultESK_EENS0_5tupleIJSF_SF_EEENSM_IJSG_SG_EEES6_PlJS6_EEE10hipError_tPvRmT3_T4_T5_T6_T7_T9_mT8_P12ihipStream_tbDpT10_ENKUlT_T0_E_clISt17integral_constantIbLb0EES19_EEDaS14_S15_EUlS14_E_NS1_11comp_targetILNS1_3genE8ELNS1_11target_archE1030ELNS1_3gpuE2ELNS1_3repE0EEENS1_30default_config_static_selectorELNS0_4arch9wavefront6targetE1EEEvT1_ ; -- Begin function _ZN7rocprim17ROCPRIM_400000_NS6detail17trampoline_kernelINS0_14default_configENS1_25partition_config_selectorILNS1_17partition_subalgoE1EyNS0_10empty_typeEbEEZZNS1_14partition_implILS5_1ELb0ES3_jN6thrust23THRUST_200600_302600_NS6detail15normal_iteratorINSA_10device_ptrIyEEEEPS6_NSA_18transform_iteratorI7is_evenIyESF_NSA_11use_defaultESK_EENS0_5tupleIJSF_SF_EEENSM_IJSG_SG_EEES6_PlJS6_EEE10hipError_tPvRmT3_T4_T5_T6_T7_T9_mT8_P12ihipStream_tbDpT10_ENKUlT_T0_E_clISt17integral_constantIbLb0EES19_EEDaS14_S15_EUlS14_E_NS1_11comp_targetILNS1_3genE8ELNS1_11target_archE1030ELNS1_3gpuE2ELNS1_3repE0EEENS1_30default_config_static_selectorELNS0_4arch9wavefront6targetE1EEEvT1_
	.globl	_ZN7rocprim17ROCPRIM_400000_NS6detail17trampoline_kernelINS0_14default_configENS1_25partition_config_selectorILNS1_17partition_subalgoE1EyNS0_10empty_typeEbEEZZNS1_14partition_implILS5_1ELb0ES3_jN6thrust23THRUST_200600_302600_NS6detail15normal_iteratorINSA_10device_ptrIyEEEEPS6_NSA_18transform_iteratorI7is_evenIyESF_NSA_11use_defaultESK_EENS0_5tupleIJSF_SF_EEENSM_IJSG_SG_EEES6_PlJS6_EEE10hipError_tPvRmT3_T4_T5_T6_T7_T9_mT8_P12ihipStream_tbDpT10_ENKUlT_T0_E_clISt17integral_constantIbLb0EES19_EEDaS14_S15_EUlS14_E_NS1_11comp_targetILNS1_3genE8ELNS1_11target_archE1030ELNS1_3gpuE2ELNS1_3repE0EEENS1_30default_config_static_selectorELNS0_4arch9wavefront6targetE1EEEvT1_
	.p2align	8
	.type	_ZN7rocprim17ROCPRIM_400000_NS6detail17trampoline_kernelINS0_14default_configENS1_25partition_config_selectorILNS1_17partition_subalgoE1EyNS0_10empty_typeEbEEZZNS1_14partition_implILS5_1ELb0ES3_jN6thrust23THRUST_200600_302600_NS6detail15normal_iteratorINSA_10device_ptrIyEEEEPS6_NSA_18transform_iteratorI7is_evenIyESF_NSA_11use_defaultESK_EENS0_5tupleIJSF_SF_EEENSM_IJSG_SG_EEES6_PlJS6_EEE10hipError_tPvRmT3_T4_T5_T6_T7_T9_mT8_P12ihipStream_tbDpT10_ENKUlT_T0_E_clISt17integral_constantIbLb0EES19_EEDaS14_S15_EUlS14_E_NS1_11comp_targetILNS1_3genE8ELNS1_11target_archE1030ELNS1_3gpuE2ELNS1_3repE0EEENS1_30default_config_static_selectorELNS0_4arch9wavefront6targetE1EEEvT1_,@function
_ZN7rocprim17ROCPRIM_400000_NS6detail17trampoline_kernelINS0_14default_configENS1_25partition_config_selectorILNS1_17partition_subalgoE1EyNS0_10empty_typeEbEEZZNS1_14partition_implILS5_1ELb0ES3_jN6thrust23THRUST_200600_302600_NS6detail15normal_iteratorINSA_10device_ptrIyEEEEPS6_NSA_18transform_iteratorI7is_evenIyESF_NSA_11use_defaultESK_EENS0_5tupleIJSF_SF_EEENSM_IJSG_SG_EEES6_PlJS6_EEE10hipError_tPvRmT3_T4_T5_T6_T7_T9_mT8_P12ihipStream_tbDpT10_ENKUlT_T0_E_clISt17integral_constantIbLb0EES19_EEDaS14_S15_EUlS14_E_NS1_11comp_targetILNS1_3genE8ELNS1_11target_archE1030ELNS1_3gpuE2ELNS1_3repE0EEENS1_30default_config_static_selectorELNS0_4arch9wavefront6targetE1EEEvT1_: ; @_ZN7rocprim17ROCPRIM_400000_NS6detail17trampoline_kernelINS0_14default_configENS1_25partition_config_selectorILNS1_17partition_subalgoE1EyNS0_10empty_typeEbEEZZNS1_14partition_implILS5_1ELb0ES3_jN6thrust23THRUST_200600_302600_NS6detail15normal_iteratorINSA_10device_ptrIyEEEEPS6_NSA_18transform_iteratorI7is_evenIyESF_NSA_11use_defaultESK_EENS0_5tupleIJSF_SF_EEENSM_IJSG_SG_EEES6_PlJS6_EEE10hipError_tPvRmT3_T4_T5_T6_T7_T9_mT8_P12ihipStream_tbDpT10_ENKUlT_T0_E_clISt17integral_constantIbLb0EES19_EEDaS14_S15_EUlS14_E_NS1_11comp_targetILNS1_3genE8ELNS1_11target_archE1030ELNS1_3gpuE2ELNS1_3repE0EEENS1_30default_config_static_selectorELNS0_4arch9wavefront6targetE1EEEvT1_
; %bb.0:
	.section	.rodata,"a",@progbits
	.p2align	6, 0x0
	.amdhsa_kernel _ZN7rocprim17ROCPRIM_400000_NS6detail17trampoline_kernelINS0_14default_configENS1_25partition_config_selectorILNS1_17partition_subalgoE1EyNS0_10empty_typeEbEEZZNS1_14partition_implILS5_1ELb0ES3_jN6thrust23THRUST_200600_302600_NS6detail15normal_iteratorINSA_10device_ptrIyEEEEPS6_NSA_18transform_iteratorI7is_evenIyESF_NSA_11use_defaultESK_EENS0_5tupleIJSF_SF_EEENSM_IJSG_SG_EEES6_PlJS6_EEE10hipError_tPvRmT3_T4_T5_T6_T7_T9_mT8_P12ihipStream_tbDpT10_ENKUlT_T0_E_clISt17integral_constantIbLb0EES19_EEDaS14_S15_EUlS14_E_NS1_11comp_targetILNS1_3genE8ELNS1_11target_archE1030ELNS1_3gpuE2ELNS1_3repE0EEENS1_30default_config_static_selectorELNS0_4arch9wavefront6targetE1EEEvT1_
		.amdhsa_group_segment_fixed_size 0
		.amdhsa_private_segment_fixed_size 0
		.amdhsa_kernarg_size 128
		.amdhsa_user_sgpr_count 6
		.amdhsa_user_sgpr_private_segment_buffer 1
		.amdhsa_user_sgpr_dispatch_ptr 0
		.amdhsa_user_sgpr_queue_ptr 0
		.amdhsa_user_sgpr_kernarg_segment_ptr 1
		.amdhsa_user_sgpr_dispatch_id 0
		.amdhsa_user_sgpr_flat_scratch_init 0
		.amdhsa_user_sgpr_kernarg_preload_length 0
		.amdhsa_user_sgpr_kernarg_preload_offset 0
		.amdhsa_user_sgpr_private_segment_size 0
		.amdhsa_uses_dynamic_stack 0
		.amdhsa_system_sgpr_private_segment_wavefront_offset 0
		.amdhsa_system_sgpr_workgroup_id_x 1
		.amdhsa_system_sgpr_workgroup_id_y 0
		.amdhsa_system_sgpr_workgroup_id_z 0
		.amdhsa_system_sgpr_workgroup_info 0
		.amdhsa_system_vgpr_workitem_id 0
		.amdhsa_next_free_vgpr 1
		.amdhsa_next_free_sgpr 0
		.amdhsa_accum_offset 4
		.amdhsa_reserve_vcc 0
		.amdhsa_reserve_flat_scratch 0
		.amdhsa_float_round_mode_32 0
		.amdhsa_float_round_mode_16_64 0
		.amdhsa_float_denorm_mode_32 3
		.amdhsa_float_denorm_mode_16_64 3
		.amdhsa_dx10_clamp 1
		.amdhsa_ieee_mode 1
		.amdhsa_fp16_overflow 0
		.amdhsa_tg_split 0
		.amdhsa_exception_fp_ieee_invalid_op 0
		.amdhsa_exception_fp_denorm_src 0
		.amdhsa_exception_fp_ieee_div_zero 0
		.amdhsa_exception_fp_ieee_overflow 0
		.amdhsa_exception_fp_ieee_underflow 0
		.amdhsa_exception_fp_ieee_inexact 0
		.amdhsa_exception_int_div_zero 0
	.end_amdhsa_kernel
	.section	.text._ZN7rocprim17ROCPRIM_400000_NS6detail17trampoline_kernelINS0_14default_configENS1_25partition_config_selectorILNS1_17partition_subalgoE1EyNS0_10empty_typeEbEEZZNS1_14partition_implILS5_1ELb0ES3_jN6thrust23THRUST_200600_302600_NS6detail15normal_iteratorINSA_10device_ptrIyEEEEPS6_NSA_18transform_iteratorI7is_evenIyESF_NSA_11use_defaultESK_EENS0_5tupleIJSF_SF_EEENSM_IJSG_SG_EEES6_PlJS6_EEE10hipError_tPvRmT3_T4_T5_T6_T7_T9_mT8_P12ihipStream_tbDpT10_ENKUlT_T0_E_clISt17integral_constantIbLb0EES19_EEDaS14_S15_EUlS14_E_NS1_11comp_targetILNS1_3genE8ELNS1_11target_archE1030ELNS1_3gpuE2ELNS1_3repE0EEENS1_30default_config_static_selectorELNS0_4arch9wavefront6targetE1EEEvT1_,"axG",@progbits,_ZN7rocprim17ROCPRIM_400000_NS6detail17trampoline_kernelINS0_14default_configENS1_25partition_config_selectorILNS1_17partition_subalgoE1EyNS0_10empty_typeEbEEZZNS1_14partition_implILS5_1ELb0ES3_jN6thrust23THRUST_200600_302600_NS6detail15normal_iteratorINSA_10device_ptrIyEEEEPS6_NSA_18transform_iteratorI7is_evenIyESF_NSA_11use_defaultESK_EENS0_5tupleIJSF_SF_EEENSM_IJSG_SG_EEES6_PlJS6_EEE10hipError_tPvRmT3_T4_T5_T6_T7_T9_mT8_P12ihipStream_tbDpT10_ENKUlT_T0_E_clISt17integral_constantIbLb0EES19_EEDaS14_S15_EUlS14_E_NS1_11comp_targetILNS1_3genE8ELNS1_11target_archE1030ELNS1_3gpuE2ELNS1_3repE0EEENS1_30default_config_static_selectorELNS0_4arch9wavefront6targetE1EEEvT1_,comdat
.Lfunc_end2210:
	.size	_ZN7rocprim17ROCPRIM_400000_NS6detail17trampoline_kernelINS0_14default_configENS1_25partition_config_selectorILNS1_17partition_subalgoE1EyNS0_10empty_typeEbEEZZNS1_14partition_implILS5_1ELb0ES3_jN6thrust23THRUST_200600_302600_NS6detail15normal_iteratorINSA_10device_ptrIyEEEEPS6_NSA_18transform_iteratorI7is_evenIyESF_NSA_11use_defaultESK_EENS0_5tupleIJSF_SF_EEENSM_IJSG_SG_EEES6_PlJS6_EEE10hipError_tPvRmT3_T4_T5_T6_T7_T9_mT8_P12ihipStream_tbDpT10_ENKUlT_T0_E_clISt17integral_constantIbLb0EES19_EEDaS14_S15_EUlS14_E_NS1_11comp_targetILNS1_3genE8ELNS1_11target_archE1030ELNS1_3gpuE2ELNS1_3repE0EEENS1_30default_config_static_selectorELNS0_4arch9wavefront6targetE1EEEvT1_, .Lfunc_end2210-_ZN7rocprim17ROCPRIM_400000_NS6detail17trampoline_kernelINS0_14default_configENS1_25partition_config_selectorILNS1_17partition_subalgoE1EyNS0_10empty_typeEbEEZZNS1_14partition_implILS5_1ELb0ES3_jN6thrust23THRUST_200600_302600_NS6detail15normal_iteratorINSA_10device_ptrIyEEEEPS6_NSA_18transform_iteratorI7is_evenIyESF_NSA_11use_defaultESK_EENS0_5tupleIJSF_SF_EEENSM_IJSG_SG_EEES6_PlJS6_EEE10hipError_tPvRmT3_T4_T5_T6_T7_T9_mT8_P12ihipStream_tbDpT10_ENKUlT_T0_E_clISt17integral_constantIbLb0EES19_EEDaS14_S15_EUlS14_E_NS1_11comp_targetILNS1_3genE8ELNS1_11target_archE1030ELNS1_3gpuE2ELNS1_3repE0EEENS1_30default_config_static_selectorELNS0_4arch9wavefront6targetE1EEEvT1_
                                        ; -- End function
	.section	.AMDGPU.csdata,"",@progbits
; Kernel info:
; codeLenInByte = 0
; NumSgprs: 4
; NumVgprs: 0
; NumAgprs: 0
; TotalNumVgprs: 0
; ScratchSize: 0
; MemoryBound: 0
; FloatMode: 240
; IeeeMode: 1
; LDSByteSize: 0 bytes/workgroup (compile time only)
; SGPRBlocks: 0
; VGPRBlocks: 0
; NumSGPRsForWavesPerEU: 4
; NumVGPRsForWavesPerEU: 1
; AccumOffset: 4
; Occupancy: 8
; WaveLimiterHint : 0
; COMPUTE_PGM_RSRC2:SCRATCH_EN: 0
; COMPUTE_PGM_RSRC2:USER_SGPR: 6
; COMPUTE_PGM_RSRC2:TRAP_HANDLER: 0
; COMPUTE_PGM_RSRC2:TGID_X_EN: 1
; COMPUTE_PGM_RSRC2:TGID_Y_EN: 0
; COMPUTE_PGM_RSRC2:TGID_Z_EN: 0
; COMPUTE_PGM_RSRC2:TIDIG_COMP_CNT: 0
; COMPUTE_PGM_RSRC3_GFX90A:ACCUM_OFFSET: 0
; COMPUTE_PGM_RSRC3_GFX90A:TG_SPLIT: 0
	.section	.text._ZN7rocprim17ROCPRIM_400000_NS6detail17trampoline_kernelINS0_14default_configENS1_25partition_config_selectorILNS1_17partition_subalgoE1EyNS0_10empty_typeEbEEZZNS1_14partition_implILS5_1ELb0ES3_jN6thrust23THRUST_200600_302600_NS6detail15normal_iteratorINSA_10device_ptrIyEEEEPS6_NSA_18transform_iteratorI7is_evenIyESF_NSA_11use_defaultESK_EENS0_5tupleIJSF_SF_EEENSM_IJSG_SG_EEES6_PlJS6_EEE10hipError_tPvRmT3_T4_T5_T6_T7_T9_mT8_P12ihipStream_tbDpT10_ENKUlT_T0_E_clISt17integral_constantIbLb1EES19_EEDaS14_S15_EUlS14_E_NS1_11comp_targetILNS1_3genE0ELNS1_11target_archE4294967295ELNS1_3gpuE0ELNS1_3repE0EEENS1_30default_config_static_selectorELNS0_4arch9wavefront6targetE1EEEvT1_,"axG",@progbits,_ZN7rocprim17ROCPRIM_400000_NS6detail17trampoline_kernelINS0_14default_configENS1_25partition_config_selectorILNS1_17partition_subalgoE1EyNS0_10empty_typeEbEEZZNS1_14partition_implILS5_1ELb0ES3_jN6thrust23THRUST_200600_302600_NS6detail15normal_iteratorINSA_10device_ptrIyEEEEPS6_NSA_18transform_iteratorI7is_evenIyESF_NSA_11use_defaultESK_EENS0_5tupleIJSF_SF_EEENSM_IJSG_SG_EEES6_PlJS6_EEE10hipError_tPvRmT3_T4_T5_T6_T7_T9_mT8_P12ihipStream_tbDpT10_ENKUlT_T0_E_clISt17integral_constantIbLb1EES19_EEDaS14_S15_EUlS14_E_NS1_11comp_targetILNS1_3genE0ELNS1_11target_archE4294967295ELNS1_3gpuE0ELNS1_3repE0EEENS1_30default_config_static_selectorELNS0_4arch9wavefront6targetE1EEEvT1_,comdat
	.protected	_ZN7rocprim17ROCPRIM_400000_NS6detail17trampoline_kernelINS0_14default_configENS1_25partition_config_selectorILNS1_17partition_subalgoE1EyNS0_10empty_typeEbEEZZNS1_14partition_implILS5_1ELb0ES3_jN6thrust23THRUST_200600_302600_NS6detail15normal_iteratorINSA_10device_ptrIyEEEEPS6_NSA_18transform_iteratorI7is_evenIyESF_NSA_11use_defaultESK_EENS0_5tupleIJSF_SF_EEENSM_IJSG_SG_EEES6_PlJS6_EEE10hipError_tPvRmT3_T4_T5_T6_T7_T9_mT8_P12ihipStream_tbDpT10_ENKUlT_T0_E_clISt17integral_constantIbLb1EES19_EEDaS14_S15_EUlS14_E_NS1_11comp_targetILNS1_3genE0ELNS1_11target_archE4294967295ELNS1_3gpuE0ELNS1_3repE0EEENS1_30default_config_static_selectorELNS0_4arch9wavefront6targetE1EEEvT1_ ; -- Begin function _ZN7rocprim17ROCPRIM_400000_NS6detail17trampoline_kernelINS0_14default_configENS1_25partition_config_selectorILNS1_17partition_subalgoE1EyNS0_10empty_typeEbEEZZNS1_14partition_implILS5_1ELb0ES3_jN6thrust23THRUST_200600_302600_NS6detail15normal_iteratorINSA_10device_ptrIyEEEEPS6_NSA_18transform_iteratorI7is_evenIyESF_NSA_11use_defaultESK_EENS0_5tupleIJSF_SF_EEENSM_IJSG_SG_EEES6_PlJS6_EEE10hipError_tPvRmT3_T4_T5_T6_T7_T9_mT8_P12ihipStream_tbDpT10_ENKUlT_T0_E_clISt17integral_constantIbLb1EES19_EEDaS14_S15_EUlS14_E_NS1_11comp_targetILNS1_3genE0ELNS1_11target_archE4294967295ELNS1_3gpuE0ELNS1_3repE0EEENS1_30default_config_static_selectorELNS0_4arch9wavefront6targetE1EEEvT1_
	.globl	_ZN7rocprim17ROCPRIM_400000_NS6detail17trampoline_kernelINS0_14default_configENS1_25partition_config_selectorILNS1_17partition_subalgoE1EyNS0_10empty_typeEbEEZZNS1_14partition_implILS5_1ELb0ES3_jN6thrust23THRUST_200600_302600_NS6detail15normal_iteratorINSA_10device_ptrIyEEEEPS6_NSA_18transform_iteratorI7is_evenIyESF_NSA_11use_defaultESK_EENS0_5tupleIJSF_SF_EEENSM_IJSG_SG_EEES6_PlJS6_EEE10hipError_tPvRmT3_T4_T5_T6_T7_T9_mT8_P12ihipStream_tbDpT10_ENKUlT_T0_E_clISt17integral_constantIbLb1EES19_EEDaS14_S15_EUlS14_E_NS1_11comp_targetILNS1_3genE0ELNS1_11target_archE4294967295ELNS1_3gpuE0ELNS1_3repE0EEENS1_30default_config_static_selectorELNS0_4arch9wavefront6targetE1EEEvT1_
	.p2align	8
	.type	_ZN7rocprim17ROCPRIM_400000_NS6detail17trampoline_kernelINS0_14default_configENS1_25partition_config_selectorILNS1_17partition_subalgoE1EyNS0_10empty_typeEbEEZZNS1_14partition_implILS5_1ELb0ES3_jN6thrust23THRUST_200600_302600_NS6detail15normal_iteratorINSA_10device_ptrIyEEEEPS6_NSA_18transform_iteratorI7is_evenIyESF_NSA_11use_defaultESK_EENS0_5tupleIJSF_SF_EEENSM_IJSG_SG_EEES6_PlJS6_EEE10hipError_tPvRmT3_T4_T5_T6_T7_T9_mT8_P12ihipStream_tbDpT10_ENKUlT_T0_E_clISt17integral_constantIbLb1EES19_EEDaS14_S15_EUlS14_E_NS1_11comp_targetILNS1_3genE0ELNS1_11target_archE4294967295ELNS1_3gpuE0ELNS1_3repE0EEENS1_30default_config_static_selectorELNS0_4arch9wavefront6targetE1EEEvT1_,@function
_ZN7rocprim17ROCPRIM_400000_NS6detail17trampoline_kernelINS0_14default_configENS1_25partition_config_selectorILNS1_17partition_subalgoE1EyNS0_10empty_typeEbEEZZNS1_14partition_implILS5_1ELb0ES3_jN6thrust23THRUST_200600_302600_NS6detail15normal_iteratorINSA_10device_ptrIyEEEEPS6_NSA_18transform_iteratorI7is_evenIyESF_NSA_11use_defaultESK_EENS0_5tupleIJSF_SF_EEENSM_IJSG_SG_EEES6_PlJS6_EEE10hipError_tPvRmT3_T4_T5_T6_T7_T9_mT8_P12ihipStream_tbDpT10_ENKUlT_T0_E_clISt17integral_constantIbLb1EES19_EEDaS14_S15_EUlS14_E_NS1_11comp_targetILNS1_3genE0ELNS1_11target_archE4294967295ELNS1_3gpuE0ELNS1_3repE0EEENS1_30default_config_static_selectorELNS0_4arch9wavefront6targetE1EEEvT1_: ; @_ZN7rocprim17ROCPRIM_400000_NS6detail17trampoline_kernelINS0_14default_configENS1_25partition_config_selectorILNS1_17partition_subalgoE1EyNS0_10empty_typeEbEEZZNS1_14partition_implILS5_1ELb0ES3_jN6thrust23THRUST_200600_302600_NS6detail15normal_iteratorINSA_10device_ptrIyEEEEPS6_NSA_18transform_iteratorI7is_evenIyESF_NSA_11use_defaultESK_EENS0_5tupleIJSF_SF_EEENSM_IJSG_SG_EEES6_PlJS6_EEE10hipError_tPvRmT3_T4_T5_T6_T7_T9_mT8_P12ihipStream_tbDpT10_ENKUlT_T0_E_clISt17integral_constantIbLb1EES19_EEDaS14_S15_EUlS14_E_NS1_11comp_targetILNS1_3genE0ELNS1_11target_archE4294967295ELNS1_3gpuE0ELNS1_3repE0EEENS1_30default_config_static_selectorELNS0_4arch9wavefront6targetE1EEEvT1_
; %bb.0:
	.section	.rodata,"a",@progbits
	.p2align	6, 0x0
	.amdhsa_kernel _ZN7rocprim17ROCPRIM_400000_NS6detail17trampoline_kernelINS0_14default_configENS1_25partition_config_selectorILNS1_17partition_subalgoE1EyNS0_10empty_typeEbEEZZNS1_14partition_implILS5_1ELb0ES3_jN6thrust23THRUST_200600_302600_NS6detail15normal_iteratorINSA_10device_ptrIyEEEEPS6_NSA_18transform_iteratorI7is_evenIyESF_NSA_11use_defaultESK_EENS0_5tupleIJSF_SF_EEENSM_IJSG_SG_EEES6_PlJS6_EEE10hipError_tPvRmT3_T4_T5_T6_T7_T9_mT8_P12ihipStream_tbDpT10_ENKUlT_T0_E_clISt17integral_constantIbLb1EES19_EEDaS14_S15_EUlS14_E_NS1_11comp_targetILNS1_3genE0ELNS1_11target_archE4294967295ELNS1_3gpuE0ELNS1_3repE0EEENS1_30default_config_static_selectorELNS0_4arch9wavefront6targetE1EEEvT1_
		.amdhsa_group_segment_fixed_size 0
		.amdhsa_private_segment_fixed_size 0
		.amdhsa_kernarg_size 144
		.amdhsa_user_sgpr_count 6
		.amdhsa_user_sgpr_private_segment_buffer 1
		.amdhsa_user_sgpr_dispatch_ptr 0
		.amdhsa_user_sgpr_queue_ptr 0
		.amdhsa_user_sgpr_kernarg_segment_ptr 1
		.amdhsa_user_sgpr_dispatch_id 0
		.amdhsa_user_sgpr_flat_scratch_init 0
		.amdhsa_user_sgpr_kernarg_preload_length 0
		.amdhsa_user_sgpr_kernarg_preload_offset 0
		.amdhsa_user_sgpr_private_segment_size 0
		.amdhsa_uses_dynamic_stack 0
		.amdhsa_system_sgpr_private_segment_wavefront_offset 0
		.amdhsa_system_sgpr_workgroup_id_x 1
		.amdhsa_system_sgpr_workgroup_id_y 0
		.amdhsa_system_sgpr_workgroup_id_z 0
		.amdhsa_system_sgpr_workgroup_info 0
		.amdhsa_system_vgpr_workitem_id 0
		.amdhsa_next_free_vgpr 1
		.amdhsa_next_free_sgpr 0
		.amdhsa_accum_offset 4
		.amdhsa_reserve_vcc 0
		.amdhsa_reserve_flat_scratch 0
		.amdhsa_float_round_mode_32 0
		.amdhsa_float_round_mode_16_64 0
		.amdhsa_float_denorm_mode_32 3
		.amdhsa_float_denorm_mode_16_64 3
		.amdhsa_dx10_clamp 1
		.amdhsa_ieee_mode 1
		.amdhsa_fp16_overflow 0
		.amdhsa_tg_split 0
		.amdhsa_exception_fp_ieee_invalid_op 0
		.amdhsa_exception_fp_denorm_src 0
		.amdhsa_exception_fp_ieee_div_zero 0
		.amdhsa_exception_fp_ieee_overflow 0
		.amdhsa_exception_fp_ieee_underflow 0
		.amdhsa_exception_fp_ieee_inexact 0
		.amdhsa_exception_int_div_zero 0
	.end_amdhsa_kernel
	.section	.text._ZN7rocprim17ROCPRIM_400000_NS6detail17trampoline_kernelINS0_14default_configENS1_25partition_config_selectorILNS1_17partition_subalgoE1EyNS0_10empty_typeEbEEZZNS1_14partition_implILS5_1ELb0ES3_jN6thrust23THRUST_200600_302600_NS6detail15normal_iteratorINSA_10device_ptrIyEEEEPS6_NSA_18transform_iteratorI7is_evenIyESF_NSA_11use_defaultESK_EENS0_5tupleIJSF_SF_EEENSM_IJSG_SG_EEES6_PlJS6_EEE10hipError_tPvRmT3_T4_T5_T6_T7_T9_mT8_P12ihipStream_tbDpT10_ENKUlT_T0_E_clISt17integral_constantIbLb1EES19_EEDaS14_S15_EUlS14_E_NS1_11comp_targetILNS1_3genE0ELNS1_11target_archE4294967295ELNS1_3gpuE0ELNS1_3repE0EEENS1_30default_config_static_selectorELNS0_4arch9wavefront6targetE1EEEvT1_,"axG",@progbits,_ZN7rocprim17ROCPRIM_400000_NS6detail17trampoline_kernelINS0_14default_configENS1_25partition_config_selectorILNS1_17partition_subalgoE1EyNS0_10empty_typeEbEEZZNS1_14partition_implILS5_1ELb0ES3_jN6thrust23THRUST_200600_302600_NS6detail15normal_iteratorINSA_10device_ptrIyEEEEPS6_NSA_18transform_iteratorI7is_evenIyESF_NSA_11use_defaultESK_EENS0_5tupleIJSF_SF_EEENSM_IJSG_SG_EEES6_PlJS6_EEE10hipError_tPvRmT3_T4_T5_T6_T7_T9_mT8_P12ihipStream_tbDpT10_ENKUlT_T0_E_clISt17integral_constantIbLb1EES19_EEDaS14_S15_EUlS14_E_NS1_11comp_targetILNS1_3genE0ELNS1_11target_archE4294967295ELNS1_3gpuE0ELNS1_3repE0EEENS1_30default_config_static_selectorELNS0_4arch9wavefront6targetE1EEEvT1_,comdat
.Lfunc_end2211:
	.size	_ZN7rocprim17ROCPRIM_400000_NS6detail17trampoline_kernelINS0_14default_configENS1_25partition_config_selectorILNS1_17partition_subalgoE1EyNS0_10empty_typeEbEEZZNS1_14partition_implILS5_1ELb0ES3_jN6thrust23THRUST_200600_302600_NS6detail15normal_iteratorINSA_10device_ptrIyEEEEPS6_NSA_18transform_iteratorI7is_evenIyESF_NSA_11use_defaultESK_EENS0_5tupleIJSF_SF_EEENSM_IJSG_SG_EEES6_PlJS6_EEE10hipError_tPvRmT3_T4_T5_T6_T7_T9_mT8_P12ihipStream_tbDpT10_ENKUlT_T0_E_clISt17integral_constantIbLb1EES19_EEDaS14_S15_EUlS14_E_NS1_11comp_targetILNS1_3genE0ELNS1_11target_archE4294967295ELNS1_3gpuE0ELNS1_3repE0EEENS1_30default_config_static_selectorELNS0_4arch9wavefront6targetE1EEEvT1_, .Lfunc_end2211-_ZN7rocprim17ROCPRIM_400000_NS6detail17trampoline_kernelINS0_14default_configENS1_25partition_config_selectorILNS1_17partition_subalgoE1EyNS0_10empty_typeEbEEZZNS1_14partition_implILS5_1ELb0ES3_jN6thrust23THRUST_200600_302600_NS6detail15normal_iteratorINSA_10device_ptrIyEEEEPS6_NSA_18transform_iteratorI7is_evenIyESF_NSA_11use_defaultESK_EENS0_5tupleIJSF_SF_EEENSM_IJSG_SG_EEES6_PlJS6_EEE10hipError_tPvRmT3_T4_T5_T6_T7_T9_mT8_P12ihipStream_tbDpT10_ENKUlT_T0_E_clISt17integral_constantIbLb1EES19_EEDaS14_S15_EUlS14_E_NS1_11comp_targetILNS1_3genE0ELNS1_11target_archE4294967295ELNS1_3gpuE0ELNS1_3repE0EEENS1_30default_config_static_selectorELNS0_4arch9wavefront6targetE1EEEvT1_
                                        ; -- End function
	.section	.AMDGPU.csdata,"",@progbits
; Kernel info:
; codeLenInByte = 0
; NumSgprs: 4
; NumVgprs: 0
; NumAgprs: 0
; TotalNumVgprs: 0
; ScratchSize: 0
; MemoryBound: 0
; FloatMode: 240
; IeeeMode: 1
; LDSByteSize: 0 bytes/workgroup (compile time only)
; SGPRBlocks: 0
; VGPRBlocks: 0
; NumSGPRsForWavesPerEU: 4
; NumVGPRsForWavesPerEU: 1
; AccumOffset: 4
; Occupancy: 8
; WaveLimiterHint : 0
; COMPUTE_PGM_RSRC2:SCRATCH_EN: 0
; COMPUTE_PGM_RSRC2:USER_SGPR: 6
; COMPUTE_PGM_RSRC2:TRAP_HANDLER: 0
; COMPUTE_PGM_RSRC2:TGID_X_EN: 1
; COMPUTE_PGM_RSRC2:TGID_Y_EN: 0
; COMPUTE_PGM_RSRC2:TGID_Z_EN: 0
; COMPUTE_PGM_RSRC2:TIDIG_COMP_CNT: 0
; COMPUTE_PGM_RSRC3_GFX90A:ACCUM_OFFSET: 0
; COMPUTE_PGM_RSRC3_GFX90A:TG_SPLIT: 0
	.section	.text._ZN7rocprim17ROCPRIM_400000_NS6detail17trampoline_kernelINS0_14default_configENS1_25partition_config_selectorILNS1_17partition_subalgoE1EyNS0_10empty_typeEbEEZZNS1_14partition_implILS5_1ELb0ES3_jN6thrust23THRUST_200600_302600_NS6detail15normal_iteratorINSA_10device_ptrIyEEEEPS6_NSA_18transform_iteratorI7is_evenIyESF_NSA_11use_defaultESK_EENS0_5tupleIJSF_SF_EEENSM_IJSG_SG_EEES6_PlJS6_EEE10hipError_tPvRmT3_T4_T5_T6_T7_T9_mT8_P12ihipStream_tbDpT10_ENKUlT_T0_E_clISt17integral_constantIbLb1EES19_EEDaS14_S15_EUlS14_E_NS1_11comp_targetILNS1_3genE5ELNS1_11target_archE942ELNS1_3gpuE9ELNS1_3repE0EEENS1_30default_config_static_selectorELNS0_4arch9wavefront6targetE1EEEvT1_,"axG",@progbits,_ZN7rocprim17ROCPRIM_400000_NS6detail17trampoline_kernelINS0_14default_configENS1_25partition_config_selectorILNS1_17partition_subalgoE1EyNS0_10empty_typeEbEEZZNS1_14partition_implILS5_1ELb0ES3_jN6thrust23THRUST_200600_302600_NS6detail15normal_iteratorINSA_10device_ptrIyEEEEPS6_NSA_18transform_iteratorI7is_evenIyESF_NSA_11use_defaultESK_EENS0_5tupleIJSF_SF_EEENSM_IJSG_SG_EEES6_PlJS6_EEE10hipError_tPvRmT3_T4_T5_T6_T7_T9_mT8_P12ihipStream_tbDpT10_ENKUlT_T0_E_clISt17integral_constantIbLb1EES19_EEDaS14_S15_EUlS14_E_NS1_11comp_targetILNS1_3genE5ELNS1_11target_archE942ELNS1_3gpuE9ELNS1_3repE0EEENS1_30default_config_static_selectorELNS0_4arch9wavefront6targetE1EEEvT1_,comdat
	.protected	_ZN7rocprim17ROCPRIM_400000_NS6detail17trampoline_kernelINS0_14default_configENS1_25partition_config_selectorILNS1_17partition_subalgoE1EyNS0_10empty_typeEbEEZZNS1_14partition_implILS5_1ELb0ES3_jN6thrust23THRUST_200600_302600_NS6detail15normal_iteratorINSA_10device_ptrIyEEEEPS6_NSA_18transform_iteratorI7is_evenIyESF_NSA_11use_defaultESK_EENS0_5tupleIJSF_SF_EEENSM_IJSG_SG_EEES6_PlJS6_EEE10hipError_tPvRmT3_T4_T5_T6_T7_T9_mT8_P12ihipStream_tbDpT10_ENKUlT_T0_E_clISt17integral_constantIbLb1EES19_EEDaS14_S15_EUlS14_E_NS1_11comp_targetILNS1_3genE5ELNS1_11target_archE942ELNS1_3gpuE9ELNS1_3repE0EEENS1_30default_config_static_selectorELNS0_4arch9wavefront6targetE1EEEvT1_ ; -- Begin function _ZN7rocprim17ROCPRIM_400000_NS6detail17trampoline_kernelINS0_14default_configENS1_25partition_config_selectorILNS1_17partition_subalgoE1EyNS0_10empty_typeEbEEZZNS1_14partition_implILS5_1ELb0ES3_jN6thrust23THRUST_200600_302600_NS6detail15normal_iteratorINSA_10device_ptrIyEEEEPS6_NSA_18transform_iteratorI7is_evenIyESF_NSA_11use_defaultESK_EENS0_5tupleIJSF_SF_EEENSM_IJSG_SG_EEES6_PlJS6_EEE10hipError_tPvRmT3_T4_T5_T6_T7_T9_mT8_P12ihipStream_tbDpT10_ENKUlT_T0_E_clISt17integral_constantIbLb1EES19_EEDaS14_S15_EUlS14_E_NS1_11comp_targetILNS1_3genE5ELNS1_11target_archE942ELNS1_3gpuE9ELNS1_3repE0EEENS1_30default_config_static_selectorELNS0_4arch9wavefront6targetE1EEEvT1_
	.globl	_ZN7rocprim17ROCPRIM_400000_NS6detail17trampoline_kernelINS0_14default_configENS1_25partition_config_selectorILNS1_17partition_subalgoE1EyNS0_10empty_typeEbEEZZNS1_14partition_implILS5_1ELb0ES3_jN6thrust23THRUST_200600_302600_NS6detail15normal_iteratorINSA_10device_ptrIyEEEEPS6_NSA_18transform_iteratorI7is_evenIyESF_NSA_11use_defaultESK_EENS0_5tupleIJSF_SF_EEENSM_IJSG_SG_EEES6_PlJS6_EEE10hipError_tPvRmT3_T4_T5_T6_T7_T9_mT8_P12ihipStream_tbDpT10_ENKUlT_T0_E_clISt17integral_constantIbLb1EES19_EEDaS14_S15_EUlS14_E_NS1_11comp_targetILNS1_3genE5ELNS1_11target_archE942ELNS1_3gpuE9ELNS1_3repE0EEENS1_30default_config_static_selectorELNS0_4arch9wavefront6targetE1EEEvT1_
	.p2align	8
	.type	_ZN7rocprim17ROCPRIM_400000_NS6detail17trampoline_kernelINS0_14default_configENS1_25partition_config_selectorILNS1_17partition_subalgoE1EyNS0_10empty_typeEbEEZZNS1_14partition_implILS5_1ELb0ES3_jN6thrust23THRUST_200600_302600_NS6detail15normal_iteratorINSA_10device_ptrIyEEEEPS6_NSA_18transform_iteratorI7is_evenIyESF_NSA_11use_defaultESK_EENS0_5tupleIJSF_SF_EEENSM_IJSG_SG_EEES6_PlJS6_EEE10hipError_tPvRmT3_T4_T5_T6_T7_T9_mT8_P12ihipStream_tbDpT10_ENKUlT_T0_E_clISt17integral_constantIbLb1EES19_EEDaS14_S15_EUlS14_E_NS1_11comp_targetILNS1_3genE5ELNS1_11target_archE942ELNS1_3gpuE9ELNS1_3repE0EEENS1_30default_config_static_selectorELNS0_4arch9wavefront6targetE1EEEvT1_,@function
_ZN7rocprim17ROCPRIM_400000_NS6detail17trampoline_kernelINS0_14default_configENS1_25partition_config_selectorILNS1_17partition_subalgoE1EyNS0_10empty_typeEbEEZZNS1_14partition_implILS5_1ELb0ES3_jN6thrust23THRUST_200600_302600_NS6detail15normal_iteratorINSA_10device_ptrIyEEEEPS6_NSA_18transform_iteratorI7is_evenIyESF_NSA_11use_defaultESK_EENS0_5tupleIJSF_SF_EEENSM_IJSG_SG_EEES6_PlJS6_EEE10hipError_tPvRmT3_T4_T5_T6_T7_T9_mT8_P12ihipStream_tbDpT10_ENKUlT_T0_E_clISt17integral_constantIbLb1EES19_EEDaS14_S15_EUlS14_E_NS1_11comp_targetILNS1_3genE5ELNS1_11target_archE942ELNS1_3gpuE9ELNS1_3repE0EEENS1_30default_config_static_selectorELNS0_4arch9wavefront6targetE1EEEvT1_: ; @_ZN7rocprim17ROCPRIM_400000_NS6detail17trampoline_kernelINS0_14default_configENS1_25partition_config_selectorILNS1_17partition_subalgoE1EyNS0_10empty_typeEbEEZZNS1_14partition_implILS5_1ELb0ES3_jN6thrust23THRUST_200600_302600_NS6detail15normal_iteratorINSA_10device_ptrIyEEEEPS6_NSA_18transform_iteratorI7is_evenIyESF_NSA_11use_defaultESK_EENS0_5tupleIJSF_SF_EEENSM_IJSG_SG_EEES6_PlJS6_EEE10hipError_tPvRmT3_T4_T5_T6_T7_T9_mT8_P12ihipStream_tbDpT10_ENKUlT_T0_E_clISt17integral_constantIbLb1EES19_EEDaS14_S15_EUlS14_E_NS1_11comp_targetILNS1_3genE5ELNS1_11target_archE942ELNS1_3gpuE9ELNS1_3repE0EEENS1_30default_config_static_selectorELNS0_4arch9wavefront6targetE1EEEvT1_
; %bb.0:
	.section	.rodata,"a",@progbits
	.p2align	6, 0x0
	.amdhsa_kernel _ZN7rocprim17ROCPRIM_400000_NS6detail17trampoline_kernelINS0_14default_configENS1_25partition_config_selectorILNS1_17partition_subalgoE1EyNS0_10empty_typeEbEEZZNS1_14partition_implILS5_1ELb0ES3_jN6thrust23THRUST_200600_302600_NS6detail15normal_iteratorINSA_10device_ptrIyEEEEPS6_NSA_18transform_iteratorI7is_evenIyESF_NSA_11use_defaultESK_EENS0_5tupleIJSF_SF_EEENSM_IJSG_SG_EEES6_PlJS6_EEE10hipError_tPvRmT3_T4_T5_T6_T7_T9_mT8_P12ihipStream_tbDpT10_ENKUlT_T0_E_clISt17integral_constantIbLb1EES19_EEDaS14_S15_EUlS14_E_NS1_11comp_targetILNS1_3genE5ELNS1_11target_archE942ELNS1_3gpuE9ELNS1_3repE0EEENS1_30default_config_static_selectorELNS0_4arch9wavefront6targetE1EEEvT1_
		.amdhsa_group_segment_fixed_size 0
		.amdhsa_private_segment_fixed_size 0
		.amdhsa_kernarg_size 144
		.amdhsa_user_sgpr_count 6
		.amdhsa_user_sgpr_private_segment_buffer 1
		.amdhsa_user_sgpr_dispatch_ptr 0
		.amdhsa_user_sgpr_queue_ptr 0
		.amdhsa_user_sgpr_kernarg_segment_ptr 1
		.amdhsa_user_sgpr_dispatch_id 0
		.amdhsa_user_sgpr_flat_scratch_init 0
		.amdhsa_user_sgpr_kernarg_preload_length 0
		.amdhsa_user_sgpr_kernarg_preload_offset 0
		.amdhsa_user_sgpr_private_segment_size 0
		.amdhsa_uses_dynamic_stack 0
		.amdhsa_system_sgpr_private_segment_wavefront_offset 0
		.amdhsa_system_sgpr_workgroup_id_x 1
		.amdhsa_system_sgpr_workgroup_id_y 0
		.amdhsa_system_sgpr_workgroup_id_z 0
		.amdhsa_system_sgpr_workgroup_info 0
		.amdhsa_system_vgpr_workitem_id 0
		.amdhsa_next_free_vgpr 1
		.amdhsa_next_free_sgpr 0
		.amdhsa_accum_offset 4
		.amdhsa_reserve_vcc 0
		.amdhsa_reserve_flat_scratch 0
		.amdhsa_float_round_mode_32 0
		.amdhsa_float_round_mode_16_64 0
		.amdhsa_float_denorm_mode_32 3
		.amdhsa_float_denorm_mode_16_64 3
		.amdhsa_dx10_clamp 1
		.amdhsa_ieee_mode 1
		.amdhsa_fp16_overflow 0
		.amdhsa_tg_split 0
		.amdhsa_exception_fp_ieee_invalid_op 0
		.amdhsa_exception_fp_denorm_src 0
		.amdhsa_exception_fp_ieee_div_zero 0
		.amdhsa_exception_fp_ieee_overflow 0
		.amdhsa_exception_fp_ieee_underflow 0
		.amdhsa_exception_fp_ieee_inexact 0
		.amdhsa_exception_int_div_zero 0
	.end_amdhsa_kernel
	.section	.text._ZN7rocprim17ROCPRIM_400000_NS6detail17trampoline_kernelINS0_14default_configENS1_25partition_config_selectorILNS1_17partition_subalgoE1EyNS0_10empty_typeEbEEZZNS1_14partition_implILS5_1ELb0ES3_jN6thrust23THRUST_200600_302600_NS6detail15normal_iteratorINSA_10device_ptrIyEEEEPS6_NSA_18transform_iteratorI7is_evenIyESF_NSA_11use_defaultESK_EENS0_5tupleIJSF_SF_EEENSM_IJSG_SG_EEES6_PlJS6_EEE10hipError_tPvRmT3_T4_T5_T6_T7_T9_mT8_P12ihipStream_tbDpT10_ENKUlT_T0_E_clISt17integral_constantIbLb1EES19_EEDaS14_S15_EUlS14_E_NS1_11comp_targetILNS1_3genE5ELNS1_11target_archE942ELNS1_3gpuE9ELNS1_3repE0EEENS1_30default_config_static_selectorELNS0_4arch9wavefront6targetE1EEEvT1_,"axG",@progbits,_ZN7rocprim17ROCPRIM_400000_NS6detail17trampoline_kernelINS0_14default_configENS1_25partition_config_selectorILNS1_17partition_subalgoE1EyNS0_10empty_typeEbEEZZNS1_14partition_implILS5_1ELb0ES3_jN6thrust23THRUST_200600_302600_NS6detail15normal_iteratorINSA_10device_ptrIyEEEEPS6_NSA_18transform_iteratorI7is_evenIyESF_NSA_11use_defaultESK_EENS0_5tupleIJSF_SF_EEENSM_IJSG_SG_EEES6_PlJS6_EEE10hipError_tPvRmT3_T4_T5_T6_T7_T9_mT8_P12ihipStream_tbDpT10_ENKUlT_T0_E_clISt17integral_constantIbLb1EES19_EEDaS14_S15_EUlS14_E_NS1_11comp_targetILNS1_3genE5ELNS1_11target_archE942ELNS1_3gpuE9ELNS1_3repE0EEENS1_30default_config_static_selectorELNS0_4arch9wavefront6targetE1EEEvT1_,comdat
.Lfunc_end2212:
	.size	_ZN7rocprim17ROCPRIM_400000_NS6detail17trampoline_kernelINS0_14default_configENS1_25partition_config_selectorILNS1_17partition_subalgoE1EyNS0_10empty_typeEbEEZZNS1_14partition_implILS5_1ELb0ES3_jN6thrust23THRUST_200600_302600_NS6detail15normal_iteratorINSA_10device_ptrIyEEEEPS6_NSA_18transform_iteratorI7is_evenIyESF_NSA_11use_defaultESK_EENS0_5tupleIJSF_SF_EEENSM_IJSG_SG_EEES6_PlJS6_EEE10hipError_tPvRmT3_T4_T5_T6_T7_T9_mT8_P12ihipStream_tbDpT10_ENKUlT_T0_E_clISt17integral_constantIbLb1EES19_EEDaS14_S15_EUlS14_E_NS1_11comp_targetILNS1_3genE5ELNS1_11target_archE942ELNS1_3gpuE9ELNS1_3repE0EEENS1_30default_config_static_selectorELNS0_4arch9wavefront6targetE1EEEvT1_, .Lfunc_end2212-_ZN7rocprim17ROCPRIM_400000_NS6detail17trampoline_kernelINS0_14default_configENS1_25partition_config_selectorILNS1_17partition_subalgoE1EyNS0_10empty_typeEbEEZZNS1_14partition_implILS5_1ELb0ES3_jN6thrust23THRUST_200600_302600_NS6detail15normal_iteratorINSA_10device_ptrIyEEEEPS6_NSA_18transform_iteratorI7is_evenIyESF_NSA_11use_defaultESK_EENS0_5tupleIJSF_SF_EEENSM_IJSG_SG_EEES6_PlJS6_EEE10hipError_tPvRmT3_T4_T5_T6_T7_T9_mT8_P12ihipStream_tbDpT10_ENKUlT_T0_E_clISt17integral_constantIbLb1EES19_EEDaS14_S15_EUlS14_E_NS1_11comp_targetILNS1_3genE5ELNS1_11target_archE942ELNS1_3gpuE9ELNS1_3repE0EEENS1_30default_config_static_selectorELNS0_4arch9wavefront6targetE1EEEvT1_
                                        ; -- End function
	.section	.AMDGPU.csdata,"",@progbits
; Kernel info:
; codeLenInByte = 0
; NumSgprs: 4
; NumVgprs: 0
; NumAgprs: 0
; TotalNumVgprs: 0
; ScratchSize: 0
; MemoryBound: 0
; FloatMode: 240
; IeeeMode: 1
; LDSByteSize: 0 bytes/workgroup (compile time only)
; SGPRBlocks: 0
; VGPRBlocks: 0
; NumSGPRsForWavesPerEU: 4
; NumVGPRsForWavesPerEU: 1
; AccumOffset: 4
; Occupancy: 8
; WaveLimiterHint : 0
; COMPUTE_PGM_RSRC2:SCRATCH_EN: 0
; COMPUTE_PGM_RSRC2:USER_SGPR: 6
; COMPUTE_PGM_RSRC2:TRAP_HANDLER: 0
; COMPUTE_PGM_RSRC2:TGID_X_EN: 1
; COMPUTE_PGM_RSRC2:TGID_Y_EN: 0
; COMPUTE_PGM_RSRC2:TGID_Z_EN: 0
; COMPUTE_PGM_RSRC2:TIDIG_COMP_CNT: 0
; COMPUTE_PGM_RSRC3_GFX90A:ACCUM_OFFSET: 0
; COMPUTE_PGM_RSRC3_GFX90A:TG_SPLIT: 0
	.section	.text._ZN7rocprim17ROCPRIM_400000_NS6detail17trampoline_kernelINS0_14default_configENS1_25partition_config_selectorILNS1_17partition_subalgoE1EyNS0_10empty_typeEbEEZZNS1_14partition_implILS5_1ELb0ES3_jN6thrust23THRUST_200600_302600_NS6detail15normal_iteratorINSA_10device_ptrIyEEEEPS6_NSA_18transform_iteratorI7is_evenIyESF_NSA_11use_defaultESK_EENS0_5tupleIJSF_SF_EEENSM_IJSG_SG_EEES6_PlJS6_EEE10hipError_tPvRmT3_T4_T5_T6_T7_T9_mT8_P12ihipStream_tbDpT10_ENKUlT_T0_E_clISt17integral_constantIbLb1EES19_EEDaS14_S15_EUlS14_E_NS1_11comp_targetILNS1_3genE4ELNS1_11target_archE910ELNS1_3gpuE8ELNS1_3repE0EEENS1_30default_config_static_selectorELNS0_4arch9wavefront6targetE1EEEvT1_,"axG",@progbits,_ZN7rocprim17ROCPRIM_400000_NS6detail17trampoline_kernelINS0_14default_configENS1_25partition_config_selectorILNS1_17partition_subalgoE1EyNS0_10empty_typeEbEEZZNS1_14partition_implILS5_1ELb0ES3_jN6thrust23THRUST_200600_302600_NS6detail15normal_iteratorINSA_10device_ptrIyEEEEPS6_NSA_18transform_iteratorI7is_evenIyESF_NSA_11use_defaultESK_EENS0_5tupleIJSF_SF_EEENSM_IJSG_SG_EEES6_PlJS6_EEE10hipError_tPvRmT3_T4_T5_T6_T7_T9_mT8_P12ihipStream_tbDpT10_ENKUlT_T0_E_clISt17integral_constantIbLb1EES19_EEDaS14_S15_EUlS14_E_NS1_11comp_targetILNS1_3genE4ELNS1_11target_archE910ELNS1_3gpuE8ELNS1_3repE0EEENS1_30default_config_static_selectorELNS0_4arch9wavefront6targetE1EEEvT1_,comdat
	.protected	_ZN7rocprim17ROCPRIM_400000_NS6detail17trampoline_kernelINS0_14default_configENS1_25partition_config_selectorILNS1_17partition_subalgoE1EyNS0_10empty_typeEbEEZZNS1_14partition_implILS5_1ELb0ES3_jN6thrust23THRUST_200600_302600_NS6detail15normal_iteratorINSA_10device_ptrIyEEEEPS6_NSA_18transform_iteratorI7is_evenIyESF_NSA_11use_defaultESK_EENS0_5tupleIJSF_SF_EEENSM_IJSG_SG_EEES6_PlJS6_EEE10hipError_tPvRmT3_T4_T5_T6_T7_T9_mT8_P12ihipStream_tbDpT10_ENKUlT_T0_E_clISt17integral_constantIbLb1EES19_EEDaS14_S15_EUlS14_E_NS1_11comp_targetILNS1_3genE4ELNS1_11target_archE910ELNS1_3gpuE8ELNS1_3repE0EEENS1_30default_config_static_selectorELNS0_4arch9wavefront6targetE1EEEvT1_ ; -- Begin function _ZN7rocprim17ROCPRIM_400000_NS6detail17trampoline_kernelINS0_14default_configENS1_25partition_config_selectorILNS1_17partition_subalgoE1EyNS0_10empty_typeEbEEZZNS1_14partition_implILS5_1ELb0ES3_jN6thrust23THRUST_200600_302600_NS6detail15normal_iteratorINSA_10device_ptrIyEEEEPS6_NSA_18transform_iteratorI7is_evenIyESF_NSA_11use_defaultESK_EENS0_5tupleIJSF_SF_EEENSM_IJSG_SG_EEES6_PlJS6_EEE10hipError_tPvRmT3_T4_T5_T6_T7_T9_mT8_P12ihipStream_tbDpT10_ENKUlT_T0_E_clISt17integral_constantIbLb1EES19_EEDaS14_S15_EUlS14_E_NS1_11comp_targetILNS1_3genE4ELNS1_11target_archE910ELNS1_3gpuE8ELNS1_3repE0EEENS1_30default_config_static_selectorELNS0_4arch9wavefront6targetE1EEEvT1_
	.globl	_ZN7rocprim17ROCPRIM_400000_NS6detail17trampoline_kernelINS0_14default_configENS1_25partition_config_selectorILNS1_17partition_subalgoE1EyNS0_10empty_typeEbEEZZNS1_14partition_implILS5_1ELb0ES3_jN6thrust23THRUST_200600_302600_NS6detail15normal_iteratorINSA_10device_ptrIyEEEEPS6_NSA_18transform_iteratorI7is_evenIyESF_NSA_11use_defaultESK_EENS0_5tupleIJSF_SF_EEENSM_IJSG_SG_EEES6_PlJS6_EEE10hipError_tPvRmT3_T4_T5_T6_T7_T9_mT8_P12ihipStream_tbDpT10_ENKUlT_T0_E_clISt17integral_constantIbLb1EES19_EEDaS14_S15_EUlS14_E_NS1_11comp_targetILNS1_3genE4ELNS1_11target_archE910ELNS1_3gpuE8ELNS1_3repE0EEENS1_30default_config_static_selectorELNS0_4arch9wavefront6targetE1EEEvT1_
	.p2align	8
	.type	_ZN7rocprim17ROCPRIM_400000_NS6detail17trampoline_kernelINS0_14default_configENS1_25partition_config_selectorILNS1_17partition_subalgoE1EyNS0_10empty_typeEbEEZZNS1_14partition_implILS5_1ELb0ES3_jN6thrust23THRUST_200600_302600_NS6detail15normal_iteratorINSA_10device_ptrIyEEEEPS6_NSA_18transform_iteratorI7is_evenIyESF_NSA_11use_defaultESK_EENS0_5tupleIJSF_SF_EEENSM_IJSG_SG_EEES6_PlJS6_EEE10hipError_tPvRmT3_T4_T5_T6_T7_T9_mT8_P12ihipStream_tbDpT10_ENKUlT_T0_E_clISt17integral_constantIbLb1EES19_EEDaS14_S15_EUlS14_E_NS1_11comp_targetILNS1_3genE4ELNS1_11target_archE910ELNS1_3gpuE8ELNS1_3repE0EEENS1_30default_config_static_selectorELNS0_4arch9wavefront6targetE1EEEvT1_,@function
_ZN7rocprim17ROCPRIM_400000_NS6detail17trampoline_kernelINS0_14default_configENS1_25partition_config_selectorILNS1_17partition_subalgoE1EyNS0_10empty_typeEbEEZZNS1_14partition_implILS5_1ELb0ES3_jN6thrust23THRUST_200600_302600_NS6detail15normal_iteratorINSA_10device_ptrIyEEEEPS6_NSA_18transform_iteratorI7is_evenIyESF_NSA_11use_defaultESK_EENS0_5tupleIJSF_SF_EEENSM_IJSG_SG_EEES6_PlJS6_EEE10hipError_tPvRmT3_T4_T5_T6_T7_T9_mT8_P12ihipStream_tbDpT10_ENKUlT_T0_E_clISt17integral_constantIbLb1EES19_EEDaS14_S15_EUlS14_E_NS1_11comp_targetILNS1_3genE4ELNS1_11target_archE910ELNS1_3gpuE8ELNS1_3repE0EEENS1_30default_config_static_selectorELNS0_4arch9wavefront6targetE1EEEvT1_: ; @_ZN7rocprim17ROCPRIM_400000_NS6detail17trampoline_kernelINS0_14default_configENS1_25partition_config_selectorILNS1_17partition_subalgoE1EyNS0_10empty_typeEbEEZZNS1_14partition_implILS5_1ELb0ES3_jN6thrust23THRUST_200600_302600_NS6detail15normal_iteratorINSA_10device_ptrIyEEEEPS6_NSA_18transform_iteratorI7is_evenIyESF_NSA_11use_defaultESK_EENS0_5tupleIJSF_SF_EEENSM_IJSG_SG_EEES6_PlJS6_EEE10hipError_tPvRmT3_T4_T5_T6_T7_T9_mT8_P12ihipStream_tbDpT10_ENKUlT_T0_E_clISt17integral_constantIbLb1EES19_EEDaS14_S15_EUlS14_E_NS1_11comp_targetILNS1_3genE4ELNS1_11target_archE910ELNS1_3gpuE8ELNS1_3repE0EEENS1_30default_config_static_selectorELNS0_4arch9wavefront6targetE1EEEvT1_
; %bb.0:
	s_load_dwordx2 s[6:7], s[4:5], 0x20
	s_load_dwordx4 s[20:23], s[4:5], 0x50
	s_load_dwordx2 s[2:3], s[4:5], 0x60
	s_load_dwordx2 s[30:31], s[4:5], 0x70
	v_cmp_eq_u32_e64 s[0:1], 0, v0
	s_and_saveexec_b64 s[8:9], s[0:1]
	s_cbranch_execz .LBB2213_4
; %bb.1:
	s_mov_b64 s[12:13], exec
	v_mbcnt_lo_u32_b32 v1, s12, 0
	v_mbcnt_hi_u32_b32 v1, s13, v1
	v_cmp_eq_u32_e32 vcc, 0, v1
                                        ; implicit-def: $vgpr2
	s_and_saveexec_b64 s[10:11], vcc
	s_cbranch_execz .LBB2213_3
; %bb.2:
	s_load_dwordx2 s[14:15], s[4:5], 0x80
	s_bcnt1_i32_b64 s12, s[12:13]
	v_mov_b32_e32 v2, 0
	v_mov_b32_e32 v3, s12
	s_waitcnt lgkmcnt(0)
	global_atomic_add v2, v2, v3, s[14:15] glc
.LBB2213_3:
	s_or_b64 exec, exec, s[10:11]
	s_waitcnt vmcnt(0)
	v_readfirstlane_b32 s10, v2
	v_add_u32_e32 v1, s10, v1
	v_mov_b32_e32 v2, 0
	ds_write_b32 v2, v1
.LBB2213_4:
	s_or_b64 exec, exec, s[8:9]
	v_mov_b32_e32 v3, 0
	s_load_dwordx4 s[16:19], s[4:5], 0x8
	s_load_dwordx4 s[24:27], s[4:5], 0x30
	s_load_dword s8, s[4:5], 0x78
	s_waitcnt lgkmcnt(0)
	s_barrier
	ds_read_b32 v1, v3
	s_waitcnt lgkmcnt(0)
	s_barrier
	global_load_dwordx2 v[10:11], v3, s[22:23]
	v_mov_b32_e32 v5, s3
	s_lshl_b64 s[4:5], s[18:19], 3
	s_movk_i32 s3, 0x300
	s_add_u32 s9, s16, s4
	v_mul_lo_u32 v2, v1, s3
	s_mul_i32 s3, s8, 0x300
	s_addc_u32 s10, s17, s5
	s_add_i32 s11, s8, -1
	s_add_i32 s8, s3, s18
	s_sub_i32 s33, s2, s8
	s_addk_i32 s33, 0x300
	v_mov_b32_e32 v4, s2
	s_add_u32 s2, s18, s3
	v_readfirstlane_b32 s40, v1
	s_addc_u32 s3, s19, 0
	s_cmp_eq_u32 s40, s11
	s_cselect_b64 s[22:23], -1, 0
	s_cmp_lg_u32 s40, s11
	v_cmp_lt_u64_e32 vcc, s[2:3], v[4:5]
	s_cselect_b64 s[2:3], -1, 0
	v_lshlrev_b64 v[12:13], 3, v[2:3]
	s_or_b64 s[28:29], vcc, s[2:3]
	v_mov_b32_e32 v1, s10
	v_add_co_u32_e32 v14, vcc, s9, v12
	v_addc_co_u32_e32 v15, vcc, v1, v13, vcc
	s_mov_b64 s[2:3], -1
	s_and_b64 vcc, exec, s[28:29]
	v_lshlrev_b32_e32 v24, 3, v0
	v_lshrrev_b32_e32 v1, 2, v0
	s_cbranch_vccz .LBB2213_6
; %bb.5:
	v_add_co_u32_e32 v2, vcc, v14, v24
	v_addc_co_u32_e32 v3, vcc, 0, v15, vcc
	v_add_co_u32_e32 v4, vcc, 0x1000, v2
	v_addc_co_u32_e32 v5, vcc, 0, v3, vcc
	flat_load_dwordx2 v[6:7], v[2:3]
	flat_load_dwordx2 v[8:9], v[2:3] offset:1536
	flat_load_dwordx2 v[16:17], v[2:3] offset:3072
	;; [unrolled: 1-line block ×3, first 2 shown]
	v_add_u32_e32 v3, 0xc0, v0
	v_add_u32_e32 v4, 0x180, v0
	;; [unrolled: 1-line block ×3, first 2 shown]
	v_and_b32_e32 v2, 56, v1
	v_lshrrev_b32_e32 v3, 2, v3
	v_lshrrev_b32_e32 v4, 2, v4
	;; [unrolled: 1-line block ×3, first 2 shown]
	v_add_u32_e32 v2, v2, v24
	v_and_b32_e32 v3, 0x78, v3
	v_and_b32_e32 v4, 0xf8, v4
	;; [unrolled: 1-line block ×3, first 2 shown]
	v_add_u32_e32 v3, v3, v24
	v_add_u32_e32 v4, v4, v24
	v_add_u32_e32 v5, v5, v24
	s_mov_b64 s[2:3], 0
	s_waitcnt vmcnt(0) lgkmcnt(0)
	ds_write_b64 v2, v[6:7]
	ds_write_b64 v3, v[8:9] offset:1536
	ds_write_b64 v4, v[16:17] offset:3072
	;; [unrolled: 1-line block ×3, first 2 shown]
	s_waitcnt lgkmcnt(0)
	s_barrier
.LBB2213_6:
	s_andn2_b64 vcc, exec, s[2:3]
	v_cmp_gt_u32_e64 s[2:3], s33, v0
	s_cbranch_vccnz .LBB2213_16
; %bb.7:
                                        ; implicit-def: $vgpr2_vgpr3_vgpr4_vgpr5_vgpr6_vgpr7_vgpr8_vgpr9
	s_and_saveexec_b64 s[8:9], s[2:3]
	s_cbranch_execz .LBB2213_9
; %bb.8:
	v_add_co_u32_e32 v2, vcc, v14, v24
	v_addc_co_u32_e32 v3, vcc, 0, v15, vcc
	flat_load_dwordx2 v[2:3], v[2:3]
.LBB2213_9:
	s_or_b64 exec, exec, s[8:9]
	v_add_u32_e32 v16, 0xc0, v0
	v_cmp_gt_u32_e32 vcc, s33, v16
	s_and_saveexec_b64 s[2:3], vcc
	s_cbranch_execz .LBB2213_11
; %bb.10:
	v_add_co_u32_e32 v4, vcc, v14, v24
	v_addc_co_u32_e32 v5, vcc, 0, v15, vcc
	flat_load_dwordx2 v[4:5], v[4:5] offset:1536
.LBB2213_11:
	s_or_b64 exec, exec, s[2:3]
	v_add_u32_e32 v17, 0x180, v0
	v_cmp_gt_u32_e32 vcc, s33, v17
	s_and_saveexec_b64 s[2:3], vcc
	s_cbranch_execz .LBB2213_13
; %bb.12:
	v_add_co_u32_e32 v6, vcc, v14, v24
	v_addc_co_u32_e32 v7, vcc, 0, v15, vcc
	flat_load_dwordx2 v[6:7], v[6:7] offset:3072
.LBB2213_13:
	s_or_b64 exec, exec, s[2:3]
	v_add_u32_e32 v18, 0x240, v0
	v_cmp_gt_u32_e32 vcc, s33, v18
	s_and_saveexec_b64 s[2:3], vcc
	s_cbranch_execz .LBB2213_15
; %bb.14:
	v_lshlrev_b32_e32 v8, 3, v18
	v_add_co_u32_e32 v8, vcc, v14, v8
	v_addc_co_u32_e32 v9, vcc, 0, v15, vcc
	flat_load_dwordx2 v[8:9], v[8:9]
.LBB2213_15:
	s_or_b64 exec, exec, s[2:3]
	v_and_b32_e32 v1, 56, v1
	v_add_u32_e32 v1, v1, v24
	s_waitcnt vmcnt(0) lgkmcnt(0)
	ds_write_b64 v1, v[2:3]
	v_lshrrev_b32_e32 v1, 2, v16
	v_and_b32_e32 v1, 0x78, v1
	v_add_u32_e32 v1, v1, v24
	ds_write_b64 v1, v[4:5] offset:1536
	v_lshrrev_b32_e32 v1, 2, v17
	v_and_b32_e32 v1, 0xf8, v1
	v_add_u32_e32 v1, v1, v24
	ds_write_b64 v1, v[6:7] offset:3072
	;; [unrolled: 4-line block ×3, first 2 shown]
	s_waitcnt lgkmcnt(0)
	s_barrier
.LBB2213_16:
	v_lshlrev_b32_e32 v25, 2, v0
	v_lshrrev_b32_e32 v15, 3, v0
	v_add_lshl_u32 v1, v15, v25, 3
	s_add_u32 s2, s6, s4
	ds_read2_b64 v[6:9], v1 offset1:1
	ds_read2_b64 v[2:5], v1 offset0:2 offset1:3
	s_addc_u32 s3, s7, s5
	v_mov_b32_e32 v1, s3
	v_add_co_u32_e32 v14, vcc, s2, v12
	v_addc_co_u32_e32 v1, vcc, v1, v13, vcc
	s_mov_b64 s[2:3], -1
	s_and_b64 vcc, exec, s[28:29]
	v_lshrrev_b32_e32 v16, 5, v0
	s_waitcnt lgkmcnt(0)
	s_barrier
	s_cbranch_vccz .LBB2213_18
; %bb.17:
	v_add_co_u32_e32 v17, vcc, v14, v24
	v_addc_co_u32_e32 v27, vcc, 0, v1, vcc
	v_add_co_u32_e32 v26, vcc, 0x1000, v17
	v_readfirstlane_b32 s2, v14
	v_readfirstlane_b32 s3, v1
	v_addc_co_u32_e32 v27, vcc, 0, v27, vcc
	s_nop 3
	global_load_dwordx2 v[18:19], v24, s[2:3]
	global_load_dwordx2 v[20:21], v24, s[2:3] offset:1536
	global_load_dwordx2 v[22:23], v24, s[2:3] offset:3072
	s_waitcnt vmcnt(2)
	v_add_u32_e32 v19, 0xc0, v0
	global_load_dwordx2 v[26:27], v[26:27], off offset:512
	s_waitcnt vmcnt(2)
	v_add_u32_e32 v21, 0x180, v0
	s_waitcnt vmcnt(1)
	v_add_u32_e32 v23, 0x240, v0
	v_and_b32_e32 v17, 4, v16
	v_lshrrev_b32_e32 v19, 5, v19
	v_lshrrev_b32_e32 v21, 5, v21
	;; [unrolled: 1-line block ×3, first 2 shown]
	v_add_u32_e32 v17, v17, v0
	v_and_b32_e32 v19, 12, v19
	v_and_b32_e32 v21, 28, v21
	;; [unrolled: 1-line block ×3, first 2 shown]
	v_add_u32_e32 v19, v19, v0
	v_add_u32_e32 v21, v21, v0
	;; [unrolled: 1-line block ×3, first 2 shown]
	s_mov_b64 s[2:3], 0
	v_xor_b32_e32 v18, -1, v18
	v_xor_b32_e32 v20, -1, v20
	;; [unrolled: 1-line block ×3, first 2 shown]
	v_and_b32_e32 v18, 1, v18
	s_waitcnt vmcnt(0)
	v_xor_b32_e32 v26, -1, v26
	v_and_b32_e32 v20, 1, v20
	v_and_b32_e32 v22, 1, v22
	ds_write_b8 v17, v18
	ds_write_b8 v19, v20 offset:192
	ds_write_b8 v21, v22 offset:384
	v_and_b32_e32 v17, 1, v26
	ds_write_b8 v23, v17 offset:576
	s_waitcnt lgkmcnt(0)
	s_barrier
.LBB2213_18:
	s_andn2_b64 vcc, exec, s[2:3]
	s_cbranch_vccnz .LBB2213_28
; %bb.19:
	v_cmp_gt_u32_e32 vcc, s33, v0
	v_mov_b32_e32 v17, 0
	v_mov_b32_e32 v18, 0
	s_and_saveexec_b64 s[2:3], vcc
	s_cbranch_execz .LBB2213_21
; %bb.20:
	v_readfirstlane_b32 s4, v14
	v_readfirstlane_b32 s5, v1
	s_nop 4
	global_load_dwordx2 v[18:19], v24, s[4:5]
	s_waitcnt vmcnt(0)
	v_xor_b32_e32 v18, -1, v18
	v_and_b32_e32 v18, 1, v18
.LBB2213_21:
	s_or_b64 exec, exec, s[2:3]
	v_add_u32_e32 v19, 0xc0, v0
	v_cmp_gt_u32_e32 vcc, s33, v19
	s_and_saveexec_b64 s[2:3], vcc
	s_cbranch_execz .LBB2213_23
; %bb.22:
	v_readfirstlane_b32 s4, v14
	v_readfirstlane_b32 s5, v1
	s_nop 4
	global_load_dwordx2 v[20:21], v24, s[4:5] offset:1536
	s_waitcnt vmcnt(0)
	v_xor_b32_e32 v17, -1, v20
	v_and_b32_e32 v17, 1, v17
.LBB2213_23:
	s_or_b64 exec, exec, s[2:3]
	v_add_u32_e32 v20, 0x180, v0
	v_cmp_gt_u32_e32 vcc, s33, v20
	v_mov_b32_e32 v21, 0
	v_mov_b32_e32 v22, 0
	s_and_saveexec_b64 s[2:3], vcc
	s_cbranch_execz .LBB2213_25
; %bb.24:
	v_readfirstlane_b32 s4, v14
	v_readfirstlane_b32 s5, v1
	s_nop 4
	global_load_dwordx2 v[22:23], v24, s[4:5] offset:3072
	s_waitcnt vmcnt(0)
	v_xor_b32_e32 v22, -1, v22
	v_and_b32_e32 v22, 1, v22
.LBB2213_25:
	s_or_b64 exec, exec, s[2:3]
	v_add_u32_e32 v23, 0x240, v0
	v_cmp_gt_u32_e32 vcc, s33, v23
	s_and_saveexec_b64 s[2:3], vcc
	s_cbranch_execz .LBB2213_27
; %bb.26:
	v_lshlrev_b32_e32 v21, 3, v23
	v_readfirstlane_b32 s4, v14
	v_readfirstlane_b32 s5, v1
	s_nop 4
	global_load_dwordx2 v[26:27], v21, s[4:5]
	s_waitcnt vmcnt(0)
	v_xor_b32_e32 v1, -1, v26
	v_and_b32_e32 v21, 1, v1
.LBB2213_27:
	s_or_b64 exec, exec, s[2:3]
	v_and_b32_e32 v1, 4, v16
	v_add_u32_e32 v1, v1, v0
	ds_write_b8 v1, v18
	v_lshrrev_b32_e32 v1, 5, v19
	v_and_b32_e32 v1, 12, v1
	v_add_u32_e32 v1, v1, v0
	ds_write_b8 v1, v17 offset:192
	v_lshrrev_b32_e32 v1, 5, v20
	v_and_b32_e32 v1, 28, v1
	v_add_u32_e32 v1, v1, v0
	ds_write_b8 v1, v22 offset:384
	;; [unrolled: 4-line block ×3, first 2 shown]
	s_waitcnt lgkmcnt(0)
	s_barrier
.LBB2213_28:
	v_and_b32_e32 v1, 28, v15
	v_add_u32_e32 v1, v1, v25
	ds_read_b32 v26, v1
	s_cmp_lg_u32 s40, 0
	v_lshrrev_b32_e32 v29, 6, v0
	s_waitcnt lgkmcnt(0)
	s_barrier
	v_lshrrev_b32_e32 v1, 24, v26
	v_bfe_u32 v27, v26, 16, 8
	v_add_u32_sdwa v14, v26, v26 dst_sel:DWORD dst_unused:UNUSED_PAD src0_sel:BYTE_1 src1_sel:BYTE_0
	v_add3_u32 v30, v14, v27, v1
	v_mbcnt_lo_u32_b32 v14, -1, 0
	v_mbcnt_hi_u32_b32 v28, -1, v14
	v_and_b32_e32 v14, 15, v28
	v_cmp_eq_u32_e64 s[14:15], 0, v14
	v_cmp_lt_u32_e64 s[12:13], 1, v14
	v_cmp_lt_u32_e64 s[10:11], 3, v14
	v_cmp_lt_u32_e64 s[8:9], 7, v14
	v_and_b32_e32 v14, 16, v28
	v_cmp_eq_u32_e64 s[4:5], 0, v14
	v_and_b32_e32 v14, 0xc0, v0
	v_min_u32_e32 v14, 0x80, v14
	v_or_b32_e32 v14, 63, v14
	v_cmp_lt_u32_e64 s[2:3], 31, v28
	v_cmp_eq_u32_e64 s[6:7], v14, v0
	s_cbranch_scc0 .LBB2213_59
; %bb.29:
	v_mov_b32_dpp v14, v30 row_shr:1 row_mask:0xf bank_mask:0xf
	v_cndmask_b32_e64 v14, v14, 0, s[14:15]
	v_add_u32_e32 v14, v14, v30
	s_nop 1
	v_mov_b32_dpp v15, v14 row_shr:2 row_mask:0xf bank_mask:0xf
	v_cndmask_b32_e64 v15, 0, v15, s[12:13]
	v_add_u32_e32 v14, v14, v15
	s_nop 1
	;; [unrolled: 4-line block ×4, first 2 shown]
	v_mov_b32_dpp v15, v14 row_bcast:15 row_mask:0xf bank_mask:0xf
	v_cndmask_b32_e64 v15, v15, 0, s[4:5]
	v_add_u32_e32 v14, v14, v15
	s_nop 1
	v_mov_b32_dpp v15, v14 row_bcast:31 row_mask:0xf bank_mask:0xf
	v_cndmask_b32_e64 v15, 0, v15, s[2:3]
	v_add_u32_e32 v14, v14, v15
	s_and_saveexec_b64 s[16:17], s[6:7]
	s_cbranch_execz .LBB2213_31
; %bb.30:
	v_lshlrev_b32_e32 v15, 2, v29
	ds_write_b32 v15, v14
.LBB2213_31:
	s_or_b64 exec, exec, s[16:17]
	v_cmp_gt_u32_e32 vcc, 3, v0
	s_waitcnt lgkmcnt(0)
	s_barrier
	s_and_saveexec_b64 s[16:17], vcc
	s_cbranch_execz .LBB2213_33
; %bb.32:
	ds_read_b32 v15, v25
	v_and_b32_e32 v16, 3, v28
	v_cmp_ne_u32_e32 vcc, 0, v16
	s_waitcnt lgkmcnt(0)
	v_mov_b32_dpp v17, v15 row_shr:1 row_mask:0xf bank_mask:0xf
	v_cndmask_b32_e32 v17, 0, v17, vcc
	v_add_u32_e32 v15, v17, v15
	v_cmp_lt_u32_e32 vcc, 1, v16
	s_nop 0
	v_mov_b32_dpp v17, v15 row_shr:2 row_mask:0xf bank_mask:0xf
	v_cndmask_b32_e32 v16, 0, v17, vcc
	v_add_u32_e32 v15, v15, v16
	ds_write_b32 v25, v15
.LBB2213_33:
	s_or_b64 exec, exec, s[16:17]
	v_cmp_gt_u32_e32 vcc, 64, v0
	v_cmp_lt_u32_e64 s[16:17], 63, v0
	s_waitcnt lgkmcnt(0)
	s_barrier
	s_waitcnt lgkmcnt(0)
                                        ; implicit-def: $vgpr31
	s_and_saveexec_b64 s[34:35], s[16:17]
	s_cbranch_execz .LBB2213_35
; %bb.34:
	v_lshl_add_u32 v15, v29, 2, -4
	ds_read_b32 v31, v15
	s_waitcnt lgkmcnt(0)
	v_add_u32_e32 v14, v31, v14
.LBB2213_35:
	s_or_b64 exec, exec, s[34:35]
	v_add_u32_e32 v15, -1, v28
	v_and_b32_e32 v16, 64, v28
	v_cmp_lt_i32_e64 s[16:17], v15, v16
	v_cndmask_b32_e64 v15, v15, v28, s[16:17]
	v_lshlrev_b32_e32 v15, 2, v15
	ds_bpermute_b32 v32, v15, v14
	v_cmp_eq_u32_e64 s[16:17], 0, v28
	s_and_saveexec_b64 s[34:35], vcc
	s_cbranch_execz .LBB2213_58
; %bb.36:
	v_mov_b32_e32 v23, 0
	ds_read_b32 v14, v23 offset:8
	s_and_saveexec_b64 s[36:37], s[16:17]
	s_cbranch_execz .LBB2213_38
; %bb.37:
	s_add_i32 s38, s40, 64
	s_mov_b32 s39, 0
	s_lshl_b64 s[38:39], s[38:39], 3
	s_add_u32 s38, s30, s38
	v_mov_b32_e32 v15, 1
	s_addc_u32 s39, s31, s39
	s_waitcnt lgkmcnt(0)
	global_store_dwordx2 v23, v[14:15], s[38:39]
.LBB2213_38:
	s_or_b64 exec, exec, s[36:37]
	v_xad_u32 v16, v28, -1, s40
	v_add_u32_e32 v22, 64, v16
	v_lshlrev_b64 v[18:19], 3, v[22:23]
	v_mov_b32_e32 v15, s31
	v_add_co_u32_e32 v18, vcc, s30, v18
	v_addc_co_u32_e32 v19, vcc, v15, v19, vcc
	global_load_dwordx2 v[20:21], v[18:19], off glc
	s_waitcnt vmcnt(0)
	v_cmp_eq_u16_sdwa s[38:39], v21, v23 src0_sel:BYTE_0 src1_sel:DWORD
	s_and_saveexec_b64 s[36:37], s[38:39]
	s_cbranch_execz .LBB2213_44
; %bb.39:
	s_mov_b32 s41, 1
	s_mov_b64 s[38:39], 0
	v_mov_b32_e32 v15, 0
.LBB2213_40:                            ; =>This Loop Header: Depth=1
                                        ;     Child Loop BB2213_41 Depth 2
	s_max_u32 s42, s41, 1
.LBB2213_41:                            ;   Parent Loop BB2213_40 Depth=1
                                        ; =>  This Inner Loop Header: Depth=2
	s_add_i32 s42, s42, -1
	s_cmp_eq_u32 s42, 0
	s_sleep 1
	s_cbranch_scc0 .LBB2213_41
; %bb.42:                               ;   in Loop: Header=BB2213_40 Depth=1
	global_load_dwordx2 v[20:21], v[18:19], off glc
	s_cmp_lt_u32 s41, 32
	s_cselect_b64 s[42:43], -1, 0
	s_cmp_lg_u64 s[42:43], 0
	s_addc_u32 s41, s41, 0
	s_waitcnt vmcnt(0)
	v_cmp_ne_u16_sdwa s[42:43], v21, v15 src0_sel:BYTE_0 src1_sel:DWORD
	s_or_b64 s[38:39], s[42:43], s[38:39]
	s_andn2_b64 exec, exec, s[38:39]
	s_cbranch_execnz .LBB2213_40
; %bb.43:
	s_or_b64 exec, exec, s[38:39]
.LBB2213_44:
	s_or_b64 exec, exec, s[36:37]
	v_and_b32_e32 v34, 63, v28
	v_mov_b32_e32 v33, 2
	v_cmp_ne_u32_e32 vcc, 63, v34
	v_cmp_eq_u16_sdwa s[36:37], v21, v33 src0_sel:BYTE_0 src1_sel:DWORD
	v_lshlrev_b64 v[18:19], v28, -1
	v_addc_co_u32_e32 v22, vcc, 0, v28, vcc
	v_and_b32_e32 v15, s37, v19
	v_lshlrev_b32_e32 v35, 2, v22
	v_or_b32_e32 v15, 0x80000000, v15
	ds_bpermute_b32 v22, v35, v20
	v_and_b32_e32 v17, s36, v18
	v_ffbl_b32_e32 v15, v15
	v_add_u32_e32 v15, 32, v15
	v_ffbl_b32_e32 v17, v17
	v_min_u32_e32 v15, v17, v15
	v_cmp_lt_u32_e32 vcc, v34, v15
	s_waitcnt lgkmcnt(0)
	v_cndmask_b32_e32 v17, 0, v22, vcc
	v_cmp_gt_u32_e32 vcc, 62, v34
	v_add_u32_e32 v17, v17, v20
	v_cndmask_b32_e64 v20, 0, 1, vcc
	v_lshlrev_b32_e32 v20, 1, v20
	v_add_lshl_u32 v36, v20, v28, 2
	ds_bpermute_b32 v20, v36, v17
	v_add_u32_e32 v37, 2, v34
	v_cmp_le_u32_e32 vcc, v37, v15
	v_add_u32_e32 v39, 4, v34
	v_add_u32_e32 v41, 8, v34
	s_waitcnt lgkmcnt(0)
	v_cndmask_b32_e32 v20, 0, v20, vcc
	v_cmp_gt_u32_e32 vcc, 60, v34
	v_add_u32_e32 v17, v17, v20
	v_cndmask_b32_e64 v20, 0, 1, vcc
	v_lshlrev_b32_e32 v20, 2, v20
	v_add_lshl_u32 v38, v20, v28, 2
	ds_bpermute_b32 v20, v38, v17
	v_cmp_le_u32_e32 vcc, v39, v15
	v_add_u32_e32 v43, 16, v34
	v_add_u32_e32 v45, 32, v34
	s_waitcnt lgkmcnt(0)
	v_cndmask_b32_e32 v20, 0, v20, vcc
	v_cmp_gt_u32_e32 vcc, 56, v34
	v_add_u32_e32 v17, v17, v20
	v_cndmask_b32_e64 v20, 0, 1, vcc
	v_lshlrev_b32_e32 v20, 3, v20
	v_add_lshl_u32 v40, v20, v28, 2
	ds_bpermute_b32 v20, v40, v17
	v_cmp_le_u32_e32 vcc, v41, v15
	s_waitcnt lgkmcnt(0)
	v_cndmask_b32_e32 v20, 0, v20, vcc
	v_cmp_gt_u32_e32 vcc, 48, v34
	v_add_u32_e32 v17, v17, v20
	v_cndmask_b32_e64 v20, 0, 1, vcc
	v_lshlrev_b32_e32 v20, 4, v20
	v_add_lshl_u32 v42, v20, v28, 2
	ds_bpermute_b32 v20, v42, v17
	v_cmp_le_u32_e32 vcc, v43, v15
	;; [unrolled: 9-line block ×3, first 2 shown]
	s_waitcnt lgkmcnt(0)
	v_cndmask_b32_e32 v15, 0, v20, vcc
	v_add_u32_e32 v20, v17, v15
	v_mov_b32_e32 v17, 0
	s_branch .LBB2213_46
.LBB2213_45:                            ;   in Loop: Header=BB2213_46 Depth=1
	s_or_b64 exec, exec, s[36:37]
	v_cmp_eq_u16_sdwa s[36:37], v21, v33 src0_sel:BYTE_0 src1_sel:DWORD
	v_and_b32_e32 v22, s37, v19
	v_or_b32_e32 v22, 0x80000000, v22
	ds_bpermute_b32 v46, v35, v20
	v_and_b32_e32 v23, s36, v18
	v_ffbl_b32_e32 v22, v22
	v_add_u32_e32 v22, 32, v22
	v_ffbl_b32_e32 v23, v23
	v_min_u32_e32 v22, v23, v22
	v_cmp_lt_u32_e32 vcc, v34, v22
	s_waitcnt lgkmcnt(0)
	v_cndmask_b32_e32 v23, 0, v46, vcc
	v_add_u32_e32 v20, v23, v20
	ds_bpermute_b32 v23, v36, v20
	v_cmp_le_u32_e32 vcc, v37, v22
	v_subrev_u32_e32 v16, 64, v16
	s_waitcnt lgkmcnt(0)
	v_cndmask_b32_e32 v23, 0, v23, vcc
	v_add_u32_e32 v20, v20, v23
	ds_bpermute_b32 v23, v38, v20
	v_cmp_le_u32_e32 vcc, v39, v22
	s_waitcnt lgkmcnt(0)
	v_cndmask_b32_e32 v23, 0, v23, vcc
	v_add_u32_e32 v20, v20, v23
	ds_bpermute_b32 v23, v40, v20
	v_cmp_le_u32_e32 vcc, v41, v22
	;; [unrolled: 5-line block ×4, first 2 shown]
	s_waitcnt lgkmcnt(0)
	v_cndmask_b32_e32 v22, 0, v23, vcc
	v_add3_u32 v20, v22, v15, v20
.LBB2213_46:                            ; =>This Loop Header: Depth=1
                                        ;     Child Loop BB2213_49 Depth 2
                                        ;       Child Loop BB2213_50 Depth 3
	v_cmp_ne_u16_sdwa s[36:37], v21, v33 src0_sel:BYTE_0 src1_sel:DWORD
	v_cndmask_b32_e64 v15, 0, 1, s[36:37]
	;;#ASMSTART
	;;#ASMEND
	v_cmp_ne_u32_e32 vcc, 0, v15
	s_cmp_lg_u64 vcc, exec
	v_mov_b32_e32 v15, v20
	s_cbranch_scc1 .LBB2213_53
; %bb.47:                               ;   in Loop: Header=BB2213_46 Depth=1
	v_lshlrev_b64 v[20:21], 3, v[16:17]
	v_mov_b32_e32 v23, s31
	v_add_co_u32_e32 v22, vcc, s30, v20
	v_addc_co_u32_e32 v23, vcc, v23, v21, vcc
	global_load_dwordx2 v[20:21], v[22:23], off glc
	s_waitcnt vmcnt(0)
	v_cmp_eq_u16_sdwa s[38:39], v21, v17 src0_sel:BYTE_0 src1_sel:DWORD
	s_and_saveexec_b64 s[36:37], s[38:39]
	s_cbranch_execz .LBB2213_45
; %bb.48:                               ;   in Loop: Header=BB2213_46 Depth=1
	s_mov_b32 s41, 1
	s_mov_b64 s[38:39], 0
.LBB2213_49:                            ;   Parent Loop BB2213_46 Depth=1
                                        ; =>  This Loop Header: Depth=2
                                        ;       Child Loop BB2213_50 Depth 3
	s_max_u32 s42, s41, 1
.LBB2213_50:                            ;   Parent Loop BB2213_46 Depth=1
                                        ;     Parent Loop BB2213_49 Depth=2
                                        ; =>    This Inner Loop Header: Depth=3
	s_add_i32 s42, s42, -1
	s_cmp_eq_u32 s42, 0
	s_sleep 1
	s_cbranch_scc0 .LBB2213_50
; %bb.51:                               ;   in Loop: Header=BB2213_49 Depth=2
	global_load_dwordx2 v[20:21], v[22:23], off glc
	s_cmp_lt_u32 s41, 32
	s_cselect_b64 s[42:43], -1, 0
	s_cmp_lg_u64 s[42:43], 0
	s_addc_u32 s41, s41, 0
	s_waitcnt vmcnt(0)
	v_cmp_ne_u16_sdwa s[42:43], v21, v17 src0_sel:BYTE_0 src1_sel:DWORD
	s_or_b64 s[38:39], s[42:43], s[38:39]
	s_andn2_b64 exec, exec, s[38:39]
	s_cbranch_execnz .LBB2213_49
; %bb.52:                               ;   in Loop: Header=BB2213_46 Depth=1
	s_or_b64 exec, exec, s[38:39]
	s_branch .LBB2213_45
.LBB2213_53:                            ;   in Loop: Header=BB2213_46 Depth=1
                                        ; implicit-def: $vgpr20
                                        ; implicit-def: $vgpr21
	s_cbranch_execz .LBB2213_46
; %bb.54:
	s_and_saveexec_b64 s[36:37], s[16:17]
	s_cbranch_execz .LBB2213_56
; %bb.55:
	s_add_i32 s38, s40, 64
	s_mov_b32 s39, 0
	s_lshl_b64 s[38:39], s[38:39], 3
	s_add_u32 s38, s30, s38
	v_add_u32_e32 v16, v15, v14
	v_mov_b32_e32 v17, 2
	s_addc_u32 s39, s31, s39
	v_mov_b32_e32 v18, 0
	global_store_dwordx2 v18, v[16:17], s[38:39]
	ds_write_b64 v18, v[14:15] offset:6336
.LBB2213_56:
	s_or_b64 exec, exec, s[36:37]
	s_and_b64 exec, exec, s[0:1]
	s_cbranch_execz .LBB2213_58
; %bb.57:
	v_mov_b32_e32 v14, 0
	ds_write_b32 v14, v15 offset:8
.LBB2213_58:
	s_or_b64 exec, exec, s[34:35]
	v_mov_b32_e32 v14, 0
	s_waitcnt lgkmcnt(0)
	s_barrier
	ds_read_b32 v15, v14 offset:8
	v_cndmask_b32_e64 v16, v32, v31, s[16:17]
	v_cndmask_b32_e64 v16, v16, 0, s[0:1]
	s_waitcnt lgkmcnt(0)
	s_barrier
	v_add_u32_e32 v18, v15, v16
	ds_read_b64 v[14:15], v14 offset:6336
	v_add_u32_sdwa v19, v18, v26 dst_sel:DWORD dst_unused:UNUSED_PAD src0_sel:DWORD src1_sel:BYTE_0
	v_add_u32_sdwa v17, v19, v26 dst_sel:DWORD dst_unused:UNUSED_PAD src0_sel:DWORD src1_sel:BYTE_1
	v_add_u32_e32 v16, v17, v27
	s_branch .LBB2213_69
.LBB2213_59:
                                        ; implicit-def: $vgpr15
                                        ; implicit-def: $vgpr16
                                        ; implicit-def: $vgpr17
                                        ; implicit-def: $vgpr19
                                        ; implicit-def: $vgpr18
	s_cbranch_execz .LBB2213_69
; %bb.60:
	s_waitcnt lgkmcnt(0)
	v_mov_b32_dpp v14, v30 row_shr:1 row_mask:0xf bank_mask:0xf
	v_cndmask_b32_e64 v14, v14, 0, s[14:15]
	v_add_u32_e32 v14, v14, v30
	s_nop 1
	v_mov_b32_dpp v15, v14 row_shr:2 row_mask:0xf bank_mask:0xf
	v_cndmask_b32_e64 v15, 0, v15, s[12:13]
	v_add_u32_e32 v14, v14, v15
	s_nop 1
	;; [unrolled: 4-line block ×4, first 2 shown]
	v_mov_b32_dpp v15, v14 row_bcast:15 row_mask:0xf bank_mask:0xf
	v_cndmask_b32_e64 v15, v15, 0, s[4:5]
	v_add_u32_e32 v14, v14, v15
	s_nop 1
	v_mov_b32_dpp v15, v14 row_bcast:31 row_mask:0xf bank_mask:0xf
	v_cndmask_b32_e64 v15, 0, v15, s[2:3]
	v_add_u32_e32 v14, v14, v15
	s_and_saveexec_b64 s[2:3], s[6:7]
	s_cbranch_execz .LBB2213_62
; %bb.61:
	v_lshlrev_b32_e32 v15, 2, v29
	ds_write_b32 v15, v14
.LBB2213_62:
	s_or_b64 exec, exec, s[2:3]
	v_cmp_gt_u32_e32 vcc, 3, v0
	s_waitcnt lgkmcnt(0)
	s_barrier
	s_and_saveexec_b64 s[2:3], vcc
	s_cbranch_execz .LBB2213_64
; %bb.63:
	ds_read_b32 v15, v25
	v_and_b32_e32 v16, 3, v28
	v_cmp_ne_u32_e32 vcc, 0, v16
	s_waitcnt lgkmcnt(0)
	v_mov_b32_dpp v17, v15 row_shr:1 row_mask:0xf bank_mask:0xf
	v_cndmask_b32_e32 v17, 0, v17, vcc
	v_add_u32_e32 v15, v17, v15
	v_cmp_lt_u32_e32 vcc, 1, v16
	s_nop 0
	v_mov_b32_dpp v17, v15 row_shr:2 row_mask:0xf bank_mask:0xf
	v_cndmask_b32_e32 v16, 0, v17, vcc
	v_add_u32_e32 v15, v15, v16
	ds_write_b32 v25, v15
.LBB2213_64:
	s_or_b64 exec, exec, s[2:3]
	v_cmp_lt_u32_e32 vcc, 63, v0
	v_mov_b32_e32 v15, 0
	v_mov_b32_e32 v16, 0
	s_waitcnt lgkmcnt(0)
	s_barrier
	s_and_saveexec_b64 s[2:3], vcc
	s_cbranch_execz .LBB2213_66
; %bb.65:
	v_lshl_add_u32 v16, v29, 2, -4
	ds_read_b32 v16, v16
.LBB2213_66:
	s_or_b64 exec, exec, s[2:3]
	v_add_u32_e32 v17, -1, v28
	v_and_b32_e32 v18, 64, v28
	v_cmp_lt_i32_e32 vcc, v17, v18
	v_cndmask_b32_e32 v17, v17, v28, vcc
	s_waitcnt lgkmcnt(0)
	v_add_u32_e32 v14, v16, v14
	v_lshlrev_b32_e32 v17, 2, v17
	ds_bpermute_b32 v17, v17, v14
	ds_read_b32 v14, v15 offset:8
	s_and_saveexec_b64 s[2:3], s[0:1]
	s_cbranch_execz .LBB2213_68
; %bb.67:
	v_mov_b32_e32 v18, 0
	v_mov_b32_e32 v15, 2
	s_waitcnt lgkmcnt(0)
	global_store_dwordx2 v18, v[14:15], s[30:31] offset:512
.LBB2213_68:
	s_or_b64 exec, exec, s[2:3]
	v_cmp_eq_u32_e32 vcc, 0, v28
	s_waitcnt lgkmcnt(1)
	v_cndmask_b32_e32 v16, v17, v16, vcc
	v_cndmask_b32_e64 v18, v16, 0, s[0:1]
	v_add_u32_sdwa v19, v18, v26 dst_sel:DWORD dst_unused:UNUSED_PAD src0_sel:DWORD src1_sel:BYTE_0
	v_add_u32_sdwa v17, v19, v26 dst_sel:DWORD dst_unused:UNUSED_PAD src0_sel:DWORD src1_sel:BYTE_1
	v_mov_b32_e32 v15, 0
	v_add_u32_e32 v16, v17, v27
	s_waitcnt lgkmcnt(0)
	s_barrier
.LBB2213_69:
	s_waitcnt lgkmcnt(0)
	v_add_u32_e32 v21, v14, v25
	v_sub_u32_e32 v18, v18, v15
	v_and_b32_e32 v23, 1, v26
	v_sub_u32_e32 v22, v21, v18
	v_cmp_eq_u32_e32 vcc, 1, v23
	v_cndmask_b32_e32 v18, v22, v18, vcc
	v_lshlrev_b32_e32 v18, 3, v18
	v_lshrrev_b32_e32 v20, 8, v26
	ds_write_b64 v18, v[6:7]
	v_sub_u32_e32 v6, v19, v15
	v_sub_u32_e32 v7, v21, v6
	v_and_b32_e32 v18, 1, v20
	v_add_u32_e32 v7, 1, v7
	v_cmp_eq_u32_e32 vcc, 1, v18
	v_cndmask_b32_e32 v6, v7, v6, vcc
	v_lshlrev_b32_e32 v6, 3, v6
	ds_write_b64 v6, v[8:9]
	v_sub_u32_e32 v6, v17, v15
	v_mov_b32_e32 v8, 1
	v_sub_u32_e32 v7, v21, v6
	v_and_b32_sdwa v8, v8, v26 dst_sel:DWORD dst_unused:UNUSED_PAD src0_sel:DWORD src1_sel:WORD_1
	v_add_u32_e32 v7, 2, v7
	v_cmp_eq_u32_e32 vcc, 1, v8
	v_cndmask_b32_e32 v6, v7, v6, vcc
	v_lshlrev_b32_e32 v6, 3, v6
	ds_write_b64 v6, v[2:3]
	v_sub_u32_e32 v2, v16, v15
	v_sub_u32_e32 v3, v21, v2
	v_and_b32_e32 v1, 1, v1
	v_add_u32_e32 v3, 3, v3
	v_cmp_eq_u32_e32 vcc, 1, v1
	v_cndmask_b32_e32 v1, v3, v2, vcc
	s_waitcnt vmcnt(0)
	v_add_co_u32_e32 v20, vcc, v10, v15
	v_addc_co_u32_e32 v21, vcc, 0, v11, vcc
	v_add_co_u32_e32 v10, vcc, v20, v14
	v_addc_co_u32_e32 v11, vcc, 0, v21, vcc
	v_mov_b32_e32 v15, s19
	v_sub_co_u32_e32 v22, vcc, s18, v10
	v_subb_co_u32_e32 v23, vcc, v15, v11, vcc
	v_lshlrev_b32_e32 v1, 3, v1
	v_lshlrev_b64 v[22:23], 3, v[22:23]
	ds_write_b64 v1, v[4:5]
	s_waitcnt lgkmcnt(0)
	s_barrier
	ds_read2st64_b64 v[6:9], v24 offset1:3
	ds_read2st64_b64 v[2:5], v24 offset0:6 offset1:9
	v_mov_b32_e32 v15, s27
	v_add_co_u32_e32 v17, vcc, s26, v22
	v_addc_co_u32_e32 v15, vcc, v15, v23, vcc
	v_add_co_u32_e32 v12, vcc, v17, v12
	v_lshlrev_b64 v[20:21], 3, v[20:21]
	v_addc_co_u32_e32 v13, vcc, v15, v13, vcc
	v_mov_b32_e32 v17, s25
	v_add_co_u32_e64 v15, s[2:3], s24, v20
	v_add_u32_e32 v18, 0xc0, v0
	v_add_u32_e32 v16, 0x180, v0
	;; [unrolled: 1-line block ×3, first 2 shown]
	s_andn2_b64 vcc, exec, s[28:29]
	v_addc_co_u32_e64 v17, s[2:3], v17, v21, s[2:3]
	s_cbranch_vccnz .LBB2213_71
; %bb.70:
	v_cmp_lt_u32_e32 vcc, v0, v14
	v_cndmask_b32_e32 v20, v12, v15, vcc
	v_cndmask_b32_e32 v19, v13, v17, vcc
	v_add_co_u32_e32 v20, vcc, v20, v24
	v_addc_co_u32_e32 v21, vcc, 0, v19, vcc
	v_cmp_lt_u32_e32 vcc, v18, v14
	s_waitcnt lgkmcnt(1)
	global_store_dwordx2 v[20:21], v[6:7], off
	v_cndmask_b32_e32 v20, v12, v15, vcc
	v_cndmask_b32_e32 v19, v13, v17, vcc
	v_add_co_u32_e32 v20, vcc, v20, v24
	v_addc_co_u32_e32 v21, vcc, 0, v19, vcc
	v_cmp_lt_u32_e32 vcc, v16, v14
	global_store_dwordx2 v[20:21], v[8:9], off offset:1536
	v_cndmask_b32_e32 v20, v12, v15, vcc
	v_cndmask_b32_e32 v19, v13, v17, vcc
	v_add_co_u32_e32 v20, vcc, v20, v24
	v_addc_co_u32_e32 v21, vcc, 0, v19, vcc
	s_mov_b64 s[2:3], -1
	s_waitcnt lgkmcnt(0)
	global_store_dwordx2 v[20:21], v[2:3], off offset:3072
	s_cbranch_execz .LBB2213_72
	s_branch .LBB2213_77
.LBB2213_71:
	s_mov_b64 s[2:3], 0
.LBB2213_72:
	v_cmp_gt_u32_e32 vcc, s33, v0
	s_and_saveexec_b64 s[2:3], vcc
	s_cbranch_execnz .LBB2213_82
; %bb.73:
	s_or_b64 exec, exec, s[2:3]
	v_cmp_gt_u32_e32 vcc, s33, v18
	s_and_saveexec_b64 s[2:3], vcc
	s_cbranch_execnz .LBB2213_83
.LBB2213_74:
	s_or_b64 exec, exec, s[2:3]
	v_cmp_gt_u32_e32 vcc, s33, v16
	s_and_saveexec_b64 s[2:3], vcc
	s_cbranch_execz .LBB2213_76
.LBB2213_75:
	v_cmp_lt_u32_e32 vcc, v16, v14
	s_waitcnt lgkmcnt(1)
	v_cndmask_b32_e32 v6, v12, v15, vcc
	v_cndmask_b32_e32 v0, v13, v17, vcc
	v_add_co_u32_e32 v6, vcc, v6, v24
	v_addc_co_u32_e32 v7, vcc, 0, v0, vcc
	s_waitcnt lgkmcnt(0)
	global_store_dwordx2 v[6:7], v[2:3], off offset:3072
.LBB2213_76:
	s_or_b64 exec, exec, s[2:3]
	v_cmp_gt_u32_e64 s[2:3], s33, v1
.LBB2213_77:
	s_and_saveexec_b64 s[4:5], s[2:3]
	s_cbranch_execnz .LBB2213_80
; %bb.78:
	s_or_b64 exec, exec, s[4:5]
	s_and_b64 s[0:1], s[0:1], s[22:23]
	s_and_saveexec_b64 s[2:3], s[0:1]
	s_cbranch_execnz .LBB2213_81
.LBB2213_79:
	s_endpgm
.LBB2213_80:
	v_cmp_lt_u32_e32 vcc, v1, v14
	v_cndmask_b32_e32 v0, v12, v15, vcc
	v_lshlrev_b32_e32 v1, 3, v1
	s_waitcnt lgkmcnt(0)
	v_cndmask_b32_e32 v2, v13, v17, vcc
	v_add_co_u32_e32 v0, vcc, v0, v1
	v_addc_co_u32_e32 v1, vcc, 0, v2, vcc
	global_store_dwordx2 v[0:1], v[4:5], off
	s_or_b64 exec, exec, s[4:5]
	s_and_b64 s[0:1], s[0:1], s[22:23]
	s_and_saveexec_b64 s[2:3], s[0:1]
	s_cbranch_execz .LBB2213_79
.LBB2213_81:
	v_mov_b32_e32 v0, 0
	global_store_dwordx2 v0, v[10:11], s[20:21]
	s_endpgm
.LBB2213_82:
	v_cmp_lt_u32_e32 vcc, v0, v14
	v_cndmask_b32_e32 v19, v12, v15, vcc
	v_cndmask_b32_e32 v0, v13, v17, vcc
	v_add_co_u32_e32 v20, vcc, v19, v24
	v_addc_co_u32_e32 v21, vcc, 0, v0, vcc
	s_waitcnt lgkmcnt(1)
	global_store_dwordx2 v[20:21], v[6:7], off
	s_or_b64 exec, exec, s[2:3]
	v_cmp_gt_u32_e32 vcc, s33, v18
	s_and_saveexec_b64 s[2:3], vcc
	s_cbranch_execz .LBB2213_74
.LBB2213_83:
	v_cmp_lt_u32_e32 vcc, v18, v14
	s_waitcnt lgkmcnt(1)
	v_cndmask_b32_e32 v6, v12, v15, vcc
	v_cndmask_b32_e32 v0, v13, v17, vcc
	v_add_co_u32_e32 v6, vcc, v6, v24
	v_addc_co_u32_e32 v7, vcc, 0, v0, vcc
	global_store_dwordx2 v[6:7], v[8:9], off offset:1536
	s_or_b64 exec, exec, s[2:3]
	v_cmp_gt_u32_e32 vcc, s33, v16
	s_and_saveexec_b64 s[2:3], vcc
	s_cbranch_execnz .LBB2213_75
	s_branch .LBB2213_76
	.section	.rodata,"a",@progbits
	.p2align	6, 0x0
	.amdhsa_kernel _ZN7rocprim17ROCPRIM_400000_NS6detail17trampoline_kernelINS0_14default_configENS1_25partition_config_selectorILNS1_17partition_subalgoE1EyNS0_10empty_typeEbEEZZNS1_14partition_implILS5_1ELb0ES3_jN6thrust23THRUST_200600_302600_NS6detail15normal_iteratorINSA_10device_ptrIyEEEEPS6_NSA_18transform_iteratorI7is_evenIyESF_NSA_11use_defaultESK_EENS0_5tupleIJSF_SF_EEENSM_IJSG_SG_EEES6_PlJS6_EEE10hipError_tPvRmT3_T4_T5_T6_T7_T9_mT8_P12ihipStream_tbDpT10_ENKUlT_T0_E_clISt17integral_constantIbLb1EES19_EEDaS14_S15_EUlS14_E_NS1_11comp_targetILNS1_3genE4ELNS1_11target_archE910ELNS1_3gpuE8ELNS1_3repE0EEENS1_30default_config_static_selectorELNS0_4arch9wavefront6targetE1EEEvT1_
		.amdhsa_group_segment_fixed_size 6344
		.amdhsa_private_segment_fixed_size 0
		.amdhsa_kernarg_size 144
		.amdhsa_user_sgpr_count 6
		.amdhsa_user_sgpr_private_segment_buffer 1
		.amdhsa_user_sgpr_dispatch_ptr 0
		.amdhsa_user_sgpr_queue_ptr 0
		.amdhsa_user_sgpr_kernarg_segment_ptr 1
		.amdhsa_user_sgpr_dispatch_id 0
		.amdhsa_user_sgpr_flat_scratch_init 0
		.amdhsa_user_sgpr_kernarg_preload_length 0
		.amdhsa_user_sgpr_kernarg_preload_offset 0
		.amdhsa_user_sgpr_private_segment_size 0
		.amdhsa_uses_dynamic_stack 0
		.amdhsa_system_sgpr_private_segment_wavefront_offset 0
		.amdhsa_system_sgpr_workgroup_id_x 1
		.amdhsa_system_sgpr_workgroup_id_y 0
		.amdhsa_system_sgpr_workgroup_id_z 0
		.amdhsa_system_sgpr_workgroup_info 0
		.amdhsa_system_vgpr_workitem_id 0
		.amdhsa_next_free_vgpr 47
		.amdhsa_next_free_sgpr 44
		.amdhsa_accum_offset 48
		.amdhsa_reserve_vcc 1
		.amdhsa_reserve_flat_scratch 0
		.amdhsa_float_round_mode_32 0
		.amdhsa_float_round_mode_16_64 0
		.amdhsa_float_denorm_mode_32 3
		.amdhsa_float_denorm_mode_16_64 3
		.amdhsa_dx10_clamp 1
		.amdhsa_ieee_mode 1
		.amdhsa_fp16_overflow 0
		.amdhsa_tg_split 0
		.amdhsa_exception_fp_ieee_invalid_op 0
		.amdhsa_exception_fp_denorm_src 0
		.amdhsa_exception_fp_ieee_div_zero 0
		.amdhsa_exception_fp_ieee_overflow 0
		.amdhsa_exception_fp_ieee_underflow 0
		.amdhsa_exception_fp_ieee_inexact 0
		.amdhsa_exception_int_div_zero 0
	.end_amdhsa_kernel
	.section	.text._ZN7rocprim17ROCPRIM_400000_NS6detail17trampoline_kernelINS0_14default_configENS1_25partition_config_selectorILNS1_17partition_subalgoE1EyNS0_10empty_typeEbEEZZNS1_14partition_implILS5_1ELb0ES3_jN6thrust23THRUST_200600_302600_NS6detail15normal_iteratorINSA_10device_ptrIyEEEEPS6_NSA_18transform_iteratorI7is_evenIyESF_NSA_11use_defaultESK_EENS0_5tupleIJSF_SF_EEENSM_IJSG_SG_EEES6_PlJS6_EEE10hipError_tPvRmT3_T4_T5_T6_T7_T9_mT8_P12ihipStream_tbDpT10_ENKUlT_T0_E_clISt17integral_constantIbLb1EES19_EEDaS14_S15_EUlS14_E_NS1_11comp_targetILNS1_3genE4ELNS1_11target_archE910ELNS1_3gpuE8ELNS1_3repE0EEENS1_30default_config_static_selectorELNS0_4arch9wavefront6targetE1EEEvT1_,"axG",@progbits,_ZN7rocprim17ROCPRIM_400000_NS6detail17trampoline_kernelINS0_14default_configENS1_25partition_config_selectorILNS1_17partition_subalgoE1EyNS0_10empty_typeEbEEZZNS1_14partition_implILS5_1ELb0ES3_jN6thrust23THRUST_200600_302600_NS6detail15normal_iteratorINSA_10device_ptrIyEEEEPS6_NSA_18transform_iteratorI7is_evenIyESF_NSA_11use_defaultESK_EENS0_5tupleIJSF_SF_EEENSM_IJSG_SG_EEES6_PlJS6_EEE10hipError_tPvRmT3_T4_T5_T6_T7_T9_mT8_P12ihipStream_tbDpT10_ENKUlT_T0_E_clISt17integral_constantIbLb1EES19_EEDaS14_S15_EUlS14_E_NS1_11comp_targetILNS1_3genE4ELNS1_11target_archE910ELNS1_3gpuE8ELNS1_3repE0EEENS1_30default_config_static_selectorELNS0_4arch9wavefront6targetE1EEEvT1_,comdat
.Lfunc_end2213:
	.size	_ZN7rocprim17ROCPRIM_400000_NS6detail17trampoline_kernelINS0_14default_configENS1_25partition_config_selectorILNS1_17partition_subalgoE1EyNS0_10empty_typeEbEEZZNS1_14partition_implILS5_1ELb0ES3_jN6thrust23THRUST_200600_302600_NS6detail15normal_iteratorINSA_10device_ptrIyEEEEPS6_NSA_18transform_iteratorI7is_evenIyESF_NSA_11use_defaultESK_EENS0_5tupleIJSF_SF_EEENSM_IJSG_SG_EEES6_PlJS6_EEE10hipError_tPvRmT3_T4_T5_T6_T7_T9_mT8_P12ihipStream_tbDpT10_ENKUlT_T0_E_clISt17integral_constantIbLb1EES19_EEDaS14_S15_EUlS14_E_NS1_11comp_targetILNS1_3genE4ELNS1_11target_archE910ELNS1_3gpuE8ELNS1_3repE0EEENS1_30default_config_static_selectorELNS0_4arch9wavefront6targetE1EEEvT1_, .Lfunc_end2213-_ZN7rocprim17ROCPRIM_400000_NS6detail17trampoline_kernelINS0_14default_configENS1_25partition_config_selectorILNS1_17partition_subalgoE1EyNS0_10empty_typeEbEEZZNS1_14partition_implILS5_1ELb0ES3_jN6thrust23THRUST_200600_302600_NS6detail15normal_iteratorINSA_10device_ptrIyEEEEPS6_NSA_18transform_iteratorI7is_evenIyESF_NSA_11use_defaultESK_EENS0_5tupleIJSF_SF_EEENSM_IJSG_SG_EEES6_PlJS6_EEE10hipError_tPvRmT3_T4_T5_T6_T7_T9_mT8_P12ihipStream_tbDpT10_ENKUlT_T0_E_clISt17integral_constantIbLb1EES19_EEDaS14_S15_EUlS14_E_NS1_11comp_targetILNS1_3genE4ELNS1_11target_archE910ELNS1_3gpuE8ELNS1_3repE0EEENS1_30default_config_static_selectorELNS0_4arch9wavefront6targetE1EEEvT1_
                                        ; -- End function
	.section	.AMDGPU.csdata,"",@progbits
; Kernel info:
; codeLenInByte = 4180
; NumSgprs: 48
; NumVgprs: 47
; NumAgprs: 0
; TotalNumVgprs: 47
; ScratchSize: 0
; MemoryBound: 0
; FloatMode: 240
; IeeeMode: 1
; LDSByteSize: 6344 bytes/workgroup (compile time only)
; SGPRBlocks: 5
; VGPRBlocks: 5
; NumSGPRsForWavesPerEU: 48
; NumVGPRsForWavesPerEU: 47
; AccumOffset: 48
; Occupancy: 8
; WaveLimiterHint : 1
; COMPUTE_PGM_RSRC2:SCRATCH_EN: 0
; COMPUTE_PGM_RSRC2:USER_SGPR: 6
; COMPUTE_PGM_RSRC2:TRAP_HANDLER: 0
; COMPUTE_PGM_RSRC2:TGID_X_EN: 1
; COMPUTE_PGM_RSRC2:TGID_Y_EN: 0
; COMPUTE_PGM_RSRC2:TGID_Z_EN: 0
; COMPUTE_PGM_RSRC2:TIDIG_COMP_CNT: 0
; COMPUTE_PGM_RSRC3_GFX90A:ACCUM_OFFSET: 11
; COMPUTE_PGM_RSRC3_GFX90A:TG_SPLIT: 0
	.section	.text._ZN7rocprim17ROCPRIM_400000_NS6detail17trampoline_kernelINS0_14default_configENS1_25partition_config_selectorILNS1_17partition_subalgoE1EyNS0_10empty_typeEbEEZZNS1_14partition_implILS5_1ELb0ES3_jN6thrust23THRUST_200600_302600_NS6detail15normal_iteratorINSA_10device_ptrIyEEEEPS6_NSA_18transform_iteratorI7is_evenIyESF_NSA_11use_defaultESK_EENS0_5tupleIJSF_SF_EEENSM_IJSG_SG_EEES6_PlJS6_EEE10hipError_tPvRmT3_T4_T5_T6_T7_T9_mT8_P12ihipStream_tbDpT10_ENKUlT_T0_E_clISt17integral_constantIbLb1EES19_EEDaS14_S15_EUlS14_E_NS1_11comp_targetILNS1_3genE3ELNS1_11target_archE908ELNS1_3gpuE7ELNS1_3repE0EEENS1_30default_config_static_selectorELNS0_4arch9wavefront6targetE1EEEvT1_,"axG",@progbits,_ZN7rocprim17ROCPRIM_400000_NS6detail17trampoline_kernelINS0_14default_configENS1_25partition_config_selectorILNS1_17partition_subalgoE1EyNS0_10empty_typeEbEEZZNS1_14partition_implILS5_1ELb0ES3_jN6thrust23THRUST_200600_302600_NS6detail15normal_iteratorINSA_10device_ptrIyEEEEPS6_NSA_18transform_iteratorI7is_evenIyESF_NSA_11use_defaultESK_EENS0_5tupleIJSF_SF_EEENSM_IJSG_SG_EEES6_PlJS6_EEE10hipError_tPvRmT3_T4_T5_T6_T7_T9_mT8_P12ihipStream_tbDpT10_ENKUlT_T0_E_clISt17integral_constantIbLb1EES19_EEDaS14_S15_EUlS14_E_NS1_11comp_targetILNS1_3genE3ELNS1_11target_archE908ELNS1_3gpuE7ELNS1_3repE0EEENS1_30default_config_static_selectorELNS0_4arch9wavefront6targetE1EEEvT1_,comdat
	.protected	_ZN7rocprim17ROCPRIM_400000_NS6detail17trampoline_kernelINS0_14default_configENS1_25partition_config_selectorILNS1_17partition_subalgoE1EyNS0_10empty_typeEbEEZZNS1_14partition_implILS5_1ELb0ES3_jN6thrust23THRUST_200600_302600_NS6detail15normal_iteratorINSA_10device_ptrIyEEEEPS6_NSA_18transform_iteratorI7is_evenIyESF_NSA_11use_defaultESK_EENS0_5tupleIJSF_SF_EEENSM_IJSG_SG_EEES6_PlJS6_EEE10hipError_tPvRmT3_T4_T5_T6_T7_T9_mT8_P12ihipStream_tbDpT10_ENKUlT_T0_E_clISt17integral_constantIbLb1EES19_EEDaS14_S15_EUlS14_E_NS1_11comp_targetILNS1_3genE3ELNS1_11target_archE908ELNS1_3gpuE7ELNS1_3repE0EEENS1_30default_config_static_selectorELNS0_4arch9wavefront6targetE1EEEvT1_ ; -- Begin function _ZN7rocprim17ROCPRIM_400000_NS6detail17trampoline_kernelINS0_14default_configENS1_25partition_config_selectorILNS1_17partition_subalgoE1EyNS0_10empty_typeEbEEZZNS1_14partition_implILS5_1ELb0ES3_jN6thrust23THRUST_200600_302600_NS6detail15normal_iteratorINSA_10device_ptrIyEEEEPS6_NSA_18transform_iteratorI7is_evenIyESF_NSA_11use_defaultESK_EENS0_5tupleIJSF_SF_EEENSM_IJSG_SG_EEES6_PlJS6_EEE10hipError_tPvRmT3_T4_T5_T6_T7_T9_mT8_P12ihipStream_tbDpT10_ENKUlT_T0_E_clISt17integral_constantIbLb1EES19_EEDaS14_S15_EUlS14_E_NS1_11comp_targetILNS1_3genE3ELNS1_11target_archE908ELNS1_3gpuE7ELNS1_3repE0EEENS1_30default_config_static_selectorELNS0_4arch9wavefront6targetE1EEEvT1_
	.globl	_ZN7rocprim17ROCPRIM_400000_NS6detail17trampoline_kernelINS0_14default_configENS1_25partition_config_selectorILNS1_17partition_subalgoE1EyNS0_10empty_typeEbEEZZNS1_14partition_implILS5_1ELb0ES3_jN6thrust23THRUST_200600_302600_NS6detail15normal_iteratorINSA_10device_ptrIyEEEEPS6_NSA_18transform_iteratorI7is_evenIyESF_NSA_11use_defaultESK_EENS0_5tupleIJSF_SF_EEENSM_IJSG_SG_EEES6_PlJS6_EEE10hipError_tPvRmT3_T4_T5_T6_T7_T9_mT8_P12ihipStream_tbDpT10_ENKUlT_T0_E_clISt17integral_constantIbLb1EES19_EEDaS14_S15_EUlS14_E_NS1_11comp_targetILNS1_3genE3ELNS1_11target_archE908ELNS1_3gpuE7ELNS1_3repE0EEENS1_30default_config_static_selectorELNS0_4arch9wavefront6targetE1EEEvT1_
	.p2align	8
	.type	_ZN7rocprim17ROCPRIM_400000_NS6detail17trampoline_kernelINS0_14default_configENS1_25partition_config_selectorILNS1_17partition_subalgoE1EyNS0_10empty_typeEbEEZZNS1_14partition_implILS5_1ELb0ES3_jN6thrust23THRUST_200600_302600_NS6detail15normal_iteratorINSA_10device_ptrIyEEEEPS6_NSA_18transform_iteratorI7is_evenIyESF_NSA_11use_defaultESK_EENS0_5tupleIJSF_SF_EEENSM_IJSG_SG_EEES6_PlJS6_EEE10hipError_tPvRmT3_T4_T5_T6_T7_T9_mT8_P12ihipStream_tbDpT10_ENKUlT_T0_E_clISt17integral_constantIbLb1EES19_EEDaS14_S15_EUlS14_E_NS1_11comp_targetILNS1_3genE3ELNS1_11target_archE908ELNS1_3gpuE7ELNS1_3repE0EEENS1_30default_config_static_selectorELNS0_4arch9wavefront6targetE1EEEvT1_,@function
_ZN7rocprim17ROCPRIM_400000_NS6detail17trampoline_kernelINS0_14default_configENS1_25partition_config_selectorILNS1_17partition_subalgoE1EyNS0_10empty_typeEbEEZZNS1_14partition_implILS5_1ELb0ES3_jN6thrust23THRUST_200600_302600_NS6detail15normal_iteratorINSA_10device_ptrIyEEEEPS6_NSA_18transform_iteratorI7is_evenIyESF_NSA_11use_defaultESK_EENS0_5tupleIJSF_SF_EEENSM_IJSG_SG_EEES6_PlJS6_EEE10hipError_tPvRmT3_T4_T5_T6_T7_T9_mT8_P12ihipStream_tbDpT10_ENKUlT_T0_E_clISt17integral_constantIbLb1EES19_EEDaS14_S15_EUlS14_E_NS1_11comp_targetILNS1_3genE3ELNS1_11target_archE908ELNS1_3gpuE7ELNS1_3repE0EEENS1_30default_config_static_selectorELNS0_4arch9wavefront6targetE1EEEvT1_: ; @_ZN7rocprim17ROCPRIM_400000_NS6detail17trampoline_kernelINS0_14default_configENS1_25partition_config_selectorILNS1_17partition_subalgoE1EyNS0_10empty_typeEbEEZZNS1_14partition_implILS5_1ELb0ES3_jN6thrust23THRUST_200600_302600_NS6detail15normal_iteratorINSA_10device_ptrIyEEEEPS6_NSA_18transform_iteratorI7is_evenIyESF_NSA_11use_defaultESK_EENS0_5tupleIJSF_SF_EEENSM_IJSG_SG_EEES6_PlJS6_EEE10hipError_tPvRmT3_T4_T5_T6_T7_T9_mT8_P12ihipStream_tbDpT10_ENKUlT_T0_E_clISt17integral_constantIbLb1EES19_EEDaS14_S15_EUlS14_E_NS1_11comp_targetILNS1_3genE3ELNS1_11target_archE908ELNS1_3gpuE7ELNS1_3repE0EEENS1_30default_config_static_selectorELNS0_4arch9wavefront6targetE1EEEvT1_
; %bb.0:
	.section	.rodata,"a",@progbits
	.p2align	6, 0x0
	.amdhsa_kernel _ZN7rocprim17ROCPRIM_400000_NS6detail17trampoline_kernelINS0_14default_configENS1_25partition_config_selectorILNS1_17partition_subalgoE1EyNS0_10empty_typeEbEEZZNS1_14partition_implILS5_1ELb0ES3_jN6thrust23THRUST_200600_302600_NS6detail15normal_iteratorINSA_10device_ptrIyEEEEPS6_NSA_18transform_iteratorI7is_evenIyESF_NSA_11use_defaultESK_EENS0_5tupleIJSF_SF_EEENSM_IJSG_SG_EEES6_PlJS6_EEE10hipError_tPvRmT3_T4_T5_T6_T7_T9_mT8_P12ihipStream_tbDpT10_ENKUlT_T0_E_clISt17integral_constantIbLb1EES19_EEDaS14_S15_EUlS14_E_NS1_11comp_targetILNS1_3genE3ELNS1_11target_archE908ELNS1_3gpuE7ELNS1_3repE0EEENS1_30default_config_static_selectorELNS0_4arch9wavefront6targetE1EEEvT1_
		.amdhsa_group_segment_fixed_size 0
		.amdhsa_private_segment_fixed_size 0
		.amdhsa_kernarg_size 144
		.amdhsa_user_sgpr_count 6
		.amdhsa_user_sgpr_private_segment_buffer 1
		.amdhsa_user_sgpr_dispatch_ptr 0
		.amdhsa_user_sgpr_queue_ptr 0
		.amdhsa_user_sgpr_kernarg_segment_ptr 1
		.amdhsa_user_sgpr_dispatch_id 0
		.amdhsa_user_sgpr_flat_scratch_init 0
		.amdhsa_user_sgpr_kernarg_preload_length 0
		.amdhsa_user_sgpr_kernarg_preload_offset 0
		.amdhsa_user_sgpr_private_segment_size 0
		.amdhsa_uses_dynamic_stack 0
		.amdhsa_system_sgpr_private_segment_wavefront_offset 0
		.amdhsa_system_sgpr_workgroup_id_x 1
		.amdhsa_system_sgpr_workgroup_id_y 0
		.amdhsa_system_sgpr_workgroup_id_z 0
		.amdhsa_system_sgpr_workgroup_info 0
		.amdhsa_system_vgpr_workitem_id 0
		.amdhsa_next_free_vgpr 1
		.amdhsa_next_free_sgpr 0
		.amdhsa_accum_offset 4
		.amdhsa_reserve_vcc 0
		.amdhsa_reserve_flat_scratch 0
		.amdhsa_float_round_mode_32 0
		.amdhsa_float_round_mode_16_64 0
		.amdhsa_float_denorm_mode_32 3
		.amdhsa_float_denorm_mode_16_64 3
		.amdhsa_dx10_clamp 1
		.amdhsa_ieee_mode 1
		.amdhsa_fp16_overflow 0
		.amdhsa_tg_split 0
		.amdhsa_exception_fp_ieee_invalid_op 0
		.amdhsa_exception_fp_denorm_src 0
		.amdhsa_exception_fp_ieee_div_zero 0
		.amdhsa_exception_fp_ieee_overflow 0
		.amdhsa_exception_fp_ieee_underflow 0
		.amdhsa_exception_fp_ieee_inexact 0
		.amdhsa_exception_int_div_zero 0
	.end_amdhsa_kernel
	.section	.text._ZN7rocprim17ROCPRIM_400000_NS6detail17trampoline_kernelINS0_14default_configENS1_25partition_config_selectorILNS1_17partition_subalgoE1EyNS0_10empty_typeEbEEZZNS1_14partition_implILS5_1ELb0ES3_jN6thrust23THRUST_200600_302600_NS6detail15normal_iteratorINSA_10device_ptrIyEEEEPS6_NSA_18transform_iteratorI7is_evenIyESF_NSA_11use_defaultESK_EENS0_5tupleIJSF_SF_EEENSM_IJSG_SG_EEES6_PlJS6_EEE10hipError_tPvRmT3_T4_T5_T6_T7_T9_mT8_P12ihipStream_tbDpT10_ENKUlT_T0_E_clISt17integral_constantIbLb1EES19_EEDaS14_S15_EUlS14_E_NS1_11comp_targetILNS1_3genE3ELNS1_11target_archE908ELNS1_3gpuE7ELNS1_3repE0EEENS1_30default_config_static_selectorELNS0_4arch9wavefront6targetE1EEEvT1_,"axG",@progbits,_ZN7rocprim17ROCPRIM_400000_NS6detail17trampoline_kernelINS0_14default_configENS1_25partition_config_selectorILNS1_17partition_subalgoE1EyNS0_10empty_typeEbEEZZNS1_14partition_implILS5_1ELb0ES3_jN6thrust23THRUST_200600_302600_NS6detail15normal_iteratorINSA_10device_ptrIyEEEEPS6_NSA_18transform_iteratorI7is_evenIyESF_NSA_11use_defaultESK_EENS0_5tupleIJSF_SF_EEENSM_IJSG_SG_EEES6_PlJS6_EEE10hipError_tPvRmT3_T4_T5_T6_T7_T9_mT8_P12ihipStream_tbDpT10_ENKUlT_T0_E_clISt17integral_constantIbLb1EES19_EEDaS14_S15_EUlS14_E_NS1_11comp_targetILNS1_3genE3ELNS1_11target_archE908ELNS1_3gpuE7ELNS1_3repE0EEENS1_30default_config_static_selectorELNS0_4arch9wavefront6targetE1EEEvT1_,comdat
.Lfunc_end2214:
	.size	_ZN7rocprim17ROCPRIM_400000_NS6detail17trampoline_kernelINS0_14default_configENS1_25partition_config_selectorILNS1_17partition_subalgoE1EyNS0_10empty_typeEbEEZZNS1_14partition_implILS5_1ELb0ES3_jN6thrust23THRUST_200600_302600_NS6detail15normal_iteratorINSA_10device_ptrIyEEEEPS6_NSA_18transform_iteratorI7is_evenIyESF_NSA_11use_defaultESK_EENS0_5tupleIJSF_SF_EEENSM_IJSG_SG_EEES6_PlJS6_EEE10hipError_tPvRmT3_T4_T5_T6_T7_T9_mT8_P12ihipStream_tbDpT10_ENKUlT_T0_E_clISt17integral_constantIbLb1EES19_EEDaS14_S15_EUlS14_E_NS1_11comp_targetILNS1_3genE3ELNS1_11target_archE908ELNS1_3gpuE7ELNS1_3repE0EEENS1_30default_config_static_selectorELNS0_4arch9wavefront6targetE1EEEvT1_, .Lfunc_end2214-_ZN7rocprim17ROCPRIM_400000_NS6detail17trampoline_kernelINS0_14default_configENS1_25partition_config_selectorILNS1_17partition_subalgoE1EyNS0_10empty_typeEbEEZZNS1_14partition_implILS5_1ELb0ES3_jN6thrust23THRUST_200600_302600_NS6detail15normal_iteratorINSA_10device_ptrIyEEEEPS6_NSA_18transform_iteratorI7is_evenIyESF_NSA_11use_defaultESK_EENS0_5tupleIJSF_SF_EEENSM_IJSG_SG_EEES6_PlJS6_EEE10hipError_tPvRmT3_T4_T5_T6_T7_T9_mT8_P12ihipStream_tbDpT10_ENKUlT_T0_E_clISt17integral_constantIbLb1EES19_EEDaS14_S15_EUlS14_E_NS1_11comp_targetILNS1_3genE3ELNS1_11target_archE908ELNS1_3gpuE7ELNS1_3repE0EEENS1_30default_config_static_selectorELNS0_4arch9wavefront6targetE1EEEvT1_
                                        ; -- End function
	.section	.AMDGPU.csdata,"",@progbits
; Kernel info:
; codeLenInByte = 0
; NumSgprs: 4
; NumVgprs: 0
; NumAgprs: 0
; TotalNumVgprs: 0
; ScratchSize: 0
; MemoryBound: 0
; FloatMode: 240
; IeeeMode: 1
; LDSByteSize: 0 bytes/workgroup (compile time only)
; SGPRBlocks: 0
; VGPRBlocks: 0
; NumSGPRsForWavesPerEU: 4
; NumVGPRsForWavesPerEU: 1
; AccumOffset: 4
; Occupancy: 8
; WaveLimiterHint : 0
; COMPUTE_PGM_RSRC2:SCRATCH_EN: 0
; COMPUTE_PGM_RSRC2:USER_SGPR: 6
; COMPUTE_PGM_RSRC2:TRAP_HANDLER: 0
; COMPUTE_PGM_RSRC2:TGID_X_EN: 1
; COMPUTE_PGM_RSRC2:TGID_Y_EN: 0
; COMPUTE_PGM_RSRC2:TGID_Z_EN: 0
; COMPUTE_PGM_RSRC2:TIDIG_COMP_CNT: 0
; COMPUTE_PGM_RSRC3_GFX90A:ACCUM_OFFSET: 0
; COMPUTE_PGM_RSRC3_GFX90A:TG_SPLIT: 0
	.section	.text._ZN7rocprim17ROCPRIM_400000_NS6detail17trampoline_kernelINS0_14default_configENS1_25partition_config_selectorILNS1_17partition_subalgoE1EyNS0_10empty_typeEbEEZZNS1_14partition_implILS5_1ELb0ES3_jN6thrust23THRUST_200600_302600_NS6detail15normal_iteratorINSA_10device_ptrIyEEEEPS6_NSA_18transform_iteratorI7is_evenIyESF_NSA_11use_defaultESK_EENS0_5tupleIJSF_SF_EEENSM_IJSG_SG_EEES6_PlJS6_EEE10hipError_tPvRmT3_T4_T5_T6_T7_T9_mT8_P12ihipStream_tbDpT10_ENKUlT_T0_E_clISt17integral_constantIbLb1EES19_EEDaS14_S15_EUlS14_E_NS1_11comp_targetILNS1_3genE2ELNS1_11target_archE906ELNS1_3gpuE6ELNS1_3repE0EEENS1_30default_config_static_selectorELNS0_4arch9wavefront6targetE1EEEvT1_,"axG",@progbits,_ZN7rocprim17ROCPRIM_400000_NS6detail17trampoline_kernelINS0_14default_configENS1_25partition_config_selectorILNS1_17partition_subalgoE1EyNS0_10empty_typeEbEEZZNS1_14partition_implILS5_1ELb0ES3_jN6thrust23THRUST_200600_302600_NS6detail15normal_iteratorINSA_10device_ptrIyEEEEPS6_NSA_18transform_iteratorI7is_evenIyESF_NSA_11use_defaultESK_EENS0_5tupleIJSF_SF_EEENSM_IJSG_SG_EEES6_PlJS6_EEE10hipError_tPvRmT3_T4_T5_T6_T7_T9_mT8_P12ihipStream_tbDpT10_ENKUlT_T0_E_clISt17integral_constantIbLb1EES19_EEDaS14_S15_EUlS14_E_NS1_11comp_targetILNS1_3genE2ELNS1_11target_archE906ELNS1_3gpuE6ELNS1_3repE0EEENS1_30default_config_static_selectorELNS0_4arch9wavefront6targetE1EEEvT1_,comdat
	.protected	_ZN7rocprim17ROCPRIM_400000_NS6detail17trampoline_kernelINS0_14default_configENS1_25partition_config_selectorILNS1_17partition_subalgoE1EyNS0_10empty_typeEbEEZZNS1_14partition_implILS5_1ELb0ES3_jN6thrust23THRUST_200600_302600_NS6detail15normal_iteratorINSA_10device_ptrIyEEEEPS6_NSA_18transform_iteratorI7is_evenIyESF_NSA_11use_defaultESK_EENS0_5tupleIJSF_SF_EEENSM_IJSG_SG_EEES6_PlJS6_EEE10hipError_tPvRmT3_T4_T5_T6_T7_T9_mT8_P12ihipStream_tbDpT10_ENKUlT_T0_E_clISt17integral_constantIbLb1EES19_EEDaS14_S15_EUlS14_E_NS1_11comp_targetILNS1_3genE2ELNS1_11target_archE906ELNS1_3gpuE6ELNS1_3repE0EEENS1_30default_config_static_selectorELNS0_4arch9wavefront6targetE1EEEvT1_ ; -- Begin function _ZN7rocprim17ROCPRIM_400000_NS6detail17trampoline_kernelINS0_14default_configENS1_25partition_config_selectorILNS1_17partition_subalgoE1EyNS0_10empty_typeEbEEZZNS1_14partition_implILS5_1ELb0ES3_jN6thrust23THRUST_200600_302600_NS6detail15normal_iteratorINSA_10device_ptrIyEEEEPS6_NSA_18transform_iteratorI7is_evenIyESF_NSA_11use_defaultESK_EENS0_5tupleIJSF_SF_EEENSM_IJSG_SG_EEES6_PlJS6_EEE10hipError_tPvRmT3_T4_T5_T6_T7_T9_mT8_P12ihipStream_tbDpT10_ENKUlT_T0_E_clISt17integral_constantIbLb1EES19_EEDaS14_S15_EUlS14_E_NS1_11comp_targetILNS1_3genE2ELNS1_11target_archE906ELNS1_3gpuE6ELNS1_3repE0EEENS1_30default_config_static_selectorELNS0_4arch9wavefront6targetE1EEEvT1_
	.globl	_ZN7rocprim17ROCPRIM_400000_NS6detail17trampoline_kernelINS0_14default_configENS1_25partition_config_selectorILNS1_17partition_subalgoE1EyNS0_10empty_typeEbEEZZNS1_14partition_implILS5_1ELb0ES3_jN6thrust23THRUST_200600_302600_NS6detail15normal_iteratorINSA_10device_ptrIyEEEEPS6_NSA_18transform_iteratorI7is_evenIyESF_NSA_11use_defaultESK_EENS0_5tupleIJSF_SF_EEENSM_IJSG_SG_EEES6_PlJS6_EEE10hipError_tPvRmT3_T4_T5_T6_T7_T9_mT8_P12ihipStream_tbDpT10_ENKUlT_T0_E_clISt17integral_constantIbLb1EES19_EEDaS14_S15_EUlS14_E_NS1_11comp_targetILNS1_3genE2ELNS1_11target_archE906ELNS1_3gpuE6ELNS1_3repE0EEENS1_30default_config_static_selectorELNS0_4arch9wavefront6targetE1EEEvT1_
	.p2align	8
	.type	_ZN7rocprim17ROCPRIM_400000_NS6detail17trampoline_kernelINS0_14default_configENS1_25partition_config_selectorILNS1_17partition_subalgoE1EyNS0_10empty_typeEbEEZZNS1_14partition_implILS5_1ELb0ES3_jN6thrust23THRUST_200600_302600_NS6detail15normal_iteratorINSA_10device_ptrIyEEEEPS6_NSA_18transform_iteratorI7is_evenIyESF_NSA_11use_defaultESK_EENS0_5tupleIJSF_SF_EEENSM_IJSG_SG_EEES6_PlJS6_EEE10hipError_tPvRmT3_T4_T5_T6_T7_T9_mT8_P12ihipStream_tbDpT10_ENKUlT_T0_E_clISt17integral_constantIbLb1EES19_EEDaS14_S15_EUlS14_E_NS1_11comp_targetILNS1_3genE2ELNS1_11target_archE906ELNS1_3gpuE6ELNS1_3repE0EEENS1_30default_config_static_selectorELNS0_4arch9wavefront6targetE1EEEvT1_,@function
_ZN7rocprim17ROCPRIM_400000_NS6detail17trampoline_kernelINS0_14default_configENS1_25partition_config_selectorILNS1_17partition_subalgoE1EyNS0_10empty_typeEbEEZZNS1_14partition_implILS5_1ELb0ES3_jN6thrust23THRUST_200600_302600_NS6detail15normal_iteratorINSA_10device_ptrIyEEEEPS6_NSA_18transform_iteratorI7is_evenIyESF_NSA_11use_defaultESK_EENS0_5tupleIJSF_SF_EEENSM_IJSG_SG_EEES6_PlJS6_EEE10hipError_tPvRmT3_T4_T5_T6_T7_T9_mT8_P12ihipStream_tbDpT10_ENKUlT_T0_E_clISt17integral_constantIbLb1EES19_EEDaS14_S15_EUlS14_E_NS1_11comp_targetILNS1_3genE2ELNS1_11target_archE906ELNS1_3gpuE6ELNS1_3repE0EEENS1_30default_config_static_selectorELNS0_4arch9wavefront6targetE1EEEvT1_: ; @_ZN7rocprim17ROCPRIM_400000_NS6detail17trampoline_kernelINS0_14default_configENS1_25partition_config_selectorILNS1_17partition_subalgoE1EyNS0_10empty_typeEbEEZZNS1_14partition_implILS5_1ELb0ES3_jN6thrust23THRUST_200600_302600_NS6detail15normal_iteratorINSA_10device_ptrIyEEEEPS6_NSA_18transform_iteratorI7is_evenIyESF_NSA_11use_defaultESK_EENS0_5tupleIJSF_SF_EEENSM_IJSG_SG_EEES6_PlJS6_EEE10hipError_tPvRmT3_T4_T5_T6_T7_T9_mT8_P12ihipStream_tbDpT10_ENKUlT_T0_E_clISt17integral_constantIbLb1EES19_EEDaS14_S15_EUlS14_E_NS1_11comp_targetILNS1_3genE2ELNS1_11target_archE906ELNS1_3gpuE6ELNS1_3repE0EEENS1_30default_config_static_selectorELNS0_4arch9wavefront6targetE1EEEvT1_
; %bb.0:
	.section	.rodata,"a",@progbits
	.p2align	6, 0x0
	.amdhsa_kernel _ZN7rocprim17ROCPRIM_400000_NS6detail17trampoline_kernelINS0_14default_configENS1_25partition_config_selectorILNS1_17partition_subalgoE1EyNS0_10empty_typeEbEEZZNS1_14partition_implILS5_1ELb0ES3_jN6thrust23THRUST_200600_302600_NS6detail15normal_iteratorINSA_10device_ptrIyEEEEPS6_NSA_18transform_iteratorI7is_evenIyESF_NSA_11use_defaultESK_EENS0_5tupleIJSF_SF_EEENSM_IJSG_SG_EEES6_PlJS6_EEE10hipError_tPvRmT3_T4_T5_T6_T7_T9_mT8_P12ihipStream_tbDpT10_ENKUlT_T0_E_clISt17integral_constantIbLb1EES19_EEDaS14_S15_EUlS14_E_NS1_11comp_targetILNS1_3genE2ELNS1_11target_archE906ELNS1_3gpuE6ELNS1_3repE0EEENS1_30default_config_static_selectorELNS0_4arch9wavefront6targetE1EEEvT1_
		.amdhsa_group_segment_fixed_size 0
		.amdhsa_private_segment_fixed_size 0
		.amdhsa_kernarg_size 144
		.amdhsa_user_sgpr_count 6
		.amdhsa_user_sgpr_private_segment_buffer 1
		.amdhsa_user_sgpr_dispatch_ptr 0
		.amdhsa_user_sgpr_queue_ptr 0
		.amdhsa_user_sgpr_kernarg_segment_ptr 1
		.amdhsa_user_sgpr_dispatch_id 0
		.amdhsa_user_sgpr_flat_scratch_init 0
		.amdhsa_user_sgpr_kernarg_preload_length 0
		.amdhsa_user_sgpr_kernarg_preload_offset 0
		.amdhsa_user_sgpr_private_segment_size 0
		.amdhsa_uses_dynamic_stack 0
		.amdhsa_system_sgpr_private_segment_wavefront_offset 0
		.amdhsa_system_sgpr_workgroup_id_x 1
		.amdhsa_system_sgpr_workgroup_id_y 0
		.amdhsa_system_sgpr_workgroup_id_z 0
		.amdhsa_system_sgpr_workgroup_info 0
		.amdhsa_system_vgpr_workitem_id 0
		.amdhsa_next_free_vgpr 1
		.amdhsa_next_free_sgpr 0
		.amdhsa_accum_offset 4
		.amdhsa_reserve_vcc 0
		.amdhsa_reserve_flat_scratch 0
		.amdhsa_float_round_mode_32 0
		.amdhsa_float_round_mode_16_64 0
		.amdhsa_float_denorm_mode_32 3
		.amdhsa_float_denorm_mode_16_64 3
		.amdhsa_dx10_clamp 1
		.amdhsa_ieee_mode 1
		.amdhsa_fp16_overflow 0
		.amdhsa_tg_split 0
		.amdhsa_exception_fp_ieee_invalid_op 0
		.amdhsa_exception_fp_denorm_src 0
		.amdhsa_exception_fp_ieee_div_zero 0
		.amdhsa_exception_fp_ieee_overflow 0
		.amdhsa_exception_fp_ieee_underflow 0
		.amdhsa_exception_fp_ieee_inexact 0
		.amdhsa_exception_int_div_zero 0
	.end_amdhsa_kernel
	.section	.text._ZN7rocprim17ROCPRIM_400000_NS6detail17trampoline_kernelINS0_14default_configENS1_25partition_config_selectorILNS1_17partition_subalgoE1EyNS0_10empty_typeEbEEZZNS1_14partition_implILS5_1ELb0ES3_jN6thrust23THRUST_200600_302600_NS6detail15normal_iteratorINSA_10device_ptrIyEEEEPS6_NSA_18transform_iteratorI7is_evenIyESF_NSA_11use_defaultESK_EENS0_5tupleIJSF_SF_EEENSM_IJSG_SG_EEES6_PlJS6_EEE10hipError_tPvRmT3_T4_T5_T6_T7_T9_mT8_P12ihipStream_tbDpT10_ENKUlT_T0_E_clISt17integral_constantIbLb1EES19_EEDaS14_S15_EUlS14_E_NS1_11comp_targetILNS1_3genE2ELNS1_11target_archE906ELNS1_3gpuE6ELNS1_3repE0EEENS1_30default_config_static_selectorELNS0_4arch9wavefront6targetE1EEEvT1_,"axG",@progbits,_ZN7rocprim17ROCPRIM_400000_NS6detail17trampoline_kernelINS0_14default_configENS1_25partition_config_selectorILNS1_17partition_subalgoE1EyNS0_10empty_typeEbEEZZNS1_14partition_implILS5_1ELb0ES3_jN6thrust23THRUST_200600_302600_NS6detail15normal_iteratorINSA_10device_ptrIyEEEEPS6_NSA_18transform_iteratorI7is_evenIyESF_NSA_11use_defaultESK_EENS0_5tupleIJSF_SF_EEENSM_IJSG_SG_EEES6_PlJS6_EEE10hipError_tPvRmT3_T4_T5_T6_T7_T9_mT8_P12ihipStream_tbDpT10_ENKUlT_T0_E_clISt17integral_constantIbLb1EES19_EEDaS14_S15_EUlS14_E_NS1_11comp_targetILNS1_3genE2ELNS1_11target_archE906ELNS1_3gpuE6ELNS1_3repE0EEENS1_30default_config_static_selectorELNS0_4arch9wavefront6targetE1EEEvT1_,comdat
.Lfunc_end2215:
	.size	_ZN7rocprim17ROCPRIM_400000_NS6detail17trampoline_kernelINS0_14default_configENS1_25partition_config_selectorILNS1_17partition_subalgoE1EyNS0_10empty_typeEbEEZZNS1_14partition_implILS5_1ELb0ES3_jN6thrust23THRUST_200600_302600_NS6detail15normal_iteratorINSA_10device_ptrIyEEEEPS6_NSA_18transform_iteratorI7is_evenIyESF_NSA_11use_defaultESK_EENS0_5tupleIJSF_SF_EEENSM_IJSG_SG_EEES6_PlJS6_EEE10hipError_tPvRmT3_T4_T5_T6_T7_T9_mT8_P12ihipStream_tbDpT10_ENKUlT_T0_E_clISt17integral_constantIbLb1EES19_EEDaS14_S15_EUlS14_E_NS1_11comp_targetILNS1_3genE2ELNS1_11target_archE906ELNS1_3gpuE6ELNS1_3repE0EEENS1_30default_config_static_selectorELNS0_4arch9wavefront6targetE1EEEvT1_, .Lfunc_end2215-_ZN7rocprim17ROCPRIM_400000_NS6detail17trampoline_kernelINS0_14default_configENS1_25partition_config_selectorILNS1_17partition_subalgoE1EyNS0_10empty_typeEbEEZZNS1_14partition_implILS5_1ELb0ES3_jN6thrust23THRUST_200600_302600_NS6detail15normal_iteratorINSA_10device_ptrIyEEEEPS6_NSA_18transform_iteratorI7is_evenIyESF_NSA_11use_defaultESK_EENS0_5tupleIJSF_SF_EEENSM_IJSG_SG_EEES6_PlJS6_EEE10hipError_tPvRmT3_T4_T5_T6_T7_T9_mT8_P12ihipStream_tbDpT10_ENKUlT_T0_E_clISt17integral_constantIbLb1EES19_EEDaS14_S15_EUlS14_E_NS1_11comp_targetILNS1_3genE2ELNS1_11target_archE906ELNS1_3gpuE6ELNS1_3repE0EEENS1_30default_config_static_selectorELNS0_4arch9wavefront6targetE1EEEvT1_
                                        ; -- End function
	.section	.AMDGPU.csdata,"",@progbits
; Kernel info:
; codeLenInByte = 0
; NumSgprs: 4
; NumVgprs: 0
; NumAgprs: 0
; TotalNumVgprs: 0
; ScratchSize: 0
; MemoryBound: 0
; FloatMode: 240
; IeeeMode: 1
; LDSByteSize: 0 bytes/workgroup (compile time only)
; SGPRBlocks: 0
; VGPRBlocks: 0
; NumSGPRsForWavesPerEU: 4
; NumVGPRsForWavesPerEU: 1
; AccumOffset: 4
; Occupancy: 8
; WaveLimiterHint : 0
; COMPUTE_PGM_RSRC2:SCRATCH_EN: 0
; COMPUTE_PGM_RSRC2:USER_SGPR: 6
; COMPUTE_PGM_RSRC2:TRAP_HANDLER: 0
; COMPUTE_PGM_RSRC2:TGID_X_EN: 1
; COMPUTE_PGM_RSRC2:TGID_Y_EN: 0
; COMPUTE_PGM_RSRC2:TGID_Z_EN: 0
; COMPUTE_PGM_RSRC2:TIDIG_COMP_CNT: 0
; COMPUTE_PGM_RSRC3_GFX90A:ACCUM_OFFSET: 0
; COMPUTE_PGM_RSRC3_GFX90A:TG_SPLIT: 0
	.section	.text._ZN7rocprim17ROCPRIM_400000_NS6detail17trampoline_kernelINS0_14default_configENS1_25partition_config_selectorILNS1_17partition_subalgoE1EyNS0_10empty_typeEbEEZZNS1_14partition_implILS5_1ELb0ES3_jN6thrust23THRUST_200600_302600_NS6detail15normal_iteratorINSA_10device_ptrIyEEEEPS6_NSA_18transform_iteratorI7is_evenIyESF_NSA_11use_defaultESK_EENS0_5tupleIJSF_SF_EEENSM_IJSG_SG_EEES6_PlJS6_EEE10hipError_tPvRmT3_T4_T5_T6_T7_T9_mT8_P12ihipStream_tbDpT10_ENKUlT_T0_E_clISt17integral_constantIbLb1EES19_EEDaS14_S15_EUlS14_E_NS1_11comp_targetILNS1_3genE10ELNS1_11target_archE1200ELNS1_3gpuE4ELNS1_3repE0EEENS1_30default_config_static_selectorELNS0_4arch9wavefront6targetE1EEEvT1_,"axG",@progbits,_ZN7rocprim17ROCPRIM_400000_NS6detail17trampoline_kernelINS0_14default_configENS1_25partition_config_selectorILNS1_17partition_subalgoE1EyNS0_10empty_typeEbEEZZNS1_14partition_implILS5_1ELb0ES3_jN6thrust23THRUST_200600_302600_NS6detail15normal_iteratorINSA_10device_ptrIyEEEEPS6_NSA_18transform_iteratorI7is_evenIyESF_NSA_11use_defaultESK_EENS0_5tupleIJSF_SF_EEENSM_IJSG_SG_EEES6_PlJS6_EEE10hipError_tPvRmT3_T4_T5_T6_T7_T9_mT8_P12ihipStream_tbDpT10_ENKUlT_T0_E_clISt17integral_constantIbLb1EES19_EEDaS14_S15_EUlS14_E_NS1_11comp_targetILNS1_3genE10ELNS1_11target_archE1200ELNS1_3gpuE4ELNS1_3repE0EEENS1_30default_config_static_selectorELNS0_4arch9wavefront6targetE1EEEvT1_,comdat
	.protected	_ZN7rocprim17ROCPRIM_400000_NS6detail17trampoline_kernelINS0_14default_configENS1_25partition_config_selectorILNS1_17partition_subalgoE1EyNS0_10empty_typeEbEEZZNS1_14partition_implILS5_1ELb0ES3_jN6thrust23THRUST_200600_302600_NS6detail15normal_iteratorINSA_10device_ptrIyEEEEPS6_NSA_18transform_iteratorI7is_evenIyESF_NSA_11use_defaultESK_EENS0_5tupleIJSF_SF_EEENSM_IJSG_SG_EEES6_PlJS6_EEE10hipError_tPvRmT3_T4_T5_T6_T7_T9_mT8_P12ihipStream_tbDpT10_ENKUlT_T0_E_clISt17integral_constantIbLb1EES19_EEDaS14_S15_EUlS14_E_NS1_11comp_targetILNS1_3genE10ELNS1_11target_archE1200ELNS1_3gpuE4ELNS1_3repE0EEENS1_30default_config_static_selectorELNS0_4arch9wavefront6targetE1EEEvT1_ ; -- Begin function _ZN7rocprim17ROCPRIM_400000_NS6detail17trampoline_kernelINS0_14default_configENS1_25partition_config_selectorILNS1_17partition_subalgoE1EyNS0_10empty_typeEbEEZZNS1_14partition_implILS5_1ELb0ES3_jN6thrust23THRUST_200600_302600_NS6detail15normal_iteratorINSA_10device_ptrIyEEEEPS6_NSA_18transform_iteratorI7is_evenIyESF_NSA_11use_defaultESK_EENS0_5tupleIJSF_SF_EEENSM_IJSG_SG_EEES6_PlJS6_EEE10hipError_tPvRmT3_T4_T5_T6_T7_T9_mT8_P12ihipStream_tbDpT10_ENKUlT_T0_E_clISt17integral_constantIbLb1EES19_EEDaS14_S15_EUlS14_E_NS1_11comp_targetILNS1_3genE10ELNS1_11target_archE1200ELNS1_3gpuE4ELNS1_3repE0EEENS1_30default_config_static_selectorELNS0_4arch9wavefront6targetE1EEEvT1_
	.globl	_ZN7rocprim17ROCPRIM_400000_NS6detail17trampoline_kernelINS0_14default_configENS1_25partition_config_selectorILNS1_17partition_subalgoE1EyNS0_10empty_typeEbEEZZNS1_14partition_implILS5_1ELb0ES3_jN6thrust23THRUST_200600_302600_NS6detail15normal_iteratorINSA_10device_ptrIyEEEEPS6_NSA_18transform_iteratorI7is_evenIyESF_NSA_11use_defaultESK_EENS0_5tupleIJSF_SF_EEENSM_IJSG_SG_EEES6_PlJS6_EEE10hipError_tPvRmT3_T4_T5_T6_T7_T9_mT8_P12ihipStream_tbDpT10_ENKUlT_T0_E_clISt17integral_constantIbLb1EES19_EEDaS14_S15_EUlS14_E_NS1_11comp_targetILNS1_3genE10ELNS1_11target_archE1200ELNS1_3gpuE4ELNS1_3repE0EEENS1_30default_config_static_selectorELNS0_4arch9wavefront6targetE1EEEvT1_
	.p2align	8
	.type	_ZN7rocprim17ROCPRIM_400000_NS6detail17trampoline_kernelINS0_14default_configENS1_25partition_config_selectorILNS1_17partition_subalgoE1EyNS0_10empty_typeEbEEZZNS1_14partition_implILS5_1ELb0ES3_jN6thrust23THRUST_200600_302600_NS6detail15normal_iteratorINSA_10device_ptrIyEEEEPS6_NSA_18transform_iteratorI7is_evenIyESF_NSA_11use_defaultESK_EENS0_5tupleIJSF_SF_EEENSM_IJSG_SG_EEES6_PlJS6_EEE10hipError_tPvRmT3_T4_T5_T6_T7_T9_mT8_P12ihipStream_tbDpT10_ENKUlT_T0_E_clISt17integral_constantIbLb1EES19_EEDaS14_S15_EUlS14_E_NS1_11comp_targetILNS1_3genE10ELNS1_11target_archE1200ELNS1_3gpuE4ELNS1_3repE0EEENS1_30default_config_static_selectorELNS0_4arch9wavefront6targetE1EEEvT1_,@function
_ZN7rocprim17ROCPRIM_400000_NS6detail17trampoline_kernelINS0_14default_configENS1_25partition_config_selectorILNS1_17partition_subalgoE1EyNS0_10empty_typeEbEEZZNS1_14partition_implILS5_1ELb0ES3_jN6thrust23THRUST_200600_302600_NS6detail15normal_iteratorINSA_10device_ptrIyEEEEPS6_NSA_18transform_iteratorI7is_evenIyESF_NSA_11use_defaultESK_EENS0_5tupleIJSF_SF_EEENSM_IJSG_SG_EEES6_PlJS6_EEE10hipError_tPvRmT3_T4_T5_T6_T7_T9_mT8_P12ihipStream_tbDpT10_ENKUlT_T0_E_clISt17integral_constantIbLb1EES19_EEDaS14_S15_EUlS14_E_NS1_11comp_targetILNS1_3genE10ELNS1_11target_archE1200ELNS1_3gpuE4ELNS1_3repE0EEENS1_30default_config_static_selectorELNS0_4arch9wavefront6targetE1EEEvT1_: ; @_ZN7rocprim17ROCPRIM_400000_NS6detail17trampoline_kernelINS0_14default_configENS1_25partition_config_selectorILNS1_17partition_subalgoE1EyNS0_10empty_typeEbEEZZNS1_14partition_implILS5_1ELb0ES3_jN6thrust23THRUST_200600_302600_NS6detail15normal_iteratorINSA_10device_ptrIyEEEEPS6_NSA_18transform_iteratorI7is_evenIyESF_NSA_11use_defaultESK_EENS0_5tupleIJSF_SF_EEENSM_IJSG_SG_EEES6_PlJS6_EEE10hipError_tPvRmT3_T4_T5_T6_T7_T9_mT8_P12ihipStream_tbDpT10_ENKUlT_T0_E_clISt17integral_constantIbLb1EES19_EEDaS14_S15_EUlS14_E_NS1_11comp_targetILNS1_3genE10ELNS1_11target_archE1200ELNS1_3gpuE4ELNS1_3repE0EEENS1_30default_config_static_selectorELNS0_4arch9wavefront6targetE1EEEvT1_
; %bb.0:
	.section	.rodata,"a",@progbits
	.p2align	6, 0x0
	.amdhsa_kernel _ZN7rocprim17ROCPRIM_400000_NS6detail17trampoline_kernelINS0_14default_configENS1_25partition_config_selectorILNS1_17partition_subalgoE1EyNS0_10empty_typeEbEEZZNS1_14partition_implILS5_1ELb0ES3_jN6thrust23THRUST_200600_302600_NS6detail15normal_iteratorINSA_10device_ptrIyEEEEPS6_NSA_18transform_iteratorI7is_evenIyESF_NSA_11use_defaultESK_EENS0_5tupleIJSF_SF_EEENSM_IJSG_SG_EEES6_PlJS6_EEE10hipError_tPvRmT3_T4_T5_T6_T7_T9_mT8_P12ihipStream_tbDpT10_ENKUlT_T0_E_clISt17integral_constantIbLb1EES19_EEDaS14_S15_EUlS14_E_NS1_11comp_targetILNS1_3genE10ELNS1_11target_archE1200ELNS1_3gpuE4ELNS1_3repE0EEENS1_30default_config_static_selectorELNS0_4arch9wavefront6targetE1EEEvT1_
		.amdhsa_group_segment_fixed_size 0
		.amdhsa_private_segment_fixed_size 0
		.amdhsa_kernarg_size 144
		.amdhsa_user_sgpr_count 6
		.amdhsa_user_sgpr_private_segment_buffer 1
		.amdhsa_user_sgpr_dispatch_ptr 0
		.amdhsa_user_sgpr_queue_ptr 0
		.amdhsa_user_sgpr_kernarg_segment_ptr 1
		.amdhsa_user_sgpr_dispatch_id 0
		.amdhsa_user_sgpr_flat_scratch_init 0
		.amdhsa_user_sgpr_kernarg_preload_length 0
		.amdhsa_user_sgpr_kernarg_preload_offset 0
		.amdhsa_user_sgpr_private_segment_size 0
		.amdhsa_uses_dynamic_stack 0
		.amdhsa_system_sgpr_private_segment_wavefront_offset 0
		.amdhsa_system_sgpr_workgroup_id_x 1
		.amdhsa_system_sgpr_workgroup_id_y 0
		.amdhsa_system_sgpr_workgroup_id_z 0
		.amdhsa_system_sgpr_workgroup_info 0
		.amdhsa_system_vgpr_workitem_id 0
		.amdhsa_next_free_vgpr 1
		.amdhsa_next_free_sgpr 0
		.amdhsa_accum_offset 4
		.amdhsa_reserve_vcc 0
		.amdhsa_reserve_flat_scratch 0
		.amdhsa_float_round_mode_32 0
		.amdhsa_float_round_mode_16_64 0
		.amdhsa_float_denorm_mode_32 3
		.amdhsa_float_denorm_mode_16_64 3
		.amdhsa_dx10_clamp 1
		.amdhsa_ieee_mode 1
		.amdhsa_fp16_overflow 0
		.amdhsa_tg_split 0
		.amdhsa_exception_fp_ieee_invalid_op 0
		.amdhsa_exception_fp_denorm_src 0
		.amdhsa_exception_fp_ieee_div_zero 0
		.amdhsa_exception_fp_ieee_overflow 0
		.amdhsa_exception_fp_ieee_underflow 0
		.amdhsa_exception_fp_ieee_inexact 0
		.amdhsa_exception_int_div_zero 0
	.end_amdhsa_kernel
	.section	.text._ZN7rocprim17ROCPRIM_400000_NS6detail17trampoline_kernelINS0_14default_configENS1_25partition_config_selectorILNS1_17partition_subalgoE1EyNS0_10empty_typeEbEEZZNS1_14partition_implILS5_1ELb0ES3_jN6thrust23THRUST_200600_302600_NS6detail15normal_iteratorINSA_10device_ptrIyEEEEPS6_NSA_18transform_iteratorI7is_evenIyESF_NSA_11use_defaultESK_EENS0_5tupleIJSF_SF_EEENSM_IJSG_SG_EEES6_PlJS6_EEE10hipError_tPvRmT3_T4_T5_T6_T7_T9_mT8_P12ihipStream_tbDpT10_ENKUlT_T0_E_clISt17integral_constantIbLb1EES19_EEDaS14_S15_EUlS14_E_NS1_11comp_targetILNS1_3genE10ELNS1_11target_archE1200ELNS1_3gpuE4ELNS1_3repE0EEENS1_30default_config_static_selectorELNS0_4arch9wavefront6targetE1EEEvT1_,"axG",@progbits,_ZN7rocprim17ROCPRIM_400000_NS6detail17trampoline_kernelINS0_14default_configENS1_25partition_config_selectorILNS1_17partition_subalgoE1EyNS0_10empty_typeEbEEZZNS1_14partition_implILS5_1ELb0ES3_jN6thrust23THRUST_200600_302600_NS6detail15normal_iteratorINSA_10device_ptrIyEEEEPS6_NSA_18transform_iteratorI7is_evenIyESF_NSA_11use_defaultESK_EENS0_5tupleIJSF_SF_EEENSM_IJSG_SG_EEES6_PlJS6_EEE10hipError_tPvRmT3_T4_T5_T6_T7_T9_mT8_P12ihipStream_tbDpT10_ENKUlT_T0_E_clISt17integral_constantIbLb1EES19_EEDaS14_S15_EUlS14_E_NS1_11comp_targetILNS1_3genE10ELNS1_11target_archE1200ELNS1_3gpuE4ELNS1_3repE0EEENS1_30default_config_static_selectorELNS0_4arch9wavefront6targetE1EEEvT1_,comdat
.Lfunc_end2216:
	.size	_ZN7rocprim17ROCPRIM_400000_NS6detail17trampoline_kernelINS0_14default_configENS1_25partition_config_selectorILNS1_17partition_subalgoE1EyNS0_10empty_typeEbEEZZNS1_14partition_implILS5_1ELb0ES3_jN6thrust23THRUST_200600_302600_NS6detail15normal_iteratorINSA_10device_ptrIyEEEEPS6_NSA_18transform_iteratorI7is_evenIyESF_NSA_11use_defaultESK_EENS0_5tupleIJSF_SF_EEENSM_IJSG_SG_EEES6_PlJS6_EEE10hipError_tPvRmT3_T4_T5_T6_T7_T9_mT8_P12ihipStream_tbDpT10_ENKUlT_T0_E_clISt17integral_constantIbLb1EES19_EEDaS14_S15_EUlS14_E_NS1_11comp_targetILNS1_3genE10ELNS1_11target_archE1200ELNS1_3gpuE4ELNS1_3repE0EEENS1_30default_config_static_selectorELNS0_4arch9wavefront6targetE1EEEvT1_, .Lfunc_end2216-_ZN7rocprim17ROCPRIM_400000_NS6detail17trampoline_kernelINS0_14default_configENS1_25partition_config_selectorILNS1_17partition_subalgoE1EyNS0_10empty_typeEbEEZZNS1_14partition_implILS5_1ELb0ES3_jN6thrust23THRUST_200600_302600_NS6detail15normal_iteratorINSA_10device_ptrIyEEEEPS6_NSA_18transform_iteratorI7is_evenIyESF_NSA_11use_defaultESK_EENS0_5tupleIJSF_SF_EEENSM_IJSG_SG_EEES6_PlJS6_EEE10hipError_tPvRmT3_T4_T5_T6_T7_T9_mT8_P12ihipStream_tbDpT10_ENKUlT_T0_E_clISt17integral_constantIbLb1EES19_EEDaS14_S15_EUlS14_E_NS1_11comp_targetILNS1_3genE10ELNS1_11target_archE1200ELNS1_3gpuE4ELNS1_3repE0EEENS1_30default_config_static_selectorELNS0_4arch9wavefront6targetE1EEEvT1_
                                        ; -- End function
	.section	.AMDGPU.csdata,"",@progbits
; Kernel info:
; codeLenInByte = 0
; NumSgprs: 4
; NumVgprs: 0
; NumAgprs: 0
; TotalNumVgprs: 0
; ScratchSize: 0
; MemoryBound: 0
; FloatMode: 240
; IeeeMode: 1
; LDSByteSize: 0 bytes/workgroup (compile time only)
; SGPRBlocks: 0
; VGPRBlocks: 0
; NumSGPRsForWavesPerEU: 4
; NumVGPRsForWavesPerEU: 1
; AccumOffset: 4
; Occupancy: 8
; WaveLimiterHint : 0
; COMPUTE_PGM_RSRC2:SCRATCH_EN: 0
; COMPUTE_PGM_RSRC2:USER_SGPR: 6
; COMPUTE_PGM_RSRC2:TRAP_HANDLER: 0
; COMPUTE_PGM_RSRC2:TGID_X_EN: 1
; COMPUTE_PGM_RSRC2:TGID_Y_EN: 0
; COMPUTE_PGM_RSRC2:TGID_Z_EN: 0
; COMPUTE_PGM_RSRC2:TIDIG_COMP_CNT: 0
; COMPUTE_PGM_RSRC3_GFX90A:ACCUM_OFFSET: 0
; COMPUTE_PGM_RSRC3_GFX90A:TG_SPLIT: 0
	.section	.text._ZN7rocprim17ROCPRIM_400000_NS6detail17trampoline_kernelINS0_14default_configENS1_25partition_config_selectorILNS1_17partition_subalgoE1EyNS0_10empty_typeEbEEZZNS1_14partition_implILS5_1ELb0ES3_jN6thrust23THRUST_200600_302600_NS6detail15normal_iteratorINSA_10device_ptrIyEEEEPS6_NSA_18transform_iteratorI7is_evenIyESF_NSA_11use_defaultESK_EENS0_5tupleIJSF_SF_EEENSM_IJSG_SG_EEES6_PlJS6_EEE10hipError_tPvRmT3_T4_T5_T6_T7_T9_mT8_P12ihipStream_tbDpT10_ENKUlT_T0_E_clISt17integral_constantIbLb1EES19_EEDaS14_S15_EUlS14_E_NS1_11comp_targetILNS1_3genE9ELNS1_11target_archE1100ELNS1_3gpuE3ELNS1_3repE0EEENS1_30default_config_static_selectorELNS0_4arch9wavefront6targetE1EEEvT1_,"axG",@progbits,_ZN7rocprim17ROCPRIM_400000_NS6detail17trampoline_kernelINS0_14default_configENS1_25partition_config_selectorILNS1_17partition_subalgoE1EyNS0_10empty_typeEbEEZZNS1_14partition_implILS5_1ELb0ES3_jN6thrust23THRUST_200600_302600_NS6detail15normal_iteratorINSA_10device_ptrIyEEEEPS6_NSA_18transform_iteratorI7is_evenIyESF_NSA_11use_defaultESK_EENS0_5tupleIJSF_SF_EEENSM_IJSG_SG_EEES6_PlJS6_EEE10hipError_tPvRmT3_T4_T5_T6_T7_T9_mT8_P12ihipStream_tbDpT10_ENKUlT_T0_E_clISt17integral_constantIbLb1EES19_EEDaS14_S15_EUlS14_E_NS1_11comp_targetILNS1_3genE9ELNS1_11target_archE1100ELNS1_3gpuE3ELNS1_3repE0EEENS1_30default_config_static_selectorELNS0_4arch9wavefront6targetE1EEEvT1_,comdat
	.protected	_ZN7rocprim17ROCPRIM_400000_NS6detail17trampoline_kernelINS0_14default_configENS1_25partition_config_selectorILNS1_17partition_subalgoE1EyNS0_10empty_typeEbEEZZNS1_14partition_implILS5_1ELb0ES3_jN6thrust23THRUST_200600_302600_NS6detail15normal_iteratorINSA_10device_ptrIyEEEEPS6_NSA_18transform_iteratorI7is_evenIyESF_NSA_11use_defaultESK_EENS0_5tupleIJSF_SF_EEENSM_IJSG_SG_EEES6_PlJS6_EEE10hipError_tPvRmT3_T4_T5_T6_T7_T9_mT8_P12ihipStream_tbDpT10_ENKUlT_T0_E_clISt17integral_constantIbLb1EES19_EEDaS14_S15_EUlS14_E_NS1_11comp_targetILNS1_3genE9ELNS1_11target_archE1100ELNS1_3gpuE3ELNS1_3repE0EEENS1_30default_config_static_selectorELNS0_4arch9wavefront6targetE1EEEvT1_ ; -- Begin function _ZN7rocprim17ROCPRIM_400000_NS6detail17trampoline_kernelINS0_14default_configENS1_25partition_config_selectorILNS1_17partition_subalgoE1EyNS0_10empty_typeEbEEZZNS1_14partition_implILS5_1ELb0ES3_jN6thrust23THRUST_200600_302600_NS6detail15normal_iteratorINSA_10device_ptrIyEEEEPS6_NSA_18transform_iteratorI7is_evenIyESF_NSA_11use_defaultESK_EENS0_5tupleIJSF_SF_EEENSM_IJSG_SG_EEES6_PlJS6_EEE10hipError_tPvRmT3_T4_T5_T6_T7_T9_mT8_P12ihipStream_tbDpT10_ENKUlT_T0_E_clISt17integral_constantIbLb1EES19_EEDaS14_S15_EUlS14_E_NS1_11comp_targetILNS1_3genE9ELNS1_11target_archE1100ELNS1_3gpuE3ELNS1_3repE0EEENS1_30default_config_static_selectorELNS0_4arch9wavefront6targetE1EEEvT1_
	.globl	_ZN7rocprim17ROCPRIM_400000_NS6detail17trampoline_kernelINS0_14default_configENS1_25partition_config_selectorILNS1_17partition_subalgoE1EyNS0_10empty_typeEbEEZZNS1_14partition_implILS5_1ELb0ES3_jN6thrust23THRUST_200600_302600_NS6detail15normal_iteratorINSA_10device_ptrIyEEEEPS6_NSA_18transform_iteratorI7is_evenIyESF_NSA_11use_defaultESK_EENS0_5tupleIJSF_SF_EEENSM_IJSG_SG_EEES6_PlJS6_EEE10hipError_tPvRmT3_T4_T5_T6_T7_T9_mT8_P12ihipStream_tbDpT10_ENKUlT_T0_E_clISt17integral_constantIbLb1EES19_EEDaS14_S15_EUlS14_E_NS1_11comp_targetILNS1_3genE9ELNS1_11target_archE1100ELNS1_3gpuE3ELNS1_3repE0EEENS1_30default_config_static_selectorELNS0_4arch9wavefront6targetE1EEEvT1_
	.p2align	8
	.type	_ZN7rocprim17ROCPRIM_400000_NS6detail17trampoline_kernelINS0_14default_configENS1_25partition_config_selectorILNS1_17partition_subalgoE1EyNS0_10empty_typeEbEEZZNS1_14partition_implILS5_1ELb0ES3_jN6thrust23THRUST_200600_302600_NS6detail15normal_iteratorINSA_10device_ptrIyEEEEPS6_NSA_18transform_iteratorI7is_evenIyESF_NSA_11use_defaultESK_EENS0_5tupleIJSF_SF_EEENSM_IJSG_SG_EEES6_PlJS6_EEE10hipError_tPvRmT3_T4_T5_T6_T7_T9_mT8_P12ihipStream_tbDpT10_ENKUlT_T0_E_clISt17integral_constantIbLb1EES19_EEDaS14_S15_EUlS14_E_NS1_11comp_targetILNS1_3genE9ELNS1_11target_archE1100ELNS1_3gpuE3ELNS1_3repE0EEENS1_30default_config_static_selectorELNS0_4arch9wavefront6targetE1EEEvT1_,@function
_ZN7rocprim17ROCPRIM_400000_NS6detail17trampoline_kernelINS0_14default_configENS1_25partition_config_selectorILNS1_17partition_subalgoE1EyNS0_10empty_typeEbEEZZNS1_14partition_implILS5_1ELb0ES3_jN6thrust23THRUST_200600_302600_NS6detail15normal_iteratorINSA_10device_ptrIyEEEEPS6_NSA_18transform_iteratorI7is_evenIyESF_NSA_11use_defaultESK_EENS0_5tupleIJSF_SF_EEENSM_IJSG_SG_EEES6_PlJS6_EEE10hipError_tPvRmT3_T4_T5_T6_T7_T9_mT8_P12ihipStream_tbDpT10_ENKUlT_T0_E_clISt17integral_constantIbLb1EES19_EEDaS14_S15_EUlS14_E_NS1_11comp_targetILNS1_3genE9ELNS1_11target_archE1100ELNS1_3gpuE3ELNS1_3repE0EEENS1_30default_config_static_selectorELNS0_4arch9wavefront6targetE1EEEvT1_: ; @_ZN7rocprim17ROCPRIM_400000_NS6detail17trampoline_kernelINS0_14default_configENS1_25partition_config_selectorILNS1_17partition_subalgoE1EyNS0_10empty_typeEbEEZZNS1_14partition_implILS5_1ELb0ES3_jN6thrust23THRUST_200600_302600_NS6detail15normal_iteratorINSA_10device_ptrIyEEEEPS6_NSA_18transform_iteratorI7is_evenIyESF_NSA_11use_defaultESK_EENS0_5tupleIJSF_SF_EEENSM_IJSG_SG_EEES6_PlJS6_EEE10hipError_tPvRmT3_T4_T5_T6_T7_T9_mT8_P12ihipStream_tbDpT10_ENKUlT_T0_E_clISt17integral_constantIbLb1EES19_EEDaS14_S15_EUlS14_E_NS1_11comp_targetILNS1_3genE9ELNS1_11target_archE1100ELNS1_3gpuE3ELNS1_3repE0EEENS1_30default_config_static_selectorELNS0_4arch9wavefront6targetE1EEEvT1_
; %bb.0:
	.section	.rodata,"a",@progbits
	.p2align	6, 0x0
	.amdhsa_kernel _ZN7rocprim17ROCPRIM_400000_NS6detail17trampoline_kernelINS0_14default_configENS1_25partition_config_selectorILNS1_17partition_subalgoE1EyNS0_10empty_typeEbEEZZNS1_14partition_implILS5_1ELb0ES3_jN6thrust23THRUST_200600_302600_NS6detail15normal_iteratorINSA_10device_ptrIyEEEEPS6_NSA_18transform_iteratorI7is_evenIyESF_NSA_11use_defaultESK_EENS0_5tupleIJSF_SF_EEENSM_IJSG_SG_EEES6_PlJS6_EEE10hipError_tPvRmT3_T4_T5_T6_T7_T9_mT8_P12ihipStream_tbDpT10_ENKUlT_T0_E_clISt17integral_constantIbLb1EES19_EEDaS14_S15_EUlS14_E_NS1_11comp_targetILNS1_3genE9ELNS1_11target_archE1100ELNS1_3gpuE3ELNS1_3repE0EEENS1_30default_config_static_selectorELNS0_4arch9wavefront6targetE1EEEvT1_
		.amdhsa_group_segment_fixed_size 0
		.amdhsa_private_segment_fixed_size 0
		.amdhsa_kernarg_size 144
		.amdhsa_user_sgpr_count 6
		.amdhsa_user_sgpr_private_segment_buffer 1
		.amdhsa_user_sgpr_dispatch_ptr 0
		.amdhsa_user_sgpr_queue_ptr 0
		.amdhsa_user_sgpr_kernarg_segment_ptr 1
		.amdhsa_user_sgpr_dispatch_id 0
		.amdhsa_user_sgpr_flat_scratch_init 0
		.amdhsa_user_sgpr_kernarg_preload_length 0
		.amdhsa_user_sgpr_kernarg_preload_offset 0
		.amdhsa_user_sgpr_private_segment_size 0
		.amdhsa_uses_dynamic_stack 0
		.amdhsa_system_sgpr_private_segment_wavefront_offset 0
		.amdhsa_system_sgpr_workgroup_id_x 1
		.amdhsa_system_sgpr_workgroup_id_y 0
		.amdhsa_system_sgpr_workgroup_id_z 0
		.amdhsa_system_sgpr_workgroup_info 0
		.amdhsa_system_vgpr_workitem_id 0
		.amdhsa_next_free_vgpr 1
		.amdhsa_next_free_sgpr 0
		.amdhsa_accum_offset 4
		.amdhsa_reserve_vcc 0
		.amdhsa_reserve_flat_scratch 0
		.amdhsa_float_round_mode_32 0
		.amdhsa_float_round_mode_16_64 0
		.amdhsa_float_denorm_mode_32 3
		.amdhsa_float_denorm_mode_16_64 3
		.amdhsa_dx10_clamp 1
		.amdhsa_ieee_mode 1
		.amdhsa_fp16_overflow 0
		.amdhsa_tg_split 0
		.amdhsa_exception_fp_ieee_invalid_op 0
		.amdhsa_exception_fp_denorm_src 0
		.amdhsa_exception_fp_ieee_div_zero 0
		.amdhsa_exception_fp_ieee_overflow 0
		.amdhsa_exception_fp_ieee_underflow 0
		.amdhsa_exception_fp_ieee_inexact 0
		.amdhsa_exception_int_div_zero 0
	.end_amdhsa_kernel
	.section	.text._ZN7rocprim17ROCPRIM_400000_NS6detail17trampoline_kernelINS0_14default_configENS1_25partition_config_selectorILNS1_17partition_subalgoE1EyNS0_10empty_typeEbEEZZNS1_14partition_implILS5_1ELb0ES3_jN6thrust23THRUST_200600_302600_NS6detail15normal_iteratorINSA_10device_ptrIyEEEEPS6_NSA_18transform_iteratorI7is_evenIyESF_NSA_11use_defaultESK_EENS0_5tupleIJSF_SF_EEENSM_IJSG_SG_EEES6_PlJS6_EEE10hipError_tPvRmT3_T4_T5_T6_T7_T9_mT8_P12ihipStream_tbDpT10_ENKUlT_T0_E_clISt17integral_constantIbLb1EES19_EEDaS14_S15_EUlS14_E_NS1_11comp_targetILNS1_3genE9ELNS1_11target_archE1100ELNS1_3gpuE3ELNS1_3repE0EEENS1_30default_config_static_selectorELNS0_4arch9wavefront6targetE1EEEvT1_,"axG",@progbits,_ZN7rocprim17ROCPRIM_400000_NS6detail17trampoline_kernelINS0_14default_configENS1_25partition_config_selectorILNS1_17partition_subalgoE1EyNS0_10empty_typeEbEEZZNS1_14partition_implILS5_1ELb0ES3_jN6thrust23THRUST_200600_302600_NS6detail15normal_iteratorINSA_10device_ptrIyEEEEPS6_NSA_18transform_iteratorI7is_evenIyESF_NSA_11use_defaultESK_EENS0_5tupleIJSF_SF_EEENSM_IJSG_SG_EEES6_PlJS6_EEE10hipError_tPvRmT3_T4_T5_T6_T7_T9_mT8_P12ihipStream_tbDpT10_ENKUlT_T0_E_clISt17integral_constantIbLb1EES19_EEDaS14_S15_EUlS14_E_NS1_11comp_targetILNS1_3genE9ELNS1_11target_archE1100ELNS1_3gpuE3ELNS1_3repE0EEENS1_30default_config_static_selectorELNS0_4arch9wavefront6targetE1EEEvT1_,comdat
.Lfunc_end2217:
	.size	_ZN7rocprim17ROCPRIM_400000_NS6detail17trampoline_kernelINS0_14default_configENS1_25partition_config_selectorILNS1_17partition_subalgoE1EyNS0_10empty_typeEbEEZZNS1_14partition_implILS5_1ELb0ES3_jN6thrust23THRUST_200600_302600_NS6detail15normal_iteratorINSA_10device_ptrIyEEEEPS6_NSA_18transform_iteratorI7is_evenIyESF_NSA_11use_defaultESK_EENS0_5tupleIJSF_SF_EEENSM_IJSG_SG_EEES6_PlJS6_EEE10hipError_tPvRmT3_T4_T5_T6_T7_T9_mT8_P12ihipStream_tbDpT10_ENKUlT_T0_E_clISt17integral_constantIbLb1EES19_EEDaS14_S15_EUlS14_E_NS1_11comp_targetILNS1_3genE9ELNS1_11target_archE1100ELNS1_3gpuE3ELNS1_3repE0EEENS1_30default_config_static_selectorELNS0_4arch9wavefront6targetE1EEEvT1_, .Lfunc_end2217-_ZN7rocprim17ROCPRIM_400000_NS6detail17trampoline_kernelINS0_14default_configENS1_25partition_config_selectorILNS1_17partition_subalgoE1EyNS0_10empty_typeEbEEZZNS1_14partition_implILS5_1ELb0ES3_jN6thrust23THRUST_200600_302600_NS6detail15normal_iteratorINSA_10device_ptrIyEEEEPS6_NSA_18transform_iteratorI7is_evenIyESF_NSA_11use_defaultESK_EENS0_5tupleIJSF_SF_EEENSM_IJSG_SG_EEES6_PlJS6_EEE10hipError_tPvRmT3_T4_T5_T6_T7_T9_mT8_P12ihipStream_tbDpT10_ENKUlT_T0_E_clISt17integral_constantIbLb1EES19_EEDaS14_S15_EUlS14_E_NS1_11comp_targetILNS1_3genE9ELNS1_11target_archE1100ELNS1_3gpuE3ELNS1_3repE0EEENS1_30default_config_static_selectorELNS0_4arch9wavefront6targetE1EEEvT1_
                                        ; -- End function
	.section	.AMDGPU.csdata,"",@progbits
; Kernel info:
; codeLenInByte = 0
; NumSgprs: 4
; NumVgprs: 0
; NumAgprs: 0
; TotalNumVgprs: 0
; ScratchSize: 0
; MemoryBound: 0
; FloatMode: 240
; IeeeMode: 1
; LDSByteSize: 0 bytes/workgroup (compile time only)
; SGPRBlocks: 0
; VGPRBlocks: 0
; NumSGPRsForWavesPerEU: 4
; NumVGPRsForWavesPerEU: 1
; AccumOffset: 4
; Occupancy: 8
; WaveLimiterHint : 0
; COMPUTE_PGM_RSRC2:SCRATCH_EN: 0
; COMPUTE_PGM_RSRC2:USER_SGPR: 6
; COMPUTE_PGM_RSRC2:TRAP_HANDLER: 0
; COMPUTE_PGM_RSRC2:TGID_X_EN: 1
; COMPUTE_PGM_RSRC2:TGID_Y_EN: 0
; COMPUTE_PGM_RSRC2:TGID_Z_EN: 0
; COMPUTE_PGM_RSRC2:TIDIG_COMP_CNT: 0
; COMPUTE_PGM_RSRC3_GFX90A:ACCUM_OFFSET: 0
; COMPUTE_PGM_RSRC3_GFX90A:TG_SPLIT: 0
	.section	.text._ZN7rocprim17ROCPRIM_400000_NS6detail17trampoline_kernelINS0_14default_configENS1_25partition_config_selectorILNS1_17partition_subalgoE1EyNS0_10empty_typeEbEEZZNS1_14partition_implILS5_1ELb0ES3_jN6thrust23THRUST_200600_302600_NS6detail15normal_iteratorINSA_10device_ptrIyEEEEPS6_NSA_18transform_iteratorI7is_evenIyESF_NSA_11use_defaultESK_EENS0_5tupleIJSF_SF_EEENSM_IJSG_SG_EEES6_PlJS6_EEE10hipError_tPvRmT3_T4_T5_T6_T7_T9_mT8_P12ihipStream_tbDpT10_ENKUlT_T0_E_clISt17integral_constantIbLb1EES19_EEDaS14_S15_EUlS14_E_NS1_11comp_targetILNS1_3genE8ELNS1_11target_archE1030ELNS1_3gpuE2ELNS1_3repE0EEENS1_30default_config_static_selectorELNS0_4arch9wavefront6targetE1EEEvT1_,"axG",@progbits,_ZN7rocprim17ROCPRIM_400000_NS6detail17trampoline_kernelINS0_14default_configENS1_25partition_config_selectorILNS1_17partition_subalgoE1EyNS0_10empty_typeEbEEZZNS1_14partition_implILS5_1ELb0ES3_jN6thrust23THRUST_200600_302600_NS6detail15normal_iteratorINSA_10device_ptrIyEEEEPS6_NSA_18transform_iteratorI7is_evenIyESF_NSA_11use_defaultESK_EENS0_5tupleIJSF_SF_EEENSM_IJSG_SG_EEES6_PlJS6_EEE10hipError_tPvRmT3_T4_T5_T6_T7_T9_mT8_P12ihipStream_tbDpT10_ENKUlT_T0_E_clISt17integral_constantIbLb1EES19_EEDaS14_S15_EUlS14_E_NS1_11comp_targetILNS1_3genE8ELNS1_11target_archE1030ELNS1_3gpuE2ELNS1_3repE0EEENS1_30default_config_static_selectorELNS0_4arch9wavefront6targetE1EEEvT1_,comdat
	.protected	_ZN7rocprim17ROCPRIM_400000_NS6detail17trampoline_kernelINS0_14default_configENS1_25partition_config_selectorILNS1_17partition_subalgoE1EyNS0_10empty_typeEbEEZZNS1_14partition_implILS5_1ELb0ES3_jN6thrust23THRUST_200600_302600_NS6detail15normal_iteratorINSA_10device_ptrIyEEEEPS6_NSA_18transform_iteratorI7is_evenIyESF_NSA_11use_defaultESK_EENS0_5tupleIJSF_SF_EEENSM_IJSG_SG_EEES6_PlJS6_EEE10hipError_tPvRmT3_T4_T5_T6_T7_T9_mT8_P12ihipStream_tbDpT10_ENKUlT_T0_E_clISt17integral_constantIbLb1EES19_EEDaS14_S15_EUlS14_E_NS1_11comp_targetILNS1_3genE8ELNS1_11target_archE1030ELNS1_3gpuE2ELNS1_3repE0EEENS1_30default_config_static_selectorELNS0_4arch9wavefront6targetE1EEEvT1_ ; -- Begin function _ZN7rocprim17ROCPRIM_400000_NS6detail17trampoline_kernelINS0_14default_configENS1_25partition_config_selectorILNS1_17partition_subalgoE1EyNS0_10empty_typeEbEEZZNS1_14partition_implILS5_1ELb0ES3_jN6thrust23THRUST_200600_302600_NS6detail15normal_iteratorINSA_10device_ptrIyEEEEPS6_NSA_18transform_iteratorI7is_evenIyESF_NSA_11use_defaultESK_EENS0_5tupleIJSF_SF_EEENSM_IJSG_SG_EEES6_PlJS6_EEE10hipError_tPvRmT3_T4_T5_T6_T7_T9_mT8_P12ihipStream_tbDpT10_ENKUlT_T0_E_clISt17integral_constantIbLb1EES19_EEDaS14_S15_EUlS14_E_NS1_11comp_targetILNS1_3genE8ELNS1_11target_archE1030ELNS1_3gpuE2ELNS1_3repE0EEENS1_30default_config_static_selectorELNS0_4arch9wavefront6targetE1EEEvT1_
	.globl	_ZN7rocprim17ROCPRIM_400000_NS6detail17trampoline_kernelINS0_14default_configENS1_25partition_config_selectorILNS1_17partition_subalgoE1EyNS0_10empty_typeEbEEZZNS1_14partition_implILS5_1ELb0ES3_jN6thrust23THRUST_200600_302600_NS6detail15normal_iteratorINSA_10device_ptrIyEEEEPS6_NSA_18transform_iteratorI7is_evenIyESF_NSA_11use_defaultESK_EENS0_5tupleIJSF_SF_EEENSM_IJSG_SG_EEES6_PlJS6_EEE10hipError_tPvRmT3_T4_T5_T6_T7_T9_mT8_P12ihipStream_tbDpT10_ENKUlT_T0_E_clISt17integral_constantIbLb1EES19_EEDaS14_S15_EUlS14_E_NS1_11comp_targetILNS1_3genE8ELNS1_11target_archE1030ELNS1_3gpuE2ELNS1_3repE0EEENS1_30default_config_static_selectorELNS0_4arch9wavefront6targetE1EEEvT1_
	.p2align	8
	.type	_ZN7rocprim17ROCPRIM_400000_NS6detail17trampoline_kernelINS0_14default_configENS1_25partition_config_selectorILNS1_17partition_subalgoE1EyNS0_10empty_typeEbEEZZNS1_14partition_implILS5_1ELb0ES3_jN6thrust23THRUST_200600_302600_NS6detail15normal_iteratorINSA_10device_ptrIyEEEEPS6_NSA_18transform_iteratorI7is_evenIyESF_NSA_11use_defaultESK_EENS0_5tupleIJSF_SF_EEENSM_IJSG_SG_EEES6_PlJS6_EEE10hipError_tPvRmT3_T4_T5_T6_T7_T9_mT8_P12ihipStream_tbDpT10_ENKUlT_T0_E_clISt17integral_constantIbLb1EES19_EEDaS14_S15_EUlS14_E_NS1_11comp_targetILNS1_3genE8ELNS1_11target_archE1030ELNS1_3gpuE2ELNS1_3repE0EEENS1_30default_config_static_selectorELNS0_4arch9wavefront6targetE1EEEvT1_,@function
_ZN7rocprim17ROCPRIM_400000_NS6detail17trampoline_kernelINS0_14default_configENS1_25partition_config_selectorILNS1_17partition_subalgoE1EyNS0_10empty_typeEbEEZZNS1_14partition_implILS5_1ELb0ES3_jN6thrust23THRUST_200600_302600_NS6detail15normal_iteratorINSA_10device_ptrIyEEEEPS6_NSA_18transform_iteratorI7is_evenIyESF_NSA_11use_defaultESK_EENS0_5tupleIJSF_SF_EEENSM_IJSG_SG_EEES6_PlJS6_EEE10hipError_tPvRmT3_T4_T5_T6_T7_T9_mT8_P12ihipStream_tbDpT10_ENKUlT_T0_E_clISt17integral_constantIbLb1EES19_EEDaS14_S15_EUlS14_E_NS1_11comp_targetILNS1_3genE8ELNS1_11target_archE1030ELNS1_3gpuE2ELNS1_3repE0EEENS1_30default_config_static_selectorELNS0_4arch9wavefront6targetE1EEEvT1_: ; @_ZN7rocprim17ROCPRIM_400000_NS6detail17trampoline_kernelINS0_14default_configENS1_25partition_config_selectorILNS1_17partition_subalgoE1EyNS0_10empty_typeEbEEZZNS1_14partition_implILS5_1ELb0ES3_jN6thrust23THRUST_200600_302600_NS6detail15normal_iteratorINSA_10device_ptrIyEEEEPS6_NSA_18transform_iteratorI7is_evenIyESF_NSA_11use_defaultESK_EENS0_5tupleIJSF_SF_EEENSM_IJSG_SG_EEES6_PlJS6_EEE10hipError_tPvRmT3_T4_T5_T6_T7_T9_mT8_P12ihipStream_tbDpT10_ENKUlT_T0_E_clISt17integral_constantIbLb1EES19_EEDaS14_S15_EUlS14_E_NS1_11comp_targetILNS1_3genE8ELNS1_11target_archE1030ELNS1_3gpuE2ELNS1_3repE0EEENS1_30default_config_static_selectorELNS0_4arch9wavefront6targetE1EEEvT1_
; %bb.0:
	.section	.rodata,"a",@progbits
	.p2align	6, 0x0
	.amdhsa_kernel _ZN7rocprim17ROCPRIM_400000_NS6detail17trampoline_kernelINS0_14default_configENS1_25partition_config_selectorILNS1_17partition_subalgoE1EyNS0_10empty_typeEbEEZZNS1_14partition_implILS5_1ELb0ES3_jN6thrust23THRUST_200600_302600_NS6detail15normal_iteratorINSA_10device_ptrIyEEEEPS6_NSA_18transform_iteratorI7is_evenIyESF_NSA_11use_defaultESK_EENS0_5tupleIJSF_SF_EEENSM_IJSG_SG_EEES6_PlJS6_EEE10hipError_tPvRmT3_T4_T5_T6_T7_T9_mT8_P12ihipStream_tbDpT10_ENKUlT_T0_E_clISt17integral_constantIbLb1EES19_EEDaS14_S15_EUlS14_E_NS1_11comp_targetILNS1_3genE8ELNS1_11target_archE1030ELNS1_3gpuE2ELNS1_3repE0EEENS1_30default_config_static_selectorELNS0_4arch9wavefront6targetE1EEEvT1_
		.amdhsa_group_segment_fixed_size 0
		.amdhsa_private_segment_fixed_size 0
		.amdhsa_kernarg_size 144
		.amdhsa_user_sgpr_count 6
		.amdhsa_user_sgpr_private_segment_buffer 1
		.amdhsa_user_sgpr_dispatch_ptr 0
		.amdhsa_user_sgpr_queue_ptr 0
		.amdhsa_user_sgpr_kernarg_segment_ptr 1
		.amdhsa_user_sgpr_dispatch_id 0
		.amdhsa_user_sgpr_flat_scratch_init 0
		.amdhsa_user_sgpr_kernarg_preload_length 0
		.amdhsa_user_sgpr_kernarg_preload_offset 0
		.amdhsa_user_sgpr_private_segment_size 0
		.amdhsa_uses_dynamic_stack 0
		.amdhsa_system_sgpr_private_segment_wavefront_offset 0
		.amdhsa_system_sgpr_workgroup_id_x 1
		.amdhsa_system_sgpr_workgroup_id_y 0
		.amdhsa_system_sgpr_workgroup_id_z 0
		.amdhsa_system_sgpr_workgroup_info 0
		.amdhsa_system_vgpr_workitem_id 0
		.amdhsa_next_free_vgpr 1
		.amdhsa_next_free_sgpr 0
		.amdhsa_accum_offset 4
		.amdhsa_reserve_vcc 0
		.amdhsa_reserve_flat_scratch 0
		.amdhsa_float_round_mode_32 0
		.amdhsa_float_round_mode_16_64 0
		.amdhsa_float_denorm_mode_32 3
		.amdhsa_float_denorm_mode_16_64 3
		.amdhsa_dx10_clamp 1
		.amdhsa_ieee_mode 1
		.amdhsa_fp16_overflow 0
		.amdhsa_tg_split 0
		.amdhsa_exception_fp_ieee_invalid_op 0
		.amdhsa_exception_fp_denorm_src 0
		.amdhsa_exception_fp_ieee_div_zero 0
		.amdhsa_exception_fp_ieee_overflow 0
		.amdhsa_exception_fp_ieee_underflow 0
		.amdhsa_exception_fp_ieee_inexact 0
		.amdhsa_exception_int_div_zero 0
	.end_amdhsa_kernel
	.section	.text._ZN7rocprim17ROCPRIM_400000_NS6detail17trampoline_kernelINS0_14default_configENS1_25partition_config_selectorILNS1_17partition_subalgoE1EyNS0_10empty_typeEbEEZZNS1_14partition_implILS5_1ELb0ES3_jN6thrust23THRUST_200600_302600_NS6detail15normal_iteratorINSA_10device_ptrIyEEEEPS6_NSA_18transform_iteratorI7is_evenIyESF_NSA_11use_defaultESK_EENS0_5tupleIJSF_SF_EEENSM_IJSG_SG_EEES6_PlJS6_EEE10hipError_tPvRmT3_T4_T5_T6_T7_T9_mT8_P12ihipStream_tbDpT10_ENKUlT_T0_E_clISt17integral_constantIbLb1EES19_EEDaS14_S15_EUlS14_E_NS1_11comp_targetILNS1_3genE8ELNS1_11target_archE1030ELNS1_3gpuE2ELNS1_3repE0EEENS1_30default_config_static_selectorELNS0_4arch9wavefront6targetE1EEEvT1_,"axG",@progbits,_ZN7rocprim17ROCPRIM_400000_NS6detail17trampoline_kernelINS0_14default_configENS1_25partition_config_selectorILNS1_17partition_subalgoE1EyNS0_10empty_typeEbEEZZNS1_14partition_implILS5_1ELb0ES3_jN6thrust23THRUST_200600_302600_NS6detail15normal_iteratorINSA_10device_ptrIyEEEEPS6_NSA_18transform_iteratorI7is_evenIyESF_NSA_11use_defaultESK_EENS0_5tupleIJSF_SF_EEENSM_IJSG_SG_EEES6_PlJS6_EEE10hipError_tPvRmT3_T4_T5_T6_T7_T9_mT8_P12ihipStream_tbDpT10_ENKUlT_T0_E_clISt17integral_constantIbLb1EES19_EEDaS14_S15_EUlS14_E_NS1_11comp_targetILNS1_3genE8ELNS1_11target_archE1030ELNS1_3gpuE2ELNS1_3repE0EEENS1_30default_config_static_selectorELNS0_4arch9wavefront6targetE1EEEvT1_,comdat
.Lfunc_end2218:
	.size	_ZN7rocprim17ROCPRIM_400000_NS6detail17trampoline_kernelINS0_14default_configENS1_25partition_config_selectorILNS1_17partition_subalgoE1EyNS0_10empty_typeEbEEZZNS1_14partition_implILS5_1ELb0ES3_jN6thrust23THRUST_200600_302600_NS6detail15normal_iteratorINSA_10device_ptrIyEEEEPS6_NSA_18transform_iteratorI7is_evenIyESF_NSA_11use_defaultESK_EENS0_5tupleIJSF_SF_EEENSM_IJSG_SG_EEES6_PlJS6_EEE10hipError_tPvRmT3_T4_T5_T6_T7_T9_mT8_P12ihipStream_tbDpT10_ENKUlT_T0_E_clISt17integral_constantIbLb1EES19_EEDaS14_S15_EUlS14_E_NS1_11comp_targetILNS1_3genE8ELNS1_11target_archE1030ELNS1_3gpuE2ELNS1_3repE0EEENS1_30default_config_static_selectorELNS0_4arch9wavefront6targetE1EEEvT1_, .Lfunc_end2218-_ZN7rocprim17ROCPRIM_400000_NS6detail17trampoline_kernelINS0_14default_configENS1_25partition_config_selectorILNS1_17partition_subalgoE1EyNS0_10empty_typeEbEEZZNS1_14partition_implILS5_1ELb0ES3_jN6thrust23THRUST_200600_302600_NS6detail15normal_iteratorINSA_10device_ptrIyEEEEPS6_NSA_18transform_iteratorI7is_evenIyESF_NSA_11use_defaultESK_EENS0_5tupleIJSF_SF_EEENSM_IJSG_SG_EEES6_PlJS6_EEE10hipError_tPvRmT3_T4_T5_T6_T7_T9_mT8_P12ihipStream_tbDpT10_ENKUlT_T0_E_clISt17integral_constantIbLb1EES19_EEDaS14_S15_EUlS14_E_NS1_11comp_targetILNS1_3genE8ELNS1_11target_archE1030ELNS1_3gpuE2ELNS1_3repE0EEENS1_30default_config_static_selectorELNS0_4arch9wavefront6targetE1EEEvT1_
                                        ; -- End function
	.section	.AMDGPU.csdata,"",@progbits
; Kernel info:
; codeLenInByte = 0
; NumSgprs: 4
; NumVgprs: 0
; NumAgprs: 0
; TotalNumVgprs: 0
; ScratchSize: 0
; MemoryBound: 0
; FloatMode: 240
; IeeeMode: 1
; LDSByteSize: 0 bytes/workgroup (compile time only)
; SGPRBlocks: 0
; VGPRBlocks: 0
; NumSGPRsForWavesPerEU: 4
; NumVGPRsForWavesPerEU: 1
; AccumOffset: 4
; Occupancy: 8
; WaveLimiterHint : 0
; COMPUTE_PGM_RSRC2:SCRATCH_EN: 0
; COMPUTE_PGM_RSRC2:USER_SGPR: 6
; COMPUTE_PGM_RSRC2:TRAP_HANDLER: 0
; COMPUTE_PGM_RSRC2:TGID_X_EN: 1
; COMPUTE_PGM_RSRC2:TGID_Y_EN: 0
; COMPUTE_PGM_RSRC2:TGID_Z_EN: 0
; COMPUTE_PGM_RSRC2:TIDIG_COMP_CNT: 0
; COMPUTE_PGM_RSRC3_GFX90A:ACCUM_OFFSET: 0
; COMPUTE_PGM_RSRC3_GFX90A:TG_SPLIT: 0
	.section	.text._ZN7rocprim17ROCPRIM_400000_NS6detail17trampoline_kernelINS0_14default_configENS1_25partition_config_selectorILNS1_17partition_subalgoE1EyNS0_10empty_typeEbEEZZNS1_14partition_implILS5_1ELb0ES3_jN6thrust23THRUST_200600_302600_NS6detail15normal_iteratorINSA_10device_ptrIyEEEEPS6_NSA_18transform_iteratorI7is_evenIyESF_NSA_11use_defaultESK_EENS0_5tupleIJSF_SF_EEENSM_IJSG_SG_EEES6_PlJS6_EEE10hipError_tPvRmT3_T4_T5_T6_T7_T9_mT8_P12ihipStream_tbDpT10_ENKUlT_T0_E_clISt17integral_constantIbLb1EES18_IbLb0EEEEDaS14_S15_EUlS14_E_NS1_11comp_targetILNS1_3genE0ELNS1_11target_archE4294967295ELNS1_3gpuE0ELNS1_3repE0EEENS1_30default_config_static_selectorELNS0_4arch9wavefront6targetE1EEEvT1_,"axG",@progbits,_ZN7rocprim17ROCPRIM_400000_NS6detail17trampoline_kernelINS0_14default_configENS1_25partition_config_selectorILNS1_17partition_subalgoE1EyNS0_10empty_typeEbEEZZNS1_14partition_implILS5_1ELb0ES3_jN6thrust23THRUST_200600_302600_NS6detail15normal_iteratorINSA_10device_ptrIyEEEEPS6_NSA_18transform_iteratorI7is_evenIyESF_NSA_11use_defaultESK_EENS0_5tupleIJSF_SF_EEENSM_IJSG_SG_EEES6_PlJS6_EEE10hipError_tPvRmT3_T4_T5_T6_T7_T9_mT8_P12ihipStream_tbDpT10_ENKUlT_T0_E_clISt17integral_constantIbLb1EES18_IbLb0EEEEDaS14_S15_EUlS14_E_NS1_11comp_targetILNS1_3genE0ELNS1_11target_archE4294967295ELNS1_3gpuE0ELNS1_3repE0EEENS1_30default_config_static_selectorELNS0_4arch9wavefront6targetE1EEEvT1_,comdat
	.protected	_ZN7rocprim17ROCPRIM_400000_NS6detail17trampoline_kernelINS0_14default_configENS1_25partition_config_selectorILNS1_17partition_subalgoE1EyNS0_10empty_typeEbEEZZNS1_14partition_implILS5_1ELb0ES3_jN6thrust23THRUST_200600_302600_NS6detail15normal_iteratorINSA_10device_ptrIyEEEEPS6_NSA_18transform_iteratorI7is_evenIyESF_NSA_11use_defaultESK_EENS0_5tupleIJSF_SF_EEENSM_IJSG_SG_EEES6_PlJS6_EEE10hipError_tPvRmT3_T4_T5_T6_T7_T9_mT8_P12ihipStream_tbDpT10_ENKUlT_T0_E_clISt17integral_constantIbLb1EES18_IbLb0EEEEDaS14_S15_EUlS14_E_NS1_11comp_targetILNS1_3genE0ELNS1_11target_archE4294967295ELNS1_3gpuE0ELNS1_3repE0EEENS1_30default_config_static_selectorELNS0_4arch9wavefront6targetE1EEEvT1_ ; -- Begin function _ZN7rocprim17ROCPRIM_400000_NS6detail17trampoline_kernelINS0_14default_configENS1_25partition_config_selectorILNS1_17partition_subalgoE1EyNS0_10empty_typeEbEEZZNS1_14partition_implILS5_1ELb0ES3_jN6thrust23THRUST_200600_302600_NS6detail15normal_iteratorINSA_10device_ptrIyEEEEPS6_NSA_18transform_iteratorI7is_evenIyESF_NSA_11use_defaultESK_EENS0_5tupleIJSF_SF_EEENSM_IJSG_SG_EEES6_PlJS6_EEE10hipError_tPvRmT3_T4_T5_T6_T7_T9_mT8_P12ihipStream_tbDpT10_ENKUlT_T0_E_clISt17integral_constantIbLb1EES18_IbLb0EEEEDaS14_S15_EUlS14_E_NS1_11comp_targetILNS1_3genE0ELNS1_11target_archE4294967295ELNS1_3gpuE0ELNS1_3repE0EEENS1_30default_config_static_selectorELNS0_4arch9wavefront6targetE1EEEvT1_
	.globl	_ZN7rocprim17ROCPRIM_400000_NS6detail17trampoline_kernelINS0_14default_configENS1_25partition_config_selectorILNS1_17partition_subalgoE1EyNS0_10empty_typeEbEEZZNS1_14partition_implILS5_1ELb0ES3_jN6thrust23THRUST_200600_302600_NS6detail15normal_iteratorINSA_10device_ptrIyEEEEPS6_NSA_18transform_iteratorI7is_evenIyESF_NSA_11use_defaultESK_EENS0_5tupleIJSF_SF_EEENSM_IJSG_SG_EEES6_PlJS6_EEE10hipError_tPvRmT3_T4_T5_T6_T7_T9_mT8_P12ihipStream_tbDpT10_ENKUlT_T0_E_clISt17integral_constantIbLb1EES18_IbLb0EEEEDaS14_S15_EUlS14_E_NS1_11comp_targetILNS1_3genE0ELNS1_11target_archE4294967295ELNS1_3gpuE0ELNS1_3repE0EEENS1_30default_config_static_selectorELNS0_4arch9wavefront6targetE1EEEvT1_
	.p2align	8
	.type	_ZN7rocprim17ROCPRIM_400000_NS6detail17trampoline_kernelINS0_14default_configENS1_25partition_config_selectorILNS1_17partition_subalgoE1EyNS0_10empty_typeEbEEZZNS1_14partition_implILS5_1ELb0ES3_jN6thrust23THRUST_200600_302600_NS6detail15normal_iteratorINSA_10device_ptrIyEEEEPS6_NSA_18transform_iteratorI7is_evenIyESF_NSA_11use_defaultESK_EENS0_5tupleIJSF_SF_EEENSM_IJSG_SG_EEES6_PlJS6_EEE10hipError_tPvRmT3_T4_T5_T6_T7_T9_mT8_P12ihipStream_tbDpT10_ENKUlT_T0_E_clISt17integral_constantIbLb1EES18_IbLb0EEEEDaS14_S15_EUlS14_E_NS1_11comp_targetILNS1_3genE0ELNS1_11target_archE4294967295ELNS1_3gpuE0ELNS1_3repE0EEENS1_30default_config_static_selectorELNS0_4arch9wavefront6targetE1EEEvT1_,@function
_ZN7rocprim17ROCPRIM_400000_NS6detail17trampoline_kernelINS0_14default_configENS1_25partition_config_selectorILNS1_17partition_subalgoE1EyNS0_10empty_typeEbEEZZNS1_14partition_implILS5_1ELb0ES3_jN6thrust23THRUST_200600_302600_NS6detail15normal_iteratorINSA_10device_ptrIyEEEEPS6_NSA_18transform_iteratorI7is_evenIyESF_NSA_11use_defaultESK_EENS0_5tupleIJSF_SF_EEENSM_IJSG_SG_EEES6_PlJS6_EEE10hipError_tPvRmT3_T4_T5_T6_T7_T9_mT8_P12ihipStream_tbDpT10_ENKUlT_T0_E_clISt17integral_constantIbLb1EES18_IbLb0EEEEDaS14_S15_EUlS14_E_NS1_11comp_targetILNS1_3genE0ELNS1_11target_archE4294967295ELNS1_3gpuE0ELNS1_3repE0EEENS1_30default_config_static_selectorELNS0_4arch9wavefront6targetE1EEEvT1_: ; @_ZN7rocprim17ROCPRIM_400000_NS6detail17trampoline_kernelINS0_14default_configENS1_25partition_config_selectorILNS1_17partition_subalgoE1EyNS0_10empty_typeEbEEZZNS1_14partition_implILS5_1ELb0ES3_jN6thrust23THRUST_200600_302600_NS6detail15normal_iteratorINSA_10device_ptrIyEEEEPS6_NSA_18transform_iteratorI7is_evenIyESF_NSA_11use_defaultESK_EENS0_5tupleIJSF_SF_EEENSM_IJSG_SG_EEES6_PlJS6_EEE10hipError_tPvRmT3_T4_T5_T6_T7_T9_mT8_P12ihipStream_tbDpT10_ENKUlT_T0_E_clISt17integral_constantIbLb1EES18_IbLb0EEEEDaS14_S15_EUlS14_E_NS1_11comp_targetILNS1_3genE0ELNS1_11target_archE4294967295ELNS1_3gpuE0ELNS1_3repE0EEENS1_30default_config_static_selectorELNS0_4arch9wavefront6targetE1EEEvT1_
; %bb.0:
	.section	.rodata,"a",@progbits
	.p2align	6, 0x0
	.amdhsa_kernel _ZN7rocprim17ROCPRIM_400000_NS6detail17trampoline_kernelINS0_14default_configENS1_25partition_config_selectorILNS1_17partition_subalgoE1EyNS0_10empty_typeEbEEZZNS1_14partition_implILS5_1ELb0ES3_jN6thrust23THRUST_200600_302600_NS6detail15normal_iteratorINSA_10device_ptrIyEEEEPS6_NSA_18transform_iteratorI7is_evenIyESF_NSA_11use_defaultESK_EENS0_5tupleIJSF_SF_EEENSM_IJSG_SG_EEES6_PlJS6_EEE10hipError_tPvRmT3_T4_T5_T6_T7_T9_mT8_P12ihipStream_tbDpT10_ENKUlT_T0_E_clISt17integral_constantIbLb1EES18_IbLb0EEEEDaS14_S15_EUlS14_E_NS1_11comp_targetILNS1_3genE0ELNS1_11target_archE4294967295ELNS1_3gpuE0ELNS1_3repE0EEENS1_30default_config_static_selectorELNS0_4arch9wavefront6targetE1EEEvT1_
		.amdhsa_group_segment_fixed_size 0
		.amdhsa_private_segment_fixed_size 0
		.amdhsa_kernarg_size 128
		.amdhsa_user_sgpr_count 6
		.amdhsa_user_sgpr_private_segment_buffer 1
		.amdhsa_user_sgpr_dispatch_ptr 0
		.amdhsa_user_sgpr_queue_ptr 0
		.amdhsa_user_sgpr_kernarg_segment_ptr 1
		.amdhsa_user_sgpr_dispatch_id 0
		.amdhsa_user_sgpr_flat_scratch_init 0
		.amdhsa_user_sgpr_kernarg_preload_length 0
		.amdhsa_user_sgpr_kernarg_preload_offset 0
		.amdhsa_user_sgpr_private_segment_size 0
		.amdhsa_uses_dynamic_stack 0
		.amdhsa_system_sgpr_private_segment_wavefront_offset 0
		.amdhsa_system_sgpr_workgroup_id_x 1
		.amdhsa_system_sgpr_workgroup_id_y 0
		.amdhsa_system_sgpr_workgroup_id_z 0
		.amdhsa_system_sgpr_workgroup_info 0
		.amdhsa_system_vgpr_workitem_id 0
		.amdhsa_next_free_vgpr 1
		.amdhsa_next_free_sgpr 0
		.amdhsa_accum_offset 4
		.amdhsa_reserve_vcc 0
		.amdhsa_reserve_flat_scratch 0
		.amdhsa_float_round_mode_32 0
		.amdhsa_float_round_mode_16_64 0
		.amdhsa_float_denorm_mode_32 3
		.amdhsa_float_denorm_mode_16_64 3
		.amdhsa_dx10_clamp 1
		.amdhsa_ieee_mode 1
		.amdhsa_fp16_overflow 0
		.amdhsa_tg_split 0
		.amdhsa_exception_fp_ieee_invalid_op 0
		.amdhsa_exception_fp_denorm_src 0
		.amdhsa_exception_fp_ieee_div_zero 0
		.amdhsa_exception_fp_ieee_overflow 0
		.amdhsa_exception_fp_ieee_underflow 0
		.amdhsa_exception_fp_ieee_inexact 0
		.amdhsa_exception_int_div_zero 0
	.end_amdhsa_kernel
	.section	.text._ZN7rocprim17ROCPRIM_400000_NS6detail17trampoline_kernelINS0_14default_configENS1_25partition_config_selectorILNS1_17partition_subalgoE1EyNS0_10empty_typeEbEEZZNS1_14partition_implILS5_1ELb0ES3_jN6thrust23THRUST_200600_302600_NS6detail15normal_iteratorINSA_10device_ptrIyEEEEPS6_NSA_18transform_iteratorI7is_evenIyESF_NSA_11use_defaultESK_EENS0_5tupleIJSF_SF_EEENSM_IJSG_SG_EEES6_PlJS6_EEE10hipError_tPvRmT3_T4_T5_T6_T7_T9_mT8_P12ihipStream_tbDpT10_ENKUlT_T0_E_clISt17integral_constantIbLb1EES18_IbLb0EEEEDaS14_S15_EUlS14_E_NS1_11comp_targetILNS1_3genE0ELNS1_11target_archE4294967295ELNS1_3gpuE0ELNS1_3repE0EEENS1_30default_config_static_selectorELNS0_4arch9wavefront6targetE1EEEvT1_,"axG",@progbits,_ZN7rocprim17ROCPRIM_400000_NS6detail17trampoline_kernelINS0_14default_configENS1_25partition_config_selectorILNS1_17partition_subalgoE1EyNS0_10empty_typeEbEEZZNS1_14partition_implILS5_1ELb0ES3_jN6thrust23THRUST_200600_302600_NS6detail15normal_iteratorINSA_10device_ptrIyEEEEPS6_NSA_18transform_iteratorI7is_evenIyESF_NSA_11use_defaultESK_EENS0_5tupleIJSF_SF_EEENSM_IJSG_SG_EEES6_PlJS6_EEE10hipError_tPvRmT3_T4_T5_T6_T7_T9_mT8_P12ihipStream_tbDpT10_ENKUlT_T0_E_clISt17integral_constantIbLb1EES18_IbLb0EEEEDaS14_S15_EUlS14_E_NS1_11comp_targetILNS1_3genE0ELNS1_11target_archE4294967295ELNS1_3gpuE0ELNS1_3repE0EEENS1_30default_config_static_selectorELNS0_4arch9wavefront6targetE1EEEvT1_,comdat
.Lfunc_end2219:
	.size	_ZN7rocprim17ROCPRIM_400000_NS6detail17trampoline_kernelINS0_14default_configENS1_25partition_config_selectorILNS1_17partition_subalgoE1EyNS0_10empty_typeEbEEZZNS1_14partition_implILS5_1ELb0ES3_jN6thrust23THRUST_200600_302600_NS6detail15normal_iteratorINSA_10device_ptrIyEEEEPS6_NSA_18transform_iteratorI7is_evenIyESF_NSA_11use_defaultESK_EENS0_5tupleIJSF_SF_EEENSM_IJSG_SG_EEES6_PlJS6_EEE10hipError_tPvRmT3_T4_T5_T6_T7_T9_mT8_P12ihipStream_tbDpT10_ENKUlT_T0_E_clISt17integral_constantIbLb1EES18_IbLb0EEEEDaS14_S15_EUlS14_E_NS1_11comp_targetILNS1_3genE0ELNS1_11target_archE4294967295ELNS1_3gpuE0ELNS1_3repE0EEENS1_30default_config_static_selectorELNS0_4arch9wavefront6targetE1EEEvT1_, .Lfunc_end2219-_ZN7rocprim17ROCPRIM_400000_NS6detail17trampoline_kernelINS0_14default_configENS1_25partition_config_selectorILNS1_17partition_subalgoE1EyNS0_10empty_typeEbEEZZNS1_14partition_implILS5_1ELb0ES3_jN6thrust23THRUST_200600_302600_NS6detail15normal_iteratorINSA_10device_ptrIyEEEEPS6_NSA_18transform_iteratorI7is_evenIyESF_NSA_11use_defaultESK_EENS0_5tupleIJSF_SF_EEENSM_IJSG_SG_EEES6_PlJS6_EEE10hipError_tPvRmT3_T4_T5_T6_T7_T9_mT8_P12ihipStream_tbDpT10_ENKUlT_T0_E_clISt17integral_constantIbLb1EES18_IbLb0EEEEDaS14_S15_EUlS14_E_NS1_11comp_targetILNS1_3genE0ELNS1_11target_archE4294967295ELNS1_3gpuE0ELNS1_3repE0EEENS1_30default_config_static_selectorELNS0_4arch9wavefront6targetE1EEEvT1_
                                        ; -- End function
	.section	.AMDGPU.csdata,"",@progbits
; Kernel info:
; codeLenInByte = 0
; NumSgprs: 4
; NumVgprs: 0
; NumAgprs: 0
; TotalNumVgprs: 0
; ScratchSize: 0
; MemoryBound: 0
; FloatMode: 240
; IeeeMode: 1
; LDSByteSize: 0 bytes/workgroup (compile time only)
; SGPRBlocks: 0
; VGPRBlocks: 0
; NumSGPRsForWavesPerEU: 4
; NumVGPRsForWavesPerEU: 1
; AccumOffset: 4
; Occupancy: 8
; WaveLimiterHint : 0
; COMPUTE_PGM_RSRC2:SCRATCH_EN: 0
; COMPUTE_PGM_RSRC2:USER_SGPR: 6
; COMPUTE_PGM_RSRC2:TRAP_HANDLER: 0
; COMPUTE_PGM_RSRC2:TGID_X_EN: 1
; COMPUTE_PGM_RSRC2:TGID_Y_EN: 0
; COMPUTE_PGM_RSRC2:TGID_Z_EN: 0
; COMPUTE_PGM_RSRC2:TIDIG_COMP_CNT: 0
; COMPUTE_PGM_RSRC3_GFX90A:ACCUM_OFFSET: 0
; COMPUTE_PGM_RSRC3_GFX90A:TG_SPLIT: 0
	.section	.text._ZN7rocprim17ROCPRIM_400000_NS6detail17trampoline_kernelINS0_14default_configENS1_25partition_config_selectorILNS1_17partition_subalgoE1EyNS0_10empty_typeEbEEZZNS1_14partition_implILS5_1ELb0ES3_jN6thrust23THRUST_200600_302600_NS6detail15normal_iteratorINSA_10device_ptrIyEEEEPS6_NSA_18transform_iteratorI7is_evenIyESF_NSA_11use_defaultESK_EENS0_5tupleIJSF_SF_EEENSM_IJSG_SG_EEES6_PlJS6_EEE10hipError_tPvRmT3_T4_T5_T6_T7_T9_mT8_P12ihipStream_tbDpT10_ENKUlT_T0_E_clISt17integral_constantIbLb1EES18_IbLb0EEEEDaS14_S15_EUlS14_E_NS1_11comp_targetILNS1_3genE5ELNS1_11target_archE942ELNS1_3gpuE9ELNS1_3repE0EEENS1_30default_config_static_selectorELNS0_4arch9wavefront6targetE1EEEvT1_,"axG",@progbits,_ZN7rocprim17ROCPRIM_400000_NS6detail17trampoline_kernelINS0_14default_configENS1_25partition_config_selectorILNS1_17partition_subalgoE1EyNS0_10empty_typeEbEEZZNS1_14partition_implILS5_1ELb0ES3_jN6thrust23THRUST_200600_302600_NS6detail15normal_iteratorINSA_10device_ptrIyEEEEPS6_NSA_18transform_iteratorI7is_evenIyESF_NSA_11use_defaultESK_EENS0_5tupleIJSF_SF_EEENSM_IJSG_SG_EEES6_PlJS6_EEE10hipError_tPvRmT3_T4_T5_T6_T7_T9_mT8_P12ihipStream_tbDpT10_ENKUlT_T0_E_clISt17integral_constantIbLb1EES18_IbLb0EEEEDaS14_S15_EUlS14_E_NS1_11comp_targetILNS1_3genE5ELNS1_11target_archE942ELNS1_3gpuE9ELNS1_3repE0EEENS1_30default_config_static_selectorELNS0_4arch9wavefront6targetE1EEEvT1_,comdat
	.protected	_ZN7rocprim17ROCPRIM_400000_NS6detail17trampoline_kernelINS0_14default_configENS1_25partition_config_selectorILNS1_17partition_subalgoE1EyNS0_10empty_typeEbEEZZNS1_14partition_implILS5_1ELb0ES3_jN6thrust23THRUST_200600_302600_NS6detail15normal_iteratorINSA_10device_ptrIyEEEEPS6_NSA_18transform_iteratorI7is_evenIyESF_NSA_11use_defaultESK_EENS0_5tupleIJSF_SF_EEENSM_IJSG_SG_EEES6_PlJS6_EEE10hipError_tPvRmT3_T4_T5_T6_T7_T9_mT8_P12ihipStream_tbDpT10_ENKUlT_T0_E_clISt17integral_constantIbLb1EES18_IbLb0EEEEDaS14_S15_EUlS14_E_NS1_11comp_targetILNS1_3genE5ELNS1_11target_archE942ELNS1_3gpuE9ELNS1_3repE0EEENS1_30default_config_static_selectorELNS0_4arch9wavefront6targetE1EEEvT1_ ; -- Begin function _ZN7rocprim17ROCPRIM_400000_NS6detail17trampoline_kernelINS0_14default_configENS1_25partition_config_selectorILNS1_17partition_subalgoE1EyNS0_10empty_typeEbEEZZNS1_14partition_implILS5_1ELb0ES3_jN6thrust23THRUST_200600_302600_NS6detail15normal_iteratorINSA_10device_ptrIyEEEEPS6_NSA_18transform_iteratorI7is_evenIyESF_NSA_11use_defaultESK_EENS0_5tupleIJSF_SF_EEENSM_IJSG_SG_EEES6_PlJS6_EEE10hipError_tPvRmT3_T4_T5_T6_T7_T9_mT8_P12ihipStream_tbDpT10_ENKUlT_T0_E_clISt17integral_constantIbLb1EES18_IbLb0EEEEDaS14_S15_EUlS14_E_NS1_11comp_targetILNS1_3genE5ELNS1_11target_archE942ELNS1_3gpuE9ELNS1_3repE0EEENS1_30default_config_static_selectorELNS0_4arch9wavefront6targetE1EEEvT1_
	.globl	_ZN7rocprim17ROCPRIM_400000_NS6detail17trampoline_kernelINS0_14default_configENS1_25partition_config_selectorILNS1_17partition_subalgoE1EyNS0_10empty_typeEbEEZZNS1_14partition_implILS5_1ELb0ES3_jN6thrust23THRUST_200600_302600_NS6detail15normal_iteratorINSA_10device_ptrIyEEEEPS6_NSA_18transform_iteratorI7is_evenIyESF_NSA_11use_defaultESK_EENS0_5tupleIJSF_SF_EEENSM_IJSG_SG_EEES6_PlJS6_EEE10hipError_tPvRmT3_T4_T5_T6_T7_T9_mT8_P12ihipStream_tbDpT10_ENKUlT_T0_E_clISt17integral_constantIbLb1EES18_IbLb0EEEEDaS14_S15_EUlS14_E_NS1_11comp_targetILNS1_3genE5ELNS1_11target_archE942ELNS1_3gpuE9ELNS1_3repE0EEENS1_30default_config_static_selectorELNS0_4arch9wavefront6targetE1EEEvT1_
	.p2align	8
	.type	_ZN7rocprim17ROCPRIM_400000_NS6detail17trampoline_kernelINS0_14default_configENS1_25partition_config_selectorILNS1_17partition_subalgoE1EyNS0_10empty_typeEbEEZZNS1_14partition_implILS5_1ELb0ES3_jN6thrust23THRUST_200600_302600_NS6detail15normal_iteratorINSA_10device_ptrIyEEEEPS6_NSA_18transform_iteratorI7is_evenIyESF_NSA_11use_defaultESK_EENS0_5tupleIJSF_SF_EEENSM_IJSG_SG_EEES6_PlJS6_EEE10hipError_tPvRmT3_T4_T5_T6_T7_T9_mT8_P12ihipStream_tbDpT10_ENKUlT_T0_E_clISt17integral_constantIbLb1EES18_IbLb0EEEEDaS14_S15_EUlS14_E_NS1_11comp_targetILNS1_3genE5ELNS1_11target_archE942ELNS1_3gpuE9ELNS1_3repE0EEENS1_30default_config_static_selectorELNS0_4arch9wavefront6targetE1EEEvT1_,@function
_ZN7rocprim17ROCPRIM_400000_NS6detail17trampoline_kernelINS0_14default_configENS1_25partition_config_selectorILNS1_17partition_subalgoE1EyNS0_10empty_typeEbEEZZNS1_14partition_implILS5_1ELb0ES3_jN6thrust23THRUST_200600_302600_NS6detail15normal_iteratorINSA_10device_ptrIyEEEEPS6_NSA_18transform_iteratorI7is_evenIyESF_NSA_11use_defaultESK_EENS0_5tupleIJSF_SF_EEENSM_IJSG_SG_EEES6_PlJS6_EEE10hipError_tPvRmT3_T4_T5_T6_T7_T9_mT8_P12ihipStream_tbDpT10_ENKUlT_T0_E_clISt17integral_constantIbLb1EES18_IbLb0EEEEDaS14_S15_EUlS14_E_NS1_11comp_targetILNS1_3genE5ELNS1_11target_archE942ELNS1_3gpuE9ELNS1_3repE0EEENS1_30default_config_static_selectorELNS0_4arch9wavefront6targetE1EEEvT1_: ; @_ZN7rocprim17ROCPRIM_400000_NS6detail17trampoline_kernelINS0_14default_configENS1_25partition_config_selectorILNS1_17partition_subalgoE1EyNS0_10empty_typeEbEEZZNS1_14partition_implILS5_1ELb0ES3_jN6thrust23THRUST_200600_302600_NS6detail15normal_iteratorINSA_10device_ptrIyEEEEPS6_NSA_18transform_iteratorI7is_evenIyESF_NSA_11use_defaultESK_EENS0_5tupleIJSF_SF_EEENSM_IJSG_SG_EEES6_PlJS6_EEE10hipError_tPvRmT3_T4_T5_T6_T7_T9_mT8_P12ihipStream_tbDpT10_ENKUlT_T0_E_clISt17integral_constantIbLb1EES18_IbLb0EEEEDaS14_S15_EUlS14_E_NS1_11comp_targetILNS1_3genE5ELNS1_11target_archE942ELNS1_3gpuE9ELNS1_3repE0EEENS1_30default_config_static_selectorELNS0_4arch9wavefront6targetE1EEEvT1_
; %bb.0:
	.section	.rodata,"a",@progbits
	.p2align	6, 0x0
	.amdhsa_kernel _ZN7rocprim17ROCPRIM_400000_NS6detail17trampoline_kernelINS0_14default_configENS1_25partition_config_selectorILNS1_17partition_subalgoE1EyNS0_10empty_typeEbEEZZNS1_14partition_implILS5_1ELb0ES3_jN6thrust23THRUST_200600_302600_NS6detail15normal_iteratorINSA_10device_ptrIyEEEEPS6_NSA_18transform_iteratorI7is_evenIyESF_NSA_11use_defaultESK_EENS0_5tupleIJSF_SF_EEENSM_IJSG_SG_EEES6_PlJS6_EEE10hipError_tPvRmT3_T4_T5_T6_T7_T9_mT8_P12ihipStream_tbDpT10_ENKUlT_T0_E_clISt17integral_constantIbLb1EES18_IbLb0EEEEDaS14_S15_EUlS14_E_NS1_11comp_targetILNS1_3genE5ELNS1_11target_archE942ELNS1_3gpuE9ELNS1_3repE0EEENS1_30default_config_static_selectorELNS0_4arch9wavefront6targetE1EEEvT1_
		.amdhsa_group_segment_fixed_size 0
		.amdhsa_private_segment_fixed_size 0
		.amdhsa_kernarg_size 128
		.amdhsa_user_sgpr_count 6
		.amdhsa_user_sgpr_private_segment_buffer 1
		.amdhsa_user_sgpr_dispatch_ptr 0
		.amdhsa_user_sgpr_queue_ptr 0
		.amdhsa_user_sgpr_kernarg_segment_ptr 1
		.amdhsa_user_sgpr_dispatch_id 0
		.amdhsa_user_sgpr_flat_scratch_init 0
		.amdhsa_user_sgpr_kernarg_preload_length 0
		.amdhsa_user_sgpr_kernarg_preload_offset 0
		.amdhsa_user_sgpr_private_segment_size 0
		.amdhsa_uses_dynamic_stack 0
		.amdhsa_system_sgpr_private_segment_wavefront_offset 0
		.amdhsa_system_sgpr_workgroup_id_x 1
		.amdhsa_system_sgpr_workgroup_id_y 0
		.amdhsa_system_sgpr_workgroup_id_z 0
		.amdhsa_system_sgpr_workgroup_info 0
		.amdhsa_system_vgpr_workitem_id 0
		.amdhsa_next_free_vgpr 1
		.amdhsa_next_free_sgpr 0
		.amdhsa_accum_offset 4
		.amdhsa_reserve_vcc 0
		.amdhsa_reserve_flat_scratch 0
		.amdhsa_float_round_mode_32 0
		.amdhsa_float_round_mode_16_64 0
		.amdhsa_float_denorm_mode_32 3
		.amdhsa_float_denorm_mode_16_64 3
		.amdhsa_dx10_clamp 1
		.amdhsa_ieee_mode 1
		.amdhsa_fp16_overflow 0
		.amdhsa_tg_split 0
		.amdhsa_exception_fp_ieee_invalid_op 0
		.amdhsa_exception_fp_denorm_src 0
		.amdhsa_exception_fp_ieee_div_zero 0
		.amdhsa_exception_fp_ieee_overflow 0
		.amdhsa_exception_fp_ieee_underflow 0
		.amdhsa_exception_fp_ieee_inexact 0
		.amdhsa_exception_int_div_zero 0
	.end_amdhsa_kernel
	.section	.text._ZN7rocprim17ROCPRIM_400000_NS6detail17trampoline_kernelINS0_14default_configENS1_25partition_config_selectorILNS1_17partition_subalgoE1EyNS0_10empty_typeEbEEZZNS1_14partition_implILS5_1ELb0ES3_jN6thrust23THRUST_200600_302600_NS6detail15normal_iteratorINSA_10device_ptrIyEEEEPS6_NSA_18transform_iteratorI7is_evenIyESF_NSA_11use_defaultESK_EENS0_5tupleIJSF_SF_EEENSM_IJSG_SG_EEES6_PlJS6_EEE10hipError_tPvRmT3_T4_T5_T6_T7_T9_mT8_P12ihipStream_tbDpT10_ENKUlT_T0_E_clISt17integral_constantIbLb1EES18_IbLb0EEEEDaS14_S15_EUlS14_E_NS1_11comp_targetILNS1_3genE5ELNS1_11target_archE942ELNS1_3gpuE9ELNS1_3repE0EEENS1_30default_config_static_selectorELNS0_4arch9wavefront6targetE1EEEvT1_,"axG",@progbits,_ZN7rocprim17ROCPRIM_400000_NS6detail17trampoline_kernelINS0_14default_configENS1_25partition_config_selectorILNS1_17partition_subalgoE1EyNS0_10empty_typeEbEEZZNS1_14partition_implILS5_1ELb0ES3_jN6thrust23THRUST_200600_302600_NS6detail15normal_iteratorINSA_10device_ptrIyEEEEPS6_NSA_18transform_iteratorI7is_evenIyESF_NSA_11use_defaultESK_EENS0_5tupleIJSF_SF_EEENSM_IJSG_SG_EEES6_PlJS6_EEE10hipError_tPvRmT3_T4_T5_T6_T7_T9_mT8_P12ihipStream_tbDpT10_ENKUlT_T0_E_clISt17integral_constantIbLb1EES18_IbLb0EEEEDaS14_S15_EUlS14_E_NS1_11comp_targetILNS1_3genE5ELNS1_11target_archE942ELNS1_3gpuE9ELNS1_3repE0EEENS1_30default_config_static_selectorELNS0_4arch9wavefront6targetE1EEEvT1_,comdat
.Lfunc_end2220:
	.size	_ZN7rocprim17ROCPRIM_400000_NS6detail17trampoline_kernelINS0_14default_configENS1_25partition_config_selectorILNS1_17partition_subalgoE1EyNS0_10empty_typeEbEEZZNS1_14partition_implILS5_1ELb0ES3_jN6thrust23THRUST_200600_302600_NS6detail15normal_iteratorINSA_10device_ptrIyEEEEPS6_NSA_18transform_iteratorI7is_evenIyESF_NSA_11use_defaultESK_EENS0_5tupleIJSF_SF_EEENSM_IJSG_SG_EEES6_PlJS6_EEE10hipError_tPvRmT3_T4_T5_T6_T7_T9_mT8_P12ihipStream_tbDpT10_ENKUlT_T0_E_clISt17integral_constantIbLb1EES18_IbLb0EEEEDaS14_S15_EUlS14_E_NS1_11comp_targetILNS1_3genE5ELNS1_11target_archE942ELNS1_3gpuE9ELNS1_3repE0EEENS1_30default_config_static_selectorELNS0_4arch9wavefront6targetE1EEEvT1_, .Lfunc_end2220-_ZN7rocprim17ROCPRIM_400000_NS6detail17trampoline_kernelINS0_14default_configENS1_25partition_config_selectorILNS1_17partition_subalgoE1EyNS0_10empty_typeEbEEZZNS1_14partition_implILS5_1ELb0ES3_jN6thrust23THRUST_200600_302600_NS6detail15normal_iteratorINSA_10device_ptrIyEEEEPS6_NSA_18transform_iteratorI7is_evenIyESF_NSA_11use_defaultESK_EENS0_5tupleIJSF_SF_EEENSM_IJSG_SG_EEES6_PlJS6_EEE10hipError_tPvRmT3_T4_T5_T6_T7_T9_mT8_P12ihipStream_tbDpT10_ENKUlT_T0_E_clISt17integral_constantIbLb1EES18_IbLb0EEEEDaS14_S15_EUlS14_E_NS1_11comp_targetILNS1_3genE5ELNS1_11target_archE942ELNS1_3gpuE9ELNS1_3repE0EEENS1_30default_config_static_selectorELNS0_4arch9wavefront6targetE1EEEvT1_
                                        ; -- End function
	.section	.AMDGPU.csdata,"",@progbits
; Kernel info:
; codeLenInByte = 0
; NumSgprs: 4
; NumVgprs: 0
; NumAgprs: 0
; TotalNumVgprs: 0
; ScratchSize: 0
; MemoryBound: 0
; FloatMode: 240
; IeeeMode: 1
; LDSByteSize: 0 bytes/workgroup (compile time only)
; SGPRBlocks: 0
; VGPRBlocks: 0
; NumSGPRsForWavesPerEU: 4
; NumVGPRsForWavesPerEU: 1
; AccumOffset: 4
; Occupancy: 8
; WaveLimiterHint : 0
; COMPUTE_PGM_RSRC2:SCRATCH_EN: 0
; COMPUTE_PGM_RSRC2:USER_SGPR: 6
; COMPUTE_PGM_RSRC2:TRAP_HANDLER: 0
; COMPUTE_PGM_RSRC2:TGID_X_EN: 1
; COMPUTE_PGM_RSRC2:TGID_Y_EN: 0
; COMPUTE_PGM_RSRC2:TGID_Z_EN: 0
; COMPUTE_PGM_RSRC2:TIDIG_COMP_CNT: 0
; COMPUTE_PGM_RSRC3_GFX90A:ACCUM_OFFSET: 0
; COMPUTE_PGM_RSRC3_GFX90A:TG_SPLIT: 0
	.section	.text._ZN7rocprim17ROCPRIM_400000_NS6detail17trampoline_kernelINS0_14default_configENS1_25partition_config_selectorILNS1_17partition_subalgoE1EyNS0_10empty_typeEbEEZZNS1_14partition_implILS5_1ELb0ES3_jN6thrust23THRUST_200600_302600_NS6detail15normal_iteratorINSA_10device_ptrIyEEEEPS6_NSA_18transform_iteratorI7is_evenIyESF_NSA_11use_defaultESK_EENS0_5tupleIJSF_SF_EEENSM_IJSG_SG_EEES6_PlJS6_EEE10hipError_tPvRmT3_T4_T5_T6_T7_T9_mT8_P12ihipStream_tbDpT10_ENKUlT_T0_E_clISt17integral_constantIbLb1EES18_IbLb0EEEEDaS14_S15_EUlS14_E_NS1_11comp_targetILNS1_3genE4ELNS1_11target_archE910ELNS1_3gpuE8ELNS1_3repE0EEENS1_30default_config_static_selectorELNS0_4arch9wavefront6targetE1EEEvT1_,"axG",@progbits,_ZN7rocprim17ROCPRIM_400000_NS6detail17trampoline_kernelINS0_14default_configENS1_25partition_config_selectorILNS1_17partition_subalgoE1EyNS0_10empty_typeEbEEZZNS1_14partition_implILS5_1ELb0ES3_jN6thrust23THRUST_200600_302600_NS6detail15normal_iteratorINSA_10device_ptrIyEEEEPS6_NSA_18transform_iteratorI7is_evenIyESF_NSA_11use_defaultESK_EENS0_5tupleIJSF_SF_EEENSM_IJSG_SG_EEES6_PlJS6_EEE10hipError_tPvRmT3_T4_T5_T6_T7_T9_mT8_P12ihipStream_tbDpT10_ENKUlT_T0_E_clISt17integral_constantIbLb1EES18_IbLb0EEEEDaS14_S15_EUlS14_E_NS1_11comp_targetILNS1_3genE4ELNS1_11target_archE910ELNS1_3gpuE8ELNS1_3repE0EEENS1_30default_config_static_selectorELNS0_4arch9wavefront6targetE1EEEvT1_,comdat
	.protected	_ZN7rocprim17ROCPRIM_400000_NS6detail17trampoline_kernelINS0_14default_configENS1_25partition_config_selectorILNS1_17partition_subalgoE1EyNS0_10empty_typeEbEEZZNS1_14partition_implILS5_1ELb0ES3_jN6thrust23THRUST_200600_302600_NS6detail15normal_iteratorINSA_10device_ptrIyEEEEPS6_NSA_18transform_iteratorI7is_evenIyESF_NSA_11use_defaultESK_EENS0_5tupleIJSF_SF_EEENSM_IJSG_SG_EEES6_PlJS6_EEE10hipError_tPvRmT3_T4_T5_T6_T7_T9_mT8_P12ihipStream_tbDpT10_ENKUlT_T0_E_clISt17integral_constantIbLb1EES18_IbLb0EEEEDaS14_S15_EUlS14_E_NS1_11comp_targetILNS1_3genE4ELNS1_11target_archE910ELNS1_3gpuE8ELNS1_3repE0EEENS1_30default_config_static_selectorELNS0_4arch9wavefront6targetE1EEEvT1_ ; -- Begin function _ZN7rocprim17ROCPRIM_400000_NS6detail17trampoline_kernelINS0_14default_configENS1_25partition_config_selectorILNS1_17partition_subalgoE1EyNS0_10empty_typeEbEEZZNS1_14partition_implILS5_1ELb0ES3_jN6thrust23THRUST_200600_302600_NS6detail15normal_iteratorINSA_10device_ptrIyEEEEPS6_NSA_18transform_iteratorI7is_evenIyESF_NSA_11use_defaultESK_EENS0_5tupleIJSF_SF_EEENSM_IJSG_SG_EEES6_PlJS6_EEE10hipError_tPvRmT3_T4_T5_T6_T7_T9_mT8_P12ihipStream_tbDpT10_ENKUlT_T0_E_clISt17integral_constantIbLb1EES18_IbLb0EEEEDaS14_S15_EUlS14_E_NS1_11comp_targetILNS1_3genE4ELNS1_11target_archE910ELNS1_3gpuE8ELNS1_3repE0EEENS1_30default_config_static_selectorELNS0_4arch9wavefront6targetE1EEEvT1_
	.globl	_ZN7rocprim17ROCPRIM_400000_NS6detail17trampoline_kernelINS0_14default_configENS1_25partition_config_selectorILNS1_17partition_subalgoE1EyNS0_10empty_typeEbEEZZNS1_14partition_implILS5_1ELb0ES3_jN6thrust23THRUST_200600_302600_NS6detail15normal_iteratorINSA_10device_ptrIyEEEEPS6_NSA_18transform_iteratorI7is_evenIyESF_NSA_11use_defaultESK_EENS0_5tupleIJSF_SF_EEENSM_IJSG_SG_EEES6_PlJS6_EEE10hipError_tPvRmT3_T4_T5_T6_T7_T9_mT8_P12ihipStream_tbDpT10_ENKUlT_T0_E_clISt17integral_constantIbLb1EES18_IbLb0EEEEDaS14_S15_EUlS14_E_NS1_11comp_targetILNS1_3genE4ELNS1_11target_archE910ELNS1_3gpuE8ELNS1_3repE0EEENS1_30default_config_static_selectorELNS0_4arch9wavefront6targetE1EEEvT1_
	.p2align	8
	.type	_ZN7rocprim17ROCPRIM_400000_NS6detail17trampoline_kernelINS0_14default_configENS1_25partition_config_selectorILNS1_17partition_subalgoE1EyNS0_10empty_typeEbEEZZNS1_14partition_implILS5_1ELb0ES3_jN6thrust23THRUST_200600_302600_NS6detail15normal_iteratorINSA_10device_ptrIyEEEEPS6_NSA_18transform_iteratorI7is_evenIyESF_NSA_11use_defaultESK_EENS0_5tupleIJSF_SF_EEENSM_IJSG_SG_EEES6_PlJS6_EEE10hipError_tPvRmT3_T4_T5_T6_T7_T9_mT8_P12ihipStream_tbDpT10_ENKUlT_T0_E_clISt17integral_constantIbLb1EES18_IbLb0EEEEDaS14_S15_EUlS14_E_NS1_11comp_targetILNS1_3genE4ELNS1_11target_archE910ELNS1_3gpuE8ELNS1_3repE0EEENS1_30default_config_static_selectorELNS0_4arch9wavefront6targetE1EEEvT1_,@function
_ZN7rocprim17ROCPRIM_400000_NS6detail17trampoline_kernelINS0_14default_configENS1_25partition_config_selectorILNS1_17partition_subalgoE1EyNS0_10empty_typeEbEEZZNS1_14partition_implILS5_1ELb0ES3_jN6thrust23THRUST_200600_302600_NS6detail15normal_iteratorINSA_10device_ptrIyEEEEPS6_NSA_18transform_iteratorI7is_evenIyESF_NSA_11use_defaultESK_EENS0_5tupleIJSF_SF_EEENSM_IJSG_SG_EEES6_PlJS6_EEE10hipError_tPvRmT3_T4_T5_T6_T7_T9_mT8_P12ihipStream_tbDpT10_ENKUlT_T0_E_clISt17integral_constantIbLb1EES18_IbLb0EEEEDaS14_S15_EUlS14_E_NS1_11comp_targetILNS1_3genE4ELNS1_11target_archE910ELNS1_3gpuE8ELNS1_3repE0EEENS1_30default_config_static_selectorELNS0_4arch9wavefront6targetE1EEEvT1_: ; @_ZN7rocprim17ROCPRIM_400000_NS6detail17trampoline_kernelINS0_14default_configENS1_25partition_config_selectorILNS1_17partition_subalgoE1EyNS0_10empty_typeEbEEZZNS1_14partition_implILS5_1ELb0ES3_jN6thrust23THRUST_200600_302600_NS6detail15normal_iteratorINSA_10device_ptrIyEEEEPS6_NSA_18transform_iteratorI7is_evenIyESF_NSA_11use_defaultESK_EENS0_5tupleIJSF_SF_EEENSM_IJSG_SG_EEES6_PlJS6_EEE10hipError_tPvRmT3_T4_T5_T6_T7_T9_mT8_P12ihipStream_tbDpT10_ENKUlT_T0_E_clISt17integral_constantIbLb1EES18_IbLb0EEEEDaS14_S15_EUlS14_E_NS1_11comp_targetILNS1_3genE4ELNS1_11target_archE910ELNS1_3gpuE8ELNS1_3repE0EEENS1_30default_config_static_selectorELNS0_4arch9wavefront6targetE1EEEvT1_
; %bb.0:
	s_load_dwordx2 s[0:1], s[4:5], 0x60
	s_load_dwordx4 s[24:27], s[4:5], 0x8
	s_load_dwordx2 s[2:3], s[4:5], 0x20
	s_load_dwordx4 s[20:23], s[4:5], 0x50
	s_mul_i32 s10, s6, 0x300
	s_waitcnt lgkmcnt(0)
	v_mov_b32_e32 v3, s1
	s_load_dword s1, s[4:5], 0x78
	s_lshl_b64 s[8:9], s[26:27], 3
	s_add_u32 s7, s24, s8
	s_addc_u32 s12, s25, s9
	v_mov_b32_e32 v2, s0
	s_waitcnt lgkmcnt(0)
	s_add_i32 s13, s1, -1
	s_mulk_i32 s1, 0x300
	s_add_i32 s11, s1, s26
	s_sub_i32 s33, s0, s11
	s_addk_i32 s33, 0x300
	s_add_u32 s0, s26, s1
	s_addc_u32 s1, s27, 0
	s_cmp_eq_u32 s6, s13
	s_load_dwordx2 s[30:31], s[22:23], 0x0
	s_cselect_b64 s[22:23], -1, 0
	s_cmp_lg_u32 s6, s13
	s_mov_b32 s11, 0
	v_cmp_lt_u64_e32 vcc, s[0:1], v[2:3]
	s_cselect_b64 s[0:1], -1, 0
	s_or_b64 s[24:25], s[0:1], vcc
	s_lshl_b64 s[28:29], s[10:11], 3
	s_add_u32 s7, s7, s28
	s_addc_u32 s12, s12, s29
	s_mov_b64 s[0:1], -1
	s_and_b64 vcc, exec, s[24:25]
	v_lshlrev_b32_e32 v1, 3, v0
	v_lshrrev_b32_e32 v10, 2, v0
	s_cbranch_vccz .LBB2221_2
; %bb.1:
	v_mov_b32_e32 v3, s12
	v_add_co_u32_e32 v2, vcc, s7, v1
	v_addc_co_u32_e32 v3, vcc, 0, v3, vcc
	v_add_co_u32_e32 v4, vcc, 0x1000, v2
	v_addc_co_u32_e32 v5, vcc, 0, v3, vcc
	flat_load_dwordx2 v[6:7], v[2:3]
	flat_load_dwordx2 v[8:9], v[2:3] offset:1536
	flat_load_dwordx2 v[12:13], v[2:3] offset:3072
	;; [unrolled: 1-line block ×3, first 2 shown]
	v_add_u32_e32 v3, 0xc0, v0
	v_add_u32_e32 v4, 0x180, v0
	;; [unrolled: 1-line block ×3, first 2 shown]
	v_and_b32_e32 v2, 56, v10
	v_lshrrev_b32_e32 v3, 2, v3
	v_lshrrev_b32_e32 v4, 2, v4
	;; [unrolled: 1-line block ×3, first 2 shown]
	v_add_u32_e32 v2, v2, v1
	v_and_b32_e32 v3, 0x78, v3
	v_and_b32_e32 v4, 0xf8, v4
	;; [unrolled: 1-line block ×3, first 2 shown]
	v_add_u32_e32 v3, v3, v1
	v_add_u32_e32 v4, v4, v1
	v_add_u32_e32 v5, v5, v1
	s_mov_b64 s[0:1], 0
	s_waitcnt vmcnt(0) lgkmcnt(0)
	ds_write_b64 v2, v[6:7]
	ds_write_b64 v3, v[8:9] offset:1536
	ds_write_b64 v4, v[12:13] offset:3072
	;; [unrolled: 1-line block ×3, first 2 shown]
	s_waitcnt lgkmcnt(0)
	s_barrier
.LBB2221_2:
	s_andn2_b64 vcc, exec, s[0:1]
	v_cmp_gt_u32_e64 s[0:1], s33, v0
	s_cbranch_vccnz .LBB2221_12
; %bb.3:
                                        ; implicit-def: $vgpr2_vgpr3_vgpr4_vgpr5_vgpr6_vgpr7_vgpr8_vgpr9
	s_and_saveexec_b64 s[10:11], s[0:1]
	s_cbranch_execz .LBB2221_5
; %bb.4:
	v_mov_b32_e32 v3, s12
	v_add_co_u32_e32 v2, vcc, s7, v1
	v_addc_co_u32_e32 v3, vcc, 0, v3, vcc
	flat_load_dwordx2 v[2:3], v[2:3]
.LBB2221_5:
	s_or_b64 exec, exec, s[10:11]
	v_add_u32_e32 v11, 0xc0, v0
	v_cmp_gt_u32_e32 vcc, s33, v11
	s_and_saveexec_b64 s[0:1], vcc
	s_cbranch_execz .LBB2221_7
; %bb.6:
	v_mov_b32_e32 v5, s12
	v_add_co_u32_e32 v4, vcc, s7, v1
	v_addc_co_u32_e32 v5, vcc, 0, v5, vcc
	flat_load_dwordx2 v[4:5], v[4:5] offset:1536
.LBB2221_7:
	s_or_b64 exec, exec, s[0:1]
	v_add_u32_e32 v12, 0x180, v0
	v_cmp_gt_u32_e32 vcc, s33, v12
	s_and_saveexec_b64 s[0:1], vcc
	s_cbranch_execz .LBB2221_9
; %bb.8:
	v_mov_b32_e32 v7, s12
	v_add_co_u32_e32 v6, vcc, s7, v1
	v_addc_co_u32_e32 v7, vcc, 0, v7, vcc
	flat_load_dwordx2 v[6:7], v[6:7] offset:3072
.LBB2221_9:
	s_or_b64 exec, exec, s[0:1]
	v_add_u32_e32 v13, 0x240, v0
	v_cmp_gt_u32_e32 vcc, s33, v13
	s_and_saveexec_b64 s[0:1], vcc
	s_cbranch_execz .LBB2221_11
; %bb.10:
	v_lshlrev_b32_e32 v8, 3, v13
	v_mov_b32_e32 v9, s12
	v_add_co_u32_e32 v8, vcc, s7, v8
	v_addc_co_u32_e32 v9, vcc, 0, v9, vcc
	flat_load_dwordx2 v[8:9], v[8:9]
.LBB2221_11:
	s_or_b64 exec, exec, s[0:1]
	v_and_b32_e32 v10, 56, v10
	v_add_u32_e32 v10, v10, v1
	s_waitcnt vmcnt(0) lgkmcnt(0)
	ds_write_b64 v10, v[2:3]
	v_lshrrev_b32_e32 v2, 2, v11
	v_and_b32_e32 v2, 0x78, v2
	v_add_u32_e32 v2, v2, v1
	ds_write_b64 v2, v[4:5] offset:1536
	v_lshrrev_b32_e32 v2, 2, v12
	v_and_b32_e32 v2, 0xf8, v2
	v_add_u32_e32 v2, v2, v1
	ds_write_b64 v2, v[6:7] offset:3072
	;; [unrolled: 4-line block ×3, first 2 shown]
	s_waitcnt lgkmcnt(0)
	s_barrier
.LBB2221_12:
	v_lshlrev_b32_e32 v20, 2, v0
	v_lshrrev_b32_e32 v10, 3, v0
	v_add_lshl_u32 v2, v10, v20, 3
	s_waitcnt lgkmcnt(0)
	ds_read2_b64 v[6:9], v2 offset1:1
	ds_read2_b64 v[2:5], v2 offset0:2 offset1:3
	s_add_u32 s0, s2, s8
	s_addc_u32 s1, s3, s9
	s_add_u32 s0, s0, s28
	s_addc_u32 s1, s1, s29
	s_mov_b64 s[2:3], -1
	s_and_b64 vcc, exec, s[24:25]
	v_lshrrev_b32_e32 v11, 5, v0
	s_waitcnt lgkmcnt(0)
	s_barrier
	s_cbranch_vccz .LBB2221_14
; %bb.13:
	global_load_dwordx2 v[12:13], v1, s[0:1]
	global_load_dwordx2 v[14:15], v1, s[0:1] offset:1536
	global_load_dwordx2 v[16:17], v1, s[0:1] offset:3072
	v_mov_b32_e32 v18, s1
	s_waitcnt vmcnt(2)
	v_add_co_u32_e32 v13, vcc, s0, v1
	s_waitcnt vmcnt(1)
	v_addc_co_u32_e32 v15, vcc, 0, v18, vcc
	v_add_co_u32_e32 v18, vcc, 0x1000, v13
	v_addc_co_u32_e32 v19, vcc, 0, v15, vcc
	global_load_dwordx2 v[18:19], v[18:19], off offset:512
	v_add_u32_e32 v15, 0xc0, v0
	s_waitcnt vmcnt(1)
	v_add_u32_e32 v17, 0x180, v0
	v_and_b32_e32 v13, 4, v11
	s_waitcnt vmcnt(0)
	v_add_u32_e32 v19, 0x240, v0
	v_lshrrev_b32_e32 v15, 5, v15
	v_lshrrev_b32_e32 v17, 5, v17
	v_add_u32_e32 v13, v13, v0
	v_lshrrev_b32_e32 v19, 5, v19
	v_and_b32_e32 v15, 12, v15
	v_and_b32_e32 v17, 28, v17
	;; [unrolled: 1-line block ×3, first 2 shown]
	v_add_u32_e32 v15, v15, v0
	v_add_u32_e32 v17, v17, v0
	;; [unrolled: 1-line block ×3, first 2 shown]
	s_mov_b64 s[2:3], 0
	v_xor_b32_e32 v12, -1, v12
	v_xor_b32_e32 v14, -1, v14
	;; [unrolled: 1-line block ×3, first 2 shown]
	v_and_b32_e32 v12, 1, v12
	v_and_b32_e32 v14, 1, v14
	;; [unrolled: 1-line block ×3, first 2 shown]
	ds_write_b8 v13, v12
	ds_write_b8 v15, v14 offset:192
	ds_write_b8 v17, v16 offset:384
	v_xor_b32_e32 v12, -1, v18
	v_and_b32_e32 v12, 1, v12
	ds_write_b8 v19, v12 offset:576
	s_waitcnt lgkmcnt(0)
	s_barrier
.LBB2221_14:
	s_load_dwordx2 s[34:35], s[4:5], 0x70
	s_andn2_b64 vcc, exec, s[2:3]
	s_cbranch_vccnz .LBB2221_24
; %bb.15:
	v_cmp_gt_u32_e32 vcc, s33, v0
	v_mov_b32_e32 v12, 0
	v_mov_b32_e32 v13, 0
	s_and_saveexec_b64 s[2:3], vcc
	s_cbranch_execz .LBB2221_17
; %bb.16:
	global_load_dwordx2 v[14:15], v1, s[0:1]
	s_waitcnt vmcnt(0)
	v_xor_b32_e32 v13, -1, v14
	v_and_b32_e32 v13, 1, v13
.LBB2221_17:
	s_or_b64 exec, exec, s[2:3]
	v_add_u32_e32 v14, 0xc0, v0
	v_cmp_gt_u32_e32 vcc, s33, v14
	s_and_saveexec_b64 s[2:3], vcc
	s_cbranch_execz .LBB2221_19
; %bb.18:
	global_load_dwordx2 v[16:17], v1, s[0:1] offset:1536
	s_waitcnt vmcnt(0)
	v_xor_b32_e32 v12, -1, v16
	v_and_b32_e32 v12, 1, v12
.LBB2221_19:
	s_or_b64 exec, exec, s[2:3]
	v_add_u32_e32 v16, 0x180, v0
	v_cmp_gt_u32_e32 vcc, s33, v16
	v_mov_b32_e32 v15, 0
	v_mov_b32_e32 v17, 0
	s_and_saveexec_b64 s[2:3], vcc
	s_cbranch_execz .LBB2221_21
; %bb.20:
	global_load_dwordx2 v[18:19], v1, s[0:1] offset:3072
	s_waitcnt vmcnt(0)
	v_xor_b32_e32 v17, -1, v18
	v_and_b32_e32 v17, 1, v17
.LBB2221_21:
	s_or_b64 exec, exec, s[2:3]
	v_add_u32_e32 v18, 0x240, v0
	v_cmp_gt_u32_e32 vcc, s33, v18
	s_and_saveexec_b64 s[2:3], vcc
	s_cbranch_execz .LBB2221_23
; %bb.22:
	v_lshlrev_b32_e32 v15, 3, v18
	global_load_dwordx2 v[22:23], v15, s[0:1]
	s_waitcnt vmcnt(0)
	v_xor_b32_e32 v15, -1, v22
	v_and_b32_e32 v15, 1, v15
.LBB2221_23:
	s_or_b64 exec, exec, s[2:3]
	v_and_b32_e32 v11, 4, v11
	v_add_u32_e32 v11, v11, v0
	ds_write_b8 v11, v13
	v_lshrrev_b32_e32 v11, 5, v14
	v_and_b32_e32 v11, 12, v11
	v_add_u32_e32 v11, v11, v0
	ds_write_b8 v11, v12 offset:192
	v_lshrrev_b32_e32 v11, 5, v16
	v_and_b32_e32 v11, 28, v11
	v_add_u32_e32 v11, v11, v0
	ds_write_b8 v11, v17 offset:384
	;; [unrolled: 4-line block ×3, first 2 shown]
	s_waitcnt lgkmcnt(0)
	s_barrier
.LBB2221_24:
	v_and_b32_e32 v10, 28, v10
	v_add_u32_e32 v10, v10, v20
	s_waitcnt lgkmcnt(0)
	ds_read_b32 v22, v10
	s_cmp_lg_u32 s6, 0
	v_lshrrev_b32_e32 v25, 6, v0
	s_waitcnt lgkmcnt(0)
	s_barrier
	v_lshrrev_b32_e32 v21, 24, v22
	v_bfe_u32 v23, v22, 16, 8
	v_add_u32_sdwa v10, v22, v22 dst_sel:DWORD dst_unused:UNUSED_PAD src0_sel:BYTE_1 src1_sel:BYTE_0
	v_add3_u32 v26, v10, v23, v21
	v_mbcnt_lo_u32_b32 v10, -1, 0
	v_mbcnt_hi_u32_b32 v24, -1, v10
	v_and_b32_e32 v10, 15, v24
	v_cmp_eq_u32_e64 s[14:15], 0, v10
	v_cmp_lt_u32_e64 s[12:13], 1, v10
	v_cmp_lt_u32_e64 s[10:11], 3, v10
	;; [unrolled: 1-line block ×3, first 2 shown]
	v_and_b32_e32 v10, 16, v24
	v_cmp_eq_u32_e64 s[2:3], 0, v10
	v_and_b32_e32 v10, 0xc0, v0
	v_min_u32_e32 v10, 0x80, v10
	v_or_b32_e32 v10, 63, v10
	v_cmp_lt_u32_e64 s[0:1], 31, v24
	v_cmp_eq_u32_e64 s[18:19], v10, v0
	s_cbranch_scc0 .LBB2221_55
; %bb.25:
	v_mov_b32_dpp v10, v26 row_shr:1 row_mask:0xf bank_mask:0xf
	v_cndmask_b32_e64 v10, v10, 0, s[14:15]
	v_add_u32_e32 v10, v10, v26
	s_nop 1
	v_mov_b32_dpp v11, v10 row_shr:2 row_mask:0xf bank_mask:0xf
	v_cndmask_b32_e64 v11, 0, v11, s[12:13]
	v_add_u32_e32 v10, v10, v11
	s_nop 1
	;; [unrolled: 4-line block ×4, first 2 shown]
	v_mov_b32_dpp v11, v10 row_bcast:15 row_mask:0xf bank_mask:0xf
	v_cndmask_b32_e64 v11, v11, 0, s[2:3]
	v_add_u32_e32 v10, v10, v11
	s_nop 1
	v_mov_b32_dpp v11, v10 row_bcast:31 row_mask:0xf bank_mask:0xf
	v_cndmask_b32_e64 v11, 0, v11, s[0:1]
	v_add_u32_e32 v10, v10, v11
	s_and_saveexec_b64 s[16:17], s[18:19]
	s_cbranch_execz .LBB2221_27
; %bb.26:
	v_lshlrev_b32_e32 v11, 2, v25
	ds_write_b32 v11, v10
.LBB2221_27:
	s_or_b64 exec, exec, s[16:17]
	v_cmp_gt_u32_e32 vcc, 3, v0
	s_waitcnt lgkmcnt(0)
	s_barrier
	s_and_saveexec_b64 s[16:17], vcc
	s_cbranch_execz .LBB2221_29
; %bb.28:
	ds_read_b32 v11, v20
	v_and_b32_e32 v12, 3, v24
	v_cmp_ne_u32_e32 vcc, 0, v12
	s_waitcnt lgkmcnt(0)
	v_mov_b32_dpp v13, v11 row_shr:1 row_mask:0xf bank_mask:0xf
	v_cndmask_b32_e32 v13, 0, v13, vcc
	v_add_u32_e32 v11, v13, v11
	v_cmp_lt_u32_e32 vcc, 1, v12
	s_nop 0
	v_mov_b32_dpp v13, v11 row_shr:2 row_mask:0xf bank_mask:0xf
	v_cndmask_b32_e32 v12, 0, v13, vcc
	v_add_u32_e32 v11, v11, v12
	ds_write_b32 v20, v11
.LBB2221_29:
	s_or_b64 exec, exec, s[16:17]
	v_cmp_gt_u32_e32 vcc, 64, v0
	v_cmp_lt_u32_e64 s[16:17], 63, v0
	s_waitcnt lgkmcnt(0)
	s_barrier
	s_waitcnt lgkmcnt(0)
                                        ; implicit-def: $vgpr27
	s_and_saveexec_b64 s[36:37], s[16:17]
	s_cbranch_execz .LBB2221_31
; %bb.30:
	v_lshl_add_u32 v11, v25, 2, -4
	ds_read_b32 v27, v11
	s_waitcnt lgkmcnt(0)
	v_add_u32_e32 v10, v27, v10
.LBB2221_31:
	s_or_b64 exec, exec, s[36:37]
	v_add_u32_e32 v11, -1, v24
	v_and_b32_e32 v12, 64, v24
	v_cmp_lt_i32_e64 s[16:17], v11, v12
	v_cndmask_b32_e64 v11, v11, v24, s[16:17]
	v_lshlrev_b32_e32 v11, 2, v11
	ds_bpermute_b32 v28, v11, v10
	v_cmp_eq_u32_e64 s[16:17], 0, v24
	s_and_saveexec_b64 s[36:37], vcc
	s_cbranch_execz .LBB2221_54
; %bb.32:
	v_mov_b32_e32 v19, 0
	ds_read_b32 v10, v19 offset:8
	s_and_saveexec_b64 s[38:39], s[16:17]
	s_cbranch_execz .LBB2221_34
; %bb.33:
	s_add_i32 s40, s6, 64
	s_mov_b32 s41, 0
	s_lshl_b64 s[40:41], s[40:41], 3
	s_add_u32 s40, s34, s40
	v_mov_b32_e32 v11, 1
	s_addc_u32 s41, s35, s41
	s_waitcnt lgkmcnt(0)
	global_store_dwordx2 v19, v[10:11], s[40:41]
.LBB2221_34:
	s_or_b64 exec, exec, s[38:39]
	v_xad_u32 v12, v24, -1, s6
	v_add_u32_e32 v18, 64, v12
	v_lshlrev_b64 v[14:15], 3, v[18:19]
	v_mov_b32_e32 v11, s35
	v_add_co_u32_e32 v14, vcc, s34, v14
	v_addc_co_u32_e32 v15, vcc, v11, v15, vcc
	global_load_dwordx2 v[16:17], v[14:15], off glc
	s_waitcnt vmcnt(0)
	v_cmp_eq_u16_sdwa s[40:41], v17, v19 src0_sel:BYTE_0 src1_sel:DWORD
	s_and_saveexec_b64 s[38:39], s[40:41]
	s_cbranch_execz .LBB2221_40
; %bb.35:
	s_mov_b32 s7, 1
	s_mov_b64 s[40:41], 0
	v_mov_b32_e32 v11, 0
.LBB2221_36:                            ; =>This Loop Header: Depth=1
                                        ;     Child Loop BB2221_37 Depth 2
	s_max_u32 s42, s7, 1
.LBB2221_37:                            ;   Parent Loop BB2221_36 Depth=1
                                        ; =>  This Inner Loop Header: Depth=2
	s_add_i32 s42, s42, -1
	s_cmp_eq_u32 s42, 0
	s_sleep 1
	s_cbranch_scc0 .LBB2221_37
; %bb.38:                               ;   in Loop: Header=BB2221_36 Depth=1
	global_load_dwordx2 v[16:17], v[14:15], off glc
	s_cmp_lt_u32 s7, 32
	s_cselect_b64 s[42:43], -1, 0
	s_cmp_lg_u64 s[42:43], 0
	s_addc_u32 s7, s7, 0
	s_waitcnt vmcnt(0)
	v_cmp_ne_u16_sdwa s[42:43], v17, v11 src0_sel:BYTE_0 src1_sel:DWORD
	s_or_b64 s[40:41], s[42:43], s[40:41]
	s_andn2_b64 exec, exec, s[40:41]
	s_cbranch_execnz .LBB2221_36
; %bb.39:
	s_or_b64 exec, exec, s[40:41]
.LBB2221_40:
	s_or_b64 exec, exec, s[38:39]
	v_and_b32_e32 v30, 63, v24
	v_mov_b32_e32 v29, 2
	v_cmp_ne_u32_e32 vcc, 63, v30
	v_cmp_eq_u16_sdwa s[38:39], v17, v29 src0_sel:BYTE_0 src1_sel:DWORD
	v_lshlrev_b64 v[14:15], v24, -1
	v_addc_co_u32_e32 v18, vcc, 0, v24, vcc
	v_and_b32_e32 v11, s39, v15
	v_lshlrev_b32_e32 v31, 2, v18
	v_or_b32_e32 v11, 0x80000000, v11
	ds_bpermute_b32 v18, v31, v16
	v_and_b32_e32 v13, s38, v14
	v_ffbl_b32_e32 v11, v11
	v_add_u32_e32 v11, 32, v11
	v_ffbl_b32_e32 v13, v13
	v_min_u32_e32 v11, v13, v11
	v_cmp_lt_u32_e32 vcc, v30, v11
	s_waitcnt lgkmcnt(0)
	v_cndmask_b32_e32 v13, 0, v18, vcc
	v_cmp_gt_u32_e32 vcc, 62, v30
	v_add_u32_e32 v13, v13, v16
	v_cndmask_b32_e64 v16, 0, 1, vcc
	v_lshlrev_b32_e32 v16, 1, v16
	v_add_lshl_u32 v32, v16, v24, 2
	ds_bpermute_b32 v16, v32, v13
	v_add_u32_e32 v33, 2, v30
	v_cmp_le_u32_e32 vcc, v33, v11
	v_add_u32_e32 v35, 4, v30
	v_add_u32_e32 v37, 8, v30
	s_waitcnt lgkmcnt(0)
	v_cndmask_b32_e32 v16, 0, v16, vcc
	v_cmp_gt_u32_e32 vcc, 60, v30
	v_add_u32_e32 v13, v13, v16
	v_cndmask_b32_e64 v16, 0, 1, vcc
	v_lshlrev_b32_e32 v16, 2, v16
	v_add_lshl_u32 v34, v16, v24, 2
	ds_bpermute_b32 v16, v34, v13
	v_cmp_le_u32_e32 vcc, v35, v11
	v_add_u32_e32 v39, 16, v30
	v_add_u32_e32 v41, 32, v30
	s_waitcnt lgkmcnt(0)
	v_cndmask_b32_e32 v16, 0, v16, vcc
	v_cmp_gt_u32_e32 vcc, 56, v30
	v_add_u32_e32 v13, v13, v16
	v_cndmask_b32_e64 v16, 0, 1, vcc
	v_lshlrev_b32_e32 v16, 3, v16
	v_add_lshl_u32 v36, v16, v24, 2
	ds_bpermute_b32 v16, v36, v13
	v_cmp_le_u32_e32 vcc, v37, v11
	s_waitcnt lgkmcnt(0)
	v_cndmask_b32_e32 v16, 0, v16, vcc
	v_cmp_gt_u32_e32 vcc, 48, v30
	v_add_u32_e32 v13, v13, v16
	v_cndmask_b32_e64 v16, 0, 1, vcc
	v_lshlrev_b32_e32 v16, 4, v16
	v_add_lshl_u32 v38, v16, v24, 2
	ds_bpermute_b32 v16, v38, v13
	v_cmp_le_u32_e32 vcc, v39, v11
	;; [unrolled: 9-line block ×3, first 2 shown]
	s_waitcnt lgkmcnt(0)
	v_cndmask_b32_e32 v11, 0, v16, vcc
	v_add_u32_e32 v16, v13, v11
	v_mov_b32_e32 v13, 0
	s_branch .LBB2221_42
.LBB2221_41:                            ;   in Loop: Header=BB2221_42 Depth=1
	s_or_b64 exec, exec, s[38:39]
	v_cmp_eq_u16_sdwa s[38:39], v17, v29 src0_sel:BYTE_0 src1_sel:DWORD
	v_and_b32_e32 v18, s39, v15
	v_or_b32_e32 v18, 0x80000000, v18
	ds_bpermute_b32 v42, v31, v16
	v_and_b32_e32 v19, s38, v14
	v_ffbl_b32_e32 v18, v18
	v_add_u32_e32 v18, 32, v18
	v_ffbl_b32_e32 v19, v19
	v_min_u32_e32 v18, v19, v18
	v_cmp_lt_u32_e32 vcc, v30, v18
	s_waitcnt lgkmcnt(0)
	v_cndmask_b32_e32 v19, 0, v42, vcc
	v_add_u32_e32 v16, v19, v16
	ds_bpermute_b32 v19, v32, v16
	v_cmp_le_u32_e32 vcc, v33, v18
	v_subrev_u32_e32 v12, 64, v12
	s_waitcnt lgkmcnt(0)
	v_cndmask_b32_e32 v19, 0, v19, vcc
	v_add_u32_e32 v16, v16, v19
	ds_bpermute_b32 v19, v34, v16
	v_cmp_le_u32_e32 vcc, v35, v18
	s_waitcnt lgkmcnt(0)
	v_cndmask_b32_e32 v19, 0, v19, vcc
	v_add_u32_e32 v16, v16, v19
	ds_bpermute_b32 v19, v36, v16
	v_cmp_le_u32_e32 vcc, v37, v18
	;; [unrolled: 5-line block ×4, first 2 shown]
	s_waitcnt lgkmcnt(0)
	v_cndmask_b32_e32 v18, 0, v19, vcc
	v_add3_u32 v16, v18, v11, v16
.LBB2221_42:                            ; =>This Loop Header: Depth=1
                                        ;     Child Loop BB2221_45 Depth 2
                                        ;       Child Loop BB2221_46 Depth 3
	v_cmp_ne_u16_sdwa s[38:39], v17, v29 src0_sel:BYTE_0 src1_sel:DWORD
	v_cndmask_b32_e64 v11, 0, 1, s[38:39]
	;;#ASMSTART
	;;#ASMEND
	v_cmp_ne_u32_e32 vcc, 0, v11
	s_cmp_lg_u64 vcc, exec
	v_mov_b32_e32 v11, v16
	s_cbranch_scc1 .LBB2221_49
; %bb.43:                               ;   in Loop: Header=BB2221_42 Depth=1
	v_lshlrev_b64 v[16:17], 3, v[12:13]
	v_mov_b32_e32 v19, s35
	v_add_co_u32_e32 v18, vcc, s34, v16
	v_addc_co_u32_e32 v19, vcc, v19, v17, vcc
	global_load_dwordx2 v[16:17], v[18:19], off glc
	s_waitcnt vmcnt(0)
	v_cmp_eq_u16_sdwa s[40:41], v17, v13 src0_sel:BYTE_0 src1_sel:DWORD
	s_and_saveexec_b64 s[38:39], s[40:41]
	s_cbranch_execz .LBB2221_41
; %bb.44:                               ;   in Loop: Header=BB2221_42 Depth=1
	s_mov_b32 s7, 1
	s_mov_b64 s[40:41], 0
.LBB2221_45:                            ;   Parent Loop BB2221_42 Depth=1
                                        ; =>  This Loop Header: Depth=2
                                        ;       Child Loop BB2221_46 Depth 3
	s_max_u32 s42, s7, 1
.LBB2221_46:                            ;   Parent Loop BB2221_42 Depth=1
                                        ;     Parent Loop BB2221_45 Depth=2
                                        ; =>    This Inner Loop Header: Depth=3
	s_add_i32 s42, s42, -1
	s_cmp_eq_u32 s42, 0
	s_sleep 1
	s_cbranch_scc0 .LBB2221_46
; %bb.47:                               ;   in Loop: Header=BB2221_45 Depth=2
	global_load_dwordx2 v[16:17], v[18:19], off glc
	s_cmp_lt_u32 s7, 32
	s_cselect_b64 s[42:43], -1, 0
	s_cmp_lg_u64 s[42:43], 0
	s_addc_u32 s7, s7, 0
	s_waitcnt vmcnt(0)
	v_cmp_ne_u16_sdwa s[42:43], v17, v13 src0_sel:BYTE_0 src1_sel:DWORD
	s_or_b64 s[40:41], s[42:43], s[40:41]
	s_andn2_b64 exec, exec, s[40:41]
	s_cbranch_execnz .LBB2221_45
; %bb.48:                               ;   in Loop: Header=BB2221_42 Depth=1
	s_or_b64 exec, exec, s[40:41]
	s_branch .LBB2221_41
.LBB2221_49:                            ;   in Loop: Header=BB2221_42 Depth=1
                                        ; implicit-def: $vgpr16
                                        ; implicit-def: $vgpr17
	s_cbranch_execz .LBB2221_42
; %bb.50:
	s_and_saveexec_b64 s[38:39], s[16:17]
	s_cbranch_execz .LBB2221_52
; %bb.51:
	s_add_i32 s6, s6, 64
	s_mov_b32 s7, 0
	s_lshl_b64 s[6:7], s[6:7], 3
	s_add_u32 s6, s34, s6
	v_add_u32_e32 v12, v11, v10
	v_mov_b32_e32 v13, 2
	s_addc_u32 s7, s35, s7
	v_mov_b32_e32 v14, 0
	global_store_dwordx2 v14, v[12:13], s[6:7]
	ds_write_b64 v14, v[10:11] offset:6336
.LBB2221_52:
	s_or_b64 exec, exec, s[38:39]
	v_cmp_eq_u32_e32 vcc, 0, v0
	s_and_b64 exec, exec, vcc
	s_cbranch_execz .LBB2221_54
; %bb.53:
	v_mov_b32_e32 v10, 0
	ds_write_b32 v10, v11 offset:8
.LBB2221_54:
	s_or_b64 exec, exec, s[36:37]
	v_mov_b32_e32 v10, 0
	s_waitcnt lgkmcnt(0)
	s_barrier
	ds_read_b32 v11, v10 offset:8
	v_cndmask_b32_e64 v12, v28, v27, s[16:17]
	v_cmp_ne_u32_e32 vcc, 0, v0
	v_cndmask_b32_e32 v12, 0, v12, vcc
	s_waitcnt lgkmcnt(0)
	v_add_u32_e32 v14, v11, v12
	s_barrier
	ds_read_b64 v[10:11], v10 offset:6336
	v_add_u32_sdwa v15, v14, v22 dst_sel:DWORD dst_unused:UNUSED_PAD src0_sel:DWORD src1_sel:BYTE_0
	v_add_u32_sdwa v13, v15, v22 dst_sel:DWORD dst_unused:UNUSED_PAD src0_sel:DWORD src1_sel:BYTE_1
	v_add_u32_e32 v12, v13, v23
	s_branch .LBB2221_65
.LBB2221_55:
                                        ; implicit-def: $vgpr11
                                        ; implicit-def: $vgpr12
                                        ; implicit-def: $vgpr13
                                        ; implicit-def: $vgpr15
                                        ; implicit-def: $vgpr14
	s_cbranch_execz .LBB2221_65
; %bb.56:
	s_waitcnt lgkmcnt(0)
	v_mov_b32_dpp v10, v26 row_shr:1 row_mask:0xf bank_mask:0xf
	v_cndmask_b32_e64 v10, v10, 0, s[14:15]
	v_add_u32_e32 v10, v10, v26
	s_nop 1
	v_mov_b32_dpp v11, v10 row_shr:2 row_mask:0xf bank_mask:0xf
	v_cndmask_b32_e64 v11, 0, v11, s[12:13]
	v_add_u32_e32 v10, v10, v11
	s_nop 1
	;; [unrolled: 4-line block ×4, first 2 shown]
	v_mov_b32_dpp v11, v10 row_bcast:15 row_mask:0xf bank_mask:0xf
	v_cndmask_b32_e64 v11, v11, 0, s[2:3]
	v_add_u32_e32 v10, v10, v11
	s_nop 1
	v_mov_b32_dpp v11, v10 row_bcast:31 row_mask:0xf bank_mask:0xf
	v_cndmask_b32_e64 v11, 0, v11, s[0:1]
	v_add_u32_e32 v10, v10, v11
	s_and_saveexec_b64 s[0:1], s[18:19]
	s_cbranch_execz .LBB2221_58
; %bb.57:
	v_lshlrev_b32_e32 v11, 2, v25
	ds_write_b32 v11, v10
.LBB2221_58:
	s_or_b64 exec, exec, s[0:1]
	v_cmp_gt_u32_e32 vcc, 3, v0
	s_waitcnt lgkmcnt(0)
	s_barrier
	s_and_saveexec_b64 s[0:1], vcc
	s_cbranch_execz .LBB2221_60
; %bb.59:
	ds_read_b32 v11, v20
	v_and_b32_e32 v12, 3, v24
	v_cmp_ne_u32_e32 vcc, 0, v12
	s_waitcnt lgkmcnt(0)
	v_mov_b32_dpp v13, v11 row_shr:1 row_mask:0xf bank_mask:0xf
	v_cndmask_b32_e32 v13, 0, v13, vcc
	v_add_u32_e32 v11, v13, v11
	v_cmp_lt_u32_e32 vcc, 1, v12
	s_nop 0
	v_mov_b32_dpp v13, v11 row_shr:2 row_mask:0xf bank_mask:0xf
	v_cndmask_b32_e32 v12, 0, v13, vcc
	v_add_u32_e32 v11, v11, v12
	ds_write_b32 v20, v11
.LBB2221_60:
	s_or_b64 exec, exec, s[0:1]
	v_cmp_lt_u32_e32 vcc, 63, v0
	v_mov_b32_e32 v11, 0
	v_mov_b32_e32 v12, 0
	s_waitcnt lgkmcnt(0)
	s_barrier
	s_and_saveexec_b64 s[0:1], vcc
	s_cbranch_execz .LBB2221_62
; %bb.61:
	v_lshl_add_u32 v12, v25, 2, -4
	ds_read_b32 v12, v12
.LBB2221_62:
	s_or_b64 exec, exec, s[0:1]
	v_add_u32_e32 v13, -1, v24
	v_and_b32_e32 v14, 64, v24
	v_cmp_lt_i32_e32 vcc, v13, v14
	v_cndmask_b32_e32 v13, v13, v24, vcc
	s_waitcnt lgkmcnt(0)
	v_add_u32_e32 v10, v12, v10
	v_lshlrev_b32_e32 v13, 2, v13
	ds_bpermute_b32 v13, v13, v10
	ds_read_b32 v10, v11 offset:8
	v_cmp_eq_u32_e32 vcc, 0, v0
	s_and_saveexec_b64 s[0:1], vcc
	s_cbranch_execz .LBB2221_64
; %bb.63:
	v_mov_b32_e32 v14, 0
	v_mov_b32_e32 v11, 2
	s_waitcnt lgkmcnt(0)
	global_store_dwordx2 v14, v[10:11], s[34:35] offset:512
.LBB2221_64:
	s_or_b64 exec, exec, s[0:1]
	v_cmp_eq_u32_e64 s[0:1], 0, v24
	s_waitcnt lgkmcnt(1)
	v_cndmask_b32_e64 v12, v13, v12, s[0:1]
	v_cndmask_b32_e64 v14, v12, 0, vcc
	v_add_u32_sdwa v15, v14, v22 dst_sel:DWORD dst_unused:UNUSED_PAD src0_sel:DWORD src1_sel:BYTE_0
	v_add_u32_sdwa v13, v15, v22 dst_sel:DWORD dst_unused:UNUSED_PAD src0_sel:DWORD src1_sel:BYTE_1
	v_mov_b32_e32 v11, 0
	v_add_u32_e32 v12, v13, v23
	s_waitcnt lgkmcnt(0)
	s_barrier
.LBB2221_65:
	s_waitcnt lgkmcnt(0)
	v_add_u32_e32 v17, v10, v20
	v_sub_u32_e32 v14, v14, v11
	v_and_b32_e32 v19, 1, v22
	v_sub_u32_e32 v18, v17, v14
	v_cmp_eq_u32_e32 vcc, 1, v19
	v_cndmask_b32_e32 v14, v18, v14, vcc
	v_lshlrev_b32_e32 v14, 3, v14
	v_lshrrev_b32_e32 v16, 8, v22
	ds_write_b64 v14, v[6:7]
	v_sub_u32_e32 v6, v15, v11
	v_sub_u32_e32 v7, v17, v6
	v_and_b32_e32 v14, 1, v16
	v_add_u32_e32 v7, 1, v7
	v_cmp_eq_u32_e32 vcc, 1, v14
	v_cndmask_b32_e32 v6, v7, v6, vcc
	v_lshlrev_b32_e32 v6, 3, v6
	ds_write_b64 v6, v[8:9]
	v_sub_u32_e32 v6, v13, v11
	v_mov_b32_e32 v8, 1
	v_sub_u32_e32 v7, v17, v6
	v_and_b32_sdwa v8, v8, v22 dst_sel:DWORD dst_unused:UNUSED_PAD src0_sel:DWORD src1_sel:WORD_1
	v_add_u32_e32 v7, 2, v7
	v_cmp_eq_u32_e32 vcc, 1, v8
	v_cndmask_b32_e32 v6, v7, v6, vcc
	v_lshlrev_b32_e32 v6, 3, v6
	ds_write_b64 v6, v[2:3]
	v_sub_u32_e32 v2, v12, v11
	v_sub_u32_e32 v3, v17, v2
	v_and_b32_e32 v6, 1, v21
	v_add_u32_e32 v3, 3, v3
	v_cmp_eq_u32_e32 vcc, 1, v6
	v_cndmask_b32_e32 v2, v3, v2, vcc
	v_mov_b32_e32 v12, s31
	v_add_co_u32_e32 v20, vcc, s30, v11
	v_addc_co_u32_e32 v21, vcc, 0, v12, vcc
	s_load_dwordx4 s[0:3], s[4:5], 0x30
	v_add_co_u32_e32 v12, vcc, v20, v10
	v_addc_co_u32_e32 v13, vcc, 0, v21, vcc
	v_mov_b32_e32 v11, s27
	v_sub_co_u32_e32 v16, vcc, s26, v12
	v_subb_co_u32_e32 v17, vcc, v11, v13, vcc
	v_lshlrev_b32_e32 v2, 3, v2
	v_lshlrev_b64 v[16:17], 3, v[16:17]
	ds_write_b64 v2, v[4:5]
	s_waitcnt lgkmcnt(0)
	s_barrier
	ds_read2st64_b64 v[6:9], v1 offset1:3
	ds_read2st64_b64 v[2:5], v1 offset0:6 offset1:9
	v_mov_b32_e32 v11, s3
	v_add_co_u32_e32 v16, vcc, s2, v16
	v_addc_co_u32_e32 v17, vcc, v11, v17, vcc
	v_mov_b32_e32 v18, s29
	v_add_co_u32_e32 v11, vcc, s28, v16
	v_lshlrev_b64 v[20:21], 3, v[20:21]
	v_addc_co_u32_e32 v16, vcc, v17, v18, vcc
	v_mov_b32_e32 v18, s1
	v_add_co_u32_e64 v17, s[0:1], s0, v20
	v_add_u32_e32 v19, 0xc0, v0
	v_add_u32_e32 v15, 0x180, v0
	;; [unrolled: 1-line block ×3, first 2 shown]
	s_andn2_b64 vcc, exec, s[24:25]
	v_addc_co_u32_e64 v18, s[0:1], v18, v21, s[0:1]
	s_cbranch_vccnz .LBB2221_67
; %bb.66:
	v_cmp_lt_u32_e32 vcc, v0, v10
	v_cndmask_b32_e32 v20, v11, v17, vcc
	v_cndmask_b32_e32 v21, v16, v18, vcc
	v_add_co_u32_e32 v20, vcc, v20, v1
	v_addc_co_u32_e32 v21, vcc, 0, v21, vcc
	v_cmp_lt_u32_e32 vcc, v19, v10
	s_waitcnt lgkmcnt(1)
	global_store_dwordx2 v[20:21], v[6:7], off
	v_cndmask_b32_e32 v20, v11, v17, vcc
	v_cndmask_b32_e32 v21, v16, v18, vcc
	v_add_co_u32_e32 v20, vcc, v20, v1
	v_addc_co_u32_e32 v21, vcc, 0, v21, vcc
	v_cmp_lt_u32_e32 vcc, v15, v10
	global_store_dwordx2 v[20:21], v[8:9], off offset:1536
	v_cndmask_b32_e32 v20, v11, v17, vcc
	v_cndmask_b32_e32 v21, v16, v18, vcc
	v_add_co_u32_e32 v20, vcc, v20, v1
	v_addc_co_u32_e32 v21, vcc, 0, v21, vcc
	s_mov_b64 s[0:1], -1
	s_waitcnt lgkmcnt(0)
	global_store_dwordx2 v[20:21], v[2:3], off offset:3072
	s_cbranch_execz .LBB2221_68
	s_branch .LBB2221_73
.LBB2221_67:
	s_mov_b64 s[0:1], 0
.LBB2221_68:
	v_cmp_gt_u32_e32 vcc, s33, v0
	s_and_saveexec_b64 s[0:1], vcc
	s_cbranch_execnz .LBB2221_78
; %bb.69:
	s_or_b64 exec, exec, s[0:1]
	v_cmp_gt_u32_e32 vcc, s33, v19
	s_and_saveexec_b64 s[0:1], vcc
	s_cbranch_execnz .LBB2221_79
.LBB2221_70:
	s_or_b64 exec, exec, s[0:1]
	v_cmp_gt_u32_e32 vcc, s33, v15
	s_and_saveexec_b64 s[0:1], vcc
	s_cbranch_execz .LBB2221_72
.LBB2221_71:
	v_cmp_lt_u32_e32 vcc, v15, v10
	s_waitcnt lgkmcnt(1)
	v_cndmask_b32_e32 v6, v11, v17, vcc
	v_cndmask_b32_e32 v7, v16, v18, vcc
	v_add_co_u32_e32 v6, vcc, v6, v1
	v_addc_co_u32_e32 v7, vcc, 0, v7, vcc
	s_waitcnt lgkmcnt(0)
	global_store_dwordx2 v[6:7], v[2:3], off offset:3072
.LBB2221_72:
	s_or_b64 exec, exec, s[0:1]
	v_cmp_gt_u32_e64 s[0:1], s33, v14
.LBB2221_73:
	s_and_saveexec_b64 s[2:3], s[0:1]
	s_cbranch_execz .LBB2221_75
; %bb.74:
	v_cmp_lt_u32_e32 vcc, v14, v10
	s_waitcnt lgkmcnt(0)
	v_cndmask_b32_e32 v2, v11, v17, vcc
	v_lshlrev_b32_e32 v3, 3, v14
	v_cndmask_b32_e32 v1, v16, v18, vcc
	v_add_co_u32_e32 v2, vcc, v2, v3
	v_addc_co_u32_e32 v3, vcc, 0, v1, vcc
	global_store_dwordx2 v[2:3], v[4:5], off
.LBB2221_75:
	s_or_b64 exec, exec, s[2:3]
	v_cmp_eq_u32_e32 vcc, 0, v0
	s_and_b64 s[0:1], vcc, s[22:23]
	s_and_saveexec_b64 s[2:3], s[0:1]
	s_cbranch_execz .LBB2221_77
; %bb.76:
	v_mov_b32_e32 v0, 0
	global_store_dwordx2 v0, v[12:13], s[20:21]
.LBB2221_77:
	s_endpgm
.LBB2221_78:
	v_cmp_lt_u32_e32 vcc, v0, v10
	v_cndmask_b32_e32 v20, v11, v17, vcc
	v_cndmask_b32_e32 v21, v16, v18, vcc
	v_add_co_u32_e32 v20, vcc, v20, v1
	v_addc_co_u32_e32 v21, vcc, 0, v21, vcc
	s_waitcnt lgkmcnt(1)
	global_store_dwordx2 v[20:21], v[6:7], off
	s_or_b64 exec, exec, s[0:1]
	v_cmp_gt_u32_e32 vcc, s33, v19
	s_and_saveexec_b64 s[0:1], vcc
	s_cbranch_execz .LBB2221_70
.LBB2221_79:
	v_cmp_lt_u32_e32 vcc, v19, v10
	s_waitcnt lgkmcnt(1)
	v_cndmask_b32_e32 v6, v11, v17, vcc
	v_cndmask_b32_e32 v7, v16, v18, vcc
	v_add_co_u32_e32 v6, vcc, v6, v1
	v_addc_co_u32_e32 v7, vcc, 0, v7, vcc
	global_store_dwordx2 v[6:7], v[8:9], off offset:1536
	s_or_b64 exec, exec, s[0:1]
	v_cmp_gt_u32_e32 vcc, s33, v15
	s_and_saveexec_b64 s[0:1], vcc
	s_cbranch_execnz .LBB2221_71
	s_branch .LBB2221_72
	.section	.rodata,"a",@progbits
	.p2align	6, 0x0
	.amdhsa_kernel _ZN7rocprim17ROCPRIM_400000_NS6detail17trampoline_kernelINS0_14default_configENS1_25partition_config_selectorILNS1_17partition_subalgoE1EyNS0_10empty_typeEbEEZZNS1_14partition_implILS5_1ELb0ES3_jN6thrust23THRUST_200600_302600_NS6detail15normal_iteratorINSA_10device_ptrIyEEEEPS6_NSA_18transform_iteratorI7is_evenIyESF_NSA_11use_defaultESK_EENS0_5tupleIJSF_SF_EEENSM_IJSG_SG_EEES6_PlJS6_EEE10hipError_tPvRmT3_T4_T5_T6_T7_T9_mT8_P12ihipStream_tbDpT10_ENKUlT_T0_E_clISt17integral_constantIbLb1EES18_IbLb0EEEEDaS14_S15_EUlS14_E_NS1_11comp_targetILNS1_3genE4ELNS1_11target_archE910ELNS1_3gpuE8ELNS1_3repE0EEENS1_30default_config_static_selectorELNS0_4arch9wavefront6targetE1EEEvT1_
		.amdhsa_group_segment_fixed_size 6344
		.amdhsa_private_segment_fixed_size 0
		.amdhsa_kernarg_size 128
		.amdhsa_user_sgpr_count 6
		.amdhsa_user_sgpr_private_segment_buffer 1
		.amdhsa_user_sgpr_dispatch_ptr 0
		.amdhsa_user_sgpr_queue_ptr 0
		.amdhsa_user_sgpr_kernarg_segment_ptr 1
		.amdhsa_user_sgpr_dispatch_id 0
		.amdhsa_user_sgpr_flat_scratch_init 0
		.amdhsa_user_sgpr_kernarg_preload_length 0
		.amdhsa_user_sgpr_kernarg_preload_offset 0
		.amdhsa_user_sgpr_private_segment_size 0
		.amdhsa_uses_dynamic_stack 0
		.amdhsa_system_sgpr_private_segment_wavefront_offset 0
		.amdhsa_system_sgpr_workgroup_id_x 1
		.amdhsa_system_sgpr_workgroup_id_y 0
		.amdhsa_system_sgpr_workgroup_id_z 0
		.amdhsa_system_sgpr_workgroup_info 0
		.amdhsa_system_vgpr_workitem_id 0
		.amdhsa_next_free_vgpr 43
		.amdhsa_next_free_sgpr 44
		.amdhsa_accum_offset 44
		.amdhsa_reserve_vcc 1
		.amdhsa_reserve_flat_scratch 0
		.amdhsa_float_round_mode_32 0
		.amdhsa_float_round_mode_16_64 0
		.amdhsa_float_denorm_mode_32 3
		.amdhsa_float_denorm_mode_16_64 3
		.amdhsa_dx10_clamp 1
		.amdhsa_ieee_mode 1
		.amdhsa_fp16_overflow 0
		.amdhsa_tg_split 0
		.amdhsa_exception_fp_ieee_invalid_op 0
		.amdhsa_exception_fp_denorm_src 0
		.amdhsa_exception_fp_ieee_div_zero 0
		.amdhsa_exception_fp_ieee_overflow 0
		.amdhsa_exception_fp_ieee_underflow 0
		.amdhsa_exception_fp_ieee_inexact 0
		.amdhsa_exception_int_div_zero 0
	.end_amdhsa_kernel
	.section	.text._ZN7rocprim17ROCPRIM_400000_NS6detail17trampoline_kernelINS0_14default_configENS1_25partition_config_selectorILNS1_17partition_subalgoE1EyNS0_10empty_typeEbEEZZNS1_14partition_implILS5_1ELb0ES3_jN6thrust23THRUST_200600_302600_NS6detail15normal_iteratorINSA_10device_ptrIyEEEEPS6_NSA_18transform_iteratorI7is_evenIyESF_NSA_11use_defaultESK_EENS0_5tupleIJSF_SF_EEENSM_IJSG_SG_EEES6_PlJS6_EEE10hipError_tPvRmT3_T4_T5_T6_T7_T9_mT8_P12ihipStream_tbDpT10_ENKUlT_T0_E_clISt17integral_constantIbLb1EES18_IbLb0EEEEDaS14_S15_EUlS14_E_NS1_11comp_targetILNS1_3genE4ELNS1_11target_archE910ELNS1_3gpuE8ELNS1_3repE0EEENS1_30default_config_static_selectorELNS0_4arch9wavefront6targetE1EEEvT1_,"axG",@progbits,_ZN7rocprim17ROCPRIM_400000_NS6detail17trampoline_kernelINS0_14default_configENS1_25partition_config_selectorILNS1_17partition_subalgoE1EyNS0_10empty_typeEbEEZZNS1_14partition_implILS5_1ELb0ES3_jN6thrust23THRUST_200600_302600_NS6detail15normal_iteratorINSA_10device_ptrIyEEEEPS6_NSA_18transform_iteratorI7is_evenIyESF_NSA_11use_defaultESK_EENS0_5tupleIJSF_SF_EEENSM_IJSG_SG_EEES6_PlJS6_EEE10hipError_tPvRmT3_T4_T5_T6_T7_T9_mT8_P12ihipStream_tbDpT10_ENKUlT_T0_E_clISt17integral_constantIbLb1EES18_IbLb0EEEEDaS14_S15_EUlS14_E_NS1_11comp_targetILNS1_3genE4ELNS1_11target_archE910ELNS1_3gpuE8ELNS1_3repE0EEENS1_30default_config_static_selectorELNS0_4arch9wavefront6targetE1EEEvT1_,comdat
.Lfunc_end2221:
	.size	_ZN7rocprim17ROCPRIM_400000_NS6detail17trampoline_kernelINS0_14default_configENS1_25partition_config_selectorILNS1_17partition_subalgoE1EyNS0_10empty_typeEbEEZZNS1_14partition_implILS5_1ELb0ES3_jN6thrust23THRUST_200600_302600_NS6detail15normal_iteratorINSA_10device_ptrIyEEEEPS6_NSA_18transform_iteratorI7is_evenIyESF_NSA_11use_defaultESK_EENS0_5tupleIJSF_SF_EEENSM_IJSG_SG_EEES6_PlJS6_EEE10hipError_tPvRmT3_T4_T5_T6_T7_T9_mT8_P12ihipStream_tbDpT10_ENKUlT_T0_E_clISt17integral_constantIbLb1EES18_IbLb0EEEEDaS14_S15_EUlS14_E_NS1_11comp_targetILNS1_3genE4ELNS1_11target_archE910ELNS1_3gpuE8ELNS1_3repE0EEENS1_30default_config_static_selectorELNS0_4arch9wavefront6targetE1EEEvT1_, .Lfunc_end2221-_ZN7rocprim17ROCPRIM_400000_NS6detail17trampoline_kernelINS0_14default_configENS1_25partition_config_selectorILNS1_17partition_subalgoE1EyNS0_10empty_typeEbEEZZNS1_14partition_implILS5_1ELb0ES3_jN6thrust23THRUST_200600_302600_NS6detail15normal_iteratorINSA_10device_ptrIyEEEEPS6_NSA_18transform_iteratorI7is_evenIyESF_NSA_11use_defaultESK_EENS0_5tupleIJSF_SF_EEENSM_IJSG_SG_EEES6_PlJS6_EEE10hipError_tPvRmT3_T4_T5_T6_T7_T9_mT8_P12ihipStream_tbDpT10_ENKUlT_T0_E_clISt17integral_constantIbLb1EES18_IbLb0EEEEDaS14_S15_EUlS14_E_NS1_11comp_targetILNS1_3genE4ELNS1_11target_archE910ELNS1_3gpuE8ELNS1_3repE0EEENS1_30default_config_static_selectorELNS0_4arch9wavefront6targetE1EEEvT1_
                                        ; -- End function
	.section	.AMDGPU.csdata,"",@progbits
; Kernel info:
; codeLenInByte = 4004
; NumSgprs: 48
; NumVgprs: 43
; NumAgprs: 0
; TotalNumVgprs: 43
; ScratchSize: 0
; MemoryBound: 0
; FloatMode: 240
; IeeeMode: 1
; LDSByteSize: 6344 bytes/workgroup (compile time only)
; SGPRBlocks: 5
; VGPRBlocks: 5
; NumSGPRsForWavesPerEU: 48
; NumVGPRsForWavesPerEU: 43
; AccumOffset: 44
; Occupancy: 8
; WaveLimiterHint : 1
; COMPUTE_PGM_RSRC2:SCRATCH_EN: 0
; COMPUTE_PGM_RSRC2:USER_SGPR: 6
; COMPUTE_PGM_RSRC2:TRAP_HANDLER: 0
; COMPUTE_PGM_RSRC2:TGID_X_EN: 1
; COMPUTE_PGM_RSRC2:TGID_Y_EN: 0
; COMPUTE_PGM_RSRC2:TGID_Z_EN: 0
; COMPUTE_PGM_RSRC2:TIDIG_COMP_CNT: 0
; COMPUTE_PGM_RSRC3_GFX90A:ACCUM_OFFSET: 10
; COMPUTE_PGM_RSRC3_GFX90A:TG_SPLIT: 0
	.section	.text._ZN7rocprim17ROCPRIM_400000_NS6detail17trampoline_kernelINS0_14default_configENS1_25partition_config_selectorILNS1_17partition_subalgoE1EyNS0_10empty_typeEbEEZZNS1_14partition_implILS5_1ELb0ES3_jN6thrust23THRUST_200600_302600_NS6detail15normal_iteratorINSA_10device_ptrIyEEEEPS6_NSA_18transform_iteratorI7is_evenIyESF_NSA_11use_defaultESK_EENS0_5tupleIJSF_SF_EEENSM_IJSG_SG_EEES6_PlJS6_EEE10hipError_tPvRmT3_T4_T5_T6_T7_T9_mT8_P12ihipStream_tbDpT10_ENKUlT_T0_E_clISt17integral_constantIbLb1EES18_IbLb0EEEEDaS14_S15_EUlS14_E_NS1_11comp_targetILNS1_3genE3ELNS1_11target_archE908ELNS1_3gpuE7ELNS1_3repE0EEENS1_30default_config_static_selectorELNS0_4arch9wavefront6targetE1EEEvT1_,"axG",@progbits,_ZN7rocprim17ROCPRIM_400000_NS6detail17trampoline_kernelINS0_14default_configENS1_25partition_config_selectorILNS1_17partition_subalgoE1EyNS0_10empty_typeEbEEZZNS1_14partition_implILS5_1ELb0ES3_jN6thrust23THRUST_200600_302600_NS6detail15normal_iteratorINSA_10device_ptrIyEEEEPS6_NSA_18transform_iteratorI7is_evenIyESF_NSA_11use_defaultESK_EENS0_5tupleIJSF_SF_EEENSM_IJSG_SG_EEES6_PlJS6_EEE10hipError_tPvRmT3_T4_T5_T6_T7_T9_mT8_P12ihipStream_tbDpT10_ENKUlT_T0_E_clISt17integral_constantIbLb1EES18_IbLb0EEEEDaS14_S15_EUlS14_E_NS1_11comp_targetILNS1_3genE3ELNS1_11target_archE908ELNS1_3gpuE7ELNS1_3repE0EEENS1_30default_config_static_selectorELNS0_4arch9wavefront6targetE1EEEvT1_,comdat
	.protected	_ZN7rocprim17ROCPRIM_400000_NS6detail17trampoline_kernelINS0_14default_configENS1_25partition_config_selectorILNS1_17partition_subalgoE1EyNS0_10empty_typeEbEEZZNS1_14partition_implILS5_1ELb0ES3_jN6thrust23THRUST_200600_302600_NS6detail15normal_iteratorINSA_10device_ptrIyEEEEPS6_NSA_18transform_iteratorI7is_evenIyESF_NSA_11use_defaultESK_EENS0_5tupleIJSF_SF_EEENSM_IJSG_SG_EEES6_PlJS6_EEE10hipError_tPvRmT3_T4_T5_T6_T7_T9_mT8_P12ihipStream_tbDpT10_ENKUlT_T0_E_clISt17integral_constantIbLb1EES18_IbLb0EEEEDaS14_S15_EUlS14_E_NS1_11comp_targetILNS1_3genE3ELNS1_11target_archE908ELNS1_3gpuE7ELNS1_3repE0EEENS1_30default_config_static_selectorELNS0_4arch9wavefront6targetE1EEEvT1_ ; -- Begin function _ZN7rocprim17ROCPRIM_400000_NS6detail17trampoline_kernelINS0_14default_configENS1_25partition_config_selectorILNS1_17partition_subalgoE1EyNS0_10empty_typeEbEEZZNS1_14partition_implILS5_1ELb0ES3_jN6thrust23THRUST_200600_302600_NS6detail15normal_iteratorINSA_10device_ptrIyEEEEPS6_NSA_18transform_iteratorI7is_evenIyESF_NSA_11use_defaultESK_EENS0_5tupleIJSF_SF_EEENSM_IJSG_SG_EEES6_PlJS6_EEE10hipError_tPvRmT3_T4_T5_T6_T7_T9_mT8_P12ihipStream_tbDpT10_ENKUlT_T0_E_clISt17integral_constantIbLb1EES18_IbLb0EEEEDaS14_S15_EUlS14_E_NS1_11comp_targetILNS1_3genE3ELNS1_11target_archE908ELNS1_3gpuE7ELNS1_3repE0EEENS1_30default_config_static_selectorELNS0_4arch9wavefront6targetE1EEEvT1_
	.globl	_ZN7rocprim17ROCPRIM_400000_NS6detail17trampoline_kernelINS0_14default_configENS1_25partition_config_selectorILNS1_17partition_subalgoE1EyNS0_10empty_typeEbEEZZNS1_14partition_implILS5_1ELb0ES3_jN6thrust23THRUST_200600_302600_NS6detail15normal_iteratorINSA_10device_ptrIyEEEEPS6_NSA_18transform_iteratorI7is_evenIyESF_NSA_11use_defaultESK_EENS0_5tupleIJSF_SF_EEENSM_IJSG_SG_EEES6_PlJS6_EEE10hipError_tPvRmT3_T4_T5_T6_T7_T9_mT8_P12ihipStream_tbDpT10_ENKUlT_T0_E_clISt17integral_constantIbLb1EES18_IbLb0EEEEDaS14_S15_EUlS14_E_NS1_11comp_targetILNS1_3genE3ELNS1_11target_archE908ELNS1_3gpuE7ELNS1_3repE0EEENS1_30default_config_static_selectorELNS0_4arch9wavefront6targetE1EEEvT1_
	.p2align	8
	.type	_ZN7rocprim17ROCPRIM_400000_NS6detail17trampoline_kernelINS0_14default_configENS1_25partition_config_selectorILNS1_17partition_subalgoE1EyNS0_10empty_typeEbEEZZNS1_14partition_implILS5_1ELb0ES3_jN6thrust23THRUST_200600_302600_NS6detail15normal_iteratorINSA_10device_ptrIyEEEEPS6_NSA_18transform_iteratorI7is_evenIyESF_NSA_11use_defaultESK_EENS0_5tupleIJSF_SF_EEENSM_IJSG_SG_EEES6_PlJS6_EEE10hipError_tPvRmT3_T4_T5_T6_T7_T9_mT8_P12ihipStream_tbDpT10_ENKUlT_T0_E_clISt17integral_constantIbLb1EES18_IbLb0EEEEDaS14_S15_EUlS14_E_NS1_11comp_targetILNS1_3genE3ELNS1_11target_archE908ELNS1_3gpuE7ELNS1_3repE0EEENS1_30default_config_static_selectorELNS0_4arch9wavefront6targetE1EEEvT1_,@function
_ZN7rocprim17ROCPRIM_400000_NS6detail17trampoline_kernelINS0_14default_configENS1_25partition_config_selectorILNS1_17partition_subalgoE1EyNS0_10empty_typeEbEEZZNS1_14partition_implILS5_1ELb0ES3_jN6thrust23THRUST_200600_302600_NS6detail15normal_iteratorINSA_10device_ptrIyEEEEPS6_NSA_18transform_iteratorI7is_evenIyESF_NSA_11use_defaultESK_EENS0_5tupleIJSF_SF_EEENSM_IJSG_SG_EEES6_PlJS6_EEE10hipError_tPvRmT3_T4_T5_T6_T7_T9_mT8_P12ihipStream_tbDpT10_ENKUlT_T0_E_clISt17integral_constantIbLb1EES18_IbLb0EEEEDaS14_S15_EUlS14_E_NS1_11comp_targetILNS1_3genE3ELNS1_11target_archE908ELNS1_3gpuE7ELNS1_3repE0EEENS1_30default_config_static_selectorELNS0_4arch9wavefront6targetE1EEEvT1_: ; @_ZN7rocprim17ROCPRIM_400000_NS6detail17trampoline_kernelINS0_14default_configENS1_25partition_config_selectorILNS1_17partition_subalgoE1EyNS0_10empty_typeEbEEZZNS1_14partition_implILS5_1ELb0ES3_jN6thrust23THRUST_200600_302600_NS6detail15normal_iteratorINSA_10device_ptrIyEEEEPS6_NSA_18transform_iteratorI7is_evenIyESF_NSA_11use_defaultESK_EENS0_5tupleIJSF_SF_EEENSM_IJSG_SG_EEES6_PlJS6_EEE10hipError_tPvRmT3_T4_T5_T6_T7_T9_mT8_P12ihipStream_tbDpT10_ENKUlT_T0_E_clISt17integral_constantIbLb1EES18_IbLb0EEEEDaS14_S15_EUlS14_E_NS1_11comp_targetILNS1_3genE3ELNS1_11target_archE908ELNS1_3gpuE7ELNS1_3repE0EEENS1_30default_config_static_selectorELNS0_4arch9wavefront6targetE1EEEvT1_
; %bb.0:
	.section	.rodata,"a",@progbits
	.p2align	6, 0x0
	.amdhsa_kernel _ZN7rocprim17ROCPRIM_400000_NS6detail17trampoline_kernelINS0_14default_configENS1_25partition_config_selectorILNS1_17partition_subalgoE1EyNS0_10empty_typeEbEEZZNS1_14partition_implILS5_1ELb0ES3_jN6thrust23THRUST_200600_302600_NS6detail15normal_iteratorINSA_10device_ptrIyEEEEPS6_NSA_18transform_iteratorI7is_evenIyESF_NSA_11use_defaultESK_EENS0_5tupleIJSF_SF_EEENSM_IJSG_SG_EEES6_PlJS6_EEE10hipError_tPvRmT3_T4_T5_T6_T7_T9_mT8_P12ihipStream_tbDpT10_ENKUlT_T0_E_clISt17integral_constantIbLb1EES18_IbLb0EEEEDaS14_S15_EUlS14_E_NS1_11comp_targetILNS1_3genE3ELNS1_11target_archE908ELNS1_3gpuE7ELNS1_3repE0EEENS1_30default_config_static_selectorELNS0_4arch9wavefront6targetE1EEEvT1_
		.amdhsa_group_segment_fixed_size 0
		.amdhsa_private_segment_fixed_size 0
		.amdhsa_kernarg_size 128
		.amdhsa_user_sgpr_count 6
		.amdhsa_user_sgpr_private_segment_buffer 1
		.amdhsa_user_sgpr_dispatch_ptr 0
		.amdhsa_user_sgpr_queue_ptr 0
		.amdhsa_user_sgpr_kernarg_segment_ptr 1
		.amdhsa_user_sgpr_dispatch_id 0
		.amdhsa_user_sgpr_flat_scratch_init 0
		.amdhsa_user_sgpr_kernarg_preload_length 0
		.amdhsa_user_sgpr_kernarg_preload_offset 0
		.amdhsa_user_sgpr_private_segment_size 0
		.amdhsa_uses_dynamic_stack 0
		.amdhsa_system_sgpr_private_segment_wavefront_offset 0
		.amdhsa_system_sgpr_workgroup_id_x 1
		.amdhsa_system_sgpr_workgroup_id_y 0
		.amdhsa_system_sgpr_workgroup_id_z 0
		.amdhsa_system_sgpr_workgroup_info 0
		.amdhsa_system_vgpr_workitem_id 0
		.amdhsa_next_free_vgpr 1
		.amdhsa_next_free_sgpr 0
		.amdhsa_accum_offset 4
		.amdhsa_reserve_vcc 0
		.amdhsa_reserve_flat_scratch 0
		.amdhsa_float_round_mode_32 0
		.amdhsa_float_round_mode_16_64 0
		.amdhsa_float_denorm_mode_32 3
		.amdhsa_float_denorm_mode_16_64 3
		.amdhsa_dx10_clamp 1
		.amdhsa_ieee_mode 1
		.amdhsa_fp16_overflow 0
		.amdhsa_tg_split 0
		.amdhsa_exception_fp_ieee_invalid_op 0
		.amdhsa_exception_fp_denorm_src 0
		.amdhsa_exception_fp_ieee_div_zero 0
		.amdhsa_exception_fp_ieee_overflow 0
		.amdhsa_exception_fp_ieee_underflow 0
		.amdhsa_exception_fp_ieee_inexact 0
		.amdhsa_exception_int_div_zero 0
	.end_amdhsa_kernel
	.section	.text._ZN7rocprim17ROCPRIM_400000_NS6detail17trampoline_kernelINS0_14default_configENS1_25partition_config_selectorILNS1_17partition_subalgoE1EyNS0_10empty_typeEbEEZZNS1_14partition_implILS5_1ELb0ES3_jN6thrust23THRUST_200600_302600_NS6detail15normal_iteratorINSA_10device_ptrIyEEEEPS6_NSA_18transform_iteratorI7is_evenIyESF_NSA_11use_defaultESK_EENS0_5tupleIJSF_SF_EEENSM_IJSG_SG_EEES6_PlJS6_EEE10hipError_tPvRmT3_T4_T5_T6_T7_T9_mT8_P12ihipStream_tbDpT10_ENKUlT_T0_E_clISt17integral_constantIbLb1EES18_IbLb0EEEEDaS14_S15_EUlS14_E_NS1_11comp_targetILNS1_3genE3ELNS1_11target_archE908ELNS1_3gpuE7ELNS1_3repE0EEENS1_30default_config_static_selectorELNS0_4arch9wavefront6targetE1EEEvT1_,"axG",@progbits,_ZN7rocprim17ROCPRIM_400000_NS6detail17trampoline_kernelINS0_14default_configENS1_25partition_config_selectorILNS1_17partition_subalgoE1EyNS0_10empty_typeEbEEZZNS1_14partition_implILS5_1ELb0ES3_jN6thrust23THRUST_200600_302600_NS6detail15normal_iteratorINSA_10device_ptrIyEEEEPS6_NSA_18transform_iteratorI7is_evenIyESF_NSA_11use_defaultESK_EENS0_5tupleIJSF_SF_EEENSM_IJSG_SG_EEES6_PlJS6_EEE10hipError_tPvRmT3_T4_T5_T6_T7_T9_mT8_P12ihipStream_tbDpT10_ENKUlT_T0_E_clISt17integral_constantIbLb1EES18_IbLb0EEEEDaS14_S15_EUlS14_E_NS1_11comp_targetILNS1_3genE3ELNS1_11target_archE908ELNS1_3gpuE7ELNS1_3repE0EEENS1_30default_config_static_selectorELNS0_4arch9wavefront6targetE1EEEvT1_,comdat
.Lfunc_end2222:
	.size	_ZN7rocprim17ROCPRIM_400000_NS6detail17trampoline_kernelINS0_14default_configENS1_25partition_config_selectorILNS1_17partition_subalgoE1EyNS0_10empty_typeEbEEZZNS1_14partition_implILS5_1ELb0ES3_jN6thrust23THRUST_200600_302600_NS6detail15normal_iteratorINSA_10device_ptrIyEEEEPS6_NSA_18transform_iteratorI7is_evenIyESF_NSA_11use_defaultESK_EENS0_5tupleIJSF_SF_EEENSM_IJSG_SG_EEES6_PlJS6_EEE10hipError_tPvRmT3_T4_T5_T6_T7_T9_mT8_P12ihipStream_tbDpT10_ENKUlT_T0_E_clISt17integral_constantIbLb1EES18_IbLb0EEEEDaS14_S15_EUlS14_E_NS1_11comp_targetILNS1_3genE3ELNS1_11target_archE908ELNS1_3gpuE7ELNS1_3repE0EEENS1_30default_config_static_selectorELNS0_4arch9wavefront6targetE1EEEvT1_, .Lfunc_end2222-_ZN7rocprim17ROCPRIM_400000_NS6detail17trampoline_kernelINS0_14default_configENS1_25partition_config_selectorILNS1_17partition_subalgoE1EyNS0_10empty_typeEbEEZZNS1_14partition_implILS5_1ELb0ES3_jN6thrust23THRUST_200600_302600_NS6detail15normal_iteratorINSA_10device_ptrIyEEEEPS6_NSA_18transform_iteratorI7is_evenIyESF_NSA_11use_defaultESK_EENS0_5tupleIJSF_SF_EEENSM_IJSG_SG_EEES6_PlJS6_EEE10hipError_tPvRmT3_T4_T5_T6_T7_T9_mT8_P12ihipStream_tbDpT10_ENKUlT_T0_E_clISt17integral_constantIbLb1EES18_IbLb0EEEEDaS14_S15_EUlS14_E_NS1_11comp_targetILNS1_3genE3ELNS1_11target_archE908ELNS1_3gpuE7ELNS1_3repE0EEENS1_30default_config_static_selectorELNS0_4arch9wavefront6targetE1EEEvT1_
                                        ; -- End function
	.section	.AMDGPU.csdata,"",@progbits
; Kernel info:
; codeLenInByte = 0
; NumSgprs: 4
; NumVgprs: 0
; NumAgprs: 0
; TotalNumVgprs: 0
; ScratchSize: 0
; MemoryBound: 0
; FloatMode: 240
; IeeeMode: 1
; LDSByteSize: 0 bytes/workgroup (compile time only)
; SGPRBlocks: 0
; VGPRBlocks: 0
; NumSGPRsForWavesPerEU: 4
; NumVGPRsForWavesPerEU: 1
; AccumOffset: 4
; Occupancy: 8
; WaveLimiterHint : 0
; COMPUTE_PGM_RSRC2:SCRATCH_EN: 0
; COMPUTE_PGM_RSRC2:USER_SGPR: 6
; COMPUTE_PGM_RSRC2:TRAP_HANDLER: 0
; COMPUTE_PGM_RSRC2:TGID_X_EN: 1
; COMPUTE_PGM_RSRC2:TGID_Y_EN: 0
; COMPUTE_PGM_RSRC2:TGID_Z_EN: 0
; COMPUTE_PGM_RSRC2:TIDIG_COMP_CNT: 0
; COMPUTE_PGM_RSRC3_GFX90A:ACCUM_OFFSET: 0
; COMPUTE_PGM_RSRC3_GFX90A:TG_SPLIT: 0
	.section	.text._ZN7rocprim17ROCPRIM_400000_NS6detail17trampoline_kernelINS0_14default_configENS1_25partition_config_selectorILNS1_17partition_subalgoE1EyNS0_10empty_typeEbEEZZNS1_14partition_implILS5_1ELb0ES3_jN6thrust23THRUST_200600_302600_NS6detail15normal_iteratorINSA_10device_ptrIyEEEEPS6_NSA_18transform_iteratorI7is_evenIyESF_NSA_11use_defaultESK_EENS0_5tupleIJSF_SF_EEENSM_IJSG_SG_EEES6_PlJS6_EEE10hipError_tPvRmT3_T4_T5_T6_T7_T9_mT8_P12ihipStream_tbDpT10_ENKUlT_T0_E_clISt17integral_constantIbLb1EES18_IbLb0EEEEDaS14_S15_EUlS14_E_NS1_11comp_targetILNS1_3genE2ELNS1_11target_archE906ELNS1_3gpuE6ELNS1_3repE0EEENS1_30default_config_static_selectorELNS0_4arch9wavefront6targetE1EEEvT1_,"axG",@progbits,_ZN7rocprim17ROCPRIM_400000_NS6detail17trampoline_kernelINS0_14default_configENS1_25partition_config_selectorILNS1_17partition_subalgoE1EyNS0_10empty_typeEbEEZZNS1_14partition_implILS5_1ELb0ES3_jN6thrust23THRUST_200600_302600_NS6detail15normal_iteratorINSA_10device_ptrIyEEEEPS6_NSA_18transform_iteratorI7is_evenIyESF_NSA_11use_defaultESK_EENS0_5tupleIJSF_SF_EEENSM_IJSG_SG_EEES6_PlJS6_EEE10hipError_tPvRmT3_T4_T5_T6_T7_T9_mT8_P12ihipStream_tbDpT10_ENKUlT_T0_E_clISt17integral_constantIbLb1EES18_IbLb0EEEEDaS14_S15_EUlS14_E_NS1_11comp_targetILNS1_3genE2ELNS1_11target_archE906ELNS1_3gpuE6ELNS1_3repE0EEENS1_30default_config_static_selectorELNS0_4arch9wavefront6targetE1EEEvT1_,comdat
	.protected	_ZN7rocprim17ROCPRIM_400000_NS6detail17trampoline_kernelINS0_14default_configENS1_25partition_config_selectorILNS1_17partition_subalgoE1EyNS0_10empty_typeEbEEZZNS1_14partition_implILS5_1ELb0ES3_jN6thrust23THRUST_200600_302600_NS6detail15normal_iteratorINSA_10device_ptrIyEEEEPS6_NSA_18transform_iteratorI7is_evenIyESF_NSA_11use_defaultESK_EENS0_5tupleIJSF_SF_EEENSM_IJSG_SG_EEES6_PlJS6_EEE10hipError_tPvRmT3_T4_T5_T6_T7_T9_mT8_P12ihipStream_tbDpT10_ENKUlT_T0_E_clISt17integral_constantIbLb1EES18_IbLb0EEEEDaS14_S15_EUlS14_E_NS1_11comp_targetILNS1_3genE2ELNS1_11target_archE906ELNS1_3gpuE6ELNS1_3repE0EEENS1_30default_config_static_selectorELNS0_4arch9wavefront6targetE1EEEvT1_ ; -- Begin function _ZN7rocprim17ROCPRIM_400000_NS6detail17trampoline_kernelINS0_14default_configENS1_25partition_config_selectorILNS1_17partition_subalgoE1EyNS0_10empty_typeEbEEZZNS1_14partition_implILS5_1ELb0ES3_jN6thrust23THRUST_200600_302600_NS6detail15normal_iteratorINSA_10device_ptrIyEEEEPS6_NSA_18transform_iteratorI7is_evenIyESF_NSA_11use_defaultESK_EENS0_5tupleIJSF_SF_EEENSM_IJSG_SG_EEES6_PlJS6_EEE10hipError_tPvRmT3_T4_T5_T6_T7_T9_mT8_P12ihipStream_tbDpT10_ENKUlT_T0_E_clISt17integral_constantIbLb1EES18_IbLb0EEEEDaS14_S15_EUlS14_E_NS1_11comp_targetILNS1_3genE2ELNS1_11target_archE906ELNS1_3gpuE6ELNS1_3repE0EEENS1_30default_config_static_selectorELNS0_4arch9wavefront6targetE1EEEvT1_
	.globl	_ZN7rocprim17ROCPRIM_400000_NS6detail17trampoline_kernelINS0_14default_configENS1_25partition_config_selectorILNS1_17partition_subalgoE1EyNS0_10empty_typeEbEEZZNS1_14partition_implILS5_1ELb0ES3_jN6thrust23THRUST_200600_302600_NS6detail15normal_iteratorINSA_10device_ptrIyEEEEPS6_NSA_18transform_iteratorI7is_evenIyESF_NSA_11use_defaultESK_EENS0_5tupleIJSF_SF_EEENSM_IJSG_SG_EEES6_PlJS6_EEE10hipError_tPvRmT3_T4_T5_T6_T7_T9_mT8_P12ihipStream_tbDpT10_ENKUlT_T0_E_clISt17integral_constantIbLb1EES18_IbLb0EEEEDaS14_S15_EUlS14_E_NS1_11comp_targetILNS1_3genE2ELNS1_11target_archE906ELNS1_3gpuE6ELNS1_3repE0EEENS1_30default_config_static_selectorELNS0_4arch9wavefront6targetE1EEEvT1_
	.p2align	8
	.type	_ZN7rocprim17ROCPRIM_400000_NS6detail17trampoline_kernelINS0_14default_configENS1_25partition_config_selectorILNS1_17partition_subalgoE1EyNS0_10empty_typeEbEEZZNS1_14partition_implILS5_1ELb0ES3_jN6thrust23THRUST_200600_302600_NS6detail15normal_iteratorINSA_10device_ptrIyEEEEPS6_NSA_18transform_iteratorI7is_evenIyESF_NSA_11use_defaultESK_EENS0_5tupleIJSF_SF_EEENSM_IJSG_SG_EEES6_PlJS6_EEE10hipError_tPvRmT3_T4_T5_T6_T7_T9_mT8_P12ihipStream_tbDpT10_ENKUlT_T0_E_clISt17integral_constantIbLb1EES18_IbLb0EEEEDaS14_S15_EUlS14_E_NS1_11comp_targetILNS1_3genE2ELNS1_11target_archE906ELNS1_3gpuE6ELNS1_3repE0EEENS1_30default_config_static_selectorELNS0_4arch9wavefront6targetE1EEEvT1_,@function
_ZN7rocprim17ROCPRIM_400000_NS6detail17trampoline_kernelINS0_14default_configENS1_25partition_config_selectorILNS1_17partition_subalgoE1EyNS0_10empty_typeEbEEZZNS1_14partition_implILS5_1ELb0ES3_jN6thrust23THRUST_200600_302600_NS6detail15normal_iteratorINSA_10device_ptrIyEEEEPS6_NSA_18transform_iteratorI7is_evenIyESF_NSA_11use_defaultESK_EENS0_5tupleIJSF_SF_EEENSM_IJSG_SG_EEES6_PlJS6_EEE10hipError_tPvRmT3_T4_T5_T6_T7_T9_mT8_P12ihipStream_tbDpT10_ENKUlT_T0_E_clISt17integral_constantIbLb1EES18_IbLb0EEEEDaS14_S15_EUlS14_E_NS1_11comp_targetILNS1_3genE2ELNS1_11target_archE906ELNS1_3gpuE6ELNS1_3repE0EEENS1_30default_config_static_selectorELNS0_4arch9wavefront6targetE1EEEvT1_: ; @_ZN7rocprim17ROCPRIM_400000_NS6detail17trampoline_kernelINS0_14default_configENS1_25partition_config_selectorILNS1_17partition_subalgoE1EyNS0_10empty_typeEbEEZZNS1_14partition_implILS5_1ELb0ES3_jN6thrust23THRUST_200600_302600_NS6detail15normal_iteratorINSA_10device_ptrIyEEEEPS6_NSA_18transform_iteratorI7is_evenIyESF_NSA_11use_defaultESK_EENS0_5tupleIJSF_SF_EEENSM_IJSG_SG_EEES6_PlJS6_EEE10hipError_tPvRmT3_T4_T5_T6_T7_T9_mT8_P12ihipStream_tbDpT10_ENKUlT_T0_E_clISt17integral_constantIbLb1EES18_IbLb0EEEEDaS14_S15_EUlS14_E_NS1_11comp_targetILNS1_3genE2ELNS1_11target_archE906ELNS1_3gpuE6ELNS1_3repE0EEENS1_30default_config_static_selectorELNS0_4arch9wavefront6targetE1EEEvT1_
; %bb.0:
	.section	.rodata,"a",@progbits
	.p2align	6, 0x0
	.amdhsa_kernel _ZN7rocprim17ROCPRIM_400000_NS6detail17trampoline_kernelINS0_14default_configENS1_25partition_config_selectorILNS1_17partition_subalgoE1EyNS0_10empty_typeEbEEZZNS1_14partition_implILS5_1ELb0ES3_jN6thrust23THRUST_200600_302600_NS6detail15normal_iteratorINSA_10device_ptrIyEEEEPS6_NSA_18transform_iteratorI7is_evenIyESF_NSA_11use_defaultESK_EENS0_5tupleIJSF_SF_EEENSM_IJSG_SG_EEES6_PlJS6_EEE10hipError_tPvRmT3_T4_T5_T6_T7_T9_mT8_P12ihipStream_tbDpT10_ENKUlT_T0_E_clISt17integral_constantIbLb1EES18_IbLb0EEEEDaS14_S15_EUlS14_E_NS1_11comp_targetILNS1_3genE2ELNS1_11target_archE906ELNS1_3gpuE6ELNS1_3repE0EEENS1_30default_config_static_selectorELNS0_4arch9wavefront6targetE1EEEvT1_
		.amdhsa_group_segment_fixed_size 0
		.amdhsa_private_segment_fixed_size 0
		.amdhsa_kernarg_size 128
		.amdhsa_user_sgpr_count 6
		.amdhsa_user_sgpr_private_segment_buffer 1
		.amdhsa_user_sgpr_dispatch_ptr 0
		.amdhsa_user_sgpr_queue_ptr 0
		.amdhsa_user_sgpr_kernarg_segment_ptr 1
		.amdhsa_user_sgpr_dispatch_id 0
		.amdhsa_user_sgpr_flat_scratch_init 0
		.amdhsa_user_sgpr_kernarg_preload_length 0
		.amdhsa_user_sgpr_kernarg_preload_offset 0
		.amdhsa_user_sgpr_private_segment_size 0
		.amdhsa_uses_dynamic_stack 0
		.amdhsa_system_sgpr_private_segment_wavefront_offset 0
		.amdhsa_system_sgpr_workgroup_id_x 1
		.amdhsa_system_sgpr_workgroup_id_y 0
		.amdhsa_system_sgpr_workgroup_id_z 0
		.amdhsa_system_sgpr_workgroup_info 0
		.amdhsa_system_vgpr_workitem_id 0
		.amdhsa_next_free_vgpr 1
		.amdhsa_next_free_sgpr 0
		.amdhsa_accum_offset 4
		.amdhsa_reserve_vcc 0
		.amdhsa_reserve_flat_scratch 0
		.amdhsa_float_round_mode_32 0
		.amdhsa_float_round_mode_16_64 0
		.amdhsa_float_denorm_mode_32 3
		.amdhsa_float_denorm_mode_16_64 3
		.amdhsa_dx10_clamp 1
		.amdhsa_ieee_mode 1
		.amdhsa_fp16_overflow 0
		.amdhsa_tg_split 0
		.amdhsa_exception_fp_ieee_invalid_op 0
		.amdhsa_exception_fp_denorm_src 0
		.amdhsa_exception_fp_ieee_div_zero 0
		.amdhsa_exception_fp_ieee_overflow 0
		.amdhsa_exception_fp_ieee_underflow 0
		.amdhsa_exception_fp_ieee_inexact 0
		.amdhsa_exception_int_div_zero 0
	.end_amdhsa_kernel
	.section	.text._ZN7rocprim17ROCPRIM_400000_NS6detail17trampoline_kernelINS0_14default_configENS1_25partition_config_selectorILNS1_17partition_subalgoE1EyNS0_10empty_typeEbEEZZNS1_14partition_implILS5_1ELb0ES3_jN6thrust23THRUST_200600_302600_NS6detail15normal_iteratorINSA_10device_ptrIyEEEEPS6_NSA_18transform_iteratorI7is_evenIyESF_NSA_11use_defaultESK_EENS0_5tupleIJSF_SF_EEENSM_IJSG_SG_EEES6_PlJS6_EEE10hipError_tPvRmT3_T4_T5_T6_T7_T9_mT8_P12ihipStream_tbDpT10_ENKUlT_T0_E_clISt17integral_constantIbLb1EES18_IbLb0EEEEDaS14_S15_EUlS14_E_NS1_11comp_targetILNS1_3genE2ELNS1_11target_archE906ELNS1_3gpuE6ELNS1_3repE0EEENS1_30default_config_static_selectorELNS0_4arch9wavefront6targetE1EEEvT1_,"axG",@progbits,_ZN7rocprim17ROCPRIM_400000_NS6detail17trampoline_kernelINS0_14default_configENS1_25partition_config_selectorILNS1_17partition_subalgoE1EyNS0_10empty_typeEbEEZZNS1_14partition_implILS5_1ELb0ES3_jN6thrust23THRUST_200600_302600_NS6detail15normal_iteratorINSA_10device_ptrIyEEEEPS6_NSA_18transform_iteratorI7is_evenIyESF_NSA_11use_defaultESK_EENS0_5tupleIJSF_SF_EEENSM_IJSG_SG_EEES6_PlJS6_EEE10hipError_tPvRmT3_T4_T5_T6_T7_T9_mT8_P12ihipStream_tbDpT10_ENKUlT_T0_E_clISt17integral_constantIbLb1EES18_IbLb0EEEEDaS14_S15_EUlS14_E_NS1_11comp_targetILNS1_3genE2ELNS1_11target_archE906ELNS1_3gpuE6ELNS1_3repE0EEENS1_30default_config_static_selectorELNS0_4arch9wavefront6targetE1EEEvT1_,comdat
.Lfunc_end2223:
	.size	_ZN7rocprim17ROCPRIM_400000_NS6detail17trampoline_kernelINS0_14default_configENS1_25partition_config_selectorILNS1_17partition_subalgoE1EyNS0_10empty_typeEbEEZZNS1_14partition_implILS5_1ELb0ES3_jN6thrust23THRUST_200600_302600_NS6detail15normal_iteratorINSA_10device_ptrIyEEEEPS6_NSA_18transform_iteratorI7is_evenIyESF_NSA_11use_defaultESK_EENS0_5tupleIJSF_SF_EEENSM_IJSG_SG_EEES6_PlJS6_EEE10hipError_tPvRmT3_T4_T5_T6_T7_T9_mT8_P12ihipStream_tbDpT10_ENKUlT_T0_E_clISt17integral_constantIbLb1EES18_IbLb0EEEEDaS14_S15_EUlS14_E_NS1_11comp_targetILNS1_3genE2ELNS1_11target_archE906ELNS1_3gpuE6ELNS1_3repE0EEENS1_30default_config_static_selectorELNS0_4arch9wavefront6targetE1EEEvT1_, .Lfunc_end2223-_ZN7rocprim17ROCPRIM_400000_NS6detail17trampoline_kernelINS0_14default_configENS1_25partition_config_selectorILNS1_17partition_subalgoE1EyNS0_10empty_typeEbEEZZNS1_14partition_implILS5_1ELb0ES3_jN6thrust23THRUST_200600_302600_NS6detail15normal_iteratorINSA_10device_ptrIyEEEEPS6_NSA_18transform_iteratorI7is_evenIyESF_NSA_11use_defaultESK_EENS0_5tupleIJSF_SF_EEENSM_IJSG_SG_EEES6_PlJS6_EEE10hipError_tPvRmT3_T4_T5_T6_T7_T9_mT8_P12ihipStream_tbDpT10_ENKUlT_T0_E_clISt17integral_constantIbLb1EES18_IbLb0EEEEDaS14_S15_EUlS14_E_NS1_11comp_targetILNS1_3genE2ELNS1_11target_archE906ELNS1_3gpuE6ELNS1_3repE0EEENS1_30default_config_static_selectorELNS0_4arch9wavefront6targetE1EEEvT1_
                                        ; -- End function
	.section	.AMDGPU.csdata,"",@progbits
; Kernel info:
; codeLenInByte = 0
; NumSgprs: 4
; NumVgprs: 0
; NumAgprs: 0
; TotalNumVgprs: 0
; ScratchSize: 0
; MemoryBound: 0
; FloatMode: 240
; IeeeMode: 1
; LDSByteSize: 0 bytes/workgroup (compile time only)
; SGPRBlocks: 0
; VGPRBlocks: 0
; NumSGPRsForWavesPerEU: 4
; NumVGPRsForWavesPerEU: 1
; AccumOffset: 4
; Occupancy: 8
; WaveLimiterHint : 0
; COMPUTE_PGM_RSRC2:SCRATCH_EN: 0
; COMPUTE_PGM_RSRC2:USER_SGPR: 6
; COMPUTE_PGM_RSRC2:TRAP_HANDLER: 0
; COMPUTE_PGM_RSRC2:TGID_X_EN: 1
; COMPUTE_PGM_RSRC2:TGID_Y_EN: 0
; COMPUTE_PGM_RSRC2:TGID_Z_EN: 0
; COMPUTE_PGM_RSRC2:TIDIG_COMP_CNT: 0
; COMPUTE_PGM_RSRC3_GFX90A:ACCUM_OFFSET: 0
; COMPUTE_PGM_RSRC3_GFX90A:TG_SPLIT: 0
	.section	.text._ZN7rocprim17ROCPRIM_400000_NS6detail17trampoline_kernelINS0_14default_configENS1_25partition_config_selectorILNS1_17partition_subalgoE1EyNS0_10empty_typeEbEEZZNS1_14partition_implILS5_1ELb0ES3_jN6thrust23THRUST_200600_302600_NS6detail15normal_iteratorINSA_10device_ptrIyEEEEPS6_NSA_18transform_iteratorI7is_evenIyESF_NSA_11use_defaultESK_EENS0_5tupleIJSF_SF_EEENSM_IJSG_SG_EEES6_PlJS6_EEE10hipError_tPvRmT3_T4_T5_T6_T7_T9_mT8_P12ihipStream_tbDpT10_ENKUlT_T0_E_clISt17integral_constantIbLb1EES18_IbLb0EEEEDaS14_S15_EUlS14_E_NS1_11comp_targetILNS1_3genE10ELNS1_11target_archE1200ELNS1_3gpuE4ELNS1_3repE0EEENS1_30default_config_static_selectorELNS0_4arch9wavefront6targetE1EEEvT1_,"axG",@progbits,_ZN7rocprim17ROCPRIM_400000_NS6detail17trampoline_kernelINS0_14default_configENS1_25partition_config_selectorILNS1_17partition_subalgoE1EyNS0_10empty_typeEbEEZZNS1_14partition_implILS5_1ELb0ES3_jN6thrust23THRUST_200600_302600_NS6detail15normal_iteratorINSA_10device_ptrIyEEEEPS6_NSA_18transform_iteratorI7is_evenIyESF_NSA_11use_defaultESK_EENS0_5tupleIJSF_SF_EEENSM_IJSG_SG_EEES6_PlJS6_EEE10hipError_tPvRmT3_T4_T5_T6_T7_T9_mT8_P12ihipStream_tbDpT10_ENKUlT_T0_E_clISt17integral_constantIbLb1EES18_IbLb0EEEEDaS14_S15_EUlS14_E_NS1_11comp_targetILNS1_3genE10ELNS1_11target_archE1200ELNS1_3gpuE4ELNS1_3repE0EEENS1_30default_config_static_selectorELNS0_4arch9wavefront6targetE1EEEvT1_,comdat
	.protected	_ZN7rocprim17ROCPRIM_400000_NS6detail17trampoline_kernelINS0_14default_configENS1_25partition_config_selectorILNS1_17partition_subalgoE1EyNS0_10empty_typeEbEEZZNS1_14partition_implILS5_1ELb0ES3_jN6thrust23THRUST_200600_302600_NS6detail15normal_iteratorINSA_10device_ptrIyEEEEPS6_NSA_18transform_iteratorI7is_evenIyESF_NSA_11use_defaultESK_EENS0_5tupleIJSF_SF_EEENSM_IJSG_SG_EEES6_PlJS6_EEE10hipError_tPvRmT3_T4_T5_T6_T7_T9_mT8_P12ihipStream_tbDpT10_ENKUlT_T0_E_clISt17integral_constantIbLb1EES18_IbLb0EEEEDaS14_S15_EUlS14_E_NS1_11comp_targetILNS1_3genE10ELNS1_11target_archE1200ELNS1_3gpuE4ELNS1_3repE0EEENS1_30default_config_static_selectorELNS0_4arch9wavefront6targetE1EEEvT1_ ; -- Begin function _ZN7rocprim17ROCPRIM_400000_NS6detail17trampoline_kernelINS0_14default_configENS1_25partition_config_selectorILNS1_17partition_subalgoE1EyNS0_10empty_typeEbEEZZNS1_14partition_implILS5_1ELb0ES3_jN6thrust23THRUST_200600_302600_NS6detail15normal_iteratorINSA_10device_ptrIyEEEEPS6_NSA_18transform_iteratorI7is_evenIyESF_NSA_11use_defaultESK_EENS0_5tupleIJSF_SF_EEENSM_IJSG_SG_EEES6_PlJS6_EEE10hipError_tPvRmT3_T4_T5_T6_T7_T9_mT8_P12ihipStream_tbDpT10_ENKUlT_T0_E_clISt17integral_constantIbLb1EES18_IbLb0EEEEDaS14_S15_EUlS14_E_NS1_11comp_targetILNS1_3genE10ELNS1_11target_archE1200ELNS1_3gpuE4ELNS1_3repE0EEENS1_30default_config_static_selectorELNS0_4arch9wavefront6targetE1EEEvT1_
	.globl	_ZN7rocprim17ROCPRIM_400000_NS6detail17trampoline_kernelINS0_14default_configENS1_25partition_config_selectorILNS1_17partition_subalgoE1EyNS0_10empty_typeEbEEZZNS1_14partition_implILS5_1ELb0ES3_jN6thrust23THRUST_200600_302600_NS6detail15normal_iteratorINSA_10device_ptrIyEEEEPS6_NSA_18transform_iteratorI7is_evenIyESF_NSA_11use_defaultESK_EENS0_5tupleIJSF_SF_EEENSM_IJSG_SG_EEES6_PlJS6_EEE10hipError_tPvRmT3_T4_T5_T6_T7_T9_mT8_P12ihipStream_tbDpT10_ENKUlT_T0_E_clISt17integral_constantIbLb1EES18_IbLb0EEEEDaS14_S15_EUlS14_E_NS1_11comp_targetILNS1_3genE10ELNS1_11target_archE1200ELNS1_3gpuE4ELNS1_3repE0EEENS1_30default_config_static_selectorELNS0_4arch9wavefront6targetE1EEEvT1_
	.p2align	8
	.type	_ZN7rocprim17ROCPRIM_400000_NS6detail17trampoline_kernelINS0_14default_configENS1_25partition_config_selectorILNS1_17partition_subalgoE1EyNS0_10empty_typeEbEEZZNS1_14partition_implILS5_1ELb0ES3_jN6thrust23THRUST_200600_302600_NS6detail15normal_iteratorINSA_10device_ptrIyEEEEPS6_NSA_18transform_iteratorI7is_evenIyESF_NSA_11use_defaultESK_EENS0_5tupleIJSF_SF_EEENSM_IJSG_SG_EEES6_PlJS6_EEE10hipError_tPvRmT3_T4_T5_T6_T7_T9_mT8_P12ihipStream_tbDpT10_ENKUlT_T0_E_clISt17integral_constantIbLb1EES18_IbLb0EEEEDaS14_S15_EUlS14_E_NS1_11comp_targetILNS1_3genE10ELNS1_11target_archE1200ELNS1_3gpuE4ELNS1_3repE0EEENS1_30default_config_static_selectorELNS0_4arch9wavefront6targetE1EEEvT1_,@function
_ZN7rocprim17ROCPRIM_400000_NS6detail17trampoline_kernelINS0_14default_configENS1_25partition_config_selectorILNS1_17partition_subalgoE1EyNS0_10empty_typeEbEEZZNS1_14partition_implILS5_1ELb0ES3_jN6thrust23THRUST_200600_302600_NS6detail15normal_iteratorINSA_10device_ptrIyEEEEPS6_NSA_18transform_iteratorI7is_evenIyESF_NSA_11use_defaultESK_EENS0_5tupleIJSF_SF_EEENSM_IJSG_SG_EEES6_PlJS6_EEE10hipError_tPvRmT3_T4_T5_T6_T7_T9_mT8_P12ihipStream_tbDpT10_ENKUlT_T0_E_clISt17integral_constantIbLb1EES18_IbLb0EEEEDaS14_S15_EUlS14_E_NS1_11comp_targetILNS1_3genE10ELNS1_11target_archE1200ELNS1_3gpuE4ELNS1_3repE0EEENS1_30default_config_static_selectorELNS0_4arch9wavefront6targetE1EEEvT1_: ; @_ZN7rocprim17ROCPRIM_400000_NS6detail17trampoline_kernelINS0_14default_configENS1_25partition_config_selectorILNS1_17partition_subalgoE1EyNS0_10empty_typeEbEEZZNS1_14partition_implILS5_1ELb0ES3_jN6thrust23THRUST_200600_302600_NS6detail15normal_iteratorINSA_10device_ptrIyEEEEPS6_NSA_18transform_iteratorI7is_evenIyESF_NSA_11use_defaultESK_EENS0_5tupleIJSF_SF_EEENSM_IJSG_SG_EEES6_PlJS6_EEE10hipError_tPvRmT3_T4_T5_T6_T7_T9_mT8_P12ihipStream_tbDpT10_ENKUlT_T0_E_clISt17integral_constantIbLb1EES18_IbLb0EEEEDaS14_S15_EUlS14_E_NS1_11comp_targetILNS1_3genE10ELNS1_11target_archE1200ELNS1_3gpuE4ELNS1_3repE0EEENS1_30default_config_static_selectorELNS0_4arch9wavefront6targetE1EEEvT1_
; %bb.0:
	.section	.rodata,"a",@progbits
	.p2align	6, 0x0
	.amdhsa_kernel _ZN7rocprim17ROCPRIM_400000_NS6detail17trampoline_kernelINS0_14default_configENS1_25partition_config_selectorILNS1_17partition_subalgoE1EyNS0_10empty_typeEbEEZZNS1_14partition_implILS5_1ELb0ES3_jN6thrust23THRUST_200600_302600_NS6detail15normal_iteratorINSA_10device_ptrIyEEEEPS6_NSA_18transform_iteratorI7is_evenIyESF_NSA_11use_defaultESK_EENS0_5tupleIJSF_SF_EEENSM_IJSG_SG_EEES6_PlJS6_EEE10hipError_tPvRmT3_T4_T5_T6_T7_T9_mT8_P12ihipStream_tbDpT10_ENKUlT_T0_E_clISt17integral_constantIbLb1EES18_IbLb0EEEEDaS14_S15_EUlS14_E_NS1_11comp_targetILNS1_3genE10ELNS1_11target_archE1200ELNS1_3gpuE4ELNS1_3repE0EEENS1_30default_config_static_selectorELNS0_4arch9wavefront6targetE1EEEvT1_
		.amdhsa_group_segment_fixed_size 0
		.amdhsa_private_segment_fixed_size 0
		.amdhsa_kernarg_size 128
		.amdhsa_user_sgpr_count 6
		.amdhsa_user_sgpr_private_segment_buffer 1
		.amdhsa_user_sgpr_dispatch_ptr 0
		.amdhsa_user_sgpr_queue_ptr 0
		.amdhsa_user_sgpr_kernarg_segment_ptr 1
		.amdhsa_user_sgpr_dispatch_id 0
		.amdhsa_user_sgpr_flat_scratch_init 0
		.amdhsa_user_sgpr_kernarg_preload_length 0
		.amdhsa_user_sgpr_kernarg_preload_offset 0
		.amdhsa_user_sgpr_private_segment_size 0
		.amdhsa_uses_dynamic_stack 0
		.amdhsa_system_sgpr_private_segment_wavefront_offset 0
		.amdhsa_system_sgpr_workgroup_id_x 1
		.amdhsa_system_sgpr_workgroup_id_y 0
		.amdhsa_system_sgpr_workgroup_id_z 0
		.amdhsa_system_sgpr_workgroup_info 0
		.amdhsa_system_vgpr_workitem_id 0
		.amdhsa_next_free_vgpr 1
		.amdhsa_next_free_sgpr 0
		.amdhsa_accum_offset 4
		.amdhsa_reserve_vcc 0
		.amdhsa_reserve_flat_scratch 0
		.amdhsa_float_round_mode_32 0
		.amdhsa_float_round_mode_16_64 0
		.amdhsa_float_denorm_mode_32 3
		.amdhsa_float_denorm_mode_16_64 3
		.amdhsa_dx10_clamp 1
		.amdhsa_ieee_mode 1
		.amdhsa_fp16_overflow 0
		.amdhsa_tg_split 0
		.amdhsa_exception_fp_ieee_invalid_op 0
		.amdhsa_exception_fp_denorm_src 0
		.amdhsa_exception_fp_ieee_div_zero 0
		.amdhsa_exception_fp_ieee_overflow 0
		.amdhsa_exception_fp_ieee_underflow 0
		.amdhsa_exception_fp_ieee_inexact 0
		.amdhsa_exception_int_div_zero 0
	.end_amdhsa_kernel
	.section	.text._ZN7rocprim17ROCPRIM_400000_NS6detail17trampoline_kernelINS0_14default_configENS1_25partition_config_selectorILNS1_17partition_subalgoE1EyNS0_10empty_typeEbEEZZNS1_14partition_implILS5_1ELb0ES3_jN6thrust23THRUST_200600_302600_NS6detail15normal_iteratorINSA_10device_ptrIyEEEEPS6_NSA_18transform_iteratorI7is_evenIyESF_NSA_11use_defaultESK_EENS0_5tupleIJSF_SF_EEENSM_IJSG_SG_EEES6_PlJS6_EEE10hipError_tPvRmT3_T4_T5_T6_T7_T9_mT8_P12ihipStream_tbDpT10_ENKUlT_T0_E_clISt17integral_constantIbLb1EES18_IbLb0EEEEDaS14_S15_EUlS14_E_NS1_11comp_targetILNS1_3genE10ELNS1_11target_archE1200ELNS1_3gpuE4ELNS1_3repE0EEENS1_30default_config_static_selectorELNS0_4arch9wavefront6targetE1EEEvT1_,"axG",@progbits,_ZN7rocprim17ROCPRIM_400000_NS6detail17trampoline_kernelINS0_14default_configENS1_25partition_config_selectorILNS1_17partition_subalgoE1EyNS0_10empty_typeEbEEZZNS1_14partition_implILS5_1ELb0ES3_jN6thrust23THRUST_200600_302600_NS6detail15normal_iteratorINSA_10device_ptrIyEEEEPS6_NSA_18transform_iteratorI7is_evenIyESF_NSA_11use_defaultESK_EENS0_5tupleIJSF_SF_EEENSM_IJSG_SG_EEES6_PlJS6_EEE10hipError_tPvRmT3_T4_T5_T6_T7_T9_mT8_P12ihipStream_tbDpT10_ENKUlT_T0_E_clISt17integral_constantIbLb1EES18_IbLb0EEEEDaS14_S15_EUlS14_E_NS1_11comp_targetILNS1_3genE10ELNS1_11target_archE1200ELNS1_3gpuE4ELNS1_3repE0EEENS1_30default_config_static_selectorELNS0_4arch9wavefront6targetE1EEEvT1_,comdat
.Lfunc_end2224:
	.size	_ZN7rocprim17ROCPRIM_400000_NS6detail17trampoline_kernelINS0_14default_configENS1_25partition_config_selectorILNS1_17partition_subalgoE1EyNS0_10empty_typeEbEEZZNS1_14partition_implILS5_1ELb0ES3_jN6thrust23THRUST_200600_302600_NS6detail15normal_iteratorINSA_10device_ptrIyEEEEPS6_NSA_18transform_iteratorI7is_evenIyESF_NSA_11use_defaultESK_EENS0_5tupleIJSF_SF_EEENSM_IJSG_SG_EEES6_PlJS6_EEE10hipError_tPvRmT3_T4_T5_T6_T7_T9_mT8_P12ihipStream_tbDpT10_ENKUlT_T0_E_clISt17integral_constantIbLb1EES18_IbLb0EEEEDaS14_S15_EUlS14_E_NS1_11comp_targetILNS1_3genE10ELNS1_11target_archE1200ELNS1_3gpuE4ELNS1_3repE0EEENS1_30default_config_static_selectorELNS0_4arch9wavefront6targetE1EEEvT1_, .Lfunc_end2224-_ZN7rocprim17ROCPRIM_400000_NS6detail17trampoline_kernelINS0_14default_configENS1_25partition_config_selectorILNS1_17partition_subalgoE1EyNS0_10empty_typeEbEEZZNS1_14partition_implILS5_1ELb0ES3_jN6thrust23THRUST_200600_302600_NS6detail15normal_iteratorINSA_10device_ptrIyEEEEPS6_NSA_18transform_iteratorI7is_evenIyESF_NSA_11use_defaultESK_EENS0_5tupleIJSF_SF_EEENSM_IJSG_SG_EEES6_PlJS6_EEE10hipError_tPvRmT3_T4_T5_T6_T7_T9_mT8_P12ihipStream_tbDpT10_ENKUlT_T0_E_clISt17integral_constantIbLb1EES18_IbLb0EEEEDaS14_S15_EUlS14_E_NS1_11comp_targetILNS1_3genE10ELNS1_11target_archE1200ELNS1_3gpuE4ELNS1_3repE0EEENS1_30default_config_static_selectorELNS0_4arch9wavefront6targetE1EEEvT1_
                                        ; -- End function
	.section	.AMDGPU.csdata,"",@progbits
; Kernel info:
; codeLenInByte = 0
; NumSgprs: 4
; NumVgprs: 0
; NumAgprs: 0
; TotalNumVgprs: 0
; ScratchSize: 0
; MemoryBound: 0
; FloatMode: 240
; IeeeMode: 1
; LDSByteSize: 0 bytes/workgroup (compile time only)
; SGPRBlocks: 0
; VGPRBlocks: 0
; NumSGPRsForWavesPerEU: 4
; NumVGPRsForWavesPerEU: 1
; AccumOffset: 4
; Occupancy: 8
; WaveLimiterHint : 0
; COMPUTE_PGM_RSRC2:SCRATCH_EN: 0
; COMPUTE_PGM_RSRC2:USER_SGPR: 6
; COMPUTE_PGM_RSRC2:TRAP_HANDLER: 0
; COMPUTE_PGM_RSRC2:TGID_X_EN: 1
; COMPUTE_PGM_RSRC2:TGID_Y_EN: 0
; COMPUTE_PGM_RSRC2:TGID_Z_EN: 0
; COMPUTE_PGM_RSRC2:TIDIG_COMP_CNT: 0
; COMPUTE_PGM_RSRC3_GFX90A:ACCUM_OFFSET: 0
; COMPUTE_PGM_RSRC3_GFX90A:TG_SPLIT: 0
	.section	.text._ZN7rocprim17ROCPRIM_400000_NS6detail17trampoline_kernelINS0_14default_configENS1_25partition_config_selectorILNS1_17partition_subalgoE1EyNS0_10empty_typeEbEEZZNS1_14partition_implILS5_1ELb0ES3_jN6thrust23THRUST_200600_302600_NS6detail15normal_iteratorINSA_10device_ptrIyEEEEPS6_NSA_18transform_iteratorI7is_evenIyESF_NSA_11use_defaultESK_EENS0_5tupleIJSF_SF_EEENSM_IJSG_SG_EEES6_PlJS6_EEE10hipError_tPvRmT3_T4_T5_T6_T7_T9_mT8_P12ihipStream_tbDpT10_ENKUlT_T0_E_clISt17integral_constantIbLb1EES18_IbLb0EEEEDaS14_S15_EUlS14_E_NS1_11comp_targetILNS1_3genE9ELNS1_11target_archE1100ELNS1_3gpuE3ELNS1_3repE0EEENS1_30default_config_static_selectorELNS0_4arch9wavefront6targetE1EEEvT1_,"axG",@progbits,_ZN7rocprim17ROCPRIM_400000_NS6detail17trampoline_kernelINS0_14default_configENS1_25partition_config_selectorILNS1_17partition_subalgoE1EyNS0_10empty_typeEbEEZZNS1_14partition_implILS5_1ELb0ES3_jN6thrust23THRUST_200600_302600_NS6detail15normal_iteratorINSA_10device_ptrIyEEEEPS6_NSA_18transform_iteratorI7is_evenIyESF_NSA_11use_defaultESK_EENS0_5tupleIJSF_SF_EEENSM_IJSG_SG_EEES6_PlJS6_EEE10hipError_tPvRmT3_T4_T5_T6_T7_T9_mT8_P12ihipStream_tbDpT10_ENKUlT_T0_E_clISt17integral_constantIbLb1EES18_IbLb0EEEEDaS14_S15_EUlS14_E_NS1_11comp_targetILNS1_3genE9ELNS1_11target_archE1100ELNS1_3gpuE3ELNS1_3repE0EEENS1_30default_config_static_selectorELNS0_4arch9wavefront6targetE1EEEvT1_,comdat
	.protected	_ZN7rocprim17ROCPRIM_400000_NS6detail17trampoline_kernelINS0_14default_configENS1_25partition_config_selectorILNS1_17partition_subalgoE1EyNS0_10empty_typeEbEEZZNS1_14partition_implILS5_1ELb0ES3_jN6thrust23THRUST_200600_302600_NS6detail15normal_iteratorINSA_10device_ptrIyEEEEPS6_NSA_18transform_iteratorI7is_evenIyESF_NSA_11use_defaultESK_EENS0_5tupleIJSF_SF_EEENSM_IJSG_SG_EEES6_PlJS6_EEE10hipError_tPvRmT3_T4_T5_T6_T7_T9_mT8_P12ihipStream_tbDpT10_ENKUlT_T0_E_clISt17integral_constantIbLb1EES18_IbLb0EEEEDaS14_S15_EUlS14_E_NS1_11comp_targetILNS1_3genE9ELNS1_11target_archE1100ELNS1_3gpuE3ELNS1_3repE0EEENS1_30default_config_static_selectorELNS0_4arch9wavefront6targetE1EEEvT1_ ; -- Begin function _ZN7rocprim17ROCPRIM_400000_NS6detail17trampoline_kernelINS0_14default_configENS1_25partition_config_selectorILNS1_17partition_subalgoE1EyNS0_10empty_typeEbEEZZNS1_14partition_implILS5_1ELb0ES3_jN6thrust23THRUST_200600_302600_NS6detail15normal_iteratorINSA_10device_ptrIyEEEEPS6_NSA_18transform_iteratorI7is_evenIyESF_NSA_11use_defaultESK_EENS0_5tupleIJSF_SF_EEENSM_IJSG_SG_EEES6_PlJS6_EEE10hipError_tPvRmT3_T4_T5_T6_T7_T9_mT8_P12ihipStream_tbDpT10_ENKUlT_T0_E_clISt17integral_constantIbLb1EES18_IbLb0EEEEDaS14_S15_EUlS14_E_NS1_11comp_targetILNS1_3genE9ELNS1_11target_archE1100ELNS1_3gpuE3ELNS1_3repE0EEENS1_30default_config_static_selectorELNS0_4arch9wavefront6targetE1EEEvT1_
	.globl	_ZN7rocprim17ROCPRIM_400000_NS6detail17trampoline_kernelINS0_14default_configENS1_25partition_config_selectorILNS1_17partition_subalgoE1EyNS0_10empty_typeEbEEZZNS1_14partition_implILS5_1ELb0ES3_jN6thrust23THRUST_200600_302600_NS6detail15normal_iteratorINSA_10device_ptrIyEEEEPS6_NSA_18transform_iteratorI7is_evenIyESF_NSA_11use_defaultESK_EENS0_5tupleIJSF_SF_EEENSM_IJSG_SG_EEES6_PlJS6_EEE10hipError_tPvRmT3_T4_T5_T6_T7_T9_mT8_P12ihipStream_tbDpT10_ENKUlT_T0_E_clISt17integral_constantIbLb1EES18_IbLb0EEEEDaS14_S15_EUlS14_E_NS1_11comp_targetILNS1_3genE9ELNS1_11target_archE1100ELNS1_3gpuE3ELNS1_3repE0EEENS1_30default_config_static_selectorELNS0_4arch9wavefront6targetE1EEEvT1_
	.p2align	8
	.type	_ZN7rocprim17ROCPRIM_400000_NS6detail17trampoline_kernelINS0_14default_configENS1_25partition_config_selectorILNS1_17partition_subalgoE1EyNS0_10empty_typeEbEEZZNS1_14partition_implILS5_1ELb0ES3_jN6thrust23THRUST_200600_302600_NS6detail15normal_iteratorINSA_10device_ptrIyEEEEPS6_NSA_18transform_iteratorI7is_evenIyESF_NSA_11use_defaultESK_EENS0_5tupleIJSF_SF_EEENSM_IJSG_SG_EEES6_PlJS6_EEE10hipError_tPvRmT3_T4_T5_T6_T7_T9_mT8_P12ihipStream_tbDpT10_ENKUlT_T0_E_clISt17integral_constantIbLb1EES18_IbLb0EEEEDaS14_S15_EUlS14_E_NS1_11comp_targetILNS1_3genE9ELNS1_11target_archE1100ELNS1_3gpuE3ELNS1_3repE0EEENS1_30default_config_static_selectorELNS0_4arch9wavefront6targetE1EEEvT1_,@function
_ZN7rocprim17ROCPRIM_400000_NS6detail17trampoline_kernelINS0_14default_configENS1_25partition_config_selectorILNS1_17partition_subalgoE1EyNS0_10empty_typeEbEEZZNS1_14partition_implILS5_1ELb0ES3_jN6thrust23THRUST_200600_302600_NS6detail15normal_iteratorINSA_10device_ptrIyEEEEPS6_NSA_18transform_iteratorI7is_evenIyESF_NSA_11use_defaultESK_EENS0_5tupleIJSF_SF_EEENSM_IJSG_SG_EEES6_PlJS6_EEE10hipError_tPvRmT3_T4_T5_T6_T7_T9_mT8_P12ihipStream_tbDpT10_ENKUlT_T0_E_clISt17integral_constantIbLb1EES18_IbLb0EEEEDaS14_S15_EUlS14_E_NS1_11comp_targetILNS1_3genE9ELNS1_11target_archE1100ELNS1_3gpuE3ELNS1_3repE0EEENS1_30default_config_static_selectorELNS0_4arch9wavefront6targetE1EEEvT1_: ; @_ZN7rocprim17ROCPRIM_400000_NS6detail17trampoline_kernelINS0_14default_configENS1_25partition_config_selectorILNS1_17partition_subalgoE1EyNS0_10empty_typeEbEEZZNS1_14partition_implILS5_1ELb0ES3_jN6thrust23THRUST_200600_302600_NS6detail15normal_iteratorINSA_10device_ptrIyEEEEPS6_NSA_18transform_iteratorI7is_evenIyESF_NSA_11use_defaultESK_EENS0_5tupleIJSF_SF_EEENSM_IJSG_SG_EEES6_PlJS6_EEE10hipError_tPvRmT3_T4_T5_T6_T7_T9_mT8_P12ihipStream_tbDpT10_ENKUlT_T0_E_clISt17integral_constantIbLb1EES18_IbLb0EEEEDaS14_S15_EUlS14_E_NS1_11comp_targetILNS1_3genE9ELNS1_11target_archE1100ELNS1_3gpuE3ELNS1_3repE0EEENS1_30default_config_static_selectorELNS0_4arch9wavefront6targetE1EEEvT1_
; %bb.0:
	.section	.rodata,"a",@progbits
	.p2align	6, 0x0
	.amdhsa_kernel _ZN7rocprim17ROCPRIM_400000_NS6detail17trampoline_kernelINS0_14default_configENS1_25partition_config_selectorILNS1_17partition_subalgoE1EyNS0_10empty_typeEbEEZZNS1_14partition_implILS5_1ELb0ES3_jN6thrust23THRUST_200600_302600_NS6detail15normal_iteratorINSA_10device_ptrIyEEEEPS6_NSA_18transform_iteratorI7is_evenIyESF_NSA_11use_defaultESK_EENS0_5tupleIJSF_SF_EEENSM_IJSG_SG_EEES6_PlJS6_EEE10hipError_tPvRmT3_T4_T5_T6_T7_T9_mT8_P12ihipStream_tbDpT10_ENKUlT_T0_E_clISt17integral_constantIbLb1EES18_IbLb0EEEEDaS14_S15_EUlS14_E_NS1_11comp_targetILNS1_3genE9ELNS1_11target_archE1100ELNS1_3gpuE3ELNS1_3repE0EEENS1_30default_config_static_selectorELNS0_4arch9wavefront6targetE1EEEvT1_
		.amdhsa_group_segment_fixed_size 0
		.amdhsa_private_segment_fixed_size 0
		.amdhsa_kernarg_size 128
		.amdhsa_user_sgpr_count 6
		.amdhsa_user_sgpr_private_segment_buffer 1
		.amdhsa_user_sgpr_dispatch_ptr 0
		.amdhsa_user_sgpr_queue_ptr 0
		.amdhsa_user_sgpr_kernarg_segment_ptr 1
		.amdhsa_user_sgpr_dispatch_id 0
		.amdhsa_user_sgpr_flat_scratch_init 0
		.amdhsa_user_sgpr_kernarg_preload_length 0
		.amdhsa_user_sgpr_kernarg_preload_offset 0
		.amdhsa_user_sgpr_private_segment_size 0
		.amdhsa_uses_dynamic_stack 0
		.amdhsa_system_sgpr_private_segment_wavefront_offset 0
		.amdhsa_system_sgpr_workgroup_id_x 1
		.amdhsa_system_sgpr_workgroup_id_y 0
		.amdhsa_system_sgpr_workgroup_id_z 0
		.amdhsa_system_sgpr_workgroup_info 0
		.amdhsa_system_vgpr_workitem_id 0
		.amdhsa_next_free_vgpr 1
		.amdhsa_next_free_sgpr 0
		.amdhsa_accum_offset 4
		.amdhsa_reserve_vcc 0
		.amdhsa_reserve_flat_scratch 0
		.amdhsa_float_round_mode_32 0
		.amdhsa_float_round_mode_16_64 0
		.amdhsa_float_denorm_mode_32 3
		.amdhsa_float_denorm_mode_16_64 3
		.amdhsa_dx10_clamp 1
		.amdhsa_ieee_mode 1
		.amdhsa_fp16_overflow 0
		.amdhsa_tg_split 0
		.amdhsa_exception_fp_ieee_invalid_op 0
		.amdhsa_exception_fp_denorm_src 0
		.amdhsa_exception_fp_ieee_div_zero 0
		.amdhsa_exception_fp_ieee_overflow 0
		.amdhsa_exception_fp_ieee_underflow 0
		.amdhsa_exception_fp_ieee_inexact 0
		.amdhsa_exception_int_div_zero 0
	.end_amdhsa_kernel
	.section	.text._ZN7rocprim17ROCPRIM_400000_NS6detail17trampoline_kernelINS0_14default_configENS1_25partition_config_selectorILNS1_17partition_subalgoE1EyNS0_10empty_typeEbEEZZNS1_14partition_implILS5_1ELb0ES3_jN6thrust23THRUST_200600_302600_NS6detail15normal_iteratorINSA_10device_ptrIyEEEEPS6_NSA_18transform_iteratorI7is_evenIyESF_NSA_11use_defaultESK_EENS0_5tupleIJSF_SF_EEENSM_IJSG_SG_EEES6_PlJS6_EEE10hipError_tPvRmT3_T4_T5_T6_T7_T9_mT8_P12ihipStream_tbDpT10_ENKUlT_T0_E_clISt17integral_constantIbLb1EES18_IbLb0EEEEDaS14_S15_EUlS14_E_NS1_11comp_targetILNS1_3genE9ELNS1_11target_archE1100ELNS1_3gpuE3ELNS1_3repE0EEENS1_30default_config_static_selectorELNS0_4arch9wavefront6targetE1EEEvT1_,"axG",@progbits,_ZN7rocprim17ROCPRIM_400000_NS6detail17trampoline_kernelINS0_14default_configENS1_25partition_config_selectorILNS1_17partition_subalgoE1EyNS0_10empty_typeEbEEZZNS1_14partition_implILS5_1ELb0ES3_jN6thrust23THRUST_200600_302600_NS6detail15normal_iteratorINSA_10device_ptrIyEEEEPS6_NSA_18transform_iteratorI7is_evenIyESF_NSA_11use_defaultESK_EENS0_5tupleIJSF_SF_EEENSM_IJSG_SG_EEES6_PlJS6_EEE10hipError_tPvRmT3_T4_T5_T6_T7_T9_mT8_P12ihipStream_tbDpT10_ENKUlT_T0_E_clISt17integral_constantIbLb1EES18_IbLb0EEEEDaS14_S15_EUlS14_E_NS1_11comp_targetILNS1_3genE9ELNS1_11target_archE1100ELNS1_3gpuE3ELNS1_3repE0EEENS1_30default_config_static_selectorELNS0_4arch9wavefront6targetE1EEEvT1_,comdat
.Lfunc_end2225:
	.size	_ZN7rocprim17ROCPRIM_400000_NS6detail17trampoline_kernelINS0_14default_configENS1_25partition_config_selectorILNS1_17partition_subalgoE1EyNS0_10empty_typeEbEEZZNS1_14partition_implILS5_1ELb0ES3_jN6thrust23THRUST_200600_302600_NS6detail15normal_iteratorINSA_10device_ptrIyEEEEPS6_NSA_18transform_iteratorI7is_evenIyESF_NSA_11use_defaultESK_EENS0_5tupleIJSF_SF_EEENSM_IJSG_SG_EEES6_PlJS6_EEE10hipError_tPvRmT3_T4_T5_T6_T7_T9_mT8_P12ihipStream_tbDpT10_ENKUlT_T0_E_clISt17integral_constantIbLb1EES18_IbLb0EEEEDaS14_S15_EUlS14_E_NS1_11comp_targetILNS1_3genE9ELNS1_11target_archE1100ELNS1_3gpuE3ELNS1_3repE0EEENS1_30default_config_static_selectorELNS0_4arch9wavefront6targetE1EEEvT1_, .Lfunc_end2225-_ZN7rocprim17ROCPRIM_400000_NS6detail17trampoline_kernelINS0_14default_configENS1_25partition_config_selectorILNS1_17partition_subalgoE1EyNS0_10empty_typeEbEEZZNS1_14partition_implILS5_1ELb0ES3_jN6thrust23THRUST_200600_302600_NS6detail15normal_iteratorINSA_10device_ptrIyEEEEPS6_NSA_18transform_iteratorI7is_evenIyESF_NSA_11use_defaultESK_EENS0_5tupleIJSF_SF_EEENSM_IJSG_SG_EEES6_PlJS6_EEE10hipError_tPvRmT3_T4_T5_T6_T7_T9_mT8_P12ihipStream_tbDpT10_ENKUlT_T0_E_clISt17integral_constantIbLb1EES18_IbLb0EEEEDaS14_S15_EUlS14_E_NS1_11comp_targetILNS1_3genE9ELNS1_11target_archE1100ELNS1_3gpuE3ELNS1_3repE0EEENS1_30default_config_static_selectorELNS0_4arch9wavefront6targetE1EEEvT1_
                                        ; -- End function
	.section	.AMDGPU.csdata,"",@progbits
; Kernel info:
; codeLenInByte = 0
; NumSgprs: 4
; NumVgprs: 0
; NumAgprs: 0
; TotalNumVgprs: 0
; ScratchSize: 0
; MemoryBound: 0
; FloatMode: 240
; IeeeMode: 1
; LDSByteSize: 0 bytes/workgroup (compile time only)
; SGPRBlocks: 0
; VGPRBlocks: 0
; NumSGPRsForWavesPerEU: 4
; NumVGPRsForWavesPerEU: 1
; AccumOffset: 4
; Occupancy: 8
; WaveLimiterHint : 0
; COMPUTE_PGM_RSRC2:SCRATCH_EN: 0
; COMPUTE_PGM_RSRC2:USER_SGPR: 6
; COMPUTE_PGM_RSRC2:TRAP_HANDLER: 0
; COMPUTE_PGM_RSRC2:TGID_X_EN: 1
; COMPUTE_PGM_RSRC2:TGID_Y_EN: 0
; COMPUTE_PGM_RSRC2:TGID_Z_EN: 0
; COMPUTE_PGM_RSRC2:TIDIG_COMP_CNT: 0
; COMPUTE_PGM_RSRC3_GFX90A:ACCUM_OFFSET: 0
; COMPUTE_PGM_RSRC3_GFX90A:TG_SPLIT: 0
	.section	.text._ZN7rocprim17ROCPRIM_400000_NS6detail17trampoline_kernelINS0_14default_configENS1_25partition_config_selectorILNS1_17partition_subalgoE1EyNS0_10empty_typeEbEEZZNS1_14partition_implILS5_1ELb0ES3_jN6thrust23THRUST_200600_302600_NS6detail15normal_iteratorINSA_10device_ptrIyEEEEPS6_NSA_18transform_iteratorI7is_evenIyESF_NSA_11use_defaultESK_EENS0_5tupleIJSF_SF_EEENSM_IJSG_SG_EEES6_PlJS6_EEE10hipError_tPvRmT3_T4_T5_T6_T7_T9_mT8_P12ihipStream_tbDpT10_ENKUlT_T0_E_clISt17integral_constantIbLb1EES18_IbLb0EEEEDaS14_S15_EUlS14_E_NS1_11comp_targetILNS1_3genE8ELNS1_11target_archE1030ELNS1_3gpuE2ELNS1_3repE0EEENS1_30default_config_static_selectorELNS0_4arch9wavefront6targetE1EEEvT1_,"axG",@progbits,_ZN7rocprim17ROCPRIM_400000_NS6detail17trampoline_kernelINS0_14default_configENS1_25partition_config_selectorILNS1_17partition_subalgoE1EyNS0_10empty_typeEbEEZZNS1_14partition_implILS5_1ELb0ES3_jN6thrust23THRUST_200600_302600_NS6detail15normal_iteratorINSA_10device_ptrIyEEEEPS6_NSA_18transform_iteratorI7is_evenIyESF_NSA_11use_defaultESK_EENS0_5tupleIJSF_SF_EEENSM_IJSG_SG_EEES6_PlJS6_EEE10hipError_tPvRmT3_T4_T5_T6_T7_T9_mT8_P12ihipStream_tbDpT10_ENKUlT_T0_E_clISt17integral_constantIbLb1EES18_IbLb0EEEEDaS14_S15_EUlS14_E_NS1_11comp_targetILNS1_3genE8ELNS1_11target_archE1030ELNS1_3gpuE2ELNS1_3repE0EEENS1_30default_config_static_selectorELNS0_4arch9wavefront6targetE1EEEvT1_,comdat
	.protected	_ZN7rocprim17ROCPRIM_400000_NS6detail17trampoline_kernelINS0_14default_configENS1_25partition_config_selectorILNS1_17partition_subalgoE1EyNS0_10empty_typeEbEEZZNS1_14partition_implILS5_1ELb0ES3_jN6thrust23THRUST_200600_302600_NS6detail15normal_iteratorINSA_10device_ptrIyEEEEPS6_NSA_18transform_iteratorI7is_evenIyESF_NSA_11use_defaultESK_EENS0_5tupleIJSF_SF_EEENSM_IJSG_SG_EEES6_PlJS6_EEE10hipError_tPvRmT3_T4_T5_T6_T7_T9_mT8_P12ihipStream_tbDpT10_ENKUlT_T0_E_clISt17integral_constantIbLb1EES18_IbLb0EEEEDaS14_S15_EUlS14_E_NS1_11comp_targetILNS1_3genE8ELNS1_11target_archE1030ELNS1_3gpuE2ELNS1_3repE0EEENS1_30default_config_static_selectorELNS0_4arch9wavefront6targetE1EEEvT1_ ; -- Begin function _ZN7rocprim17ROCPRIM_400000_NS6detail17trampoline_kernelINS0_14default_configENS1_25partition_config_selectorILNS1_17partition_subalgoE1EyNS0_10empty_typeEbEEZZNS1_14partition_implILS5_1ELb0ES3_jN6thrust23THRUST_200600_302600_NS6detail15normal_iteratorINSA_10device_ptrIyEEEEPS6_NSA_18transform_iteratorI7is_evenIyESF_NSA_11use_defaultESK_EENS0_5tupleIJSF_SF_EEENSM_IJSG_SG_EEES6_PlJS6_EEE10hipError_tPvRmT3_T4_T5_T6_T7_T9_mT8_P12ihipStream_tbDpT10_ENKUlT_T0_E_clISt17integral_constantIbLb1EES18_IbLb0EEEEDaS14_S15_EUlS14_E_NS1_11comp_targetILNS1_3genE8ELNS1_11target_archE1030ELNS1_3gpuE2ELNS1_3repE0EEENS1_30default_config_static_selectorELNS0_4arch9wavefront6targetE1EEEvT1_
	.globl	_ZN7rocprim17ROCPRIM_400000_NS6detail17trampoline_kernelINS0_14default_configENS1_25partition_config_selectorILNS1_17partition_subalgoE1EyNS0_10empty_typeEbEEZZNS1_14partition_implILS5_1ELb0ES3_jN6thrust23THRUST_200600_302600_NS6detail15normal_iteratorINSA_10device_ptrIyEEEEPS6_NSA_18transform_iteratorI7is_evenIyESF_NSA_11use_defaultESK_EENS0_5tupleIJSF_SF_EEENSM_IJSG_SG_EEES6_PlJS6_EEE10hipError_tPvRmT3_T4_T5_T6_T7_T9_mT8_P12ihipStream_tbDpT10_ENKUlT_T0_E_clISt17integral_constantIbLb1EES18_IbLb0EEEEDaS14_S15_EUlS14_E_NS1_11comp_targetILNS1_3genE8ELNS1_11target_archE1030ELNS1_3gpuE2ELNS1_3repE0EEENS1_30default_config_static_selectorELNS0_4arch9wavefront6targetE1EEEvT1_
	.p2align	8
	.type	_ZN7rocprim17ROCPRIM_400000_NS6detail17trampoline_kernelINS0_14default_configENS1_25partition_config_selectorILNS1_17partition_subalgoE1EyNS0_10empty_typeEbEEZZNS1_14partition_implILS5_1ELb0ES3_jN6thrust23THRUST_200600_302600_NS6detail15normal_iteratorINSA_10device_ptrIyEEEEPS6_NSA_18transform_iteratorI7is_evenIyESF_NSA_11use_defaultESK_EENS0_5tupleIJSF_SF_EEENSM_IJSG_SG_EEES6_PlJS6_EEE10hipError_tPvRmT3_T4_T5_T6_T7_T9_mT8_P12ihipStream_tbDpT10_ENKUlT_T0_E_clISt17integral_constantIbLb1EES18_IbLb0EEEEDaS14_S15_EUlS14_E_NS1_11comp_targetILNS1_3genE8ELNS1_11target_archE1030ELNS1_3gpuE2ELNS1_3repE0EEENS1_30default_config_static_selectorELNS0_4arch9wavefront6targetE1EEEvT1_,@function
_ZN7rocprim17ROCPRIM_400000_NS6detail17trampoline_kernelINS0_14default_configENS1_25partition_config_selectorILNS1_17partition_subalgoE1EyNS0_10empty_typeEbEEZZNS1_14partition_implILS5_1ELb0ES3_jN6thrust23THRUST_200600_302600_NS6detail15normal_iteratorINSA_10device_ptrIyEEEEPS6_NSA_18transform_iteratorI7is_evenIyESF_NSA_11use_defaultESK_EENS0_5tupleIJSF_SF_EEENSM_IJSG_SG_EEES6_PlJS6_EEE10hipError_tPvRmT3_T4_T5_T6_T7_T9_mT8_P12ihipStream_tbDpT10_ENKUlT_T0_E_clISt17integral_constantIbLb1EES18_IbLb0EEEEDaS14_S15_EUlS14_E_NS1_11comp_targetILNS1_3genE8ELNS1_11target_archE1030ELNS1_3gpuE2ELNS1_3repE0EEENS1_30default_config_static_selectorELNS0_4arch9wavefront6targetE1EEEvT1_: ; @_ZN7rocprim17ROCPRIM_400000_NS6detail17trampoline_kernelINS0_14default_configENS1_25partition_config_selectorILNS1_17partition_subalgoE1EyNS0_10empty_typeEbEEZZNS1_14partition_implILS5_1ELb0ES3_jN6thrust23THRUST_200600_302600_NS6detail15normal_iteratorINSA_10device_ptrIyEEEEPS6_NSA_18transform_iteratorI7is_evenIyESF_NSA_11use_defaultESK_EENS0_5tupleIJSF_SF_EEENSM_IJSG_SG_EEES6_PlJS6_EEE10hipError_tPvRmT3_T4_T5_T6_T7_T9_mT8_P12ihipStream_tbDpT10_ENKUlT_T0_E_clISt17integral_constantIbLb1EES18_IbLb0EEEEDaS14_S15_EUlS14_E_NS1_11comp_targetILNS1_3genE8ELNS1_11target_archE1030ELNS1_3gpuE2ELNS1_3repE0EEENS1_30default_config_static_selectorELNS0_4arch9wavefront6targetE1EEEvT1_
; %bb.0:
	.section	.rodata,"a",@progbits
	.p2align	6, 0x0
	.amdhsa_kernel _ZN7rocprim17ROCPRIM_400000_NS6detail17trampoline_kernelINS0_14default_configENS1_25partition_config_selectorILNS1_17partition_subalgoE1EyNS0_10empty_typeEbEEZZNS1_14partition_implILS5_1ELb0ES3_jN6thrust23THRUST_200600_302600_NS6detail15normal_iteratorINSA_10device_ptrIyEEEEPS6_NSA_18transform_iteratorI7is_evenIyESF_NSA_11use_defaultESK_EENS0_5tupleIJSF_SF_EEENSM_IJSG_SG_EEES6_PlJS6_EEE10hipError_tPvRmT3_T4_T5_T6_T7_T9_mT8_P12ihipStream_tbDpT10_ENKUlT_T0_E_clISt17integral_constantIbLb1EES18_IbLb0EEEEDaS14_S15_EUlS14_E_NS1_11comp_targetILNS1_3genE8ELNS1_11target_archE1030ELNS1_3gpuE2ELNS1_3repE0EEENS1_30default_config_static_selectorELNS0_4arch9wavefront6targetE1EEEvT1_
		.amdhsa_group_segment_fixed_size 0
		.amdhsa_private_segment_fixed_size 0
		.amdhsa_kernarg_size 128
		.amdhsa_user_sgpr_count 6
		.amdhsa_user_sgpr_private_segment_buffer 1
		.amdhsa_user_sgpr_dispatch_ptr 0
		.amdhsa_user_sgpr_queue_ptr 0
		.amdhsa_user_sgpr_kernarg_segment_ptr 1
		.amdhsa_user_sgpr_dispatch_id 0
		.amdhsa_user_sgpr_flat_scratch_init 0
		.amdhsa_user_sgpr_kernarg_preload_length 0
		.amdhsa_user_sgpr_kernarg_preload_offset 0
		.amdhsa_user_sgpr_private_segment_size 0
		.amdhsa_uses_dynamic_stack 0
		.amdhsa_system_sgpr_private_segment_wavefront_offset 0
		.amdhsa_system_sgpr_workgroup_id_x 1
		.amdhsa_system_sgpr_workgroup_id_y 0
		.amdhsa_system_sgpr_workgroup_id_z 0
		.amdhsa_system_sgpr_workgroup_info 0
		.amdhsa_system_vgpr_workitem_id 0
		.amdhsa_next_free_vgpr 1
		.amdhsa_next_free_sgpr 0
		.amdhsa_accum_offset 4
		.amdhsa_reserve_vcc 0
		.amdhsa_reserve_flat_scratch 0
		.amdhsa_float_round_mode_32 0
		.amdhsa_float_round_mode_16_64 0
		.amdhsa_float_denorm_mode_32 3
		.amdhsa_float_denorm_mode_16_64 3
		.amdhsa_dx10_clamp 1
		.amdhsa_ieee_mode 1
		.amdhsa_fp16_overflow 0
		.amdhsa_tg_split 0
		.amdhsa_exception_fp_ieee_invalid_op 0
		.amdhsa_exception_fp_denorm_src 0
		.amdhsa_exception_fp_ieee_div_zero 0
		.amdhsa_exception_fp_ieee_overflow 0
		.amdhsa_exception_fp_ieee_underflow 0
		.amdhsa_exception_fp_ieee_inexact 0
		.amdhsa_exception_int_div_zero 0
	.end_amdhsa_kernel
	.section	.text._ZN7rocprim17ROCPRIM_400000_NS6detail17trampoline_kernelINS0_14default_configENS1_25partition_config_selectorILNS1_17partition_subalgoE1EyNS0_10empty_typeEbEEZZNS1_14partition_implILS5_1ELb0ES3_jN6thrust23THRUST_200600_302600_NS6detail15normal_iteratorINSA_10device_ptrIyEEEEPS6_NSA_18transform_iteratorI7is_evenIyESF_NSA_11use_defaultESK_EENS0_5tupleIJSF_SF_EEENSM_IJSG_SG_EEES6_PlJS6_EEE10hipError_tPvRmT3_T4_T5_T6_T7_T9_mT8_P12ihipStream_tbDpT10_ENKUlT_T0_E_clISt17integral_constantIbLb1EES18_IbLb0EEEEDaS14_S15_EUlS14_E_NS1_11comp_targetILNS1_3genE8ELNS1_11target_archE1030ELNS1_3gpuE2ELNS1_3repE0EEENS1_30default_config_static_selectorELNS0_4arch9wavefront6targetE1EEEvT1_,"axG",@progbits,_ZN7rocprim17ROCPRIM_400000_NS6detail17trampoline_kernelINS0_14default_configENS1_25partition_config_selectorILNS1_17partition_subalgoE1EyNS0_10empty_typeEbEEZZNS1_14partition_implILS5_1ELb0ES3_jN6thrust23THRUST_200600_302600_NS6detail15normal_iteratorINSA_10device_ptrIyEEEEPS6_NSA_18transform_iteratorI7is_evenIyESF_NSA_11use_defaultESK_EENS0_5tupleIJSF_SF_EEENSM_IJSG_SG_EEES6_PlJS6_EEE10hipError_tPvRmT3_T4_T5_T6_T7_T9_mT8_P12ihipStream_tbDpT10_ENKUlT_T0_E_clISt17integral_constantIbLb1EES18_IbLb0EEEEDaS14_S15_EUlS14_E_NS1_11comp_targetILNS1_3genE8ELNS1_11target_archE1030ELNS1_3gpuE2ELNS1_3repE0EEENS1_30default_config_static_selectorELNS0_4arch9wavefront6targetE1EEEvT1_,comdat
.Lfunc_end2226:
	.size	_ZN7rocprim17ROCPRIM_400000_NS6detail17trampoline_kernelINS0_14default_configENS1_25partition_config_selectorILNS1_17partition_subalgoE1EyNS0_10empty_typeEbEEZZNS1_14partition_implILS5_1ELb0ES3_jN6thrust23THRUST_200600_302600_NS6detail15normal_iteratorINSA_10device_ptrIyEEEEPS6_NSA_18transform_iteratorI7is_evenIyESF_NSA_11use_defaultESK_EENS0_5tupleIJSF_SF_EEENSM_IJSG_SG_EEES6_PlJS6_EEE10hipError_tPvRmT3_T4_T5_T6_T7_T9_mT8_P12ihipStream_tbDpT10_ENKUlT_T0_E_clISt17integral_constantIbLb1EES18_IbLb0EEEEDaS14_S15_EUlS14_E_NS1_11comp_targetILNS1_3genE8ELNS1_11target_archE1030ELNS1_3gpuE2ELNS1_3repE0EEENS1_30default_config_static_selectorELNS0_4arch9wavefront6targetE1EEEvT1_, .Lfunc_end2226-_ZN7rocprim17ROCPRIM_400000_NS6detail17trampoline_kernelINS0_14default_configENS1_25partition_config_selectorILNS1_17partition_subalgoE1EyNS0_10empty_typeEbEEZZNS1_14partition_implILS5_1ELb0ES3_jN6thrust23THRUST_200600_302600_NS6detail15normal_iteratorINSA_10device_ptrIyEEEEPS6_NSA_18transform_iteratorI7is_evenIyESF_NSA_11use_defaultESK_EENS0_5tupleIJSF_SF_EEENSM_IJSG_SG_EEES6_PlJS6_EEE10hipError_tPvRmT3_T4_T5_T6_T7_T9_mT8_P12ihipStream_tbDpT10_ENKUlT_T0_E_clISt17integral_constantIbLb1EES18_IbLb0EEEEDaS14_S15_EUlS14_E_NS1_11comp_targetILNS1_3genE8ELNS1_11target_archE1030ELNS1_3gpuE2ELNS1_3repE0EEENS1_30default_config_static_selectorELNS0_4arch9wavefront6targetE1EEEvT1_
                                        ; -- End function
	.section	.AMDGPU.csdata,"",@progbits
; Kernel info:
; codeLenInByte = 0
; NumSgprs: 4
; NumVgprs: 0
; NumAgprs: 0
; TotalNumVgprs: 0
; ScratchSize: 0
; MemoryBound: 0
; FloatMode: 240
; IeeeMode: 1
; LDSByteSize: 0 bytes/workgroup (compile time only)
; SGPRBlocks: 0
; VGPRBlocks: 0
; NumSGPRsForWavesPerEU: 4
; NumVGPRsForWavesPerEU: 1
; AccumOffset: 4
; Occupancy: 8
; WaveLimiterHint : 0
; COMPUTE_PGM_RSRC2:SCRATCH_EN: 0
; COMPUTE_PGM_RSRC2:USER_SGPR: 6
; COMPUTE_PGM_RSRC2:TRAP_HANDLER: 0
; COMPUTE_PGM_RSRC2:TGID_X_EN: 1
; COMPUTE_PGM_RSRC2:TGID_Y_EN: 0
; COMPUTE_PGM_RSRC2:TGID_Z_EN: 0
; COMPUTE_PGM_RSRC2:TIDIG_COMP_CNT: 0
; COMPUTE_PGM_RSRC3_GFX90A:ACCUM_OFFSET: 0
; COMPUTE_PGM_RSRC3_GFX90A:TG_SPLIT: 0
	.section	.text._ZN7rocprim17ROCPRIM_400000_NS6detail17trampoline_kernelINS0_14default_configENS1_25partition_config_selectorILNS1_17partition_subalgoE1EyNS0_10empty_typeEbEEZZNS1_14partition_implILS5_1ELb0ES3_jN6thrust23THRUST_200600_302600_NS6detail15normal_iteratorINSA_10device_ptrIyEEEEPS6_NSA_18transform_iteratorI7is_evenIyESF_NSA_11use_defaultESK_EENS0_5tupleIJSF_SF_EEENSM_IJSG_SG_EEES6_PlJS6_EEE10hipError_tPvRmT3_T4_T5_T6_T7_T9_mT8_P12ihipStream_tbDpT10_ENKUlT_T0_E_clISt17integral_constantIbLb0EES18_IbLb1EEEEDaS14_S15_EUlS14_E_NS1_11comp_targetILNS1_3genE0ELNS1_11target_archE4294967295ELNS1_3gpuE0ELNS1_3repE0EEENS1_30default_config_static_selectorELNS0_4arch9wavefront6targetE1EEEvT1_,"axG",@progbits,_ZN7rocprim17ROCPRIM_400000_NS6detail17trampoline_kernelINS0_14default_configENS1_25partition_config_selectorILNS1_17partition_subalgoE1EyNS0_10empty_typeEbEEZZNS1_14partition_implILS5_1ELb0ES3_jN6thrust23THRUST_200600_302600_NS6detail15normal_iteratorINSA_10device_ptrIyEEEEPS6_NSA_18transform_iteratorI7is_evenIyESF_NSA_11use_defaultESK_EENS0_5tupleIJSF_SF_EEENSM_IJSG_SG_EEES6_PlJS6_EEE10hipError_tPvRmT3_T4_T5_T6_T7_T9_mT8_P12ihipStream_tbDpT10_ENKUlT_T0_E_clISt17integral_constantIbLb0EES18_IbLb1EEEEDaS14_S15_EUlS14_E_NS1_11comp_targetILNS1_3genE0ELNS1_11target_archE4294967295ELNS1_3gpuE0ELNS1_3repE0EEENS1_30default_config_static_selectorELNS0_4arch9wavefront6targetE1EEEvT1_,comdat
	.protected	_ZN7rocprim17ROCPRIM_400000_NS6detail17trampoline_kernelINS0_14default_configENS1_25partition_config_selectorILNS1_17partition_subalgoE1EyNS0_10empty_typeEbEEZZNS1_14partition_implILS5_1ELb0ES3_jN6thrust23THRUST_200600_302600_NS6detail15normal_iteratorINSA_10device_ptrIyEEEEPS6_NSA_18transform_iteratorI7is_evenIyESF_NSA_11use_defaultESK_EENS0_5tupleIJSF_SF_EEENSM_IJSG_SG_EEES6_PlJS6_EEE10hipError_tPvRmT3_T4_T5_T6_T7_T9_mT8_P12ihipStream_tbDpT10_ENKUlT_T0_E_clISt17integral_constantIbLb0EES18_IbLb1EEEEDaS14_S15_EUlS14_E_NS1_11comp_targetILNS1_3genE0ELNS1_11target_archE4294967295ELNS1_3gpuE0ELNS1_3repE0EEENS1_30default_config_static_selectorELNS0_4arch9wavefront6targetE1EEEvT1_ ; -- Begin function _ZN7rocprim17ROCPRIM_400000_NS6detail17trampoline_kernelINS0_14default_configENS1_25partition_config_selectorILNS1_17partition_subalgoE1EyNS0_10empty_typeEbEEZZNS1_14partition_implILS5_1ELb0ES3_jN6thrust23THRUST_200600_302600_NS6detail15normal_iteratorINSA_10device_ptrIyEEEEPS6_NSA_18transform_iteratorI7is_evenIyESF_NSA_11use_defaultESK_EENS0_5tupleIJSF_SF_EEENSM_IJSG_SG_EEES6_PlJS6_EEE10hipError_tPvRmT3_T4_T5_T6_T7_T9_mT8_P12ihipStream_tbDpT10_ENKUlT_T0_E_clISt17integral_constantIbLb0EES18_IbLb1EEEEDaS14_S15_EUlS14_E_NS1_11comp_targetILNS1_3genE0ELNS1_11target_archE4294967295ELNS1_3gpuE0ELNS1_3repE0EEENS1_30default_config_static_selectorELNS0_4arch9wavefront6targetE1EEEvT1_
	.globl	_ZN7rocprim17ROCPRIM_400000_NS6detail17trampoline_kernelINS0_14default_configENS1_25partition_config_selectorILNS1_17partition_subalgoE1EyNS0_10empty_typeEbEEZZNS1_14partition_implILS5_1ELb0ES3_jN6thrust23THRUST_200600_302600_NS6detail15normal_iteratorINSA_10device_ptrIyEEEEPS6_NSA_18transform_iteratorI7is_evenIyESF_NSA_11use_defaultESK_EENS0_5tupleIJSF_SF_EEENSM_IJSG_SG_EEES6_PlJS6_EEE10hipError_tPvRmT3_T4_T5_T6_T7_T9_mT8_P12ihipStream_tbDpT10_ENKUlT_T0_E_clISt17integral_constantIbLb0EES18_IbLb1EEEEDaS14_S15_EUlS14_E_NS1_11comp_targetILNS1_3genE0ELNS1_11target_archE4294967295ELNS1_3gpuE0ELNS1_3repE0EEENS1_30default_config_static_selectorELNS0_4arch9wavefront6targetE1EEEvT1_
	.p2align	8
	.type	_ZN7rocprim17ROCPRIM_400000_NS6detail17trampoline_kernelINS0_14default_configENS1_25partition_config_selectorILNS1_17partition_subalgoE1EyNS0_10empty_typeEbEEZZNS1_14partition_implILS5_1ELb0ES3_jN6thrust23THRUST_200600_302600_NS6detail15normal_iteratorINSA_10device_ptrIyEEEEPS6_NSA_18transform_iteratorI7is_evenIyESF_NSA_11use_defaultESK_EENS0_5tupleIJSF_SF_EEENSM_IJSG_SG_EEES6_PlJS6_EEE10hipError_tPvRmT3_T4_T5_T6_T7_T9_mT8_P12ihipStream_tbDpT10_ENKUlT_T0_E_clISt17integral_constantIbLb0EES18_IbLb1EEEEDaS14_S15_EUlS14_E_NS1_11comp_targetILNS1_3genE0ELNS1_11target_archE4294967295ELNS1_3gpuE0ELNS1_3repE0EEENS1_30default_config_static_selectorELNS0_4arch9wavefront6targetE1EEEvT1_,@function
_ZN7rocprim17ROCPRIM_400000_NS6detail17trampoline_kernelINS0_14default_configENS1_25partition_config_selectorILNS1_17partition_subalgoE1EyNS0_10empty_typeEbEEZZNS1_14partition_implILS5_1ELb0ES3_jN6thrust23THRUST_200600_302600_NS6detail15normal_iteratorINSA_10device_ptrIyEEEEPS6_NSA_18transform_iteratorI7is_evenIyESF_NSA_11use_defaultESK_EENS0_5tupleIJSF_SF_EEENSM_IJSG_SG_EEES6_PlJS6_EEE10hipError_tPvRmT3_T4_T5_T6_T7_T9_mT8_P12ihipStream_tbDpT10_ENKUlT_T0_E_clISt17integral_constantIbLb0EES18_IbLb1EEEEDaS14_S15_EUlS14_E_NS1_11comp_targetILNS1_3genE0ELNS1_11target_archE4294967295ELNS1_3gpuE0ELNS1_3repE0EEENS1_30default_config_static_selectorELNS0_4arch9wavefront6targetE1EEEvT1_: ; @_ZN7rocprim17ROCPRIM_400000_NS6detail17trampoline_kernelINS0_14default_configENS1_25partition_config_selectorILNS1_17partition_subalgoE1EyNS0_10empty_typeEbEEZZNS1_14partition_implILS5_1ELb0ES3_jN6thrust23THRUST_200600_302600_NS6detail15normal_iteratorINSA_10device_ptrIyEEEEPS6_NSA_18transform_iteratorI7is_evenIyESF_NSA_11use_defaultESK_EENS0_5tupleIJSF_SF_EEENSM_IJSG_SG_EEES6_PlJS6_EEE10hipError_tPvRmT3_T4_T5_T6_T7_T9_mT8_P12ihipStream_tbDpT10_ENKUlT_T0_E_clISt17integral_constantIbLb0EES18_IbLb1EEEEDaS14_S15_EUlS14_E_NS1_11comp_targetILNS1_3genE0ELNS1_11target_archE4294967295ELNS1_3gpuE0ELNS1_3repE0EEENS1_30default_config_static_selectorELNS0_4arch9wavefront6targetE1EEEvT1_
; %bb.0:
	.section	.rodata,"a",@progbits
	.p2align	6, 0x0
	.amdhsa_kernel _ZN7rocprim17ROCPRIM_400000_NS6detail17trampoline_kernelINS0_14default_configENS1_25partition_config_selectorILNS1_17partition_subalgoE1EyNS0_10empty_typeEbEEZZNS1_14partition_implILS5_1ELb0ES3_jN6thrust23THRUST_200600_302600_NS6detail15normal_iteratorINSA_10device_ptrIyEEEEPS6_NSA_18transform_iteratorI7is_evenIyESF_NSA_11use_defaultESK_EENS0_5tupleIJSF_SF_EEENSM_IJSG_SG_EEES6_PlJS6_EEE10hipError_tPvRmT3_T4_T5_T6_T7_T9_mT8_P12ihipStream_tbDpT10_ENKUlT_T0_E_clISt17integral_constantIbLb0EES18_IbLb1EEEEDaS14_S15_EUlS14_E_NS1_11comp_targetILNS1_3genE0ELNS1_11target_archE4294967295ELNS1_3gpuE0ELNS1_3repE0EEENS1_30default_config_static_selectorELNS0_4arch9wavefront6targetE1EEEvT1_
		.amdhsa_group_segment_fixed_size 0
		.amdhsa_private_segment_fixed_size 0
		.amdhsa_kernarg_size 144
		.amdhsa_user_sgpr_count 6
		.amdhsa_user_sgpr_private_segment_buffer 1
		.amdhsa_user_sgpr_dispatch_ptr 0
		.amdhsa_user_sgpr_queue_ptr 0
		.amdhsa_user_sgpr_kernarg_segment_ptr 1
		.amdhsa_user_sgpr_dispatch_id 0
		.amdhsa_user_sgpr_flat_scratch_init 0
		.amdhsa_user_sgpr_kernarg_preload_length 0
		.amdhsa_user_sgpr_kernarg_preload_offset 0
		.amdhsa_user_sgpr_private_segment_size 0
		.amdhsa_uses_dynamic_stack 0
		.amdhsa_system_sgpr_private_segment_wavefront_offset 0
		.amdhsa_system_sgpr_workgroup_id_x 1
		.amdhsa_system_sgpr_workgroup_id_y 0
		.amdhsa_system_sgpr_workgroup_id_z 0
		.amdhsa_system_sgpr_workgroup_info 0
		.amdhsa_system_vgpr_workitem_id 0
		.amdhsa_next_free_vgpr 1
		.amdhsa_next_free_sgpr 0
		.amdhsa_accum_offset 4
		.amdhsa_reserve_vcc 0
		.amdhsa_reserve_flat_scratch 0
		.amdhsa_float_round_mode_32 0
		.amdhsa_float_round_mode_16_64 0
		.amdhsa_float_denorm_mode_32 3
		.amdhsa_float_denorm_mode_16_64 3
		.amdhsa_dx10_clamp 1
		.amdhsa_ieee_mode 1
		.amdhsa_fp16_overflow 0
		.amdhsa_tg_split 0
		.amdhsa_exception_fp_ieee_invalid_op 0
		.amdhsa_exception_fp_denorm_src 0
		.amdhsa_exception_fp_ieee_div_zero 0
		.amdhsa_exception_fp_ieee_overflow 0
		.amdhsa_exception_fp_ieee_underflow 0
		.amdhsa_exception_fp_ieee_inexact 0
		.amdhsa_exception_int_div_zero 0
	.end_amdhsa_kernel
	.section	.text._ZN7rocprim17ROCPRIM_400000_NS6detail17trampoline_kernelINS0_14default_configENS1_25partition_config_selectorILNS1_17partition_subalgoE1EyNS0_10empty_typeEbEEZZNS1_14partition_implILS5_1ELb0ES3_jN6thrust23THRUST_200600_302600_NS6detail15normal_iteratorINSA_10device_ptrIyEEEEPS6_NSA_18transform_iteratorI7is_evenIyESF_NSA_11use_defaultESK_EENS0_5tupleIJSF_SF_EEENSM_IJSG_SG_EEES6_PlJS6_EEE10hipError_tPvRmT3_T4_T5_T6_T7_T9_mT8_P12ihipStream_tbDpT10_ENKUlT_T0_E_clISt17integral_constantIbLb0EES18_IbLb1EEEEDaS14_S15_EUlS14_E_NS1_11comp_targetILNS1_3genE0ELNS1_11target_archE4294967295ELNS1_3gpuE0ELNS1_3repE0EEENS1_30default_config_static_selectorELNS0_4arch9wavefront6targetE1EEEvT1_,"axG",@progbits,_ZN7rocprim17ROCPRIM_400000_NS6detail17trampoline_kernelINS0_14default_configENS1_25partition_config_selectorILNS1_17partition_subalgoE1EyNS0_10empty_typeEbEEZZNS1_14partition_implILS5_1ELb0ES3_jN6thrust23THRUST_200600_302600_NS6detail15normal_iteratorINSA_10device_ptrIyEEEEPS6_NSA_18transform_iteratorI7is_evenIyESF_NSA_11use_defaultESK_EENS0_5tupleIJSF_SF_EEENSM_IJSG_SG_EEES6_PlJS6_EEE10hipError_tPvRmT3_T4_T5_T6_T7_T9_mT8_P12ihipStream_tbDpT10_ENKUlT_T0_E_clISt17integral_constantIbLb0EES18_IbLb1EEEEDaS14_S15_EUlS14_E_NS1_11comp_targetILNS1_3genE0ELNS1_11target_archE4294967295ELNS1_3gpuE0ELNS1_3repE0EEENS1_30default_config_static_selectorELNS0_4arch9wavefront6targetE1EEEvT1_,comdat
.Lfunc_end2227:
	.size	_ZN7rocprim17ROCPRIM_400000_NS6detail17trampoline_kernelINS0_14default_configENS1_25partition_config_selectorILNS1_17partition_subalgoE1EyNS0_10empty_typeEbEEZZNS1_14partition_implILS5_1ELb0ES3_jN6thrust23THRUST_200600_302600_NS6detail15normal_iteratorINSA_10device_ptrIyEEEEPS6_NSA_18transform_iteratorI7is_evenIyESF_NSA_11use_defaultESK_EENS0_5tupleIJSF_SF_EEENSM_IJSG_SG_EEES6_PlJS6_EEE10hipError_tPvRmT3_T4_T5_T6_T7_T9_mT8_P12ihipStream_tbDpT10_ENKUlT_T0_E_clISt17integral_constantIbLb0EES18_IbLb1EEEEDaS14_S15_EUlS14_E_NS1_11comp_targetILNS1_3genE0ELNS1_11target_archE4294967295ELNS1_3gpuE0ELNS1_3repE0EEENS1_30default_config_static_selectorELNS0_4arch9wavefront6targetE1EEEvT1_, .Lfunc_end2227-_ZN7rocprim17ROCPRIM_400000_NS6detail17trampoline_kernelINS0_14default_configENS1_25partition_config_selectorILNS1_17partition_subalgoE1EyNS0_10empty_typeEbEEZZNS1_14partition_implILS5_1ELb0ES3_jN6thrust23THRUST_200600_302600_NS6detail15normal_iteratorINSA_10device_ptrIyEEEEPS6_NSA_18transform_iteratorI7is_evenIyESF_NSA_11use_defaultESK_EENS0_5tupleIJSF_SF_EEENSM_IJSG_SG_EEES6_PlJS6_EEE10hipError_tPvRmT3_T4_T5_T6_T7_T9_mT8_P12ihipStream_tbDpT10_ENKUlT_T0_E_clISt17integral_constantIbLb0EES18_IbLb1EEEEDaS14_S15_EUlS14_E_NS1_11comp_targetILNS1_3genE0ELNS1_11target_archE4294967295ELNS1_3gpuE0ELNS1_3repE0EEENS1_30default_config_static_selectorELNS0_4arch9wavefront6targetE1EEEvT1_
                                        ; -- End function
	.section	.AMDGPU.csdata,"",@progbits
; Kernel info:
; codeLenInByte = 0
; NumSgprs: 4
; NumVgprs: 0
; NumAgprs: 0
; TotalNumVgprs: 0
; ScratchSize: 0
; MemoryBound: 0
; FloatMode: 240
; IeeeMode: 1
; LDSByteSize: 0 bytes/workgroup (compile time only)
; SGPRBlocks: 0
; VGPRBlocks: 0
; NumSGPRsForWavesPerEU: 4
; NumVGPRsForWavesPerEU: 1
; AccumOffset: 4
; Occupancy: 8
; WaveLimiterHint : 0
; COMPUTE_PGM_RSRC2:SCRATCH_EN: 0
; COMPUTE_PGM_RSRC2:USER_SGPR: 6
; COMPUTE_PGM_RSRC2:TRAP_HANDLER: 0
; COMPUTE_PGM_RSRC2:TGID_X_EN: 1
; COMPUTE_PGM_RSRC2:TGID_Y_EN: 0
; COMPUTE_PGM_RSRC2:TGID_Z_EN: 0
; COMPUTE_PGM_RSRC2:TIDIG_COMP_CNT: 0
; COMPUTE_PGM_RSRC3_GFX90A:ACCUM_OFFSET: 0
; COMPUTE_PGM_RSRC3_GFX90A:TG_SPLIT: 0
	.section	.text._ZN7rocprim17ROCPRIM_400000_NS6detail17trampoline_kernelINS0_14default_configENS1_25partition_config_selectorILNS1_17partition_subalgoE1EyNS0_10empty_typeEbEEZZNS1_14partition_implILS5_1ELb0ES3_jN6thrust23THRUST_200600_302600_NS6detail15normal_iteratorINSA_10device_ptrIyEEEEPS6_NSA_18transform_iteratorI7is_evenIyESF_NSA_11use_defaultESK_EENS0_5tupleIJSF_SF_EEENSM_IJSG_SG_EEES6_PlJS6_EEE10hipError_tPvRmT3_T4_T5_T6_T7_T9_mT8_P12ihipStream_tbDpT10_ENKUlT_T0_E_clISt17integral_constantIbLb0EES18_IbLb1EEEEDaS14_S15_EUlS14_E_NS1_11comp_targetILNS1_3genE5ELNS1_11target_archE942ELNS1_3gpuE9ELNS1_3repE0EEENS1_30default_config_static_selectorELNS0_4arch9wavefront6targetE1EEEvT1_,"axG",@progbits,_ZN7rocprim17ROCPRIM_400000_NS6detail17trampoline_kernelINS0_14default_configENS1_25partition_config_selectorILNS1_17partition_subalgoE1EyNS0_10empty_typeEbEEZZNS1_14partition_implILS5_1ELb0ES3_jN6thrust23THRUST_200600_302600_NS6detail15normal_iteratorINSA_10device_ptrIyEEEEPS6_NSA_18transform_iteratorI7is_evenIyESF_NSA_11use_defaultESK_EENS0_5tupleIJSF_SF_EEENSM_IJSG_SG_EEES6_PlJS6_EEE10hipError_tPvRmT3_T4_T5_T6_T7_T9_mT8_P12ihipStream_tbDpT10_ENKUlT_T0_E_clISt17integral_constantIbLb0EES18_IbLb1EEEEDaS14_S15_EUlS14_E_NS1_11comp_targetILNS1_3genE5ELNS1_11target_archE942ELNS1_3gpuE9ELNS1_3repE0EEENS1_30default_config_static_selectorELNS0_4arch9wavefront6targetE1EEEvT1_,comdat
	.protected	_ZN7rocprim17ROCPRIM_400000_NS6detail17trampoline_kernelINS0_14default_configENS1_25partition_config_selectorILNS1_17partition_subalgoE1EyNS0_10empty_typeEbEEZZNS1_14partition_implILS5_1ELb0ES3_jN6thrust23THRUST_200600_302600_NS6detail15normal_iteratorINSA_10device_ptrIyEEEEPS6_NSA_18transform_iteratorI7is_evenIyESF_NSA_11use_defaultESK_EENS0_5tupleIJSF_SF_EEENSM_IJSG_SG_EEES6_PlJS6_EEE10hipError_tPvRmT3_T4_T5_T6_T7_T9_mT8_P12ihipStream_tbDpT10_ENKUlT_T0_E_clISt17integral_constantIbLb0EES18_IbLb1EEEEDaS14_S15_EUlS14_E_NS1_11comp_targetILNS1_3genE5ELNS1_11target_archE942ELNS1_3gpuE9ELNS1_3repE0EEENS1_30default_config_static_selectorELNS0_4arch9wavefront6targetE1EEEvT1_ ; -- Begin function _ZN7rocprim17ROCPRIM_400000_NS6detail17trampoline_kernelINS0_14default_configENS1_25partition_config_selectorILNS1_17partition_subalgoE1EyNS0_10empty_typeEbEEZZNS1_14partition_implILS5_1ELb0ES3_jN6thrust23THRUST_200600_302600_NS6detail15normal_iteratorINSA_10device_ptrIyEEEEPS6_NSA_18transform_iteratorI7is_evenIyESF_NSA_11use_defaultESK_EENS0_5tupleIJSF_SF_EEENSM_IJSG_SG_EEES6_PlJS6_EEE10hipError_tPvRmT3_T4_T5_T6_T7_T9_mT8_P12ihipStream_tbDpT10_ENKUlT_T0_E_clISt17integral_constantIbLb0EES18_IbLb1EEEEDaS14_S15_EUlS14_E_NS1_11comp_targetILNS1_3genE5ELNS1_11target_archE942ELNS1_3gpuE9ELNS1_3repE0EEENS1_30default_config_static_selectorELNS0_4arch9wavefront6targetE1EEEvT1_
	.globl	_ZN7rocprim17ROCPRIM_400000_NS6detail17trampoline_kernelINS0_14default_configENS1_25partition_config_selectorILNS1_17partition_subalgoE1EyNS0_10empty_typeEbEEZZNS1_14partition_implILS5_1ELb0ES3_jN6thrust23THRUST_200600_302600_NS6detail15normal_iteratorINSA_10device_ptrIyEEEEPS6_NSA_18transform_iteratorI7is_evenIyESF_NSA_11use_defaultESK_EENS0_5tupleIJSF_SF_EEENSM_IJSG_SG_EEES6_PlJS6_EEE10hipError_tPvRmT3_T4_T5_T6_T7_T9_mT8_P12ihipStream_tbDpT10_ENKUlT_T0_E_clISt17integral_constantIbLb0EES18_IbLb1EEEEDaS14_S15_EUlS14_E_NS1_11comp_targetILNS1_3genE5ELNS1_11target_archE942ELNS1_3gpuE9ELNS1_3repE0EEENS1_30default_config_static_selectorELNS0_4arch9wavefront6targetE1EEEvT1_
	.p2align	8
	.type	_ZN7rocprim17ROCPRIM_400000_NS6detail17trampoline_kernelINS0_14default_configENS1_25partition_config_selectorILNS1_17partition_subalgoE1EyNS0_10empty_typeEbEEZZNS1_14partition_implILS5_1ELb0ES3_jN6thrust23THRUST_200600_302600_NS6detail15normal_iteratorINSA_10device_ptrIyEEEEPS6_NSA_18transform_iteratorI7is_evenIyESF_NSA_11use_defaultESK_EENS0_5tupleIJSF_SF_EEENSM_IJSG_SG_EEES6_PlJS6_EEE10hipError_tPvRmT3_T4_T5_T6_T7_T9_mT8_P12ihipStream_tbDpT10_ENKUlT_T0_E_clISt17integral_constantIbLb0EES18_IbLb1EEEEDaS14_S15_EUlS14_E_NS1_11comp_targetILNS1_3genE5ELNS1_11target_archE942ELNS1_3gpuE9ELNS1_3repE0EEENS1_30default_config_static_selectorELNS0_4arch9wavefront6targetE1EEEvT1_,@function
_ZN7rocprim17ROCPRIM_400000_NS6detail17trampoline_kernelINS0_14default_configENS1_25partition_config_selectorILNS1_17partition_subalgoE1EyNS0_10empty_typeEbEEZZNS1_14partition_implILS5_1ELb0ES3_jN6thrust23THRUST_200600_302600_NS6detail15normal_iteratorINSA_10device_ptrIyEEEEPS6_NSA_18transform_iteratorI7is_evenIyESF_NSA_11use_defaultESK_EENS0_5tupleIJSF_SF_EEENSM_IJSG_SG_EEES6_PlJS6_EEE10hipError_tPvRmT3_T4_T5_T6_T7_T9_mT8_P12ihipStream_tbDpT10_ENKUlT_T0_E_clISt17integral_constantIbLb0EES18_IbLb1EEEEDaS14_S15_EUlS14_E_NS1_11comp_targetILNS1_3genE5ELNS1_11target_archE942ELNS1_3gpuE9ELNS1_3repE0EEENS1_30default_config_static_selectorELNS0_4arch9wavefront6targetE1EEEvT1_: ; @_ZN7rocprim17ROCPRIM_400000_NS6detail17trampoline_kernelINS0_14default_configENS1_25partition_config_selectorILNS1_17partition_subalgoE1EyNS0_10empty_typeEbEEZZNS1_14partition_implILS5_1ELb0ES3_jN6thrust23THRUST_200600_302600_NS6detail15normal_iteratorINSA_10device_ptrIyEEEEPS6_NSA_18transform_iteratorI7is_evenIyESF_NSA_11use_defaultESK_EENS0_5tupleIJSF_SF_EEENSM_IJSG_SG_EEES6_PlJS6_EEE10hipError_tPvRmT3_T4_T5_T6_T7_T9_mT8_P12ihipStream_tbDpT10_ENKUlT_T0_E_clISt17integral_constantIbLb0EES18_IbLb1EEEEDaS14_S15_EUlS14_E_NS1_11comp_targetILNS1_3genE5ELNS1_11target_archE942ELNS1_3gpuE9ELNS1_3repE0EEENS1_30default_config_static_selectorELNS0_4arch9wavefront6targetE1EEEvT1_
; %bb.0:
	.section	.rodata,"a",@progbits
	.p2align	6, 0x0
	.amdhsa_kernel _ZN7rocprim17ROCPRIM_400000_NS6detail17trampoline_kernelINS0_14default_configENS1_25partition_config_selectorILNS1_17partition_subalgoE1EyNS0_10empty_typeEbEEZZNS1_14partition_implILS5_1ELb0ES3_jN6thrust23THRUST_200600_302600_NS6detail15normal_iteratorINSA_10device_ptrIyEEEEPS6_NSA_18transform_iteratorI7is_evenIyESF_NSA_11use_defaultESK_EENS0_5tupleIJSF_SF_EEENSM_IJSG_SG_EEES6_PlJS6_EEE10hipError_tPvRmT3_T4_T5_T6_T7_T9_mT8_P12ihipStream_tbDpT10_ENKUlT_T0_E_clISt17integral_constantIbLb0EES18_IbLb1EEEEDaS14_S15_EUlS14_E_NS1_11comp_targetILNS1_3genE5ELNS1_11target_archE942ELNS1_3gpuE9ELNS1_3repE0EEENS1_30default_config_static_selectorELNS0_4arch9wavefront6targetE1EEEvT1_
		.amdhsa_group_segment_fixed_size 0
		.amdhsa_private_segment_fixed_size 0
		.amdhsa_kernarg_size 144
		.amdhsa_user_sgpr_count 6
		.amdhsa_user_sgpr_private_segment_buffer 1
		.amdhsa_user_sgpr_dispatch_ptr 0
		.amdhsa_user_sgpr_queue_ptr 0
		.amdhsa_user_sgpr_kernarg_segment_ptr 1
		.amdhsa_user_sgpr_dispatch_id 0
		.amdhsa_user_sgpr_flat_scratch_init 0
		.amdhsa_user_sgpr_kernarg_preload_length 0
		.amdhsa_user_sgpr_kernarg_preload_offset 0
		.amdhsa_user_sgpr_private_segment_size 0
		.amdhsa_uses_dynamic_stack 0
		.amdhsa_system_sgpr_private_segment_wavefront_offset 0
		.amdhsa_system_sgpr_workgroup_id_x 1
		.amdhsa_system_sgpr_workgroup_id_y 0
		.amdhsa_system_sgpr_workgroup_id_z 0
		.amdhsa_system_sgpr_workgroup_info 0
		.amdhsa_system_vgpr_workitem_id 0
		.amdhsa_next_free_vgpr 1
		.amdhsa_next_free_sgpr 0
		.amdhsa_accum_offset 4
		.amdhsa_reserve_vcc 0
		.amdhsa_reserve_flat_scratch 0
		.amdhsa_float_round_mode_32 0
		.amdhsa_float_round_mode_16_64 0
		.amdhsa_float_denorm_mode_32 3
		.amdhsa_float_denorm_mode_16_64 3
		.amdhsa_dx10_clamp 1
		.amdhsa_ieee_mode 1
		.amdhsa_fp16_overflow 0
		.amdhsa_tg_split 0
		.amdhsa_exception_fp_ieee_invalid_op 0
		.amdhsa_exception_fp_denorm_src 0
		.amdhsa_exception_fp_ieee_div_zero 0
		.amdhsa_exception_fp_ieee_overflow 0
		.amdhsa_exception_fp_ieee_underflow 0
		.amdhsa_exception_fp_ieee_inexact 0
		.amdhsa_exception_int_div_zero 0
	.end_amdhsa_kernel
	.section	.text._ZN7rocprim17ROCPRIM_400000_NS6detail17trampoline_kernelINS0_14default_configENS1_25partition_config_selectorILNS1_17partition_subalgoE1EyNS0_10empty_typeEbEEZZNS1_14partition_implILS5_1ELb0ES3_jN6thrust23THRUST_200600_302600_NS6detail15normal_iteratorINSA_10device_ptrIyEEEEPS6_NSA_18transform_iteratorI7is_evenIyESF_NSA_11use_defaultESK_EENS0_5tupleIJSF_SF_EEENSM_IJSG_SG_EEES6_PlJS6_EEE10hipError_tPvRmT3_T4_T5_T6_T7_T9_mT8_P12ihipStream_tbDpT10_ENKUlT_T0_E_clISt17integral_constantIbLb0EES18_IbLb1EEEEDaS14_S15_EUlS14_E_NS1_11comp_targetILNS1_3genE5ELNS1_11target_archE942ELNS1_3gpuE9ELNS1_3repE0EEENS1_30default_config_static_selectorELNS0_4arch9wavefront6targetE1EEEvT1_,"axG",@progbits,_ZN7rocprim17ROCPRIM_400000_NS6detail17trampoline_kernelINS0_14default_configENS1_25partition_config_selectorILNS1_17partition_subalgoE1EyNS0_10empty_typeEbEEZZNS1_14partition_implILS5_1ELb0ES3_jN6thrust23THRUST_200600_302600_NS6detail15normal_iteratorINSA_10device_ptrIyEEEEPS6_NSA_18transform_iteratorI7is_evenIyESF_NSA_11use_defaultESK_EENS0_5tupleIJSF_SF_EEENSM_IJSG_SG_EEES6_PlJS6_EEE10hipError_tPvRmT3_T4_T5_T6_T7_T9_mT8_P12ihipStream_tbDpT10_ENKUlT_T0_E_clISt17integral_constantIbLb0EES18_IbLb1EEEEDaS14_S15_EUlS14_E_NS1_11comp_targetILNS1_3genE5ELNS1_11target_archE942ELNS1_3gpuE9ELNS1_3repE0EEENS1_30default_config_static_selectorELNS0_4arch9wavefront6targetE1EEEvT1_,comdat
.Lfunc_end2228:
	.size	_ZN7rocprim17ROCPRIM_400000_NS6detail17trampoline_kernelINS0_14default_configENS1_25partition_config_selectorILNS1_17partition_subalgoE1EyNS0_10empty_typeEbEEZZNS1_14partition_implILS5_1ELb0ES3_jN6thrust23THRUST_200600_302600_NS6detail15normal_iteratorINSA_10device_ptrIyEEEEPS6_NSA_18transform_iteratorI7is_evenIyESF_NSA_11use_defaultESK_EENS0_5tupleIJSF_SF_EEENSM_IJSG_SG_EEES6_PlJS6_EEE10hipError_tPvRmT3_T4_T5_T6_T7_T9_mT8_P12ihipStream_tbDpT10_ENKUlT_T0_E_clISt17integral_constantIbLb0EES18_IbLb1EEEEDaS14_S15_EUlS14_E_NS1_11comp_targetILNS1_3genE5ELNS1_11target_archE942ELNS1_3gpuE9ELNS1_3repE0EEENS1_30default_config_static_selectorELNS0_4arch9wavefront6targetE1EEEvT1_, .Lfunc_end2228-_ZN7rocprim17ROCPRIM_400000_NS6detail17trampoline_kernelINS0_14default_configENS1_25partition_config_selectorILNS1_17partition_subalgoE1EyNS0_10empty_typeEbEEZZNS1_14partition_implILS5_1ELb0ES3_jN6thrust23THRUST_200600_302600_NS6detail15normal_iteratorINSA_10device_ptrIyEEEEPS6_NSA_18transform_iteratorI7is_evenIyESF_NSA_11use_defaultESK_EENS0_5tupleIJSF_SF_EEENSM_IJSG_SG_EEES6_PlJS6_EEE10hipError_tPvRmT3_T4_T5_T6_T7_T9_mT8_P12ihipStream_tbDpT10_ENKUlT_T0_E_clISt17integral_constantIbLb0EES18_IbLb1EEEEDaS14_S15_EUlS14_E_NS1_11comp_targetILNS1_3genE5ELNS1_11target_archE942ELNS1_3gpuE9ELNS1_3repE0EEENS1_30default_config_static_selectorELNS0_4arch9wavefront6targetE1EEEvT1_
                                        ; -- End function
	.section	.AMDGPU.csdata,"",@progbits
; Kernel info:
; codeLenInByte = 0
; NumSgprs: 4
; NumVgprs: 0
; NumAgprs: 0
; TotalNumVgprs: 0
; ScratchSize: 0
; MemoryBound: 0
; FloatMode: 240
; IeeeMode: 1
; LDSByteSize: 0 bytes/workgroup (compile time only)
; SGPRBlocks: 0
; VGPRBlocks: 0
; NumSGPRsForWavesPerEU: 4
; NumVGPRsForWavesPerEU: 1
; AccumOffset: 4
; Occupancy: 8
; WaveLimiterHint : 0
; COMPUTE_PGM_RSRC2:SCRATCH_EN: 0
; COMPUTE_PGM_RSRC2:USER_SGPR: 6
; COMPUTE_PGM_RSRC2:TRAP_HANDLER: 0
; COMPUTE_PGM_RSRC2:TGID_X_EN: 1
; COMPUTE_PGM_RSRC2:TGID_Y_EN: 0
; COMPUTE_PGM_RSRC2:TGID_Z_EN: 0
; COMPUTE_PGM_RSRC2:TIDIG_COMP_CNT: 0
; COMPUTE_PGM_RSRC3_GFX90A:ACCUM_OFFSET: 0
; COMPUTE_PGM_RSRC3_GFX90A:TG_SPLIT: 0
	.section	.text._ZN7rocprim17ROCPRIM_400000_NS6detail17trampoline_kernelINS0_14default_configENS1_25partition_config_selectorILNS1_17partition_subalgoE1EyNS0_10empty_typeEbEEZZNS1_14partition_implILS5_1ELb0ES3_jN6thrust23THRUST_200600_302600_NS6detail15normal_iteratorINSA_10device_ptrIyEEEEPS6_NSA_18transform_iteratorI7is_evenIyESF_NSA_11use_defaultESK_EENS0_5tupleIJSF_SF_EEENSM_IJSG_SG_EEES6_PlJS6_EEE10hipError_tPvRmT3_T4_T5_T6_T7_T9_mT8_P12ihipStream_tbDpT10_ENKUlT_T0_E_clISt17integral_constantIbLb0EES18_IbLb1EEEEDaS14_S15_EUlS14_E_NS1_11comp_targetILNS1_3genE4ELNS1_11target_archE910ELNS1_3gpuE8ELNS1_3repE0EEENS1_30default_config_static_selectorELNS0_4arch9wavefront6targetE1EEEvT1_,"axG",@progbits,_ZN7rocprim17ROCPRIM_400000_NS6detail17trampoline_kernelINS0_14default_configENS1_25partition_config_selectorILNS1_17partition_subalgoE1EyNS0_10empty_typeEbEEZZNS1_14partition_implILS5_1ELb0ES3_jN6thrust23THRUST_200600_302600_NS6detail15normal_iteratorINSA_10device_ptrIyEEEEPS6_NSA_18transform_iteratorI7is_evenIyESF_NSA_11use_defaultESK_EENS0_5tupleIJSF_SF_EEENSM_IJSG_SG_EEES6_PlJS6_EEE10hipError_tPvRmT3_T4_T5_T6_T7_T9_mT8_P12ihipStream_tbDpT10_ENKUlT_T0_E_clISt17integral_constantIbLb0EES18_IbLb1EEEEDaS14_S15_EUlS14_E_NS1_11comp_targetILNS1_3genE4ELNS1_11target_archE910ELNS1_3gpuE8ELNS1_3repE0EEENS1_30default_config_static_selectorELNS0_4arch9wavefront6targetE1EEEvT1_,comdat
	.protected	_ZN7rocprim17ROCPRIM_400000_NS6detail17trampoline_kernelINS0_14default_configENS1_25partition_config_selectorILNS1_17partition_subalgoE1EyNS0_10empty_typeEbEEZZNS1_14partition_implILS5_1ELb0ES3_jN6thrust23THRUST_200600_302600_NS6detail15normal_iteratorINSA_10device_ptrIyEEEEPS6_NSA_18transform_iteratorI7is_evenIyESF_NSA_11use_defaultESK_EENS0_5tupleIJSF_SF_EEENSM_IJSG_SG_EEES6_PlJS6_EEE10hipError_tPvRmT3_T4_T5_T6_T7_T9_mT8_P12ihipStream_tbDpT10_ENKUlT_T0_E_clISt17integral_constantIbLb0EES18_IbLb1EEEEDaS14_S15_EUlS14_E_NS1_11comp_targetILNS1_3genE4ELNS1_11target_archE910ELNS1_3gpuE8ELNS1_3repE0EEENS1_30default_config_static_selectorELNS0_4arch9wavefront6targetE1EEEvT1_ ; -- Begin function _ZN7rocprim17ROCPRIM_400000_NS6detail17trampoline_kernelINS0_14default_configENS1_25partition_config_selectorILNS1_17partition_subalgoE1EyNS0_10empty_typeEbEEZZNS1_14partition_implILS5_1ELb0ES3_jN6thrust23THRUST_200600_302600_NS6detail15normal_iteratorINSA_10device_ptrIyEEEEPS6_NSA_18transform_iteratorI7is_evenIyESF_NSA_11use_defaultESK_EENS0_5tupleIJSF_SF_EEENSM_IJSG_SG_EEES6_PlJS6_EEE10hipError_tPvRmT3_T4_T5_T6_T7_T9_mT8_P12ihipStream_tbDpT10_ENKUlT_T0_E_clISt17integral_constantIbLb0EES18_IbLb1EEEEDaS14_S15_EUlS14_E_NS1_11comp_targetILNS1_3genE4ELNS1_11target_archE910ELNS1_3gpuE8ELNS1_3repE0EEENS1_30default_config_static_selectorELNS0_4arch9wavefront6targetE1EEEvT1_
	.globl	_ZN7rocprim17ROCPRIM_400000_NS6detail17trampoline_kernelINS0_14default_configENS1_25partition_config_selectorILNS1_17partition_subalgoE1EyNS0_10empty_typeEbEEZZNS1_14partition_implILS5_1ELb0ES3_jN6thrust23THRUST_200600_302600_NS6detail15normal_iteratorINSA_10device_ptrIyEEEEPS6_NSA_18transform_iteratorI7is_evenIyESF_NSA_11use_defaultESK_EENS0_5tupleIJSF_SF_EEENSM_IJSG_SG_EEES6_PlJS6_EEE10hipError_tPvRmT3_T4_T5_T6_T7_T9_mT8_P12ihipStream_tbDpT10_ENKUlT_T0_E_clISt17integral_constantIbLb0EES18_IbLb1EEEEDaS14_S15_EUlS14_E_NS1_11comp_targetILNS1_3genE4ELNS1_11target_archE910ELNS1_3gpuE8ELNS1_3repE0EEENS1_30default_config_static_selectorELNS0_4arch9wavefront6targetE1EEEvT1_
	.p2align	8
	.type	_ZN7rocprim17ROCPRIM_400000_NS6detail17trampoline_kernelINS0_14default_configENS1_25partition_config_selectorILNS1_17partition_subalgoE1EyNS0_10empty_typeEbEEZZNS1_14partition_implILS5_1ELb0ES3_jN6thrust23THRUST_200600_302600_NS6detail15normal_iteratorINSA_10device_ptrIyEEEEPS6_NSA_18transform_iteratorI7is_evenIyESF_NSA_11use_defaultESK_EENS0_5tupleIJSF_SF_EEENSM_IJSG_SG_EEES6_PlJS6_EEE10hipError_tPvRmT3_T4_T5_T6_T7_T9_mT8_P12ihipStream_tbDpT10_ENKUlT_T0_E_clISt17integral_constantIbLb0EES18_IbLb1EEEEDaS14_S15_EUlS14_E_NS1_11comp_targetILNS1_3genE4ELNS1_11target_archE910ELNS1_3gpuE8ELNS1_3repE0EEENS1_30default_config_static_selectorELNS0_4arch9wavefront6targetE1EEEvT1_,@function
_ZN7rocprim17ROCPRIM_400000_NS6detail17trampoline_kernelINS0_14default_configENS1_25partition_config_selectorILNS1_17partition_subalgoE1EyNS0_10empty_typeEbEEZZNS1_14partition_implILS5_1ELb0ES3_jN6thrust23THRUST_200600_302600_NS6detail15normal_iteratorINSA_10device_ptrIyEEEEPS6_NSA_18transform_iteratorI7is_evenIyESF_NSA_11use_defaultESK_EENS0_5tupleIJSF_SF_EEENSM_IJSG_SG_EEES6_PlJS6_EEE10hipError_tPvRmT3_T4_T5_T6_T7_T9_mT8_P12ihipStream_tbDpT10_ENKUlT_T0_E_clISt17integral_constantIbLb0EES18_IbLb1EEEEDaS14_S15_EUlS14_E_NS1_11comp_targetILNS1_3genE4ELNS1_11target_archE910ELNS1_3gpuE8ELNS1_3repE0EEENS1_30default_config_static_selectorELNS0_4arch9wavefront6targetE1EEEvT1_: ; @_ZN7rocprim17ROCPRIM_400000_NS6detail17trampoline_kernelINS0_14default_configENS1_25partition_config_selectorILNS1_17partition_subalgoE1EyNS0_10empty_typeEbEEZZNS1_14partition_implILS5_1ELb0ES3_jN6thrust23THRUST_200600_302600_NS6detail15normal_iteratorINSA_10device_ptrIyEEEEPS6_NSA_18transform_iteratorI7is_evenIyESF_NSA_11use_defaultESK_EENS0_5tupleIJSF_SF_EEENSM_IJSG_SG_EEES6_PlJS6_EEE10hipError_tPvRmT3_T4_T5_T6_T7_T9_mT8_P12ihipStream_tbDpT10_ENKUlT_T0_E_clISt17integral_constantIbLb0EES18_IbLb1EEEEDaS14_S15_EUlS14_E_NS1_11comp_targetILNS1_3genE4ELNS1_11target_archE910ELNS1_3gpuE8ELNS1_3repE0EEENS1_30default_config_static_selectorELNS0_4arch9wavefront6targetE1EEEvT1_
; %bb.0:
	s_load_dwordx2 s[6:7], s[4:5], 0x20
	s_load_dwordx4 s[20:23], s[4:5], 0x50
	s_load_dwordx2 s[2:3], s[4:5], 0x60
	s_load_dwordx2 s[30:31], s[4:5], 0x70
	v_cmp_eq_u32_e64 s[0:1], 0, v0
	s_and_saveexec_b64 s[8:9], s[0:1]
	s_cbranch_execz .LBB2229_4
; %bb.1:
	s_mov_b64 s[12:13], exec
	v_mbcnt_lo_u32_b32 v1, s12, 0
	v_mbcnt_hi_u32_b32 v1, s13, v1
	v_cmp_eq_u32_e32 vcc, 0, v1
                                        ; implicit-def: $vgpr2
	s_and_saveexec_b64 s[10:11], vcc
	s_cbranch_execz .LBB2229_3
; %bb.2:
	s_load_dwordx2 s[14:15], s[4:5], 0x80
	s_bcnt1_i32_b64 s12, s[12:13]
	v_mov_b32_e32 v2, 0
	v_mov_b32_e32 v3, s12
	s_waitcnt lgkmcnt(0)
	global_atomic_add v2, v2, v3, s[14:15] glc
.LBB2229_3:
	s_or_b64 exec, exec, s[10:11]
	s_waitcnt vmcnt(0)
	v_readfirstlane_b32 s10, v2
	v_add_u32_e32 v1, s10, v1
	v_mov_b32_e32 v2, 0
	ds_write_b32 v2, v1
.LBB2229_4:
	s_or_b64 exec, exec, s[8:9]
	v_mov_b32_e32 v3, 0
	s_load_dwordx4 s[16:19], s[4:5], 0x8
	s_load_dwordx4 s[24:27], s[4:5], 0x30
	s_load_dword s8, s[4:5], 0x78
	s_waitcnt lgkmcnt(0)
	s_barrier
	ds_read_b32 v1, v3
	s_waitcnt lgkmcnt(0)
	s_barrier
	global_load_dwordx2 v[10:11], v3, s[22:23]
	v_mov_b32_e32 v5, s3
	s_lshl_b64 s[4:5], s[18:19], 3
	s_movk_i32 s3, 0x300
	s_add_u32 s9, s16, s4
	v_mul_lo_u32 v2, v1, s3
	s_mul_i32 s3, s8, 0x300
	s_addc_u32 s10, s17, s5
	s_add_i32 s11, s8, -1
	s_add_i32 s8, s3, s18
	s_sub_i32 s33, s2, s8
	s_addk_i32 s33, 0x300
	v_mov_b32_e32 v4, s2
	s_add_u32 s2, s18, s3
	v_readfirstlane_b32 s40, v1
	s_addc_u32 s3, s19, 0
	s_cmp_eq_u32 s40, s11
	s_cselect_b64 s[22:23], -1, 0
	s_cmp_lg_u32 s40, s11
	v_cmp_lt_u64_e32 vcc, s[2:3], v[4:5]
	s_cselect_b64 s[2:3], -1, 0
	v_lshlrev_b64 v[12:13], 3, v[2:3]
	s_or_b64 s[28:29], vcc, s[2:3]
	v_mov_b32_e32 v1, s10
	v_add_co_u32_e32 v14, vcc, s9, v12
	v_addc_co_u32_e32 v15, vcc, v1, v13, vcc
	s_mov_b64 s[2:3], -1
	s_and_b64 vcc, exec, s[28:29]
	v_lshlrev_b32_e32 v24, 3, v0
	v_lshrrev_b32_e32 v1, 2, v0
	s_cbranch_vccz .LBB2229_6
; %bb.5:
	v_add_co_u32_e32 v2, vcc, v14, v24
	v_addc_co_u32_e32 v3, vcc, 0, v15, vcc
	v_add_co_u32_e32 v4, vcc, 0x1000, v2
	v_addc_co_u32_e32 v5, vcc, 0, v3, vcc
	flat_load_dwordx2 v[6:7], v[2:3]
	flat_load_dwordx2 v[8:9], v[2:3] offset:1536
	flat_load_dwordx2 v[16:17], v[2:3] offset:3072
	;; [unrolled: 1-line block ×3, first 2 shown]
	v_add_u32_e32 v3, 0xc0, v0
	v_add_u32_e32 v4, 0x180, v0
	;; [unrolled: 1-line block ×3, first 2 shown]
	v_and_b32_e32 v2, 56, v1
	v_lshrrev_b32_e32 v3, 2, v3
	v_lshrrev_b32_e32 v4, 2, v4
	;; [unrolled: 1-line block ×3, first 2 shown]
	v_add_u32_e32 v2, v2, v24
	v_and_b32_e32 v3, 0x78, v3
	v_and_b32_e32 v4, 0xf8, v4
	;; [unrolled: 1-line block ×3, first 2 shown]
	v_add_u32_e32 v3, v3, v24
	v_add_u32_e32 v4, v4, v24
	;; [unrolled: 1-line block ×3, first 2 shown]
	s_mov_b64 s[2:3], 0
	s_waitcnt vmcnt(0) lgkmcnt(0)
	ds_write_b64 v2, v[6:7]
	ds_write_b64 v3, v[8:9] offset:1536
	ds_write_b64 v4, v[16:17] offset:3072
	;; [unrolled: 1-line block ×3, first 2 shown]
	s_waitcnt lgkmcnt(0)
	s_barrier
.LBB2229_6:
	s_andn2_b64 vcc, exec, s[2:3]
	v_cmp_gt_u32_e64 s[2:3], s33, v0
	s_cbranch_vccnz .LBB2229_16
; %bb.7:
                                        ; implicit-def: $vgpr2_vgpr3_vgpr4_vgpr5_vgpr6_vgpr7_vgpr8_vgpr9
	s_and_saveexec_b64 s[8:9], s[2:3]
	s_cbranch_execz .LBB2229_9
; %bb.8:
	v_add_co_u32_e32 v2, vcc, v14, v24
	v_addc_co_u32_e32 v3, vcc, 0, v15, vcc
	flat_load_dwordx2 v[2:3], v[2:3]
.LBB2229_9:
	s_or_b64 exec, exec, s[8:9]
	v_add_u32_e32 v16, 0xc0, v0
	v_cmp_gt_u32_e32 vcc, s33, v16
	s_and_saveexec_b64 s[2:3], vcc
	s_cbranch_execz .LBB2229_11
; %bb.10:
	v_add_co_u32_e32 v4, vcc, v14, v24
	v_addc_co_u32_e32 v5, vcc, 0, v15, vcc
	flat_load_dwordx2 v[4:5], v[4:5] offset:1536
.LBB2229_11:
	s_or_b64 exec, exec, s[2:3]
	v_add_u32_e32 v17, 0x180, v0
	v_cmp_gt_u32_e32 vcc, s33, v17
	s_and_saveexec_b64 s[2:3], vcc
	s_cbranch_execz .LBB2229_13
; %bb.12:
	v_add_co_u32_e32 v6, vcc, v14, v24
	v_addc_co_u32_e32 v7, vcc, 0, v15, vcc
	flat_load_dwordx2 v[6:7], v[6:7] offset:3072
.LBB2229_13:
	s_or_b64 exec, exec, s[2:3]
	v_add_u32_e32 v18, 0x240, v0
	v_cmp_gt_u32_e32 vcc, s33, v18
	s_and_saveexec_b64 s[2:3], vcc
	s_cbranch_execz .LBB2229_15
; %bb.14:
	v_lshlrev_b32_e32 v8, 3, v18
	v_add_co_u32_e32 v8, vcc, v14, v8
	v_addc_co_u32_e32 v9, vcc, 0, v15, vcc
	flat_load_dwordx2 v[8:9], v[8:9]
.LBB2229_15:
	s_or_b64 exec, exec, s[2:3]
	v_and_b32_e32 v1, 56, v1
	v_add_u32_e32 v1, v1, v24
	s_waitcnt vmcnt(0) lgkmcnt(0)
	ds_write_b64 v1, v[2:3]
	v_lshrrev_b32_e32 v1, 2, v16
	v_and_b32_e32 v1, 0x78, v1
	v_add_u32_e32 v1, v1, v24
	ds_write_b64 v1, v[4:5] offset:1536
	v_lshrrev_b32_e32 v1, 2, v17
	v_and_b32_e32 v1, 0xf8, v1
	v_add_u32_e32 v1, v1, v24
	ds_write_b64 v1, v[6:7] offset:3072
	;; [unrolled: 4-line block ×3, first 2 shown]
	s_waitcnt lgkmcnt(0)
	s_barrier
.LBB2229_16:
	v_lshlrev_b32_e32 v25, 2, v0
	v_lshrrev_b32_e32 v15, 3, v0
	v_add_lshl_u32 v1, v15, v25, 3
	s_add_u32 s2, s6, s4
	ds_read2_b64 v[6:9], v1 offset1:1
	ds_read2_b64 v[2:5], v1 offset0:2 offset1:3
	s_addc_u32 s3, s7, s5
	v_mov_b32_e32 v1, s3
	v_add_co_u32_e32 v14, vcc, s2, v12
	v_addc_co_u32_e32 v1, vcc, v1, v13, vcc
	s_mov_b64 s[2:3], -1
	s_and_b64 vcc, exec, s[28:29]
	v_lshrrev_b32_e32 v16, 5, v0
	s_waitcnt lgkmcnt(0)
	s_barrier
	s_cbranch_vccz .LBB2229_18
; %bb.17:
	v_add_co_u32_e32 v17, vcc, v14, v24
	v_addc_co_u32_e32 v27, vcc, 0, v1, vcc
	v_add_co_u32_e32 v26, vcc, 0x1000, v17
	v_readfirstlane_b32 s2, v14
	v_readfirstlane_b32 s3, v1
	v_addc_co_u32_e32 v27, vcc, 0, v27, vcc
	s_nop 3
	global_load_dwordx2 v[18:19], v24, s[2:3]
	global_load_dwordx2 v[20:21], v24, s[2:3] offset:1536
	global_load_dwordx2 v[22:23], v24, s[2:3] offset:3072
	s_waitcnt vmcnt(2)
	v_add_u32_e32 v19, 0xc0, v0
	global_load_dwordx2 v[26:27], v[26:27], off offset:512
	s_waitcnt vmcnt(2)
	v_add_u32_e32 v21, 0x180, v0
	s_waitcnt vmcnt(1)
	v_add_u32_e32 v23, 0x240, v0
	v_and_b32_e32 v17, 4, v16
	v_lshrrev_b32_e32 v19, 5, v19
	v_lshrrev_b32_e32 v21, 5, v21
	;; [unrolled: 1-line block ×3, first 2 shown]
	v_add_u32_e32 v17, v17, v0
	v_and_b32_e32 v19, 12, v19
	v_and_b32_e32 v21, 28, v21
	;; [unrolled: 1-line block ×3, first 2 shown]
	v_add_u32_e32 v19, v19, v0
	v_add_u32_e32 v21, v21, v0
	v_add_u32_e32 v23, v23, v0
	s_mov_b64 s[2:3], 0
	v_xor_b32_e32 v18, -1, v18
	v_xor_b32_e32 v20, -1, v20
	;; [unrolled: 1-line block ×3, first 2 shown]
	v_and_b32_e32 v18, 1, v18
	s_waitcnt vmcnt(0)
	v_xor_b32_e32 v26, -1, v26
	v_and_b32_e32 v20, 1, v20
	v_and_b32_e32 v22, 1, v22
	ds_write_b8 v17, v18
	ds_write_b8 v19, v20 offset:192
	ds_write_b8 v21, v22 offset:384
	v_and_b32_e32 v17, 1, v26
	ds_write_b8 v23, v17 offset:576
	s_waitcnt lgkmcnt(0)
	s_barrier
.LBB2229_18:
	s_andn2_b64 vcc, exec, s[2:3]
	s_cbranch_vccnz .LBB2229_28
; %bb.19:
	v_cmp_gt_u32_e32 vcc, s33, v0
	v_mov_b32_e32 v17, 0
	v_mov_b32_e32 v18, 0
	s_and_saveexec_b64 s[2:3], vcc
	s_cbranch_execz .LBB2229_21
; %bb.20:
	v_readfirstlane_b32 s4, v14
	v_readfirstlane_b32 s5, v1
	s_nop 4
	global_load_dwordx2 v[18:19], v24, s[4:5]
	s_waitcnt vmcnt(0)
	v_xor_b32_e32 v18, -1, v18
	v_and_b32_e32 v18, 1, v18
.LBB2229_21:
	s_or_b64 exec, exec, s[2:3]
	v_add_u32_e32 v19, 0xc0, v0
	v_cmp_gt_u32_e32 vcc, s33, v19
	s_and_saveexec_b64 s[2:3], vcc
	s_cbranch_execz .LBB2229_23
; %bb.22:
	v_readfirstlane_b32 s4, v14
	v_readfirstlane_b32 s5, v1
	s_nop 4
	global_load_dwordx2 v[20:21], v24, s[4:5] offset:1536
	s_waitcnt vmcnt(0)
	v_xor_b32_e32 v17, -1, v20
	v_and_b32_e32 v17, 1, v17
.LBB2229_23:
	s_or_b64 exec, exec, s[2:3]
	v_add_u32_e32 v20, 0x180, v0
	v_cmp_gt_u32_e32 vcc, s33, v20
	v_mov_b32_e32 v21, 0
	v_mov_b32_e32 v22, 0
	s_and_saveexec_b64 s[2:3], vcc
	s_cbranch_execz .LBB2229_25
; %bb.24:
	v_readfirstlane_b32 s4, v14
	v_readfirstlane_b32 s5, v1
	s_nop 4
	global_load_dwordx2 v[22:23], v24, s[4:5] offset:3072
	s_waitcnt vmcnt(0)
	v_xor_b32_e32 v22, -1, v22
	v_and_b32_e32 v22, 1, v22
.LBB2229_25:
	s_or_b64 exec, exec, s[2:3]
	v_add_u32_e32 v23, 0x240, v0
	v_cmp_gt_u32_e32 vcc, s33, v23
	s_and_saveexec_b64 s[2:3], vcc
	s_cbranch_execz .LBB2229_27
; %bb.26:
	v_lshlrev_b32_e32 v21, 3, v23
	v_readfirstlane_b32 s4, v14
	v_readfirstlane_b32 s5, v1
	s_nop 4
	global_load_dwordx2 v[26:27], v21, s[4:5]
	s_waitcnt vmcnt(0)
	v_xor_b32_e32 v1, -1, v26
	v_and_b32_e32 v21, 1, v1
.LBB2229_27:
	s_or_b64 exec, exec, s[2:3]
	v_and_b32_e32 v1, 4, v16
	v_add_u32_e32 v1, v1, v0
	ds_write_b8 v1, v18
	v_lshrrev_b32_e32 v1, 5, v19
	v_and_b32_e32 v1, 12, v1
	v_add_u32_e32 v1, v1, v0
	ds_write_b8 v1, v17 offset:192
	v_lshrrev_b32_e32 v1, 5, v20
	v_and_b32_e32 v1, 28, v1
	v_add_u32_e32 v1, v1, v0
	ds_write_b8 v1, v22 offset:384
	;; [unrolled: 4-line block ×3, first 2 shown]
	s_waitcnt lgkmcnt(0)
	s_barrier
.LBB2229_28:
	v_and_b32_e32 v1, 28, v15
	v_add_u32_e32 v1, v1, v25
	ds_read_b32 v26, v1
	s_cmp_lg_u32 s40, 0
	v_lshrrev_b32_e32 v29, 6, v0
	s_waitcnt lgkmcnt(0)
	s_barrier
	v_lshrrev_b32_e32 v1, 24, v26
	v_bfe_u32 v27, v26, 16, 8
	v_add_u32_sdwa v14, v26, v26 dst_sel:DWORD dst_unused:UNUSED_PAD src0_sel:BYTE_1 src1_sel:BYTE_0
	v_add3_u32 v30, v14, v27, v1
	v_mbcnt_lo_u32_b32 v14, -1, 0
	v_mbcnt_hi_u32_b32 v28, -1, v14
	v_and_b32_e32 v14, 15, v28
	v_cmp_eq_u32_e64 s[14:15], 0, v14
	v_cmp_lt_u32_e64 s[12:13], 1, v14
	v_cmp_lt_u32_e64 s[10:11], 3, v14
	;; [unrolled: 1-line block ×3, first 2 shown]
	v_and_b32_e32 v14, 16, v28
	v_cmp_eq_u32_e64 s[4:5], 0, v14
	v_and_b32_e32 v14, 0xc0, v0
	v_min_u32_e32 v14, 0x80, v14
	v_or_b32_e32 v14, 63, v14
	v_cmp_lt_u32_e64 s[2:3], 31, v28
	v_cmp_eq_u32_e64 s[6:7], v14, v0
	s_cbranch_scc0 .LBB2229_55
; %bb.29:
	v_mov_b32_dpp v14, v30 row_shr:1 row_mask:0xf bank_mask:0xf
	v_cndmask_b32_e64 v14, v14, 0, s[14:15]
	v_add_u32_e32 v14, v14, v30
	s_nop 1
	v_mov_b32_dpp v15, v14 row_shr:2 row_mask:0xf bank_mask:0xf
	v_cndmask_b32_e64 v15, 0, v15, s[12:13]
	v_add_u32_e32 v14, v14, v15
	s_nop 1
	;; [unrolled: 4-line block ×4, first 2 shown]
	v_mov_b32_dpp v15, v14 row_bcast:15 row_mask:0xf bank_mask:0xf
	v_cndmask_b32_e64 v15, v15, 0, s[4:5]
	v_add_u32_e32 v14, v14, v15
	s_nop 1
	v_mov_b32_dpp v15, v14 row_bcast:31 row_mask:0xf bank_mask:0xf
	v_cndmask_b32_e64 v15, 0, v15, s[2:3]
	v_add_u32_e32 v14, v14, v15
	s_and_saveexec_b64 s[16:17], s[6:7]
	s_cbranch_execz .LBB2229_31
; %bb.30:
	v_lshlrev_b32_e32 v15, 2, v29
	ds_write_b32 v15, v14
.LBB2229_31:
	s_or_b64 exec, exec, s[16:17]
	v_cmp_gt_u32_e32 vcc, 3, v0
	s_waitcnt lgkmcnt(0)
	s_barrier
	s_and_saveexec_b64 s[16:17], vcc
	s_cbranch_execz .LBB2229_33
; %bb.32:
	ds_read_b32 v15, v25
	v_and_b32_e32 v16, 3, v28
	v_cmp_ne_u32_e32 vcc, 0, v16
	s_waitcnt lgkmcnt(0)
	v_mov_b32_dpp v17, v15 row_shr:1 row_mask:0xf bank_mask:0xf
	v_cndmask_b32_e32 v17, 0, v17, vcc
	v_add_u32_e32 v15, v17, v15
	v_cmp_lt_u32_e32 vcc, 1, v16
	s_nop 0
	v_mov_b32_dpp v17, v15 row_shr:2 row_mask:0xf bank_mask:0xf
	v_cndmask_b32_e32 v16, 0, v17, vcc
	v_add_u32_e32 v15, v15, v16
	ds_write_b32 v25, v15
.LBB2229_33:
	s_or_b64 exec, exec, s[16:17]
	v_cmp_gt_u32_e32 vcc, 64, v0
	v_cmp_lt_u32_e64 s[16:17], 63, v0
	s_waitcnt lgkmcnt(0)
	s_barrier
	s_waitcnt lgkmcnt(0)
                                        ; implicit-def: $vgpr31
	s_and_saveexec_b64 s[34:35], s[16:17]
	s_cbranch_execz .LBB2229_35
; %bb.34:
	v_lshl_add_u32 v15, v29, 2, -4
	ds_read_b32 v31, v15
	s_waitcnt lgkmcnt(0)
	v_add_u32_e32 v14, v31, v14
.LBB2229_35:
	s_or_b64 exec, exec, s[34:35]
	v_add_u32_e32 v15, -1, v28
	v_and_b32_e32 v16, 64, v28
	v_cmp_lt_i32_e64 s[16:17], v15, v16
	v_cndmask_b32_e64 v15, v15, v28, s[16:17]
	v_lshlrev_b32_e32 v15, 2, v15
	ds_bpermute_b32 v32, v15, v14
	v_cmp_eq_u32_e64 s[16:17], 0, v28
	s_and_saveexec_b64 s[34:35], vcc
	s_cbranch_execz .LBB2229_54
; %bb.36:
	v_mov_b32_e32 v21, 0
	ds_read_b32 v14, v21 offset:8
	s_and_saveexec_b64 s[36:37], s[16:17]
	s_cbranch_execz .LBB2229_38
; %bb.37:
	s_add_i32 s38, s40, 64
	s_mov_b32 s39, 0
	s_lshl_b64 s[38:39], s[38:39], 3
	s_add_u32 s38, s30, s38
	v_mov_b32_e32 v15, 1
	s_addc_u32 s39, s31, s39
	s_waitcnt lgkmcnt(0)
	global_store_dwordx2 v21, v[14:15], s[38:39]
.LBB2229_38:
	s_or_b64 exec, exec, s[36:37]
	v_xad_u32 v16, v28, -1, s40
	v_add_u32_e32 v20, 64, v16
	v_lshlrev_b64 v[18:19], 3, v[20:21]
	v_mov_b32_e32 v15, s31
	v_add_co_u32_e32 v22, vcc, s30, v18
	v_addc_co_u32_e32 v23, vcc, v15, v19, vcc
	global_load_dwordx2 v[18:19], v[22:23], off glc
	s_waitcnt vmcnt(0)
	v_cmp_eq_u16_sdwa s[38:39], v19, v21 src0_sel:BYTE_0 src1_sel:DWORD
	s_and_saveexec_b64 s[36:37], s[38:39]
	s_cbranch_execz .LBB2229_42
; %bb.39:
	s_mov_b64 s[38:39], 0
	v_mov_b32_e32 v15, 0
.LBB2229_40:                            ; =>This Inner Loop Header: Depth=1
	global_load_dwordx2 v[18:19], v[22:23], off glc
	s_waitcnt vmcnt(0)
	v_cmp_ne_u16_sdwa s[42:43], v19, v15 src0_sel:BYTE_0 src1_sel:DWORD
	s_or_b64 s[38:39], s[42:43], s[38:39]
	s_andn2_b64 exec, exec, s[38:39]
	s_cbranch_execnz .LBB2229_40
; %bb.41:
	s_or_b64 exec, exec, s[38:39]
.LBB2229_42:
	s_or_b64 exec, exec, s[36:37]
	v_and_b32_e32 v34, 63, v28
	v_mov_b32_e32 v33, 2
	v_cmp_ne_u32_e32 vcc, 63, v34
	v_cmp_eq_u16_sdwa s[36:37], v19, v33 src0_sel:BYTE_0 src1_sel:DWORD
	v_lshlrev_b64 v[20:21], v28, -1
	v_addc_co_u32_e32 v22, vcc, 0, v28, vcc
	v_and_b32_e32 v15, s37, v21
	v_lshlrev_b32_e32 v35, 2, v22
	v_or_b32_e32 v15, 0x80000000, v15
	ds_bpermute_b32 v22, v35, v18
	v_and_b32_e32 v17, s36, v20
	v_ffbl_b32_e32 v15, v15
	v_add_u32_e32 v15, 32, v15
	v_ffbl_b32_e32 v17, v17
	v_min_u32_e32 v15, v17, v15
	v_cmp_lt_u32_e32 vcc, v34, v15
	s_waitcnt lgkmcnt(0)
	v_cndmask_b32_e32 v17, 0, v22, vcc
	v_cmp_gt_u32_e32 vcc, 62, v34
	v_add_u32_e32 v17, v17, v18
	v_cndmask_b32_e64 v18, 0, 1, vcc
	v_lshlrev_b32_e32 v18, 1, v18
	v_add_lshl_u32 v36, v18, v28, 2
	ds_bpermute_b32 v18, v36, v17
	v_add_u32_e32 v37, 2, v34
	v_cmp_le_u32_e32 vcc, v37, v15
	v_add_u32_e32 v39, 4, v34
	v_add_u32_e32 v41, 8, v34
	s_waitcnt lgkmcnt(0)
	v_cndmask_b32_e32 v18, 0, v18, vcc
	v_cmp_gt_u32_e32 vcc, 60, v34
	v_add_u32_e32 v17, v17, v18
	v_cndmask_b32_e64 v18, 0, 1, vcc
	v_lshlrev_b32_e32 v18, 2, v18
	v_add_lshl_u32 v38, v18, v28, 2
	ds_bpermute_b32 v18, v38, v17
	v_cmp_le_u32_e32 vcc, v39, v15
	v_add_u32_e32 v43, 16, v34
	v_add_u32_e32 v45, 32, v34
	s_waitcnt lgkmcnt(0)
	v_cndmask_b32_e32 v18, 0, v18, vcc
	v_cmp_gt_u32_e32 vcc, 56, v34
	v_add_u32_e32 v17, v17, v18
	v_cndmask_b32_e64 v18, 0, 1, vcc
	v_lshlrev_b32_e32 v18, 3, v18
	v_add_lshl_u32 v40, v18, v28, 2
	ds_bpermute_b32 v18, v40, v17
	v_cmp_le_u32_e32 vcc, v41, v15
	s_waitcnt lgkmcnt(0)
	v_cndmask_b32_e32 v18, 0, v18, vcc
	v_cmp_gt_u32_e32 vcc, 48, v34
	v_add_u32_e32 v17, v17, v18
	v_cndmask_b32_e64 v18, 0, 1, vcc
	v_lshlrev_b32_e32 v18, 4, v18
	v_add_lshl_u32 v42, v18, v28, 2
	ds_bpermute_b32 v18, v42, v17
	v_cmp_le_u32_e32 vcc, v43, v15
	;; [unrolled: 9-line block ×3, first 2 shown]
	s_waitcnt lgkmcnt(0)
	v_cndmask_b32_e32 v15, 0, v18, vcc
	v_add_u32_e32 v18, v17, v15
	v_mov_b32_e32 v17, 0
	s_branch .LBB2229_44
.LBB2229_43:                            ;   in Loop: Header=BB2229_44 Depth=1
	s_or_b64 exec, exec, s[36:37]
	v_cmp_eq_u16_sdwa s[36:37], v19, v33 src0_sel:BYTE_0 src1_sel:DWORD
	v_and_b32_e32 v22, s37, v21
	v_or_b32_e32 v22, 0x80000000, v22
	ds_bpermute_b32 v46, v35, v18
	v_and_b32_e32 v23, s36, v20
	v_ffbl_b32_e32 v22, v22
	v_add_u32_e32 v22, 32, v22
	v_ffbl_b32_e32 v23, v23
	v_min_u32_e32 v22, v23, v22
	v_cmp_lt_u32_e32 vcc, v34, v22
	s_waitcnt lgkmcnt(0)
	v_cndmask_b32_e32 v23, 0, v46, vcc
	v_add_u32_e32 v18, v23, v18
	ds_bpermute_b32 v23, v36, v18
	v_cmp_le_u32_e32 vcc, v37, v22
	v_subrev_u32_e32 v16, 64, v16
	s_waitcnt lgkmcnt(0)
	v_cndmask_b32_e32 v23, 0, v23, vcc
	v_add_u32_e32 v18, v18, v23
	ds_bpermute_b32 v23, v38, v18
	v_cmp_le_u32_e32 vcc, v39, v22
	s_waitcnt lgkmcnt(0)
	v_cndmask_b32_e32 v23, 0, v23, vcc
	v_add_u32_e32 v18, v18, v23
	ds_bpermute_b32 v23, v40, v18
	v_cmp_le_u32_e32 vcc, v41, v22
	;; [unrolled: 5-line block ×4, first 2 shown]
	s_waitcnt lgkmcnt(0)
	v_cndmask_b32_e32 v22, 0, v23, vcc
	v_add3_u32 v18, v22, v15, v18
.LBB2229_44:                            ; =>This Loop Header: Depth=1
                                        ;     Child Loop BB2229_47 Depth 2
	v_cmp_ne_u16_sdwa s[36:37], v19, v33 src0_sel:BYTE_0 src1_sel:DWORD
	v_cndmask_b32_e64 v15, 0, 1, s[36:37]
	;;#ASMSTART
	;;#ASMEND
	v_cmp_ne_u32_e32 vcc, 0, v15
	s_cmp_lg_u64 vcc, exec
	v_mov_b32_e32 v15, v18
	s_cbranch_scc1 .LBB2229_49
; %bb.45:                               ;   in Loop: Header=BB2229_44 Depth=1
	v_lshlrev_b64 v[18:19], 3, v[16:17]
	v_mov_b32_e32 v23, s31
	v_add_co_u32_e32 v22, vcc, s30, v18
	v_addc_co_u32_e32 v23, vcc, v23, v19, vcc
	global_load_dwordx2 v[18:19], v[22:23], off glc
	s_waitcnt vmcnt(0)
	v_cmp_eq_u16_sdwa s[38:39], v19, v17 src0_sel:BYTE_0 src1_sel:DWORD
	s_and_saveexec_b64 s[36:37], s[38:39]
	s_cbranch_execz .LBB2229_43
; %bb.46:                               ;   in Loop: Header=BB2229_44 Depth=1
	s_mov_b64 s[38:39], 0
.LBB2229_47:                            ;   Parent Loop BB2229_44 Depth=1
                                        ; =>  This Inner Loop Header: Depth=2
	global_load_dwordx2 v[18:19], v[22:23], off glc
	s_waitcnt vmcnt(0)
	v_cmp_ne_u16_sdwa s[42:43], v19, v17 src0_sel:BYTE_0 src1_sel:DWORD
	s_or_b64 s[38:39], s[42:43], s[38:39]
	s_andn2_b64 exec, exec, s[38:39]
	s_cbranch_execnz .LBB2229_47
; %bb.48:                               ;   in Loop: Header=BB2229_44 Depth=1
	s_or_b64 exec, exec, s[38:39]
	s_branch .LBB2229_43
.LBB2229_49:                            ;   in Loop: Header=BB2229_44 Depth=1
                                        ; implicit-def: $vgpr18
                                        ; implicit-def: $vgpr19
	s_cbranch_execz .LBB2229_44
; %bb.50:
	s_and_saveexec_b64 s[36:37], s[16:17]
	s_cbranch_execz .LBB2229_52
; %bb.51:
	s_add_i32 s38, s40, 64
	s_mov_b32 s39, 0
	s_lshl_b64 s[38:39], s[38:39], 3
	s_add_u32 s38, s30, s38
	v_add_u32_e32 v16, v15, v14
	v_mov_b32_e32 v17, 2
	s_addc_u32 s39, s31, s39
	v_mov_b32_e32 v18, 0
	global_store_dwordx2 v18, v[16:17], s[38:39]
	ds_write_b64 v18, v[14:15] offset:6336
.LBB2229_52:
	s_or_b64 exec, exec, s[36:37]
	s_and_b64 exec, exec, s[0:1]
	s_cbranch_execz .LBB2229_54
; %bb.53:
	v_mov_b32_e32 v14, 0
	ds_write_b32 v14, v15 offset:8
.LBB2229_54:
	s_or_b64 exec, exec, s[34:35]
	v_mov_b32_e32 v14, 0
	s_waitcnt lgkmcnt(0)
	s_barrier
	ds_read_b32 v15, v14 offset:8
	v_cndmask_b32_e64 v16, v32, v31, s[16:17]
	v_cndmask_b32_e64 v16, v16, 0, s[0:1]
	s_waitcnt lgkmcnt(0)
	s_barrier
	v_add_u32_e32 v18, v15, v16
	ds_read_b64 v[14:15], v14 offset:6336
	v_add_u32_sdwa v19, v18, v26 dst_sel:DWORD dst_unused:UNUSED_PAD src0_sel:DWORD src1_sel:BYTE_0
	v_add_u32_sdwa v17, v19, v26 dst_sel:DWORD dst_unused:UNUSED_PAD src0_sel:DWORD src1_sel:BYTE_1
	v_add_u32_e32 v16, v17, v27
	s_branch .LBB2229_65
.LBB2229_55:
                                        ; implicit-def: $vgpr15
                                        ; implicit-def: $vgpr16
                                        ; implicit-def: $vgpr17
                                        ; implicit-def: $vgpr19
                                        ; implicit-def: $vgpr18
	s_cbranch_execz .LBB2229_65
; %bb.56:
	s_waitcnt lgkmcnt(0)
	v_mov_b32_dpp v14, v30 row_shr:1 row_mask:0xf bank_mask:0xf
	v_cndmask_b32_e64 v14, v14, 0, s[14:15]
	v_add_u32_e32 v14, v14, v30
	s_nop 1
	v_mov_b32_dpp v15, v14 row_shr:2 row_mask:0xf bank_mask:0xf
	v_cndmask_b32_e64 v15, 0, v15, s[12:13]
	v_add_u32_e32 v14, v14, v15
	s_nop 1
	;; [unrolled: 4-line block ×4, first 2 shown]
	v_mov_b32_dpp v15, v14 row_bcast:15 row_mask:0xf bank_mask:0xf
	v_cndmask_b32_e64 v15, v15, 0, s[4:5]
	v_add_u32_e32 v14, v14, v15
	s_nop 1
	v_mov_b32_dpp v15, v14 row_bcast:31 row_mask:0xf bank_mask:0xf
	v_cndmask_b32_e64 v15, 0, v15, s[2:3]
	v_add_u32_e32 v14, v14, v15
	s_and_saveexec_b64 s[2:3], s[6:7]
	s_cbranch_execz .LBB2229_58
; %bb.57:
	v_lshlrev_b32_e32 v15, 2, v29
	ds_write_b32 v15, v14
.LBB2229_58:
	s_or_b64 exec, exec, s[2:3]
	v_cmp_gt_u32_e32 vcc, 3, v0
	s_waitcnt lgkmcnt(0)
	s_barrier
	s_and_saveexec_b64 s[2:3], vcc
	s_cbranch_execz .LBB2229_60
; %bb.59:
	ds_read_b32 v15, v25
	v_and_b32_e32 v16, 3, v28
	v_cmp_ne_u32_e32 vcc, 0, v16
	s_waitcnt lgkmcnt(0)
	v_mov_b32_dpp v17, v15 row_shr:1 row_mask:0xf bank_mask:0xf
	v_cndmask_b32_e32 v17, 0, v17, vcc
	v_add_u32_e32 v15, v17, v15
	v_cmp_lt_u32_e32 vcc, 1, v16
	s_nop 0
	v_mov_b32_dpp v17, v15 row_shr:2 row_mask:0xf bank_mask:0xf
	v_cndmask_b32_e32 v16, 0, v17, vcc
	v_add_u32_e32 v15, v15, v16
	ds_write_b32 v25, v15
.LBB2229_60:
	s_or_b64 exec, exec, s[2:3]
	v_cmp_lt_u32_e32 vcc, 63, v0
	v_mov_b32_e32 v15, 0
	v_mov_b32_e32 v16, 0
	s_waitcnt lgkmcnt(0)
	s_barrier
	s_and_saveexec_b64 s[2:3], vcc
	s_cbranch_execz .LBB2229_62
; %bb.61:
	v_lshl_add_u32 v16, v29, 2, -4
	ds_read_b32 v16, v16
.LBB2229_62:
	s_or_b64 exec, exec, s[2:3]
	v_add_u32_e32 v17, -1, v28
	v_and_b32_e32 v18, 64, v28
	v_cmp_lt_i32_e32 vcc, v17, v18
	v_cndmask_b32_e32 v17, v17, v28, vcc
	s_waitcnt lgkmcnt(0)
	v_add_u32_e32 v14, v16, v14
	v_lshlrev_b32_e32 v17, 2, v17
	ds_bpermute_b32 v17, v17, v14
	ds_read_b32 v14, v15 offset:8
	s_and_saveexec_b64 s[2:3], s[0:1]
	s_cbranch_execz .LBB2229_64
; %bb.63:
	v_mov_b32_e32 v18, 0
	v_mov_b32_e32 v15, 2
	s_waitcnt lgkmcnt(0)
	global_store_dwordx2 v18, v[14:15], s[30:31] offset:512
.LBB2229_64:
	s_or_b64 exec, exec, s[2:3]
	v_cmp_eq_u32_e32 vcc, 0, v28
	s_waitcnt lgkmcnt(1)
	v_cndmask_b32_e32 v16, v17, v16, vcc
	v_cndmask_b32_e64 v18, v16, 0, s[0:1]
	v_add_u32_sdwa v19, v18, v26 dst_sel:DWORD dst_unused:UNUSED_PAD src0_sel:DWORD src1_sel:BYTE_0
	v_add_u32_sdwa v17, v19, v26 dst_sel:DWORD dst_unused:UNUSED_PAD src0_sel:DWORD src1_sel:BYTE_1
	v_mov_b32_e32 v15, 0
	v_add_u32_e32 v16, v17, v27
	s_waitcnt lgkmcnt(0)
	s_barrier
.LBB2229_65:
	s_waitcnt lgkmcnt(0)
	v_add_u32_e32 v21, v14, v25
	v_sub_u32_e32 v18, v18, v15
	v_and_b32_e32 v23, 1, v26
	v_sub_u32_e32 v22, v21, v18
	v_cmp_eq_u32_e32 vcc, 1, v23
	v_cndmask_b32_e32 v18, v22, v18, vcc
	v_lshlrev_b32_e32 v18, 3, v18
	v_lshrrev_b32_e32 v20, 8, v26
	ds_write_b64 v18, v[6:7]
	v_sub_u32_e32 v6, v19, v15
	v_sub_u32_e32 v7, v21, v6
	v_and_b32_e32 v18, 1, v20
	v_add_u32_e32 v7, 1, v7
	v_cmp_eq_u32_e32 vcc, 1, v18
	v_cndmask_b32_e32 v6, v7, v6, vcc
	v_lshlrev_b32_e32 v6, 3, v6
	ds_write_b64 v6, v[8:9]
	v_sub_u32_e32 v6, v17, v15
	v_mov_b32_e32 v8, 1
	v_sub_u32_e32 v7, v21, v6
	v_and_b32_sdwa v8, v8, v26 dst_sel:DWORD dst_unused:UNUSED_PAD src0_sel:DWORD src1_sel:WORD_1
	v_add_u32_e32 v7, 2, v7
	v_cmp_eq_u32_e32 vcc, 1, v8
	v_cndmask_b32_e32 v6, v7, v6, vcc
	v_lshlrev_b32_e32 v6, 3, v6
	ds_write_b64 v6, v[2:3]
	v_sub_u32_e32 v2, v16, v15
	v_sub_u32_e32 v3, v21, v2
	v_and_b32_e32 v1, 1, v1
	v_add_u32_e32 v3, 3, v3
	v_cmp_eq_u32_e32 vcc, 1, v1
	v_cndmask_b32_e32 v1, v3, v2, vcc
	s_waitcnt vmcnt(0)
	v_add_co_u32_e32 v20, vcc, v10, v15
	v_addc_co_u32_e32 v21, vcc, 0, v11, vcc
	v_add_co_u32_e32 v10, vcc, v20, v14
	v_addc_co_u32_e32 v11, vcc, 0, v21, vcc
	v_mov_b32_e32 v15, s19
	v_sub_co_u32_e32 v22, vcc, s18, v10
	v_subb_co_u32_e32 v23, vcc, v15, v11, vcc
	v_lshlrev_b32_e32 v1, 3, v1
	v_lshlrev_b64 v[22:23], 3, v[22:23]
	ds_write_b64 v1, v[4:5]
	s_waitcnt lgkmcnt(0)
	s_barrier
	ds_read2st64_b64 v[6:9], v24 offset1:3
	ds_read2st64_b64 v[2:5], v24 offset0:6 offset1:9
	v_mov_b32_e32 v15, s27
	v_add_co_u32_e32 v17, vcc, s26, v22
	v_addc_co_u32_e32 v15, vcc, v15, v23, vcc
	v_add_co_u32_e32 v12, vcc, v17, v12
	v_lshlrev_b64 v[20:21], 3, v[20:21]
	v_addc_co_u32_e32 v13, vcc, v15, v13, vcc
	v_mov_b32_e32 v17, s25
	v_add_co_u32_e64 v15, s[2:3], s24, v20
	v_add_u32_e32 v18, 0xc0, v0
	v_add_u32_e32 v16, 0x180, v0
	;; [unrolled: 1-line block ×3, first 2 shown]
	s_andn2_b64 vcc, exec, s[28:29]
	v_addc_co_u32_e64 v17, s[2:3], v17, v21, s[2:3]
	s_cbranch_vccnz .LBB2229_67
; %bb.66:
	v_cmp_lt_u32_e32 vcc, v0, v14
	v_cndmask_b32_e32 v20, v12, v15, vcc
	v_cndmask_b32_e32 v19, v13, v17, vcc
	v_add_co_u32_e32 v20, vcc, v20, v24
	v_addc_co_u32_e32 v21, vcc, 0, v19, vcc
	v_cmp_lt_u32_e32 vcc, v18, v14
	s_waitcnt lgkmcnt(1)
	global_store_dwordx2 v[20:21], v[6:7], off
	v_cndmask_b32_e32 v20, v12, v15, vcc
	v_cndmask_b32_e32 v19, v13, v17, vcc
	v_add_co_u32_e32 v20, vcc, v20, v24
	v_addc_co_u32_e32 v21, vcc, 0, v19, vcc
	v_cmp_lt_u32_e32 vcc, v16, v14
	global_store_dwordx2 v[20:21], v[8:9], off offset:1536
	v_cndmask_b32_e32 v20, v12, v15, vcc
	v_cndmask_b32_e32 v19, v13, v17, vcc
	v_add_co_u32_e32 v20, vcc, v20, v24
	v_addc_co_u32_e32 v21, vcc, 0, v19, vcc
	s_mov_b64 s[2:3], -1
	s_waitcnt lgkmcnt(0)
	global_store_dwordx2 v[20:21], v[2:3], off offset:3072
	s_cbranch_execz .LBB2229_68
	s_branch .LBB2229_73
.LBB2229_67:
	s_mov_b64 s[2:3], 0
.LBB2229_68:
	v_cmp_gt_u32_e32 vcc, s33, v0
	s_and_saveexec_b64 s[2:3], vcc
	s_cbranch_execnz .LBB2229_78
; %bb.69:
	s_or_b64 exec, exec, s[2:3]
	v_cmp_gt_u32_e32 vcc, s33, v18
	s_and_saveexec_b64 s[2:3], vcc
	s_cbranch_execnz .LBB2229_79
.LBB2229_70:
	s_or_b64 exec, exec, s[2:3]
	v_cmp_gt_u32_e32 vcc, s33, v16
	s_and_saveexec_b64 s[2:3], vcc
	s_cbranch_execz .LBB2229_72
.LBB2229_71:
	v_cmp_lt_u32_e32 vcc, v16, v14
	s_waitcnt lgkmcnt(1)
	v_cndmask_b32_e32 v6, v12, v15, vcc
	v_cndmask_b32_e32 v0, v13, v17, vcc
	v_add_co_u32_e32 v6, vcc, v6, v24
	v_addc_co_u32_e32 v7, vcc, 0, v0, vcc
	s_waitcnt lgkmcnt(0)
	global_store_dwordx2 v[6:7], v[2:3], off offset:3072
.LBB2229_72:
	s_or_b64 exec, exec, s[2:3]
	v_cmp_gt_u32_e64 s[2:3], s33, v1
.LBB2229_73:
	s_and_saveexec_b64 s[4:5], s[2:3]
	s_cbranch_execnz .LBB2229_76
; %bb.74:
	s_or_b64 exec, exec, s[4:5]
	s_and_b64 s[0:1], s[0:1], s[22:23]
	s_and_saveexec_b64 s[2:3], s[0:1]
	s_cbranch_execnz .LBB2229_77
.LBB2229_75:
	s_endpgm
.LBB2229_76:
	v_cmp_lt_u32_e32 vcc, v1, v14
	v_cndmask_b32_e32 v0, v12, v15, vcc
	v_lshlrev_b32_e32 v1, 3, v1
	s_waitcnt lgkmcnt(0)
	v_cndmask_b32_e32 v2, v13, v17, vcc
	v_add_co_u32_e32 v0, vcc, v0, v1
	v_addc_co_u32_e32 v1, vcc, 0, v2, vcc
	global_store_dwordx2 v[0:1], v[4:5], off
	s_or_b64 exec, exec, s[4:5]
	s_and_b64 s[0:1], s[0:1], s[22:23]
	s_and_saveexec_b64 s[2:3], s[0:1]
	s_cbranch_execz .LBB2229_75
.LBB2229_77:
	v_mov_b32_e32 v0, 0
	global_store_dwordx2 v0, v[10:11], s[20:21]
	s_endpgm
.LBB2229_78:
	v_cmp_lt_u32_e32 vcc, v0, v14
	v_cndmask_b32_e32 v19, v12, v15, vcc
	v_cndmask_b32_e32 v0, v13, v17, vcc
	v_add_co_u32_e32 v20, vcc, v19, v24
	v_addc_co_u32_e32 v21, vcc, 0, v0, vcc
	s_waitcnt lgkmcnt(1)
	global_store_dwordx2 v[20:21], v[6:7], off
	s_or_b64 exec, exec, s[2:3]
	v_cmp_gt_u32_e32 vcc, s33, v18
	s_and_saveexec_b64 s[2:3], vcc
	s_cbranch_execz .LBB2229_70
.LBB2229_79:
	v_cmp_lt_u32_e32 vcc, v18, v14
	s_waitcnt lgkmcnt(1)
	v_cndmask_b32_e32 v6, v12, v15, vcc
	v_cndmask_b32_e32 v0, v13, v17, vcc
	v_add_co_u32_e32 v6, vcc, v6, v24
	v_addc_co_u32_e32 v7, vcc, 0, v0, vcc
	global_store_dwordx2 v[6:7], v[8:9], off offset:1536
	s_or_b64 exec, exec, s[2:3]
	v_cmp_gt_u32_e32 vcc, s33, v16
	s_and_saveexec_b64 s[2:3], vcc
	s_cbranch_execnz .LBB2229_71
	s_branch .LBB2229_72
	.section	.rodata,"a",@progbits
	.p2align	6, 0x0
	.amdhsa_kernel _ZN7rocprim17ROCPRIM_400000_NS6detail17trampoline_kernelINS0_14default_configENS1_25partition_config_selectorILNS1_17partition_subalgoE1EyNS0_10empty_typeEbEEZZNS1_14partition_implILS5_1ELb0ES3_jN6thrust23THRUST_200600_302600_NS6detail15normal_iteratorINSA_10device_ptrIyEEEEPS6_NSA_18transform_iteratorI7is_evenIyESF_NSA_11use_defaultESK_EENS0_5tupleIJSF_SF_EEENSM_IJSG_SG_EEES6_PlJS6_EEE10hipError_tPvRmT3_T4_T5_T6_T7_T9_mT8_P12ihipStream_tbDpT10_ENKUlT_T0_E_clISt17integral_constantIbLb0EES18_IbLb1EEEEDaS14_S15_EUlS14_E_NS1_11comp_targetILNS1_3genE4ELNS1_11target_archE910ELNS1_3gpuE8ELNS1_3repE0EEENS1_30default_config_static_selectorELNS0_4arch9wavefront6targetE1EEEvT1_
		.amdhsa_group_segment_fixed_size 6344
		.amdhsa_private_segment_fixed_size 0
		.amdhsa_kernarg_size 144
		.amdhsa_user_sgpr_count 6
		.amdhsa_user_sgpr_private_segment_buffer 1
		.amdhsa_user_sgpr_dispatch_ptr 0
		.amdhsa_user_sgpr_queue_ptr 0
		.amdhsa_user_sgpr_kernarg_segment_ptr 1
		.amdhsa_user_sgpr_dispatch_id 0
		.amdhsa_user_sgpr_flat_scratch_init 0
		.amdhsa_user_sgpr_kernarg_preload_length 0
		.amdhsa_user_sgpr_kernarg_preload_offset 0
		.amdhsa_user_sgpr_private_segment_size 0
		.amdhsa_uses_dynamic_stack 0
		.amdhsa_system_sgpr_private_segment_wavefront_offset 0
		.amdhsa_system_sgpr_workgroup_id_x 1
		.amdhsa_system_sgpr_workgroup_id_y 0
		.amdhsa_system_sgpr_workgroup_id_z 0
		.amdhsa_system_sgpr_workgroup_info 0
		.amdhsa_system_vgpr_workitem_id 0
		.amdhsa_next_free_vgpr 47
		.amdhsa_next_free_sgpr 44
		.amdhsa_accum_offset 48
		.amdhsa_reserve_vcc 1
		.amdhsa_reserve_flat_scratch 0
		.amdhsa_float_round_mode_32 0
		.amdhsa_float_round_mode_16_64 0
		.amdhsa_float_denorm_mode_32 3
		.amdhsa_float_denorm_mode_16_64 3
		.amdhsa_dx10_clamp 1
		.amdhsa_ieee_mode 1
		.amdhsa_fp16_overflow 0
		.amdhsa_tg_split 0
		.amdhsa_exception_fp_ieee_invalid_op 0
		.amdhsa_exception_fp_denorm_src 0
		.amdhsa_exception_fp_ieee_div_zero 0
		.amdhsa_exception_fp_ieee_overflow 0
		.amdhsa_exception_fp_ieee_underflow 0
		.amdhsa_exception_fp_ieee_inexact 0
		.amdhsa_exception_int_div_zero 0
	.end_amdhsa_kernel
	.section	.text._ZN7rocprim17ROCPRIM_400000_NS6detail17trampoline_kernelINS0_14default_configENS1_25partition_config_selectorILNS1_17partition_subalgoE1EyNS0_10empty_typeEbEEZZNS1_14partition_implILS5_1ELb0ES3_jN6thrust23THRUST_200600_302600_NS6detail15normal_iteratorINSA_10device_ptrIyEEEEPS6_NSA_18transform_iteratorI7is_evenIyESF_NSA_11use_defaultESK_EENS0_5tupleIJSF_SF_EEENSM_IJSG_SG_EEES6_PlJS6_EEE10hipError_tPvRmT3_T4_T5_T6_T7_T9_mT8_P12ihipStream_tbDpT10_ENKUlT_T0_E_clISt17integral_constantIbLb0EES18_IbLb1EEEEDaS14_S15_EUlS14_E_NS1_11comp_targetILNS1_3genE4ELNS1_11target_archE910ELNS1_3gpuE8ELNS1_3repE0EEENS1_30default_config_static_selectorELNS0_4arch9wavefront6targetE1EEEvT1_,"axG",@progbits,_ZN7rocprim17ROCPRIM_400000_NS6detail17trampoline_kernelINS0_14default_configENS1_25partition_config_selectorILNS1_17partition_subalgoE1EyNS0_10empty_typeEbEEZZNS1_14partition_implILS5_1ELb0ES3_jN6thrust23THRUST_200600_302600_NS6detail15normal_iteratorINSA_10device_ptrIyEEEEPS6_NSA_18transform_iteratorI7is_evenIyESF_NSA_11use_defaultESK_EENS0_5tupleIJSF_SF_EEENSM_IJSG_SG_EEES6_PlJS6_EEE10hipError_tPvRmT3_T4_T5_T6_T7_T9_mT8_P12ihipStream_tbDpT10_ENKUlT_T0_E_clISt17integral_constantIbLb0EES18_IbLb1EEEEDaS14_S15_EUlS14_E_NS1_11comp_targetILNS1_3genE4ELNS1_11target_archE910ELNS1_3gpuE8ELNS1_3repE0EEENS1_30default_config_static_selectorELNS0_4arch9wavefront6targetE1EEEvT1_,comdat
.Lfunc_end2229:
	.size	_ZN7rocprim17ROCPRIM_400000_NS6detail17trampoline_kernelINS0_14default_configENS1_25partition_config_selectorILNS1_17partition_subalgoE1EyNS0_10empty_typeEbEEZZNS1_14partition_implILS5_1ELb0ES3_jN6thrust23THRUST_200600_302600_NS6detail15normal_iteratorINSA_10device_ptrIyEEEEPS6_NSA_18transform_iteratorI7is_evenIyESF_NSA_11use_defaultESK_EENS0_5tupleIJSF_SF_EEENSM_IJSG_SG_EEES6_PlJS6_EEE10hipError_tPvRmT3_T4_T5_T6_T7_T9_mT8_P12ihipStream_tbDpT10_ENKUlT_T0_E_clISt17integral_constantIbLb0EES18_IbLb1EEEEDaS14_S15_EUlS14_E_NS1_11comp_targetILNS1_3genE4ELNS1_11target_archE910ELNS1_3gpuE8ELNS1_3repE0EEENS1_30default_config_static_selectorELNS0_4arch9wavefront6targetE1EEEvT1_, .Lfunc_end2229-_ZN7rocprim17ROCPRIM_400000_NS6detail17trampoline_kernelINS0_14default_configENS1_25partition_config_selectorILNS1_17partition_subalgoE1EyNS0_10empty_typeEbEEZZNS1_14partition_implILS5_1ELb0ES3_jN6thrust23THRUST_200600_302600_NS6detail15normal_iteratorINSA_10device_ptrIyEEEEPS6_NSA_18transform_iteratorI7is_evenIyESF_NSA_11use_defaultESK_EENS0_5tupleIJSF_SF_EEENSM_IJSG_SG_EEES6_PlJS6_EEE10hipError_tPvRmT3_T4_T5_T6_T7_T9_mT8_P12ihipStream_tbDpT10_ENKUlT_T0_E_clISt17integral_constantIbLb0EES18_IbLb1EEEEDaS14_S15_EUlS14_E_NS1_11comp_targetILNS1_3genE4ELNS1_11target_archE910ELNS1_3gpuE8ELNS1_3repE0EEENS1_30default_config_static_selectorELNS0_4arch9wavefront6targetE1EEEvT1_
                                        ; -- End function
	.section	.AMDGPU.csdata,"",@progbits
; Kernel info:
; codeLenInByte = 4100
; NumSgprs: 48
; NumVgprs: 47
; NumAgprs: 0
; TotalNumVgprs: 47
; ScratchSize: 0
; MemoryBound: 0
; FloatMode: 240
; IeeeMode: 1
; LDSByteSize: 6344 bytes/workgroup (compile time only)
; SGPRBlocks: 5
; VGPRBlocks: 5
; NumSGPRsForWavesPerEU: 48
; NumVGPRsForWavesPerEU: 47
; AccumOffset: 48
; Occupancy: 8
; WaveLimiterHint : 1
; COMPUTE_PGM_RSRC2:SCRATCH_EN: 0
; COMPUTE_PGM_RSRC2:USER_SGPR: 6
; COMPUTE_PGM_RSRC2:TRAP_HANDLER: 0
; COMPUTE_PGM_RSRC2:TGID_X_EN: 1
; COMPUTE_PGM_RSRC2:TGID_Y_EN: 0
; COMPUTE_PGM_RSRC2:TGID_Z_EN: 0
; COMPUTE_PGM_RSRC2:TIDIG_COMP_CNT: 0
; COMPUTE_PGM_RSRC3_GFX90A:ACCUM_OFFSET: 11
; COMPUTE_PGM_RSRC3_GFX90A:TG_SPLIT: 0
	.section	.text._ZN7rocprim17ROCPRIM_400000_NS6detail17trampoline_kernelINS0_14default_configENS1_25partition_config_selectorILNS1_17partition_subalgoE1EyNS0_10empty_typeEbEEZZNS1_14partition_implILS5_1ELb0ES3_jN6thrust23THRUST_200600_302600_NS6detail15normal_iteratorINSA_10device_ptrIyEEEEPS6_NSA_18transform_iteratorI7is_evenIyESF_NSA_11use_defaultESK_EENS0_5tupleIJSF_SF_EEENSM_IJSG_SG_EEES6_PlJS6_EEE10hipError_tPvRmT3_T4_T5_T6_T7_T9_mT8_P12ihipStream_tbDpT10_ENKUlT_T0_E_clISt17integral_constantIbLb0EES18_IbLb1EEEEDaS14_S15_EUlS14_E_NS1_11comp_targetILNS1_3genE3ELNS1_11target_archE908ELNS1_3gpuE7ELNS1_3repE0EEENS1_30default_config_static_selectorELNS0_4arch9wavefront6targetE1EEEvT1_,"axG",@progbits,_ZN7rocprim17ROCPRIM_400000_NS6detail17trampoline_kernelINS0_14default_configENS1_25partition_config_selectorILNS1_17partition_subalgoE1EyNS0_10empty_typeEbEEZZNS1_14partition_implILS5_1ELb0ES3_jN6thrust23THRUST_200600_302600_NS6detail15normal_iteratorINSA_10device_ptrIyEEEEPS6_NSA_18transform_iteratorI7is_evenIyESF_NSA_11use_defaultESK_EENS0_5tupleIJSF_SF_EEENSM_IJSG_SG_EEES6_PlJS6_EEE10hipError_tPvRmT3_T4_T5_T6_T7_T9_mT8_P12ihipStream_tbDpT10_ENKUlT_T0_E_clISt17integral_constantIbLb0EES18_IbLb1EEEEDaS14_S15_EUlS14_E_NS1_11comp_targetILNS1_3genE3ELNS1_11target_archE908ELNS1_3gpuE7ELNS1_3repE0EEENS1_30default_config_static_selectorELNS0_4arch9wavefront6targetE1EEEvT1_,comdat
	.protected	_ZN7rocprim17ROCPRIM_400000_NS6detail17trampoline_kernelINS0_14default_configENS1_25partition_config_selectorILNS1_17partition_subalgoE1EyNS0_10empty_typeEbEEZZNS1_14partition_implILS5_1ELb0ES3_jN6thrust23THRUST_200600_302600_NS6detail15normal_iteratorINSA_10device_ptrIyEEEEPS6_NSA_18transform_iteratorI7is_evenIyESF_NSA_11use_defaultESK_EENS0_5tupleIJSF_SF_EEENSM_IJSG_SG_EEES6_PlJS6_EEE10hipError_tPvRmT3_T4_T5_T6_T7_T9_mT8_P12ihipStream_tbDpT10_ENKUlT_T0_E_clISt17integral_constantIbLb0EES18_IbLb1EEEEDaS14_S15_EUlS14_E_NS1_11comp_targetILNS1_3genE3ELNS1_11target_archE908ELNS1_3gpuE7ELNS1_3repE0EEENS1_30default_config_static_selectorELNS0_4arch9wavefront6targetE1EEEvT1_ ; -- Begin function _ZN7rocprim17ROCPRIM_400000_NS6detail17trampoline_kernelINS0_14default_configENS1_25partition_config_selectorILNS1_17partition_subalgoE1EyNS0_10empty_typeEbEEZZNS1_14partition_implILS5_1ELb0ES3_jN6thrust23THRUST_200600_302600_NS6detail15normal_iteratorINSA_10device_ptrIyEEEEPS6_NSA_18transform_iteratorI7is_evenIyESF_NSA_11use_defaultESK_EENS0_5tupleIJSF_SF_EEENSM_IJSG_SG_EEES6_PlJS6_EEE10hipError_tPvRmT3_T4_T5_T6_T7_T9_mT8_P12ihipStream_tbDpT10_ENKUlT_T0_E_clISt17integral_constantIbLb0EES18_IbLb1EEEEDaS14_S15_EUlS14_E_NS1_11comp_targetILNS1_3genE3ELNS1_11target_archE908ELNS1_3gpuE7ELNS1_3repE0EEENS1_30default_config_static_selectorELNS0_4arch9wavefront6targetE1EEEvT1_
	.globl	_ZN7rocprim17ROCPRIM_400000_NS6detail17trampoline_kernelINS0_14default_configENS1_25partition_config_selectorILNS1_17partition_subalgoE1EyNS0_10empty_typeEbEEZZNS1_14partition_implILS5_1ELb0ES3_jN6thrust23THRUST_200600_302600_NS6detail15normal_iteratorINSA_10device_ptrIyEEEEPS6_NSA_18transform_iteratorI7is_evenIyESF_NSA_11use_defaultESK_EENS0_5tupleIJSF_SF_EEENSM_IJSG_SG_EEES6_PlJS6_EEE10hipError_tPvRmT3_T4_T5_T6_T7_T9_mT8_P12ihipStream_tbDpT10_ENKUlT_T0_E_clISt17integral_constantIbLb0EES18_IbLb1EEEEDaS14_S15_EUlS14_E_NS1_11comp_targetILNS1_3genE3ELNS1_11target_archE908ELNS1_3gpuE7ELNS1_3repE0EEENS1_30default_config_static_selectorELNS0_4arch9wavefront6targetE1EEEvT1_
	.p2align	8
	.type	_ZN7rocprim17ROCPRIM_400000_NS6detail17trampoline_kernelINS0_14default_configENS1_25partition_config_selectorILNS1_17partition_subalgoE1EyNS0_10empty_typeEbEEZZNS1_14partition_implILS5_1ELb0ES3_jN6thrust23THRUST_200600_302600_NS6detail15normal_iteratorINSA_10device_ptrIyEEEEPS6_NSA_18transform_iteratorI7is_evenIyESF_NSA_11use_defaultESK_EENS0_5tupleIJSF_SF_EEENSM_IJSG_SG_EEES6_PlJS6_EEE10hipError_tPvRmT3_T4_T5_T6_T7_T9_mT8_P12ihipStream_tbDpT10_ENKUlT_T0_E_clISt17integral_constantIbLb0EES18_IbLb1EEEEDaS14_S15_EUlS14_E_NS1_11comp_targetILNS1_3genE3ELNS1_11target_archE908ELNS1_3gpuE7ELNS1_3repE0EEENS1_30default_config_static_selectorELNS0_4arch9wavefront6targetE1EEEvT1_,@function
_ZN7rocprim17ROCPRIM_400000_NS6detail17trampoline_kernelINS0_14default_configENS1_25partition_config_selectorILNS1_17partition_subalgoE1EyNS0_10empty_typeEbEEZZNS1_14partition_implILS5_1ELb0ES3_jN6thrust23THRUST_200600_302600_NS6detail15normal_iteratorINSA_10device_ptrIyEEEEPS6_NSA_18transform_iteratorI7is_evenIyESF_NSA_11use_defaultESK_EENS0_5tupleIJSF_SF_EEENSM_IJSG_SG_EEES6_PlJS6_EEE10hipError_tPvRmT3_T4_T5_T6_T7_T9_mT8_P12ihipStream_tbDpT10_ENKUlT_T0_E_clISt17integral_constantIbLb0EES18_IbLb1EEEEDaS14_S15_EUlS14_E_NS1_11comp_targetILNS1_3genE3ELNS1_11target_archE908ELNS1_3gpuE7ELNS1_3repE0EEENS1_30default_config_static_selectorELNS0_4arch9wavefront6targetE1EEEvT1_: ; @_ZN7rocprim17ROCPRIM_400000_NS6detail17trampoline_kernelINS0_14default_configENS1_25partition_config_selectorILNS1_17partition_subalgoE1EyNS0_10empty_typeEbEEZZNS1_14partition_implILS5_1ELb0ES3_jN6thrust23THRUST_200600_302600_NS6detail15normal_iteratorINSA_10device_ptrIyEEEEPS6_NSA_18transform_iteratorI7is_evenIyESF_NSA_11use_defaultESK_EENS0_5tupleIJSF_SF_EEENSM_IJSG_SG_EEES6_PlJS6_EEE10hipError_tPvRmT3_T4_T5_T6_T7_T9_mT8_P12ihipStream_tbDpT10_ENKUlT_T0_E_clISt17integral_constantIbLb0EES18_IbLb1EEEEDaS14_S15_EUlS14_E_NS1_11comp_targetILNS1_3genE3ELNS1_11target_archE908ELNS1_3gpuE7ELNS1_3repE0EEENS1_30default_config_static_selectorELNS0_4arch9wavefront6targetE1EEEvT1_
; %bb.0:
	.section	.rodata,"a",@progbits
	.p2align	6, 0x0
	.amdhsa_kernel _ZN7rocprim17ROCPRIM_400000_NS6detail17trampoline_kernelINS0_14default_configENS1_25partition_config_selectorILNS1_17partition_subalgoE1EyNS0_10empty_typeEbEEZZNS1_14partition_implILS5_1ELb0ES3_jN6thrust23THRUST_200600_302600_NS6detail15normal_iteratorINSA_10device_ptrIyEEEEPS6_NSA_18transform_iteratorI7is_evenIyESF_NSA_11use_defaultESK_EENS0_5tupleIJSF_SF_EEENSM_IJSG_SG_EEES6_PlJS6_EEE10hipError_tPvRmT3_T4_T5_T6_T7_T9_mT8_P12ihipStream_tbDpT10_ENKUlT_T0_E_clISt17integral_constantIbLb0EES18_IbLb1EEEEDaS14_S15_EUlS14_E_NS1_11comp_targetILNS1_3genE3ELNS1_11target_archE908ELNS1_3gpuE7ELNS1_3repE0EEENS1_30default_config_static_selectorELNS0_4arch9wavefront6targetE1EEEvT1_
		.amdhsa_group_segment_fixed_size 0
		.amdhsa_private_segment_fixed_size 0
		.amdhsa_kernarg_size 144
		.amdhsa_user_sgpr_count 6
		.amdhsa_user_sgpr_private_segment_buffer 1
		.amdhsa_user_sgpr_dispatch_ptr 0
		.amdhsa_user_sgpr_queue_ptr 0
		.amdhsa_user_sgpr_kernarg_segment_ptr 1
		.amdhsa_user_sgpr_dispatch_id 0
		.amdhsa_user_sgpr_flat_scratch_init 0
		.amdhsa_user_sgpr_kernarg_preload_length 0
		.amdhsa_user_sgpr_kernarg_preload_offset 0
		.amdhsa_user_sgpr_private_segment_size 0
		.amdhsa_uses_dynamic_stack 0
		.amdhsa_system_sgpr_private_segment_wavefront_offset 0
		.amdhsa_system_sgpr_workgroup_id_x 1
		.amdhsa_system_sgpr_workgroup_id_y 0
		.amdhsa_system_sgpr_workgroup_id_z 0
		.amdhsa_system_sgpr_workgroup_info 0
		.amdhsa_system_vgpr_workitem_id 0
		.amdhsa_next_free_vgpr 1
		.amdhsa_next_free_sgpr 0
		.amdhsa_accum_offset 4
		.amdhsa_reserve_vcc 0
		.amdhsa_reserve_flat_scratch 0
		.amdhsa_float_round_mode_32 0
		.amdhsa_float_round_mode_16_64 0
		.amdhsa_float_denorm_mode_32 3
		.amdhsa_float_denorm_mode_16_64 3
		.amdhsa_dx10_clamp 1
		.amdhsa_ieee_mode 1
		.amdhsa_fp16_overflow 0
		.amdhsa_tg_split 0
		.amdhsa_exception_fp_ieee_invalid_op 0
		.amdhsa_exception_fp_denorm_src 0
		.amdhsa_exception_fp_ieee_div_zero 0
		.amdhsa_exception_fp_ieee_overflow 0
		.amdhsa_exception_fp_ieee_underflow 0
		.amdhsa_exception_fp_ieee_inexact 0
		.amdhsa_exception_int_div_zero 0
	.end_amdhsa_kernel
	.section	.text._ZN7rocprim17ROCPRIM_400000_NS6detail17trampoline_kernelINS0_14default_configENS1_25partition_config_selectorILNS1_17partition_subalgoE1EyNS0_10empty_typeEbEEZZNS1_14partition_implILS5_1ELb0ES3_jN6thrust23THRUST_200600_302600_NS6detail15normal_iteratorINSA_10device_ptrIyEEEEPS6_NSA_18transform_iteratorI7is_evenIyESF_NSA_11use_defaultESK_EENS0_5tupleIJSF_SF_EEENSM_IJSG_SG_EEES6_PlJS6_EEE10hipError_tPvRmT3_T4_T5_T6_T7_T9_mT8_P12ihipStream_tbDpT10_ENKUlT_T0_E_clISt17integral_constantIbLb0EES18_IbLb1EEEEDaS14_S15_EUlS14_E_NS1_11comp_targetILNS1_3genE3ELNS1_11target_archE908ELNS1_3gpuE7ELNS1_3repE0EEENS1_30default_config_static_selectorELNS0_4arch9wavefront6targetE1EEEvT1_,"axG",@progbits,_ZN7rocprim17ROCPRIM_400000_NS6detail17trampoline_kernelINS0_14default_configENS1_25partition_config_selectorILNS1_17partition_subalgoE1EyNS0_10empty_typeEbEEZZNS1_14partition_implILS5_1ELb0ES3_jN6thrust23THRUST_200600_302600_NS6detail15normal_iteratorINSA_10device_ptrIyEEEEPS6_NSA_18transform_iteratorI7is_evenIyESF_NSA_11use_defaultESK_EENS0_5tupleIJSF_SF_EEENSM_IJSG_SG_EEES6_PlJS6_EEE10hipError_tPvRmT3_T4_T5_T6_T7_T9_mT8_P12ihipStream_tbDpT10_ENKUlT_T0_E_clISt17integral_constantIbLb0EES18_IbLb1EEEEDaS14_S15_EUlS14_E_NS1_11comp_targetILNS1_3genE3ELNS1_11target_archE908ELNS1_3gpuE7ELNS1_3repE0EEENS1_30default_config_static_selectorELNS0_4arch9wavefront6targetE1EEEvT1_,comdat
.Lfunc_end2230:
	.size	_ZN7rocprim17ROCPRIM_400000_NS6detail17trampoline_kernelINS0_14default_configENS1_25partition_config_selectorILNS1_17partition_subalgoE1EyNS0_10empty_typeEbEEZZNS1_14partition_implILS5_1ELb0ES3_jN6thrust23THRUST_200600_302600_NS6detail15normal_iteratorINSA_10device_ptrIyEEEEPS6_NSA_18transform_iteratorI7is_evenIyESF_NSA_11use_defaultESK_EENS0_5tupleIJSF_SF_EEENSM_IJSG_SG_EEES6_PlJS6_EEE10hipError_tPvRmT3_T4_T5_T6_T7_T9_mT8_P12ihipStream_tbDpT10_ENKUlT_T0_E_clISt17integral_constantIbLb0EES18_IbLb1EEEEDaS14_S15_EUlS14_E_NS1_11comp_targetILNS1_3genE3ELNS1_11target_archE908ELNS1_3gpuE7ELNS1_3repE0EEENS1_30default_config_static_selectorELNS0_4arch9wavefront6targetE1EEEvT1_, .Lfunc_end2230-_ZN7rocprim17ROCPRIM_400000_NS6detail17trampoline_kernelINS0_14default_configENS1_25partition_config_selectorILNS1_17partition_subalgoE1EyNS0_10empty_typeEbEEZZNS1_14partition_implILS5_1ELb0ES3_jN6thrust23THRUST_200600_302600_NS6detail15normal_iteratorINSA_10device_ptrIyEEEEPS6_NSA_18transform_iteratorI7is_evenIyESF_NSA_11use_defaultESK_EENS0_5tupleIJSF_SF_EEENSM_IJSG_SG_EEES6_PlJS6_EEE10hipError_tPvRmT3_T4_T5_T6_T7_T9_mT8_P12ihipStream_tbDpT10_ENKUlT_T0_E_clISt17integral_constantIbLb0EES18_IbLb1EEEEDaS14_S15_EUlS14_E_NS1_11comp_targetILNS1_3genE3ELNS1_11target_archE908ELNS1_3gpuE7ELNS1_3repE0EEENS1_30default_config_static_selectorELNS0_4arch9wavefront6targetE1EEEvT1_
                                        ; -- End function
	.section	.AMDGPU.csdata,"",@progbits
; Kernel info:
; codeLenInByte = 0
; NumSgprs: 4
; NumVgprs: 0
; NumAgprs: 0
; TotalNumVgprs: 0
; ScratchSize: 0
; MemoryBound: 0
; FloatMode: 240
; IeeeMode: 1
; LDSByteSize: 0 bytes/workgroup (compile time only)
; SGPRBlocks: 0
; VGPRBlocks: 0
; NumSGPRsForWavesPerEU: 4
; NumVGPRsForWavesPerEU: 1
; AccumOffset: 4
; Occupancy: 8
; WaveLimiterHint : 0
; COMPUTE_PGM_RSRC2:SCRATCH_EN: 0
; COMPUTE_PGM_RSRC2:USER_SGPR: 6
; COMPUTE_PGM_RSRC2:TRAP_HANDLER: 0
; COMPUTE_PGM_RSRC2:TGID_X_EN: 1
; COMPUTE_PGM_RSRC2:TGID_Y_EN: 0
; COMPUTE_PGM_RSRC2:TGID_Z_EN: 0
; COMPUTE_PGM_RSRC2:TIDIG_COMP_CNT: 0
; COMPUTE_PGM_RSRC3_GFX90A:ACCUM_OFFSET: 0
; COMPUTE_PGM_RSRC3_GFX90A:TG_SPLIT: 0
	.section	.text._ZN7rocprim17ROCPRIM_400000_NS6detail17trampoline_kernelINS0_14default_configENS1_25partition_config_selectorILNS1_17partition_subalgoE1EyNS0_10empty_typeEbEEZZNS1_14partition_implILS5_1ELb0ES3_jN6thrust23THRUST_200600_302600_NS6detail15normal_iteratorINSA_10device_ptrIyEEEEPS6_NSA_18transform_iteratorI7is_evenIyESF_NSA_11use_defaultESK_EENS0_5tupleIJSF_SF_EEENSM_IJSG_SG_EEES6_PlJS6_EEE10hipError_tPvRmT3_T4_T5_T6_T7_T9_mT8_P12ihipStream_tbDpT10_ENKUlT_T0_E_clISt17integral_constantIbLb0EES18_IbLb1EEEEDaS14_S15_EUlS14_E_NS1_11comp_targetILNS1_3genE2ELNS1_11target_archE906ELNS1_3gpuE6ELNS1_3repE0EEENS1_30default_config_static_selectorELNS0_4arch9wavefront6targetE1EEEvT1_,"axG",@progbits,_ZN7rocprim17ROCPRIM_400000_NS6detail17trampoline_kernelINS0_14default_configENS1_25partition_config_selectorILNS1_17partition_subalgoE1EyNS0_10empty_typeEbEEZZNS1_14partition_implILS5_1ELb0ES3_jN6thrust23THRUST_200600_302600_NS6detail15normal_iteratorINSA_10device_ptrIyEEEEPS6_NSA_18transform_iteratorI7is_evenIyESF_NSA_11use_defaultESK_EENS0_5tupleIJSF_SF_EEENSM_IJSG_SG_EEES6_PlJS6_EEE10hipError_tPvRmT3_T4_T5_T6_T7_T9_mT8_P12ihipStream_tbDpT10_ENKUlT_T0_E_clISt17integral_constantIbLb0EES18_IbLb1EEEEDaS14_S15_EUlS14_E_NS1_11comp_targetILNS1_3genE2ELNS1_11target_archE906ELNS1_3gpuE6ELNS1_3repE0EEENS1_30default_config_static_selectorELNS0_4arch9wavefront6targetE1EEEvT1_,comdat
	.protected	_ZN7rocprim17ROCPRIM_400000_NS6detail17trampoline_kernelINS0_14default_configENS1_25partition_config_selectorILNS1_17partition_subalgoE1EyNS0_10empty_typeEbEEZZNS1_14partition_implILS5_1ELb0ES3_jN6thrust23THRUST_200600_302600_NS6detail15normal_iteratorINSA_10device_ptrIyEEEEPS6_NSA_18transform_iteratorI7is_evenIyESF_NSA_11use_defaultESK_EENS0_5tupleIJSF_SF_EEENSM_IJSG_SG_EEES6_PlJS6_EEE10hipError_tPvRmT3_T4_T5_T6_T7_T9_mT8_P12ihipStream_tbDpT10_ENKUlT_T0_E_clISt17integral_constantIbLb0EES18_IbLb1EEEEDaS14_S15_EUlS14_E_NS1_11comp_targetILNS1_3genE2ELNS1_11target_archE906ELNS1_3gpuE6ELNS1_3repE0EEENS1_30default_config_static_selectorELNS0_4arch9wavefront6targetE1EEEvT1_ ; -- Begin function _ZN7rocprim17ROCPRIM_400000_NS6detail17trampoline_kernelINS0_14default_configENS1_25partition_config_selectorILNS1_17partition_subalgoE1EyNS0_10empty_typeEbEEZZNS1_14partition_implILS5_1ELb0ES3_jN6thrust23THRUST_200600_302600_NS6detail15normal_iteratorINSA_10device_ptrIyEEEEPS6_NSA_18transform_iteratorI7is_evenIyESF_NSA_11use_defaultESK_EENS0_5tupleIJSF_SF_EEENSM_IJSG_SG_EEES6_PlJS6_EEE10hipError_tPvRmT3_T4_T5_T6_T7_T9_mT8_P12ihipStream_tbDpT10_ENKUlT_T0_E_clISt17integral_constantIbLb0EES18_IbLb1EEEEDaS14_S15_EUlS14_E_NS1_11comp_targetILNS1_3genE2ELNS1_11target_archE906ELNS1_3gpuE6ELNS1_3repE0EEENS1_30default_config_static_selectorELNS0_4arch9wavefront6targetE1EEEvT1_
	.globl	_ZN7rocprim17ROCPRIM_400000_NS6detail17trampoline_kernelINS0_14default_configENS1_25partition_config_selectorILNS1_17partition_subalgoE1EyNS0_10empty_typeEbEEZZNS1_14partition_implILS5_1ELb0ES3_jN6thrust23THRUST_200600_302600_NS6detail15normal_iteratorINSA_10device_ptrIyEEEEPS6_NSA_18transform_iteratorI7is_evenIyESF_NSA_11use_defaultESK_EENS0_5tupleIJSF_SF_EEENSM_IJSG_SG_EEES6_PlJS6_EEE10hipError_tPvRmT3_T4_T5_T6_T7_T9_mT8_P12ihipStream_tbDpT10_ENKUlT_T0_E_clISt17integral_constantIbLb0EES18_IbLb1EEEEDaS14_S15_EUlS14_E_NS1_11comp_targetILNS1_3genE2ELNS1_11target_archE906ELNS1_3gpuE6ELNS1_3repE0EEENS1_30default_config_static_selectorELNS0_4arch9wavefront6targetE1EEEvT1_
	.p2align	8
	.type	_ZN7rocprim17ROCPRIM_400000_NS6detail17trampoline_kernelINS0_14default_configENS1_25partition_config_selectorILNS1_17partition_subalgoE1EyNS0_10empty_typeEbEEZZNS1_14partition_implILS5_1ELb0ES3_jN6thrust23THRUST_200600_302600_NS6detail15normal_iteratorINSA_10device_ptrIyEEEEPS6_NSA_18transform_iteratorI7is_evenIyESF_NSA_11use_defaultESK_EENS0_5tupleIJSF_SF_EEENSM_IJSG_SG_EEES6_PlJS6_EEE10hipError_tPvRmT3_T4_T5_T6_T7_T9_mT8_P12ihipStream_tbDpT10_ENKUlT_T0_E_clISt17integral_constantIbLb0EES18_IbLb1EEEEDaS14_S15_EUlS14_E_NS1_11comp_targetILNS1_3genE2ELNS1_11target_archE906ELNS1_3gpuE6ELNS1_3repE0EEENS1_30default_config_static_selectorELNS0_4arch9wavefront6targetE1EEEvT1_,@function
_ZN7rocprim17ROCPRIM_400000_NS6detail17trampoline_kernelINS0_14default_configENS1_25partition_config_selectorILNS1_17partition_subalgoE1EyNS0_10empty_typeEbEEZZNS1_14partition_implILS5_1ELb0ES3_jN6thrust23THRUST_200600_302600_NS6detail15normal_iteratorINSA_10device_ptrIyEEEEPS6_NSA_18transform_iteratorI7is_evenIyESF_NSA_11use_defaultESK_EENS0_5tupleIJSF_SF_EEENSM_IJSG_SG_EEES6_PlJS6_EEE10hipError_tPvRmT3_T4_T5_T6_T7_T9_mT8_P12ihipStream_tbDpT10_ENKUlT_T0_E_clISt17integral_constantIbLb0EES18_IbLb1EEEEDaS14_S15_EUlS14_E_NS1_11comp_targetILNS1_3genE2ELNS1_11target_archE906ELNS1_3gpuE6ELNS1_3repE0EEENS1_30default_config_static_selectorELNS0_4arch9wavefront6targetE1EEEvT1_: ; @_ZN7rocprim17ROCPRIM_400000_NS6detail17trampoline_kernelINS0_14default_configENS1_25partition_config_selectorILNS1_17partition_subalgoE1EyNS0_10empty_typeEbEEZZNS1_14partition_implILS5_1ELb0ES3_jN6thrust23THRUST_200600_302600_NS6detail15normal_iteratorINSA_10device_ptrIyEEEEPS6_NSA_18transform_iteratorI7is_evenIyESF_NSA_11use_defaultESK_EENS0_5tupleIJSF_SF_EEENSM_IJSG_SG_EEES6_PlJS6_EEE10hipError_tPvRmT3_T4_T5_T6_T7_T9_mT8_P12ihipStream_tbDpT10_ENKUlT_T0_E_clISt17integral_constantIbLb0EES18_IbLb1EEEEDaS14_S15_EUlS14_E_NS1_11comp_targetILNS1_3genE2ELNS1_11target_archE906ELNS1_3gpuE6ELNS1_3repE0EEENS1_30default_config_static_selectorELNS0_4arch9wavefront6targetE1EEEvT1_
; %bb.0:
	.section	.rodata,"a",@progbits
	.p2align	6, 0x0
	.amdhsa_kernel _ZN7rocprim17ROCPRIM_400000_NS6detail17trampoline_kernelINS0_14default_configENS1_25partition_config_selectorILNS1_17partition_subalgoE1EyNS0_10empty_typeEbEEZZNS1_14partition_implILS5_1ELb0ES3_jN6thrust23THRUST_200600_302600_NS6detail15normal_iteratorINSA_10device_ptrIyEEEEPS6_NSA_18transform_iteratorI7is_evenIyESF_NSA_11use_defaultESK_EENS0_5tupleIJSF_SF_EEENSM_IJSG_SG_EEES6_PlJS6_EEE10hipError_tPvRmT3_T4_T5_T6_T7_T9_mT8_P12ihipStream_tbDpT10_ENKUlT_T0_E_clISt17integral_constantIbLb0EES18_IbLb1EEEEDaS14_S15_EUlS14_E_NS1_11comp_targetILNS1_3genE2ELNS1_11target_archE906ELNS1_3gpuE6ELNS1_3repE0EEENS1_30default_config_static_selectorELNS0_4arch9wavefront6targetE1EEEvT1_
		.amdhsa_group_segment_fixed_size 0
		.amdhsa_private_segment_fixed_size 0
		.amdhsa_kernarg_size 144
		.amdhsa_user_sgpr_count 6
		.amdhsa_user_sgpr_private_segment_buffer 1
		.amdhsa_user_sgpr_dispatch_ptr 0
		.amdhsa_user_sgpr_queue_ptr 0
		.amdhsa_user_sgpr_kernarg_segment_ptr 1
		.amdhsa_user_sgpr_dispatch_id 0
		.amdhsa_user_sgpr_flat_scratch_init 0
		.amdhsa_user_sgpr_kernarg_preload_length 0
		.amdhsa_user_sgpr_kernarg_preload_offset 0
		.amdhsa_user_sgpr_private_segment_size 0
		.amdhsa_uses_dynamic_stack 0
		.amdhsa_system_sgpr_private_segment_wavefront_offset 0
		.amdhsa_system_sgpr_workgroup_id_x 1
		.amdhsa_system_sgpr_workgroup_id_y 0
		.amdhsa_system_sgpr_workgroup_id_z 0
		.amdhsa_system_sgpr_workgroup_info 0
		.amdhsa_system_vgpr_workitem_id 0
		.amdhsa_next_free_vgpr 1
		.amdhsa_next_free_sgpr 0
		.amdhsa_accum_offset 4
		.amdhsa_reserve_vcc 0
		.amdhsa_reserve_flat_scratch 0
		.amdhsa_float_round_mode_32 0
		.amdhsa_float_round_mode_16_64 0
		.amdhsa_float_denorm_mode_32 3
		.amdhsa_float_denorm_mode_16_64 3
		.amdhsa_dx10_clamp 1
		.amdhsa_ieee_mode 1
		.amdhsa_fp16_overflow 0
		.amdhsa_tg_split 0
		.amdhsa_exception_fp_ieee_invalid_op 0
		.amdhsa_exception_fp_denorm_src 0
		.amdhsa_exception_fp_ieee_div_zero 0
		.amdhsa_exception_fp_ieee_overflow 0
		.amdhsa_exception_fp_ieee_underflow 0
		.amdhsa_exception_fp_ieee_inexact 0
		.amdhsa_exception_int_div_zero 0
	.end_amdhsa_kernel
	.section	.text._ZN7rocprim17ROCPRIM_400000_NS6detail17trampoline_kernelINS0_14default_configENS1_25partition_config_selectorILNS1_17partition_subalgoE1EyNS0_10empty_typeEbEEZZNS1_14partition_implILS5_1ELb0ES3_jN6thrust23THRUST_200600_302600_NS6detail15normal_iteratorINSA_10device_ptrIyEEEEPS6_NSA_18transform_iteratorI7is_evenIyESF_NSA_11use_defaultESK_EENS0_5tupleIJSF_SF_EEENSM_IJSG_SG_EEES6_PlJS6_EEE10hipError_tPvRmT3_T4_T5_T6_T7_T9_mT8_P12ihipStream_tbDpT10_ENKUlT_T0_E_clISt17integral_constantIbLb0EES18_IbLb1EEEEDaS14_S15_EUlS14_E_NS1_11comp_targetILNS1_3genE2ELNS1_11target_archE906ELNS1_3gpuE6ELNS1_3repE0EEENS1_30default_config_static_selectorELNS0_4arch9wavefront6targetE1EEEvT1_,"axG",@progbits,_ZN7rocprim17ROCPRIM_400000_NS6detail17trampoline_kernelINS0_14default_configENS1_25partition_config_selectorILNS1_17partition_subalgoE1EyNS0_10empty_typeEbEEZZNS1_14partition_implILS5_1ELb0ES3_jN6thrust23THRUST_200600_302600_NS6detail15normal_iteratorINSA_10device_ptrIyEEEEPS6_NSA_18transform_iteratorI7is_evenIyESF_NSA_11use_defaultESK_EENS0_5tupleIJSF_SF_EEENSM_IJSG_SG_EEES6_PlJS6_EEE10hipError_tPvRmT3_T4_T5_T6_T7_T9_mT8_P12ihipStream_tbDpT10_ENKUlT_T0_E_clISt17integral_constantIbLb0EES18_IbLb1EEEEDaS14_S15_EUlS14_E_NS1_11comp_targetILNS1_3genE2ELNS1_11target_archE906ELNS1_3gpuE6ELNS1_3repE0EEENS1_30default_config_static_selectorELNS0_4arch9wavefront6targetE1EEEvT1_,comdat
.Lfunc_end2231:
	.size	_ZN7rocprim17ROCPRIM_400000_NS6detail17trampoline_kernelINS0_14default_configENS1_25partition_config_selectorILNS1_17partition_subalgoE1EyNS0_10empty_typeEbEEZZNS1_14partition_implILS5_1ELb0ES3_jN6thrust23THRUST_200600_302600_NS6detail15normal_iteratorINSA_10device_ptrIyEEEEPS6_NSA_18transform_iteratorI7is_evenIyESF_NSA_11use_defaultESK_EENS0_5tupleIJSF_SF_EEENSM_IJSG_SG_EEES6_PlJS6_EEE10hipError_tPvRmT3_T4_T5_T6_T7_T9_mT8_P12ihipStream_tbDpT10_ENKUlT_T0_E_clISt17integral_constantIbLb0EES18_IbLb1EEEEDaS14_S15_EUlS14_E_NS1_11comp_targetILNS1_3genE2ELNS1_11target_archE906ELNS1_3gpuE6ELNS1_3repE0EEENS1_30default_config_static_selectorELNS0_4arch9wavefront6targetE1EEEvT1_, .Lfunc_end2231-_ZN7rocprim17ROCPRIM_400000_NS6detail17trampoline_kernelINS0_14default_configENS1_25partition_config_selectorILNS1_17partition_subalgoE1EyNS0_10empty_typeEbEEZZNS1_14partition_implILS5_1ELb0ES3_jN6thrust23THRUST_200600_302600_NS6detail15normal_iteratorINSA_10device_ptrIyEEEEPS6_NSA_18transform_iteratorI7is_evenIyESF_NSA_11use_defaultESK_EENS0_5tupleIJSF_SF_EEENSM_IJSG_SG_EEES6_PlJS6_EEE10hipError_tPvRmT3_T4_T5_T6_T7_T9_mT8_P12ihipStream_tbDpT10_ENKUlT_T0_E_clISt17integral_constantIbLb0EES18_IbLb1EEEEDaS14_S15_EUlS14_E_NS1_11comp_targetILNS1_3genE2ELNS1_11target_archE906ELNS1_3gpuE6ELNS1_3repE0EEENS1_30default_config_static_selectorELNS0_4arch9wavefront6targetE1EEEvT1_
                                        ; -- End function
	.section	.AMDGPU.csdata,"",@progbits
; Kernel info:
; codeLenInByte = 0
; NumSgprs: 4
; NumVgprs: 0
; NumAgprs: 0
; TotalNumVgprs: 0
; ScratchSize: 0
; MemoryBound: 0
; FloatMode: 240
; IeeeMode: 1
; LDSByteSize: 0 bytes/workgroup (compile time only)
; SGPRBlocks: 0
; VGPRBlocks: 0
; NumSGPRsForWavesPerEU: 4
; NumVGPRsForWavesPerEU: 1
; AccumOffset: 4
; Occupancy: 8
; WaveLimiterHint : 0
; COMPUTE_PGM_RSRC2:SCRATCH_EN: 0
; COMPUTE_PGM_RSRC2:USER_SGPR: 6
; COMPUTE_PGM_RSRC2:TRAP_HANDLER: 0
; COMPUTE_PGM_RSRC2:TGID_X_EN: 1
; COMPUTE_PGM_RSRC2:TGID_Y_EN: 0
; COMPUTE_PGM_RSRC2:TGID_Z_EN: 0
; COMPUTE_PGM_RSRC2:TIDIG_COMP_CNT: 0
; COMPUTE_PGM_RSRC3_GFX90A:ACCUM_OFFSET: 0
; COMPUTE_PGM_RSRC3_GFX90A:TG_SPLIT: 0
	.section	.text._ZN7rocprim17ROCPRIM_400000_NS6detail17trampoline_kernelINS0_14default_configENS1_25partition_config_selectorILNS1_17partition_subalgoE1EyNS0_10empty_typeEbEEZZNS1_14partition_implILS5_1ELb0ES3_jN6thrust23THRUST_200600_302600_NS6detail15normal_iteratorINSA_10device_ptrIyEEEEPS6_NSA_18transform_iteratorI7is_evenIyESF_NSA_11use_defaultESK_EENS0_5tupleIJSF_SF_EEENSM_IJSG_SG_EEES6_PlJS6_EEE10hipError_tPvRmT3_T4_T5_T6_T7_T9_mT8_P12ihipStream_tbDpT10_ENKUlT_T0_E_clISt17integral_constantIbLb0EES18_IbLb1EEEEDaS14_S15_EUlS14_E_NS1_11comp_targetILNS1_3genE10ELNS1_11target_archE1200ELNS1_3gpuE4ELNS1_3repE0EEENS1_30default_config_static_selectorELNS0_4arch9wavefront6targetE1EEEvT1_,"axG",@progbits,_ZN7rocprim17ROCPRIM_400000_NS6detail17trampoline_kernelINS0_14default_configENS1_25partition_config_selectorILNS1_17partition_subalgoE1EyNS0_10empty_typeEbEEZZNS1_14partition_implILS5_1ELb0ES3_jN6thrust23THRUST_200600_302600_NS6detail15normal_iteratorINSA_10device_ptrIyEEEEPS6_NSA_18transform_iteratorI7is_evenIyESF_NSA_11use_defaultESK_EENS0_5tupleIJSF_SF_EEENSM_IJSG_SG_EEES6_PlJS6_EEE10hipError_tPvRmT3_T4_T5_T6_T7_T9_mT8_P12ihipStream_tbDpT10_ENKUlT_T0_E_clISt17integral_constantIbLb0EES18_IbLb1EEEEDaS14_S15_EUlS14_E_NS1_11comp_targetILNS1_3genE10ELNS1_11target_archE1200ELNS1_3gpuE4ELNS1_3repE0EEENS1_30default_config_static_selectorELNS0_4arch9wavefront6targetE1EEEvT1_,comdat
	.protected	_ZN7rocprim17ROCPRIM_400000_NS6detail17trampoline_kernelINS0_14default_configENS1_25partition_config_selectorILNS1_17partition_subalgoE1EyNS0_10empty_typeEbEEZZNS1_14partition_implILS5_1ELb0ES3_jN6thrust23THRUST_200600_302600_NS6detail15normal_iteratorINSA_10device_ptrIyEEEEPS6_NSA_18transform_iteratorI7is_evenIyESF_NSA_11use_defaultESK_EENS0_5tupleIJSF_SF_EEENSM_IJSG_SG_EEES6_PlJS6_EEE10hipError_tPvRmT3_T4_T5_T6_T7_T9_mT8_P12ihipStream_tbDpT10_ENKUlT_T0_E_clISt17integral_constantIbLb0EES18_IbLb1EEEEDaS14_S15_EUlS14_E_NS1_11comp_targetILNS1_3genE10ELNS1_11target_archE1200ELNS1_3gpuE4ELNS1_3repE0EEENS1_30default_config_static_selectorELNS0_4arch9wavefront6targetE1EEEvT1_ ; -- Begin function _ZN7rocprim17ROCPRIM_400000_NS6detail17trampoline_kernelINS0_14default_configENS1_25partition_config_selectorILNS1_17partition_subalgoE1EyNS0_10empty_typeEbEEZZNS1_14partition_implILS5_1ELb0ES3_jN6thrust23THRUST_200600_302600_NS6detail15normal_iteratorINSA_10device_ptrIyEEEEPS6_NSA_18transform_iteratorI7is_evenIyESF_NSA_11use_defaultESK_EENS0_5tupleIJSF_SF_EEENSM_IJSG_SG_EEES6_PlJS6_EEE10hipError_tPvRmT3_T4_T5_T6_T7_T9_mT8_P12ihipStream_tbDpT10_ENKUlT_T0_E_clISt17integral_constantIbLb0EES18_IbLb1EEEEDaS14_S15_EUlS14_E_NS1_11comp_targetILNS1_3genE10ELNS1_11target_archE1200ELNS1_3gpuE4ELNS1_3repE0EEENS1_30default_config_static_selectorELNS0_4arch9wavefront6targetE1EEEvT1_
	.globl	_ZN7rocprim17ROCPRIM_400000_NS6detail17trampoline_kernelINS0_14default_configENS1_25partition_config_selectorILNS1_17partition_subalgoE1EyNS0_10empty_typeEbEEZZNS1_14partition_implILS5_1ELb0ES3_jN6thrust23THRUST_200600_302600_NS6detail15normal_iteratorINSA_10device_ptrIyEEEEPS6_NSA_18transform_iteratorI7is_evenIyESF_NSA_11use_defaultESK_EENS0_5tupleIJSF_SF_EEENSM_IJSG_SG_EEES6_PlJS6_EEE10hipError_tPvRmT3_T4_T5_T6_T7_T9_mT8_P12ihipStream_tbDpT10_ENKUlT_T0_E_clISt17integral_constantIbLb0EES18_IbLb1EEEEDaS14_S15_EUlS14_E_NS1_11comp_targetILNS1_3genE10ELNS1_11target_archE1200ELNS1_3gpuE4ELNS1_3repE0EEENS1_30default_config_static_selectorELNS0_4arch9wavefront6targetE1EEEvT1_
	.p2align	8
	.type	_ZN7rocprim17ROCPRIM_400000_NS6detail17trampoline_kernelINS0_14default_configENS1_25partition_config_selectorILNS1_17partition_subalgoE1EyNS0_10empty_typeEbEEZZNS1_14partition_implILS5_1ELb0ES3_jN6thrust23THRUST_200600_302600_NS6detail15normal_iteratorINSA_10device_ptrIyEEEEPS6_NSA_18transform_iteratorI7is_evenIyESF_NSA_11use_defaultESK_EENS0_5tupleIJSF_SF_EEENSM_IJSG_SG_EEES6_PlJS6_EEE10hipError_tPvRmT3_T4_T5_T6_T7_T9_mT8_P12ihipStream_tbDpT10_ENKUlT_T0_E_clISt17integral_constantIbLb0EES18_IbLb1EEEEDaS14_S15_EUlS14_E_NS1_11comp_targetILNS1_3genE10ELNS1_11target_archE1200ELNS1_3gpuE4ELNS1_3repE0EEENS1_30default_config_static_selectorELNS0_4arch9wavefront6targetE1EEEvT1_,@function
_ZN7rocprim17ROCPRIM_400000_NS6detail17trampoline_kernelINS0_14default_configENS1_25partition_config_selectorILNS1_17partition_subalgoE1EyNS0_10empty_typeEbEEZZNS1_14partition_implILS5_1ELb0ES3_jN6thrust23THRUST_200600_302600_NS6detail15normal_iteratorINSA_10device_ptrIyEEEEPS6_NSA_18transform_iteratorI7is_evenIyESF_NSA_11use_defaultESK_EENS0_5tupleIJSF_SF_EEENSM_IJSG_SG_EEES6_PlJS6_EEE10hipError_tPvRmT3_T4_T5_T6_T7_T9_mT8_P12ihipStream_tbDpT10_ENKUlT_T0_E_clISt17integral_constantIbLb0EES18_IbLb1EEEEDaS14_S15_EUlS14_E_NS1_11comp_targetILNS1_3genE10ELNS1_11target_archE1200ELNS1_3gpuE4ELNS1_3repE0EEENS1_30default_config_static_selectorELNS0_4arch9wavefront6targetE1EEEvT1_: ; @_ZN7rocprim17ROCPRIM_400000_NS6detail17trampoline_kernelINS0_14default_configENS1_25partition_config_selectorILNS1_17partition_subalgoE1EyNS0_10empty_typeEbEEZZNS1_14partition_implILS5_1ELb0ES3_jN6thrust23THRUST_200600_302600_NS6detail15normal_iteratorINSA_10device_ptrIyEEEEPS6_NSA_18transform_iteratorI7is_evenIyESF_NSA_11use_defaultESK_EENS0_5tupleIJSF_SF_EEENSM_IJSG_SG_EEES6_PlJS6_EEE10hipError_tPvRmT3_T4_T5_T6_T7_T9_mT8_P12ihipStream_tbDpT10_ENKUlT_T0_E_clISt17integral_constantIbLb0EES18_IbLb1EEEEDaS14_S15_EUlS14_E_NS1_11comp_targetILNS1_3genE10ELNS1_11target_archE1200ELNS1_3gpuE4ELNS1_3repE0EEENS1_30default_config_static_selectorELNS0_4arch9wavefront6targetE1EEEvT1_
; %bb.0:
	.section	.rodata,"a",@progbits
	.p2align	6, 0x0
	.amdhsa_kernel _ZN7rocprim17ROCPRIM_400000_NS6detail17trampoline_kernelINS0_14default_configENS1_25partition_config_selectorILNS1_17partition_subalgoE1EyNS0_10empty_typeEbEEZZNS1_14partition_implILS5_1ELb0ES3_jN6thrust23THRUST_200600_302600_NS6detail15normal_iteratorINSA_10device_ptrIyEEEEPS6_NSA_18transform_iteratorI7is_evenIyESF_NSA_11use_defaultESK_EENS0_5tupleIJSF_SF_EEENSM_IJSG_SG_EEES6_PlJS6_EEE10hipError_tPvRmT3_T4_T5_T6_T7_T9_mT8_P12ihipStream_tbDpT10_ENKUlT_T0_E_clISt17integral_constantIbLb0EES18_IbLb1EEEEDaS14_S15_EUlS14_E_NS1_11comp_targetILNS1_3genE10ELNS1_11target_archE1200ELNS1_3gpuE4ELNS1_3repE0EEENS1_30default_config_static_selectorELNS0_4arch9wavefront6targetE1EEEvT1_
		.amdhsa_group_segment_fixed_size 0
		.amdhsa_private_segment_fixed_size 0
		.amdhsa_kernarg_size 144
		.amdhsa_user_sgpr_count 6
		.amdhsa_user_sgpr_private_segment_buffer 1
		.amdhsa_user_sgpr_dispatch_ptr 0
		.amdhsa_user_sgpr_queue_ptr 0
		.amdhsa_user_sgpr_kernarg_segment_ptr 1
		.amdhsa_user_sgpr_dispatch_id 0
		.amdhsa_user_sgpr_flat_scratch_init 0
		.amdhsa_user_sgpr_kernarg_preload_length 0
		.amdhsa_user_sgpr_kernarg_preload_offset 0
		.amdhsa_user_sgpr_private_segment_size 0
		.amdhsa_uses_dynamic_stack 0
		.amdhsa_system_sgpr_private_segment_wavefront_offset 0
		.amdhsa_system_sgpr_workgroup_id_x 1
		.amdhsa_system_sgpr_workgroup_id_y 0
		.amdhsa_system_sgpr_workgroup_id_z 0
		.amdhsa_system_sgpr_workgroup_info 0
		.amdhsa_system_vgpr_workitem_id 0
		.amdhsa_next_free_vgpr 1
		.amdhsa_next_free_sgpr 0
		.amdhsa_accum_offset 4
		.amdhsa_reserve_vcc 0
		.amdhsa_reserve_flat_scratch 0
		.amdhsa_float_round_mode_32 0
		.amdhsa_float_round_mode_16_64 0
		.amdhsa_float_denorm_mode_32 3
		.amdhsa_float_denorm_mode_16_64 3
		.amdhsa_dx10_clamp 1
		.amdhsa_ieee_mode 1
		.amdhsa_fp16_overflow 0
		.amdhsa_tg_split 0
		.amdhsa_exception_fp_ieee_invalid_op 0
		.amdhsa_exception_fp_denorm_src 0
		.amdhsa_exception_fp_ieee_div_zero 0
		.amdhsa_exception_fp_ieee_overflow 0
		.amdhsa_exception_fp_ieee_underflow 0
		.amdhsa_exception_fp_ieee_inexact 0
		.amdhsa_exception_int_div_zero 0
	.end_amdhsa_kernel
	.section	.text._ZN7rocprim17ROCPRIM_400000_NS6detail17trampoline_kernelINS0_14default_configENS1_25partition_config_selectorILNS1_17partition_subalgoE1EyNS0_10empty_typeEbEEZZNS1_14partition_implILS5_1ELb0ES3_jN6thrust23THRUST_200600_302600_NS6detail15normal_iteratorINSA_10device_ptrIyEEEEPS6_NSA_18transform_iteratorI7is_evenIyESF_NSA_11use_defaultESK_EENS0_5tupleIJSF_SF_EEENSM_IJSG_SG_EEES6_PlJS6_EEE10hipError_tPvRmT3_T4_T5_T6_T7_T9_mT8_P12ihipStream_tbDpT10_ENKUlT_T0_E_clISt17integral_constantIbLb0EES18_IbLb1EEEEDaS14_S15_EUlS14_E_NS1_11comp_targetILNS1_3genE10ELNS1_11target_archE1200ELNS1_3gpuE4ELNS1_3repE0EEENS1_30default_config_static_selectorELNS0_4arch9wavefront6targetE1EEEvT1_,"axG",@progbits,_ZN7rocprim17ROCPRIM_400000_NS6detail17trampoline_kernelINS0_14default_configENS1_25partition_config_selectorILNS1_17partition_subalgoE1EyNS0_10empty_typeEbEEZZNS1_14partition_implILS5_1ELb0ES3_jN6thrust23THRUST_200600_302600_NS6detail15normal_iteratorINSA_10device_ptrIyEEEEPS6_NSA_18transform_iteratorI7is_evenIyESF_NSA_11use_defaultESK_EENS0_5tupleIJSF_SF_EEENSM_IJSG_SG_EEES6_PlJS6_EEE10hipError_tPvRmT3_T4_T5_T6_T7_T9_mT8_P12ihipStream_tbDpT10_ENKUlT_T0_E_clISt17integral_constantIbLb0EES18_IbLb1EEEEDaS14_S15_EUlS14_E_NS1_11comp_targetILNS1_3genE10ELNS1_11target_archE1200ELNS1_3gpuE4ELNS1_3repE0EEENS1_30default_config_static_selectorELNS0_4arch9wavefront6targetE1EEEvT1_,comdat
.Lfunc_end2232:
	.size	_ZN7rocprim17ROCPRIM_400000_NS6detail17trampoline_kernelINS0_14default_configENS1_25partition_config_selectorILNS1_17partition_subalgoE1EyNS0_10empty_typeEbEEZZNS1_14partition_implILS5_1ELb0ES3_jN6thrust23THRUST_200600_302600_NS6detail15normal_iteratorINSA_10device_ptrIyEEEEPS6_NSA_18transform_iteratorI7is_evenIyESF_NSA_11use_defaultESK_EENS0_5tupleIJSF_SF_EEENSM_IJSG_SG_EEES6_PlJS6_EEE10hipError_tPvRmT3_T4_T5_T6_T7_T9_mT8_P12ihipStream_tbDpT10_ENKUlT_T0_E_clISt17integral_constantIbLb0EES18_IbLb1EEEEDaS14_S15_EUlS14_E_NS1_11comp_targetILNS1_3genE10ELNS1_11target_archE1200ELNS1_3gpuE4ELNS1_3repE0EEENS1_30default_config_static_selectorELNS0_4arch9wavefront6targetE1EEEvT1_, .Lfunc_end2232-_ZN7rocprim17ROCPRIM_400000_NS6detail17trampoline_kernelINS0_14default_configENS1_25partition_config_selectorILNS1_17partition_subalgoE1EyNS0_10empty_typeEbEEZZNS1_14partition_implILS5_1ELb0ES3_jN6thrust23THRUST_200600_302600_NS6detail15normal_iteratorINSA_10device_ptrIyEEEEPS6_NSA_18transform_iteratorI7is_evenIyESF_NSA_11use_defaultESK_EENS0_5tupleIJSF_SF_EEENSM_IJSG_SG_EEES6_PlJS6_EEE10hipError_tPvRmT3_T4_T5_T6_T7_T9_mT8_P12ihipStream_tbDpT10_ENKUlT_T0_E_clISt17integral_constantIbLb0EES18_IbLb1EEEEDaS14_S15_EUlS14_E_NS1_11comp_targetILNS1_3genE10ELNS1_11target_archE1200ELNS1_3gpuE4ELNS1_3repE0EEENS1_30default_config_static_selectorELNS0_4arch9wavefront6targetE1EEEvT1_
                                        ; -- End function
	.section	.AMDGPU.csdata,"",@progbits
; Kernel info:
; codeLenInByte = 0
; NumSgprs: 4
; NumVgprs: 0
; NumAgprs: 0
; TotalNumVgprs: 0
; ScratchSize: 0
; MemoryBound: 0
; FloatMode: 240
; IeeeMode: 1
; LDSByteSize: 0 bytes/workgroup (compile time only)
; SGPRBlocks: 0
; VGPRBlocks: 0
; NumSGPRsForWavesPerEU: 4
; NumVGPRsForWavesPerEU: 1
; AccumOffset: 4
; Occupancy: 8
; WaveLimiterHint : 0
; COMPUTE_PGM_RSRC2:SCRATCH_EN: 0
; COMPUTE_PGM_RSRC2:USER_SGPR: 6
; COMPUTE_PGM_RSRC2:TRAP_HANDLER: 0
; COMPUTE_PGM_RSRC2:TGID_X_EN: 1
; COMPUTE_PGM_RSRC2:TGID_Y_EN: 0
; COMPUTE_PGM_RSRC2:TGID_Z_EN: 0
; COMPUTE_PGM_RSRC2:TIDIG_COMP_CNT: 0
; COMPUTE_PGM_RSRC3_GFX90A:ACCUM_OFFSET: 0
; COMPUTE_PGM_RSRC3_GFX90A:TG_SPLIT: 0
	.section	.text._ZN7rocprim17ROCPRIM_400000_NS6detail17trampoline_kernelINS0_14default_configENS1_25partition_config_selectorILNS1_17partition_subalgoE1EyNS0_10empty_typeEbEEZZNS1_14partition_implILS5_1ELb0ES3_jN6thrust23THRUST_200600_302600_NS6detail15normal_iteratorINSA_10device_ptrIyEEEEPS6_NSA_18transform_iteratorI7is_evenIyESF_NSA_11use_defaultESK_EENS0_5tupleIJSF_SF_EEENSM_IJSG_SG_EEES6_PlJS6_EEE10hipError_tPvRmT3_T4_T5_T6_T7_T9_mT8_P12ihipStream_tbDpT10_ENKUlT_T0_E_clISt17integral_constantIbLb0EES18_IbLb1EEEEDaS14_S15_EUlS14_E_NS1_11comp_targetILNS1_3genE9ELNS1_11target_archE1100ELNS1_3gpuE3ELNS1_3repE0EEENS1_30default_config_static_selectorELNS0_4arch9wavefront6targetE1EEEvT1_,"axG",@progbits,_ZN7rocprim17ROCPRIM_400000_NS6detail17trampoline_kernelINS0_14default_configENS1_25partition_config_selectorILNS1_17partition_subalgoE1EyNS0_10empty_typeEbEEZZNS1_14partition_implILS5_1ELb0ES3_jN6thrust23THRUST_200600_302600_NS6detail15normal_iteratorINSA_10device_ptrIyEEEEPS6_NSA_18transform_iteratorI7is_evenIyESF_NSA_11use_defaultESK_EENS0_5tupleIJSF_SF_EEENSM_IJSG_SG_EEES6_PlJS6_EEE10hipError_tPvRmT3_T4_T5_T6_T7_T9_mT8_P12ihipStream_tbDpT10_ENKUlT_T0_E_clISt17integral_constantIbLb0EES18_IbLb1EEEEDaS14_S15_EUlS14_E_NS1_11comp_targetILNS1_3genE9ELNS1_11target_archE1100ELNS1_3gpuE3ELNS1_3repE0EEENS1_30default_config_static_selectorELNS0_4arch9wavefront6targetE1EEEvT1_,comdat
	.protected	_ZN7rocprim17ROCPRIM_400000_NS6detail17trampoline_kernelINS0_14default_configENS1_25partition_config_selectorILNS1_17partition_subalgoE1EyNS0_10empty_typeEbEEZZNS1_14partition_implILS5_1ELb0ES3_jN6thrust23THRUST_200600_302600_NS6detail15normal_iteratorINSA_10device_ptrIyEEEEPS6_NSA_18transform_iteratorI7is_evenIyESF_NSA_11use_defaultESK_EENS0_5tupleIJSF_SF_EEENSM_IJSG_SG_EEES6_PlJS6_EEE10hipError_tPvRmT3_T4_T5_T6_T7_T9_mT8_P12ihipStream_tbDpT10_ENKUlT_T0_E_clISt17integral_constantIbLb0EES18_IbLb1EEEEDaS14_S15_EUlS14_E_NS1_11comp_targetILNS1_3genE9ELNS1_11target_archE1100ELNS1_3gpuE3ELNS1_3repE0EEENS1_30default_config_static_selectorELNS0_4arch9wavefront6targetE1EEEvT1_ ; -- Begin function _ZN7rocprim17ROCPRIM_400000_NS6detail17trampoline_kernelINS0_14default_configENS1_25partition_config_selectorILNS1_17partition_subalgoE1EyNS0_10empty_typeEbEEZZNS1_14partition_implILS5_1ELb0ES3_jN6thrust23THRUST_200600_302600_NS6detail15normal_iteratorINSA_10device_ptrIyEEEEPS6_NSA_18transform_iteratorI7is_evenIyESF_NSA_11use_defaultESK_EENS0_5tupleIJSF_SF_EEENSM_IJSG_SG_EEES6_PlJS6_EEE10hipError_tPvRmT3_T4_T5_T6_T7_T9_mT8_P12ihipStream_tbDpT10_ENKUlT_T0_E_clISt17integral_constantIbLb0EES18_IbLb1EEEEDaS14_S15_EUlS14_E_NS1_11comp_targetILNS1_3genE9ELNS1_11target_archE1100ELNS1_3gpuE3ELNS1_3repE0EEENS1_30default_config_static_selectorELNS0_4arch9wavefront6targetE1EEEvT1_
	.globl	_ZN7rocprim17ROCPRIM_400000_NS6detail17trampoline_kernelINS0_14default_configENS1_25partition_config_selectorILNS1_17partition_subalgoE1EyNS0_10empty_typeEbEEZZNS1_14partition_implILS5_1ELb0ES3_jN6thrust23THRUST_200600_302600_NS6detail15normal_iteratorINSA_10device_ptrIyEEEEPS6_NSA_18transform_iteratorI7is_evenIyESF_NSA_11use_defaultESK_EENS0_5tupleIJSF_SF_EEENSM_IJSG_SG_EEES6_PlJS6_EEE10hipError_tPvRmT3_T4_T5_T6_T7_T9_mT8_P12ihipStream_tbDpT10_ENKUlT_T0_E_clISt17integral_constantIbLb0EES18_IbLb1EEEEDaS14_S15_EUlS14_E_NS1_11comp_targetILNS1_3genE9ELNS1_11target_archE1100ELNS1_3gpuE3ELNS1_3repE0EEENS1_30default_config_static_selectorELNS0_4arch9wavefront6targetE1EEEvT1_
	.p2align	8
	.type	_ZN7rocprim17ROCPRIM_400000_NS6detail17trampoline_kernelINS0_14default_configENS1_25partition_config_selectorILNS1_17partition_subalgoE1EyNS0_10empty_typeEbEEZZNS1_14partition_implILS5_1ELb0ES3_jN6thrust23THRUST_200600_302600_NS6detail15normal_iteratorINSA_10device_ptrIyEEEEPS6_NSA_18transform_iteratorI7is_evenIyESF_NSA_11use_defaultESK_EENS0_5tupleIJSF_SF_EEENSM_IJSG_SG_EEES6_PlJS6_EEE10hipError_tPvRmT3_T4_T5_T6_T7_T9_mT8_P12ihipStream_tbDpT10_ENKUlT_T0_E_clISt17integral_constantIbLb0EES18_IbLb1EEEEDaS14_S15_EUlS14_E_NS1_11comp_targetILNS1_3genE9ELNS1_11target_archE1100ELNS1_3gpuE3ELNS1_3repE0EEENS1_30default_config_static_selectorELNS0_4arch9wavefront6targetE1EEEvT1_,@function
_ZN7rocprim17ROCPRIM_400000_NS6detail17trampoline_kernelINS0_14default_configENS1_25partition_config_selectorILNS1_17partition_subalgoE1EyNS0_10empty_typeEbEEZZNS1_14partition_implILS5_1ELb0ES3_jN6thrust23THRUST_200600_302600_NS6detail15normal_iteratorINSA_10device_ptrIyEEEEPS6_NSA_18transform_iteratorI7is_evenIyESF_NSA_11use_defaultESK_EENS0_5tupleIJSF_SF_EEENSM_IJSG_SG_EEES6_PlJS6_EEE10hipError_tPvRmT3_T4_T5_T6_T7_T9_mT8_P12ihipStream_tbDpT10_ENKUlT_T0_E_clISt17integral_constantIbLb0EES18_IbLb1EEEEDaS14_S15_EUlS14_E_NS1_11comp_targetILNS1_3genE9ELNS1_11target_archE1100ELNS1_3gpuE3ELNS1_3repE0EEENS1_30default_config_static_selectorELNS0_4arch9wavefront6targetE1EEEvT1_: ; @_ZN7rocprim17ROCPRIM_400000_NS6detail17trampoline_kernelINS0_14default_configENS1_25partition_config_selectorILNS1_17partition_subalgoE1EyNS0_10empty_typeEbEEZZNS1_14partition_implILS5_1ELb0ES3_jN6thrust23THRUST_200600_302600_NS6detail15normal_iteratorINSA_10device_ptrIyEEEEPS6_NSA_18transform_iteratorI7is_evenIyESF_NSA_11use_defaultESK_EENS0_5tupleIJSF_SF_EEENSM_IJSG_SG_EEES6_PlJS6_EEE10hipError_tPvRmT3_T4_T5_T6_T7_T9_mT8_P12ihipStream_tbDpT10_ENKUlT_T0_E_clISt17integral_constantIbLb0EES18_IbLb1EEEEDaS14_S15_EUlS14_E_NS1_11comp_targetILNS1_3genE9ELNS1_11target_archE1100ELNS1_3gpuE3ELNS1_3repE0EEENS1_30default_config_static_selectorELNS0_4arch9wavefront6targetE1EEEvT1_
; %bb.0:
	.section	.rodata,"a",@progbits
	.p2align	6, 0x0
	.amdhsa_kernel _ZN7rocprim17ROCPRIM_400000_NS6detail17trampoline_kernelINS0_14default_configENS1_25partition_config_selectorILNS1_17partition_subalgoE1EyNS0_10empty_typeEbEEZZNS1_14partition_implILS5_1ELb0ES3_jN6thrust23THRUST_200600_302600_NS6detail15normal_iteratorINSA_10device_ptrIyEEEEPS6_NSA_18transform_iteratorI7is_evenIyESF_NSA_11use_defaultESK_EENS0_5tupleIJSF_SF_EEENSM_IJSG_SG_EEES6_PlJS6_EEE10hipError_tPvRmT3_T4_T5_T6_T7_T9_mT8_P12ihipStream_tbDpT10_ENKUlT_T0_E_clISt17integral_constantIbLb0EES18_IbLb1EEEEDaS14_S15_EUlS14_E_NS1_11comp_targetILNS1_3genE9ELNS1_11target_archE1100ELNS1_3gpuE3ELNS1_3repE0EEENS1_30default_config_static_selectorELNS0_4arch9wavefront6targetE1EEEvT1_
		.amdhsa_group_segment_fixed_size 0
		.amdhsa_private_segment_fixed_size 0
		.amdhsa_kernarg_size 144
		.amdhsa_user_sgpr_count 6
		.amdhsa_user_sgpr_private_segment_buffer 1
		.amdhsa_user_sgpr_dispatch_ptr 0
		.amdhsa_user_sgpr_queue_ptr 0
		.amdhsa_user_sgpr_kernarg_segment_ptr 1
		.amdhsa_user_sgpr_dispatch_id 0
		.amdhsa_user_sgpr_flat_scratch_init 0
		.amdhsa_user_sgpr_kernarg_preload_length 0
		.amdhsa_user_sgpr_kernarg_preload_offset 0
		.amdhsa_user_sgpr_private_segment_size 0
		.amdhsa_uses_dynamic_stack 0
		.amdhsa_system_sgpr_private_segment_wavefront_offset 0
		.amdhsa_system_sgpr_workgroup_id_x 1
		.amdhsa_system_sgpr_workgroup_id_y 0
		.amdhsa_system_sgpr_workgroup_id_z 0
		.amdhsa_system_sgpr_workgroup_info 0
		.amdhsa_system_vgpr_workitem_id 0
		.amdhsa_next_free_vgpr 1
		.amdhsa_next_free_sgpr 0
		.amdhsa_accum_offset 4
		.amdhsa_reserve_vcc 0
		.amdhsa_reserve_flat_scratch 0
		.amdhsa_float_round_mode_32 0
		.amdhsa_float_round_mode_16_64 0
		.amdhsa_float_denorm_mode_32 3
		.amdhsa_float_denorm_mode_16_64 3
		.amdhsa_dx10_clamp 1
		.amdhsa_ieee_mode 1
		.amdhsa_fp16_overflow 0
		.amdhsa_tg_split 0
		.amdhsa_exception_fp_ieee_invalid_op 0
		.amdhsa_exception_fp_denorm_src 0
		.amdhsa_exception_fp_ieee_div_zero 0
		.amdhsa_exception_fp_ieee_overflow 0
		.amdhsa_exception_fp_ieee_underflow 0
		.amdhsa_exception_fp_ieee_inexact 0
		.amdhsa_exception_int_div_zero 0
	.end_amdhsa_kernel
	.section	.text._ZN7rocprim17ROCPRIM_400000_NS6detail17trampoline_kernelINS0_14default_configENS1_25partition_config_selectorILNS1_17partition_subalgoE1EyNS0_10empty_typeEbEEZZNS1_14partition_implILS5_1ELb0ES3_jN6thrust23THRUST_200600_302600_NS6detail15normal_iteratorINSA_10device_ptrIyEEEEPS6_NSA_18transform_iteratorI7is_evenIyESF_NSA_11use_defaultESK_EENS0_5tupleIJSF_SF_EEENSM_IJSG_SG_EEES6_PlJS6_EEE10hipError_tPvRmT3_T4_T5_T6_T7_T9_mT8_P12ihipStream_tbDpT10_ENKUlT_T0_E_clISt17integral_constantIbLb0EES18_IbLb1EEEEDaS14_S15_EUlS14_E_NS1_11comp_targetILNS1_3genE9ELNS1_11target_archE1100ELNS1_3gpuE3ELNS1_3repE0EEENS1_30default_config_static_selectorELNS0_4arch9wavefront6targetE1EEEvT1_,"axG",@progbits,_ZN7rocprim17ROCPRIM_400000_NS6detail17trampoline_kernelINS0_14default_configENS1_25partition_config_selectorILNS1_17partition_subalgoE1EyNS0_10empty_typeEbEEZZNS1_14partition_implILS5_1ELb0ES3_jN6thrust23THRUST_200600_302600_NS6detail15normal_iteratorINSA_10device_ptrIyEEEEPS6_NSA_18transform_iteratorI7is_evenIyESF_NSA_11use_defaultESK_EENS0_5tupleIJSF_SF_EEENSM_IJSG_SG_EEES6_PlJS6_EEE10hipError_tPvRmT3_T4_T5_T6_T7_T9_mT8_P12ihipStream_tbDpT10_ENKUlT_T0_E_clISt17integral_constantIbLb0EES18_IbLb1EEEEDaS14_S15_EUlS14_E_NS1_11comp_targetILNS1_3genE9ELNS1_11target_archE1100ELNS1_3gpuE3ELNS1_3repE0EEENS1_30default_config_static_selectorELNS0_4arch9wavefront6targetE1EEEvT1_,comdat
.Lfunc_end2233:
	.size	_ZN7rocprim17ROCPRIM_400000_NS6detail17trampoline_kernelINS0_14default_configENS1_25partition_config_selectorILNS1_17partition_subalgoE1EyNS0_10empty_typeEbEEZZNS1_14partition_implILS5_1ELb0ES3_jN6thrust23THRUST_200600_302600_NS6detail15normal_iteratorINSA_10device_ptrIyEEEEPS6_NSA_18transform_iteratorI7is_evenIyESF_NSA_11use_defaultESK_EENS0_5tupleIJSF_SF_EEENSM_IJSG_SG_EEES6_PlJS6_EEE10hipError_tPvRmT3_T4_T5_T6_T7_T9_mT8_P12ihipStream_tbDpT10_ENKUlT_T0_E_clISt17integral_constantIbLb0EES18_IbLb1EEEEDaS14_S15_EUlS14_E_NS1_11comp_targetILNS1_3genE9ELNS1_11target_archE1100ELNS1_3gpuE3ELNS1_3repE0EEENS1_30default_config_static_selectorELNS0_4arch9wavefront6targetE1EEEvT1_, .Lfunc_end2233-_ZN7rocprim17ROCPRIM_400000_NS6detail17trampoline_kernelINS0_14default_configENS1_25partition_config_selectorILNS1_17partition_subalgoE1EyNS0_10empty_typeEbEEZZNS1_14partition_implILS5_1ELb0ES3_jN6thrust23THRUST_200600_302600_NS6detail15normal_iteratorINSA_10device_ptrIyEEEEPS6_NSA_18transform_iteratorI7is_evenIyESF_NSA_11use_defaultESK_EENS0_5tupleIJSF_SF_EEENSM_IJSG_SG_EEES6_PlJS6_EEE10hipError_tPvRmT3_T4_T5_T6_T7_T9_mT8_P12ihipStream_tbDpT10_ENKUlT_T0_E_clISt17integral_constantIbLb0EES18_IbLb1EEEEDaS14_S15_EUlS14_E_NS1_11comp_targetILNS1_3genE9ELNS1_11target_archE1100ELNS1_3gpuE3ELNS1_3repE0EEENS1_30default_config_static_selectorELNS0_4arch9wavefront6targetE1EEEvT1_
                                        ; -- End function
	.section	.AMDGPU.csdata,"",@progbits
; Kernel info:
; codeLenInByte = 0
; NumSgprs: 4
; NumVgprs: 0
; NumAgprs: 0
; TotalNumVgprs: 0
; ScratchSize: 0
; MemoryBound: 0
; FloatMode: 240
; IeeeMode: 1
; LDSByteSize: 0 bytes/workgroup (compile time only)
; SGPRBlocks: 0
; VGPRBlocks: 0
; NumSGPRsForWavesPerEU: 4
; NumVGPRsForWavesPerEU: 1
; AccumOffset: 4
; Occupancy: 8
; WaveLimiterHint : 0
; COMPUTE_PGM_RSRC2:SCRATCH_EN: 0
; COMPUTE_PGM_RSRC2:USER_SGPR: 6
; COMPUTE_PGM_RSRC2:TRAP_HANDLER: 0
; COMPUTE_PGM_RSRC2:TGID_X_EN: 1
; COMPUTE_PGM_RSRC2:TGID_Y_EN: 0
; COMPUTE_PGM_RSRC2:TGID_Z_EN: 0
; COMPUTE_PGM_RSRC2:TIDIG_COMP_CNT: 0
; COMPUTE_PGM_RSRC3_GFX90A:ACCUM_OFFSET: 0
; COMPUTE_PGM_RSRC3_GFX90A:TG_SPLIT: 0
	.section	.text._ZN7rocprim17ROCPRIM_400000_NS6detail17trampoline_kernelINS0_14default_configENS1_25partition_config_selectorILNS1_17partition_subalgoE1EyNS0_10empty_typeEbEEZZNS1_14partition_implILS5_1ELb0ES3_jN6thrust23THRUST_200600_302600_NS6detail15normal_iteratorINSA_10device_ptrIyEEEEPS6_NSA_18transform_iteratorI7is_evenIyESF_NSA_11use_defaultESK_EENS0_5tupleIJSF_SF_EEENSM_IJSG_SG_EEES6_PlJS6_EEE10hipError_tPvRmT3_T4_T5_T6_T7_T9_mT8_P12ihipStream_tbDpT10_ENKUlT_T0_E_clISt17integral_constantIbLb0EES18_IbLb1EEEEDaS14_S15_EUlS14_E_NS1_11comp_targetILNS1_3genE8ELNS1_11target_archE1030ELNS1_3gpuE2ELNS1_3repE0EEENS1_30default_config_static_selectorELNS0_4arch9wavefront6targetE1EEEvT1_,"axG",@progbits,_ZN7rocprim17ROCPRIM_400000_NS6detail17trampoline_kernelINS0_14default_configENS1_25partition_config_selectorILNS1_17partition_subalgoE1EyNS0_10empty_typeEbEEZZNS1_14partition_implILS5_1ELb0ES3_jN6thrust23THRUST_200600_302600_NS6detail15normal_iteratorINSA_10device_ptrIyEEEEPS6_NSA_18transform_iteratorI7is_evenIyESF_NSA_11use_defaultESK_EENS0_5tupleIJSF_SF_EEENSM_IJSG_SG_EEES6_PlJS6_EEE10hipError_tPvRmT3_T4_T5_T6_T7_T9_mT8_P12ihipStream_tbDpT10_ENKUlT_T0_E_clISt17integral_constantIbLb0EES18_IbLb1EEEEDaS14_S15_EUlS14_E_NS1_11comp_targetILNS1_3genE8ELNS1_11target_archE1030ELNS1_3gpuE2ELNS1_3repE0EEENS1_30default_config_static_selectorELNS0_4arch9wavefront6targetE1EEEvT1_,comdat
	.protected	_ZN7rocprim17ROCPRIM_400000_NS6detail17trampoline_kernelINS0_14default_configENS1_25partition_config_selectorILNS1_17partition_subalgoE1EyNS0_10empty_typeEbEEZZNS1_14partition_implILS5_1ELb0ES3_jN6thrust23THRUST_200600_302600_NS6detail15normal_iteratorINSA_10device_ptrIyEEEEPS6_NSA_18transform_iteratorI7is_evenIyESF_NSA_11use_defaultESK_EENS0_5tupleIJSF_SF_EEENSM_IJSG_SG_EEES6_PlJS6_EEE10hipError_tPvRmT3_T4_T5_T6_T7_T9_mT8_P12ihipStream_tbDpT10_ENKUlT_T0_E_clISt17integral_constantIbLb0EES18_IbLb1EEEEDaS14_S15_EUlS14_E_NS1_11comp_targetILNS1_3genE8ELNS1_11target_archE1030ELNS1_3gpuE2ELNS1_3repE0EEENS1_30default_config_static_selectorELNS0_4arch9wavefront6targetE1EEEvT1_ ; -- Begin function _ZN7rocprim17ROCPRIM_400000_NS6detail17trampoline_kernelINS0_14default_configENS1_25partition_config_selectorILNS1_17partition_subalgoE1EyNS0_10empty_typeEbEEZZNS1_14partition_implILS5_1ELb0ES3_jN6thrust23THRUST_200600_302600_NS6detail15normal_iteratorINSA_10device_ptrIyEEEEPS6_NSA_18transform_iteratorI7is_evenIyESF_NSA_11use_defaultESK_EENS0_5tupleIJSF_SF_EEENSM_IJSG_SG_EEES6_PlJS6_EEE10hipError_tPvRmT3_T4_T5_T6_T7_T9_mT8_P12ihipStream_tbDpT10_ENKUlT_T0_E_clISt17integral_constantIbLb0EES18_IbLb1EEEEDaS14_S15_EUlS14_E_NS1_11comp_targetILNS1_3genE8ELNS1_11target_archE1030ELNS1_3gpuE2ELNS1_3repE0EEENS1_30default_config_static_selectorELNS0_4arch9wavefront6targetE1EEEvT1_
	.globl	_ZN7rocprim17ROCPRIM_400000_NS6detail17trampoline_kernelINS0_14default_configENS1_25partition_config_selectorILNS1_17partition_subalgoE1EyNS0_10empty_typeEbEEZZNS1_14partition_implILS5_1ELb0ES3_jN6thrust23THRUST_200600_302600_NS6detail15normal_iteratorINSA_10device_ptrIyEEEEPS6_NSA_18transform_iteratorI7is_evenIyESF_NSA_11use_defaultESK_EENS0_5tupleIJSF_SF_EEENSM_IJSG_SG_EEES6_PlJS6_EEE10hipError_tPvRmT3_T4_T5_T6_T7_T9_mT8_P12ihipStream_tbDpT10_ENKUlT_T0_E_clISt17integral_constantIbLb0EES18_IbLb1EEEEDaS14_S15_EUlS14_E_NS1_11comp_targetILNS1_3genE8ELNS1_11target_archE1030ELNS1_3gpuE2ELNS1_3repE0EEENS1_30default_config_static_selectorELNS0_4arch9wavefront6targetE1EEEvT1_
	.p2align	8
	.type	_ZN7rocprim17ROCPRIM_400000_NS6detail17trampoline_kernelINS0_14default_configENS1_25partition_config_selectorILNS1_17partition_subalgoE1EyNS0_10empty_typeEbEEZZNS1_14partition_implILS5_1ELb0ES3_jN6thrust23THRUST_200600_302600_NS6detail15normal_iteratorINSA_10device_ptrIyEEEEPS6_NSA_18transform_iteratorI7is_evenIyESF_NSA_11use_defaultESK_EENS0_5tupleIJSF_SF_EEENSM_IJSG_SG_EEES6_PlJS6_EEE10hipError_tPvRmT3_T4_T5_T6_T7_T9_mT8_P12ihipStream_tbDpT10_ENKUlT_T0_E_clISt17integral_constantIbLb0EES18_IbLb1EEEEDaS14_S15_EUlS14_E_NS1_11comp_targetILNS1_3genE8ELNS1_11target_archE1030ELNS1_3gpuE2ELNS1_3repE0EEENS1_30default_config_static_selectorELNS0_4arch9wavefront6targetE1EEEvT1_,@function
_ZN7rocprim17ROCPRIM_400000_NS6detail17trampoline_kernelINS0_14default_configENS1_25partition_config_selectorILNS1_17partition_subalgoE1EyNS0_10empty_typeEbEEZZNS1_14partition_implILS5_1ELb0ES3_jN6thrust23THRUST_200600_302600_NS6detail15normal_iteratorINSA_10device_ptrIyEEEEPS6_NSA_18transform_iteratorI7is_evenIyESF_NSA_11use_defaultESK_EENS0_5tupleIJSF_SF_EEENSM_IJSG_SG_EEES6_PlJS6_EEE10hipError_tPvRmT3_T4_T5_T6_T7_T9_mT8_P12ihipStream_tbDpT10_ENKUlT_T0_E_clISt17integral_constantIbLb0EES18_IbLb1EEEEDaS14_S15_EUlS14_E_NS1_11comp_targetILNS1_3genE8ELNS1_11target_archE1030ELNS1_3gpuE2ELNS1_3repE0EEENS1_30default_config_static_selectorELNS0_4arch9wavefront6targetE1EEEvT1_: ; @_ZN7rocprim17ROCPRIM_400000_NS6detail17trampoline_kernelINS0_14default_configENS1_25partition_config_selectorILNS1_17partition_subalgoE1EyNS0_10empty_typeEbEEZZNS1_14partition_implILS5_1ELb0ES3_jN6thrust23THRUST_200600_302600_NS6detail15normal_iteratorINSA_10device_ptrIyEEEEPS6_NSA_18transform_iteratorI7is_evenIyESF_NSA_11use_defaultESK_EENS0_5tupleIJSF_SF_EEENSM_IJSG_SG_EEES6_PlJS6_EEE10hipError_tPvRmT3_T4_T5_T6_T7_T9_mT8_P12ihipStream_tbDpT10_ENKUlT_T0_E_clISt17integral_constantIbLb0EES18_IbLb1EEEEDaS14_S15_EUlS14_E_NS1_11comp_targetILNS1_3genE8ELNS1_11target_archE1030ELNS1_3gpuE2ELNS1_3repE0EEENS1_30default_config_static_selectorELNS0_4arch9wavefront6targetE1EEEvT1_
; %bb.0:
	.section	.rodata,"a",@progbits
	.p2align	6, 0x0
	.amdhsa_kernel _ZN7rocprim17ROCPRIM_400000_NS6detail17trampoline_kernelINS0_14default_configENS1_25partition_config_selectorILNS1_17partition_subalgoE1EyNS0_10empty_typeEbEEZZNS1_14partition_implILS5_1ELb0ES3_jN6thrust23THRUST_200600_302600_NS6detail15normal_iteratorINSA_10device_ptrIyEEEEPS6_NSA_18transform_iteratorI7is_evenIyESF_NSA_11use_defaultESK_EENS0_5tupleIJSF_SF_EEENSM_IJSG_SG_EEES6_PlJS6_EEE10hipError_tPvRmT3_T4_T5_T6_T7_T9_mT8_P12ihipStream_tbDpT10_ENKUlT_T0_E_clISt17integral_constantIbLb0EES18_IbLb1EEEEDaS14_S15_EUlS14_E_NS1_11comp_targetILNS1_3genE8ELNS1_11target_archE1030ELNS1_3gpuE2ELNS1_3repE0EEENS1_30default_config_static_selectorELNS0_4arch9wavefront6targetE1EEEvT1_
		.amdhsa_group_segment_fixed_size 0
		.amdhsa_private_segment_fixed_size 0
		.amdhsa_kernarg_size 144
		.amdhsa_user_sgpr_count 6
		.amdhsa_user_sgpr_private_segment_buffer 1
		.amdhsa_user_sgpr_dispatch_ptr 0
		.amdhsa_user_sgpr_queue_ptr 0
		.amdhsa_user_sgpr_kernarg_segment_ptr 1
		.amdhsa_user_sgpr_dispatch_id 0
		.amdhsa_user_sgpr_flat_scratch_init 0
		.amdhsa_user_sgpr_kernarg_preload_length 0
		.amdhsa_user_sgpr_kernarg_preload_offset 0
		.amdhsa_user_sgpr_private_segment_size 0
		.amdhsa_uses_dynamic_stack 0
		.amdhsa_system_sgpr_private_segment_wavefront_offset 0
		.amdhsa_system_sgpr_workgroup_id_x 1
		.amdhsa_system_sgpr_workgroup_id_y 0
		.amdhsa_system_sgpr_workgroup_id_z 0
		.amdhsa_system_sgpr_workgroup_info 0
		.amdhsa_system_vgpr_workitem_id 0
		.amdhsa_next_free_vgpr 1
		.amdhsa_next_free_sgpr 0
		.amdhsa_accum_offset 4
		.amdhsa_reserve_vcc 0
		.amdhsa_reserve_flat_scratch 0
		.amdhsa_float_round_mode_32 0
		.amdhsa_float_round_mode_16_64 0
		.amdhsa_float_denorm_mode_32 3
		.amdhsa_float_denorm_mode_16_64 3
		.amdhsa_dx10_clamp 1
		.amdhsa_ieee_mode 1
		.amdhsa_fp16_overflow 0
		.amdhsa_tg_split 0
		.amdhsa_exception_fp_ieee_invalid_op 0
		.amdhsa_exception_fp_denorm_src 0
		.amdhsa_exception_fp_ieee_div_zero 0
		.amdhsa_exception_fp_ieee_overflow 0
		.amdhsa_exception_fp_ieee_underflow 0
		.amdhsa_exception_fp_ieee_inexact 0
		.amdhsa_exception_int_div_zero 0
	.end_amdhsa_kernel
	.section	.text._ZN7rocprim17ROCPRIM_400000_NS6detail17trampoline_kernelINS0_14default_configENS1_25partition_config_selectorILNS1_17partition_subalgoE1EyNS0_10empty_typeEbEEZZNS1_14partition_implILS5_1ELb0ES3_jN6thrust23THRUST_200600_302600_NS6detail15normal_iteratorINSA_10device_ptrIyEEEEPS6_NSA_18transform_iteratorI7is_evenIyESF_NSA_11use_defaultESK_EENS0_5tupleIJSF_SF_EEENSM_IJSG_SG_EEES6_PlJS6_EEE10hipError_tPvRmT3_T4_T5_T6_T7_T9_mT8_P12ihipStream_tbDpT10_ENKUlT_T0_E_clISt17integral_constantIbLb0EES18_IbLb1EEEEDaS14_S15_EUlS14_E_NS1_11comp_targetILNS1_3genE8ELNS1_11target_archE1030ELNS1_3gpuE2ELNS1_3repE0EEENS1_30default_config_static_selectorELNS0_4arch9wavefront6targetE1EEEvT1_,"axG",@progbits,_ZN7rocprim17ROCPRIM_400000_NS6detail17trampoline_kernelINS0_14default_configENS1_25partition_config_selectorILNS1_17partition_subalgoE1EyNS0_10empty_typeEbEEZZNS1_14partition_implILS5_1ELb0ES3_jN6thrust23THRUST_200600_302600_NS6detail15normal_iteratorINSA_10device_ptrIyEEEEPS6_NSA_18transform_iteratorI7is_evenIyESF_NSA_11use_defaultESK_EENS0_5tupleIJSF_SF_EEENSM_IJSG_SG_EEES6_PlJS6_EEE10hipError_tPvRmT3_T4_T5_T6_T7_T9_mT8_P12ihipStream_tbDpT10_ENKUlT_T0_E_clISt17integral_constantIbLb0EES18_IbLb1EEEEDaS14_S15_EUlS14_E_NS1_11comp_targetILNS1_3genE8ELNS1_11target_archE1030ELNS1_3gpuE2ELNS1_3repE0EEENS1_30default_config_static_selectorELNS0_4arch9wavefront6targetE1EEEvT1_,comdat
.Lfunc_end2234:
	.size	_ZN7rocprim17ROCPRIM_400000_NS6detail17trampoline_kernelINS0_14default_configENS1_25partition_config_selectorILNS1_17partition_subalgoE1EyNS0_10empty_typeEbEEZZNS1_14partition_implILS5_1ELb0ES3_jN6thrust23THRUST_200600_302600_NS6detail15normal_iteratorINSA_10device_ptrIyEEEEPS6_NSA_18transform_iteratorI7is_evenIyESF_NSA_11use_defaultESK_EENS0_5tupleIJSF_SF_EEENSM_IJSG_SG_EEES6_PlJS6_EEE10hipError_tPvRmT3_T4_T5_T6_T7_T9_mT8_P12ihipStream_tbDpT10_ENKUlT_T0_E_clISt17integral_constantIbLb0EES18_IbLb1EEEEDaS14_S15_EUlS14_E_NS1_11comp_targetILNS1_3genE8ELNS1_11target_archE1030ELNS1_3gpuE2ELNS1_3repE0EEENS1_30default_config_static_selectorELNS0_4arch9wavefront6targetE1EEEvT1_, .Lfunc_end2234-_ZN7rocprim17ROCPRIM_400000_NS6detail17trampoline_kernelINS0_14default_configENS1_25partition_config_selectorILNS1_17partition_subalgoE1EyNS0_10empty_typeEbEEZZNS1_14partition_implILS5_1ELb0ES3_jN6thrust23THRUST_200600_302600_NS6detail15normal_iteratorINSA_10device_ptrIyEEEEPS6_NSA_18transform_iteratorI7is_evenIyESF_NSA_11use_defaultESK_EENS0_5tupleIJSF_SF_EEENSM_IJSG_SG_EEES6_PlJS6_EEE10hipError_tPvRmT3_T4_T5_T6_T7_T9_mT8_P12ihipStream_tbDpT10_ENKUlT_T0_E_clISt17integral_constantIbLb0EES18_IbLb1EEEEDaS14_S15_EUlS14_E_NS1_11comp_targetILNS1_3genE8ELNS1_11target_archE1030ELNS1_3gpuE2ELNS1_3repE0EEENS1_30default_config_static_selectorELNS0_4arch9wavefront6targetE1EEEvT1_
                                        ; -- End function
	.section	.AMDGPU.csdata,"",@progbits
; Kernel info:
; codeLenInByte = 0
; NumSgprs: 4
; NumVgprs: 0
; NumAgprs: 0
; TotalNumVgprs: 0
; ScratchSize: 0
; MemoryBound: 0
; FloatMode: 240
; IeeeMode: 1
; LDSByteSize: 0 bytes/workgroup (compile time only)
; SGPRBlocks: 0
; VGPRBlocks: 0
; NumSGPRsForWavesPerEU: 4
; NumVGPRsForWavesPerEU: 1
; AccumOffset: 4
; Occupancy: 8
; WaveLimiterHint : 0
; COMPUTE_PGM_RSRC2:SCRATCH_EN: 0
; COMPUTE_PGM_RSRC2:USER_SGPR: 6
; COMPUTE_PGM_RSRC2:TRAP_HANDLER: 0
; COMPUTE_PGM_RSRC2:TGID_X_EN: 1
; COMPUTE_PGM_RSRC2:TGID_Y_EN: 0
; COMPUTE_PGM_RSRC2:TGID_Z_EN: 0
; COMPUTE_PGM_RSRC2:TIDIG_COMP_CNT: 0
; COMPUTE_PGM_RSRC3_GFX90A:ACCUM_OFFSET: 0
; COMPUTE_PGM_RSRC3_GFX90A:TG_SPLIT: 0
	.section	.text._ZN7rocprim17ROCPRIM_400000_NS6detail17trampoline_kernelINS0_14default_configENS1_25partition_config_selectorILNS1_17partition_subalgoE1EjNS0_10empty_typeEbEEZZNS1_14partition_implILS5_1ELb0ES3_jN6thrust23THRUST_200600_302600_NS6detail15normal_iteratorINSA_10device_ptrIjEEEEPS6_NSA_18transform_iteratorI7is_evenIjESF_NSA_11use_defaultESK_EENS0_5tupleIJSF_SF_EEENSM_IJSG_SG_EEES6_PlJS6_EEE10hipError_tPvRmT3_T4_T5_T6_T7_T9_mT8_P12ihipStream_tbDpT10_ENKUlT_T0_E_clISt17integral_constantIbLb0EES19_EEDaS14_S15_EUlS14_E_NS1_11comp_targetILNS1_3genE0ELNS1_11target_archE4294967295ELNS1_3gpuE0ELNS1_3repE0EEENS1_30default_config_static_selectorELNS0_4arch9wavefront6targetE1EEEvT1_,"axG",@progbits,_ZN7rocprim17ROCPRIM_400000_NS6detail17trampoline_kernelINS0_14default_configENS1_25partition_config_selectorILNS1_17partition_subalgoE1EjNS0_10empty_typeEbEEZZNS1_14partition_implILS5_1ELb0ES3_jN6thrust23THRUST_200600_302600_NS6detail15normal_iteratorINSA_10device_ptrIjEEEEPS6_NSA_18transform_iteratorI7is_evenIjESF_NSA_11use_defaultESK_EENS0_5tupleIJSF_SF_EEENSM_IJSG_SG_EEES6_PlJS6_EEE10hipError_tPvRmT3_T4_T5_T6_T7_T9_mT8_P12ihipStream_tbDpT10_ENKUlT_T0_E_clISt17integral_constantIbLb0EES19_EEDaS14_S15_EUlS14_E_NS1_11comp_targetILNS1_3genE0ELNS1_11target_archE4294967295ELNS1_3gpuE0ELNS1_3repE0EEENS1_30default_config_static_selectorELNS0_4arch9wavefront6targetE1EEEvT1_,comdat
	.protected	_ZN7rocprim17ROCPRIM_400000_NS6detail17trampoline_kernelINS0_14default_configENS1_25partition_config_selectorILNS1_17partition_subalgoE1EjNS0_10empty_typeEbEEZZNS1_14partition_implILS5_1ELb0ES3_jN6thrust23THRUST_200600_302600_NS6detail15normal_iteratorINSA_10device_ptrIjEEEEPS6_NSA_18transform_iteratorI7is_evenIjESF_NSA_11use_defaultESK_EENS0_5tupleIJSF_SF_EEENSM_IJSG_SG_EEES6_PlJS6_EEE10hipError_tPvRmT3_T4_T5_T6_T7_T9_mT8_P12ihipStream_tbDpT10_ENKUlT_T0_E_clISt17integral_constantIbLb0EES19_EEDaS14_S15_EUlS14_E_NS1_11comp_targetILNS1_3genE0ELNS1_11target_archE4294967295ELNS1_3gpuE0ELNS1_3repE0EEENS1_30default_config_static_selectorELNS0_4arch9wavefront6targetE1EEEvT1_ ; -- Begin function _ZN7rocprim17ROCPRIM_400000_NS6detail17trampoline_kernelINS0_14default_configENS1_25partition_config_selectorILNS1_17partition_subalgoE1EjNS0_10empty_typeEbEEZZNS1_14partition_implILS5_1ELb0ES3_jN6thrust23THRUST_200600_302600_NS6detail15normal_iteratorINSA_10device_ptrIjEEEEPS6_NSA_18transform_iteratorI7is_evenIjESF_NSA_11use_defaultESK_EENS0_5tupleIJSF_SF_EEENSM_IJSG_SG_EEES6_PlJS6_EEE10hipError_tPvRmT3_T4_T5_T6_T7_T9_mT8_P12ihipStream_tbDpT10_ENKUlT_T0_E_clISt17integral_constantIbLb0EES19_EEDaS14_S15_EUlS14_E_NS1_11comp_targetILNS1_3genE0ELNS1_11target_archE4294967295ELNS1_3gpuE0ELNS1_3repE0EEENS1_30default_config_static_selectorELNS0_4arch9wavefront6targetE1EEEvT1_
	.globl	_ZN7rocprim17ROCPRIM_400000_NS6detail17trampoline_kernelINS0_14default_configENS1_25partition_config_selectorILNS1_17partition_subalgoE1EjNS0_10empty_typeEbEEZZNS1_14partition_implILS5_1ELb0ES3_jN6thrust23THRUST_200600_302600_NS6detail15normal_iteratorINSA_10device_ptrIjEEEEPS6_NSA_18transform_iteratorI7is_evenIjESF_NSA_11use_defaultESK_EENS0_5tupleIJSF_SF_EEENSM_IJSG_SG_EEES6_PlJS6_EEE10hipError_tPvRmT3_T4_T5_T6_T7_T9_mT8_P12ihipStream_tbDpT10_ENKUlT_T0_E_clISt17integral_constantIbLb0EES19_EEDaS14_S15_EUlS14_E_NS1_11comp_targetILNS1_3genE0ELNS1_11target_archE4294967295ELNS1_3gpuE0ELNS1_3repE0EEENS1_30default_config_static_selectorELNS0_4arch9wavefront6targetE1EEEvT1_
	.p2align	8
	.type	_ZN7rocprim17ROCPRIM_400000_NS6detail17trampoline_kernelINS0_14default_configENS1_25partition_config_selectorILNS1_17partition_subalgoE1EjNS0_10empty_typeEbEEZZNS1_14partition_implILS5_1ELb0ES3_jN6thrust23THRUST_200600_302600_NS6detail15normal_iteratorINSA_10device_ptrIjEEEEPS6_NSA_18transform_iteratorI7is_evenIjESF_NSA_11use_defaultESK_EENS0_5tupleIJSF_SF_EEENSM_IJSG_SG_EEES6_PlJS6_EEE10hipError_tPvRmT3_T4_T5_T6_T7_T9_mT8_P12ihipStream_tbDpT10_ENKUlT_T0_E_clISt17integral_constantIbLb0EES19_EEDaS14_S15_EUlS14_E_NS1_11comp_targetILNS1_3genE0ELNS1_11target_archE4294967295ELNS1_3gpuE0ELNS1_3repE0EEENS1_30default_config_static_selectorELNS0_4arch9wavefront6targetE1EEEvT1_,@function
_ZN7rocprim17ROCPRIM_400000_NS6detail17trampoline_kernelINS0_14default_configENS1_25partition_config_selectorILNS1_17partition_subalgoE1EjNS0_10empty_typeEbEEZZNS1_14partition_implILS5_1ELb0ES3_jN6thrust23THRUST_200600_302600_NS6detail15normal_iteratorINSA_10device_ptrIjEEEEPS6_NSA_18transform_iteratorI7is_evenIjESF_NSA_11use_defaultESK_EENS0_5tupleIJSF_SF_EEENSM_IJSG_SG_EEES6_PlJS6_EEE10hipError_tPvRmT3_T4_T5_T6_T7_T9_mT8_P12ihipStream_tbDpT10_ENKUlT_T0_E_clISt17integral_constantIbLb0EES19_EEDaS14_S15_EUlS14_E_NS1_11comp_targetILNS1_3genE0ELNS1_11target_archE4294967295ELNS1_3gpuE0ELNS1_3repE0EEENS1_30default_config_static_selectorELNS0_4arch9wavefront6targetE1EEEvT1_: ; @_ZN7rocprim17ROCPRIM_400000_NS6detail17trampoline_kernelINS0_14default_configENS1_25partition_config_selectorILNS1_17partition_subalgoE1EjNS0_10empty_typeEbEEZZNS1_14partition_implILS5_1ELb0ES3_jN6thrust23THRUST_200600_302600_NS6detail15normal_iteratorINSA_10device_ptrIjEEEEPS6_NSA_18transform_iteratorI7is_evenIjESF_NSA_11use_defaultESK_EENS0_5tupleIJSF_SF_EEENSM_IJSG_SG_EEES6_PlJS6_EEE10hipError_tPvRmT3_T4_T5_T6_T7_T9_mT8_P12ihipStream_tbDpT10_ENKUlT_T0_E_clISt17integral_constantIbLb0EES19_EEDaS14_S15_EUlS14_E_NS1_11comp_targetILNS1_3genE0ELNS1_11target_archE4294967295ELNS1_3gpuE0ELNS1_3repE0EEENS1_30default_config_static_selectorELNS0_4arch9wavefront6targetE1EEEvT1_
; %bb.0:
	.section	.rodata,"a",@progbits
	.p2align	6, 0x0
	.amdhsa_kernel _ZN7rocprim17ROCPRIM_400000_NS6detail17trampoline_kernelINS0_14default_configENS1_25partition_config_selectorILNS1_17partition_subalgoE1EjNS0_10empty_typeEbEEZZNS1_14partition_implILS5_1ELb0ES3_jN6thrust23THRUST_200600_302600_NS6detail15normal_iteratorINSA_10device_ptrIjEEEEPS6_NSA_18transform_iteratorI7is_evenIjESF_NSA_11use_defaultESK_EENS0_5tupleIJSF_SF_EEENSM_IJSG_SG_EEES6_PlJS6_EEE10hipError_tPvRmT3_T4_T5_T6_T7_T9_mT8_P12ihipStream_tbDpT10_ENKUlT_T0_E_clISt17integral_constantIbLb0EES19_EEDaS14_S15_EUlS14_E_NS1_11comp_targetILNS1_3genE0ELNS1_11target_archE4294967295ELNS1_3gpuE0ELNS1_3repE0EEENS1_30default_config_static_selectorELNS0_4arch9wavefront6targetE1EEEvT1_
		.amdhsa_group_segment_fixed_size 0
		.amdhsa_private_segment_fixed_size 0
		.amdhsa_kernarg_size 128
		.amdhsa_user_sgpr_count 6
		.amdhsa_user_sgpr_private_segment_buffer 1
		.amdhsa_user_sgpr_dispatch_ptr 0
		.amdhsa_user_sgpr_queue_ptr 0
		.amdhsa_user_sgpr_kernarg_segment_ptr 1
		.amdhsa_user_sgpr_dispatch_id 0
		.amdhsa_user_sgpr_flat_scratch_init 0
		.amdhsa_user_sgpr_kernarg_preload_length 0
		.amdhsa_user_sgpr_kernarg_preload_offset 0
		.amdhsa_user_sgpr_private_segment_size 0
		.amdhsa_uses_dynamic_stack 0
		.amdhsa_system_sgpr_private_segment_wavefront_offset 0
		.amdhsa_system_sgpr_workgroup_id_x 1
		.amdhsa_system_sgpr_workgroup_id_y 0
		.amdhsa_system_sgpr_workgroup_id_z 0
		.amdhsa_system_sgpr_workgroup_info 0
		.amdhsa_system_vgpr_workitem_id 0
		.amdhsa_next_free_vgpr 1
		.amdhsa_next_free_sgpr 0
		.amdhsa_accum_offset 4
		.amdhsa_reserve_vcc 0
		.amdhsa_reserve_flat_scratch 0
		.amdhsa_float_round_mode_32 0
		.amdhsa_float_round_mode_16_64 0
		.amdhsa_float_denorm_mode_32 3
		.amdhsa_float_denorm_mode_16_64 3
		.amdhsa_dx10_clamp 1
		.amdhsa_ieee_mode 1
		.amdhsa_fp16_overflow 0
		.amdhsa_tg_split 0
		.amdhsa_exception_fp_ieee_invalid_op 0
		.amdhsa_exception_fp_denorm_src 0
		.amdhsa_exception_fp_ieee_div_zero 0
		.amdhsa_exception_fp_ieee_overflow 0
		.amdhsa_exception_fp_ieee_underflow 0
		.amdhsa_exception_fp_ieee_inexact 0
		.amdhsa_exception_int_div_zero 0
	.end_amdhsa_kernel
	.section	.text._ZN7rocprim17ROCPRIM_400000_NS6detail17trampoline_kernelINS0_14default_configENS1_25partition_config_selectorILNS1_17partition_subalgoE1EjNS0_10empty_typeEbEEZZNS1_14partition_implILS5_1ELb0ES3_jN6thrust23THRUST_200600_302600_NS6detail15normal_iteratorINSA_10device_ptrIjEEEEPS6_NSA_18transform_iteratorI7is_evenIjESF_NSA_11use_defaultESK_EENS0_5tupleIJSF_SF_EEENSM_IJSG_SG_EEES6_PlJS6_EEE10hipError_tPvRmT3_T4_T5_T6_T7_T9_mT8_P12ihipStream_tbDpT10_ENKUlT_T0_E_clISt17integral_constantIbLb0EES19_EEDaS14_S15_EUlS14_E_NS1_11comp_targetILNS1_3genE0ELNS1_11target_archE4294967295ELNS1_3gpuE0ELNS1_3repE0EEENS1_30default_config_static_selectorELNS0_4arch9wavefront6targetE1EEEvT1_,"axG",@progbits,_ZN7rocprim17ROCPRIM_400000_NS6detail17trampoline_kernelINS0_14default_configENS1_25partition_config_selectorILNS1_17partition_subalgoE1EjNS0_10empty_typeEbEEZZNS1_14partition_implILS5_1ELb0ES3_jN6thrust23THRUST_200600_302600_NS6detail15normal_iteratorINSA_10device_ptrIjEEEEPS6_NSA_18transform_iteratorI7is_evenIjESF_NSA_11use_defaultESK_EENS0_5tupleIJSF_SF_EEENSM_IJSG_SG_EEES6_PlJS6_EEE10hipError_tPvRmT3_T4_T5_T6_T7_T9_mT8_P12ihipStream_tbDpT10_ENKUlT_T0_E_clISt17integral_constantIbLb0EES19_EEDaS14_S15_EUlS14_E_NS1_11comp_targetILNS1_3genE0ELNS1_11target_archE4294967295ELNS1_3gpuE0ELNS1_3repE0EEENS1_30default_config_static_selectorELNS0_4arch9wavefront6targetE1EEEvT1_,comdat
.Lfunc_end2235:
	.size	_ZN7rocprim17ROCPRIM_400000_NS6detail17trampoline_kernelINS0_14default_configENS1_25partition_config_selectorILNS1_17partition_subalgoE1EjNS0_10empty_typeEbEEZZNS1_14partition_implILS5_1ELb0ES3_jN6thrust23THRUST_200600_302600_NS6detail15normal_iteratorINSA_10device_ptrIjEEEEPS6_NSA_18transform_iteratorI7is_evenIjESF_NSA_11use_defaultESK_EENS0_5tupleIJSF_SF_EEENSM_IJSG_SG_EEES6_PlJS6_EEE10hipError_tPvRmT3_T4_T5_T6_T7_T9_mT8_P12ihipStream_tbDpT10_ENKUlT_T0_E_clISt17integral_constantIbLb0EES19_EEDaS14_S15_EUlS14_E_NS1_11comp_targetILNS1_3genE0ELNS1_11target_archE4294967295ELNS1_3gpuE0ELNS1_3repE0EEENS1_30default_config_static_selectorELNS0_4arch9wavefront6targetE1EEEvT1_, .Lfunc_end2235-_ZN7rocprim17ROCPRIM_400000_NS6detail17trampoline_kernelINS0_14default_configENS1_25partition_config_selectorILNS1_17partition_subalgoE1EjNS0_10empty_typeEbEEZZNS1_14partition_implILS5_1ELb0ES3_jN6thrust23THRUST_200600_302600_NS6detail15normal_iteratorINSA_10device_ptrIjEEEEPS6_NSA_18transform_iteratorI7is_evenIjESF_NSA_11use_defaultESK_EENS0_5tupleIJSF_SF_EEENSM_IJSG_SG_EEES6_PlJS6_EEE10hipError_tPvRmT3_T4_T5_T6_T7_T9_mT8_P12ihipStream_tbDpT10_ENKUlT_T0_E_clISt17integral_constantIbLb0EES19_EEDaS14_S15_EUlS14_E_NS1_11comp_targetILNS1_3genE0ELNS1_11target_archE4294967295ELNS1_3gpuE0ELNS1_3repE0EEENS1_30default_config_static_selectorELNS0_4arch9wavefront6targetE1EEEvT1_
                                        ; -- End function
	.section	.AMDGPU.csdata,"",@progbits
; Kernel info:
; codeLenInByte = 0
; NumSgprs: 4
; NumVgprs: 0
; NumAgprs: 0
; TotalNumVgprs: 0
; ScratchSize: 0
; MemoryBound: 0
; FloatMode: 240
; IeeeMode: 1
; LDSByteSize: 0 bytes/workgroup (compile time only)
; SGPRBlocks: 0
; VGPRBlocks: 0
; NumSGPRsForWavesPerEU: 4
; NumVGPRsForWavesPerEU: 1
; AccumOffset: 4
; Occupancy: 8
; WaveLimiterHint : 0
; COMPUTE_PGM_RSRC2:SCRATCH_EN: 0
; COMPUTE_PGM_RSRC2:USER_SGPR: 6
; COMPUTE_PGM_RSRC2:TRAP_HANDLER: 0
; COMPUTE_PGM_RSRC2:TGID_X_EN: 1
; COMPUTE_PGM_RSRC2:TGID_Y_EN: 0
; COMPUTE_PGM_RSRC2:TGID_Z_EN: 0
; COMPUTE_PGM_RSRC2:TIDIG_COMP_CNT: 0
; COMPUTE_PGM_RSRC3_GFX90A:ACCUM_OFFSET: 0
; COMPUTE_PGM_RSRC3_GFX90A:TG_SPLIT: 0
	.section	.text._ZN7rocprim17ROCPRIM_400000_NS6detail17trampoline_kernelINS0_14default_configENS1_25partition_config_selectorILNS1_17partition_subalgoE1EjNS0_10empty_typeEbEEZZNS1_14partition_implILS5_1ELb0ES3_jN6thrust23THRUST_200600_302600_NS6detail15normal_iteratorINSA_10device_ptrIjEEEEPS6_NSA_18transform_iteratorI7is_evenIjESF_NSA_11use_defaultESK_EENS0_5tupleIJSF_SF_EEENSM_IJSG_SG_EEES6_PlJS6_EEE10hipError_tPvRmT3_T4_T5_T6_T7_T9_mT8_P12ihipStream_tbDpT10_ENKUlT_T0_E_clISt17integral_constantIbLb0EES19_EEDaS14_S15_EUlS14_E_NS1_11comp_targetILNS1_3genE5ELNS1_11target_archE942ELNS1_3gpuE9ELNS1_3repE0EEENS1_30default_config_static_selectorELNS0_4arch9wavefront6targetE1EEEvT1_,"axG",@progbits,_ZN7rocprim17ROCPRIM_400000_NS6detail17trampoline_kernelINS0_14default_configENS1_25partition_config_selectorILNS1_17partition_subalgoE1EjNS0_10empty_typeEbEEZZNS1_14partition_implILS5_1ELb0ES3_jN6thrust23THRUST_200600_302600_NS6detail15normal_iteratorINSA_10device_ptrIjEEEEPS6_NSA_18transform_iteratorI7is_evenIjESF_NSA_11use_defaultESK_EENS0_5tupleIJSF_SF_EEENSM_IJSG_SG_EEES6_PlJS6_EEE10hipError_tPvRmT3_T4_T5_T6_T7_T9_mT8_P12ihipStream_tbDpT10_ENKUlT_T0_E_clISt17integral_constantIbLb0EES19_EEDaS14_S15_EUlS14_E_NS1_11comp_targetILNS1_3genE5ELNS1_11target_archE942ELNS1_3gpuE9ELNS1_3repE0EEENS1_30default_config_static_selectorELNS0_4arch9wavefront6targetE1EEEvT1_,comdat
	.protected	_ZN7rocprim17ROCPRIM_400000_NS6detail17trampoline_kernelINS0_14default_configENS1_25partition_config_selectorILNS1_17partition_subalgoE1EjNS0_10empty_typeEbEEZZNS1_14partition_implILS5_1ELb0ES3_jN6thrust23THRUST_200600_302600_NS6detail15normal_iteratorINSA_10device_ptrIjEEEEPS6_NSA_18transform_iteratorI7is_evenIjESF_NSA_11use_defaultESK_EENS0_5tupleIJSF_SF_EEENSM_IJSG_SG_EEES6_PlJS6_EEE10hipError_tPvRmT3_T4_T5_T6_T7_T9_mT8_P12ihipStream_tbDpT10_ENKUlT_T0_E_clISt17integral_constantIbLb0EES19_EEDaS14_S15_EUlS14_E_NS1_11comp_targetILNS1_3genE5ELNS1_11target_archE942ELNS1_3gpuE9ELNS1_3repE0EEENS1_30default_config_static_selectorELNS0_4arch9wavefront6targetE1EEEvT1_ ; -- Begin function _ZN7rocprim17ROCPRIM_400000_NS6detail17trampoline_kernelINS0_14default_configENS1_25partition_config_selectorILNS1_17partition_subalgoE1EjNS0_10empty_typeEbEEZZNS1_14partition_implILS5_1ELb0ES3_jN6thrust23THRUST_200600_302600_NS6detail15normal_iteratorINSA_10device_ptrIjEEEEPS6_NSA_18transform_iteratorI7is_evenIjESF_NSA_11use_defaultESK_EENS0_5tupleIJSF_SF_EEENSM_IJSG_SG_EEES6_PlJS6_EEE10hipError_tPvRmT3_T4_T5_T6_T7_T9_mT8_P12ihipStream_tbDpT10_ENKUlT_T0_E_clISt17integral_constantIbLb0EES19_EEDaS14_S15_EUlS14_E_NS1_11comp_targetILNS1_3genE5ELNS1_11target_archE942ELNS1_3gpuE9ELNS1_3repE0EEENS1_30default_config_static_selectorELNS0_4arch9wavefront6targetE1EEEvT1_
	.globl	_ZN7rocprim17ROCPRIM_400000_NS6detail17trampoline_kernelINS0_14default_configENS1_25partition_config_selectorILNS1_17partition_subalgoE1EjNS0_10empty_typeEbEEZZNS1_14partition_implILS5_1ELb0ES3_jN6thrust23THRUST_200600_302600_NS6detail15normal_iteratorINSA_10device_ptrIjEEEEPS6_NSA_18transform_iteratorI7is_evenIjESF_NSA_11use_defaultESK_EENS0_5tupleIJSF_SF_EEENSM_IJSG_SG_EEES6_PlJS6_EEE10hipError_tPvRmT3_T4_T5_T6_T7_T9_mT8_P12ihipStream_tbDpT10_ENKUlT_T0_E_clISt17integral_constantIbLb0EES19_EEDaS14_S15_EUlS14_E_NS1_11comp_targetILNS1_3genE5ELNS1_11target_archE942ELNS1_3gpuE9ELNS1_3repE0EEENS1_30default_config_static_selectorELNS0_4arch9wavefront6targetE1EEEvT1_
	.p2align	8
	.type	_ZN7rocprim17ROCPRIM_400000_NS6detail17trampoline_kernelINS0_14default_configENS1_25partition_config_selectorILNS1_17partition_subalgoE1EjNS0_10empty_typeEbEEZZNS1_14partition_implILS5_1ELb0ES3_jN6thrust23THRUST_200600_302600_NS6detail15normal_iteratorINSA_10device_ptrIjEEEEPS6_NSA_18transform_iteratorI7is_evenIjESF_NSA_11use_defaultESK_EENS0_5tupleIJSF_SF_EEENSM_IJSG_SG_EEES6_PlJS6_EEE10hipError_tPvRmT3_T4_T5_T6_T7_T9_mT8_P12ihipStream_tbDpT10_ENKUlT_T0_E_clISt17integral_constantIbLb0EES19_EEDaS14_S15_EUlS14_E_NS1_11comp_targetILNS1_3genE5ELNS1_11target_archE942ELNS1_3gpuE9ELNS1_3repE0EEENS1_30default_config_static_selectorELNS0_4arch9wavefront6targetE1EEEvT1_,@function
_ZN7rocprim17ROCPRIM_400000_NS6detail17trampoline_kernelINS0_14default_configENS1_25partition_config_selectorILNS1_17partition_subalgoE1EjNS0_10empty_typeEbEEZZNS1_14partition_implILS5_1ELb0ES3_jN6thrust23THRUST_200600_302600_NS6detail15normal_iteratorINSA_10device_ptrIjEEEEPS6_NSA_18transform_iteratorI7is_evenIjESF_NSA_11use_defaultESK_EENS0_5tupleIJSF_SF_EEENSM_IJSG_SG_EEES6_PlJS6_EEE10hipError_tPvRmT3_T4_T5_T6_T7_T9_mT8_P12ihipStream_tbDpT10_ENKUlT_T0_E_clISt17integral_constantIbLb0EES19_EEDaS14_S15_EUlS14_E_NS1_11comp_targetILNS1_3genE5ELNS1_11target_archE942ELNS1_3gpuE9ELNS1_3repE0EEENS1_30default_config_static_selectorELNS0_4arch9wavefront6targetE1EEEvT1_: ; @_ZN7rocprim17ROCPRIM_400000_NS6detail17trampoline_kernelINS0_14default_configENS1_25partition_config_selectorILNS1_17partition_subalgoE1EjNS0_10empty_typeEbEEZZNS1_14partition_implILS5_1ELb0ES3_jN6thrust23THRUST_200600_302600_NS6detail15normal_iteratorINSA_10device_ptrIjEEEEPS6_NSA_18transform_iteratorI7is_evenIjESF_NSA_11use_defaultESK_EENS0_5tupleIJSF_SF_EEENSM_IJSG_SG_EEES6_PlJS6_EEE10hipError_tPvRmT3_T4_T5_T6_T7_T9_mT8_P12ihipStream_tbDpT10_ENKUlT_T0_E_clISt17integral_constantIbLb0EES19_EEDaS14_S15_EUlS14_E_NS1_11comp_targetILNS1_3genE5ELNS1_11target_archE942ELNS1_3gpuE9ELNS1_3repE0EEENS1_30default_config_static_selectorELNS0_4arch9wavefront6targetE1EEEvT1_
; %bb.0:
	.section	.rodata,"a",@progbits
	.p2align	6, 0x0
	.amdhsa_kernel _ZN7rocprim17ROCPRIM_400000_NS6detail17trampoline_kernelINS0_14default_configENS1_25partition_config_selectorILNS1_17partition_subalgoE1EjNS0_10empty_typeEbEEZZNS1_14partition_implILS5_1ELb0ES3_jN6thrust23THRUST_200600_302600_NS6detail15normal_iteratorINSA_10device_ptrIjEEEEPS6_NSA_18transform_iteratorI7is_evenIjESF_NSA_11use_defaultESK_EENS0_5tupleIJSF_SF_EEENSM_IJSG_SG_EEES6_PlJS6_EEE10hipError_tPvRmT3_T4_T5_T6_T7_T9_mT8_P12ihipStream_tbDpT10_ENKUlT_T0_E_clISt17integral_constantIbLb0EES19_EEDaS14_S15_EUlS14_E_NS1_11comp_targetILNS1_3genE5ELNS1_11target_archE942ELNS1_3gpuE9ELNS1_3repE0EEENS1_30default_config_static_selectorELNS0_4arch9wavefront6targetE1EEEvT1_
		.amdhsa_group_segment_fixed_size 0
		.amdhsa_private_segment_fixed_size 0
		.amdhsa_kernarg_size 128
		.amdhsa_user_sgpr_count 6
		.amdhsa_user_sgpr_private_segment_buffer 1
		.amdhsa_user_sgpr_dispatch_ptr 0
		.amdhsa_user_sgpr_queue_ptr 0
		.amdhsa_user_sgpr_kernarg_segment_ptr 1
		.amdhsa_user_sgpr_dispatch_id 0
		.amdhsa_user_sgpr_flat_scratch_init 0
		.amdhsa_user_sgpr_kernarg_preload_length 0
		.amdhsa_user_sgpr_kernarg_preload_offset 0
		.amdhsa_user_sgpr_private_segment_size 0
		.amdhsa_uses_dynamic_stack 0
		.amdhsa_system_sgpr_private_segment_wavefront_offset 0
		.amdhsa_system_sgpr_workgroup_id_x 1
		.amdhsa_system_sgpr_workgroup_id_y 0
		.amdhsa_system_sgpr_workgroup_id_z 0
		.amdhsa_system_sgpr_workgroup_info 0
		.amdhsa_system_vgpr_workitem_id 0
		.amdhsa_next_free_vgpr 1
		.amdhsa_next_free_sgpr 0
		.amdhsa_accum_offset 4
		.amdhsa_reserve_vcc 0
		.amdhsa_reserve_flat_scratch 0
		.amdhsa_float_round_mode_32 0
		.amdhsa_float_round_mode_16_64 0
		.amdhsa_float_denorm_mode_32 3
		.amdhsa_float_denorm_mode_16_64 3
		.amdhsa_dx10_clamp 1
		.amdhsa_ieee_mode 1
		.amdhsa_fp16_overflow 0
		.amdhsa_tg_split 0
		.amdhsa_exception_fp_ieee_invalid_op 0
		.amdhsa_exception_fp_denorm_src 0
		.amdhsa_exception_fp_ieee_div_zero 0
		.amdhsa_exception_fp_ieee_overflow 0
		.amdhsa_exception_fp_ieee_underflow 0
		.amdhsa_exception_fp_ieee_inexact 0
		.amdhsa_exception_int_div_zero 0
	.end_amdhsa_kernel
	.section	.text._ZN7rocprim17ROCPRIM_400000_NS6detail17trampoline_kernelINS0_14default_configENS1_25partition_config_selectorILNS1_17partition_subalgoE1EjNS0_10empty_typeEbEEZZNS1_14partition_implILS5_1ELb0ES3_jN6thrust23THRUST_200600_302600_NS6detail15normal_iteratorINSA_10device_ptrIjEEEEPS6_NSA_18transform_iteratorI7is_evenIjESF_NSA_11use_defaultESK_EENS0_5tupleIJSF_SF_EEENSM_IJSG_SG_EEES6_PlJS6_EEE10hipError_tPvRmT3_T4_T5_T6_T7_T9_mT8_P12ihipStream_tbDpT10_ENKUlT_T0_E_clISt17integral_constantIbLb0EES19_EEDaS14_S15_EUlS14_E_NS1_11comp_targetILNS1_3genE5ELNS1_11target_archE942ELNS1_3gpuE9ELNS1_3repE0EEENS1_30default_config_static_selectorELNS0_4arch9wavefront6targetE1EEEvT1_,"axG",@progbits,_ZN7rocprim17ROCPRIM_400000_NS6detail17trampoline_kernelINS0_14default_configENS1_25partition_config_selectorILNS1_17partition_subalgoE1EjNS0_10empty_typeEbEEZZNS1_14partition_implILS5_1ELb0ES3_jN6thrust23THRUST_200600_302600_NS6detail15normal_iteratorINSA_10device_ptrIjEEEEPS6_NSA_18transform_iteratorI7is_evenIjESF_NSA_11use_defaultESK_EENS0_5tupleIJSF_SF_EEENSM_IJSG_SG_EEES6_PlJS6_EEE10hipError_tPvRmT3_T4_T5_T6_T7_T9_mT8_P12ihipStream_tbDpT10_ENKUlT_T0_E_clISt17integral_constantIbLb0EES19_EEDaS14_S15_EUlS14_E_NS1_11comp_targetILNS1_3genE5ELNS1_11target_archE942ELNS1_3gpuE9ELNS1_3repE0EEENS1_30default_config_static_selectorELNS0_4arch9wavefront6targetE1EEEvT1_,comdat
.Lfunc_end2236:
	.size	_ZN7rocprim17ROCPRIM_400000_NS6detail17trampoline_kernelINS0_14default_configENS1_25partition_config_selectorILNS1_17partition_subalgoE1EjNS0_10empty_typeEbEEZZNS1_14partition_implILS5_1ELb0ES3_jN6thrust23THRUST_200600_302600_NS6detail15normal_iteratorINSA_10device_ptrIjEEEEPS6_NSA_18transform_iteratorI7is_evenIjESF_NSA_11use_defaultESK_EENS0_5tupleIJSF_SF_EEENSM_IJSG_SG_EEES6_PlJS6_EEE10hipError_tPvRmT3_T4_T5_T6_T7_T9_mT8_P12ihipStream_tbDpT10_ENKUlT_T0_E_clISt17integral_constantIbLb0EES19_EEDaS14_S15_EUlS14_E_NS1_11comp_targetILNS1_3genE5ELNS1_11target_archE942ELNS1_3gpuE9ELNS1_3repE0EEENS1_30default_config_static_selectorELNS0_4arch9wavefront6targetE1EEEvT1_, .Lfunc_end2236-_ZN7rocprim17ROCPRIM_400000_NS6detail17trampoline_kernelINS0_14default_configENS1_25partition_config_selectorILNS1_17partition_subalgoE1EjNS0_10empty_typeEbEEZZNS1_14partition_implILS5_1ELb0ES3_jN6thrust23THRUST_200600_302600_NS6detail15normal_iteratorINSA_10device_ptrIjEEEEPS6_NSA_18transform_iteratorI7is_evenIjESF_NSA_11use_defaultESK_EENS0_5tupleIJSF_SF_EEENSM_IJSG_SG_EEES6_PlJS6_EEE10hipError_tPvRmT3_T4_T5_T6_T7_T9_mT8_P12ihipStream_tbDpT10_ENKUlT_T0_E_clISt17integral_constantIbLb0EES19_EEDaS14_S15_EUlS14_E_NS1_11comp_targetILNS1_3genE5ELNS1_11target_archE942ELNS1_3gpuE9ELNS1_3repE0EEENS1_30default_config_static_selectorELNS0_4arch9wavefront6targetE1EEEvT1_
                                        ; -- End function
	.section	.AMDGPU.csdata,"",@progbits
; Kernel info:
; codeLenInByte = 0
; NumSgprs: 4
; NumVgprs: 0
; NumAgprs: 0
; TotalNumVgprs: 0
; ScratchSize: 0
; MemoryBound: 0
; FloatMode: 240
; IeeeMode: 1
; LDSByteSize: 0 bytes/workgroup (compile time only)
; SGPRBlocks: 0
; VGPRBlocks: 0
; NumSGPRsForWavesPerEU: 4
; NumVGPRsForWavesPerEU: 1
; AccumOffset: 4
; Occupancy: 8
; WaveLimiterHint : 0
; COMPUTE_PGM_RSRC2:SCRATCH_EN: 0
; COMPUTE_PGM_RSRC2:USER_SGPR: 6
; COMPUTE_PGM_RSRC2:TRAP_HANDLER: 0
; COMPUTE_PGM_RSRC2:TGID_X_EN: 1
; COMPUTE_PGM_RSRC2:TGID_Y_EN: 0
; COMPUTE_PGM_RSRC2:TGID_Z_EN: 0
; COMPUTE_PGM_RSRC2:TIDIG_COMP_CNT: 0
; COMPUTE_PGM_RSRC3_GFX90A:ACCUM_OFFSET: 0
; COMPUTE_PGM_RSRC3_GFX90A:TG_SPLIT: 0
	.section	.text._ZN7rocprim17ROCPRIM_400000_NS6detail17trampoline_kernelINS0_14default_configENS1_25partition_config_selectorILNS1_17partition_subalgoE1EjNS0_10empty_typeEbEEZZNS1_14partition_implILS5_1ELb0ES3_jN6thrust23THRUST_200600_302600_NS6detail15normal_iteratorINSA_10device_ptrIjEEEEPS6_NSA_18transform_iteratorI7is_evenIjESF_NSA_11use_defaultESK_EENS0_5tupleIJSF_SF_EEENSM_IJSG_SG_EEES6_PlJS6_EEE10hipError_tPvRmT3_T4_T5_T6_T7_T9_mT8_P12ihipStream_tbDpT10_ENKUlT_T0_E_clISt17integral_constantIbLb0EES19_EEDaS14_S15_EUlS14_E_NS1_11comp_targetILNS1_3genE4ELNS1_11target_archE910ELNS1_3gpuE8ELNS1_3repE0EEENS1_30default_config_static_selectorELNS0_4arch9wavefront6targetE1EEEvT1_,"axG",@progbits,_ZN7rocprim17ROCPRIM_400000_NS6detail17trampoline_kernelINS0_14default_configENS1_25partition_config_selectorILNS1_17partition_subalgoE1EjNS0_10empty_typeEbEEZZNS1_14partition_implILS5_1ELb0ES3_jN6thrust23THRUST_200600_302600_NS6detail15normal_iteratorINSA_10device_ptrIjEEEEPS6_NSA_18transform_iteratorI7is_evenIjESF_NSA_11use_defaultESK_EENS0_5tupleIJSF_SF_EEENSM_IJSG_SG_EEES6_PlJS6_EEE10hipError_tPvRmT3_T4_T5_T6_T7_T9_mT8_P12ihipStream_tbDpT10_ENKUlT_T0_E_clISt17integral_constantIbLb0EES19_EEDaS14_S15_EUlS14_E_NS1_11comp_targetILNS1_3genE4ELNS1_11target_archE910ELNS1_3gpuE8ELNS1_3repE0EEENS1_30default_config_static_selectorELNS0_4arch9wavefront6targetE1EEEvT1_,comdat
	.protected	_ZN7rocprim17ROCPRIM_400000_NS6detail17trampoline_kernelINS0_14default_configENS1_25partition_config_selectorILNS1_17partition_subalgoE1EjNS0_10empty_typeEbEEZZNS1_14partition_implILS5_1ELb0ES3_jN6thrust23THRUST_200600_302600_NS6detail15normal_iteratorINSA_10device_ptrIjEEEEPS6_NSA_18transform_iteratorI7is_evenIjESF_NSA_11use_defaultESK_EENS0_5tupleIJSF_SF_EEENSM_IJSG_SG_EEES6_PlJS6_EEE10hipError_tPvRmT3_T4_T5_T6_T7_T9_mT8_P12ihipStream_tbDpT10_ENKUlT_T0_E_clISt17integral_constantIbLb0EES19_EEDaS14_S15_EUlS14_E_NS1_11comp_targetILNS1_3genE4ELNS1_11target_archE910ELNS1_3gpuE8ELNS1_3repE0EEENS1_30default_config_static_selectorELNS0_4arch9wavefront6targetE1EEEvT1_ ; -- Begin function _ZN7rocprim17ROCPRIM_400000_NS6detail17trampoline_kernelINS0_14default_configENS1_25partition_config_selectorILNS1_17partition_subalgoE1EjNS0_10empty_typeEbEEZZNS1_14partition_implILS5_1ELb0ES3_jN6thrust23THRUST_200600_302600_NS6detail15normal_iteratorINSA_10device_ptrIjEEEEPS6_NSA_18transform_iteratorI7is_evenIjESF_NSA_11use_defaultESK_EENS0_5tupleIJSF_SF_EEENSM_IJSG_SG_EEES6_PlJS6_EEE10hipError_tPvRmT3_T4_T5_T6_T7_T9_mT8_P12ihipStream_tbDpT10_ENKUlT_T0_E_clISt17integral_constantIbLb0EES19_EEDaS14_S15_EUlS14_E_NS1_11comp_targetILNS1_3genE4ELNS1_11target_archE910ELNS1_3gpuE8ELNS1_3repE0EEENS1_30default_config_static_selectorELNS0_4arch9wavefront6targetE1EEEvT1_
	.globl	_ZN7rocprim17ROCPRIM_400000_NS6detail17trampoline_kernelINS0_14default_configENS1_25partition_config_selectorILNS1_17partition_subalgoE1EjNS0_10empty_typeEbEEZZNS1_14partition_implILS5_1ELb0ES3_jN6thrust23THRUST_200600_302600_NS6detail15normal_iteratorINSA_10device_ptrIjEEEEPS6_NSA_18transform_iteratorI7is_evenIjESF_NSA_11use_defaultESK_EENS0_5tupleIJSF_SF_EEENSM_IJSG_SG_EEES6_PlJS6_EEE10hipError_tPvRmT3_T4_T5_T6_T7_T9_mT8_P12ihipStream_tbDpT10_ENKUlT_T0_E_clISt17integral_constantIbLb0EES19_EEDaS14_S15_EUlS14_E_NS1_11comp_targetILNS1_3genE4ELNS1_11target_archE910ELNS1_3gpuE8ELNS1_3repE0EEENS1_30default_config_static_selectorELNS0_4arch9wavefront6targetE1EEEvT1_
	.p2align	8
	.type	_ZN7rocprim17ROCPRIM_400000_NS6detail17trampoline_kernelINS0_14default_configENS1_25partition_config_selectorILNS1_17partition_subalgoE1EjNS0_10empty_typeEbEEZZNS1_14partition_implILS5_1ELb0ES3_jN6thrust23THRUST_200600_302600_NS6detail15normal_iteratorINSA_10device_ptrIjEEEEPS6_NSA_18transform_iteratorI7is_evenIjESF_NSA_11use_defaultESK_EENS0_5tupleIJSF_SF_EEENSM_IJSG_SG_EEES6_PlJS6_EEE10hipError_tPvRmT3_T4_T5_T6_T7_T9_mT8_P12ihipStream_tbDpT10_ENKUlT_T0_E_clISt17integral_constantIbLb0EES19_EEDaS14_S15_EUlS14_E_NS1_11comp_targetILNS1_3genE4ELNS1_11target_archE910ELNS1_3gpuE8ELNS1_3repE0EEENS1_30default_config_static_selectorELNS0_4arch9wavefront6targetE1EEEvT1_,@function
_ZN7rocprim17ROCPRIM_400000_NS6detail17trampoline_kernelINS0_14default_configENS1_25partition_config_selectorILNS1_17partition_subalgoE1EjNS0_10empty_typeEbEEZZNS1_14partition_implILS5_1ELb0ES3_jN6thrust23THRUST_200600_302600_NS6detail15normal_iteratorINSA_10device_ptrIjEEEEPS6_NSA_18transform_iteratorI7is_evenIjESF_NSA_11use_defaultESK_EENS0_5tupleIJSF_SF_EEENSM_IJSG_SG_EEES6_PlJS6_EEE10hipError_tPvRmT3_T4_T5_T6_T7_T9_mT8_P12ihipStream_tbDpT10_ENKUlT_T0_E_clISt17integral_constantIbLb0EES19_EEDaS14_S15_EUlS14_E_NS1_11comp_targetILNS1_3genE4ELNS1_11target_archE910ELNS1_3gpuE8ELNS1_3repE0EEENS1_30default_config_static_selectorELNS0_4arch9wavefront6targetE1EEEvT1_: ; @_ZN7rocprim17ROCPRIM_400000_NS6detail17trampoline_kernelINS0_14default_configENS1_25partition_config_selectorILNS1_17partition_subalgoE1EjNS0_10empty_typeEbEEZZNS1_14partition_implILS5_1ELb0ES3_jN6thrust23THRUST_200600_302600_NS6detail15normal_iteratorINSA_10device_ptrIjEEEEPS6_NSA_18transform_iteratorI7is_evenIjESF_NSA_11use_defaultESK_EENS0_5tupleIJSF_SF_EEENSM_IJSG_SG_EEES6_PlJS6_EEE10hipError_tPvRmT3_T4_T5_T6_T7_T9_mT8_P12ihipStream_tbDpT10_ENKUlT_T0_E_clISt17integral_constantIbLb0EES19_EEDaS14_S15_EUlS14_E_NS1_11comp_targetILNS1_3genE4ELNS1_11target_archE910ELNS1_3gpuE8ELNS1_3repE0EEENS1_30default_config_static_selectorELNS0_4arch9wavefront6targetE1EEEvT1_
; %bb.0:
	s_load_dwordx2 s[0:1], s[4:5], 0x60
	s_load_dwordx4 s[24:27], s[4:5], 0x8
	s_load_dwordx2 s[2:3], s[4:5], 0x20
	s_load_dwordx4 s[20:23], s[4:5], 0x50
	s_mul_i32 s10, s6, 0x700
	s_waitcnt lgkmcnt(0)
	v_mov_b32_e32 v3, s1
	s_load_dword s1, s[4:5], 0x78
	s_lshl_b64 s[8:9], s[26:27], 2
	s_add_u32 s7, s24, s8
	s_addc_u32 s12, s25, s9
	v_mov_b32_e32 v2, s0
	s_waitcnt lgkmcnt(0)
	s_add_i32 s13, s1, -1
	s_mulk_i32 s1, 0x700
	s_add_i32 s11, s1, s26
	s_sub_i32 s33, s0, s11
	s_addk_i32 s33, 0x700
	s_add_u32 s0, s26, s1
	s_addc_u32 s1, s27, 0
	s_cmp_eq_u32 s6, s13
	s_load_dwordx2 s[30:31], s[22:23], 0x0
	s_cselect_b64 s[22:23], -1, 0
	s_cmp_lg_u32 s6, s13
	s_mov_b32 s11, 0
	v_cmp_lt_u64_e32 vcc, s[0:1], v[2:3]
	s_cselect_b64 s[0:1], -1, 0
	s_or_b64 s[24:25], s[0:1], vcc
	s_lshl_b64 s[28:29], s[10:11], 2
	s_add_u32 s7, s7, s28
	s_addc_u32 s12, s12, s29
	s_mov_b64 s[0:1], -1
	s_and_b64 vcc, exec, s[24:25]
	v_lshlrev_b32_e32 v1, 2, v0
	s_cbranch_vccz .LBB2237_2
; %bb.1:
	v_mov_b32_e32 v3, s12
	v_add_co_u32_e32 v2, vcc, s7, v1
	v_addc_co_u32_e32 v3, vcc, 0, v3, vcc
	v_add_co_u32_e32 v4, vcc, 0x1000, v2
	v_addc_co_u32_e32 v5, vcc, 0, v3, vcc
	flat_load_dword v6, v[2:3]
	flat_load_dword v7, v[2:3] offset:1024
	flat_load_dword v8, v[2:3] offset:2048
	;; [unrolled: 1-line block ×3, first 2 shown]
	flat_load_dword v10, v[4:5]
	flat_load_dword v11, v[4:5] offset:1024
	flat_load_dword v12, v[4:5] offset:2048
	s_mov_b64 s[0:1], 0
	s_waitcnt vmcnt(0) lgkmcnt(0)
	ds_write2st64_b32 v1, v6, v7 offset1:4
	ds_write2st64_b32 v1, v8, v9 offset0:8 offset1:12
	ds_write2st64_b32 v1, v10, v11 offset0:16 offset1:20
	ds_write_b32 v1, v12 offset:6144
	s_waitcnt lgkmcnt(0)
	s_barrier
.LBB2237_2:
	s_andn2_b64 vcc, exec, s[0:1]
	v_cmp_gt_u32_e64 s[0:1], s33, v0
	s_cbranch_vccnz .LBB2237_18
; %bb.3:
                                        ; implicit-def: $vgpr2_vgpr3_vgpr4_vgpr5_vgpr6_vgpr7_vgpr8
	s_and_saveexec_b64 s[10:11], s[0:1]
	s_cbranch_execz .LBB2237_5
; %bb.4:
	v_mov_b32_e32 v3, s12
	v_add_co_u32_e32 v2, vcc, s7, v1
	v_addc_co_u32_e32 v3, vcc, 0, v3, vcc
	flat_load_dword v2, v[2:3]
.LBB2237_5:
	s_or_b64 exec, exec, s[10:11]
	v_or_b32_e32 v9, 0x100, v0
	v_cmp_gt_u32_e32 vcc, s33, v9
	s_and_saveexec_b64 s[0:1], vcc
	s_cbranch_execz .LBB2237_7
; %bb.6:
	v_mov_b32_e32 v3, s12
	v_add_co_u32_e32 v10, vcc, s7, v1
	v_addc_co_u32_e32 v11, vcc, 0, v3, vcc
	flat_load_dword v3, v[10:11] offset:1024
.LBB2237_7:
	s_or_b64 exec, exec, s[0:1]
	v_or_b32_e32 v9, 0x200, v0
	v_cmp_gt_u32_e32 vcc, s33, v9
	s_and_saveexec_b64 s[0:1], vcc
	s_cbranch_execz .LBB2237_9
; %bb.8:
	v_mov_b32_e32 v4, s12
	v_add_co_u32_e32 v10, vcc, s7, v1
	v_addc_co_u32_e32 v11, vcc, 0, v4, vcc
	flat_load_dword v4, v[10:11] offset:2048
.LBB2237_9:
	;; [unrolled: 11-line block ×3, first 2 shown]
	s_or_b64 exec, exec, s[0:1]
	v_or_b32_e32 v9, 0x400, v0
	v_cmp_gt_u32_e32 vcc, s33, v9
	s_and_saveexec_b64 s[0:1], vcc
	s_cbranch_execz .LBB2237_13
; %bb.12:
	v_lshlrev_b32_e32 v6, 2, v9
	v_mov_b32_e32 v9, s12
	v_add_co_u32_e32 v10, vcc, s7, v6
	v_addc_co_u32_e32 v11, vcc, 0, v9, vcc
	flat_load_dword v6, v[10:11]
.LBB2237_13:
	s_or_b64 exec, exec, s[0:1]
	v_or_b32_e32 v9, 0x500, v0
	v_cmp_gt_u32_e32 vcc, s33, v9
	s_and_saveexec_b64 s[0:1], vcc
	s_cbranch_execz .LBB2237_15
; %bb.14:
	v_lshlrev_b32_e32 v7, 2, v9
	v_mov_b32_e32 v9, s12
	v_add_co_u32_e32 v10, vcc, s7, v7
	v_addc_co_u32_e32 v11, vcc, 0, v9, vcc
	flat_load_dword v7, v[10:11]
.LBB2237_15:
	;; [unrolled: 12-line block ×3, first 2 shown]
	s_or_b64 exec, exec, s[0:1]
	s_waitcnt vmcnt(0) lgkmcnt(0)
	ds_write2st64_b32 v1, v2, v3 offset1:4
	ds_write2st64_b32 v1, v4, v5 offset0:8 offset1:12
	ds_write2st64_b32 v1, v6, v7 offset0:16 offset1:20
	ds_write_b32 v1, v8 offset:6144
	s_waitcnt lgkmcnt(0)
	s_barrier
.LBB2237_18:
	v_mul_u32_u24_e32 v19, 7, v0
	v_lshlrev_b32_e32 v8, 2, v19
	s_waitcnt lgkmcnt(0)
	ds_read2_b32 v[6:7], v8 offset1:1
	ds_read2_b32 v[4:5], v8 offset0:2 offset1:3
	ds_read2_b32 v[2:3], v8 offset0:4 offset1:5
	ds_read_b32 v18, v8 offset:24
	s_add_u32 s0, s2, s8
	s_addc_u32 s1, s3, s9
	s_add_u32 s0, s0, s28
	s_addc_u32 s1, s1, s29
	s_mov_b64 s[2:3], -1
	s_and_b64 vcc, exec, s[24:25]
	s_waitcnt lgkmcnt(0)
	s_barrier
	s_cbranch_vccz .LBB2237_20
; %bb.19:
	v_mov_b32_e32 v9, s1
	v_add_co_u32_e32 v10, vcc, s0, v1
	v_addc_co_u32_e32 v9, vcc, 0, v9, vcc
	s_movk_i32 s2, 0x1000
	v_add_co_u32_e32 v10, vcc, s2, v10
	global_load_dword v12, v1, s[0:1]
	global_load_dword v13, v1, s[0:1] offset:1024
	global_load_dword v14, v1, s[0:1] offset:2048
	;; [unrolled: 1-line block ×3, first 2 shown]
	v_addc_co_u32_e32 v11, vcc, 0, v9, vcc
	global_load_dword v9, v[10:11], off
	global_load_dword v16, v[10:11], off offset:1024
	global_load_dword v17, v[10:11], off offset:2048
	s_mov_b64 s[2:3], 0
	s_waitcnt vmcnt(6)
	v_xor_b32_e32 v10, -1, v12
	s_waitcnt vmcnt(5)
	v_xor_b32_e32 v11, -1, v13
	;; [unrolled: 2-line block ×4, first 2 shown]
	v_and_b32_e32 v10, 1, v10
	v_and_b32_e32 v11, 1, v11
	s_waitcnt vmcnt(2)
	v_xor_b32_e32 v9, -1, v9
	v_and_b32_e32 v12, 1, v12
	v_and_b32_e32 v13, 1, v13
	ds_write_b8 v0, v10
	ds_write_b8 v0, v11 offset:256
	ds_write_b8 v0, v12 offset:512
	;; [unrolled: 1-line block ×3, first 2 shown]
	s_waitcnt vmcnt(1)
	v_xor_b32_e32 v10, -1, v16
	s_waitcnt vmcnt(0)
	v_xor_b32_e32 v11, -1, v17
	v_and_b32_e32 v9, 1, v9
	v_and_b32_e32 v10, 1, v10
	;; [unrolled: 1-line block ×3, first 2 shown]
	ds_write_b8 v0, v9 offset:1024
	ds_write_b8 v0, v10 offset:1280
	;; [unrolled: 1-line block ×3, first 2 shown]
	s_waitcnt lgkmcnt(0)
	s_barrier
.LBB2237_20:
	s_load_dwordx2 s[34:35], s[4:5], 0x70
	s_andn2_b64 vcc, exec, s[2:3]
	s_cbranch_vccnz .LBB2237_36
; %bb.21:
	v_cmp_gt_u32_e32 vcc, s33, v0
	v_mov_b32_e32 v9, 0
	v_mov_b32_e32 v10, 0
	s_and_saveexec_b64 s[2:3], vcc
	s_cbranch_execz .LBB2237_23
; %bb.22:
	global_load_dword v10, v1, s[0:1]
	s_waitcnt vmcnt(0)
	v_xor_b32_e32 v10, -1, v10
	v_and_b32_e32 v10, 1, v10
.LBB2237_23:
	s_or_b64 exec, exec, s[2:3]
	v_or_b32_e32 v11, 0x100, v0
	v_cmp_gt_u32_e32 vcc, s33, v11
	s_and_saveexec_b64 s[2:3], vcc
	s_cbranch_execz .LBB2237_25
; %bb.24:
	global_load_dword v9, v1, s[0:1] offset:1024
	s_waitcnt vmcnt(0)
	v_xor_b32_e32 v9, -1, v9
	v_and_b32_e32 v9, 1, v9
.LBB2237_25:
	s_or_b64 exec, exec, s[2:3]
	v_or_b32_e32 v11, 0x200, v0
	v_cmp_gt_u32_e32 vcc, s33, v11
	v_mov_b32_e32 v11, 0
	v_mov_b32_e32 v12, 0
	s_and_saveexec_b64 s[2:3], vcc
	s_cbranch_execz .LBB2237_27
; %bb.26:
	global_load_dword v12, v1, s[0:1] offset:2048
	s_waitcnt vmcnt(0)
	v_xor_b32_e32 v12, -1, v12
	v_and_b32_e32 v12, 1, v12
.LBB2237_27:
	s_or_b64 exec, exec, s[2:3]
	v_or_b32_e32 v13, 0x300, v0
	v_cmp_gt_u32_e32 vcc, s33, v13
	s_and_saveexec_b64 s[2:3], vcc
	s_cbranch_execz .LBB2237_29
; %bb.28:
	global_load_dword v11, v1, s[0:1] offset:3072
	s_waitcnt vmcnt(0)
	v_xor_b32_e32 v11, -1, v11
	v_and_b32_e32 v11, 1, v11
.LBB2237_29:
	s_or_b64 exec, exec, s[2:3]
	v_or_b32_e32 v15, 0x400, v0
	v_cmp_gt_u32_e32 vcc, s33, v15
	v_mov_b32_e32 v13, 0
	v_mov_b32_e32 v14, 0
	s_and_saveexec_b64 s[2:3], vcc
	s_cbranch_execz .LBB2237_31
; %bb.30:
	v_lshlrev_b32_e32 v14, 2, v15
	global_load_dword v14, v14, s[0:1]
	s_waitcnt vmcnt(0)
	v_xor_b32_e32 v14, -1, v14
	v_and_b32_e32 v14, 1, v14
.LBB2237_31:
	s_or_b64 exec, exec, s[2:3]
	v_or_b32_e32 v15, 0x500, v0
	v_cmp_gt_u32_e32 vcc, s33, v15
	s_and_saveexec_b64 s[2:3], vcc
	s_cbranch_execz .LBB2237_33
; %bb.32:
	v_lshlrev_b32_e32 v13, 2, v15
	global_load_dword v13, v13, s[0:1]
	s_waitcnt vmcnt(0)
	v_xor_b32_e32 v13, -1, v13
	v_and_b32_e32 v13, 1, v13
.LBB2237_33:
	s_or_b64 exec, exec, s[2:3]
	v_or_b32_e32 v16, 0x600, v0
	v_cmp_gt_u32_e32 vcc, s33, v16
	v_mov_b32_e32 v15, 0
	s_and_saveexec_b64 s[2:3], vcc
	s_cbranch_execz .LBB2237_35
; %bb.34:
	v_lshlrev_b32_e32 v15, 2, v16
	global_load_dword v15, v15, s[0:1]
	s_waitcnt vmcnt(0)
	v_xor_b32_e32 v15, -1, v15
	v_and_b32_e32 v15, 1, v15
.LBB2237_35:
	s_or_b64 exec, exec, s[2:3]
	ds_write_b8 v0, v10
	ds_write_b8 v0, v9 offset:256
	ds_write_b8 v0, v12 offset:512
	;; [unrolled: 1-line block ×6, first 2 shown]
	s_waitcnt lgkmcnt(0)
	s_barrier
.LBB2237_36:
	s_movk_i32 s0, 0xffeb
	v_mad_i32_i24 v28, v0, s0, v8
	s_waitcnt lgkmcnt(0)
	ds_read_u8 v8, v28
	ds_read_u8 v9, v28 offset:1
	ds_read_u8 v10, v28 offset:2
	;; [unrolled: 1-line block ×6, first 2 shown]
	s_waitcnt lgkmcnt(6)
	v_and_b32_e32 v26, 1, v8
	s_waitcnt lgkmcnt(5)
	v_and_b32_e32 v25, 1, v9
	;; [unrolled: 2-line block ×5, first 2 shown]
	v_add3_u32 v8, v25, v26, v24
	s_waitcnt lgkmcnt(1)
	v_and_b32_e32 v21, 1, v13
	s_waitcnt lgkmcnt(0)
	v_and_b32_e32 v20, 1, v14
	v_add3_u32 v8, v8, v23, v22
	v_add3_u32 v30, v8, v21, v20
	v_mbcnt_lo_u32_b32 v8, -1, 0
	v_mbcnt_hi_u32_b32 v27, -1, v8
	v_and_b32_e32 v8, 15, v27
	v_cmp_eq_u32_e64 s[14:15], 0, v8
	v_cmp_lt_u32_e64 s[12:13], 1, v8
	v_cmp_lt_u32_e64 s[10:11], 3, v8
	;; [unrolled: 1-line block ×3, first 2 shown]
	v_and_b32_e32 v8, 16, v27
	v_cmp_eq_u32_e64 s[18:19], 0, v8
	v_or_b32_e32 v8, 63, v0
	s_cmp_lg_u32 s6, 0
	v_cmp_lt_u32_e64 s[0:1], 31, v27
	v_lshrrev_b32_e32 v29, 6, v0
	v_cmp_eq_u32_e64 s[2:3], v8, v0
	s_barrier
	s_cbranch_scc0 .LBB2237_63
; %bb.37:
	v_mov_b32_dpp v8, v30 row_shr:1 row_mask:0xf bank_mask:0xf
	v_cndmask_b32_e64 v8, v8, 0, s[14:15]
	v_add_u32_e32 v8, v8, v30
	s_nop 1
	v_mov_b32_dpp v9, v8 row_shr:2 row_mask:0xf bank_mask:0xf
	v_cndmask_b32_e64 v9, 0, v9, s[12:13]
	v_add_u32_e32 v8, v8, v9
	s_nop 1
	;; [unrolled: 4-line block ×4, first 2 shown]
	v_mov_b32_dpp v9, v8 row_bcast:15 row_mask:0xf bank_mask:0xf
	v_cndmask_b32_e64 v9, v9, 0, s[18:19]
	v_add_u32_e32 v8, v8, v9
	s_nop 1
	v_mov_b32_dpp v9, v8 row_bcast:31 row_mask:0xf bank_mask:0xf
	v_cndmask_b32_e64 v9, 0, v9, s[0:1]
	v_add_u32_e32 v8, v8, v9
	s_and_saveexec_b64 s[16:17], s[2:3]
	s_cbranch_execz .LBB2237_39
; %bb.38:
	v_lshlrev_b32_e32 v9, 2, v29
	ds_write_b32 v9, v8
.LBB2237_39:
	s_or_b64 exec, exec, s[16:17]
	v_cmp_gt_u32_e32 vcc, 4, v0
	s_waitcnt lgkmcnt(0)
	s_barrier
	s_and_saveexec_b64 s[16:17], vcc
	s_cbranch_execz .LBB2237_41
; %bb.40:
	ds_read_b32 v9, v1
	v_and_b32_e32 v10, 3, v27
	v_cmp_ne_u32_e32 vcc, 0, v10
	s_waitcnt lgkmcnt(0)
	v_mov_b32_dpp v11, v9 row_shr:1 row_mask:0xf bank_mask:0xf
	v_cndmask_b32_e32 v11, 0, v11, vcc
	v_add_u32_e32 v9, v11, v9
	v_cmp_lt_u32_e32 vcc, 1, v10
	s_nop 0
	v_mov_b32_dpp v11, v9 row_shr:2 row_mask:0xf bank_mask:0xf
	v_cndmask_b32_e32 v10, 0, v11, vcc
	v_add_u32_e32 v9, v9, v10
	ds_write_b32 v1, v9
.LBB2237_41:
	s_or_b64 exec, exec, s[16:17]
	v_cmp_gt_u32_e32 vcc, 64, v0
	v_cmp_lt_u32_e64 s[16:17], 63, v0
	s_waitcnt lgkmcnt(0)
	s_barrier
	s_waitcnt lgkmcnt(0)
                                        ; implicit-def: $vgpr31
	s_and_saveexec_b64 s[36:37], s[16:17]
	s_cbranch_execz .LBB2237_43
; %bb.42:
	v_lshl_add_u32 v9, v29, 2, -4
	ds_read_b32 v31, v9
	s_waitcnt lgkmcnt(0)
	v_add_u32_e32 v8, v31, v8
.LBB2237_43:
	s_or_b64 exec, exec, s[36:37]
	v_add_u32_e32 v9, -1, v27
	v_and_b32_e32 v10, 64, v27
	v_cmp_lt_i32_e64 s[16:17], v9, v10
	v_cndmask_b32_e64 v9, v9, v27, s[16:17]
	v_lshlrev_b32_e32 v9, 2, v9
	ds_bpermute_b32 v32, v9, v8
	v_cmp_eq_u32_e64 s[16:17], 0, v27
	s_and_saveexec_b64 s[36:37], vcc
	s_cbranch_execz .LBB2237_62
; %bb.44:
	v_mov_b32_e32 v15, 0
	ds_read_b32 v8, v15 offset:12
	s_and_saveexec_b64 s[38:39], s[16:17]
	s_cbranch_execz .LBB2237_46
; %bb.45:
	s_add_i32 s40, s6, 64
	s_mov_b32 s41, 0
	s_lshl_b64 s[40:41], s[40:41], 3
	s_add_u32 s40, s34, s40
	v_mov_b32_e32 v9, 1
	s_addc_u32 s41, s35, s41
	s_waitcnt lgkmcnt(0)
	global_store_dwordx2 v15, v[8:9], s[40:41]
.LBB2237_46:
	s_or_b64 exec, exec, s[38:39]
	v_xad_u32 v10, v27, -1, s6
	v_add_u32_e32 v14, 64, v10
	v_lshlrev_b64 v[12:13], 3, v[14:15]
	v_mov_b32_e32 v9, s35
	v_add_co_u32_e32 v16, vcc, s34, v12
	v_addc_co_u32_e32 v17, vcc, v9, v13, vcc
	global_load_dwordx2 v[12:13], v[16:17], off glc
	s_waitcnt vmcnt(0)
	v_cmp_eq_u16_sdwa s[40:41], v13, v15 src0_sel:BYTE_0 src1_sel:DWORD
	s_and_saveexec_b64 s[38:39], s[40:41]
	s_cbranch_execz .LBB2237_50
; %bb.47:
	s_mov_b64 s[40:41], 0
	v_mov_b32_e32 v9, 0
.LBB2237_48:                            ; =>This Inner Loop Header: Depth=1
	global_load_dwordx2 v[12:13], v[16:17], off glc
	s_waitcnt vmcnt(0)
	v_cmp_ne_u16_sdwa s[42:43], v13, v9 src0_sel:BYTE_0 src1_sel:DWORD
	s_or_b64 s[40:41], s[42:43], s[40:41]
	s_andn2_b64 exec, exec, s[40:41]
	s_cbranch_execnz .LBB2237_48
; %bb.49:
	s_or_b64 exec, exec, s[40:41]
.LBB2237_50:
	s_or_b64 exec, exec, s[38:39]
	v_and_b32_e32 v34, 63, v27
	v_mov_b32_e32 v33, 2
	v_cmp_ne_u32_e32 vcc, 63, v34
	v_cmp_eq_u16_sdwa s[38:39], v13, v33 src0_sel:BYTE_0 src1_sel:DWORD
	v_lshlrev_b64 v[14:15], v27, -1
	v_addc_co_u32_e32 v16, vcc, 0, v27, vcc
	v_and_b32_e32 v9, s39, v15
	v_lshlrev_b32_e32 v35, 2, v16
	v_or_b32_e32 v9, 0x80000000, v9
	ds_bpermute_b32 v16, v35, v12
	v_and_b32_e32 v11, s38, v14
	v_ffbl_b32_e32 v9, v9
	v_add_u32_e32 v9, 32, v9
	v_ffbl_b32_e32 v11, v11
	v_min_u32_e32 v9, v11, v9
	v_cmp_lt_u32_e32 vcc, v34, v9
	s_waitcnt lgkmcnt(0)
	v_cndmask_b32_e32 v11, 0, v16, vcc
	v_cmp_gt_u32_e32 vcc, 62, v34
	v_add_u32_e32 v11, v11, v12
	v_cndmask_b32_e64 v12, 0, 1, vcc
	v_lshlrev_b32_e32 v12, 1, v12
	v_add_lshl_u32 v36, v12, v27, 2
	ds_bpermute_b32 v12, v36, v11
	v_add_u32_e32 v37, 2, v34
	v_cmp_le_u32_e32 vcc, v37, v9
	v_add_u32_e32 v39, 4, v34
	v_add_u32_e32 v41, 8, v34
	s_waitcnt lgkmcnt(0)
	v_cndmask_b32_e32 v12, 0, v12, vcc
	v_cmp_gt_u32_e32 vcc, 60, v34
	v_add_u32_e32 v11, v11, v12
	v_cndmask_b32_e64 v12, 0, 1, vcc
	v_lshlrev_b32_e32 v12, 2, v12
	v_add_lshl_u32 v38, v12, v27, 2
	ds_bpermute_b32 v12, v38, v11
	v_cmp_le_u32_e32 vcc, v39, v9
	v_add_u32_e32 v43, 16, v34
	v_add_u32_e32 v45, 32, v34
	s_waitcnt lgkmcnt(0)
	v_cndmask_b32_e32 v12, 0, v12, vcc
	v_cmp_gt_u32_e32 vcc, 56, v34
	v_add_u32_e32 v11, v11, v12
	v_cndmask_b32_e64 v12, 0, 1, vcc
	v_lshlrev_b32_e32 v12, 3, v12
	v_add_lshl_u32 v40, v12, v27, 2
	ds_bpermute_b32 v12, v40, v11
	v_cmp_le_u32_e32 vcc, v41, v9
	s_waitcnt lgkmcnt(0)
	v_cndmask_b32_e32 v12, 0, v12, vcc
	v_cmp_gt_u32_e32 vcc, 48, v34
	v_add_u32_e32 v11, v11, v12
	v_cndmask_b32_e64 v12, 0, 1, vcc
	v_lshlrev_b32_e32 v12, 4, v12
	v_add_lshl_u32 v42, v12, v27, 2
	ds_bpermute_b32 v12, v42, v11
	v_cmp_le_u32_e32 vcc, v43, v9
	;; [unrolled: 9-line block ×3, first 2 shown]
	s_waitcnt lgkmcnt(0)
	v_cndmask_b32_e32 v9, 0, v12, vcc
	v_add_u32_e32 v12, v11, v9
	v_mov_b32_e32 v11, 0
	s_branch .LBB2237_52
.LBB2237_51:                            ;   in Loop: Header=BB2237_52 Depth=1
	s_or_b64 exec, exec, s[38:39]
	v_cmp_eq_u16_sdwa s[38:39], v13, v33 src0_sel:BYTE_0 src1_sel:DWORD
	v_and_b32_e32 v16, s39, v15
	v_or_b32_e32 v16, 0x80000000, v16
	ds_bpermute_b32 v46, v35, v12
	v_and_b32_e32 v17, s38, v14
	v_ffbl_b32_e32 v16, v16
	v_add_u32_e32 v16, 32, v16
	v_ffbl_b32_e32 v17, v17
	v_min_u32_e32 v16, v17, v16
	v_cmp_lt_u32_e32 vcc, v34, v16
	s_waitcnt lgkmcnt(0)
	v_cndmask_b32_e32 v17, 0, v46, vcc
	v_add_u32_e32 v12, v17, v12
	ds_bpermute_b32 v17, v36, v12
	v_cmp_le_u32_e32 vcc, v37, v16
	v_subrev_u32_e32 v10, 64, v10
	s_waitcnt lgkmcnt(0)
	v_cndmask_b32_e32 v17, 0, v17, vcc
	v_add_u32_e32 v12, v12, v17
	ds_bpermute_b32 v17, v38, v12
	v_cmp_le_u32_e32 vcc, v39, v16
	s_waitcnt lgkmcnt(0)
	v_cndmask_b32_e32 v17, 0, v17, vcc
	v_add_u32_e32 v12, v12, v17
	ds_bpermute_b32 v17, v40, v12
	v_cmp_le_u32_e32 vcc, v41, v16
	s_waitcnt lgkmcnt(0)
	v_cndmask_b32_e32 v17, 0, v17, vcc
	v_add_u32_e32 v12, v12, v17
	ds_bpermute_b32 v17, v42, v12
	v_cmp_le_u32_e32 vcc, v43, v16
	s_waitcnt lgkmcnt(0)
	v_cndmask_b32_e32 v17, 0, v17, vcc
	v_add_u32_e32 v12, v12, v17
	ds_bpermute_b32 v17, v44, v12
	v_cmp_le_u32_e32 vcc, v45, v16
	s_waitcnt lgkmcnt(0)
	v_cndmask_b32_e32 v16, 0, v17, vcc
	v_add3_u32 v12, v16, v9, v12
.LBB2237_52:                            ; =>This Loop Header: Depth=1
                                        ;     Child Loop BB2237_55 Depth 2
	v_cmp_ne_u16_sdwa s[38:39], v13, v33 src0_sel:BYTE_0 src1_sel:DWORD
	v_cndmask_b32_e64 v9, 0, 1, s[38:39]
	;;#ASMSTART
	;;#ASMEND
	v_cmp_ne_u32_e32 vcc, 0, v9
	s_cmp_lg_u64 vcc, exec
	v_mov_b32_e32 v9, v12
	s_cbranch_scc1 .LBB2237_57
; %bb.53:                               ;   in Loop: Header=BB2237_52 Depth=1
	v_lshlrev_b64 v[12:13], 3, v[10:11]
	v_mov_b32_e32 v17, s35
	v_add_co_u32_e32 v16, vcc, s34, v12
	v_addc_co_u32_e32 v17, vcc, v17, v13, vcc
	global_load_dwordx2 v[12:13], v[16:17], off glc
	s_waitcnt vmcnt(0)
	v_cmp_eq_u16_sdwa s[40:41], v13, v11 src0_sel:BYTE_0 src1_sel:DWORD
	s_and_saveexec_b64 s[38:39], s[40:41]
	s_cbranch_execz .LBB2237_51
; %bb.54:                               ;   in Loop: Header=BB2237_52 Depth=1
	s_mov_b64 s[40:41], 0
.LBB2237_55:                            ;   Parent Loop BB2237_52 Depth=1
                                        ; =>  This Inner Loop Header: Depth=2
	global_load_dwordx2 v[12:13], v[16:17], off glc
	s_waitcnt vmcnt(0)
	v_cmp_ne_u16_sdwa s[42:43], v13, v11 src0_sel:BYTE_0 src1_sel:DWORD
	s_or_b64 s[40:41], s[42:43], s[40:41]
	s_andn2_b64 exec, exec, s[40:41]
	s_cbranch_execnz .LBB2237_55
; %bb.56:                               ;   in Loop: Header=BB2237_52 Depth=1
	s_or_b64 exec, exec, s[40:41]
	s_branch .LBB2237_51
.LBB2237_57:                            ;   in Loop: Header=BB2237_52 Depth=1
                                        ; implicit-def: $vgpr12
                                        ; implicit-def: $vgpr13
	s_cbranch_execz .LBB2237_52
; %bb.58:
	s_and_saveexec_b64 s[38:39], s[16:17]
	s_cbranch_execz .LBB2237_60
; %bb.59:
	s_add_i32 s6, s6, 64
	s_mov_b32 s7, 0
	s_lshl_b64 s[6:7], s[6:7], 3
	s_add_u32 s6, s34, s6
	v_add_u32_e32 v10, v9, v8
	v_mov_b32_e32 v11, 2
	s_addc_u32 s7, s35, s7
	v_mov_b32_e32 v12, 0
	global_store_dwordx2 v12, v[10:11], s[6:7]
	ds_write_b64 v12, v[8:9] offset:7168
.LBB2237_60:
	s_or_b64 exec, exec, s[38:39]
	v_cmp_eq_u32_e32 vcc, 0, v0
	s_and_b64 exec, exec, vcc
	s_cbranch_execz .LBB2237_62
; %bb.61:
	v_mov_b32_e32 v8, 0
	ds_write_b32 v8, v9 offset:12
.LBB2237_62:
	s_or_b64 exec, exec, s[36:37]
	v_mov_b32_e32 v8, 0
	s_waitcnt lgkmcnt(0)
	s_barrier
	ds_read_b32 v9, v8 offset:12
	v_cndmask_b32_e64 v10, v32, v31, s[16:17]
	v_cmp_ne_u32_e32 vcc, 0, v0
	v_cndmask_b32_e32 v10, 0, v10, vcc
	s_waitcnt lgkmcnt(0)
	v_add_u32_e32 v16, v9, v10
	v_add_u32_e32 v15, v16, v26
	;; [unrolled: 1-line block ×3, first 2 shown]
	s_barrier
	ds_read_b64 v[8:9], v8 offset:7168
	v_add_u32_e32 v12, v14, v24
	v_add_u32_e32 v13, v12, v23
	;; [unrolled: 1-line block ×4, first 2 shown]
	s_branch .LBB2237_73
.LBB2237_63:
                                        ; implicit-def: $vgpr9
                                        ; implicit-def: $vgpr10
                                        ; implicit-def: $vgpr11
                                        ; implicit-def: $vgpr13
                                        ; implicit-def: $vgpr12
                                        ; implicit-def: $vgpr14
                                        ; implicit-def: $vgpr15
                                        ; implicit-def: $vgpr16
	s_cbranch_execz .LBB2237_73
; %bb.64:
	s_waitcnt lgkmcnt(0)
	v_mov_b32_dpp v8, v30 row_shr:1 row_mask:0xf bank_mask:0xf
	v_cndmask_b32_e64 v8, v8, 0, s[14:15]
	v_add_u32_e32 v8, v8, v30
	s_nop 1
	v_mov_b32_dpp v9, v8 row_shr:2 row_mask:0xf bank_mask:0xf
	v_cndmask_b32_e64 v9, 0, v9, s[12:13]
	v_add_u32_e32 v8, v8, v9
	s_nop 1
	;; [unrolled: 4-line block ×4, first 2 shown]
	v_mov_b32_dpp v9, v8 row_bcast:15 row_mask:0xf bank_mask:0xf
	v_cndmask_b32_e64 v9, v9, 0, s[18:19]
	v_add_u32_e32 v8, v8, v9
	s_nop 1
	v_mov_b32_dpp v9, v8 row_bcast:31 row_mask:0xf bank_mask:0xf
	v_cndmask_b32_e64 v9, 0, v9, s[0:1]
	v_add_u32_e32 v8, v8, v9
	s_and_saveexec_b64 s[0:1], s[2:3]
	s_cbranch_execz .LBB2237_66
; %bb.65:
	v_lshlrev_b32_e32 v9, 2, v29
	ds_write_b32 v9, v8
.LBB2237_66:
	s_or_b64 exec, exec, s[0:1]
	v_cmp_gt_u32_e32 vcc, 4, v0
	s_waitcnt lgkmcnt(0)
	s_barrier
	s_and_saveexec_b64 s[0:1], vcc
	s_cbranch_execz .LBB2237_68
; %bb.67:
	v_mad_i32_i24 v9, v0, -3, v28
	ds_read_b32 v10, v9
	v_and_b32_e32 v11, 3, v27
	v_cmp_ne_u32_e32 vcc, 0, v11
	s_waitcnt lgkmcnt(0)
	v_mov_b32_dpp v12, v10 row_shr:1 row_mask:0xf bank_mask:0xf
	v_cndmask_b32_e32 v12, 0, v12, vcc
	v_add_u32_e32 v10, v12, v10
	v_cmp_lt_u32_e32 vcc, 1, v11
	s_nop 0
	v_mov_b32_dpp v12, v10 row_shr:2 row_mask:0xf bank_mask:0xf
	v_cndmask_b32_e32 v11, 0, v12, vcc
	v_add_u32_e32 v10, v10, v11
	ds_write_b32 v9, v10
.LBB2237_68:
	s_or_b64 exec, exec, s[0:1]
	v_cmp_lt_u32_e32 vcc, 63, v0
	v_mov_b32_e32 v9, 0
	v_mov_b32_e32 v10, 0
	s_waitcnt lgkmcnt(0)
	s_barrier
	s_and_saveexec_b64 s[0:1], vcc
	s_cbranch_execz .LBB2237_70
; %bb.69:
	v_lshl_add_u32 v10, v29, 2, -4
	ds_read_b32 v10, v10
.LBB2237_70:
	s_or_b64 exec, exec, s[0:1]
	v_add_u32_e32 v11, -1, v27
	v_and_b32_e32 v12, 64, v27
	v_cmp_lt_i32_e32 vcc, v11, v12
	v_cndmask_b32_e32 v11, v11, v27, vcc
	s_waitcnt lgkmcnt(0)
	v_add_u32_e32 v8, v10, v8
	v_lshlrev_b32_e32 v11, 2, v11
	ds_bpermute_b32 v11, v11, v8
	ds_read_b32 v8, v9 offset:12
	v_cmp_eq_u32_e32 vcc, 0, v0
	s_and_saveexec_b64 s[0:1], vcc
	s_cbranch_execz .LBB2237_72
; %bb.71:
	v_mov_b32_e32 v12, 0
	v_mov_b32_e32 v9, 2
	s_waitcnt lgkmcnt(0)
	global_store_dwordx2 v12, v[8:9], s[34:35] offset:512
.LBB2237_72:
	s_or_b64 exec, exec, s[0:1]
	v_cmp_eq_u32_e64 s[0:1], 0, v27
	s_waitcnt lgkmcnt(1)
	v_cndmask_b32_e64 v10, v11, v10, s[0:1]
	v_cndmask_b32_e64 v16, v10, 0, vcc
	v_add_u32_e32 v15, v16, v26
	v_add_u32_e32 v14, v15, v25
	;; [unrolled: 1-line block ×5, first 2 shown]
	v_mov_b32_e32 v9, 0
	v_add_u32_e32 v10, v11, v21
	s_waitcnt lgkmcnt(0)
	s_barrier
.LBB2237_73:
	s_waitcnt lgkmcnt(0)
	v_add_u32_e32 v17, v8, v19
	v_sub_u32_e32 v16, v16, v9
	v_sub_u32_e32 v19, v17, v16
	v_cmp_eq_u32_e32 vcc, 1, v26
	v_cndmask_b32_e32 v16, v19, v16, vcc
	v_lshlrev_b32_e32 v16, 2, v16
	ds_write_b32 v16, v6
	v_sub_u32_e32 v6, v15, v9
	v_sub_u32_e32 v15, v17, v6
	v_add_u32_e32 v15, 1, v15
	v_cmp_eq_u32_e32 vcc, 1, v25
	v_cndmask_b32_e32 v6, v15, v6, vcc
	v_lshlrev_b32_e32 v6, 2, v6
	ds_write_b32 v6, v7
	v_sub_u32_e32 v6, v14, v9
	v_sub_u32_e32 v7, v17, v6
	v_add_u32_e32 v7, 2, v7
	;; [unrolled: 7-line block ×6, first 2 shown]
	v_cmp_eq_u32_e32 vcc, 1, v20
	v_cndmask_b32_e32 v2, v3, v2, vcc
	v_lshlrev_b32_e32 v2, 2, v2
	ds_write_b32 v2, v18
	v_mov_b32_e32 v2, s31
	v_add_co_u32_e32 v22, vcc, s30, v9
	v_addc_co_u32_e32 v23, vcc, 0, v2, vcc
	s_load_dwordx4 s[0:3], s[4:5], 0x30
	v_add_co_u32_e32 v2, vcc, v22, v8
	v_addc_co_u32_e32 v3, vcc, 0, v23, vcc
	v_mov_b32_e32 v9, s27
	v_sub_co_u32_e32 v24, vcc, s26, v2
	v_subb_co_u32_e32 v25, vcc, v9, v3, vcc
	v_lshlrev_b64 v[24:25], 2, v[24:25]
	s_waitcnt lgkmcnt(0)
	s_barrier
	ds_read2st64_b32 v[10:11], v1 offset1:4
	ds_read2st64_b32 v[6:7], v1 offset0:8 offset1:12
	ds_read2st64_b32 v[4:5], v1 offset0:16 offset1:20
	ds_read_b32 v12, v1 offset:6144
	v_mov_b32_e32 v9, s3
	v_add_co_u32_e32 v15, vcc, s2, v24
	v_addc_co_u32_e32 v16, vcc, v9, v25, vcc
	v_mov_b32_e32 v18, s29
	v_add_co_u32_e32 v9, vcc, s28, v15
	v_lshlrev_b64 v[22:23], 2, v[22:23]
	v_addc_co_u32_e32 v15, vcc, v16, v18, vcc
	v_mov_b32_e32 v18, s1
	v_add_co_u32_e64 v16, s[0:1], s0, v22
	v_or_b32_e32 v21, 0x100, v0
	v_or_b32_e32 v20, 0x200, v0
	;; [unrolled: 1-line block ×6, first 2 shown]
	s_andn2_b64 vcc, exec, s[24:25]
	v_addc_co_u32_e64 v18, s[0:1], v18, v23, s[0:1]
	s_cbranch_vccnz .LBB2237_75
; %bb.74:
	v_cmp_gt_u32_e32 vcc, v8, v0
	v_cndmask_b32_e32 v22, v9, v16, vcc
	v_cndmask_b32_e32 v23, v15, v18, vcc
	v_add_co_u32_e32 v22, vcc, v22, v1
	v_addc_co_u32_e32 v23, vcc, 0, v23, vcc
	v_cmp_lt_u32_e32 vcc, v21, v8
	s_waitcnt lgkmcnt(3)
	global_store_dword v[22:23], v10, off
	v_cndmask_b32_e32 v22, v9, v16, vcc
	v_cndmask_b32_e32 v23, v15, v18, vcc
	v_add_co_u32_e32 v22, vcc, v22, v1
	v_addc_co_u32_e32 v23, vcc, 0, v23, vcc
	v_cmp_lt_u32_e32 vcc, v20, v8
	global_store_dword v[22:23], v11, off offset:1024
	v_cndmask_b32_e32 v22, v9, v16, vcc
	v_cndmask_b32_e32 v23, v15, v18, vcc
	v_add_co_u32_e32 v22, vcc, v22, v1
	v_addc_co_u32_e32 v23, vcc, 0, v23, vcc
	v_cmp_lt_u32_e32 vcc, v19, v8
	s_waitcnt lgkmcnt(2)
	global_store_dword v[22:23], v6, off offset:2048
	v_cndmask_b32_e32 v22, v9, v16, vcc
	v_cndmask_b32_e32 v23, v15, v18, vcc
	v_add_co_u32_e32 v22, vcc, v22, v1
	v_addc_co_u32_e32 v23, vcc, 0, v23, vcc
	v_cmp_lt_u32_e32 vcc, v17, v8
	global_store_dword v[22:23], v7, off offset:3072
	v_cndmask_b32_e32 v22, v9, v16, vcc
	v_lshlrev_b32_e32 v24, 2, v17
	v_cndmask_b32_e32 v23, v15, v18, vcc
	v_add_co_u32_e32 v22, vcc, v22, v24
	v_addc_co_u32_e32 v23, vcc, 0, v23, vcc
	v_cmp_lt_u32_e32 vcc, v14, v8
	s_waitcnt lgkmcnt(1)
	global_store_dword v[22:23], v4, off
	v_cndmask_b32_e32 v22, v9, v16, vcc
	v_lshlrev_b32_e32 v24, 2, v14
	v_cndmask_b32_e32 v23, v15, v18, vcc
	v_add_co_u32_e32 v22, vcc, v22, v24
	v_addc_co_u32_e32 v23, vcc, 0, v23, vcc
	s_mov_b64 s[0:1], -1
	global_store_dword v[22:23], v5, off
	s_cbranch_execz .LBB2237_76
	s_branch .LBB2237_84
.LBB2237_75:
	s_mov_b64 s[0:1], 0
.LBB2237_76:
	v_cmp_gt_u32_e32 vcc, s33, v0
	s_and_saveexec_b64 s[0:1], vcc
	s_cbranch_execnz .LBB2237_89
; %bb.77:
	s_or_b64 exec, exec, s[0:1]
	v_cmp_gt_u32_e32 vcc, s33, v21
	s_and_saveexec_b64 s[0:1], vcc
	s_cbranch_execnz .LBB2237_90
.LBB2237_78:
	s_or_b64 exec, exec, s[0:1]
	v_cmp_gt_u32_e32 vcc, s33, v20
	s_and_saveexec_b64 s[0:1], vcc
	s_cbranch_execnz .LBB2237_91
.LBB2237_79:
	s_or_b64 exec, exec, s[0:1]
	v_cmp_gt_u32_e32 vcc, s33, v19
	s_and_saveexec_b64 s[0:1], vcc
	s_cbranch_execnz .LBB2237_92
.LBB2237_80:
	s_or_b64 exec, exec, s[0:1]
	v_cmp_gt_u32_e32 vcc, s33, v17
	s_and_saveexec_b64 s[0:1], vcc
	s_cbranch_execnz .LBB2237_93
.LBB2237_81:
	s_or_b64 exec, exec, s[0:1]
	v_cmp_gt_u32_e32 vcc, s33, v14
	s_and_saveexec_b64 s[0:1], vcc
	s_cbranch_execz .LBB2237_83
.LBB2237_82:
	v_cmp_lt_u32_e32 vcc, v14, v8
	s_waitcnt lgkmcnt(1)
	v_cndmask_b32_e32 v4, v9, v16, vcc
	v_lshlrev_b32_e32 v6, 2, v14
	v_cndmask_b32_e32 v1, v15, v18, vcc
	v_add_co_u32_e32 v6, vcc, v4, v6
	v_addc_co_u32_e32 v7, vcc, 0, v1, vcc
	global_store_dword v[6:7], v5, off
.LBB2237_83:
	s_or_b64 exec, exec, s[0:1]
	v_cmp_gt_u32_e64 s[0:1], s33, v13
.LBB2237_84:
	s_and_saveexec_b64 s[2:3], s[0:1]
	s_cbranch_execz .LBB2237_86
; %bb.85:
	v_cmp_lt_u32_e32 vcc, v13, v8
	s_waitcnt lgkmcnt(1)
	v_cndmask_b32_e32 v4, v9, v16, vcc
	v_lshlrev_b32_e32 v5, 2, v13
	v_cndmask_b32_e32 v1, v15, v18, vcc
	v_add_co_u32_e32 v4, vcc, v4, v5
	v_addc_co_u32_e32 v5, vcc, 0, v1, vcc
	s_waitcnt lgkmcnt(0)
	global_store_dword v[4:5], v12, off
.LBB2237_86:
	s_or_b64 exec, exec, s[2:3]
	v_cmp_eq_u32_e32 vcc, 0, v0
	s_and_b64 s[0:1], vcc, s[22:23]
	s_and_saveexec_b64 s[2:3], s[0:1]
	s_cbranch_execz .LBB2237_88
; %bb.87:
	v_mov_b32_e32 v0, 0
	global_store_dwordx2 v0, v[2:3], s[20:21]
.LBB2237_88:
	s_endpgm
.LBB2237_89:
	v_cmp_gt_u32_e32 vcc, v8, v0
	v_cndmask_b32_e32 v22, v9, v16, vcc
	v_cndmask_b32_e32 v23, v15, v18, vcc
	v_add_co_u32_e32 v22, vcc, v22, v1
	v_addc_co_u32_e32 v23, vcc, 0, v23, vcc
	s_waitcnt lgkmcnt(3)
	global_store_dword v[22:23], v10, off
	s_or_b64 exec, exec, s[0:1]
	v_cmp_gt_u32_e32 vcc, s33, v21
	s_and_saveexec_b64 s[0:1], vcc
	s_cbranch_execz .LBB2237_78
.LBB2237_90:
	v_cmp_lt_u32_e32 vcc, v21, v8
	v_cndmask_b32_e32 v21, v9, v16, vcc
	s_waitcnt lgkmcnt(3)
	v_cndmask_b32_e32 v10, v15, v18, vcc
	v_add_co_u32_e32 v22, vcc, v21, v1
	v_addc_co_u32_e32 v23, vcc, 0, v10, vcc
	global_store_dword v[22:23], v11, off offset:1024
	s_or_b64 exec, exec, s[0:1]
	v_cmp_gt_u32_e32 vcc, s33, v20
	s_and_saveexec_b64 s[0:1], vcc
	s_cbranch_execz .LBB2237_79
.LBB2237_91:
	v_cmp_lt_u32_e32 vcc, v20, v8
	s_waitcnt lgkmcnt(3)
	v_cndmask_b32_e32 v10, v9, v16, vcc
	v_cndmask_b32_e32 v11, v15, v18, vcc
	v_add_co_u32_e32 v10, vcc, v10, v1
	v_addc_co_u32_e32 v11, vcc, 0, v11, vcc
	s_waitcnt lgkmcnt(2)
	global_store_dword v[10:11], v6, off offset:2048
	s_or_b64 exec, exec, s[0:1]
	v_cmp_gt_u32_e32 vcc, s33, v19
	s_and_saveexec_b64 s[0:1], vcc
	s_cbranch_execz .LBB2237_80
.LBB2237_92:
	v_cmp_lt_u32_e32 vcc, v19, v8
	s_waitcnt lgkmcnt(3)
	v_cndmask_b32_e32 v10, v9, v16, vcc
	s_waitcnt lgkmcnt(2)
	v_cndmask_b32_e32 v6, v15, v18, vcc
	v_add_co_u32_e32 v10, vcc, v10, v1
	v_addc_co_u32_e32 v11, vcc, 0, v6, vcc
	global_store_dword v[10:11], v7, off offset:3072
	s_or_b64 exec, exec, s[0:1]
	v_cmp_gt_u32_e32 vcc, s33, v17
	s_and_saveexec_b64 s[0:1], vcc
	s_cbranch_execz .LBB2237_81
.LBB2237_93:
	v_cmp_lt_u32_e32 vcc, v17, v8
	s_waitcnt lgkmcnt(2)
	v_cndmask_b32_e32 v6, v9, v16, vcc
	v_lshlrev_b32_e32 v7, 2, v17
	v_cndmask_b32_e32 v1, v15, v18, vcc
	v_add_co_u32_e32 v6, vcc, v6, v7
	v_addc_co_u32_e32 v7, vcc, 0, v1, vcc
	s_waitcnt lgkmcnt(1)
	global_store_dword v[6:7], v4, off
	s_or_b64 exec, exec, s[0:1]
	v_cmp_gt_u32_e32 vcc, s33, v14
	s_and_saveexec_b64 s[0:1], vcc
	s_cbranch_execnz .LBB2237_82
	s_branch .LBB2237_83
	.section	.rodata,"a",@progbits
	.p2align	6, 0x0
	.amdhsa_kernel _ZN7rocprim17ROCPRIM_400000_NS6detail17trampoline_kernelINS0_14default_configENS1_25partition_config_selectorILNS1_17partition_subalgoE1EjNS0_10empty_typeEbEEZZNS1_14partition_implILS5_1ELb0ES3_jN6thrust23THRUST_200600_302600_NS6detail15normal_iteratorINSA_10device_ptrIjEEEEPS6_NSA_18transform_iteratorI7is_evenIjESF_NSA_11use_defaultESK_EENS0_5tupleIJSF_SF_EEENSM_IJSG_SG_EEES6_PlJS6_EEE10hipError_tPvRmT3_T4_T5_T6_T7_T9_mT8_P12ihipStream_tbDpT10_ENKUlT_T0_E_clISt17integral_constantIbLb0EES19_EEDaS14_S15_EUlS14_E_NS1_11comp_targetILNS1_3genE4ELNS1_11target_archE910ELNS1_3gpuE8ELNS1_3repE0EEENS1_30default_config_static_selectorELNS0_4arch9wavefront6targetE1EEEvT1_
		.amdhsa_group_segment_fixed_size 7176
		.amdhsa_private_segment_fixed_size 0
		.amdhsa_kernarg_size 128
		.amdhsa_user_sgpr_count 6
		.amdhsa_user_sgpr_private_segment_buffer 1
		.amdhsa_user_sgpr_dispatch_ptr 0
		.amdhsa_user_sgpr_queue_ptr 0
		.amdhsa_user_sgpr_kernarg_segment_ptr 1
		.amdhsa_user_sgpr_dispatch_id 0
		.amdhsa_user_sgpr_flat_scratch_init 0
		.amdhsa_user_sgpr_kernarg_preload_length 0
		.amdhsa_user_sgpr_kernarg_preload_offset 0
		.amdhsa_user_sgpr_private_segment_size 0
		.amdhsa_uses_dynamic_stack 0
		.amdhsa_system_sgpr_private_segment_wavefront_offset 0
		.amdhsa_system_sgpr_workgroup_id_x 1
		.amdhsa_system_sgpr_workgroup_id_y 0
		.amdhsa_system_sgpr_workgroup_id_z 0
		.amdhsa_system_sgpr_workgroup_info 0
		.amdhsa_system_vgpr_workitem_id 0
		.amdhsa_next_free_vgpr 47
		.amdhsa_next_free_sgpr 44
		.amdhsa_accum_offset 48
		.amdhsa_reserve_vcc 1
		.amdhsa_reserve_flat_scratch 0
		.amdhsa_float_round_mode_32 0
		.amdhsa_float_round_mode_16_64 0
		.amdhsa_float_denorm_mode_32 3
		.amdhsa_float_denorm_mode_16_64 3
		.amdhsa_dx10_clamp 1
		.amdhsa_ieee_mode 1
		.amdhsa_fp16_overflow 0
		.amdhsa_tg_split 0
		.amdhsa_exception_fp_ieee_invalid_op 0
		.amdhsa_exception_fp_denorm_src 0
		.amdhsa_exception_fp_ieee_div_zero 0
		.amdhsa_exception_fp_ieee_overflow 0
		.amdhsa_exception_fp_ieee_underflow 0
		.amdhsa_exception_fp_ieee_inexact 0
		.amdhsa_exception_int_div_zero 0
	.end_amdhsa_kernel
	.section	.text._ZN7rocprim17ROCPRIM_400000_NS6detail17trampoline_kernelINS0_14default_configENS1_25partition_config_selectorILNS1_17partition_subalgoE1EjNS0_10empty_typeEbEEZZNS1_14partition_implILS5_1ELb0ES3_jN6thrust23THRUST_200600_302600_NS6detail15normal_iteratorINSA_10device_ptrIjEEEEPS6_NSA_18transform_iteratorI7is_evenIjESF_NSA_11use_defaultESK_EENS0_5tupleIJSF_SF_EEENSM_IJSG_SG_EEES6_PlJS6_EEE10hipError_tPvRmT3_T4_T5_T6_T7_T9_mT8_P12ihipStream_tbDpT10_ENKUlT_T0_E_clISt17integral_constantIbLb0EES19_EEDaS14_S15_EUlS14_E_NS1_11comp_targetILNS1_3genE4ELNS1_11target_archE910ELNS1_3gpuE8ELNS1_3repE0EEENS1_30default_config_static_selectorELNS0_4arch9wavefront6targetE1EEEvT1_,"axG",@progbits,_ZN7rocprim17ROCPRIM_400000_NS6detail17trampoline_kernelINS0_14default_configENS1_25partition_config_selectorILNS1_17partition_subalgoE1EjNS0_10empty_typeEbEEZZNS1_14partition_implILS5_1ELb0ES3_jN6thrust23THRUST_200600_302600_NS6detail15normal_iteratorINSA_10device_ptrIjEEEEPS6_NSA_18transform_iteratorI7is_evenIjESF_NSA_11use_defaultESK_EENS0_5tupleIJSF_SF_EEENSM_IJSG_SG_EEES6_PlJS6_EEE10hipError_tPvRmT3_T4_T5_T6_T7_T9_mT8_P12ihipStream_tbDpT10_ENKUlT_T0_E_clISt17integral_constantIbLb0EES19_EEDaS14_S15_EUlS14_E_NS1_11comp_targetILNS1_3genE4ELNS1_11target_archE910ELNS1_3gpuE8ELNS1_3repE0EEENS1_30default_config_static_selectorELNS0_4arch9wavefront6targetE1EEEvT1_,comdat
.Lfunc_end2237:
	.size	_ZN7rocprim17ROCPRIM_400000_NS6detail17trampoline_kernelINS0_14default_configENS1_25partition_config_selectorILNS1_17partition_subalgoE1EjNS0_10empty_typeEbEEZZNS1_14partition_implILS5_1ELb0ES3_jN6thrust23THRUST_200600_302600_NS6detail15normal_iteratorINSA_10device_ptrIjEEEEPS6_NSA_18transform_iteratorI7is_evenIjESF_NSA_11use_defaultESK_EENS0_5tupleIJSF_SF_EEENSM_IJSG_SG_EEES6_PlJS6_EEE10hipError_tPvRmT3_T4_T5_T6_T7_T9_mT8_P12ihipStream_tbDpT10_ENKUlT_T0_E_clISt17integral_constantIbLb0EES19_EEDaS14_S15_EUlS14_E_NS1_11comp_targetILNS1_3genE4ELNS1_11target_archE910ELNS1_3gpuE8ELNS1_3repE0EEENS1_30default_config_static_selectorELNS0_4arch9wavefront6targetE1EEEvT1_, .Lfunc_end2237-_ZN7rocprim17ROCPRIM_400000_NS6detail17trampoline_kernelINS0_14default_configENS1_25partition_config_selectorILNS1_17partition_subalgoE1EjNS0_10empty_typeEbEEZZNS1_14partition_implILS5_1ELb0ES3_jN6thrust23THRUST_200600_302600_NS6detail15normal_iteratorINSA_10device_ptrIjEEEEPS6_NSA_18transform_iteratorI7is_evenIjESF_NSA_11use_defaultESK_EENS0_5tupleIJSF_SF_EEENSM_IJSG_SG_EEES6_PlJS6_EEE10hipError_tPvRmT3_T4_T5_T6_T7_T9_mT8_P12ihipStream_tbDpT10_ENKUlT_T0_E_clISt17integral_constantIbLb0EES19_EEDaS14_S15_EUlS14_E_NS1_11comp_targetILNS1_3genE4ELNS1_11target_archE910ELNS1_3gpuE8ELNS1_3repE0EEENS1_30default_config_static_selectorELNS0_4arch9wavefront6targetE1EEEvT1_
                                        ; -- End function
	.section	.AMDGPU.csdata,"",@progbits
; Kernel info:
; codeLenInByte = 4616
; NumSgprs: 48
; NumVgprs: 47
; NumAgprs: 0
; TotalNumVgprs: 47
; ScratchSize: 0
; MemoryBound: 0
; FloatMode: 240
; IeeeMode: 1
; LDSByteSize: 7176 bytes/workgroup (compile time only)
; SGPRBlocks: 5
; VGPRBlocks: 5
; NumSGPRsForWavesPerEU: 48
; NumVGPRsForWavesPerEU: 47
; AccumOffset: 48
; Occupancy: 8
; WaveLimiterHint : 1
; COMPUTE_PGM_RSRC2:SCRATCH_EN: 0
; COMPUTE_PGM_RSRC2:USER_SGPR: 6
; COMPUTE_PGM_RSRC2:TRAP_HANDLER: 0
; COMPUTE_PGM_RSRC2:TGID_X_EN: 1
; COMPUTE_PGM_RSRC2:TGID_Y_EN: 0
; COMPUTE_PGM_RSRC2:TGID_Z_EN: 0
; COMPUTE_PGM_RSRC2:TIDIG_COMP_CNT: 0
; COMPUTE_PGM_RSRC3_GFX90A:ACCUM_OFFSET: 11
; COMPUTE_PGM_RSRC3_GFX90A:TG_SPLIT: 0
	.section	.text._ZN7rocprim17ROCPRIM_400000_NS6detail17trampoline_kernelINS0_14default_configENS1_25partition_config_selectorILNS1_17partition_subalgoE1EjNS0_10empty_typeEbEEZZNS1_14partition_implILS5_1ELb0ES3_jN6thrust23THRUST_200600_302600_NS6detail15normal_iteratorINSA_10device_ptrIjEEEEPS6_NSA_18transform_iteratorI7is_evenIjESF_NSA_11use_defaultESK_EENS0_5tupleIJSF_SF_EEENSM_IJSG_SG_EEES6_PlJS6_EEE10hipError_tPvRmT3_T4_T5_T6_T7_T9_mT8_P12ihipStream_tbDpT10_ENKUlT_T0_E_clISt17integral_constantIbLb0EES19_EEDaS14_S15_EUlS14_E_NS1_11comp_targetILNS1_3genE3ELNS1_11target_archE908ELNS1_3gpuE7ELNS1_3repE0EEENS1_30default_config_static_selectorELNS0_4arch9wavefront6targetE1EEEvT1_,"axG",@progbits,_ZN7rocprim17ROCPRIM_400000_NS6detail17trampoline_kernelINS0_14default_configENS1_25partition_config_selectorILNS1_17partition_subalgoE1EjNS0_10empty_typeEbEEZZNS1_14partition_implILS5_1ELb0ES3_jN6thrust23THRUST_200600_302600_NS6detail15normal_iteratorINSA_10device_ptrIjEEEEPS6_NSA_18transform_iteratorI7is_evenIjESF_NSA_11use_defaultESK_EENS0_5tupleIJSF_SF_EEENSM_IJSG_SG_EEES6_PlJS6_EEE10hipError_tPvRmT3_T4_T5_T6_T7_T9_mT8_P12ihipStream_tbDpT10_ENKUlT_T0_E_clISt17integral_constantIbLb0EES19_EEDaS14_S15_EUlS14_E_NS1_11comp_targetILNS1_3genE3ELNS1_11target_archE908ELNS1_3gpuE7ELNS1_3repE0EEENS1_30default_config_static_selectorELNS0_4arch9wavefront6targetE1EEEvT1_,comdat
	.protected	_ZN7rocprim17ROCPRIM_400000_NS6detail17trampoline_kernelINS0_14default_configENS1_25partition_config_selectorILNS1_17partition_subalgoE1EjNS0_10empty_typeEbEEZZNS1_14partition_implILS5_1ELb0ES3_jN6thrust23THRUST_200600_302600_NS6detail15normal_iteratorINSA_10device_ptrIjEEEEPS6_NSA_18transform_iteratorI7is_evenIjESF_NSA_11use_defaultESK_EENS0_5tupleIJSF_SF_EEENSM_IJSG_SG_EEES6_PlJS6_EEE10hipError_tPvRmT3_T4_T5_T6_T7_T9_mT8_P12ihipStream_tbDpT10_ENKUlT_T0_E_clISt17integral_constantIbLb0EES19_EEDaS14_S15_EUlS14_E_NS1_11comp_targetILNS1_3genE3ELNS1_11target_archE908ELNS1_3gpuE7ELNS1_3repE0EEENS1_30default_config_static_selectorELNS0_4arch9wavefront6targetE1EEEvT1_ ; -- Begin function _ZN7rocprim17ROCPRIM_400000_NS6detail17trampoline_kernelINS0_14default_configENS1_25partition_config_selectorILNS1_17partition_subalgoE1EjNS0_10empty_typeEbEEZZNS1_14partition_implILS5_1ELb0ES3_jN6thrust23THRUST_200600_302600_NS6detail15normal_iteratorINSA_10device_ptrIjEEEEPS6_NSA_18transform_iteratorI7is_evenIjESF_NSA_11use_defaultESK_EENS0_5tupleIJSF_SF_EEENSM_IJSG_SG_EEES6_PlJS6_EEE10hipError_tPvRmT3_T4_T5_T6_T7_T9_mT8_P12ihipStream_tbDpT10_ENKUlT_T0_E_clISt17integral_constantIbLb0EES19_EEDaS14_S15_EUlS14_E_NS1_11comp_targetILNS1_3genE3ELNS1_11target_archE908ELNS1_3gpuE7ELNS1_3repE0EEENS1_30default_config_static_selectorELNS0_4arch9wavefront6targetE1EEEvT1_
	.globl	_ZN7rocprim17ROCPRIM_400000_NS6detail17trampoline_kernelINS0_14default_configENS1_25partition_config_selectorILNS1_17partition_subalgoE1EjNS0_10empty_typeEbEEZZNS1_14partition_implILS5_1ELb0ES3_jN6thrust23THRUST_200600_302600_NS6detail15normal_iteratorINSA_10device_ptrIjEEEEPS6_NSA_18transform_iteratorI7is_evenIjESF_NSA_11use_defaultESK_EENS0_5tupleIJSF_SF_EEENSM_IJSG_SG_EEES6_PlJS6_EEE10hipError_tPvRmT3_T4_T5_T6_T7_T9_mT8_P12ihipStream_tbDpT10_ENKUlT_T0_E_clISt17integral_constantIbLb0EES19_EEDaS14_S15_EUlS14_E_NS1_11comp_targetILNS1_3genE3ELNS1_11target_archE908ELNS1_3gpuE7ELNS1_3repE0EEENS1_30default_config_static_selectorELNS0_4arch9wavefront6targetE1EEEvT1_
	.p2align	8
	.type	_ZN7rocprim17ROCPRIM_400000_NS6detail17trampoline_kernelINS0_14default_configENS1_25partition_config_selectorILNS1_17partition_subalgoE1EjNS0_10empty_typeEbEEZZNS1_14partition_implILS5_1ELb0ES3_jN6thrust23THRUST_200600_302600_NS6detail15normal_iteratorINSA_10device_ptrIjEEEEPS6_NSA_18transform_iteratorI7is_evenIjESF_NSA_11use_defaultESK_EENS0_5tupleIJSF_SF_EEENSM_IJSG_SG_EEES6_PlJS6_EEE10hipError_tPvRmT3_T4_T5_T6_T7_T9_mT8_P12ihipStream_tbDpT10_ENKUlT_T0_E_clISt17integral_constantIbLb0EES19_EEDaS14_S15_EUlS14_E_NS1_11comp_targetILNS1_3genE3ELNS1_11target_archE908ELNS1_3gpuE7ELNS1_3repE0EEENS1_30default_config_static_selectorELNS0_4arch9wavefront6targetE1EEEvT1_,@function
_ZN7rocprim17ROCPRIM_400000_NS6detail17trampoline_kernelINS0_14default_configENS1_25partition_config_selectorILNS1_17partition_subalgoE1EjNS0_10empty_typeEbEEZZNS1_14partition_implILS5_1ELb0ES3_jN6thrust23THRUST_200600_302600_NS6detail15normal_iteratorINSA_10device_ptrIjEEEEPS6_NSA_18transform_iteratorI7is_evenIjESF_NSA_11use_defaultESK_EENS0_5tupleIJSF_SF_EEENSM_IJSG_SG_EEES6_PlJS6_EEE10hipError_tPvRmT3_T4_T5_T6_T7_T9_mT8_P12ihipStream_tbDpT10_ENKUlT_T0_E_clISt17integral_constantIbLb0EES19_EEDaS14_S15_EUlS14_E_NS1_11comp_targetILNS1_3genE3ELNS1_11target_archE908ELNS1_3gpuE7ELNS1_3repE0EEENS1_30default_config_static_selectorELNS0_4arch9wavefront6targetE1EEEvT1_: ; @_ZN7rocprim17ROCPRIM_400000_NS6detail17trampoline_kernelINS0_14default_configENS1_25partition_config_selectorILNS1_17partition_subalgoE1EjNS0_10empty_typeEbEEZZNS1_14partition_implILS5_1ELb0ES3_jN6thrust23THRUST_200600_302600_NS6detail15normal_iteratorINSA_10device_ptrIjEEEEPS6_NSA_18transform_iteratorI7is_evenIjESF_NSA_11use_defaultESK_EENS0_5tupleIJSF_SF_EEENSM_IJSG_SG_EEES6_PlJS6_EEE10hipError_tPvRmT3_T4_T5_T6_T7_T9_mT8_P12ihipStream_tbDpT10_ENKUlT_T0_E_clISt17integral_constantIbLb0EES19_EEDaS14_S15_EUlS14_E_NS1_11comp_targetILNS1_3genE3ELNS1_11target_archE908ELNS1_3gpuE7ELNS1_3repE0EEENS1_30default_config_static_selectorELNS0_4arch9wavefront6targetE1EEEvT1_
; %bb.0:
	.section	.rodata,"a",@progbits
	.p2align	6, 0x0
	.amdhsa_kernel _ZN7rocprim17ROCPRIM_400000_NS6detail17trampoline_kernelINS0_14default_configENS1_25partition_config_selectorILNS1_17partition_subalgoE1EjNS0_10empty_typeEbEEZZNS1_14partition_implILS5_1ELb0ES3_jN6thrust23THRUST_200600_302600_NS6detail15normal_iteratorINSA_10device_ptrIjEEEEPS6_NSA_18transform_iteratorI7is_evenIjESF_NSA_11use_defaultESK_EENS0_5tupleIJSF_SF_EEENSM_IJSG_SG_EEES6_PlJS6_EEE10hipError_tPvRmT3_T4_T5_T6_T7_T9_mT8_P12ihipStream_tbDpT10_ENKUlT_T0_E_clISt17integral_constantIbLb0EES19_EEDaS14_S15_EUlS14_E_NS1_11comp_targetILNS1_3genE3ELNS1_11target_archE908ELNS1_3gpuE7ELNS1_3repE0EEENS1_30default_config_static_selectorELNS0_4arch9wavefront6targetE1EEEvT1_
		.amdhsa_group_segment_fixed_size 0
		.amdhsa_private_segment_fixed_size 0
		.amdhsa_kernarg_size 128
		.amdhsa_user_sgpr_count 6
		.amdhsa_user_sgpr_private_segment_buffer 1
		.amdhsa_user_sgpr_dispatch_ptr 0
		.amdhsa_user_sgpr_queue_ptr 0
		.amdhsa_user_sgpr_kernarg_segment_ptr 1
		.amdhsa_user_sgpr_dispatch_id 0
		.amdhsa_user_sgpr_flat_scratch_init 0
		.amdhsa_user_sgpr_kernarg_preload_length 0
		.amdhsa_user_sgpr_kernarg_preload_offset 0
		.amdhsa_user_sgpr_private_segment_size 0
		.amdhsa_uses_dynamic_stack 0
		.amdhsa_system_sgpr_private_segment_wavefront_offset 0
		.amdhsa_system_sgpr_workgroup_id_x 1
		.amdhsa_system_sgpr_workgroup_id_y 0
		.amdhsa_system_sgpr_workgroup_id_z 0
		.amdhsa_system_sgpr_workgroup_info 0
		.amdhsa_system_vgpr_workitem_id 0
		.amdhsa_next_free_vgpr 1
		.amdhsa_next_free_sgpr 0
		.amdhsa_accum_offset 4
		.amdhsa_reserve_vcc 0
		.amdhsa_reserve_flat_scratch 0
		.amdhsa_float_round_mode_32 0
		.amdhsa_float_round_mode_16_64 0
		.amdhsa_float_denorm_mode_32 3
		.amdhsa_float_denorm_mode_16_64 3
		.amdhsa_dx10_clamp 1
		.amdhsa_ieee_mode 1
		.amdhsa_fp16_overflow 0
		.amdhsa_tg_split 0
		.amdhsa_exception_fp_ieee_invalid_op 0
		.amdhsa_exception_fp_denorm_src 0
		.amdhsa_exception_fp_ieee_div_zero 0
		.amdhsa_exception_fp_ieee_overflow 0
		.amdhsa_exception_fp_ieee_underflow 0
		.amdhsa_exception_fp_ieee_inexact 0
		.amdhsa_exception_int_div_zero 0
	.end_amdhsa_kernel
	.section	.text._ZN7rocprim17ROCPRIM_400000_NS6detail17trampoline_kernelINS0_14default_configENS1_25partition_config_selectorILNS1_17partition_subalgoE1EjNS0_10empty_typeEbEEZZNS1_14partition_implILS5_1ELb0ES3_jN6thrust23THRUST_200600_302600_NS6detail15normal_iteratorINSA_10device_ptrIjEEEEPS6_NSA_18transform_iteratorI7is_evenIjESF_NSA_11use_defaultESK_EENS0_5tupleIJSF_SF_EEENSM_IJSG_SG_EEES6_PlJS6_EEE10hipError_tPvRmT3_T4_T5_T6_T7_T9_mT8_P12ihipStream_tbDpT10_ENKUlT_T0_E_clISt17integral_constantIbLb0EES19_EEDaS14_S15_EUlS14_E_NS1_11comp_targetILNS1_3genE3ELNS1_11target_archE908ELNS1_3gpuE7ELNS1_3repE0EEENS1_30default_config_static_selectorELNS0_4arch9wavefront6targetE1EEEvT1_,"axG",@progbits,_ZN7rocprim17ROCPRIM_400000_NS6detail17trampoline_kernelINS0_14default_configENS1_25partition_config_selectorILNS1_17partition_subalgoE1EjNS0_10empty_typeEbEEZZNS1_14partition_implILS5_1ELb0ES3_jN6thrust23THRUST_200600_302600_NS6detail15normal_iteratorINSA_10device_ptrIjEEEEPS6_NSA_18transform_iteratorI7is_evenIjESF_NSA_11use_defaultESK_EENS0_5tupleIJSF_SF_EEENSM_IJSG_SG_EEES6_PlJS6_EEE10hipError_tPvRmT3_T4_T5_T6_T7_T9_mT8_P12ihipStream_tbDpT10_ENKUlT_T0_E_clISt17integral_constantIbLb0EES19_EEDaS14_S15_EUlS14_E_NS1_11comp_targetILNS1_3genE3ELNS1_11target_archE908ELNS1_3gpuE7ELNS1_3repE0EEENS1_30default_config_static_selectorELNS0_4arch9wavefront6targetE1EEEvT1_,comdat
.Lfunc_end2238:
	.size	_ZN7rocprim17ROCPRIM_400000_NS6detail17trampoline_kernelINS0_14default_configENS1_25partition_config_selectorILNS1_17partition_subalgoE1EjNS0_10empty_typeEbEEZZNS1_14partition_implILS5_1ELb0ES3_jN6thrust23THRUST_200600_302600_NS6detail15normal_iteratorINSA_10device_ptrIjEEEEPS6_NSA_18transform_iteratorI7is_evenIjESF_NSA_11use_defaultESK_EENS0_5tupleIJSF_SF_EEENSM_IJSG_SG_EEES6_PlJS6_EEE10hipError_tPvRmT3_T4_T5_T6_T7_T9_mT8_P12ihipStream_tbDpT10_ENKUlT_T0_E_clISt17integral_constantIbLb0EES19_EEDaS14_S15_EUlS14_E_NS1_11comp_targetILNS1_3genE3ELNS1_11target_archE908ELNS1_3gpuE7ELNS1_3repE0EEENS1_30default_config_static_selectorELNS0_4arch9wavefront6targetE1EEEvT1_, .Lfunc_end2238-_ZN7rocprim17ROCPRIM_400000_NS6detail17trampoline_kernelINS0_14default_configENS1_25partition_config_selectorILNS1_17partition_subalgoE1EjNS0_10empty_typeEbEEZZNS1_14partition_implILS5_1ELb0ES3_jN6thrust23THRUST_200600_302600_NS6detail15normal_iteratorINSA_10device_ptrIjEEEEPS6_NSA_18transform_iteratorI7is_evenIjESF_NSA_11use_defaultESK_EENS0_5tupleIJSF_SF_EEENSM_IJSG_SG_EEES6_PlJS6_EEE10hipError_tPvRmT3_T4_T5_T6_T7_T9_mT8_P12ihipStream_tbDpT10_ENKUlT_T0_E_clISt17integral_constantIbLb0EES19_EEDaS14_S15_EUlS14_E_NS1_11comp_targetILNS1_3genE3ELNS1_11target_archE908ELNS1_3gpuE7ELNS1_3repE0EEENS1_30default_config_static_selectorELNS0_4arch9wavefront6targetE1EEEvT1_
                                        ; -- End function
	.section	.AMDGPU.csdata,"",@progbits
; Kernel info:
; codeLenInByte = 0
; NumSgprs: 4
; NumVgprs: 0
; NumAgprs: 0
; TotalNumVgprs: 0
; ScratchSize: 0
; MemoryBound: 0
; FloatMode: 240
; IeeeMode: 1
; LDSByteSize: 0 bytes/workgroup (compile time only)
; SGPRBlocks: 0
; VGPRBlocks: 0
; NumSGPRsForWavesPerEU: 4
; NumVGPRsForWavesPerEU: 1
; AccumOffset: 4
; Occupancy: 8
; WaveLimiterHint : 0
; COMPUTE_PGM_RSRC2:SCRATCH_EN: 0
; COMPUTE_PGM_RSRC2:USER_SGPR: 6
; COMPUTE_PGM_RSRC2:TRAP_HANDLER: 0
; COMPUTE_PGM_RSRC2:TGID_X_EN: 1
; COMPUTE_PGM_RSRC2:TGID_Y_EN: 0
; COMPUTE_PGM_RSRC2:TGID_Z_EN: 0
; COMPUTE_PGM_RSRC2:TIDIG_COMP_CNT: 0
; COMPUTE_PGM_RSRC3_GFX90A:ACCUM_OFFSET: 0
; COMPUTE_PGM_RSRC3_GFX90A:TG_SPLIT: 0
	.section	.text._ZN7rocprim17ROCPRIM_400000_NS6detail17trampoline_kernelINS0_14default_configENS1_25partition_config_selectorILNS1_17partition_subalgoE1EjNS0_10empty_typeEbEEZZNS1_14partition_implILS5_1ELb0ES3_jN6thrust23THRUST_200600_302600_NS6detail15normal_iteratorINSA_10device_ptrIjEEEEPS6_NSA_18transform_iteratorI7is_evenIjESF_NSA_11use_defaultESK_EENS0_5tupleIJSF_SF_EEENSM_IJSG_SG_EEES6_PlJS6_EEE10hipError_tPvRmT3_T4_T5_T6_T7_T9_mT8_P12ihipStream_tbDpT10_ENKUlT_T0_E_clISt17integral_constantIbLb0EES19_EEDaS14_S15_EUlS14_E_NS1_11comp_targetILNS1_3genE2ELNS1_11target_archE906ELNS1_3gpuE6ELNS1_3repE0EEENS1_30default_config_static_selectorELNS0_4arch9wavefront6targetE1EEEvT1_,"axG",@progbits,_ZN7rocprim17ROCPRIM_400000_NS6detail17trampoline_kernelINS0_14default_configENS1_25partition_config_selectorILNS1_17partition_subalgoE1EjNS0_10empty_typeEbEEZZNS1_14partition_implILS5_1ELb0ES3_jN6thrust23THRUST_200600_302600_NS6detail15normal_iteratorINSA_10device_ptrIjEEEEPS6_NSA_18transform_iteratorI7is_evenIjESF_NSA_11use_defaultESK_EENS0_5tupleIJSF_SF_EEENSM_IJSG_SG_EEES6_PlJS6_EEE10hipError_tPvRmT3_T4_T5_T6_T7_T9_mT8_P12ihipStream_tbDpT10_ENKUlT_T0_E_clISt17integral_constantIbLb0EES19_EEDaS14_S15_EUlS14_E_NS1_11comp_targetILNS1_3genE2ELNS1_11target_archE906ELNS1_3gpuE6ELNS1_3repE0EEENS1_30default_config_static_selectorELNS0_4arch9wavefront6targetE1EEEvT1_,comdat
	.protected	_ZN7rocprim17ROCPRIM_400000_NS6detail17trampoline_kernelINS0_14default_configENS1_25partition_config_selectorILNS1_17partition_subalgoE1EjNS0_10empty_typeEbEEZZNS1_14partition_implILS5_1ELb0ES3_jN6thrust23THRUST_200600_302600_NS6detail15normal_iteratorINSA_10device_ptrIjEEEEPS6_NSA_18transform_iteratorI7is_evenIjESF_NSA_11use_defaultESK_EENS0_5tupleIJSF_SF_EEENSM_IJSG_SG_EEES6_PlJS6_EEE10hipError_tPvRmT3_T4_T5_T6_T7_T9_mT8_P12ihipStream_tbDpT10_ENKUlT_T0_E_clISt17integral_constantIbLb0EES19_EEDaS14_S15_EUlS14_E_NS1_11comp_targetILNS1_3genE2ELNS1_11target_archE906ELNS1_3gpuE6ELNS1_3repE0EEENS1_30default_config_static_selectorELNS0_4arch9wavefront6targetE1EEEvT1_ ; -- Begin function _ZN7rocprim17ROCPRIM_400000_NS6detail17trampoline_kernelINS0_14default_configENS1_25partition_config_selectorILNS1_17partition_subalgoE1EjNS0_10empty_typeEbEEZZNS1_14partition_implILS5_1ELb0ES3_jN6thrust23THRUST_200600_302600_NS6detail15normal_iteratorINSA_10device_ptrIjEEEEPS6_NSA_18transform_iteratorI7is_evenIjESF_NSA_11use_defaultESK_EENS0_5tupleIJSF_SF_EEENSM_IJSG_SG_EEES6_PlJS6_EEE10hipError_tPvRmT3_T4_T5_T6_T7_T9_mT8_P12ihipStream_tbDpT10_ENKUlT_T0_E_clISt17integral_constantIbLb0EES19_EEDaS14_S15_EUlS14_E_NS1_11comp_targetILNS1_3genE2ELNS1_11target_archE906ELNS1_3gpuE6ELNS1_3repE0EEENS1_30default_config_static_selectorELNS0_4arch9wavefront6targetE1EEEvT1_
	.globl	_ZN7rocprim17ROCPRIM_400000_NS6detail17trampoline_kernelINS0_14default_configENS1_25partition_config_selectorILNS1_17partition_subalgoE1EjNS0_10empty_typeEbEEZZNS1_14partition_implILS5_1ELb0ES3_jN6thrust23THRUST_200600_302600_NS6detail15normal_iteratorINSA_10device_ptrIjEEEEPS6_NSA_18transform_iteratorI7is_evenIjESF_NSA_11use_defaultESK_EENS0_5tupleIJSF_SF_EEENSM_IJSG_SG_EEES6_PlJS6_EEE10hipError_tPvRmT3_T4_T5_T6_T7_T9_mT8_P12ihipStream_tbDpT10_ENKUlT_T0_E_clISt17integral_constantIbLb0EES19_EEDaS14_S15_EUlS14_E_NS1_11comp_targetILNS1_3genE2ELNS1_11target_archE906ELNS1_3gpuE6ELNS1_3repE0EEENS1_30default_config_static_selectorELNS0_4arch9wavefront6targetE1EEEvT1_
	.p2align	8
	.type	_ZN7rocprim17ROCPRIM_400000_NS6detail17trampoline_kernelINS0_14default_configENS1_25partition_config_selectorILNS1_17partition_subalgoE1EjNS0_10empty_typeEbEEZZNS1_14partition_implILS5_1ELb0ES3_jN6thrust23THRUST_200600_302600_NS6detail15normal_iteratorINSA_10device_ptrIjEEEEPS6_NSA_18transform_iteratorI7is_evenIjESF_NSA_11use_defaultESK_EENS0_5tupleIJSF_SF_EEENSM_IJSG_SG_EEES6_PlJS6_EEE10hipError_tPvRmT3_T4_T5_T6_T7_T9_mT8_P12ihipStream_tbDpT10_ENKUlT_T0_E_clISt17integral_constantIbLb0EES19_EEDaS14_S15_EUlS14_E_NS1_11comp_targetILNS1_3genE2ELNS1_11target_archE906ELNS1_3gpuE6ELNS1_3repE0EEENS1_30default_config_static_selectorELNS0_4arch9wavefront6targetE1EEEvT1_,@function
_ZN7rocprim17ROCPRIM_400000_NS6detail17trampoline_kernelINS0_14default_configENS1_25partition_config_selectorILNS1_17partition_subalgoE1EjNS0_10empty_typeEbEEZZNS1_14partition_implILS5_1ELb0ES3_jN6thrust23THRUST_200600_302600_NS6detail15normal_iteratorINSA_10device_ptrIjEEEEPS6_NSA_18transform_iteratorI7is_evenIjESF_NSA_11use_defaultESK_EENS0_5tupleIJSF_SF_EEENSM_IJSG_SG_EEES6_PlJS6_EEE10hipError_tPvRmT3_T4_T5_T6_T7_T9_mT8_P12ihipStream_tbDpT10_ENKUlT_T0_E_clISt17integral_constantIbLb0EES19_EEDaS14_S15_EUlS14_E_NS1_11comp_targetILNS1_3genE2ELNS1_11target_archE906ELNS1_3gpuE6ELNS1_3repE0EEENS1_30default_config_static_selectorELNS0_4arch9wavefront6targetE1EEEvT1_: ; @_ZN7rocprim17ROCPRIM_400000_NS6detail17trampoline_kernelINS0_14default_configENS1_25partition_config_selectorILNS1_17partition_subalgoE1EjNS0_10empty_typeEbEEZZNS1_14partition_implILS5_1ELb0ES3_jN6thrust23THRUST_200600_302600_NS6detail15normal_iteratorINSA_10device_ptrIjEEEEPS6_NSA_18transform_iteratorI7is_evenIjESF_NSA_11use_defaultESK_EENS0_5tupleIJSF_SF_EEENSM_IJSG_SG_EEES6_PlJS6_EEE10hipError_tPvRmT3_T4_T5_T6_T7_T9_mT8_P12ihipStream_tbDpT10_ENKUlT_T0_E_clISt17integral_constantIbLb0EES19_EEDaS14_S15_EUlS14_E_NS1_11comp_targetILNS1_3genE2ELNS1_11target_archE906ELNS1_3gpuE6ELNS1_3repE0EEENS1_30default_config_static_selectorELNS0_4arch9wavefront6targetE1EEEvT1_
; %bb.0:
	.section	.rodata,"a",@progbits
	.p2align	6, 0x0
	.amdhsa_kernel _ZN7rocprim17ROCPRIM_400000_NS6detail17trampoline_kernelINS0_14default_configENS1_25partition_config_selectorILNS1_17partition_subalgoE1EjNS0_10empty_typeEbEEZZNS1_14partition_implILS5_1ELb0ES3_jN6thrust23THRUST_200600_302600_NS6detail15normal_iteratorINSA_10device_ptrIjEEEEPS6_NSA_18transform_iteratorI7is_evenIjESF_NSA_11use_defaultESK_EENS0_5tupleIJSF_SF_EEENSM_IJSG_SG_EEES6_PlJS6_EEE10hipError_tPvRmT3_T4_T5_T6_T7_T9_mT8_P12ihipStream_tbDpT10_ENKUlT_T0_E_clISt17integral_constantIbLb0EES19_EEDaS14_S15_EUlS14_E_NS1_11comp_targetILNS1_3genE2ELNS1_11target_archE906ELNS1_3gpuE6ELNS1_3repE0EEENS1_30default_config_static_selectorELNS0_4arch9wavefront6targetE1EEEvT1_
		.amdhsa_group_segment_fixed_size 0
		.amdhsa_private_segment_fixed_size 0
		.amdhsa_kernarg_size 128
		.amdhsa_user_sgpr_count 6
		.amdhsa_user_sgpr_private_segment_buffer 1
		.amdhsa_user_sgpr_dispatch_ptr 0
		.amdhsa_user_sgpr_queue_ptr 0
		.amdhsa_user_sgpr_kernarg_segment_ptr 1
		.amdhsa_user_sgpr_dispatch_id 0
		.amdhsa_user_sgpr_flat_scratch_init 0
		.amdhsa_user_sgpr_kernarg_preload_length 0
		.amdhsa_user_sgpr_kernarg_preload_offset 0
		.amdhsa_user_sgpr_private_segment_size 0
		.amdhsa_uses_dynamic_stack 0
		.amdhsa_system_sgpr_private_segment_wavefront_offset 0
		.amdhsa_system_sgpr_workgroup_id_x 1
		.amdhsa_system_sgpr_workgroup_id_y 0
		.amdhsa_system_sgpr_workgroup_id_z 0
		.amdhsa_system_sgpr_workgroup_info 0
		.amdhsa_system_vgpr_workitem_id 0
		.amdhsa_next_free_vgpr 1
		.amdhsa_next_free_sgpr 0
		.amdhsa_accum_offset 4
		.amdhsa_reserve_vcc 0
		.amdhsa_reserve_flat_scratch 0
		.amdhsa_float_round_mode_32 0
		.amdhsa_float_round_mode_16_64 0
		.amdhsa_float_denorm_mode_32 3
		.amdhsa_float_denorm_mode_16_64 3
		.amdhsa_dx10_clamp 1
		.amdhsa_ieee_mode 1
		.amdhsa_fp16_overflow 0
		.amdhsa_tg_split 0
		.amdhsa_exception_fp_ieee_invalid_op 0
		.amdhsa_exception_fp_denorm_src 0
		.amdhsa_exception_fp_ieee_div_zero 0
		.amdhsa_exception_fp_ieee_overflow 0
		.amdhsa_exception_fp_ieee_underflow 0
		.amdhsa_exception_fp_ieee_inexact 0
		.amdhsa_exception_int_div_zero 0
	.end_amdhsa_kernel
	.section	.text._ZN7rocprim17ROCPRIM_400000_NS6detail17trampoline_kernelINS0_14default_configENS1_25partition_config_selectorILNS1_17partition_subalgoE1EjNS0_10empty_typeEbEEZZNS1_14partition_implILS5_1ELb0ES3_jN6thrust23THRUST_200600_302600_NS6detail15normal_iteratorINSA_10device_ptrIjEEEEPS6_NSA_18transform_iteratorI7is_evenIjESF_NSA_11use_defaultESK_EENS0_5tupleIJSF_SF_EEENSM_IJSG_SG_EEES6_PlJS6_EEE10hipError_tPvRmT3_T4_T5_T6_T7_T9_mT8_P12ihipStream_tbDpT10_ENKUlT_T0_E_clISt17integral_constantIbLb0EES19_EEDaS14_S15_EUlS14_E_NS1_11comp_targetILNS1_3genE2ELNS1_11target_archE906ELNS1_3gpuE6ELNS1_3repE0EEENS1_30default_config_static_selectorELNS0_4arch9wavefront6targetE1EEEvT1_,"axG",@progbits,_ZN7rocprim17ROCPRIM_400000_NS6detail17trampoline_kernelINS0_14default_configENS1_25partition_config_selectorILNS1_17partition_subalgoE1EjNS0_10empty_typeEbEEZZNS1_14partition_implILS5_1ELb0ES3_jN6thrust23THRUST_200600_302600_NS6detail15normal_iteratorINSA_10device_ptrIjEEEEPS6_NSA_18transform_iteratorI7is_evenIjESF_NSA_11use_defaultESK_EENS0_5tupleIJSF_SF_EEENSM_IJSG_SG_EEES6_PlJS6_EEE10hipError_tPvRmT3_T4_T5_T6_T7_T9_mT8_P12ihipStream_tbDpT10_ENKUlT_T0_E_clISt17integral_constantIbLb0EES19_EEDaS14_S15_EUlS14_E_NS1_11comp_targetILNS1_3genE2ELNS1_11target_archE906ELNS1_3gpuE6ELNS1_3repE0EEENS1_30default_config_static_selectorELNS0_4arch9wavefront6targetE1EEEvT1_,comdat
.Lfunc_end2239:
	.size	_ZN7rocprim17ROCPRIM_400000_NS6detail17trampoline_kernelINS0_14default_configENS1_25partition_config_selectorILNS1_17partition_subalgoE1EjNS0_10empty_typeEbEEZZNS1_14partition_implILS5_1ELb0ES3_jN6thrust23THRUST_200600_302600_NS6detail15normal_iteratorINSA_10device_ptrIjEEEEPS6_NSA_18transform_iteratorI7is_evenIjESF_NSA_11use_defaultESK_EENS0_5tupleIJSF_SF_EEENSM_IJSG_SG_EEES6_PlJS6_EEE10hipError_tPvRmT3_T4_T5_T6_T7_T9_mT8_P12ihipStream_tbDpT10_ENKUlT_T0_E_clISt17integral_constantIbLb0EES19_EEDaS14_S15_EUlS14_E_NS1_11comp_targetILNS1_3genE2ELNS1_11target_archE906ELNS1_3gpuE6ELNS1_3repE0EEENS1_30default_config_static_selectorELNS0_4arch9wavefront6targetE1EEEvT1_, .Lfunc_end2239-_ZN7rocprim17ROCPRIM_400000_NS6detail17trampoline_kernelINS0_14default_configENS1_25partition_config_selectorILNS1_17partition_subalgoE1EjNS0_10empty_typeEbEEZZNS1_14partition_implILS5_1ELb0ES3_jN6thrust23THRUST_200600_302600_NS6detail15normal_iteratorINSA_10device_ptrIjEEEEPS6_NSA_18transform_iteratorI7is_evenIjESF_NSA_11use_defaultESK_EENS0_5tupleIJSF_SF_EEENSM_IJSG_SG_EEES6_PlJS6_EEE10hipError_tPvRmT3_T4_T5_T6_T7_T9_mT8_P12ihipStream_tbDpT10_ENKUlT_T0_E_clISt17integral_constantIbLb0EES19_EEDaS14_S15_EUlS14_E_NS1_11comp_targetILNS1_3genE2ELNS1_11target_archE906ELNS1_3gpuE6ELNS1_3repE0EEENS1_30default_config_static_selectorELNS0_4arch9wavefront6targetE1EEEvT1_
                                        ; -- End function
	.section	.AMDGPU.csdata,"",@progbits
; Kernel info:
; codeLenInByte = 0
; NumSgprs: 4
; NumVgprs: 0
; NumAgprs: 0
; TotalNumVgprs: 0
; ScratchSize: 0
; MemoryBound: 0
; FloatMode: 240
; IeeeMode: 1
; LDSByteSize: 0 bytes/workgroup (compile time only)
; SGPRBlocks: 0
; VGPRBlocks: 0
; NumSGPRsForWavesPerEU: 4
; NumVGPRsForWavesPerEU: 1
; AccumOffset: 4
; Occupancy: 8
; WaveLimiterHint : 0
; COMPUTE_PGM_RSRC2:SCRATCH_EN: 0
; COMPUTE_PGM_RSRC2:USER_SGPR: 6
; COMPUTE_PGM_RSRC2:TRAP_HANDLER: 0
; COMPUTE_PGM_RSRC2:TGID_X_EN: 1
; COMPUTE_PGM_RSRC2:TGID_Y_EN: 0
; COMPUTE_PGM_RSRC2:TGID_Z_EN: 0
; COMPUTE_PGM_RSRC2:TIDIG_COMP_CNT: 0
; COMPUTE_PGM_RSRC3_GFX90A:ACCUM_OFFSET: 0
; COMPUTE_PGM_RSRC3_GFX90A:TG_SPLIT: 0
	.section	.text._ZN7rocprim17ROCPRIM_400000_NS6detail17trampoline_kernelINS0_14default_configENS1_25partition_config_selectorILNS1_17partition_subalgoE1EjNS0_10empty_typeEbEEZZNS1_14partition_implILS5_1ELb0ES3_jN6thrust23THRUST_200600_302600_NS6detail15normal_iteratorINSA_10device_ptrIjEEEEPS6_NSA_18transform_iteratorI7is_evenIjESF_NSA_11use_defaultESK_EENS0_5tupleIJSF_SF_EEENSM_IJSG_SG_EEES6_PlJS6_EEE10hipError_tPvRmT3_T4_T5_T6_T7_T9_mT8_P12ihipStream_tbDpT10_ENKUlT_T0_E_clISt17integral_constantIbLb0EES19_EEDaS14_S15_EUlS14_E_NS1_11comp_targetILNS1_3genE10ELNS1_11target_archE1200ELNS1_3gpuE4ELNS1_3repE0EEENS1_30default_config_static_selectorELNS0_4arch9wavefront6targetE1EEEvT1_,"axG",@progbits,_ZN7rocprim17ROCPRIM_400000_NS6detail17trampoline_kernelINS0_14default_configENS1_25partition_config_selectorILNS1_17partition_subalgoE1EjNS0_10empty_typeEbEEZZNS1_14partition_implILS5_1ELb0ES3_jN6thrust23THRUST_200600_302600_NS6detail15normal_iteratorINSA_10device_ptrIjEEEEPS6_NSA_18transform_iteratorI7is_evenIjESF_NSA_11use_defaultESK_EENS0_5tupleIJSF_SF_EEENSM_IJSG_SG_EEES6_PlJS6_EEE10hipError_tPvRmT3_T4_T5_T6_T7_T9_mT8_P12ihipStream_tbDpT10_ENKUlT_T0_E_clISt17integral_constantIbLb0EES19_EEDaS14_S15_EUlS14_E_NS1_11comp_targetILNS1_3genE10ELNS1_11target_archE1200ELNS1_3gpuE4ELNS1_3repE0EEENS1_30default_config_static_selectorELNS0_4arch9wavefront6targetE1EEEvT1_,comdat
	.protected	_ZN7rocprim17ROCPRIM_400000_NS6detail17trampoline_kernelINS0_14default_configENS1_25partition_config_selectorILNS1_17partition_subalgoE1EjNS0_10empty_typeEbEEZZNS1_14partition_implILS5_1ELb0ES3_jN6thrust23THRUST_200600_302600_NS6detail15normal_iteratorINSA_10device_ptrIjEEEEPS6_NSA_18transform_iteratorI7is_evenIjESF_NSA_11use_defaultESK_EENS0_5tupleIJSF_SF_EEENSM_IJSG_SG_EEES6_PlJS6_EEE10hipError_tPvRmT3_T4_T5_T6_T7_T9_mT8_P12ihipStream_tbDpT10_ENKUlT_T0_E_clISt17integral_constantIbLb0EES19_EEDaS14_S15_EUlS14_E_NS1_11comp_targetILNS1_3genE10ELNS1_11target_archE1200ELNS1_3gpuE4ELNS1_3repE0EEENS1_30default_config_static_selectorELNS0_4arch9wavefront6targetE1EEEvT1_ ; -- Begin function _ZN7rocprim17ROCPRIM_400000_NS6detail17trampoline_kernelINS0_14default_configENS1_25partition_config_selectorILNS1_17partition_subalgoE1EjNS0_10empty_typeEbEEZZNS1_14partition_implILS5_1ELb0ES3_jN6thrust23THRUST_200600_302600_NS6detail15normal_iteratorINSA_10device_ptrIjEEEEPS6_NSA_18transform_iteratorI7is_evenIjESF_NSA_11use_defaultESK_EENS0_5tupleIJSF_SF_EEENSM_IJSG_SG_EEES6_PlJS6_EEE10hipError_tPvRmT3_T4_T5_T6_T7_T9_mT8_P12ihipStream_tbDpT10_ENKUlT_T0_E_clISt17integral_constantIbLb0EES19_EEDaS14_S15_EUlS14_E_NS1_11comp_targetILNS1_3genE10ELNS1_11target_archE1200ELNS1_3gpuE4ELNS1_3repE0EEENS1_30default_config_static_selectorELNS0_4arch9wavefront6targetE1EEEvT1_
	.globl	_ZN7rocprim17ROCPRIM_400000_NS6detail17trampoline_kernelINS0_14default_configENS1_25partition_config_selectorILNS1_17partition_subalgoE1EjNS0_10empty_typeEbEEZZNS1_14partition_implILS5_1ELb0ES3_jN6thrust23THRUST_200600_302600_NS6detail15normal_iteratorINSA_10device_ptrIjEEEEPS6_NSA_18transform_iteratorI7is_evenIjESF_NSA_11use_defaultESK_EENS0_5tupleIJSF_SF_EEENSM_IJSG_SG_EEES6_PlJS6_EEE10hipError_tPvRmT3_T4_T5_T6_T7_T9_mT8_P12ihipStream_tbDpT10_ENKUlT_T0_E_clISt17integral_constantIbLb0EES19_EEDaS14_S15_EUlS14_E_NS1_11comp_targetILNS1_3genE10ELNS1_11target_archE1200ELNS1_3gpuE4ELNS1_3repE0EEENS1_30default_config_static_selectorELNS0_4arch9wavefront6targetE1EEEvT1_
	.p2align	8
	.type	_ZN7rocprim17ROCPRIM_400000_NS6detail17trampoline_kernelINS0_14default_configENS1_25partition_config_selectorILNS1_17partition_subalgoE1EjNS0_10empty_typeEbEEZZNS1_14partition_implILS5_1ELb0ES3_jN6thrust23THRUST_200600_302600_NS6detail15normal_iteratorINSA_10device_ptrIjEEEEPS6_NSA_18transform_iteratorI7is_evenIjESF_NSA_11use_defaultESK_EENS0_5tupleIJSF_SF_EEENSM_IJSG_SG_EEES6_PlJS6_EEE10hipError_tPvRmT3_T4_T5_T6_T7_T9_mT8_P12ihipStream_tbDpT10_ENKUlT_T0_E_clISt17integral_constantIbLb0EES19_EEDaS14_S15_EUlS14_E_NS1_11comp_targetILNS1_3genE10ELNS1_11target_archE1200ELNS1_3gpuE4ELNS1_3repE0EEENS1_30default_config_static_selectorELNS0_4arch9wavefront6targetE1EEEvT1_,@function
_ZN7rocprim17ROCPRIM_400000_NS6detail17trampoline_kernelINS0_14default_configENS1_25partition_config_selectorILNS1_17partition_subalgoE1EjNS0_10empty_typeEbEEZZNS1_14partition_implILS5_1ELb0ES3_jN6thrust23THRUST_200600_302600_NS6detail15normal_iteratorINSA_10device_ptrIjEEEEPS6_NSA_18transform_iteratorI7is_evenIjESF_NSA_11use_defaultESK_EENS0_5tupleIJSF_SF_EEENSM_IJSG_SG_EEES6_PlJS6_EEE10hipError_tPvRmT3_T4_T5_T6_T7_T9_mT8_P12ihipStream_tbDpT10_ENKUlT_T0_E_clISt17integral_constantIbLb0EES19_EEDaS14_S15_EUlS14_E_NS1_11comp_targetILNS1_3genE10ELNS1_11target_archE1200ELNS1_3gpuE4ELNS1_3repE0EEENS1_30default_config_static_selectorELNS0_4arch9wavefront6targetE1EEEvT1_: ; @_ZN7rocprim17ROCPRIM_400000_NS6detail17trampoline_kernelINS0_14default_configENS1_25partition_config_selectorILNS1_17partition_subalgoE1EjNS0_10empty_typeEbEEZZNS1_14partition_implILS5_1ELb0ES3_jN6thrust23THRUST_200600_302600_NS6detail15normal_iteratorINSA_10device_ptrIjEEEEPS6_NSA_18transform_iteratorI7is_evenIjESF_NSA_11use_defaultESK_EENS0_5tupleIJSF_SF_EEENSM_IJSG_SG_EEES6_PlJS6_EEE10hipError_tPvRmT3_T4_T5_T6_T7_T9_mT8_P12ihipStream_tbDpT10_ENKUlT_T0_E_clISt17integral_constantIbLb0EES19_EEDaS14_S15_EUlS14_E_NS1_11comp_targetILNS1_3genE10ELNS1_11target_archE1200ELNS1_3gpuE4ELNS1_3repE0EEENS1_30default_config_static_selectorELNS0_4arch9wavefront6targetE1EEEvT1_
; %bb.0:
	.section	.rodata,"a",@progbits
	.p2align	6, 0x0
	.amdhsa_kernel _ZN7rocprim17ROCPRIM_400000_NS6detail17trampoline_kernelINS0_14default_configENS1_25partition_config_selectorILNS1_17partition_subalgoE1EjNS0_10empty_typeEbEEZZNS1_14partition_implILS5_1ELb0ES3_jN6thrust23THRUST_200600_302600_NS6detail15normal_iteratorINSA_10device_ptrIjEEEEPS6_NSA_18transform_iteratorI7is_evenIjESF_NSA_11use_defaultESK_EENS0_5tupleIJSF_SF_EEENSM_IJSG_SG_EEES6_PlJS6_EEE10hipError_tPvRmT3_T4_T5_T6_T7_T9_mT8_P12ihipStream_tbDpT10_ENKUlT_T0_E_clISt17integral_constantIbLb0EES19_EEDaS14_S15_EUlS14_E_NS1_11comp_targetILNS1_3genE10ELNS1_11target_archE1200ELNS1_3gpuE4ELNS1_3repE0EEENS1_30default_config_static_selectorELNS0_4arch9wavefront6targetE1EEEvT1_
		.amdhsa_group_segment_fixed_size 0
		.amdhsa_private_segment_fixed_size 0
		.amdhsa_kernarg_size 128
		.amdhsa_user_sgpr_count 6
		.amdhsa_user_sgpr_private_segment_buffer 1
		.amdhsa_user_sgpr_dispatch_ptr 0
		.amdhsa_user_sgpr_queue_ptr 0
		.amdhsa_user_sgpr_kernarg_segment_ptr 1
		.amdhsa_user_sgpr_dispatch_id 0
		.amdhsa_user_sgpr_flat_scratch_init 0
		.amdhsa_user_sgpr_kernarg_preload_length 0
		.amdhsa_user_sgpr_kernarg_preload_offset 0
		.amdhsa_user_sgpr_private_segment_size 0
		.amdhsa_uses_dynamic_stack 0
		.amdhsa_system_sgpr_private_segment_wavefront_offset 0
		.amdhsa_system_sgpr_workgroup_id_x 1
		.amdhsa_system_sgpr_workgroup_id_y 0
		.amdhsa_system_sgpr_workgroup_id_z 0
		.amdhsa_system_sgpr_workgroup_info 0
		.amdhsa_system_vgpr_workitem_id 0
		.amdhsa_next_free_vgpr 1
		.amdhsa_next_free_sgpr 0
		.amdhsa_accum_offset 4
		.amdhsa_reserve_vcc 0
		.amdhsa_reserve_flat_scratch 0
		.amdhsa_float_round_mode_32 0
		.amdhsa_float_round_mode_16_64 0
		.amdhsa_float_denorm_mode_32 3
		.amdhsa_float_denorm_mode_16_64 3
		.amdhsa_dx10_clamp 1
		.amdhsa_ieee_mode 1
		.amdhsa_fp16_overflow 0
		.amdhsa_tg_split 0
		.amdhsa_exception_fp_ieee_invalid_op 0
		.amdhsa_exception_fp_denorm_src 0
		.amdhsa_exception_fp_ieee_div_zero 0
		.amdhsa_exception_fp_ieee_overflow 0
		.amdhsa_exception_fp_ieee_underflow 0
		.amdhsa_exception_fp_ieee_inexact 0
		.amdhsa_exception_int_div_zero 0
	.end_amdhsa_kernel
	.section	.text._ZN7rocprim17ROCPRIM_400000_NS6detail17trampoline_kernelINS0_14default_configENS1_25partition_config_selectorILNS1_17partition_subalgoE1EjNS0_10empty_typeEbEEZZNS1_14partition_implILS5_1ELb0ES3_jN6thrust23THRUST_200600_302600_NS6detail15normal_iteratorINSA_10device_ptrIjEEEEPS6_NSA_18transform_iteratorI7is_evenIjESF_NSA_11use_defaultESK_EENS0_5tupleIJSF_SF_EEENSM_IJSG_SG_EEES6_PlJS6_EEE10hipError_tPvRmT3_T4_T5_T6_T7_T9_mT8_P12ihipStream_tbDpT10_ENKUlT_T0_E_clISt17integral_constantIbLb0EES19_EEDaS14_S15_EUlS14_E_NS1_11comp_targetILNS1_3genE10ELNS1_11target_archE1200ELNS1_3gpuE4ELNS1_3repE0EEENS1_30default_config_static_selectorELNS0_4arch9wavefront6targetE1EEEvT1_,"axG",@progbits,_ZN7rocprim17ROCPRIM_400000_NS6detail17trampoline_kernelINS0_14default_configENS1_25partition_config_selectorILNS1_17partition_subalgoE1EjNS0_10empty_typeEbEEZZNS1_14partition_implILS5_1ELb0ES3_jN6thrust23THRUST_200600_302600_NS6detail15normal_iteratorINSA_10device_ptrIjEEEEPS6_NSA_18transform_iteratorI7is_evenIjESF_NSA_11use_defaultESK_EENS0_5tupleIJSF_SF_EEENSM_IJSG_SG_EEES6_PlJS6_EEE10hipError_tPvRmT3_T4_T5_T6_T7_T9_mT8_P12ihipStream_tbDpT10_ENKUlT_T0_E_clISt17integral_constantIbLb0EES19_EEDaS14_S15_EUlS14_E_NS1_11comp_targetILNS1_3genE10ELNS1_11target_archE1200ELNS1_3gpuE4ELNS1_3repE0EEENS1_30default_config_static_selectorELNS0_4arch9wavefront6targetE1EEEvT1_,comdat
.Lfunc_end2240:
	.size	_ZN7rocprim17ROCPRIM_400000_NS6detail17trampoline_kernelINS0_14default_configENS1_25partition_config_selectorILNS1_17partition_subalgoE1EjNS0_10empty_typeEbEEZZNS1_14partition_implILS5_1ELb0ES3_jN6thrust23THRUST_200600_302600_NS6detail15normal_iteratorINSA_10device_ptrIjEEEEPS6_NSA_18transform_iteratorI7is_evenIjESF_NSA_11use_defaultESK_EENS0_5tupleIJSF_SF_EEENSM_IJSG_SG_EEES6_PlJS6_EEE10hipError_tPvRmT3_T4_T5_T6_T7_T9_mT8_P12ihipStream_tbDpT10_ENKUlT_T0_E_clISt17integral_constantIbLb0EES19_EEDaS14_S15_EUlS14_E_NS1_11comp_targetILNS1_3genE10ELNS1_11target_archE1200ELNS1_3gpuE4ELNS1_3repE0EEENS1_30default_config_static_selectorELNS0_4arch9wavefront6targetE1EEEvT1_, .Lfunc_end2240-_ZN7rocprim17ROCPRIM_400000_NS6detail17trampoline_kernelINS0_14default_configENS1_25partition_config_selectorILNS1_17partition_subalgoE1EjNS0_10empty_typeEbEEZZNS1_14partition_implILS5_1ELb0ES3_jN6thrust23THRUST_200600_302600_NS6detail15normal_iteratorINSA_10device_ptrIjEEEEPS6_NSA_18transform_iteratorI7is_evenIjESF_NSA_11use_defaultESK_EENS0_5tupleIJSF_SF_EEENSM_IJSG_SG_EEES6_PlJS6_EEE10hipError_tPvRmT3_T4_T5_T6_T7_T9_mT8_P12ihipStream_tbDpT10_ENKUlT_T0_E_clISt17integral_constantIbLb0EES19_EEDaS14_S15_EUlS14_E_NS1_11comp_targetILNS1_3genE10ELNS1_11target_archE1200ELNS1_3gpuE4ELNS1_3repE0EEENS1_30default_config_static_selectorELNS0_4arch9wavefront6targetE1EEEvT1_
                                        ; -- End function
	.section	.AMDGPU.csdata,"",@progbits
; Kernel info:
; codeLenInByte = 0
; NumSgprs: 4
; NumVgprs: 0
; NumAgprs: 0
; TotalNumVgprs: 0
; ScratchSize: 0
; MemoryBound: 0
; FloatMode: 240
; IeeeMode: 1
; LDSByteSize: 0 bytes/workgroup (compile time only)
; SGPRBlocks: 0
; VGPRBlocks: 0
; NumSGPRsForWavesPerEU: 4
; NumVGPRsForWavesPerEU: 1
; AccumOffset: 4
; Occupancy: 8
; WaveLimiterHint : 0
; COMPUTE_PGM_RSRC2:SCRATCH_EN: 0
; COMPUTE_PGM_RSRC2:USER_SGPR: 6
; COMPUTE_PGM_RSRC2:TRAP_HANDLER: 0
; COMPUTE_PGM_RSRC2:TGID_X_EN: 1
; COMPUTE_PGM_RSRC2:TGID_Y_EN: 0
; COMPUTE_PGM_RSRC2:TGID_Z_EN: 0
; COMPUTE_PGM_RSRC2:TIDIG_COMP_CNT: 0
; COMPUTE_PGM_RSRC3_GFX90A:ACCUM_OFFSET: 0
; COMPUTE_PGM_RSRC3_GFX90A:TG_SPLIT: 0
	.section	.text._ZN7rocprim17ROCPRIM_400000_NS6detail17trampoline_kernelINS0_14default_configENS1_25partition_config_selectorILNS1_17partition_subalgoE1EjNS0_10empty_typeEbEEZZNS1_14partition_implILS5_1ELb0ES3_jN6thrust23THRUST_200600_302600_NS6detail15normal_iteratorINSA_10device_ptrIjEEEEPS6_NSA_18transform_iteratorI7is_evenIjESF_NSA_11use_defaultESK_EENS0_5tupleIJSF_SF_EEENSM_IJSG_SG_EEES6_PlJS6_EEE10hipError_tPvRmT3_T4_T5_T6_T7_T9_mT8_P12ihipStream_tbDpT10_ENKUlT_T0_E_clISt17integral_constantIbLb0EES19_EEDaS14_S15_EUlS14_E_NS1_11comp_targetILNS1_3genE9ELNS1_11target_archE1100ELNS1_3gpuE3ELNS1_3repE0EEENS1_30default_config_static_selectorELNS0_4arch9wavefront6targetE1EEEvT1_,"axG",@progbits,_ZN7rocprim17ROCPRIM_400000_NS6detail17trampoline_kernelINS0_14default_configENS1_25partition_config_selectorILNS1_17partition_subalgoE1EjNS0_10empty_typeEbEEZZNS1_14partition_implILS5_1ELb0ES3_jN6thrust23THRUST_200600_302600_NS6detail15normal_iteratorINSA_10device_ptrIjEEEEPS6_NSA_18transform_iteratorI7is_evenIjESF_NSA_11use_defaultESK_EENS0_5tupleIJSF_SF_EEENSM_IJSG_SG_EEES6_PlJS6_EEE10hipError_tPvRmT3_T4_T5_T6_T7_T9_mT8_P12ihipStream_tbDpT10_ENKUlT_T0_E_clISt17integral_constantIbLb0EES19_EEDaS14_S15_EUlS14_E_NS1_11comp_targetILNS1_3genE9ELNS1_11target_archE1100ELNS1_3gpuE3ELNS1_3repE0EEENS1_30default_config_static_selectorELNS0_4arch9wavefront6targetE1EEEvT1_,comdat
	.protected	_ZN7rocprim17ROCPRIM_400000_NS6detail17trampoline_kernelINS0_14default_configENS1_25partition_config_selectorILNS1_17partition_subalgoE1EjNS0_10empty_typeEbEEZZNS1_14partition_implILS5_1ELb0ES3_jN6thrust23THRUST_200600_302600_NS6detail15normal_iteratorINSA_10device_ptrIjEEEEPS6_NSA_18transform_iteratorI7is_evenIjESF_NSA_11use_defaultESK_EENS0_5tupleIJSF_SF_EEENSM_IJSG_SG_EEES6_PlJS6_EEE10hipError_tPvRmT3_T4_T5_T6_T7_T9_mT8_P12ihipStream_tbDpT10_ENKUlT_T0_E_clISt17integral_constantIbLb0EES19_EEDaS14_S15_EUlS14_E_NS1_11comp_targetILNS1_3genE9ELNS1_11target_archE1100ELNS1_3gpuE3ELNS1_3repE0EEENS1_30default_config_static_selectorELNS0_4arch9wavefront6targetE1EEEvT1_ ; -- Begin function _ZN7rocprim17ROCPRIM_400000_NS6detail17trampoline_kernelINS0_14default_configENS1_25partition_config_selectorILNS1_17partition_subalgoE1EjNS0_10empty_typeEbEEZZNS1_14partition_implILS5_1ELb0ES3_jN6thrust23THRUST_200600_302600_NS6detail15normal_iteratorINSA_10device_ptrIjEEEEPS6_NSA_18transform_iteratorI7is_evenIjESF_NSA_11use_defaultESK_EENS0_5tupleIJSF_SF_EEENSM_IJSG_SG_EEES6_PlJS6_EEE10hipError_tPvRmT3_T4_T5_T6_T7_T9_mT8_P12ihipStream_tbDpT10_ENKUlT_T0_E_clISt17integral_constantIbLb0EES19_EEDaS14_S15_EUlS14_E_NS1_11comp_targetILNS1_3genE9ELNS1_11target_archE1100ELNS1_3gpuE3ELNS1_3repE0EEENS1_30default_config_static_selectorELNS0_4arch9wavefront6targetE1EEEvT1_
	.globl	_ZN7rocprim17ROCPRIM_400000_NS6detail17trampoline_kernelINS0_14default_configENS1_25partition_config_selectorILNS1_17partition_subalgoE1EjNS0_10empty_typeEbEEZZNS1_14partition_implILS5_1ELb0ES3_jN6thrust23THRUST_200600_302600_NS6detail15normal_iteratorINSA_10device_ptrIjEEEEPS6_NSA_18transform_iteratorI7is_evenIjESF_NSA_11use_defaultESK_EENS0_5tupleIJSF_SF_EEENSM_IJSG_SG_EEES6_PlJS6_EEE10hipError_tPvRmT3_T4_T5_T6_T7_T9_mT8_P12ihipStream_tbDpT10_ENKUlT_T0_E_clISt17integral_constantIbLb0EES19_EEDaS14_S15_EUlS14_E_NS1_11comp_targetILNS1_3genE9ELNS1_11target_archE1100ELNS1_3gpuE3ELNS1_3repE0EEENS1_30default_config_static_selectorELNS0_4arch9wavefront6targetE1EEEvT1_
	.p2align	8
	.type	_ZN7rocprim17ROCPRIM_400000_NS6detail17trampoline_kernelINS0_14default_configENS1_25partition_config_selectorILNS1_17partition_subalgoE1EjNS0_10empty_typeEbEEZZNS1_14partition_implILS5_1ELb0ES3_jN6thrust23THRUST_200600_302600_NS6detail15normal_iteratorINSA_10device_ptrIjEEEEPS6_NSA_18transform_iteratorI7is_evenIjESF_NSA_11use_defaultESK_EENS0_5tupleIJSF_SF_EEENSM_IJSG_SG_EEES6_PlJS6_EEE10hipError_tPvRmT3_T4_T5_T6_T7_T9_mT8_P12ihipStream_tbDpT10_ENKUlT_T0_E_clISt17integral_constantIbLb0EES19_EEDaS14_S15_EUlS14_E_NS1_11comp_targetILNS1_3genE9ELNS1_11target_archE1100ELNS1_3gpuE3ELNS1_3repE0EEENS1_30default_config_static_selectorELNS0_4arch9wavefront6targetE1EEEvT1_,@function
_ZN7rocprim17ROCPRIM_400000_NS6detail17trampoline_kernelINS0_14default_configENS1_25partition_config_selectorILNS1_17partition_subalgoE1EjNS0_10empty_typeEbEEZZNS1_14partition_implILS5_1ELb0ES3_jN6thrust23THRUST_200600_302600_NS6detail15normal_iteratorINSA_10device_ptrIjEEEEPS6_NSA_18transform_iteratorI7is_evenIjESF_NSA_11use_defaultESK_EENS0_5tupleIJSF_SF_EEENSM_IJSG_SG_EEES6_PlJS6_EEE10hipError_tPvRmT3_T4_T5_T6_T7_T9_mT8_P12ihipStream_tbDpT10_ENKUlT_T0_E_clISt17integral_constantIbLb0EES19_EEDaS14_S15_EUlS14_E_NS1_11comp_targetILNS1_3genE9ELNS1_11target_archE1100ELNS1_3gpuE3ELNS1_3repE0EEENS1_30default_config_static_selectorELNS0_4arch9wavefront6targetE1EEEvT1_: ; @_ZN7rocprim17ROCPRIM_400000_NS6detail17trampoline_kernelINS0_14default_configENS1_25partition_config_selectorILNS1_17partition_subalgoE1EjNS0_10empty_typeEbEEZZNS1_14partition_implILS5_1ELb0ES3_jN6thrust23THRUST_200600_302600_NS6detail15normal_iteratorINSA_10device_ptrIjEEEEPS6_NSA_18transform_iteratorI7is_evenIjESF_NSA_11use_defaultESK_EENS0_5tupleIJSF_SF_EEENSM_IJSG_SG_EEES6_PlJS6_EEE10hipError_tPvRmT3_T4_T5_T6_T7_T9_mT8_P12ihipStream_tbDpT10_ENKUlT_T0_E_clISt17integral_constantIbLb0EES19_EEDaS14_S15_EUlS14_E_NS1_11comp_targetILNS1_3genE9ELNS1_11target_archE1100ELNS1_3gpuE3ELNS1_3repE0EEENS1_30default_config_static_selectorELNS0_4arch9wavefront6targetE1EEEvT1_
; %bb.0:
	.section	.rodata,"a",@progbits
	.p2align	6, 0x0
	.amdhsa_kernel _ZN7rocprim17ROCPRIM_400000_NS6detail17trampoline_kernelINS0_14default_configENS1_25partition_config_selectorILNS1_17partition_subalgoE1EjNS0_10empty_typeEbEEZZNS1_14partition_implILS5_1ELb0ES3_jN6thrust23THRUST_200600_302600_NS6detail15normal_iteratorINSA_10device_ptrIjEEEEPS6_NSA_18transform_iteratorI7is_evenIjESF_NSA_11use_defaultESK_EENS0_5tupleIJSF_SF_EEENSM_IJSG_SG_EEES6_PlJS6_EEE10hipError_tPvRmT3_T4_T5_T6_T7_T9_mT8_P12ihipStream_tbDpT10_ENKUlT_T0_E_clISt17integral_constantIbLb0EES19_EEDaS14_S15_EUlS14_E_NS1_11comp_targetILNS1_3genE9ELNS1_11target_archE1100ELNS1_3gpuE3ELNS1_3repE0EEENS1_30default_config_static_selectorELNS0_4arch9wavefront6targetE1EEEvT1_
		.amdhsa_group_segment_fixed_size 0
		.amdhsa_private_segment_fixed_size 0
		.amdhsa_kernarg_size 128
		.amdhsa_user_sgpr_count 6
		.amdhsa_user_sgpr_private_segment_buffer 1
		.amdhsa_user_sgpr_dispatch_ptr 0
		.amdhsa_user_sgpr_queue_ptr 0
		.amdhsa_user_sgpr_kernarg_segment_ptr 1
		.amdhsa_user_sgpr_dispatch_id 0
		.amdhsa_user_sgpr_flat_scratch_init 0
		.amdhsa_user_sgpr_kernarg_preload_length 0
		.amdhsa_user_sgpr_kernarg_preload_offset 0
		.amdhsa_user_sgpr_private_segment_size 0
		.amdhsa_uses_dynamic_stack 0
		.amdhsa_system_sgpr_private_segment_wavefront_offset 0
		.amdhsa_system_sgpr_workgroup_id_x 1
		.amdhsa_system_sgpr_workgroup_id_y 0
		.amdhsa_system_sgpr_workgroup_id_z 0
		.amdhsa_system_sgpr_workgroup_info 0
		.amdhsa_system_vgpr_workitem_id 0
		.amdhsa_next_free_vgpr 1
		.amdhsa_next_free_sgpr 0
		.amdhsa_accum_offset 4
		.amdhsa_reserve_vcc 0
		.amdhsa_reserve_flat_scratch 0
		.amdhsa_float_round_mode_32 0
		.amdhsa_float_round_mode_16_64 0
		.amdhsa_float_denorm_mode_32 3
		.amdhsa_float_denorm_mode_16_64 3
		.amdhsa_dx10_clamp 1
		.amdhsa_ieee_mode 1
		.amdhsa_fp16_overflow 0
		.amdhsa_tg_split 0
		.amdhsa_exception_fp_ieee_invalid_op 0
		.amdhsa_exception_fp_denorm_src 0
		.amdhsa_exception_fp_ieee_div_zero 0
		.amdhsa_exception_fp_ieee_overflow 0
		.amdhsa_exception_fp_ieee_underflow 0
		.amdhsa_exception_fp_ieee_inexact 0
		.amdhsa_exception_int_div_zero 0
	.end_amdhsa_kernel
	.section	.text._ZN7rocprim17ROCPRIM_400000_NS6detail17trampoline_kernelINS0_14default_configENS1_25partition_config_selectorILNS1_17partition_subalgoE1EjNS0_10empty_typeEbEEZZNS1_14partition_implILS5_1ELb0ES3_jN6thrust23THRUST_200600_302600_NS6detail15normal_iteratorINSA_10device_ptrIjEEEEPS6_NSA_18transform_iteratorI7is_evenIjESF_NSA_11use_defaultESK_EENS0_5tupleIJSF_SF_EEENSM_IJSG_SG_EEES6_PlJS6_EEE10hipError_tPvRmT3_T4_T5_T6_T7_T9_mT8_P12ihipStream_tbDpT10_ENKUlT_T0_E_clISt17integral_constantIbLb0EES19_EEDaS14_S15_EUlS14_E_NS1_11comp_targetILNS1_3genE9ELNS1_11target_archE1100ELNS1_3gpuE3ELNS1_3repE0EEENS1_30default_config_static_selectorELNS0_4arch9wavefront6targetE1EEEvT1_,"axG",@progbits,_ZN7rocprim17ROCPRIM_400000_NS6detail17trampoline_kernelINS0_14default_configENS1_25partition_config_selectorILNS1_17partition_subalgoE1EjNS0_10empty_typeEbEEZZNS1_14partition_implILS5_1ELb0ES3_jN6thrust23THRUST_200600_302600_NS6detail15normal_iteratorINSA_10device_ptrIjEEEEPS6_NSA_18transform_iteratorI7is_evenIjESF_NSA_11use_defaultESK_EENS0_5tupleIJSF_SF_EEENSM_IJSG_SG_EEES6_PlJS6_EEE10hipError_tPvRmT3_T4_T5_T6_T7_T9_mT8_P12ihipStream_tbDpT10_ENKUlT_T0_E_clISt17integral_constantIbLb0EES19_EEDaS14_S15_EUlS14_E_NS1_11comp_targetILNS1_3genE9ELNS1_11target_archE1100ELNS1_3gpuE3ELNS1_3repE0EEENS1_30default_config_static_selectorELNS0_4arch9wavefront6targetE1EEEvT1_,comdat
.Lfunc_end2241:
	.size	_ZN7rocprim17ROCPRIM_400000_NS6detail17trampoline_kernelINS0_14default_configENS1_25partition_config_selectorILNS1_17partition_subalgoE1EjNS0_10empty_typeEbEEZZNS1_14partition_implILS5_1ELb0ES3_jN6thrust23THRUST_200600_302600_NS6detail15normal_iteratorINSA_10device_ptrIjEEEEPS6_NSA_18transform_iteratorI7is_evenIjESF_NSA_11use_defaultESK_EENS0_5tupleIJSF_SF_EEENSM_IJSG_SG_EEES6_PlJS6_EEE10hipError_tPvRmT3_T4_T5_T6_T7_T9_mT8_P12ihipStream_tbDpT10_ENKUlT_T0_E_clISt17integral_constantIbLb0EES19_EEDaS14_S15_EUlS14_E_NS1_11comp_targetILNS1_3genE9ELNS1_11target_archE1100ELNS1_3gpuE3ELNS1_3repE0EEENS1_30default_config_static_selectorELNS0_4arch9wavefront6targetE1EEEvT1_, .Lfunc_end2241-_ZN7rocprim17ROCPRIM_400000_NS6detail17trampoline_kernelINS0_14default_configENS1_25partition_config_selectorILNS1_17partition_subalgoE1EjNS0_10empty_typeEbEEZZNS1_14partition_implILS5_1ELb0ES3_jN6thrust23THRUST_200600_302600_NS6detail15normal_iteratorINSA_10device_ptrIjEEEEPS6_NSA_18transform_iteratorI7is_evenIjESF_NSA_11use_defaultESK_EENS0_5tupleIJSF_SF_EEENSM_IJSG_SG_EEES6_PlJS6_EEE10hipError_tPvRmT3_T4_T5_T6_T7_T9_mT8_P12ihipStream_tbDpT10_ENKUlT_T0_E_clISt17integral_constantIbLb0EES19_EEDaS14_S15_EUlS14_E_NS1_11comp_targetILNS1_3genE9ELNS1_11target_archE1100ELNS1_3gpuE3ELNS1_3repE0EEENS1_30default_config_static_selectorELNS0_4arch9wavefront6targetE1EEEvT1_
                                        ; -- End function
	.section	.AMDGPU.csdata,"",@progbits
; Kernel info:
; codeLenInByte = 0
; NumSgprs: 4
; NumVgprs: 0
; NumAgprs: 0
; TotalNumVgprs: 0
; ScratchSize: 0
; MemoryBound: 0
; FloatMode: 240
; IeeeMode: 1
; LDSByteSize: 0 bytes/workgroup (compile time only)
; SGPRBlocks: 0
; VGPRBlocks: 0
; NumSGPRsForWavesPerEU: 4
; NumVGPRsForWavesPerEU: 1
; AccumOffset: 4
; Occupancy: 8
; WaveLimiterHint : 0
; COMPUTE_PGM_RSRC2:SCRATCH_EN: 0
; COMPUTE_PGM_RSRC2:USER_SGPR: 6
; COMPUTE_PGM_RSRC2:TRAP_HANDLER: 0
; COMPUTE_PGM_RSRC2:TGID_X_EN: 1
; COMPUTE_PGM_RSRC2:TGID_Y_EN: 0
; COMPUTE_PGM_RSRC2:TGID_Z_EN: 0
; COMPUTE_PGM_RSRC2:TIDIG_COMP_CNT: 0
; COMPUTE_PGM_RSRC3_GFX90A:ACCUM_OFFSET: 0
; COMPUTE_PGM_RSRC3_GFX90A:TG_SPLIT: 0
	.section	.text._ZN7rocprim17ROCPRIM_400000_NS6detail17trampoline_kernelINS0_14default_configENS1_25partition_config_selectorILNS1_17partition_subalgoE1EjNS0_10empty_typeEbEEZZNS1_14partition_implILS5_1ELb0ES3_jN6thrust23THRUST_200600_302600_NS6detail15normal_iteratorINSA_10device_ptrIjEEEEPS6_NSA_18transform_iteratorI7is_evenIjESF_NSA_11use_defaultESK_EENS0_5tupleIJSF_SF_EEENSM_IJSG_SG_EEES6_PlJS6_EEE10hipError_tPvRmT3_T4_T5_T6_T7_T9_mT8_P12ihipStream_tbDpT10_ENKUlT_T0_E_clISt17integral_constantIbLb0EES19_EEDaS14_S15_EUlS14_E_NS1_11comp_targetILNS1_3genE8ELNS1_11target_archE1030ELNS1_3gpuE2ELNS1_3repE0EEENS1_30default_config_static_selectorELNS0_4arch9wavefront6targetE1EEEvT1_,"axG",@progbits,_ZN7rocprim17ROCPRIM_400000_NS6detail17trampoline_kernelINS0_14default_configENS1_25partition_config_selectorILNS1_17partition_subalgoE1EjNS0_10empty_typeEbEEZZNS1_14partition_implILS5_1ELb0ES3_jN6thrust23THRUST_200600_302600_NS6detail15normal_iteratorINSA_10device_ptrIjEEEEPS6_NSA_18transform_iteratorI7is_evenIjESF_NSA_11use_defaultESK_EENS0_5tupleIJSF_SF_EEENSM_IJSG_SG_EEES6_PlJS6_EEE10hipError_tPvRmT3_T4_T5_T6_T7_T9_mT8_P12ihipStream_tbDpT10_ENKUlT_T0_E_clISt17integral_constantIbLb0EES19_EEDaS14_S15_EUlS14_E_NS1_11comp_targetILNS1_3genE8ELNS1_11target_archE1030ELNS1_3gpuE2ELNS1_3repE0EEENS1_30default_config_static_selectorELNS0_4arch9wavefront6targetE1EEEvT1_,comdat
	.protected	_ZN7rocprim17ROCPRIM_400000_NS6detail17trampoline_kernelINS0_14default_configENS1_25partition_config_selectorILNS1_17partition_subalgoE1EjNS0_10empty_typeEbEEZZNS1_14partition_implILS5_1ELb0ES3_jN6thrust23THRUST_200600_302600_NS6detail15normal_iteratorINSA_10device_ptrIjEEEEPS6_NSA_18transform_iteratorI7is_evenIjESF_NSA_11use_defaultESK_EENS0_5tupleIJSF_SF_EEENSM_IJSG_SG_EEES6_PlJS6_EEE10hipError_tPvRmT3_T4_T5_T6_T7_T9_mT8_P12ihipStream_tbDpT10_ENKUlT_T0_E_clISt17integral_constantIbLb0EES19_EEDaS14_S15_EUlS14_E_NS1_11comp_targetILNS1_3genE8ELNS1_11target_archE1030ELNS1_3gpuE2ELNS1_3repE0EEENS1_30default_config_static_selectorELNS0_4arch9wavefront6targetE1EEEvT1_ ; -- Begin function _ZN7rocprim17ROCPRIM_400000_NS6detail17trampoline_kernelINS0_14default_configENS1_25partition_config_selectorILNS1_17partition_subalgoE1EjNS0_10empty_typeEbEEZZNS1_14partition_implILS5_1ELb0ES3_jN6thrust23THRUST_200600_302600_NS6detail15normal_iteratorINSA_10device_ptrIjEEEEPS6_NSA_18transform_iteratorI7is_evenIjESF_NSA_11use_defaultESK_EENS0_5tupleIJSF_SF_EEENSM_IJSG_SG_EEES6_PlJS6_EEE10hipError_tPvRmT3_T4_T5_T6_T7_T9_mT8_P12ihipStream_tbDpT10_ENKUlT_T0_E_clISt17integral_constantIbLb0EES19_EEDaS14_S15_EUlS14_E_NS1_11comp_targetILNS1_3genE8ELNS1_11target_archE1030ELNS1_3gpuE2ELNS1_3repE0EEENS1_30default_config_static_selectorELNS0_4arch9wavefront6targetE1EEEvT1_
	.globl	_ZN7rocprim17ROCPRIM_400000_NS6detail17trampoline_kernelINS0_14default_configENS1_25partition_config_selectorILNS1_17partition_subalgoE1EjNS0_10empty_typeEbEEZZNS1_14partition_implILS5_1ELb0ES3_jN6thrust23THRUST_200600_302600_NS6detail15normal_iteratorINSA_10device_ptrIjEEEEPS6_NSA_18transform_iteratorI7is_evenIjESF_NSA_11use_defaultESK_EENS0_5tupleIJSF_SF_EEENSM_IJSG_SG_EEES6_PlJS6_EEE10hipError_tPvRmT3_T4_T5_T6_T7_T9_mT8_P12ihipStream_tbDpT10_ENKUlT_T0_E_clISt17integral_constantIbLb0EES19_EEDaS14_S15_EUlS14_E_NS1_11comp_targetILNS1_3genE8ELNS1_11target_archE1030ELNS1_3gpuE2ELNS1_3repE0EEENS1_30default_config_static_selectorELNS0_4arch9wavefront6targetE1EEEvT1_
	.p2align	8
	.type	_ZN7rocprim17ROCPRIM_400000_NS6detail17trampoline_kernelINS0_14default_configENS1_25partition_config_selectorILNS1_17partition_subalgoE1EjNS0_10empty_typeEbEEZZNS1_14partition_implILS5_1ELb0ES3_jN6thrust23THRUST_200600_302600_NS6detail15normal_iteratorINSA_10device_ptrIjEEEEPS6_NSA_18transform_iteratorI7is_evenIjESF_NSA_11use_defaultESK_EENS0_5tupleIJSF_SF_EEENSM_IJSG_SG_EEES6_PlJS6_EEE10hipError_tPvRmT3_T4_T5_T6_T7_T9_mT8_P12ihipStream_tbDpT10_ENKUlT_T0_E_clISt17integral_constantIbLb0EES19_EEDaS14_S15_EUlS14_E_NS1_11comp_targetILNS1_3genE8ELNS1_11target_archE1030ELNS1_3gpuE2ELNS1_3repE0EEENS1_30default_config_static_selectorELNS0_4arch9wavefront6targetE1EEEvT1_,@function
_ZN7rocprim17ROCPRIM_400000_NS6detail17trampoline_kernelINS0_14default_configENS1_25partition_config_selectorILNS1_17partition_subalgoE1EjNS0_10empty_typeEbEEZZNS1_14partition_implILS5_1ELb0ES3_jN6thrust23THRUST_200600_302600_NS6detail15normal_iteratorINSA_10device_ptrIjEEEEPS6_NSA_18transform_iteratorI7is_evenIjESF_NSA_11use_defaultESK_EENS0_5tupleIJSF_SF_EEENSM_IJSG_SG_EEES6_PlJS6_EEE10hipError_tPvRmT3_T4_T5_T6_T7_T9_mT8_P12ihipStream_tbDpT10_ENKUlT_T0_E_clISt17integral_constantIbLb0EES19_EEDaS14_S15_EUlS14_E_NS1_11comp_targetILNS1_3genE8ELNS1_11target_archE1030ELNS1_3gpuE2ELNS1_3repE0EEENS1_30default_config_static_selectorELNS0_4arch9wavefront6targetE1EEEvT1_: ; @_ZN7rocprim17ROCPRIM_400000_NS6detail17trampoline_kernelINS0_14default_configENS1_25partition_config_selectorILNS1_17partition_subalgoE1EjNS0_10empty_typeEbEEZZNS1_14partition_implILS5_1ELb0ES3_jN6thrust23THRUST_200600_302600_NS6detail15normal_iteratorINSA_10device_ptrIjEEEEPS6_NSA_18transform_iteratorI7is_evenIjESF_NSA_11use_defaultESK_EENS0_5tupleIJSF_SF_EEENSM_IJSG_SG_EEES6_PlJS6_EEE10hipError_tPvRmT3_T4_T5_T6_T7_T9_mT8_P12ihipStream_tbDpT10_ENKUlT_T0_E_clISt17integral_constantIbLb0EES19_EEDaS14_S15_EUlS14_E_NS1_11comp_targetILNS1_3genE8ELNS1_11target_archE1030ELNS1_3gpuE2ELNS1_3repE0EEENS1_30default_config_static_selectorELNS0_4arch9wavefront6targetE1EEEvT1_
; %bb.0:
	.section	.rodata,"a",@progbits
	.p2align	6, 0x0
	.amdhsa_kernel _ZN7rocprim17ROCPRIM_400000_NS6detail17trampoline_kernelINS0_14default_configENS1_25partition_config_selectorILNS1_17partition_subalgoE1EjNS0_10empty_typeEbEEZZNS1_14partition_implILS5_1ELb0ES3_jN6thrust23THRUST_200600_302600_NS6detail15normal_iteratorINSA_10device_ptrIjEEEEPS6_NSA_18transform_iteratorI7is_evenIjESF_NSA_11use_defaultESK_EENS0_5tupleIJSF_SF_EEENSM_IJSG_SG_EEES6_PlJS6_EEE10hipError_tPvRmT3_T4_T5_T6_T7_T9_mT8_P12ihipStream_tbDpT10_ENKUlT_T0_E_clISt17integral_constantIbLb0EES19_EEDaS14_S15_EUlS14_E_NS1_11comp_targetILNS1_3genE8ELNS1_11target_archE1030ELNS1_3gpuE2ELNS1_3repE0EEENS1_30default_config_static_selectorELNS0_4arch9wavefront6targetE1EEEvT1_
		.amdhsa_group_segment_fixed_size 0
		.amdhsa_private_segment_fixed_size 0
		.amdhsa_kernarg_size 128
		.amdhsa_user_sgpr_count 6
		.amdhsa_user_sgpr_private_segment_buffer 1
		.amdhsa_user_sgpr_dispatch_ptr 0
		.amdhsa_user_sgpr_queue_ptr 0
		.amdhsa_user_sgpr_kernarg_segment_ptr 1
		.amdhsa_user_sgpr_dispatch_id 0
		.amdhsa_user_sgpr_flat_scratch_init 0
		.amdhsa_user_sgpr_kernarg_preload_length 0
		.amdhsa_user_sgpr_kernarg_preload_offset 0
		.amdhsa_user_sgpr_private_segment_size 0
		.amdhsa_uses_dynamic_stack 0
		.amdhsa_system_sgpr_private_segment_wavefront_offset 0
		.amdhsa_system_sgpr_workgroup_id_x 1
		.amdhsa_system_sgpr_workgroup_id_y 0
		.amdhsa_system_sgpr_workgroup_id_z 0
		.amdhsa_system_sgpr_workgroup_info 0
		.amdhsa_system_vgpr_workitem_id 0
		.amdhsa_next_free_vgpr 1
		.amdhsa_next_free_sgpr 0
		.amdhsa_accum_offset 4
		.amdhsa_reserve_vcc 0
		.amdhsa_reserve_flat_scratch 0
		.amdhsa_float_round_mode_32 0
		.amdhsa_float_round_mode_16_64 0
		.amdhsa_float_denorm_mode_32 3
		.amdhsa_float_denorm_mode_16_64 3
		.amdhsa_dx10_clamp 1
		.amdhsa_ieee_mode 1
		.amdhsa_fp16_overflow 0
		.amdhsa_tg_split 0
		.amdhsa_exception_fp_ieee_invalid_op 0
		.amdhsa_exception_fp_denorm_src 0
		.amdhsa_exception_fp_ieee_div_zero 0
		.amdhsa_exception_fp_ieee_overflow 0
		.amdhsa_exception_fp_ieee_underflow 0
		.amdhsa_exception_fp_ieee_inexact 0
		.amdhsa_exception_int_div_zero 0
	.end_amdhsa_kernel
	.section	.text._ZN7rocprim17ROCPRIM_400000_NS6detail17trampoline_kernelINS0_14default_configENS1_25partition_config_selectorILNS1_17partition_subalgoE1EjNS0_10empty_typeEbEEZZNS1_14partition_implILS5_1ELb0ES3_jN6thrust23THRUST_200600_302600_NS6detail15normal_iteratorINSA_10device_ptrIjEEEEPS6_NSA_18transform_iteratorI7is_evenIjESF_NSA_11use_defaultESK_EENS0_5tupleIJSF_SF_EEENSM_IJSG_SG_EEES6_PlJS6_EEE10hipError_tPvRmT3_T4_T5_T6_T7_T9_mT8_P12ihipStream_tbDpT10_ENKUlT_T0_E_clISt17integral_constantIbLb0EES19_EEDaS14_S15_EUlS14_E_NS1_11comp_targetILNS1_3genE8ELNS1_11target_archE1030ELNS1_3gpuE2ELNS1_3repE0EEENS1_30default_config_static_selectorELNS0_4arch9wavefront6targetE1EEEvT1_,"axG",@progbits,_ZN7rocprim17ROCPRIM_400000_NS6detail17trampoline_kernelINS0_14default_configENS1_25partition_config_selectorILNS1_17partition_subalgoE1EjNS0_10empty_typeEbEEZZNS1_14partition_implILS5_1ELb0ES3_jN6thrust23THRUST_200600_302600_NS6detail15normal_iteratorINSA_10device_ptrIjEEEEPS6_NSA_18transform_iteratorI7is_evenIjESF_NSA_11use_defaultESK_EENS0_5tupleIJSF_SF_EEENSM_IJSG_SG_EEES6_PlJS6_EEE10hipError_tPvRmT3_T4_T5_T6_T7_T9_mT8_P12ihipStream_tbDpT10_ENKUlT_T0_E_clISt17integral_constantIbLb0EES19_EEDaS14_S15_EUlS14_E_NS1_11comp_targetILNS1_3genE8ELNS1_11target_archE1030ELNS1_3gpuE2ELNS1_3repE0EEENS1_30default_config_static_selectorELNS0_4arch9wavefront6targetE1EEEvT1_,comdat
.Lfunc_end2242:
	.size	_ZN7rocprim17ROCPRIM_400000_NS6detail17trampoline_kernelINS0_14default_configENS1_25partition_config_selectorILNS1_17partition_subalgoE1EjNS0_10empty_typeEbEEZZNS1_14partition_implILS5_1ELb0ES3_jN6thrust23THRUST_200600_302600_NS6detail15normal_iteratorINSA_10device_ptrIjEEEEPS6_NSA_18transform_iteratorI7is_evenIjESF_NSA_11use_defaultESK_EENS0_5tupleIJSF_SF_EEENSM_IJSG_SG_EEES6_PlJS6_EEE10hipError_tPvRmT3_T4_T5_T6_T7_T9_mT8_P12ihipStream_tbDpT10_ENKUlT_T0_E_clISt17integral_constantIbLb0EES19_EEDaS14_S15_EUlS14_E_NS1_11comp_targetILNS1_3genE8ELNS1_11target_archE1030ELNS1_3gpuE2ELNS1_3repE0EEENS1_30default_config_static_selectorELNS0_4arch9wavefront6targetE1EEEvT1_, .Lfunc_end2242-_ZN7rocprim17ROCPRIM_400000_NS6detail17trampoline_kernelINS0_14default_configENS1_25partition_config_selectorILNS1_17partition_subalgoE1EjNS0_10empty_typeEbEEZZNS1_14partition_implILS5_1ELb0ES3_jN6thrust23THRUST_200600_302600_NS6detail15normal_iteratorINSA_10device_ptrIjEEEEPS6_NSA_18transform_iteratorI7is_evenIjESF_NSA_11use_defaultESK_EENS0_5tupleIJSF_SF_EEENSM_IJSG_SG_EEES6_PlJS6_EEE10hipError_tPvRmT3_T4_T5_T6_T7_T9_mT8_P12ihipStream_tbDpT10_ENKUlT_T0_E_clISt17integral_constantIbLb0EES19_EEDaS14_S15_EUlS14_E_NS1_11comp_targetILNS1_3genE8ELNS1_11target_archE1030ELNS1_3gpuE2ELNS1_3repE0EEENS1_30default_config_static_selectorELNS0_4arch9wavefront6targetE1EEEvT1_
                                        ; -- End function
	.section	.AMDGPU.csdata,"",@progbits
; Kernel info:
; codeLenInByte = 0
; NumSgprs: 4
; NumVgprs: 0
; NumAgprs: 0
; TotalNumVgprs: 0
; ScratchSize: 0
; MemoryBound: 0
; FloatMode: 240
; IeeeMode: 1
; LDSByteSize: 0 bytes/workgroup (compile time only)
; SGPRBlocks: 0
; VGPRBlocks: 0
; NumSGPRsForWavesPerEU: 4
; NumVGPRsForWavesPerEU: 1
; AccumOffset: 4
; Occupancy: 8
; WaveLimiterHint : 0
; COMPUTE_PGM_RSRC2:SCRATCH_EN: 0
; COMPUTE_PGM_RSRC2:USER_SGPR: 6
; COMPUTE_PGM_RSRC2:TRAP_HANDLER: 0
; COMPUTE_PGM_RSRC2:TGID_X_EN: 1
; COMPUTE_PGM_RSRC2:TGID_Y_EN: 0
; COMPUTE_PGM_RSRC2:TGID_Z_EN: 0
; COMPUTE_PGM_RSRC2:TIDIG_COMP_CNT: 0
; COMPUTE_PGM_RSRC3_GFX90A:ACCUM_OFFSET: 0
; COMPUTE_PGM_RSRC3_GFX90A:TG_SPLIT: 0
	.section	.text._ZN7rocprim17ROCPRIM_400000_NS6detail17trampoline_kernelINS0_14default_configENS1_25partition_config_selectorILNS1_17partition_subalgoE1EjNS0_10empty_typeEbEEZZNS1_14partition_implILS5_1ELb0ES3_jN6thrust23THRUST_200600_302600_NS6detail15normal_iteratorINSA_10device_ptrIjEEEEPS6_NSA_18transform_iteratorI7is_evenIjESF_NSA_11use_defaultESK_EENS0_5tupleIJSF_SF_EEENSM_IJSG_SG_EEES6_PlJS6_EEE10hipError_tPvRmT3_T4_T5_T6_T7_T9_mT8_P12ihipStream_tbDpT10_ENKUlT_T0_E_clISt17integral_constantIbLb1EES19_EEDaS14_S15_EUlS14_E_NS1_11comp_targetILNS1_3genE0ELNS1_11target_archE4294967295ELNS1_3gpuE0ELNS1_3repE0EEENS1_30default_config_static_selectorELNS0_4arch9wavefront6targetE1EEEvT1_,"axG",@progbits,_ZN7rocprim17ROCPRIM_400000_NS6detail17trampoline_kernelINS0_14default_configENS1_25partition_config_selectorILNS1_17partition_subalgoE1EjNS0_10empty_typeEbEEZZNS1_14partition_implILS5_1ELb0ES3_jN6thrust23THRUST_200600_302600_NS6detail15normal_iteratorINSA_10device_ptrIjEEEEPS6_NSA_18transform_iteratorI7is_evenIjESF_NSA_11use_defaultESK_EENS0_5tupleIJSF_SF_EEENSM_IJSG_SG_EEES6_PlJS6_EEE10hipError_tPvRmT3_T4_T5_T6_T7_T9_mT8_P12ihipStream_tbDpT10_ENKUlT_T0_E_clISt17integral_constantIbLb1EES19_EEDaS14_S15_EUlS14_E_NS1_11comp_targetILNS1_3genE0ELNS1_11target_archE4294967295ELNS1_3gpuE0ELNS1_3repE0EEENS1_30default_config_static_selectorELNS0_4arch9wavefront6targetE1EEEvT1_,comdat
	.protected	_ZN7rocprim17ROCPRIM_400000_NS6detail17trampoline_kernelINS0_14default_configENS1_25partition_config_selectorILNS1_17partition_subalgoE1EjNS0_10empty_typeEbEEZZNS1_14partition_implILS5_1ELb0ES3_jN6thrust23THRUST_200600_302600_NS6detail15normal_iteratorINSA_10device_ptrIjEEEEPS6_NSA_18transform_iteratorI7is_evenIjESF_NSA_11use_defaultESK_EENS0_5tupleIJSF_SF_EEENSM_IJSG_SG_EEES6_PlJS6_EEE10hipError_tPvRmT3_T4_T5_T6_T7_T9_mT8_P12ihipStream_tbDpT10_ENKUlT_T0_E_clISt17integral_constantIbLb1EES19_EEDaS14_S15_EUlS14_E_NS1_11comp_targetILNS1_3genE0ELNS1_11target_archE4294967295ELNS1_3gpuE0ELNS1_3repE0EEENS1_30default_config_static_selectorELNS0_4arch9wavefront6targetE1EEEvT1_ ; -- Begin function _ZN7rocprim17ROCPRIM_400000_NS6detail17trampoline_kernelINS0_14default_configENS1_25partition_config_selectorILNS1_17partition_subalgoE1EjNS0_10empty_typeEbEEZZNS1_14partition_implILS5_1ELb0ES3_jN6thrust23THRUST_200600_302600_NS6detail15normal_iteratorINSA_10device_ptrIjEEEEPS6_NSA_18transform_iteratorI7is_evenIjESF_NSA_11use_defaultESK_EENS0_5tupleIJSF_SF_EEENSM_IJSG_SG_EEES6_PlJS6_EEE10hipError_tPvRmT3_T4_T5_T6_T7_T9_mT8_P12ihipStream_tbDpT10_ENKUlT_T0_E_clISt17integral_constantIbLb1EES19_EEDaS14_S15_EUlS14_E_NS1_11comp_targetILNS1_3genE0ELNS1_11target_archE4294967295ELNS1_3gpuE0ELNS1_3repE0EEENS1_30default_config_static_selectorELNS0_4arch9wavefront6targetE1EEEvT1_
	.globl	_ZN7rocprim17ROCPRIM_400000_NS6detail17trampoline_kernelINS0_14default_configENS1_25partition_config_selectorILNS1_17partition_subalgoE1EjNS0_10empty_typeEbEEZZNS1_14partition_implILS5_1ELb0ES3_jN6thrust23THRUST_200600_302600_NS6detail15normal_iteratorINSA_10device_ptrIjEEEEPS6_NSA_18transform_iteratorI7is_evenIjESF_NSA_11use_defaultESK_EENS0_5tupleIJSF_SF_EEENSM_IJSG_SG_EEES6_PlJS6_EEE10hipError_tPvRmT3_T4_T5_T6_T7_T9_mT8_P12ihipStream_tbDpT10_ENKUlT_T0_E_clISt17integral_constantIbLb1EES19_EEDaS14_S15_EUlS14_E_NS1_11comp_targetILNS1_3genE0ELNS1_11target_archE4294967295ELNS1_3gpuE0ELNS1_3repE0EEENS1_30default_config_static_selectorELNS0_4arch9wavefront6targetE1EEEvT1_
	.p2align	8
	.type	_ZN7rocprim17ROCPRIM_400000_NS6detail17trampoline_kernelINS0_14default_configENS1_25partition_config_selectorILNS1_17partition_subalgoE1EjNS0_10empty_typeEbEEZZNS1_14partition_implILS5_1ELb0ES3_jN6thrust23THRUST_200600_302600_NS6detail15normal_iteratorINSA_10device_ptrIjEEEEPS6_NSA_18transform_iteratorI7is_evenIjESF_NSA_11use_defaultESK_EENS0_5tupleIJSF_SF_EEENSM_IJSG_SG_EEES6_PlJS6_EEE10hipError_tPvRmT3_T4_T5_T6_T7_T9_mT8_P12ihipStream_tbDpT10_ENKUlT_T0_E_clISt17integral_constantIbLb1EES19_EEDaS14_S15_EUlS14_E_NS1_11comp_targetILNS1_3genE0ELNS1_11target_archE4294967295ELNS1_3gpuE0ELNS1_3repE0EEENS1_30default_config_static_selectorELNS0_4arch9wavefront6targetE1EEEvT1_,@function
_ZN7rocprim17ROCPRIM_400000_NS6detail17trampoline_kernelINS0_14default_configENS1_25partition_config_selectorILNS1_17partition_subalgoE1EjNS0_10empty_typeEbEEZZNS1_14partition_implILS5_1ELb0ES3_jN6thrust23THRUST_200600_302600_NS6detail15normal_iteratorINSA_10device_ptrIjEEEEPS6_NSA_18transform_iteratorI7is_evenIjESF_NSA_11use_defaultESK_EENS0_5tupleIJSF_SF_EEENSM_IJSG_SG_EEES6_PlJS6_EEE10hipError_tPvRmT3_T4_T5_T6_T7_T9_mT8_P12ihipStream_tbDpT10_ENKUlT_T0_E_clISt17integral_constantIbLb1EES19_EEDaS14_S15_EUlS14_E_NS1_11comp_targetILNS1_3genE0ELNS1_11target_archE4294967295ELNS1_3gpuE0ELNS1_3repE0EEENS1_30default_config_static_selectorELNS0_4arch9wavefront6targetE1EEEvT1_: ; @_ZN7rocprim17ROCPRIM_400000_NS6detail17trampoline_kernelINS0_14default_configENS1_25partition_config_selectorILNS1_17partition_subalgoE1EjNS0_10empty_typeEbEEZZNS1_14partition_implILS5_1ELb0ES3_jN6thrust23THRUST_200600_302600_NS6detail15normal_iteratorINSA_10device_ptrIjEEEEPS6_NSA_18transform_iteratorI7is_evenIjESF_NSA_11use_defaultESK_EENS0_5tupleIJSF_SF_EEENSM_IJSG_SG_EEES6_PlJS6_EEE10hipError_tPvRmT3_T4_T5_T6_T7_T9_mT8_P12ihipStream_tbDpT10_ENKUlT_T0_E_clISt17integral_constantIbLb1EES19_EEDaS14_S15_EUlS14_E_NS1_11comp_targetILNS1_3genE0ELNS1_11target_archE4294967295ELNS1_3gpuE0ELNS1_3repE0EEENS1_30default_config_static_selectorELNS0_4arch9wavefront6targetE1EEEvT1_
; %bb.0:
	.section	.rodata,"a",@progbits
	.p2align	6, 0x0
	.amdhsa_kernel _ZN7rocprim17ROCPRIM_400000_NS6detail17trampoline_kernelINS0_14default_configENS1_25partition_config_selectorILNS1_17partition_subalgoE1EjNS0_10empty_typeEbEEZZNS1_14partition_implILS5_1ELb0ES3_jN6thrust23THRUST_200600_302600_NS6detail15normal_iteratorINSA_10device_ptrIjEEEEPS6_NSA_18transform_iteratorI7is_evenIjESF_NSA_11use_defaultESK_EENS0_5tupleIJSF_SF_EEENSM_IJSG_SG_EEES6_PlJS6_EEE10hipError_tPvRmT3_T4_T5_T6_T7_T9_mT8_P12ihipStream_tbDpT10_ENKUlT_T0_E_clISt17integral_constantIbLb1EES19_EEDaS14_S15_EUlS14_E_NS1_11comp_targetILNS1_3genE0ELNS1_11target_archE4294967295ELNS1_3gpuE0ELNS1_3repE0EEENS1_30default_config_static_selectorELNS0_4arch9wavefront6targetE1EEEvT1_
		.amdhsa_group_segment_fixed_size 0
		.amdhsa_private_segment_fixed_size 0
		.amdhsa_kernarg_size 144
		.amdhsa_user_sgpr_count 6
		.amdhsa_user_sgpr_private_segment_buffer 1
		.amdhsa_user_sgpr_dispatch_ptr 0
		.amdhsa_user_sgpr_queue_ptr 0
		.amdhsa_user_sgpr_kernarg_segment_ptr 1
		.amdhsa_user_sgpr_dispatch_id 0
		.amdhsa_user_sgpr_flat_scratch_init 0
		.amdhsa_user_sgpr_kernarg_preload_length 0
		.amdhsa_user_sgpr_kernarg_preload_offset 0
		.amdhsa_user_sgpr_private_segment_size 0
		.amdhsa_uses_dynamic_stack 0
		.amdhsa_system_sgpr_private_segment_wavefront_offset 0
		.amdhsa_system_sgpr_workgroup_id_x 1
		.amdhsa_system_sgpr_workgroup_id_y 0
		.amdhsa_system_sgpr_workgroup_id_z 0
		.amdhsa_system_sgpr_workgroup_info 0
		.amdhsa_system_vgpr_workitem_id 0
		.amdhsa_next_free_vgpr 1
		.amdhsa_next_free_sgpr 0
		.amdhsa_accum_offset 4
		.amdhsa_reserve_vcc 0
		.amdhsa_reserve_flat_scratch 0
		.amdhsa_float_round_mode_32 0
		.amdhsa_float_round_mode_16_64 0
		.amdhsa_float_denorm_mode_32 3
		.amdhsa_float_denorm_mode_16_64 3
		.amdhsa_dx10_clamp 1
		.amdhsa_ieee_mode 1
		.amdhsa_fp16_overflow 0
		.amdhsa_tg_split 0
		.amdhsa_exception_fp_ieee_invalid_op 0
		.amdhsa_exception_fp_denorm_src 0
		.amdhsa_exception_fp_ieee_div_zero 0
		.amdhsa_exception_fp_ieee_overflow 0
		.amdhsa_exception_fp_ieee_underflow 0
		.amdhsa_exception_fp_ieee_inexact 0
		.amdhsa_exception_int_div_zero 0
	.end_amdhsa_kernel
	.section	.text._ZN7rocprim17ROCPRIM_400000_NS6detail17trampoline_kernelINS0_14default_configENS1_25partition_config_selectorILNS1_17partition_subalgoE1EjNS0_10empty_typeEbEEZZNS1_14partition_implILS5_1ELb0ES3_jN6thrust23THRUST_200600_302600_NS6detail15normal_iteratorINSA_10device_ptrIjEEEEPS6_NSA_18transform_iteratorI7is_evenIjESF_NSA_11use_defaultESK_EENS0_5tupleIJSF_SF_EEENSM_IJSG_SG_EEES6_PlJS6_EEE10hipError_tPvRmT3_T4_T5_T6_T7_T9_mT8_P12ihipStream_tbDpT10_ENKUlT_T0_E_clISt17integral_constantIbLb1EES19_EEDaS14_S15_EUlS14_E_NS1_11comp_targetILNS1_3genE0ELNS1_11target_archE4294967295ELNS1_3gpuE0ELNS1_3repE0EEENS1_30default_config_static_selectorELNS0_4arch9wavefront6targetE1EEEvT1_,"axG",@progbits,_ZN7rocprim17ROCPRIM_400000_NS6detail17trampoline_kernelINS0_14default_configENS1_25partition_config_selectorILNS1_17partition_subalgoE1EjNS0_10empty_typeEbEEZZNS1_14partition_implILS5_1ELb0ES3_jN6thrust23THRUST_200600_302600_NS6detail15normal_iteratorINSA_10device_ptrIjEEEEPS6_NSA_18transform_iteratorI7is_evenIjESF_NSA_11use_defaultESK_EENS0_5tupleIJSF_SF_EEENSM_IJSG_SG_EEES6_PlJS6_EEE10hipError_tPvRmT3_T4_T5_T6_T7_T9_mT8_P12ihipStream_tbDpT10_ENKUlT_T0_E_clISt17integral_constantIbLb1EES19_EEDaS14_S15_EUlS14_E_NS1_11comp_targetILNS1_3genE0ELNS1_11target_archE4294967295ELNS1_3gpuE0ELNS1_3repE0EEENS1_30default_config_static_selectorELNS0_4arch9wavefront6targetE1EEEvT1_,comdat
.Lfunc_end2243:
	.size	_ZN7rocprim17ROCPRIM_400000_NS6detail17trampoline_kernelINS0_14default_configENS1_25partition_config_selectorILNS1_17partition_subalgoE1EjNS0_10empty_typeEbEEZZNS1_14partition_implILS5_1ELb0ES3_jN6thrust23THRUST_200600_302600_NS6detail15normal_iteratorINSA_10device_ptrIjEEEEPS6_NSA_18transform_iteratorI7is_evenIjESF_NSA_11use_defaultESK_EENS0_5tupleIJSF_SF_EEENSM_IJSG_SG_EEES6_PlJS6_EEE10hipError_tPvRmT3_T4_T5_T6_T7_T9_mT8_P12ihipStream_tbDpT10_ENKUlT_T0_E_clISt17integral_constantIbLb1EES19_EEDaS14_S15_EUlS14_E_NS1_11comp_targetILNS1_3genE0ELNS1_11target_archE4294967295ELNS1_3gpuE0ELNS1_3repE0EEENS1_30default_config_static_selectorELNS0_4arch9wavefront6targetE1EEEvT1_, .Lfunc_end2243-_ZN7rocprim17ROCPRIM_400000_NS6detail17trampoline_kernelINS0_14default_configENS1_25partition_config_selectorILNS1_17partition_subalgoE1EjNS0_10empty_typeEbEEZZNS1_14partition_implILS5_1ELb0ES3_jN6thrust23THRUST_200600_302600_NS6detail15normal_iteratorINSA_10device_ptrIjEEEEPS6_NSA_18transform_iteratorI7is_evenIjESF_NSA_11use_defaultESK_EENS0_5tupleIJSF_SF_EEENSM_IJSG_SG_EEES6_PlJS6_EEE10hipError_tPvRmT3_T4_T5_T6_T7_T9_mT8_P12ihipStream_tbDpT10_ENKUlT_T0_E_clISt17integral_constantIbLb1EES19_EEDaS14_S15_EUlS14_E_NS1_11comp_targetILNS1_3genE0ELNS1_11target_archE4294967295ELNS1_3gpuE0ELNS1_3repE0EEENS1_30default_config_static_selectorELNS0_4arch9wavefront6targetE1EEEvT1_
                                        ; -- End function
	.section	.AMDGPU.csdata,"",@progbits
; Kernel info:
; codeLenInByte = 0
; NumSgprs: 4
; NumVgprs: 0
; NumAgprs: 0
; TotalNumVgprs: 0
; ScratchSize: 0
; MemoryBound: 0
; FloatMode: 240
; IeeeMode: 1
; LDSByteSize: 0 bytes/workgroup (compile time only)
; SGPRBlocks: 0
; VGPRBlocks: 0
; NumSGPRsForWavesPerEU: 4
; NumVGPRsForWavesPerEU: 1
; AccumOffset: 4
; Occupancy: 8
; WaveLimiterHint : 0
; COMPUTE_PGM_RSRC2:SCRATCH_EN: 0
; COMPUTE_PGM_RSRC2:USER_SGPR: 6
; COMPUTE_PGM_RSRC2:TRAP_HANDLER: 0
; COMPUTE_PGM_RSRC2:TGID_X_EN: 1
; COMPUTE_PGM_RSRC2:TGID_Y_EN: 0
; COMPUTE_PGM_RSRC2:TGID_Z_EN: 0
; COMPUTE_PGM_RSRC2:TIDIG_COMP_CNT: 0
; COMPUTE_PGM_RSRC3_GFX90A:ACCUM_OFFSET: 0
; COMPUTE_PGM_RSRC3_GFX90A:TG_SPLIT: 0
	.section	.text._ZN7rocprim17ROCPRIM_400000_NS6detail17trampoline_kernelINS0_14default_configENS1_25partition_config_selectorILNS1_17partition_subalgoE1EjNS0_10empty_typeEbEEZZNS1_14partition_implILS5_1ELb0ES3_jN6thrust23THRUST_200600_302600_NS6detail15normal_iteratorINSA_10device_ptrIjEEEEPS6_NSA_18transform_iteratorI7is_evenIjESF_NSA_11use_defaultESK_EENS0_5tupleIJSF_SF_EEENSM_IJSG_SG_EEES6_PlJS6_EEE10hipError_tPvRmT3_T4_T5_T6_T7_T9_mT8_P12ihipStream_tbDpT10_ENKUlT_T0_E_clISt17integral_constantIbLb1EES19_EEDaS14_S15_EUlS14_E_NS1_11comp_targetILNS1_3genE5ELNS1_11target_archE942ELNS1_3gpuE9ELNS1_3repE0EEENS1_30default_config_static_selectorELNS0_4arch9wavefront6targetE1EEEvT1_,"axG",@progbits,_ZN7rocprim17ROCPRIM_400000_NS6detail17trampoline_kernelINS0_14default_configENS1_25partition_config_selectorILNS1_17partition_subalgoE1EjNS0_10empty_typeEbEEZZNS1_14partition_implILS5_1ELb0ES3_jN6thrust23THRUST_200600_302600_NS6detail15normal_iteratorINSA_10device_ptrIjEEEEPS6_NSA_18transform_iteratorI7is_evenIjESF_NSA_11use_defaultESK_EENS0_5tupleIJSF_SF_EEENSM_IJSG_SG_EEES6_PlJS6_EEE10hipError_tPvRmT3_T4_T5_T6_T7_T9_mT8_P12ihipStream_tbDpT10_ENKUlT_T0_E_clISt17integral_constantIbLb1EES19_EEDaS14_S15_EUlS14_E_NS1_11comp_targetILNS1_3genE5ELNS1_11target_archE942ELNS1_3gpuE9ELNS1_3repE0EEENS1_30default_config_static_selectorELNS0_4arch9wavefront6targetE1EEEvT1_,comdat
	.protected	_ZN7rocprim17ROCPRIM_400000_NS6detail17trampoline_kernelINS0_14default_configENS1_25partition_config_selectorILNS1_17partition_subalgoE1EjNS0_10empty_typeEbEEZZNS1_14partition_implILS5_1ELb0ES3_jN6thrust23THRUST_200600_302600_NS6detail15normal_iteratorINSA_10device_ptrIjEEEEPS6_NSA_18transform_iteratorI7is_evenIjESF_NSA_11use_defaultESK_EENS0_5tupleIJSF_SF_EEENSM_IJSG_SG_EEES6_PlJS6_EEE10hipError_tPvRmT3_T4_T5_T6_T7_T9_mT8_P12ihipStream_tbDpT10_ENKUlT_T0_E_clISt17integral_constantIbLb1EES19_EEDaS14_S15_EUlS14_E_NS1_11comp_targetILNS1_3genE5ELNS1_11target_archE942ELNS1_3gpuE9ELNS1_3repE0EEENS1_30default_config_static_selectorELNS0_4arch9wavefront6targetE1EEEvT1_ ; -- Begin function _ZN7rocprim17ROCPRIM_400000_NS6detail17trampoline_kernelINS0_14default_configENS1_25partition_config_selectorILNS1_17partition_subalgoE1EjNS0_10empty_typeEbEEZZNS1_14partition_implILS5_1ELb0ES3_jN6thrust23THRUST_200600_302600_NS6detail15normal_iteratorINSA_10device_ptrIjEEEEPS6_NSA_18transform_iteratorI7is_evenIjESF_NSA_11use_defaultESK_EENS0_5tupleIJSF_SF_EEENSM_IJSG_SG_EEES6_PlJS6_EEE10hipError_tPvRmT3_T4_T5_T6_T7_T9_mT8_P12ihipStream_tbDpT10_ENKUlT_T0_E_clISt17integral_constantIbLb1EES19_EEDaS14_S15_EUlS14_E_NS1_11comp_targetILNS1_3genE5ELNS1_11target_archE942ELNS1_3gpuE9ELNS1_3repE0EEENS1_30default_config_static_selectorELNS0_4arch9wavefront6targetE1EEEvT1_
	.globl	_ZN7rocprim17ROCPRIM_400000_NS6detail17trampoline_kernelINS0_14default_configENS1_25partition_config_selectorILNS1_17partition_subalgoE1EjNS0_10empty_typeEbEEZZNS1_14partition_implILS5_1ELb0ES3_jN6thrust23THRUST_200600_302600_NS6detail15normal_iteratorINSA_10device_ptrIjEEEEPS6_NSA_18transform_iteratorI7is_evenIjESF_NSA_11use_defaultESK_EENS0_5tupleIJSF_SF_EEENSM_IJSG_SG_EEES6_PlJS6_EEE10hipError_tPvRmT3_T4_T5_T6_T7_T9_mT8_P12ihipStream_tbDpT10_ENKUlT_T0_E_clISt17integral_constantIbLb1EES19_EEDaS14_S15_EUlS14_E_NS1_11comp_targetILNS1_3genE5ELNS1_11target_archE942ELNS1_3gpuE9ELNS1_3repE0EEENS1_30default_config_static_selectorELNS0_4arch9wavefront6targetE1EEEvT1_
	.p2align	8
	.type	_ZN7rocprim17ROCPRIM_400000_NS6detail17trampoline_kernelINS0_14default_configENS1_25partition_config_selectorILNS1_17partition_subalgoE1EjNS0_10empty_typeEbEEZZNS1_14partition_implILS5_1ELb0ES3_jN6thrust23THRUST_200600_302600_NS6detail15normal_iteratorINSA_10device_ptrIjEEEEPS6_NSA_18transform_iteratorI7is_evenIjESF_NSA_11use_defaultESK_EENS0_5tupleIJSF_SF_EEENSM_IJSG_SG_EEES6_PlJS6_EEE10hipError_tPvRmT3_T4_T5_T6_T7_T9_mT8_P12ihipStream_tbDpT10_ENKUlT_T0_E_clISt17integral_constantIbLb1EES19_EEDaS14_S15_EUlS14_E_NS1_11comp_targetILNS1_3genE5ELNS1_11target_archE942ELNS1_3gpuE9ELNS1_3repE0EEENS1_30default_config_static_selectorELNS0_4arch9wavefront6targetE1EEEvT1_,@function
_ZN7rocprim17ROCPRIM_400000_NS6detail17trampoline_kernelINS0_14default_configENS1_25partition_config_selectorILNS1_17partition_subalgoE1EjNS0_10empty_typeEbEEZZNS1_14partition_implILS5_1ELb0ES3_jN6thrust23THRUST_200600_302600_NS6detail15normal_iteratorINSA_10device_ptrIjEEEEPS6_NSA_18transform_iteratorI7is_evenIjESF_NSA_11use_defaultESK_EENS0_5tupleIJSF_SF_EEENSM_IJSG_SG_EEES6_PlJS6_EEE10hipError_tPvRmT3_T4_T5_T6_T7_T9_mT8_P12ihipStream_tbDpT10_ENKUlT_T0_E_clISt17integral_constantIbLb1EES19_EEDaS14_S15_EUlS14_E_NS1_11comp_targetILNS1_3genE5ELNS1_11target_archE942ELNS1_3gpuE9ELNS1_3repE0EEENS1_30default_config_static_selectorELNS0_4arch9wavefront6targetE1EEEvT1_: ; @_ZN7rocprim17ROCPRIM_400000_NS6detail17trampoline_kernelINS0_14default_configENS1_25partition_config_selectorILNS1_17partition_subalgoE1EjNS0_10empty_typeEbEEZZNS1_14partition_implILS5_1ELb0ES3_jN6thrust23THRUST_200600_302600_NS6detail15normal_iteratorINSA_10device_ptrIjEEEEPS6_NSA_18transform_iteratorI7is_evenIjESF_NSA_11use_defaultESK_EENS0_5tupleIJSF_SF_EEENSM_IJSG_SG_EEES6_PlJS6_EEE10hipError_tPvRmT3_T4_T5_T6_T7_T9_mT8_P12ihipStream_tbDpT10_ENKUlT_T0_E_clISt17integral_constantIbLb1EES19_EEDaS14_S15_EUlS14_E_NS1_11comp_targetILNS1_3genE5ELNS1_11target_archE942ELNS1_3gpuE9ELNS1_3repE0EEENS1_30default_config_static_selectorELNS0_4arch9wavefront6targetE1EEEvT1_
; %bb.0:
	.section	.rodata,"a",@progbits
	.p2align	6, 0x0
	.amdhsa_kernel _ZN7rocprim17ROCPRIM_400000_NS6detail17trampoline_kernelINS0_14default_configENS1_25partition_config_selectorILNS1_17partition_subalgoE1EjNS0_10empty_typeEbEEZZNS1_14partition_implILS5_1ELb0ES3_jN6thrust23THRUST_200600_302600_NS6detail15normal_iteratorINSA_10device_ptrIjEEEEPS6_NSA_18transform_iteratorI7is_evenIjESF_NSA_11use_defaultESK_EENS0_5tupleIJSF_SF_EEENSM_IJSG_SG_EEES6_PlJS6_EEE10hipError_tPvRmT3_T4_T5_T6_T7_T9_mT8_P12ihipStream_tbDpT10_ENKUlT_T0_E_clISt17integral_constantIbLb1EES19_EEDaS14_S15_EUlS14_E_NS1_11comp_targetILNS1_3genE5ELNS1_11target_archE942ELNS1_3gpuE9ELNS1_3repE0EEENS1_30default_config_static_selectorELNS0_4arch9wavefront6targetE1EEEvT1_
		.amdhsa_group_segment_fixed_size 0
		.amdhsa_private_segment_fixed_size 0
		.amdhsa_kernarg_size 144
		.amdhsa_user_sgpr_count 6
		.amdhsa_user_sgpr_private_segment_buffer 1
		.amdhsa_user_sgpr_dispatch_ptr 0
		.amdhsa_user_sgpr_queue_ptr 0
		.amdhsa_user_sgpr_kernarg_segment_ptr 1
		.amdhsa_user_sgpr_dispatch_id 0
		.amdhsa_user_sgpr_flat_scratch_init 0
		.amdhsa_user_sgpr_kernarg_preload_length 0
		.amdhsa_user_sgpr_kernarg_preload_offset 0
		.amdhsa_user_sgpr_private_segment_size 0
		.amdhsa_uses_dynamic_stack 0
		.amdhsa_system_sgpr_private_segment_wavefront_offset 0
		.amdhsa_system_sgpr_workgroup_id_x 1
		.amdhsa_system_sgpr_workgroup_id_y 0
		.amdhsa_system_sgpr_workgroup_id_z 0
		.amdhsa_system_sgpr_workgroup_info 0
		.amdhsa_system_vgpr_workitem_id 0
		.amdhsa_next_free_vgpr 1
		.amdhsa_next_free_sgpr 0
		.amdhsa_accum_offset 4
		.amdhsa_reserve_vcc 0
		.amdhsa_reserve_flat_scratch 0
		.amdhsa_float_round_mode_32 0
		.amdhsa_float_round_mode_16_64 0
		.amdhsa_float_denorm_mode_32 3
		.amdhsa_float_denorm_mode_16_64 3
		.amdhsa_dx10_clamp 1
		.amdhsa_ieee_mode 1
		.amdhsa_fp16_overflow 0
		.amdhsa_tg_split 0
		.amdhsa_exception_fp_ieee_invalid_op 0
		.amdhsa_exception_fp_denorm_src 0
		.amdhsa_exception_fp_ieee_div_zero 0
		.amdhsa_exception_fp_ieee_overflow 0
		.amdhsa_exception_fp_ieee_underflow 0
		.amdhsa_exception_fp_ieee_inexact 0
		.amdhsa_exception_int_div_zero 0
	.end_amdhsa_kernel
	.section	.text._ZN7rocprim17ROCPRIM_400000_NS6detail17trampoline_kernelINS0_14default_configENS1_25partition_config_selectorILNS1_17partition_subalgoE1EjNS0_10empty_typeEbEEZZNS1_14partition_implILS5_1ELb0ES3_jN6thrust23THRUST_200600_302600_NS6detail15normal_iteratorINSA_10device_ptrIjEEEEPS6_NSA_18transform_iteratorI7is_evenIjESF_NSA_11use_defaultESK_EENS0_5tupleIJSF_SF_EEENSM_IJSG_SG_EEES6_PlJS6_EEE10hipError_tPvRmT3_T4_T5_T6_T7_T9_mT8_P12ihipStream_tbDpT10_ENKUlT_T0_E_clISt17integral_constantIbLb1EES19_EEDaS14_S15_EUlS14_E_NS1_11comp_targetILNS1_3genE5ELNS1_11target_archE942ELNS1_3gpuE9ELNS1_3repE0EEENS1_30default_config_static_selectorELNS0_4arch9wavefront6targetE1EEEvT1_,"axG",@progbits,_ZN7rocprim17ROCPRIM_400000_NS6detail17trampoline_kernelINS0_14default_configENS1_25partition_config_selectorILNS1_17partition_subalgoE1EjNS0_10empty_typeEbEEZZNS1_14partition_implILS5_1ELb0ES3_jN6thrust23THRUST_200600_302600_NS6detail15normal_iteratorINSA_10device_ptrIjEEEEPS6_NSA_18transform_iteratorI7is_evenIjESF_NSA_11use_defaultESK_EENS0_5tupleIJSF_SF_EEENSM_IJSG_SG_EEES6_PlJS6_EEE10hipError_tPvRmT3_T4_T5_T6_T7_T9_mT8_P12ihipStream_tbDpT10_ENKUlT_T0_E_clISt17integral_constantIbLb1EES19_EEDaS14_S15_EUlS14_E_NS1_11comp_targetILNS1_3genE5ELNS1_11target_archE942ELNS1_3gpuE9ELNS1_3repE0EEENS1_30default_config_static_selectorELNS0_4arch9wavefront6targetE1EEEvT1_,comdat
.Lfunc_end2244:
	.size	_ZN7rocprim17ROCPRIM_400000_NS6detail17trampoline_kernelINS0_14default_configENS1_25partition_config_selectorILNS1_17partition_subalgoE1EjNS0_10empty_typeEbEEZZNS1_14partition_implILS5_1ELb0ES3_jN6thrust23THRUST_200600_302600_NS6detail15normal_iteratorINSA_10device_ptrIjEEEEPS6_NSA_18transform_iteratorI7is_evenIjESF_NSA_11use_defaultESK_EENS0_5tupleIJSF_SF_EEENSM_IJSG_SG_EEES6_PlJS6_EEE10hipError_tPvRmT3_T4_T5_T6_T7_T9_mT8_P12ihipStream_tbDpT10_ENKUlT_T0_E_clISt17integral_constantIbLb1EES19_EEDaS14_S15_EUlS14_E_NS1_11comp_targetILNS1_3genE5ELNS1_11target_archE942ELNS1_3gpuE9ELNS1_3repE0EEENS1_30default_config_static_selectorELNS0_4arch9wavefront6targetE1EEEvT1_, .Lfunc_end2244-_ZN7rocprim17ROCPRIM_400000_NS6detail17trampoline_kernelINS0_14default_configENS1_25partition_config_selectorILNS1_17partition_subalgoE1EjNS0_10empty_typeEbEEZZNS1_14partition_implILS5_1ELb0ES3_jN6thrust23THRUST_200600_302600_NS6detail15normal_iteratorINSA_10device_ptrIjEEEEPS6_NSA_18transform_iteratorI7is_evenIjESF_NSA_11use_defaultESK_EENS0_5tupleIJSF_SF_EEENSM_IJSG_SG_EEES6_PlJS6_EEE10hipError_tPvRmT3_T4_T5_T6_T7_T9_mT8_P12ihipStream_tbDpT10_ENKUlT_T0_E_clISt17integral_constantIbLb1EES19_EEDaS14_S15_EUlS14_E_NS1_11comp_targetILNS1_3genE5ELNS1_11target_archE942ELNS1_3gpuE9ELNS1_3repE0EEENS1_30default_config_static_selectorELNS0_4arch9wavefront6targetE1EEEvT1_
                                        ; -- End function
	.section	.AMDGPU.csdata,"",@progbits
; Kernel info:
; codeLenInByte = 0
; NumSgprs: 4
; NumVgprs: 0
; NumAgprs: 0
; TotalNumVgprs: 0
; ScratchSize: 0
; MemoryBound: 0
; FloatMode: 240
; IeeeMode: 1
; LDSByteSize: 0 bytes/workgroup (compile time only)
; SGPRBlocks: 0
; VGPRBlocks: 0
; NumSGPRsForWavesPerEU: 4
; NumVGPRsForWavesPerEU: 1
; AccumOffset: 4
; Occupancy: 8
; WaveLimiterHint : 0
; COMPUTE_PGM_RSRC2:SCRATCH_EN: 0
; COMPUTE_PGM_RSRC2:USER_SGPR: 6
; COMPUTE_PGM_RSRC2:TRAP_HANDLER: 0
; COMPUTE_PGM_RSRC2:TGID_X_EN: 1
; COMPUTE_PGM_RSRC2:TGID_Y_EN: 0
; COMPUTE_PGM_RSRC2:TGID_Z_EN: 0
; COMPUTE_PGM_RSRC2:TIDIG_COMP_CNT: 0
; COMPUTE_PGM_RSRC3_GFX90A:ACCUM_OFFSET: 0
; COMPUTE_PGM_RSRC3_GFX90A:TG_SPLIT: 0
	.section	.text._ZN7rocprim17ROCPRIM_400000_NS6detail17trampoline_kernelINS0_14default_configENS1_25partition_config_selectorILNS1_17partition_subalgoE1EjNS0_10empty_typeEbEEZZNS1_14partition_implILS5_1ELb0ES3_jN6thrust23THRUST_200600_302600_NS6detail15normal_iteratorINSA_10device_ptrIjEEEEPS6_NSA_18transform_iteratorI7is_evenIjESF_NSA_11use_defaultESK_EENS0_5tupleIJSF_SF_EEENSM_IJSG_SG_EEES6_PlJS6_EEE10hipError_tPvRmT3_T4_T5_T6_T7_T9_mT8_P12ihipStream_tbDpT10_ENKUlT_T0_E_clISt17integral_constantIbLb1EES19_EEDaS14_S15_EUlS14_E_NS1_11comp_targetILNS1_3genE4ELNS1_11target_archE910ELNS1_3gpuE8ELNS1_3repE0EEENS1_30default_config_static_selectorELNS0_4arch9wavefront6targetE1EEEvT1_,"axG",@progbits,_ZN7rocprim17ROCPRIM_400000_NS6detail17trampoline_kernelINS0_14default_configENS1_25partition_config_selectorILNS1_17partition_subalgoE1EjNS0_10empty_typeEbEEZZNS1_14partition_implILS5_1ELb0ES3_jN6thrust23THRUST_200600_302600_NS6detail15normal_iteratorINSA_10device_ptrIjEEEEPS6_NSA_18transform_iteratorI7is_evenIjESF_NSA_11use_defaultESK_EENS0_5tupleIJSF_SF_EEENSM_IJSG_SG_EEES6_PlJS6_EEE10hipError_tPvRmT3_T4_T5_T6_T7_T9_mT8_P12ihipStream_tbDpT10_ENKUlT_T0_E_clISt17integral_constantIbLb1EES19_EEDaS14_S15_EUlS14_E_NS1_11comp_targetILNS1_3genE4ELNS1_11target_archE910ELNS1_3gpuE8ELNS1_3repE0EEENS1_30default_config_static_selectorELNS0_4arch9wavefront6targetE1EEEvT1_,comdat
	.protected	_ZN7rocprim17ROCPRIM_400000_NS6detail17trampoline_kernelINS0_14default_configENS1_25partition_config_selectorILNS1_17partition_subalgoE1EjNS0_10empty_typeEbEEZZNS1_14partition_implILS5_1ELb0ES3_jN6thrust23THRUST_200600_302600_NS6detail15normal_iteratorINSA_10device_ptrIjEEEEPS6_NSA_18transform_iteratorI7is_evenIjESF_NSA_11use_defaultESK_EENS0_5tupleIJSF_SF_EEENSM_IJSG_SG_EEES6_PlJS6_EEE10hipError_tPvRmT3_T4_T5_T6_T7_T9_mT8_P12ihipStream_tbDpT10_ENKUlT_T0_E_clISt17integral_constantIbLb1EES19_EEDaS14_S15_EUlS14_E_NS1_11comp_targetILNS1_3genE4ELNS1_11target_archE910ELNS1_3gpuE8ELNS1_3repE0EEENS1_30default_config_static_selectorELNS0_4arch9wavefront6targetE1EEEvT1_ ; -- Begin function _ZN7rocprim17ROCPRIM_400000_NS6detail17trampoline_kernelINS0_14default_configENS1_25partition_config_selectorILNS1_17partition_subalgoE1EjNS0_10empty_typeEbEEZZNS1_14partition_implILS5_1ELb0ES3_jN6thrust23THRUST_200600_302600_NS6detail15normal_iteratorINSA_10device_ptrIjEEEEPS6_NSA_18transform_iteratorI7is_evenIjESF_NSA_11use_defaultESK_EENS0_5tupleIJSF_SF_EEENSM_IJSG_SG_EEES6_PlJS6_EEE10hipError_tPvRmT3_T4_T5_T6_T7_T9_mT8_P12ihipStream_tbDpT10_ENKUlT_T0_E_clISt17integral_constantIbLb1EES19_EEDaS14_S15_EUlS14_E_NS1_11comp_targetILNS1_3genE4ELNS1_11target_archE910ELNS1_3gpuE8ELNS1_3repE0EEENS1_30default_config_static_selectorELNS0_4arch9wavefront6targetE1EEEvT1_
	.globl	_ZN7rocprim17ROCPRIM_400000_NS6detail17trampoline_kernelINS0_14default_configENS1_25partition_config_selectorILNS1_17partition_subalgoE1EjNS0_10empty_typeEbEEZZNS1_14partition_implILS5_1ELb0ES3_jN6thrust23THRUST_200600_302600_NS6detail15normal_iteratorINSA_10device_ptrIjEEEEPS6_NSA_18transform_iteratorI7is_evenIjESF_NSA_11use_defaultESK_EENS0_5tupleIJSF_SF_EEENSM_IJSG_SG_EEES6_PlJS6_EEE10hipError_tPvRmT3_T4_T5_T6_T7_T9_mT8_P12ihipStream_tbDpT10_ENKUlT_T0_E_clISt17integral_constantIbLb1EES19_EEDaS14_S15_EUlS14_E_NS1_11comp_targetILNS1_3genE4ELNS1_11target_archE910ELNS1_3gpuE8ELNS1_3repE0EEENS1_30default_config_static_selectorELNS0_4arch9wavefront6targetE1EEEvT1_
	.p2align	8
	.type	_ZN7rocprim17ROCPRIM_400000_NS6detail17trampoline_kernelINS0_14default_configENS1_25partition_config_selectorILNS1_17partition_subalgoE1EjNS0_10empty_typeEbEEZZNS1_14partition_implILS5_1ELb0ES3_jN6thrust23THRUST_200600_302600_NS6detail15normal_iteratorINSA_10device_ptrIjEEEEPS6_NSA_18transform_iteratorI7is_evenIjESF_NSA_11use_defaultESK_EENS0_5tupleIJSF_SF_EEENSM_IJSG_SG_EEES6_PlJS6_EEE10hipError_tPvRmT3_T4_T5_T6_T7_T9_mT8_P12ihipStream_tbDpT10_ENKUlT_T0_E_clISt17integral_constantIbLb1EES19_EEDaS14_S15_EUlS14_E_NS1_11comp_targetILNS1_3genE4ELNS1_11target_archE910ELNS1_3gpuE8ELNS1_3repE0EEENS1_30default_config_static_selectorELNS0_4arch9wavefront6targetE1EEEvT1_,@function
_ZN7rocprim17ROCPRIM_400000_NS6detail17trampoline_kernelINS0_14default_configENS1_25partition_config_selectorILNS1_17partition_subalgoE1EjNS0_10empty_typeEbEEZZNS1_14partition_implILS5_1ELb0ES3_jN6thrust23THRUST_200600_302600_NS6detail15normal_iteratorINSA_10device_ptrIjEEEEPS6_NSA_18transform_iteratorI7is_evenIjESF_NSA_11use_defaultESK_EENS0_5tupleIJSF_SF_EEENSM_IJSG_SG_EEES6_PlJS6_EEE10hipError_tPvRmT3_T4_T5_T6_T7_T9_mT8_P12ihipStream_tbDpT10_ENKUlT_T0_E_clISt17integral_constantIbLb1EES19_EEDaS14_S15_EUlS14_E_NS1_11comp_targetILNS1_3genE4ELNS1_11target_archE910ELNS1_3gpuE8ELNS1_3repE0EEENS1_30default_config_static_selectorELNS0_4arch9wavefront6targetE1EEEvT1_: ; @_ZN7rocprim17ROCPRIM_400000_NS6detail17trampoline_kernelINS0_14default_configENS1_25partition_config_selectorILNS1_17partition_subalgoE1EjNS0_10empty_typeEbEEZZNS1_14partition_implILS5_1ELb0ES3_jN6thrust23THRUST_200600_302600_NS6detail15normal_iteratorINSA_10device_ptrIjEEEEPS6_NSA_18transform_iteratorI7is_evenIjESF_NSA_11use_defaultESK_EENS0_5tupleIJSF_SF_EEENSM_IJSG_SG_EEES6_PlJS6_EEE10hipError_tPvRmT3_T4_T5_T6_T7_T9_mT8_P12ihipStream_tbDpT10_ENKUlT_T0_E_clISt17integral_constantIbLb1EES19_EEDaS14_S15_EUlS14_E_NS1_11comp_targetILNS1_3genE4ELNS1_11target_archE910ELNS1_3gpuE8ELNS1_3repE0EEENS1_30default_config_static_selectorELNS0_4arch9wavefront6targetE1EEEvT1_
; %bb.0:
	s_load_dwordx2 s[6:7], s[4:5], 0x20
	s_load_dwordx4 s[20:23], s[4:5], 0x50
	s_load_dwordx2 s[2:3], s[4:5], 0x60
	s_load_dwordx2 s[30:31], s[4:5], 0x70
	v_cmp_eq_u32_e64 s[0:1], 0, v0
	s_and_saveexec_b64 s[8:9], s[0:1]
	s_cbranch_execz .LBB2245_4
; %bb.1:
	s_mov_b64 s[12:13], exec
	v_mbcnt_lo_u32_b32 v1, s12, 0
	v_mbcnt_hi_u32_b32 v1, s13, v1
	v_cmp_eq_u32_e32 vcc, 0, v1
                                        ; implicit-def: $vgpr2
	s_and_saveexec_b64 s[10:11], vcc
	s_cbranch_execz .LBB2245_3
; %bb.2:
	s_load_dwordx2 s[14:15], s[4:5], 0x80
	s_bcnt1_i32_b64 s12, s[12:13]
	v_mov_b32_e32 v2, 0
	v_mov_b32_e32 v3, s12
	s_waitcnt lgkmcnt(0)
	global_atomic_add v2, v2, v3, s[14:15] glc
.LBB2245_3:
	s_or_b64 exec, exec, s[10:11]
	s_waitcnt vmcnt(0)
	v_readfirstlane_b32 s10, v2
	v_add_u32_e32 v1, s10, v1
	v_mov_b32_e32 v2, 0
	ds_write_b32 v2, v1
.LBB2245_4:
	s_or_b64 exec, exec, s[8:9]
	v_mov_b32_e32 v3, 0
	s_load_dwordx4 s[16:19], s[4:5], 0x8
	s_load_dwordx4 s[24:27], s[4:5], 0x30
	s_load_dword s8, s[4:5], 0x78
	s_waitcnt lgkmcnt(0)
	s_barrier
	ds_read_b32 v1, v3
	s_waitcnt lgkmcnt(0)
	s_barrier
	global_load_dwordx2 v[10:11], v3, s[22:23]
	v_mov_b32_e32 v5, s3
	s_lshl_b64 s[4:5], s[18:19], 2
	s_movk_i32 s3, 0x700
	s_add_u32 s9, s16, s4
	v_mul_lo_u32 v2, v1, s3
	s_mul_i32 s3, s8, 0x700
	s_addc_u32 s10, s17, s5
	s_add_i32 s11, s8, -1
	s_add_i32 s8, s3, s18
	s_sub_i32 s33, s2, s8
	s_addk_i32 s33, 0x700
	v_mov_b32_e32 v4, s2
	s_add_u32 s2, s18, s3
	v_readfirstlane_b32 s40, v1
	s_addc_u32 s3, s19, 0
	s_cmp_eq_u32 s40, s11
	s_cselect_b64 s[22:23], -1, 0
	s_cmp_lg_u32 s40, s11
	v_cmp_lt_u64_e32 vcc, s[2:3], v[4:5]
	s_cselect_b64 s[2:3], -1, 0
	v_lshlrev_b64 v[12:13], 2, v[2:3]
	s_or_b64 s[28:29], vcc, s[2:3]
	v_mov_b32_e32 v2, s10
	v_add_co_u32_e32 v1, vcc, s9, v12
	v_addc_co_u32_e32 v9, vcc, v2, v13, vcc
	s_mov_b64 s[2:3], -1
	s_and_b64 vcc, exec, s[28:29]
	v_lshlrev_b32_e32 v22, 2, v0
	s_cbranch_vccz .LBB2245_6
; %bb.5:
	v_add_co_u32_e32 v2, vcc, v1, v22
	v_addc_co_u32_e32 v3, vcc, 0, v9, vcc
	v_add_co_u32_e32 v4, vcc, 0x1000, v2
	v_addc_co_u32_e32 v5, vcc, 0, v3, vcc
	flat_load_dword v6, v[2:3]
	flat_load_dword v7, v[2:3] offset:1024
	flat_load_dword v8, v[2:3] offset:2048
	;; [unrolled: 1-line block ×3, first 2 shown]
	flat_load_dword v15, v[4:5]
	flat_load_dword v16, v[4:5] offset:1024
	flat_load_dword v17, v[4:5] offset:2048
	s_mov_b64 s[2:3], 0
	s_waitcnt vmcnt(0) lgkmcnt(0)
	ds_write2st64_b32 v22, v6, v7 offset1:4
	ds_write2st64_b32 v22, v8, v14 offset0:8 offset1:12
	ds_write2st64_b32 v22, v15, v16 offset0:16 offset1:20
	ds_write_b32 v22, v17 offset:6144
	s_waitcnt lgkmcnt(0)
	s_barrier
.LBB2245_6:
	s_andn2_b64 vcc, exec, s[2:3]
	v_cmp_gt_u32_e64 s[2:3], s33, v0
	s_cbranch_vccnz .LBB2245_22
; %bb.7:
                                        ; implicit-def: $vgpr2_vgpr3_vgpr4_vgpr5_vgpr6_vgpr7_vgpr8
	s_and_saveexec_b64 s[8:9], s[2:3]
	s_cbranch_execz .LBB2245_9
; %bb.8:
	v_add_co_u32_e32 v2, vcc, v1, v22
	v_addc_co_u32_e32 v3, vcc, 0, v9, vcc
	flat_load_dword v2, v[2:3]
.LBB2245_9:
	s_or_b64 exec, exec, s[8:9]
	v_or_b32_e32 v14, 0x100, v0
	v_cmp_gt_u32_e32 vcc, s33, v14
	s_and_saveexec_b64 s[2:3], vcc
	s_cbranch_execz .LBB2245_11
; %bb.10:
	v_add_co_u32_e32 v14, vcc, v1, v22
	v_addc_co_u32_e32 v15, vcc, 0, v9, vcc
	flat_load_dword v3, v[14:15] offset:1024
.LBB2245_11:
	s_or_b64 exec, exec, s[2:3]
	v_or_b32_e32 v14, 0x200, v0
	v_cmp_gt_u32_e32 vcc, s33, v14
	s_and_saveexec_b64 s[2:3], vcc
	s_cbranch_execz .LBB2245_13
; %bb.12:
	v_add_co_u32_e32 v14, vcc, v1, v22
	v_addc_co_u32_e32 v15, vcc, 0, v9, vcc
	flat_load_dword v4, v[14:15] offset:2048
.LBB2245_13:
	;; [unrolled: 10-line block ×3, first 2 shown]
	s_or_b64 exec, exec, s[2:3]
	v_or_b32_e32 v14, 0x400, v0
	v_cmp_gt_u32_e32 vcc, s33, v14
	s_and_saveexec_b64 s[2:3], vcc
	s_cbranch_execz .LBB2245_17
; %bb.16:
	v_lshlrev_b32_e32 v6, 2, v14
	v_add_co_u32_e32 v14, vcc, v1, v6
	v_addc_co_u32_e32 v15, vcc, 0, v9, vcc
	flat_load_dword v6, v[14:15]
.LBB2245_17:
	s_or_b64 exec, exec, s[2:3]
	v_or_b32_e32 v14, 0x500, v0
	v_cmp_gt_u32_e32 vcc, s33, v14
	s_and_saveexec_b64 s[2:3], vcc
	s_cbranch_execz .LBB2245_19
; %bb.18:
	v_lshlrev_b32_e32 v7, 2, v14
	v_add_co_u32_e32 v14, vcc, v1, v7
	v_addc_co_u32_e32 v15, vcc, 0, v9, vcc
	flat_load_dword v7, v[14:15]
.LBB2245_19:
	;; [unrolled: 11-line block ×3, first 2 shown]
	s_or_b64 exec, exec, s[2:3]
	s_waitcnt vmcnt(0) lgkmcnt(0)
	ds_write2st64_b32 v22, v2, v3 offset1:4
	ds_write2st64_b32 v22, v4, v5 offset0:8 offset1:12
	ds_write2st64_b32 v22, v6, v7 offset0:16 offset1:20
	ds_write_b32 v22, v8 offset:6144
	s_waitcnt lgkmcnt(0)
	s_barrier
.LBB2245_22:
	v_mul_u32_u24_e32 v24, 7, v0
	v_lshlrev_b32_e32 v9, 2, v24
	ds_read2_b32 v[6:7], v9 offset1:1
	ds_read2_b32 v[4:5], v9 offset0:2 offset1:3
	ds_read2_b32 v[2:3], v9 offset0:4 offset1:5
	ds_read_b32 v23, v9 offset:24
	s_add_u32 s2, s6, s4
	s_addc_u32 s3, s7, s5
	v_mov_b32_e32 v1, s3
	v_add_co_u32_e32 v8, vcc, s2, v12
	v_addc_co_u32_e32 v1, vcc, v1, v13, vcc
	s_mov_b64 s[2:3], -1
	s_and_b64 vcc, exec, s[28:29]
	s_waitcnt lgkmcnt(0)
	s_barrier
	s_cbranch_vccz .LBB2245_24
; %bb.23:
	v_add_co_u32_e32 v14, vcc, v8, v22
	v_readfirstlane_b32 s2, v8
	v_readfirstlane_b32 s3, v1
	v_addc_co_u32_e32 v15, vcc, 0, v1, vcc
	s_nop 3
	global_load_dword v16, v22, s[2:3]
	global_load_dword v17, v22, s[2:3] offset:1024
	global_load_dword v18, v22, s[2:3] offset:2048
	;; [unrolled: 1-line block ×3, first 2 shown]
	s_movk_i32 s2, 0x1000
	v_add_co_u32_e32 v14, vcc, s2, v14
	v_addc_co_u32_e32 v15, vcc, 0, v15, vcc
	global_load_dword v20, v[14:15], off
	global_load_dword v21, v[14:15], off offset:1024
	global_load_dword v25, v[14:15], off offset:2048
	s_mov_b64 s[2:3], 0
	s_waitcnt vmcnt(6)
	v_xor_b32_e32 v14, -1, v16
	s_waitcnt vmcnt(5)
	v_xor_b32_e32 v15, -1, v17
	;; [unrolled: 2-line block ×4, first 2 shown]
	v_and_b32_e32 v14, 1, v14
	v_and_b32_e32 v15, 1, v15
	;; [unrolled: 1-line block ×3, first 2 shown]
	s_waitcnt vmcnt(2)
	v_xor_b32_e32 v18, -1, v20
	s_waitcnt vmcnt(1)
	v_xor_b32_e32 v19, -1, v21
	;; [unrolled: 2-line block ×3, first 2 shown]
	v_and_b32_e32 v17, 1, v17
	v_and_b32_e32 v18, 1, v18
	;; [unrolled: 1-line block ×4, first 2 shown]
	ds_write_b8 v0, v14
	ds_write_b8 v0, v15 offset:256
	ds_write_b8 v0, v16 offset:512
	ds_write_b8 v0, v17 offset:768
	ds_write_b8 v0, v18 offset:1024
	ds_write_b8 v0, v19 offset:1280
	ds_write_b8 v0, v20 offset:1536
	s_waitcnt lgkmcnt(0)
	s_barrier
.LBB2245_24:
	s_andn2_b64 vcc, exec, s[2:3]
	s_cbranch_vccnz .LBB2245_40
; %bb.25:
	v_cmp_gt_u32_e32 vcc, s33, v0
	v_mov_b32_e32 v14, 0
	v_mov_b32_e32 v15, 0
	s_and_saveexec_b64 s[2:3], vcc
	s_cbranch_execz .LBB2245_27
; %bb.26:
	v_readfirstlane_b32 s4, v8
	v_readfirstlane_b32 s5, v1
	s_nop 4
	global_load_dword v15, v22, s[4:5]
	s_waitcnt vmcnt(0)
	v_xor_b32_e32 v15, -1, v15
	v_and_b32_e32 v15, 1, v15
.LBB2245_27:
	s_or_b64 exec, exec, s[2:3]
	v_or_b32_e32 v16, 0x100, v0
	v_cmp_gt_u32_e32 vcc, s33, v16
	s_and_saveexec_b64 s[2:3], vcc
	s_cbranch_execz .LBB2245_29
; %bb.28:
	v_readfirstlane_b32 s4, v8
	v_readfirstlane_b32 s5, v1
	s_nop 4
	global_load_dword v14, v22, s[4:5] offset:1024
	s_waitcnt vmcnt(0)
	v_xor_b32_e32 v14, -1, v14
	v_and_b32_e32 v14, 1, v14
.LBB2245_29:
	s_or_b64 exec, exec, s[2:3]
	v_or_b32_e32 v16, 0x200, v0
	v_cmp_gt_u32_e32 vcc, s33, v16
	v_mov_b32_e32 v16, 0
	v_mov_b32_e32 v17, 0
	s_and_saveexec_b64 s[2:3], vcc
	s_cbranch_execz .LBB2245_31
; %bb.30:
	v_readfirstlane_b32 s4, v8
	v_readfirstlane_b32 s5, v1
	s_nop 4
	global_load_dword v17, v22, s[4:5] offset:2048
	s_waitcnt vmcnt(0)
	v_xor_b32_e32 v17, -1, v17
	v_and_b32_e32 v17, 1, v17
.LBB2245_31:
	s_or_b64 exec, exec, s[2:3]
	v_or_b32_e32 v18, 0x300, v0
	v_cmp_gt_u32_e32 vcc, s33, v18
	s_and_saveexec_b64 s[2:3], vcc
	s_cbranch_execz .LBB2245_33
; %bb.32:
	v_readfirstlane_b32 s4, v8
	v_readfirstlane_b32 s5, v1
	s_nop 4
	global_load_dword v16, v22, s[4:5] offset:3072
	s_waitcnt vmcnt(0)
	v_xor_b32_e32 v16, -1, v16
	v_and_b32_e32 v16, 1, v16
.LBB2245_33:
	s_or_b64 exec, exec, s[2:3]
	v_or_b32_e32 v20, 0x400, v0
	v_cmp_gt_u32_e32 vcc, s33, v20
	v_mov_b32_e32 v18, 0
	v_mov_b32_e32 v19, 0
	s_and_saveexec_b64 s[2:3], vcc
	s_cbranch_execz .LBB2245_35
; %bb.34:
	v_lshlrev_b32_e32 v19, 2, v20
	v_readfirstlane_b32 s4, v8
	v_readfirstlane_b32 s5, v1
	s_nop 4
	global_load_dword v19, v19, s[4:5]
	s_waitcnt vmcnt(0)
	v_xor_b32_e32 v19, -1, v19
	v_and_b32_e32 v19, 1, v19
.LBB2245_35:
	s_or_b64 exec, exec, s[2:3]
	v_or_b32_e32 v20, 0x500, v0
	v_cmp_gt_u32_e32 vcc, s33, v20
	s_and_saveexec_b64 s[2:3], vcc
	s_cbranch_execz .LBB2245_37
; %bb.36:
	v_lshlrev_b32_e32 v18, 2, v20
	v_readfirstlane_b32 s4, v8
	v_readfirstlane_b32 s5, v1
	s_nop 4
	global_load_dword v18, v18, s[4:5]
	s_waitcnt vmcnt(0)
	v_xor_b32_e32 v18, -1, v18
	v_and_b32_e32 v18, 1, v18
.LBB2245_37:
	s_or_b64 exec, exec, s[2:3]
	v_or_b32_e32 v21, 0x600, v0
	v_cmp_gt_u32_e32 vcc, s33, v21
	v_mov_b32_e32 v20, 0
	s_and_saveexec_b64 s[2:3], vcc
	s_cbranch_execz .LBB2245_39
; %bb.38:
	v_lshlrev_b32_e32 v20, 2, v21
	v_readfirstlane_b32 s4, v8
	v_readfirstlane_b32 s5, v1
	s_nop 4
	global_load_dword v1, v20, s[4:5]
	s_waitcnt vmcnt(0)
	v_xor_b32_e32 v1, -1, v1
	v_and_b32_e32 v20, 1, v1
.LBB2245_39:
	s_or_b64 exec, exec, s[2:3]
	ds_write_b8 v0, v15
	ds_write_b8 v0, v14 offset:256
	ds_write_b8 v0, v17 offset:512
	;; [unrolled: 1-line block ×6, first 2 shown]
	s_waitcnt lgkmcnt(0)
	s_barrier
.LBB2245_40:
	s_movk_i32 s2, 0xffeb
	v_mad_i32_i24 v32, v0, s2, v9
	ds_read_u8 v1, v32
	ds_read_u8 v8, v32 offset:1
	ds_read_u8 v9, v32 offset:2
	;; [unrolled: 1-line block ×6, first 2 shown]
	s_waitcnt lgkmcnt(6)
	v_and_b32_e32 v30, 1, v1
	s_waitcnt lgkmcnt(5)
	v_and_b32_e32 v29, 1, v8
	;; [unrolled: 2-line block ×5, first 2 shown]
	v_add3_u32 v8, v29, v30, v28
	s_waitcnt lgkmcnt(1)
	v_and_b32_e32 v25, 1, v16
	s_waitcnt lgkmcnt(0)
	v_and_b32_e32 v1, 1, v17
	v_add3_u32 v8, v8, v27, v26
	v_add3_u32 v34, v8, v25, v1
	v_mbcnt_lo_u32_b32 v8, -1, 0
	v_mbcnt_hi_u32_b32 v31, -1, v8
	v_and_b32_e32 v8, 15, v31
	v_cmp_eq_u32_e64 s[14:15], 0, v8
	v_cmp_lt_u32_e64 s[12:13], 1, v8
	v_cmp_lt_u32_e64 s[10:11], 3, v8
	;; [unrolled: 1-line block ×3, first 2 shown]
	v_and_b32_e32 v8, 16, v31
	v_cmp_eq_u32_e64 s[6:7], 0, v8
	v_or_b32_e32 v8, 63, v0
	s_cmp_lg_u32 s40, 0
	v_cmp_lt_u32_e64 s[2:3], 31, v31
	v_lshrrev_b32_e32 v33, 6, v0
	v_cmp_eq_u32_e64 s[4:5], v8, v0
	s_barrier
	s_cbranch_scc0 .LBB2245_71
; %bb.41:
	v_mov_b32_dpp v8, v34 row_shr:1 row_mask:0xf bank_mask:0xf
	v_cndmask_b32_e64 v8, v8, 0, s[14:15]
	v_add_u32_e32 v8, v8, v34
	s_nop 1
	v_mov_b32_dpp v9, v8 row_shr:2 row_mask:0xf bank_mask:0xf
	v_cndmask_b32_e64 v9, 0, v9, s[12:13]
	v_add_u32_e32 v8, v8, v9
	s_nop 1
	;; [unrolled: 4-line block ×4, first 2 shown]
	v_mov_b32_dpp v9, v8 row_bcast:15 row_mask:0xf bank_mask:0xf
	v_cndmask_b32_e64 v9, v9, 0, s[6:7]
	v_add_u32_e32 v8, v8, v9
	s_nop 1
	v_mov_b32_dpp v9, v8 row_bcast:31 row_mask:0xf bank_mask:0xf
	v_cndmask_b32_e64 v9, 0, v9, s[2:3]
	v_add_u32_e32 v8, v8, v9
	s_and_saveexec_b64 s[16:17], s[4:5]
	s_cbranch_execz .LBB2245_43
; %bb.42:
	v_lshlrev_b32_e32 v9, 2, v33
	ds_write_b32 v9, v8
.LBB2245_43:
	s_or_b64 exec, exec, s[16:17]
	v_cmp_gt_u32_e32 vcc, 4, v0
	s_waitcnt lgkmcnt(0)
	s_barrier
	s_and_saveexec_b64 s[16:17], vcc
	s_cbranch_execz .LBB2245_45
; %bb.44:
	ds_read_b32 v9, v22
	v_and_b32_e32 v14, 3, v31
	v_cmp_ne_u32_e32 vcc, 0, v14
	s_waitcnt lgkmcnt(0)
	v_mov_b32_dpp v15, v9 row_shr:1 row_mask:0xf bank_mask:0xf
	v_cndmask_b32_e32 v15, 0, v15, vcc
	v_add_u32_e32 v9, v15, v9
	v_cmp_lt_u32_e32 vcc, 1, v14
	s_nop 0
	v_mov_b32_dpp v15, v9 row_shr:2 row_mask:0xf bank_mask:0xf
	v_cndmask_b32_e32 v14, 0, v15, vcc
	v_add_u32_e32 v9, v9, v14
	ds_write_b32 v22, v9
.LBB2245_45:
	s_or_b64 exec, exec, s[16:17]
	v_cmp_gt_u32_e32 vcc, 64, v0
	v_cmp_lt_u32_e64 s[16:17], 63, v0
	s_waitcnt lgkmcnt(0)
	s_barrier
	s_waitcnt lgkmcnt(0)
                                        ; implicit-def: $vgpr35
	s_and_saveexec_b64 s[34:35], s[16:17]
	s_cbranch_execz .LBB2245_47
; %bb.46:
	v_lshl_add_u32 v9, v33, 2, -4
	ds_read_b32 v35, v9
	s_waitcnt lgkmcnt(0)
	v_add_u32_e32 v8, v35, v8
.LBB2245_47:
	s_or_b64 exec, exec, s[34:35]
	v_add_u32_e32 v9, -1, v31
	v_and_b32_e32 v14, 64, v31
	v_cmp_lt_i32_e64 s[16:17], v9, v14
	v_cndmask_b32_e64 v9, v9, v31, s[16:17]
	v_lshlrev_b32_e32 v9, 2, v9
	ds_bpermute_b32 v36, v9, v8
	v_cmp_eq_u32_e64 s[16:17], 0, v31
	s_and_saveexec_b64 s[34:35], vcc
	s_cbranch_execz .LBB2245_70
; %bb.48:
	v_mov_b32_e32 v21, 0
	ds_read_b32 v8, v21 offset:12
	s_and_saveexec_b64 s[36:37], s[16:17]
	s_cbranch_execz .LBB2245_50
; %bb.49:
	s_add_i32 s38, s40, 64
	s_mov_b32 s39, 0
	s_lshl_b64 s[38:39], s[38:39], 3
	s_add_u32 s38, s30, s38
	v_mov_b32_e32 v9, 1
	s_addc_u32 s39, s31, s39
	s_waitcnt lgkmcnt(0)
	global_store_dwordx2 v21, v[8:9], s[38:39]
.LBB2245_50:
	s_or_b64 exec, exec, s[36:37]
	v_xad_u32 v14, v31, -1, s40
	v_add_u32_e32 v20, 64, v14
	v_lshlrev_b64 v[16:17], 3, v[20:21]
	v_mov_b32_e32 v9, s31
	v_add_co_u32_e32 v16, vcc, s30, v16
	v_addc_co_u32_e32 v17, vcc, v9, v17, vcc
	global_load_dwordx2 v[18:19], v[16:17], off glc
	s_waitcnt vmcnt(0)
	v_cmp_eq_u16_sdwa s[38:39], v19, v21 src0_sel:BYTE_0 src1_sel:DWORD
	s_and_saveexec_b64 s[36:37], s[38:39]
	s_cbranch_execz .LBB2245_56
; %bb.51:
	s_mov_b32 s41, 1
	s_mov_b64 s[38:39], 0
	v_mov_b32_e32 v9, 0
.LBB2245_52:                            ; =>This Loop Header: Depth=1
                                        ;     Child Loop BB2245_53 Depth 2
	s_max_u32 s42, s41, 1
.LBB2245_53:                            ;   Parent Loop BB2245_52 Depth=1
                                        ; =>  This Inner Loop Header: Depth=2
	s_add_i32 s42, s42, -1
	s_cmp_eq_u32 s42, 0
	s_sleep 1
	s_cbranch_scc0 .LBB2245_53
; %bb.54:                               ;   in Loop: Header=BB2245_52 Depth=1
	global_load_dwordx2 v[18:19], v[16:17], off glc
	s_cmp_lt_u32 s41, 32
	s_cselect_b64 s[42:43], -1, 0
	s_cmp_lg_u64 s[42:43], 0
	s_addc_u32 s41, s41, 0
	s_waitcnt vmcnt(0)
	v_cmp_ne_u16_sdwa s[42:43], v19, v9 src0_sel:BYTE_0 src1_sel:DWORD
	s_or_b64 s[38:39], s[42:43], s[38:39]
	s_andn2_b64 exec, exec, s[38:39]
	s_cbranch_execnz .LBB2245_52
; %bb.55:
	s_or_b64 exec, exec, s[38:39]
.LBB2245_56:
	s_or_b64 exec, exec, s[36:37]
	v_and_b32_e32 v38, 63, v31
	v_mov_b32_e32 v37, 2
	v_cmp_ne_u32_e32 vcc, 63, v38
	v_cmp_eq_u16_sdwa s[36:37], v19, v37 src0_sel:BYTE_0 src1_sel:DWORD
	v_lshlrev_b64 v[16:17], v31, -1
	v_addc_co_u32_e32 v20, vcc, 0, v31, vcc
	v_and_b32_e32 v9, s37, v17
	v_lshlrev_b32_e32 v39, 2, v20
	v_or_b32_e32 v9, 0x80000000, v9
	ds_bpermute_b32 v20, v39, v18
	v_and_b32_e32 v15, s36, v16
	v_ffbl_b32_e32 v9, v9
	v_add_u32_e32 v9, 32, v9
	v_ffbl_b32_e32 v15, v15
	v_min_u32_e32 v9, v15, v9
	v_cmp_lt_u32_e32 vcc, v38, v9
	s_waitcnt lgkmcnt(0)
	v_cndmask_b32_e32 v15, 0, v20, vcc
	v_cmp_gt_u32_e32 vcc, 62, v38
	v_add_u32_e32 v15, v15, v18
	v_cndmask_b32_e64 v18, 0, 1, vcc
	v_lshlrev_b32_e32 v18, 1, v18
	v_add_lshl_u32 v40, v18, v31, 2
	ds_bpermute_b32 v18, v40, v15
	v_add_u32_e32 v41, 2, v38
	v_cmp_le_u32_e32 vcc, v41, v9
	v_add_u32_e32 v43, 4, v38
	v_add_u32_e32 v45, 8, v38
	s_waitcnt lgkmcnt(0)
	v_cndmask_b32_e32 v18, 0, v18, vcc
	v_cmp_gt_u32_e32 vcc, 60, v38
	v_add_u32_e32 v15, v15, v18
	v_cndmask_b32_e64 v18, 0, 1, vcc
	v_lshlrev_b32_e32 v18, 2, v18
	v_add_lshl_u32 v42, v18, v31, 2
	ds_bpermute_b32 v18, v42, v15
	v_cmp_le_u32_e32 vcc, v43, v9
	v_add_u32_e32 v47, 16, v38
	v_add_u32_e32 v49, 32, v38
	s_waitcnt lgkmcnt(0)
	v_cndmask_b32_e32 v18, 0, v18, vcc
	v_cmp_gt_u32_e32 vcc, 56, v38
	v_add_u32_e32 v15, v15, v18
	v_cndmask_b32_e64 v18, 0, 1, vcc
	v_lshlrev_b32_e32 v18, 3, v18
	v_add_lshl_u32 v44, v18, v31, 2
	ds_bpermute_b32 v18, v44, v15
	v_cmp_le_u32_e32 vcc, v45, v9
	s_waitcnt lgkmcnt(0)
	v_cndmask_b32_e32 v18, 0, v18, vcc
	v_cmp_gt_u32_e32 vcc, 48, v38
	v_add_u32_e32 v15, v15, v18
	v_cndmask_b32_e64 v18, 0, 1, vcc
	v_lshlrev_b32_e32 v18, 4, v18
	v_add_lshl_u32 v46, v18, v31, 2
	ds_bpermute_b32 v18, v46, v15
	v_cmp_le_u32_e32 vcc, v47, v9
	;; [unrolled: 9-line block ×3, first 2 shown]
	s_waitcnt lgkmcnt(0)
	v_cndmask_b32_e32 v9, 0, v18, vcc
	v_add_u32_e32 v18, v15, v9
	v_mov_b32_e32 v15, 0
	s_branch .LBB2245_58
.LBB2245_57:                            ;   in Loop: Header=BB2245_58 Depth=1
	s_or_b64 exec, exec, s[36:37]
	v_cmp_eq_u16_sdwa s[36:37], v19, v37 src0_sel:BYTE_0 src1_sel:DWORD
	v_and_b32_e32 v20, s37, v17
	v_or_b32_e32 v20, 0x80000000, v20
	ds_bpermute_b32 v50, v39, v18
	v_and_b32_e32 v21, s36, v16
	v_ffbl_b32_e32 v20, v20
	v_add_u32_e32 v20, 32, v20
	v_ffbl_b32_e32 v21, v21
	v_min_u32_e32 v20, v21, v20
	v_cmp_lt_u32_e32 vcc, v38, v20
	s_waitcnt lgkmcnt(0)
	v_cndmask_b32_e32 v21, 0, v50, vcc
	v_add_u32_e32 v18, v21, v18
	ds_bpermute_b32 v21, v40, v18
	v_cmp_le_u32_e32 vcc, v41, v20
	v_subrev_u32_e32 v14, 64, v14
	s_waitcnt lgkmcnt(0)
	v_cndmask_b32_e32 v21, 0, v21, vcc
	v_add_u32_e32 v18, v18, v21
	ds_bpermute_b32 v21, v42, v18
	v_cmp_le_u32_e32 vcc, v43, v20
	s_waitcnt lgkmcnt(0)
	v_cndmask_b32_e32 v21, 0, v21, vcc
	v_add_u32_e32 v18, v18, v21
	ds_bpermute_b32 v21, v44, v18
	v_cmp_le_u32_e32 vcc, v45, v20
	;; [unrolled: 5-line block ×4, first 2 shown]
	s_waitcnt lgkmcnt(0)
	v_cndmask_b32_e32 v20, 0, v21, vcc
	v_add3_u32 v18, v20, v9, v18
.LBB2245_58:                            ; =>This Loop Header: Depth=1
                                        ;     Child Loop BB2245_61 Depth 2
                                        ;       Child Loop BB2245_62 Depth 3
	v_cmp_ne_u16_sdwa s[36:37], v19, v37 src0_sel:BYTE_0 src1_sel:DWORD
	v_cndmask_b32_e64 v9, 0, 1, s[36:37]
	;;#ASMSTART
	;;#ASMEND
	v_cmp_ne_u32_e32 vcc, 0, v9
	s_cmp_lg_u64 vcc, exec
	v_mov_b32_e32 v9, v18
	s_cbranch_scc1 .LBB2245_65
; %bb.59:                               ;   in Loop: Header=BB2245_58 Depth=1
	v_lshlrev_b64 v[18:19], 3, v[14:15]
	v_mov_b32_e32 v21, s31
	v_add_co_u32_e32 v20, vcc, s30, v18
	v_addc_co_u32_e32 v21, vcc, v21, v19, vcc
	global_load_dwordx2 v[18:19], v[20:21], off glc
	s_waitcnt vmcnt(0)
	v_cmp_eq_u16_sdwa s[38:39], v19, v15 src0_sel:BYTE_0 src1_sel:DWORD
	s_and_saveexec_b64 s[36:37], s[38:39]
	s_cbranch_execz .LBB2245_57
; %bb.60:                               ;   in Loop: Header=BB2245_58 Depth=1
	s_mov_b32 s41, 1
	s_mov_b64 s[38:39], 0
.LBB2245_61:                            ;   Parent Loop BB2245_58 Depth=1
                                        ; =>  This Loop Header: Depth=2
                                        ;       Child Loop BB2245_62 Depth 3
	s_max_u32 s42, s41, 1
.LBB2245_62:                            ;   Parent Loop BB2245_58 Depth=1
                                        ;     Parent Loop BB2245_61 Depth=2
                                        ; =>    This Inner Loop Header: Depth=3
	s_add_i32 s42, s42, -1
	s_cmp_eq_u32 s42, 0
	s_sleep 1
	s_cbranch_scc0 .LBB2245_62
; %bb.63:                               ;   in Loop: Header=BB2245_61 Depth=2
	global_load_dwordx2 v[18:19], v[20:21], off glc
	s_cmp_lt_u32 s41, 32
	s_cselect_b64 s[42:43], -1, 0
	s_cmp_lg_u64 s[42:43], 0
	s_addc_u32 s41, s41, 0
	s_waitcnt vmcnt(0)
	v_cmp_ne_u16_sdwa s[42:43], v19, v15 src0_sel:BYTE_0 src1_sel:DWORD
	s_or_b64 s[38:39], s[42:43], s[38:39]
	s_andn2_b64 exec, exec, s[38:39]
	s_cbranch_execnz .LBB2245_61
; %bb.64:                               ;   in Loop: Header=BB2245_58 Depth=1
	s_or_b64 exec, exec, s[38:39]
	s_branch .LBB2245_57
.LBB2245_65:                            ;   in Loop: Header=BB2245_58 Depth=1
                                        ; implicit-def: $vgpr18
                                        ; implicit-def: $vgpr19
	s_cbranch_execz .LBB2245_58
; %bb.66:
	s_and_saveexec_b64 s[36:37], s[16:17]
	s_cbranch_execz .LBB2245_68
; %bb.67:
	s_add_i32 s38, s40, 64
	s_mov_b32 s39, 0
	s_lshl_b64 s[38:39], s[38:39], 3
	s_add_u32 s38, s30, s38
	v_add_u32_e32 v14, v9, v8
	v_mov_b32_e32 v15, 2
	s_addc_u32 s39, s31, s39
	v_mov_b32_e32 v16, 0
	global_store_dwordx2 v16, v[14:15], s[38:39]
	ds_write_b64 v16, v[8:9] offset:7168
.LBB2245_68:
	s_or_b64 exec, exec, s[36:37]
	s_and_b64 exec, exec, s[0:1]
	s_cbranch_execz .LBB2245_70
; %bb.69:
	v_mov_b32_e32 v8, 0
	ds_write_b32 v8, v9 offset:12
.LBB2245_70:
	s_or_b64 exec, exec, s[34:35]
	v_mov_b32_e32 v8, 0
	s_waitcnt lgkmcnt(0)
	s_barrier
	ds_read_b32 v9, v8 offset:12
	v_cndmask_b32_e64 v14, v36, v35, s[16:17]
	v_cndmask_b32_e64 v14, v14, 0, s[0:1]
	s_waitcnt lgkmcnt(0)
	s_barrier
	v_add_u32_e32 v20, v9, v14
	v_add_u32_e32 v19, v20, v30
	;; [unrolled: 1-line block ×3, first 2 shown]
	ds_read_b64 v[8:9], v8 offset:7168
	v_add_u32_e32 v16, v18, v28
	v_add_u32_e32 v17, v16, v27
	v_add_u32_e32 v15, v17, v26
	v_add_u32_e32 v14, v15, v25
	s_branch .LBB2245_81
.LBB2245_71:
                                        ; implicit-def: $vgpr9
                                        ; implicit-def: $vgpr14
                                        ; implicit-def: $vgpr15
                                        ; implicit-def: $vgpr17
                                        ; implicit-def: $vgpr16
                                        ; implicit-def: $vgpr18
                                        ; implicit-def: $vgpr19
                                        ; implicit-def: $vgpr20
	s_cbranch_execz .LBB2245_81
; %bb.72:
	s_waitcnt lgkmcnt(0)
	v_mov_b32_dpp v8, v34 row_shr:1 row_mask:0xf bank_mask:0xf
	v_cndmask_b32_e64 v8, v8, 0, s[14:15]
	v_add_u32_e32 v8, v8, v34
	s_nop 1
	v_mov_b32_dpp v9, v8 row_shr:2 row_mask:0xf bank_mask:0xf
	v_cndmask_b32_e64 v9, 0, v9, s[12:13]
	v_add_u32_e32 v8, v8, v9
	s_nop 1
	;; [unrolled: 4-line block ×4, first 2 shown]
	v_mov_b32_dpp v9, v8 row_bcast:15 row_mask:0xf bank_mask:0xf
	v_cndmask_b32_e64 v9, v9, 0, s[6:7]
	v_add_u32_e32 v8, v8, v9
	s_nop 1
	v_mov_b32_dpp v9, v8 row_bcast:31 row_mask:0xf bank_mask:0xf
	v_cndmask_b32_e64 v9, 0, v9, s[2:3]
	v_add_u32_e32 v8, v8, v9
	s_and_saveexec_b64 s[2:3], s[4:5]
	s_cbranch_execz .LBB2245_74
; %bb.73:
	v_lshlrev_b32_e32 v9, 2, v33
	ds_write_b32 v9, v8
.LBB2245_74:
	s_or_b64 exec, exec, s[2:3]
	v_cmp_gt_u32_e32 vcc, 4, v0
	s_waitcnt lgkmcnt(0)
	s_barrier
	s_and_saveexec_b64 s[2:3], vcc
	s_cbranch_execz .LBB2245_76
; %bb.75:
	v_mad_i32_i24 v9, v0, -3, v32
	ds_read_b32 v14, v9
	v_and_b32_e32 v15, 3, v31
	v_cmp_ne_u32_e32 vcc, 0, v15
	s_waitcnt lgkmcnt(0)
	v_mov_b32_dpp v16, v14 row_shr:1 row_mask:0xf bank_mask:0xf
	v_cndmask_b32_e32 v16, 0, v16, vcc
	v_add_u32_e32 v14, v16, v14
	v_cmp_lt_u32_e32 vcc, 1, v15
	s_nop 0
	v_mov_b32_dpp v16, v14 row_shr:2 row_mask:0xf bank_mask:0xf
	v_cndmask_b32_e32 v15, 0, v16, vcc
	v_add_u32_e32 v14, v14, v15
	ds_write_b32 v9, v14
.LBB2245_76:
	s_or_b64 exec, exec, s[2:3]
	v_cmp_lt_u32_e32 vcc, 63, v0
	v_mov_b32_e32 v9, 0
	v_mov_b32_e32 v14, 0
	s_waitcnt lgkmcnt(0)
	s_barrier
	s_and_saveexec_b64 s[2:3], vcc
	s_cbranch_execz .LBB2245_78
; %bb.77:
	v_lshl_add_u32 v14, v33, 2, -4
	ds_read_b32 v14, v14
.LBB2245_78:
	s_or_b64 exec, exec, s[2:3]
	v_add_u32_e32 v15, -1, v31
	v_and_b32_e32 v16, 64, v31
	v_cmp_lt_i32_e32 vcc, v15, v16
	v_cndmask_b32_e32 v15, v15, v31, vcc
	s_waitcnt lgkmcnt(0)
	v_add_u32_e32 v8, v14, v8
	v_lshlrev_b32_e32 v15, 2, v15
	ds_bpermute_b32 v15, v15, v8
	ds_read_b32 v8, v9 offset:12
	s_and_saveexec_b64 s[2:3], s[0:1]
	s_cbranch_execz .LBB2245_80
; %bb.79:
	v_mov_b32_e32 v16, 0
	v_mov_b32_e32 v9, 2
	s_waitcnt lgkmcnt(0)
	global_store_dwordx2 v16, v[8:9], s[30:31] offset:512
.LBB2245_80:
	s_or_b64 exec, exec, s[2:3]
	v_cmp_eq_u32_e32 vcc, 0, v31
	s_waitcnt lgkmcnt(1)
	v_cndmask_b32_e32 v14, v15, v14, vcc
	v_cndmask_b32_e64 v20, v14, 0, s[0:1]
	v_add_u32_e32 v19, v20, v30
	v_add_u32_e32 v18, v19, v29
	;; [unrolled: 1-line block ×5, first 2 shown]
	v_mov_b32_e32 v9, 0
	v_add_u32_e32 v14, v15, v25
	s_waitcnt lgkmcnt(0)
	s_barrier
.LBB2245_81:
	s_waitcnt lgkmcnt(0)
	v_add_u32_e32 v21, v8, v24
	v_sub_u32_e32 v20, v20, v9
	v_sub_u32_e32 v24, v21, v20
	v_cmp_eq_u32_e32 vcc, 1, v30
	v_cndmask_b32_e32 v20, v24, v20, vcc
	v_lshlrev_b32_e32 v20, 2, v20
	ds_write_b32 v20, v6
	v_sub_u32_e32 v6, v19, v9
	v_sub_u32_e32 v19, v21, v6
	v_add_u32_e32 v19, 1, v19
	v_cmp_eq_u32_e32 vcc, 1, v29
	v_cndmask_b32_e32 v6, v19, v6, vcc
	v_lshlrev_b32_e32 v6, 2, v6
	ds_write_b32 v6, v7
	v_sub_u32_e32 v6, v18, v9
	v_sub_u32_e32 v7, v21, v6
	v_add_u32_e32 v7, 2, v7
	;; [unrolled: 7-line block ×6, first 2 shown]
	v_cmp_eq_u32_e32 vcc, 1, v1
	v_cndmask_b32_e32 v1, v3, v2, vcc
	s_waitcnt vmcnt(0)
	v_add_co_u32_e32 v24, vcc, v10, v9
	v_addc_co_u32_e32 v25, vcc, 0, v11, vcc
	v_add_co_u32_e32 v2, vcc, v24, v8
	v_addc_co_u32_e32 v3, vcc, 0, v25, vcc
	v_mov_b32_e32 v9, s19
	v_sub_co_u32_e32 v10, vcc, s18, v2
	v_subb_co_u32_e32 v11, vcc, v9, v3, vcc
	v_lshlrev_b64 v[10:11], 2, v[10:11]
	v_lshlrev_b32_e32 v1, 2, v1
	v_mov_b32_e32 v9, s27
	v_add_co_u32_e32 v10, vcc, s26, v10
	ds_write_b32 v1, v23
	s_waitcnt lgkmcnt(0)
	s_barrier
	ds_read2st64_b32 v[14:15], v22 offset1:4
	ds_read2st64_b32 v[6:7], v22 offset0:8 offset1:12
	ds_read2st64_b32 v[4:5], v22 offset0:16 offset1:20
	ds_read_b32 v1, v22 offset:6144
	v_addc_co_u32_e32 v11, vcc, v9, v11, vcc
	v_add_co_u32_e32 v9, vcc, v10, v12
	v_addc_co_u32_e32 v10, vcc, v11, v13, vcc
	v_lshlrev_b64 v[12:13], 2, v[24:25]
	v_mov_b32_e32 v23, s25
	v_add_co_u32_e64 v11, s[2:3], s24, v12
	v_or_b32_e32 v21, 0x100, v0
	v_or_b32_e32 v20, 0x200, v0
	;; [unrolled: 1-line block ×6, first 2 shown]
	s_andn2_b64 vcc, exec, s[28:29]
	v_addc_co_u32_e64 v12, s[2:3], v23, v13, s[2:3]
	s_cbranch_vccnz .LBB2245_83
; %bb.82:
	v_cmp_gt_u32_e32 vcc, v8, v0
	v_cndmask_b32_e32 v23, v9, v11, vcc
	v_cndmask_b32_e32 v13, v10, v12, vcc
	v_add_co_u32_e32 v24, vcc, v23, v22
	v_addc_co_u32_e32 v25, vcc, 0, v13, vcc
	v_cmp_lt_u32_e32 vcc, v21, v8
	v_cndmask_b32_e32 v23, v9, v11, vcc
	s_waitcnt lgkmcnt(3)
	global_store_dword v[24:25], v14, off
	v_cndmask_b32_e32 v13, v10, v12, vcc
	v_add_co_u32_e32 v24, vcc, v23, v22
	v_addc_co_u32_e32 v25, vcc, 0, v13, vcc
	v_cmp_lt_u32_e32 vcc, v20, v8
	v_cndmask_b32_e32 v23, v9, v11, vcc
	global_store_dword v[24:25], v15, off offset:1024
	v_cndmask_b32_e32 v13, v10, v12, vcc
	v_add_co_u32_e32 v24, vcc, v23, v22
	v_addc_co_u32_e32 v25, vcc, 0, v13, vcc
	v_cmp_lt_u32_e32 vcc, v19, v8
	v_cndmask_b32_e32 v23, v9, v11, vcc
	s_waitcnt lgkmcnt(2)
	global_store_dword v[24:25], v6, off offset:2048
	v_cndmask_b32_e32 v13, v10, v12, vcc
	v_add_co_u32_e32 v24, vcc, v23, v22
	v_addc_co_u32_e32 v25, vcc, 0, v13, vcc
	v_cmp_lt_u32_e32 vcc, v18, v8
	global_store_dword v[24:25], v7, off offset:3072
	v_cndmask_b32_e32 v23, v9, v11, vcc
	v_lshlrev_b32_e32 v24, 2, v18
	v_cndmask_b32_e32 v13, v10, v12, vcc
	v_add_co_u32_e32 v24, vcc, v23, v24
	v_addc_co_u32_e32 v25, vcc, 0, v13, vcc
	v_cmp_lt_u32_e32 vcc, v17, v8
	s_waitcnt lgkmcnt(1)
	global_store_dword v[24:25], v4, off
	v_cndmask_b32_e32 v23, v9, v11, vcc
	v_lshlrev_b32_e32 v24, 2, v17
	v_cndmask_b32_e32 v13, v10, v12, vcc
	v_add_co_u32_e32 v24, vcc, v23, v24
	v_addc_co_u32_e32 v25, vcc, 0, v13, vcc
	s_mov_b64 s[2:3], -1
	global_store_dword v[24:25], v5, off
	s_cbranch_execz .LBB2245_84
	s_branch .LBB2245_92
.LBB2245_83:
	s_mov_b64 s[2:3], 0
.LBB2245_84:
	v_cmp_gt_u32_e32 vcc, s33, v0
	s_and_saveexec_b64 s[2:3], vcc
	s_cbranch_execnz .LBB2245_97
; %bb.85:
	s_or_b64 exec, exec, s[2:3]
	v_cmp_gt_u32_e32 vcc, s33, v21
	s_and_saveexec_b64 s[2:3], vcc
	s_cbranch_execnz .LBB2245_98
.LBB2245_86:
	s_or_b64 exec, exec, s[2:3]
	v_cmp_gt_u32_e32 vcc, s33, v20
	s_and_saveexec_b64 s[2:3], vcc
	s_cbranch_execnz .LBB2245_99
.LBB2245_87:
	s_or_b64 exec, exec, s[2:3]
	v_cmp_gt_u32_e32 vcc, s33, v19
	s_and_saveexec_b64 s[2:3], vcc
	s_cbranch_execnz .LBB2245_100
.LBB2245_88:
	s_or_b64 exec, exec, s[2:3]
	v_cmp_gt_u32_e32 vcc, s33, v18
	s_and_saveexec_b64 s[2:3], vcc
	s_cbranch_execnz .LBB2245_101
.LBB2245_89:
	s_or_b64 exec, exec, s[2:3]
	v_cmp_gt_u32_e32 vcc, s33, v17
	s_and_saveexec_b64 s[2:3], vcc
	s_cbranch_execz .LBB2245_91
.LBB2245_90:
	v_cmp_lt_u32_e32 vcc, v17, v8
	s_waitcnt lgkmcnt(1)
	v_cndmask_b32_e32 v4, v9, v11, vcc
	v_lshlrev_b32_e32 v6, 2, v17
	v_cndmask_b32_e32 v0, v10, v12, vcc
	v_add_co_u32_e32 v6, vcc, v4, v6
	v_addc_co_u32_e32 v7, vcc, 0, v0, vcc
	global_store_dword v[6:7], v5, off
.LBB2245_91:
	s_or_b64 exec, exec, s[2:3]
	v_cmp_gt_u32_e64 s[2:3], s33, v16
.LBB2245_92:
	s_and_saveexec_b64 s[4:5], s[2:3]
	s_cbranch_execnz .LBB2245_95
; %bb.93:
	s_or_b64 exec, exec, s[4:5]
	s_and_b64 s[0:1], s[0:1], s[22:23]
	s_and_saveexec_b64 s[2:3], s[0:1]
	s_cbranch_execnz .LBB2245_96
.LBB2245_94:
	s_endpgm
.LBB2245_95:
	v_cmp_lt_u32_e32 vcc, v16, v8
	s_waitcnt lgkmcnt(1)
	v_cndmask_b32_e32 v4, v9, v11, vcc
	v_lshlrev_b32_e32 v5, 2, v16
	v_cndmask_b32_e32 v0, v10, v12, vcc
	v_add_co_u32_e32 v4, vcc, v4, v5
	v_addc_co_u32_e32 v5, vcc, 0, v0, vcc
	s_waitcnt lgkmcnt(0)
	global_store_dword v[4:5], v1, off
	s_or_b64 exec, exec, s[4:5]
	s_and_b64 s[0:1], s[0:1], s[22:23]
	s_and_saveexec_b64 s[2:3], s[0:1]
	s_cbranch_execz .LBB2245_94
.LBB2245_96:
	v_mov_b32_e32 v0, 0
	global_store_dwordx2 v0, v[2:3], s[20:21]
	s_endpgm
.LBB2245_97:
	v_cmp_gt_u32_e32 vcc, v8, v0
	v_cndmask_b32_e32 v13, v9, v11, vcc
	v_cndmask_b32_e32 v0, v10, v12, vcc
	v_add_co_u32_e32 v24, vcc, v13, v22
	v_addc_co_u32_e32 v25, vcc, 0, v0, vcc
	s_waitcnt lgkmcnt(3)
	global_store_dword v[24:25], v14, off
	s_or_b64 exec, exec, s[2:3]
	v_cmp_gt_u32_e32 vcc, s33, v21
	s_and_saveexec_b64 s[2:3], vcc
	s_cbranch_execz .LBB2245_86
.LBB2245_98:
	v_cmp_lt_u32_e32 vcc, v21, v8
	v_cndmask_b32_e32 v13, v9, v11, vcc
	v_cndmask_b32_e32 v0, v10, v12, vcc
	v_add_co_u32_e32 v24, vcc, v13, v22
	v_addc_co_u32_e32 v25, vcc, 0, v0, vcc
	s_waitcnt lgkmcnt(3)
	global_store_dword v[24:25], v15, off offset:1024
	s_or_b64 exec, exec, s[2:3]
	v_cmp_gt_u32_e32 vcc, s33, v20
	s_and_saveexec_b64 s[2:3], vcc
	s_cbranch_execz .LBB2245_87
.LBB2245_99:
	v_cmp_lt_u32_e32 vcc, v20, v8
	v_cndmask_b32_e32 v13, v9, v11, vcc
	v_cndmask_b32_e32 v0, v10, v12, vcc
	s_waitcnt lgkmcnt(3)
	v_add_co_u32_e32 v14, vcc, v13, v22
	v_addc_co_u32_e32 v15, vcc, 0, v0, vcc
	s_waitcnt lgkmcnt(2)
	global_store_dword v[14:15], v6, off offset:2048
	s_or_b64 exec, exec, s[2:3]
	v_cmp_gt_u32_e32 vcc, s33, v19
	s_and_saveexec_b64 s[2:3], vcc
	s_cbranch_execz .LBB2245_88
.LBB2245_100:
	v_cmp_lt_u32_e32 vcc, v19, v8
	s_waitcnt lgkmcnt(2)
	v_cndmask_b32_e32 v6, v9, v11, vcc
	v_cndmask_b32_e32 v0, v10, v12, vcc
	v_add_co_u32_e32 v14, vcc, v6, v22
	v_addc_co_u32_e32 v15, vcc, 0, v0, vcc
	global_store_dword v[14:15], v7, off offset:3072
	s_or_b64 exec, exec, s[2:3]
	v_cmp_gt_u32_e32 vcc, s33, v18
	s_and_saveexec_b64 s[2:3], vcc
	s_cbranch_execz .LBB2245_89
.LBB2245_101:
	v_cmp_lt_u32_e32 vcc, v18, v8
	s_waitcnt lgkmcnt(2)
	v_cndmask_b32_e32 v6, v9, v11, vcc
	v_lshlrev_b32_e32 v7, 2, v18
	v_cndmask_b32_e32 v0, v10, v12, vcc
	v_add_co_u32_e32 v6, vcc, v6, v7
	v_addc_co_u32_e32 v7, vcc, 0, v0, vcc
	s_waitcnt lgkmcnt(1)
	global_store_dword v[6:7], v4, off
	s_or_b64 exec, exec, s[2:3]
	v_cmp_gt_u32_e32 vcc, s33, v17
	s_and_saveexec_b64 s[2:3], vcc
	s_cbranch_execnz .LBB2245_90
	s_branch .LBB2245_91
	.section	.rodata,"a",@progbits
	.p2align	6, 0x0
	.amdhsa_kernel _ZN7rocprim17ROCPRIM_400000_NS6detail17trampoline_kernelINS0_14default_configENS1_25partition_config_selectorILNS1_17partition_subalgoE1EjNS0_10empty_typeEbEEZZNS1_14partition_implILS5_1ELb0ES3_jN6thrust23THRUST_200600_302600_NS6detail15normal_iteratorINSA_10device_ptrIjEEEEPS6_NSA_18transform_iteratorI7is_evenIjESF_NSA_11use_defaultESK_EENS0_5tupleIJSF_SF_EEENSM_IJSG_SG_EEES6_PlJS6_EEE10hipError_tPvRmT3_T4_T5_T6_T7_T9_mT8_P12ihipStream_tbDpT10_ENKUlT_T0_E_clISt17integral_constantIbLb1EES19_EEDaS14_S15_EUlS14_E_NS1_11comp_targetILNS1_3genE4ELNS1_11target_archE910ELNS1_3gpuE8ELNS1_3repE0EEENS1_30default_config_static_selectorELNS0_4arch9wavefront6targetE1EEEvT1_
		.amdhsa_group_segment_fixed_size 7176
		.amdhsa_private_segment_fixed_size 0
		.amdhsa_kernarg_size 144
		.amdhsa_user_sgpr_count 6
		.amdhsa_user_sgpr_private_segment_buffer 1
		.amdhsa_user_sgpr_dispatch_ptr 0
		.amdhsa_user_sgpr_queue_ptr 0
		.amdhsa_user_sgpr_kernarg_segment_ptr 1
		.amdhsa_user_sgpr_dispatch_id 0
		.amdhsa_user_sgpr_flat_scratch_init 0
		.amdhsa_user_sgpr_kernarg_preload_length 0
		.amdhsa_user_sgpr_kernarg_preload_offset 0
		.amdhsa_user_sgpr_private_segment_size 0
		.amdhsa_uses_dynamic_stack 0
		.amdhsa_system_sgpr_private_segment_wavefront_offset 0
		.amdhsa_system_sgpr_workgroup_id_x 1
		.amdhsa_system_sgpr_workgroup_id_y 0
		.amdhsa_system_sgpr_workgroup_id_z 0
		.amdhsa_system_sgpr_workgroup_info 0
		.amdhsa_system_vgpr_workitem_id 0
		.amdhsa_next_free_vgpr 51
		.amdhsa_next_free_sgpr 44
		.amdhsa_accum_offset 52
		.amdhsa_reserve_vcc 1
		.amdhsa_reserve_flat_scratch 0
		.amdhsa_float_round_mode_32 0
		.amdhsa_float_round_mode_16_64 0
		.amdhsa_float_denorm_mode_32 3
		.amdhsa_float_denorm_mode_16_64 3
		.amdhsa_dx10_clamp 1
		.amdhsa_ieee_mode 1
		.amdhsa_fp16_overflow 0
		.amdhsa_tg_split 0
		.amdhsa_exception_fp_ieee_invalid_op 0
		.amdhsa_exception_fp_denorm_src 0
		.amdhsa_exception_fp_ieee_div_zero 0
		.amdhsa_exception_fp_ieee_overflow 0
		.amdhsa_exception_fp_ieee_underflow 0
		.amdhsa_exception_fp_ieee_inexact 0
		.amdhsa_exception_int_div_zero 0
	.end_amdhsa_kernel
	.section	.text._ZN7rocprim17ROCPRIM_400000_NS6detail17trampoline_kernelINS0_14default_configENS1_25partition_config_selectorILNS1_17partition_subalgoE1EjNS0_10empty_typeEbEEZZNS1_14partition_implILS5_1ELb0ES3_jN6thrust23THRUST_200600_302600_NS6detail15normal_iteratorINSA_10device_ptrIjEEEEPS6_NSA_18transform_iteratorI7is_evenIjESF_NSA_11use_defaultESK_EENS0_5tupleIJSF_SF_EEENSM_IJSG_SG_EEES6_PlJS6_EEE10hipError_tPvRmT3_T4_T5_T6_T7_T9_mT8_P12ihipStream_tbDpT10_ENKUlT_T0_E_clISt17integral_constantIbLb1EES19_EEDaS14_S15_EUlS14_E_NS1_11comp_targetILNS1_3genE4ELNS1_11target_archE910ELNS1_3gpuE8ELNS1_3repE0EEENS1_30default_config_static_selectorELNS0_4arch9wavefront6targetE1EEEvT1_,"axG",@progbits,_ZN7rocprim17ROCPRIM_400000_NS6detail17trampoline_kernelINS0_14default_configENS1_25partition_config_selectorILNS1_17partition_subalgoE1EjNS0_10empty_typeEbEEZZNS1_14partition_implILS5_1ELb0ES3_jN6thrust23THRUST_200600_302600_NS6detail15normal_iteratorINSA_10device_ptrIjEEEEPS6_NSA_18transform_iteratorI7is_evenIjESF_NSA_11use_defaultESK_EENS0_5tupleIJSF_SF_EEENSM_IJSG_SG_EEES6_PlJS6_EEE10hipError_tPvRmT3_T4_T5_T6_T7_T9_mT8_P12ihipStream_tbDpT10_ENKUlT_T0_E_clISt17integral_constantIbLb1EES19_EEDaS14_S15_EUlS14_E_NS1_11comp_targetILNS1_3genE4ELNS1_11target_archE910ELNS1_3gpuE8ELNS1_3repE0EEENS1_30default_config_static_selectorELNS0_4arch9wavefront6targetE1EEEvT1_,comdat
.Lfunc_end2245:
	.size	_ZN7rocprim17ROCPRIM_400000_NS6detail17trampoline_kernelINS0_14default_configENS1_25partition_config_selectorILNS1_17partition_subalgoE1EjNS0_10empty_typeEbEEZZNS1_14partition_implILS5_1ELb0ES3_jN6thrust23THRUST_200600_302600_NS6detail15normal_iteratorINSA_10device_ptrIjEEEEPS6_NSA_18transform_iteratorI7is_evenIjESF_NSA_11use_defaultESK_EENS0_5tupleIJSF_SF_EEENSM_IJSG_SG_EEES6_PlJS6_EEE10hipError_tPvRmT3_T4_T5_T6_T7_T9_mT8_P12ihipStream_tbDpT10_ENKUlT_T0_E_clISt17integral_constantIbLb1EES19_EEDaS14_S15_EUlS14_E_NS1_11comp_targetILNS1_3genE4ELNS1_11target_archE910ELNS1_3gpuE8ELNS1_3repE0EEENS1_30default_config_static_selectorELNS0_4arch9wavefront6targetE1EEEvT1_, .Lfunc_end2245-_ZN7rocprim17ROCPRIM_400000_NS6detail17trampoline_kernelINS0_14default_configENS1_25partition_config_selectorILNS1_17partition_subalgoE1EjNS0_10empty_typeEbEEZZNS1_14partition_implILS5_1ELb0ES3_jN6thrust23THRUST_200600_302600_NS6detail15normal_iteratorINSA_10device_ptrIjEEEEPS6_NSA_18transform_iteratorI7is_evenIjESF_NSA_11use_defaultESK_EENS0_5tupleIJSF_SF_EEENSM_IJSG_SG_EEES6_PlJS6_EEE10hipError_tPvRmT3_T4_T5_T6_T7_T9_mT8_P12ihipStream_tbDpT10_ENKUlT_T0_E_clISt17integral_constantIbLb1EES19_EEDaS14_S15_EUlS14_E_NS1_11comp_targetILNS1_3genE4ELNS1_11target_archE910ELNS1_3gpuE8ELNS1_3repE0EEENS1_30default_config_static_selectorELNS0_4arch9wavefront6targetE1EEEvT1_
                                        ; -- End function
	.section	.AMDGPU.csdata,"",@progbits
; Kernel info:
; codeLenInByte = 4892
; NumSgprs: 48
; NumVgprs: 51
; NumAgprs: 0
; TotalNumVgprs: 51
; ScratchSize: 0
; MemoryBound: 0
; FloatMode: 240
; IeeeMode: 1
; LDSByteSize: 7176 bytes/workgroup (compile time only)
; SGPRBlocks: 5
; VGPRBlocks: 6
; NumSGPRsForWavesPerEU: 48
; NumVGPRsForWavesPerEU: 51
; AccumOffset: 52
; Occupancy: 8
; WaveLimiterHint : 1
; COMPUTE_PGM_RSRC2:SCRATCH_EN: 0
; COMPUTE_PGM_RSRC2:USER_SGPR: 6
; COMPUTE_PGM_RSRC2:TRAP_HANDLER: 0
; COMPUTE_PGM_RSRC2:TGID_X_EN: 1
; COMPUTE_PGM_RSRC2:TGID_Y_EN: 0
; COMPUTE_PGM_RSRC2:TGID_Z_EN: 0
; COMPUTE_PGM_RSRC2:TIDIG_COMP_CNT: 0
; COMPUTE_PGM_RSRC3_GFX90A:ACCUM_OFFSET: 12
; COMPUTE_PGM_RSRC3_GFX90A:TG_SPLIT: 0
	.section	.text._ZN7rocprim17ROCPRIM_400000_NS6detail17trampoline_kernelINS0_14default_configENS1_25partition_config_selectorILNS1_17partition_subalgoE1EjNS0_10empty_typeEbEEZZNS1_14partition_implILS5_1ELb0ES3_jN6thrust23THRUST_200600_302600_NS6detail15normal_iteratorINSA_10device_ptrIjEEEEPS6_NSA_18transform_iteratorI7is_evenIjESF_NSA_11use_defaultESK_EENS0_5tupleIJSF_SF_EEENSM_IJSG_SG_EEES6_PlJS6_EEE10hipError_tPvRmT3_T4_T5_T6_T7_T9_mT8_P12ihipStream_tbDpT10_ENKUlT_T0_E_clISt17integral_constantIbLb1EES19_EEDaS14_S15_EUlS14_E_NS1_11comp_targetILNS1_3genE3ELNS1_11target_archE908ELNS1_3gpuE7ELNS1_3repE0EEENS1_30default_config_static_selectorELNS0_4arch9wavefront6targetE1EEEvT1_,"axG",@progbits,_ZN7rocprim17ROCPRIM_400000_NS6detail17trampoline_kernelINS0_14default_configENS1_25partition_config_selectorILNS1_17partition_subalgoE1EjNS0_10empty_typeEbEEZZNS1_14partition_implILS5_1ELb0ES3_jN6thrust23THRUST_200600_302600_NS6detail15normal_iteratorINSA_10device_ptrIjEEEEPS6_NSA_18transform_iteratorI7is_evenIjESF_NSA_11use_defaultESK_EENS0_5tupleIJSF_SF_EEENSM_IJSG_SG_EEES6_PlJS6_EEE10hipError_tPvRmT3_T4_T5_T6_T7_T9_mT8_P12ihipStream_tbDpT10_ENKUlT_T0_E_clISt17integral_constantIbLb1EES19_EEDaS14_S15_EUlS14_E_NS1_11comp_targetILNS1_3genE3ELNS1_11target_archE908ELNS1_3gpuE7ELNS1_3repE0EEENS1_30default_config_static_selectorELNS0_4arch9wavefront6targetE1EEEvT1_,comdat
	.protected	_ZN7rocprim17ROCPRIM_400000_NS6detail17trampoline_kernelINS0_14default_configENS1_25partition_config_selectorILNS1_17partition_subalgoE1EjNS0_10empty_typeEbEEZZNS1_14partition_implILS5_1ELb0ES3_jN6thrust23THRUST_200600_302600_NS6detail15normal_iteratorINSA_10device_ptrIjEEEEPS6_NSA_18transform_iteratorI7is_evenIjESF_NSA_11use_defaultESK_EENS0_5tupleIJSF_SF_EEENSM_IJSG_SG_EEES6_PlJS6_EEE10hipError_tPvRmT3_T4_T5_T6_T7_T9_mT8_P12ihipStream_tbDpT10_ENKUlT_T0_E_clISt17integral_constantIbLb1EES19_EEDaS14_S15_EUlS14_E_NS1_11comp_targetILNS1_3genE3ELNS1_11target_archE908ELNS1_3gpuE7ELNS1_3repE0EEENS1_30default_config_static_selectorELNS0_4arch9wavefront6targetE1EEEvT1_ ; -- Begin function _ZN7rocprim17ROCPRIM_400000_NS6detail17trampoline_kernelINS0_14default_configENS1_25partition_config_selectorILNS1_17partition_subalgoE1EjNS0_10empty_typeEbEEZZNS1_14partition_implILS5_1ELb0ES3_jN6thrust23THRUST_200600_302600_NS6detail15normal_iteratorINSA_10device_ptrIjEEEEPS6_NSA_18transform_iteratorI7is_evenIjESF_NSA_11use_defaultESK_EENS0_5tupleIJSF_SF_EEENSM_IJSG_SG_EEES6_PlJS6_EEE10hipError_tPvRmT3_T4_T5_T6_T7_T9_mT8_P12ihipStream_tbDpT10_ENKUlT_T0_E_clISt17integral_constantIbLb1EES19_EEDaS14_S15_EUlS14_E_NS1_11comp_targetILNS1_3genE3ELNS1_11target_archE908ELNS1_3gpuE7ELNS1_3repE0EEENS1_30default_config_static_selectorELNS0_4arch9wavefront6targetE1EEEvT1_
	.globl	_ZN7rocprim17ROCPRIM_400000_NS6detail17trampoline_kernelINS0_14default_configENS1_25partition_config_selectorILNS1_17partition_subalgoE1EjNS0_10empty_typeEbEEZZNS1_14partition_implILS5_1ELb0ES3_jN6thrust23THRUST_200600_302600_NS6detail15normal_iteratorINSA_10device_ptrIjEEEEPS6_NSA_18transform_iteratorI7is_evenIjESF_NSA_11use_defaultESK_EENS0_5tupleIJSF_SF_EEENSM_IJSG_SG_EEES6_PlJS6_EEE10hipError_tPvRmT3_T4_T5_T6_T7_T9_mT8_P12ihipStream_tbDpT10_ENKUlT_T0_E_clISt17integral_constantIbLb1EES19_EEDaS14_S15_EUlS14_E_NS1_11comp_targetILNS1_3genE3ELNS1_11target_archE908ELNS1_3gpuE7ELNS1_3repE0EEENS1_30default_config_static_selectorELNS0_4arch9wavefront6targetE1EEEvT1_
	.p2align	8
	.type	_ZN7rocprim17ROCPRIM_400000_NS6detail17trampoline_kernelINS0_14default_configENS1_25partition_config_selectorILNS1_17partition_subalgoE1EjNS0_10empty_typeEbEEZZNS1_14partition_implILS5_1ELb0ES3_jN6thrust23THRUST_200600_302600_NS6detail15normal_iteratorINSA_10device_ptrIjEEEEPS6_NSA_18transform_iteratorI7is_evenIjESF_NSA_11use_defaultESK_EENS0_5tupleIJSF_SF_EEENSM_IJSG_SG_EEES6_PlJS6_EEE10hipError_tPvRmT3_T4_T5_T6_T7_T9_mT8_P12ihipStream_tbDpT10_ENKUlT_T0_E_clISt17integral_constantIbLb1EES19_EEDaS14_S15_EUlS14_E_NS1_11comp_targetILNS1_3genE3ELNS1_11target_archE908ELNS1_3gpuE7ELNS1_3repE0EEENS1_30default_config_static_selectorELNS0_4arch9wavefront6targetE1EEEvT1_,@function
_ZN7rocprim17ROCPRIM_400000_NS6detail17trampoline_kernelINS0_14default_configENS1_25partition_config_selectorILNS1_17partition_subalgoE1EjNS0_10empty_typeEbEEZZNS1_14partition_implILS5_1ELb0ES3_jN6thrust23THRUST_200600_302600_NS6detail15normal_iteratorINSA_10device_ptrIjEEEEPS6_NSA_18transform_iteratorI7is_evenIjESF_NSA_11use_defaultESK_EENS0_5tupleIJSF_SF_EEENSM_IJSG_SG_EEES6_PlJS6_EEE10hipError_tPvRmT3_T4_T5_T6_T7_T9_mT8_P12ihipStream_tbDpT10_ENKUlT_T0_E_clISt17integral_constantIbLb1EES19_EEDaS14_S15_EUlS14_E_NS1_11comp_targetILNS1_3genE3ELNS1_11target_archE908ELNS1_3gpuE7ELNS1_3repE0EEENS1_30default_config_static_selectorELNS0_4arch9wavefront6targetE1EEEvT1_: ; @_ZN7rocprim17ROCPRIM_400000_NS6detail17trampoline_kernelINS0_14default_configENS1_25partition_config_selectorILNS1_17partition_subalgoE1EjNS0_10empty_typeEbEEZZNS1_14partition_implILS5_1ELb0ES3_jN6thrust23THRUST_200600_302600_NS6detail15normal_iteratorINSA_10device_ptrIjEEEEPS6_NSA_18transform_iteratorI7is_evenIjESF_NSA_11use_defaultESK_EENS0_5tupleIJSF_SF_EEENSM_IJSG_SG_EEES6_PlJS6_EEE10hipError_tPvRmT3_T4_T5_T6_T7_T9_mT8_P12ihipStream_tbDpT10_ENKUlT_T0_E_clISt17integral_constantIbLb1EES19_EEDaS14_S15_EUlS14_E_NS1_11comp_targetILNS1_3genE3ELNS1_11target_archE908ELNS1_3gpuE7ELNS1_3repE0EEENS1_30default_config_static_selectorELNS0_4arch9wavefront6targetE1EEEvT1_
; %bb.0:
	.section	.rodata,"a",@progbits
	.p2align	6, 0x0
	.amdhsa_kernel _ZN7rocprim17ROCPRIM_400000_NS6detail17trampoline_kernelINS0_14default_configENS1_25partition_config_selectorILNS1_17partition_subalgoE1EjNS0_10empty_typeEbEEZZNS1_14partition_implILS5_1ELb0ES3_jN6thrust23THRUST_200600_302600_NS6detail15normal_iteratorINSA_10device_ptrIjEEEEPS6_NSA_18transform_iteratorI7is_evenIjESF_NSA_11use_defaultESK_EENS0_5tupleIJSF_SF_EEENSM_IJSG_SG_EEES6_PlJS6_EEE10hipError_tPvRmT3_T4_T5_T6_T7_T9_mT8_P12ihipStream_tbDpT10_ENKUlT_T0_E_clISt17integral_constantIbLb1EES19_EEDaS14_S15_EUlS14_E_NS1_11comp_targetILNS1_3genE3ELNS1_11target_archE908ELNS1_3gpuE7ELNS1_3repE0EEENS1_30default_config_static_selectorELNS0_4arch9wavefront6targetE1EEEvT1_
		.amdhsa_group_segment_fixed_size 0
		.amdhsa_private_segment_fixed_size 0
		.amdhsa_kernarg_size 144
		.amdhsa_user_sgpr_count 6
		.amdhsa_user_sgpr_private_segment_buffer 1
		.amdhsa_user_sgpr_dispatch_ptr 0
		.amdhsa_user_sgpr_queue_ptr 0
		.amdhsa_user_sgpr_kernarg_segment_ptr 1
		.amdhsa_user_sgpr_dispatch_id 0
		.amdhsa_user_sgpr_flat_scratch_init 0
		.amdhsa_user_sgpr_kernarg_preload_length 0
		.amdhsa_user_sgpr_kernarg_preload_offset 0
		.amdhsa_user_sgpr_private_segment_size 0
		.amdhsa_uses_dynamic_stack 0
		.amdhsa_system_sgpr_private_segment_wavefront_offset 0
		.amdhsa_system_sgpr_workgroup_id_x 1
		.amdhsa_system_sgpr_workgroup_id_y 0
		.amdhsa_system_sgpr_workgroup_id_z 0
		.amdhsa_system_sgpr_workgroup_info 0
		.amdhsa_system_vgpr_workitem_id 0
		.amdhsa_next_free_vgpr 1
		.amdhsa_next_free_sgpr 0
		.amdhsa_accum_offset 4
		.amdhsa_reserve_vcc 0
		.amdhsa_reserve_flat_scratch 0
		.amdhsa_float_round_mode_32 0
		.amdhsa_float_round_mode_16_64 0
		.amdhsa_float_denorm_mode_32 3
		.amdhsa_float_denorm_mode_16_64 3
		.amdhsa_dx10_clamp 1
		.amdhsa_ieee_mode 1
		.amdhsa_fp16_overflow 0
		.amdhsa_tg_split 0
		.amdhsa_exception_fp_ieee_invalid_op 0
		.amdhsa_exception_fp_denorm_src 0
		.amdhsa_exception_fp_ieee_div_zero 0
		.amdhsa_exception_fp_ieee_overflow 0
		.amdhsa_exception_fp_ieee_underflow 0
		.amdhsa_exception_fp_ieee_inexact 0
		.amdhsa_exception_int_div_zero 0
	.end_amdhsa_kernel
	.section	.text._ZN7rocprim17ROCPRIM_400000_NS6detail17trampoline_kernelINS0_14default_configENS1_25partition_config_selectorILNS1_17partition_subalgoE1EjNS0_10empty_typeEbEEZZNS1_14partition_implILS5_1ELb0ES3_jN6thrust23THRUST_200600_302600_NS6detail15normal_iteratorINSA_10device_ptrIjEEEEPS6_NSA_18transform_iteratorI7is_evenIjESF_NSA_11use_defaultESK_EENS0_5tupleIJSF_SF_EEENSM_IJSG_SG_EEES6_PlJS6_EEE10hipError_tPvRmT3_T4_T5_T6_T7_T9_mT8_P12ihipStream_tbDpT10_ENKUlT_T0_E_clISt17integral_constantIbLb1EES19_EEDaS14_S15_EUlS14_E_NS1_11comp_targetILNS1_3genE3ELNS1_11target_archE908ELNS1_3gpuE7ELNS1_3repE0EEENS1_30default_config_static_selectorELNS0_4arch9wavefront6targetE1EEEvT1_,"axG",@progbits,_ZN7rocprim17ROCPRIM_400000_NS6detail17trampoline_kernelINS0_14default_configENS1_25partition_config_selectorILNS1_17partition_subalgoE1EjNS0_10empty_typeEbEEZZNS1_14partition_implILS5_1ELb0ES3_jN6thrust23THRUST_200600_302600_NS6detail15normal_iteratorINSA_10device_ptrIjEEEEPS6_NSA_18transform_iteratorI7is_evenIjESF_NSA_11use_defaultESK_EENS0_5tupleIJSF_SF_EEENSM_IJSG_SG_EEES6_PlJS6_EEE10hipError_tPvRmT3_T4_T5_T6_T7_T9_mT8_P12ihipStream_tbDpT10_ENKUlT_T0_E_clISt17integral_constantIbLb1EES19_EEDaS14_S15_EUlS14_E_NS1_11comp_targetILNS1_3genE3ELNS1_11target_archE908ELNS1_3gpuE7ELNS1_3repE0EEENS1_30default_config_static_selectorELNS0_4arch9wavefront6targetE1EEEvT1_,comdat
.Lfunc_end2246:
	.size	_ZN7rocprim17ROCPRIM_400000_NS6detail17trampoline_kernelINS0_14default_configENS1_25partition_config_selectorILNS1_17partition_subalgoE1EjNS0_10empty_typeEbEEZZNS1_14partition_implILS5_1ELb0ES3_jN6thrust23THRUST_200600_302600_NS6detail15normal_iteratorINSA_10device_ptrIjEEEEPS6_NSA_18transform_iteratorI7is_evenIjESF_NSA_11use_defaultESK_EENS0_5tupleIJSF_SF_EEENSM_IJSG_SG_EEES6_PlJS6_EEE10hipError_tPvRmT3_T4_T5_T6_T7_T9_mT8_P12ihipStream_tbDpT10_ENKUlT_T0_E_clISt17integral_constantIbLb1EES19_EEDaS14_S15_EUlS14_E_NS1_11comp_targetILNS1_3genE3ELNS1_11target_archE908ELNS1_3gpuE7ELNS1_3repE0EEENS1_30default_config_static_selectorELNS0_4arch9wavefront6targetE1EEEvT1_, .Lfunc_end2246-_ZN7rocprim17ROCPRIM_400000_NS6detail17trampoline_kernelINS0_14default_configENS1_25partition_config_selectorILNS1_17partition_subalgoE1EjNS0_10empty_typeEbEEZZNS1_14partition_implILS5_1ELb0ES3_jN6thrust23THRUST_200600_302600_NS6detail15normal_iteratorINSA_10device_ptrIjEEEEPS6_NSA_18transform_iteratorI7is_evenIjESF_NSA_11use_defaultESK_EENS0_5tupleIJSF_SF_EEENSM_IJSG_SG_EEES6_PlJS6_EEE10hipError_tPvRmT3_T4_T5_T6_T7_T9_mT8_P12ihipStream_tbDpT10_ENKUlT_T0_E_clISt17integral_constantIbLb1EES19_EEDaS14_S15_EUlS14_E_NS1_11comp_targetILNS1_3genE3ELNS1_11target_archE908ELNS1_3gpuE7ELNS1_3repE0EEENS1_30default_config_static_selectorELNS0_4arch9wavefront6targetE1EEEvT1_
                                        ; -- End function
	.section	.AMDGPU.csdata,"",@progbits
; Kernel info:
; codeLenInByte = 0
; NumSgprs: 4
; NumVgprs: 0
; NumAgprs: 0
; TotalNumVgprs: 0
; ScratchSize: 0
; MemoryBound: 0
; FloatMode: 240
; IeeeMode: 1
; LDSByteSize: 0 bytes/workgroup (compile time only)
; SGPRBlocks: 0
; VGPRBlocks: 0
; NumSGPRsForWavesPerEU: 4
; NumVGPRsForWavesPerEU: 1
; AccumOffset: 4
; Occupancy: 8
; WaveLimiterHint : 0
; COMPUTE_PGM_RSRC2:SCRATCH_EN: 0
; COMPUTE_PGM_RSRC2:USER_SGPR: 6
; COMPUTE_PGM_RSRC2:TRAP_HANDLER: 0
; COMPUTE_PGM_RSRC2:TGID_X_EN: 1
; COMPUTE_PGM_RSRC2:TGID_Y_EN: 0
; COMPUTE_PGM_RSRC2:TGID_Z_EN: 0
; COMPUTE_PGM_RSRC2:TIDIG_COMP_CNT: 0
; COMPUTE_PGM_RSRC3_GFX90A:ACCUM_OFFSET: 0
; COMPUTE_PGM_RSRC3_GFX90A:TG_SPLIT: 0
	.section	.text._ZN7rocprim17ROCPRIM_400000_NS6detail17trampoline_kernelINS0_14default_configENS1_25partition_config_selectorILNS1_17partition_subalgoE1EjNS0_10empty_typeEbEEZZNS1_14partition_implILS5_1ELb0ES3_jN6thrust23THRUST_200600_302600_NS6detail15normal_iteratorINSA_10device_ptrIjEEEEPS6_NSA_18transform_iteratorI7is_evenIjESF_NSA_11use_defaultESK_EENS0_5tupleIJSF_SF_EEENSM_IJSG_SG_EEES6_PlJS6_EEE10hipError_tPvRmT3_T4_T5_T6_T7_T9_mT8_P12ihipStream_tbDpT10_ENKUlT_T0_E_clISt17integral_constantIbLb1EES19_EEDaS14_S15_EUlS14_E_NS1_11comp_targetILNS1_3genE2ELNS1_11target_archE906ELNS1_3gpuE6ELNS1_3repE0EEENS1_30default_config_static_selectorELNS0_4arch9wavefront6targetE1EEEvT1_,"axG",@progbits,_ZN7rocprim17ROCPRIM_400000_NS6detail17trampoline_kernelINS0_14default_configENS1_25partition_config_selectorILNS1_17partition_subalgoE1EjNS0_10empty_typeEbEEZZNS1_14partition_implILS5_1ELb0ES3_jN6thrust23THRUST_200600_302600_NS6detail15normal_iteratorINSA_10device_ptrIjEEEEPS6_NSA_18transform_iteratorI7is_evenIjESF_NSA_11use_defaultESK_EENS0_5tupleIJSF_SF_EEENSM_IJSG_SG_EEES6_PlJS6_EEE10hipError_tPvRmT3_T4_T5_T6_T7_T9_mT8_P12ihipStream_tbDpT10_ENKUlT_T0_E_clISt17integral_constantIbLb1EES19_EEDaS14_S15_EUlS14_E_NS1_11comp_targetILNS1_3genE2ELNS1_11target_archE906ELNS1_3gpuE6ELNS1_3repE0EEENS1_30default_config_static_selectorELNS0_4arch9wavefront6targetE1EEEvT1_,comdat
	.protected	_ZN7rocprim17ROCPRIM_400000_NS6detail17trampoline_kernelINS0_14default_configENS1_25partition_config_selectorILNS1_17partition_subalgoE1EjNS0_10empty_typeEbEEZZNS1_14partition_implILS5_1ELb0ES3_jN6thrust23THRUST_200600_302600_NS6detail15normal_iteratorINSA_10device_ptrIjEEEEPS6_NSA_18transform_iteratorI7is_evenIjESF_NSA_11use_defaultESK_EENS0_5tupleIJSF_SF_EEENSM_IJSG_SG_EEES6_PlJS6_EEE10hipError_tPvRmT3_T4_T5_T6_T7_T9_mT8_P12ihipStream_tbDpT10_ENKUlT_T0_E_clISt17integral_constantIbLb1EES19_EEDaS14_S15_EUlS14_E_NS1_11comp_targetILNS1_3genE2ELNS1_11target_archE906ELNS1_3gpuE6ELNS1_3repE0EEENS1_30default_config_static_selectorELNS0_4arch9wavefront6targetE1EEEvT1_ ; -- Begin function _ZN7rocprim17ROCPRIM_400000_NS6detail17trampoline_kernelINS0_14default_configENS1_25partition_config_selectorILNS1_17partition_subalgoE1EjNS0_10empty_typeEbEEZZNS1_14partition_implILS5_1ELb0ES3_jN6thrust23THRUST_200600_302600_NS6detail15normal_iteratorINSA_10device_ptrIjEEEEPS6_NSA_18transform_iteratorI7is_evenIjESF_NSA_11use_defaultESK_EENS0_5tupleIJSF_SF_EEENSM_IJSG_SG_EEES6_PlJS6_EEE10hipError_tPvRmT3_T4_T5_T6_T7_T9_mT8_P12ihipStream_tbDpT10_ENKUlT_T0_E_clISt17integral_constantIbLb1EES19_EEDaS14_S15_EUlS14_E_NS1_11comp_targetILNS1_3genE2ELNS1_11target_archE906ELNS1_3gpuE6ELNS1_3repE0EEENS1_30default_config_static_selectorELNS0_4arch9wavefront6targetE1EEEvT1_
	.globl	_ZN7rocprim17ROCPRIM_400000_NS6detail17trampoline_kernelINS0_14default_configENS1_25partition_config_selectorILNS1_17partition_subalgoE1EjNS0_10empty_typeEbEEZZNS1_14partition_implILS5_1ELb0ES3_jN6thrust23THRUST_200600_302600_NS6detail15normal_iteratorINSA_10device_ptrIjEEEEPS6_NSA_18transform_iteratorI7is_evenIjESF_NSA_11use_defaultESK_EENS0_5tupleIJSF_SF_EEENSM_IJSG_SG_EEES6_PlJS6_EEE10hipError_tPvRmT3_T4_T5_T6_T7_T9_mT8_P12ihipStream_tbDpT10_ENKUlT_T0_E_clISt17integral_constantIbLb1EES19_EEDaS14_S15_EUlS14_E_NS1_11comp_targetILNS1_3genE2ELNS1_11target_archE906ELNS1_3gpuE6ELNS1_3repE0EEENS1_30default_config_static_selectorELNS0_4arch9wavefront6targetE1EEEvT1_
	.p2align	8
	.type	_ZN7rocprim17ROCPRIM_400000_NS6detail17trampoline_kernelINS0_14default_configENS1_25partition_config_selectorILNS1_17partition_subalgoE1EjNS0_10empty_typeEbEEZZNS1_14partition_implILS5_1ELb0ES3_jN6thrust23THRUST_200600_302600_NS6detail15normal_iteratorINSA_10device_ptrIjEEEEPS6_NSA_18transform_iteratorI7is_evenIjESF_NSA_11use_defaultESK_EENS0_5tupleIJSF_SF_EEENSM_IJSG_SG_EEES6_PlJS6_EEE10hipError_tPvRmT3_T4_T5_T6_T7_T9_mT8_P12ihipStream_tbDpT10_ENKUlT_T0_E_clISt17integral_constantIbLb1EES19_EEDaS14_S15_EUlS14_E_NS1_11comp_targetILNS1_3genE2ELNS1_11target_archE906ELNS1_3gpuE6ELNS1_3repE0EEENS1_30default_config_static_selectorELNS0_4arch9wavefront6targetE1EEEvT1_,@function
_ZN7rocprim17ROCPRIM_400000_NS6detail17trampoline_kernelINS0_14default_configENS1_25partition_config_selectorILNS1_17partition_subalgoE1EjNS0_10empty_typeEbEEZZNS1_14partition_implILS5_1ELb0ES3_jN6thrust23THRUST_200600_302600_NS6detail15normal_iteratorINSA_10device_ptrIjEEEEPS6_NSA_18transform_iteratorI7is_evenIjESF_NSA_11use_defaultESK_EENS0_5tupleIJSF_SF_EEENSM_IJSG_SG_EEES6_PlJS6_EEE10hipError_tPvRmT3_T4_T5_T6_T7_T9_mT8_P12ihipStream_tbDpT10_ENKUlT_T0_E_clISt17integral_constantIbLb1EES19_EEDaS14_S15_EUlS14_E_NS1_11comp_targetILNS1_3genE2ELNS1_11target_archE906ELNS1_3gpuE6ELNS1_3repE0EEENS1_30default_config_static_selectorELNS0_4arch9wavefront6targetE1EEEvT1_: ; @_ZN7rocprim17ROCPRIM_400000_NS6detail17trampoline_kernelINS0_14default_configENS1_25partition_config_selectorILNS1_17partition_subalgoE1EjNS0_10empty_typeEbEEZZNS1_14partition_implILS5_1ELb0ES3_jN6thrust23THRUST_200600_302600_NS6detail15normal_iteratorINSA_10device_ptrIjEEEEPS6_NSA_18transform_iteratorI7is_evenIjESF_NSA_11use_defaultESK_EENS0_5tupleIJSF_SF_EEENSM_IJSG_SG_EEES6_PlJS6_EEE10hipError_tPvRmT3_T4_T5_T6_T7_T9_mT8_P12ihipStream_tbDpT10_ENKUlT_T0_E_clISt17integral_constantIbLb1EES19_EEDaS14_S15_EUlS14_E_NS1_11comp_targetILNS1_3genE2ELNS1_11target_archE906ELNS1_3gpuE6ELNS1_3repE0EEENS1_30default_config_static_selectorELNS0_4arch9wavefront6targetE1EEEvT1_
; %bb.0:
	.section	.rodata,"a",@progbits
	.p2align	6, 0x0
	.amdhsa_kernel _ZN7rocprim17ROCPRIM_400000_NS6detail17trampoline_kernelINS0_14default_configENS1_25partition_config_selectorILNS1_17partition_subalgoE1EjNS0_10empty_typeEbEEZZNS1_14partition_implILS5_1ELb0ES3_jN6thrust23THRUST_200600_302600_NS6detail15normal_iteratorINSA_10device_ptrIjEEEEPS6_NSA_18transform_iteratorI7is_evenIjESF_NSA_11use_defaultESK_EENS0_5tupleIJSF_SF_EEENSM_IJSG_SG_EEES6_PlJS6_EEE10hipError_tPvRmT3_T4_T5_T6_T7_T9_mT8_P12ihipStream_tbDpT10_ENKUlT_T0_E_clISt17integral_constantIbLb1EES19_EEDaS14_S15_EUlS14_E_NS1_11comp_targetILNS1_3genE2ELNS1_11target_archE906ELNS1_3gpuE6ELNS1_3repE0EEENS1_30default_config_static_selectorELNS0_4arch9wavefront6targetE1EEEvT1_
		.amdhsa_group_segment_fixed_size 0
		.amdhsa_private_segment_fixed_size 0
		.amdhsa_kernarg_size 144
		.amdhsa_user_sgpr_count 6
		.amdhsa_user_sgpr_private_segment_buffer 1
		.amdhsa_user_sgpr_dispatch_ptr 0
		.amdhsa_user_sgpr_queue_ptr 0
		.amdhsa_user_sgpr_kernarg_segment_ptr 1
		.amdhsa_user_sgpr_dispatch_id 0
		.amdhsa_user_sgpr_flat_scratch_init 0
		.amdhsa_user_sgpr_kernarg_preload_length 0
		.amdhsa_user_sgpr_kernarg_preload_offset 0
		.amdhsa_user_sgpr_private_segment_size 0
		.amdhsa_uses_dynamic_stack 0
		.amdhsa_system_sgpr_private_segment_wavefront_offset 0
		.amdhsa_system_sgpr_workgroup_id_x 1
		.amdhsa_system_sgpr_workgroup_id_y 0
		.amdhsa_system_sgpr_workgroup_id_z 0
		.amdhsa_system_sgpr_workgroup_info 0
		.amdhsa_system_vgpr_workitem_id 0
		.amdhsa_next_free_vgpr 1
		.amdhsa_next_free_sgpr 0
		.amdhsa_accum_offset 4
		.amdhsa_reserve_vcc 0
		.amdhsa_reserve_flat_scratch 0
		.amdhsa_float_round_mode_32 0
		.amdhsa_float_round_mode_16_64 0
		.amdhsa_float_denorm_mode_32 3
		.amdhsa_float_denorm_mode_16_64 3
		.amdhsa_dx10_clamp 1
		.amdhsa_ieee_mode 1
		.amdhsa_fp16_overflow 0
		.amdhsa_tg_split 0
		.amdhsa_exception_fp_ieee_invalid_op 0
		.amdhsa_exception_fp_denorm_src 0
		.amdhsa_exception_fp_ieee_div_zero 0
		.amdhsa_exception_fp_ieee_overflow 0
		.amdhsa_exception_fp_ieee_underflow 0
		.amdhsa_exception_fp_ieee_inexact 0
		.amdhsa_exception_int_div_zero 0
	.end_amdhsa_kernel
	.section	.text._ZN7rocprim17ROCPRIM_400000_NS6detail17trampoline_kernelINS0_14default_configENS1_25partition_config_selectorILNS1_17partition_subalgoE1EjNS0_10empty_typeEbEEZZNS1_14partition_implILS5_1ELb0ES3_jN6thrust23THRUST_200600_302600_NS6detail15normal_iteratorINSA_10device_ptrIjEEEEPS6_NSA_18transform_iteratorI7is_evenIjESF_NSA_11use_defaultESK_EENS0_5tupleIJSF_SF_EEENSM_IJSG_SG_EEES6_PlJS6_EEE10hipError_tPvRmT3_T4_T5_T6_T7_T9_mT8_P12ihipStream_tbDpT10_ENKUlT_T0_E_clISt17integral_constantIbLb1EES19_EEDaS14_S15_EUlS14_E_NS1_11comp_targetILNS1_3genE2ELNS1_11target_archE906ELNS1_3gpuE6ELNS1_3repE0EEENS1_30default_config_static_selectorELNS0_4arch9wavefront6targetE1EEEvT1_,"axG",@progbits,_ZN7rocprim17ROCPRIM_400000_NS6detail17trampoline_kernelINS0_14default_configENS1_25partition_config_selectorILNS1_17partition_subalgoE1EjNS0_10empty_typeEbEEZZNS1_14partition_implILS5_1ELb0ES3_jN6thrust23THRUST_200600_302600_NS6detail15normal_iteratorINSA_10device_ptrIjEEEEPS6_NSA_18transform_iteratorI7is_evenIjESF_NSA_11use_defaultESK_EENS0_5tupleIJSF_SF_EEENSM_IJSG_SG_EEES6_PlJS6_EEE10hipError_tPvRmT3_T4_T5_T6_T7_T9_mT8_P12ihipStream_tbDpT10_ENKUlT_T0_E_clISt17integral_constantIbLb1EES19_EEDaS14_S15_EUlS14_E_NS1_11comp_targetILNS1_3genE2ELNS1_11target_archE906ELNS1_3gpuE6ELNS1_3repE0EEENS1_30default_config_static_selectorELNS0_4arch9wavefront6targetE1EEEvT1_,comdat
.Lfunc_end2247:
	.size	_ZN7rocprim17ROCPRIM_400000_NS6detail17trampoline_kernelINS0_14default_configENS1_25partition_config_selectorILNS1_17partition_subalgoE1EjNS0_10empty_typeEbEEZZNS1_14partition_implILS5_1ELb0ES3_jN6thrust23THRUST_200600_302600_NS6detail15normal_iteratorINSA_10device_ptrIjEEEEPS6_NSA_18transform_iteratorI7is_evenIjESF_NSA_11use_defaultESK_EENS0_5tupleIJSF_SF_EEENSM_IJSG_SG_EEES6_PlJS6_EEE10hipError_tPvRmT3_T4_T5_T6_T7_T9_mT8_P12ihipStream_tbDpT10_ENKUlT_T0_E_clISt17integral_constantIbLb1EES19_EEDaS14_S15_EUlS14_E_NS1_11comp_targetILNS1_3genE2ELNS1_11target_archE906ELNS1_3gpuE6ELNS1_3repE0EEENS1_30default_config_static_selectorELNS0_4arch9wavefront6targetE1EEEvT1_, .Lfunc_end2247-_ZN7rocprim17ROCPRIM_400000_NS6detail17trampoline_kernelINS0_14default_configENS1_25partition_config_selectorILNS1_17partition_subalgoE1EjNS0_10empty_typeEbEEZZNS1_14partition_implILS5_1ELb0ES3_jN6thrust23THRUST_200600_302600_NS6detail15normal_iteratorINSA_10device_ptrIjEEEEPS6_NSA_18transform_iteratorI7is_evenIjESF_NSA_11use_defaultESK_EENS0_5tupleIJSF_SF_EEENSM_IJSG_SG_EEES6_PlJS6_EEE10hipError_tPvRmT3_T4_T5_T6_T7_T9_mT8_P12ihipStream_tbDpT10_ENKUlT_T0_E_clISt17integral_constantIbLb1EES19_EEDaS14_S15_EUlS14_E_NS1_11comp_targetILNS1_3genE2ELNS1_11target_archE906ELNS1_3gpuE6ELNS1_3repE0EEENS1_30default_config_static_selectorELNS0_4arch9wavefront6targetE1EEEvT1_
                                        ; -- End function
	.section	.AMDGPU.csdata,"",@progbits
; Kernel info:
; codeLenInByte = 0
; NumSgprs: 4
; NumVgprs: 0
; NumAgprs: 0
; TotalNumVgprs: 0
; ScratchSize: 0
; MemoryBound: 0
; FloatMode: 240
; IeeeMode: 1
; LDSByteSize: 0 bytes/workgroup (compile time only)
; SGPRBlocks: 0
; VGPRBlocks: 0
; NumSGPRsForWavesPerEU: 4
; NumVGPRsForWavesPerEU: 1
; AccumOffset: 4
; Occupancy: 8
; WaveLimiterHint : 0
; COMPUTE_PGM_RSRC2:SCRATCH_EN: 0
; COMPUTE_PGM_RSRC2:USER_SGPR: 6
; COMPUTE_PGM_RSRC2:TRAP_HANDLER: 0
; COMPUTE_PGM_RSRC2:TGID_X_EN: 1
; COMPUTE_PGM_RSRC2:TGID_Y_EN: 0
; COMPUTE_PGM_RSRC2:TGID_Z_EN: 0
; COMPUTE_PGM_RSRC2:TIDIG_COMP_CNT: 0
; COMPUTE_PGM_RSRC3_GFX90A:ACCUM_OFFSET: 0
; COMPUTE_PGM_RSRC3_GFX90A:TG_SPLIT: 0
	.section	.text._ZN7rocprim17ROCPRIM_400000_NS6detail17trampoline_kernelINS0_14default_configENS1_25partition_config_selectorILNS1_17partition_subalgoE1EjNS0_10empty_typeEbEEZZNS1_14partition_implILS5_1ELb0ES3_jN6thrust23THRUST_200600_302600_NS6detail15normal_iteratorINSA_10device_ptrIjEEEEPS6_NSA_18transform_iteratorI7is_evenIjESF_NSA_11use_defaultESK_EENS0_5tupleIJSF_SF_EEENSM_IJSG_SG_EEES6_PlJS6_EEE10hipError_tPvRmT3_T4_T5_T6_T7_T9_mT8_P12ihipStream_tbDpT10_ENKUlT_T0_E_clISt17integral_constantIbLb1EES19_EEDaS14_S15_EUlS14_E_NS1_11comp_targetILNS1_3genE10ELNS1_11target_archE1200ELNS1_3gpuE4ELNS1_3repE0EEENS1_30default_config_static_selectorELNS0_4arch9wavefront6targetE1EEEvT1_,"axG",@progbits,_ZN7rocprim17ROCPRIM_400000_NS6detail17trampoline_kernelINS0_14default_configENS1_25partition_config_selectorILNS1_17partition_subalgoE1EjNS0_10empty_typeEbEEZZNS1_14partition_implILS5_1ELb0ES3_jN6thrust23THRUST_200600_302600_NS6detail15normal_iteratorINSA_10device_ptrIjEEEEPS6_NSA_18transform_iteratorI7is_evenIjESF_NSA_11use_defaultESK_EENS0_5tupleIJSF_SF_EEENSM_IJSG_SG_EEES6_PlJS6_EEE10hipError_tPvRmT3_T4_T5_T6_T7_T9_mT8_P12ihipStream_tbDpT10_ENKUlT_T0_E_clISt17integral_constantIbLb1EES19_EEDaS14_S15_EUlS14_E_NS1_11comp_targetILNS1_3genE10ELNS1_11target_archE1200ELNS1_3gpuE4ELNS1_3repE0EEENS1_30default_config_static_selectorELNS0_4arch9wavefront6targetE1EEEvT1_,comdat
	.protected	_ZN7rocprim17ROCPRIM_400000_NS6detail17trampoline_kernelINS0_14default_configENS1_25partition_config_selectorILNS1_17partition_subalgoE1EjNS0_10empty_typeEbEEZZNS1_14partition_implILS5_1ELb0ES3_jN6thrust23THRUST_200600_302600_NS6detail15normal_iteratorINSA_10device_ptrIjEEEEPS6_NSA_18transform_iteratorI7is_evenIjESF_NSA_11use_defaultESK_EENS0_5tupleIJSF_SF_EEENSM_IJSG_SG_EEES6_PlJS6_EEE10hipError_tPvRmT3_T4_T5_T6_T7_T9_mT8_P12ihipStream_tbDpT10_ENKUlT_T0_E_clISt17integral_constantIbLb1EES19_EEDaS14_S15_EUlS14_E_NS1_11comp_targetILNS1_3genE10ELNS1_11target_archE1200ELNS1_3gpuE4ELNS1_3repE0EEENS1_30default_config_static_selectorELNS0_4arch9wavefront6targetE1EEEvT1_ ; -- Begin function _ZN7rocprim17ROCPRIM_400000_NS6detail17trampoline_kernelINS0_14default_configENS1_25partition_config_selectorILNS1_17partition_subalgoE1EjNS0_10empty_typeEbEEZZNS1_14partition_implILS5_1ELb0ES3_jN6thrust23THRUST_200600_302600_NS6detail15normal_iteratorINSA_10device_ptrIjEEEEPS6_NSA_18transform_iteratorI7is_evenIjESF_NSA_11use_defaultESK_EENS0_5tupleIJSF_SF_EEENSM_IJSG_SG_EEES6_PlJS6_EEE10hipError_tPvRmT3_T4_T5_T6_T7_T9_mT8_P12ihipStream_tbDpT10_ENKUlT_T0_E_clISt17integral_constantIbLb1EES19_EEDaS14_S15_EUlS14_E_NS1_11comp_targetILNS1_3genE10ELNS1_11target_archE1200ELNS1_3gpuE4ELNS1_3repE0EEENS1_30default_config_static_selectorELNS0_4arch9wavefront6targetE1EEEvT1_
	.globl	_ZN7rocprim17ROCPRIM_400000_NS6detail17trampoline_kernelINS0_14default_configENS1_25partition_config_selectorILNS1_17partition_subalgoE1EjNS0_10empty_typeEbEEZZNS1_14partition_implILS5_1ELb0ES3_jN6thrust23THRUST_200600_302600_NS6detail15normal_iteratorINSA_10device_ptrIjEEEEPS6_NSA_18transform_iteratorI7is_evenIjESF_NSA_11use_defaultESK_EENS0_5tupleIJSF_SF_EEENSM_IJSG_SG_EEES6_PlJS6_EEE10hipError_tPvRmT3_T4_T5_T6_T7_T9_mT8_P12ihipStream_tbDpT10_ENKUlT_T0_E_clISt17integral_constantIbLb1EES19_EEDaS14_S15_EUlS14_E_NS1_11comp_targetILNS1_3genE10ELNS1_11target_archE1200ELNS1_3gpuE4ELNS1_3repE0EEENS1_30default_config_static_selectorELNS0_4arch9wavefront6targetE1EEEvT1_
	.p2align	8
	.type	_ZN7rocprim17ROCPRIM_400000_NS6detail17trampoline_kernelINS0_14default_configENS1_25partition_config_selectorILNS1_17partition_subalgoE1EjNS0_10empty_typeEbEEZZNS1_14partition_implILS5_1ELb0ES3_jN6thrust23THRUST_200600_302600_NS6detail15normal_iteratorINSA_10device_ptrIjEEEEPS6_NSA_18transform_iteratorI7is_evenIjESF_NSA_11use_defaultESK_EENS0_5tupleIJSF_SF_EEENSM_IJSG_SG_EEES6_PlJS6_EEE10hipError_tPvRmT3_T4_T5_T6_T7_T9_mT8_P12ihipStream_tbDpT10_ENKUlT_T0_E_clISt17integral_constantIbLb1EES19_EEDaS14_S15_EUlS14_E_NS1_11comp_targetILNS1_3genE10ELNS1_11target_archE1200ELNS1_3gpuE4ELNS1_3repE0EEENS1_30default_config_static_selectorELNS0_4arch9wavefront6targetE1EEEvT1_,@function
_ZN7rocprim17ROCPRIM_400000_NS6detail17trampoline_kernelINS0_14default_configENS1_25partition_config_selectorILNS1_17partition_subalgoE1EjNS0_10empty_typeEbEEZZNS1_14partition_implILS5_1ELb0ES3_jN6thrust23THRUST_200600_302600_NS6detail15normal_iteratorINSA_10device_ptrIjEEEEPS6_NSA_18transform_iteratorI7is_evenIjESF_NSA_11use_defaultESK_EENS0_5tupleIJSF_SF_EEENSM_IJSG_SG_EEES6_PlJS6_EEE10hipError_tPvRmT3_T4_T5_T6_T7_T9_mT8_P12ihipStream_tbDpT10_ENKUlT_T0_E_clISt17integral_constantIbLb1EES19_EEDaS14_S15_EUlS14_E_NS1_11comp_targetILNS1_3genE10ELNS1_11target_archE1200ELNS1_3gpuE4ELNS1_3repE0EEENS1_30default_config_static_selectorELNS0_4arch9wavefront6targetE1EEEvT1_: ; @_ZN7rocprim17ROCPRIM_400000_NS6detail17trampoline_kernelINS0_14default_configENS1_25partition_config_selectorILNS1_17partition_subalgoE1EjNS0_10empty_typeEbEEZZNS1_14partition_implILS5_1ELb0ES3_jN6thrust23THRUST_200600_302600_NS6detail15normal_iteratorINSA_10device_ptrIjEEEEPS6_NSA_18transform_iteratorI7is_evenIjESF_NSA_11use_defaultESK_EENS0_5tupleIJSF_SF_EEENSM_IJSG_SG_EEES6_PlJS6_EEE10hipError_tPvRmT3_T4_T5_T6_T7_T9_mT8_P12ihipStream_tbDpT10_ENKUlT_T0_E_clISt17integral_constantIbLb1EES19_EEDaS14_S15_EUlS14_E_NS1_11comp_targetILNS1_3genE10ELNS1_11target_archE1200ELNS1_3gpuE4ELNS1_3repE0EEENS1_30default_config_static_selectorELNS0_4arch9wavefront6targetE1EEEvT1_
; %bb.0:
	.section	.rodata,"a",@progbits
	.p2align	6, 0x0
	.amdhsa_kernel _ZN7rocprim17ROCPRIM_400000_NS6detail17trampoline_kernelINS0_14default_configENS1_25partition_config_selectorILNS1_17partition_subalgoE1EjNS0_10empty_typeEbEEZZNS1_14partition_implILS5_1ELb0ES3_jN6thrust23THRUST_200600_302600_NS6detail15normal_iteratorINSA_10device_ptrIjEEEEPS6_NSA_18transform_iteratorI7is_evenIjESF_NSA_11use_defaultESK_EENS0_5tupleIJSF_SF_EEENSM_IJSG_SG_EEES6_PlJS6_EEE10hipError_tPvRmT3_T4_T5_T6_T7_T9_mT8_P12ihipStream_tbDpT10_ENKUlT_T0_E_clISt17integral_constantIbLb1EES19_EEDaS14_S15_EUlS14_E_NS1_11comp_targetILNS1_3genE10ELNS1_11target_archE1200ELNS1_3gpuE4ELNS1_3repE0EEENS1_30default_config_static_selectorELNS0_4arch9wavefront6targetE1EEEvT1_
		.amdhsa_group_segment_fixed_size 0
		.amdhsa_private_segment_fixed_size 0
		.amdhsa_kernarg_size 144
		.amdhsa_user_sgpr_count 6
		.amdhsa_user_sgpr_private_segment_buffer 1
		.amdhsa_user_sgpr_dispatch_ptr 0
		.amdhsa_user_sgpr_queue_ptr 0
		.amdhsa_user_sgpr_kernarg_segment_ptr 1
		.amdhsa_user_sgpr_dispatch_id 0
		.amdhsa_user_sgpr_flat_scratch_init 0
		.amdhsa_user_sgpr_kernarg_preload_length 0
		.amdhsa_user_sgpr_kernarg_preload_offset 0
		.amdhsa_user_sgpr_private_segment_size 0
		.amdhsa_uses_dynamic_stack 0
		.amdhsa_system_sgpr_private_segment_wavefront_offset 0
		.amdhsa_system_sgpr_workgroup_id_x 1
		.amdhsa_system_sgpr_workgroup_id_y 0
		.amdhsa_system_sgpr_workgroup_id_z 0
		.amdhsa_system_sgpr_workgroup_info 0
		.amdhsa_system_vgpr_workitem_id 0
		.amdhsa_next_free_vgpr 1
		.amdhsa_next_free_sgpr 0
		.amdhsa_accum_offset 4
		.amdhsa_reserve_vcc 0
		.amdhsa_reserve_flat_scratch 0
		.amdhsa_float_round_mode_32 0
		.amdhsa_float_round_mode_16_64 0
		.amdhsa_float_denorm_mode_32 3
		.amdhsa_float_denorm_mode_16_64 3
		.amdhsa_dx10_clamp 1
		.amdhsa_ieee_mode 1
		.amdhsa_fp16_overflow 0
		.amdhsa_tg_split 0
		.amdhsa_exception_fp_ieee_invalid_op 0
		.amdhsa_exception_fp_denorm_src 0
		.amdhsa_exception_fp_ieee_div_zero 0
		.amdhsa_exception_fp_ieee_overflow 0
		.amdhsa_exception_fp_ieee_underflow 0
		.amdhsa_exception_fp_ieee_inexact 0
		.amdhsa_exception_int_div_zero 0
	.end_amdhsa_kernel
	.section	.text._ZN7rocprim17ROCPRIM_400000_NS6detail17trampoline_kernelINS0_14default_configENS1_25partition_config_selectorILNS1_17partition_subalgoE1EjNS0_10empty_typeEbEEZZNS1_14partition_implILS5_1ELb0ES3_jN6thrust23THRUST_200600_302600_NS6detail15normal_iteratorINSA_10device_ptrIjEEEEPS6_NSA_18transform_iteratorI7is_evenIjESF_NSA_11use_defaultESK_EENS0_5tupleIJSF_SF_EEENSM_IJSG_SG_EEES6_PlJS6_EEE10hipError_tPvRmT3_T4_T5_T6_T7_T9_mT8_P12ihipStream_tbDpT10_ENKUlT_T0_E_clISt17integral_constantIbLb1EES19_EEDaS14_S15_EUlS14_E_NS1_11comp_targetILNS1_3genE10ELNS1_11target_archE1200ELNS1_3gpuE4ELNS1_3repE0EEENS1_30default_config_static_selectorELNS0_4arch9wavefront6targetE1EEEvT1_,"axG",@progbits,_ZN7rocprim17ROCPRIM_400000_NS6detail17trampoline_kernelINS0_14default_configENS1_25partition_config_selectorILNS1_17partition_subalgoE1EjNS0_10empty_typeEbEEZZNS1_14partition_implILS5_1ELb0ES3_jN6thrust23THRUST_200600_302600_NS6detail15normal_iteratorINSA_10device_ptrIjEEEEPS6_NSA_18transform_iteratorI7is_evenIjESF_NSA_11use_defaultESK_EENS0_5tupleIJSF_SF_EEENSM_IJSG_SG_EEES6_PlJS6_EEE10hipError_tPvRmT3_T4_T5_T6_T7_T9_mT8_P12ihipStream_tbDpT10_ENKUlT_T0_E_clISt17integral_constantIbLb1EES19_EEDaS14_S15_EUlS14_E_NS1_11comp_targetILNS1_3genE10ELNS1_11target_archE1200ELNS1_3gpuE4ELNS1_3repE0EEENS1_30default_config_static_selectorELNS0_4arch9wavefront6targetE1EEEvT1_,comdat
.Lfunc_end2248:
	.size	_ZN7rocprim17ROCPRIM_400000_NS6detail17trampoline_kernelINS0_14default_configENS1_25partition_config_selectorILNS1_17partition_subalgoE1EjNS0_10empty_typeEbEEZZNS1_14partition_implILS5_1ELb0ES3_jN6thrust23THRUST_200600_302600_NS6detail15normal_iteratorINSA_10device_ptrIjEEEEPS6_NSA_18transform_iteratorI7is_evenIjESF_NSA_11use_defaultESK_EENS0_5tupleIJSF_SF_EEENSM_IJSG_SG_EEES6_PlJS6_EEE10hipError_tPvRmT3_T4_T5_T6_T7_T9_mT8_P12ihipStream_tbDpT10_ENKUlT_T0_E_clISt17integral_constantIbLb1EES19_EEDaS14_S15_EUlS14_E_NS1_11comp_targetILNS1_3genE10ELNS1_11target_archE1200ELNS1_3gpuE4ELNS1_3repE0EEENS1_30default_config_static_selectorELNS0_4arch9wavefront6targetE1EEEvT1_, .Lfunc_end2248-_ZN7rocprim17ROCPRIM_400000_NS6detail17trampoline_kernelINS0_14default_configENS1_25partition_config_selectorILNS1_17partition_subalgoE1EjNS0_10empty_typeEbEEZZNS1_14partition_implILS5_1ELb0ES3_jN6thrust23THRUST_200600_302600_NS6detail15normal_iteratorINSA_10device_ptrIjEEEEPS6_NSA_18transform_iteratorI7is_evenIjESF_NSA_11use_defaultESK_EENS0_5tupleIJSF_SF_EEENSM_IJSG_SG_EEES6_PlJS6_EEE10hipError_tPvRmT3_T4_T5_T6_T7_T9_mT8_P12ihipStream_tbDpT10_ENKUlT_T0_E_clISt17integral_constantIbLb1EES19_EEDaS14_S15_EUlS14_E_NS1_11comp_targetILNS1_3genE10ELNS1_11target_archE1200ELNS1_3gpuE4ELNS1_3repE0EEENS1_30default_config_static_selectorELNS0_4arch9wavefront6targetE1EEEvT1_
                                        ; -- End function
	.section	.AMDGPU.csdata,"",@progbits
; Kernel info:
; codeLenInByte = 0
; NumSgprs: 4
; NumVgprs: 0
; NumAgprs: 0
; TotalNumVgprs: 0
; ScratchSize: 0
; MemoryBound: 0
; FloatMode: 240
; IeeeMode: 1
; LDSByteSize: 0 bytes/workgroup (compile time only)
; SGPRBlocks: 0
; VGPRBlocks: 0
; NumSGPRsForWavesPerEU: 4
; NumVGPRsForWavesPerEU: 1
; AccumOffset: 4
; Occupancy: 8
; WaveLimiterHint : 0
; COMPUTE_PGM_RSRC2:SCRATCH_EN: 0
; COMPUTE_PGM_RSRC2:USER_SGPR: 6
; COMPUTE_PGM_RSRC2:TRAP_HANDLER: 0
; COMPUTE_PGM_RSRC2:TGID_X_EN: 1
; COMPUTE_PGM_RSRC2:TGID_Y_EN: 0
; COMPUTE_PGM_RSRC2:TGID_Z_EN: 0
; COMPUTE_PGM_RSRC2:TIDIG_COMP_CNT: 0
; COMPUTE_PGM_RSRC3_GFX90A:ACCUM_OFFSET: 0
; COMPUTE_PGM_RSRC3_GFX90A:TG_SPLIT: 0
	.section	.text._ZN7rocprim17ROCPRIM_400000_NS6detail17trampoline_kernelINS0_14default_configENS1_25partition_config_selectorILNS1_17partition_subalgoE1EjNS0_10empty_typeEbEEZZNS1_14partition_implILS5_1ELb0ES3_jN6thrust23THRUST_200600_302600_NS6detail15normal_iteratorINSA_10device_ptrIjEEEEPS6_NSA_18transform_iteratorI7is_evenIjESF_NSA_11use_defaultESK_EENS0_5tupleIJSF_SF_EEENSM_IJSG_SG_EEES6_PlJS6_EEE10hipError_tPvRmT3_T4_T5_T6_T7_T9_mT8_P12ihipStream_tbDpT10_ENKUlT_T0_E_clISt17integral_constantIbLb1EES19_EEDaS14_S15_EUlS14_E_NS1_11comp_targetILNS1_3genE9ELNS1_11target_archE1100ELNS1_3gpuE3ELNS1_3repE0EEENS1_30default_config_static_selectorELNS0_4arch9wavefront6targetE1EEEvT1_,"axG",@progbits,_ZN7rocprim17ROCPRIM_400000_NS6detail17trampoline_kernelINS0_14default_configENS1_25partition_config_selectorILNS1_17partition_subalgoE1EjNS0_10empty_typeEbEEZZNS1_14partition_implILS5_1ELb0ES3_jN6thrust23THRUST_200600_302600_NS6detail15normal_iteratorINSA_10device_ptrIjEEEEPS6_NSA_18transform_iteratorI7is_evenIjESF_NSA_11use_defaultESK_EENS0_5tupleIJSF_SF_EEENSM_IJSG_SG_EEES6_PlJS6_EEE10hipError_tPvRmT3_T4_T5_T6_T7_T9_mT8_P12ihipStream_tbDpT10_ENKUlT_T0_E_clISt17integral_constantIbLb1EES19_EEDaS14_S15_EUlS14_E_NS1_11comp_targetILNS1_3genE9ELNS1_11target_archE1100ELNS1_3gpuE3ELNS1_3repE0EEENS1_30default_config_static_selectorELNS0_4arch9wavefront6targetE1EEEvT1_,comdat
	.protected	_ZN7rocprim17ROCPRIM_400000_NS6detail17trampoline_kernelINS0_14default_configENS1_25partition_config_selectorILNS1_17partition_subalgoE1EjNS0_10empty_typeEbEEZZNS1_14partition_implILS5_1ELb0ES3_jN6thrust23THRUST_200600_302600_NS6detail15normal_iteratorINSA_10device_ptrIjEEEEPS6_NSA_18transform_iteratorI7is_evenIjESF_NSA_11use_defaultESK_EENS0_5tupleIJSF_SF_EEENSM_IJSG_SG_EEES6_PlJS6_EEE10hipError_tPvRmT3_T4_T5_T6_T7_T9_mT8_P12ihipStream_tbDpT10_ENKUlT_T0_E_clISt17integral_constantIbLb1EES19_EEDaS14_S15_EUlS14_E_NS1_11comp_targetILNS1_3genE9ELNS1_11target_archE1100ELNS1_3gpuE3ELNS1_3repE0EEENS1_30default_config_static_selectorELNS0_4arch9wavefront6targetE1EEEvT1_ ; -- Begin function _ZN7rocprim17ROCPRIM_400000_NS6detail17trampoline_kernelINS0_14default_configENS1_25partition_config_selectorILNS1_17partition_subalgoE1EjNS0_10empty_typeEbEEZZNS1_14partition_implILS5_1ELb0ES3_jN6thrust23THRUST_200600_302600_NS6detail15normal_iteratorINSA_10device_ptrIjEEEEPS6_NSA_18transform_iteratorI7is_evenIjESF_NSA_11use_defaultESK_EENS0_5tupleIJSF_SF_EEENSM_IJSG_SG_EEES6_PlJS6_EEE10hipError_tPvRmT3_T4_T5_T6_T7_T9_mT8_P12ihipStream_tbDpT10_ENKUlT_T0_E_clISt17integral_constantIbLb1EES19_EEDaS14_S15_EUlS14_E_NS1_11comp_targetILNS1_3genE9ELNS1_11target_archE1100ELNS1_3gpuE3ELNS1_3repE0EEENS1_30default_config_static_selectorELNS0_4arch9wavefront6targetE1EEEvT1_
	.globl	_ZN7rocprim17ROCPRIM_400000_NS6detail17trampoline_kernelINS0_14default_configENS1_25partition_config_selectorILNS1_17partition_subalgoE1EjNS0_10empty_typeEbEEZZNS1_14partition_implILS5_1ELb0ES3_jN6thrust23THRUST_200600_302600_NS6detail15normal_iteratorINSA_10device_ptrIjEEEEPS6_NSA_18transform_iteratorI7is_evenIjESF_NSA_11use_defaultESK_EENS0_5tupleIJSF_SF_EEENSM_IJSG_SG_EEES6_PlJS6_EEE10hipError_tPvRmT3_T4_T5_T6_T7_T9_mT8_P12ihipStream_tbDpT10_ENKUlT_T0_E_clISt17integral_constantIbLb1EES19_EEDaS14_S15_EUlS14_E_NS1_11comp_targetILNS1_3genE9ELNS1_11target_archE1100ELNS1_3gpuE3ELNS1_3repE0EEENS1_30default_config_static_selectorELNS0_4arch9wavefront6targetE1EEEvT1_
	.p2align	8
	.type	_ZN7rocprim17ROCPRIM_400000_NS6detail17trampoline_kernelINS0_14default_configENS1_25partition_config_selectorILNS1_17partition_subalgoE1EjNS0_10empty_typeEbEEZZNS1_14partition_implILS5_1ELb0ES3_jN6thrust23THRUST_200600_302600_NS6detail15normal_iteratorINSA_10device_ptrIjEEEEPS6_NSA_18transform_iteratorI7is_evenIjESF_NSA_11use_defaultESK_EENS0_5tupleIJSF_SF_EEENSM_IJSG_SG_EEES6_PlJS6_EEE10hipError_tPvRmT3_T4_T5_T6_T7_T9_mT8_P12ihipStream_tbDpT10_ENKUlT_T0_E_clISt17integral_constantIbLb1EES19_EEDaS14_S15_EUlS14_E_NS1_11comp_targetILNS1_3genE9ELNS1_11target_archE1100ELNS1_3gpuE3ELNS1_3repE0EEENS1_30default_config_static_selectorELNS0_4arch9wavefront6targetE1EEEvT1_,@function
_ZN7rocprim17ROCPRIM_400000_NS6detail17trampoline_kernelINS0_14default_configENS1_25partition_config_selectorILNS1_17partition_subalgoE1EjNS0_10empty_typeEbEEZZNS1_14partition_implILS5_1ELb0ES3_jN6thrust23THRUST_200600_302600_NS6detail15normal_iteratorINSA_10device_ptrIjEEEEPS6_NSA_18transform_iteratorI7is_evenIjESF_NSA_11use_defaultESK_EENS0_5tupleIJSF_SF_EEENSM_IJSG_SG_EEES6_PlJS6_EEE10hipError_tPvRmT3_T4_T5_T6_T7_T9_mT8_P12ihipStream_tbDpT10_ENKUlT_T0_E_clISt17integral_constantIbLb1EES19_EEDaS14_S15_EUlS14_E_NS1_11comp_targetILNS1_3genE9ELNS1_11target_archE1100ELNS1_3gpuE3ELNS1_3repE0EEENS1_30default_config_static_selectorELNS0_4arch9wavefront6targetE1EEEvT1_: ; @_ZN7rocprim17ROCPRIM_400000_NS6detail17trampoline_kernelINS0_14default_configENS1_25partition_config_selectorILNS1_17partition_subalgoE1EjNS0_10empty_typeEbEEZZNS1_14partition_implILS5_1ELb0ES3_jN6thrust23THRUST_200600_302600_NS6detail15normal_iteratorINSA_10device_ptrIjEEEEPS6_NSA_18transform_iteratorI7is_evenIjESF_NSA_11use_defaultESK_EENS0_5tupleIJSF_SF_EEENSM_IJSG_SG_EEES6_PlJS6_EEE10hipError_tPvRmT3_T4_T5_T6_T7_T9_mT8_P12ihipStream_tbDpT10_ENKUlT_T0_E_clISt17integral_constantIbLb1EES19_EEDaS14_S15_EUlS14_E_NS1_11comp_targetILNS1_3genE9ELNS1_11target_archE1100ELNS1_3gpuE3ELNS1_3repE0EEENS1_30default_config_static_selectorELNS0_4arch9wavefront6targetE1EEEvT1_
; %bb.0:
	.section	.rodata,"a",@progbits
	.p2align	6, 0x0
	.amdhsa_kernel _ZN7rocprim17ROCPRIM_400000_NS6detail17trampoline_kernelINS0_14default_configENS1_25partition_config_selectorILNS1_17partition_subalgoE1EjNS0_10empty_typeEbEEZZNS1_14partition_implILS5_1ELb0ES3_jN6thrust23THRUST_200600_302600_NS6detail15normal_iteratorINSA_10device_ptrIjEEEEPS6_NSA_18transform_iteratorI7is_evenIjESF_NSA_11use_defaultESK_EENS0_5tupleIJSF_SF_EEENSM_IJSG_SG_EEES6_PlJS6_EEE10hipError_tPvRmT3_T4_T5_T6_T7_T9_mT8_P12ihipStream_tbDpT10_ENKUlT_T0_E_clISt17integral_constantIbLb1EES19_EEDaS14_S15_EUlS14_E_NS1_11comp_targetILNS1_3genE9ELNS1_11target_archE1100ELNS1_3gpuE3ELNS1_3repE0EEENS1_30default_config_static_selectorELNS0_4arch9wavefront6targetE1EEEvT1_
		.amdhsa_group_segment_fixed_size 0
		.amdhsa_private_segment_fixed_size 0
		.amdhsa_kernarg_size 144
		.amdhsa_user_sgpr_count 6
		.amdhsa_user_sgpr_private_segment_buffer 1
		.amdhsa_user_sgpr_dispatch_ptr 0
		.amdhsa_user_sgpr_queue_ptr 0
		.amdhsa_user_sgpr_kernarg_segment_ptr 1
		.amdhsa_user_sgpr_dispatch_id 0
		.amdhsa_user_sgpr_flat_scratch_init 0
		.amdhsa_user_sgpr_kernarg_preload_length 0
		.amdhsa_user_sgpr_kernarg_preload_offset 0
		.amdhsa_user_sgpr_private_segment_size 0
		.amdhsa_uses_dynamic_stack 0
		.amdhsa_system_sgpr_private_segment_wavefront_offset 0
		.amdhsa_system_sgpr_workgroup_id_x 1
		.amdhsa_system_sgpr_workgroup_id_y 0
		.amdhsa_system_sgpr_workgroup_id_z 0
		.amdhsa_system_sgpr_workgroup_info 0
		.amdhsa_system_vgpr_workitem_id 0
		.amdhsa_next_free_vgpr 1
		.amdhsa_next_free_sgpr 0
		.amdhsa_accum_offset 4
		.amdhsa_reserve_vcc 0
		.amdhsa_reserve_flat_scratch 0
		.amdhsa_float_round_mode_32 0
		.amdhsa_float_round_mode_16_64 0
		.amdhsa_float_denorm_mode_32 3
		.amdhsa_float_denorm_mode_16_64 3
		.amdhsa_dx10_clamp 1
		.amdhsa_ieee_mode 1
		.amdhsa_fp16_overflow 0
		.amdhsa_tg_split 0
		.amdhsa_exception_fp_ieee_invalid_op 0
		.amdhsa_exception_fp_denorm_src 0
		.amdhsa_exception_fp_ieee_div_zero 0
		.amdhsa_exception_fp_ieee_overflow 0
		.amdhsa_exception_fp_ieee_underflow 0
		.amdhsa_exception_fp_ieee_inexact 0
		.amdhsa_exception_int_div_zero 0
	.end_amdhsa_kernel
	.section	.text._ZN7rocprim17ROCPRIM_400000_NS6detail17trampoline_kernelINS0_14default_configENS1_25partition_config_selectorILNS1_17partition_subalgoE1EjNS0_10empty_typeEbEEZZNS1_14partition_implILS5_1ELb0ES3_jN6thrust23THRUST_200600_302600_NS6detail15normal_iteratorINSA_10device_ptrIjEEEEPS6_NSA_18transform_iteratorI7is_evenIjESF_NSA_11use_defaultESK_EENS0_5tupleIJSF_SF_EEENSM_IJSG_SG_EEES6_PlJS6_EEE10hipError_tPvRmT3_T4_T5_T6_T7_T9_mT8_P12ihipStream_tbDpT10_ENKUlT_T0_E_clISt17integral_constantIbLb1EES19_EEDaS14_S15_EUlS14_E_NS1_11comp_targetILNS1_3genE9ELNS1_11target_archE1100ELNS1_3gpuE3ELNS1_3repE0EEENS1_30default_config_static_selectorELNS0_4arch9wavefront6targetE1EEEvT1_,"axG",@progbits,_ZN7rocprim17ROCPRIM_400000_NS6detail17trampoline_kernelINS0_14default_configENS1_25partition_config_selectorILNS1_17partition_subalgoE1EjNS0_10empty_typeEbEEZZNS1_14partition_implILS5_1ELb0ES3_jN6thrust23THRUST_200600_302600_NS6detail15normal_iteratorINSA_10device_ptrIjEEEEPS6_NSA_18transform_iteratorI7is_evenIjESF_NSA_11use_defaultESK_EENS0_5tupleIJSF_SF_EEENSM_IJSG_SG_EEES6_PlJS6_EEE10hipError_tPvRmT3_T4_T5_T6_T7_T9_mT8_P12ihipStream_tbDpT10_ENKUlT_T0_E_clISt17integral_constantIbLb1EES19_EEDaS14_S15_EUlS14_E_NS1_11comp_targetILNS1_3genE9ELNS1_11target_archE1100ELNS1_3gpuE3ELNS1_3repE0EEENS1_30default_config_static_selectorELNS0_4arch9wavefront6targetE1EEEvT1_,comdat
.Lfunc_end2249:
	.size	_ZN7rocprim17ROCPRIM_400000_NS6detail17trampoline_kernelINS0_14default_configENS1_25partition_config_selectorILNS1_17partition_subalgoE1EjNS0_10empty_typeEbEEZZNS1_14partition_implILS5_1ELb0ES3_jN6thrust23THRUST_200600_302600_NS6detail15normal_iteratorINSA_10device_ptrIjEEEEPS6_NSA_18transform_iteratorI7is_evenIjESF_NSA_11use_defaultESK_EENS0_5tupleIJSF_SF_EEENSM_IJSG_SG_EEES6_PlJS6_EEE10hipError_tPvRmT3_T4_T5_T6_T7_T9_mT8_P12ihipStream_tbDpT10_ENKUlT_T0_E_clISt17integral_constantIbLb1EES19_EEDaS14_S15_EUlS14_E_NS1_11comp_targetILNS1_3genE9ELNS1_11target_archE1100ELNS1_3gpuE3ELNS1_3repE0EEENS1_30default_config_static_selectorELNS0_4arch9wavefront6targetE1EEEvT1_, .Lfunc_end2249-_ZN7rocprim17ROCPRIM_400000_NS6detail17trampoline_kernelINS0_14default_configENS1_25partition_config_selectorILNS1_17partition_subalgoE1EjNS0_10empty_typeEbEEZZNS1_14partition_implILS5_1ELb0ES3_jN6thrust23THRUST_200600_302600_NS6detail15normal_iteratorINSA_10device_ptrIjEEEEPS6_NSA_18transform_iteratorI7is_evenIjESF_NSA_11use_defaultESK_EENS0_5tupleIJSF_SF_EEENSM_IJSG_SG_EEES6_PlJS6_EEE10hipError_tPvRmT3_T4_T5_T6_T7_T9_mT8_P12ihipStream_tbDpT10_ENKUlT_T0_E_clISt17integral_constantIbLb1EES19_EEDaS14_S15_EUlS14_E_NS1_11comp_targetILNS1_3genE9ELNS1_11target_archE1100ELNS1_3gpuE3ELNS1_3repE0EEENS1_30default_config_static_selectorELNS0_4arch9wavefront6targetE1EEEvT1_
                                        ; -- End function
	.section	.AMDGPU.csdata,"",@progbits
; Kernel info:
; codeLenInByte = 0
; NumSgprs: 4
; NumVgprs: 0
; NumAgprs: 0
; TotalNumVgprs: 0
; ScratchSize: 0
; MemoryBound: 0
; FloatMode: 240
; IeeeMode: 1
; LDSByteSize: 0 bytes/workgroup (compile time only)
; SGPRBlocks: 0
; VGPRBlocks: 0
; NumSGPRsForWavesPerEU: 4
; NumVGPRsForWavesPerEU: 1
; AccumOffset: 4
; Occupancy: 8
; WaveLimiterHint : 0
; COMPUTE_PGM_RSRC2:SCRATCH_EN: 0
; COMPUTE_PGM_RSRC2:USER_SGPR: 6
; COMPUTE_PGM_RSRC2:TRAP_HANDLER: 0
; COMPUTE_PGM_RSRC2:TGID_X_EN: 1
; COMPUTE_PGM_RSRC2:TGID_Y_EN: 0
; COMPUTE_PGM_RSRC2:TGID_Z_EN: 0
; COMPUTE_PGM_RSRC2:TIDIG_COMP_CNT: 0
; COMPUTE_PGM_RSRC3_GFX90A:ACCUM_OFFSET: 0
; COMPUTE_PGM_RSRC3_GFX90A:TG_SPLIT: 0
	.section	.text._ZN7rocprim17ROCPRIM_400000_NS6detail17trampoline_kernelINS0_14default_configENS1_25partition_config_selectorILNS1_17partition_subalgoE1EjNS0_10empty_typeEbEEZZNS1_14partition_implILS5_1ELb0ES3_jN6thrust23THRUST_200600_302600_NS6detail15normal_iteratorINSA_10device_ptrIjEEEEPS6_NSA_18transform_iteratorI7is_evenIjESF_NSA_11use_defaultESK_EENS0_5tupleIJSF_SF_EEENSM_IJSG_SG_EEES6_PlJS6_EEE10hipError_tPvRmT3_T4_T5_T6_T7_T9_mT8_P12ihipStream_tbDpT10_ENKUlT_T0_E_clISt17integral_constantIbLb1EES19_EEDaS14_S15_EUlS14_E_NS1_11comp_targetILNS1_3genE8ELNS1_11target_archE1030ELNS1_3gpuE2ELNS1_3repE0EEENS1_30default_config_static_selectorELNS0_4arch9wavefront6targetE1EEEvT1_,"axG",@progbits,_ZN7rocprim17ROCPRIM_400000_NS6detail17trampoline_kernelINS0_14default_configENS1_25partition_config_selectorILNS1_17partition_subalgoE1EjNS0_10empty_typeEbEEZZNS1_14partition_implILS5_1ELb0ES3_jN6thrust23THRUST_200600_302600_NS6detail15normal_iteratorINSA_10device_ptrIjEEEEPS6_NSA_18transform_iteratorI7is_evenIjESF_NSA_11use_defaultESK_EENS0_5tupleIJSF_SF_EEENSM_IJSG_SG_EEES6_PlJS6_EEE10hipError_tPvRmT3_T4_T5_T6_T7_T9_mT8_P12ihipStream_tbDpT10_ENKUlT_T0_E_clISt17integral_constantIbLb1EES19_EEDaS14_S15_EUlS14_E_NS1_11comp_targetILNS1_3genE8ELNS1_11target_archE1030ELNS1_3gpuE2ELNS1_3repE0EEENS1_30default_config_static_selectorELNS0_4arch9wavefront6targetE1EEEvT1_,comdat
	.protected	_ZN7rocprim17ROCPRIM_400000_NS6detail17trampoline_kernelINS0_14default_configENS1_25partition_config_selectorILNS1_17partition_subalgoE1EjNS0_10empty_typeEbEEZZNS1_14partition_implILS5_1ELb0ES3_jN6thrust23THRUST_200600_302600_NS6detail15normal_iteratorINSA_10device_ptrIjEEEEPS6_NSA_18transform_iteratorI7is_evenIjESF_NSA_11use_defaultESK_EENS0_5tupleIJSF_SF_EEENSM_IJSG_SG_EEES6_PlJS6_EEE10hipError_tPvRmT3_T4_T5_T6_T7_T9_mT8_P12ihipStream_tbDpT10_ENKUlT_T0_E_clISt17integral_constantIbLb1EES19_EEDaS14_S15_EUlS14_E_NS1_11comp_targetILNS1_3genE8ELNS1_11target_archE1030ELNS1_3gpuE2ELNS1_3repE0EEENS1_30default_config_static_selectorELNS0_4arch9wavefront6targetE1EEEvT1_ ; -- Begin function _ZN7rocprim17ROCPRIM_400000_NS6detail17trampoline_kernelINS0_14default_configENS1_25partition_config_selectorILNS1_17partition_subalgoE1EjNS0_10empty_typeEbEEZZNS1_14partition_implILS5_1ELb0ES3_jN6thrust23THRUST_200600_302600_NS6detail15normal_iteratorINSA_10device_ptrIjEEEEPS6_NSA_18transform_iteratorI7is_evenIjESF_NSA_11use_defaultESK_EENS0_5tupleIJSF_SF_EEENSM_IJSG_SG_EEES6_PlJS6_EEE10hipError_tPvRmT3_T4_T5_T6_T7_T9_mT8_P12ihipStream_tbDpT10_ENKUlT_T0_E_clISt17integral_constantIbLb1EES19_EEDaS14_S15_EUlS14_E_NS1_11comp_targetILNS1_3genE8ELNS1_11target_archE1030ELNS1_3gpuE2ELNS1_3repE0EEENS1_30default_config_static_selectorELNS0_4arch9wavefront6targetE1EEEvT1_
	.globl	_ZN7rocprim17ROCPRIM_400000_NS6detail17trampoline_kernelINS0_14default_configENS1_25partition_config_selectorILNS1_17partition_subalgoE1EjNS0_10empty_typeEbEEZZNS1_14partition_implILS5_1ELb0ES3_jN6thrust23THRUST_200600_302600_NS6detail15normal_iteratorINSA_10device_ptrIjEEEEPS6_NSA_18transform_iteratorI7is_evenIjESF_NSA_11use_defaultESK_EENS0_5tupleIJSF_SF_EEENSM_IJSG_SG_EEES6_PlJS6_EEE10hipError_tPvRmT3_T4_T5_T6_T7_T9_mT8_P12ihipStream_tbDpT10_ENKUlT_T0_E_clISt17integral_constantIbLb1EES19_EEDaS14_S15_EUlS14_E_NS1_11comp_targetILNS1_3genE8ELNS1_11target_archE1030ELNS1_3gpuE2ELNS1_3repE0EEENS1_30default_config_static_selectorELNS0_4arch9wavefront6targetE1EEEvT1_
	.p2align	8
	.type	_ZN7rocprim17ROCPRIM_400000_NS6detail17trampoline_kernelINS0_14default_configENS1_25partition_config_selectorILNS1_17partition_subalgoE1EjNS0_10empty_typeEbEEZZNS1_14partition_implILS5_1ELb0ES3_jN6thrust23THRUST_200600_302600_NS6detail15normal_iteratorINSA_10device_ptrIjEEEEPS6_NSA_18transform_iteratorI7is_evenIjESF_NSA_11use_defaultESK_EENS0_5tupleIJSF_SF_EEENSM_IJSG_SG_EEES6_PlJS6_EEE10hipError_tPvRmT3_T4_T5_T6_T7_T9_mT8_P12ihipStream_tbDpT10_ENKUlT_T0_E_clISt17integral_constantIbLb1EES19_EEDaS14_S15_EUlS14_E_NS1_11comp_targetILNS1_3genE8ELNS1_11target_archE1030ELNS1_3gpuE2ELNS1_3repE0EEENS1_30default_config_static_selectorELNS0_4arch9wavefront6targetE1EEEvT1_,@function
_ZN7rocprim17ROCPRIM_400000_NS6detail17trampoline_kernelINS0_14default_configENS1_25partition_config_selectorILNS1_17partition_subalgoE1EjNS0_10empty_typeEbEEZZNS1_14partition_implILS5_1ELb0ES3_jN6thrust23THRUST_200600_302600_NS6detail15normal_iteratorINSA_10device_ptrIjEEEEPS6_NSA_18transform_iteratorI7is_evenIjESF_NSA_11use_defaultESK_EENS0_5tupleIJSF_SF_EEENSM_IJSG_SG_EEES6_PlJS6_EEE10hipError_tPvRmT3_T4_T5_T6_T7_T9_mT8_P12ihipStream_tbDpT10_ENKUlT_T0_E_clISt17integral_constantIbLb1EES19_EEDaS14_S15_EUlS14_E_NS1_11comp_targetILNS1_3genE8ELNS1_11target_archE1030ELNS1_3gpuE2ELNS1_3repE0EEENS1_30default_config_static_selectorELNS0_4arch9wavefront6targetE1EEEvT1_: ; @_ZN7rocprim17ROCPRIM_400000_NS6detail17trampoline_kernelINS0_14default_configENS1_25partition_config_selectorILNS1_17partition_subalgoE1EjNS0_10empty_typeEbEEZZNS1_14partition_implILS5_1ELb0ES3_jN6thrust23THRUST_200600_302600_NS6detail15normal_iteratorINSA_10device_ptrIjEEEEPS6_NSA_18transform_iteratorI7is_evenIjESF_NSA_11use_defaultESK_EENS0_5tupleIJSF_SF_EEENSM_IJSG_SG_EEES6_PlJS6_EEE10hipError_tPvRmT3_T4_T5_T6_T7_T9_mT8_P12ihipStream_tbDpT10_ENKUlT_T0_E_clISt17integral_constantIbLb1EES19_EEDaS14_S15_EUlS14_E_NS1_11comp_targetILNS1_3genE8ELNS1_11target_archE1030ELNS1_3gpuE2ELNS1_3repE0EEENS1_30default_config_static_selectorELNS0_4arch9wavefront6targetE1EEEvT1_
; %bb.0:
	.section	.rodata,"a",@progbits
	.p2align	6, 0x0
	.amdhsa_kernel _ZN7rocprim17ROCPRIM_400000_NS6detail17trampoline_kernelINS0_14default_configENS1_25partition_config_selectorILNS1_17partition_subalgoE1EjNS0_10empty_typeEbEEZZNS1_14partition_implILS5_1ELb0ES3_jN6thrust23THRUST_200600_302600_NS6detail15normal_iteratorINSA_10device_ptrIjEEEEPS6_NSA_18transform_iteratorI7is_evenIjESF_NSA_11use_defaultESK_EENS0_5tupleIJSF_SF_EEENSM_IJSG_SG_EEES6_PlJS6_EEE10hipError_tPvRmT3_T4_T5_T6_T7_T9_mT8_P12ihipStream_tbDpT10_ENKUlT_T0_E_clISt17integral_constantIbLb1EES19_EEDaS14_S15_EUlS14_E_NS1_11comp_targetILNS1_3genE8ELNS1_11target_archE1030ELNS1_3gpuE2ELNS1_3repE0EEENS1_30default_config_static_selectorELNS0_4arch9wavefront6targetE1EEEvT1_
		.amdhsa_group_segment_fixed_size 0
		.amdhsa_private_segment_fixed_size 0
		.amdhsa_kernarg_size 144
		.amdhsa_user_sgpr_count 6
		.amdhsa_user_sgpr_private_segment_buffer 1
		.amdhsa_user_sgpr_dispatch_ptr 0
		.amdhsa_user_sgpr_queue_ptr 0
		.amdhsa_user_sgpr_kernarg_segment_ptr 1
		.amdhsa_user_sgpr_dispatch_id 0
		.amdhsa_user_sgpr_flat_scratch_init 0
		.amdhsa_user_sgpr_kernarg_preload_length 0
		.amdhsa_user_sgpr_kernarg_preload_offset 0
		.amdhsa_user_sgpr_private_segment_size 0
		.amdhsa_uses_dynamic_stack 0
		.amdhsa_system_sgpr_private_segment_wavefront_offset 0
		.amdhsa_system_sgpr_workgroup_id_x 1
		.amdhsa_system_sgpr_workgroup_id_y 0
		.amdhsa_system_sgpr_workgroup_id_z 0
		.amdhsa_system_sgpr_workgroup_info 0
		.amdhsa_system_vgpr_workitem_id 0
		.amdhsa_next_free_vgpr 1
		.amdhsa_next_free_sgpr 0
		.amdhsa_accum_offset 4
		.amdhsa_reserve_vcc 0
		.amdhsa_reserve_flat_scratch 0
		.amdhsa_float_round_mode_32 0
		.amdhsa_float_round_mode_16_64 0
		.amdhsa_float_denorm_mode_32 3
		.amdhsa_float_denorm_mode_16_64 3
		.amdhsa_dx10_clamp 1
		.amdhsa_ieee_mode 1
		.amdhsa_fp16_overflow 0
		.amdhsa_tg_split 0
		.amdhsa_exception_fp_ieee_invalid_op 0
		.amdhsa_exception_fp_denorm_src 0
		.amdhsa_exception_fp_ieee_div_zero 0
		.amdhsa_exception_fp_ieee_overflow 0
		.amdhsa_exception_fp_ieee_underflow 0
		.amdhsa_exception_fp_ieee_inexact 0
		.amdhsa_exception_int_div_zero 0
	.end_amdhsa_kernel
	.section	.text._ZN7rocprim17ROCPRIM_400000_NS6detail17trampoline_kernelINS0_14default_configENS1_25partition_config_selectorILNS1_17partition_subalgoE1EjNS0_10empty_typeEbEEZZNS1_14partition_implILS5_1ELb0ES3_jN6thrust23THRUST_200600_302600_NS6detail15normal_iteratorINSA_10device_ptrIjEEEEPS6_NSA_18transform_iteratorI7is_evenIjESF_NSA_11use_defaultESK_EENS0_5tupleIJSF_SF_EEENSM_IJSG_SG_EEES6_PlJS6_EEE10hipError_tPvRmT3_T4_T5_T6_T7_T9_mT8_P12ihipStream_tbDpT10_ENKUlT_T0_E_clISt17integral_constantIbLb1EES19_EEDaS14_S15_EUlS14_E_NS1_11comp_targetILNS1_3genE8ELNS1_11target_archE1030ELNS1_3gpuE2ELNS1_3repE0EEENS1_30default_config_static_selectorELNS0_4arch9wavefront6targetE1EEEvT1_,"axG",@progbits,_ZN7rocprim17ROCPRIM_400000_NS6detail17trampoline_kernelINS0_14default_configENS1_25partition_config_selectorILNS1_17partition_subalgoE1EjNS0_10empty_typeEbEEZZNS1_14partition_implILS5_1ELb0ES3_jN6thrust23THRUST_200600_302600_NS6detail15normal_iteratorINSA_10device_ptrIjEEEEPS6_NSA_18transform_iteratorI7is_evenIjESF_NSA_11use_defaultESK_EENS0_5tupleIJSF_SF_EEENSM_IJSG_SG_EEES6_PlJS6_EEE10hipError_tPvRmT3_T4_T5_T6_T7_T9_mT8_P12ihipStream_tbDpT10_ENKUlT_T0_E_clISt17integral_constantIbLb1EES19_EEDaS14_S15_EUlS14_E_NS1_11comp_targetILNS1_3genE8ELNS1_11target_archE1030ELNS1_3gpuE2ELNS1_3repE0EEENS1_30default_config_static_selectorELNS0_4arch9wavefront6targetE1EEEvT1_,comdat
.Lfunc_end2250:
	.size	_ZN7rocprim17ROCPRIM_400000_NS6detail17trampoline_kernelINS0_14default_configENS1_25partition_config_selectorILNS1_17partition_subalgoE1EjNS0_10empty_typeEbEEZZNS1_14partition_implILS5_1ELb0ES3_jN6thrust23THRUST_200600_302600_NS6detail15normal_iteratorINSA_10device_ptrIjEEEEPS6_NSA_18transform_iteratorI7is_evenIjESF_NSA_11use_defaultESK_EENS0_5tupleIJSF_SF_EEENSM_IJSG_SG_EEES6_PlJS6_EEE10hipError_tPvRmT3_T4_T5_T6_T7_T9_mT8_P12ihipStream_tbDpT10_ENKUlT_T0_E_clISt17integral_constantIbLb1EES19_EEDaS14_S15_EUlS14_E_NS1_11comp_targetILNS1_3genE8ELNS1_11target_archE1030ELNS1_3gpuE2ELNS1_3repE0EEENS1_30default_config_static_selectorELNS0_4arch9wavefront6targetE1EEEvT1_, .Lfunc_end2250-_ZN7rocprim17ROCPRIM_400000_NS6detail17trampoline_kernelINS0_14default_configENS1_25partition_config_selectorILNS1_17partition_subalgoE1EjNS0_10empty_typeEbEEZZNS1_14partition_implILS5_1ELb0ES3_jN6thrust23THRUST_200600_302600_NS6detail15normal_iteratorINSA_10device_ptrIjEEEEPS6_NSA_18transform_iteratorI7is_evenIjESF_NSA_11use_defaultESK_EENS0_5tupleIJSF_SF_EEENSM_IJSG_SG_EEES6_PlJS6_EEE10hipError_tPvRmT3_T4_T5_T6_T7_T9_mT8_P12ihipStream_tbDpT10_ENKUlT_T0_E_clISt17integral_constantIbLb1EES19_EEDaS14_S15_EUlS14_E_NS1_11comp_targetILNS1_3genE8ELNS1_11target_archE1030ELNS1_3gpuE2ELNS1_3repE0EEENS1_30default_config_static_selectorELNS0_4arch9wavefront6targetE1EEEvT1_
                                        ; -- End function
	.section	.AMDGPU.csdata,"",@progbits
; Kernel info:
; codeLenInByte = 0
; NumSgprs: 4
; NumVgprs: 0
; NumAgprs: 0
; TotalNumVgprs: 0
; ScratchSize: 0
; MemoryBound: 0
; FloatMode: 240
; IeeeMode: 1
; LDSByteSize: 0 bytes/workgroup (compile time only)
; SGPRBlocks: 0
; VGPRBlocks: 0
; NumSGPRsForWavesPerEU: 4
; NumVGPRsForWavesPerEU: 1
; AccumOffset: 4
; Occupancy: 8
; WaveLimiterHint : 0
; COMPUTE_PGM_RSRC2:SCRATCH_EN: 0
; COMPUTE_PGM_RSRC2:USER_SGPR: 6
; COMPUTE_PGM_RSRC2:TRAP_HANDLER: 0
; COMPUTE_PGM_RSRC2:TGID_X_EN: 1
; COMPUTE_PGM_RSRC2:TGID_Y_EN: 0
; COMPUTE_PGM_RSRC2:TGID_Z_EN: 0
; COMPUTE_PGM_RSRC2:TIDIG_COMP_CNT: 0
; COMPUTE_PGM_RSRC3_GFX90A:ACCUM_OFFSET: 0
; COMPUTE_PGM_RSRC3_GFX90A:TG_SPLIT: 0
	.section	.text._ZN7rocprim17ROCPRIM_400000_NS6detail17trampoline_kernelINS0_14default_configENS1_25partition_config_selectorILNS1_17partition_subalgoE1EjNS0_10empty_typeEbEEZZNS1_14partition_implILS5_1ELb0ES3_jN6thrust23THRUST_200600_302600_NS6detail15normal_iteratorINSA_10device_ptrIjEEEEPS6_NSA_18transform_iteratorI7is_evenIjESF_NSA_11use_defaultESK_EENS0_5tupleIJSF_SF_EEENSM_IJSG_SG_EEES6_PlJS6_EEE10hipError_tPvRmT3_T4_T5_T6_T7_T9_mT8_P12ihipStream_tbDpT10_ENKUlT_T0_E_clISt17integral_constantIbLb1EES18_IbLb0EEEEDaS14_S15_EUlS14_E_NS1_11comp_targetILNS1_3genE0ELNS1_11target_archE4294967295ELNS1_3gpuE0ELNS1_3repE0EEENS1_30default_config_static_selectorELNS0_4arch9wavefront6targetE1EEEvT1_,"axG",@progbits,_ZN7rocprim17ROCPRIM_400000_NS6detail17trampoline_kernelINS0_14default_configENS1_25partition_config_selectorILNS1_17partition_subalgoE1EjNS0_10empty_typeEbEEZZNS1_14partition_implILS5_1ELb0ES3_jN6thrust23THRUST_200600_302600_NS6detail15normal_iteratorINSA_10device_ptrIjEEEEPS6_NSA_18transform_iteratorI7is_evenIjESF_NSA_11use_defaultESK_EENS0_5tupleIJSF_SF_EEENSM_IJSG_SG_EEES6_PlJS6_EEE10hipError_tPvRmT3_T4_T5_T6_T7_T9_mT8_P12ihipStream_tbDpT10_ENKUlT_T0_E_clISt17integral_constantIbLb1EES18_IbLb0EEEEDaS14_S15_EUlS14_E_NS1_11comp_targetILNS1_3genE0ELNS1_11target_archE4294967295ELNS1_3gpuE0ELNS1_3repE0EEENS1_30default_config_static_selectorELNS0_4arch9wavefront6targetE1EEEvT1_,comdat
	.protected	_ZN7rocprim17ROCPRIM_400000_NS6detail17trampoline_kernelINS0_14default_configENS1_25partition_config_selectorILNS1_17partition_subalgoE1EjNS0_10empty_typeEbEEZZNS1_14partition_implILS5_1ELb0ES3_jN6thrust23THRUST_200600_302600_NS6detail15normal_iteratorINSA_10device_ptrIjEEEEPS6_NSA_18transform_iteratorI7is_evenIjESF_NSA_11use_defaultESK_EENS0_5tupleIJSF_SF_EEENSM_IJSG_SG_EEES6_PlJS6_EEE10hipError_tPvRmT3_T4_T5_T6_T7_T9_mT8_P12ihipStream_tbDpT10_ENKUlT_T0_E_clISt17integral_constantIbLb1EES18_IbLb0EEEEDaS14_S15_EUlS14_E_NS1_11comp_targetILNS1_3genE0ELNS1_11target_archE4294967295ELNS1_3gpuE0ELNS1_3repE0EEENS1_30default_config_static_selectorELNS0_4arch9wavefront6targetE1EEEvT1_ ; -- Begin function _ZN7rocprim17ROCPRIM_400000_NS6detail17trampoline_kernelINS0_14default_configENS1_25partition_config_selectorILNS1_17partition_subalgoE1EjNS0_10empty_typeEbEEZZNS1_14partition_implILS5_1ELb0ES3_jN6thrust23THRUST_200600_302600_NS6detail15normal_iteratorINSA_10device_ptrIjEEEEPS6_NSA_18transform_iteratorI7is_evenIjESF_NSA_11use_defaultESK_EENS0_5tupleIJSF_SF_EEENSM_IJSG_SG_EEES6_PlJS6_EEE10hipError_tPvRmT3_T4_T5_T6_T7_T9_mT8_P12ihipStream_tbDpT10_ENKUlT_T0_E_clISt17integral_constantIbLb1EES18_IbLb0EEEEDaS14_S15_EUlS14_E_NS1_11comp_targetILNS1_3genE0ELNS1_11target_archE4294967295ELNS1_3gpuE0ELNS1_3repE0EEENS1_30default_config_static_selectorELNS0_4arch9wavefront6targetE1EEEvT1_
	.globl	_ZN7rocprim17ROCPRIM_400000_NS6detail17trampoline_kernelINS0_14default_configENS1_25partition_config_selectorILNS1_17partition_subalgoE1EjNS0_10empty_typeEbEEZZNS1_14partition_implILS5_1ELb0ES3_jN6thrust23THRUST_200600_302600_NS6detail15normal_iteratorINSA_10device_ptrIjEEEEPS6_NSA_18transform_iteratorI7is_evenIjESF_NSA_11use_defaultESK_EENS0_5tupleIJSF_SF_EEENSM_IJSG_SG_EEES6_PlJS6_EEE10hipError_tPvRmT3_T4_T5_T6_T7_T9_mT8_P12ihipStream_tbDpT10_ENKUlT_T0_E_clISt17integral_constantIbLb1EES18_IbLb0EEEEDaS14_S15_EUlS14_E_NS1_11comp_targetILNS1_3genE0ELNS1_11target_archE4294967295ELNS1_3gpuE0ELNS1_3repE0EEENS1_30default_config_static_selectorELNS0_4arch9wavefront6targetE1EEEvT1_
	.p2align	8
	.type	_ZN7rocprim17ROCPRIM_400000_NS6detail17trampoline_kernelINS0_14default_configENS1_25partition_config_selectorILNS1_17partition_subalgoE1EjNS0_10empty_typeEbEEZZNS1_14partition_implILS5_1ELb0ES3_jN6thrust23THRUST_200600_302600_NS6detail15normal_iteratorINSA_10device_ptrIjEEEEPS6_NSA_18transform_iteratorI7is_evenIjESF_NSA_11use_defaultESK_EENS0_5tupleIJSF_SF_EEENSM_IJSG_SG_EEES6_PlJS6_EEE10hipError_tPvRmT3_T4_T5_T6_T7_T9_mT8_P12ihipStream_tbDpT10_ENKUlT_T0_E_clISt17integral_constantIbLb1EES18_IbLb0EEEEDaS14_S15_EUlS14_E_NS1_11comp_targetILNS1_3genE0ELNS1_11target_archE4294967295ELNS1_3gpuE0ELNS1_3repE0EEENS1_30default_config_static_selectorELNS0_4arch9wavefront6targetE1EEEvT1_,@function
_ZN7rocprim17ROCPRIM_400000_NS6detail17trampoline_kernelINS0_14default_configENS1_25partition_config_selectorILNS1_17partition_subalgoE1EjNS0_10empty_typeEbEEZZNS1_14partition_implILS5_1ELb0ES3_jN6thrust23THRUST_200600_302600_NS6detail15normal_iteratorINSA_10device_ptrIjEEEEPS6_NSA_18transform_iteratorI7is_evenIjESF_NSA_11use_defaultESK_EENS0_5tupleIJSF_SF_EEENSM_IJSG_SG_EEES6_PlJS6_EEE10hipError_tPvRmT3_T4_T5_T6_T7_T9_mT8_P12ihipStream_tbDpT10_ENKUlT_T0_E_clISt17integral_constantIbLb1EES18_IbLb0EEEEDaS14_S15_EUlS14_E_NS1_11comp_targetILNS1_3genE0ELNS1_11target_archE4294967295ELNS1_3gpuE0ELNS1_3repE0EEENS1_30default_config_static_selectorELNS0_4arch9wavefront6targetE1EEEvT1_: ; @_ZN7rocprim17ROCPRIM_400000_NS6detail17trampoline_kernelINS0_14default_configENS1_25partition_config_selectorILNS1_17partition_subalgoE1EjNS0_10empty_typeEbEEZZNS1_14partition_implILS5_1ELb0ES3_jN6thrust23THRUST_200600_302600_NS6detail15normal_iteratorINSA_10device_ptrIjEEEEPS6_NSA_18transform_iteratorI7is_evenIjESF_NSA_11use_defaultESK_EENS0_5tupleIJSF_SF_EEENSM_IJSG_SG_EEES6_PlJS6_EEE10hipError_tPvRmT3_T4_T5_T6_T7_T9_mT8_P12ihipStream_tbDpT10_ENKUlT_T0_E_clISt17integral_constantIbLb1EES18_IbLb0EEEEDaS14_S15_EUlS14_E_NS1_11comp_targetILNS1_3genE0ELNS1_11target_archE4294967295ELNS1_3gpuE0ELNS1_3repE0EEENS1_30default_config_static_selectorELNS0_4arch9wavefront6targetE1EEEvT1_
; %bb.0:
	.section	.rodata,"a",@progbits
	.p2align	6, 0x0
	.amdhsa_kernel _ZN7rocprim17ROCPRIM_400000_NS6detail17trampoline_kernelINS0_14default_configENS1_25partition_config_selectorILNS1_17partition_subalgoE1EjNS0_10empty_typeEbEEZZNS1_14partition_implILS5_1ELb0ES3_jN6thrust23THRUST_200600_302600_NS6detail15normal_iteratorINSA_10device_ptrIjEEEEPS6_NSA_18transform_iteratorI7is_evenIjESF_NSA_11use_defaultESK_EENS0_5tupleIJSF_SF_EEENSM_IJSG_SG_EEES6_PlJS6_EEE10hipError_tPvRmT3_T4_T5_T6_T7_T9_mT8_P12ihipStream_tbDpT10_ENKUlT_T0_E_clISt17integral_constantIbLb1EES18_IbLb0EEEEDaS14_S15_EUlS14_E_NS1_11comp_targetILNS1_3genE0ELNS1_11target_archE4294967295ELNS1_3gpuE0ELNS1_3repE0EEENS1_30default_config_static_selectorELNS0_4arch9wavefront6targetE1EEEvT1_
		.amdhsa_group_segment_fixed_size 0
		.amdhsa_private_segment_fixed_size 0
		.amdhsa_kernarg_size 128
		.amdhsa_user_sgpr_count 6
		.amdhsa_user_sgpr_private_segment_buffer 1
		.amdhsa_user_sgpr_dispatch_ptr 0
		.amdhsa_user_sgpr_queue_ptr 0
		.amdhsa_user_sgpr_kernarg_segment_ptr 1
		.amdhsa_user_sgpr_dispatch_id 0
		.amdhsa_user_sgpr_flat_scratch_init 0
		.amdhsa_user_sgpr_kernarg_preload_length 0
		.amdhsa_user_sgpr_kernarg_preload_offset 0
		.amdhsa_user_sgpr_private_segment_size 0
		.amdhsa_uses_dynamic_stack 0
		.amdhsa_system_sgpr_private_segment_wavefront_offset 0
		.amdhsa_system_sgpr_workgroup_id_x 1
		.amdhsa_system_sgpr_workgroup_id_y 0
		.amdhsa_system_sgpr_workgroup_id_z 0
		.amdhsa_system_sgpr_workgroup_info 0
		.amdhsa_system_vgpr_workitem_id 0
		.amdhsa_next_free_vgpr 1
		.amdhsa_next_free_sgpr 0
		.amdhsa_accum_offset 4
		.amdhsa_reserve_vcc 0
		.amdhsa_reserve_flat_scratch 0
		.amdhsa_float_round_mode_32 0
		.amdhsa_float_round_mode_16_64 0
		.amdhsa_float_denorm_mode_32 3
		.amdhsa_float_denorm_mode_16_64 3
		.amdhsa_dx10_clamp 1
		.amdhsa_ieee_mode 1
		.amdhsa_fp16_overflow 0
		.amdhsa_tg_split 0
		.amdhsa_exception_fp_ieee_invalid_op 0
		.amdhsa_exception_fp_denorm_src 0
		.amdhsa_exception_fp_ieee_div_zero 0
		.amdhsa_exception_fp_ieee_overflow 0
		.amdhsa_exception_fp_ieee_underflow 0
		.amdhsa_exception_fp_ieee_inexact 0
		.amdhsa_exception_int_div_zero 0
	.end_amdhsa_kernel
	.section	.text._ZN7rocprim17ROCPRIM_400000_NS6detail17trampoline_kernelINS0_14default_configENS1_25partition_config_selectorILNS1_17partition_subalgoE1EjNS0_10empty_typeEbEEZZNS1_14partition_implILS5_1ELb0ES3_jN6thrust23THRUST_200600_302600_NS6detail15normal_iteratorINSA_10device_ptrIjEEEEPS6_NSA_18transform_iteratorI7is_evenIjESF_NSA_11use_defaultESK_EENS0_5tupleIJSF_SF_EEENSM_IJSG_SG_EEES6_PlJS6_EEE10hipError_tPvRmT3_T4_T5_T6_T7_T9_mT8_P12ihipStream_tbDpT10_ENKUlT_T0_E_clISt17integral_constantIbLb1EES18_IbLb0EEEEDaS14_S15_EUlS14_E_NS1_11comp_targetILNS1_3genE0ELNS1_11target_archE4294967295ELNS1_3gpuE0ELNS1_3repE0EEENS1_30default_config_static_selectorELNS0_4arch9wavefront6targetE1EEEvT1_,"axG",@progbits,_ZN7rocprim17ROCPRIM_400000_NS6detail17trampoline_kernelINS0_14default_configENS1_25partition_config_selectorILNS1_17partition_subalgoE1EjNS0_10empty_typeEbEEZZNS1_14partition_implILS5_1ELb0ES3_jN6thrust23THRUST_200600_302600_NS6detail15normal_iteratorINSA_10device_ptrIjEEEEPS6_NSA_18transform_iteratorI7is_evenIjESF_NSA_11use_defaultESK_EENS0_5tupleIJSF_SF_EEENSM_IJSG_SG_EEES6_PlJS6_EEE10hipError_tPvRmT3_T4_T5_T6_T7_T9_mT8_P12ihipStream_tbDpT10_ENKUlT_T0_E_clISt17integral_constantIbLb1EES18_IbLb0EEEEDaS14_S15_EUlS14_E_NS1_11comp_targetILNS1_3genE0ELNS1_11target_archE4294967295ELNS1_3gpuE0ELNS1_3repE0EEENS1_30default_config_static_selectorELNS0_4arch9wavefront6targetE1EEEvT1_,comdat
.Lfunc_end2251:
	.size	_ZN7rocprim17ROCPRIM_400000_NS6detail17trampoline_kernelINS0_14default_configENS1_25partition_config_selectorILNS1_17partition_subalgoE1EjNS0_10empty_typeEbEEZZNS1_14partition_implILS5_1ELb0ES3_jN6thrust23THRUST_200600_302600_NS6detail15normal_iteratorINSA_10device_ptrIjEEEEPS6_NSA_18transform_iteratorI7is_evenIjESF_NSA_11use_defaultESK_EENS0_5tupleIJSF_SF_EEENSM_IJSG_SG_EEES6_PlJS6_EEE10hipError_tPvRmT3_T4_T5_T6_T7_T9_mT8_P12ihipStream_tbDpT10_ENKUlT_T0_E_clISt17integral_constantIbLb1EES18_IbLb0EEEEDaS14_S15_EUlS14_E_NS1_11comp_targetILNS1_3genE0ELNS1_11target_archE4294967295ELNS1_3gpuE0ELNS1_3repE0EEENS1_30default_config_static_selectorELNS0_4arch9wavefront6targetE1EEEvT1_, .Lfunc_end2251-_ZN7rocprim17ROCPRIM_400000_NS6detail17trampoline_kernelINS0_14default_configENS1_25partition_config_selectorILNS1_17partition_subalgoE1EjNS0_10empty_typeEbEEZZNS1_14partition_implILS5_1ELb0ES3_jN6thrust23THRUST_200600_302600_NS6detail15normal_iteratorINSA_10device_ptrIjEEEEPS6_NSA_18transform_iteratorI7is_evenIjESF_NSA_11use_defaultESK_EENS0_5tupleIJSF_SF_EEENSM_IJSG_SG_EEES6_PlJS6_EEE10hipError_tPvRmT3_T4_T5_T6_T7_T9_mT8_P12ihipStream_tbDpT10_ENKUlT_T0_E_clISt17integral_constantIbLb1EES18_IbLb0EEEEDaS14_S15_EUlS14_E_NS1_11comp_targetILNS1_3genE0ELNS1_11target_archE4294967295ELNS1_3gpuE0ELNS1_3repE0EEENS1_30default_config_static_selectorELNS0_4arch9wavefront6targetE1EEEvT1_
                                        ; -- End function
	.section	.AMDGPU.csdata,"",@progbits
; Kernel info:
; codeLenInByte = 0
; NumSgprs: 4
; NumVgprs: 0
; NumAgprs: 0
; TotalNumVgprs: 0
; ScratchSize: 0
; MemoryBound: 0
; FloatMode: 240
; IeeeMode: 1
; LDSByteSize: 0 bytes/workgroup (compile time only)
; SGPRBlocks: 0
; VGPRBlocks: 0
; NumSGPRsForWavesPerEU: 4
; NumVGPRsForWavesPerEU: 1
; AccumOffset: 4
; Occupancy: 8
; WaveLimiterHint : 0
; COMPUTE_PGM_RSRC2:SCRATCH_EN: 0
; COMPUTE_PGM_RSRC2:USER_SGPR: 6
; COMPUTE_PGM_RSRC2:TRAP_HANDLER: 0
; COMPUTE_PGM_RSRC2:TGID_X_EN: 1
; COMPUTE_PGM_RSRC2:TGID_Y_EN: 0
; COMPUTE_PGM_RSRC2:TGID_Z_EN: 0
; COMPUTE_PGM_RSRC2:TIDIG_COMP_CNT: 0
; COMPUTE_PGM_RSRC3_GFX90A:ACCUM_OFFSET: 0
; COMPUTE_PGM_RSRC3_GFX90A:TG_SPLIT: 0
	.section	.text._ZN7rocprim17ROCPRIM_400000_NS6detail17trampoline_kernelINS0_14default_configENS1_25partition_config_selectorILNS1_17partition_subalgoE1EjNS0_10empty_typeEbEEZZNS1_14partition_implILS5_1ELb0ES3_jN6thrust23THRUST_200600_302600_NS6detail15normal_iteratorINSA_10device_ptrIjEEEEPS6_NSA_18transform_iteratorI7is_evenIjESF_NSA_11use_defaultESK_EENS0_5tupleIJSF_SF_EEENSM_IJSG_SG_EEES6_PlJS6_EEE10hipError_tPvRmT3_T4_T5_T6_T7_T9_mT8_P12ihipStream_tbDpT10_ENKUlT_T0_E_clISt17integral_constantIbLb1EES18_IbLb0EEEEDaS14_S15_EUlS14_E_NS1_11comp_targetILNS1_3genE5ELNS1_11target_archE942ELNS1_3gpuE9ELNS1_3repE0EEENS1_30default_config_static_selectorELNS0_4arch9wavefront6targetE1EEEvT1_,"axG",@progbits,_ZN7rocprim17ROCPRIM_400000_NS6detail17trampoline_kernelINS0_14default_configENS1_25partition_config_selectorILNS1_17partition_subalgoE1EjNS0_10empty_typeEbEEZZNS1_14partition_implILS5_1ELb0ES3_jN6thrust23THRUST_200600_302600_NS6detail15normal_iteratorINSA_10device_ptrIjEEEEPS6_NSA_18transform_iteratorI7is_evenIjESF_NSA_11use_defaultESK_EENS0_5tupleIJSF_SF_EEENSM_IJSG_SG_EEES6_PlJS6_EEE10hipError_tPvRmT3_T4_T5_T6_T7_T9_mT8_P12ihipStream_tbDpT10_ENKUlT_T0_E_clISt17integral_constantIbLb1EES18_IbLb0EEEEDaS14_S15_EUlS14_E_NS1_11comp_targetILNS1_3genE5ELNS1_11target_archE942ELNS1_3gpuE9ELNS1_3repE0EEENS1_30default_config_static_selectorELNS0_4arch9wavefront6targetE1EEEvT1_,comdat
	.protected	_ZN7rocprim17ROCPRIM_400000_NS6detail17trampoline_kernelINS0_14default_configENS1_25partition_config_selectorILNS1_17partition_subalgoE1EjNS0_10empty_typeEbEEZZNS1_14partition_implILS5_1ELb0ES3_jN6thrust23THRUST_200600_302600_NS6detail15normal_iteratorINSA_10device_ptrIjEEEEPS6_NSA_18transform_iteratorI7is_evenIjESF_NSA_11use_defaultESK_EENS0_5tupleIJSF_SF_EEENSM_IJSG_SG_EEES6_PlJS6_EEE10hipError_tPvRmT3_T4_T5_T6_T7_T9_mT8_P12ihipStream_tbDpT10_ENKUlT_T0_E_clISt17integral_constantIbLb1EES18_IbLb0EEEEDaS14_S15_EUlS14_E_NS1_11comp_targetILNS1_3genE5ELNS1_11target_archE942ELNS1_3gpuE9ELNS1_3repE0EEENS1_30default_config_static_selectorELNS0_4arch9wavefront6targetE1EEEvT1_ ; -- Begin function _ZN7rocprim17ROCPRIM_400000_NS6detail17trampoline_kernelINS0_14default_configENS1_25partition_config_selectorILNS1_17partition_subalgoE1EjNS0_10empty_typeEbEEZZNS1_14partition_implILS5_1ELb0ES3_jN6thrust23THRUST_200600_302600_NS6detail15normal_iteratorINSA_10device_ptrIjEEEEPS6_NSA_18transform_iteratorI7is_evenIjESF_NSA_11use_defaultESK_EENS0_5tupleIJSF_SF_EEENSM_IJSG_SG_EEES6_PlJS6_EEE10hipError_tPvRmT3_T4_T5_T6_T7_T9_mT8_P12ihipStream_tbDpT10_ENKUlT_T0_E_clISt17integral_constantIbLb1EES18_IbLb0EEEEDaS14_S15_EUlS14_E_NS1_11comp_targetILNS1_3genE5ELNS1_11target_archE942ELNS1_3gpuE9ELNS1_3repE0EEENS1_30default_config_static_selectorELNS0_4arch9wavefront6targetE1EEEvT1_
	.globl	_ZN7rocprim17ROCPRIM_400000_NS6detail17trampoline_kernelINS0_14default_configENS1_25partition_config_selectorILNS1_17partition_subalgoE1EjNS0_10empty_typeEbEEZZNS1_14partition_implILS5_1ELb0ES3_jN6thrust23THRUST_200600_302600_NS6detail15normal_iteratorINSA_10device_ptrIjEEEEPS6_NSA_18transform_iteratorI7is_evenIjESF_NSA_11use_defaultESK_EENS0_5tupleIJSF_SF_EEENSM_IJSG_SG_EEES6_PlJS6_EEE10hipError_tPvRmT3_T4_T5_T6_T7_T9_mT8_P12ihipStream_tbDpT10_ENKUlT_T0_E_clISt17integral_constantIbLb1EES18_IbLb0EEEEDaS14_S15_EUlS14_E_NS1_11comp_targetILNS1_3genE5ELNS1_11target_archE942ELNS1_3gpuE9ELNS1_3repE0EEENS1_30default_config_static_selectorELNS0_4arch9wavefront6targetE1EEEvT1_
	.p2align	8
	.type	_ZN7rocprim17ROCPRIM_400000_NS6detail17trampoline_kernelINS0_14default_configENS1_25partition_config_selectorILNS1_17partition_subalgoE1EjNS0_10empty_typeEbEEZZNS1_14partition_implILS5_1ELb0ES3_jN6thrust23THRUST_200600_302600_NS6detail15normal_iteratorINSA_10device_ptrIjEEEEPS6_NSA_18transform_iteratorI7is_evenIjESF_NSA_11use_defaultESK_EENS0_5tupleIJSF_SF_EEENSM_IJSG_SG_EEES6_PlJS6_EEE10hipError_tPvRmT3_T4_T5_T6_T7_T9_mT8_P12ihipStream_tbDpT10_ENKUlT_T0_E_clISt17integral_constantIbLb1EES18_IbLb0EEEEDaS14_S15_EUlS14_E_NS1_11comp_targetILNS1_3genE5ELNS1_11target_archE942ELNS1_3gpuE9ELNS1_3repE0EEENS1_30default_config_static_selectorELNS0_4arch9wavefront6targetE1EEEvT1_,@function
_ZN7rocprim17ROCPRIM_400000_NS6detail17trampoline_kernelINS0_14default_configENS1_25partition_config_selectorILNS1_17partition_subalgoE1EjNS0_10empty_typeEbEEZZNS1_14partition_implILS5_1ELb0ES3_jN6thrust23THRUST_200600_302600_NS6detail15normal_iteratorINSA_10device_ptrIjEEEEPS6_NSA_18transform_iteratorI7is_evenIjESF_NSA_11use_defaultESK_EENS0_5tupleIJSF_SF_EEENSM_IJSG_SG_EEES6_PlJS6_EEE10hipError_tPvRmT3_T4_T5_T6_T7_T9_mT8_P12ihipStream_tbDpT10_ENKUlT_T0_E_clISt17integral_constantIbLb1EES18_IbLb0EEEEDaS14_S15_EUlS14_E_NS1_11comp_targetILNS1_3genE5ELNS1_11target_archE942ELNS1_3gpuE9ELNS1_3repE0EEENS1_30default_config_static_selectorELNS0_4arch9wavefront6targetE1EEEvT1_: ; @_ZN7rocprim17ROCPRIM_400000_NS6detail17trampoline_kernelINS0_14default_configENS1_25partition_config_selectorILNS1_17partition_subalgoE1EjNS0_10empty_typeEbEEZZNS1_14partition_implILS5_1ELb0ES3_jN6thrust23THRUST_200600_302600_NS6detail15normal_iteratorINSA_10device_ptrIjEEEEPS6_NSA_18transform_iteratorI7is_evenIjESF_NSA_11use_defaultESK_EENS0_5tupleIJSF_SF_EEENSM_IJSG_SG_EEES6_PlJS6_EEE10hipError_tPvRmT3_T4_T5_T6_T7_T9_mT8_P12ihipStream_tbDpT10_ENKUlT_T0_E_clISt17integral_constantIbLb1EES18_IbLb0EEEEDaS14_S15_EUlS14_E_NS1_11comp_targetILNS1_3genE5ELNS1_11target_archE942ELNS1_3gpuE9ELNS1_3repE0EEENS1_30default_config_static_selectorELNS0_4arch9wavefront6targetE1EEEvT1_
; %bb.0:
	.section	.rodata,"a",@progbits
	.p2align	6, 0x0
	.amdhsa_kernel _ZN7rocprim17ROCPRIM_400000_NS6detail17trampoline_kernelINS0_14default_configENS1_25partition_config_selectorILNS1_17partition_subalgoE1EjNS0_10empty_typeEbEEZZNS1_14partition_implILS5_1ELb0ES3_jN6thrust23THRUST_200600_302600_NS6detail15normal_iteratorINSA_10device_ptrIjEEEEPS6_NSA_18transform_iteratorI7is_evenIjESF_NSA_11use_defaultESK_EENS0_5tupleIJSF_SF_EEENSM_IJSG_SG_EEES6_PlJS6_EEE10hipError_tPvRmT3_T4_T5_T6_T7_T9_mT8_P12ihipStream_tbDpT10_ENKUlT_T0_E_clISt17integral_constantIbLb1EES18_IbLb0EEEEDaS14_S15_EUlS14_E_NS1_11comp_targetILNS1_3genE5ELNS1_11target_archE942ELNS1_3gpuE9ELNS1_3repE0EEENS1_30default_config_static_selectorELNS0_4arch9wavefront6targetE1EEEvT1_
		.amdhsa_group_segment_fixed_size 0
		.amdhsa_private_segment_fixed_size 0
		.amdhsa_kernarg_size 128
		.amdhsa_user_sgpr_count 6
		.amdhsa_user_sgpr_private_segment_buffer 1
		.amdhsa_user_sgpr_dispatch_ptr 0
		.amdhsa_user_sgpr_queue_ptr 0
		.amdhsa_user_sgpr_kernarg_segment_ptr 1
		.amdhsa_user_sgpr_dispatch_id 0
		.amdhsa_user_sgpr_flat_scratch_init 0
		.amdhsa_user_sgpr_kernarg_preload_length 0
		.amdhsa_user_sgpr_kernarg_preload_offset 0
		.amdhsa_user_sgpr_private_segment_size 0
		.amdhsa_uses_dynamic_stack 0
		.amdhsa_system_sgpr_private_segment_wavefront_offset 0
		.amdhsa_system_sgpr_workgroup_id_x 1
		.amdhsa_system_sgpr_workgroup_id_y 0
		.amdhsa_system_sgpr_workgroup_id_z 0
		.amdhsa_system_sgpr_workgroup_info 0
		.amdhsa_system_vgpr_workitem_id 0
		.amdhsa_next_free_vgpr 1
		.amdhsa_next_free_sgpr 0
		.amdhsa_accum_offset 4
		.amdhsa_reserve_vcc 0
		.amdhsa_reserve_flat_scratch 0
		.amdhsa_float_round_mode_32 0
		.amdhsa_float_round_mode_16_64 0
		.amdhsa_float_denorm_mode_32 3
		.amdhsa_float_denorm_mode_16_64 3
		.amdhsa_dx10_clamp 1
		.amdhsa_ieee_mode 1
		.amdhsa_fp16_overflow 0
		.amdhsa_tg_split 0
		.amdhsa_exception_fp_ieee_invalid_op 0
		.amdhsa_exception_fp_denorm_src 0
		.amdhsa_exception_fp_ieee_div_zero 0
		.amdhsa_exception_fp_ieee_overflow 0
		.amdhsa_exception_fp_ieee_underflow 0
		.amdhsa_exception_fp_ieee_inexact 0
		.amdhsa_exception_int_div_zero 0
	.end_amdhsa_kernel
	.section	.text._ZN7rocprim17ROCPRIM_400000_NS6detail17trampoline_kernelINS0_14default_configENS1_25partition_config_selectorILNS1_17partition_subalgoE1EjNS0_10empty_typeEbEEZZNS1_14partition_implILS5_1ELb0ES3_jN6thrust23THRUST_200600_302600_NS6detail15normal_iteratorINSA_10device_ptrIjEEEEPS6_NSA_18transform_iteratorI7is_evenIjESF_NSA_11use_defaultESK_EENS0_5tupleIJSF_SF_EEENSM_IJSG_SG_EEES6_PlJS6_EEE10hipError_tPvRmT3_T4_T5_T6_T7_T9_mT8_P12ihipStream_tbDpT10_ENKUlT_T0_E_clISt17integral_constantIbLb1EES18_IbLb0EEEEDaS14_S15_EUlS14_E_NS1_11comp_targetILNS1_3genE5ELNS1_11target_archE942ELNS1_3gpuE9ELNS1_3repE0EEENS1_30default_config_static_selectorELNS0_4arch9wavefront6targetE1EEEvT1_,"axG",@progbits,_ZN7rocprim17ROCPRIM_400000_NS6detail17trampoline_kernelINS0_14default_configENS1_25partition_config_selectorILNS1_17partition_subalgoE1EjNS0_10empty_typeEbEEZZNS1_14partition_implILS5_1ELb0ES3_jN6thrust23THRUST_200600_302600_NS6detail15normal_iteratorINSA_10device_ptrIjEEEEPS6_NSA_18transform_iteratorI7is_evenIjESF_NSA_11use_defaultESK_EENS0_5tupleIJSF_SF_EEENSM_IJSG_SG_EEES6_PlJS6_EEE10hipError_tPvRmT3_T4_T5_T6_T7_T9_mT8_P12ihipStream_tbDpT10_ENKUlT_T0_E_clISt17integral_constantIbLb1EES18_IbLb0EEEEDaS14_S15_EUlS14_E_NS1_11comp_targetILNS1_3genE5ELNS1_11target_archE942ELNS1_3gpuE9ELNS1_3repE0EEENS1_30default_config_static_selectorELNS0_4arch9wavefront6targetE1EEEvT1_,comdat
.Lfunc_end2252:
	.size	_ZN7rocprim17ROCPRIM_400000_NS6detail17trampoline_kernelINS0_14default_configENS1_25partition_config_selectorILNS1_17partition_subalgoE1EjNS0_10empty_typeEbEEZZNS1_14partition_implILS5_1ELb0ES3_jN6thrust23THRUST_200600_302600_NS6detail15normal_iteratorINSA_10device_ptrIjEEEEPS6_NSA_18transform_iteratorI7is_evenIjESF_NSA_11use_defaultESK_EENS0_5tupleIJSF_SF_EEENSM_IJSG_SG_EEES6_PlJS6_EEE10hipError_tPvRmT3_T4_T5_T6_T7_T9_mT8_P12ihipStream_tbDpT10_ENKUlT_T0_E_clISt17integral_constantIbLb1EES18_IbLb0EEEEDaS14_S15_EUlS14_E_NS1_11comp_targetILNS1_3genE5ELNS1_11target_archE942ELNS1_3gpuE9ELNS1_3repE0EEENS1_30default_config_static_selectorELNS0_4arch9wavefront6targetE1EEEvT1_, .Lfunc_end2252-_ZN7rocprim17ROCPRIM_400000_NS6detail17trampoline_kernelINS0_14default_configENS1_25partition_config_selectorILNS1_17partition_subalgoE1EjNS0_10empty_typeEbEEZZNS1_14partition_implILS5_1ELb0ES3_jN6thrust23THRUST_200600_302600_NS6detail15normal_iteratorINSA_10device_ptrIjEEEEPS6_NSA_18transform_iteratorI7is_evenIjESF_NSA_11use_defaultESK_EENS0_5tupleIJSF_SF_EEENSM_IJSG_SG_EEES6_PlJS6_EEE10hipError_tPvRmT3_T4_T5_T6_T7_T9_mT8_P12ihipStream_tbDpT10_ENKUlT_T0_E_clISt17integral_constantIbLb1EES18_IbLb0EEEEDaS14_S15_EUlS14_E_NS1_11comp_targetILNS1_3genE5ELNS1_11target_archE942ELNS1_3gpuE9ELNS1_3repE0EEENS1_30default_config_static_selectorELNS0_4arch9wavefront6targetE1EEEvT1_
                                        ; -- End function
	.section	.AMDGPU.csdata,"",@progbits
; Kernel info:
; codeLenInByte = 0
; NumSgprs: 4
; NumVgprs: 0
; NumAgprs: 0
; TotalNumVgprs: 0
; ScratchSize: 0
; MemoryBound: 0
; FloatMode: 240
; IeeeMode: 1
; LDSByteSize: 0 bytes/workgroup (compile time only)
; SGPRBlocks: 0
; VGPRBlocks: 0
; NumSGPRsForWavesPerEU: 4
; NumVGPRsForWavesPerEU: 1
; AccumOffset: 4
; Occupancy: 8
; WaveLimiterHint : 0
; COMPUTE_PGM_RSRC2:SCRATCH_EN: 0
; COMPUTE_PGM_RSRC2:USER_SGPR: 6
; COMPUTE_PGM_RSRC2:TRAP_HANDLER: 0
; COMPUTE_PGM_RSRC2:TGID_X_EN: 1
; COMPUTE_PGM_RSRC2:TGID_Y_EN: 0
; COMPUTE_PGM_RSRC2:TGID_Z_EN: 0
; COMPUTE_PGM_RSRC2:TIDIG_COMP_CNT: 0
; COMPUTE_PGM_RSRC3_GFX90A:ACCUM_OFFSET: 0
; COMPUTE_PGM_RSRC3_GFX90A:TG_SPLIT: 0
	.section	.text._ZN7rocprim17ROCPRIM_400000_NS6detail17trampoline_kernelINS0_14default_configENS1_25partition_config_selectorILNS1_17partition_subalgoE1EjNS0_10empty_typeEbEEZZNS1_14partition_implILS5_1ELb0ES3_jN6thrust23THRUST_200600_302600_NS6detail15normal_iteratorINSA_10device_ptrIjEEEEPS6_NSA_18transform_iteratorI7is_evenIjESF_NSA_11use_defaultESK_EENS0_5tupleIJSF_SF_EEENSM_IJSG_SG_EEES6_PlJS6_EEE10hipError_tPvRmT3_T4_T5_T6_T7_T9_mT8_P12ihipStream_tbDpT10_ENKUlT_T0_E_clISt17integral_constantIbLb1EES18_IbLb0EEEEDaS14_S15_EUlS14_E_NS1_11comp_targetILNS1_3genE4ELNS1_11target_archE910ELNS1_3gpuE8ELNS1_3repE0EEENS1_30default_config_static_selectorELNS0_4arch9wavefront6targetE1EEEvT1_,"axG",@progbits,_ZN7rocprim17ROCPRIM_400000_NS6detail17trampoline_kernelINS0_14default_configENS1_25partition_config_selectorILNS1_17partition_subalgoE1EjNS0_10empty_typeEbEEZZNS1_14partition_implILS5_1ELb0ES3_jN6thrust23THRUST_200600_302600_NS6detail15normal_iteratorINSA_10device_ptrIjEEEEPS6_NSA_18transform_iteratorI7is_evenIjESF_NSA_11use_defaultESK_EENS0_5tupleIJSF_SF_EEENSM_IJSG_SG_EEES6_PlJS6_EEE10hipError_tPvRmT3_T4_T5_T6_T7_T9_mT8_P12ihipStream_tbDpT10_ENKUlT_T0_E_clISt17integral_constantIbLb1EES18_IbLb0EEEEDaS14_S15_EUlS14_E_NS1_11comp_targetILNS1_3genE4ELNS1_11target_archE910ELNS1_3gpuE8ELNS1_3repE0EEENS1_30default_config_static_selectorELNS0_4arch9wavefront6targetE1EEEvT1_,comdat
	.protected	_ZN7rocprim17ROCPRIM_400000_NS6detail17trampoline_kernelINS0_14default_configENS1_25partition_config_selectorILNS1_17partition_subalgoE1EjNS0_10empty_typeEbEEZZNS1_14partition_implILS5_1ELb0ES3_jN6thrust23THRUST_200600_302600_NS6detail15normal_iteratorINSA_10device_ptrIjEEEEPS6_NSA_18transform_iteratorI7is_evenIjESF_NSA_11use_defaultESK_EENS0_5tupleIJSF_SF_EEENSM_IJSG_SG_EEES6_PlJS6_EEE10hipError_tPvRmT3_T4_T5_T6_T7_T9_mT8_P12ihipStream_tbDpT10_ENKUlT_T0_E_clISt17integral_constantIbLb1EES18_IbLb0EEEEDaS14_S15_EUlS14_E_NS1_11comp_targetILNS1_3genE4ELNS1_11target_archE910ELNS1_3gpuE8ELNS1_3repE0EEENS1_30default_config_static_selectorELNS0_4arch9wavefront6targetE1EEEvT1_ ; -- Begin function _ZN7rocprim17ROCPRIM_400000_NS6detail17trampoline_kernelINS0_14default_configENS1_25partition_config_selectorILNS1_17partition_subalgoE1EjNS0_10empty_typeEbEEZZNS1_14partition_implILS5_1ELb0ES3_jN6thrust23THRUST_200600_302600_NS6detail15normal_iteratorINSA_10device_ptrIjEEEEPS6_NSA_18transform_iteratorI7is_evenIjESF_NSA_11use_defaultESK_EENS0_5tupleIJSF_SF_EEENSM_IJSG_SG_EEES6_PlJS6_EEE10hipError_tPvRmT3_T4_T5_T6_T7_T9_mT8_P12ihipStream_tbDpT10_ENKUlT_T0_E_clISt17integral_constantIbLb1EES18_IbLb0EEEEDaS14_S15_EUlS14_E_NS1_11comp_targetILNS1_3genE4ELNS1_11target_archE910ELNS1_3gpuE8ELNS1_3repE0EEENS1_30default_config_static_selectorELNS0_4arch9wavefront6targetE1EEEvT1_
	.globl	_ZN7rocprim17ROCPRIM_400000_NS6detail17trampoline_kernelINS0_14default_configENS1_25partition_config_selectorILNS1_17partition_subalgoE1EjNS0_10empty_typeEbEEZZNS1_14partition_implILS5_1ELb0ES3_jN6thrust23THRUST_200600_302600_NS6detail15normal_iteratorINSA_10device_ptrIjEEEEPS6_NSA_18transform_iteratorI7is_evenIjESF_NSA_11use_defaultESK_EENS0_5tupleIJSF_SF_EEENSM_IJSG_SG_EEES6_PlJS6_EEE10hipError_tPvRmT3_T4_T5_T6_T7_T9_mT8_P12ihipStream_tbDpT10_ENKUlT_T0_E_clISt17integral_constantIbLb1EES18_IbLb0EEEEDaS14_S15_EUlS14_E_NS1_11comp_targetILNS1_3genE4ELNS1_11target_archE910ELNS1_3gpuE8ELNS1_3repE0EEENS1_30default_config_static_selectorELNS0_4arch9wavefront6targetE1EEEvT1_
	.p2align	8
	.type	_ZN7rocprim17ROCPRIM_400000_NS6detail17trampoline_kernelINS0_14default_configENS1_25partition_config_selectorILNS1_17partition_subalgoE1EjNS0_10empty_typeEbEEZZNS1_14partition_implILS5_1ELb0ES3_jN6thrust23THRUST_200600_302600_NS6detail15normal_iteratorINSA_10device_ptrIjEEEEPS6_NSA_18transform_iteratorI7is_evenIjESF_NSA_11use_defaultESK_EENS0_5tupleIJSF_SF_EEENSM_IJSG_SG_EEES6_PlJS6_EEE10hipError_tPvRmT3_T4_T5_T6_T7_T9_mT8_P12ihipStream_tbDpT10_ENKUlT_T0_E_clISt17integral_constantIbLb1EES18_IbLb0EEEEDaS14_S15_EUlS14_E_NS1_11comp_targetILNS1_3genE4ELNS1_11target_archE910ELNS1_3gpuE8ELNS1_3repE0EEENS1_30default_config_static_selectorELNS0_4arch9wavefront6targetE1EEEvT1_,@function
_ZN7rocprim17ROCPRIM_400000_NS6detail17trampoline_kernelINS0_14default_configENS1_25partition_config_selectorILNS1_17partition_subalgoE1EjNS0_10empty_typeEbEEZZNS1_14partition_implILS5_1ELb0ES3_jN6thrust23THRUST_200600_302600_NS6detail15normal_iteratorINSA_10device_ptrIjEEEEPS6_NSA_18transform_iteratorI7is_evenIjESF_NSA_11use_defaultESK_EENS0_5tupleIJSF_SF_EEENSM_IJSG_SG_EEES6_PlJS6_EEE10hipError_tPvRmT3_T4_T5_T6_T7_T9_mT8_P12ihipStream_tbDpT10_ENKUlT_T0_E_clISt17integral_constantIbLb1EES18_IbLb0EEEEDaS14_S15_EUlS14_E_NS1_11comp_targetILNS1_3genE4ELNS1_11target_archE910ELNS1_3gpuE8ELNS1_3repE0EEENS1_30default_config_static_selectorELNS0_4arch9wavefront6targetE1EEEvT1_: ; @_ZN7rocprim17ROCPRIM_400000_NS6detail17trampoline_kernelINS0_14default_configENS1_25partition_config_selectorILNS1_17partition_subalgoE1EjNS0_10empty_typeEbEEZZNS1_14partition_implILS5_1ELb0ES3_jN6thrust23THRUST_200600_302600_NS6detail15normal_iteratorINSA_10device_ptrIjEEEEPS6_NSA_18transform_iteratorI7is_evenIjESF_NSA_11use_defaultESK_EENS0_5tupleIJSF_SF_EEENSM_IJSG_SG_EEES6_PlJS6_EEE10hipError_tPvRmT3_T4_T5_T6_T7_T9_mT8_P12ihipStream_tbDpT10_ENKUlT_T0_E_clISt17integral_constantIbLb1EES18_IbLb0EEEEDaS14_S15_EUlS14_E_NS1_11comp_targetILNS1_3genE4ELNS1_11target_archE910ELNS1_3gpuE8ELNS1_3repE0EEENS1_30default_config_static_selectorELNS0_4arch9wavefront6targetE1EEEvT1_
; %bb.0:
	s_load_dwordx2 s[0:1], s[4:5], 0x60
	s_load_dwordx4 s[24:27], s[4:5], 0x8
	s_load_dwordx2 s[2:3], s[4:5], 0x20
	s_load_dwordx4 s[20:23], s[4:5], 0x50
	s_mul_i32 s10, s6, 0x700
	s_waitcnt lgkmcnt(0)
	v_mov_b32_e32 v3, s1
	s_load_dword s1, s[4:5], 0x78
	s_lshl_b64 s[8:9], s[26:27], 2
	s_add_u32 s7, s24, s8
	s_addc_u32 s12, s25, s9
	v_mov_b32_e32 v2, s0
	s_waitcnt lgkmcnt(0)
	s_add_i32 s13, s1, -1
	s_mulk_i32 s1, 0x700
	s_add_i32 s11, s1, s26
	s_sub_i32 s33, s0, s11
	s_addk_i32 s33, 0x700
	s_add_u32 s0, s26, s1
	s_addc_u32 s1, s27, 0
	s_cmp_eq_u32 s6, s13
	s_load_dwordx2 s[30:31], s[22:23], 0x0
	s_cselect_b64 s[22:23], -1, 0
	s_cmp_lg_u32 s6, s13
	s_mov_b32 s11, 0
	v_cmp_lt_u64_e32 vcc, s[0:1], v[2:3]
	s_cselect_b64 s[0:1], -1, 0
	s_or_b64 s[24:25], s[0:1], vcc
	s_lshl_b64 s[28:29], s[10:11], 2
	s_add_u32 s7, s7, s28
	s_addc_u32 s12, s12, s29
	s_mov_b64 s[0:1], -1
	s_and_b64 vcc, exec, s[24:25]
	v_lshlrev_b32_e32 v1, 2, v0
	s_cbranch_vccz .LBB2253_2
; %bb.1:
	v_mov_b32_e32 v3, s12
	v_add_co_u32_e32 v2, vcc, s7, v1
	v_addc_co_u32_e32 v3, vcc, 0, v3, vcc
	v_add_co_u32_e32 v4, vcc, 0x1000, v2
	v_addc_co_u32_e32 v5, vcc, 0, v3, vcc
	flat_load_dword v6, v[2:3]
	flat_load_dword v7, v[2:3] offset:1024
	flat_load_dword v8, v[2:3] offset:2048
	;; [unrolled: 1-line block ×3, first 2 shown]
	flat_load_dword v10, v[4:5]
	flat_load_dword v11, v[4:5] offset:1024
	flat_load_dword v12, v[4:5] offset:2048
	s_mov_b64 s[0:1], 0
	s_waitcnt vmcnt(0) lgkmcnt(0)
	ds_write2st64_b32 v1, v6, v7 offset1:4
	ds_write2st64_b32 v1, v8, v9 offset0:8 offset1:12
	ds_write2st64_b32 v1, v10, v11 offset0:16 offset1:20
	ds_write_b32 v1, v12 offset:6144
	s_waitcnt lgkmcnt(0)
	s_barrier
.LBB2253_2:
	s_andn2_b64 vcc, exec, s[0:1]
	v_cmp_gt_u32_e64 s[0:1], s33, v0
	s_cbranch_vccnz .LBB2253_18
; %bb.3:
                                        ; implicit-def: $vgpr2_vgpr3_vgpr4_vgpr5_vgpr6_vgpr7_vgpr8
	s_and_saveexec_b64 s[10:11], s[0:1]
	s_cbranch_execz .LBB2253_5
; %bb.4:
	v_mov_b32_e32 v3, s12
	v_add_co_u32_e32 v2, vcc, s7, v1
	v_addc_co_u32_e32 v3, vcc, 0, v3, vcc
	flat_load_dword v2, v[2:3]
.LBB2253_5:
	s_or_b64 exec, exec, s[10:11]
	v_or_b32_e32 v9, 0x100, v0
	v_cmp_gt_u32_e32 vcc, s33, v9
	s_and_saveexec_b64 s[0:1], vcc
	s_cbranch_execz .LBB2253_7
; %bb.6:
	v_mov_b32_e32 v3, s12
	v_add_co_u32_e32 v10, vcc, s7, v1
	v_addc_co_u32_e32 v11, vcc, 0, v3, vcc
	flat_load_dword v3, v[10:11] offset:1024
.LBB2253_7:
	s_or_b64 exec, exec, s[0:1]
	v_or_b32_e32 v9, 0x200, v0
	v_cmp_gt_u32_e32 vcc, s33, v9
	s_and_saveexec_b64 s[0:1], vcc
	s_cbranch_execz .LBB2253_9
; %bb.8:
	v_mov_b32_e32 v4, s12
	v_add_co_u32_e32 v10, vcc, s7, v1
	v_addc_co_u32_e32 v11, vcc, 0, v4, vcc
	flat_load_dword v4, v[10:11] offset:2048
.LBB2253_9:
	;; [unrolled: 11-line block ×3, first 2 shown]
	s_or_b64 exec, exec, s[0:1]
	v_or_b32_e32 v9, 0x400, v0
	v_cmp_gt_u32_e32 vcc, s33, v9
	s_and_saveexec_b64 s[0:1], vcc
	s_cbranch_execz .LBB2253_13
; %bb.12:
	v_lshlrev_b32_e32 v6, 2, v9
	v_mov_b32_e32 v9, s12
	v_add_co_u32_e32 v10, vcc, s7, v6
	v_addc_co_u32_e32 v11, vcc, 0, v9, vcc
	flat_load_dword v6, v[10:11]
.LBB2253_13:
	s_or_b64 exec, exec, s[0:1]
	v_or_b32_e32 v9, 0x500, v0
	v_cmp_gt_u32_e32 vcc, s33, v9
	s_and_saveexec_b64 s[0:1], vcc
	s_cbranch_execz .LBB2253_15
; %bb.14:
	v_lshlrev_b32_e32 v7, 2, v9
	v_mov_b32_e32 v9, s12
	v_add_co_u32_e32 v10, vcc, s7, v7
	v_addc_co_u32_e32 v11, vcc, 0, v9, vcc
	flat_load_dword v7, v[10:11]
.LBB2253_15:
	s_or_b64 exec, exec, s[0:1]
	v_or_b32_e32 v9, 0x600, v0
	v_cmp_gt_u32_e32 vcc, s33, v9
	s_and_saveexec_b64 s[0:1], vcc
	s_cbranch_execz .LBB2253_17
; %bb.16:
	v_lshlrev_b32_e32 v8, 2, v9
	v_mov_b32_e32 v9, s12
	v_add_co_u32_e32 v8, vcc, s7, v8
	v_addc_co_u32_e32 v9, vcc, 0, v9, vcc
	flat_load_dword v8, v[8:9]
.LBB2253_17:
	s_or_b64 exec, exec, s[0:1]
	s_waitcnt vmcnt(0) lgkmcnt(0)
	ds_write2st64_b32 v1, v2, v3 offset1:4
	ds_write2st64_b32 v1, v4, v5 offset0:8 offset1:12
	ds_write2st64_b32 v1, v6, v7 offset0:16 offset1:20
	ds_write_b32 v1, v8 offset:6144
	s_waitcnt lgkmcnt(0)
	s_barrier
.LBB2253_18:
	v_mul_u32_u24_e32 v19, 7, v0
	v_lshlrev_b32_e32 v8, 2, v19
	s_waitcnt lgkmcnt(0)
	ds_read2_b32 v[6:7], v8 offset1:1
	ds_read2_b32 v[4:5], v8 offset0:2 offset1:3
	ds_read2_b32 v[2:3], v8 offset0:4 offset1:5
	ds_read_b32 v18, v8 offset:24
	s_add_u32 s0, s2, s8
	s_addc_u32 s1, s3, s9
	s_add_u32 s0, s0, s28
	s_addc_u32 s1, s1, s29
	s_mov_b64 s[2:3], -1
	s_and_b64 vcc, exec, s[24:25]
	s_waitcnt lgkmcnt(0)
	s_barrier
	s_cbranch_vccz .LBB2253_20
; %bb.19:
	v_mov_b32_e32 v9, s1
	v_add_co_u32_e32 v10, vcc, s0, v1
	v_addc_co_u32_e32 v9, vcc, 0, v9, vcc
	s_movk_i32 s2, 0x1000
	v_add_co_u32_e32 v10, vcc, s2, v10
	global_load_dword v12, v1, s[0:1]
	global_load_dword v13, v1, s[0:1] offset:1024
	global_load_dword v14, v1, s[0:1] offset:2048
	;; [unrolled: 1-line block ×3, first 2 shown]
	v_addc_co_u32_e32 v11, vcc, 0, v9, vcc
	global_load_dword v9, v[10:11], off
	global_load_dword v16, v[10:11], off offset:1024
	global_load_dword v17, v[10:11], off offset:2048
	s_mov_b64 s[2:3], 0
	s_waitcnt vmcnt(6)
	v_xor_b32_e32 v10, -1, v12
	s_waitcnt vmcnt(5)
	v_xor_b32_e32 v11, -1, v13
	;; [unrolled: 2-line block ×4, first 2 shown]
	v_and_b32_e32 v10, 1, v10
	v_and_b32_e32 v11, 1, v11
	s_waitcnt vmcnt(2)
	v_xor_b32_e32 v9, -1, v9
	v_and_b32_e32 v12, 1, v12
	v_and_b32_e32 v13, 1, v13
	ds_write_b8 v0, v10
	ds_write_b8 v0, v11 offset:256
	ds_write_b8 v0, v12 offset:512
	;; [unrolled: 1-line block ×3, first 2 shown]
	s_waitcnt vmcnt(1)
	v_xor_b32_e32 v10, -1, v16
	s_waitcnt vmcnt(0)
	v_xor_b32_e32 v11, -1, v17
	v_and_b32_e32 v9, 1, v9
	v_and_b32_e32 v10, 1, v10
	v_and_b32_e32 v11, 1, v11
	ds_write_b8 v0, v9 offset:1024
	ds_write_b8 v0, v10 offset:1280
	;; [unrolled: 1-line block ×3, first 2 shown]
	s_waitcnt lgkmcnt(0)
	s_barrier
.LBB2253_20:
	s_load_dwordx2 s[34:35], s[4:5], 0x70
	s_andn2_b64 vcc, exec, s[2:3]
	s_cbranch_vccnz .LBB2253_36
; %bb.21:
	v_cmp_gt_u32_e32 vcc, s33, v0
	v_mov_b32_e32 v9, 0
	v_mov_b32_e32 v10, 0
	s_and_saveexec_b64 s[2:3], vcc
	s_cbranch_execz .LBB2253_23
; %bb.22:
	global_load_dword v10, v1, s[0:1]
	s_waitcnt vmcnt(0)
	v_xor_b32_e32 v10, -1, v10
	v_and_b32_e32 v10, 1, v10
.LBB2253_23:
	s_or_b64 exec, exec, s[2:3]
	v_or_b32_e32 v11, 0x100, v0
	v_cmp_gt_u32_e32 vcc, s33, v11
	s_and_saveexec_b64 s[2:3], vcc
	s_cbranch_execz .LBB2253_25
; %bb.24:
	global_load_dword v9, v1, s[0:1] offset:1024
	s_waitcnt vmcnt(0)
	v_xor_b32_e32 v9, -1, v9
	v_and_b32_e32 v9, 1, v9
.LBB2253_25:
	s_or_b64 exec, exec, s[2:3]
	v_or_b32_e32 v11, 0x200, v0
	v_cmp_gt_u32_e32 vcc, s33, v11
	v_mov_b32_e32 v11, 0
	v_mov_b32_e32 v12, 0
	s_and_saveexec_b64 s[2:3], vcc
	s_cbranch_execz .LBB2253_27
; %bb.26:
	global_load_dword v12, v1, s[0:1] offset:2048
	s_waitcnt vmcnt(0)
	v_xor_b32_e32 v12, -1, v12
	v_and_b32_e32 v12, 1, v12
.LBB2253_27:
	s_or_b64 exec, exec, s[2:3]
	v_or_b32_e32 v13, 0x300, v0
	v_cmp_gt_u32_e32 vcc, s33, v13
	s_and_saveexec_b64 s[2:3], vcc
	s_cbranch_execz .LBB2253_29
; %bb.28:
	global_load_dword v11, v1, s[0:1] offset:3072
	s_waitcnt vmcnt(0)
	v_xor_b32_e32 v11, -1, v11
	v_and_b32_e32 v11, 1, v11
.LBB2253_29:
	s_or_b64 exec, exec, s[2:3]
	v_or_b32_e32 v15, 0x400, v0
	v_cmp_gt_u32_e32 vcc, s33, v15
	v_mov_b32_e32 v13, 0
	v_mov_b32_e32 v14, 0
	s_and_saveexec_b64 s[2:3], vcc
	s_cbranch_execz .LBB2253_31
; %bb.30:
	v_lshlrev_b32_e32 v14, 2, v15
	global_load_dword v14, v14, s[0:1]
	s_waitcnt vmcnt(0)
	v_xor_b32_e32 v14, -1, v14
	v_and_b32_e32 v14, 1, v14
.LBB2253_31:
	s_or_b64 exec, exec, s[2:3]
	v_or_b32_e32 v15, 0x500, v0
	v_cmp_gt_u32_e32 vcc, s33, v15
	s_and_saveexec_b64 s[2:3], vcc
	s_cbranch_execz .LBB2253_33
; %bb.32:
	v_lshlrev_b32_e32 v13, 2, v15
	global_load_dword v13, v13, s[0:1]
	s_waitcnt vmcnt(0)
	v_xor_b32_e32 v13, -1, v13
	v_and_b32_e32 v13, 1, v13
.LBB2253_33:
	s_or_b64 exec, exec, s[2:3]
	v_or_b32_e32 v16, 0x600, v0
	v_cmp_gt_u32_e32 vcc, s33, v16
	v_mov_b32_e32 v15, 0
	s_and_saveexec_b64 s[2:3], vcc
	s_cbranch_execz .LBB2253_35
; %bb.34:
	v_lshlrev_b32_e32 v15, 2, v16
	global_load_dword v15, v15, s[0:1]
	s_waitcnt vmcnt(0)
	v_xor_b32_e32 v15, -1, v15
	v_and_b32_e32 v15, 1, v15
.LBB2253_35:
	s_or_b64 exec, exec, s[2:3]
	ds_write_b8 v0, v10
	ds_write_b8 v0, v9 offset:256
	ds_write_b8 v0, v12 offset:512
	;; [unrolled: 1-line block ×6, first 2 shown]
	s_waitcnt lgkmcnt(0)
	s_barrier
.LBB2253_36:
	s_movk_i32 s0, 0xffeb
	v_mad_i32_i24 v28, v0, s0, v8
	s_waitcnt lgkmcnt(0)
	ds_read_u8 v8, v28
	ds_read_u8 v9, v28 offset:1
	ds_read_u8 v10, v28 offset:2
	;; [unrolled: 1-line block ×6, first 2 shown]
	s_waitcnt lgkmcnt(6)
	v_and_b32_e32 v26, 1, v8
	s_waitcnt lgkmcnt(5)
	v_and_b32_e32 v25, 1, v9
	;; [unrolled: 2-line block ×5, first 2 shown]
	v_add3_u32 v8, v25, v26, v24
	s_waitcnt lgkmcnt(1)
	v_and_b32_e32 v21, 1, v13
	s_waitcnt lgkmcnt(0)
	v_and_b32_e32 v20, 1, v14
	v_add3_u32 v8, v8, v23, v22
	v_add3_u32 v30, v8, v21, v20
	v_mbcnt_lo_u32_b32 v8, -1, 0
	v_mbcnt_hi_u32_b32 v27, -1, v8
	v_and_b32_e32 v8, 15, v27
	v_cmp_eq_u32_e64 s[14:15], 0, v8
	v_cmp_lt_u32_e64 s[12:13], 1, v8
	v_cmp_lt_u32_e64 s[10:11], 3, v8
	;; [unrolled: 1-line block ×3, first 2 shown]
	v_and_b32_e32 v8, 16, v27
	v_cmp_eq_u32_e64 s[18:19], 0, v8
	v_or_b32_e32 v8, 63, v0
	s_cmp_lg_u32 s6, 0
	v_cmp_lt_u32_e64 s[0:1], 31, v27
	v_lshrrev_b32_e32 v29, 6, v0
	v_cmp_eq_u32_e64 s[2:3], v8, v0
	s_barrier
	s_cbranch_scc0 .LBB2253_67
; %bb.37:
	v_mov_b32_dpp v8, v30 row_shr:1 row_mask:0xf bank_mask:0xf
	v_cndmask_b32_e64 v8, v8, 0, s[14:15]
	v_add_u32_e32 v8, v8, v30
	s_nop 1
	v_mov_b32_dpp v9, v8 row_shr:2 row_mask:0xf bank_mask:0xf
	v_cndmask_b32_e64 v9, 0, v9, s[12:13]
	v_add_u32_e32 v8, v8, v9
	s_nop 1
	;; [unrolled: 4-line block ×4, first 2 shown]
	v_mov_b32_dpp v9, v8 row_bcast:15 row_mask:0xf bank_mask:0xf
	v_cndmask_b32_e64 v9, v9, 0, s[18:19]
	v_add_u32_e32 v8, v8, v9
	s_nop 1
	v_mov_b32_dpp v9, v8 row_bcast:31 row_mask:0xf bank_mask:0xf
	v_cndmask_b32_e64 v9, 0, v9, s[0:1]
	v_add_u32_e32 v8, v8, v9
	s_and_saveexec_b64 s[16:17], s[2:3]
	s_cbranch_execz .LBB2253_39
; %bb.38:
	v_lshlrev_b32_e32 v9, 2, v29
	ds_write_b32 v9, v8
.LBB2253_39:
	s_or_b64 exec, exec, s[16:17]
	v_cmp_gt_u32_e32 vcc, 4, v0
	s_waitcnt lgkmcnt(0)
	s_barrier
	s_and_saveexec_b64 s[16:17], vcc
	s_cbranch_execz .LBB2253_41
; %bb.40:
	ds_read_b32 v9, v1
	v_and_b32_e32 v10, 3, v27
	v_cmp_ne_u32_e32 vcc, 0, v10
	s_waitcnt lgkmcnt(0)
	v_mov_b32_dpp v11, v9 row_shr:1 row_mask:0xf bank_mask:0xf
	v_cndmask_b32_e32 v11, 0, v11, vcc
	v_add_u32_e32 v9, v11, v9
	v_cmp_lt_u32_e32 vcc, 1, v10
	s_nop 0
	v_mov_b32_dpp v11, v9 row_shr:2 row_mask:0xf bank_mask:0xf
	v_cndmask_b32_e32 v10, 0, v11, vcc
	v_add_u32_e32 v9, v9, v10
	ds_write_b32 v1, v9
.LBB2253_41:
	s_or_b64 exec, exec, s[16:17]
	v_cmp_gt_u32_e32 vcc, 64, v0
	v_cmp_lt_u32_e64 s[16:17], 63, v0
	s_waitcnt lgkmcnt(0)
	s_barrier
	s_waitcnt lgkmcnt(0)
                                        ; implicit-def: $vgpr31
	s_and_saveexec_b64 s[36:37], s[16:17]
	s_cbranch_execz .LBB2253_43
; %bb.42:
	v_lshl_add_u32 v9, v29, 2, -4
	ds_read_b32 v31, v9
	s_waitcnt lgkmcnt(0)
	v_add_u32_e32 v8, v31, v8
.LBB2253_43:
	s_or_b64 exec, exec, s[36:37]
	v_add_u32_e32 v9, -1, v27
	v_and_b32_e32 v10, 64, v27
	v_cmp_lt_i32_e64 s[16:17], v9, v10
	v_cndmask_b32_e64 v9, v9, v27, s[16:17]
	v_lshlrev_b32_e32 v9, 2, v9
	ds_bpermute_b32 v32, v9, v8
	v_cmp_eq_u32_e64 s[16:17], 0, v27
	s_and_saveexec_b64 s[36:37], vcc
	s_cbranch_execz .LBB2253_66
; %bb.44:
	v_mov_b32_e32 v17, 0
	ds_read_b32 v8, v17 offset:12
	s_and_saveexec_b64 s[38:39], s[16:17]
	s_cbranch_execz .LBB2253_46
; %bb.45:
	s_add_i32 s40, s6, 64
	s_mov_b32 s41, 0
	s_lshl_b64 s[40:41], s[40:41], 3
	s_add_u32 s40, s34, s40
	v_mov_b32_e32 v9, 1
	s_addc_u32 s41, s35, s41
	s_waitcnt lgkmcnt(0)
	global_store_dwordx2 v17, v[8:9], s[40:41]
.LBB2253_46:
	s_or_b64 exec, exec, s[38:39]
	v_xad_u32 v10, v27, -1, s6
	v_add_u32_e32 v16, 64, v10
	v_lshlrev_b64 v[12:13], 3, v[16:17]
	v_mov_b32_e32 v9, s35
	v_add_co_u32_e32 v12, vcc, s34, v12
	v_addc_co_u32_e32 v13, vcc, v9, v13, vcc
	global_load_dwordx2 v[14:15], v[12:13], off glc
	s_waitcnt vmcnt(0)
	v_cmp_eq_u16_sdwa s[40:41], v15, v17 src0_sel:BYTE_0 src1_sel:DWORD
	s_and_saveexec_b64 s[38:39], s[40:41]
	s_cbranch_execz .LBB2253_52
; %bb.47:
	s_mov_b32 s7, 1
	s_mov_b64 s[40:41], 0
	v_mov_b32_e32 v9, 0
.LBB2253_48:                            ; =>This Loop Header: Depth=1
                                        ;     Child Loop BB2253_49 Depth 2
	s_max_u32 s42, s7, 1
.LBB2253_49:                            ;   Parent Loop BB2253_48 Depth=1
                                        ; =>  This Inner Loop Header: Depth=2
	s_add_i32 s42, s42, -1
	s_cmp_eq_u32 s42, 0
	s_sleep 1
	s_cbranch_scc0 .LBB2253_49
; %bb.50:                               ;   in Loop: Header=BB2253_48 Depth=1
	global_load_dwordx2 v[14:15], v[12:13], off glc
	s_cmp_lt_u32 s7, 32
	s_cselect_b64 s[42:43], -1, 0
	s_cmp_lg_u64 s[42:43], 0
	s_addc_u32 s7, s7, 0
	s_waitcnt vmcnt(0)
	v_cmp_ne_u16_sdwa s[42:43], v15, v9 src0_sel:BYTE_0 src1_sel:DWORD
	s_or_b64 s[40:41], s[42:43], s[40:41]
	s_andn2_b64 exec, exec, s[40:41]
	s_cbranch_execnz .LBB2253_48
; %bb.51:
	s_or_b64 exec, exec, s[40:41]
.LBB2253_52:
	s_or_b64 exec, exec, s[38:39]
	v_and_b32_e32 v34, 63, v27
	v_mov_b32_e32 v33, 2
	v_cmp_ne_u32_e32 vcc, 63, v34
	v_cmp_eq_u16_sdwa s[38:39], v15, v33 src0_sel:BYTE_0 src1_sel:DWORD
	v_lshlrev_b64 v[12:13], v27, -1
	v_addc_co_u32_e32 v16, vcc, 0, v27, vcc
	v_and_b32_e32 v9, s39, v13
	v_lshlrev_b32_e32 v35, 2, v16
	v_or_b32_e32 v9, 0x80000000, v9
	ds_bpermute_b32 v16, v35, v14
	v_and_b32_e32 v11, s38, v12
	v_ffbl_b32_e32 v9, v9
	v_add_u32_e32 v9, 32, v9
	v_ffbl_b32_e32 v11, v11
	v_min_u32_e32 v9, v11, v9
	v_cmp_lt_u32_e32 vcc, v34, v9
	s_waitcnt lgkmcnt(0)
	v_cndmask_b32_e32 v11, 0, v16, vcc
	v_cmp_gt_u32_e32 vcc, 62, v34
	v_add_u32_e32 v11, v11, v14
	v_cndmask_b32_e64 v14, 0, 1, vcc
	v_lshlrev_b32_e32 v14, 1, v14
	v_add_lshl_u32 v36, v14, v27, 2
	ds_bpermute_b32 v14, v36, v11
	v_add_u32_e32 v37, 2, v34
	v_cmp_le_u32_e32 vcc, v37, v9
	v_add_u32_e32 v39, 4, v34
	v_add_u32_e32 v41, 8, v34
	s_waitcnt lgkmcnt(0)
	v_cndmask_b32_e32 v14, 0, v14, vcc
	v_cmp_gt_u32_e32 vcc, 60, v34
	v_add_u32_e32 v11, v11, v14
	v_cndmask_b32_e64 v14, 0, 1, vcc
	v_lshlrev_b32_e32 v14, 2, v14
	v_add_lshl_u32 v38, v14, v27, 2
	ds_bpermute_b32 v14, v38, v11
	v_cmp_le_u32_e32 vcc, v39, v9
	v_add_u32_e32 v43, 16, v34
	v_add_u32_e32 v45, 32, v34
	s_waitcnt lgkmcnt(0)
	v_cndmask_b32_e32 v14, 0, v14, vcc
	v_cmp_gt_u32_e32 vcc, 56, v34
	v_add_u32_e32 v11, v11, v14
	v_cndmask_b32_e64 v14, 0, 1, vcc
	v_lshlrev_b32_e32 v14, 3, v14
	v_add_lshl_u32 v40, v14, v27, 2
	ds_bpermute_b32 v14, v40, v11
	v_cmp_le_u32_e32 vcc, v41, v9
	s_waitcnt lgkmcnt(0)
	v_cndmask_b32_e32 v14, 0, v14, vcc
	v_cmp_gt_u32_e32 vcc, 48, v34
	v_add_u32_e32 v11, v11, v14
	v_cndmask_b32_e64 v14, 0, 1, vcc
	v_lshlrev_b32_e32 v14, 4, v14
	v_add_lshl_u32 v42, v14, v27, 2
	ds_bpermute_b32 v14, v42, v11
	v_cmp_le_u32_e32 vcc, v43, v9
	;; [unrolled: 9-line block ×3, first 2 shown]
	s_waitcnt lgkmcnt(0)
	v_cndmask_b32_e32 v9, 0, v14, vcc
	v_add_u32_e32 v14, v11, v9
	v_mov_b32_e32 v11, 0
	s_branch .LBB2253_54
.LBB2253_53:                            ;   in Loop: Header=BB2253_54 Depth=1
	s_or_b64 exec, exec, s[38:39]
	v_cmp_eq_u16_sdwa s[38:39], v15, v33 src0_sel:BYTE_0 src1_sel:DWORD
	v_and_b32_e32 v16, s39, v13
	v_or_b32_e32 v16, 0x80000000, v16
	ds_bpermute_b32 v46, v35, v14
	v_and_b32_e32 v17, s38, v12
	v_ffbl_b32_e32 v16, v16
	v_add_u32_e32 v16, 32, v16
	v_ffbl_b32_e32 v17, v17
	v_min_u32_e32 v16, v17, v16
	v_cmp_lt_u32_e32 vcc, v34, v16
	s_waitcnt lgkmcnt(0)
	v_cndmask_b32_e32 v17, 0, v46, vcc
	v_add_u32_e32 v14, v17, v14
	ds_bpermute_b32 v17, v36, v14
	v_cmp_le_u32_e32 vcc, v37, v16
	v_subrev_u32_e32 v10, 64, v10
	s_waitcnt lgkmcnt(0)
	v_cndmask_b32_e32 v17, 0, v17, vcc
	v_add_u32_e32 v14, v14, v17
	ds_bpermute_b32 v17, v38, v14
	v_cmp_le_u32_e32 vcc, v39, v16
	s_waitcnt lgkmcnt(0)
	v_cndmask_b32_e32 v17, 0, v17, vcc
	v_add_u32_e32 v14, v14, v17
	ds_bpermute_b32 v17, v40, v14
	v_cmp_le_u32_e32 vcc, v41, v16
	;; [unrolled: 5-line block ×4, first 2 shown]
	s_waitcnt lgkmcnt(0)
	v_cndmask_b32_e32 v16, 0, v17, vcc
	v_add3_u32 v14, v16, v9, v14
.LBB2253_54:                            ; =>This Loop Header: Depth=1
                                        ;     Child Loop BB2253_57 Depth 2
                                        ;       Child Loop BB2253_58 Depth 3
	v_cmp_ne_u16_sdwa s[38:39], v15, v33 src0_sel:BYTE_0 src1_sel:DWORD
	v_cndmask_b32_e64 v9, 0, 1, s[38:39]
	;;#ASMSTART
	;;#ASMEND
	v_cmp_ne_u32_e32 vcc, 0, v9
	s_cmp_lg_u64 vcc, exec
	v_mov_b32_e32 v9, v14
	s_cbranch_scc1 .LBB2253_61
; %bb.55:                               ;   in Loop: Header=BB2253_54 Depth=1
	v_lshlrev_b64 v[14:15], 3, v[10:11]
	v_mov_b32_e32 v17, s35
	v_add_co_u32_e32 v16, vcc, s34, v14
	v_addc_co_u32_e32 v17, vcc, v17, v15, vcc
	global_load_dwordx2 v[14:15], v[16:17], off glc
	s_waitcnt vmcnt(0)
	v_cmp_eq_u16_sdwa s[40:41], v15, v11 src0_sel:BYTE_0 src1_sel:DWORD
	s_and_saveexec_b64 s[38:39], s[40:41]
	s_cbranch_execz .LBB2253_53
; %bb.56:                               ;   in Loop: Header=BB2253_54 Depth=1
	s_mov_b32 s7, 1
	s_mov_b64 s[40:41], 0
.LBB2253_57:                            ;   Parent Loop BB2253_54 Depth=1
                                        ; =>  This Loop Header: Depth=2
                                        ;       Child Loop BB2253_58 Depth 3
	s_max_u32 s42, s7, 1
.LBB2253_58:                            ;   Parent Loop BB2253_54 Depth=1
                                        ;     Parent Loop BB2253_57 Depth=2
                                        ; =>    This Inner Loop Header: Depth=3
	s_add_i32 s42, s42, -1
	s_cmp_eq_u32 s42, 0
	s_sleep 1
	s_cbranch_scc0 .LBB2253_58
; %bb.59:                               ;   in Loop: Header=BB2253_57 Depth=2
	global_load_dwordx2 v[14:15], v[16:17], off glc
	s_cmp_lt_u32 s7, 32
	s_cselect_b64 s[42:43], -1, 0
	s_cmp_lg_u64 s[42:43], 0
	s_addc_u32 s7, s7, 0
	s_waitcnt vmcnt(0)
	v_cmp_ne_u16_sdwa s[42:43], v15, v11 src0_sel:BYTE_0 src1_sel:DWORD
	s_or_b64 s[40:41], s[42:43], s[40:41]
	s_andn2_b64 exec, exec, s[40:41]
	s_cbranch_execnz .LBB2253_57
; %bb.60:                               ;   in Loop: Header=BB2253_54 Depth=1
	s_or_b64 exec, exec, s[40:41]
	s_branch .LBB2253_53
.LBB2253_61:                            ;   in Loop: Header=BB2253_54 Depth=1
                                        ; implicit-def: $vgpr14
                                        ; implicit-def: $vgpr15
	s_cbranch_execz .LBB2253_54
; %bb.62:
	s_and_saveexec_b64 s[38:39], s[16:17]
	s_cbranch_execz .LBB2253_64
; %bb.63:
	s_add_i32 s6, s6, 64
	s_mov_b32 s7, 0
	s_lshl_b64 s[6:7], s[6:7], 3
	s_add_u32 s6, s34, s6
	v_add_u32_e32 v10, v9, v8
	v_mov_b32_e32 v11, 2
	s_addc_u32 s7, s35, s7
	v_mov_b32_e32 v12, 0
	global_store_dwordx2 v12, v[10:11], s[6:7]
	ds_write_b64 v12, v[8:9] offset:7168
.LBB2253_64:
	s_or_b64 exec, exec, s[38:39]
	v_cmp_eq_u32_e32 vcc, 0, v0
	s_and_b64 exec, exec, vcc
	s_cbranch_execz .LBB2253_66
; %bb.65:
	v_mov_b32_e32 v8, 0
	ds_write_b32 v8, v9 offset:12
.LBB2253_66:
	s_or_b64 exec, exec, s[36:37]
	v_mov_b32_e32 v8, 0
	s_waitcnt lgkmcnt(0)
	s_barrier
	ds_read_b32 v9, v8 offset:12
	v_cndmask_b32_e64 v10, v32, v31, s[16:17]
	v_cmp_ne_u32_e32 vcc, 0, v0
	v_cndmask_b32_e32 v10, 0, v10, vcc
	s_waitcnt lgkmcnt(0)
	v_add_u32_e32 v16, v9, v10
	v_add_u32_e32 v15, v16, v26
	;; [unrolled: 1-line block ×3, first 2 shown]
	s_barrier
	ds_read_b64 v[8:9], v8 offset:7168
	v_add_u32_e32 v12, v14, v24
	v_add_u32_e32 v13, v12, v23
	;; [unrolled: 1-line block ×4, first 2 shown]
	s_branch .LBB2253_77
.LBB2253_67:
                                        ; implicit-def: $vgpr9
                                        ; implicit-def: $vgpr10
                                        ; implicit-def: $vgpr11
                                        ; implicit-def: $vgpr13
                                        ; implicit-def: $vgpr12
                                        ; implicit-def: $vgpr14
                                        ; implicit-def: $vgpr15
                                        ; implicit-def: $vgpr16
	s_cbranch_execz .LBB2253_77
; %bb.68:
	s_waitcnt lgkmcnt(0)
	v_mov_b32_dpp v8, v30 row_shr:1 row_mask:0xf bank_mask:0xf
	v_cndmask_b32_e64 v8, v8, 0, s[14:15]
	v_add_u32_e32 v8, v8, v30
	s_nop 1
	v_mov_b32_dpp v9, v8 row_shr:2 row_mask:0xf bank_mask:0xf
	v_cndmask_b32_e64 v9, 0, v9, s[12:13]
	v_add_u32_e32 v8, v8, v9
	s_nop 1
	;; [unrolled: 4-line block ×4, first 2 shown]
	v_mov_b32_dpp v9, v8 row_bcast:15 row_mask:0xf bank_mask:0xf
	v_cndmask_b32_e64 v9, v9, 0, s[18:19]
	v_add_u32_e32 v8, v8, v9
	s_nop 1
	v_mov_b32_dpp v9, v8 row_bcast:31 row_mask:0xf bank_mask:0xf
	v_cndmask_b32_e64 v9, 0, v9, s[0:1]
	v_add_u32_e32 v8, v8, v9
	s_and_saveexec_b64 s[0:1], s[2:3]
	s_cbranch_execz .LBB2253_70
; %bb.69:
	v_lshlrev_b32_e32 v9, 2, v29
	ds_write_b32 v9, v8
.LBB2253_70:
	s_or_b64 exec, exec, s[0:1]
	v_cmp_gt_u32_e32 vcc, 4, v0
	s_waitcnt lgkmcnt(0)
	s_barrier
	s_and_saveexec_b64 s[0:1], vcc
	s_cbranch_execz .LBB2253_72
; %bb.71:
	v_mad_i32_i24 v9, v0, -3, v28
	ds_read_b32 v10, v9
	v_and_b32_e32 v11, 3, v27
	v_cmp_ne_u32_e32 vcc, 0, v11
	s_waitcnt lgkmcnt(0)
	v_mov_b32_dpp v12, v10 row_shr:1 row_mask:0xf bank_mask:0xf
	v_cndmask_b32_e32 v12, 0, v12, vcc
	v_add_u32_e32 v10, v12, v10
	v_cmp_lt_u32_e32 vcc, 1, v11
	s_nop 0
	v_mov_b32_dpp v12, v10 row_shr:2 row_mask:0xf bank_mask:0xf
	v_cndmask_b32_e32 v11, 0, v12, vcc
	v_add_u32_e32 v10, v10, v11
	ds_write_b32 v9, v10
.LBB2253_72:
	s_or_b64 exec, exec, s[0:1]
	v_cmp_lt_u32_e32 vcc, 63, v0
	v_mov_b32_e32 v9, 0
	v_mov_b32_e32 v10, 0
	s_waitcnt lgkmcnt(0)
	s_barrier
	s_and_saveexec_b64 s[0:1], vcc
	s_cbranch_execz .LBB2253_74
; %bb.73:
	v_lshl_add_u32 v10, v29, 2, -4
	ds_read_b32 v10, v10
.LBB2253_74:
	s_or_b64 exec, exec, s[0:1]
	v_add_u32_e32 v11, -1, v27
	v_and_b32_e32 v12, 64, v27
	v_cmp_lt_i32_e32 vcc, v11, v12
	v_cndmask_b32_e32 v11, v11, v27, vcc
	s_waitcnt lgkmcnt(0)
	v_add_u32_e32 v8, v10, v8
	v_lshlrev_b32_e32 v11, 2, v11
	ds_bpermute_b32 v11, v11, v8
	ds_read_b32 v8, v9 offset:12
	v_cmp_eq_u32_e32 vcc, 0, v0
	s_and_saveexec_b64 s[0:1], vcc
	s_cbranch_execz .LBB2253_76
; %bb.75:
	v_mov_b32_e32 v12, 0
	v_mov_b32_e32 v9, 2
	s_waitcnt lgkmcnt(0)
	global_store_dwordx2 v12, v[8:9], s[34:35] offset:512
.LBB2253_76:
	s_or_b64 exec, exec, s[0:1]
	v_cmp_eq_u32_e64 s[0:1], 0, v27
	s_waitcnt lgkmcnt(1)
	v_cndmask_b32_e64 v10, v11, v10, s[0:1]
	v_cndmask_b32_e64 v16, v10, 0, vcc
	v_add_u32_e32 v15, v16, v26
	v_add_u32_e32 v14, v15, v25
	;; [unrolled: 1-line block ×5, first 2 shown]
	v_mov_b32_e32 v9, 0
	v_add_u32_e32 v10, v11, v21
	s_waitcnt lgkmcnt(0)
	s_barrier
.LBB2253_77:
	s_waitcnt lgkmcnt(0)
	v_add_u32_e32 v17, v8, v19
	v_sub_u32_e32 v16, v16, v9
	v_sub_u32_e32 v19, v17, v16
	v_cmp_eq_u32_e32 vcc, 1, v26
	v_cndmask_b32_e32 v16, v19, v16, vcc
	v_lshlrev_b32_e32 v16, 2, v16
	ds_write_b32 v16, v6
	v_sub_u32_e32 v6, v15, v9
	v_sub_u32_e32 v15, v17, v6
	v_add_u32_e32 v15, 1, v15
	v_cmp_eq_u32_e32 vcc, 1, v25
	v_cndmask_b32_e32 v6, v15, v6, vcc
	v_lshlrev_b32_e32 v6, 2, v6
	ds_write_b32 v6, v7
	v_sub_u32_e32 v6, v14, v9
	v_sub_u32_e32 v7, v17, v6
	v_add_u32_e32 v7, 2, v7
	;; [unrolled: 7-line block ×6, first 2 shown]
	v_cmp_eq_u32_e32 vcc, 1, v20
	v_cndmask_b32_e32 v2, v3, v2, vcc
	v_lshlrev_b32_e32 v2, 2, v2
	ds_write_b32 v2, v18
	v_mov_b32_e32 v2, s31
	v_add_co_u32_e32 v22, vcc, s30, v9
	v_addc_co_u32_e32 v23, vcc, 0, v2, vcc
	s_load_dwordx4 s[0:3], s[4:5], 0x30
	v_add_co_u32_e32 v2, vcc, v22, v8
	v_addc_co_u32_e32 v3, vcc, 0, v23, vcc
	v_mov_b32_e32 v9, s27
	v_sub_co_u32_e32 v24, vcc, s26, v2
	v_subb_co_u32_e32 v25, vcc, v9, v3, vcc
	v_lshlrev_b64 v[24:25], 2, v[24:25]
	s_waitcnt lgkmcnt(0)
	s_barrier
	ds_read2st64_b32 v[10:11], v1 offset1:4
	ds_read2st64_b32 v[6:7], v1 offset0:8 offset1:12
	ds_read2st64_b32 v[4:5], v1 offset0:16 offset1:20
	ds_read_b32 v12, v1 offset:6144
	v_mov_b32_e32 v9, s3
	v_add_co_u32_e32 v15, vcc, s2, v24
	v_addc_co_u32_e32 v16, vcc, v9, v25, vcc
	v_mov_b32_e32 v18, s29
	v_add_co_u32_e32 v9, vcc, s28, v15
	v_lshlrev_b64 v[22:23], 2, v[22:23]
	v_addc_co_u32_e32 v15, vcc, v16, v18, vcc
	v_mov_b32_e32 v18, s1
	v_add_co_u32_e64 v16, s[0:1], s0, v22
	v_or_b32_e32 v21, 0x100, v0
	v_or_b32_e32 v20, 0x200, v0
	;; [unrolled: 1-line block ×6, first 2 shown]
	s_andn2_b64 vcc, exec, s[24:25]
	v_addc_co_u32_e64 v18, s[0:1], v18, v23, s[0:1]
	s_cbranch_vccnz .LBB2253_79
; %bb.78:
	v_cmp_gt_u32_e32 vcc, v8, v0
	v_cndmask_b32_e32 v22, v9, v16, vcc
	v_cndmask_b32_e32 v23, v15, v18, vcc
	v_add_co_u32_e32 v22, vcc, v22, v1
	v_addc_co_u32_e32 v23, vcc, 0, v23, vcc
	v_cmp_lt_u32_e32 vcc, v21, v8
	s_waitcnt lgkmcnt(3)
	global_store_dword v[22:23], v10, off
	v_cndmask_b32_e32 v22, v9, v16, vcc
	v_cndmask_b32_e32 v23, v15, v18, vcc
	v_add_co_u32_e32 v22, vcc, v22, v1
	v_addc_co_u32_e32 v23, vcc, 0, v23, vcc
	v_cmp_lt_u32_e32 vcc, v20, v8
	global_store_dword v[22:23], v11, off offset:1024
	v_cndmask_b32_e32 v22, v9, v16, vcc
	v_cndmask_b32_e32 v23, v15, v18, vcc
	v_add_co_u32_e32 v22, vcc, v22, v1
	v_addc_co_u32_e32 v23, vcc, 0, v23, vcc
	v_cmp_lt_u32_e32 vcc, v19, v8
	s_waitcnt lgkmcnt(2)
	global_store_dword v[22:23], v6, off offset:2048
	v_cndmask_b32_e32 v22, v9, v16, vcc
	v_cndmask_b32_e32 v23, v15, v18, vcc
	v_add_co_u32_e32 v22, vcc, v22, v1
	v_addc_co_u32_e32 v23, vcc, 0, v23, vcc
	v_cmp_lt_u32_e32 vcc, v17, v8
	global_store_dword v[22:23], v7, off offset:3072
	v_cndmask_b32_e32 v22, v9, v16, vcc
	v_lshlrev_b32_e32 v24, 2, v17
	v_cndmask_b32_e32 v23, v15, v18, vcc
	v_add_co_u32_e32 v22, vcc, v22, v24
	v_addc_co_u32_e32 v23, vcc, 0, v23, vcc
	v_cmp_lt_u32_e32 vcc, v14, v8
	s_waitcnt lgkmcnt(1)
	global_store_dword v[22:23], v4, off
	v_cndmask_b32_e32 v22, v9, v16, vcc
	v_lshlrev_b32_e32 v24, 2, v14
	v_cndmask_b32_e32 v23, v15, v18, vcc
	v_add_co_u32_e32 v22, vcc, v22, v24
	v_addc_co_u32_e32 v23, vcc, 0, v23, vcc
	s_mov_b64 s[0:1], -1
	global_store_dword v[22:23], v5, off
	s_cbranch_execz .LBB2253_80
	s_branch .LBB2253_88
.LBB2253_79:
	s_mov_b64 s[0:1], 0
.LBB2253_80:
	v_cmp_gt_u32_e32 vcc, s33, v0
	s_and_saveexec_b64 s[0:1], vcc
	s_cbranch_execnz .LBB2253_93
; %bb.81:
	s_or_b64 exec, exec, s[0:1]
	v_cmp_gt_u32_e32 vcc, s33, v21
	s_and_saveexec_b64 s[0:1], vcc
	s_cbranch_execnz .LBB2253_94
.LBB2253_82:
	s_or_b64 exec, exec, s[0:1]
	v_cmp_gt_u32_e32 vcc, s33, v20
	s_and_saveexec_b64 s[0:1], vcc
	s_cbranch_execnz .LBB2253_95
.LBB2253_83:
	s_or_b64 exec, exec, s[0:1]
	v_cmp_gt_u32_e32 vcc, s33, v19
	s_and_saveexec_b64 s[0:1], vcc
	s_cbranch_execnz .LBB2253_96
.LBB2253_84:
	s_or_b64 exec, exec, s[0:1]
	v_cmp_gt_u32_e32 vcc, s33, v17
	s_and_saveexec_b64 s[0:1], vcc
	s_cbranch_execnz .LBB2253_97
.LBB2253_85:
	s_or_b64 exec, exec, s[0:1]
	v_cmp_gt_u32_e32 vcc, s33, v14
	s_and_saveexec_b64 s[0:1], vcc
	s_cbranch_execz .LBB2253_87
.LBB2253_86:
	v_cmp_lt_u32_e32 vcc, v14, v8
	s_waitcnt lgkmcnt(1)
	v_cndmask_b32_e32 v4, v9, v16, vcc
	v_lshlrev_b32_e32 v6, 2, v14
	v_cndmask_b32_e32 v1, v15, v18, vcc
	v_add_co_u32_e32 v6, vcc, v4, v6
	v_addc_co_u32_e32 v7, vcc, 0, v1, vcc
	global_store_dword v[6:7], v5, off
.LBB2253_87:
	s_or_b64 exec, exec, s[0:1]
	v_cmp_gt_u32_e64 s[0:1], s33, v13
.LBB2253_88:
	s_and_saveexec_b64 s[2:3], s[0:1]
	s_cbranch_execz .LBB2253_90
; %bb.89:
	v_cmp_lt_u32_e32 vcc, v13, v8
	s_waitcnt lgkmcnt(1)
	v_cndmask_b32_e32 v4, v9, v16, vcc
	v_lshlrev_b32_e32 v5, 2, v13
	v_cndmask_b32_e32 v1, v15, v18, vcc
	v_add_co_u32_e32 v4, vcc, v4, v5
	v_addc_co_u32_e32 v5, vcc, 0, v1, vcc
	s_waitcnt lgkmcnt(0)
	global_store_dword v[4:5], v12, off
.LBB2253_90:
	s_or_b64 exec, exec, s[2:3]
	v_cmp_eq_u32_e32 vcc, 0, v0
	s_and_b64 s[0:1], vcc, s[22:23]
	s_and_saveexec_b64 s[2:3], s[0:1]
	s_cbranch_execz .LBB2253_92
; %bb.91:
	v_mov_b32_e32 v0, 0
	global_store_dwordx2 v0, v[2:3], s[20:21]
.LBB2253_92:
	s_endpgm
.LBB2253_93:
	v_cmp_gt_u32_e32 vcc, v8, v0
	v_cndmask_b32_e32 v22, v9, v16, vcc
	v_cndmask_b32_e32 v23, v15, v18, vcc
	v_add_co_u32_e32 v22, vcc, v22, v1
	v_addc_co_u32_e32 v23, vcc, 0, v23, vcc
	s_waitcnt lgkmcnt(3)
	global_store_dword v[22:23], v10, off
	s_or_b64 exec, exec, s[0:1]
	v_cmp_gt_u32_e32 vcc, s33, v21
	s_and_saveexec_b64 s[0:1], vcc
	s_cbranch_execz .LBB2253_82
.LBB2253_94:
	v_cmp_lt_u32_e32 vcc, v21, v8
	v_cndmask_b32_e32 v21, v9, v16, vcc
	s_waitcnt lgkmcnt(3)
	v_cndmask_b32_e32 v10, v15, v18, vcc
	v_add_co_u32_e32 v22, vcc, v21, v1
	v_addc_co_u32_e32 v23, vcc, 0, v10, vcc
	global_store_dword v[22:23], v11, off offset:1024
	s_or_b64 exec, exec, s[0:1]
	v_cmp_gt_u32_e32 vcc, s33, v20
	s_and_saveexec_b64 s[0:1], vcc
	s_cbranch_execz .LBB2253_83
.LBB2253_95:
	v_cmp_lt_u32_e32 vcc, v20, v8
	s_waitcnt lgkmcnt(3)
	v_cndmask_b32_e32 v10, v9, v16, vcc
	v_cndmask_b32_e32 v11, v15, v18, vcc
	v_add_co_u32_e32 v10, vcc, v10, v1
	v_addc_co_u32_e32 v11, vcc, 0, v11, vcc
	s_waitcnt lgkmcnt(2)
	global_store_dword v[10:11], v6, off offset:2048
	s_or_b64 exec, exec, s[0:1]
	v_cmp_gt_u32_e32 vcc, s33, v19
	s_and_saveexec_b64 s[0:1], vcc
	s_cbranch_execz .LBB2253_84
.LBB2253_96:
	v_cmp_lt_u32_e32 vcc, v19, v8
	s_waitcnt lgkmcnt(3)
	v_cndmask_b32_e32 v10, v9, v16, vcc
	s_waitcnt lgkmcnt(2)
	v_cndmask_b32_e32 v6, v15, v18, vcc
	v_add_co_u32_e32 v10, vcc, v10, v1
	v_addc_co_u32_e32 v11, vcc, 0, v6, vcc
	global_store_dword v[10:11], v7, off offset:3072
	s_or_b64 exec, exec, s[0:1]
	v_cmp_gt_u32_e32 vcc, s33, v17
	s_and_saveexec_b64 s[0:1], vcc
	s_cbranch_execz .LBB2253_85
.LBB2253_97:
	v_cmp_lt_u32_e32 vcc, v17, v8
	s_waitcnt lgkmcnt(2)
	v_cndmask_b32_e32 v6, v9, v16, vcc
	v_lshlrev_b32_e32 v7, 2, v17
	v_cndmask_b32_e32 v1, v15, v18, vcc
	v_add_co_u32_e32 v6, vcc, v6, v7
	v_addc_co_u32_e32 v7, vcc, 0, v1, vcc
	s_waitcnt lgkmcnt(1)
	global_store_dword v[6:7], v4, off
	s_or_b64 exec, exec, s[0:1]
	v_cmp_gt_u32_e32 vcc, s33, v14
	s_and_saveexec_b64 s[0:1], vcc
	s_cbranch_execnz .LBB2253_86
	s_branch .LBB2253_87
	.section	.rodata,"a",@progbits
	.p2align	6, 0x0
	.amdhsa_kernel _ZN7rocprim17ROCPRIM_400000_NS6detail17trampoline_kernelINS0_14default_configENS1_25partition_config_selectorILNS1_17partition_subalgoE1EjNS0_10empty_typeEbEEZZNS1_14partition_implILS5_1ELb0ES3_jN6thrust23THRUST_200600_302600_NS6detail15normal_iteratorINSA_10device_ptrIjEEEEPS6_NSA_18transform_iteratorI7is_evenIjESF_NSA_11use_defaultESK_EENS0_5tupleIJSF_SF_EEENSM_IJSG_SG_EEES6_PlJS6_EEE10hipError_tPvRmT3_T4_T5_T6_T7_T9_mT8_P12ihipStream_tbDpT10_ENKUlT_T0_E_clISt17integral_constantIbLb1EES18_IbLb0EEEEDaS14_S15_EUlS14_E_NS1_11comp_targetILNS1_3genE4ELNS1_11target_archE910ELNS1_3gpuE8ELNS1_3repE0EEENS1_30default_config_static_selectorELNS0_4arch9wavefront6targetE1EEEvT1_
		.amdhsa_group_segment_fixed_size 7176
		.amdhsa_private_segment_fixed_size 0
		.amdhsa_kernarg_size 128
		.amdhsa_user_sgpr_count 6
		.amdhsa_user_sgpr_private_segment_buffer 1
		.amdhsa_user_sgpr_dispatch_ptr 0
		.amdhsa_user_sgpr_queue_ptr 0
		.amdhsa_user_sgpr_kernarg_segment_ptr 1
		.amdhsa_user_sgpr_dispatch_id 0
		.amdhsa_user_sgpr_flat_scratch_init 0
		.amdhsa_user_sgpr_kernarg_preload_length 0
		.amdhsa_user_sgpr_kernarg_preload_offset 0
		.amdhsa_user_sgpr_private_segment_size 0
		.amdhsa_uses_dynamic_stack 0
		.amdhsa_system_sgpr_private_segment_wavefront_offset 0
		.amdhsa_system_sgpr_workgroup_id_x 1
		.amdhsa_system_sgpr_workgroup_id_y 0
		.amdhsa_system_sgpr_workgroup_id_z 0
		.amdhsa_system_sgpr_workgroup_info 0
		.amdhsa_system_vgpr_workitem_id 0
		.amdhsa_next_free_vgpr 47
		.amdhsa_next_free_sgpr 44
		.amdhsa_accum_offset 48
		.amdhsa_reserve_vcc 1
		.amdhsa_reserve_flat_scratch 0
		.amdhsa_float_round_mode_32 0
		.amdhsa_float_round_mode_16_64 0
		.amdhsa_float_denorm_mode_32 3
		.amdhsa_float_denorm_mode_16_64 3
		.amdhsa_dx10_clamp 1
		.amdhsa_ieee_mode 1
		.amdhsa_fp16_overflow 0
		.amdhsa_tg_split 0
		.amdhsa_exception_fp_ieee_invalid_op 0
		.amdhsa_exception_fp_denorm_src 0
		.amdhsa_exception_fp_ieee_div_zero 0
		.amdhsa_exception_fp_ieee_overflow 0
		.amdhsa_exception_fp_ieee_underflow 0
		.amdhsa_exception_fp_ieee_inexact 0
		.amdhsa_exception_int_div_zero 0
	.end_amdhsa_kernel
	.section	.text._ZN7rocprim17ROCPRIM_400000_NS6detail17trampoline_kernelINS0_14default_configENS1_25partition_config_selectorILNS1_17partition_subalgoE1EjNS0_10empty_typeEbEEZZNS1_14partition_implILS5_1ELb0ES3_jN6thrust23THRUST_200600_302600_NS6detail15normal_iteratorINSA_10device_ptrIjEEEEPS6_NSA_18transform_iteratorI7is_evenIjESF_NSA_11use_defaultESK_EENS0_5tupleIJSF_SF_EEENSM_IJSG_SG_EEES6_PlJS6_EEE10hipError_tPvRmT3_T4_T5_T6_T7_T9_mT8_P12ihipStream_tbDpT10_ENKUlT_T0_E_clISt17integral_constantIbLb1EES18_IbLb0EEEEDaS14_S15_EUlS14_E_NS1_11comp_targetILNS1_3genE4ELNS1_11target_archE910ELNS1_3gpuE8ELNS1_3repE0EEENS1_30default_config_static_selectorELNS0_4arch9wavefront6targetE1EEEvT1_,"axG",@progbits,_ZN7rocprim17ROCPRIM_400000_NS6detail17trampoline_kernelINS0_14default_configENS1_25partition_config_selectorILNS1_17partition_subalgoE1EjNS0_10empty_typeEbEEZZNS1_14partition_implILS5_1ELb0ES3_jN6thrust23THRUST_200600_302600_NS6detail15normal_iteratorINSA_10device_ptrIjEEEEPS6_NSA_18transform_iteratorI7is_evenIjESF_NSA_11use_defaultESK_EENS0_5tupleIJSF_SF_EEENSM_IJSG_SG_EEES6_PlJS6_EEE10hipError_tPvRmT3_T4_T5_T6_T7_T9_mT8_P12ihipStream_tbDpT10_ENKUlT_T0_E_clISt17integral_constantIbLb1EES18_IbLb0EEEEDaS14_S15_EUlS14_E_NS1_11comp_targetILNS1_3genE4ELNS1_11target_archE910ELNS1_3gpuE8ELNS1_3repE0EEENS1_30default_config_static_selectorELNS0_4arch9wavefront6targetE1EEEvT1_,comdat
.Lfunc_end2253:
	.size	_ZN7rocprim17ROCPRIM_400000_NS6detail17trampoline_kernelINS0_14default_configENS1_25partition_config_selectorILNS1_17partition_subalgoE1EjNS0_10empty_typeEbEEZZNS1_14partition_implILS5_1ELb0ES3_jN6thrust23THRUST_200600_302600_NS6detail15normal_iteratorINSA_10device_ptrIjEEEEPS6_NSA_18transform_iteratorI7is_evenIjESF_NSA_11use_defaultESK_EENS0_5tupleIJSF_SF_EEENSM_IJSG_SG_EEES6_PlJS6_EEE10hipError_tPvRmT3_T4_T5_T6_T7_T9_mT8_P12ihipStream_tbDpT10_ENKUlT_T0_E_clISt17integral_constantIbLb1EES18_IbLb0EEEEDaS14_S15_EUlS14_E_NS1_11comp_targetILNS1_3genE4ELNS1_11target_archE910ELNS1_3gpuE8ELNS1_3repE0EEENS1_30default_config_static_selectorELNS0_4arch9wavefront6targetE1EEEvT1_, .Lfunc_end2253-_ZN7rocprim17ROCPRIM_400000_NS6detail17trampoline_kernelINS0_14default_configENS1_25partition_config_selectorILNS1_17partition_subalgoE1EjNS0_10empty_typeEbEEZZNS1_14partition_implILS5_1ELb0ES3_jN6thrust23THRUST_200600_302600_NS6detail15normal_iteratorINSA_10device_ptrIjEEEEPS6_NSA_18transform_iteratorI7is_evenIjESF_NSA_11use_defaultESK_EENS0_5tupleIJSF_SF_EEENSM_IJSG_SG_EEES6_PlJS6_EEE10hipError_tPvRmT3_T4_T5_T6_T7_T9_mT8_P12ihipStream_tbDpT10_ENKUlT_T0_E_clISt17integral_constantIbLb1EES18_IbLb0EEEEDaS14_S15_EUlS14_E_NS1_11comp_targetILNS1_3genE4ELNS1_11target_archE910ELNS1_3gpuE8ELNS1_3repE0EEENS1_30default_config_static_selectorELNS0_4arch9wavefront6targetE1EEEvT1_
                                        ; -- End function
	.section	.AMDGPU.csdata,"",@progbits
; Kernel info:
; codeLenInByte = 4696
; NumSgprs: 48
; NumVgprs: 47
; NumAgprs: 0
; TotalNumVgprs: 47
; ScratchSize: 0
; MemoryBound: 0
; FloatMode: 240
; IeeeMode: 1
; LDSByteSize: 7176 bytes/workgroup (compile time only)
; SGPRBlocks: 5
; VGPRBlocks: 5
; NumSGPRsForWavesPerEU: 48
; NumVGPRsForWavesPerEU: 47
; AccumOffset: 48
; Occupancy: 8
; WaveLimiterHint : 1
; COMPUTE_PGM_RSRC2:SCRATCH_EN: 0
; COMPUTE_PGM_RSRC2:USER_SGPR: 6
; COMPUTE_PGM_RSRC2:TRAP_HANDLER: 0
; COMPUTE_PGM_RSRC2:TGID_X_EN: 1
; COMPUTE_PGM_RSRC2:TGID_Y_EN: 0
; COMPUTE_PGM_RSRC2:TGID_Z_EN: 0
; COMPUTE_PGM_RSRC2:TIDIG_COMP_CNT: 0
; COMPUTE_PGM_RSRC3_GFX90A:ACCUM_OFFSET: 11
; COMPUTE_PGM_RSRC3_GFX90A:TG_SPLIT: 0
	.section	.text._ZN7rocprim17ROCPRIM_400000_NS6detail17trampoline_kernelINS0_14default_configENS1_25partition_config_selectorILNS1_17partition_subalgoE1EjNS0_10empty_typeEbEEZZNS1_14partition_implILS5_1ELb0ES3_jN6thrust23THRUST_200600_302600_NS6detail15normal_iteratorINSA_10device_ptrIjEEEEPS6_NSA_18transform_iteratorI7is_evenIjESF_NSA_11use_defaultESK_EENS0_5tupleIJSF_SF_EEENSM_IJSG_SG_EEES6_PlJS6_EEE10hipError_tPvRmT3_T4_T5_T6_T7_T9_mT8_P12ihipStream_tbDpT10_ENKUlT_T0_E_clISt17integral_constantIbLb1EES18_IbLb0EEEEDaS14_S15_EUlS14_E_NS1_11comp_targetILNS1_3genE3ELNS1_11target_archE908ELNS1_3gpuE7ELNS1_3repE0EEENS1_30default_config_static_selectorELNS0_4arch9wavefront6targetE1EEEvT1_,"axG",@progbits,_ZN7rocprim17ROCPRIM_400000_NS6detail17trampoline_kernelINS0_14default_configENS1_25partition_config_selectorILNS1_17partition_subalgoE1EjNS0_10empty_typeEbEEZZNS1_14partition_implILS5_1ELb0ES3_jN6thrust23THRUST_200600_302600_NS6detail15normal_iteratorINSA_10device_ptrIjEEEEPS6_NSA_18transform_iteratorI7is_evenIjESF_NSA_11use_defaultESK_EENS0_5tupleIJSF_SF_EEENSM_IJSG_SG_EEES6_PlJS6_EEE10hipError_tPvRmT3_T4_T5_T6_T7_T9_mT8_P12ihipStream_tbDpT10_ENKUlT_T0_E_clISt17integral_constantIbLb1EES18_IbLb0EEEEDaS14_S15_EUlS14_E_NS1_11comp_targetILNS1_3genE3ELNS1_11target_archE908ELNS1_3gpuE7ELNS1_3repE0EEENS1_30default_config_static_selectorELNS0_4arch9wavefront6targetE1EEEvT1_,comdat
	.protected	_ZN7rocprim17ROCPRIM_400000_NS6detail17trampoline_kernelINS0_14default_configENS1_25partition_config_selectorILNS1_17partition_subalgoE1EjNS0_10empty_typeEbEEZZNS1_14partition_implILS5_1ELb0ES3_jN6thrust23THRUST_200600_302600_NS6detail15normal_iteratorINSA_10device_ptrIjEEEEPS6_NSA_18transform_iteratorI7is_evenIjESF_NSA_11use_defaultESK_EENS0_5tupleIJSF_SF_EEENSM_IJSG_SG_EEES6_PlJS6_EEE10hipError_tPvRmT3_T4_T5_T6_T7_T9_mT8_P12ihipStream_tbDpT10_ENKUlT_T0_E_clISt17integral_constantIbLb1EES18_IbLb0EEEEDaS14_S15_EUlS14_E_NS1_11comp_targetILNS1_3genE3ELNS1_11target_archE908ELNS1_3gpuE7ELNS1_3repE0EEENS1_30default_config_static_selectorELNS0_4arch9wavefront6targetE1EEEvT1_ ; -- Begin function _ZN7rocprim17ROCPRIM_400000_NS6detail17trampoline_kernelINS0_14default_configENS1_25partition_config_selectorILNS1_17partition_subalgoE1EjNS0_10empty_typeEbEEZZNS1_14partition_implILS5_1ELb0ES3_jN6thrust23THRUST_200600_302600_NS6detail15normal_iteratorINSA_10device_ptrIjEEEEPS6_NSA_18transform_iteratorI7is_evenIjESF_NSA_11use_defaultESK_EENS0_5tupleIJSF_SF_EEENSM_IJSG_SG_EEES6_PlJS6_EEE10hipError_tPvRmT3_T4_T5_T6_T7_T9_mT8_P12ihipStream_tbDpT10_ENKUlT_T0_E_clISt17integral_constantIbLb1EES18_IbLb0EEEEDaS14_S15_EUlS14_E_NS1_11comp_targetILNS1_3genE3ELNS1_11target_archE908ELNS1_3gpuE7ELNS1_3repE0EEENS1_30default_config_static_selectorELNS0_4arch9wavefront6targetE1EEEvT1_
	.globl	_ZN7rocprim17ROCPRIM_400000_NS6detail17trampoline_kernelINS0_14default_configENS1_25partition_config_selectorILNS1_17partition_subalgoE1EjNS0_10empty_typeEbEEZZNS1_14partition_implILS5_1ELb0ES3_jN6thrust23THRUST_200600_302600_NS6detail15normal_iteratorINSA_10device_ptrIjEEEEPS6_NSA_18transform_iteratorI7is_evenIjESF_NSA_11use_defaultESK_EENS0_5tupleIJSF_SF_EEENSM_IJSG_SG_EEES6_PlJS6_EEE10hipError_tPvRmT3_T4_T5_T6_T7_T9_mT8_P12ihipStream_tbDpT10_ENKUlT_T0_E_clISt17integral_constantIbLb1EES18_IbLb0EEEEDaS14_S15_EUlS14_E_NS1_11comp_targetILNS1_3genE3ELNS1_11target_archE908ELNS1_3gpuE7ELNS1_3repE0EEENS1_30default_config_static_selectorELNS0_4arch9wavefront6targetE1EEEvT1_
	.p2align	8
	.type	_ZN7rocprim17ROCPRIM_400000_NS6detail17trampoline_kernelINS0_14default_configENS1_25partition_config_selectorILNS1_17partition_subalgoE1EjNS0_10empty_typeEbEEZZNS1_14partition_implILS5_1ELb0ES3_jN6thrust23THRUST_200600_302600_NS6detail15normal_iteratorINSA_10device_ptrIjEEEEPS6_NSA_18transform_iteratorI7is_evenIjESF_NSA_11use_defaultESK_EENS0_5tupleIJSF_SF_EEENSM_IJSG_SG_EEES6_PlJS6_EEE10hipError_tPvRmT3_T4_T5_T6_T7_T9_mT8_P12ihipStream_tbDpT10_ENKUlT_T0_E_clISt17integral_constantIbLb1EES18_IbLb0EEEEDaS14_S15_EUlS14_E_NS1_11comp_targetILNS1_3genE3ELNS1_11target_archE908ELNS1_3gpuE7ELNS1_3repE0EEENS1_30default_config_static_selectorELNS0_4arch9wavefront6targetE1EEEvT1_,@function
_ZN7rocprim17ROCPRIM_400000_NS6detail17trampoline_kernelINS0_14default_configENS1_25partition_config_selectorILNS1_17partition_subalgoE1EjNS0_10empty_typeEbEEZZNS1_14partition_implILS5_1ELb0ES3_jN6thrust23THRUST_200600_302600_NS6detail15normal_iteratorINSA_10device_ptrIjEEEEPS6_NSA_18transform_iteratorI7is_evenIjESF_NSA_11use_defaultESK_EENS0_5tupleIJSF_SF_EEENSM_IJSG_SG_EEES6_PlJS6_EEE10hipError_tPvRmT3_T4_T5_T6_T7_T9_mT8_P12ihipStream_tbDpT10_ENKUlT_T0_E_clISt17integral_constantIbLb1EES18_IbLb0EEEEDaS14_S15_EUlS14_E_NS1_11comp_targetILNS1_3genE3ELNS1_11target_archE908ELNS1_3gpuE7ELNS1_3repE0EEENS1_30default_config_static_selectorELNS0_4arch9wavefront6targetE1EEEvT1_: ; @_ZN7rocprim17ROCPRIM_400000_NS6detail17trampoline_kernelINS0_14default_configENS1_25partition_config_selectorILNS1_17partition_subalgoE1EjNS0_10empty_typeEbEEZZNS1_14partition_implILS5_1ELb0ES3_jN6thrust23THRUST_200600_302600_NS6detail15normal_iteratorINSA_10device_ptrIjEEEEPS6_NSA_18transform_iteratorI7is_evenIjESF_NSA_11use_defaultESK_EENS0_5tupleIJSF_SF_EEENSM_IJSG_SG_EEES6_PlJS6_EEE10hipError_tPvRmT3_T4_T5_T6_T7_T9_mT8_P12ihipStream_tbDpT10_ENKUlT_T0_E_clISt17integral_constantIbLb1EES18_IbLb0EEEEDaS14_S15_EUlS14_E_NS1_11comp_targetILNS1_3genE3ELNS1_11target_archE908ELNS1_3gpuE7ELNS1_3repE0EEENS1_30default_config_static_selectorELNS0_4arch9wavefront6targetE1EEEvT1_
; %bb.0:
	.section	.rodata,"a",@progbits
	.p2align	6, 0x0
	.amdhsa_kernel _ZN7rocprim17ROCPRIM_400000_NS6detail17trampoline_kernelINS0_14default_configENS1_25partition_config_selectorILNS1_17partition_subalgoE1EjNS0_10empty_typeEbEEZZNS1_14partition_implILS5_1ELb0ES3_jN6thrust23THRUST_200600_302600_NS6detail15normal_iteratorINSA_10device_ptrIjEEEEPS6_NSA_18transform_iteratorI7is_evenIjESF_NSA_11use_defaultESK_EENS0_5tupleIJSF_SF_EEENSM_IJSG_SG_EEES6_PlJS6_EEE10hipError_tPvRmT3_T4_T5_T6_T7_T9_mT8_P12ihipStream_tbDpT10_ENKUlT_T0_E_clISt17integral_constantIbLb1EES18_IbLb0EEEEDaS14_S15_EUlS14_E_NS1_11comp_targetILNS1_3genE3ELNS1_11target_archE908ELNS1_3gpuE7ELNS1_3repE0EEENS1_30default_config_static_selectorELNS0_4arch9wavefront6targetE1EEEvT1_
		.amdhsa_group_segment_fixed_size 0
		.amdhsa_private_segment_fixed_size 0
		.amdhsa_kernarg_size 128
		.amdhsa_user_sgpr_count 6
		.amdhsa_user_sgpr_private_segment_buffer 1
		.amdhsa_user_sgpr_dispatch_ptr 0
		.amdhsa_user_sgpr_queue_ptr 0
		.amdhsa_user_sgpr_kernarg_segment_ptr 1
		.amdhsa_user_sgpr_dispatch_id 0
		.amdhsa_user_sgpr_flat_scratch_init 0
		.amdhsa_user_sgpr_kernarg_preload_length 0
		.amdhsa_user_sgpr_kernarg_preload_offset 0
		.amdhsa_user_sgpr_private_segment_size 0
		.amdhsa_uses_dynamic_stack 0
		.amdhsa_system_sgpr_private_segment_wavefront_offset 0
		.amdhsa_system_sgpr_workgroup_id_x 1
		.amdhsa_system_sgpr_workgroup_id_y 0
		.amdhsa_system_sgpr_workgroup_id_z 0
		.amdhsa_system_sgpr_workgroup_info 0
		.amdhsa_system_vgpr_workitem_id 0
		.amdhsa_next_free_vgpr 1
		.amdhsa_next_free_sgpr 0
		.amdhsa_accum_offset 4
		.amdhsa_reserve_vcc 0
		.amdhsa_reserve_flat_scratch 0
		.amdhsa_float_round_mode_32 0
		.amdhsa_float_round_mode_16_64 0
		.amdhsa_float_denorm_mode_32 3
		.amdhsa_float_denorm_mode_16_64 3
		.amdhsa_dx10_clamp 1
		.amdhsa_ieee_mode 1
		.amdhsa_fp16_overflow 0
		.amdhsa_tg_split 0
		.amdhsa_exception_fp_ieee_invalid_op 0
		.amdhsa_exception_fp_denorm_src 0
		.amdhsa_exception_fp_ieee_div_zero 0
		.amdhsa_exception_fp_ieee_overflow 0
		.amdhsa_exception_fp_ieee_underflow 0
		.amdhsa_exception_fp_ieee_inexact 0
		.amdhsa_exception_int_div_zero 0
	.end_amdhsa_kernel
	.section	.text._ZN7rocprim17ROCPRIM_400000_NS6detail17trampoline_kernelINS0_14default_configENS1_25partition_config_selectorILNS1_17partition_subalgoE1EjNS0_10empty_typeEbEEZZNS1_14partition_implILS5_1ELb0ES3_jN6thrust23THRUST_200600_302600_NS6detail15normal_iteratorINSA_10device_ptrIjEEEEPS6_NSA_18transform_iteratorI7is_evenIjESF_NSA_11use_defaultESK_EENS0_5tupleIJSF_SF_EEENSM_IJSG_SG_EEES6_PlJS6_EEE10hipError_tPvRmT3_T4_T5_T6_T7_T9_mT8_P12ihipStream_tbDpT10_ENKUlT_T0_E_clISt17integral_constantIbLb1EES18_IbLb0EEEEDaS14_S15_EUlS14_E_NS1_11comp_targetILNS1_3genE3ELNS1_11target_archE908ELNS1_3gpuE7ELNS1_3repE0EEENS1_30default_config_static_selectorELNS0_4arch9wavefront6targetE1EEEvT1_,"axG",@progbits,_ZN7rocprim17ROCPRIM_400000_NS6detail17trampoline_kernelINS0_14default_configENS1_25partition_config_selectorILNS1_17partition_subalgoE1EjNS0_10empty_typeEbEEZZNS1_14partition_implILS5_1ELb0ES3_jN6thrust23THRUST_200600_302600_NS6detail15normal_iteratorINSA_10device_ptrIjEEEEPS6_NSA_18transform_iteratorI7is_evenIjESF_NSA_11use_defaultESK_EENS0_5tupleIJSF_SF_EEENSM_IJSG_SG_EEES6_PlJS6_EEE10hipError_tPvRmT3_T4_T5_T6_T7_T9_mT8_P12ihipStream_tbDpT10_ENKUlT_T0_E_clISt17integral_constantIbLb1EES18_IbLb0EEEEDaS14_S15_EUlS14_E_NS1_11comp_targetILNS1_3genE3ELNS1_11target_archE908ELNS1_3gpuE7ELNS1_3repE0EEENS1_30default_config_static_selectorELNS0_4arch9wavefront6targetE1EEEvT1_,comdat
.Lfunc_end2254:
	.size	_ZN7rocprim17ROCPRIM_400000_NS6detail17trampoline_kernelINS0_14default_configENS1_25partition_config_selectorILNS1_17partition_subalgoE1EjNS0_10empty_typeEbEEZZNS1_14partition_implILS5_1ELb0ES3_jN6thrust23THRUST_200600_302600_NS6detail15normal_iteratorINSA_10device_ptrIjEEEEPS6_NSA_18transform_iteratorI7is_evenIjESF_NSA_11use_defaultESK_EENS0_5tupleIJSF_SF_EEENSM_IJSG_SG_EEES6_PlJS6_EEE10hipError_tPvRmT3_T4_T5_T6_T7_T9_mT8_P12ihipStream_tbDpT10_ENKUlT_T0_E_clISt17integral_constantIbLb1EES18_IbLb0EEEEDaS14_S15_EUlS14_E_NS1_11comp_targetILNS1_3genE3ELNS1_11target_archE908ELNS1_3gpuE7ELNS1_3repE0EEENS1_30default_config_static_selectorELNS0_4arch9wavefront6targetE1EEEvT1_, .Lfunc_end2254-_ZN7rocprim17ROCPRIM_400000_NS6detail17trampoline_kernelINS0_14default_configENS1_25partition_config_selectorILNS1_17partition_subalgoE1EjNS0_10empty_typeEbEEZZNS1_14partition_implILS5_1ELb0ES3_jN6thrust23THRUST_200600_302600_NS6detail15normal_iteratorINSA_10device_ptrIjEEEEPS6_NSA_18transform_iteratorI7is_evenIjESF_NSA_11use_defaultESK_EENS0_5tupleIJSF_SF_EEENSM_IJSG_SG_EEES6_PlJS6_EEE10hipError_tPvRmT3_T4_T5_T6_T7_T9_mT8_P12ihipStream_tbDpT10_ENKUlT_T0_E_clISt17integral_constantIbLb1EES18_IbLb0EEEEDaS14_S15_EUlS14_E_NS1_11comp_targetILNS1_3genE3ELNS1_11target_archE908ELNS1_3gpuE7ELNS1_3repE0EEENS1_30default_config_static_selectorELNS0_4arch9wavefront6targetE1EEEvT1_
                                        ; -- End function
	.section	.AMDGPU.csdata,"",@progbits
; Kernel info:
; codeLenInByte = 0
; NumSgprs: 4
; NumVgprs: 0
; NumAgprs: 0
; TotalNumVgprs: 0
; ScratchSize: 0
; MemoryBound: 0
; FloatMode: 240
; IeeeMode: 1
; LDSByteSize: 0 bytes/workgroup (compile time only)
; SGPRBlocks: 0
; VGPRBlocks: 0
; NumSGPRsForWavesPerEU: 4
; NumVGPRsForWavesPerEU: 1
; AccumOffset: 4
; Occupancy: 8
; WaveLimiterHint : 0
; COMPUTE_PGM_RSRC2:SCRATCH_EN: 0
; COMPUTE_PGM_RSRC2:USER_SGPR: 6
; COMPUTE_PGM_RSRC2:TRAP_HANDLER: 0
; COMPUTE_PGM_RSRC2:TGID_X_EN: 1
; COMPUTE_PGM_RSRC2:TGID_Y_EN: 0
; COMPUTE_PGM_RSRC2:TGID_Z_EN: 0
; COMPUTE_PGM_RSRC2:TIDIG_COMP_CNT: 0
; COMPUTE_PGM_RSRC3_GFX90A:ACCUM_OFFSET: 0
; COMPUTE_PGM_RSRC3_GFX90A:TG_SPLIT: 0
	.section	.text._ZN7rocprim17ROCPRIM_400000_NS6detail17trampoline_kernelINS0_14default_configENS1_25partition_config_selectorILNS1_17partition_subalgoE1EjNS0_10empty_typeEbEEZZNS1_14partition_implILS5_1ELb0ES3_jN6thrust23THRUST_200600_302600_NS6detail15normal_iteratorINSA_10device_ptrIjEEEEPS6_NSA_18transform_iteratorI7is_evenIjESF_NSA_11use_defaultESK_EENS0_5tupleIJSF_SF_EEENSM_IJSG_SG_EEES6_PlJS6_EEE10hipError_tPvRmT3_T4_T5_T6_T7_T9_mT8_P12ihipStream_tbDpT10_ENKUlT_T0_E_clISt17integral_constantIbLb1EES18_IbLb0EEEEDaS14_S15_EUlS14_E_NS1_11comp_targetILNS1_3genE2ELNS1_11target_archE906ELNS1_3gpuE6ELNS1_3repE0EEENS1_30default_config_static_selectorELNS0_4arch9wavefront6targetE1EEEvT1_,"axG",@progbits,_ZN7rocprim17ROCPRIM_400000_NS6detail17trampoline_kernelINS0_14default_configENS1_25partition_config_selectorILNS1_17partition_subalgoE1EjNS0_10empty_typeEbEEZZNS1_14partition_implILS5_1ELb0ES3_jN6thrust23THRUST_200600_302600_NS6detail15normal_iteratorINSA_10device_ptrIjEEEEPS6_NSA_18transform_iteratorI7is_evenIjESF_NSA_11use_defaultESK_EENS0_5tupleIJSF_SF_EEENSM_IJSG_SG_EEES6_PlJS6_EEE10hipError_tPvRmT3_T4_T5_T6_T7_T9_mT8_P12ihipStream_tbDpT10_ENKUlT_T0_E_clISt17integral_constantIbLb1EES18_IbLb0EEEEDaS14_S15_EUlS14_E_NS1_11comp_targetILNS1_3genE2ELNS1_11target_archE906ELNS1_3gpuE6ELNS1_3repE0EEENS1_30default_config_static_selectorELNS0_4arch9wavefront6targetE1EEEvT1_,comdat
	.protected	_ZN7rocprim17ROCPRIM_400000_NS6detail17trampoline_kernelINS0_14default_configENS1_25partition_config_selectorILNS1_17partition_subalgoE1EjNS0_10empty_typeEbEEZZNS1_14partition_implILS5_1ELb0ES3_jN6thrust23THRUST_200600_302600_NS6detail15normal_iteratorINSA_10device_ptrIjEEEEPS6_NSA_18transform_iteratorI7is_evenIjESF_NSA_11use_defaultESK_EENS0_5tupleIJSF_SF_EEENSM_IJSG_SG_EEES6_PlJS6_EEE10hipError_tPvRmT3_T4_T5_T6_T7_T9_mT8_P12ihipStream_tbDpT10_ENKUlT_T0_E_clISt17integral_constantIbLb1EES18_IbLb0EEEEDaS14_S15_EUlS14_E_NS1_11comp_targetILNS1_3genE2ELNS1_11target_archE906ELNS1_3gpuE6ELNS1_3repE0EEENS1_30default_config_static_selectorELNS0_4arch9wavefront6targetE1EEEvT1_ ; -- Begin function _ZN7rocprim17ROCPRIM_400000_NS6detail17trampoline_kernelINS0_14default_configENS1_25partition_config_selectorILNS1_17partition_subalgoE1EjNS0_10empty_typeEbEEZZNS1_14partition_implILS5_1ELb0ES3_jN6thrust23THRUST_200600_302600_NS6detail15normal_iteratorINSA_10device_ptrIjEEEEPS6_NSA_18transform_iteratorI7is_evenIjESF_NSA_11use_defaultESK_EENS0_5tupleIJSF_SF_EEENSM_IJSG_SG_EEES6_PlJS6_EEE10hipError_tPvRmT3_T4_T5_T6_T7_T9_mT8_P12ihipStream_tbDpT10_ENKUlT_T0_E_clISt17integral_constantIbLb1EES18_IbLb0EEEEDaS14_S15_EUlS14_E_NS1_11comp_targetILNS1_3genE2ELNS1_11target_archE906ELNS1_3gpuE6ELNS1_3repE0EEENS1_30default_config_static_selectorELNS0_4arch9wavefront6targetE1EEEvT1_
	.globl	_ZN7rocprim17ROCPRIM_400000_NS6detail17trampoline_kernelINS0_14default_configENS1_25partition_config_selectorILNS1_17partition_subalgoE1EjNS0_10empty_typeEbEEZZNS1_14partition_implILS5_1ELb0ES3_jN6thrust23THRUST_200600_302600_NS6detail15normal_iteratorINSA_10device_ptrIjEEEEPS6_NSA_18transform_iteratorI7is_evenIjESF_NSA_11use_defaultESK_EENS0_5tupleIJSF_SF_EEENSM_IJSG_SG_EEES6_PlJS6_EEE10hipError_tPvRmT3_T4_T5_T6_T7_T9_mT8_P12ihipStream_tbDpT10_ENKUlT_T0_E_clISt17integral_constantIbLb1EES18_IbLb0EEEEDaS14_S15_EUlS14_E_NS1_11comp_targetILNS1_3genE2ELNS1_11target_archE906ELNS1_3gpuE6ELNS1_3repE0EEENS1_30default_config_static_selectorELNS0_4arch9wavefront6targetE1EEEvT1_
	.p2align	8
	.type	_ZN7rocprim17ROCPRIM_400000_NS6detail17trampoline_kernelINS0_14default_configENS1_25partition_config_selectorILNS1_17partition_subalgoE1EjNS0_10empty_typeEbEEZZNS1_14partition_implILS5_1ELb0ES3_jN6thrust23THRUST_200600_302600_NS6detail15normal_iteratorINSA_10device_ptrIjEEEEPS6_NSA_18transform_iteratorI7is_evenIjESF_NSA_11use_defaultESK_EENS0_5tupleIJSF_SF_EEENSM_IJSG_SG_EEES6_PlJS6_EEE10hipError_tPvRmT3_T4_T5_T6_T7_T9_mT8_P12ihipStream_tbDpT10_ENKUlT_T0_E_clISt17integral_constantIbLb1EES18_IbLb0EEEEDaS14_S15_EUlS14_E_NS1_11comp_targetILNS1_3genE2ELNS1_11target_archE906ELNS1_3gpuE6ELNS1_3repE0EEENS1_30default_config_static_selectorELNS0_4arch9wavefront6targetE1EEEvT1_,@function
_ZN7rocprim17ROCPRIM_400000_NS6detail17trampoline_kernelINS0_14default_configENS1_25partition_config_selectorILNS1_17partition_subalgoE1EjNS0_10empty_typeEbEEZZNS1_14partition_implILS5_1ELb0ES3_jN6thrust23THRUST_200600_302600_NS6detail15normal_iteratorINSA_10device_ptrIjEEEEPS6_NSA_18transform_iteratorI7is_evenIjESF_NSA_11use_defaultESK_EENS0_5tupleIJSF_SF_EEENSM_IJSG_SG_EEES6_PlJS6_EEE10hipError_tPvRmT3_T4_T5_T6_T7_T9_mT8_P12ihipStream_tbDpT10_ENKUlT_T0_E_clISt17integral_constantIbLb1EES18_IbLb0EEEEDaS14_S15_EUlS14_E_NS1_11comp_targetILNS1_3genE2ELNS1_11target_archE906ELNS1_3gpuE6ELNS1_3repE0EEENS1_30default_config_static_selectorELNS0_4arch9wavefront6targetE1EEEvT1_: ; @_ZN7rocprim17ROCPRIM_400000_NS6detail17trampoline_kernelINS0_14default_configENS1_25partition_config_selectorILNS1_17partition_subalgoE1EjNS0_10empty_typeEbEEZZNS1_14partition_implILS5_1ELb0ES3_jN6thrust23THRUST_200600_302600_NS6detail15normal_iteratorINSA_10device_ptrIjEEEEPS6_NSA_18transform_iteratorI7is_evenIjESF_NSA_11use_defaultESK_EENS0_5tupleIJSF_SF_EEENSM_IJSG_SG_EEES6_PlJS6_EEE10hipError_tPvRmT3_T4_T5_T6_T7_T9_mT8_P12ihipStream_tbDpT10_ENKUlT_T0_E_clISt17integral_constantIbLb1EES18_IbLb0EEEEDaS14_S15_EUlS14_E_NS1_11comp_targetILNS1_3genE2ELNS1_11target_archE906ELNS1_3gpuE6ELNS1_3repE0EEENS1_30default_config_static_selectorELNS0_4arch9wavefront6targetE1EEEvT1_
; %bb.0:
	.section	.rodata,"a",@progbits
	.p2align	6, 0x0
	.amdhsa_kernel _ZN7rocprim17ROCPRIM_400000_NS6detail17trampoline_kernelINS0_14default_configENS1_25partition_config_selectorILNS1_17partition_subalgoE1EjNS0_10empty_typeEbEEZZNS1_14partition_implILS5_1ELb0ES3_jN6thrust23THRUST_200600_302600_NS6detail15normal_iteratorINSA_10device_ptrIjEEEEPS6_NSA_18transform_iteratorI7is_evenIjESF_NSA_11use_defaultESK_EENS0_5tupleIJSF_SF_EEENSM_IJSG_SG_EEES6_PlJS6_EEE10hipError_tPvRmT3_T4_T5_T6_T7_T9_mT8_P12ihipStream_tbDpT10_ENKUlT_T0_E_clISt17integral_constantIbLb1EES18_IbLb0EEEEDaS14_S15_EUlS14_E_NS1_11comp_targetILNS1_3genE2ELNS1_11target_archE906ELNS1_3gpuE6ELNS1_3repE0EEENS1_30default_config_static_selectorELNS0_4arch9wavefront6targetE1EEEvT1_
		.amdhsa_group_segment_fixed_size 0
		.amdhsa_private_segment_fixed_size 0
		.amdhsa_kernarg_size 128
		.amdhsa_user_sgpr_count 6
		.amdhsa_user_sgpr_private_segment_buffer 1
		.amdhsa_user_sgpr_dispatch_ptr 0
		.amdhsa_user_sgpr_queue_ptr 0
		.amdhsa_user_sgpr_kernarg_segment_ptr 1
		.amdhsa_user_sgpr_dispatch_id 0
		.amdhsa_user_sgpr_flat_scratch_init 0
		.amdhsa_user_sgpr_kernarg_preload_length 0
		.amdhsa_user_sgpr_kernarg_preload_offset 0
		.amdhsa_user_sgpr_private_segment_size 0
		.amdhsa_uses_dynamic_stack 0
		.amdhsa_system_sgpr_private_segment_wavefront_offset 0
		.amdhsa_system_sgpr_workgroup_id_x 1
		.amdhsa_system_sgpr_workgroup_id_y 0
		.amdhsa_system_sgpr_workgroup_id_z 0
		.amdhsa_system_sgpr_workgroup_info 0
		.amdhsa_system_vgpr_workitem_id 0
		.amdhsa_next_free_vgpr 1
		.amdhsa_next_free_sgpr 0
		.amdhsa_accum_offset 4
		.amdhsa_reserve_vcc 0
		.amdhsa_reserve_flat_scratch 0
		.amdhsa_float_round_mode_32 0
		.amdhsa_float_round_mode_16_64 0
		.amdhsa_float_denorm_mode_32 3
		.amdhsa_float_denorm_mode_16_64 3
		.amdhsa_dx10_clamp 1
		.amdhsa_ieee_mode 1
		.amdhsa_fp16_overflow 0
		.amdhsa_tg_split 0
		.amdhsa_exception_fp_ieee_invalid_op 0
		.amdhsa_exception_fp_denorm_src 0
		.amdhsa_exception_fp_ieee_div_zero 0
		.amdhsa_exception_fp_ieee_overflow 0
		.amdhsa_exception_fp_ieee_underflow 0
		.amdhsa_exception_fp_ieee_inexact 0
		.amdhsa_exception_int_div_zero 0
	.end_amdhsa_kernel
	.section	.text._ZN7rocprim17ROCPRIM_400000_NS6detail17trampoline_kernelINS0_14default_configENS1_25partition_config_selectorILNS1_17partition_subalgoE1EjNS0_10empty_typeEbEEZZNS1_14partition_implILS5_1ELb0ES3_jN6thrust23THRUST_200600_302600_NS6detail15normal_iteratorINSA_10device_ptrIjEEEEPS6_NSA_18transform_iteratorI7is_evenIjESF_NSA_11use_defaultESK_EENS0_5tupleIJSF_SF_EEENSM_IJSG_SG_EEES6_PlJS6_EEE10hipError_tPvRmT3_T4_T5_T6_T7_T9_mT8_P12ihipStream_tbDpT10_ENKUlT_T0_E_clISt17integral_constantIbLb1EES18_IbLb0EEEEDaS14_S15_EUlS14_E_NS1_11comp_targetILNS1_3genE2ELNS1_11target_archE906ELNS1_3gpuE6ELNS1_3repE0EEENS1_30default_config_static_selectorELNS0_4arch9wavefront6targetE1EEEvT1_,"axG",@progbits,_ZN7rocprim17ROCPRIM_400000_NS6detail17trampoline_kernelINS0_14default_configENS1_25partition_config_selectorILNS1_17partition_subalgoE1EjNS0_10empty_typeEbEEZZNS1_14partition_implILS5_1ELb0ES3_jN6thrust23THRUST_200600_302600_NS6detail15normal_iteratorINSA_10device_ptrIjEEEEPS6_NSA_18transform_iteratorI7is_evenIjESF_NSA_11use_defaultESK_EENS0_5tupleIJSF_SF_EEENSM_IJSG_SG_EEES6_PlJS6_EEE10hipError_tPvRmT3_T4_T5_T6_T7_T9_mT8_P12ihipStream_tbDpT10_ENKUlT_T0_E_clISt17integral_constantIbLb1EES18_IbLb0EEEEDaS14_S15_EUlS14_E_NS1_11comp_targetILNS1_3genE2ELNS1_11target_archE906ELNS1_3gpuE6ELNS1_3repE0EEENS1_30default_config_static_selectorELNS0_4arch9wavefront6targetE1EEEvT1_,comdat
.Lfunc_end2255:
	.size	_ZN7rocprim17ROCPRIM_400000_NS6detail17trampoline_kernelINS0_14default_configENS1_25partition_config_selectorILNS1_17partition_subalgoE1EjNS0_10empty_typeEbEEZZNS1_14partition_implILS5_1ELb0ES3_jN6thrust23THRUST_200600_302600_NS6detail15normal_iteratorINSA_10device_ptrIjEEEEPS6_NSA_18transform_iteratorI7is_evenIjESF_NSA_11use_defaultESK_EENS0_5tupleIJSF_SF_EEENSM_IJSG_SG_EEES6_PlJS6_EEE10hipError_tPvRmT3_T4_T5_T6_T7_T9_mT8_P12ihipStream_tbDpT10_ENKUlT_T0_E_clISt17integral_constantIbLb1EES18_IbLb0EEEEDaS14_S15_EUlS14_E_NS1_11comp_targetILNS1_3genE2ELNS1_11target_archE906ELNS1_3gpuE6ELNS1_3repE0EEENS1_30default_config_static_selectorELNS0_4arch9wavefront6targetE1EEEvT1_, .Lfunc_end2255-_ZN7rocprim17ROCPRIM_400000_NS6detail17trampoline_kernelINS0_14default_configENS1_25partition_config_selectorILNS1_17partition_subalgoE1EjNS0_10empty_typeEbEEZZNS1_14partition_implILS5_1ELb0ES3_jN6thrust23THRUST_200600_302600_NS6detail15normal_iteratorINSA_10device_ptrIjEEEEPS6_NSA_18transform_iteratorI7is_evenIjESF_NSA_11use_defaultESK_EENS0_5tupleIJSF_SF_EEENSM_IJSG_SG_EEES6_PlJS6_EEE10hipError_tPvRmT3_T4_T5_T6_T7_T9_mT8_P12ihipStream_tbDpT10_ENKUlT_T0_E_clISt17integral_constantIbLb1EES18_IbLb0EEEEDaS14_S15_EUlS14_E_NS1_11comp_targetILNS1_3genE2ELNS1_11target_archE906ELNS1_3gpuE6ELNS1_3repE0EEENS1_30default_config_static_selectorELNS0_4arch9wavefront6targetE1EEEvT1_
                                        ; -- End function
	.section	.AMDGPU.csdata,"",@progbits
; Kernel info:
; codeLenInByte = 0
; NumSgprs: 4
; NumVgprs: 0
; NumAgprs: 0
; TotalNumVgprs: 0
; ScratchSize: 0
; MemoryBound: 0
; FloatMode: 240
; IeeeMode: 1
; LDSByteSize: 0 bytes/workgroup (compile time only)
; SGPRBlocks: 0
; VGPRBlocks: 0
; NumSGPRsForWavesPerEU: 4
; NumVGPRsForWavesPerEU: 1
; AccumOffset: 4
; Occupancy: 8
; WaveLimiterHint : 0
; COMPUTE_PGM_RSRC2:SCRATCH_EN: 0
; COMPUTE_PGM_RSRC2:USER_SGPR: 6
; COMPUTE_PGM_RSRC2:TRAP_HANDLER: 0
; COMPUTE_PGM_RSRC2:TGID_X_EN: 1
; COMPUTE_PGM_RSRC2:TGID_Y_EN: 0
; COMPUTE_PGM_RSRC2:TGID_Z_EN: 0
; COMPUTE_PGM_RSRC2:TIDIG_COMP_CNT: 0
; COMPUTE_PGM_RSRC3_GFX90A:ACCUM_OFFSET: 0
; COMPUTE_PGM_RSRC3_GFX90A:TG_SPLIT: 0
	.section	.text._ZN7rocprim17ROCPRIM_400000_NS6detail17trampoline_kernelINS0_14default_configENS1_25partition_config_selectorILNS1_17partition_subalgoE1EjNS0_10empty_typeEbEEZZNS1_14partition_implILS5_1ELb0ES3_jN6thrust23THRUST_200600_302600_NS6detail15normal_iteratorINSA_10device_ptrIjEEEEPS6_NSA_18transform_iteratorI7is_evenIjESF_NSA_11use_defaultESK_EENS0_5tupleIJSF_SF_EEENSM_IJSG_SG_EEES6_PlJS6_EEE10hipError_tPvRmT3_T4_T5_T6_T7_T9_mT8_P12ihipStream_tbDpT10_ENKUlT_T0_E_clISt17integral_constantIbLb1EES18_IbLb0EEEEDaS14_S15_EUlS14_E_NS1_11comp_targetILNS1_3genE10ELNS1_11target_archE1200ELNS1_3gpuE4ELNS1_3repE0EEENS1_30default_config_static_selectorELNS0_4arch9wavefront6targetE1EEEvT1_,"axG",@progbits,_ZN7rocprim17ROCPRIM_400000_NS6detail17trampoline_kernelINS0_14default_configENS1_25partition_config_selectorILNS1_17partition_subalgoE1EjNS0_10empty_typeEbEEZZNS1_14partition_implILS5_1ELb0ES3_jN6thrust23THRUST_200600_302600_NS6detail15normal_iteratorINSA_10device_ptrIjEEEEPS6_NSA_18transform_iteratorI7is_evenIjESF_NSA_11use_defaultESK_EENS0_5tupleIJSF_SF_EEENSM_IJSG_SG_EEES6_PlJS6_EEE10hipError_tPvRmT3_T4_T5_T6_T7_T9_mT8_P12ihipStream_tbDpT10_ENKUlT_T0_E_clISt17integral_constantIbLb1EES18_IbLb0EEEEDaS14_S15_EUlS14_E_NS1_11comp_targetILNS1_3genE10ELNS1_11target_archE1200ELNS1_3gpuE4ELNS1_3repE0EEENS1_30default_config_static_selectorELNS0_4arch9wavefront6targetE1EEEvT1_,comdat
	.protected	_ZN7rocprim17ROCPRIM_400000_NS6detail17trampoline_kernelINS0_14default_configENS1_25partition_config_selectorILNS1_17partition_subalgoE1EjNS0_10empty_typeEbEEZZNS1_14partition_implILS5_1ELb0ES3_jN6thrust23THRUST_200600_302600_NS6detail15normal_iteratorINSA_10device_ptrIjEEEEPS6_NSA_18transform_iteratorI7is_evenIjESF_NSA_11use_defaultESK_EENS0_5tupleIJSF_SF_EEENSM_IJSG_SG_EEES6_PlJS6_EEE10hipError_tPvRmT3_T4_T5_T6_T7_T9_mT8_P12ihipStream_tbDpT10_ENKUlT_T0_E_clISt17integral_constantIbLb1EES18_IbLb0EEEEDaS14_S15_EUlS14_E_NS1_11comp_targetILNS1_3genE10ELNS1_11target_archE1200ELNS1_3gpuE4ELNS1_3repE0EEENS1_30default_config_static_selectorELNS0_4arch9wavefront6targetE1EEEvT1_ ; -- Begin function _ZN7rocprim17ROCPRIM_400000_NS6detail17trampoline_kernelINS0_14default_configENS1_25partition_config_selectorILNS1_17partition_subalgoE1EjNS0_10empty_typeEbEEZZNS1_14partition_implILS5_1ELb0ES3_jN6thrust23THRUST_200600_302600_NS6detail15normal_iteratorINSA_10device_ptrIjEEEEPS6_NSA_18transform_iteratorI7is_evenIjESF_NSA_11use_defaultESK_EENS0_5tupleIJSF_SF_EEENSM_IJSG_SG_EEES6_PlJS6_EEE10hipError_tPvRmT3_T4_T5_T6_T7_T9_mT8_P12ihipStream_tbDpT10_ENKUlT_T0_E_clISt17integral_constantIbLb1EES18_IbLb0EEEEDaS14_S15_EUlS14_E_NS1_11comp_targetILNS1_3genE10ELNS1_11target_archE1200ELNS1_3gpuE4ELNS1_3repE0EEENS1_30default_config_static_selectorELNS0_4arch9wavefront6targetE1EEEvT1_
	.globl	_ZN7rocprim17ROCPRIM_400000_NS6detail17trampoline_kernelINS0_14default_configENS1_25partition_config_selectorILNS1_17partition_subalgoE1EjNS0_10empty_typeEbEEZZNS1_14partition_implILS5_1ELb0ES3_jN6thrust23THRUST_200600_302600_NS6detail15normal_iteratorINSA_10device_ptrIjEEEEPS6_NSA_18transform_iteratorI7is_evenIjESF_NSA_11use_defaultESK_EENS0_5tupleIJSF_SF_EEENSM_IJSG_SG_EEES6_PlJS6_EEE10hipError_tPvRmT3_T4_T5_T6_T7_T9_mT8_P12ihipStream_tbDpT10_ENKUlT_T0_E_clISt17integral_constantIbLb1EES18_IbLb0EEEEDaS14_S15_EUlS14_E_NS1_11comp_targetILNS1_3genE10ELNS1_11target_archE1200ELNS1_3gpuE4ELNS1_3repE0EEENS1_30default_config_static_selectorELNS0_4arch9wavefront6targetE1EEEvT1_
	.p2align	8
	.type	_ZN7rocprim17ROCPRIM_400000_NS6detail17trampoline_kernelINS0_14default_configENS1_25partition_config_selectorILNS1_17partition_subalgoE1EjNS0_10empty_typeEbEEZZNS1_14partition_implILS5_1ELb0ES3_jN6thrust23THRUST_200600_302600_NS6detail15normal_iteratorINSA_10device_ptrIjEEEEPS6_NSA_18transform_iteratorI7is_evenIjESF_NSA_11use_defaultESK_EENS0_5tupleIJSF_SF_EEENSM_IJSG_SG_EEES6_PlJS6_EEE10hipError_tPvRmT3_T4_T5_T6_T7_T9_mT8_P12ihipStream_tbDpT10_ENKUlT_T0_E_clISt17integral_constantIbLb1EES18_IbLb0EEEEDaS14_S15_EUlS14_E_NS1_11comp_targetILNS1_3genE10ELNS1_11target_archE1200ELNS1_3gpuE4ELNS1_3repE0EEENS1_30default_config_static_selectorELNS0_4arch9wavefront6targetE1EEEvT1_,@function
_ZN7rocprim17ROCPRIM_400000_NS6detail17trampoline_kernelINS0_14default_configENS1_25partition_config_selectorILNS1_17partition_subalgoE1EjNS0_10empty_typeEbEEZZNS1_14partition_implILS5_1ELb0ES3_jN6thrust23THRUST_200600_302600_NS6detail15normal_iteratorINSA_10device_ptrIjEEEEPS6_NSA_18transform_iteratorI7is_evenIjESF_NSA_11use_defaultESK_EENS0_5tupleIJSF_SF_EEENSM_IJSG_SG_EEES6_PlJS6_EEE10hipError_tPvRmT3_T4_T5_T6_T7_T9_mT8_P12ihipStream_tbDpT10_ENKUlT_T0_E_clISt17integral_constantIbLb1EES18_IbLb0EEEEDaS14_S15_EUlS14_E_NS1_11comp_targetILNS1_3genE10ELNS1_11target_archE1200ELNS1_3gpuE4ELNS1_3repE0EEENS1_30default_config_static_selectorELNS0_4arch9wavefront6targetE1EEEvT1_: ; @_ZN7rocprim17ROCPRIM_400000_NS6detail17trampoline_kernelINS0_14default_configENS1_25partition_config_selectorILNS1_17partition_subalgoE1EjNS0_10empty_typeEbEEZZNS1_14partition_implILS5_1ELb0ES3_jN6thrust23THRUST_200600_302600_NS6detail15normal_iteratorINSA_10device_ptrIjEEEEPS6_NSA_18transform_iteratorI7is_evenIjESF_NSA_11use_defaultESK_EENS0_5tupleIJSF_SF_EEENSM_IJSG_SG_EEES6_PlJS6_EEE10hipError_tPvRmT3_T4_T5_T6_T7_T9_mT8_P12ihipStream_tbDpT10_ENKUlT_T0_E_clISt17integral_constantIbLb1EES18_IbLb0EEEEDaS14_S15_EUlS14_E_NS1_11comp_targetILNS1_3genE10ELNS1_11target_archE1200ELNS1_3gpuE4ELNS1_3repE0EEENS1_30default_config_static_selectorELNS0_4arch9wavefront6targetE1EEEvT1_
; %bb.0:
	.section	.rodata,"a",@progbits
	.p2align	6, 0x0
	.amdhsa_kernel _ZN7rocprim17ROCPRIM_400000_NS6detail17trampoline_kernelINS0_14default_configENS1_25partition_config_selectorILNS1_17partition_subalgoE1EjNS0_10empty_typeEbEEZZNS1_14partition_implILS5_1ELb0ES3_jN6thrust23THRUST_200600_302600_NS6detail15normal_iteratorINSA_10device_ptrIjEEEEPS6_NSA_18transform_iteratorI7is_evenIjESF_NSA_11use_defaultESK_EENS0_5tupleIJSF_SF_EEENSM_IJSG_SG_EEES6_PlJS6_EEE10hipError_tPvRmT3_T4_T5_T6_T7_T9_mT8_P12ihipStream_tbDpT10_ENKUlT_T0_E_clISt17integral_constantIbLb1EES18_IbLb0EEEEDaS14_S15_EUlS14_E_NS1_11comp_targetILNS1_3genE10ELNS1_11target_archE1200ELNS1_3gpuE4ELNS1_3repE0EEENS1_30default_config_static_selectorELNS0_4arch9wavefront6targetE1EEEvT1_
		.amdhsa_group_segment_fixed_size 0
		.amdhsa_private_segment_fixed_size 0
		.amdhsa_kernarg_size 128
		.amdhsa_user_sgpr_count 6
		.amdhsa_user_sgpr_private_segment_buffer 1
		.amdhsa_user_sgpr_dispatch_ptr 0
		.amdhsa_user_sgpr_queue_ptr 0
		.amdhsa_user_sgpr_kernarg_segment_ptr 1
		.amdhsa_user_sgpr_dispatch_id 0
		.amdhsa_user_sgpr_flat_scratch_init 0
		.amdhsa_user_sgpr_kernarg_preload_length 0
		.amdhsa_user_sgpr_kernarg_preload_offset 0
		.amdhsa_user_sgpr_private_segment_size 0
		.amdhsa_uses_dynamic_stack 0
		.amdhsa_system_sgpr_private_segment_wavefront_offset 0
		.amdhsa_system_sgpr_workgroup_id_x 1
		.amdhsa_system_sgpr_workgroup_id_y 0
		.amdhsa_system_sgpr_workgroup_id_z 0
		.amdhsa_system_sgpr_workgroup_info 0
		.amdhsa_system_vgpr_workitem_id 0
		.amdhsa_next_free_vgpr 1
		.amdhsa_next_free_sgpr 0
		.amdhsa_accum_offset 4
		.amdhsa_reserve_vcc 0
		.amdhsa_reserve_flat_scratch 0
		.amdhsa_float_round_mode_32 0
		.amdhsa_float_round_mode_16_64 0
		.amdhsa_float_denorm_mode_32 3
		.amdhsa_float_denorm_mode_16_64 3
		.amdhsa_dx10_clamp 1
		.amdhsa_ieee_mode 1
		.amdhsa_fp16_overflow 0
		.amdhsa_tg_split 0
		.amdhsa_exception_fp_ieee_invalid_op 0
		.amdhsa_exception_fp_denorm_src 0
		.amdhsa_exception_fp_ieee_div_zero 0
		.amdhsa_exception_fp_ieee_overflow 0
		.amdhsa_exception_fp_ieee_underflow 0
		.amdhsa_exception_fp_ieee_inexact 0
		.amdhsa_exception_int_div_zero 0
	.end_amdhsa_kernel
	.section	.text._ZN7rocprim17ROCPRIM_400000_NS6detail17trampoline_kernelINS0_14default_configENS1_25partition_config_selectorILNS1_17partition_subalgoE1EjNS0_10empty_typeEbEEZZNS1_14partition_implILS5_1ELb0ES3_jN6thrust23THRUST_200600_302600_NS6detail15normal_iteratorINSA_10device_ptrIjEEEEPS6_NSA_18transform_iteratorI7is_evenIjESF_NSA_11use_defaultESK_EENS0_5tupleIJSF_SF_EEENSM_IJSG_SG_EEES6_PlJS6_EEE10hipError_tPvRmT3_T4_T5_T6_T7_T9_mT8_P12ihipStream_tbDpT10_ENKUlT_T0_E_clISt17integral_constantIbLb1EES18_IbLb0EEEEDaS14_S15_EUlS14_E_NS1_11comp_targetILNS1_3genE10ELNS1_11target_archE1200ELNS1_3gpuE4ELNS1_3repE0EEENS1_30default_config_static_selectorELNS0_4arch9wavefront6targetE1EEEvT1_,"axG",@progbits,_ZN7rocprim17ROCPRIM_400000_NS6detail17trampoline_kernelINS0_14default_configENS1_25partition_config_selectorILNS1_17partition_subalgoE1EjNS0_10empty_typeEbEEZZNS1_14partition_implILS5_1ELb0ES3_jN6thrust23THRUST_200600_302600_NS6detail15normal_iteratorINSA_10device_ptrIjEEEEPS6_NSA_18transform_iteratorI7is_evenIjESF_NSA_11use_defaultESK_EENS0_5tupleIJSF_SF_EEENSM_IJSG_SG_EEES6_PlJS6_EEE10hipError_tPvRmT3_T4_T5_T6_T7_T9_mT8_P12ihipStream_tbDpT10_ENKUlT_T0_E_clISt17integral_constantIbLb1EES18_IbLb0EEEEDaS14_S15_EUlS14_E_NS1_11comp_targetILNS1_3genE10ELNS1_11target_archE1200ELNS1_3gpuE4ELNS1_3repE0EEENS1_30default_config_static_selectorELNS0_4arch9wavefront6targetE1EEEvT1_,comdat
.Lfunc_end2256:
	.size	_ZN7rocprim17ROCPRIM_400000_NS6detail17trampoline_kernelINS0_14default_configENS1_25partition_config_selectorILNS1_17partition_subalgoE1EjNS0_10empty_typeEbEEZZNS1_14partition_implILS5_1ELb0ES3_jN6thrust23THRUST_200600_302600_NS6detail15normal_iteratorINSA_10device_ptrIjEEEEPS6_NSA_18transform_iteratorI7is_evenIjESF_NSA_11use_defaultESK_EENS0_5tupleIJSF_SF_EEENSM_IJSG_SG_EEES6_PlJS6_EEE10hipError_tPvRmT3_T4_T5_T6_T7_T9_mT8_P12ihipStream_tbDpT10_ENKUlT_T0_E_clISt17integral_constantIbLb1EES18_IbLb0EEEEDaS14_S15_EUlS14_E_NS1_11comp_targetILNS1_3genE10ELNS1_11target_archE1200ELNS1_3gpuE4ELNS1_3repE0EEENS1_30default_config_static_selectorELNS0_4arch9wavefront6targetE1EEEvT1_, .Lfunc_end2256-_ZN7rocprim17ROCPRIM_400000_NS6detail17trampoline_kernelINS0_14default_configENS1_25partition_config_selectorILNS1_17partition_subalgoE1EjNS0_10empty_typeEbEEZZNS1_14partition_implILS5_1ELb0ES3_jN6thrust23THRUST_200600_302600_NS6detail15normal_iteratorINSA_10device_ptrIjEEEEPS6_NSA_18transform_iteratorI7is_evenIjESF_NSA_11use_defaultESK_EENS0_5tupleIJSF_SF_EEENSM_IJSG_SG_EEES6_PlJS6_EEE10hipError_tPvRmT3_T4_T5_T6_T7_T9_mT8_P12ihipStream_tbDpT10_ENKUlT_T0_E_clISt17integral_constantIbLb1EES18_IbLb0EEEEDaS14_S15_EUlS14_E_NS1_11comp_targetILNS1_3genE10ELNS1_11target_archE1200ELNS1_3gpuE4ELNS1_3repE0EEENS1_30default_config_static_selectorELNS0_4arch9wavefront6targetE1EEEvT1_
                                        ; -- End function
	.section	.AMDGPU.csdata,"",@progbits
; Kernel info:
; codeLenInByte = 0
; NumSgprs: 4
; NumVgprs: 0
; NumAgprs: 0
; TotalNumVgprs: 0
; ScratchSize: 0
; MemoryBound: 0
; FloatMode: 240
; IeeeMode: 1
; LDSByteSize: 0 bytes/workgroup (compile time only)
; SGPRBlocks: 0
; VGPRBlocks: 0
; NumSGPRsForWavesPerEU: 4
; NumVGPRsForWavesPerEU: 1
; AccumOffset: 4
; Occupancy: 8
; WaveLimiterHint : 0
; COMPUTE_PGM_RSRC2:SCRATCH_EN: 0
; COMPUTE_PGM_RSRC2:USER_SGPR: 6
; COMPUTE_PGM_RSRC2:TRAP_HANDLER: 0
; COMPUTE_PGM_RSRC2:TGID_X_EN: 1
; COMPUTE_PGM_RSRC2:TGID_Y_EN: 0
; COMPUTE_PGM_RSRC2:TGID_Z_EN: 0
; COMPUTE_PGM_RSRC2:TIDIG_COMP_CNT: 0
; COMPUTE_PGM_RSRC3_GFX90A:ACCUM_OFFSET: 0
; COMPUTE_PGM_RSRC3_GFX90A:TG_SPLIT: 0
	.section	.text._ZN7rocprim17ROCPRIM_400000_NS6detail17trampoline_kernelINS0_14default_configENS1_25partition_config_selectorILNS1_17partition_subalgoE1EjNS0_10empty_typeEbEEZZNS1_14partition_implILS5_1ELb0ES3_jN6thrust23THRUST_200600_302600_NS6detail15normal_iteratorINSA_10device_ptrIjEEEEPS6_NSA_18transform_iteratorI7is_evenIjESF_NSA_11use_defaultESK_EENS0_5tupleIJSF_SF_EEENSM_IJSG_SG_EEES6_PlJS6_EEE10hipError_tPvRmT3_T4_T5_T6_T7_T9_mT8_P12ihipStream_tbDpT10_ENKUlT_T0_E_clISt17integral_constantIbLb1EES18_IbLb0EEEEDaS14_S15_EUlS14_E_NS1_11comp_targetILNS1_3genE9ELNS1_11target_archE1100ELNS1_3gpuE3ELNS1_3repE0EEENS1_30default_config_static_selectorELNS0_4arch9wavefront6targetE1EEEvT1_,"axG",@progbits,_ZN7rocprim17ROCPRIM_400000_NS6detail17trampoline_kernelINS0_14default_configENS1_25partition_config_selectorILNS1_17partition_subalgoE1EjNS0_10empty_typeEbEEZZNS1_14partition_implILS5_1ELb0ES3_jN6thrust23THRUST_200600_302600_NS6detail15normal_iteratorINSA_10device_ptrIjEEEEPS6_NSA_18transform_iteratorI7is_evenIjESF_NSA_11use_defaultESK_EENS0_5tupleIJSF_SF_EEENSM_IJSG_SG_EEES6_PlJS6_EEE10hipError_tPvRmT3_T4_T5_T6_T7_T9_mT8_P12ihipStream_tbDpT10_ENKUlT_T0_E_clISt17integral_constantIbLb1EES18_IbLb0EEEEDaS14_S15_EUlS14_E_NS1_11comp_targetILNS1_3genE9ELNS1_11target_archE1100ELNS1_3gpuE3ELNS1_3repE0EEENS1_30default_config_static_selectorELNS0_4arch9wavefront6targetE1EEEvT1_,comdat
	.protected	_ZN7rocprim17ROCPRIM_400000_NS6detail17trampoline_kernelINS0_14default_configENS1_25partition_config_selectorILNS1_17partition_subalgoE1EjNS0_10empty_typeEbEEZZNS1_14partition_implILS5_1ELb0ES3_jN6thrust23THRUST_200600_302600_NS6detail15normal_iteratorINSA_10device_ptrIjEEEEPS6_NSA_18transform_iteratorI7is_evenIjESF_NSA_11use_defaultESK_EENS0_5tupleIJSF_SF_EEENSM_IJSG_SG_EEES6_PlJS6_EEE10hipError_tPvRmT3_T4_T5_T6_T7_T9_mT8_P12ihipStream_tbDpT10_ENKUlT_T0_E_clISt17integral_constantIbLb1EES18_IbLb0EEEEDaS14_S15_EUlS14_E_NS1_11comp_targetILNS1_3genE9ELNS1_11target_archE1100ELNS1_3gpuE3ELNS1_3repE0EEENS1_30default_config_static_selectorELNS0_4arch9wavefront6targetE1EEEvT1_ ; -- Begin function _ZN7rocprim17ROCPRIM_400000_NS6detail17trampoline_kernelINS0_14default_configENS1_25partition_config_selectorILNS1_17partition_subalgoE1EjNS0_10empty_typeEbEEZZNS1_14partition_implILS5_1ELb0ES3_jN6thrust23THRUST_200600_302600_NS6detail15normal_iteratorINSA_10device_ptrIjEEEEPS6_NSA_18transform_iteratorI7is_evenIjESF_NSA_11use_defaultESK_EENS0_5tupleIJSF_SF_EEENSM_IJSG_SG_EEES6_PlJS6_EEE10hipError_tPvRmT3_T4_T5_T6_T7_T9_mT8_P12ihipStream_tbDpT10_ENKUlT_T0_E_clISt17integral_constantIbLb1EES18_IbLb0EEEEDaS14_S15_EUlS14_E_NS1_11comp_targetILNS1_3genE9ELNS1_11target_archE1100ELNS1_3gpuE3ELNS1_3repE0EEENS1_30default_config_static_selectorELNS0_4arch9wavefront6targetE1EEEvT1_
	.globl	_ZN7rocprim17ROCPRIM_400000_NS6detail17trampoline_kernelINS0_14default_configENS1_25partition_config_selectorILNS1_17partition_subalgoE1EjNS0_10empty_typeEbEEZZNS1_14partition_implILS5_1ELb0ES3_jN6thrust23THRUST_200600_302600_NS6detail15normal_iteratorINSA_10device_ptrIjEEEEPS6_NSA_18transform_iteratorI7is_evenIjESF_NSA_11use_defaultESK_EENS0_5tupleIJSF_SF_EEENSM_IJSG_SG_EEES6_PlJS6_EEE10hipError_tPvRmT3_T4_T5_T6_T7_T9_mT8_P12ihipStream_tbDpT10_ENKUlT_T0_E_clISt17integral_constantIbLb1EES18_IbLb0EEEEDaS14_S15_EUlS14_E_NS1_11comp_targetILNS1_3genE9ELNS1_11target_archE1100ELNS1_3gpuE3ELNS1_3repE0EEENS1_30default_config_static_selectorELNS0_4arch9wavefront6targetE1EEEvT1_
	.p2align	8
	.type	_ZN7rocprim17ROCPRIM_400000_NS6detail17trampoline_kernelINS0_14default_configENS1_25partition_config_selectorILNS1_17partition_subalgoE1EjNS0_10empty_typeEbEEZZNS1_14partition_implILS5_1ELb0ES3_jN6thrust23THRUST_200600_302600_NS6detail15normal_iteratorINSA_10device_ptrIjEEEEPS6_NSA_18transform_iteratorI7is_evenIjESF_NSA_11use_defaultESK_EENS0_5tupleIJSF_SF_EEENSM_IJSG_SG_EEES6_PlJS6_EEE10hipError_tPvRmT3_T4_T5_T6_T7_T9_mT8_P12ihipStream_tbDpT10_ENKUlT_T0_E_clISt17integral_constantIbLb1EES18_IbLb0EEEEDaS14_S15_EUlS14_E_NS1_11comp_targetILNS1_3genE9ELNS1_11target_archE1100ELNS1_3gpuE3ELNS1_3repE0EEENS1_30default_config_static_selectorELNS0_4arch9wavefront6targetE1EEEvT1_,@function
_ZN7rocprim17ROCPRIM_400000_NS6detail17trampoline_kernelINS0_14default_configENS1_25partition_config_selectorILNS1_17partition_subalgoE1EjNS0_10empty_typeEbEEZZNS1_14partition_implILS5_1ELb0ES3_jN6thrust23THRUST_200600_302600_NS6detail15normal_iteratorINSA_10device_ptrIjEEEEPS6_NSA_18transform_iteratorI7is_evenIjESF_NSA_11use_defaultESK_EENS0_5tupleIJSF_SF_EEENSM_IJSG_SG_EEES6_PlJS6_EEE10hipError_tPvRmT3_T4_T5_T6_T7_T9_mT8_P12ihipStream_tbDpT10_ENKUlT_T0_E_clISt17integral_constantIbLb1EES18_IbLb0EEEEDaS14_S15_EUlS14_E_NS1_11comp_targetILNS1_3genE9ELNS1_11target_archE1100ELNS1_3gpuE3ELNS1_3repE0EEENS1_30default_config_static_selectorELNS0_4arch9wavefront6targetE1EEEvT1_: ; @_ZN7rocprim17ROCPRIM_400000_NS6detail17trampoline_kernelINS0_14default_configENS1_25partition_config_selectorILNS1_17partition_subalgoE1EjNS0_10empty_typeEbEEZZNS1_14partition_implILS5_1ELb0ES3_jN6thrust23THRUST_200600_302600_NS6detail15normal_iteratorINSA_10device_ptrIjEEEEPS6_NSA_18transform_iteratorI7is_evenIjESF_NSA_11use_defaultESK_EENS0_5tupleIJSF_SF_EEENSM_IJSG_SG_EEES6_PlJS6_EEE10hipError_tPvRmT3_T4_T5_T6_T7_T9_mT8_P12ihipStream_tbDpT10_ENKUlT_T0_E_clISt17integral_constantIbLb1EES18_IbLb0EEEEDaS14_S15_EUlS14_E_NS1_11comp_targetILNS1_3genE9ELNS1_11target_archE1100ELNS1_3gpuE3ELNS1_3repE0EEENS1_30default_config_static_selectorELNS0_4arch9wavefront6targetE1EEEvT1_
; %bb.0:
	.section	.rodata,"a",@progbits
	.p2align	6, 0x0
	.amdhsa_kernel _ZN7rocprim17ROCPRIM_400000_NS6detail17trampoline_kernelINS0_14default_configENS1_25partition_config_selectorILNS1_17partition_subalgoE1EjNS0_10empty_typeEbEEZZNS1_14partition_implILS5_1ELb0ES3_jN6thrust23THRUST_200600_302600_NS6detail15normal_iteratorINSA_10device_ptrIjEEEEPS6_NSA_18transform_iteratorI7is_evenIjESF_NSA_11use_defaultESK_EENS0_5tupleIJSF_SF_EEENSM_IJSG_SG_EEES6_PlJS6_EEE10hipError_tPvRmT3_T4_T5_T6_T7_T9_mT8_P12ihipStream_tbDpT10_ENKUlT_T0_E_clISt17integral_constantIbLb1EES18_IbLb0EEEEDaS14_S15_EUlS14_E_NS1_11comp_targetILNS1_3genE9ELNS1_11target_archE1100ELNS1_3gpuE3ELNS1_3repE0EEENS1_30default_config_static_selectorELNS0_4arch9wavefront6targetE1EEEvT1_
		.amdhsa_group_segment_fixed_size 0
		.amdhsa_private_segment_fixed_size 0
		.amdhsa_kernarg_size 128
		.amdhsa_user_sgpr_count 6
		.amdhsa_user_sgpr_private_segment_buffer 1
		.amdhsa_user_sgpr_dispatch_ptr 0
		.amdhsa_user_sgpr_queue_ptr 0
		.amdhsa_user_sgpr_kernarg_segment_ptr 1
		.amdhsa_user_sgpr_dispatch_id 0
		.amdhsa_user_sgpr_flat_scratch_init 0
		.amdhsa_user_sgpr_kernarg_preload_length 0
		.amdhsa_user_sgpr_kernarg_preload_offset 0
		.amdhsa_user_sgpr_private_segment_size 0
		.amdhsa_uses_dynamic_stack 0
		.amdhsa_system_sgpr_private_segment_wavefront_offset 0
		.amdhsa_system_sgpr_workgroup_id_x 1
		.amdhsa_system_sgpr_workgroup_id_y 0
		.amdhsa_system_sgpr_workgroup_id_z 0
		.amdhsa_system_sgpr_workgroup_info 0
		.amdhsa_system_vgpr_workitem_id 0
		.amdhsa_next_free_vgpr 1
		.amdhsa_next_free_sgpr 0
		.amdhsa_accum_offset 4
		.amdhsa_reserve_vcc 0
		.amdhsa_reserve_flat_scratch 0
		.amdhsa_float_round_mode_32 0
		.amdhsa_float_round_mode_16_64 0
		.amdhsa_float_denorm_mode_32 3
		.amdhsa_float_denorm_mode_16_64 3
		.amdhsa_dx10_clamp 1
		.amdhsa_ieee_mode 1
		.amdhsa_fp16_overflow 0
		.amdhsa_tg_split 0
		.amdhsa_exception_fp_ieee_invalid_op 0
		.amdhsa_exception_fp_denorm_src 0
		.amdhsa_exception_fp_ieee_div_zero 0
		.amdhsa_exception_fp_ieee_overflow 0
		.amdhsa_exception_fp_ieee_underflow 0
		.amdhsa_exception_fp_ieee_inexact 0
		.amdhsa_exception_int_div_zero 0
	.end_amdhsa_kernel
	.section	.text._ZN7rocprim17ROCPRIM_400000_NS6detail17trampoline_kernelINS0_14default_configENS1_25partition_config_selectorILNS1_17partition_subalgoE1EjNS0_10empty_typeEbEEZZNS1_14partition_implILS5_1ELb0ES3_jN6thrust23THRUST_200600_302600_NS6detail15normal_iteratorINSA_10device_ptrIjEEEEPS6_NSA_18transform_iteratorI7is_evenIjESF_NSA_11use_defaultESK_EENS0_5tupleIJSF_SF_EEENSM_IJSG_SG_EEES6_PlJS6_EEE10hipError_tPvRmT3_T4_T5_T6_T7_T9_mT8_P12ihipStream_tbDpT10_ENKUlT_T0_E_clISt17integral_constantIbLb1EES18_IbLb0EEEEDaS14_S15_EUlS14_E_NS1_11comp_targetILNS1_3genE9ELNS1_11target_archE1100ELNS1_3gpuE3ELNS1_3repE0EEENS1_30default_config_static_selectorELNS0_4arch9wavefront6targetE1EEEvT1_,"axG",@progbits,_ZN7rocprim17ROCPRIM_400000_NS6detail17trampoline_kernelINS0_14default_configENS1_25partition_config_selectorILNS1_17partition_subalgoE1EjNS0_10empty_typeEbEEZZNS1_14partition_implILS5_1ELb0ES3_jN6thrust23THRUST_200600_302600_NS6detail15normal_iteratorINSA_10device_ptrIjEEEEPS6_NSA_18transform_iteratorI7is_evenIjESF_NSA_11use_defaultESK_EENS0_5tupleIJSF_SF_EEENSM_IJSG_SG_EEES6_PlJS6_EEE10hipError_tPvRmT3_T4_T5_T6_T7_T9_mT8_P12ihipStream_tbDpT10_ENKUlT_T0_E_clISt17integral_constantIbLb1EES18_IbLb0EEEEDaS14_S15_EUlS14_E_NS1_11comp_targetILNS1_3genE9ELNS1_11target_archE1100ELNS1_3gpuE3ELNS1_3repE0EEENS1_30default_config_static_selectorELNS0_4arch9wavefront6targetE1EEEvT1_,comdat
.Lfunc_end2257:
	.size	_ZN7rocprim17ROCPRIM_400000_NS6detail17trampoline_kernelINS0_14default_configENS1_25partition_config_selectorILNS1_17partition_subalgoE1EjNS0_10empty_typeEbEEZZNS1_14partition_implILS5_1ELb0ES3_jN6thrust23THRUST_200600_302600_NS6detail15normal_iteratorINSA_10device_ptrIjEEEEPS6_NSA_18transform_iteratorI7is_evenIjESF_NSA_11use_defaultESK_EENS0_5tupleIJSF_SF_EEENSM_IJSG_SG_EEES6_PlJS6_EEE10hipError_tPvRmT3_T4_T5_T6_T7_T9_mT8_P12ihipStream_tbDpT10_ENKUlT_T0_E_clISt17integral_constantIbLb1EES18_IbLb0EEEEDaS14_S15_EUlS14_E_NS1_11comp_targetILNS1_3genE9ELNS1_11target_archE1100ELNS1_3gpuE3ELNS1_3repE0EEENS1_30default_config_static_selectorELNS0_4arch9wavefront6targetE1EEEvT1_, .Lfunc_end2257-_ZN7rocprim17ROCPRIM_400000_NS6detail17trampoline_kernelINS0_14default_configENS1_25partition_config_selectorILNS1_17partition_subalgoE1EjNS0_10empty_typeEbEEZZNS1_14partition_implILS5_1ELb0ES3_jN6thrust23THRUST_200600_302600_NS6detail15normal_iteratorINSA_10device_ptrIjEEEEPS6_NSA_18transform_iteratorI7is_evenIjESF_NSA_11use_defaultESK_EENS0_5tupleIJSF_SF_EEENSM_IJSG_SG_EEES6_PlJS6_EEE10hipError_tPvRmT3_T4_T5_T6_T7_T9_mT8_P12ihipStream_tbDpT10_ENKUlT_T0_E_clISt17integral_constantIbLb1EES18_IbLb0EEEEDaS14_S15_EUlS14_E_NS1_11comp_targetILNS1_3genE9ELNS1_11target_archE1100ELNS1_3gpuE3ELNS1_3repE0EEENS1_30default_config_static_selectorELNS0_4arch9wavefront6targetE1EEEvT1_
                                        ; -- End function
	.section	.AMDGPU.csdata,"",@progbits
; Kernel info:
; codeLenInByte = 0
; NumSgprs: 4
; NumVgprs: 0
; NumAgprs: 0
; TotalNumVgprs: 0
; ScratchSize: 0
; MemoryBound: 0
; FloatMode: 240
; IeeeMode: 1
; LDSByteSize: 0 bytes/workgroup (compile time only)
; SGPRBlocks: 0
; VGPRBlocks: 0
; NumSGPRsForWavesPerEU: 4
; NumVGPRsForWavesPerEU: 1
; AccumOffset: 4
; Occupancy: 8
; WaveLimiterHint : 0
; COMPUTE_PGM_RSRC2:SCRATCH_EN: 0
; COMPUTE_PGM_RSRC2:USER_SGPR: 6
; COMPUTE_PGM_RSRC2:TRAP_HANDLER: 0
; COMPUTE_PGM_RSRC2:TGID_X_EN: 1
; COMPUTE_PGM_RSRC2:TGID_Y_EN: 0
; COMPUTE_PGM_RSRC2:TGID_Z_EN: 0
; COMPUTE_PGM_RSRC2:TIDIG_COMP_CNT: 0
; COMPUTE_PGM_RSRC3_GFX90A:ACCUM_OFFSET: 0
; COMPUTE_PGM_RSRC3_GFX90A:TG_SPLIT: 0
	.section	.text._ZN7rocprim17ROCPRIM_400000_NS6detail17trampoline_kernelINS0_14default_configENS1_25partition_config_selectorILNS1_17partition_subalgoE1EjNS0_10empty_typeEbEEZZNS1_14partition_implILS5_1ELb0ES3_jN6thrust23THRUST_200600_302600_NS6detail15normal_iteratorINSA_10device_ptrIjEEEEPS6_NSA_18transform_iteratorI7is_evenIjESF_NSA_11use_defaultESK_EENS0_5tupleIJSF_SF_EEENSM_IJSG_SG_EEES6_PlJS6_EEE10hipError_tPvRmT3_T4_T5_T6_T7_T9_mT8_P12ihipStream_tbDpT10_ENKUlT_T0_E_clISt17integral_constantIbLb1EES18_IbLb0EEEEDaS14_S15_EUlS14_E_NS1_11comp_targetILNS1_3genE8ELNS1_11target_archE1030ELNS1_3gpuE2ELNS1_3repE0EEENS1_30default_config_static_selectorELNS0_4arch9wavefront6targetE1EEEvT1_,"axG",@progbits,_ZN7rocprim17ROCPRIM_400000_NS6detail17trampoline_kernelINS0_14default_configENS1_25partition_config_selectorILNS1_17partition_subalgoE1EjNS0_10empty_typeEbEEZZNS1_14partition_implILS5_1ELb0ES3_jN6thrust23THRUST_200600_302600_NS6detail15normal_iteratorINSA_10device_ptrIjEEEEPS6_NSA_18transform_iteratorI7is_evenIjESF_NSA_11use_defaultESK_EENS0_5tupleIJSF_SF_EEENSM_IJSG_SG_EEES6_PlJS6_EEE10hipError_tPvRmT3_T4_T5_T6_T7_T9_mT8_P12ihipStream_tbDpT10_ENKUlT_T0_E_clISt17integral_constantIbLb1EES18_IbLb0EEEEDaS14_S15_EUlS14_E_NS1_11comp_targetILNS1_3genE8ELNS1_11target_archE1030ELNS1_3gpuE2ELNS1_3repE0EEENS1_30default_config_static_selectorELNS0_4arch9wavefront6targetE1EEEvT1_,comdat
	.protected	_ZN7rocprim17ROCPRIM_400000_NS6detail17trampoline_kernelINS0_14default_configENS1_25partition_config_selectorILNS1_17partition_subalgoE1EjNS0_10empty_typeEbEEZZNS1_14partition_implILS5_1ELb0ES3_jN6thrust23THRUST_200600_302600_NS6detail15normal_iteratorINSA_10device_ptrIjEEEEPS6_NSA_18transform_iteratorI7is_evenIjESF_NSA_11use_defaultESK_EENS0_5tupleIJSF_SF_EEENSM_IJSG_SG_EEES6_PlJS6_EEE10hipError_tPvRmT3_T4_T5_T6_T7_T9_mT8_P12ihipStream_tbDpT10_ENKUlT_T0_E_clISt17integral_constantIbLb1EES18_IbLb0EEEEDaS14_S15_EUlS14_E_NS1_11comp_targetILNS1_3genE8ELNS1_11target_archE1030ELNS1_3gpuE2ELNS1_3repE0EEENS1_30default_config_static_selectorELNS0_4arch9wavefront6targetE1EEEvT1_ ; -- Begin function _ZN7rocprim17ROCPRIM_400000_NS6detail17trampoline_kernelINS0_14default_configENS1_25partition_config_selectorILNS1_17partition_subalgoE1EjNS0_10empty_typeEbEEZZNS1_14partition_implILS5_1ELb0ES3_jN6thrust23THRUST_200600_302600_NS6detail15normal_iteratorINSA_10device_ptrIjEEEEPS6_NSA_18transform_iteratorI7is_evenIjESF_NSA_11use_defaultESK_EENS0_5tupleIJSF_SF_EEENSM_IJSG_SG_EEES6_PlJS6_EEE10hipError_tPvRmT3_T4_T5_T6_T7_T9_mT8_P12ihipStream_tbDpT10_ENKUlT_T0_E_clISt17integral_constantIbLb1EES18_IbLb0EEEEDaS14_S15_EUlS14_E_NS1_11comp_targetILNS1_3genE8ELNS1_11target_archE1030ELNS1_3gpuE2ELNS1_3repE0EEENS1_30default_config_static_selectorELNS0_4arch9wavefront6targetE1EEEvT1_
	.globl	_ZN7rocprim17ROCPRIM_400000_NS6detail17trampoline_kernelINS0_14default_configENS1_25partition_config_selectorILNS1_17partition_subalgoE1EjNS0_10empty_typeEbEEZZNS1_14partition_implILS5_1ELb0ES3_jN6thrust23THRUST_200600_302600_NS6detail15normal_iteratorINSA_10device_ptrIjEEEEPS6_NSA_18transform_iteratorI7is_evenIjESF_NSA_11use_defaultESK_EENS0_5tupleIJSF_SF_EEENSM_IJSG_SG_EEES6_PlJS6_EEE10hipError_tPvRmT3_T4_T5_T6_T7_T9_mT8_P12ihipStream_tbDpT10_ENKUlT_T0_E_clISt17integral_constantIbLb1EES18_IbLb0EEEEDaS14_S15_EUlS14_E_NS1_11comp_targetILNS1_3genE8ELNS1_11target_archE1030ELNS1_3gpuE2ELNS1_3repE0EEENS1_30default_config_static_selectorELNS0_4arch9wavefront6targetE1EEEvT1_
	.p2align	8
	.type	_ZN7rocprim17ROCPRIM_400000_NS6detail17trampoline_kernelINS0_14default_configENS1_25partition_config_selectorILNS1_17partition_subalgoE1EjNS0_10empty_typeEbEEZZNS1_14partition_implILS5_1ELb0ES3_jN6thrust23THRUST_200600_302600_NS6detail15normal_iteratorINSA_10device_ptrIjEEEEPS6_NSA_18transform_iteratorI7is_evenIjESF_NSA_11use_defaultESK_EENS0_5tupleIJSF_SF_EEENSM_IJSG_SG_EEES6_PlJS6_EEE10hipError_tPvRmT3_T4_T5_T6_T7_T9_mT8_P12ihipStream_tbDpT10_ENKUlT_T0_E_clISt17integral_constantIbLb1EES18_IbLb0EEEEDaS14_S15_EUlS14_E_NS1_11comp_targetILNS1_3genE8ELNS1_11target_archE1030ELNS1_3gpuE2ELNS1_3repE0EEENS1_30default_config_static_selectorELNS0_4arch9wavefront6targetE1EEEvT1_,@function
_ZN7rocprim17ROCPRIM_400000_NS6detail17trampoline_kernelINS0_14default_configENS1_25partition_config_selectorILNS1_17partition_subalgoE1EjNS0_10empty_typeEbEEZZNS1_14partition_implILS5_1ELb0ES3_jN6thrust23THRUST_200600_302600_NS6detail15normal_iteratorINSA_10device_ptrIjEEEEPS6_NSA_18transform_iteratorI7is_evenIjESF_NSA_11use_defaultESK_EENS0_5tupleIJSF_SF_EEENSM_IJSG_SG_EEES6_PlJS6_EEE10hipError_tPvRmT3_T4_T5_T6_T7_T9_mT8_P12ihipStream_tbDpT10_ENKUlT_T0_E_clISt17integral_constantIbLb1EES18_IbLb0EEEEDaS14_S15_EUlS14_E_NS1_11comp_targetILNS1_3genE8ELNS1_11target_archE1030ELNS1_3gpuE2ELNS1_3repE0EEENS1_30default_config_static_selectorELNS0_4arch9wavefront6targetE1EEEvT1_: ; @_ZN7rocprim17ROCPRIM_400000_NS6detail17trampoline_kernelINS0_14default_configENS1_25partition_config_selectorILNS1_17partition_subalgoE1EjNS0_10empty_typeEbEEZZNS1_14partition_implILS5_1ELb0ES3_jN6thrust23THRUST_200600_302600_NS6detail15normal_iteratorINSA_10device_ptrIjEEEEPS6_NSA_18transform_iteratorI7is_evenIjESF_NSA_11use_defaultESK_EENS0_5tupleIJSF_SF_EEENSM_IJSG_SG_EEES6_PlJS6_EEE10hipError_tPvRmT3_T4_T5_T6_T7_T9_mT8_P12ihipStream_tbDpT10_ENKUlT_T0_E_clISt17integral_constantIbLb1EES18_IbLb0EEEEDaS14_S15_EUlS14_E_NS1_11comp_targetILNS1_3genE8ELNS1_11target_archE1030ELNS1_3gpuE2ELNS1_3repE0EEENS1_30default_config_static_selectorELNS0_4arch9wavefront6targetE1EEEvT1_
; %bb.0:
	.section	.rodata,"a",@progbits
	.p2align	6, 0x0
	.amdhsa_kernel _ZN7rocprim17ROCPRIM_400000_NS6detail17trampoline_kernelINS0_14default_configENS1_25partition_config_selectorILNS1_17partition_subalgoE1EjNS0_10empty_typeEbEEZZNS1_14partition_implILS5_1ELb0ES3_jN6thrust23THRUST_200600_302600_NS6detail15normal_iteratorINSA_10device_ptrIjEEEEPS6_NSA_18transform_iteratorI7is_evenIjESF_NSA_11use_defaultESK_EENS0_5tupleIJSF_SF_EEENSM_IJSG_SG_EEES6_PlJS6_EEE10hipError_tPvRmT3_T4_T5_T6_T7_T9_mT8_P12ihipStream_tbDpT10_ENKUlT_T0_E_clISt17integral_constantIbLb1EES18_IbLb0EEEEDaS14_S15_EUlS14_E_NS1_11comp_targetILNS1_3genE8ELNS1_11target_archE1030ELNS1_3gpuE2ELNS1_3repE0EEENS1_30default_config_static_selectorELNS0_4arch9wavefront6targetE1EEEvT1_
		.amdhsa_group_segment_fixed_size 0
		.amdhsa_private_segment_fixed_size 0
		.amdhsa_kernarg_size 128
		.amdhsa_user_sgpr_count 6
		.amdhsa_user_sgpr_private_segment_buffer 1
		.amdhsa_user_sgpr_dispatch_ptr 0
		.amdhsa_user_sgpr_queue_ptr 0
		.amdhsa_user_sgpr_kernarg_segment_ptr 1
		.amdhsa_user_sgpr_dispatch_id 0
		.amdhsa_user_sgpr_flat_scratch_init 0
		.amdhsa_user_sgpr_kernarg_preload_length 0
		.amdhsa_user_sgpr_kernarg_preload_offset 0
		.amdhsa_user_sgpr_private_segment_size 0
		.amdhsa_uses_dynamic_stack 0
		.amdhsa_system_sgpr_private_segment_wavefront_offset 0
		.amdhsa_system_sgpr_workgroup_id_x 1
		.amdhsa_system_sgpr_workgroup_id_y 0
		.amdhsa_system_sgpr_workgroup_id_z 0
		.amdhsa_system_sgpr_workgroup_info 0
		.amdhsa_system_vgpr_workitem_id 0
		.amdhsa_next_free_vgpr 1
		.amdhsa_next_free_sgpr 0
		.amdhsa_accum_offset 4
		.amdhsa_reserve_vcc 0
		.amdhsa_reserve_flat_scratch 0
		.amdhsa_float_round_mode_32 0
		.amdhsa_float_round_mode_16_64 0
		.amdhsa_float_denorm_mode_32 3
		.amdhsa_float_denorm_mode_16_64 3
		.amdhsa_dx10_clamp 1
		.amdhsa_ieee_mode 1
		.amdhsa_fp16_overflow 0
		.amdhsa_tg_split 0
		.amdhsa_exception_fp_ieee_invalid_op 0
		.amdhsa_exception_fp_denorm_src 0
		.amdhsa_exception_fp_ieee_div_zero 0
		.amdhsa_exception_fp_ieee_overflow 0
		.amdhsa_exception_fp_ieee_underflow 0
		.amdhsa_exception_fp_ieee_inexact 0
		.amdhsa_exception_int_div_zero 0
	.end_amdhsa_kernel
	.section	.text._ZN7rocprim17ROCPRIM_400000_NS6detail17trampoline_kernelINS0_14default_configENS1_25partition_config_selectorILNS1_17partition_subalgoE1EjNS0_10empty_typeEbEEZZNS1_14partition_implILS5_1ELb0ES3_jN6thrust23THRUST_200600_302600_NS6detail15normal_iteratorINSA_10device_ptrIjEEEEPS6_NSA_18transform_iteratorI7is_evenIjESF_NSA_11use_defaultESK_EENS0_5tupleIJSF_SF_EEENSM_IJSG_SG_EEES6_PlJS6_EEE10hipError_tPvRmT3_T4_T5_T6_T7_T9_mT8_P12ihipStream_tbDpT10_ENKUlT_T0_E_clISt17integral_constantIbLb1EES18_IbLb0EEEEDaS14_S15_EUlS14_E_NS1_11comp_targetILNS1_3genE8ELNS1_11target_archE1030ELNS1_3gpuE2ELNS1_3repE0EEENS1_30default_config_static_selectorELNS0_4arch9wavefront6targetE1EEEvT1_,"axG",@progbits,_ZN7rocprim17ROCPRIM_400000_NS6detail17trampoline_kernelINS0_14default_configENS1_25partition_config_selectorILNS1_17partition_subalgoE1EjNS0_10empty_typeEbEEZZNS1_14partition_implILS5_1ELb0ES3_jN6thrust23THRUST_200600_302600_NS6detail15normal_iteratorINSA_10device_ptrIjEEEEPS6_NSA_18transform_iteratorI7is_evenIjESF_NSA_11use_defaultESK_EENS0_5tupleIJSF_SF_EEENSM_IJSG_SG_EEES6_PlJS6_EEE10hipError_tPvRmT3_T4_T5_T6_T7_T9_mT8_P12ihipStream_tbDpT10_ENKUlT_T0_E_clISt17integral_constantIbLb1EES18_IbLb0EEEEDaS14_S15_EUlS14_E_NS1_11comp_targetILNS1_3genE8ELNS1_11target_archE1030ELNS1_3gpuE2ELNS1_3repE0EEENS1_30default_config_static_selectorELNS0_4arch9wavefront6targetE1EEEvT1_,comdat
.Lfunc_end2258:
	.size	_ZN7rocprim17ROCPRIM_400000_NS6detail17trampoline_kernelINS0_14default_configENS1_25partition_config_selectorILNS1_17partition_subalgoE1EjNS0_10empty_typeEbEEZZNS1_14partition_implILS5_1ELb0ES3_jN6thrust23THRUST_200600_302600_NS6detail15normal_iteratorINSA_10device_ptrIjEEEEPS6_NSA_18transform_iteratorI7is_evenIjESF_NSA_11use_defaultESK_EENS0_5tupleIJSF_SF_EEENSM_IJSG_SG_EEES6_PlJS6_EEE10hipError_tPvRmT3_T4_T5_T6_T7_T9_mT8_P12ihipStream_tbDpT10_ENKUlT_T0_E_clISt17integral_constantIbLb1EES18_IbLb0EEEEDaS14_S15_EUlS14_E_NS1_11comp_targetILNS1_3genE8ELNS1_11target_archE1030ELNS1_3gpuE2ELNS1_3repE0EEENS1_30default_config_static_selectorELNS0_4arch9wavefront6targetE1EEEvT1_, .Lfunc_end2258-_ZN7rocprim17ROCPRIM_400000_NS6detail17trampoline_kernelINS0_14default_configENS1_25partition_config_selectorILNS1_17partition_subalgoE1EjNS0_10empty_typeEbEEZZNS1_14partition_implILS5_1ELb0ES3_jN6thrust23THRUST_200600_302600_NS6detail15normal_iteratorINSA_10device_ptrIjEEEEPS6_NSA_18transform_iteratorI7is_evenIjESF_NSA_11use_defaultESK_EENS0_5tupleIJSF_SF_EEENSM_IJSG_SG_EEES6_PlJS6_EEE10hipError_tPvRmT3_T4_T5_T6_T7_T9_mT8_P12ihipStream_tbDpT10_ENKUlT_T0_E_clISt17integral_constantIbLb1EES18_IbLb0EEEEDaS14_S15_EUlS14_E_NS1_11comp_targetILNS1_3genE8ELNS1_11target_archE1030ELNS1_3gpuE2ELNS1_3repE0EEENS1_30default_config_static_selectorELNS0_4arch9wavefront6targetE1EEEvT1_
                                        ; -- End function
	.section	.AMDGPU.csdata,"",@progbits
; Kernel info:
; codeLenInByte = 0
; NumSgprs: 4
; NumVgprs: 0
; NumAgprs: 0
; TotalNumVgprs: 0
; ScratchSize: 0
; MemoryBound: 0
; FloatMode: 240
; IeeeMode: 1
; LDSByteSize: 0 bytes/workgroup (compile time only)
; SGPRBlocks: 0
; VGPRBlocks: 0
; NumSGPRsForWavesPerEU: 4
; NumVGPRsForWavesPerEU: 1
; AccumOffset: 4
; Occupancy: 8
; WaveLimiterHint : 0
; COMPUTE_PGM_RSRC2:SCRATCH_EN: 0
; COMPUTE_PGM_RSRC2:USER_SGPR: 6
; COMPUTE_PGM_RSRC2:TRAP_HANDLER: 0
; COMPUTE_PGM_RSRC2:TGID_X_EN: 1
; COMPUTE_PGM_RSRC2:TGID_Y_EN: 0
; COMPUTE_PGM_RSRC2:TGID_Z_EN: 0
; COMPUTE_PGM_RSRC2:TIDIG_COMP_CNT: 0
; COMPUTE_PGM_RSRC3_GFX90A:ACCUM_OFFSET: 0
; COMPUTE_PGM_RSRC3_GFX90A:TG_SPLIT: 0
	.section	.text._ZN7rocprim17ROCPRIM_400000_NS6detail17trampoline_kernelINS0_14default_configENS1_25partition_config_selectorILNS1_17partition_subalgoE1EjNS0_10empty_typeEbEEZZNS1_14partition_implILS5_1ELb0ES3_jN6thrust23THRUST_200600_302600_NS6detail15normal_iteratorINSA_10device_ptrIjEEEEPS6_NSA_18transform_iteratorI7is_evenIjESF_NSA_11use_defaultESK_EENS0_5tupleIJSF_SF_EEENSM_IJSG_SG_EEES6_PlJS6_EEE10hipError_tPvRmT3_T4_T5_T6_T7_T9_mT8_P12ihipStream_tbDpT10_ENKUlT_T0_E_clISt17integral_constantIbLb0EES18_IbLb1EEEEDaS14_S15_EUlS14_E_NS1_11comp_targetILNS1_3genE0ELNS1_11target_archE4294967295ELNS1_3gpuE0ELNS1_3repE0EEENS1_30default_config_static_selectorELNS0_4arch9wavefront6targetE1EEEvT1_,"axG",@progbits,_ZN7rocprim17ROCPRIM_400000_NS6detail17trampoline_kernelINS0_14default_configENS1_25partition_config_selectorILNS1_17partition_subalgoE1EjNS0_10empty_typeEbEEZZNS1_14partition_implILS5_1ELb0ES3_jN6thrust23THRUST_200600_302600_NS6detail15normal_iteratorINSA_10device_ptrIjEEEEPS6_NSA_18transform_iteratorI7is_evenIjESF_NSA_11use_defaultESK_EENS0_5tupleIJSF_SF_EEENSM_IJSG_SG_EEES6_PlJS6_EEE10hipError_tPvRmT3_T4_T5_T6_T7_T9_mT8_P12ihipStream_tbDpT10_ENKUlT_T0_E_clISt17integral_constantIbLb0EES18_IbLb1EEEEDaS14_S15_EUlS14_E_NS1_11comp_targetILNS1_3genE0ELNS1_11target_archE4294967295ELNS1_3gpuE0ELNS1_3repE0EEENS1_30default_config_static_selectorELNS0_4arch9wavefront6targetE1EEEvT1_,comdat
	.protected	_ZN7rocprim17ROCPRIM_400000_NS6detail17trampoline_kernelINS0_14default_configENS1_25partition_config_selectorILNS1_17partition_subalgoE1EjNS0_10empty_typeEbEEZZNS1_14partition_implILS5_1ELb0ES3_jN6thrust23THRUST_200600_302600_NS6detail15normal_iteratorINSA_10device_ptrIjEEEEPS6_NSA_18transform_iteratorI7is_evenIjESF_NSA_11use_defaultESK_EENS0_5tupleIJSF_SF_EEENSM_IJSG_SG_EEES6_PlJS6_EEE10hipError_tPvRmT3_T4_T5_T6_T7_T9_mT8_P12ihipStream_tbDpT10_ENKUlT_T0_E_clISt17integral_constantIbLb0EES18_IbLb1EEEEDaS14_S15_EUlS14_E_NS1_11comp_targetILNS1_3genE0ELNS1_11target_archE4294967295ELNS1_3gpuE0ELNS1_3repE0EEENS1_30default_config_static_selectorELNS0_4arch9wavefront6targetE1EEEvT1_ ; -- Begin function _ZN7rocprim17ROCPRIM_400000_NS6detail17trampoline_kernelINS0_14default_configENS1_25partition_config_selectorILNS1_17partition_subalgoE1EjNS0_10empty_typeEbEEZZNS1_14partition_implILS5_1ELb0ES3_jN6thrust23THRUST_200600_302600_NS6detail15normal_iteratorINSA_10device_ptrIjEEEEPS6_NSA_18transform_iteratorI7is_evenIjESF_NSA_11use_defaultESK_EENS0_5tupleIJSF_SF_EEENSM_IJSG_SG_EEES6_PlJS6_EEE10hipError_tPvRmT3_T4_T5_T6_T7_T9_mT8_P12ihipStream_tbDpT10_ENKUlT_T0_E_clISt17integral_constantIbLb0EES18_IbLb1EEEEDaS14_S15_EUlS14_E_NS1_11comp_targetILNS1_3genE0ELNS1_11target_archE4294967295ELNS1_3gpuE0ELNS1_3repE0EEENS1_30default_config_static_selectorELNS0_4arch9wavefront6targetE1EEEvT1_
	.globl	_ZN7rocprim17ROCPRIM_400000_NS6detail17trampoline_kernelINS0_14default_configENS1_25partition_config_selectorILNS1_17partition_subalgoE1EjNS0_10empty_typeEbEEZZNS1_14partition_implILS5_1ELb0ES3_jN6thrust23THRUST_200600_302600_NS6detail15normal_iteratorINSA_10device_ptrIjEEEEPS6_NSA_18transform_iteratorI7is_evenIjESF_NSA_11use_defaultESK_EENS0_5tupleIJSF_SF_EEENSM_IJSG_SG_EEES6_PlJS6_EEE10hipError_tPvRmT3_T4_T5_T6_T7_T9_mT8_P12ihipStream_tbDpT10_ENKUlT_T0_E_clISt17integral_constantIbLb0EES18_IbLb1EEEEDaS14_S15_EUlS14_E_NS1_11comp_targetILNS1_3genE0ELNS1_11target_archE4294967295ELNS1_3gpuE0ELNS1_3repE0EEENS1_30default_config_static_selectorELNS0_4arch9wavefront6targetE1EEEvT1_
	.p2align	8
	.type	_ZN7rocprim17ROCPRIM_400000_NS6detail17trampoline_kernelINS0_14default_configENS1_25partition_config_selectorILNS1_17partition_subalgoE1EjNS0_10empty_typeEbEEZZNS1_14partition_implILS5_1ELb0ES3_jN6thrust23THRUST_200600_302600_NS6detail15normal_iteratorINSA_10device_ptrIjEEEEPS6_NSA_18transform_iteratorI7is_evenIjESF_NSA_11use_defaultESK_EENS0_5tupleIJSF_SF_EEENSM_IJSG_SG_EEES6_PlJS6_EEE10hipError_tPvRmT3_T4_T5_T6_T7_T9_mT8_P12ihipStream_tbDpT10_ENKUlT_T0_E_clISt17integral_constantIbLb0EES18_IbLb1EEEEDaS14_S15_EUlS14_E_NS1_11comp_targetILNS1_3genE0ELNS1_11target_archE4294967295ELNS1_3gpuE0ELNS1_3repE0EEENS1_30default_config_static_selectorELNS0_4arch9wavefront6targetE1EEEvT1_,@function
_ZN7rocprim17ROCPRIM_400000_NS6detail17trampoline_kernelINS0_14default_configENS1_25partition_config_selectorILNS1_17partition_subalgoE1EjNS0_10empty_typeEbEEZZNS1_14partition_implILS5_1ELb0ES3_jN6thrust23THRUST_200600_302600_NS6detail15normal_iteratorINSA_10device_ptrIjEEEEPS6_NSA_18transform_iteratorI7is_evenIjESF_NSA_11use_defaultESK_EENS0_5tupleIJSF_SF_EEENSM_IJSG_SG_EEES6_PlJS6_EEE10hipError_tPvRmT3_T4_T5_T6_T7_T9_mT8_P12ihipStream_tbDpT10_ENKUlT_T0_E_clISt17integral_constantIbLb0EES18_IbLb1EEEEDaS14_S15_EUlS14_E_NS1_11comp_targetILNS1_3genE0ELNS1_11target_archE4294967295ELNS1_3gpuE0ELNS1_3repE0EEENS1_30default_config_static_selectorELNS0_4arch9wavefront6targetE1EEEvT1_: ; @_ZN7rocprim17ROCPRIM_400000_NS6detail17trampoline_kernelINS0_14default_configENS1_25partition_config_selectorILNS1_17partition_subalgoE1EjNS0_10empty_typeEbEEZZNS1_14partition_implILS5_1ELb0ES3_jN6thrust23THRUST_200600_302600_NS6detail15normal_iteratorINSA_10device_ptrIjEEEEPS6_NSA_18transform_iteratorI7is_evenIjESF_NSA_11use_defaultESK_EENS0_5tupleIJSF_SF_EEENSM_IJSG_SG_EEES6_PlJS6_EEE10hipError_tPvRmT3_T4_T5_T6_T7_T9_mT8_P12ihipStream_tbDpT10_ENKUlT_T0_E_clISt17integral_constantIbLb0EES18_IbLb1EEEEDaS14_S15_EUlS14_E_NS1_11comp_targetILNS1_3genE0ELNS1_11target_archE4294967295ELNS1_3gpuE0ELNS1_3repE0EEENS1_30default_config_static_selectorELNS0_4arch9wavefront6targetE1EEEvT1_
; %bb.0:
	.section	.rodata,"a",@progbits
	.p2align	6, 0x0
	.amdhsa_kernel _ZN7rocprim17ROCPRIM_400000_NS6detail17trampoline_kernelINS0_14default_configENS1_25partition_config_selectorILNS1_17partition_subalgoE1EjNS0_10empty_typeEbEEZZNS1_14partition_implILS5_1ELb0ES3_jN6thrust23THRUST_200600_302600_NS6detail15normal_iteratorINSA_10device_ptrIjEEEEPS6_NSA_18transform_iteratorI7is_evenIjESF_NSA_11use_defaultESK_EENS0_5tupleIJSF_SF_EEENSM_IJSG_SG_EEES6_PlJS6_EEE10hipError_tPvRmT3_T4_T5_T6_T7_T9_mT8_P12ihipStream_tbDpT10_ENKUlT_T0_E_clISt17integral_constantIbLb0EES18_IbLb1EEEEDaS14_S15_EUlS14_E_NS1_11comp_targetILNS1_3genE0ELNS1_11target_archE4294967295ELNS1_3gpuE0ELNS1_3repE0EEENS1_30default_config_static_selectorELNS0_4arch9wavefront6targetE1EEEvT1_
		.amdhsa_group_segment_fixed_size 0
		.amdhsa_private_segment_fixed_size 0
		.amdhsa_kernarg_size 144
		.amdhsa_user_sgpr_count 6
		.amdhsa_user_sgpr_private_segment_buffer 1
		.amdhsa_user_sgpr_dispatch_ptr 0
		.amdhsa_user_sgpr_queue_ptr 0
		.amdhsa_user_sgpr_kernarg_segment_ptr 1
		.amdhsa_user_sgpr_dispatch_id 0
		.amdhsa_user_sgpr_flat_scratch_init 0
		.amdhsa_user_sgpr_kernarg_preload_length 0
		.amdhsa_user_sgpr_kernarg_preload_offset 0
		.amdhsa_user_sgpr_private_segment_size 0
		.amdhsa_uses_dynamic_stack 0
		.amdhsa_system_sgpr_private_segment_wavefront_offset 0
		.amdhsa_system_sgpr_workgroup_id_x 1
		.amdhsa_system_sgpr_workgroup_id_y 0
		.amdhsa_system_sgpr_workgroup_id_z 0
		.amdhsa_system_sgpr_workgroup_info 0
		.amdhsa_system_vgpr_workitem_id 0
		.amdhsa_next_free_vgpr 1
		.amdhsa_next_free_sgpr 0
		.amdhsa_accum_offset 4
		.amdhsa_reserve_vcc 0
		.amdhsa_reserve_flat_scratch 0
		.amdhsa_float_round_mode_32 0
		.amdhsa_float_round_mode_16_64 0
		.amdhsa_float_denorm_mode_32 3
		.amdhsa_float_denorm_mode_16_64 3
		.amdhsa_dx10_clamp 1
		.amdhsa_ieee_mode 1
		.amdhsa_fp16_overflow 0
		.amdhsa_tg_split 0
		.amdhsa_exception_fp_ieee_invalid_op 0
		.amdhsa_exception_fp_denorm_src 0
		.amdhsa_exception_fp_ieee_div_zero 0
		.amdhsa_exception_fp_ieee_overflow 0
		.amdhsa_exception_fp_ieee_underflow 0
		.amdhsa_exception_fp_ieee_inexact 0
		.amdhsa_exception_int_div_zero 0
	.end_amdhsa_kernel
	.section	.text._ZN7rocprim17ROCPRIM_400000_NS6detail17trampoline_kernelINS0_14default_configENS1_25partition_config_selectorILNS1_17partition_subalgoE1EjNS0_10empty_typeEbEEZZNS1_14partition_implILS5_1ELb0ES3_jN6thrust23THRUST_200600_302600_NS6detail15normal_iteratorINSA_10device_ptrIjEEEEPS6_NSA_18transform_iteratorI7is_evenIjESF_NSA_11use_defaultESK_EENS0_5tupleIJSF_SF_EEENSM_IJSG_SG_EEES6_PlJS6_EEE10hipError_tPvRmT3_T4_T5_T6_T7_T9_mT8_P12ihipStream_tbDpT10_ENKUlT_T0_E_clISt17integral_constantIbLb0EES18_IbLb1EEEEDaS14_S15_EUlS14_E_NS1_11comp_targetILNS1_3genE0ELNS1_11target_archE4294967295ELNS1_3gpuE0ELNS1_3repE0EEENS1_30default_config_static_selectorELNS0_4arch9wavefront6targetE1EEEvT1_,"axG",@progbits,_ZN7rocprim17ROCPRIM_400000_NS6detail17trampoline_kernelINS0_14default_configENS1_25partition_config_selectorILNS1_17partition_subalgoE1EjNS0_10empty_typeEbEEZZNS1_14partition_implILS5_1ELb0ES3_jN6thrust23THRUST_200600_302600_NS6detail15normal_iteratorINSA_10device_ptrIjEEEEPS6_NSA_18transform_iteratorI7is_evenIjESF_NSA_11use_defaultESK_EENS0_5tupleIJSF_SF_EEENSM_IJSG_SG_EEES6_PlJS6_EEE10hipError_tPvRmT3_T4_T5_T6_T7_T9_mT8_P12ihipStream_tbDpT10_ENKUlT_T0_E_clISt17integral_constantIbLb0EES18_IbLb1EEEEDaS14_S15_EUlS14_E_NS1_11comp_targetILNS1_3genE0ELNS1_11target_archE4294967295ELNS1_3gpuE0ELNS1_3repE0EEENS1_30default_config_static_selectorELNS0_4arch9wavefront6targetE1EEEvT1_,comdat
.Lfunc_end2259:
	.size	_ZN7rocprim17ROCPRIM_400000_NS6detail17trampoline_kernelINS0_14default_configENS1_25partition_config_selectorILNS1_17partition_subalgoE1EjNS0_10empty_typeEbEEZZNS1_14partition_implILS5_1ELb0ES3_jN6thrust23THRUST_200600_302600_NS6detail15normal_iteratorINSA_10device_ptrIjEEEEPS6_NSA_18transform_iteratorI7is_evenIjESF_NSA_11use_defaultESK_EENS0_5tupleIJSF_SF_EEENSM_IJSG_SG_EEES6_PlJS6_EEE10hipError_tPvRmT3_T4_T5_T6_T7_T9_mT8_P12ihipStream_tbDpT10_ENKUlT_T0_E_clISt17integral_constantIbLb0EES18_IbLb1EEEEDaS14_S15_EUlS14_E_NS1_11comp_targetILNS1_3genE0ELNS1_11target_archE4294967295ELNS1_3gpuE0ELNS1_3repE0EEENS1_30default_config_static_selectorELNS0_4arch9wavefront6targetE1EEEvT1_, .Lfunc_end2259-_ZN7rocprim17ROCPRIM_400000_NS6detail17trampoline_kernelINS0_14default_configENS1_25partition_config_selectorILNS1_17partition_subalgoE1EjNS0_10empty_typeEbEEZZNS1_14partition_implILS5_1ELb0ES3_jN6thrust23THRUST_200600_302600_NS6detail15normal_iteratorINSA_10device_ptrIjEEEEPS6_NSA_18transform_iteratorI7is_evenIjESF_NSA_11use_defaultESK_EENS0_5tupleIJSF_SF_EEENSM_IJSG_SG_EEES6_PlJS6_EEE10hipError_tPvRmT3_T4_T5_T6_T7_T9_mT8_P12ihipStream_tbDpT10_ENKUlT_T0_E_clISt17integral_constantIbLb0EES18_IbLb1EEEEDaS14_S15_EUlS14_E_NS1_11comp_targetILNS1_3genE0ELNS1_11target_archE4294967295ELNS1_3gpuE0ELNS1_3repE0EEENS1_30default_config_static_selectorELNS0_4arch9wavefront6targetE1EEEvT1_
                                        ; -- End function
	.section	.AMDGPU.csdata,"",@progbits
; Kernel info:
; codeLenInByte = 0
; NumSgprs: 4
; NumVgprs: 0
; NumAgprs: 0
; TotalNumVgprs: 0
; ScratchSize: 0
; MemoryBound: 0
; FloatMode: 240
; IeeeMode: 1
; LDSByteSize: 0 bytes/workgroup (compile time only)
; SGPRBlocks: 0
; VGPRBlocks: 0
; NumSGPRsForWavesPerEU: 4
; NumVGPRsForWavesPerEU: 1
; AccumOffset: 4
; Occupancy: 8
; WaveLimiterHint : 0
; COMPUTE_PGM_RSRC2:SCRATCH_EN: 0
; COMPUTE_PGM_RSRC2:USER_SGPR: 6
; COMPUTE_PGM_RSRC2:TRAP_HANDLER: 0
; COMPUTE_PGM_RSRC2:TGID_X_EN: 1
; COMPUTE_PGM_RSRC2:TGID_Y_EN: 0
; COMPUTE_PGM_RSRC2:TGID_Z_EN: 0
; COMPUTE_PGM_RSRC2:TIDIG_COMP_CNT: 0
; COMPUTE_PGM_RSRC3_GFX90A:ACCUM_OFFSET: 0
; COMPUTE_PGM_RSRC3_GFX90A:TG_SPLIT: 0
	.section	.text._ZN7rocprim17ROCPRIM_400000_NS6detail17trampoline_kernelINS0_14default_configENS1_25partition_config_selectorILNS1_17partition_subalgoE1EjNS0_10empty_typeEbEEZZNS1_14partition_implILS5_1ELb0ES3_jN6thrust23THRUST_200600_302600_NS6detail15normal_iteratorINSA_10device_ptrIjEEEEPS6_NSA_18transform_iteratorI7is_evenIjESF_NSA_11use_defaultESK_EENS0_5tupleIJSF_SF_EEENSM_IJSG_SG_EEES6_PlJS6_EEE10hipError_tPvRmT3_T4_T5_T6_T7_T9_mT8_P12ihipStream_tbDpT10_ENKUlT_T0_E_clISt17integral_constantIbLb0EES18_IbLb1EEEEDaS14_S15_EUlS14_E_NS1_11comp_targetILNS1_3genE5ELNS1_11target_archE942ELNS1_3gpuE9ELNS1_3repE0EEENS1_30default_config_static_selectorELNS0_4arch9wavefront6targetE1EEEvT1_,"axG",@progbits,_ZN7rocprim17ROCPRIM_400000_NS6detail17trampoline_kernelINS0_14default_configENS1_25partition_config_selectorILNS1_17partition_subalgoE1EjNS0_10empty_typeEbEEZZNS1_14partition_implILS5_1ELb0ES3_jN6thrust23THRUST_200600_302600_NS6detail15normal_iteratorINSA_10device_ptrIjEEEEPS6_NSA_18transform_iteratorI7is_evenIjESF_NSA_11use_defaultESK_EENS0_5tupleIJSF_SF_EEENSM_IJSG_SG_EEES6_PlJS6_EEE10hipError_tPvRmT3_T4_T5_T6_T7_T9_mT8_P12ihipStream_tbDpT10_ENKUlT_T0_E_clISt17integral_constantIbLb0EES18_IbLb1EEEEDaS14_S15_EUlS14_E_NS1_11comp_targetILNS1_3genE5ELNS1_11target_archE942ELNS1_3gpuE9ELNS1_3repE0EEENS1_30default_config_static_selectorELNS0_4arch9wavefront6targetE1EEEvT1_,comdat
	.protected	_ZN7rocprim17ROCPRIM_400000_NS6detail17trampoline_kernelINS0_14default_configENS1_25partition_config_selectorILNS1_17partition_subalgoE1EjNS0_10empty_typeEbEEZZNS1_14partition_implILS5_1ELb0ES3_jN6thrust23THRUST_200600_302600_NS6detail15normal_iteratorINSA_10device_ptrIjEEEEPS6_NSA_18transform_iteratorI7is_evenIjESF_NSA_11use_defaultESK_EENS0_5tupleIJSF_SF_EEENSM_IJSG_SG_EEES6_PlJS6_EEE10hipError_tPvRmT3_T4_T5_T6_T7_T9_mT8_P12ihipStream_tbDpT10_ENKUlT_T0_E_clISt17integral_constantIbLb0EES18_IbLb1EEEEDaS14_S15_EUlS14_E_NS1_11comp_targetILNS1_3genE5ELNS1_11target_archE942ELNS1_3gpuE9ELNS1_3repE0EEENS1_30default_config_static_selectorELNS0_4arch9wavefront6targetE1EEEvT1_ ; -- Begin function _ZN7rocprim17ROCPRIM_400000_NS6detail17trampoline_kernelINS0_14default_configENS1_25partition_config_selectorILNS1_17partition_subalgoE1EjNS0_10empty_typeEbEEZZNS1_14partition_implILS5_1ELb0ES3_jN6thrust23THRUST_200600_302600_NS6detail15normal_iteratorINSA_10device_ptrIjEEEEPS6_NSA_18transform_iteratorI7is_evenIjESF_NSA_11use_defaultESK_EENS0_5tupleIJSF_SF_EEENSM_IJSG_SG_EEES6_PlJS6_EEE10hipError_tPvRmT3_T4_T5_T6_T7_T9_mT8_P12ihipStream_tbDpT10_ENKUlT_T0_E_clISt17integral_constantIbLb0EES18_IbLb1EEEEDaS14_S15_EUlS14_E_NS1_11comp_targetILNS1_3genE5ELNS1_11target_archE942ELNS1_3gpuE9ELNS1_3repE0EEENS1_30default_config_static_selectorELNS0_4arch9wavefront6targetE1EEEvT1_
	.globl	_ZN7rocprim17ROCPRIM_400000_NS6detail17trampoline_kernelINS0_14default_configENS1_25partition_config_selectorILNS1_17partition_subalgoE1EjNS0_10empty_typeEbEEZZNS1_14partition_implILS5_1ELb0ES3_jN6thrust23THRUST_200600_302600_NS6detail15normal_iteratorINSA_10device_ptrIjEEEEPS6_NSA_18transform_iteratorI7is_evenIjESF_NSA_11use_defaultESK_EENS0_5tupleIJSF_SF_EEENSM_IJSG_SG_EEES6_PlJS6_EEE10hipError_tPvRmT3_T4_T5_T6_T7_T9_mT8_P12ihipStream_tbDpT10_ENKUlT_T0_E_clISt17integral_constantIbLb0EES18_IbLb1EEEEDaS14_S15_EUlS14_E_NS1_11comp_targetILNS1_3genE5ELNS1_11target_archE942ELNS1_3gpuE9ELNS1_3repE0EEENS1_30default_config_static_selectorELNS0_4arch9wavefront6targetE1EEEvT1_
	.p2align	8
	.type	_ZN7rocprim17ROCPRIM_400000_NS6detail17trampoline_kernelINS0_14default_configENS1_25partition_config_selectorILNS1_17partition_subalgoE1EjNS0_10empty_typeEbEEZZNS1_14partition_implILS5_1ELb0ES3_jN6thrust23THRUST_200600_302600_NS6detail15normal_iteratorINSA_10device_ptrIjEEEEPS6_NSA_18transform_iteratorI7is_evenIjESF_NSA_11use_defaultESK_EENS0_5tupleIJSF_SF_EEENSM_IJSG_SG_EEES6_PlJS6_EEE10hipError_tPvRmT3_T4_T5_T6_T7_T9_mT8_P12ihipStream_tbDpT10_ENKUlT_T0_E_clISt17integral_constantIbLb0EES18_IbLb1EEEEDaS14_S15_EUlS14_E_NS1_11comp_targetILNS1_3genE5ELNS1_11target_archE942ELNS1_3gpuE9ELNS1_3repE0EEENS1_30default_config_static_selectorELNS0_4arch9wavefront6targetE1EEEvT1_,@function
_ZN7rocprim17ROCPRIM_400000_NS6detail17trampoline_kernelINS0_14default_configENS1_25partition_config_selectorILNS1_17partition_subalgoE1EjNS0_10empty_typeEbEEZZNS1_14partition_implILS5_1ELb0ES3_jN6thrust23THRUST_200600_302600_NS6detail15normal_iteratorINSA_10device_ptrIjEEEEPS6_NSA_18transform_iteratorI7is_evenIjESF_NSA_11use_defaultESK_EENS0_5tupleIJSF_SF_EEENSM_IJSG_SG_EEES6_PlJS6_EEE10hipError_tPvRmT3_T4_T5_T6_T7_T9_mT8_P12ihipStream_tbDpT10_ENKUlT_T0_E_clISt17integral_constantIbLb0EES18_IbLb1EEEEDaS14_S15_EUlS14_E_NS1_11comp_targetILNS1_3genE5ELNS1_11target_archE942ELNS1_3gpuE9ELNS1_3repE0EEENS1_30default_config_static_selectorELNS0_4arch9wavefront6targetE1EEEvT1_: ; @_ZN7rocprim17ROCPRIM_400000_NS6detail17trampoline_kernelINS0_14default_configENS1_25partition_config_selectorILNS1_17partition_subalgoE1EjNS0_10empty_typeEbEEZZNS1_14partition_implILS5_1ELb0ES3_jN6thrust23THRUST_200600_302600_NS6detail15normal_iteratorINSA_10device_ptrIjEEEEPS6_NSA_18transform_iteratorI7is_evenIjESF_NSA_11use_defaultESK_EENS0_5tupleIJSF_SF_EEENSM_IJSG_SG_EEES6_PlJS6_EEE10hipError_tPvRmT3_T4_T5_T6_T7_T9_mT8_P12ihipStream_tbDpT10_ENKUlT_T0_E_clISt17integral_constantIbLb0EES18_IbLb1EEEEDaS14_S15_EUlS14_E_NS1_11comp_targetILNS1_3genE5ELNS1_11target_archE942ELNS1_3gpuE9ELNS1_3repE0EEENS1_30default_config_static_selectorELNS0_4arch9wavefront6targetE1EEEvT1_
; %bb.0:
	.section	.rodata,"a",@progbits
	.p2align	6, 0x0
	.amdhsa_kernel _ZN7rocprim17ROCPRIM_400000_NS6detail17trampoline_kernelINS0_14default_configENS1_25partition_config_selectorILNS1_17partition_subalgoE1EjNS0_10empty_typeEbEEZZNS1_14partition_implILS5_1ELb0ES3_jN6thrust23THRUST_200600_302600_NS6detail15normal_iteratorINSA_10device_ptrIjEEEEPS6_NSA_18transform_iteratorI7is_evenIjESF_NSA_11use_defaultESK_EENS0_5tupleIJSF_SF_EEENSM_IJSG_SG_EEES6_PlJS6_EEE10hipError_tPvRmT3_T4_T5_T6_T7_T9_mT8_P12ihipStream_tbDpT10_ENKUlT_T0_E_clISt17integral_constantIbLb0EES18_IbLb1EEEEDaS14_S15_EUlS14_E_NS1_11comp_targetILNS1_3genE5ELNS1_11target_archE942ELNS1_3gpuE9ELNS1_3repE0EEENS1_30default_config_static_selectorELNS0_4arch9wavefront6targetE1EEEvT1_
		.amdhsa_group_segment_fixed_size 0
		.amdhsa_private_segment_fixed_size 0
		.amdhsa_kernarg_size 144
		.amdhsa_user_sgpr_count 6
		.amdhsa_user_sgpr_private_segment_buffer 1
		.amdhsa_user_sgpr_dispatch_ptr 0
		.amdhsa_user_sgpr_queue_ptr 0
		.amdhsa_user_sgpr_kernarg_segment_ptr 1
		.amdhsa_user_sgpr_dispatch_id 0
		.amdhsa_user_sgpr_flat_scratch_init 0
		.amdhsa_user_sgpr_kernarg_preload_length 0
		.amdhsa_user_sgpr_kernarg_preload_offset 0
		.amdhsa_user_sgpr_private_segment_size 0
		.amdhsa_uses_dynamic_stack 0
		.amdhsa_system_sgpr_private_segment_wavefront_offset 0
		.amdhsa_system_sgpr_workgroup_id_x 1
		.amdhsa_system_sgpr_workgroup_id_y 0
		.amdhsa_system_sgpr_workgroup_id_z 0
		.amdhsa_system_sgpr_workgroup_info 0
		.amdhsa_system_vgpr_workitem_id 0
		.amdhsa_next_free_vgpr 1
		.amdhsa_next_free_sgpr 0
		.amdhsa_accum_offset 4
		.amdhsa_reserve_vcc 0
		.amdhsa_reserve_flat_scratch 0
		.amdhsa_float_round_mode_32 0
		.amdhsa_float_round_mode_16_64 0
		.amdhsa_float_denorm_mode_32 3
		.amdhsa_float_denorm_mode_16_64 3
		.amdhsa_dx10_clamp 1
		.amdhsa_ieee_mode 1
		.amdhsa_fp16_overflow 0
		.amdhsa_tg_split 0
		.amdhsa_exception_fp_ieee_invalid_op 0
		.amdhsa_exception_fp_denorm_src 0
		.amdhsa_exception_fp_ieee_div_zero 0
		.amdhsa_exception_fp_ieee_overflow 0
		.amdhsa_exception_fp_ieee_underflow 0
		.amdhsa_exception_fp_ieee_inexact 0
		.amdhsa_exception_int_div_zero 0
	.end_amdhsa_kernel
	.section	.text._ZN7rocprim17ROCPRIM_400000_NS6detail17trampoline_kernelINS0_14default_configENS1_25partition_config_selectorILNS1_17partition_subalgoE1EjNS0_10empty_typeEbEEZZNS1_14partition_implILS5_1ELb0ES3_jN6thrust23THRUST_200600_302600_NS6detail15normal_iteratorINSA_10device_ptrIjEEEEPS6_NSA_18transform_iteratorI7is_evenIjESF_NSA_11use_defaultESK_EENS0_5tupleIJSF_SF_EEENSM_IJSG_SG_EEES6_PlJS6_EEE10hipError_tPvRmT3_T4_T5_T6_T7_T9_mT8_P12ihipStream_tbDpT10_ENKUlT_T0_E_clISt17integral_constantIbLb0EES18_IbLb1EEEEDaS14_S15_EUlS14_E_NS1_11comp_targetILNS1_3genE5ELNS1_11target_archE942ELNS1_3gpuE9ELNS1_3repE0EEENS1_30default_config_static_selectorELNS0_4arch9wavefront6targetE1EEEvT1_,"axG",@progbits,_ZN7rocprim17ROCPRIM_400000_NS6detail17trampoline_kernelINS0_14default_configENS1_25partition_config_selectorILNS1_17partition_subalgoE1EjNS0_10empty_typeEbEEZZNS1_14partition_implILS5_1ELb0ES3_jN6thrust23THRUST_200600_302600_NS6detail15normal_iteratorINSA_10device_ptrIjEEEEPS6_NSA_18transform_iteratorI7is_evenIjESF_NSA_11use_defaultESK_EENS0_5tupleIJSF_SF_EEENSM_IJSG_SG_EEES6_PlJS6_EEE10hipError_tPvRmT3_T4_T5_T6_T7_T9_mT8_P12ihipStream_tbDpT10_ENKUlT_T0_E_clISt17integral_constantIbLb0EES18_IbLb1EEEEDaS14_S15_EUlS14_E_NS1_11comp_targetILNS1_3genE5ELNS1_11target_archE942ELNS1_3gpuE9ELNS1_3repE0EEENS1_30default_config_static_selectorELNS0_4arch9wavefront6targetE1EEEvT1_,comdat
.Lfunc_end2260:
	.size	_ZN7rocprim17ROCPRIM_400000_NS6detail17trampoline_kernelINS0_14default_configENS1_25partition_config_selectorILNS1_17partition_subalgoE1EjNS0_10empty_typeEbEEZZNS1_14partition_implILS5_1ELb0ES3_jN6thrust23THRUST_200600_302600_NS6detail15normal_iteratorINSA_10device_ptrIjEEEEPS6_NSA_18transform_iteratorI7is_evenIjESF_NSA_11use_defaultESK_EENS0_5tupleIJSF_SF_EEENSM_IJSG_SG_EEES6_PlJS6_EEE10hipError_tPvRmT3_T4_T5_T6_T7_T9_mT8_P12ihipStream_tbDpT10_ENKUlT_T0_E_clISt17integral_constantIbLb0EES18_IbLb1EEEEDaS14_S15_EUlS14_E_NS1_11comp_targetILNS1_3genE5ELNS1_11target_archE942ELNS1_3gpuE9ELNS1_3repE0EEENS1_30default_config_static_selectorELNS0_4arch9wavefront6targetE1EEEvT1_, .Lfunc_end2260-_ZN7rocprim17ROCPRIM_400000_NS6detail17trampoline_kernelINS0_14default_configENS1_25partition_config_selectorILNS1_17partition_subalgoE1EjNS0_10empty_typeEbEEZZNS1_14partition_implILS5_1ELb0ES3_jN6thrust23THRUST_200600_302600_NS6detail15normal_iteratorINSA_10device_ptrIjEEEEPS6_NSA_18transform_iteratorI7is_evenIjESF_NSA_11use_defaultESK_EENS0_5tupleIJSF_SF_EEENSM_IJSG_SG_EEES6_PlJS6_EEE10hipError_tPvRmT3_T4_T5_T6_T7_T9_mT8_P12ihipStream_tbDpT10_ENKUlT_T0_E_clISt17integral_constantIbLb0EES18_IbLb1EEEEDaS14_S15_EUlS14_E_NS1_11comp_targetILNS1_3genE5ELNS1_11target_archE942ELNS1_3gpuE9ELNS1_3repE0EEENS1_30default_config_static_selectorELNS0_4arch9wavefront6targetE1EEEvT1_
                                        ; -- End function
	.section	.AMDGPU.csdata,"",@progbits
; Kernel info:
; codeLenInByte = 0
; NumSgprs: 4
; NumVgprs: 0
; NumAgprs: 0
; TotalNumVgprs: 0
; ScratchSize: 0
; MemoryBound: 0
; FloatMode: 240
; IeeeMode: 1
; LDSByteSize: 0 bytes/workgroup (compile time only)
; SGPRBlocks: 0
; VGPRBlocks: 0
; NumSGPRsForWavesPerEU: 4
; NumVGPRsForWavesPerEU: 1
; AccumOffset: 4
; Occupancy: 8
; WaveLimiterHint : 0
; COMPUTE_PGM_RSRC2:SCRATCH_EN: 0
; COMPUTE_PGM_RSRC2:USER_SGPR: 6
; COMPUTE_PGM_RSRC2:TRAP_HANDLER: 0
; COMPUTE_PGM_RSRC2:TGID_X_EN: 1
; COMPUTE_PGM_RSRC2:TGID_Y_EN: 0
; COMPUTE_PGM_RSRC2:TGID_Z_EN: 0
; COMPUTE_PGM_RSRC2:TIDIG_COMP_CNT: 0
; COMPUTE_PGM_RSRC3_GFX90A:ACCUM_OFFSET: 0
; COMPUTE_PGM_RSRC3_GFX90A:TG_SPLIT: 0
	.section	.text._ZN7rocprim17ROCPRIM_400000_NS6detail17trampoline_kernelINS0_14default_configENS1_25partition_config_selectorILNS1_17partition_subalgoE1EjNS0_10empty_typeEbEEZZNS1_14partition_implILS5_1ELb0ES3_jN6thrust23THRUST_200600_302600_NS6detail15normal_iteratorINSA_10device_ptrIjEEEEPS6_NSA_18transform_iteratorI7is_evenIjESF_NSA_11use_defaultESK_EENS0_5tupleIJSF_SF_EEENSM_IJSG_SG_EEES6_PlJS6_EEE10hipError_tPvRmT3_T4_T5_T6_T7_T9_mT8_P12ihipStream_tbDpT10_ENKUlT_T0_E_clISt17integral_constantIbLb0EES18_IbLb1EEEEDaS14_S15_EUlS14_E_NS1_11comp_targetILNS1_3genE4ELNS1_11target_archE910ELNS1_3gpuE8ELNS1_3repE0EEENS1_30default_config_static_selectorELNS0_4arch9wavefront6targetE1EEEvT1_,"axG",@progbits,_ZN7rocprim17ROCPRIM_400000_NS6detail17trampoline_kernelINS0_14default_configENS1_25partition_config_selectorILNS1_17partition_subalgoE1EjNS0_10empty_typeEbEEZZNS1_14partition_implILS5_1ELb0ES3_jN6thrust23THRUST_200600_302600_NS6detail15normal_iteratorINSA_10device_ptrIjEEEEPS6_NSA_18transform_iteratorI7is_evenIjESF_NSA_11use_defaultESK_EENS0_5tupleIJSF_SF_EEENSM_IJSG_SG_EEES6_PlJS6_EEE10hipError_tPvRmT3_T4_T5_T6_T7_T9_mT8_P12ihipStream_tbDpT10_ENKUlT_T0_E_clISt17integral_constantIbLb0EES18_IbLb1EEEEDaS14_S15_EUlS14_E_NS1_11comp_targetILNS1_3genE4ELNS1_11target_archE910ELNS1_3gpuE8ELNS1_3repE0EEENS1_30default_config_static_selectorELNS0_4arch9wavefront6targetE1EEEvT1_,comdat
	.protected	_ZN7rocprim17ROCPRIM_400000_NS6detail17trampoline_kernelINS0_14default_configENS1_25partition_config_selectorILNS1_17partition_subalgoE1EjNS0_10empty_typeEbEEZZNS1_14partition_implILS5_1ELb0ES3_jN6thrust23THRUST_200600_302600_NS6detail15normal_iteratorINSA_10device_ptrIjEEEEPS6_NSA_18transform_iteratorI7is_evenIjESF_NSA_11use_defaultESK_EENS0_5tupleIJSF_SF_EEENSM_IJSG_SG_EEES6_PlJS6_EEE10hipError_tPvRmT3_T4_T5_T6_T7_T9_mT8_P12ihipStream_tbDpT10_ENKUlT_T0_E_clISt17integral_constantIbLb0EES18_IbLb1EEEEDaS14_S15_EUlS14_E_NS1_11comp_targetILNS1_3genE4ELNS1_11target_archE910ELNS1_3gpuE8ELNS1_3repE0EEENS1_30default_config_static_selectorELNS0_4arch9wavefront6targetE1EEEvT1_ ; -- Begin function _ZN7rocprim17ROCPRIM_400000_NS6detail17trampoline_kernelINS0_14default_configENS1_25partition_config_selectorILNS1_17partition_subalgoE1EjNS0_10empty_typeEbEEZZNS1_14partition_implILS5_1ELb0ES3_jN6thrust23THRUST_200600_302600_NS6detail15normal_iteratorINSA_10device_ptrIjEEEEPS6_NSA_18transform_iteratorI7is_evenIjESF_NSA_11use_defaultESK_EENS0_5tupleIJSF_SF_EEENSM_IJSG_SG_EEES6_PlJS6_EEE10hipError_tPvRmT3_T4_T5_T6_T7_T9_mT8_P12ihipStream_tbDpT10_ENKUlT_T0_E_clISt17integral_constantIbLb0EES18_IbLb1EEEEDaS14_S15_EUlS14_E_NS1_11comp_targetILNS1_3genE4ELNS1_11target_archE910ELNS1_3gpuE8ELNS1_3repE0EEENS1_30default_config_static_selectorELNS0_4arch9wavefront6targetE1EEEvT1_
	.globl	_ZN7rocprim17ROCPRIM_400000_NS6detail17trampoline_kernelINS0_14default_configENS1_25partition_config_selectorILNS1_17partition_subalgoE1EjNS0_10empty_typeEbEEZZNS1_14partition_implILS5_1ELb0ES3_jN6thrust23THRUST_200600_302600_NS6detail15normal_iteratorINSA_10device_ptrIjEEEEPS6_NSA_18transform_iteratorI7is_evenIjESF_NSA_11use_defaultESK_EENS0_5tupleIJSF_SF_EEENSM_IJSG_SG_EEES6_PlJS6_EEE10hipError_tPvRmT3_T4_T5_T6_T7_T9_mT8_P12ihipStream_tbDpT10_ENKUlT_T0_E_clISt17integral_constantIbLb0EES18_IbLb1EEEEDaS14_S15_EUlS14_E_NS1_11comp_targetILNS1_3genE4ELNS1_11target_archE910ELNS1_3gpuE8ELNS1_3repE0EEENS1_30default_config_static_selectorELNS0_4arch9wavefront6targetE1EEEvT1_
	.p2align	8
	.type	_ZN7rocprim17ROCPRIM_400000_NS6detail17trampoline_kernelINS0_14default_configENS1_25partition_config_selectorILNS1_17partition_subalgoE1EjNS0_10empty_typeEbEEZZNS1_14partition_implILS5_1ELb0ES3_jN6thrust23THRUST_200600_302600_NS6detail15normal_iteratorINSA_10device_ptrIjEEEEPS6_NSA_18transform_iteratorI7is_evenIjESF_NSA_11use_defaultESK_EENS0_5tupleIJSF_SF_EEENSM_IJSG_SG_EEES6_PlJS6_EEE10hipError_tPvRmT3_T4_T5_T6_T7_T9_mT8_P12ihipStream_tbDpT10_ENKUlT_T0_E_clISt17integral_constantIbLb0EES18_IbLb1EEEEDaS14_S15_EUlS14_E_NS1_11comp_targetILNS1_3genE4ELNS1_11target_archE910ELNS1_3gpuE8ELNS1_3repE0EEENS1_30default_config_static_selectorELNS0_4arch9wavefront6targetE1EEEvT1_,@function
_ZN7rocprim17ROCPRIM_400000_NS6detail17trampoline_kernelINS0_14default_configENS1_25partition_config_selectorILNS1_17partition_subalgoE1EjNS0_10empty_typeEbEEZZNS1_14partition_implILS5_1ELb0ES3_jN6thrust23THRUST_200600_302600_NS6detail15normal_iteratorINSA_10device_ptrIjEEEEPS6_NSA_18transform_iteratorI7is_evenIjESF_NSA_11use_defaultESK_EENS0_5tupleIJSF_SF_EEENSM_IJSG_SG_EEES6_PlJS6_EEE10hipError_tPvRmT3_T4_T5_T6_T7_T9_mT8_P12ihipStream_tbDpT10_ENKUlT_T0_E_clISt17integral_constantIbLb0EES18_IbLb1EEEEDaS14_S15_EUlS14_E_NS1_11comp_targetILNS1_3genE4ELNS1_11target_archE910ELNS1_3gpuE8ELNS1_3repE0EEENS1_30default_config_static_selectorELNS0_4arch9wavefront6targetE1EEEvT1_: ; @_ZN7rocprim17ROCPRIM_400000_NS6detail17trampoline_kernelINS0_14default_configENS1_25partition_config_selectorILNS1_17partition_subalgoE1EjNS0_10empty_typeEbEEZZNS1_14partition_implILS5_1ELb0ES3_jN6thrust23THRUST_200600_302600_NS6detail15normal_iteratorINSA_10device_ptrIjEEEEPS6_NSA_18transform_iteratorI7is_evenIjESF_NSA_11use_defaultESK_EENS0_5tupleIJSF_SF_EEENSM_IJSG_SG_EEES6_PlJS6_EEE10hipError_tPvRmT3_T4_T5_T6_T7_T9_mT8_P12ihipStream_tbDpT10_ENKUlT_T0_E_clISt17integral_constantIbLb0EES18_IbLb1EEEEDaS14_S15_EUlS14_E_NS1_11comp_targetILNS1_3genE4ELNS1_11target_archE910ELNS1_3gpuE8ELNS1_3repE0EEENS1_30default_config_static_selectorELNS0_4arch9wavefront6targetE1EEEvT1_
; %bb.0:
	s_load_dwordx2 s[6:7], s[4:5], 0x20
	s_load_dwordx4 s[20:23], s[4:5], 0x50
	s_load_dwordx2 s[2:3], s[4:5], 0x60
	s_load_dwordx2 s[30:31], s[4:5], 0x70
	v_cmp_eq_u32_e64 s[0:1], 0, v0
	s_and_saveexec_b64 s[8:9], s[0:1]
	s_cbranch_execz .LBB2261_4
; %bb.1:
	s_mov_b64 s[12:13], exec
	v_mbcnt_lo_u32_b32 v1, s12, 0
	v_mbcnt_hi_u32_b32 v1, s13, v1
	v_cmp_eq_u32_e32 vcc, 0, v1
                                        ; implicit-def: $vgpr2
	s_and_saveexec_b64 s[10:11], vcc
	s_cbranch_execz .LBB2261_3
; %bb.2:
	s_load_dwordx2 s[14:15], s[4:5], 0x80
	s_bcnt1_i32_b64 s12, s[12:13]
	v_mov_b32_e32 v2, 0
	v_mov_b32_e32 v3, s12
	s_waitcnt lgkmcnt(0)
	global_atomic_add v2, v2, v3, s[14:15] glc
.LBB2261_3:
	s_or_b64 exec, exec, s[10:11]
	s_waitcnt vmcnt(0)
	v_readfirstlane_b32 s10, v2
	v_add_u32_e32 v1, s10, v1
	v_mov_b32_e32 v2, 0
	ds_write_b32 v2, v1
.LBB2261_4:
	s_or_b64 exec, exec, s[8:9]
	v_mov_b32_e32 v3, 0
	s_load_dwordx4 s[16:19], s[4:5], 0x8
	s_load_dwordx4 s[24:27], s[4:5], 0x30
	s_load_dword s8, s[4:5], 0x78
	s_waitcnt lgkmcnt(0)
	s_barrier
	ds_read_b32 v1, v3
	s_waitcnt lgkmcnt(0)
	s_barrier
	global_load_dwordx2 v[10:11], v3, s[22:23]
	v_mov_b32_e32 v5, s3
	s_lshl_b64 s[4:5], s[18:19], 2
	s_movk_i32 s3, 0x700
	s_add_u32 s9, s16, s4
	v_mul_lo_u32 v2, v1, s3
	s_mul_i32 s3, s8, 0x700
	s_addc_u32 s10, s17, s5
	s_add_i32 s11, s8, -1
	s_add_i32 s8, s3, s18
	s_sub_i32 s33, s2, s8
	s_addk_i32 s33, 0x700
	v_mov_b32_e32 v4, s2
	s_add_u32 s2, s18, s3
	v_readfirstlane_b32 s40, v1
	s_addc_u32 s3, s19, 0
	s_cmp_eq_u32 s40, s11
	s_cselect_b64 s[22:23], -1, 0
	s_cmp_lg_u32 s40, s11
	v_cmp_lt_u64_e32 vcc, s[2:3], v[4:5]
	s_cselect_b64 s[2:3], -1, 0
	v_lshlrev_b64 v[12:13], 2, v[2:3]
	s_or_b64 s[28:29], vcc, s[2:3]
	v_mov_b32_e32 v2, s10
	v_add_co_u32_e32 v1, vcc, s9, v12
	v_addc_co_u32_e32 v9, vcc, v2, v13, vcc
	s_mov_b64 s[2:3], -1
	s_and_b64 vcc, exec, s[28:29]
	v_lshlrev_b32_e32 v22, 2, v0
	s_cbranch_vccz .LBB2261_6
; %bb.5:
	v_add_co_u32_e32 v2, vcc, v1, v22
	v_addc_co_u32_e32 v3, vcc, 0, v9, vcc
	v_add_co_u32_e32 v4, vcc, 0x1000, v2
	v_addc_co_u32_e32 v5, vcc, 0, v3, vcc
	flat_load_dword v6, v[2:3]
	flat_load_dword v7, v[2:3] offset:1024
	flat_load_dword v8, v[2:3] offset:2048
	;; [unrolled: 1-line block ×3, first 2 shown]
	flat_load_dword v15, v[4:5]
	flat_load_dword v16, v[4:5] offset:1024
	flat_load_dword v17, v[4:5] offset:2048
	s_mov_b64 s[2:3], 0
	s_waitcnt vmcnt(0) lgkmcnt(0)
	ds_write2st64_b32 v22, v6, v7 offset1:4
	ds_write2st64_b32 v22, v8, v14 offset0:8 offset1:12
	ds_write2st64_b32 v22, v15, v16 offset0:16 offset1:20
	ds_write_b32 v22, v17 offset:6144
	s_waitcnt lgkmcnt(0)
	s_barrier
.LBB2261_6:
	s_andn2_b64 vcc, exec, s[2:3]
	v_cmp_gt_u32_e64 s[2:3], s33, v0
	s_cbranch_vccnz .LBB2261_22
; %bb.7:
                                        ; implicit-def: $vgpr2_vgpr3_vgpr4_vgpr5_vgpr6_vgpr7_vgpr8
	s_and_saveexec_b64 s[8:9], s[2:3]
	s_cbranch_execz .LBB2261_9
; %bb.8:
	v_add_co_u32_e32 v2, vcc, v1, v22
	v_addc_co_u32_e32 v3, vcc, 0, v9, vcc
	flat_load_dword v2, v[2:3]
.LBB2261_9:
	s_or_b64 exec, exec, s[8:9]
	v_or_b32_e32 v14, 0x100, v0
	v_cmp_gt_u32_e32 vcc, s33, v14
	s_and_saveexec_b64 s[2:3], vcc
	s_cbranch_execz .LBB2261_11
; %bb.10:
	v_add_co_u32_e32 v14, vcc, v1, v22
	v_addc_co_u32_e32 v15, vcc, 0, v9, vcc
	flat_load_dword v3, v[14:15] offset:1024
.LBB2261_11:
	s_or_b64 exec, exec, s[2:3]
	v_or_b32_e32 v14, 0x200, v0
	v_cmp_gt_u32_e32 vcc, s33, v14
	s_and_saveexec_b64 s[2:3], vcc
	s_cbranch_execz .LBB2261_13
; %bb.12:
	v_add_co_u32_e32 v14, vcc, v1, v22
	v_addc_co_u32_e32 v15, vcc, 0, v9, vcc
	flat_load_dword v4, v[14:15] offset:2048
.LBB2261_13:
	;; [unrolled: 10-line block ×3, first 2 shown]
	s_or_b64 exec, exec, s[2:3]
	v_or_b32_e32 v14, 0x400, v0
	v_cmp_gt_u32_e32 vcc, s33, v14
	s_and_saveexec_b64 s[2:3], vcc
	s_cbranch_execz .LBB2261_17
; %bb.16:
	v_lshlrev_b32_e32 v6, 2, v14
	v_add_co_u32_e32 v14, vcc, v1, v6
	v_addc_co_u32_e32 v15, vcc, 0, v9, vcc
	flat_load_dword v6, v[14:15]
.LBB2261_17:
	s_or_b64 exec, exec, s[2:3]
	v_or_b32_e32 v14, 0x500, v0
	v_cmp_gt_u32_e32 vcc, s33, v14
	s_and_saveexec_b64 s[2:3], vcc
	s_cbranch_execz .LBB2261_19
; %bb.18:
	v_lshlrev_b32_e32 v7, 2, v14
	v_add_co_u32_e32 v14, vcc, v1, v7
	v_addc_co_u32_e32 v15, vcc, 0, v9, vcc
	flat_load_dword v7, v[14:15]
.LBB2261_19:
	;; [unrolled: 11-line block ×3, first 2 shown]
	s_or_b64 exec, exec, s[2:3]
	s_waitcnt vmcnt(0) lgkmcnt(0)
	ds_write2st64_b32 v22, v2, v3 offset1:4
	ds_write2st64_b32 v22, v4, v5 offset0:8 offset1:12
	ds_write2st64_b32 v22, v6, v7 offset0:16 offset1:20
	ds_write_b32 v22, v8 offset:6144
	s_waitcnt lgkmcnt(0)
	s_barrier
.LBB2261_22:
	v_mul_u32_u24_e32 v24, 7, v0
	v_lshlrev_b32_e32 v9, 2, v24
	ds_read2_b32 v[6:7], v9 offset1:1
	ds_read2_b32 v[4:5], v9 offset0:2 offset1:3
	ds_read2_b32 v[2:3], v9 offset0:4 offset1:5
	ds_read_b32 v23, v9 offset:24
	s_add_u32 s2, s6, s4
	s_addc_u32 s3, s7, s5
	v_mov_b32_e32 v1, s3
	v_add_co_u32_e32 v8, vcc, s2, v12
	v_addc_co_u32_e32 v1, vcc, v1, v13, vcc
	s_mov_b64 s[2:3], -1
	s_and_b64 vcc, exec, s[28:29]
	s_waitcnt lgkmcnt(0)
	s_barrier
	s_cbranch_vccz .LBB2261_24
; %bb.23:
	v_add_co_u32_e32 v14, vcc, v8, v22
	v_readfirstlane_b32 s2, v8
	v_readfirstlane_b32 s3, v1
	v_addc_co_u32_e32 v15, vcc, 0, v1, vcc
	s_nop 3
	global_load_dword v16, v22, s[2:3]
	global_load_dword v17, v22, s[2:3] offset:1024
	global_load_dword v18, v22, s[2:3] offset:2048
	;; [unrolled: 1-line block ×3, first 2 shown]
	s_movk_i32 s2, 0x1000
	v_add_co_u32_e32 v14, vcc, s2, v14
	v_addc_co_u32_e32 v15, vcc, 0, v15, vcc
	global_load_dword v20, v[14:15], off
	global_load_dword v21, v[14:15], off offset:1024
	global_load_dword v25, v[14:15], off offset:2048
	s_mov_b64 s[2:3], 0
	s_waitcnt vmcnt(6)
	v_xor_b32_e32 v14, -1, v16
	s_waitcnt vmcnt(5)
	v_xor_b32_e32 v15, -1, v17
	;; [unrolled: 2-line block ×4, first 2 shown]
	v_and_b32_e32 v14, 1, v14
	v_and_b32_e32 v15, 1, v15
	;; [unrolled: 1-line block ×3, first 2 shown]
	s_waitcnt vmcnt(2)
	v_xor_b32_e32 v18, -1, v20
	s_waitcnt vmcnt(1)
	v_xor_b32_e32 v19, -1, v21
	;; [unrolled: 2-line block ×3, first 2 shown]
	v_and_b32_e32 v17, 1, v17
	v_and_b32_e32 v18, 1, v18
	;; [unrolled: 1-line block ×4, first 2 shown]
	ds_write_b8 v0, v14
	ds_write_b8 v0, v15 offset:256
	ds_write_b8 v0, v16 offset:512
	;; [unrolled: 1-line block ×6, first 2 shown]
	s_waitcnt lgkmcnt(0)
	s_barrier
.LBB2261_24:
	s_andn2_b64 vcc, exec, s[2:3]
	s_cbranch_vccnz .LBB2261_40
; %bb.25:
	v_cmp_gt_u32_e32 vcc, s33, v0
	v_mov_b32_e32 v14, 0
	v_mov_b32_e32 v15, 0
	s_and_saveexec_b64 s[2:3], vcc
	s_cbranch_execz .LBB2261_27
; %bb.26:
	v_readfirstlane_b32 s4, v8
	v_readfirstlane_b32 s5, v1
	s_nop 4
	global_load_dword v15, v22, s[4:5]
	s_waitcnt vmcnt(0)
	v_xor_b32_e32 v15, -1, v15
	v_and_b32_e32 v15, 1, v15
.LBB2261_27:
	s_or_b64 exec, exec, s[2:3]
	v_or_b32_e32 v16, 0x100, v0
	v_cmp_gt_u32_e32 vcc, s33, v16
	s_and_saveexec_b64 s[2:3], vcc
	s_cbranch_execz .LBB2261_29
; %bb.28:
	v_readfirstlane_b32 s4, v8
	v_readfirstlane_b32 s5, v1
	s_nop 4
	global_load_dword v14, v22, s[4:5] offset:1024
	s_waitcnt vmcnt(0)
	v_xor_b32_e32 v14, -1, v14
	v_and_b32_e32 v14, 1, v14
.LBB2261_29:
	s_or_b64 exec, exec, s[2:3]
	v_or_b32_e32 v16, 0x200, v0
	v_cmp_gt_u32_e32 vcc, s33, v16
	v_mov_b32_e32 v16, 0
	v_mov_b32_e32 v17, 0
	s_and_saveexec_b64 s[2:3], vcc
	s_cbranch_execz .LBB2261_31
; %bb.30:
	v_readfirstlane_b32 s4, v8
	v_readfirstlane_b32 s5, v1
	s_nop 4
	global_load_dword v17, v22, s[4:5] offset:2048
	s_waitcnt vmcnt(0)
	v_xor_b32_e32 v17, -1, v17
	v_and_b32_e32 v17, 1, v17
.LBB2261_31:
	s_or_b64 exec, exec, s[2:3]
	v_or_b32_e32 v18, 0x300, v0
	v_cmp_gt_u32_e32 vcc, s33, v18
	s_and_saveexec_b64 s[2:3], vcc
	s_cbranch_execz .LBB2261_33
; %bb.32:
	v_readfirstlane_b32 s4, v8
	v_readfirstlane_b32 s5, v1
	s_nop 4
	global_load_dword v16, v22, s[4:5] offset:3072
	s_waitcnt vmcnt(0)
	v_xor_b32_e32 v16, -1, v16
	v_and_b32_e32 v16, 1, v16
.LBB2261_33:
	s_or_b64 exec, exec, s[2:3]
	v_or_b32_e32 v20, 0x400, v0
	v_cmp_gt_u32_e32 vcc, s33, v20
	v_mov_b32_e32 v18, 0
	v_mov_b32_e32 v19, 0
	s_and_saveexec_b64 s[2:3], vcc
	s_cbranch_execz .LBB2261_35
; %bb.34:
	v_lshlrev_b32_e32 v19, 2, v20
	v_readfirstlane_b32 s4, v8
	v_readfirstlane_b32 s5, v1
	s_nop 4
	global_load_dword v19, v19, s[4:5]
	s_waitcnt vmcnt(0)
	v_xor_b32_e32 v19, -1, v19
	v_and_b32_e32 v19, 1, v19
.LBB2261_35:
	s_or_b64 exec, exec, s[2:3]
	v_or_b32_e32 v20, 0x500, v0
	v_cmp_gt_u32_e32 vcc, s33, v20
	s_and_saveexec_b64 s[2:3], vcc
	s_cbranch_execz .LBB2261_37
; %bb.36:
	v_lshlrev_b32_e32 v18, 2, v20
	v_readfirstlane_b32 s4, v8
	v_readfirstlane_b32 s5, v1
	s_nop 4
	global_load_dword v18, v18, s[4:5]
	s_waitcnt vmcnt(0)
	v_xor_b32_e32 v18, -1, v18
	v_and_b32_e32 v18, 1, v18
.LBB2261_37:
	s_or_b64 exec, exec, s[2:3]
	v_or_b32_e32 v21, 0x600, v0
	v_cmp_gt_u32_e32 vcc, s33, v21
	v_mov_b32_e32 v20, 0
	s_and_saveexec_b64 s[2:3], vcc
	s_cbranch_execz .LBB2261_39
; %bb.38:
	v_lshlrev_b32_e32 v20, 2, v21
	v_readfirstlane_b32 s4, v8
	v_readfirstlane_b32 s5, v1
	s_nop 4
	global_load_dword v1, v20, s[4:5]
	s_waitcnt vmcnt(0)
	v_xor_b32_e32 v1, -1, v1
	v_and_b32_e32 v20, 1, v1
.LBB2261_39:
	s_or_b64 exec, exec, s[2:3]
	ds_write_b8 v0, v15
	ds_write_b8 v0, v14 offset:256
	ds_write_b8 v0, v17 offset:512
	;; [unrolled: 1-line block ×6, first 2 shown]
	s_waitcnt lgkmcnt(0)
	s_barrier
.LBB2261_40:
	s_movk_i32 s2, 0xffeb
	v_mad_i32_i24 v32, v0, s2, v9
	ds_read_u8 v1, v32
	ds_read_u8 v8, v32 offset:1
	ds_read_u8 v9, v32 offset:2
	;; [unrolled: 1-line block ×6, first 2 shown]
	s_waitcnt lgkmcnt(6)
	v_and_b32_e32 v30, 1, v1
	s_waitcnt lgkmcnt(5)
	v_and_b32_e32 v29, 1, v8
	;; [unrolled: 2-line block ×5, first 2 shown]
	v_add3_u32 v8, v29, v30, v28
	s_waitcnt lgkmcnt(1)
	v_and_b32_e32 v25, 1, v16
	s_waitcnt lgkmcnt(0)
	v_and_b32_e32 v1, 1, v17
	v_add3_u32 v8, v8, v27, v26
	v_add3_u32 v34, v8, v25, v1
	v_mbcnt_lo_u32_b32 v8, -1, 0
	v_mbcnt_hi_u32_b32 v31, -1, v8
	v_and_b32_e32 v8, 15, v31
	v_cmp_eq_u32_e64 s[14:15], 0, v8
	v_cmp_lt_u32_e64 s[12:13], 1, v8
	v_cmp_lt_u32_e64 s[10:11], 3, v8
	;; [unrolled: 1-line block ×3, first 2 shown]
	v_and_b32_e32 v8, 16, v31
	v_cmp_eq_u32_e64 s[6:7], 0, v8
	v_or_b32_e32 v8, 63, v0
	s_cmp_lg_u32 s40, 0
	v_cmp_lt_u32_e64 s[2:3], 31, v31
	v_lshrrev_b32_e32 v33, 6, v0
	v_cmp_eq_u32_e64 s[4:5], v8, v0
	s_barrier
	s_cbranch_scc0 .LBB2261_67
; %bb.41:
	v_mov_b32_dpp v8, v34 row_shr:1 row_mask:0xf bank_mask:0xf
	v_cndmask_b32_e64 v8, v8, 0, s[14:15]
	v_add_u32_e32 v8, v8, v34
	s_nop 1
	v_mov_b32_dpp v9, v8 row_shr:2 row_mask:0xf bank_mask:0xf
	v_cndmask_b32_e64 v9, 0, v9, s[12:13]
	v_add_u32_e32 v8, v8, v9
	s_nop 1
	;; [unrolled: 4-line block ×4, first 2 shown]
	v_mov_b32_dpp v9, v8 row_bcast:15 row_mask:0xf bank_mask:0xf
	v_cndmask_b32_e64 v9, v9, 0, s[6:7]
	v_add_u32_e32 v8, v8, v9
	s_nop 1
	v_mov_b32_dpp v9, v8 row_bcast:31 row_mask:0xf bank_mask:0xf
	v_cndmask_b32_e64 v9, 0, v9, s[2:3]
	v_add_u32_e32 v8, v8, v9
	s_and_saveexec_b64 s[16:17], s[4:5]
	s_cbranch_execz .LBB2261_43
; %bb.42:
	v_lshlrev_b32_e32 v9, 2, v33
	ds_write_b32 v9, v8
.LBB2261_43:
	s_or_b64 exec, exec, s[16:17]
	v_cmp_gt_u32_e32 vcc, 4, v0
	s_waitcnt lgkmcnt(0)
	s_barrier
	s_and_saveexec_b64 s[16:17], vcc
	s_cbranch_execz .LBB2261_45
; %bb.44:
	ds_read_b32 v9, v22
	v_and_b32_e32 v14, 3, v31
	v_cmp_ne_u32_e32 vcc, 0, v14
	s_waitcnt lgkmcnt(0)
	v_mov_b32_dpp v15, v9 row_shr:1 row_mask:0xf bank_mask:0xf
	v_cndmask_b32_e32 v15, 0, v15, vcc
	v_add_u32_e32 v9, v15, v9
	v_cmp_lt_u32_e32 vcc, 1, v14
	s_nop 0
	v_mov_b32_dpp v15, v9 row_shr:2 row_mask:0xf bank_mask:0xf
	v_cndmask_b32_e32 v14, 0, v15, vcc
	v_add_u32_e32 v9, v9, v14
	ds_write_b32 v22, v9
.LBB2261_45:
	s_or_b64 exec, exec, s[16:17]
	v_cmp_gt_u32_e32 vcc, 64, v0
	v_cmp_lt_u32_e64 s[16:17], 63, v0
	s_waitcnt lgkmcnt(0)
	s_barrier
	s_waitcnt lgkmcnt(0)
                                        ; implicit-def: $vgpr35
	s_and_saveexec_b64 s[34:35], s[16:17]
	s_cbranch_execz .LBB2261_47
; %bb.46:
	v_lshl_add_u32 v9, v33, 2, -4
	ds_read_b32 v35, v9
	s_waitcnt lgkmcnt(0)
	v_add_u32_e32 v8, v35, v8
.LBB2261_47:
	s_or_b64 exec, exec, s[34:35]
	v_add_u32_e32 v9, -1, v31
	v_and_b32_e32 v14, 64, v31
	v_cmp_lt_i32_e64 s[16:17], v9, v14
	v_cndmask_b32_e64 v9, v9, v31, s[16:17]
	v_lshlrev_b32_e32 v9, 2, v9
	ds_bpermute_b32 v36, v9, v8
	v_cmp_eq_u32_e64 s[16:17], 0, v31
	s_and_saveexec_b64 s[34:35], vcc
	s_cbranch_execz .LBB2261_66
; %bb.48:
	v_mov_b32_e32 v19, 0
	ds_read_b32 v8, v19 offset:12
	s_and_saveexec_b64 s[36:37], s[16:17]
	s_cbranch_execz .LBB2261_50
; %bb.49:
	s_add_i32 s38, s40, 64
	s_mov_b32 s39, 0
	s_lshl_b64 s[38:39], s[38:39], 3
	s_add_u32 s38, s30, s38
	v_mov_b32_e32 v9, 1
	s_addc_u32 s39, s31, s39
	s_waitcnt lgkmcnt(0)
	global_store_dwordx2 v19, v[8:9], s[38:39]
.LBB2261_50:
	s_or_b64 exec, exec, s[36:37]
	v_xad_u32 v14, v31, -1, s40
	v_add_u32_e32 v18, 64, v14
	v_lshlrev_b64 v[16:17], 3, v[18:19]
	v_mov_b32_e32 v9, s31
	v_add_co_u32_e32 v20, vcc, s30, v16
	v_addc_co_u32_e32 v21, vcc, v9, v17, vcc
	global_load_dwordx2 v[16:17], v[20:21], off glc
	s_waitcnt vmcnt(0)
	v_cmp_eq_u16_sdwa s[38:39], v17, v19 src0_sel:BYTE_0 src1_sel:DWORD
	s_and_saveexec_b64 s[36:37], s[38:39]
	s_cbranch_execz .LBB2261_54
; %bb.51:
	s_mov_b64 s[38:39], 0
	v_mov_b32_e32 v9, 0
.LBB2261_52:                            ; =>This Inner Loop Header: Depth=1
	global_load_dwordx2 v[16:17], v[20:21], off glc
	s_waitcnt vmcnt(0)
	v_cmp_ne_u16_sdwa s[42:43], v17, v9 src0_sel:BYTE_0 src1_sel:DWORD
	s_or_b64 s[38:39], s[42:43], s[38:39]
	s_andn2_b64 exec, exec, s[38:39]
	s_cbranch_execnz .LBB2261_52
; %bb.53:
	s_or_b64 exec, exec, s[38:39]
.LBB2261_54:
	s_or_b64 exec, exec, s[36:37]
	v_and_b32_e32 v38, 63, v31
	v_mov_b32_e32 v37, 2
	v_cmp_ne_u32_e32 vcc, 63, v38
	v_cmp_eq_u16_sdwa s[36:37], v17, v37 src0_sel:BYTE_0 src1_sel:DWORD
	v_lshlrev_b64 v[18:19], v31, -1
	v_addc_co_u32_e32 v20, vcc, 0, v31, vcc
	v_and_b32_e32 v9, s37, v19
	v_lshlrev_b32_e32 v39, 2, v20
	v_or_b32_e32 v9, 0x80000000, v9
	ds_bpermute_b32 v20, v39, v16
	v_and_b32_e32 v15, s36, v18
	v_ffbl_b32_e32 v9, v9
	v_add_u32_e32 v9, 32, v9
	v_ffbl_b32_e32 v15, v15
	v_min_u32_e32 v9, v15, v9
	v_cmp_lt_u32_e32 vcc, v38, v9
	s_waitcnt lgkmcnt(0)
	v_cndmask_b32_e32 v15, 0, v20, vcc
	v_cmp_gt_u32_e32 vcc, 62, v38
	v_add_u32_e32 v15, v15, v16
	v_cndmask_b32_e64 v16, 0, 1, vcc
	v_lshlrev_b32_e32 v16, 1, v16
	v_add_lshl_u32 v40, v16, v31, 2
	ds_bpermute_b32 v16, v40, v15
	v_add_u32_e32 v41, 2, v38
	v_cmp_le_u32_e32 vcc, v41, v9
	v_add_u32_e32 v43, 4, v38
	v_add_u32_e32 v45, 8, v38
	s_waitcnt lgkmcnt(0)
	v_cndmask_b32_e32 v16, 0, v16, vcc
	v_cmp_gt_u32_e32 vcc, 60, v38
	v_add_u32_e32 v15, v15, v16
	v_cndmask_b32_e64 v16, 0, 1, vcc
	v_lshlrev_b32_e32 v16, 2, v16
	v_add_lshl_u32 v42, v16, v31, 2
	ds_bpermute_b32 v16, v42, v15
	v_cmp_le_u32_e32 vcc, v43, v9
	v_add_u32_e32 v47, 16, v38
	v_add_u32_e32 v49, 32, v38
	s_waitcnt lgkmcnt(0)
	v_cndmask_b32_e32 v16, 0, v16, vcc
	v_cmp_gt_u32_e32 vcc, 56, v38
	v_add_u32_e32 v15, v15, v16
	v_cndmask_b32_e64 v16, 0, 1, vcc
	v_lshlrev_b32_e32 v16, 3, v16
	v_add_lshl_u32 v44, v16, v31, 2
	ds_bpermute_b32 v16, v44, v15
	v_cmp_le_u32_e32 vcc, v45, v9
	s_waitcnt lgkmcnt(0)
	v_cndmask_b32_e32 v16, 0, v16, vcc
	v_cmp_gt_u32_e32 vcc, 48, v38
	v_add_u32_e32 v15, v15, v16
	v_cndmask_b32_e64 v16, 0, 1, vcc
	v_lshlrev_b32_e32 v16, 4, v16
	v_add_lshl_u32 v46, v16, v31, 2
	ds_bpermute_b32 v16, v46, v15
	v_cmp_le_u32_e32 vcc, v47, v9
	;; [unrolled: 9-line block ×3, first 2 shown]
	s_waitcnt lgkmcnt(0)
	v_cndmask_b32_e32 v9, 0, v16, vcc
	v_add_u32_e32 v16, v15, v9
	v_mov_b32_e32 v15, 0
	s_branch .LBB2261_56
.LBB2261_55:                            ;   in Loop: Header=BB2261_56 Depth=1
	s_or_b64 exec, exec, s[36:37]
	v_cmp_eq_u16_sdwa s[36:37], v17, v37 src0_sel:BYTE_0 src1_sel:DWORD
	v_and_b32_e32 v20, s37, v19
	v_or_b32_e32 v20, 0x80000000, v20
	ds_bpermute_b32 v50, v39, v16
	v_and_b32_e32 v21, s36, v18
	v_ffbl_b32_e32 v20, v20
	v_add_u32_e32 v20, 32, v20
	v_ffbl_b32_e32 v21, v21
	v_min_u32_e32 v20, v21, v20
	v_cmp_lt_u32_e32 vcc, v38, v20
	s_waitcnt lgkmcnt(0)
	v_cndmask_b32_e32 v21, 0, v50, vcc
	v_add_u32_e32 v16, v21, v16
	ds_bpermute_b32 v21, v40, v16
	v_cmp_le_u32_e32 vcc, v41, v20
	v_subrev_u32_e32 v14, 64, v14
	s_waitcnt lgkmcnt(0)
	v_cndmask_b32_e32 v21, 0, v21, vcc
	v_add_u32_e32 v16, v16, v21
	ds_bpermute_b32 v21, v42, v16
	v_cmp_le_u32_e32 vcc, v43, v20
	s_waitcnt lgkmcnt(0)
	v_cndmask_b32_e32 v21, 0, v21, vcc
	v_add_u32_e32 v16, v16, v21
	ds_bpermute_b32 v21, v44, v16
	v_cmp_le_u32_e32 vcc, v45, v20
	s_waitcnt lgkmcnt(0)
	v_cndmask_b32_e32 v21, 0, v21, vcc
	v_add_u32_e32 v16, v16, v21
	ds_bpermute_b32 v21, v46, v16
	v_cmp_le_u32_e32 vcc, v47, v20
	s_waitcnt lgkmcnt(0)
	v_cndmask_b32_e32 v21, 0, v21, vcc
	v_add_u32_e32 v16, v16, v21
	ds_bpermute_b32 v21, v48, v16
	v_cmp_le_u32_e32 vcc, v49, v20
	s_waitcnt lgkmcnt(0)
	v_cndmask_b32_e32 v20, 0, v21, vcc
	v_add3_u32 v16, v20, v9, v16
.LBB2261_56:                            ; =>This Loop Header: Depth=1
                                        ;     Child Loop BB2261_59 Depth 2
	v_cmp_ne_u16_sdwa s[36:37], v17, v37 src0_sel:BYTE_0 src1_sel:DWORD
	v_cndmask_b32_e64 v9, 0, 1, s[36:37]
	;;#ASMSTART
	;;#ASMEND
	v_cmp_ne_u32_e32 vcc, 0, v9
	s_cmp_lg_u64 vcc, exec
	v_mov_b32_e32 v9, v16
	s_cbranch_scc1 .LBB2261_61
; %bb.57:                               ;   in Loop: Header=BB2261_56 Depth=1
	v_lshlrev_b64 v[16:17], 3, v[14:15]
	v_mov_b32_e32 v21, s31
	v_add_co_u32_e32 v20, vcc, s30, v16
	v_addc_co_u32_e32 v21, vcc, v21, v17, vcc
	global_load_dwordx2 v[16:17], v[20:21], off glc
	s_waitcnt vmcnt(0)
	v_cmp_eq_u16_sdwa s[38:39], v17, v15 src0_sel:BYTE_0 src1_sel:DWORD
	s_and_saveexec_b64 s[36:37], s[38:39]
	s_cbranch_execz .LBB2261_55
; %bb.58:                               ;   in Loop: Header=BB2261_56 Depth=1
	s_mov_b64 s[38:39], 0
.LBB2261_59:                            ;   Parent Loop BB2261_56 Depth=1
                                        ; =>  This Inner Loop Header: Depth=2
	global_load_dwordx2 v[16:17], v[20:21], off glc
	s_waitcnt vmcnt(0)
	v_cmp_ne_u16_sdwa s[42:43], v17, v15 src0_sel:BYTE_0 src1_sel:DWORD
	s_or_b64 s[38:39], s[42:43], s[38:39]
	s_andn2_b64 exec, exec, s[38:39]
	s_cbranch_execnz .LBB2261_59
; %bb.60:                               ;   in Loop: Header=BB2261_56 Depth=1
	s_or_b64 exec, exec, s[38:39]
	s_branch .LBB2261_55
.LBB2261_61:                            ;   in Loop: Header=BB2261_56 Depth=1
                                        ; implicit-def: $vgpr16
                                        ; implicit-def: $vgpr17
	s_cbranch_execz .LBB2261_56
; %bb.62:
	s_and_saveexec_b64 s[36:37], s[16:17]
	s_cbranch_execz .LBB2261_64
; %bb.63:
	s_add_i32 s38, s40, 64
	s_mov_b32 s39, 0
	s_lshl_b64 s[38:39], s[38:39], 3
	s_add_u32 s38, s30, s38
	v_add_u32_e32 v14, v9, v8
	v_mov_b32_e32 v15, 2
	s_addc_u32 s39, s31, s39
	v_mov_b32_e32 v16, 0
	global_store_dwordx2 v16, v[14:15], s[38:39]
	ds_write_b64 v16, v[8:9] offset:7168
.LBB2261_64:
	s_or_b64 exec, exec, s[36:37]
	s_and_b64 exec, exec, s[0:1]
	s_cbranch_execz .LBB2261_66
; %bb.65:
	v_mov_b32_e32 v8, 0
	ds_write_b32 v8, v9 offset:12
.LBB2261_66:
	s_or_b64 exec, exec, s[34:35]
	v_mov_b32_e32 v8, 0
	s_waitcnt lgkmcnt(0)
	s_barrier
	ds_read_b32 v9, v8 offset:12
	v_cndmask_b32_e64 v14, v36, v35, s[16:17]
	v_cndmask_b32_e64 v14, v14, 0, s[0:1]
	s_waitcnt lgkmcnt(0)
	s_barrier
	v_add_u32_e32 v20, v9, v14
	v_add_u32_e32 v19, v20, v30
	;; [unrolled: 1-line block ×3, first 2 shown]
	ds_read_b64 v[8:9], v8 offset:7168
	v_add_u32_e32 v16, v18, v28
	v_add_u32_e32 v17, v16, v27
	;; [unrolled: 1-line block ×4, first 2 shown]
	s_branch .LBB2261_77
.LBB2261_67:
                                        ; implicit-def: $vgpr9
                                        ; implicit-def: $vgpr14
                                        ; implicit-def: $vgpr15
                                        ; implicit-def: $vgpr17
                                        ; implicit-def: $vgpr16
                                        ; implicit-def: $vgpr18
                                        ; implicit-def: $vgpr19
                                        ; implicit-def: $vgpr20
	s_cbranch_execz .LBB2261_77
; %bb.68:
	s_waitcnt lgkmcnt(0)
	v_mov_b32_dpp v8, v34 row_shr:1 row_mask:0xf bank_mask:0xf
	v_cndmask_b32_e64 v8, v8, 0, s[14:15]
	v_add_u32_e32 v8, v8, v34
	s_nop 1
	v_mov_b32_dpp v9, v8 row_shr:2 row_mask:0xf bank_mask:0xf
	v_cndmask_b32_e64 v9, 0, v9, s[12:13]
	v_add_u32_e32 v8, v8, v9
	s_nop 1
	;; [unrolled: 4-line block ×4, first 2 shown]
	v_mov_b32_dpp v9, v8 row_bcast:15 row_mask:0xf bank_mask:0xf
	v_cndmask_b32_e64 v9, v9, 0, s[6:7]
	v_add_u32_e32 v8, v8, v9
	s_nop 1
	v_mov_b32_dpp v9, v8 row_bcast:31 row_mask:0xf bank_mask:0xf
	v_cndmask_b32_e64 v9, 0, v9, s[2:3]
	v_add_u32_e32 v8, v8, v9
	s_and_saveexec_b64 s[2:3], s[4:5]
	s_cbranch_execz .LBB2261_70
; %bb.69:
	v_lshlrev_b32_e32 v9, 2, v33
	ds_write_b32 v9, v8
.LBB2261_70:
	s_or_b64 exec, exec, s[2:3]
	v_cmp_gt_u32_e32 vcc, 4, v0
	s_waitcnt lgkmcnt(0)
	s_barrier
	s_and_saveexec_b64 s[2:3], vcc
	s_cbranch_execz .LBB2261_72
; %bb.71:
	v_mad_i32_i24 v9, v0, -3, v32
	ds_read_b32 v14, v9
	v_and_b32_e32 v15, 3, v31
	v_cmp_ne_u32_e32 vcc, 0, v15
	s_waitcnt lgkmcnt(0)
	v_mov_b32_dpp v16, v14 row_shr:1 row_mask:0xf bank_mask:0xf
	v_cndmask_b32_e32 v16, 0, v16, vcc
	v_add_u32_e32 v14, v16, v14
	v_cmp_lt_u32_e32 vcc, 1, v15
	s_nop 0
	v_mov_b32_dpp v16, v14 row_shr:2 row_mask:0xf bank_mask:0xf
	v_cndmask_b32_e32 v15, 0, v16, vcc
	v_add_u32_e32 v14, v14, v15
	ds_write_b32 v9, v14
.LBB2261_72:
	s_or_b64 exec, exec, s[2:3]
	v_cmp_lt_u32_e32 vcc, 63, v0
	v_mov_b32_e32 v9, 0
	v_mov_b32_e32 v14, 0
	s_waitcnt lgkmcnt(0)
	s_barrier
	s_and_saveexec_b64 s[2:3], vcc
	s_cbranch_execz .LBB2261_74
; %bb.73:
	v_lshl_add_u32 v14, v33, 2, -4
	ds_read_b32 v14, v14
.LBB2261_74:
	s_or_b64 exec, exec, s[2:3]
	v_add_u32_e32 v15, -1, v31
	v_and_b32_e32 v16, 64, v31
	v_cmp_lt_i32_e32 vcc, v15, v16
	v_cndmask_b32_e32 v15, v15, v31, vcc
	s_waitcnt lgkmcnt(0)
	v_add_u32_e32 v8, v14, v8
	v_lshlrev_b32_e32 v15, 2, v15
	ds_bpermute_b32 v15, v15, v8
	ds_read_b32 v8, v9 offset:12
	s_and_saveexec_b64 s[2:3], s[0:1]
	s_cbranch_execz .LBB2261_76
; %bb.75:
	v_mov_b32_e32 v16, 0
	v_mov_b32_e32 v9, 2
	s_waitcnt lgkmcnt(0)
	global_store_dwordx2 v16, v[8:9], s[30:31] offset:512
.LBB2261_76:
	s_or_b64 exec, exec, s[2:3]
	v_cmp_eq_u32_e32 vcc, 0, v31
	s_waitcnt lgkmcnt(1)
	v_cndmask_b32_e32 v14, v15, v14, vcc
	v_cndmask_b32_e64 v20, v14, 0, s[0:1]
	v_add_u32_e32 v19, v20, v30
	v_add_u32_e32 v18, v19, v29
	;; [unrolled: 1-line block ×5, first 2 shown]
	v_mov_b32_e32 v9, 0
	v_add_u32_e32 v14, v15, v25
	s_waitcnt lgkmcnt(0)
	s_barrier
.LBB2261_77:
	s_waitcnt lgkmcnt(0)
	v_add_u32_e32 v21, v8, v24
	v_sub_u32_e32 v20, v20, v9
	v_sub_u32_e32 v24, v21, v20
	v_cmp_eq_u32_e32 vcc, 1, v30
	v_cndmask_b32_e32 v20, v24, v20, vcc
	v_lshlrev_b32_e32 v20, 2, v20
	ds_write_b32 v20, v6
	v_sub_u32_e32 v6, v19, v9
	v_sub_u32_e32 v19, v21, v6
	v_add_u32_e32 v19, 1, v19
	v_cmp_eq_u32_e32 vcc, 1, v29
	v_cndmask_b32_e32 v6, v19, v6, vcc
	v_lshlrev_b32_e32 v6, 2, v6
	ds_write_b32 v6, v7
	v_sub_u32_e32 v6, v18, v9
	v_sub_u32_e32 v7, v21, v6
	v_add_u32_e32 v7, 2, v7
	;; [unrolled: 7-line block ×6, first 2 shown]
	v_cmp_eq_u32_e32 vcc, 1, v1
	v_cndmask_b32_e32 v1, v3, v2, vcc
	s_waitcnt vmcnt(0)
	v_add_co_u32_e32 v24, vcc, v10, v9
	v_addc_co_u32_e32 v25, vcc, 0, v11, vcc
	v_add_co_u32_e32 v2, vcc, v24, v8
	v_addc_co_u32_e32 v3, vcc, 0, v25, vcc
	v_mov_b32_e32 v9, s19
	v_sub_co_u32_e32 v10, vcc, s18, v2
	v_subb_co_u32_e32 v11, vcc, v9, v3, vcc
	v_lshlrev_b64 v[10:11], 2, v[10:11]
	v_lshlrev_b32_e32 v1, 2, v1
	v_mov_b32_e32 v9, s27
	v_add_co_u32_e32 v10, vcc, s26, v10
	ds_write_b32 v1, v23
	s_waitcnt lgkmcnt(0)
	s_barrier
	ds_read2st64_b32 v[14:15], v22 offset1:4
	ds_read2st64_b32 v[6:7], v22 offset0:8 offset1:12
	ds_read2st64_b32 v[4:5], v22 offset0:16 offset1:20
	ds_read_b32 v1, v22 offset:6144
	v_addc_co_u32_e32 v11, vcc, v9, v11, vcc
	v_add_co_u32_e32 v9, vcc, v10, v12
	v_addc_co_u32_e32 v10, vcc, v11, v13, vcc
	v_lshlrev_b64 v[12:13], 2, v[24:25]
	v_mov_b32_e32 v23, s25
	v_add_co_u32_e64 v11, s[2:3], s24, v12
	v_or_b32_e32 v21, 0x100, v0
	v_or_b32_e32 v20, 0x200, v0
	;; [unrolled: 1-line block ×6, first 2 shown]
	s_andn2_b64 vcc, exec, s[28:29]
	v_addc_co_u32_e64 v12, s[2:3], v23, v13, s[2:3]
	s_cbranch_vccnz .LBB2261_79
; %bb.78:
	v_cmp_gt_u32_e32 vcc, v8, v0
	v_cndmask_b32_e32 v23, v9, v11, vcc
	v_cndmask_b32_e32 v13, v10, v12, vcc
	v_add_co_u32_e32 v24, vcc, v23, v22
	v_addc_co_u32_e32 v25, vcc, 0, v13, vcc
	v_cmp_lt_u32_e32 vcc, v21, v8
	v_cndmask_b32_e32 v23, v9, v11, vcc
	s_waitcnt lgkmcnt(3)
	global_store_dword v[24:25], v14, off
	v_cndmask_b32_e32 v13, v10, v12, vcc
	v_add_co_u32_e32 v24, vcc, v23, v22
	v_addc_co_u32_e32 v25, vcc, 0, v13, vcc
	v_cmp_lt_u32_e32 vcc, v20, v8
	v_cndmask_b32_e32 v23, v9, v11, vcc
	global_store_dword v[24:25], v15, off offset:1024
	v_cndmask_b32_e32 v13, v10, v12, vcc
	v_add_co_u32_e32 v24, vcc, v23, v22
	v_addc_co_u32_e32 v25, vcc, 0, v13, vcc
	v_cmp_lt_u32_e32 vcc, v19, v8
	v_cndmask_b32_e32 v23, v9, v11, vcc
	s_waitcnt lgkmcnt(2)
	global_store_dword v[24:25], v6, off offset:2048
	v_cndmask_b32_e32 v13, v10, v12, vcc
	v_add_co_u32_e32 v24, vcc, v23, v22
	v_addc_co_u32_e32 v25, vcc, 0, v13, vcc
	v_cmp_lt_u32_e32 vcc, v18, v8
	global_store_dword v[24:25], v7, off offset:3072
	v_cndmask_b32_e32 v23, v9, v11, vcc
	v_lshlrev_b32_e32 v24, 2, v18
	v_cndmask_b32_e32 v13, v10, v12, vcc
	v_add_co_u32_e32 v24, vcc, v23, v24
	v_addc_co_u32_e32 v25, vcc, 0, v13, vcc
	v_cmp_lt_u32_e32 vcc, v17, v8
	s_waitcnt lgkmcnt(1)
	global_store_dword v[24:25], v4, off
	v_cndmask_b32_e32 v23, v9, v11, vcc
	v_lshlrev_b32_e32 v24, 2, v17
	v_cndmask_b32_e32 v13, v10, v12, vcc
	v_add_co_u32_e32 v24, vcc, v23, v24
	v_addc_co_u32_e32 v25, vcc, 0, v13, vcc
	s_mov_b64 s[2:3], -1
	global_store_dword v[24:25], v5, off
	s_cbranch_execz .LBB2261_80
	s_branch .LBB2261_88
.LBB2261_79:
	s_mov_b64 s[2:3], 0
.LBB2261_80:
	v_cmp_gt_u32_e32 vcc, s33, v0
	s_and_saveexec_b64 s[2:3], vcc
	s_cbranch_execnz .LBB2261_93
; %bb.81:
	s_or_b64 exec, exec, s[2:3]
	v_cmp_gt_u32_e32 vcc, s33, v21
	s_and_saveexec_b64 s[2:3], vcc
	s_cbranch_execnz .LBB2261_94
.LBB2261_82:
	s_or_b64 exec, exec, s[2:3]
	v_cmp_gt_u32_e32 vcc, s33, v20
	s_and_saveexec_b64 s[2:3], vcc
	s_cbranch_execnz .LBB2261_95
.LBB2261_83:
	s_or_b64 exec, exec, s[2:3]
	v_cmp_gt_u32_e32 vcc, s33, v19
	s_and_saveexec_b64 s[2:3], vcc
	s_cbranch_execnz .LBB2261_96
.LBB2261_84:
	s_or_b64 exec, exec, s[2:3]
	v_cmp_gt_u32_e32 vcc, s33, v18
	s_and_saveexec_b64 s[2:3], vcc
	s_cbranch_execnz .LBB2261_97
.LBB2261_85:
	s_or_b64 exec, exec, s[2:3]
	v_cmp_gt_u32_e32 vcc, s33, v17
	s_and_saveexec_b64 s[2:3], vcc
	s_cbranch_execz .LBB2261_87
.LBB2261_86:
	v_cmp_lt_u32_e32 vcc, v17, v8
	s_waitcnt lgkmcnt(1)
	v_cndmask_b32_e32 v4, v9, v11, vcc
	v_lshlrev_b32_e32 v6, 2, v17
	v_cndmask_b32_e32 v0, v10, v12, vcc
	v_add_co_u32_e32 v6, vcc, v4, v6
	v_addc_co_u32_e32 v7, vcc, 0, v0, vcc
	global_store_dword v[6:7], v5, off
.LBB2261_87:
	s_or_b64 exec, exec, s[2:3]
	v_cmp_gt_u32_e64 s[2:3], s33, v16
.LBB2261_88:
	s_and_saveexec_b64 s[4:5], s[2:3]
	s_cbranch_execnz .LBB2261_91
; %bb.89:
	s_or_b64 exec, exec, s[4:5]
	s_and_b64 s[0:1], s[0:1], s[22:23]
	s_and_saveexec_b64 s[2:3], s[0:1]
	s_cbranch_execnz .LBB2261_92
.LBB2261_90:
	s_endpgm
.LBB2261_91:
	v_cmp_lt_u32_e32 vcc, v16, v8
	s_waitcnt lgkmcnt(1)
	v_cndmask_b32_e32 v4, v9, v11, vcc
	v_lshlrev_b32_e32 v5, 2, v16
	v_cndmask_b32_e32 v0, v10, v12, vcc
	v_add_co_u32_e32 v4, vcc, v4, v5
	v_addc_co_u32_e32 v5, vcc, 0, v0, vcc
	s_waitcnt lgkmcnt(0)
	global_store_dword v[4:5], v1, off
	s_or_b64 exec, exec, s[4:5]
	s_and_b64 s[0:1], s[0:1], s[22:23]
	s_and_saveexec_b64 s[2:3], s[0:1]
	s_cbranch_execz .LBB2261_90
.LBB2261_92:
	v_mov_b32_e32 v0, 0
	global_store_dwordx2 v0, v[2:3], s[20:21]
	s_endpgm
.LBB2261_93:
	v_cmp_gt_u32_e32 vcc, v8, v0
	v_cndmask_b32_e32 v13, v9, v11, vcc
	v_cndmask_b32_e32 v0, v10, v12, vcc
	v_add_co_u32_e32 v24, vcc, v13, v22
	v_addc_co_u32_e32 v25, vcc, 0, v0, vcc
	s_waitcnt lgkmcnt(3)
	global_store_dword v[24:25], v14, off
	s_or_b64 exec, exec, s[2:3]
	v_cmp_gt_u32_e32 vcc, s33, v21
	s_and_saveexec_b64 s[2:3], vcc
	s_cbranch_execz .LBB2261_82
.LBB2261_94:
	v_cmp_lt_u32_e32 vcc, v21, v8
	v_cndmask_b32_e32 v13, v9, v11, vcc
	v_cndmask_b32_e32 v0, v10, v12, vcc
	v_add_co_u32_e32 v24, vcc, v13, v22
	v_addc_co_u32_e32 v25, vcc, 0, v0, vcc
	s_waitcnt lgkmcnt(3)
	global_store_dword v[24:25], v15, off offset:1024
	s_or_b64 exec, exec, s[2:3]
	v_cmp_gt_u32_e32 vcc, s33, v20
	s_and_saveexec_b64 s[2:3], vcc
	s_cbranch_execz .LBB2261_83
.LBB2261_95:
	v_cmp_lt_u32_e32 vcc, v20, v8
	v_cndmask_b32_e32 v13, v9, v11, vcc
	v_cndmask_b32_e32 v0, v10, v12, vcc
	s_waitcnt lgkmcnt(3)
	v_add_co_u32_e32 v14, vcc, v13, v22
	v_addc_co_u32_e32 v15, vcc, 0, v0, vcc
	s_waitcnt lgkmcnt(2)
	global_store_dword v[14:15], v6, off offset:2048
	s_or_b64 exec, exec, s[2:3]
	v_cmp_gt_u32_e32 vcc, s33, v19
	s_and_saveexec_b64 s[2:3], vcc
	s_cbranch_execz .LBB2261_84
.LBB2261_96:
	v_cmp_lt_u32_e32 vcc, v19, v8
	s_waitcnt lgkmcnt(2)
	v_cndmask_b32_e32 v6, v9, v11, vcc
	v_cndmask_b32_e32 v0, v10, v12, vcc
	v_add_co_u32_e32 v14, vcc, v6, v22
	v_addc_co_u32_e32 v15, vcc, 0, v0, vcc
	global_store_dword v[14:15], v7, off offset:3072
	s_or_b64 exec, exec, s[2:3]
	v_cmp_gt_u32_e32 vcc, s33, v18
	s_and_saveexec_b64 s[2:3], vcc
	s_cbranch_execz .LBB2261_85
.LBB2261_97:
	v_cmp_lt_u32_e32 vcc, v18, v8
	s_waitcnt lgkmcnt(2)
	v_cndmask_b32_e32 v6, v9, v11, vcc
	v_lshlrev_b32_e32 v7, 2, v18
	v_cndmask_b32_e32 v0, v10, v12, vcc
	v_add_co_u32_e32 v6, vcc, v6, v7
	v_addc_co_u32_e32 v7, vcc, 0, v0, vcc
	s_waitcnt lgkmcnt(1)
	global_store_dword v[6:7], v4, off
	s_or_b64 exec, exec, s[2:3]
	v_cmp_gt_u32_e32 vcc, s33, v17
	s_and_saveexec_b64 s[2:3], vcc
	s_cbranch_execnz .LBB2261_86
	s_branch .LBB2261_87
	.section	.rodata,"a",@progbits
	.p2align	6, 0x0
	.amdhsa_kernel _ZN7rocprim17ROCPRIM_400000_NS6detail17trampoline_kernelINS0_14default_configENS1_25partition_config_selectorILNS1_17partition_subalgoE1EjNS0_10empty_typeEbEEZZNS1_14partition_implILS5_1ELb0ES3_jN6thrust23THRUST_200600_302600_NS6detail15normal_iteratorINSA_10device_ptrIjEEEEPS6_NSA_18transform_iteratorI7is_evenIjESF_NSA_11use_defaultESK_EENS0_5tupleIJSF_SF_EEENSM_IJSG_SG_EEES6_PlJS6_EEE10hipError_tPvRmT3_T4_T5_T6_T7_T9_mT8_P12ihipStream_tbDpT10_ENKUlT_T0_E_clISt17integral_constantIbLb0EES18_IbLb1EEEEDaS14_S15_EUlS14_E_NS1_11comp_targetILNS1_3genE4ELNS1_11target_archE910ELNS1_3gpuE8ELNS1_3repE0EEENS1_30default_config_static_selectorELNS0_4arch9wavefront6targetE1EEEvT1_
		.amdhsa_group_segment_fixed_size 7176
		.amdhsa_private_segment_fixed_size 0
		.amdhsa_kernarg_size 144
		.amdhsa_user_sgpr_count 6
		.amdhsa_user_sgpr_private_segment_buffer 1
		.amdhsa_user_sgpr_dispatch_ptr 0
		.amdhsa_user_sgpr_queue_ptr 0
		.amdhsa_user_sgpr_kernarg_segment_ptr 1
		.amdhsa_user_sgpr_dispatch_id 0
		.amdhsa_user_sgpr_flat_scratch_init 0
		.amdhsa_user_sgpr_kernarg_preload_length 0
		.amdhsa_user_sgpr_kernarg_preload_offset 0
		.amdhsa_user_sgpr_private_segment_size 0
		.amdhsa_uses_dynamic_stack 0
		.amdhsa_system_sgpr_private_segment_wavefront_offset 0
		.amdhsa_system_sgpr_workgroup_id_x 1
		.amdhsa_system_sgpr_workgroup_id_y 0
		.amdhsa_system_sgpr_workgroup_id_z 0
		.amdhsa_system_sgpr_workgroup_info 0
		.amdhsa_system_vgpr_workitem_id 0
		.amdhsa_next_free_vgpr 51
		.amdhsa_next_free_sgpr 44
		.amdhsa_accum_offset 52
		.amdhsa_reserve_vcc 1
		.amdhsa_reserve_flat_scratch 0
		.amdhsa_float_round_mode_32 0
		.amdhsa_float_round_mode_16_64 0
		.amdhsa_float_denorm_mode_32 3
		.amdhsa_float_denorm_mode_16_64 3
		.amdhsa_dx10_clamp 1
		.amdhsa_ieee_mode 1
		.amdhsa_fp16_overflow 0
		.amdhsa_tg_split 0
		.amdhsa_exception_fp_ieee_invalid_op 0
		.amdhsa_exception_fp_denorm_src 0
		.amdhsa_exception_fp_ieee_div_zero 0
		.amdhsa_exception_fp_ieee_overflow 0
		.amdhsa_exception_fp_ieee_underflow 0
		.amdhsa_exception_fp_ieee_inexact 0
		.amdhsa_exception_int_div_zero 0
	.end_amdhsa_kernel
	.section	.text._ZN7rocprim17ROCPRIM_400000_NS6detail17trampoline_kernelINS0_14default_configENS1_25partition_config_selectorILNS1_17partition_subalgoE1EjNS0_10empty_typeEbEEZZNS1_14partition_implILS5_1ELb0ES3_jN6thrust23THRUST_200600_302600_NS6detail15normal_iteratorINSA_10device_ptrIjEEEEPS6_NSA_18transform_iteratorI7is_evenIjESF_NSA_11use_defaultESK_EENS0_5tupleIJSF_SF_EEENSM_IJSG_SG_EEES6_PlJS6_EEE10hipError_tPvRmT3_T4_T5_T6_T7_T9_mT8_P12ihipStream_tbDpT10_ENKUlT_T0_E_clISt17integral_constantIbLb0EES18_IbLb1EEEEDaS14_S15_EUlS14_E_NS1_11comp_targetILNS1_3genE4ELNS1_11target_archE910ELNS1_3gpuE8ELNS1_3repE0EEENS1_30default_config_static_selectorELNS0_4arch9wavefront6targetE1EEEvT1_,"axG",@progbits,_ZN7rocprim17ROCPRIM_400000_NS6detail17trampoline_kernelINS0_14default_configENS1_25partition_config_selectorILNS1_17partition_subalgoE1EjNS0_10empty_typeEbEEZZNS1_14partition_implILS5_1ELb0ES3_jN6thrust23THRUST_200600_302600_NS6detail15normal_iteratorINSA_10device_ptrIjEEEEPS6_NSA_18transform_iteratorI7is_evenIjESF_NSA_11use_defaultESK_EENS0_5tupleIJSF_SF_EEENSM_IJSG_SG_EEES6_PlJS6_EEE10hipError_tPvRmT3_T4_T5_T6_T7_T9_mT8_P12ihipStream_tbDpT10_ENKUlT_T0_E_clISt17integral_constantIbLb0EES18_IbLb1EEEEDaS14_S15_EUlS14_E_NS1_11comp_targetILNS1_3genE4ELNS1_11target_archE910ELNS1_3gpuE8ELNS1_3repE0EEENS1_30default_config_static_selectorELNS0_4arch9wavefront6targetE1EEEvT1_,comdat
.Lfunc_end2261:
	.size	_ZN7rocprim17ROCPRIM_400000_NS6detail17trampoline_kernelINS0_14default_configENS1_25partition_config_selectorILNS1_17partition_subalgoE1EjNS0_10empty_typeEbEEZZNS1_14partition_implILS5_1ELb0ES3_jN6thrust23THRUST_200600_302600_NS6detail15normal_iteratorINSA_10device_ptrIjEEEEPS6_NSA_18transform_iteratorI7is_evenIjESF_NSA_11use_defaultESK_EENS0_5tupleIJSF_SF_EEENSM_IJSG_SG_EEES6_PlJS6_EEE10hipError_tPvRmT3_T4_T5_T6_T7_T9_mT8_P12ihipStream_tbDpT10_ENKUlT_T0_E_clISt17integral_constantIbLb0EES18_IbLb1EEEEDaS14_S15_EUlS14_E_NS1_11comp_targetILNS1_3genE4ELNS1_11target_archE910ELNS1_3gpuE8ELNS1_3repE0EEENS1_30default_config_static_selectorELNS0_4arch9wavefront6targetE1EEEvT1_, .Lfunc_end2261-_ZN7rocprim17ROCPRIM_400000_NS6detail17trampoline_kernelINS0_14default_configENS1_25partition_config_selectorILNS1_17partition_subalgoE1EjNS0_10empty_typeEbEEZZNS1_14partition_implILS5_1ELb0ES3_jN6thrust23THRUST_200600_302600_NS6detail15normal_iteratorINSA_10device_ptrIjEEEEPS6_NSA_18transform_iteratorI7is_evenIjESF_NSA_11use_defaultESK_EENS0_5tupleIJSF_SF_EEENSM_IJSG_SG_EEES6_PlJS6_EEE10hipError_tPvRmT3_T4_T5_T6_T7_T9_mT8_P12ihipStream_tbDpT10_ENKUlT_T0_E_clISt17integral_constantIbLb0EES18_IbLb1EEEEDaS14_S15_EUlS14_E_NS1_11comp_targetILNS1_3genE4ELNS1_11target_archE910ELNS1_3gpuE8ELNS1_3repE0EEENS1_30default_config_static_selectorELNS0_4arch9wavefront6targetE1EEEvT1_
                                        ; -- End function
	.section	.AMDGPU.csdata,"",@progbits
; Kernel info:
; codeLenInByte = 4812
; NumSgprs: 48
; NumVgprs: 51
; NumAgprs: 0
; TotalNumVgprs: 51
; ScratchSize: 0
; MemoryBound: 0
; FloatMode: 240
; IeeeMode: 1
; LDSByteSize: 7176 bytes/workgroup (compile time only)
; SGPRBlocks: 5
; VGPRBlocks: 6
; NumSGPRsForWavesPerEU: 48
; NumVGPRsForWavesPerEU: 51
; AccumOffset: 52
; Occupancy: 8
; WaveLimiterHint : 1
; COMPUTE_PGM_RSRC2:SCRATCH_EN: 0
; COMPUTE_PGM_RSRC2:USER_SGPR: 6
; COMPUTE_PGM_RSRC2:TRAP_HANDLER: 0
; COMPUTE_PGM_RSRC2:TGID_X_EN: 1
; COMPUTE_PGM_RSRC2:TGID_Y_EN: 0
; COMPUTE_PGM_RSRC2:TGID_Z_EN: 0
; COMPUTE_PGM_RSRC2:TIDIG_COMP_CNT: 0
; COMPUTE_PGM_RSRC3_GFX90A:ACCUM_OFFSET: 12
; COMPUTE_PGM_RSRC3_GFX90A:TG_SPLIT: 0
	.section	.text._ZN7rocprim17ROCPRIM_400000_NS6detail17trampoline_kernelINS0_14default_configENS1_25partition_config_selectorILNS1_17partition_subalgoE1EjNS0_10empty_typeEbEEZZNS1_14partition_implILS5_1ELb0ES3_jN6thrust23THRUST_200600_302600_NS6detail15normal_iteratorINSA_10device_ptrIjEEEEPS6_NSA_18transform_iteratorI7is_evenIjESF_NSA_11use_defaultESK_EENS0_5tupleIJSF_SF_EEENSM_IJSG_SG_EEES6_PlJS6_EEE10hipError_tPvRmT3_T4_T5_T6_T7_T9_mT8_P12ihipStream_tbDpT10_ENKUlT_T0_E_clISt17integral_constantIbLb0EES18_IbLb1EEEEDaS14_S15_EUlS14_E_NS1_11comp_targetILNS1_3genE3ELNS1_11target_archE908ELNS1_3gpuE7ELNS1_3repE0EEENS1_30default_config_static_selectorELNS0_4arch9wavefront6targetE1EEEvT1_,"axG",@progbits,_ZN7rocprim17ROCPRIM_400000_NS6detail17trampoline_kernelINS0_14default_configENS1_25partition_config_selectorILNS1_17partition_subalgoE1EjNS0_10empty_typeEbEEZZNS1_14partition_implILS5_1ELb0ES3_jN6thrust23THRUST_200600_302600_NS6detail15normal_iteratorINSA_10device_ptrIjEEEEPS6_NSA_18transform_iteratorI7is_evenIjESF_NSA_11use_defaultESK_EENS0_5tupleIJSF_SF_EEENSM_IJSG_SG_EEES6_PlJS6_EEE10hipError_tPvRmT3_T4_T5_T6_T7_T9_mT8_P12ihipStream_tbDpT10_ENKUlT_T0_E_clISt17integral_constantIbLb0EES18_IbLb1EEEEDaS14_S15_EUlS14_E_NS1_11comp_targetILNS1_3genE3ELNS1_11target_archE908ELNS1_3gpuE7ELNS1_3repE0EEENS1_30default_config_static_selectorELNS0_4arch9wavefront6targetE1EEEvT1_,comdat
	.protected	_ZN7rocprim17ROCPRIM_400000_NS6detail17trampoline_kernelINS0_14default_configENS1_25partition_config_selectorILNS1_17partition_subalgoE1EjNS0_10empty_typeEbEEZZNS1_14partition_implILS5_1ELb0ES3_jN6thrust23THRUST_200600_302600_NS6detail15normal_iteratorINSA_10device_ptrIjEEEEPS6_NSA_18transform_iteratorI7is_evenIjESF_NSA_11use_defaultESK_EENS0_5tupleIJSF_SF_EEENSM_IJSG_SG_EEES6_PlJS6_EEE10hipError_tPvRmT3_T4_T5_T6_T7_T9_mT8_P12ihipStream_tbDpT10_ENKUlT_T0_E_clISt17integral_constantIbLb0EES18_IbLb1EEEEDaS14_S15_EUlS14_E_NS1_11comp_targetILNS1_3genE3ELNS1_11target_archE908ELNS1_3gpuE7ELNS1_3repE0EEENS1_30default_config_static_selectorELNS0_4arch9wavefront6targetE1EEEvT1_ ; -- Begin function _ZN7rocprim17ROCPRIM_400000_NS6detail17trampoline_kernelINS0_14default_configENS1_25partition_config_selectorILNS1_17partition_subalgoE1EjNS0_10empty_typeEbEEZZNS1_14partition_implILS5_1ELb0ES3_jN6thrust23THRUST_200600_302600_NS6detail15normal_iteratorINSA_10device_ptrIjEEEEPS6_NSA_18transform_iteratorI7is_evenIjESF_NSA_11use_defaultESK_EENS0_5tupleIJSF_SF_EEENSM_IJSG_SG_EEES6_PlJS6_EEE10hipError_tPvRmT3_T4_T5_T6_T7_T9_mT8_P12ihipStream_tbDpT10_ENKUlT_T0_E_clISt17integral_constantIbLb0EES18_IbLb1EEEEDaS14_S15_EUlS14_E_NS1_11comp_targetILNS1_3genE3ELNS1_11target_archE908ELNS1_3gpuE7ELNS1_3repE0EEENS1_30default_config_static_selectorELNS0_4arch9wavefront6targetE1EEEvT1_
	.globl	_ZN7rocprim17ROCPRIM_400000_NS6detail17trampoline_kernelINS0_14default_configENS1_25partition_config_selectorILNS1_17partition_subalgoE1EjNS0_10empty_typeEbEEZZNS1_14partition_implILS5_1ELb0ES3_jN6thrust23THRUST_200600_302600_NS6detail15normal_iteratorINSA_10device_ptrIjEEEEPS6_NSA_18transform_iteratorI7is_evenIjESF_NSA_11use_defaultESK_EENS0_5tupleIJSF_SF_EEENSM_IJSG_SG_EEES6_PlJS6_EEE10hipError_tPvRmT3_T4_T5_T6_T7_T9_mT8_P12ihipStream_tbDpT10_ENKUlT_T0_E_clISt17integral_constantIbLb0EES18_IbLb1EEEEDaS14_S15_EUlS14_E_NS1_11comp_targetILNS1_3genE3ELNS1_11target_archE908ELNS1_3gpuE7ELNS1_3repE0EEENS1_30default_config_static_selectorELNS0_4arch9wavefront6targetE1EEEvT1_
	.p2align	8
	.type	_ZN7rocprim17ROCPRIM_400000_NS6detail17trampoline_kernelINS0_14default_configENS1_25partition_config_selectorILNS1_17partition_subalgoE1EjNS0_10empty_typeEbEEZZNS1_14partition_implILS5_1ELb0ES3_jN6thrust23THRUST_200600_302600_NS6detail15normal_iteratorINSA_10device_ptrIjEEEEPS6_NSA_18transform_iteratorI7is_evenIjESF_NSA_11use_defaultESK_EENS0_5tupleIJSF_SF_EEENSM_IJSG_SG_EEES6_PlJS6_EEE10hipError_tPvRmT3_T4_T5_T6_T7_T9_mT8_P12ihipStream_tbDpT10_ENKUlT_T0_E_clISt17integral_constantIbLb0EES18_IbLb1EEEEDaS14_S15_EUlS14_E_NS1_11comp_targetILNS1_3genE3ELNS1_11target_archE908ELNS1_3gpuE7ELNS1_3repE0EEENS1_30default_config_static_selectorELNS0_4arch9wavefront6targetE1EEEvT1_,@function
_ZN7rocprim17ROCPRIM_400000_NS6detail17trampoline_kernelINS0_14default_configENS1_25partition_config_selectorILNS1_17partition_subalgoE1EjNS0_10empty_typeEbEEZZNS1_14partition_implILS5_1ELb0ES3_jN6thrust23THRUST_200600_302600_NS6detail15normal_iteratorINSA_10device_ptrIjEEEEPS6_NSA_18transform_iteratorI7is_evenIjESF_NSA_11use_defaultESK_EENS0_5tupleIJSF_SF_EEENSM_IJSG_SG_EEES6_PlJS6_EEE10hipError_tPvRmT3_T4_T5_T6_T7_T9_mT8_P12ihipStream_tbDpT10_ENKUlT_T0_E_clISt17integral_constantIbLb0EES18_IbLb1EEEEDaS14_S15_EUlS14_E_NS1_11comp_targetILNS1_3genE3ELNS1_11target_archE908ELNS1_3gpuE7ELNS1_3repE0EEENS1_30default_config_static_selectorELNS0_4arch9wavefront6targetE1EEEvT1_: ; @_ZN7rocprim17ROCPRIM_400000_NS6detail17trampoline_kernelINS0_14default_configENS1_25partition_config_selectorILNS1_17partition_subalgoE1EjNS0_10empty_typeEbEEZZNS1_14partition_implILS5_1ELb0ES3_jN6thrust23THRUST_200600_302600_NS6detail15normal_iteratorINSA_10device_ptrIjEEEEPS6_NSA_18transform_iteratorI7is_evenIjESF_NSA_11use_defaultESK_EENS0_5tupleIJSF_SF_EEENSM_IJSG_SG_EEES6_PlJS6_EEE10hipError_tPvRmT3_T4_T5_T6_T7_T9_mT8_P12ihipStream_tbDpT10_ENKUlT_T0_E_clISt17integral_constantIbLb0EES18_IbLb1EEEEDaS14_S15_EUlS14_E_NS1_11comp_targetILNS1_3genE3ELNS1_11target_archE908ELNS1_3gpuE7ELNS1_3repE0EEENS1_30default_config_static_selectorELNS0_4arch9wavefront6targetE1EEEvT1_
; %bb.0:
	.section	.rodata,"a",@progbits
	.p2align	6, 0x0
	.amdhsa_kernel _ZN7rocprim17ROCPRIM_400000_NS6detail17trampoline_kernelINS0_14default_configENS1_25partition_config_selectorILNS1_17partition_subalgoE1EjNS0_10empty_typeEbEEZZNS1_14partition_implILS5_1ELb0ES3_jN6thrust23THRUST_200600_302600_NS6detail15normal_iteratorINSA_10device_ptrIjEEEEPS6_NSA_18transform_iteratorI7is_evenIjESF_NSA_11use_defaultESK_EENS0_5tupleIJSF_SF_EEENSM_IJSG_SG_EEES6_PlJS6_EEE10hipError_tPvRmT3_T4_T5_T6_T7_T9_mT8_P12ihipStream_tbDpT10_ENKUlT_T0_E_clISt17integral_constantIbLb0EES18_IbLb1EEEEDaS14_S15_EUlS14_E_NS1_11comp_targetILNS1_3genE3ELNS1_11target_archE908ELNS1_3gpuE7ELNS1_3repE0EEENS1_30default_config_static_selectorELNS0_4arch9wavefront6targetE1EEEvT1_
		.amdhsa_group_segment_fixed_size 0
		.amdhsa_private_segment_fixed_size 0
		.amdhsa_kernarg_size 144
		.amdhsa_user_sgpr_count 6
		.amdhsa_user_sgpr_private_segment_buffer 1
		.amdhsa_user_sgpr_dispatch_ptr 0
		.amdhsa_user_sgpr_queue_ptr 0
		.amdhsa_user_sgpr_kernarg_segment_ptr 1
		.amdhsa_user_sgpr_dispatch_id 0
		.amdhsa_user_sgpr_flat_scratch_init 0
		.amdhsa_user_sgpr_kernarg_preload_length 0
		.amdhsa_user_sgpr_kernarg_preload_offset 0
		.amdhsa_user_sgpr_private_segment_size 0
		.amdhsa_uses_dynamic_stack 0
		.amdhsa_system_sgpr_private_segment_wavefront_offset 0
		.amdhsa_system_sgpr_workgroup_id_x 1
		.amdhsa_system_sgpr_workgroup_id_y 0
		.amdhsa_system_sgpr_workgroup_id_z 0
		.amdhsa_system_sgpr_workgroup_info 0
		.amdhsa_system_vgpr_workitem_id 0
		.amdhsa_next_free_vgpr 1
		.amdhsa_next_free_sgpr 0
		.amdhsa_accum_offset 4
		.amdhsa_reserve_vcc 0
		.amdhsa_reserve_flat_scratch 0
		.amdhsa_float_round_mode_32 0
		.amdhsa_float_round_mode_16_64 0
		.amdhsa_float_denorm_mode_32 3
		.amdhsa_float_denorm_mode_16_64 3
		.amdhsa_dx10_clamp 1
		.amdhsa_ieee_mode 1
		.amdhsa_fp16_overflow 0
		.amdhsa_tg_split 0
		.amdhsa_exception_fp_ieee_invalid_op 0
		.amdhsa_exception_fp_denorm_src 0
		.amdhsa_exception_fp_ieee_div_zero 0
		.amdhsa_exception_fp_ieee_overflow 0
		.amdhsa_exception_fp_ieee_underflow 0
		.amdhsa_exception_fp_ieee_inexact 0
		.amdhsa_exception_int_div_zero 0
	.end_amdhsa_kernel
	.section	.text._ZN7rocprim17ROCPRIM_400000_NS6detail17trampoline_kernelINS0_14default_configENS1_25partition_config_selectorILNS1_17partition_subalgoE1EjNS0_10empty_typeEbEEZZNS1_14partition_implILS5_1ELb0ES3_jN6thrust23THRUST_200600_302600_NS6detail15normal_iteratorINSA_10device_ptrIjEEEEPS6_NSA_18transform_iteratorI7is_evenIjESF_NSA_11use_defaultESK_EENS0_5tupleIJSF_SF_EEENSM_IJSG_SG_EEES6_PlJS6_EEE10hipError_tPvRmT3_T4_T5_T6_T7_T9_mT8_P12ihipStream_tbDpT10_ENKUlT_T0_E_clISt17integral_constantIbLb0EES18_IbLb1EEEEDaS14_S15_EUlS14_E_NS1_11comp_targetILNS1_3genE3ELNS1_11target_archE908ELNS1_3gpuE7ELNS1_3repE0EEENS1_30default_config_static_selectorELNS0_4arch9wavefront6targetE1EEEvT1_,"axG",@progbits,_ZN7rocprim17ROCPRIM_400000_NS6detail17trampoline_kernelINS0_14default_configENS1_25partition_config_selectorILNS1_17partition_subalgoE1EjNS0_10empty_typeEbEEZZNS1_14partition_implILS5_1ELb0ES3_jN6thrust23THRUST_200600_302600_NS6detail15normal_iteratorINSA_10device_ptrIjEEEEPS6_NSA_18transform_iteratorI7is_evenIjESF_NSA_11use_defaultESK_EENS0_5tupleIJSF_SF_EEENSM_IJSG_SG_EEES6_PlJS6_EEE10hipError_tPvRmT3_T4_T5_T6_T7_T9_mT8_P12ihipStream_tbDpT10_ENKUlT_T0_E_clISt17integral_constantIbLb0EES18_IbLb1EEEEDaS14_S15_EUlS14_E_NS1_11comp_targetILNS1_3genE3ELNS1_11target_archE908ELNS1_3gpuE7ELNS1_3repE0EEENS1_30default_config_static_selectorELNS0_4arch9wavefront6targetE1EEEvT1_,comdat
.Lfunc_end2262:
	.size	_ZN7rocprim17ROCPRIM_400000_NS6detail17trampoline_kernelINS0_14default_configENS1_25partition_config_selectorILNS1_17partition_subalgoE1EjNS0_10empty_typeEbEEZZNS1_14partition_implILS5_1ELb0ES3_jN6thrust23THRUST_200600_302600_NS6detail15normal_iteratorINSA_10device_ptrIjEEEEPS6_NSA_18transform_iteratorI7is_evenIjESF_NSA_11use_defaultESK_EENS0_5tupleIJSF_SF_EEENSM_IJSG_SG_EEES6_PlJS6_EEE10hipError_tPvRmT3_T4_T5_T6_T7_T9_mT8_P12ihipStream_tbDpT10_ENKUlT_T0_E_clISt17integral_constantIbLb0EES18_IbLb1EEEEDaS14_S15_EUlS14_E_NS1_11comp_targetILNS1_3genE3ELNS1_11target_archE908ELNS1_3gpuE7ELNS1_3repE0EEENS1_30default_config_static_selectorELNS0_4arch9wavefront6targetE1EEEvT1_, .Lfunc_end2262-_ZN7rocprim17ROCPRIM_400000_NS6detail17trampoline_kernelINS0_14default_configENS1_25partition_config_selectorILNS1_17partition_subalgoE1EjNS0_10empty_typeEbEEZZNS1_14partition_implILS5_1ELb0ES3_jN6thrust23THRUST_200600_302600_NS6detail15normal_iteratorINSA_10device_ptrIjEEEEPS6_NSA_18transform_iteratorI7is_evenIjESF_NSA_11use_defaultESK_EENS0_5tupleIJSF_SF_EEENSM_IJSG_SG_EEES6_PlJS6_EEE10hipError_tPvRmT3_T4_T5_T6_T7_T9_mT8_P12ihipStream_tbDpT10_ENKUlT_T0_E_clISt17integral_constantIbLb0EES18_IbLb1EEEEDaS14_S15_EUlS14_E_NS1_11comp_targetILNS1_3genE3ELNS1_11target_archE908ELNS1_3gpuE7ELNS1_3repE0EEENS1_30default_config_static_selectorELNS0_4arch9wavefront6targetE1EEEvT1_
                                        ; -- End function
	.section	.AMDGPU.csdata,"",@progbits
; Kernel info:
; codeLenInByte = 0
; NumSgprs: 4
; NumVgprs: 0
; NumAgprs: 0
; TotalNumVgprs: 0
; ScratchSize: 0
; MemoryBound: 0
; FloatMode: 240
; IeeeMode: 1
; LDSByteSize: 0 bytes/workgroup (compile time only)
; SGPRBlocks: 0
; VGPRBlocks: 0
; NumSGPRsForWavesPerEU: 4
; NumVGPRsForWavesPerEU: 1
; AccumOffset: 4
; Occupancy: 8
; WaveLimiterHint : 0
; COMPUTE_PGM_RSRC2:SCRATCH_EN: 0
; COMPUTE_PGM_RSRC2:USER_SGPR: 6
; COMPUTE_PGM_RSRC2:TRAP_HANDLER: 0
; COMPUTE_PGM_RSRC2:TGID_X_EN: 1
; COMPUTE_PGM_RSRC2:TGID_Y_EN: 0
; COMPUTE_PGM_RSRC2:TGID_Z_EN: 0
; COMPUTE_PGM_RSRC2:TIDIG_COMP_CNT: 0
; COMPUTE_PGM_RSRC3_GFX90A:ACCUM_OFFSET: 0
; COMPUTE_PGM_RSRC3_GFX90A:TG_SPLIT: 0
	.section	.text._ZN7rocprim17ROCPRIM_400000_NS6detail17trampoline_kernelINS0_14default_configENS1_25partition_config_selectorILNS1_17partition_subalgoE1EjNS0_10empty_typeEbEEZZNS1_14partition_implILS5_1ELb0ES3_jN6thrust23THRUST_200600_302600_NS6detail15normal_iteratorINSA_10device_ptrIjEEEEPS6_NSA_18transform_iteratorI7is_evenIjESF_NSA_11use_defaultESK_EENS0_5tupleIJSF_SF_EEENSM_IJSG_SG_EEES6_PlJS6_EEE10hipError_tPvRmT3_T4_T5_T6_T7_T9_mT8_P12ihipStream_tbDpT10_ENKUlT_T0_E_clISt17integral_constantIbLb0EES18_IbLb1EEEEDaS14_S15_EUlS14_E_NS1_11comp_targetILNS1_3genE2ELNS1_11target_archE906ELNS1_3gpuE6ELNS1_3repE0EEENS1_30default_config_static_selectorELNS0_4arch9wavefront6targetE1EEEvT1_,"axG",@progbits,_ZN7rocprim17ROCPRIM_400000_NS6detail17trampoline_kernelINS0_14default_configENS1_25partition_config_selectorILNS1_17partition_subalgoE1EjNS0_10empty_typeEbEEZZNS1_14partition_implILS5_1ELb0ES3_jN6thrust23THRUST_200600_302600_NS6detail15normal_iteratorINSA_10device_ptrIjEEEEPS6_NSA_18transform_iteratorI7is_evenIjESF_NSA_11use_defaultESK_EENS0_5tupleIJSF_SF_EEENSM_IJSG_SG_EEES6_PlJS6_EEE10hipError_tPvRmT3_T4_T5_T6_T7_T9_mT8_P12ihipStream_tbDpT10_ENKUlT_T0_E_clISt17integral_constantIbLb0EES18_IbLb1EEEEDaS14_S15_EUlS14_E_NS1_11comp_targetILNS1_3genE2ELNS1_11target_archE906ELNS1_3gpuE6ELNS1_3repE0EEENS1_30default_config_static_selectorELNS0_4arch9wavefront6targetE1EEEvT1_,comdat
	.protected	_ZN7rocprim17ROCPRIM_400000_NS6detail17trampoline_kernelINS0_14default_configENS1_25partition_config_selectorILNS1_17partition_subalgoE1EjNS0_10empty_typeEbEEZZNS1_14partition_implILS5_1ELb0ES3_jN6thrust23THRUST_200600_302600_NS6detail15normal_iteratorINSA_10device_ptrIjEEEEPS6_NSA_18transform_iteratorI7is_evenIjESF_NSA_11use_defaultESK_EENS0_5tupleIJSF_SF_EEENSM_IJSG_SG_EEES6_PlJS6_EEE10hipError_tPvRmT3_T4_T5_T6_T7_T9_mT8_P12ihipStream_tbDpT10_ENKUlT_T0_E_clISt17integral_constantIbLb0EES18_IbLb1EEEEDaS14_S15_EUlS14_E_NS1_11comp_targetILNS1_3genE2ELNS1_11target_archE906ELNS1_3gpuE6ELNS1_3repE0EEENS1_30default_config_static_selectorELNS0_4arch9wavefront6targetE1EEEvT1_ ; -- Begin function _ZN7rocprim17ROCPRIM_400000_NS6detail17trampoline_kernelINS0_14default_configENS1_25partition_config_selectorILNS1_17partition_subalgoE1EjNS0_10empty_typeEbEEZZNS1_14partition_implILS5_1ELb0ES3_jN6thrust23THRUST_200600_302600_NS6detail15normal_iteratorINSA_10device_ptrIjEEEEPS6_NSA_18transform_iteratorI7is_evenIjESF_NSA_11use_defaultESK_EENS0_5tupleIJSF_SF_EEENSM_IJSG_SG_EEES6_PlJS6_EEE10hipError_tPvRmT3_T4_T5_T6_T7_T9_mT8_P12ihipStream_tbDpT10_ENKUlT_T0_E_clISt17integral_constantIbLb0EES18_IbLb1EEEEDaS14_S15_EUlS14_E_NS1_11comp_targetILNS1_3genE2ELNS1_11target_archE906ELNS1_3gpuE6ELNS1_3repE0EEENS1_30default_config_static_selectorELNS0_4arch9wavefront6targetE1EEEvT1_
	.globl	_ZN7rocprim17ROCPRIM_400000_NS6detail17trampoline_kernelINS0_14default_configENS1_25partition_config_selectorILNS1_17partition_subalgoE1EjNS0_10empty_typeEbEEZZNS1_14partition_implILS5_1ELb0ES3_jN6thrust23THRUST_200600_302600_NS6detail15normal_iteratorINSA_10device_ptrIjEEEEPS6_NSA_18transform_iteratorI7is_evenIjESF_NSA_11use_defaultESK_EENS0_5tupleIJSF_SF_EEENSM_IJSG_SG_EEES6_PlJS6_EEE10hipError_tPvRmT3_T4_T5_T6_T7_T9_mT8_P12ihipStream_tbDpT10_ENKUlT_T0_E_clISt17integral_constantIbLb0EES18_IbLb1EEEEDaS14_S15_EUlS14_E_NS1_11comp_targetILNS1_3genE2ELNS1_11target_archE906ELNS1_3gpuE6ELNS1_3repE0EEENS1_30default_config_static_selectorELNS0_4arch9wavefront6targetE1EEEvT1_
	.p2align	8
	.type	_ZN7rocprim17ROCPRIM_400000_NS6detail17trampoline_kernelINS0_14default_configENS1_25partition_config_selectorILNS1_17partition_subalgoE1EjNS0_10empty_typeEbEEZZNS1_14partition_implILS5_1ELb0ES3_jN6thrust23THRUST_200600_302600_NS6detail15normal_iteratorINSA_10device_ptrIjEEEEPS6_NSA_18transform_iteratorI7is_evenIjESF_NSA_11use_defaultESK_EENS0_5tupleIJSF_SF_EEENSM_IJSG_SG_EEES6_PlJS6_EEE10hipError_tPvRmT3_T4_T5_T6_T7_T9_mT8_P12ihipStream_tbDpT10_ENKUlT_T0_E_clISt17integral_constantIbLb0EES18_IbLb1EEEEDaS14_S15_EUlS14_E_NS1_11comp_targetILNS1_3genE2ELNS1_11target_archE906ELNS1_3gpuE6ELNS1_3repE0EEENS1_30default_config_static_selectorELNS0_4arch9wavefront6targetE1EEEvT1_,@function
_ZN7rocprim17ROCPRIM_400000_NS6detail17trampoline_kernelINS0_14default_configENS1_25partition_config_selectorILNS1_17partition_subalgoE1EjNS0_10empty_typeEbEEZZNS1_14partition_implILS5_1ELb0ES3_jN6thrust23THRUST_200600_302600_NS6detail15normal_iteratorINSA_10device_ptrIjEEEEPS6_NSA_18transform_iteratorI7is_evenIjESF_NSA_11use_defaultESK_EENS0_5tupleIJSF_SF_EEENSM_IJSG_SG_EEES6_PlJS6_EEE10hipError_tPvRmT3_T4_T5_T6_T7_T9_mT8_P12ihipStream_tbDpT10_ENKUlT_T0_E_clISt17integral_constantIbLb0EES18_IbLb1EEEEDaS14_S15_EUlS14_E_NS1_11comp_targetILNS1_3genE2ELNS1_11target_archE906ELNS1_3gpuE6ELNS1_3repE0EEENS1_30default_config_static_selectorELNS0_4arch9wavefront6targetE1EEEvT1_: ; @_ZN7rocprim17ROCPRIM_400000_NS6detail17trampoline_kernelINS0_14default_configENS1_25partition_config_selectorILNS1_17partition_subalgoE1EjNS0_10empty_typeEbEEZZNS1_14partition_implILS5_1ELb0ES3_jN6thrust23THRUST_200600_302600_NS6detail15normal_iteratorINSA_10device_ptrIjEEEEPS6_NSA_18transform_iteratorI7is_evenIjESF_NSA_11use_defaultESK_EENS0_5tupleIJSF_SF_EEENSM_IJSG_SG_EEES6_PlJS6_EEE10hipError_tPvRmT3_T4_T5_T6_T7_T9_mT8_P12ihipStream_tbDpT10_ENKUlT_T0_E_clISt17integral_constantIbLb0EES18_IbLb1EEEEDaS14_S15_EUlS14_E_NS1_11comp_targetILNS1_3genE2ELNS1_11target_archE906ELNS1_3gpuE6ELNS1_3repE0EEENS1_30default_config_static_selectorELNS0_4arch9wavefront6targetE1EEEvT1_
; %bb.0:
	.section	.rodata,"a",@progbits
	.p2align	6, 0x0
	.amdhsa_kernel _ZN7rocprim17ROCPRIM_400000_NS6detail17trampoline_kernelINS0_14default_configENS1_25partition_config_selectorILNS1_17partition_subalgoE1EjNS0_10empty_typeEbEEZZNS1_14partition_implILS5_1ELb0ES3_jN6thrust23THRUST_200600_302600_NS6detail15normal_iteratorINSA_10device_ptrIjEEEEPS6_NSA_18transform_iteratorI7is_evenIjESF_NSA_11use_defaultESK_EENS0_5tupleIJSF_SF_EEENSM_IJSG_SG_EEES6_PlJS6_EEE10hipError_tPvRmT3_T4_T5_T6_T7_T9_mT8_P12ihipStream_tbDpT10_ENKUlT_T0_E_clISt17integral_constantIbLb0EES18_IbLb1EEEEDaS14_S15_EUlS14_E_NS1_11comp_targetILNS1_3genE2ELNS1_11target_archE906ELNS1_3gpuE6ELNS1_3repE0EEENS1_30default_config_static_selectorELNS0_4arch9wavefront6targetE1EEEvT1_
		.amdhsa_group_segment_fixed_size 0
		.amdhsa_private_segment_fixed_size 0
		.amdhsa_kernarg_size 144
		.amdhsa_user_sgpr_count 6
		.amdhsa_user_sgpr_private_segment_buffer 1
		.amdhsa_user_sgpr_dispatch_ptr 0
		.amdhsa_user_sgpr_queue_ptr 0
		.amdhsa_user_sgpr_kernarg_segment_ptr 1
		.amdhsa_user_sgpr_dispatch_id 0
		.amdhsa_user_sgpr_flat_scratch_init 0
		.amdhsa_user_sgpr_kernarg_preload_length 0
		.amdhsa_user_sgpr_kernarg_preload_offset 0
		.amdhsa_user_sgpr_private_segment_size 0
		.amdhsa_uses_dynamic_stack 0
		.amdhsa_system_sgpr_private_segment_wavefront_offset 0
		.amdhsa_system_sgpr_workgroup_id_x 1
		.amdhsa_system_sgpr_workgroup_id_y 0
		.amdhsa_system_sgpr_workgroup_id_z 0
		.amdhsa_system_sgpr_workgroup_info 0
		.amdhsa_system_vgpr_workitem_id 0
		.amdhsa_next_free_vgpr 1
		.amdhsa_next_free_sgpr 0
		.amdhsa_accum_offset 4
		.amdhsa_reserve_vcc 0
		.amdhsa_reserve_flat_scratch 0
		.amdhsa_float_round_mode_32 0
		.amdhsa_float_round_mode_16_64 0
		.amdhsa_float_denorm_mode_32 3
		.amdhsa_float_denorm_mode_16_64 3
		.amdhsa_dx10_clamp 1
		.amdhsa_ieee_mode 1
		.amdhsa_fp16_overflow 0
		.amdhsa_tg_split 0
		.amdhsa_exception_fp_ieee_invalid_op 0
		.amdhsa_exception_fp_denorm_src 0
		.amdhsa_exception_fp_ieee_div_zero 0
		.amdhsa_exception_fp_ieee_overflow 0
		.amdhsa_exception_fp_ieee_underflow 0
		.amdhsa_exception_fp_ieee_inexact 0
		.amdhsa_exception_int_div_zero 0
	.end_amdhsa_kernel
	.section	.text._ZN7rocprim17ROCPRIM_400000_NS6detail17trampoline_kernelINS0_14default_configENS1_25partition_config_selectorILNS1_17partition_subalgoE1EjNS0_10empty_typeEbEEZZNS1_14partition_implILS5_1ELb0ES3_jN6thrust23THRUST_200600_302600_NS6detail15normal_iteratorINSA_10device_ptrIjEEEEPS6_NSA_18transform_iteratorI7is_evenIjESF_NSA_11use_defaultESK_EENS0_5tupleIJSF_SF_EEENSM_IJSG_SG_EEES6_PlJS6_EEE10hipError_tPvRmT3_T4_T5_T6_T7_T9_mT8_P12ihipStream_tbDpT10_ENKUlT_T0_E_clISt17integral_constantIbLb0EES18_IbLb1EEEEDaS14_S15_EUlS14_E_NS1_11comp_targetILNS1_3genE2ELNS1_11target_archE906ELNS1_3gpuE6ELNS1_3repE0EEENS1_30default_config_static_selectorELNS0_4arch9wavefront6targetE1EEEvT1_,"axG",@progbits,_ZN7rocprim17ROCPRIM_400000_NS6detail17trampoline_kernelINS0_14default_configENS1_25partition_config_selectorILNS1_17partition_subalgoE1EjNS0_10empty_typeEbEEZZNS1_14partition_implILS5_1ELb0ES3_jN6thrust23THRUST_200600_302600_NS6detail15normal_iteratorINSA_10device_ptrIjEEEEPS6_NSA_18transform_iteratorI7is_evenIjESF_NSA_11use_defaultESK_EENS0_5tupleIJSF_SF_EEENSM_IJSG_SG_EEES6_PlJS6_EEE10hipError_tPvRmT3_T4_T5_T6_T7_T9_mT8_P12ihipStream_tbDpT10_ENKUlT_T0_E_clISt17integral_constantIbLb0EES18_IbLb1EEEEDaS14_S15_EUlS14_E_NS1_11comp_targetILNS1_3genE2ELNS1_11target_archE906ELNS1_3gpuE6ELNS1_3repE0EEENS1_30default_config_static_selectorELNS0_4arch9wavefront6targetE1EEEvT1_,comdat
.Lfunc_end2263:
	.size	_ZN7rocprim17ROCPRIM_400000_NS6detail17trampoline_kernelINS0_14default_configENS1_25partition_config_selectorILNS1_17partition_subalgoE1EjNS0_10empty_typeEbEEZZNS1_14partition_implILS5_1ELb0ES3_jN6thrust23THRUST_200600_302600_NS6detail15normal_iteratorINSA_10device_ptrIjEEEEPS6_NSA_18transform_iteratorI7is_evenIjESF_NSA_11use_defaultESK_EENS0_5tupleIJSF_SF_EEENSM_IJSG_SG_EEES6_PlJS6_EEE10hipError_tPvRmT3_T4_T5_T6_T7_T9_mT8_P12ihipStream_tbDpT10_ENKUlT_T0_E_clISt17integral_constantIbLb0EES18_IbLb1EEEEDaS14_S15_EUlS14_E_NS1_11comp_targetILNS1_3genE2ELNS1_11target_archE906ELNS1_3gpuE6ELNS1_3repE0EEENS1_30default_config_static_selectorELNS0_4arch9wavefront6targetE1EEEvT1_, .Lfunc_end2263-_ZN7rocprim17ROCPRIM_400000_NS6detail17trampoline_kernelINS0_14default_configENS1_25partition_config_selectorILNS1_17partition_subalgoE1EjNS0_10empty_typeEbEEZZNS1_14partition_implILS5_1ELb0ES3_jN6thrust23THRUST_200600_302600_NS6detail15normal_iteratorINSA_10device_ptrIjEEEEPS6_NSA_18transform_iteratorI7is_evenIjESF_NSA_11use_defaultESK_EENS0_5tupleIJSF_SF_EEENSM_IJSG_SG_EEES6_PlJS6_EEE10hipError_tPvRmT3_T4_T5_T6_T7_T9_mT8_P12ihipStream_tbDpT10_ENKUlT_T0_E_clISt17integral_constantIbLb0EES18_IbLb1EEEEDaS14_S15_EUlS14_E_NS1_11comp_targetILNS1_3genE2ELNS1_11target_archE906ELNS1_3gpuE6ELNS1_3repE0EEENS1_30default_config_static_selectorELNS0_4arch9wavefront6targetE1EEEvT1_
                                        ; -- End function
	.section	.AMDGPU.csdata,"",@progbits
; Kernel info:
; codeLenInByte = 0
; NumSgprs: 4
; NumVgprs: 0
; NumAgprs: 0
; TotalNumVgprs: 0
; ScratchSize: 0
; MemoryBound: 0
; FloatMode: 240
; IeeeMode: 1
; LDSByteSize: 0 bytes/workgroup (compile time only)
; SGPRBlocks: 0
; VGPRBlocks: 0
; NumSGPRsForWavesPerEU: 4
; NumVGPRsForWavesPerEU: 1
; AccumOffset: 4
; Occupancy: 8
; WaveLimiterHint : 0
; COMPUTE_PGM_RSRC2:SCRATCH_EN: 0
; COMPUTE_PGM_RSRC2:USER_SGPR: 6
; COMPUTE_PGM_RSRC2:TRAP_HANDLER: 0
; COMPUTE_PGM_RSRC2:TGID_X_EN: 1
; COMPUTE_PGM_RSRC2:TGID_Y_EN: 0
; COMPUTE_PGM_RSRC2:TGID_Z_EN: 0
; COMPUTE_PGM_RSRC2:TIDIG_COMP_CNT: 0
; COMPUTE_PGM_RSRC3_GFX90A:ACCUM_OFFSET: 0
; COMPUTE_PGM_RSRC3_GFX90A:TG_SPLIT: 0
	.section	.text._ZN7rocprim17ROCPRIM_400000_NS6detail17trampoline_kernelINS0_14default_configENS1_25partition_config_selectorILNS1_17partition_subalgoE1EjNS0_10empty_typeEbEEZZNS1_14partition_implILS5_1ELb0ES3_jN6thrust23THRUST_200600_302600_NS6detail15normal_iteratorINSA_10device_ptrIjEEEEPS6_NSA_18transform_iteratorI7is_evenIjESF_NSA_11use_defaultESK_EENS0_5tupleIJSF_SF_EEENSM_IJSG_SG_EEES6_PlJS6_EEE10hipError_tPvRmT3_T4_T5_T6_T7_T9_mT8_P12ihipStream_tbDpT10_ENKUlT_T0_E_clISt17integral_constantIbLb0EES18_IbLb1EEEEDaS14_S15_EUlS14_E_NS1_11comp_targetILNS1_3genE10ELNS1_11target_archE1200ELNS1_3gpuE4ELNS1_3repE0EEENS1_30default_config_static_selectorELNS0_4arch9wavefront6targetE1EEEvT1_,"axG",@progbits,_ZN7rocprim17ROCPRIM_400000_NS6detail17trampoline_kernelINS0_14default_configENS1_25partition_config_selectorILNS1_17partition_subalgoE1EjNS0_10empty_typeEbEEZZNS1_14partition_implILS5_1ELb0ES3_jN6thrust23THRUST_200600_302600_NS6detail15normal_iteratorINSA_10device_ptrIjEEEEPS6_NSA_18transform_iteratorI7is_evenIjESF_NSA_11use_defaultESK_EENS0_5tupleIJSF_SF_EEENSM_IJSG_SG_EEES6_PlJS6_EEE10hipError_tPvRmT3_T4_T5_T6_T7_T9_mT8_P12ihipStream_tbDpT10_ENKUlT_T0_E_clISt17integral_constantIbLb0EES18_IbLb1EEEEDaS14_S15_EUlS14_E_NS1_11comp_targetILNS1_3genE10ELNS1_11target_archE1200ELNS1_3gpuE4ELNS1_3repE0EEENS1_30default_config_static_selectorELNS0_4arch9wavefront6targetE1EEEvT1_,comdat
	.protected	_ZN7rocprim17ROCPRIM_400000_NS6detail17trampoline_kernelINS0_14default_configENS1_25partition_config_selectorILNS1_17partition_subalgoE1EjNS0_10empty_typeEbEEZZNS1_14partition_implILS5_1ELb0ES3_jN6thrust23THRUST_200600_302600_NS6detail15normal_iteratorINSA_10device_ptrIjEEEEPS6_NSA_18transform_iteratorI7is_evenIjESF_NSA_11use_defaultESK_EENS0_5tupleIJSF_SF_EEENSM_IJSG_SG_EEES6_PlJS6_EEE10hipError_tPvRmT3_T4_T5_T6_T7_T9_mT8_P12ihipStream_tbDpT10_ENKUlT_T0_E_clISt17integral_constantIbLb0EES18_IbLb1EEEEDaS14_S15_EUlS14_E_NS1_11comp_targetILNS1_3genE10ELNS1_11target_archE1200ELNS1_3gpuE4ELNS1_3repE0EEENS1_30default_config_static_selectorELNS0_4arch9wavefront6targetE1EEEvT1_ ; -- Begin function _ZN7rocprim17ROCPRIM_400000_NS6detail17trampoline_kernelINS0_14default_configENS1_25partition_config_selectorILNS1_17partition_subalgoE1EjNS0_10empty_typeEbEEZZNS1_14partition_implILS5_1ELb0ES3_jN6thrust23THRUST_200600_302600_NS6detail15normal_iteratorINSA_10device_ptrIjEEEEPS6_NSA_18transform_iteratorI7is_evenIjESF_NSA_11use_defaultESK_EENS0_5tupleIJSF_SF_EEENSM_IJSG_SG_EEES6_PlJS6_EEE10hipError_tPvRmT3_T4_T5_T6_T7_T9_mT8_P12ihipStream_tbDpT10_ENKUlT_T0_E_clISt17integral_constantIbLb0EES18_IbLb1EEEEDaS14_S15_EUlS14_E_NS1_11comp_targetILNS1_3genE10ELNS1_11target_archE1200ELNS1_3gpuE4ELNS1_3repE0EEENS1_30default_config_static_selectorELNS0_4arch9wavefront6targetE1EEEvT1_
	.globl	_ZN7rocprim17ROCPRIM_400000_NS6detail17trampoline_kernelINS0_14default_configENS1_25partition_config_selectorILNS1_17partition_subalgoE1EjNS0_10empty_typeEbEEZZNS1_14partition_implILS5_1ELb0ES3_jN6thrust23THRUST_200600_302600_NS6detail15normal_iteratorINSA_10device_ptrIjEEEEPS6_NSA_18transform_iteratorI7is_evenIjESF_NSA_11use_defaultESK_EENS0_5tupleIJSF_SF_EEENSM_IJSG_SG_EEES6_PlJS6_EEE10hipError_tPvRmT3_T4_T5_T6_T7_T9_mT8_P12ihipStream_tbDpT10_ENKUlT_T0_E_clISt17integral_constantIbLb0EES18_IbLb1EEEEDaS14_S15_EUlS14_E_NS1_11comp_targetILNS1_3genE10ELNS1_11target_archE1200ELNS1_3gpuE4ELNS1_3repE0EEENS1_30default_config_static_selectorELNS0_4arch9wavefront6targetE1EEEvT1_
	.p2align	8
	.type	_ZN7rocprim17ROCPRIM_400000_NS6detail17trampoline_kernelINS0_14default_configENS1_25partition_config_selectorILNS1_17partition_subalgoE1EjNS0_10empty_typeEbEEZZNS1_14partition_implILS5_1ELb0ES3_jN6thrust23THRUST_200600_302600_NS6detail15normal_iteratorINSA_10device_ptrIjEEEEPS6_NSA_18transform_iteratorI7is_evenIjESF_NSA_11use_defaultESK_EENS0_5tupleIJSF_SF_EEENSM_IJSG_SG_EEES6_PlJS6_EEE10hipError_tPvRmT3_T4_T5_T6_T7_T9_mT8_P12ihipStream_tbDpT10_ENKUlT_T0_E_clISt17integral_constantIbLb0EES18_IbLb1EEEEDaS14_S15_EUlS14_E_NS1_11comp_targetILNS1_3genE10ELNS1_11target_archE1200ELNS1_3gpuE4ELNS1_3repE0EEENS1_30default_config_static_selectorELNS0_4arch9wavefront6targetE1EEEvT1_,@function
_ZN7rocprim17ROCPRIM_400000_NS6detail17trampoline_kernelINS0_14default_configENS1_25partition_config_selectorILNS1_17partition_subalgoE1EjNS0_10empty_typeEbEEZZNS1_14partition_implILS5_1ELb0ES3_jN6thrust23THRUST_200600_302600_NS6detail15normal_iteratorINSA_10device_ptrIjEEEEPS6_NSA_18transform_iteratorI7is_evenIjESF_NSA_11use_defaultESK_EENS0_5tupleIJSF_SF_EEENSM_IJSG_SG_EEES6_PlJS6_EEE10hipError_tPvRmT3_T4_T5_T6_T7_T9_mT8_P12ihipStream_tbDpT10_ENKUlT_T0_E_clISt17integral_constantIbLb0EES18_IbLb1EEEEDaS14_S15_EUlS14_E_NS1_11comp_targetILNS1_3genE10ELNS1_11target_archE1200ELNS1_3gpuE4ELNS1_3repE0EEENS1_30default_config_static_selectorELNS0_4arch9wavefront6targetE1EEEvT1_: ; @_ZN7rocprim17ROCPRIM_400000_NS6detail17trampoline_kernelINS0_14default_configENS1_25partition_config_selectorILNS1_17partition_subalgoE1EjNS0_10empty_typeEbEEZZNS1_14partition_implILS5_1ELb0ES3_jN6thrust23THRUST_200600_302600_NS6detail15normal_iteratorINSA_10device_ptrIjEEEEPS6_NSA_18transform_iteratorI7is_evenIjESF_NSA_11use_defaultESK_EENS0_5tupleIJSF_SF_EEENSM_IJSG_SG_EEES6_PlJS6_EEE10hipError_tPvRmT3_T4_T5_T6_T7_T9_mT8_P12ihipStream_tbDpT10_ENKUlT_T0_E_clISt17integral_constantIbLb0EES18_IbLb1EEEEDaS14_S15_EUlS14_E_NS1_11comp_targetILNS1_3genE10ELNS1_11target_archE1200ELNS1_3gpuE4ELNS1_3repE0EEENS1_30default_config_static_selectorELNS0_4arch9wavefront6targetE1EEEvT1_
; %bb.0:
	.section	.rodata,"a",@progbits
	.p2align	6, 0x0
	.amdhsa_kernel _ZN7rocprim17ROCPRIM_400000_NS6detail17trampoline_kernelINS0_14default_configENS1_25partition_config_selectorILNS1_17partition_subalgoE1EjNS0_10empty_typeEbEEZZNS1_14partition_implILS5_1ELb0ES3_jN6thrust23THRUST_200600_302600_NS6detail15normal_iteratorINSA_10device_ptrIjEEEEPS6_NSA_18transform_iteratorI7is_evenIjESF_NSA_11use_defaultESK_EENS0_5tupleIJSF_SF_EEENSM_IJSG_SG_EEES6_PlJS6_EEE10hipError_tPvRmT3_T4_T5_T6_T7_T9_mT8_P12ihipStream_tbDpT10_ENKUlT_T0_E_clISt17integral_constantIbLb0EES18_IbLb1EEEEDaS14_S15_EUlS14_E_NS1_11comp_targetILNS1_3genE10ELNS1_11target_archE1200ELNS1_3gpuE4ELNS1_3repE0EEENS1_30default_config_static_selectorELNS0_4arch9wavefront6targetE1EEEvT1_
		.amdhsa_group_segment_fixed_size 0
		.amdhsa_private_segment_fixed_size 0
		.amdhsa_kernarg_size 144
		.amdhsa_user_sgpr_count 6
		.amdhsa_user_sgpr_private_segment_buffer 1
		.amdhsa_user_sgpr_dispatch_ptr 0
		.amdhsa_user_sgpr_queue_ptr 0
		.amdhsa_user_sgpr_kernarg_segment_ptr 1
		.amdhsa_user_sgpr_dispatch_id 0
		.amdhsa_user_sgpr_flat_scratch_init 0
		.amdhsa_user_sgpr_kernarg_preload_length 0
		.amdhsa_user_sgpr_kernarg_preload_offset 0
		.amdhsa_user_sgpr_private_segment_size 0
		.amdhsa_uses_dynamic_stack 0
		.amdhsa_system_sgpr_private_segment_wavefront_offset 0
		.amdhsa_system_sgpr_workgroup_id_x 1
		.amdhsa_system_sgpr_workgroup_id_y 0
		.amdhsa_system_sgpr_workgroup_id_z 0
		.amdhsa_system_sgpr_workgroup_info 0
		.amdhsa_system_vgpr_workitem_id 0
		.amdhsa_next_free_vgpr 1
		.amdhsa_next_free_sgpr 0
		.amdhsa_accum_offset 4
		.amdhsa_reserve_vcc 0
		.amdhsa_reserve_flat_scratch 0
		.amdhsa_float_round_mode_32 0
		.amdhsa_float_round_mode_16_64 0
		.amdhsa_float_denorm_mode_32 3
		.amdhsa_float_denorm_mode_16_64 3
		.amdhsa_dx10_clamp 1
		.amdhsa_ieee_mode 1
		.amdhsa_fp16_overflow 0
		.amdhsa_tg_split 0
		.amdhsa_exception_fp_ieee_invalid_op 0
		.amdhsa_exception_fp_denorm_src 0
		.amdhsa_exception_fp_ieee_div_zero 0
		.amdhsa_exception_fp_ieee_overflow 0
		.amdhsa_exception_fp_ieee_underflow 0
		.amdhsa_exception_fp_ieee_inexact 0
		.amdhsa_exception_int_div_zero 0
	.end_amdhsa_kernel
	.section	.text._ZN7rocprim17ROCPRIM_400000_NS6detail17trampoline_kernelINS0_14default_configENS1_25partition_config_selectorILNS1_17partition_subalgoE1EjNS0_10empty_typeEbEEZZNS1_14partition_implILS5_1ELb0ES3_jN6thrust23THRUST_200600_302600_NS6detail15normal_iteratorINSA_10device_ptrIjEEEEPS6_NSA_18transform_iteratorI7is_evenIjESF_NSA_11use_defaultESK_EENS0_5tupleIJSF_SF_EEENSM_IJSG_SG_EEES6_PlJS6_EEE10hipError_tPvRmT3_T4_T5_T6_T7_T9_mT8_P12ihipStream_tbDpT10_ENKUlT_T0_E_clISt17integral_constantIbLb0EES18_IbLb1EEEEDaS14_S15_EUlS14_E_NS1_11comp_targetILNS1_3genE10ELNS1_11target_archE1200ELNS1_3gpuE4ELNS1_3repE0EEENS1_30default_config_static_selectorELNS0_4arch9wavefront6targetE1EEEvT1_,"axG",@progbits,_ZN7rocprim17ROCPRIM_400000_NS6detail17trampoline_kernelINS0_14default_configENS1_25partition_config_selectorILNS1_17partition_subalgoE1EjNS0_10empty_typeEbEEZZNS1_14partition_implILS5_1ELb0ES3_jN6thrust23THRUST_200600_302600_NS6detail15normal_iteratorINSA_10device_ptrIjEEEEPS6_NSA_18transform_iteratorI7is_evenIjESF_NSA_11use_defaultESK_EENS0_5tupleIJSF_SF_EEENSM_IJSG_SG_EEES6_PlJS6_EEE10hipError_tPvRmT3_T4_T5_T6_T7_T9_mT8_P12ihipStream_tbDpT10_ENKUlT_T0_E_clISt17integral_constantIbLb0EES18_IbLb1EEEEDaS14_S15_EUlS14_E_NS1_11comp_targetILNS1_3genE10ELNS1_11target_archE1200ELNS1_3gpuE4ELNS1_3repE0EEENS1_30default_config_static_selectorELNS0_4arch9wavefront6targetE1EEEvT1_,comdat
.Lfunc_end2264:
	.size	_ZN7rocprim17ROCPRIM_400000_NS6detail17trampoline_kernelINS0_14default_configENS1_25partition_config_selectorILNS1_17partition_subalgoE1EjNS0_10empty_typeEbEEZZNS1_14partition_implILS5_1ELb0ES3_jN6thrust23THRUST_200600_302600_NS6detail15normal_iteratorINSA_10device_ptrIjEEEEPS6_NSA_18transform_iteratorI7is_evenIjESF_NSA_11use_defaultESK_EENS0_5tupleIJSF_SF_EEENSM_IJSG_SG_EEES6_PlJS6_EEE10hipError_tPvRmT3_T4_T5_T6_T7_T9_mT8_P12ihipStream_tbDpT10_ENKUlT_T0_E_clISt17integral_constantIbLb0EES18_IbLb1EEEEDaS14_S15_EUlS14_E_NS1_11comp_targetILNS1_3genE10ELNS1_11target_archE1200ELNS1_3gpuE4ELNS1_3repE0EEENS1_30default_config_static_selectorELNS0_4arch9wavefront6targetE1EEEvT1_, .Lfunc_end2264-_ZN7rocprim17ROCPRIM_400000_NS6detail17trampoline_kernelINS0_14default_configENS1_25partition_config_selectorILNS1_17partition_subalgoE1EjNS0_10empty_typeEbEEZZNS1_14partition_implILS5_1ELb0ES3_jN6thrust23THRUST_200600_302600_NS6detail15normal_iteratorINSA_10device_ptrIjEEEEPS6_NSA_18transform_iteratorI7is_evenIjESF_NSA_11use_defaultESK_EENS0_5tupleIJSF_SF_EEENSM_IJSG_SG_EEES6_PlJS6_EEE10hipError_tPvRmT3_T4_T5_T6_T7_T9_mT8_P12ihipStream_tbDpT10_ENKUlT_T0_E_clISt17integral_constantIbLb0EES18_IbLb1EEEEDaS14_S15_EUlS14_E_NS1_11comp_targetILNS1_3genE10ELNS1_11target_archE1200ELNS1_3gpuE4ELNS1_3repE0EEENS1_30default_config_static_selectorELNS0_4arch9wavefront6targetE1EEEvT1_
                                        ; -- End function
	.section	.AMDGPU.csdata,"",@progbits
; Kernel info:
; codeLenInByte = 0
; NumSgprs: 4
; NumVgprs: 0
; NumAgprs: 0
; TotalNumVgprs: 0
; ScratchSize: 0
; MemoryBound: 0
; FloatMode: 240
; IeeeMode: 1
; LDSByteSize: 0 bytes/workgroup (compile time only)
; SGPRBlocks: 0
; VGPRBlocks: 0
; NumSGPRsForWavesPerEU: 4
; NumVGPRsForWavesPerEU: 1
; AccumOffset: 4
; Occupancy: 8
; WaveLimiterHint : 0
; COMPUTE_PGM_RSRC2:SCRATCH_EN: 0
; COMPUTE_PGM_RSRC2:USER_SGPR: 6
; COMPUTE_PGM_RSRC2:TRAP_HANDLER: 0
; COMPUTE_PGM_RSRC2:TGID_X_EN: 1
; COMPUTE_PGM_RSRC2:TGID_Y_EN: 0
; COMPUTE_PGM_RSRC2:TGID_Z_EN: 0
; COMPUTE_PGM_RSRC2:TIDIG_COMP_CNT: 0
; COMPUTE_PGM_RSRC3_GFX90A:ACCUM_OFFSET: 0
; COMPUTE_PGM_RSRC3_GFX90A:TG_SPLIT: 0
	.section	.text._ZN7rocprim17ROCPRIM_400000_NS6detail17trampoline_kernelINS0_14default_configENS1_25partition_config_selectorILNS1_17partition_subalgoE1EjNS0_10empty_typeEbEEZZNS1_14partition_implILS5_1ELb0ES3_jN6thrust23THRUST_200600_302600_NS6detail15normal_iteratorINSA_10device_ptrIjEEEEPS6_NSA_18transform_iteratorI7is_evenIjESF_NSA_11use_defaultESK_EENS0_5tupleIJSF_SF_EEENSM_IJSG_SG_EEES6_PlJS6_EEE10hipError_tPvRmT3_T4_T5_T6_T7_T9_mT8_P12ihipStream_tbDpT10_ENKUlT_T0_E_clISt17integral_constantIbLb0EES18_IbLb1EEEEDaS14_S15_EUlS14_E_NS1_11comp_targetILNS1_3genE9ELNS1_11target_archE1100ELNS1_3gpuE3ELNS1_3repE0EEENS1_30default_config_static_selectorELNS0_4arch9wavefront6targetE1EEEvT1_,"axG",@progbits,_ZN7rocprim17ROCPRIM_400000_NS6detail17trampoline_kernelINS0_14default_configENS1_25partition_config_selectorILNS1_17partition_subalgoE1EjNS0_10empty_typeEbEEZZNS1_14partition_implILS5_1ELb0ES3_jN6thrust23THRUST_200600_302600_NS6detail15normal_iteratorINSA_10device_ptrIjEEEEPS6_NSA_18transform_iteratorI7is_evenIjESF_NSA_11use_defaultESK_EENS0_5tupleIJSF_SF_EEENSM_IJSG_SG_EEES6_PlJS6_EEE10hipError_tPvRmT3_T4_T5_T6_T7_T9_mT8_P12ihipStream_tbDpT10_ENKUlT_T0_E_clISt17integral_constantIbLb0EES18_IbLb1EEEEDaS14_S15_EUlS14_E_NS1_11comp_targetILNS1_3genE9ELNS1_11target_archE1100ELNS1_3gpuE3ELNS1_3repE0EEENS1_30default_config_static_selectorELNS0_4arch9wavefront6targetE1EEEvT1_,comdat
	.protected	_ZN7rocprim17ROCPRIM_400000_NS6detail17trampoline_kernelINS0_14default_configENS1_25partition_config_selectorILNS1_17partition_subalgoE1EjNS0_10empty_typeEbEEZZNS1_14partition_implILS5_1ELb0ES3_jN6thrust23THRUST_200600_302600_NS6detail15normal_iteratorINSA_10device_ptrIjEEEEPS6_NSA_18transform_iteratorI7is_evenIjESF_NSA_11use_defaultESK_EENS0_5tupleIJSF_SF_EEENSM_IJSG_SG_EEES6_PlJS6_EEE10hipError_tPvRmT3_T4_T5_T6_T7_T9_mT8_P12ihipStream_tbDpT10_ENKUlT_T0_E_clISt17integral_constantIbLb0EES18_IbLb1EEEEDaS14_S15_EUlS14_E_NS1_11comp_targetILNS1_3genE9ELNS1_11target_archE1100ELNS1_3gpuE3ELNS1_3repE0EEENS1_30default_config_static_selectorELNS0_4arch9wavefront6targetE1EEEvT1_ ; -- Begin function _ZN7rocprim17ROCPRIM_400000_NS6detail17trampoline_kernelINS0_14default_configENS1_25partition_config_selectorILNS1_17partition_subalgoE1EjNS0_10empty_typeEbEEZZNS1_14partition_implILS5_1ELb0ES3_jN6thrust23THRUST_200600_302600_NS6detail15normal_iteratorINSA_10device_ptrIjEEEEPS6_NSA_18transform_iteratorI7is_evenIjESF_NSA_11use_defaultESK_EENS0_5tupleIJSF_SF_EEENSM_IJSG_SG_EEES6_PlJS6_EEE10hipError_tPvRmT3_T4_T5_T6_T7_T9_mT8_P12ihipStream_tbDpT10_ENKUlT_T0_E_clISt17integral_constantIbLb0EES18_IbLb1EEEEDaS14_S15_EUlS14_E_NS1_11comp_targetILNS1_3genE9ELNS1_11target_archE1100ELNS1_3gpuE3ELNS1_3repE0EEENS1_30default_config_static_selectorELNS0_4arch9wavefront6targetE1EEEvT1_
	.globl	_ZN7rocprim17ROCPRIM_400000_NS6detail17trampoline_kernelINS0_14default_configENS1_25partition_config_selectorILNS1_17partition_subalgoE1EjNS0_10empty_typeEbEEZZNS1_14partition_implILS5_1ELb0ES3_jN6thrust23THRUST_200600_302600_NS6detail15normal_iteratorINSA_10device_ptrIjEEEEPS6_NSA_18transform_iteratorI7is_evenIjESF_NSA_11use_defaultESK_EENS0_5tupleIJSF_SF_EEENSM_IJSG_SG_EEES6_PlJS6_EEE10hipError_tPvRmT3_T4_T5_T6_T7_T9_mT8_P12ihipStream_tbDpT10_ENKUlT_T0_E_clISt17integral_constantIbLb0EES18_IbLb1EEEEDaS14_S15_EUlS14_E_NS1_11comp_targetILNS1_3genE9ELNS1_11target_archE1100ELNS1_3gpuE3ELNS1_3repE0EEENS1_30default_config_static_selectorELNS0_4arch9wavefront6targetE1EEEvT1_
	.p2align	8
	.type	_ZN7rocprim17ROCPRIM_400000_NS6detail17trampoline_kernelINS0_14default_configENS1_25partition_config_selectorILNS1_17partition_subalgoE1EjNS0_10empty_typeEbEEZZNS1_14partition_implILS5_1ELb0ES3_jN6thrust23THRUST_200600_302600_NS6detail15normal_iteratorINSA_10device_ptrIjEEEEPS6_NSA_18transform_iteratorI7is_evenIjESF_NSA_11use_defaultESK_EENS0_5tupleIJSF_SF_EEENSM_IJSG_SG_EEES6_PlJS6_EEE10hipError_tPvRmT3_T4_T5_T6_T7_T9_mT8_P12ihipStream_tbDpT10_ENKUlT_T0_E_clISt17integral_constantIbLb0EES18_IbLb1EEEEDaS14_S15_EUlS14_E_NS1_11comp_targetILNS1_3genE9ELNS1_11target_archE1100ELNS1_3gpuE3ELNS1_3repE0EEENS1_30default_config_static_selectorELNS0_4arch9wavefront6targetE1EEEvT1_,@function
_ZN7rocprim17ROCPRIM_400000_NS6detail17trampoline_kernelINS0_14default_configENS1_25partition_config_selectorILNS1_17partition_subalgoE1EjNS0_10empty_typeEbEEZZNS1_14partition_implILS5_1ELb0ES3_jN6thrust23THRUST_200600_302600_NS6detail15normal_iteratorINSA_10device_ptrIjEEEEPS6_NSA_18transform_iteratorI7is_evenIjESF_NSA_11use_defaultESK_EENS0_5tupleIJSF_SF_EEENSM_IJSG_SG_EEES6_PlJS6_EEE10hipError_tPvRmT3_T4_T5_T6_T7_T9_mT8_P12ihipStream_tbDpT10_ENKUlT_T0_E_clISt17integral_constantIbLb0EES18_IbLb1EEEEDaS14_S15_EUlS14_E_NS1_11comp_targetILNS1_3genE9ELNS1_11target_archE1100ELNS1_3gpuE3ELNS1_3repE0EEENS1_30default_config_static_selectorELNS0_4arch9wavefront6targetE1EEEvT1_: ; @_ZN7rocprim17ROCPRIM_400000_NS6detail17trampoline_kernelINS0_14default_configENS1_25partition_config_selectorILNS1_17partition_subalgoE1EjNS0_10empty_typeEbEEZZNS1_14partition_implILS5_1ELb0ES3_jN6thrust23THRUST_200600_302600_NS6detail15normal_iteratorINSA_10device_ptrIjEEEEPS6_NSA_18transform_iteratorI7is_evenIjESF_NSA_11use_defaultESK_EENS0_5tupleIJSF_SF_EEENSM_IJSG_SG_EEES6_PlJS6_EEE10hipError_tPvRmT3_T4_T5_T6_T7_T9_mT8_P12ihipStream_tbDpT10_ENKUlT_T0_E_clISt17integral_constantIbLb0EES18_IbLb1EEEEDaS14_S15_EUlS14_E_NS1_11comp_targetILNS1_3genE9ELNS1_11target_archE1100ELNS1_3gpuE3ELNS1_3repE0EEENS1_30default_config_static_selectorELNS0_4arch9wavefront6targetE1EEEvT1_
; %bb.0:
	.section	.rodata,"a",@progbits
	.p2align	6, 0x0
	.amdhsa_kernel _ZN7rocprim17ROCPRIM_400000_NS6detail17trampoline_kernelINS0_14default_configENS1_25partition_config_selectorILNS1_17partition_subalgoE1EjNS0_10empty_typeEbEEZZNS1_14partition_implILS5_1ELb0ES3_jN6thrust23THRUST_200600_302600_NS6detail15normal_iteratorINSA_10device_ptrIjEEEEPS6_NSA_18transform_iteratorI7is_evenIjESF_NSA_11use_defaultESK_EENS0_5tupleIJSF_SF_EEENSM_IJSG_SG_EEES6_PlJS6_EEE10hipError_tPvRmT3_T4_T5_T6_T7_T9_mT8_P12ihipStream_tbDpT10_ENKUlT_T0_E_clISt17integral_constantIbLb0EES18_IbLb1EEEEDaS14_S15_EUlS14_E_NS1_11comp_targetILNS1_3genE9ELNS1_11target_archE1100ELNS1_3gpuE3ELNS1_3repE0EEENS1_30default_config_static_selectorELNS0_4arch9wavefront6targetE1EEEvT1_
		.amdhsa_group_segment_fixed_size 0
		.amdhsa_private_segment_fixed_size 0
		.amdhsa_kernarg_size 144
		.amdhsa_user_sgpr_count 6
		.amdhsa_user_sgpr_private_segment_buffer 1
		.amdhsa_user_sgpr_dispatch_ptr 0
		.amdhsa_user_sgpr_queue_ptr 0
		.amdhsa_user_sgpr_kernarg_segment_ptr 1
		.amdhsa_user_sgpr_dispatch_id 0
		.amdhsa_user_sgpr_flat_scratch_init 0
		.amdhsa_user_sgpr_kernarg_preload_length 0
		.amdhsa_user_sgpr_kernarg_preload_offset 0
		.amdhsa_user_sgpr_private_segment_size 0
		.amdhsa_uses_dynamic_stack 0
		.amdhsa_system_sgpr_private_segment_wavefront_offset 0
		.amdhsa_system_sgpr_workgroup_id_x 1
		.amdhsa_system_sgpr_workgroup_id_y 0
		.amdhsa_system_sgpr_workgroup_id_z 0
		.amdhsa_system_sgpr_workgroup_info 0
		.amdhsa_system_vgpr_workitem_id 0
		.amdhsa_next_free_vgpr 1
		.amdhsa_next_free_sgpr 0
		.amdhsa_accum_offset 4
		.amdhsa_reserve_vcc 0
		.amdhsa_reserve_flat_scratch 0
		.amdhsa_float_round_mode_32 0
		.amdhsa_float_round_mode_16_64 0
		.amdhsa_float_denorm_mode_32 3
		.amdhsa_float_denorm_mode_16_64 3
		.amdhsa_dx10_clamp 1
		.amdhsa_ieee_mode 1
		.amdhsa_fp16_overflow 0
		.amdhsa_tg_split 0
		.amdhsa_exception_fp_ieee_invalid_op 0
		.amdhsa_exception_fp_denorm_src 0
		.amdhsa_exception_fp_ieee_div_zero 0
		.amdhsa_exception_fp_ieee_overflow 0
		.amdhsa_exception_fp_ieee_underflow 0
		.amdhsa_exception_fp_ieee_inexact 0
		.amdhsa_exception_int_div_zero 0
	.end_amdhsa_kernel
	.section	.text._ZN7rocprim17ROCPRIM_400000_NS6detail17trampoline_kernelINS0_14default_configENS1_25partition_config_selectorILNS1_17partition_subalgoE1EjNS0_10empty_typeEbEEZZNS1_14partition_implILS5_1ELb0ES3_jN6thrust23THRUST_200600_302600_NS6detail15normal_iteratorINSA_10device_ptrIjEEEEPS6_NSA_18transform_iteratorI7is_evenIjESF_NSA_11use_defaultESK_EENS0_5tupleIJSF_SF_EEENSM_IJSG_SG_EEES6_PlJS6_EEE10hipError_tPvRmT3_T4_T5_T6_T7_T9_mT8_P12ihipStream_tbDpT10_ENKUlT_T0_E_clISt17integral_constantIbLb0EES18_IbLb1EEEEDaS14_S15_EUlS14_E_NS1_11comp_targetILNS1_3genE9ELNS1_11target_archE1100ELNS1_3gpuE3ELNS1_3repE0EEENS1_30default_config_static_selectorELNS0_4arch9wavefront6targetE1EEEvT1_,"axG",@progbits,_ZN7rocprim17ROCPRIM_400000_NS6detail17trampoline_kernelINS0_14default_configENS1_25partition_config_selectorILNS1_17partition_subalgoE1EjNS0_10empty_typeEbEEZZNS1_14partition_implILS5_1ELb0ES3_jN6thrust23THRUST_200600_302600_NS6detail15normal_iteratorINSA_10device_ptrIjEEEEPS6_NSA_18transform_iteratorI7is_evenIjESF_NSA_11use_defaultESK_EENS0_5tupleIJSF_SF_EEENSM_IJSG_SG_EEES6_PlJS6_EEE10hipError_tPvRmT3_T4_T5_T6_T7_T9_mT8_P12ihipStream_tbDpT10_ENKUlT_T0_E_clISt17integral_constantIbLb0EES18_IbLb1EEEEDaS14_S15_EUlS14_E_NS1_11comp_targetILNS1_3genE9ELNS1_11target_archE1100ELNS1_3gpuE3ELNS1_3repE0EEENS1_30default_config_static_selectorELNS0_4arch9wavefront6targetE1EEEvT1_,comdat
.Lfunc_end2265:
	.size	_ZN7rocprim17ROCPRIM_400000_NS6detail17trampoline_kernelINS0_14default_configENS1_25partition_config_selectorILNS1_17partition_subalgoE1EjNS0_10empty_typeEbEEZZNS1_14partition_implILS5_1ELb0ES3_jN6thrust23THRUST_200600_302600_NS6detail15normal_iteratorINSA_10device_ptrIjEEEEPS6_NSA_18transform_iteratorI7is_evenIjESF_NSA_11use_defaultESK_EENS0_5tupleIJSF_SF_EEENSM_IJSG_SG_EEES6_PlJS6_EEE10hipError_tPvRmT3_T4_T5_T6_T7_T9_mT8_P12ihipStream_tbDpT10_ENKUlT_T0_E_clISt17integral_constantIbLb0EES18_IbLb1EEEEDaS14_S15_EUlS14_E_NS1_11comp_targetILNS1_3genE9ELNS1_11target_archE1100ELNS1_3gpuE3ELNS1_3repE0EEENS1_30default_config_static_selectorELNS0_4arch9wavefront6targetE1EEEvT1_, .Lfunc_end2265-_ZN7rocprim17ROCPRIM_400000_NS6detail17trampoline_kernelINS0_14default_configENS1_25partition_config_selectorILNS1_17partition_subalgoE1EjNS0_10empty_typeEbEEZZNS1_14partition_implILS5_1ELb0ES3_jN6thrust23THRUST_200600_302600_NS6detail15normal_iteratorINSA_10device_ptrIjEEEEPS6_NSA_18transform_iteratorI7is_evenIjESF_NSA_11use_defaultESK_EENS0_5tupleIJSF_SF_EEENSM_IJSG_SG_EEES6_PlJS6_EEE10hipError_tPvRmT3_T4_T5_T6_T7_T9_mT8_P12ihipStream_tbDpT10_ENKUlT_T0_E_clISt17integral_constantIbLb0EES18_IbLb1EEEEDaS14_S15_EUlS14_E_NS1_11comp_targetILNS1_3genE9ELNS1_11target_archE1100ELNS1_3gpuE3ELNS1_3repE0EEENS1_30default_config_static_selectorELNS0_4arch9wavefront6targetE1EEEvT1_
                                        ; -- End function
	.section	.AMDGPU.csdata,"",@progbits
; Kernel info:
; codeLenInByte = 0
; NumSgprs: 4
; NumVgprs: 0
; NumAgprs: 0
; TotalNumVgprs: 0
; ScratchSize: 0
; MemoryBound: 0
; FloatMode: 240
; IeeeMode: 1
; LDSByteSize: 0 bytes/workgroup (compile time only)
; SGPRBlocks: 0
; VGPRBlocks: 0
; NumSGPRsForWavesPerEU: 4
; NumVGPRsForWavesPerEU: 1
; AccumOffset: 4
; Occupancy: 8
; WaveLimiterHint : 0
; COMPUTE_PGM_RSRC2:SCRATCH_EN: 0
; COMPUTE_PGM_RSRC2:USER_SGPR: 6
; COMPUTE_PGM_RSRC2:TRAP_HANDLER: 0
; COMPUTE_PGM_RSRC2:TGID_X_EN: 1
; COMPUTE_PGM_RSRC2:TGID_Y_EN: 0
; COMPUTE_PGM_RSRC2:TGID_Z_EN: 0
; COMPUTE_PGM_RSRC2:TIDIG_COMP_CNT: 0
; COMPUTE_PGM_RSRC3_GFX90A:ACCUM_OFFSET: 0
; COMPUTE_PGM_RSRC3_GFX90A:TG_SPLIT: 0
	.section	.text._ZN7rocprim17ROCPRIM_400000_NS6detail17trampoline_kernelINS0_14default_configENS1_25partition_config_selectorILNS1_17partition_subalgoE1EjNS0_10empty_typeEbEEZZNS1_14partition_implILS5_1ELb0ES3_jN6thrust23THRUST_200600_302600_NS6detail15normal_iteratorINSA_10device_ptrIjEEEEPS6_NSA_18transform_iteratorI7is_evenIjESF_NSA_11use_defaultESK_EENS0_5tupleIJSF_SF_EEENSM_IJSG_SG_EEES6_PlJS6_EEE10hipError_tPvRmT3_T4_T5_T6_T7_T9_mT8_P12ihipStream_tbDpT10_ENKUlT_T0_E_clISt17integral_constantIbLb0EES18_IbLb1EEEEDaS14_S15_EUlS14_E_NS1_11comp_targetILNS1_3genE8ELNS1_11target_archE1030ELNS1_3gpuE2ELNS1_3repE0EEENS1_30default_config_static_selectorELNS0_4arch9wavefront6targetE1EEEvT1_,"axG",@progbits,_ZN7rocprim17ROCPRIM_400000_NS6detail17trampoline_kernelINS0_14default_configENS1_25partition_config_selectorILNS1_17partition_subalgoE1EjNS0_10empty_typeEbEEZZNS1_14partition_implILS5_1ELb0ES3_jN6thrust23THRUST_200600_302600_NS6detail15normal_iteratorINSA_10device_ptrIjEEEEPS6_NSA_18transform_iteratorI7is_evenIjESF_NSA_11use_defaultESK_EENS0_5tupleIJSF_SF_EEENSM_IJSG_SG_EEES6_PlJS6_EEE10hipError_tPvRmT3_T4_T5_T6_T7_T9_mT8_P12ihipStream_tbDpT10_ENKUlT_T0_E_clISt17integral_constantIbLb0EES18_IbLb1EEEEDaS14_S15_EUlS14_E_NS1_11comp_targetILNS1_3genE8ELNS1_11target_archE1030ELNS1_3gpuE2ELNS1_3repE0EEENS1_30default_config_static_selectorELNS0_4arch9wavefront6targetE1EEEvT1_,comdat
	.protected	_ZN7rocprim17ROCPRIM_400000_NS6detail17trampoline_kernelINS0_14default_configENS1_25partition_config_selectorILNS1_17partition_subalgoE1EjNS0_10empty_typeEbEEZZNS1_14partition_implILS5_1ELb0ES3_jN6thrust23THRUST_200600_302600_NS6detail15normal_iteratorINSA_10device_ptrIjEEEEPS6_NSA_18transform_iteratorI7is_evenIjESF_NSA_11use_defaultESK_EENS0_5tupleIJSF_SF_EEENSM_IJSG_SG_EEES6_PlJS6_EEE10hipError_tPvRmT3_T4_T5_T6_T7_T9_mT8_P12ihipStream_tbDpT10_ENKUlT_T0_E_clISt17integral_constantIbLb0EES18_IbLb1EEEEDaS14_S15_EUlS14_E_NS1_11comp_targetILNS1_3genE8ELNS1_11target_archE1030ELNS1_3gpuE2ELNS1_3repE0EEENS1_30default_config_static_selectorELNS0_4arch9wavefront6targetE1EEEvT1_ ; -- Begin function _ZN7rocprim17ROCPRIM_400000_NS6detail17trampoline_kernelINS0_14default_configENS1_25partition_config_selectorILNS1_17partition_subalgoE1EjNS0_10empty_typeEbEEZZNS1_14partition_implILS5_1ELb0ES3_jN6thrust23THRUST_200600_302600_NS6detail15normal_iteratorINSA_10device_ptrIjEEEEPS6_NSA_18transform_iteratorI7is_evenIjESF_NSA_11use_defaultESK_EENS0_5tupleIJSF_SF_EEENSM_IJSG_SG_EEES6_PlJS6_EEE10hipError_tPvRmT3_T4_T5_T6_T7_T9_mT8_P12ihipStream_tbDpT10_ENKUlT_T0_E_clISt17integral_constantIbLb0EES18_IbLb1EEEEDaS14_S15_EUlS14_E_NS1_11comp_targetILNS1_3genE8ELNS1_11target_archE1030ELNS1_3gpuE2ELNS1_3repE0EEENS1_30default_config_static_selectorELNS0_4arch9wavefront6targetE1EEEvT1_
	.globl	_ZN7rocprim17ROCPRIM_400000_NS6detail17trampoline_kernelINS0_14default_configENS1_25partition_config_selectorILNS1_17partition_subalgoE1EjNS0_10empty_typeEbEEZZNS1_14partition_implILS5_1ELb0ES3_jN6thrust23THRUST_200600_302600_NS6detail15normal_iteratorINSA_10device_ptrIjEEEEPS6_NSA_18transform_iteratorI7is_evenIjESF_NSA_11use_defaultESK_EENS0_5tupleIJSF_SF_EEENSM_IJSG_SG_EEES6_PlJS6_EEE10hipError_tPvRmT3_T4_T5_T6_T7_T9_mT8_P12ihipStream_tbDpT10_ENKUlT_T0_E_clISt17integral_constantIbLb0EES18_IbLb1EEEEDaS14_S15_EUlS14_E_NS1_11comp_targetILNS1_3genE8ELNS1_11target_archE1030ELNS1_3gpuE2ELNS1_3repE0EEENS1_30default_config_static_selectorELNS0_4arch9wavefront6targetE1EEEvT1_
	.p2align	8
	.type	_ZN7rocprim17ROCPRIM_400000_NS6detail17trampoline_kernelINS0_14default_configENS1_25partition_config_selectorILNS1_17partition_subalgoE1EjNS0_10empty_typeEbEEZZNS1_14partition_implILS5_1ELb0ES3_jN6thrust23THRUST_200600_302600_NS6detail15normal_iteratorINSA_10device_ptrIjEEEEPS6_NSA_18transform_iteratorI7is_evenIjESF_NSA_11use_defaultESK_EENS0_5tupleIJSF_SF_EEENSM_IJSG_SG_EEES6_PlJS6_EEE10hipError_tPvRmT3_T4_T5_T6_T7_T9_mT8_P12ihipStream_tbDpT10_ENKUlT_T0_E_clISt17integral_constantIbLb0EES18_IbLb1EEEEDaS14_S15_EUlS14_E_NS1_11comp_targetILNS1_3genE8ELNS1_11target_archE1030ELNS1_3gpuE2ELNS1_3repE0EEENS1_30default_config_static_selectorELNS0_4arch9wavefront6targetE1EEEvT1_,@function
_ZN7rocprim17ROCPRIM_400000_NS6detail17trampoline_kernelINS0_14default_configENS1_25partition_config_selectorILNS1_17partition_subalgoE1EjNS0_10empty_typeEbEEZZNS1_14partition_implILS5_1ELb0ES3_jN6thrust23THRUST_200600_302600_NS6detail15normal_iteratorINSA_10device_ptrIjEEEEPS6_NSA_18transform_iteratorI7is_evenIjESF_NSA_11use_defaultESK_EENS0_5tupleIJSF_SF_EEENSM_IJSG_SG_EEES6_PlJS6_EEE10hipError_tPvRmT3_T4_T5_T6_T7_T9_mT8_P12ihipStream_tbDpT10_ENKUlT_T0_E_clISt17integral_constantIbLb0EES18_IbLb1EEEEDaS14_S15_EUlS14_E_NS1_11comp_targetILNS1_3genE8ELNS1_11target_archE1030ELNS1_3gpuE2ELNS1_3repE0EEENS1_30default_config_static_selectorELNS0_4arch9wavefront6targetE1EEEvT1_: ; @_ZN7rocprim17ROCPRIM_400000_NS6detail17trampoline_kernelINS0_14default_configENS1_25partition_config_selectorILNS1_17partition_subalgoE1EjNS0_10empty_typeEbEEZZNS1_14partition_implILS5_1ELb0ES3_jN6thrust23THRUST_200600_302600_NS6detail15normal_iteratorINSA_10device_ptrIjEEEEPS6_NSA_18transform_iteratorI7is_evenIjESF_NSA_11use_defaultESK_EENS0_5tupleIJSF_SF_EEENSM_IJSG_SG_EEES6_PlJS6_EEE10hipError_tPvRmT3_T4_T5_T6_T7_T9_mT8_P12ihipStream_tbDpT10_ENKUlT_T0_E_clISt17integral_constantIbLb0EES18_IbLb1EEEEDaS14_S15_EUlS14_E_NS1_11comp_targetILNS1_3genE8ELNS1_11target_archE1030ELNS1_3gpuE2ELNS1_3repE0EEENS1_30default_config_static_selectorELNS0_4arch9wavefront6targetE1EEEvT1_
; %bb.0:
	.section	.rodata,"a",@progbits
	.p2align	6, 0x0
	.amdhsa_kernel _ZN7rocprim17ROCPRIM_400000_NS6detail17trampoline_kernelINS0_14default_configENS1_25partition_config_selectorILNS1_17partition_subalgoE1EjNS0_10empty_typeEbEEZZNS1_14partition_implILS5_1ELb0ES3_jN6thrust23THRUST_200600_302600_NS6detail15normal_iteratorINSA_10device_ptrIjEEEEPS6_NSA_18transform_iteratorI7is_evenIjESF_NSA_11use_defaultESK_EENS0_5tupleIJSF_SF_EEENSM_IJSG_SG_EEES6_PlJS6_EEE10hipError_tPvRmT3_T4_T5_T6_T7_T9_mT8_P12ihipStream_tbDpT10_ENKUlT_T0_E_clISt17integral_constantIbLb0EES18_IbLb1EEEEDaS14_S15_EUlS14_E_NS1_11comp_targetILNS1_3genE8ELNS1_11target_archE1030ELNS1_3gpuE2ELNS1_3repE0EEENS1_30default_config_static_selectorELNS0_4arch9wavefront6targetE1EEEvT1_
		.amdhsa_group_segment_fixed_size 0
		.amdhsa_private_segment_fixed_size 0
		.amdhsa_kernarg_size 144
		.amdhsa_user_sgpr_count 6
		.amdhsa_user_sgpr_private_segment_buffer 1
		.amdhsa_user_sgpr_dispatch_ptr 0
		.amdhsa_user_sgpr_queue_ptr 0
		.amdhsa_user_sgpr_kernarg_segment_ptr 1
		.amdhsa_user_sgpr_dispatch_id 0
		.amdhsa_user_sgpr_flat_scratch_init 0
		.amdhsa_user_sgpr_kernarg_preload_length 0
		.amdhsa_user_sgpr_kernarg_preload_offset 0
		.amdhsa_user_sgpr_private_segment_size 0
		.amdhsa_uses_dynamic_stack 0
		.amdhsa_system_sgpr_private_segment_wavefront_offset 0
		.amdhsa_system_sgpr_workgroup_id_x 1
		.amdhsa_system_sgpr_workgroup_id_y 0
		.amdhsa_system_sgpr_workgroup_id_z 0
		.amdhsa_system_sgpr_workgroup_info 0
		.amdhsa_system_vgpr_workitem_id 0
		.amdhsa_next_free_vgpr 1
		.amdhsa_next_free_sgpr 0
		.amdhsa_accum_offset 4
		.amdhsa_reserve_vcc 0
		.amdhsa_reserve_flat_scratch 0
		.amdhsa_float_round_mode_32 0
		.amdhsa_float_round_mode_16_64 0
		.amdhsa_float_denorm_mode_32 3
		.amdhsa_float_denorm_mode_16_64 3
		.amdhsa_dx10_clamp 1
		.amdhsa_ieee_mode 1
		.amdhsa_fp16_overflow 0
		.amdhsa_tg_split 0
		.amdhsa_exception_fp_ieee_invalid_op 0
		.amdhsa_exception_fp_denorm_src 0
		.amdhsa_exception_fp_ieee_div_zero 0
		.amdhsa_exception_fp_ieee_overflow 0
		.amdhsa_exception_fp_ieee_underflow 0
		.amdhsa_exception_fp_ieee_inexact 0
		.amdhsa_exception_int_div_zero 0
	.end_amdhsa_kernel
	.section	.text._ZN7rocprim17ROCPRIM_400000_NS6detail17trampoline_kernelINS0_14default_configENS1_25partition_config_selectorILNS1_17partition_subalgoE1EjNS0_10empty_typeEbEEZZNS1_14partition_implILS5_1ELb0ES3_jN6thrust23THRUST_200600_302600_NS6detail15normal_iteratorINSA_10device_ptrIjEEEEPS6_NSA_18transform_iteratorI7is_evenIjESF_NSA_11use_defaultESK_EENS0_5tupleIJSF_SF_EEENSM_IJSG_SG_EEES6_PlJS6_EEE10hipError_tPvRmT3_T4_T5_T6_T7_T9_mT8_P12ihipStream_tbDpT10_ENKUlT_T0_E_clISt17integral_constantIbLb0EES18_IbLb1EEEEDaS14_S15_EUlS14_E_NS1_11comp_targetILNS1_3genE8ELNS1_11target_archE1030ELNS1_3gpuE2ELNS1_3repE0EEENS1_30default_config_static_selectorELNS0_4arch9wavefront6targetE1EEEvT1_,"axG",@progbits,_ZN7rocprim17ROCPRIM_400000_NS6detail17trampoline_kernelINS0_14default_configENS1_25partition_config_selectorILNS1_17partition_subalgoE1EjNS0_10empty_typeEbEEZZNS1_14partition_implILS5_1ELb0ES3_jN6thrust23THRUST_200600_302600_NS6detail15normal_iteratorINSA_10device_ptrIjEEEEPS6_NSA_18transform_iteratorI7is_evenIjESF_NSA_11use_defaultESK_EENS0_5tupleIJSF_SF_EEENSM_IJSG_SG_EEES6_PlJS6_EEE10hipError_tPvRmT3_T4_T5_T6_T7_T9_mT8_P12ihipStream_tbDpT10_ENKUlT_T0_E_clISt17integral_constantIbLb0EES18_IbLb1EEEEDaS14_S15_EUlS14_E_NS1_11comp_targetILNS1_3genE8ELNS1_11target_archE1030ELNS1_3gpuE2ELNS1_3repE0EEENS1_30default_config_static_selectorELNS0_4arch9wavefront6targetE1EEEvT1_,comdat
.Lfunc_end2266:
	.size	_ZN7rocprim17ROCPRIM_400000_NS6detail17trampoline_kernelINS0_14default_configENS1_25partition_config_selectorILNS1_17partition_subalgoE1EjNS0_10empty_typeEbEEZZNS1_14partition_implILS5_1ELb0ES3_jN6thrust23THRUST_200600_302600_NS6detail15normal_iteratorINSA_10device_ptrIjEEEEPS6_NSA_18transform_iteratorI7is_evenIjESF_NSA_11use_defaultESK_EENS0_5tupleIJSF_SF_EEENSM_IJSG_SG_EEES6_PlJS6_EEE10hipError_tPvRmT3_T4_T5_T6_T7_T9_mT8_P12ihipStream_tbDpT10_ENKUlT_T0_E_clISt17integral_constantIbLb0EES18_IbLb1EEEEDaS14_S15_EUlS14_E_NS1_11comp_targetILNS1_3genE8ELNS1_11target_archE1030ELNS1_3gpuE2ELNS1_3repE0EEENS1_30default_config_static_selectorELNS0_4arch9wavefront6targetE1EEEvT1_, .Lfunc_end2266-_ZN7rocprim17ROCPRIM_400000_NS6detail17trampoline_kernelINS0_14default_configENS1_25partition_config_selectorILNS1_17partition_subalgoE1EjNS0_10empty_typeEbEEZZNS1_14partition_implILS5_1ELb0ES3_jN6thrust23THRUST_200600_302600_NS6detail15normal_iteratorINSA_10device_ptrIjEEEEPS6_NSA_18transform_iteratorI7is_evenIjESF_NSA_11use_defaultESK_EENS0_5tupleIJSF_SF_EEENSM_IJSG_SG_EEES6_PlJS6_EEE10hipError_tPvRmT3_T4_T5_T6_T7_T9_mT8_P12ihipStream_tbDpT10_ENKUlT_T0_E_clISt17integral_constantIbLb0EES18_IbLb1EEEEDaS14_S15_EUlS14_E_NS1_11comp_targetILNS1_3genE8ELNS1_11target_archE1030ELNS1_3gpuE2ELNS1_3repE0EEENS1_30default_config_static_selectorELNS0_4arch9wavefront6targetE1EEEvT1_
                                        ; -- End function
	.section	.AMDGPU.csdata,"",@progbits
; Kernel info:
; codeLenInByte = 0
; NumSgprs: 4
; NumVgprs: 0
; NumAgprs: 0
; TotalNumVgprs: 0
; ScratchSize: 0
; MemoryBound: 0
; FloatMode: 240
; IeeeMode: 1
; LDSByteSize: 0 bytes/workgroup (compile time only)
; SGPRBlocks: 0
; VGPRBlocks: 0
; NumSGPRsForWavesPerEU: 4
; NumVGPRsForWavesPerEU: 1
; AccumOffset: 4
; Occupancy: 8
; WaveLimiterHint : 0
; COMPUTE_PGM_RSRC2:SCRATCH_EN: 0
; COMPUTE_PGM_RSRC2:USER_SGPR: 6
; COMPUTE_PGM_RSRC2:TRAP_HANDLER: 0
; COMPUTE_PGM_RSRC2:TGID_X_EN: 1
; COMPUTE_PGM_RSRC2:TGID_Y_EN: 0
; COMPUTE_PGM_RSRC2:TGID_Z_EN: 0
; COMPUTE_PGM_RSRC2:TIDIG_COMP_CNT: 0
; COMPUTE_PGM_RSRC3_GFX90A:ACCUM_OFFSET: 0
; COMPUTE_PGM_RSRC3_GFX90A:TG_SPLIT: 0
	.section	.text._ZN7rocprim17ROCPRIM_400000_NS6detail17trampoline_kernelINS0_14default_configENS1_25partition_config_selectorILNS1_17partition_subalgoE1EtNS0_10empty_typeEbEEZZNS1_14partition_implILS5_1ELb0ES3_jN6thrust23THRUST_200600_302600_NS6detail15normal_iteratorINSA_10device_ptrItEEEEPS6_NSA_18transform_iteratorI7is_evenItESF_NSA_11use_defaultESK_EENS0_5tupleIJSF_SF_EEENSM_IJSG_SG_EEES6_PlJS6_EEE10hipError_tPvRmT3_T4_T5_T6_T7_T9_mT8_P12ihipStream_tbDpT10_ENKUlT_T0_E_clISt17integral_constantIbLb0EES19_EEDaS14_S15_EUlS14_E_NS1_11comp_targetILNS1_3genE0ELNS1_11target_archE4294967295ELNS1_3gpuE0ELNS1_3repE0EEENS1_30default_config_static_selectorELNS0_4arch9wavefront6targetE1EEEvT1_,"axG",@progbits,_ZN7rocprim17ROCPRIM_400000_NS6detail17trampoline_kernelINS0_14default_configENS1_25partition_config_selectorILNS1_17partition_subalgoE1EtNS0_10empty_typeEbEEZZNS1_14partition_implILS5_1ELb0ES3_jN6thrust23THRUST_200600_302600_NS6detail15normal_iteratorINSA_10device_ptrItEEEEPS6_NSA_18transform_iteratorI7is_evenItESF_NSA_11use_defaultESK_EENS0_5tupleIJSF_SF_EEENSM_IJSG_SG_EEES6_PlJS6_EEE10hipError_tPvRmT3_T4_T5_T6_T7_T9_mT8_P12ihipStream_tbDpT10_ENKUlT_T0_E_clISt17integral_constantIbLb0EES19_EEDaS14_S15_EUlS14_E_NS1_11comp_targetILNS1_3genE0ELNS1_11target_archE4294967295ELNS1_3gpuE0ELNS1_3repE0EEENS1_30default_config_static_selectorELNS0_4arch9wavefront6targetE1EEEvT1_,comdat
	.protected	_ZN7rocprim17ROCPRIM_400000_NS6detail17trampoline_kernelINS0_14default_configENS1_25partition_config_selectorILNS1_17partition_subalgoE1EtNS0_10empty_typeEbEEZZNS1_14partition_implILS5_1ELb0ES3_jN6thrust23THRUST_200600_302600_NS6detail15normal_iteratorINSA_10device_ptrItEEEEPS6_NSA_18transform_iteratorI7is_evenItESF_NSA_11use_defaultESK_EENS0_5tupleIJSF_SF_EEENSM_IJSG_SG_EEES6_PlJS6_EEE10hipError_tPvRmT3_T4_T5_T6_T7_T9_mT8_P12ihipStream_tbDpT10_ENKUlT_T0_E_clISt17integral_constantIbLb0EES19_EEDaS14_S15_EUlS14_E_NS1_11comp_targetILNS1_3genE0ELNS1_11target_archE4294967295ELNS1_3gpuE0ELNS1_3repE0EEENS1_30default_config_static_selectorELNS0_4arch9wavefront6targetE1EEEvT1_ ; -- Begin function _ZN7rocprim17ROCPRIM_400000_NS6detail17trampoline_kernelINS0_14default_configENS1_25partition_config_selectorILNS1_17partition_subalgoE1EtNS0_10empty_typeEbEEZZNS1_14partition_implILS5_1ELb0ES3_jN6thrust23THRUST_200600_302600_NS6detail15normal_iteratorINSA_10device_ptrItEEEEPS6_NSA_18transform_iteratorI7is_evenItESF_NSA_11use_defaultESK_EENS0_5tupleIJSF_SF_EEENSM_IJSG_SG_EEES6_PlJS6_EEE10hipError_tPvRmT3_T4_T5_T6_T7_T9_mT8_P12ihipStream_tbDpT10_ENKUlT_T0_E_clISt17integral_constantIbLb0EES19_EEDaS14_S15_EUlS14_E_NS1_11comp_targetILNS1_3genE0ELNS1_11target_archE4294967295ELNS1_3gpuE0ELNS1_3repE0EEENS1_30default_config_static_selectorELNS0_4arch9wavefront6targetE1EEEvT1_
	.globl	_ZN7rocprim17ROCPRIM_400000_NS6detail17trampoline_kernelINS0_14default_configENS1_25partition_config_selectorILNS1_17partition_subalgoE1EtNS0_10empty_typeEbEEZZNS1_14partition_implILS5_1ELb0ES3_jN6thrust23THRUST_200600_302600_NS6detail15normal_iteratorINSA_10device_ptrItEEEEPS6_NSA_18transform_iteratorI7is_evenItESF_NSA_11use_defaultESK_EENS0_5tupleIJSF_SF_EEENSM_IJSG_SG_EEES6_PlJS6_EEE10hipError_tPvRmT3_T4_T5_T6_T7_T9_mT8_P12ihipStream_tbDpT10_ENKUlT_T0_E_clISt17integral_constantIbLb0EES19_EEDaS14_S15_EUlS14_E_NS1_11comp_targetILNS1_3genE0ELNS1_11target_archE4294967295ELNS1_3gpuE0ELNS1_3repE0EEENS1_30default_config_static_selectorELNS0_4arch9wavefront6targetE1EEEvT1_
	.p2align	8
	.type	_ZN7rocprim17ROCPRIM_400000_NS6detail17trampoline_kernelINS0_14default_configENS1_25partition_config_selectorILNS1_17partition_subalgoE1EtNS0_10empty_typeEbEEZZNS1_14partition_implILS5_1ELb0ES3_jN6thrust23THRUST_200600_302600_NS6detail15normal_iteratorINSA_10device_ptrItEEEEPS6_NSA_18transform_iteratorI7is_evenItESF_NSA_11use_defaultESK_EENS0_5tupleIJSF_SF_EEENSM_IJSG_SG_EEES6_PlJS6_EEE10hipError_tPvRmT3_T4_T5_T6_T7_T9_mT8_P12ihipStream_tbDpT10_ENKUlT_T0_E_clISt17integral_constantIbLb0EES19_EEDaS14_S15_EUlS14_E_NS1_11comp_targetILNS1_3genE0ELNS1_11target_archE4294967295ELNS1_3gpuE0ELNS1_3repE0EEENS1_30default_config_static_selectorELNS0_4arch9wavefront6targetE1EEEvT1_,@function
_ZN7rocprim17ROCPRIM_400000_NS6detail17trampoline_kernelINS0_14default_configENS1_25partition_config_selectorILNS1_17partition_subalgoE1EtNS0_10empty_typeEbEEZZNS1_14partition_implILS5_1ELb0ES3_jN6thrust23THRUST_200600_302600_NS6detail15normal_iteratorINSA_10device_ptrItEEEEPS6_NSA_18transform_iteratorI7is_evenItESF_NSA_11use_defaultESK_EENS0_5tupleIJSF_SF_EEENSM_IJSG_SG_EEES6_PlJS6_EEE10hipError_tPvRmT3_T4_T5_T6_T7_T9_mT8_P12ihipStream_tbDpT10_ENKUlT_T0_E_clISt17integral_constantIbLb0EES19_EEDaS14_S15_EUlS14_E_NS1_11comp_targetILNS1_3genE0ELNS1_11target_archE4294967295ELNS1_3gpuE0ELNS1_3repE0EEENS1_30default_config_static_selectorELNS0_4arch9wavefront6targetE1EEEvT1_: ; @_ZN7rocprim17ROCPRIM_400000_NS6detail17trampoline_kernelINS0_14default_configENS1_25partition_config_selectorILNS1_17partition_subalgoE1EtNS0_10empty_typeEbEEZZNS1_14partition_implILS5_1ELb0ES3_jN6thrust23THRUST_200600_302600_NS6detail15normal_iteratorINSA_10device_ptrItEEEEPS6_NSA_18transform_iteratorI7is_evenItESF_NSA_11use_defaultESK_EENS0_5tupleIJSF_SF_EEENSM_IJSG_SG_EEES6_PlJS6_EEE10hipError_tPvRmT3_T4_T5_T6_T7_T9_mT8_P12ihipStream_tbDpT10_ENKUlT_T0_E_clISt17integral_constantIbLb0EES19_EEDaS14_S15_EUlS14_E_NS1_11comp_targetILNS1_3genE0ELNS1_11target_archE4294967295ELNS1_3gpuE0ELNS1_3repE0EEENS1_30default_config_static_selectorELNS0_4arch9wavefront6targetE1EEEvT1_
; %bb.0:
	.section	.rodata,"a",@progbits
	.p2align	6, 0x0
	.amdhsa_kernel _ZN7rocprim17ROCPRIM_400000_NS6detail17trampoline_kernelINS0_14default_configENS1_25partition_config_selectorILNS1_17partition_subalgoE1EtNS0_10empty_typeEbEEZZNS1_14partition_implILS5_1ELb0ES3_jN6thrust23THRUST_200600_302600_NS6detail15normal_iteratorINSA_10device_ptrItEEEEPS6_NSA_18transform_iteratorI7is_evenItESF_NSA_11use_defaultESK_EENS0_5tupleIJSF_SF_EEENSM_IJSG_SG_EEES6_PlJS6_EEE10hipError_tPvRmT3_T4_T5_T6_T7_T9_mT8_P12ihipStream_tbDpT10_ENKUlT_T0_E_clISt17integral_constantIbLb0EES19_EEDaS14_S15_EUlS14_E_NS1_11comp_targetILNS1_3genE0ELNS1_11target_archE4294967295ELNS1_3gpuE0ELNS1_3repE0EEENS1_30default_config_static_selectorELNS0_4arch9wavefront6targetE1EEEvT1_
		.amdhsa_group_segment_fixed_size 0
		.amdhsa_private_segment_fixed_size 0
		.amdhsa_kernarg_size 128
		.amdhsa_user_sgpr_count 6
		.amdhsa_user_sgpr_private_segment_buffer 1
		.amdhsa_user_sgpr_dispatch_ptr 0
		.amdhsa_user_sgpr_queue_ptr 0
		.amdhsa_user_sgpr_kernarg_segment_ptr 1
		.amdhsa_user_sgpr_dispatch_id 0
		.amdhsa_user_sgpr_flat_scratch_init 0
		.amdhsa_user_sgpr_kernarg_preload_length 0
		.amdhsa_user_sgpr_kernarg_preload_offset 0
		.amdhsa_user_sgpr_private_segment_size 0
		.amdhsa_uses_dynamic_stack 0
		.amdhsa_system_sgpr_private_segment_wavefront_offset 0
		.amdhsa_system_sgpr_workgroup_id_x 1
		.amdhsa_system_sgpr_workgroup_id_y 0
		.amdhsa_system_sgpr_workgroup_id_z 0
		.amdhsa_system_sgpr_workgroup_info 0
		.amdhsa_system_vgpr_workitem_id 0
		.amdhsa_next_free_vgpr 1
		.amdhsa_next_free_sgpr 0
		.amdhsa_accum_offset 4
		.amdhsa_reserve_vcc 0
		.amdhsa_reserve_flat_scratch 0
		.amdhsa_float_round_mode_32 0
		.amdhsa_float_round_mode_16_64 0
		.amdhsa_float_denorm_mode_32 3
		.amdhsa_float_denorm_mode_16_64 3
		.amdhsa_dx10_clamp 1
		.amdhsa_ieee_mode 1
		.amdhsa_fp16_overflow 0
		.amdhsa_tg_split 0
		.amdhsa_exception_fp_ieee_invalid_op 0
		.amdhsa_exception_fp_denorm_src 0
		.amdhsa_exception_fp_ieee_div_zero 0
		.amdhsa_exception_fp_ieee_overflow 0
		.amdhsa_exception_fp_ieee_underflow 0
		.amdhsa_exception_fp_ieee_inexact 0
		.amdhsa_exception_int_div_zero 0
	.end_amdhsa_kernel
	.section	.text._ZN7rocprim17ROCPRIM_400000_NS6detail17trampoline_kernelINS0_14default_configENS1_25partition_config_selectorILNS1_17partition_subalgoE1EtNS0_10empty_typeEbEEZZNS1_14partition_implILS5_1ELb0ES3_jN6thrust23THRUST_200600_302600_NS6detail15normal_iteratorINSA_10device_ptrItEEEEPS6_NSA_18transform_iteratorI7is_evenItESF_NSA_11use_defaultESK_EENS0_5tupleIJSF_SF_EEENSM_IJSG_SG_EEES6_PlJS6_EEE10hipError_tPvRmT3_T4_T5_T6_T7_T9_mT8_P12ihipStream_tbDpT10_ENKUlT_T0_E_clISt17integral_constantIbLb0EES19_EEDaS14_S15_EUlS14_E_NS1_11comp_targetILNS1_3genE0ELNS1_11target_archE4294967295ELNS1_3gpuE0ELNS1_3repE0EEENS1_30default_config_static_selectorELNS0_4arch9wavefront6targetE1EEEvT1_,"axG",@progbits,_ZN7rocprim17ROCPRIM_400000_NS6detail17trampoline_kernelINS0_14default_configENS1_25partition_config_selectorILNS1_17partition_subalgoE1EtNS0_10empty_typeEbEEZZNS1_14partition_implILS5_1ELb0ES3_jN6thrust23THRUST_200600_302600_NS6detail15normal_iteratorINSA_10device_ptrItEEEEPS6_NSA_18transform_iteratorI7is_evenItESF_NSA_11use_defaultESK_EENS0_5tupleIJSF_SF_EEENSM_IJSG_SG_EEES6_PlJS6_EEE10hipError_tPvRmT3_T4_T5_T6_T7_T9_mT8_P12ihipStream_tbDpT10_ENKUlT_T0_E_clISt17integral_constantIbLb0EES19_EEDaS14_S15_EUlS14_E_NS1_11comp_targetILNS1_3genE0ELNS1_11target_archE4294967295ELNS1_3gpuE0ELNS1_3repE0EEENS1_30default_config_static_selectorELNS0_4arch9wavefront6targetE1EEEvT1_,comdat
.Lfunc_end2267:
	.size	_ZN7rocprim17ROCPRIM_400000_NS6detail17trampoline_kernelINS0_14default_configENS1_25partition_config_selectorILNS1_17partition_subalgoE1EtNS0_10empty_typeEbEEZZNS1_14partition_implILS5_1ELb0ES3_jN6thrust23THRUST_200600_302600_NS6detail15normal_iteratorINSA_10device_ptrItEEEEPS6_NSA_18transform_iteratorI7is_evenItESF_NSA_11use_defaultESK_EENS0_5tupleIJSF_SF_EEENSM_IJSG_SG_EEES6_PlJS6_EEE10hipError_tPvRmT3_T4_T5_T6_T7_T9_mT8_P12ihipStream_tbDpT10_ENKUlT_T0_E_clISt17integral_constantIbLb0EES19_EEDaS14_S15_EUlS14_E_NS1_11comp_targetILNS1_3genE0ELNS1_11target_archE4294967295ELNS1_3gpuE0ELNS1_3repE0EEENS1_30default_config_static_selectorELNS0_4arch9wavefront6targetE1EEEvT1_, .Lfunc_end2267-_ZN7rocprim17ROCPRIM_400000_NS6detail17trampoline_kernelINS0_14default_configENS1_25partition_config_selectorILNS1_17partition_subalgoE1EtNS0_10empty_typeEbEEZZNS1_14partition_implILS5_1ELb0ES3_jN6thrust23THRUST_200600_302600_NS6detail15normal_iteratorINSA_10device_ptrItEEEEPS6_NSA_18transform_iteratorI7is_evenItESF_NSA_11use_defaultESK_EENS0_5tupleIJSF_SF_EEENSM_IJSG_SG_EEES6_PlJS6_EEE10hipError_tPvRmT3_T4_T5_T6_T7_T9_mT8_P12ihipStream_tbDpT10_ENKUlT_T0_E_clISt17integral_constantIbLb0EES19_EEDaS14_S15_EUlS14_E_NS1_11comp_targetILNS1_3genE0ELNS1_11target_archE4294967295ELNS1_3gpuE0ELNS1_3repE0EEENS1_30default_config_static_selectorELNS0_4arch9wavefront6targetE1EEEvT1_
                                        ; -- End function
	.section	.AMDGPU.csdata,"",@progbits
; Kernel info:
; codeLenInByte = 0
; NumSgprs: 4
; NumVgprs: 0
; NumAgprs: 0
; TotalNumVgprs: 0
; ScratchSize: 0
; MemoryBound: 0
; FloatMode: 240
; IeeeMode: 1
; LDSByteSize: 0 bytes/workgroup (compile time only)
; SGPRBlocks: 0
; VGPRBlocks: 0
; NumSGPRsForWavesPerEU: 4
; NumVGPRsForWavesPerEU: 1
; AccumOffset: 4
; Occupancy: 8
; WaveLimiterHint : 0
; COMPUTE_PGM_RSRC2:SCRATCH_EN: 0
; COMPUTE_PGM_RSRC2:USER_SGPR: 6
; COMPUTE_PGM_RSRC2:TRAP_HANDLER: 0
; COMPUTE_PGM_RSRC2:TGID_X_EN: 1
; COMPUTE_PGM_RSRC2:TGID_Y_EN: 0
; COMPUTE_PGM_RSRC2:TGID_Z_EN: 0
; COMPUTE_PGM_RSRC2:TIDIG_COMP_CNT: 0
; COMPUTE_PGM_RSRC3_GFX90A:ACCUM_OFFSET: 0
; COMPUTE_PGM_RSRC3_GFX90A:TG_SPLIT: 0
	.section	.text._ZN7rocprim17ROCPRIM_400000_NS6detail17trampoline_kernelINS0_14default_configENS1_25partition_config_selectorILNS1_17partition_subalgoE1EtNS0_10empty_typeEbEEZZNS1_14partition_implILS5_1ELb0ES3_jN6thrust23THRUST_200600_302600_NS6detail15normal_iteratorINSA_10device_ptrItEEEEPS6_NSA_18transform_iteratorI7is_evenItESF_NSA_11use_defaultESK_EENS0_5tupleIJSF_SF_EEENSM_IJSG_SG_EEES6_PlJS6_EEE10hipError_tPvRmT3_T4_T5_T6_T7_T9_mT8_P12ihipStream_tbDpT10_ENKUlT_T0_E_clISt17integral_constantIbLb0EES19_EEDaS14_S15_EUlS14_E_NS1_11comp_targetILNS1_3genE5ELNS1_11target_archE942ELNS1_3gpuE9ELNS1_3repE0EEENS1_30default_config_static_selectorELNS0_4arch9wavefront6targetE1EEEvT1_,"axG",@progbits,_ZN7rocprim17ROCPRIM_400000_NS6detail17trampoline_kernelINS0_14default_configENS1_25partition_config_selectorILNS1_17partition_subalgoE1EtNS0_10empty_typeEbEEZZNS1_14partition_implILS5_1ELb0ES3_jN6thrust23THRUST_200600_302600_NS6detail15normal_iteratorINSA_10device_ptrItEEEEPS6_NSA_18transform_iteratorI7is_evenItESF_NSA_11use_defaultESK_EENS0_5tupleIJSF_SF_EEENSM_IJSG_SG_EEES6_PlJS6_EEE10hipError_tPvRmT3_T4_T5_T6_T7_T9_mT8_P12ihipStream_tbDpT10_ENKUlT_T0_E_clISt17integral_constantIbLb0EES19_EEDaS14_S15_EUlS14_E_NS1_11comp_targetILNS1_3genE5ELNS1_11target_archE942ELNS1_3gpuE9ELNS1_3repE0EEENS1_30default_config_static_selectorELNS0_4arch9wavefront6targetE1EEEvT1_,comdat
	.protected	_ZN7rocprim17ROCPRIM_400000_NS6detail17trampoline_kernelINS0_14default_configENS1_25partition_config_selectorILNS1_17partition_subalgoE1EtNS0_10empty_typeEbEEZZNS1_14partition_implILS5_1ELb0ES3_jN6thrust23THRUST_200600_302600_NS6detail15normal_iteratorINSA_10device_ptrItEEEEPS6_NSA_18transform_iteratorI7is_evenItESF_NSA_11use_defaultESK_EENS0_5tupleIJSF_SF_EEENSM_IJSG_SG_EEES6_PlJS6_EEE10hipError_tPvRmT3_T4_T5_T6_T7_T9_mT8_P12ihipStream_tbDpT10_ENKUlT_T0_E_clISt17integral_constantIbLb0EES19_EEDaS14_S15_EUlS14_E_NS1_11comp_targetILNS1_3genE5ELNS1_11target_archE942ELNS1_3gpuE9ELNS1_3repE0EEENS1_30default_config_static_selectorELNS0_4arch9wavefront6targetE1EEEvT1_ ; -- Begin function _ZN7rocprim17ROCPRIM_400000_NS6detail17trampoline_kernelINS0_14default_configENS1_25partition_config_selectorILNS1_17partition_subalgoE1EtNS0_10empty_typeEbEEZZNS1_14partition_implILS5_1ELb0ES3_jN6thrust23THRUST_200600_302600_NS6detail15normal_iteratorINSA_10device_ptrItEEEEPS6_NSA_18transform_iteratorI7is_evenItESF_NSA_11use_defaultESK_EENS0_5tupleIJSF_SF_EEENSM_IJSG_SG_EEES6_PlJS6_EEE10hipError_tPvRmT3_T4_T5_T6_T7_T9_mT8_P12ihipStream_tbDpT10_ENKUlT_T0_E_clISt17integral_constantIbLb0EES19_EEDaS14_S15_EUlS14_E_NS1_11comp_targetILNS1_3genE5ELNS1_11target_archE942ELNS1_3gpuE9ELNS1_3repE0EEENS1_30default_config_static_selectorELNS0_4arch9wavefront6targetE1EEEvT1_
	.globl	_ZN7rocprim17ROCPRIM_400000_NS6detail17trampoline_kernelINS0_14default_configENS1_25partition_config_selectorILNS1_17partition_subalgoE1EtNS0_10empty_typeEbEEZZNS1_14partition_implILS5_1ELb0ES3_jN6thrust23THRUST_200600_302600_NS6detail15normal_iteratorINSA_10device_ptrItEEEEPS6_NSA_18transform_iteratorI7is_evenItESF_NSA_11use_defaultESK_EENS0_5tupleIJSF_SF_EEENSM_IJSG_SG_EEES6_PlJS6_EEE10hipError_tPvRmT3_T4_T5_T6_T7_T9_mT8_P12ihipStream_tbDpT10_ENKUlT_T0_E_clISt17integral_constantIbLb0EES19_EEDaS14_S15_EUlS14_E_NS1_11comp_targetILNS1_3genE5ELNS1_11target_archE942ELNS1_3gpuE9ELNS1_3repE0EEENS1_30default_config_static_selectorELNS0_4arch9wavefront6targetE1EEEvT1_
	.p2align	8
	.type	_ZN7rocprim17ROCPRIM_400000_NS6detail17trampoline_kernelINS0_14default_configENS1_25partition_config_selectorILNS1_17partition_subalgoE1EtNS0_10empty_typeEbEEZZNS1_14partition_implILS5_1ELb0ES3_jN6thrust23THRUST_200600_302600_NS6detail15normal_iteratorINSA_10device_ptrItEEEEPS6_NSA_18transform_iteratorI7is_evenItESF_NSA_11use_defaultESK_EENS0_5tupleIJSF_SF_EEENSM_IJSG_SG_EEES6_PlJS6_EEE10hipError_tPvRmT3_T4_T5_T6_T7_T9_mT8_P12ihipStream_tbDpT10_ENKUlT_T0_E_clISt17integral_constantIbLb0EES19_EEDaS14_S15_EUlS14_E_NS1_11comp_targetILNS1_3genE5ELNS1_11target_archE942ELNS1_3gpuE9ELNS1_3repE0EEENS1_30default_config_static_selectorELNS0_4arch9wavefront6targetE1EEEvT1_,@function
_ZN7rocprim17ROCPRIM_400000_NS6detail17trampoline_kernelINS0_14default_configENS1_25partition_config_selectorILNS1_17partition_subalgoE1EtNS0_10empty_typeEbEEZZNS1_14partition_implILS5_1ELb0ES3_jN6thrust23THRUST_200600_302600_NS6detail15normal_iteratorINSA_10device_ptrItEEEEPS6_NSA_18transform_iteratorI7is_evenItESF_NSA_11use_defaultESK_EENS0_5tupleIJSF_SF_EEENSM_IJSG_SG_EEES6_PlJS6_EEE10hipError_tPvRmT3_T4_T5_T6_T7_T9_mT8_P12ihipStream_tbDpT10_ENKUlT_T0_E_clISt17integral_constantIbLb0EES19_EEDaS14_S15_EUlS14_E_NS1_11comp_targetILNS1_3genE5ELNS1_11target_archE942ELNS1_3gpuE9ELNS1_3repE0EEENS1_30default_config_static_selectorELNS0_4arch9wavefront6targetE1EEEvT1_: ; @_ZN7rocprim17ROCPRIM_400000_NS6detail17trampoline_kernelINS0_14default_configENS1_25partition_config_selectorILNS1_17partition_subalgoE1EtNS0_10empty_typeEbEEZZNS1_14partition_implILS5_1ELb0ES3_jN6thrust23THRUST_200600_302600_NS6detail15normal_iteratorINSA_10device_ptrItEEEEPS6_NSA_18transform_iteratorI7is_evenItESF_NSA_11use_defaultESK_EENS0_5tupleIJSF_SF_EEENSM_IJSG_SG_EEES6_PlJS6_EEE10hipError_tPvRmT3_T4_T5_T6_T7_T9_mT8_P12ihipStream_tbDpT10_ENKUlT_T0_E_clISt17integral_constantIbLb0EES19_EEDaS14_S15_EUlS14_E_NS1_11comp_targetILNS1_3genE5ELNS1_11target_archE942ELNS1_3gpuE9ELNS1_3repE0EEENS1_30default_config_static_selectorELNS0_4arch9wavefront6targetE1EEEvT1_
; %bb.0:
	.section	.rodata,"a",@progbits
	.p2align	6, 0x0
	.amdhsa_kernel _ZN7rocprim17ROCPRIM_400000_NS6detail17trampoline_kernelINS0_14default_configENS1_25partition_config_selectorILNS1_17partition_subalgoE1EtNS0_10empty_typeEbEEZZNS1_14partition_implILS5_1ELb0ES3_jN6thrust23THRUST_200600_302600_NS6detail15normal_iteratorINSA_10device_ptrItEEEEPS6_NSA_18transform_iteratorI7is_evenItESF_NSA_11use_defaultESK_EENS0_5tupleIJSF_SF_EEENSM_IJSG_SG_EEES6_PlJS6_EEE10hipError_tPvRmT3_T4_T5_T6_T7_T9_mT8_P12ihipStream_tbDpT10_ENKUlT_T0_E_clISt17integral_constantIbLb0EES19_EEDaS14_S15_EUlS14_E_NS1_11comp_targetILNS1_3genE5ELNS1_11target_archE942ELNS1_3gpuE9ELNS1_3repE0EEENS1_30default_config_static_selectorELNS0_4arch9wavefront6targetE1EEEvT1_
		.amdhsa_group_segment_fixed_size 0
		.amdhsa_private_segment_fixed_size 0
		.amdhsa_kernarg_size 128
		.amdhsa_user_sgpr_count 6
		.amdhsa_user_sgpr_private_segment_buffer 1
		.amdhsa_user_sgpr_dispatch_ptr 0
		.amdhsa_user_sgpr_queue_ptr 0
		.amdhsa_user_sgpr_kernarg_segment_ptr 1
		.amdhsa_user_sgpr_dispatch_id 0
		.amdhsa_user_sgpr_flat_scratch_init 0
		.amdhsa_user_sgpr_kernarg_preload_length 0
		.amdhsa_user_sgpr_kernarg_preload_offset 0
		.amdhsa_user_sgpr_private_segment_size 0
		.amdhsa_uses_dynamic_stack 0
		.amdhsa_system_sgpr_private_segment_wavefront_offset 0
		.amdhsa_system_sgpr_workgroup_id_x 1
		.amdhsa_system_sgpr_workgroup_id_y 0
		.amdhsa_system_sgpr_workgroup_id_z 0
		.amdhsa_system_sgpr_workgroup_info 0
		.amdhsa_system_vgpr_workitem_id 0
		.amdhsa_next_free_vgpr 1
		.amdhsa_next_free_sgpr 0
		.amdhsa_accum_offset 4
		.amdhsa_reserve_vcc 0
		.amdhsa_reserve_flat_scratch 0
		.amdhsa_float_round_mode_32 0
		.amdhsa_float_round_mode_16_64 0
		.amdhsa_float_denorm_mode_32 3
		.amdhsa_float_denorm_mode_16_64 3
		.amdhsa_dx10_clamp 1
		.amdhsa_ieee_mode 1
		.amdhsa_fp16_overflow 0
		.amdhsa_tg_split 0
		.amdhsa_exception_fp_ieee_invalid_op 0
		.amdhsa_exception_fp_denorm_src 0
		.amdhsa_exception_fp_ieee_div_zero 0
		.amdhsa_exception_fp_ieee_overflow 0
		.amdhsa_exception_fp_ieee_underflow 0
		.amdhsa_exception_fp_ieee_inexact 0
		.amdhsa_exception_int_div_zero 0
	.end_amdhsa_kernel
	.section	.text._ZN7rocprim17ROCPRIM_400000_NS6detail17trampoline_kernelINS0_14default_configENS1_25partition_config_selectorILNS1_17partition_subalgoE1EtNS0_10empty_typeEbEEZZNS1_14partition_implILS5_1ELb0ES3_jN6thrust23THRUST_200600_302600_NS6detail15normal_iteratorINSA_10device_ptrItEEEEPS6_NSA_18transform_iteratorI7is_evenItESF_NSA_11use_defaultESK_EENS0_5tupleIJSF_SF_EEENSM_IJSG_SG_EEES6_PlJS6_EEE10hipError_tPvRmT3_T4_T5_T6_T7_T9_mT8_P12ihipStream_tbDpT10_ENKUlT_T0_E_clISt17integral_constantIbLb0EES19_EEDaS14_S15_EUlS14_E_NS1_11comp_targetILNS1_3genE5ELNS1_11target_archE942ELNS1_3gpuE9ELNS1_3repE0EEENS1_30default_config_static_selectorELNS0_4arch9wavefront6targetE1EEEvT1_,"axG",@progbits,_ZN7rocprim17ROCPRIM_400000_NS6detail17trampoline_kernelINS0_14default_configENS1_25partition_config_selectorILNS1_17partition_subalgoE1EtNS0_10empty_typeEbEEZZNS1_14partition_implILS5_1ELb0ES3_jN6thrust23THRUST_200600_302600_NS6detail15normal_iteratorINSA_10device_ptrItEEEEPS6_NSA_18transform_iteratorI7is_evenItESF_NSA_11use_defaultESK_EENS0_5tupleIJSF_SF_EEENSM_IJSG_SG_EEES6_PlJS6_EEE10hipError_tPvRmT3_T4_T5_T6_T7_T9_mT8_P12ihipStream_tbDpT10_ENKUlT_T0_E_clISt17integral_constantIbLb0EES19_EEDaS14_S15_EUlS14_E_NS1_11comp_targetILNS1_3genE5ELNS1_11target_archE942ELNS1_3gpuE9ELNS1_3repE0EEENS1_30default_config_static_selectorELNS0_4arch9wavefront6targetE1EEEvT1_,comdat
.Lfunc_end2268:
	.size	_ZN7rocprim17ROCPRIM_400000_NS6detail17trampoline_kernelINS0_14default_configENS1_25partition_config_selectorILNS1_17partition_subalgoE1EtNS0_10empty_typeEbEEZZNS1_14partition_implILS5_1ELb0ES3_jN6thrust23THRUST_200600_302600_NS6detail15normal_iteratorINSA_10device_ptrItEEEEPS6_NSA_18transform_iteratorI7is_evenItESF_NSA_11use_defaultESK_EENS0_5tupleIJSF_SF_EEENSM_IJSG_SG_EEES6_PlJS6_EEE10hipError_tPvRmT3_T4_T5_T6_T7_T9_mT8_P12ihipStream_tbDpT10_ENKUlT_T0_E_clISt17integral_constantIbLb0EES19_EEDaS14_S15_EUlS14_E_NS1_11comp_targetILNS1_3genE5ELNS1_11target_archE942ELNS1_3gpuE9ELNS1_3repE0EEENS1_30default_config_static_selectorELNS0_4arch9wavefront6targetE1EEEvT1_, .Lfunc_end2268-_ZN7rocprim17ROCPRIM_400000_NS6detail17trampoline_kernelINS0_14default_configENS1_25partition_config_selectorILNS1_17partition_subalgoE1EtNS0_10empty_typeEbEEZZNS1_14partition_implILS5_1ELb0ES3_jN6thrust23THRUST_200600_302600_NS6detail15normal_iteratorINSA_10device_ptrItEEEEPS6_NSA_18transform_iteratorI7is_evenItESF_NSA_11use_defaultESK_EENS0_5tupleIJSF_SF_EEENSM_IJSG_SG_EEES6_PlJS6_EEE10hipError_tPvRmT3_T4_T5_T6_T7_T9_mT8_P12ihipStream_tbDpT10_ENKUlT_T0_E_clISt17integral_constantIbLb0EES19_EEDaS14_S15_EUlS14_E_NS1_11comp_targetILNS1_3genE5ELNS1_11target_archE942ELNS1_3gpuE9ELNS1_3repE0EEENS1_30default_config_static_selectorELNS0_4arch9wavefront6targetE1EEEvT1_
                                        ; -- End function
	.section	.AMDGPU.csdata,"",@progbits
; Kernel info:
; codeLenInByte = 0
; NumSgprs: 4
; NumVgprs: 0
; NumAgprs: 0
; TotalNumVgprs: 0
; ScratchSize: 0
; MemoryBound: 0
; FloatMode: 240
; IeeeMode: 1
; LDSByteSize: 0 bytes/workgroup (compile time only)
; SGPRBlocks: 0
; VGPRBlocks: 0
; NumSGPRsForWavesPerEU: 4
; NumVGPRsForWavesPerEU: 1
; AccumOffset: 4
; Occupancy: 8
; WaveLimiterHint : 0
; COMPUTE_PGM_RSRC2:SCRATCH_EN: 0
; COMPUTE_PGM_RSRC2:USER_SGPR: 6
; COMPUTE_PGM_RSRC2:TRAP_HANDLER: 0
; COMPUTE_PGM_RSRC2:TGID_X_EN: 1
; COMPUTE_PGM_RSRC2:TGID_Y_EN: 0
; COMPUTE_PGM_RSRC2:TGID_Z_EN: 0
; COMPUTE_PGM_RSRC2:TIDIG_COMP_CNT: 0
; COMPUTE_PGM_RSRC3_GFX90A:ACCUM_OFFSET: 0
; COMPUTE_PGM_RSRC3_GFX90A:TG_SPLIT: 0
	.section	.text._ZN7rocprim17ROCPRIM_400000_NS6detail17trampoline_kernelINS0_14default_configENS1_25partition_config_selectorILNS1_17partition_subalgoE1EtNS0_10empty_typeEbEEZZNS1_14partition_implILS5_1ELb0ES3_jN6thrust23THRUST_200600_302600_NS6detail15normal_iteratorINSA_10device_ptrItEEEEPS6_NSA_18transform_iteratorI7is_evenItESF_NSA_11use_defaultESK_EENS0_5tupleIJSF_SF_EEENSM_IJSG_SG_EEES6_PlJS6_EEE10hipError_tPvRmT3_T4_T5_T6_T7_T9_mT8_P12ihipStream_tbDpT10_ENKUlT_T0_E_clISt17integral_constantIbLb0EES19_EEDaS14_S15_EUlS14_E_NS1_11comp_targetILNS1_3genE4ELNS1_11target_archE910ELNS1_3gpuE8ELNS1_3repE0EEENS1_30default_config_static_selectorELNS0_4arch9wavefront6targetE1EEEvT1_,"axG",@progbits,_ZN7rocprim17ROCPRIM_400000_NS6detail17trampoline_kernelINS0_14default_configENS1_25partition_config_selectorILNS1_17partition_subalgoE1EtNS0_10empty_typeEbEEZZNS1_14partition_implILS5_1ELb0ES3_jN6thrust23THRUST_200600_302600_NS6detail15normal_iteratorINSA_10device_ptrItEEEEPS6_NSA_18transform_iteratorI7is_evenItESF_NSA_11use_defaultESK_EENS0_5tupleIJSF_SF_EEENSM_IJSG_SG_EEES6_PlJS6_EEE10hipError_tPvRmT3_T4_T5_T6_T7_T9_mT8_P12ihipStream_tbDpT10_ENKUlT_T0_E_clISt17integral_constantIbLb0EES19_EEDaS14_S15_EUlS14_E_NS1_11comp_targetILNS1_3genE4ELNS1_11target_archE910ELNS1_3gpuE8ELNS1_3repE0EEENS1_30default_config_static_selectorELNS0_4arch9wavefront6targetE1EEEvT1_,comdat
	.protected	_ZN7rocprim17ROCPRIM_400000_NS6detail17trampoline_kernelINS0_14default_configENS1_25partition_config_selectorILNS1_17partition_subalgoE1EtNS0_10empty_typeEbEEZZNS1_14partition_implILS5_1ELb0ES3_jN6thrust23THRUST_200600_302600_NS6detail15normal_iteratorINSA_10device_ptrItEEEEPS6_NSA_18transform_iteratorI7is_evenItESF_NSA_11use_defaultESK_EENS0_5tupleIJSF_SF_EEENSM_IJSG_SG_EEES6_PlJS6_EEE10hipError_tPvRmT3_T4_T5_T6_T7_T9_mT8_P12ihipStream_tbDpT10_ENKUlT_T0_E_clISt17integral_constantIbLb0EES19_EEDaS14_S15_EUlS14_E_NS1_11comp_targetILNS1_3genE4ELNS1_11target_archE910ELNS1_3gpuE8ELNS1_3repE0EEENS1_30default_config_static_selectorELNS0_4arch9wavefront6targetE1EEEvT1_ ; -- Begin function _ZN7rocprim17ROCPRIM_400000_NS6detail17trampoline_kernelINS0_14default_configENS1_25partition_config_selectorILNS1_17partition_subalgoE1EtNS0_10empty_typeEbEEZZNS1_14partition_implILS5_1ELb0ES3_jN6thrust23THRUST_200600_302600_NS6detail15normal_iteratorINSA_10device_ptrItEEEEPS6_NSA_18transform_iteratorI7is_evenItESF_NSA_11use_defaultESK_EENS0_5tupleIJSF_SF_EEENSM_IJSG_SG_EEES6_PlJS6_EEE10hipError_tPvRmT3_T4_T5_T6_T7_T9_mT8_P12ihipStream_tbDpT10_ENKUlT_T0_E_clISt17integral_constantIbLb0EES19_EEDaS14_S15_EUlS14_E_NS1_11comp_targetILNS1_3genE4ELNS1_11target_archE910ELNS1_3gpuE8ELNS1_3repE0EEENS1_30default_config_static_selectorELNS0_4arch9wavefront6targetE1EEEvT1_
	.globl	_ZN7rocprim17ROCPRIM_400000_NS6detail17trampoline_kernelINS0_14default_configENS1_25partition_config_selectorILNS1_17partition_subalgoE1EtNS0_10empty_typeEbEEZZNS1_14partition_implILS5_1ELb0ES3_jN6thrust23THRUST_200600_302600_NS6detail15normal_iteratorINSA_10device_ptrItEEEEPS6_NSA_18transform_iteratorI7is_evenItESF_NSA_11use_defaultESK_EENS0_5tupleIJSF_SF_EEENSM_IJSG_SG_EEES6_PlJS6_EEE10hipError_tPvRmT3_T4_T5_T6_T7_T9_mT8_P12ihipStream_tbDpT10_ENKUlT_T0_E_clISt17integral_constantIbLb0EES19_EEDaS14_S15_EUlS14_E_NS1_11comp_targetILNS1_3genE4ELNS1_11target_archE910ELNS1_3gpuE8ELNS1_3repE0EEENS1_30default_config_static_selectorELNS0_4arch9wavefront6targetE1EEEvT1_
	.p2align	8
	.type	_ZN7rocprim17ROCPRIM_400000_NS6detail17trampoline_kernelINS0_14default_configENS1_25partition_config_selectorILNS1_17partition_subalgoE1EtNS0_10empty_typeEbEEZZNS1_14partition_implILS5_1ELb0ES3_jN6thrust23THRUST_200600_302600_NS6detail15normal_iteratorINSA_10device_ptrItEEEEPS6_NSA_18transform_iteratorI7is_evenItESF_NSA_11use_defaultESK_EENS0_5tupleIJSF_SF_EEENSM_IJSG_SG_EEES6_PlJS6_EEE10hipError_tPvRmT3_T4_T5_T6_T7_T9_mT8_P12ihipStream_tbDpT10_ENKUlT_T0_E_clISt17integral_constantIbLb0EES19_EEDaS14_S15_EUlS14_E_NS1_11comp_targetILNS1_3genE4ELNS1_11target_archE910ELNS1_3gpuE8ELNS1_3repE0EEENS1_30default_config_static_selectorELNS0_4arch9wavefront6targetE1EEEvT1_,@function
_ZN7rocprim17ROCPRIM_400000_NS6detail17trampoline_kernelINS0_14default_configENS1_25partition_config_selectorILNS1_17partition_subalgoE1EtNS0_10empty_typeEbEEZZNS1_14partition_implILS5_1ELb0ES3_jN6thrust23THRUST_200600_302600_NS6detail15normal_iteratorINSA_10device_ptrItEEEEPS6_NSA_18transform_iteratorI7is_evenItESF_NSA_11use_defaultESK_EENS0_5tupleIJSF_SF_EEENSM_IJSG_SG_EEES6_PlJS6_EEE10hipError_tPvRmT3_T4_T5_T6_T7_T9_mT8_P12ihipStream_tbDpT10_ENKUlT_T0_E_clISt17integral_constantIbLb0EES19_EEDaS14_S15_EUlS14_E_NS1_11comp_targetILNS1_3genE4ELNS1_11target_archE910ELNS1_3gpuE8ELNS1_3repE0EEENS1_30default_config_static_selectorELNS0_4arch9wavefront6targetE1EEEvT1_: ; @_ZN7rocprim17ROCPRIM_400000_NS6detail17trampoline_kernelINS0_14default_configENS1_25partition_config_selectorILNS1_17partition_subalgoE1EtNS0_10empty_typeEbEEZZNS1_14partition_implILS5_1ELb0ES3_jN6thrust23THRUST_200600_302600_NS6detail15normal_iteratorINSA_10device_ptrItEEEEPS6_NSA_18transform_iteratorI7is_evenItESF_NSA_11use_defaultESK_EENS0_5tupleIJSF_SF_EEENSM_IJSG_SG_EEES6_PlJS6_EEE10hipError_tPvRmT3_T4_T5_T6_T7_T9_mT8_P12ihipStream_tbDpT10_ENKUlT_T0_E_clISt17integral_constantIbLb0EES19_EEDaS14_S15_EUlS14_E_NS1_11comp_targetILNS1_3genE4ELNS1_11target_archE910ELNS1_3gpuE8ELNS1_3repE0EEENS1_30default_config_static_selectorELNS0_4arch9wavefront6targetE1EEEvT1_
; %bb.0:
	s_load_dwordx2 s[0:1], s[4:5], 0x60
	s_load_dwordx4 s[24:27], s[4:5], 0x8
	s_load_dwordx2 s[2:3], s[4:5], 0x20
	s_load_dwordx4 s[20:23], s[4:5], 0x50
	s_mul_i32 s10, s6, 0x1400
	s_waitcnt lgkmcnt(0)
	v_mov_b32_e32 v3, s1
	s_load_dword s1, s[4:5], 0x78
	s_lshl_b64 s[8:9], s[26:27], 1
	s_add_u32 s7, s24, s8
	s_addc_u32 s12, s25, s9
	v_mov_b32_e32 v2, s0
	s_waitcnt lgkmcnt(0)
	s_add_i32 s13, s1, -1
	s_mulk_i32 s1, 0x1400
	s_add_i32 s11, s1, s26
	s_sub_i32 s33, s0, s11
	s_addk_i32 s33, 0x1400
	s_add_u32 s0, s26, s1
	s_addc_u32 s1, s27, 0
	s_cmp_eq_u32 s6, s13
	s_load_dwordx2 s[30:31], s[22:23], 0x0
	s_cselect_b64 s[22:23], -1, 0
	s_cmp_lg_u32 s6, s13
	s_mov_b32 s11, 0
	v_cmp_lt_u64_e32 vcc, s[0:1], v[2:3]
	s_cselect_b64 s[0:1], -1, 0
	s_or_b64 s[24:25], s[0:1], vcc
	s_lshl_b64 s[28:29], s[10:11], 1
	s_add_u32 s7, s7, s28
	s_addc_u32 s12, s12, s29
	s_mov_b64 s[0:1], -1
	s_and_b64 vcc, exec, s[24:25]
	v_lshlrev_b32_e32 v1, 1, v0
	s_cbranch_vccz .LBB2269_2
; %bb.1:
	v_mov_b32_e32 v3, s12
	v_add_co_u32_e32 v2, vcc, s7, v1
	v_addc_co_u32_e32 v3, vcc, 0, v3, vcc
	v_add_co_u32_e32 v4, vcc, 0x1000, v2
	v_addc_co_u32_e32 v5, vcc, 0, v3, vcc
	flat_load_ushort v6, v[2:3]
	flat_load_ushort v7, v[2:3] offset:512
	flat_load_ushort v8, v[2:3] offset:1024
	;; [unrolled: 1-line block ×7, first 2 shown]
	v_add_co_u32_e32 v2, vcc, 0x2000, v2
	v_addc_co_u32_e32 v3, vcc, 0, v3, vcc
	flat_load_ushort v14, v[4:5]
	flat_load_ushort v15, v[4:5] offset:512
	flat_load_ushort v16, v[4:5] offset:1024
	;; [unrolled: 1-line block ×7, first 2 shown]
	s_nop 0
	flat_load_ushort v4, v[2:3]
	flat_load_ushort v5, v[2:3] offset:512
	flat_load_ushort v22, v[2:3] offset:1024
	;; [unrolled: 1-line block ×3, first 2 shown]
	s_mov_b64 s[0:1], 0
	s_waitcnt vmcnt(0) lgkmcnt(0)
	ds_write_b16 v1, v6
	ds_write_b16 v1, v7 offset:512
	ds_write_b16 v1, v8 offset:1024
	;; [unrolled: 1-line block ×19, first 2 shown]
	s_waitcnt lgkmcnt(0)
	s_barrier
.LBB2269_2:
	s_andn2_b64 vcc, exec, s[0:1]
	v_cmp_gt_u32_e64 s[0:1], s33, v0
	s_cbranch_vccnz .LBB2269_44
; %bb.3:
                                        ; implicit-def: $vgpr2
	s_and_saveexec_b64 s[10:11], s[0:1]
	s_cbranch_execz .LBB2269_5
; %bb.4:
	v_mov_b32_e32 v3, s12
	v_add_co_u32_e32 v2, vcc, s7, v1
	v_addc_co_u32_e32 v3, vcc, 0, v3, vcc
	flat_load_ushort v2, v[2:3]
.LBB2269_5:
	s_or_b64 exec, exec, s[10:11]
	v_or_b32_e32 v3, 0x100, v0
	v_cmp_gt_u32_e32 vcc, s33, v3
                                        ; implicit-def: $vgpr3
	s_and_saveexec_b64 s[0:1], vcc
	s_cbranch_execz .LBB2269_7
; %bb.6:
	v_mov_b32_e32 v3, s12
	v_add_co_u32_e32 v4, vcc, s7, v1
	v_addc_co_u32_e32 v5, vcc, 0, v3, vcc
	flat_load_ushort v3, v[4:5] offset:512
.LBB2269_7:
	s_or_b64 exec, exec, s[0:1]
	v_or_b32_e32 v4, 0x200, v0
	v_cmp_gt_u32_e32 vcc, s33, v4
                                        ; implicit-def: $vgpr4
	s_and_saveexec_b64 s[0:1], vcc
	s_cbranch_execz .LBB2269_9
; %bb.8:
	v_mov_b32_e32 v5, s12
	v_add_co_u32_e32 v4, vcc, s7, v1
	v_addc_co_u32_e32 v5, vcc, 0, v5, vcc
	flat_load_ushort v4, v[4:5] offset:1024
.LBB2269_9:
	s_or_b64 exec, exec, s[0:1]
	v_or_b32_e32 v5, 0x300, v0
	v_cmp_gt_u32_e32 vcc, s33, v5
                                        ; implicit-def: $vgpr5
	s_and_saveexec_b64 s[0:1], vcc
	s_cbranch_execz .LBB2269_11
; %bb.10:
	v_mov_b32_e32 v5, s12
	v_add_co_u32_e32 v6, vcc, s7, v1
	v_addc_co_u32_e32 v7, vcc, 0, v5, vcc
	flat_load_ushort v5, v[6:7] offset:1536
.LBB2269_11:
	s_or_b64 exec, exec, s[0:1]
	v_or_b32_e32 v6, 0x400, v0
	v_cmp_gt_u32_e32 vcc, s33, v6
                                        ; implicit-def: $vgpr6
	s_and_saveexec_b64 s[0:1], vcc
	s_cbranch_execz .LBB2269_13
; %bb.12:
	v_mov_b32_e32 v7, s12
	v_add_co_u32_e32 v6, vcc, s7, v1
	v_addc_co_u32_e32 v7, vcc, 0, v7, vcc
	flat_load_ushort v6, v[6:7] offset:2048
.LBB2269_13:
	s_or_b64 exec, exec, s[0:1]
	v_or_b32_e32 v7, 0x500, v0
	v_cmp_gt_u32_e32 vcc, s33, v7
                                        ; implicit-def: $vgpr7
	s_and_saveexec_b64 s[0:1], vcc
	s_cbranch_execz .LBB2269_15
; %bb.14:
	v_mov_b32_e32 v7, s12
	v_add_co_u32_e32 v8, vcc, s7, v1
	v_addc_co_u32_e32 v9, vcc, 0, v7, vcc
	flat_load_ushort v7, v[8:9] offset:2560
.LBB2269_15:
	s_or_b64 exec, exec, s[0:1]
	v_or_b32_e32 v8, 0x600, v0
	v_cmp_gt_u32_e32 vcc, s33, v8
                                        ; implicit-def: $vgpr8
	s_and_saveexec_b64 s[0:1], vcc
	s_cbranch_execz .LBB2269_17
; %bb.16:
	v_mov_b32_e32 v9, s12
	v_add_co_u32_e32 v8, vcc, s7, v1
	v_addc_co_u32_e32 v9, vcc, 0, v9, vcc
	flat_load_ushort v8, v[8:9] offset:3072
.LBB2269_17:
	s_or_b64 exec, exec, s[0:1]
	v_or_b32_e32 v9, 0x700, v0
	v_cmp_gt_u32_e32 vcc, s33, v9
                                        ; implicit-def: $vgpr9
	s_and_saveexec_b64 s[0:1], vcc
	s_cbranch_execz .LBB2269_19
; %bb.18:
	v_mov_b32_e32 v9, s12
	v_add_co_u32_e32 v10, vcc, s7, v1
	v_addc_co_u32_e32 v11, vcc, 0, v9, vcc
	flat_load_ushort v9, v[10:11] offset:3584
.LBB2269_19:
	s_or_b64 exec, exec, s[0:1]
	v_or_b32_e32 v11, 0x800, v0
	v_cmp_gt_u32_e32 vcc, s33, v11
                                        ; implicit-def: $vgpr10
	s_and_saveexec_b64 s[0:1], vcc
	s_cbranch_execz .LBB2269_21
; %bb.20:
	v_lshlrev_b32_e32 v10, 1, v11
	v_mov_b32_e32 v11, s12
	v_add_co_u32_e32 v10, vcc, s7, v10
	v_addc_co_u32_e32 v11, vcc, 0, v11, vcc
	flat_load_ushort v10, v[10:11]
.LBB2269_21:
	s_or_b64 exec, exec, s[0:1]
	v_or_b32_e32 v12, 0x900, v0
	v_cmp_gt_u32_e32 vcc, s33, v12
                                        ; implicit-def: $vgpr11
	s_and_saveexec_b64 s[0:1], vcc
	s_cbranch_execz .LBB2269_23
; %bb.22:
	v_lshlrev_b32_e32 v11, 1, v12
	v_mov_b32_e32 v13, s12
	v_add_co_u32_e32 v12, vcc, s7, v11
	v_addc_co_u32_e32 v13, vcc, 0, v13, vcc
	flat_load_ushort v11, v[12:13]
.LBB2269_23:
	s_or_b64 exec, exec, s[0:1]
	v_or_b32_e32 v13, 0xa00, v0
	v_cmp_gt_u32_e32 vcc, s33, v13
                                        ; implicit-def: $vgpr12
	s_and_saveexec_b64 s[0:1], vcc
	s_cbranch_execz .LBB2269_25
; %bb.24:
	v_lshlrev_b32_e32 v12, 1, v13
	v_mov_b32_e32 v13, s12
	v_add_co_u32_e32 v12, vcc, s7, v12
	v_addc_co_u32_e32 v13, vcc, 0, v13, vcc
	flat_load_ushort v12, v[12:13]
.LBB2269_25:
	s_or_b64 exec, exec, s[0:1]
	v_or_b32_e32 v14, 0xb00, v0
	v_cmp_gt_u32_e32 vcc, s33, v14
                                        ; implicit-def: $vgpr13
	s_and_saveexec_b64 s[0:1], vcc
	s_cbranch_execz .LBB2269_27
; %bb.26:
	v_lshlrev_b32_e32 v13, 1, v14
	v_mov_b32_e32 v15, s12
	v_add_co_u32_e32 v14, vcc, s7, v13
	v_addc_co_u32_e32 v15, vcc, 0, v15, vcc
	flat_load_ushort v13, v[14:15]
.LBB2269_27:
	s_or_b64 exec, exec, s[0:1]
	v_or_b32_e32 v15, 0xc00, v0
	v_cmp_gt_u32_e32 vcc, s33, v15
                                        ; implicit-def: $vgpr14
	s_and_saveexec_b64 s[0:1], vcc
	s_cbranch_execz .LBB2269_29
; %bb.28:
	v_lshlrev_b32_e32 v14, 1, v15
	v_mov_b32_e32 v15, s12
	v_add_co_u32_e32 v14, vcc, s7, v14
	v_addc_co_u32_e32 v15, vcc, 0, v15, vcc
	flat_load_ushort v14, v[14:15]
.LBB2269_29:
	s_or_b64 exec, exec, s[0:1]
	v_or_b32_e32 v16, 0xd00, v0
	v_cmp_gt_u32_e32 vcc, s33, v16
                                        ; implicit-def: $vgpr15
	s_and_saveexec_b64 s[0:1], vcc
	s_cbranch_execz .LBB2269_31
; %bb.30:
	v_lshlrev_b32_e32 v15, 1, v16
	v_mov_b32_e32 v17, s12
	v_add_co_u32_e32 v16, vcc, s7, v15
	v_addc_co_u32_e32 v17, vcc, 0, v17, vcc
	flat_load_ushort v15, v[16:17]
.LBB2269_31:
	s_or_b64 exec, exec, s[0:1]
	v_or_b32_e32 v17, 0xe00, v0
	v_cmp_gt_u32_e32 vcc, s33, v17
                                        ; implicit-def: $vgpr16
	s_and_saveexec_b64 s[0:1], vcc
	s_cbranch_execz .LBB2269_33
; %bb.32:
	v_lshlrev_b32_e32 v16, 1, v17
	v_mov_b32_e32 v17, s12
	v_add_co_u32_e32 v16, vcc, s7, v16
	v_addc_co_u32_e32 v17, vcc, 0, v17, vcc
	flat_load_ushort v16, v[16:17]
.LBB2269_33:
	s_or_b64 exec, exec, s[0:1]
	v_or_b32_e32 v18, 0xf00, v0
	v_cmp_gt_u32_e32 vcc, s33, v18
                                        ; implicit-def: $vgpr17
	s_and_saveexec_b64 s[0:1], vcc
	s_cbranch_execz .LBB2269_35
; %bb.34:
	v_lshlrev_b32_e32 v17, 1, v18
	v_mov_b32_e32 v19, s12
	v_add_co_u32_e32 v18, vcc, s7, v17
	v_addc_co_u32_e32 v19, vcc, 0, v19, vcc
	flat_load_ushort v17, v[18:19]
.LBB2269_35:
	s_or_b64 exec, exec, s[0:1]
	v_or_b32_e32 v19, 0x1000, v0
	v_cmp_gt_u32_e32 vcc, s33, v19
                                        ; implicit-def: $vgpr18
	s_and_saveexec_b64 s[0:1], vcc
	s_cbranch_execz .LBB2269_37
; %bb.36:
	v_lshlrev_b32_e32 v18, 1, v19
	v_mov_b32_e32 v19, s12
	v_add_co_u32_e32 v18, vcc, s7, v18
	v_addc_co_u32_e32 v19, vcc, 0, v19, vcc
	flat_load_ushort v18, v[18:19]
.LBB2269_37:
	s_or_b64 exec, exec, s[0:1]
	v_or_b32_e32 v20, 0x1100, v0
	v_cmp_gt_u32_e32 vcc, s33, v20
                                        ; implicit-def: $vgpr19
	s_and_saveexec_b64 s[0:1], vcc
	s_cbranch_execz .LBB2269_39
; %bb.38:
	v_lshlrev_b32_e32 v19, 1, v20
	v_mov_b32_e32 v21, s12
	v_add_co_u32_e32 v20, vcc, s7, v19
	v_addc_co_u32_e32 v21, vcc, 0, v21, vcc
	flat_load_ushort v19, v[20:21]
.LBB2269_39:
	s_or_b64 exec, exec, s[0:1]
	v_or_b32_e32 v21, 0x1200, v0
	v_cmp_gt_u32_e32 vcc, s33, v21
                                        ; implicit-def: $vgpr20
	s_and_saveexec_b64 s[0:1], vcc
	s_cbranch_execz .LBB2269_41
; %bb.40:
	v_lshlrev_b32_e32 v20, 1, v21
	v_mov_b32_e32 v21, s12
	v_add_co_u32_e32 v20, vcc, s7, v20
	v_addc_co_u32_e32 v21, vcc, 0, v21, vcc
	flat_load_ushort v20, v[20:21]
.LBB2269_41:
	s_or_b64 exec, exec, s[0:1]
	v_or_b32_e32 v22, 0x1300, v0
	v_cmp_gt_u32_e32 vcc, s33, v22
                                        ; implicit-def: $vgpr21
	s_and_saveexec_b64 s[0:1], vcc
	s_cbranch_execz .LBB2269_43
; %bb.42:
	v_lshlrev_b32_e32 v21, 1, v22
	v_mov_b32_e32 v23, s12
	v_add_co_u32_e32 v22, vcc, s7, v21
	v_addc_co_u32_e32 v23, vcc, 0, v23, vcc
	flat_load_ushort v21, v[22:23]
.LBB2269_43:
	s_or_b64 exec, exec, s[0:1]
	s_waitcnt vmcnt(0) lgkmcnt(0)
	ds_write_b16 v1, v2
	ds_write_b16 v1, v3 offset:512
	ds_write_b16 v1, v4 offset:1024
	ds_write_b16 v1, v5 offset:1536
	ds_write_b16 v1, v6 offset:2048
	ds_write_b16 v1, v7 offset:2560
	ds_write_b16 v1, v8 offset:3072
	ds_write_b16 v1, v9 offset:3584
	ds_write_b16 v1, v10 offset:4096
	ds_write_b16 v1, v11 offset:4608
	ds_write_b16 v1, v12 offset:5120
	ds_write_b16 v1, v13 offset:5632
	ds_write_b16 v1, v14 offset:6144
	ds_write_b16 v1, v15 offset:6656
	ds_write_b16 v1, v16 offset:7168
	ds_write_b16 v1, v17 offset:7680
	ds_write_b16 v1, v18 offset:8192
	ds_write_b16 v1, v19 offset:8704
	ds_write_b16 v1, v20 offset:9216
	ds_write_b16 v1, v21 offset:9728
	s_waitcnt lgkmcnt(0)
	s_barrier
.LBB2269_44:
	v_mul_u32_u24_e32 v26, 20, v0
	v_lshlrev_b32_e32 v6, 1, v26
	s_waitcnt lgkmcnt(0)
	ds_read_b64 v[10:11], v6 offset:32
	ds_read2_b64 v[2:5], v6 offset0:2 offset1:3
	ds_read2_b64 v[6:9], v6 offset1:1
	s_add_u32 s0, s2, s8
	s_addc_u32 s1, s3, s9
	s_add_u32 s0, s0, s28
	s_addc_u32 s1, s1, s29
	s_mov_b64 s[2:3], -1
	s_and_b64 vcc, exec, s[24:25]
	s_waitcnt lgkmcnt(0)
	s_barrier
	s_cbranch_vccz .LBB2269_46
; %bb.45:
	v_mov_b32_e32 v12, s1
	v_add_co_u32_e32 v14, vcc, s0, v1
	s_movk_i32 s2, 0x1000
	v_addc_co_u32_e32 v15, vcc, 0, v12, vcc
	v_add_co_u32_e32 v12, vcc, s2, v14
	s_movk_i32 s3, 0x2000
	v_addc_co_u32_e32 v13, vcc, 0, v15, vcc
	global_load_ubyte v16, v1, s[0:1]
	global_load_ubyte v17, v1, s[0:1] offset:512
	global_load_ubyte v18, v1, s[0:1] offset:1024
	;; [unrolled: 1-line block ×7, first 2 shown]
	v_add_co_u32_e32 v14, vcc, s3, v14
	v_addc_co_u32_e32 v15, vcc, 0, v15, vcc
	global_load_ubyte v24, v[14:15], off offset:-4096
	global_load_ubyte v25, v[12:13], off offset:512
	global_load_ubyte v27, v[12:13], off offset:1024
	;; [unrolled: 1-line block ×7, first 2 shown]
	global_load_ubyte v33, v[14:15], off
	global_load_ubyte v34, v[14:15], off offset:512
	global_load_ubyte v35, v[14:15], off offset:1024
	;; [unrolled: 1-line block ×3, first 2 shown]
	s_mov_b64 s[2:3], 0
	s_waitcnt vmcnt(19)
	v_xor_b32_e32 v12, -1, v16
	s_waitcnt vmcnt(18)
	v_xor_b32_e32 v13, -1, v17
	;; [unrolled: 2-line block ×8, first 2 shown]
	v_and_b32_e32 v12, 1, v12
	v_and_b32_e32 v13, 1, v13
	;; [unrolled: 1-line block ×8, first 2 shown]
	ds_write_b8 v0, v12
	ds_write_b8 v0, v13 offset:256
	ds_write_b8 v0, v14 offset:512
	;; [unrolled: 1-line block ×7, first 2 shown]
	s_waitcnt vmcnt(11)
	v_xor_b32_e32 v12, -1, v24
	s_waitcnt vmcnt(10)
	v_xor_b32_e32 v13, -1, v25
	;; [unrolled: 2-line block ×12, first 2 shown]
	v_and_b32_e32 v12, 1, v12
	v_and_b32_e32 v13, 1, v13
	;; [unrolled: 1-line block ×12, first 2 shown]
	ds_write_b8 v0, v12 offset:2048
	ds_write_b8 v0, v13 offset:2304
	;; [unrolled: 1-line block ×12, first 2 shown]
	s_waitcnt lgkmcnt(0)
	s_barrier
.LBB2269_46:
	s_load_dwordx2 s[34:35], s[4:5], 0x70
	s_andn2_b64 vcc, exec, s[2:3]
	s_cbranch_vccnz .LBB2269_88
; %bb.47:
	v_cmp_gt_u32_e32 vcc, s33, v0
	v_mov_b32_e32 v12, 0
	v_mov_b32_e32 v13, 0
	s_and_saveexec_b64 s[2:3], vcc
	s_cbranch_execz .LBB2269_49
; %bb.48:
	global_load_ubyte v13, v1, s[0:1]
	s_waitcnt vmcnt(0)
	v_xor_b32_e32 v13, -1, v13
	v_and_b32_e32 v13, 1, v13
.LBB2269_49:
	s_or_b64 exec, exec, s[2:3]
	v_or_b32_e32 v14, 0x100, v0
	v_cmp_gt_u32_e32 vcc, s33, v14
	s_and_saveexec_b64 s[2:3], vcc
	s_cbranch_execz .LBB2269_51
; %bb.50:
	global_load_ubyte v12, v1, s[0:1] offset:512
	s_waitcnt vmcnt(0)
	v_xor_b32_e32 v12, -1, v12
	v_and_b32_e32 v12, 1, v12
.LBB2269_51:
	s_or_b64 exec, exec, s[2:3]
	v_or_b32_e32 v14, 0x200, v0
	v_cmp_gt_u32_e32 vcc, s33, v14
	v_mov_b32_e32 v14, 0
	v_mov_b32_e32 v15, 0
	s_and_saveexec_b64 s[2:3], vcc
	s_cbranch_execz .LBB2269_53
; %bb.52:
	global_load_ubyte v15, v1, s[0:1] offset:1024
	s_waitcnt vmcnt(0)
	v_xor_b32_e32 v15, -1, v15
	v_and_b32_e32 v15, 1, v15
.LBB2269_53:
	s_or_b64 exec, exec, s[2:3]
	v_or_b32_e32 v16, 0x300, v0
	v_cmp_gt_u32_e32 vcc, s33, v16
	s_and_saveexec_b64 s[2:3], vcc
	s_cbranch_execz .LBB2269_55
; %bb.54:
	global_load_ubyte v14, v1, s[0:1] offset:1536
	s_waitcnt vmcnt(0)
	v_xor_b32_e32 v14, -1, v14
	v_and_b32_e32 v14, 1, v14
.LBB2269_55:
	s_or_b64 exec, exec, s[2:3]
	v_or_b32_e32 v16, 0x400, v0
	v_cmp_gt_u32_e32 vcc, s33, v16
	v_mov_b32_e32 v16, 0
	v_mov_b32_e32 v17, 0
	s_and_saveexec_b64 s[2:3], vcc
	s_cbranch_execz .LBB2269_57
; %bb.56:
	global_load_ubyte v17, v1, s[0:1] offset:2048
	s_waitcnt vmcnt(0)
	v_xor_b32_e32 v17, -1, v17
	v_and_b32_e32 v17, 1, v17
.LBB2269_57:
	;; [unrolled: 24-line block ×3, first 2 shown]
	s_or_b64 exec, exec, s[2:3]
	v_or_b32_e32 v20, 0x700, v0
	v_cmp_gt_u32_e32 vcc, s33, v20
	s_and_saveexec_b64 s[2:3], vcc
	s_cbranch_execz .LBB2269_63
; %bb.62:
	global_load_ubyte v18, v1, s[0:1] offset:3584
	s_waitcnt vmcnt(0)
	v_xor_b32_e32 v18, -1, v18
	v_and_b32_e32 v18, 1, v18
.LBB2269_63:
	s_or_b64 exec, exec, s[2:3]
	v_or_b32_e32 v22, 0x800, v0
	v_cmp_gt_u32_e32 vcc, s33, v22
	v_mov_b32_e32 v20, 0
	v_mov_b32_e32 v21, 0
	s_and_saveexec_b64 s[2:3], vcc
	s_cbranch_execz .LBB2269_65
; %bb.64:
	v_lshlrev_b32_e32 v21, 1, v22
	global_load_ubyte v21, v21, s[0:1]
	s_waitcnt vmcnt(0)
	v_xor_b32_e32 v21, -1, v21
	v_and_b32_e32 v21, 1, v21
.LBB2269_65:
	s_or_b64 exec, exec, s[2:3]
	v_or_b32_e32 v22, 0x900, v0
	v_cmp_gt_u32_e32 vcc, s33, v22
	s_and_saveexec_b64 s[2:3], vcc
	s_cbranch_execz .LBB2269_67
; %bb.66:
	v_lshlrev_b32_e32 v20, 1, v22
	global_load_ubyte v20, v20, s[0:1]
	s_waitcnt vmcnt(0)
	v_xor_b32_e32 v20, -1, v20
	v_and_b32_e32 v20, 1, v20
.LBB2269_67:
	s_or_b64 exec, exec, s[2:3]
	v_or_b32_e32 v24, 0xa00, v0
	v_cmp_gt_u32_e32 vcc, s33, v24
	v_mov_b32_e32 v22, 0
	v_mov_b32_e32 v23, 0
	s_and_saveexec_b64 s[2:3], vcc
	s_cbranch_execz .LBB2269_69
; %bb.68:
	v_lshlrev_b32_e32 v23, 1, v24
	global_load_ubyte v23, v23, s[0:1]
	s_waitcnt vmcnt(0)
	v_xor_b32_e32 v23, -1, v23
	v_and_b32_e32 v23, 1, v23
.LBB2269_69:
	s_or_b64 exec, exec, s[2:3]
	v_or_b32_e32 v24, 0xb00, v0
	v_cmp_gt_u32_e32 vcc, s33, v24
	s_and_saveexec_b64 s[2:3], vcc
	s_cbranch_execz .LBB2269_71
; %bb.70:
	v_lshlrev_b32_e32 v22, 1, v24
	global_load_ubyte v22, v22, s[0:1]
	s_waitcnt vmcnt(0)
	v_xor_b32_e32 v22, -1, v22
	v_and_b32_e32 v22, 1, v22
.LBB2269_71:
	;; [unrolled: 26-line block ×6, first 2 shown]
	s_or_b64 exec, exec, s[2:3]
	ds_write_b8 v0, v13
	ds_write_b8 v0, v12 offset:256
	ds_write_b8 v0, v15 offset:512
	;; [unrolled: 1-line block ×19, first 2 shown]
	s_waitcnt lgkmcnt(0)
	s_barrier
.LBB2269_88:
	s_waitcnt lgkmcnt(0)
	ds_read2_b32 v[16:17], v26 offset1:1
	ds_read2_b32 v[14:15], v26 offset0:2 offset1:3
	ds_read_b32 v28, v26 offset:16
	s_cmp_lg_u32 s6, 0
	v_lshrrev_b32_e32 v47, 6, v0
	s_waitcnt lgkmcnt(2)
	v_lshrrev_b32_e32 v33, 24, v16
	v_bfe_u32 v45, v16, 16, 8
	v_add_u32_sdwa v12, v16, v16 dst_sel:DWORD dst_unused:UNUSED_PAD src0_sel:BYTE_1 src1_sel:BYTE_0
	v_and_b32_e32 v42, 0xff, v17
	v_bfe_u32 v43, v17, 8, 8
	v_add3_u32 v12, v12, v45, v33
	v_lshrrev_b32_e32 v32, 24, v17
	v_bfe_u32 v44, v17, 16, 8
	v_add3_u32 v12, v12, v42, v43
	s_waitcnt lgkmcnt(1)
	v_and_b32_e32 v39, 0xff, v14
	v_bfe_u32 v40, v14, 8, 8
	v_add3_u32 v12, v12, v44, v32
	v_lshrrev_b32_e32 v31, 24, v14
	v_bfe_u32 v41, v14, 16, 8
	v_add3_u32 v12, v12, v39, v40
	v_and_b32_e32 v36, 0xff, v15
	v_bfe_u32 v37, v15, 8, 8
	v_add3_u32 v12, v12, v41, v31
	v_lshrrev_b32_e32 v30, 24, v15
	v_bfe_u32 v38, v15, 16, 8
	v_add3_u32 v12, v12, v36, v37
	s_waitcnt lgkmcnt(0)
	v_and_b32_e32 v34, 0xff, v28
	v_bfe_u32 v35, v28, 8, 8
	v_add3_u32 v12, v12, v38, v30
	v_lshrrev_b32_e32 v27, 24, v28
	v_bfe_u32 v29, v28, 16, 8
	v_add3_u32 v12, v12, v34, v35
	v_add3_u32 v48, v12, v29, v27
	v_mbcnt_lo_u32_b32 v12, -1, 0
	v_mbcnt_hi_u32_b32 v46, -1, v12
	v_and_b32_e32 v12, 15, v46
	v_cmp_eq_u32_e64 s[14:15], 0, v12
	v_cmp_lt_u32_e64 s[12:13], 1, v12
	v_cmp_lt_u32_e64 s[10:11], 3, v12
	;; [unrolled: 1-line block ×3, first 2 shown]
	v_and_b32_e32 v12, 16, v46
	v_cmp_eq_u32_e64 s[18:19], 0, v12
	v_or_b32_e32 v12, 63, v0
	v_cmp_lt_u32_e64 s[0:1], 31, v46
	v_cmp_eq_u32_e64 s[2:3], v12, v0
	s_barrier
	s_cbranch_scc0 .LBB2269_115
; %bb.89:
	v_mov_b32_dpp v12, v48 row_shr:1 row_mask:0xf bank_mask:0xf
	v_cndmask_b32_e64 v12, v12, 0, s[14:15]
	v_add_u32_e32 v12, v12, v48
	s_nop 1
	v_mov_b32_dpp v13, v12 row_shr:2 row_mask:0xf bank_mask:0xf
	v_cndmask_b32_e64 v13, 0, v13, s[12:13]
	v_add_u32_e32 v12, v12, v13
	s_nop 1
	;; [unrolled: 4-line block ×4, first 2 shown]
	v_mov_b32_dpp v13, v12 row_bcast:15 row_mask:0xf bank_mask:0xf
	v_cndmask_b32_e64 v13, v13, 0, s[18:19]
	v_add_u32_e32 v12, v12, v13
	s_nop 1
	v_mov_b32_dpp v13, v12 row_bcast:31 row_mask:0xf bank_mask:0xf
	v_cndmask_b32_e64 v13, 0, v13, s[0:1]
	v_add_u32_e32 v12, v12, v13
	s_and_saveexec_b64 s[16:17], s[2:3]
	s_cbranch_execz .LBB2269_91
; %bb.90:
	v_lshlrev_b32_e32 v13, 2, v47
	ds_write_b32 v13, v12
.LBB2269_91:
	s_or_b64 exec, exec, s[16:17]
	v_cmp_gt_u32_e32 vcc, 4, v0
	s_waitcnt lgkmcnt(0)
	s_barrier
	s_and_saveexec_b64 s[16:17], vcc
	s_cbranch_execz .LBB2269_93
; %bb.92:
	v_lshlrev_b32_e32 v13, 2, v0
	ds_read_b32 v18, v13
	v_and_b32_e32 v19, 3, v46
	v_cmp_ne_u32_e32 vcc, 0, v19
	s_waitcnt lgkmcnt(0)
	v_mov_b32_dpp v20, v18 row_shr:1 row_mask:0xf bank_mask:0xf
	v_cndmask_b32_e32 v20, 0, v20, vcc
	v_add_u32_e32 v18, v20, v18
	v_cmp_lt_u32_e32 vcc, 1, v19
	s_nop 0
	v_mov_b32_dpp v20, v18 row_shr:2 row_mask:0xf bank_mask:0xf
	v_cndmask_b32_e32 v19, 0, v20, vcc
	v_add_u32_e32 v18, v18, v19
	ds_write_b32 v13, v18
.LBB2269_93:
	s_or_b64 exec, exec, s[16:17]
	v_cmp_gt_u32_e32 vcc, 64, v0
	v_cmp_lt_u32_e64 s[16:17], 63, v0
	s_waitcnt lgkmcnt(0)
	s_barrier
	s_waitcnt lgkmcnt(0)
                                        ; implicit-def: $vgpr49
	s_and_saveexec_b64 s[36:37], s[16:17]
	s_cbranch_execz .LBB2269_95
; %bb.94:
	v_lshl_add_u32 v13, v47, 2, -4
	ds_read_b32 v49, v13
	s_waitcnt lgkmcnt(0)
	v_add_u32_e32 v12, v49, v12
.LBB2269_95:
	s_or_b64 exec, exec, s[36:37]
	v_add_u32_e32 v13, -1, v46
	v_and_b32_e32 v18, 64, v46
	v_cmp_lt_i32_e64 s[16:17], v13, v18
	v_cndmask_b32_e64 v13, v13, v46, s[16:17]
	v_lshlrev_b32_e32 v13, 2, v13
	ds_bpermute_b32 v50, v13, v12
	v_cmp_eq_u32_e64 s[16:17], 0, v46
	s_and_saveexec_b64 s[36:37], vcc
	s_cbranch_execz .LBB2269_114
; %bb.96:
	v_mov_b32_e32 v23, 0
	ds_read_b32 v12, v23 offset:12
	s_and_saveexec_b64 s[38:39], s[16:17]
	s_cbranch_execz .LBB2269_98
; %bb.97:
	s_add_i32 s40, s6, 64
	s_mov_b32 s41, 0
	s_lshl_b64 s[40:41], s[40:41], 3
	s_add_u32 s40, s34, s40
	v_mov_b32_e32 v13, 1
	s_addc_u32 s41, s35, s41
	s_waitcnt lgkmcnt(0)
	global_store_dwordx2 v23, v[12:13], s[40:41]
.LBB2269_98:
	s_or_b64 exec, exec, s[38:39]
	v_xad_u32 v18, v46, -1, s6
	v_add_u32_e32 v22, 64, v18
	v_lshlrev_b64 v[20:21], 3, v[22:23]
	v_mov_b32_e32 v13, s35
	v_add_co_u32_e32 v24, vcc, s34, v20
	v_addc_co_u32_e32 v25, vcc, v13, v21, vcc
	global_load_dwordx2 v[20:21], v[24:25], off glc
	s_waitcnt vmcnt(0)
	v_cmp_eq_u16_sdwa s[40:41], v21, v23 src0_sel:BYTE_0 src1_sel:DWORD
	s_and_saveexec_b64 s[38:39], s[40:41]
	s_cbranch_execz .LBB2269_102
; %bb.99:
	s_mov_b64 s[40:41], 0
	v_mov_b32_e32 v13, 0
.LBB2269_100:                           ; =>This Inner Loop Header: Depth=1
	global_load_dwordx2 v[20:21], v[24:25], off glc
	s_waitcnt vmcnt(0)
	v_cmp_ne_u16_sdwa s[42:43], v21, v13 src0_sel:BYTE_0 src1_sel:DWORD
	s_or_b64 s[40:41], s[42:43], s[40:41]
	s_andn2_b64 exec, exec, s[40:41]
	s_cbranch_execnz .LBB2269_100
; %bb.101:
	s_or_b64 exec, exec, s[40:41]
.LBB2269_102:
	s_or_b64 exec, exec, s[38:39]
	v_and_b32_e32 v52, 63, v46
	v_mov_b32_e32 v51, 2
	v_cmp_ne_u32_e32 vcc, 63, v52
	v_cmp_eq_u16_sdwa s[38:39], v21, v51 src0_sel:BYTE_0 src1_sel:DWORD
	v_lshlrev_b64 v[22:23], v46, -1
	v_addc_co_u32_e32 v24, vcc, 0, v46, vcc
	v_and_b32_e32 v13, s39, v23
	v_lshlrev_b32_e32 v53, 2, v24
	v_or_b32_e32 v13, 0x80000000, v13
	ds_bpermute_b32 v24, v53, v20
	v_and_b32_e32 v19, s38, v22
	v_ffbl_b32_e32 v13, v13
	v_add_u32_e32 v13, 32, v13
	v_ffbl_b32_e32 v19, v19
	v_min_u32_e32 v13, v19, v13
	v_cmp_lt_u32_e32 vcc, v52, v13
	s_waitcnt lgkmcnt(0)
	v_cndmask_b32_e32 v19, 0, v24, vcc
	v_cmp_gt_u32_e32 vcc, 62, v52
	v_add_u32_e32 v19, v19, v20
	v_cndmask_b32_e64 v20, 0, 1, vcc
	v_lshlrev_b32_e32 v20, 1, v20
	v_add_lshl_u32 v54, v20, v46, 2
	ds_bpermute_b32 v20, v54, v19
	v_add_u32_e32 v55, 2, v52
	v_cmp_le_u32_e32 vcc, v55, v13
	v_add_u32_e32 v57, 4, v52
	v_add_u32_e32 v59, 8, v52
	s_waitcnt lgkmcnt(0)
	v_cndmask_b32_e32 v20, 0, v20, vcc
	v_cmp_gt_u32_e32 vcc, 60, v52
	v_add_u32_e32 v19, v19, v20
	v_cndmask_b32_e64 v20, 0, 1, vcc
	v_lshlrev_b32_e32 v20, 2, v20
	v_add_lshl_u32 v56, v20, v46, 2
	ds_bpermute_b32 v20, v56, v19
	v_cmp_le_u32_e32 vcc, v57, v13
	v_add_u32_e32 v61, 16, v52
	v_add_u32_e32 v63, 32, v52
	s_waitcnt lgkmcnt(0)
	v_cndmask_b32_e32 v20, 0, v20, vcc
	v_cmp_gt_u32_e32 vcc, 56, v52
	v_add_u32_e32 v19, v19, v20
	v_cndmask_b32_e64 v20, 0, 1, vcc
	v_lshlrev_b32_e32 v20, 3, v20
	v_add_lshl_u32 v58, v20, v46, 2
	ds_bpermute_b32 v20, v58, v19
	v_cmp_le_u32_e32 vcc, v59, v13
	s_waitcnt lgkmcnt(0)
	v_cndmask_b32_e32 v20, 0, v20, vcc
	v_cmp_gt_u32_e32 vcc, 48, v52
	v_add_u32_e32 v19, v19, v20
	v_cndmask_b32_e64 v20, 0, 1, vcc
	v_lshlrev_b32_e32 v20, 4, v20
	v_add_lshl_u32 v60, v20, v46, 2
	ds_bpermute_b32 v20, v60, v19
	v_cmp_le_u32_e32 vcc, v61, v13
	s_waitcnt lgkmcnt(0)
	v_cndmask_b32_e32 v20, 0, v20, vcc
	v_cmp_gt_u32_e32 vcc, 32, v52
	v_add_u32_e32 v19, v19, v20
	v_cndmask_b32_e64 v20, 0, 1, vcc
	v_lshlrev_b32_e32 v20, 5, v20
	v_add_lshl_u32 v62, v20, v46, 2
	ds_bpermute_b32 v20, v62, v19
	v_cmp_le_u32_e32 vcc, v63, v13
	s_waitcnt lgkmcnt(0)
	v_cndmask_b32_e32 v13, 0, v20, vcc
	v_add_u32_e32 v20, v19, v13
	v_mov_b32_e32 v19, 0
	s_branch .LBB2269_104
.LBB2269_103:                           ;   in Loop: Header=BB2269_104 Depth=1
	s_or_b64 exec, exec, s[38:39]
	v_cmp_eq_u16_sdwa s[38:39], v21, v51 src0_sel:BYTE_0 src1_sel:DWORD
	v_and_b32_e32 v24, s39, v23
	v_or_b32_e32 v24, 0x80000000, v24
	ds_bpermute_b32 v64, v53, v20
	v_and_b32_e32 v25, s38, v22
	v_ffbl_b32_e32 v24, v24
	v_add_u32_e32 v24, 32, v24
	v_ffbl_b32_e32 v25, v25
	v_min_u32_e32 v24, v25, v24
	v_cmp_lt_u32_e32 vcc, v52, v24
	s_waitcnt lgkmcnt(0)
	v_cndmask_b32_e32 v25, 0, v64, vcc
	v_add_u32_e32 v20, v25, v20
	ds_bpermute_b32 v25, v54, v20
	v_cmp_le_u32_e32 vcc, v55, v24
	v_subrev_u32_e32 v18, 64, v18
	s_waitcnt lgkmcnt(0)
	v_cndmask_b32_e32 v25, 0, v25, vcc
	v_add_u32_e32 v20, v20, v25
	ds_bpermute_b32 v25, v56, v20
	v_cmp_le_u32_e32 vcc, v57, v24
	s_waitcnt lgkmcnt(0)
	v_cndmask_b32_e32 v25, 0, v25, vcc
	v_add_u32_e32 v20, v20, v25
	ds_bpermute_b32 v25, v58, v20
	v_cmp_le_u32_e32 vcc, v59, v24
	;; [unrolled: 5-line block ×4, first 2 shown]
	s_waitcnt lgkmcnt(0)
	v_cndmask_b32_e32 v24, 0, v25, vcc
	v_add3_u32 v20, v24, v13, v20
.LBB2269_104:                           ; =>This Loop Header: Depth=1
                                        ;     Child Loop BB2269_107 Depth 2
	v_cmp_ne_u16_sdwa s[38:39], v21, v51 src0_sel:BYTE_0 src1_sel:DWORD
	v_cndmask_b32_e64 v13, 0, 1, s[38:39]
	;;#ASMSTART
	;;#ASMEND
	v_cmp_ne_u32_e32 vcc, 0, v13
	s_cmp_lg_u64 vcc, exec
	v_mov_b32_e32 v13, v20
	s_cbranch_scc1 .LBB2269_109
; %bb.105:                              ;   in Loop: Header=BB2269_104 Depth=1
	v_lshlrev_b64 v[20:21], 3, v[18:19]
	v_mov_b32_e32 v25, s35
	v_add_co_u32_e32 v24, vcc, s34, v20
	v_addc_co_u32_e32 v25, vcc, v25, v21, vcc
	global_load_dwordx2 v[20:21], v[24:25], off glc
	s_waitcnt vmcnt(0)
	v_cmp_eq_u16_sdwa s[40:41], v21, v19 src0_sel:BYTE_0 src1_sel:DWORD
	s_and_saveexec_b64 s[38:39], s[40:41]
	s_cbranch_execz .LBB2269_103
; %bb.106:                              ;   in Loop: Header=BB2269_104 Depth=1
	s_mov_b64 s[40:41], 0
.LBB2269_107:                           ;   Parent Loop BB2269_104 Depth=1
                                        ; =>  This Inner Loop Header: Depth=2
	global_load_dwordx2 v[20:21], v[24:25], off glc
	s_waitcnt vmcnt(0)
	v_cmp_ne_u16_sdwa s[42:43], v21, v19 src0_sel:BYTE_0 src1_sel:DWORD
	s_or_b64 s[40:41], s[42:43], s[40:41]
	s_andn2_b64 exec, exec, s[40:41]
	s_cbranch_execnz .LBB2269_107
; %bb.108:                              ;   in Loop: Header=BB2269_104 Depth=1
	s_or_b64 exec, exec, s[40:41]
	s_branch .LBB2269_103
.LBB2269_109:                           ;   in Loop: Header=BB2269_104 Depth=1
                                        ; implicit-def: $vgpr20
                                        ; implicit-def: $vgpr21
	s_cbranch_execz .LBB2269_104
; %bb.110:
	s_and_saveexec_b64 s[38:39], s[16:17]
	s_cbranch_execz .LBB2269_112
; %bb.111:
	s_add_i32 s6, s6, 64
	s_mov_b32 s7, 0
	s_lshl_b64 s[6:7], s[6:7], 3
	s_add_u32 s6, s34, s6
	v_add_u32_e32 v18, v13, v12
	v_mov_b32_e32 v19, 2
	s_addc_u32 s7, s35, s7
	v_mov_b32_e32 v20, 0
	global_store_dwordx2 v20, v[18:19], s[6:7]
	ds_write_b64 v20, v[12:13] offset:10240
.LBB2269_112:
	s_or_b64 exec, exec, s[38:39]
	v_cmp_eq_u32_e32 vcc, 0, v0
	s_and_b64 exec, exec, vcc
	s_cbranch_execz .LBB2269_114
; %bb.113:
	v_mov_b32_e32 v12, 0
	ds_write_b32 v12, v13 offset:12
.LBB2269_114:
	s_or_b64 exec, exec, s[36:37]
	v_mov_b32_e32 v12, 0
	s_waitcnt lgkmcnt(0)
	s_barrier
	ds_read_b32 v19, v12 offset:12
	s_waitcnt lgkmcnt(0)
	s_barrier
	ds_read_b64 v[12:13], v12 offset:10240
	v_cndmask_b32_e64 v18, v50, v49, s[16:17]
	v_cmp_ne_u32_e32 vcc, 0, v0
	v_cndmask_b32_e32 v18, 0, v18, vcc
	v_add_u32_e32 v22, v19, v18
	s_branch .LBB2269_125
.LBB2269_115:
                                        ; implicit-def: $vgpr13
                                        ; implicit-def: $vgpr22
	s_cbranch_execz .LBB2269_125
; %bb.116:
	s_waitcnt lgkmcnt(0)
	v_mov_b32_dpp v12, v48 row_shr:1 row_mask:0xf bank_mask:0xf
	v_cndmask_b32_e64 v12, v12, 0, s[14:15]
	v_add_u32_e32 v12, v12, v48
	s_nop 1
	v_mov_b32_dpp v13, v12 row_shr:2 row_mask:0xf bank_mask:0xf
	v_cndmask_b32_e64 v13, 0, v13, s[12:13]
	v_add_u32_e32 v12, v12, v13
	s_nop 1
	;; [unrolled: 4-line block ×4, first 2 shown]
	v_mov_b32_dpp v13, v12 row_bcast:15 row_mask:0xf bank_mask:0xf
	v_cndmask_b32_e64 v13, v13, 0, s[18:19]
	v_add_u32_e32 v12, v12, v13
	s_nop 1
	v_mov_b32_dpp v13, v12 row_bcast:31 row_mask:0xf bank_mask:0xf
	v_cndmask_b32_e64 v13, 0, v13, s[0:1]
	v_add_u32_e32 v12, v12, v13
	s_and_saveexec_b64 s[0:1], s[2:3]
	s_cbranch_execz .LBB2269_118
; %bb.117:
	v_lshlrev_b32_e32 v13, 2, v47
	ds_write_b32 v13, v12
.LBB2269_118:
	s_or_b64 exec, exec, s[0:1]
	v_cmp_gt_u32_e32 vcc, 4, v0
	s_waitcnt lgkmcnt(0)
	s_barrier
	s_and_saveexec_b64 s[0:1], vcc
	s_cbranch_execz .LBB2269_120
; %bb.119:
	v_lshlrev_b32_e32 v13, 2, v0
	ds_read_b32 v18, v13
	v_and_b32_e32 v19, 3, v46
	v_cmp_ne_u32_e32 vcc, 0, v19
	s_waitcnt lgkmcnt(0)
	v_mov_b32_dpp v20, v18 row_shr:1 row_mask:0xf bank_mask:0xf
	v_cndmask_b32_e32 v20, 0, v20, vcc
	v_add_u32_e32 v18, v20, v18
	v_cmp_lt_u32_e32 vcc, 1, v19
	s_nop 0
	v_mov_b32_dpp v20, v18 row_shr:2 row_mask:0xf bank_mask:0xf
	v_cndmask_b32_e32 v19, 0, v20, vcc
	v_add_u32_e32 v18, v18, v19
	ds_write_b32 v13, v18
.LBB2269_120:
	s_or_b64 exec, exec, s[0:1]
	v_cmp_lt_u32_e32 vcc, 63, v0
	v_mov_b32_e32 v13, 0
	v_mov_b32_e32 v18, 0
	s_waitcnt lgkmcnt(0)
	s_barrier
	s_and_saveexec_b64 s[0:1], vcc
	s_cbranch_execz .LBB2269_122
; %bb.121:
	v_lshl_add_u32 v18, v47, 2, -4
	ds_read_b32 v18, v18
.LBB2269_122:
	s_or_b64 exec, exec, s[0:1]
	v_add_u32_e32 v19, -1, v46
	v_and_b32_e32 v20, 64, v46
	v_cmp_lt_i32_e32 vcc, v19, v20
	v_cndmask_b32_e32 v19, v19, v46, vcc
	s_waitcnt lgkmcnt(0)
	v_add_u32_e32 v12, v18, v12
	v_lshlrev_b32_e32 v19, 2, v19
	ds_bpermute_b32 v19, v19, v12
	ds_read_b32 v12, v13 offset:12
	v_cmp_eq_u32_e32 vcc, 0, v0
	s_and_saveexec_b64 s[0:1], vcc
	s_cbranch_execz .LBB2269_124
; %bb.123:
	v_mov_b32_e32 v20, 0
	v_mov_b32_e32 v13, 2
	s_waitcnt lgkmcnt(0)
	global_store_dwordx2 v20, v[12:13], s[34:35] offset:512
.LBB2269_124:
	s_or_b64 exec, exec, s[0:1]
	v_cmp_eq_u32_e64 s[0:1], 0, v46
	s_waitcnt lgkmcnt(1)
	v_cndmask_b32_e64 v18, v19, v18, s[0:1]
	v_mov_b32_e32 v13, 0
	v_cndmask_b32_e64 v22, v18, 0, vcc
	s_waitcnt lgkmcnt(0)
	s_barrier
.LBB2269_125:
	v_add_u32_sdwa v24, v22, v16 dst_sel:DWORD dst_unused:UNUSED_PAD src0_sel:DWORD src1_sel:BYTE_0
	s_waitcnt lgkmcnt(0)
	v_add_u32_e32 v26, v12, v26
	v_sub_u32_e32 v22, v22, v13
	v_and_b32_e32 v51, 1, v16
	v_sub_u32_e32 v50, v26, v22
	v_cmp_eq_u32_e32 vcc, 1, v51
	v_cndmask_b32_e32 v22, v50, v22, vcc
	v_lshlrev_b32_e32 v22, 1, v22
	v_lshrrev_b32_e32 v23, 8, v16
	ds_write_b16 v22, v6
	v_sub_u32_e32 v22, v24, v13
	v_add_u32_sdwa v25, v24, v16 dst_sel:DWORD dst_unused:UNUSED_PAD src0_sel:DWORD src1_sel:BYTE_1
	v_sub_u32_e32 v24, v26, v22
	v_and_b32_e32 v23, 1, v23
	v_add_u32_e32 v24, 1, v24
	v_cmp_eq_u32_e32 vcc, 1, v23
	v_cndmask_b32_e32 v22, v24, v22, vcc
	v_lshlrev_b32_e32 v22, 1, v22
	ds_write_b16_d16_hi v22, v6
	v_sub_u32_e32 v6, v25, v13
	v_mov_b32_e32 v23, 1
	v_sub_u32_e32 v22, v26, v6
	v_and_b32_sdwa v16, v23, v16 dst_sel:DWORD dst_unused:UNUSED_PAD src0_sel:DWORD src1_sel:WORD_1
	v_add_u32_e32 v22, 2, v22
	v_cmp_eq_u32_e32 vcc, 1, v16
	v_cndmask_b32_e32 v6, v22, v6, vcc
	v_add_u32_e32 v45, v25, v45
	v_lshlrev_b32_e32 v6, 1, v6
	ds_write_b16 v6, v7
	v_sub_u32_e32 v6, v45, v13
	v_sub_u32_e32 v16, v26, v6
	v_and_b32_e32 v22, 1, v33
	v_add_u32_e32 v16, 3, v16
	v_cmp_eq_u32_e32 vcc, 1, v22
	v_cndmask_b32_e32 v6, v16, v6, vcc
	v_add_u32_e32 v46, v45, v33
	v_lshlrev_b32_e32 v6, 1, v6
	ds_write_b16_d16_hi v6, v7
	v_sub_u32_e32 v6, v46, v13
	v_sub_u32_e32 v7, v26, v6
	v_and_b32_e32 v16, 1, v17
	v_add_u32_e32 v7, 4, v7
	v_cmp_eq_u32_e32 vcc, 1, v16
	v_cndmask_b32_e32 v6, v7, v6, vcc
	v_add_u32_e32 v42, v46, v42
	v_lshlrev_b32_e32 v6, 1, v6
	v_lshrrev_b32_e32 v21, 8, v17
	ds_write_b16 v6, v8
	v_sub_u32_e32 v6, v42, v13
	v_sub_u32_e32 v7, v26, v6
	v_and_b32_e32 v16, 1, v21
	v_add_u32_e32 v7, 5, v7
	v_cmp_eq_u32_e32 vcc, 1, v16
	v_cndmask_b32_e32 v6, v7, v6, vcc
	v_add_u32_e32 v43, v42, v43
	v_lshlrev_b32_e32 v6, 1, v6
	ds_write_b16_d16_hi v6, v8
	v_sub_u32_e32 v6, v43, v13
	v_sub_u32_e32 v7, v26, v6
	v_and_b32_sdwa v8, v23, v17 dst_sel:DWORD dst_unused:UNUSED_PAD src0_sel:DWORD src1_sel:WORD_1
	v_add_u32_e32 v7, 6, v7
	v_cmp_eq_u32_e32 vcc, 1, v8
	v_cndmask_b32_e32 v6, v7, v6, vcc
	v_add_u32_e32 v44, v43, v44
	v_lshlrev_b32_e32 v6, 1, v6
	ds_write_b16 v6, v9
	v_sub_u32_e32 v6, v44, v13
	v_sub_u32_e32 v7, v26, v6
	v_and_b32_e32 v8, 1, v32
	v_add_u32_e32 v7, 7, v7
	v_cmp_eq_u32_e32 vcc, 1, v8
	v_cndmask_b32_e32 v6, v7, v6, vcc
	v_add_u32_e32 v47, v44, v32
	v_lshlrev_b32_e32 v6, 1, v6
	ds_write_b16_d16_hi v6, v9
	v_sub_u32_e32 v6, v47, v13
	v_sub_u32_e32 v7, v26, v6
	v_and_b32_e32 v8, 1, v14
	v_add_u32_e32 v7, 8, v7
	v_cmp_eq_u32_e32 vcc, 1, v8
	v_cndmask_b32_e32 v6, v7, v6, vcc
	v_add_u32_e32 v39, v47, v39
	v_lshlrev_b32_e32 v6, 1, v6
	v_lshrrev_b32_e32 v20, 8, v14
	ds_write_b16 v6, v2
	v_sub_u32_e32 v6, v39, v13
	v_sub_u32_e32 v7, v26, v6
	v_and_b32_e32 v8, 1, v20
	v_add_u32_e32 v7, 9, v7
	v_cmp_eq_u32_e32 vcc, 1, v8
	v_cndmask_b32_e32 v6, v7, v6, vcc
	v_add_u32_e32 v40, v39, v40
	v_lshlrev_b32_e32 v6, 1, v6
	ds_write_b16_d16_hi v6, v2
	v_sub_u32_e32 v2, v40, v13
	;; [unrolled: 37-line block ×4, first 2 shown]
	v_sub_u32_e32 v3, v26, v2
	v_and_b32_sdwa v4, v23, v28 dst_sel:DWORD dst_unused:UNUSED_PAD src0_sel:DWORD src1_sel:WORD_1
	v_add_u32_e32 v3, 18, v3
	v_cmp_eq_u32_e32 vcc, 1, v4
	v_cndmask_b32_e32 v2, v3, v2, vcc
	v_lshlrev_b32_e32 v2, 1, v2
	ds_write_b16 v2, v11
	v_sub_u32_e32 v2, v29, v13
	v_add_u32_e32 v2, v35, v2
	v_sub_u32_e32 v3, v26, v2
	v_and_b32_e32 v4, 1, v27
	v_add_u32_e32 v3, 19, v3
	v_cmp_eq_u32_e32 vcc, 1, v4
	v_cndmask_b32_e32 v2, v3, v2, vcc
	v_lshlrev_b32_e32 v2, 1, v2
	ds_write_b16_d16_hi v2, v11
	v_mov_b32_e32 v2, s31
	v_add_co_u32_e32 v48, vcc, s30, v13
	s_waitcnt lgkmcnt(0)
	s_barrier
	ds_read_u16 v47, v1
	ds_read_u16 v46, v1 offset:512
	ds_read_u16 v44, v1 offset:1024
	;; [unrolled: 1-line block ×15, first 2 shown]
	v_addc_co_u32_e32 v49, vcc, 0, v2, vcc
	s_load_dwordx4 s[0:3], s[4:5], 0x30
	v_add_co_u32_e32 v2, vcc, v48, v12
	v_addc_co_u32_e32 v3, vcc, 0, v49, vcc
	v_mov_b32_e32 v9, s27
	v_sub_co_u32_e32 v8, vcc, s26, v2
	ds_read_u16 v16, v1 offset:8192
	ds_read_u16 v11, v1 offset:8704
	;; [unrolled: 1-line block ×4, first 2 shown]
	v_subb_co_u32_e32 v9, vcc, v9, v3, vcc
	v_lshlrev_b64 v[8:9], 1, v[8:9]
	s_waitcnt lgkmcnt(0)
	v_mov_b32_e32 v13, s3
	v_add_co_u32_e32 v8, vcc, s2, v8
	v_addc_co_u32_e32 v9, vcc, v13, v9, vcc
	v_mov_b32_e32 v13, s29
	v_add_co_u32_e32 v8, vcc, s28, v8
	v_lshlrev_b64 v[48:49], 1, v[48:49]
	v_addc_co_u32_e32 v9, vcc, v9, v13, vcc
	v_mov_b32_e32 v14, s1
	v_add_co_u32_e64 v13, s[0:1], s0, v48
	v_or_b32_e32 v45, 0x100, v0
	v_or_b32_e32 v43, 0x200, v0
	;; [unrolled: 1-line block ×19, first 2 shown]
	s_andn2_b64 vcc, exec, s[24:25]
	v_addc_co_u32_e64 v14, s[0:1], v14, v49, s[0:1]
	s_cbranch_vccnz .LBB2269_127
; %bb.126:
	v_cmp_lt_u32_e32 vcc, v0, v12
	v_cndmask_b32_e32 v48, v8, v13, vcc
	v_cndmask_b32_e32 v49, v9, v14, vcc
	v_add_co_u32_e32 v48, vcc, v48, v1
	v_addc_co_u32_e32 v49, vcc, 0, v49, vcc
	v_cmp_lt_u32_e32 vcc, v45, v12
	global_store_short v[48:49], v47, off
	v_cndmask_b32_e32 v48, v8, v13, vcc
	v_cndmask_b32_e32 v49, v9, v14, vcc
	v_add_co_u32_e32 v48, vcc, v48, v1
	v_addc_co_u32_e32 v49, vcc, 0, v49, vcc
	v_cmp_lt_u32_e32 vcc, v43, v12
	global_store_short v[48:49], v46, off offset:512
	v_cndmask_b32_e32 v48, v8, v13, vcc
	v_cndmask_b32_e32 v49, v9, v14, vcc
	v_add_co_u32_e32 v48, vcc, v48, v1
	v_addc_co_u32_e32 v49, vcc, 0, v49, vcc
	v_cmp_lt_u32_e32 vcc, v41, v12
	global_store_short v[48:49], v44, off offset:1024
	;; [unrolled: 6-line block ×7, first 2 shown]
	v_cndmask_b32_e32 v48, v8, v13, vcc
	v_lshlrev_b32_e32 v50, 1, v31
	v_cndmask_b32_e32 v49, v9, v14, vcc
	v_add_co_u32_e32 v48, vcc, v48, v50
	v_addc_co_u32_e32 v49, vcc, 0, v49, vcc
	v_cmp_lt_u32_e32 vcc, v29, v12
	global_store_short v[48:49], v32, off
	v_cndmask_b32_e32 v48, v8, v13, vcc
	v_lshlrev_b32_e32 v50, 1, v29
	v_cndmask_b32_e32 v49, v9, v14, vcc
	v_add_co_u32_e32 v48, vcc, v48, v50
	v_addc_co_u32_e32 v49, vcc, 0, v49, vcc
	v_cmp_lt_u32_e32 vcc, v27, v12
	global_store_short v[48:49], v30, off
	;; [unrolled: 7-line block ×10, first 2 shown]
	v_cndmask_b32_e32 v48, v8, v13, vcc
	v_lshlrev_b32_e32 v50, 1, v7
	v_cndmask_b32_e32 v49, v9, v14, vcc
	v_add_co_u32_e32 v48, vcc, v48, v50
	v_addc_co_u32_e32 v49, vcc, 0, v49, vcc
	s_mov_b64 s[0:1], -1
	global_store_short v[48:49], v6, off
	s_cbranch_execz .LBB2269_128
	s_branch .LBB2269_149
.LBB2269_127:
	s_mov_b64 s[0:1], 0
.LBB2269_128:
	v_cmp_gt_u32_e32 vcc, s33, v0
	s_and_saveexec_b64 s[0:1], vcc
	s_cbranch_execnz .LBB2269_154
; %bb.129:
	s_or_b64 exec, exec, s[0:1]
	v_cmp_gt_u32_e32 vcc, s33, v45
	s_and_saveexec_b64 s[0:1], vcc
	s_cbranch_execnz .LBB2269_155
.LBB2269_130:
	s_or_b64 exec, exec, s[0:1]
	v_cmp_gt_u32_e32 vcc, s33, v43
	s_and_saveexec_b64 s[0:1], vcc
	s_cbranch_execnz .LBB2269_156
.LBB2269_131:
	s_or_b64 exec, exec, s[0:1]
	v_cmp_gt_u32_e32 vcc, s33, v41
	s_and_saveexec_b64 s[0:1], vcc
	s_cbranch_execnz .LBB2269_157
.LBB2269_132:
	s_or_b64 exec, exec, s[0:1]
	v_cmp_gt_u32_e32 vcc, s33, v39
	s_and_saveexec_b64 s[0:1], vcc
	s_cbranch_execnz .LBB2269_158
.LBB2269_133:
	s_or_b64 exec, exec, s[0:1]
	v_cmp_gt_u32_e32 vcc, s33, v37
	s_and_saveexec_b64 s[0:1], vcc
	s_cbranch_execnz .LBB2269_159
.LBB2269_134:
	s_or_b64 exec, exec, s[0:1]
	v_cmp_gt_u32_e32 vcc, s33, v35
	s_and_saveexec_b64 s[0:1], vcc
	s_cbranch_execnz .LBB2269_160
.LBB2269_135:
	s_or_b64 exec, exec, s[0:1]
	v_cmp_gt_u32_e32 vcc, s33, v33
	s_and_saveexec_b64 s[0:1], vcc
	s_cbranch_execnz .LBB2269_161
.LBB2269_136:
	s_or_b64 exec, exec, s[0:1]
	v_cmp_gt_u32_e32 vcc, s33, v31
	s_and_saveexec_b64 s[0:1], vcc
	s_cbranch_execnz .LBB2269_162
.LBB2269_137:
	s_or_b64 exec, exec, s[0:1]
	v_cmp_gt_u32_e32 vcc, s33, v29
	s_and_saveexec_b64 s[0:1], vcc
	s_cbranch_execnz .LBB2269_163
.LBB2269_138:
	s_or_b64 exec, exec, s[0:1]
	v_cmp_gt_u32_e32 vcc, s33, v27
	s_and_saveexec_b64 s[0:1], vcc
	s_cbranch_execnz .LBB2269_164
.LBB2269_139:
	s_or_b64 exec, exec, s[0:1]
	v_cmp_gt_u32_e32 vcc, s33, v25
	s_and_saveexec_b64 s[0:1], vcc
	s_cbranch_execnz .LBB2269_165
.LBB2269_140:
	s_or_b64 exec, exec, s[0:1]
	v_cmp_gt_u32_e32 vcc, s33, v23
	s_and_saveexec_b64 s[0:1], vcc
	s_cbranch_execnz .LBB2269_166
.LBB2269_141:
	s_or_b64 exec, exec, s[0:1]
	v_cmp_gt_u32_e32 vcc, s33, v21
	s_and_saveexec_b64 s[0:1], vcc
	s_cbranch_execnz .LBB2269_167
.LBB2269_142:
	s_or_b64 exec, exec, s[0:1]
	v_cmp_gt_u32_e32 vcc, s33, v19
	s_and_saveexec_b64 s[0:1], vcc
	s_cbranch_execnz .LBB2269_168
.LBB2269_143:
	s_or_b64 exec, exec, s[0:1]
	v_cmp_gt_u32_e32 vcc, s33, v17
	s_and_saveexec_b64 s[0:1], vcc
	s_cbranch_execnz .LBB2269_169
.LBB2269_144:
	s_or_b64 exec, exec, s[0:1]
	v_cmp_gt_u32_e32 vcc, s33, v15
	s_and_saveexec_b64 s[0:1], vcc
	s_cbranch_execnz .LBB2269_170
.LBB2269_145:
	s_or_b64 exec, exec, s[0:1]
	v_cmp_gt_u32_e32 vcc, s33, v10
	s_and_saveexec_b64 s[0:1], vcc
	s_cbranch_execnz .LBB2269_171
.LBB2269_146:
	s_or_b64 exec, exec, s[0:1]
	v_cmp_gt_u32_e32 vcc, s33, v7
	s_and_saveexec_b64 s[0:1], vcc
	s_cbranch_execz .LBB2269_148
.LBB2269_147:
	v_cmp_lt_u32_e32 vcc, v7, v12
	v_cndmask_b32_e32 v10, v8, v13, vcc
	v_lshlrev_b32_e32 v7, 1, v7
	v_cndmask_b32_e32 v1, v9, v14, vcc
	v_add_co_u32_e32 v10, vcc, v10, v7
	v_addc_co_u32_e32 v11, vcc, 0, v1, vcc
	global_store_short v[10:11], v6, off
.LBB2269_148:
	s_or_b64 exec, exec, s[0:1]
	v_cmp_gt_u32_e64 s[0:1], s33, v5
.LBB2269_149:
	s_and_saveexec_b64 s[2:3], s[0:1]
	s_cbranch_execz .LBB2269_151
; %bb.150:
	v_cmp_lt_u32_e32 vcc, v5, v12
	v_cndmask_b32_e32 v6, v8, v13, vcc
	v_lshlrev_b32_e32 v5, 1, v5
	v_cndmask_b32_e32 v1, v9, v14, vcc
	v_add_co_u32_e32 v6, vcc, v6, v5
	v_addc_co_u32_e32 v7, vcc, 0, v1, vcc
	global_store_short v[6:7], v4, off
.LBB2269_151:
	s_or_b64 exec, exec, s[2:3]
	v_cmp_eq_u32_e32 vcc, 0, v0
	s_and_b64 s[0:1], vcc, s[22:23]
	s_and_saveexec_b64 s[2:3], s[0:1]
	s_cbranch_execz .LBB2269_153
; %bb.152:
	v_mov_b32_e32 v0, 0
	global_store_dwordx2 v0, v[2:3], s[20:21]
.LBB2269_153:
	s_endpgm
.LBB2269_154:
	v_cmp_lt_u32_e32 vcc, v0, v12
	v_cndmask_b32_e32 v48, v8, v13, vcc
	v_cndmask_b32_e32 v49, v9, v14, vcc
	v_add_co_u32_e32 v48, vcc, v48, v1
	v_addc_co_u32_e32 v49, vcc, 0, v49, vcc
	global_store_short v[48:49], v47, off
	s_or_b64 exec, exec, s[0:1]
	v_cmp_gt_u32_e32 vcc, s33, v45
	s_and_saveexec_b64 s[0:1], vcc
	s_cbranch_execz .LBB2269_130
.LBB2269_155:
	v_cmp_lt_u32_e32 vcc, v45, v12
	v_cndmask_b32_e32 v47, v8, v13, vcc
	v_cndmask_b32_e32 v45, v9, v14, vcc
	v_add_co_u32_e32 v48, vcc, v47, v1
	v_addc_co_u32_e32 v49, vcc, 0, v45, vcc
	global_store_short v[48:49], v46, off offset:512
	s_or_b64 exec, exec, s[0:1]
	v_cmp_gt_u32_e32 vcc, s33, v43
	s_and_saveexec_b64 s[0:1], vcc
	s_cbranch_execz .LBB2269_131
.LBB2269_156:
	v_cmp_lt_u32_e32 vcc, v43, v12
	v_cndmask_b32_e32 v45, v8, v13, vcc
	v_cndmask_b32_e32 v43, v9, v14, vcc
	v_add_co_u32_e32 v46, vcc, v45, v1
	v_addc_co_u32_e32 v47, vcc, 0, v43, vcc
	global_store_short v[46:47], v44, off offset:1024
	s_or_b64 exec, exec, s[0:1]
	v_cmp_gt_u32_e32 vcc, s33, v41
	s_and_saveexec_b64 s[0:1], vcc
	s_cbranch_execz .LBB2269_132
.LBB2269_157:
	v_cmp_lt_u32_e32 vcc, v41, v12
	v_cndmask_b32_e32 v43, v8, v13, vcc
	v_cndmask_b32_e32 v41, v9, v14, vcc
	v_add_co_u32_e32 v44, vcc, v43, v1
	v_addc_co_u32_e32 v45, vcc, 0, v41, vcc
	global_store_short v[44:45], v42, off offset:1536
	s_or_b64 exec, exec, s[0:1]
	v_cmp_gt_u32_e32 vcc, s33, v39
	s_and_saveexec_b64 s[0:1], vcc
	s_cbranch_execz .LBB2269_133
.LBB2269_158:
	v_cmp_lt_u32_e32 vcc, v39, v12
	v_cndmask_b32_e32 v41, v8, v13, vcc
	v_cndmask_b32_e32 v39, v9, v14, vcc
	v_add_co_u32_e32 v42, vcc, v41, v1
	v_addc_co_u32_e32 v43, vcc, 0, v39, vcc
	global_store_short v[42:43], v40, off offset:2048
	s_or_b64 exec, exec, s[0:1]
	v_cmp_gt_u32_e32 vcc, s33, v37
	s_and_saveexec_b64 s[0:1], vcc
	s_cbranch_execz .LBB2269_134
.LBB2269_159:
	v_cmp_lt_u32_e32 vcc, v37, v12
	v_cndmask_b32_e32 v39, v8, v13, vcc
	v_cndmask_b32_e32 v37, v9, v14, vcc
	v_add_co_u32_e32 v40, vcc, v39, v1
	v_addc_co_u32_e32 v41, vcc, 0, v37, vcc
	global_store_short v[40:41], v38, off offset:2560
	s_or_b64 exec, exec, s[0:1]
	v_cmp_gt_u32_e32 vcc, s33, v35
	s_and_saveexec_b64 s[0:1], vcc
	s_cbranch_execz .LBB2269_135
.LBB2269_160:
	v_cmp_lt_u32_e32 vcc, v35, v12
	v_cndmask_b32_e32 v37, v8, v13, vcc
	v_cndmask_b32_e32 v35, v9, v14, vcc
	v_add_co_u32_e32 v38, vcc, v37, v1
	v_addc_co_u32_e32 v39, vcc, 0, v35, vcc
	global_store_short v[38:39], v36, off offset:3072
	s_or_b64 exec, exec, s[0:1]
	v_cmp_gt_u32_e32 vcc, s33, v33
	s_and_saveexec_b64 s[0:1], vcc
	s_cbranch_execz .LBB2269_136
.LBB2269_161:
	v_cmp_lt_u32_e32 vcc, v33, v12
	v_cndmask_b32_e32 v35, v8, v13, vcc
	v_cndmask_b32_e32 v33, v9, v14, vcc
	v_add_co_u32_e32 v36, vcc, v35, v1
	v_addc_co_u32_e32 v37, vcc, 0, v33, vcc
	global_store_short v[36:37], v34, off offset:3584
	s_or_b64 exec, exec, s[0:1]
	v_cmp_gt_u32_e32 vcc, s33, v31
	s_and_saveexec_b64 s[0:1], vcc
	s_cbranch_execz .LBB2269_137
.LBB2269_162:
	v_cmp_lt_u32_e32 vcc, v31, v12
	v_cndmask_b32_e32 v33, v8, v13, vcc
	v_lshlrev_b32_e32 v31, 1, v31
	v_cndmask_b32_e32 v1, v9, v14, vcc
	v_add_co_u32_e32 v34, vcc, v33, v31
	v_addc_co_u32_e32 v35, vcc, 0, v1, vcc
	global_store_short v[34:35], v32, off
	s_or_b64 exec, exec, s[0:1]
	v_cmp_gt_u32_e32 vcc, s33, v29
	s_and_saveexec_b64 s[0:1], vcc
	s_cbranch_execz .LBB2269_138
.LBB2269_163:
	v_cmp_lt_u32_e32 vcc, v29, v12
	v_cndmask_b32_e32 v31, v8, v13, vcc
	v_lshlrev_b32_e32 v29, 1, v29
	v_cndmask_b32_e32 v1, v9, v14, vcc
	v_add_co_u32_e32 v32, vcc, v31, v29
	v_addc_co_u32_e32 v33, vcc, 0, v1, vcc
	global_store_short v[32:33], v30, off
	s_or_b64 exec, exec, s[0:1]
	v_cmp_gt_u32_e32 vcc, s33, v27
	s_and_saveexec_b64 s[0:1], vcc
	s_cbranch_execz .LBB2269_139
.LBB2269_164:
	v_cmp_lt_u32_e32 vcc, v27, v12
	v_cndmask_b32_e32 v29, v8, v13, vcc
	v_lshlrev_b32_e32 v27, 1, v27
	v_cndmask_b32_e32 v1, v9, v14, vcc
	v_add_co_u32_e32 v30, vcc, v29, v27
	v_addc_co_u32_e32 v31, vcc, 0, v1, vcc
	global_store_short v[30:31], v28, off
	s_or_b64 exec, exec, s[0:1]
	v_cmp_gt_u32_e32 vcc, s33, v25
	s_and_saveexec_b64 s[0:1], vcc
	s_cbranch_execz .LBB2269_140
.LBB2269_165:
	v_cmp_lt_u32_e32 vcc, v25, v12
	v_cndmask_b32_e32 v27, v8, v13, vcc
	v_lshlrev_b32_e32 v25, 1, v25
	v_cndmask_b32_e32 v1, v9, v14, vcc
	v_add_co_u32_e32 v28, vcc, v27, v25
	v_addc_co_u32_e32 v29, vcc, 0, v1, vcc
	global_store_short v[28:29], v26, off
	s_or_b64 exec, exec, s[0:1]
	v_cmp_gt_u32_e32 vcc, s33, v23
	s_and_saveexec_b64 s[0:1], vcc
	s_cbranch_execz .LBB2269_141
.LBB2269_166:
	v_cmp_lt_u32_e32 vcc, v23, v12
	v_cndmask_b32_e32 v25, v8, v13, vcc
	v_lshlrev_b32_e32 v23, 1, v23
	v_cndmask_b32_e32 v1, v9, v14, vcc
	v_add_co_u32_e32 v26, vcc, v25, v23
	v_addc_co_u32_e32 v27, vcc, 0, v1, vcc
	global_store_short v[26:27], v24, off
	s_or_b64 exec, exec, s[0:1]
	v_cmp_gt_u32_e32 vcc, s33, v21
	s_and_saveexec_b64 s[0:1], vcc
	s_cbranch_execz .LBB2269_142
.LBB2269_167:
	v_cmp_lt_u32_e32 vcc, v21, v12
	v_cndmask_b32_e32 v23, v8, v13, vcc
	v_lshlrev_b32_e32 v21, 1, v21
	v_cndmask_b32_e32 v1, v9, v14, vcc
	v_add_co_u32_e32 v24, vcc, v23, v21
	v_addc_co_u32_e32 v25, vcc, 0, v1, vcc
	global_store_short v[24:25], v22, off
	s_or_b64 exec, exec, s[0:1]
	v_cmp_gt_u32_e32 vcc, s33, v19
	s_and_saveexec_b64 s[0:1], vcc
	s_cbranch_execz .LBB2269_143
.LBB2269_168:
	v_cmp_lt_u32_e32 vcc, v19, v12
	v_cndmask_b32_e32 v21, v8, v13, vcc
	v_lshlrev_b32_e32 v19, 1, v19
	v_cndmask_b32_e32 v1, v9, v14, vcc
	v_add_co_u32_e32 v22, vcc, v21, v19
	v_addc_co_u32_e32 v23, vcc, 0, v1, vcc
	global_store_short v[22:23], v20, off
	s_or_b64 exec, exec, s[0:1]
	v_cmp_gt_u32_e32 vcc, s33, v17
	s_and_saveexec_b64 s[0:1], vcc
	s_cbranch_execz .LBB2269_144
.LBB2269_169:
	v_cmp_lt_u32_e32 vcc, v17, v12
	v_cndmask_b32_e32 v19, v8, v13, vcc
	v_lshlrev_b32_e32 v17, 1, v17
	v_cndmask_b32_e32 v1, v9, v14, vcc
	v_add_co_u32_e32 v20, vcc, v19, v17
	v_addc_co_u32_e32 v21, vcc, 0, v1, vcc
	global_store_short v[20:21], v18, off
	s_or_b64 exec, exec, s[0:1]
	v_cmp_gt_u32_e32 vcc, s33, v15
	s_and_saveexec_b64 s[0:1], vcc
	s_cbranch_execz .LBB2269_145
.LBB2269_170:
	v_cmp_lt_u32_e32 vcc, v15, v12
	v_cndmask_b32_e32 v17, v8, v13, vcc
	v_lshlrev_b32_e32 v15, 1, v15
	v_cndmask_b32_e32 v1, v9, v14, vcc
	v_add_co_u32_e32 v18, vcc, v17, v15
	v_addc_co_u32_e32 v19, vcc, 0, v1, vcc
	global_store_short v[18:19], v16, off
	s_or_b64 exec, exec, s[0:1]
	v_cmp_gt_u32_e32 vcc, s33, v10
	s_and_saveexec_b64 s[0:1], vcc
	s_cbranch_execz .LBB2269_146
.LBB2269_171:
	v_cmp_lt_u32_e32 vcc, v10, v12
	v_cndmask_b32_e32 v15, v8, v13, vcc
	v_lshlrev_b32_e32 v10, 1, v10
	v_cndmask_b32_e32 v1, v9, v14, vcc
	v_add_co_u32_e32 v16, vcc, v15, v10
	v_addc_co_u32_e32 v17, vcc, 0, v1, vcc
	global_store_short v[16:17], v11, off
	s_or_b64 exec, exec, s[0:1]
	v_cmp_gt_u32_e32 vcc, s33, v7
	s_and_saveexec_b64 s[0:1], vcc
	s_cbranch_execnz .LBB2269_147
	s_branch .LBB2269_148
	.section	.rodata,"a",@progbits
	.p2align	6, 0x0
	.amdhsa_kernel _ZN7rocprim17ROCPRIM_400000_NS6detail17trampoline_kernelINS0_14default_configENS1_25partition_config_selectorILNS1_17partition_subalgoE1EtNS0_10empty_typeEbEEZZNS1_14partition_implILS5_1ELb0ES3_jN6thrust23THRUST_200600_302600_NS6detail15normal_iteratorINSA_10device_ptrItEEEEPS6_NSA_18transform_iteratorI7is_evenItESF_NSA_11use_defaultESK_EENS0_5tupleIJSF_SF_EEENSM_IJSG_SG_EEES6_PlJS6_EEE10hipError_tPvRmT3_T4_T5_T6_T7_T9_mT8_P12ihipStream_tbDpT10_ENKUlT_T0_E_clISt17integral_constantIbLb0EES19_EEDaS14_S15_EUlS14_E_NS1_11comp_targetILNS1_3genE4ELNS1_11target_archE910ELNS1_3gpuE8ELNS1_3repE0EEENS1_30default_config_static_selectorELNS0_4arch9wavefront6targetE1EEEvT1_
		.amdhsa_group_segment_fixed_size 10248
		.amdhsa_private_segment_fixed_size 0
		.amdhsa_kernarg_size 128
		.amdhsa_user_sgpr_count 6
		.amdhsa_user_sgpr_private_segment_buffer 1
		.amdhsa_user_sgpr_dispatch_ptr 0
		.amdhsa_user_sgpr_queue_ptr 0
		.amdhsa_user_sgpr_kernarg_segment_ptr 1
		.amdhsa_user_sgpr_dispatch_id 0
		.amdhsa_user_sgpr_flat_scratch_init 0
		.amdhsa_user_sgpr_kernarg_preload_length 0
		.amdhsa_user_sgpr_kernarg_preload_offset 0
		.amdhsa_user_sgpr_private_segment_size 0
		.amdhsa_uses_dynamic_stack 0
		.amdhsa_system_sgpr_private_segment_wavefront_offset 0
		.amdhsa_system_sgpr_workgroup_id_x 1
		.amdhsa_system_sgpr_workgroup_id_y 0
		.amdhsa_system_sgpr_workgroup_id_z 0
		.amdhsa_system_sgpr_workgroup_info 0
		.amdhsa_system_vgpr_workitem_id 0
		.amdhsa_next_free_vgpr 65
		.amdhsa_next_free_sgpr 44
		.amdhsa_accum_offset 68
		.amdhsa_reserve_vcc 1
		.amdhsa_reserve_flat_scratch 0
		.amdhsa_float_round_mode_32 0
		.amdhsa_float_round_mode_16_64 0
		.amdhsa_float_denorm_mode_32 3
		.amdhsa_float_denorm_mode_16_64 3
		.amdhsa_dx10_clamp 1
		.amdhsa_ieee_mode 1
		.amdhsa_fp16_overflow 0
		.amdhsa_tg_split 0
		.amdhsa_exception_fp_ieee_invalid_op 0
		.amdhsa_exception_fp_denorm_src 0
		.amdhsa_exception_fp_ieee_div_zero 0
		.amdhsa_exception_fp_ieee_overflow 0
		.amdhsa_exception_fp_ieee_underflow 0
		.amdhsa_exception_fp_ieee_inexact 0
		.amdhsa_exception_int_div_zero 0
	.end_amdhsa_kernel
	.section	.text._ZN7rocprim17ROCPRIM_400000_NS6detail17trampoline_kernelINS0_14default_configENS1_25partition_config_selectorILNS1_17partition_subalgoE1EtNS0_10empty_typeEbEEZZNS1_14partition_implILS5_1ELb0ES3_jN6thrust23THRUST_200600_302600_NS6detail15normal_iteratorINSA_10device_ptrItEEEEPS6_NSA_18transform_iteratorI7is_evenItESF_NSA_11use_defaultESK_EENS0_5tupleIJSF_SF_EEENSM_IJSG_SG_EEES6_PlJS6_EEE10hipError_tPvRmT3_T4_T5_T6_T7_T9_mT8_P12ihipStream_tbDpT10_ENKUlT_T0_E_clISt17integral_constantIbLb0EES19_EEDaS14_S15_EUlS14_E_NS1_11comp_targetILNS1_3genE4ELNS1_11target_archE910ELNS1_3gpuE8ELNS1_3repE0EEENS1_30default_config_static_selectorELNS0_4arch9wavefront6targetE1EEEvT1_,"axG",@progbits,_ZN7rocprim17ROCPRIM_400000_NS6detail17trampoline_kernelINS0_14default_configENS1_25partition_config_selectorILNS1_17partition_subalgoE1EtNS0_10empty_typeEbEEZZNS1_14partition_implILS5_1ELb0ES3_jN6thrust23THRUST_200600_302600_NS6detail15normal_iteratorINSA_10device_ptrItEEEEPS6_NSA_18transform_iteratorI7is_evenItESF_NSA_11use_defaultESK_EENS0_5tupleIJSF_SF_EEENSM_IJSG_SG_EEES6_PlJS6_EEE10hipError_tPvRmT3_T4_T5_T6_T7_T9_mT8_P12ihipStream_tbDpT10_ENKUlT_T0_E_clISt17integral_constantIbLb0EES19_EEDaS14_S15_EUlS14_E_NS1_11comp_targetILNS1_3genE4ELNS1_11target_archE910ELNS1_3gpuE8ELNS1_3repE0EEENS1_30default_config_static_selectorELNS0_4arch9wavefront6targetE1EEEvT1_,comdat
.Lfunc_end2269:
	.size	_ZN7rocprim17ROCPRIM_400000_NS6detail17trampoline_kernelINS0_14default_configENS1_25partition_config_selectorILNS1_17partition_subalgoE1EtNS0_10empty_typeEbEEZZNS1_14partition_implILS5_1ELb0ES3_jN6thrust23THRUST_200600_302600_NS6detail15normal_iteratorINSA_10device_ptrItEEEEPS6_NSA_18transform_iteratorI7is_evenItESF_NSA_11use_defaultESK_EENS0_5tupleIJSF_SF_EEENSM_IJSG_SG_EEES6_PlJS6_EEE10hipError_tPvRmT3_T4_T5_T6_T7_T9_mT8_P12ihipStream_tbDpT10_ENKUlT_T0_E_clISt17integral_constantIbLb0EES19_EEDaS14_S15_EUlS14_E_NS1_11comp_targetILNS1_3genE4ELNS1_11target_archE910ELNS1_3gpuE8ELNS1_3repE0EEENS1_30default_config_static_selectorELNS0_4arch9wavefront6targetE1EEEvT1_, .Lfunc_end2269-_ZN7rocprim17ROCPRIM_400000_NS6detail17trampoline_kernelINS0_14default_configENS1_25partition_config_selectorILNS1_17partition_subalgoE1EtNS0_10empty_typeEbEEZZNS1_14partition_implILS5_1ELb0ES3_jN6thrust23THRUST_200600_302600_NS6detail15normal_iteratorINSA_10device_ptrItEEEEPS6_NSA_18transform_iteratorI7is_evenItESF_NSA_11use_defaultESK_EENS0_5tupleIJSF_SF_EEENSM_IJSG_SG_EEES6_PlJS6_EEE10hipError_tPvRmT3_T4_T5_T6_T7_T9_mT8_P12ihipStream_tbDpT10_ENKUlT_T0_E_clISt17integral_constantIbLb0EES19_EEDaS14_S15_EUlS14_E_NS1_11comp_targetILNS1_3genE4ELNS1_11target_archE910ELNS1_3gpuE8ELNS1_3repE0EEENS1_30default_config_static_selectorELNS0_4arch9wavefront6targetE1EEEvT1_
                                        ; -- End function
	.section	.AMDGPU.csdata,"",@progbits
; Kernel info:
; codeLenInByte = 8796
; NumSgprs: 48
; NumVgprs: 65
; NumAgprs: 0
; TotalNumVgprs: 65
; ScratchSize: 0
; MemoryBound: 0
; FloatMode: 240
; IeeeMode: 1
; LDSByteSize: 10248 bytes/workgroup (compile time only)
; SGPRBlocks: 5
; VGPRBlocks: 8
; NumSGPRsForWavesPerEU: 48
; NumVGPRsForWavesPerEU: 65
; AccumOffset: 68
; Occupancy: 6
; WaveLimiterHint : 1
; COMPUTE_PGM_RSRC2:SCRATCH_EN: 0
; COMPUTE_PGM_RSRC2:USER_SGPR: 6
; COMPUTE_PGM_RSRC2:TRAP_HANDLER: 0
; COMPUTE_PGM_RSRC2:TGID_X_EN: 1
; COMPUTE_PGM_RSRC2:TGID_Y_EN: 0
; COMPUTE_PGM_RSRC2:TGID_Z_EN: 0
; COMPUTE_PGM_RSRC2:TIDIG_COMP_CNT: 0
; COMPUTE_PGM_RSRC3_GFX90A:ACCUM_OFFSET: 16
; COMPUTE_PGM_RSRC3_GFX90A:TG_SPLIT: 0
	.section	.text._ZN7rocprim17ROCPRIM_400000_NS6detail17trampoline_kernelINS0_14default_configENS1_25partition_config_selectorILNS1_17partition_subalgoE1EtNS0_10empty_typeEbEEZZNS1_14partition_implILS5_1ELb0ES3_jN6thrust23THRUST_200600_302600_NS6detail15normal_iteratorINSA_10device_ptrItEEEEPS6_NSA_18transform_iteratorI7is_evenItESF_NSA_11use_defaultESK_EENS0_5tupleIJSF_SF_EEENSM_IJSG_SG_EEES6_PlJS6_EEE10hipError_tPvRmT3_T4_T5_T6_T7_T9_mT8_P12ihipStream_tbDpT10_ENKUlT_T0_E_clISt17integral_constantIbLb0EES19_EEDaS14_S15_EUlS14_E_NS1_11comp_targetILNS1_3genE3ELNS1_11target_archE908ELNS1_3gpuE7ELNS1_3repE0EEENS1_30default_config_static_selectorELNS0_4arch9wavefront6targetE1EEEvT1_,"axG",@progbits,_ZN7rocprim17ROCPRIM_400000_NS6detail17trampoline_kernelINS0_14default_configENS1_25partition_config_selectorILNS1_17partition_subalgoE1EtNS0_10empty_typeEbEEZZNS1_14partition_implILS5_1ELb0ES3_jN6thrust23THRUST_200600_302600_NS6detail15normal_iteratorINSA_10device_ptrItEEEEPS6_NSA_18transform_iteratorI7is_evenItESF_NSA_11use_defaultESK_EENS0_5tupleIJSF_SF_EEENSM_IJSG_SG_EEES6_PlJS6_EEE10hipError_tPvRmT3_T4_T5_T6_T7_T9_mT8_P12ihipStream_tbDpT10_ENKUlT_T0_E_clISt17integral_constantIbLb0EES19_EEDaS14_S15_EUlS14_E_NS1_11comp_targetILNS1_3genE3ELNS1_11target_archE908ELNS1_3gpuE7ELNS1_3repE0EEENS1_30default_config_static_selectorELNS0_4arch9wavefront6targetE1EEEvT1_,comdat
	.protected	_ZN7rocprim17ROCPRIM_400000_NS6detail17trampoline_kernelINS0_14default_configENS1_25partition_config_selectorILNS1_17partition_subalgoE1EtNS0_10empty_typeEbEEZZNS1_14partition_implILS5_1ELb0ES3_jN6thrust23THRUST_200600_302600_NS6detail15normal_iteratorINSA_10device_ptrItEEEEPS6_NSA_18transform_iteratorI7is_evenItESF_NSA_11use_defaultESK_EENS0_5tupleIJSF_SF_EEENSM_IJSG_SG_EEES6_PlJS6_EEE10hipError_tPvRmT3_T4_T5_T6_T7_T9_mT8_P12ihipStream_tbDpT10_ENKUlT_T0_E_clISt17integral_constantIbLb0EES19_EEDaS14_S15_EUlS14_E_NS1_11comp_targetILNS1_3genE3ELNS1_11target_archE908ELNS1_3gpuE7ELNS1_3repE0EEENS1_30default_config_static_selectorELNS0_4arch9wavefront6targetE1EEEvT1_ ; -- Begin function _ZN7rocprim17ROCPRIM_400000_NS6detail17trampoline_kernelINS0_14default_configENS1_25partition_config_selectorILNS1_17partition_subalgoE1EtNS0_10empty_typeEbEEZZNS1_14partition_implILS5_1ELb0ES3_jN6thrust23THRUST_200600_302600_NS6detail15normal_iteratorINSA_10device_ptrItEEEEPS6_NSA_18transform_iteratorI7is_evenItESF_NSA_11use_defaultESK_EENS0_5tupleIJSF_SF_EEENSM_IJSG_SG_EEES6_PlJS6_EEE10hipError_tPvRmT3_T4_T5_T6_T7_T9_mT8_P12ihipStream_tbDpT10_ENKUlT_T0_E_clISt17integral_constantIbLb0EES19_EEDaS14_S15_EUlS14_E_NS1_11comp_targetILNS1_3genE3ELNS1_11target_archE908ELNS1_3gpuE7ELNS1_3repE0EEENS1_30default_config_static_selectorELNS0_4arch9wavefront6targetE1EEEvT1_
	.globl	_ZN7rocprim17ROCPRIM_400000_NS6detail17trampoline_kernelINS0_14default_configENS1_25partition_config_selectorILNS1_17partition_subalgoE1EtNS0_10empty_typeEbEEZZNS1_14partition_implILS5_1ELb0ES3_jN6thrust23THRUST_200600_302600_NS6detail15normal_iteratorINSA_10device_ptrItEEEEPS6_NSA_18transform_iteratorI7is_evenItESF_NSA_11use_defaultESK_EENS0_5tupleIJSF_SF_EEENSM_IJSG_SG_EEES6_PlJS6_EEE10hipError_tPvRmT3_T4_T5_T6_T7_T9_mT8_P12ihipStream_tbDpT10_ENKUlT_T0_E_clISt17integral_constantIbLb0EES19_EEDaS14_S15_EUlS14_E_NS1_11comp_targetILNS1_3genE3ELNS1_11target_archE908ELNS1_3gpuE7ELNS1_3repE0EEENS1_30default_config_static_selectorELNS0_4arch9wavefront6targetE1EEEvT1_
	.p2align	8
	.type	_ZN7rocprim17ROCPRIM_400000_NS6detail17trampoline_kernelINS0_14default_configENS1_25partition_config_selectorILNS1_17partition_subalgoE1EtNS0_10empty_typeEbEEZZNS1_14partition_implILS5_1ELb0ES3_jN6thrust23THRUST_200600_302600_NS6detail15normal_iteratorINSA_10device_ptrItEEEEPS6_NSA_18transform_iteratorI7is_evenItESF_NSA_11use_defaultESK_EENS0_5tupleIJSF_SF_EEENSM_IJSG_SG_EEES6_PlJS6_EEE10hipError_tPvRmT3_T4_T5_T6_T7_T9_mT8_P12ihipStream_tbDpT10_ENKUlT_T0_E_clISt17integral_constantIbLb0EES19_EEDaS14_S15_EUlS14_E_NS1_11comp_targetILNS1_3genE3ELNS1_11target_archE908ELNS1_3gpuE7ELNS1_3repE0EEENS1_30default_config_static_selectorELNS0_4arch9wavefront6targetE1EEEvT1_,@function
_ZN7rocprim17ROCPRIM_400000_NS6detail17trampoline_kernelINS0_14default_configENS1_25partition_config_selectorILNS1_17partition_subalgoE1EtNS0_10empty_typeEbEEZZNS1_14partition_implILS5_1ELb0ES3_jN6thrust23THRUST_200600_302600_NS6detail15normal_iteratorINSA_10device_ptrItEEEEPS6_NSA_18transform_iteratorI7is_evenItESF_NSA_11use_defaultESK_EENS0_5tupleIJSF_SF_EEENSM_IJSG_SG_EEES6_PlJS6_EEE10hipError_tPvRmT3_T4_T5_T6_T7_T9_mT8_P12ihipStream_tbDpT10_ENKUlT_T0_E_clISt17integral_constantIbLb0EES19_EEDaS14_S15_EUlS14_E_NS1_11comp_targetILNS1_3genE3ELNS1_11target_archE908ELNS1_3gpuE7ELNS1_3repE0EEENS1_30default_config_static_selectorELNS0_4arch9wavefront6targetE1EEEvT1_: ; @_ZN7rocprim17ROCPRIM_400000_NS6detail17trampoline_kernelINS0_14default_configENS1_25partition_config_selectorILNS1_17partition_subalgoE1EtNS0_10empty_typeEbEEZZNS1_14partition_implILS5_1ELb0ES3_jN6thrust23THRUST_200600_302600_NS6detail15normal_iteratorINSA_10device_ptrItEEEEPS6_NSA_18transform_iteratorI7is_evenItESF_NSA_11use_defaultESK_EENS0_5tupleIJSF_SF_EEENSM_IJSG_SG_EEES6_PlJS6_EEE10hipError_tPvRmT3_T4_T5_T6_T7_T9_mT8_P12ihipStream_tbDpT10_ENKUlT_T0_E_clISt17integral_constantIbLb0EES19_EEDaS14_S15_EUlS14_E_NS1_11comp_targetILNS1_3genE3ELNS1_11target_archE908ELNS1_3gpuE7ELNS1_3repE0EEENS1_30default_config_static_selectorELNS0_4arch9wavefront6targetE1EEEvT1_
; %bb.0:
	.section	.rodata,"a",@progbits
	.p2align	6, 0x0
	.amdhsa_kernel _ZN7rocprim17ROCPRIM_400000_NS6detail17trampoline_kernelINS0_14default_configENS1_25partition_config_selectorILNS1_17partition_subalgoE1EtNS0_10empty_typeEbEEZZNS1_14partition_implILS5_1ELb0ES3_jN6thrust23THRUST_200600_302600_NS6detail15normal_iteratorINSA_10device_ptrItEEEEPS6_NSA_18transform_iteratorI7is_evenItESF_NSA_11use_defaultESK_EENS0_5tupleIJSF_SF_EEENSM_IJSG_SG_EEES6_PlJS6_EEE10hipError_tPvRmT3_T4_T5_T6_T7_T9_mT8_P12ihipStream_tbDpT10_ENKUlT_T0_E_clISt17integral_constantIbLb0EES19_EEDaS14_S15_EUlS14_E_NS1_11comp_targetILNS1_3genE3ELNS1_11target_archE908ELNS1_3gpuE7ELNS1_3repE0EEENS1_30default_config_static_selectorELNS0_4arch9wavefront6targetE1EEEvT1_
		.amdhsa_group_segment_fixed_size 0
		.amdhsa_private_segment_fixed_size 0
		.amdhsa_kernarg_size 128
		.amdhsa_user_sgpr_count 6
		.amdhsa_user_sgpr_private_segment_buffer 1
		.amdhsa_user_sgpr_dispatch_ptr 0
		.amdhsa_user_sgpr_queue_ptr 0
		.amdhsa_user_sgpr_kernarg_segment_ptr 1
		.amdhsa_user_sgpr_dispatch_id 0
		.amdhsa_user_sgpr_flat_scratch_init 0
		.amdhsa_user_sgpr_kernarg_preload_length 0
		.amdhsa_user_sgpr_kernarg_preload_offset 0
		.amdhsa_user_sgpr_private_segment_size 0
		.amdhsa_uses_dynamic_stack 0
		.amdhsa_system_sgpr_private_segment_wavefront_offset 0
		.amdhsa_system_sgpr_workgroup_id_x 1
		.amdhsa_system_sgpr_workgroup_id_y 0
		.amdhsa_system_sgpr_workgroup_id_z 0
		.amdhsa_system_sgpr_workgroup_info 0
		.amdhsa_system_vgpr_workitem_id 0
		.amdhsa_next_free_vgpr 1
		.amdhsa_next_free_sgpr 0
		.amdhsa_accum_offset 4
		.amdhsa_reserve_vcc 0
		.amdhsa_reserve_flat_scratch 0
		.amdhsa_float_round_mode_32 0
		.amdhsa_float_round_mode_16_64 0
		.amdhsa_float_denorm_mode_32 3
		.amdhsa_float_denorm_mode_16_64 3
		.amdhsa_dx10_clamp 1
		.amdhsa_ieee_mode 1
		.amdhsa_fp16_overflow 0
		.amdhsa_tg_split 0
		.amdhsa_exception_fp_ieee_invalid_op 0
		.amdhsa_exception_fp_denorm_src 0
		.amdhsa_exception_fp_ieee_div_zero 0
		.amdhsa_exception_fp_ieee_overflow 0
		.amdhsa_exception_fp_ieee_underflow 0
		.amdhsa_exception_fp_ieee_inexact 0
		.amdhsa_exception_int_div_zero 0
	.end_amdhsa_kernel
	.section	.text._ZN7rocprim17ROCPRIM_400000_NS6detail17trampoline_kernelINS0_14default_configENS1_25partition_config_selectorILNS1_17partition_subalgoE1EtNS0_10empty_typeEbEEZZNS1_14partition_implILS5_1ELb0ES3_jN6thrust23THRUST_200600_302600_NS6detail15normal_iteratorINSA_10device_ptrItEEEEPS6_NSA_18transform_iteratorI7is_evenItESF_NSA_11use_defaultESK_EENS0_5tupleIJSF_SF_EEENSM_IJSG_SG_EEES6_PlJS6_EEE10hipError_tPvRmT3_T4_T5_T6_T7_T9_mT8_P12ihipStream_tbDpT10_ENKUlT_T0_E_clISt17integral_constantIbLb0EES19_EEDaS14_S15_EUlS14_E_NS1_11comp_targetILNS1_3genE3ELNS1_11target_archE908ELNS1_3gpuE7ELNS1_3repE0EEENS1_30default_config_static_selectorELNS0_4arch9wavefront6targetE1EEEvT1_,"axG",@progbits,_ZN7rocprim17ROCPRIM_400000_NS6detail17trampoline_kernelINS0_14default_configENS1_25partition_config_selectorILNS1_17partition_subalgoE1EtNS0_10empty_typeEbEEZZNS1_14partition_implILS5_1ELb0ES3_jN6thrust23THRUST_200600_302600_NS6detail15normal_iteratorINSA_10device_ptrItEEEEPS6_NSA_18transform_iteratorI7is_evenItESF_NSA_11use_defaultESK_EENS0_5tupleIJSF_SF_EEENSM_IJSG_SG_EEES6_PlJS6_EEE10hipError_tPvRmT3_T4_T5_T6_T7_T9_mT8_P12ihipStream_tbDpT10_ENKUlT_T0_E_clISt17integral_constantIbLb0EES19_EEDaS14_S15_EUlS14_E_NS1_11comp_targetILNS1_3genE3ELNS1_11target_archE908ELNS1_3gpuE7ELNS1_3repE0EEENS1_30default_config_static_selectorELNS0_4arch9wavefront6targetE1EEEvT1_,comdat
.Lfunc_end2270:
	.size	_ZN7rocprim17ROCPRIM_400000_NS6detail17trampoline_kernelINS0_14default_configENS1_25partition_config_selectorILNS1_17partition_subalgoE1EtNS0_10empty_typeEbEEZZNS1_14partition_implILS5_1ELb0ES3_jN6thrust23THRUST_200600_302600_NS6detail15normal_iteratorINSA_10device_ptrItEEEEPS6_NSA_18transform_iteratorI7is_evenItESF_NSA_11use_defaultESK_EENS0_5tupleIJSF_SF_EEENSM_IJSG_SG_EEES6_PlJS6_EEE10hipError_tPvRmT3_T4_T5_T6_T7_T9_mT8_P12ihipStream_tbDpT10_ENKUlT_T0_E_clISt17integral_constantIbLb0EES19_EEDaS14_S15_EUlS14_E_NS1_11comp_targetILNS1_3genE3ELNS1_11target_archE908ELNS1_3gpuE7ELNS1_3repE0EEENS1_30default_config_static_selectorELNS0_4arch9wavefront6targetE1EEEvT1_, .Lfunc_end2270-_ZN7rocprim17ROCPRIM_400000_NS6detail17trampoline_kernelINS0_14default_configENS1_25partition_config_selectorILNS1_17partition_subalgoE1EtNS0_10empty_typeEbEEZZNS1_14partition_implILS5_1ELb0ES3_jN6thrust23THRUST_200600_302600_NS6detail15normal_iteratorINSA_10device_ptrItEEEEPS6_NSA_18transform_iteratorI7is_evenItESF_NSA_11use_defaultESK_EENS0_5tupleIJSF_SF_EEENSM_IJSG_SG_EEES6_PlJS6_EEE10hipError_tPvRmT3_T4_T5_T6_T7_T9_mT8_P12ihipStream_tbDpT10_ENKUlT_T0_E_clISt17integral_constantIbLb0EES19_EEDaS14_S15_EUlS14_E_NS1_11comp_targetILNS1_3genE3ELNS1_11target_archE908ELNS1_3gpuE7ELNS1_3repE0EEENS1_30default_config_static_selectorELNS0_4arch9wavefront6targetE1EEEvT1_
                                        ; -- End function
	.section	.AMDGPU.csdata,"",@progbits
; Kernel info:
; codeLenInByte = 0
; NumSgprs: 4
; NumVgprs: 0
; NumAgprs: 0
; TotalNumVgprs: 0
; ScratchSize: 0
; MemoryBound: 0
; FloatMode: 240
; IeeeMode: 1
; LDSByteSize: 0 bytes/workgroup (compile time only)
; SGPRBlocks: 0
; VGPRBlocks: 0
; NumSGPRsForWavesPerEU: 4
; NumVGPRsForWavesPerEU: 1
; AccumOffset: 4
; Occupancy: 8
; WaveLimiterHint : 0
; COMPUTE_PGM_RSRC2:SCRATCH_EN: 0
; COMPUTE_PGM_RSRC2:USER_SGPR: 6
; COMPUTE_PGM_RSRC2:TRAP_HANDLER: 0
; COMPUTE_PGM_RSRC2:TGID_X_EN: 1
; COMPUTE_PGM_RSRC2:TGID_Y_EN: 0
; COMPUTE_PGM_RSRC2:TGID_Z_EN: 0
; COMPUTE_PGM_RSRC2:TIDIG_COMP_CNT: 0
; COMPUTE_PGM_RSRC3_GFX90A:ACCUM_OFFSET: 0
; COMPUTE_PGM_RSRC3_GFX90A:TG_SPLIT: 0
	.section	.text._ZN7rocprim17ROCPRIM_400000_NS6detail17trampoline_kernelINS0_14default_configENS1_25partition_config_selectorILNS1_17partition_subalgoE1EtNS0_10empty_typeEbEEZZNS1_14partition_implILS5_1ELb0ES3_jN6thrust23THRUST_200600_302600_NS6detail15normal_iteratorINSA_10device_ptrItEEEEPS6_NSA_18transform_iteratorI7is_evenItESF_NSA_11use_defaultESK_EENS0_5tupleIJSF_SF_EEENSM_IJSG_SG_EEES6_PlJS6_EEE10hipError_tPvRmT3_T4_T5_T6_T7_T9_mT8_P12ihipStream_tbDpT10_ENKUlT_T0_E_clISt17integral_constantIbLb0EES19_EEDaS14_S15_EUlS14_E_NS1_11comp_targetILNS1_3genE2ELNS1_11target_archE906ELNS1_3gpuE6ELNS1_3repE0EEENS1_30default_config_static_selectorELNS0_4arch9wavefront6targetE1EEEvT1_,"axG",@progbits,_ZN7rocprim17ROCPRIM_400000_NS6detail17trampoline_kernelINS0_14default_configENS1_25partition_config_selectorILNS1_17partition_subalgoE1EtNS0_10empty_typeEbEEZZNS1_14partition_implILS5_1ELb0ES3_jN6thrust23THRUST_200600_302600_NS6detail15normal_iteratorINSA_10device_ptrItEEEEPS6_NSA_18transform_iteratorI7is_evenItESF_NSA_11use_defaultESK_EENS0_5tupleIJSF_SF_EEENSM_IJSG_SG_EEES6_PlJS6_EEE10hipError_tPvRmT3_T4_T5_T6_T7_T9_mT8_P12ihipStream_tbDpT10_ENKUlT_T0_E_clISt17integral_constantIbLb0EES19_EEDaS14_S15_EUlS14_E_NS1_11comp_targetILNS1_3genE2ELNS1_11target_archE906ELNS1_3gpuE6ELNS1_3repE0EEENS1_30default_config_static_selectorELNS0_4arch9wavefront6targetE1EEEvT1_,comdat
	.protected	_ZN7rocprim17ROCPRIM_400000_NS6detail17trampoline_kernelINS0_14default_configENS1_25partition_config_selectorILNS1_17partition_subalgoE1EtNS0_10empty_typeEbEEZZNS1_14partition_implILS5_1ELb0ES3_jN6thrust23THRUST_200600_302600_NS6detail15normal_iteratorINSA_10device_ptrItEEEEPS6_NSA_18transform_iteratorI7is_evenItESF_NSA_11use_defaultESK_EENS0_5tupleIJSF_SF_EEENSM_IJSG_SG_EEES6_PlJS6_EEE10hipError_tPvRmT3_T4_T5_T6_T7_T9_mT8_P12ihipStream_tbDpT10_ENKUlT_T0_E_clISt17integral_constantIbLb0EES19_EEDaS14_S15_EUlS14_E_NS1_11comp_targetILNS1_3genE2ELNS1_11target_archE906ELNS1_3gpuE6ELNS1_3repE0EEENS1_30default_config_static_selectorELNS0_4arch9wavefront6targetE1EEEvT1_ ; -- Begin function _ZN7rocprim17ROCPRIM_400000_NS6detail17trampoline_kernelINS0_14default_configENS1_25partition_config_selectorILNS1_17partition_subalgoE1EtNS0_10empty_typeEbEEZZNS1_14partition_implILS5_1ELb0ES3_jN6thrust23THRUST_200600_302600_NS6detail15normal_iteratorINSA_10device_ptrItEEEEPS6_NSA_18transform_iteratorI7is_evenItESF_NSA_11use_defaultESK_EENS0_5tupleIJSF_SF_EEENSM_IJSG_SG_EEES6_PlJS6_EEE10hipError_tPvRmT3_T4_T5_T6_T7_T9_mT8_P12ihipStream_tbDpT10_ENKUlT_T0_E_clISt17integral_constantIbLb0EES19_EEDaS14_S15_EUlS14_E_NS1_11comp_targetILNS1_3genE2ELNS1_11target_archE906ELNS1_3gpuE6ELNS1_3repE0EEENS1_30default_config_static_selectorELNS0_4arch9wavefront6targetE1EEEvT1_
	.globl	_ZN7rocprim17ROCPRIM_400000_NS6detail17trampoline_kernelINS0_14default_configENS1_25partition_config_selectorILNS1_17partition_subalgoE1EtNS0_10empty_typeEbEEZZNS1_14partition_implILS5_1ELb0ES3_jN6thrust23THRUST_200600_302600_NS6detail15normal_iteratorINSA_10device_ptrItEEEEPS6_NSA_18transform_iteratorI7is_evenItESF_NSA_11use_defaultESK_EENS0_5tupleIJSF_SF_EEENSM_IJSG_SG_EEES6_PlJS6_EEE10hipError_tPvRmT3_T4_T5_T6_T7_T9_mT8_P12ihipStream_tbDpT10_ENKUlT_T0_E_clISt17integral_constantIbLb0EES19_EEDaS14_S15_EUlS14_E_NS1_11comp_targetILNS1_3genE2ELNS1_11target_archE906ELNS1_3gpuE6ELNS1_3repE0EEENS1_30default_config_static_selectorELNS0_4arch9wavefront6targetE1EEEvT1_
	.p2align	8
	.type	_ZN7rocprim17ROCPRIM_400000_NS6detail17trampoline_kernelINS0_14default_configENS1_25partition_config_selectorILNS1_17partition_subalgoE1EtNS0_10empty_typeEbEEZZNS1_14partition_implILS5_1ELb0ES3_jN6thrust23THRUST_200600_302600_NS6detail15normal_iteratorINSA_10device_ptrItEEEEPS6_NSA_18transform_iteratorI7is_evenItESF_NSA_11use_defaultESK_EENS0_5tupleIJSF_SF_EEENSM_IJSG_SG_EEES6_PlJS6_EEE10hipError_tPvRmT3_T4_T5_T6_T7_T9_mT8_P12ihipStream_tbDpT10_ENKUlT_T0_E_clISt17integral_constantIbLb0EES19_EEDaS14_S15_EUlS14_E_NS1_11comp_targetILNS1_3genE2ELNS1_11target_archE906ELNS1_3gpuE6ELNS1_3repE0EEENS1_30default_config_static_selectorELNS0_4arch9wavefront6targetE1EEEvT1_,@function
_ZN7rocprim17ROCPRIM_400000_NS6detail17trampoline_kernelINS0_14default_configENS1_25partition_config_selectorILNS1_17partition_subalgoE1EtNS0_10empty_typeEbEEZZNS1_14partition_implILS5_1ELb0ES3_jN6thrust23THRUST_200600_302600_NS6detail15normal_iteratorINSA_10device_ptrItEEEEPS6_NSA_18transform_iteratorI7is_evenItESF_NSA_11use_defaultESK_EENS0_5tupleIJSF_SF_EEENSM_IJSG_SG_EEES6_PlJS6_EEE10hipError_tPvRmT3_T4_T5_T6_T7_T9_mT8_P12ihipStream_tbDpT10_ENKUlT_T0_E_clISt17integral_constantIbLb0EES19_EEDaS14_S15_EUlS14_E_NS1_11comp_targetILNS1_3genE2ELNS1_11target_archE906ELNS1_3gpuE6ELNS1_3repE0EEENS1_30default_config_static_selectorELNS0_4arch9wavefront6targetE1EEEvT1_: ; @_ZN7rocprim17ROCPRIM_400000_NS6detail17trampoline_kernelINS0_14default_configENS1_25partition_config_selectorILNS1_17partition_subalgoE1EtNS0_10empty_typeEbEEZZNS1_14partition_implILS5_1ELb0ES3_jN6thrust23THRUST_200600_302600_NS6detail15normal_iteratorINSA_10device_ptrItEEEEPS6_NSA_18transform_iteratorI7is_evenItESF_NSA_11use_defaultESK_EENS0_5tupleIJSF_SF_EEENSM_IJSG_SG_EEES6_PlJS6_EEE10hipError_tPvRmT3_T4_T5_T6_T7_T9_mT8_P12ihipStream_tbDpT10_ENKUlT_T0_E_clISt17integral_constantIbLb0EES19_EEDaS14_S15_EUlS14_E_NS1_11comp_targetILNS1_3genE2ELNS1_11target_archE906ELNS1_3gpuE6ELNS1_3repE0EEENS1_30default_config_static_selectorELNS0_4arch9wavefront6targetE1EEEvT1_
; %bb.0:
	.section	.rodata,"a",@progbits
	.p2align	6, 0x0
	.amdhsa_kernel _ZN7rocprim17ROCPRIM_400000_NS6detail17trampoline_kernelINS0_14default_configENS1_25partition_config_selectorILNS1_17partition_subalgoE1EtNS0_10empty_typeEbEEZZNS1_14partition_implILS5_1ELb0ES3_jN6thrust23THRUST_200600_302600_NS6detail15normal_iteratorINSA_10device_ptrItEEEEPS6_NSA_18transform_iteratorI7is_evenItESF_NSA_11use_defaultESK_EENS0_5tupleIJSF_SF_EEENSM_IJSG_SG_EEES6_PlJS6_EEE10hipError_tPvRmT3_T4_T5_T6_T7_T9_mT8_P12ihipStream_tbDpT10_ENKUlT_T0_E_clISt17integral_constantIbLb0EES19_EEDaS14_S15_EUlS14_E_NS1_11comp_targetILNS1_3genE2ELNS1_11target_archE906ELNS1_3gpuE6ELNS1_3repE0EEENS1_30default_config_static_selectorELNS0_4arch9wavefront6targetE1EEEvT1_
		.amdhsa_group_segment_fixed_size 0
		.amdhsa_private_segment_fixed_size 0
		.amdhsa_kernarg_size 128
		.amdhsa_user_sgpr_count 6
		.amdhsa_user_sgpr_private_segment_buffer 1
		.amdhsa_user_sgpr_dispatch_ptr 0
		.amdhsa_user_sgpr_queue_ptr 0
		.amdhsa_user_sgpr_kernarg_segment_ptr 1
		.amdhsa_user_sgpr_dispatch_id 0
		.amdhsa_user_sgpr_flat_scratch_init 0
		.amdhsa_user_sgpr_kernarg_preload_length 0
		.amdhsa_user_sgpr_kernarg_preload_offset 0
		.amdhsa_user_sgpr_private_segment_size 0
		.amdhsa_uses_dynamic_stack 0
		.amdhsa_system_sgpr_private_segment_wavefront_offset 0
		.amdhsa_system_sgpr_workgroup_id_x 1
		.amdhsa_system_sgpr_workgroup_id_y 0
		.amdhsa_system_sgpr_workgroup_id_z 0
		.amdhsa_system_sgpr_workgroup_info 0
		.amdhsa_system_vgpr_workitem_id 0
		.amdhsa_next_free_vgpr 1
		.amdhsa_next_free_sgpr 0
		.amdhsa_accum_offset 4
		.amdhsa_reserve_vcc 0
		.amdhsa_reserve_flat_scratch 0
		.amdhsa_float_round_mode_32 0
		.amdhsa_float_round_mode_16_64 0
		.amdhsa_float_denorm_mode_32 3
		.amdhsa_float_denorm_mode_16_64 3
		.amdhsa_dx10_clamp 1
		.amdhsa_ieee_mode 1
		.amdhsa_fp16_overflow 0
		.amdhsa_tg_split 0
		.amdhsa_exception_fp_ieee_invalid_op 0
		.amdhsa_exception_fp_denorm_src 0
		.amdhsa_exception_fp_ieee_div_zero 0
		.amdhsa_exception_fp_ieee_overflow 0
		.amdhsa_exception_fp_ieee_underflow 0
		.amdhsa_exception_fp_ieee_inexact 0
		.amdhsa_exception_int_div_zero 0
	.end_amdhsa_kernel
	.section	.text._ZN7rocprim17ROCPRIM_400000_NS6detail17trampoline_kernelINS0_14default_configENS1_25partition_config_selectorILNS1_17partition_subalgoE1EtNS0_10empty_typeEbEEZZNS1_14partition_implILS5_1ELb0ES3_jN6thrust23THRUST_200600_302600_NS6detail15normal_iteratorINSA_10device_ptrItEEEEPS6_NSA_18transform_iteratorI7is_evenItESF_NSA_11use_defaultESK_EENS0_5tupleIJSF_SF_EEENSM_IJSG_SG_EEES6_PlJS6_EEE10hipError_tPvRmT3_T4_T5_T6_T7_T9_mT8_P12ihipStream_tbDpT10_ENKUlT_T0_E_clISt17integral_constantIbLb0EES19_EEDaS14_S15_EUlS14_E_NS1_11comp_targetILNS1_3genE2ELNS1_11target_archE906ELNS1_3gpuE6ELNS1_3repE0EEENS1_30default_config_static_selectorELNS0_4arch9wavefront6targetE1EEEvT1_,"axG",@progbits,_ZN7rocprim17ROCPRIM_400000_NS6detail17trampoline_kernelINS0_14default_configENS1_25partition_config_selectorILNS1_17partition_subalgoE1EtNS0_10empty_typeEbEEZZNS1_14partition_implILS5_1ELb0ES3_jN6thrust23THRUST_200600_302600_NS6detail15normal_iteratorINSA_10device_ptrItEEEEPS6_NSA_18transform_iteratorI7is_evenItESF_NSA_11use_defaultESK_EENS0_5tupleIJSF_SF_EEENSM_IJSG_SG_EEES6_PlJS6_EEE10hipError_tPvRmT3_T4_T5_T6_T7_T9_mT8_P12ihipStream_tbDpT10_ENKUlT_T0_E_clISt17integral_constantIbLb0EES19_EEDaS14_S15_EUlS14_E_NS1_11comp_targetILNS1_3genE2ELNS1_11target_archE906ELNS1_3gpuE6ELNS1_3repE0EEENS1_30default_config_static_selectorELNS0_4arch9wavefront6targetE1EEEvT1_,comdat
.Lfunc_end2271:
	.size	_ZN7rocprim17ROCPRIM_400000_NS6detail17trampoline_kernelINS0_14default_configENS1_25partition_config_selectorILNS1_17partition_subalgoE1EtNS0_10empty_typeEbEEZZNS1_14partition_implILS5_1ELb0ES3_jN6thrust23THRUST_200600_302600_NS6detail15normal_iteratorINSA_10device_ptrItEEEEPS6_NSA_18transform_iteratorI7is_evenItESF_NSA_11use_defaultESK_EENS0_5tupleIJSF_SF_EEENSM_IJSG_SG_EEES6_PlJS6_EEE10hipError_tPvRmT3_T4_T5_T6_T7_T9_mT8_P12ihipStream_tbDpT10_ENKUlT_T0_E_clISt17integral_constantIbLb0EES19_EEDaS14_S15_EUlS14_E_NS1_11comp_targetILNS1_3genE2ELNS1_11target_archE906ELNS1_3gpuE6ELNS1_3repE0EEENS1_30default_config_static_selectorELNS0_4arch9wavefront6targetE1EEEvT1_, .Lfunc_end2271-_ZN7rocprim17ROCPRIM_400000_NS6detail17trampoline_kernelINS0_14default_configENS1_25partition_config_selectorILNS1_17partition_subalgoE1EtNS0_10empty_typeEbEEZZNS1_14partition_implILS5_1ELb0ES3_jN6thrust23THRUST_200600_302600_NS6detail15normal_iteratorINSA_10device_ptrItEEEEPS6_NSA_18transform_iteratorI7is_evenItESF_NSA_11use_defaultESK_EENS0_5tupleIJSF_SF_EEENSM_IJSG_SG_EEES6_PlJS6_EEE10hipError_tPvRmT3_T4_T5_T6_T7_T9_mT8_P12ihipStream_tbDpT10_ENKUlT_T0_E_clISt17integral_constantIbLb0EES19_EEDaS14_S15_EUlS14_E_NS1_11comp_targetILNS1_3genE2ELNS1_11target_archE906ELNS1_3gpuE6ELNS1_3repE0EEENS1_30default_config_static_selectorELNS0_4arch9wavefront6targetE1EEEvT1_
                                        ; -- End function
	.section	.AMDGPU.csdata,"",@progbits
; Kernel info:
; codeLenInByte = 0
; NumSgprs: 4
; NumVgprs: 0
; NumAgprs: 0
; TotalNumVgprs: 0
; ScratchSize: 0
; MemoryBound: 0
; FloatMode: 240
; IeeeMode: 1
; LDSByteSize: 0 bytes/workgroup (compile time only)
; SGPRBlocks: 0
; VGPRBlocks: 0
; NumSGPRsForWavesPerEU: 4
; NumVGPRsForWavesPerEU: 1
; AccumOffset: 4
; Occupancy: 8
; WaveLimiterHint : 0
; COMPUTE_PGM_RSRC2:SCRATCH_EN: 0
; COMPUTE_PGM_RSRC2:USER_SGPR: 6
; COMPUTE_PGM_RSRC2:TRAP_HANDLER: 0
; COMPUTE_PGM_RSRC2:TGID_X_EN: 1
; COMPUTE_PGM_RSRC2:TGID_Y_EN: 0
; COMPUTE_PGM_RSRC2:TGID_Z_EN: 0
; COMPUTE_PGM_RSRC2:TIDIG_COMP_CNT: 0
; COMPUTE_PGM_RSRC3_GFX90A:ACCUM_OFFSET: 0
; COMPUTE_PGM_RSRC3_GFX90A:TG_SPLIT: 0
	.section	.text._ZN7rocprim17ROCPRIM_400000_NS6detail17trampoline_kernelINS0_14default_configENS1_25partition_config_selectorILNS1_17partition_subalgoE1EtNS0_10empty_typeEbEEZZNS1_14partition_implILS5_1ELb0ES3_jN6thrust23THRUST_200600_302600_NS6detail15normal_iteratorINSA_10device_ptrItEEEEPS6_NSA_18transform_iteratorI7is_evenItESF_NSA_11use_defaultESK_EENS0_5tupleIJSF_SF_EEENSM_IJSG_SG_EEES6_PlJS6_EEE10hipError_tPvRmT3_T4_T5_T6_T7_T9_mT8_P12ihipStream_tbDpT10_ENKUlT_T0_E_clISt17integral_constantIbLb0EES19_EEDaS14_S15_EUlS14_E_NS1_11comp_targetILNS1_3genE10ELNS1_11target_archE1200ELNS1_3gpuE4ELNS1_3repE0EEENS1_30default_config_static_selectorELNS0_4arch9wavefront6targetE1EEEvT1_,"axG",@progbits,_ZN7rocprim17ROCPRIM_400000_NS6detail17trampoline_kernelINS0_14default_configENS1_25partition_config_selectorILNS1_17partition_subalgoE1EtNS0_10empty_typeEbEEZZNS1_14partition_implILS5_1ELb0ES3_jN6thrust23THRUST_200600_302600_NS6detail15normal_iteratorINSA_10device_ptrItEEEEPS6_NSA_18transform_iteratorI7is_evenItESF_NSA_11use_defaultESK_EENS0_5tupleIJSF_SF_EEENSM_IJSG_SG_EEES6_PlJS6_EEE10hipError_tPvRmT3_T4_T5_T6_T7_T9_mT8_P12ihipStream_tbDpT10_ENKUlT_T0_E_clISt17integral_constantIbLb0EES19_EEDaS14_S15_EUlS14_E_NS1_11comp_targetILNS1_3genE10ELNS1_11target_archE1200ELNS1_3gpuE4ELNS1_3repE0EEENS1_30default_config_static_selectorELNS0_4arch9wavefront6targetE1EEEvT1_,comdat
	.protected	_ZN7rocprim17ROCPRIM_400000_NS6detail17trampoline_kernelINS0_14default_configENS1_25partition_config_selectorILNS1_17partition_subalgoE1EtNS0_10empty_typeEbEEZZNS1_14partition_implILS5_1ELb0ES3_jN6thrust23THRUST_200600_302600_NS6detail15normal_iteratorINSA_10device_ptrItEEEEPS6_NSA_18transform_iteratorI7is_evenItESF_NSA_11use_defaultESK_EENS0_5tupleIJSF_SF_EEENSM_IJSG_SG_EEES6_PlJS6_EEE10hipError_tPvRmT3_T4_T5_T6_T7_T9_mT8_P12ihipStream_tbDpT10_ENKUlT_T0_E_clISt17integral_constantIbLb0EES19_EEDaS14_S15_EUlS14_E_NS1_11comp_targetILNS1_3genE10ELNS1_11target_archE1200ELNS1_3gpuE4ELNS1_3repE0EEENS1_30default_config_static_selectorELNS0_4arch9wavefront6targetE1EEEvT1_ ; -- Begin function _ZN7rocprim17ROCPRIM_400000_NS6detail17trampoline_kernelINS0_14default_configENS1_25partition_config_selectorILNS1_17partition_subalgoE1EtNS0_10empty_typeEbEEZZNS1_14partition_implILS5_1ELb0ES3_jN6thrust23THRUST_200600_302600_NS6detail15normal_iteratorINSA_10device_ptrItEEEEPS6_NSA_18transform_iteratorI7is_evenItESF_NSA_11use_defaultESK_EENS0_5tupleIJSF_SF_EEENSM_IJSG_SG_EEES6_PlJS6_EEE10hipError_tPvRmT3_T4_T5_T6_T7_T9_mT8_P12ihipStream_tbDpT10_ENKUlT_T0_E_clISt17integral_constantIbLb0EES19_EEDaS14_S15_EUlS14_E_NS1_11comp_targetILNS1_3genE10ELNS1_11target_archE1200ELNS1_3gpuE4ELNS1_3repE0EEENS1_30default_config_static_selectorELNS0_4arch9wavefront6targetE1EEEvT1_
	.globl	_ZN7rocprim17ROCPRIM_400000_NS6detail17trampoline_kernelINS0_14default_configENS1_25partition_config_selectorILNS1_17partition_subalgoE1EtNS0_10empty_typeEbEEZZNS1_14partition_implILS5_1ELb0ES3_jN6thrust23THRUST_200600_302600_NS6detail15normal_iteratorINSA_10device_ptrItEEEEPS6_NSA_18transform_iteratorI7is_evenItESF_NSA_11use_defaultESK_EENS0_5tupleIJSF_SF_EEENSM_IJSG_SG_EEES6_PlJS6_EEE10hipError_tPvRmT3_T4_T5_T6_T7_T9_mT8_P12ihipStream_tbDpT10_ENKUlT_T0_E_clISt17integral_constantIbLb0EES19_EEDaS14_S15_EUlS14_E_NS1_11comp_targetILNS1_3genE10ELNS1_11target_archE1200ELNS1_3gpuE4ELNS1_3repE0EEENS1_30default_config_static_selectorELNS0_4arch9wavefront6targetE1EEEvT1_
	.p2align	8
	.type	_ZN7rocprim17ROCPRIM_400000_NS6detail17trampoline_kernelINS0_14default_configENS1_25partition_config_selectorILNS1_17partition_subalgoE1EtNS0_10empty_typeEbEEZZNS1_14partition_implILS5_1ELb0ES3_jN6thrust23THRUST_200600_302600_NS6detail15normal_iteratorINSA_10device_ptrItEEEEPS6_NSA_18transform_iteratorI7is_evenItESF_NSA_11use_defaultESK_EENS0_5tupleIJSF_SF_EEENSM_IJSG_SG_EEES6_PlJS6_EEE10hipError_tPvRmT3_T4_T5_T6_T7_T9_mT8_P12ihipStream_tbDpT10_ENKUlT_T0_E_clISt17integral_constantIbLb0EES19_EEDaS14_S15_EUlS14_E_NS1_11comp_targetILNS1_3genE10ELNS1_11target_archE1200ELNS1_3gpuE4ELNS1_3repE0EEENS1_30default_config_static_selectorELNS0_4arch9wavefront6targetE1EEEvT1_,@function
_ZN7rocprim17ROCPRIM_400000_NS6detail17trampoline_kernelINS0_14default_configENS1_25partition_config_selectorILNS1_17partition_subalgoE1EtNS0_10empty_typeEbEEZZNS1_14partition_implILS5_1ELb0ES3_jN6thrust23THRUST_200600_302600_NS6detail15normal_iteratorINSA_10device_ptrItEEEEPS6_NSA_18transform_iteratorI7is_evenItESF_NSA_11use_defaultESK_EENS0_5tupleIJSF_SF_EEENSM_IJSG_SG_EEES6_PlJS6_EEE10hipError_tPvRmT3_T4_T5_T6_T7_T9_mT8_P12ihipStream_tbDpT10_ENKUlT_T0_E_clISt17integral_constantIbLb0EES19_EEDaS14_S15_EUlS14_E_NS1_11comp_targetILNS1_3genE10ELNS1_11target_archE1200ELNS1_3gpuE4ELNS1_3repE0EEENS1_30default_config_static_selectorELNS0_4arch9wavefront6targetE1EEEvT1_: ; @_ZN7rocprim17ROCPRIM_400000_NS6detail17trampoline_kernelINS0_14default_configENS1_25partition_config_selectorILNS1_17partition_subalgoE1EtNS0_10empty_typeEbEEZZNS1_14partition_implILS5_1ELb0ES3_jN6thrust23THRUST_200600_302600_NS6detail15normal_iteratorINSA_10device_ptrItEEEEPS6_NSA_18transform_iteratorI7is_evenItESF_NSA_11use_defaultESK_EENS0_5tupleIJSF_SF_EEENSM_IJSG_SG_EEES6_PlJS6_EEE10hipError_tPvRmT3_T4_T5_T6_T7_T9_mT8_P12ihipStream_tbDpT10_ENKUlT_T0_E_clISt17integral_constantIbLb0EES19_EEDaS14_S15_EUlS14_E_NS1_11comp_targetILNS1_3genE10ELNS1_11target_archE1200ELNS1_3gpuE4ELNS1_3repE0EEENS1_30default_config_static_selectorELNS0_4arch9wavefront6targetE1EEEvT1_
; %bb.0:
	.section	.rodata,"a",@progbits
	.p2align	6, 0x0
	.amdhsa_kernel _ZN7rocprim17ROCPRIM_400000_NS6detail17trampoline_kernelINS0_14default_configENS1_25partition_config_selectorILNS1_17partition_subalgoE1EtNS0_10empty_typeEbEEZZNS1_14partition_implILS5_1ELb0ES3_jN6thrust23THRUST_200600_302600_NS6detail15normal_iteratorINSA_10device_ptrItEEEEPS6_NSA_18transform_iteratorI7is_evenItESF_NSA_11use_defaultESK_EENS0_5tupleIJSF_SF_EEENSM_IJSG_SG_EEES6_PlJS6_EEE10hipError_tPvRmT3_T4_T5_T6_T7_T9_mT8_P12ihipStream_tbDpT10_ENKUlT_T0_E_clISt17integral_constantIbLb0EES19_EEDaS14_S15_EUlS14_E_NS1_11comp_targetILNS1_3genE10ELNS1_11target_archE1200ELNS1_3gpuE4ELNS1_3repE0EEENS1_30default_config_static_selectorELNS0_4arch9wavefront6targetE1EEEvT1_
		.amdhsa_group_segment_fixed_size 0
		.amdhsa_private_segment_fixed_size 0
		.amdhsa_kernarg_size 128
		.amdhsa_user_sgpr_count 6
		.amdhsa_user_sgpr_private_segment_buffer 1
		.amdhsa_user_sgpr_dispatch_ptr 0
		.amdhsa_user_sgpr_queue_ptr 0
		.amdhsa_user_sgpr_kernarg_segment_ptr 1
		.amdhsa_user_sgpr_dispatch_id 0
		.amdhsa_user_sgpr_flat_scratch_init 0
		.amdhsa_user_sgpr_kernarg_preload_length 0
		.amdhsa_user_sgpr_kernarg_preload_offset 0
		.amdhsa_user_sgpr_private_segment_size 0
		.amdhsa_uses_dynamic_stack 0
		.amdhsa_system_sgpr_private_segment_wavefront_offset 0
		.amdhsa_system_sgpr_workgroup_id_x 1
		.amdhsa_system_sgpr_workgroup_id_y 0
		.amdhsa_system_sgpr_workgroup_id_z 0
		.amdhsa_system_sgpr_workgroup_info 0
		.amdhsa_system_vgpr_workitem_id 0
		.amdhsa_next_free_vgpr 1
		.amdhsa_next_free_sgpr 0
		.amdhsa_accum_offset 4
		.amdhsa_reserve_vcc 0
		.amdhsa_reserve_flat_scratch 0
		.amdhsa_float_round_mode_32 0
		.amdhsa_float_round_mode_16_64 0
		.amdhsa_float_denorm_mode_32 3
		.amdhsa_float_denorm_mode_16_64 3
		.amdhsa_dx10_clamp 1
		.amdhsa_ieee_mode 1
		.amdhsa_fp16_overflow 0
		.amdhsa_tg_split 0
		.amdhsa_exception_fp_ieee_invalid_op 0
		.amdhsa_exception_fp_denorm_src 0
		.amdhsa_exception_fp_ieee_div_zero 0
		.amdhsa_exception_fp_ieee_overflow 0
		.amdhsa_exception_fp_ieee_underflow 0
		.amdhsa_exception_fp_ieee_inexact 0
		.amdhsa_exception_int_div_zero 0
	.end_amdhsa_kernel
	.section	.text._ZN7rocprim17ROCPRIM_400000_NS6detail17trampoline_kernelINS0_14default_configENS1_25partition_config_selectorILNS1_17partition_subalgoE1EtNS0_10empty_typeEbEEZZNS1_14partition_implILS5_1ELb0ES3_jN6thrust23THRUST_200600_302600_NS6detail15normal_iteratorINSA_10device_ptrItEEEEPS6_NSA_18transform_iteratorI7is_evenItESF_NSA_11use_defaultESK_EENS0_5tupleIJSF_SF_EEENSM_IJSG_SG_EEES6_PlJS6_EEE10hipError_tPvRmT3_T4_T5_T6_T7_T9_mT8_P12ihipStream_tbDpT10_ENKUlT_T0_E_clISt17integral_constantIbLb0EES19_EEDaS14_S15_EUlS14_E_NS1_11comp_targetILNS1_3genE10ELNS1_11target_archE1200ELNS1_3gpuE4ELNS1_3repE0EEENS1_30default_config_static_selectorELNS0_4arch9wavefront6targetE1EEEvT1_,"axG",@progbits,_ZN7rocprim17ROCPRIM_400000_NS6detail17trampoline_kernelINS0_14default_configENS1_25partition_config_selectorILNS1_17partition_subalgoE1EtNS0_10empty_typeEbEEZZNS1_14partition_implILS5_1ELb0ES3_jN6thrust23THRUST_200600_302600_NS6detail15normal_iteratorINSA_10device_ptrItEEEEPS6_NSA_18transform_iteratorI7is_evenItESF_NSA_11use_defaultESK_EENS0_5tupleIJSF_SF_EEENSM_IJSG_SG_EEES6_PlJS6_EEE10hipError_tPvRmT3_T4_T5_T6_T7_T9_mT8_P12ihipStream_tbDpT10_ENKUlT_T0_E_clISt17integral_constantIbLb0EES19_EEDaS14_S15_EUlS14_E_NS1_11comp_targetILNS1_3genE10ELNS1_11target_archE1200ELNS1_3gpuE4ELNS1_3repE0EEENS1_30default_config_static_selectorELNS0_4arch9wavefront6targetE1EEEvT1_,comdat
.Lfunc_end2272:
	.size	_ZN7rocprim17ROCPRIM_400000_NS6detail17trampoline_kernelINS0_14default_configENS1_25partition_config_selectorILNS1_17partition_subalgoE1EtNS0_10empty_typeEbEEZZNS1_14partition_implILS5_1ELb0ES3_jN6thrust23THRUST_200600_302600_NS6detail15normal_iteratorINSA_10device_ptrItEEEEPS6_NSA_18transform_iteratorI7is_evenItESF_NSA_11use_defaultESK_EENS0_5tupleIJSF_SF_EEENSM_IJSG_SG_EEES6_PlJS6_EEE10hipError_tPvRmT3_T4_T5_T6_T7_T9_mT8_P12ihipStream_tbDpT10_ENKUlT_T0_E_clISt17integral_constantIbLb0EES19_EEDaS14_S15_EUlS14_E_NS1_11comp_targetILNS1_3genE10ELNS1_11target_archE1200ELNS1_3gpuE4ELNS1_3repE0EEENS1_30default_config_static_selectorELNS0_4arch9wavefront6targetE1EEEvT1_, .Lfunc_end2272-_ZN7rocprim17ROCPRIM_400000_NS6detail17trampoline_kernelINS0_14default_configENS1_25partition_config_selectorILNS1_17partition_subalgoE1EtNS0_10empty_typeEbEEZZNS1_14partition_implILS5_1ELb0ES3_jN6thrust23THRUST_200600_302600_NS6detail15normal_iteratorINSA_10device_ptrItEEEEPS6_NSA_18transform_iteratorI7is_evenItESF_NSA_11use_defaultESK_EENS0_5tupleIJSF_SF_EEENSM_IJSG_SG_EEES6_PlJS6_EEE10hipError_tPvRmT3_T4_T5_T6_T7_T9_mT8_P12ihipStream_tbDpT10_ENKUlT_T0_E_clISt17integral_constantIbLb0EES19_EEDaS14_S15_EUlS14_E_NS1_11comp_targetILNS1_3genE10ELNS1_11target_archE1200ELNS1_3gpuE4ELNS1_3repE0EEENS1_30default_config_static_selectorELNS0_4arch9wavefront6targetE1EEEvT1_
                                        ; -- End function
	.section	.AMDGPU.csdata,"",@progbits
; Kernel info:
; codeLenInByte = 0
; NumSgprs: 4
; NumVgprs: 0
; NumAgprs: 0
; TotalNumVgprs: 0
; ScratchSize: 0
; MemoryBound: 0
; FloatMode: 240
; IeeeMode: 1
; LDSByteSize: 0 bytes/workgroup (compile time only)
; SGPRBlocks: 0
; VGPRBlocks: 0
; NumSGPRsForWavesPerEU: 4
; NumVGPRsForWavesPerEU: 1
; AccumOffset: 4
; Occupancy: 8
; WaveLimiterHint : 0
; COMPUTE_PGM_RSRC2:SCRATCH_EN: 0
; COMPUTE_PGM_RSRC2:USER_SGPR: 6
; COMPUTE_PGM_RSRC2:TRAP_HANDLER: 0
; COMPUTE_PGM_RSRC2:TGID_X_EN: 1
; COMPUTE_PGM_RSRC2:TGID_Y_EN: 0
; COMPUTE_PGM_RSRC2:TGID_Z_EN: 0
; COMPUTE_PGM_RSRC2:TIDIG_COMP_CNT: 0
; COMPUTE_PGM_RSRC3_GFX90A:ACCUM_OFFSET: 0
; COMPUTE_PGM_RSRC3_GFX90A:TG_SPLIT: 0
	.section	.text._ZN7rocprim17ROCPRIM_400000_NS6detail17trampoline_kernelINS0_14default_configENS1_25partition_config_selectorILNS1_17partition_subalgoE1EtNS0_10empty_typeEbEEZZNS1_14partition_implILS5_1ELb0ES3_jN6thrust23THRUST_200600_302600_NS6detail15normal_iteratorINSA_10device_ptrItEEEEPS6_NSA_18transform_iteratorI7is_evenItESF_NSA_11use_defaultESK_EENS0_5tupleIJSF_SF_EEENSM_IJSG_SG_EEES6_PlJS6_EEE10hipError_tPvRmT3_T4_T5_T6_T7_T9_mT8_P12ihipStream_tbDpT10_ENKUlT_T0_E_clISt17integral_constantIbLb0EES19_EEDaS14_S15_EUlS14_E_NS1_11comp_targetILNS1_3genE9ELNS1_11target_archE1100ELNS1_3gpuE3ELNS1_3repE0EEENS1_30default_config_static_selectorELNS0_4arch9wavefront6targetE1EEEvT1_,"axG",@progbits,_ZN7rocprim17ROCPRIM_400000_NS6detail17trampoline_kernelINS0_14default_configENS1_25partition_config_selectorILNS1_17partition_subalgoE1EtNS0_10empty_typeEbEEZZNS1_14partition_implILS5_1ELb0ES3_jN6thrust23THRUST_200600_302600_NS6detail15normal_iteratorINSA_10device_ptrItEEEEPS6_NSA_18transform_iteratorI7is_evenItESF_NSA_11use_defaultESK_EENS0_5tupleIJSF_SF_EEENSM_IJSG_SG_EEES6_PlJS6_EEE10hipError_tPvRmT3_T4_T5_T6_T7_T9_mT8_P12ihipStream_tbDpT10_ENKUlT_T0_E_clISt17integral_constantIbLb0EES19_EEDaS14_S15_EUlS14_E_NS1_11comp_targetILNS1_3genE9ELNS1_11target_archE1100ELNS1_3gpuE3ELNS1_3repE0EEENS1_30default_config_static_selectorELNS0_4arch9wavefront6targetE1EEEvT1_,comdat
	.protected	_ZN7rocprim17ROCPRIM_400000_NS6detail17trampoline_kernelINS0_14default_configENS1_25partition_config_selectorILNS1_17partition_subalgoE1EtNS0_10empty_typeEbEEZZNS1_14partition_implILS5_1ELb0ES3_jN6thrust23THRUST_200600_302600_NS6detail15normal_iteratorINSA_10device_ptrItEEEEPS6_NSA_18transform_iteratorI7is_evenItESF_NSA_11use_defaultESK_EENS0_5tupleIJSF_SF_EEENSM_IJSG_SG_EEES6_PlJS6_EEE10hipError_tPvRmT3_T4_T5_T6_T7_T9_mT8_P12ihipStream_tbDpT10_ENKUlT_T0_E_clISt17integral_constantIbLb0EES19_EEDaS14_S15_EUlS14_E_NS1_11comp_targetILNS1_3genE9ELNS1_11target_archE1100ELNS1_3gpuE3ELNS1_3repE0EEENS1_30default_config_static_selectorELNS0_4arch9wavefront6targetE1EEEvT1_ ; -- Begin function _ZN7rocprim17ROCPRIM_400000_NS6detail17trampoline_kernelINS0_14default_configENS1_25partition_config_selectorILNS1_17partition_subalgoE1EtNS0_10empty_typeEbEEZZNS1_14partition_implILS5_1ELb0ES3_jN6thrust23THRUST_200600_302600_NS6detail15normal_iteratorINSA_10device_ptrItEEEEPS6_NSA_18transform_iteratorI7is_evenItESF_NSA_11use_defaultESK_EENS0_5tupleIJSF_SF_EEENSM_IJSG_SG_EEES6_PlJS6_EEE10hipError_tPvRmT3_T4_T5_T6_T7_T9_mT8_P12ihipStream_tbDpT10_ENKUlT_T0_E_clISt17integral_constantIbLb0EES19_EEDaS14_S15_EUlS14_E_NS1_11comp_targetILNS1_3genE9ELNS1_11target_archE1100ELNS1_3gpuE3ELNS1_3repE0EEENS1_30default_config_static_selectorELNS0_4arch9wavefront6targetE1EEEvT1_
	.globl	_ZN7rocprim17ROCPRIM_400000_NS6detail17trampoline_kernelINS0_14default_configENS1_25partition_config_selectorILNS1_17partition_subalgoE1EtNS0_10empty_typeEbEEZZNS1_14partition_implILS5_1ELb0ES3_jN6thrust23THRUST_200600_302600_NS6detail15normal_iteratorINSA_10device_ptrItEEEEPS6_NSA_18transform_iteratorI7is_evenItESF_NSA_11use_defaultESK_EENS0_5tupleIJSF_SF_EEENSM_IJSG_SG_EEES6_PlJS6_EEE10hipError_tPvRmT3_T4_T5_T6_T7_T9_mT8_P12ihipStream_tbDpT10_ENKUlT_T0_E_clISt17integral_constantIbLb0EES19_EEDaS14_S15_EUlS14_E_NS1_11comp_targetILNS1_3genE9ELNS1_11target_archE1100ELNS1_3gpuE3ELNS1_3repE0EEENS1_30default_config_static_selectorELNS0_4arch9wavefront6targetE1EEEvT1_
	.p2align	8
	.type	_ZN7rocprim17ROCPRIM_400000_NS6detail17trampoline_kernelINS0_14default_configENS1_25partition_config_selectorILNS1_17partition_subalgoE1EtNS0_10empty_typeEbEEZZNS1_14partition_implILS5_1ELb0ES3_jN6thrust23THRUST_200600_302600_NS6detail15normal_iteratorINSA_10device_ptrItEEEEPS6_NSA_18transform_iteratorI7is_evenItESF_NSA_11use_defaultESK_EENS0_5tupleIJSF_SF_EEENSM_IJSG_SG_EEES6_PlJS6_EEE10hipError_tPvRmT3_T4_T5_T6_T7_T9_mT8_P12ihipStream_tbDpT10_ENKUlT_T0_E_clISt17integral_constantIbLb0EES19_EEDaS14_S15_EUlS14_E_NS1_11comp_targetILNS1_3genE9ELNS1_11target_archE1100ELNS1_3gpuE3ELNS1_3repE0EEENS1_30default_config_static_selectorELNS0_4arch9wavefront6targetE1EEEvT1_,@function
_ZN7rocprim17ROCPRIM_400000_NS6detail17trampoline_kernelINS0_14default_configENS1_25partition_config_selectorILNS1_17partition_subalgoE1EtNS0_10empty_typeEbEEZZNS1_14partition_implILS5_1ELb0ES3_jN6thrust23THRUST_200600_302600_NS6detail15normal_iteratorINSA_10device_ptrItEEEEPS6_NSA_18transform_iteratorI7is_evenItESF_NSA_11use_defaultESK_EENS0_5tupleIJSF_SF_EEENSM_IJSG_SG_EEES6_PlJS6_EEE10hipError_tPvRmT3_T4_T5_T6_T7_T9_mT8_P12ihipStream_tbDpT10_ENKUlT_T0_E_clISt17integral_constantIbLb0EES19_EEDaS14_S15_EUlS14_E_NS1_11comp_targetILNS1_3genE9ELNS1_11target_archE1100ELNS1_3gpuE3ELNS1_3repE0EEENS1_30default_config_static_selectorELNS0_4arch9wavefront6targetE1EEEvT1_: ; @_ZN7rocprim17ROCPRIM_400000_NS6detail17trampoline_kernelINS0_14default_configENS1_25partition_config_selectorILNS1_17partition_subalgoE1EtNS0_10empty_typeEbEEZZNS1_14partition_implILS5_1ELb0ES3_jN6thrust23THRUST_200600_302600_NS6detail15normal_iteratorINSA_10device_ptrItEEEEPS6_NSA_18transform_iteratorI7is_evenItESF_NSA_11use_defaultESK_EENS0_5tupleIJSF_SF_EEENSM_IJSG_SG_EEES6_PlJS6_EEE10hipError_tPvRmT3_T4_T5_T6_T7_T9_mT8_P12ihipStream_tbDpT10_ENKUlT_T0_E_clISt17integral_constantIbLb0EES19_EEDaS14_S15_EUlS14_E_NS1_11comp_targetILNS1_3genE9ELNS1_11target_archE1100ELNS1_3gpuE3ELNS1_3repE0EEENS1_30default_config_static_selectorELNS0_4arch9wavefront6targetE1EEEvT1_
; %bb.0:
	.section	.rodata,"a",@progbits
	.p2align	6, 0x0
	.amdhsa_kernel _ZN7rocprim17ROCPRIM_400000_NS6detail17trampoline_kernelINS0_14default_configENS1_25partition_config_selectorILNS1_17partition_subalgoE1EtNS0_10empty_typeEbEEZZNS1_14partition_implILS5_1ELb0ES3_jN6thrust23THRUST_200600_302600_NS6detail15normal_iteratorINSA_10device_ptrItEEEEPS6_NSA_18transform_iteratorI7is_evenItESF_NSA_11use_defaultESK_EENS0_5tupleIJSF_SF_EEENSM_IJSG_SG_EEES6_PlJS6_EEE10hipError_tPvRmT3_T4_T5_T6_T7_T9_mT8_P12ihipStream_tbDpT10_ENKUlT_T0_E_clISt17integral_constantIbLb0EES19_EEDaS14_S15_EUlS14_E_NS1_11comp_targetILNS1_3genE9ELNS1_11target_archE1100ELNS1_3gpuE3ELNS1_3repE0EEENS1_30default_config_static_selectorELNS0_4arch9wavefront6targetE1EEEvT1_
		.amdhsa_group_segment_fixed_size 0
		.amdhsa_private_segment_fixed_size 0
		.amdhsa_kernarg_size 128
		.amdhsa_user_sgpr_count 6
		.amdhsa_user_sgpr_private_segment_buffer 1
		.amdhsa_user_sgpr_dispatch_ptr 0
		.amdhsa_user_sgpr_queue_ptr 0
		.amdhsa_user_sgpr_kernarg_segment_ptr 1
		.amdhsa_user_sgpr_dispatch_id 0
		.amdhsa_user_sgpr_flat_scratch_init 0
		.amdhsa_user_sgpr_kernarg_preload_length 0
		.amdhsa_user_sgpr_kernarg_preload_offset 0
		.amdhsa_user_sgpr_private_segment_size 0
		.amdhsa_uses_dynamic_stack 0
		.amdhsa_system_sgpr_private_segment_wavefront_offset 0
		.amdhsa_system_sgpr_workgroup_id_x 1
		.amdhsa_system_sgpr_workgroup_id_y 0
		.amdhsa_system_sgpr_workgroup_id_z 0
		.amdhsa_system_sgpr_workgroup_info 0
		.amdhsa_system_vgpr_workitem_id 0
		.amdhsa_next_free_vgpr 1
		.amdhsa_next_free_sgpr 0
		.amdhsa_accum_offset 4
		.amdhsa_reserve_vcc 0
		.amdhsa_reserve_flat_scratch 0
		.amdhsa_float_round_mode_32 0
		.amdhsa_float_round_mode_16_64 0
		.amdhsa_float_denorm_mode_32 3
		.amdhsa_float_denorm_mode_16_64 3
		.amdhsa_dx10_clamp 1
		.amdhsa_ieee_mode 1
		.amdhsa_fp16_overflow 0
		.amdhsa_tg_split 0
		.amdhsa_exception_fp_ieee_invalid_op 0
		.amdhsa_exception_fp_denorm_src 0
		.amdhsa_exception_fp_ieee_div_zero 0
		.amdhsa_exception_fp_ieee_overflow 0
		.amdhsa_exception_fp_ieee_underflow 0
		.amdhsa_exception_fp_ieee_inexact 0
		.amdhsa_exception_int_div_zero 0
	.end_amdhsa_kernel
	.section	.text._ZN7rocprim17ROCPRIM_400000_NS6detail17trampoline_kernelINS0_14default_configENS1_25partition_config_selectorILNS1_17partition_subalgoE1EtNS0_10empty_typeEbEEZZNS1_14partition_implILS5_1ELb0ES3_jN6thrust23THRUST_200600_302600_NS6detail15normal_iteratorINSA_10device_ptrItEEEEPS6_NSA_18transform_iteratorI7is_evenItESF_NSA_11use_defaultESK_EENS0_5tupleIJSF_SF_EEENSM_IJSG_SG_EEES6_PlJS6_EEE10hipError_tPvRmT3_T4_T5_T6_T7_T9_mT8_P12ihipStream_tbDpT10_ENKUlT_T0_E_clISt17integral_constantIbLb0EES19_EEDaS14_S15_EUlS14_E_NS1_11comp_targetILNS1_3genE9ELNS1_11target_archE1100ELNS1_3gpuE3ELNS1_3repE0EEENS1_30default_config_static_selectorELNS0_4arch9wavefront6targetE1EEEvT1_,"axG",@progbits,_ZN7rocprim17ROCPRIM_400000_NS6detail17trampoline_kernelINS0_14default_configENS1_25partition_config_selectorILNS1_17partition_subalgoE1EtNS0_10empty_typeEbEEZZNS1_14partition_implILS5_1ELb0ES3_jN6thrust23THRUST_200600_302600_NS6detail15normal_iteratorINSA_10device_ptrItEEEEPS6_NSA_18transform_iteratorI7is_evenItESF_NSA_11use_defaultESK_EENS0_5tupleIJSF_SF_EEENSM_IJSG_SG_EEES6_PlJS6_EEE10hipError_tPvRmT3_T4_T5_T6_T7_T9_mT8_P12ihipStream_tbDpT10_ENKUlT_T0_E_clISt17integral_constantIbLb0EES19_EEDaS14_S15_EUlS14_E_NS1_11comp_targetILNS1_3genE9ELNS1_11target_archE1100ELNS1_3gpuE3ELNS1_3repE0EEENS1_30default_config_static_selectorELNS0_4arch9wavefront6targetE1EEEvT1_,comdat
.Lfunc_end2273:
	.size	_ZN7rocprim17ROCPRIM_400000_NS6detail17trampoline_kernelINS0_14default_configENS1_25partition_config_selectorILNS1_17partition_subalgoE1EtNS0_10empty_typeEbEEZZNS1_14partition_implILS5_1ELb0ES3_jN6thrust23THRUST_200600_302600_NS6detail15normal_iteratorINSA_10device_ptrItEEEEPS6_NSA_18transform_iteratorI7is_evenItESF_NSA_11use_defaultESK_EENS0_5tupleIJSF_SF_EEENSM_IJSG_SG_EEES6_PlJS6_EEE10hipError_tPvRmT3_T4_T5_T6_T7_T9_mT8_P12ihipStream_tbDpT10_ENKUlT_T0_E_clISt17integral_constantIbLb0EES19_EEDaS14_S15_EUlS14_E_NS1_11comp_targetILNS1_3genE9ELNS1_11target_archE1100ELNS1_3gpuE3ELNS1_3repE0EEENS1_30default_config_static_selectorELNS0_4arch9wavefront6targetE1EEEvT1_, .Lfunc_end2273-_ZN7rocprim17ROCPRIM_400000_NS6detail17trampoline_kernelINS0_14default_configENS1_25partition_config_selectorILNS1_17partition_subalgoE1EtNS0_10empty_typeEbEEZZNS1_14partition_implILS5_1ELb0ES3_jN6thrust23THRUST_200600_302600_NS6detail15normal_iteratorINSA_10device_ptrItEEEEPS6_NSA_18transform_iteratorI7is_evenItESF_NSA_11use_defaultESK_EENS0_5tupleIJSF_SF_EEENSM_IJSG_SG_EEES6_PlJS6_EEE10hipError_tPvRmT3_T4_T5_T6_T7_T9_mT8_P12ihipStream_tbDpT10_ENKUlT_T0_E_clISt17integral_constantIbLb0EES19_EEDaS14_S15_EUlS14_E_NS1_11comp_targetILNS1_3genE9ELNS1_11target_archE1100ELNS1_3gpuE3ELNS1_3repE0EEENS1_30default_config_static_selectorELNS0_4arch9wavefront6targetE1EEEvT1_
                                        ; -- End function
	.section	.AMDGPU.csdata,"",@progbits
; Kernel info:
; codeLenInByte = 0
; NumSgprs: 4
; NumVgprs: 0
; NumAgprs: 0
; TotalNumVgprs: 0
; ScratchSize: 0
; MemoryBound: 0
; FloatMode: 240
; IeeeMode: 1
; LDSByteSize: 0 bytes/workgroup (compile time only)
; SGPRBlocks: 0
; VGPRBlocks: 0
; NumSGPRsForWavesPerEU: 4
; NumVGPRsForWavesPerEU: 1
; AccumOffset: 4
; Occupancy: 8
; WaveLimiterHint : 0
; COMPUTE_PGM_RSRC2:SCRATCH_EN: 0
; COMPUTE_PGM_RSRC2:USER_SGPR: 6
; COMPUTE_PGM_RSRC2:TRAP_HANDLER: 0
; COMPUTE_PGM_RSRC2:TGID_X_EN: 1
; COMPUTE_PGM_RSRC2:TGID_Y_EN: 0
; COMPUTE_PGM_RSRC2:TGID_Z_EN: 0
; COMPUTE_PGM_RSRC2:TIDIG_COMP_CNT: 0
; COMPUTE_PGM_RSRC3_GFX90A:ACCUM_OFFSET: 0
; COMPUTE_PGM_RSRC3_GFX90A:TG_SPLIT: 0
	.section	.text._ZN7rocprim17ROCPRIM_400000_NS6detail17trampoline_kernelINS0_14default_configENS1_25partition_config_selectorILNS1_17partition_subalgoE1EtNS0_10empty_typeEbEEZZNS1_14partition_implILS5_1ELb0ES3_jN6thrust23THRUST_200600_302600_NS6detail15normal_iteratorINSA_10device_ptrItEEEEPS6_NSA_18transform_iteratorI7is_evenItESF_NSA_11use_defaultESK_EENS0_5tupleIJSF_SF_EEENSM_IJSG_SG_EEES6_PlJS6_EEE10hipError_tPvRmT3_T4_T5_T6_T7_T9_mT8_P12ihipStream_tbDpT10_ENKUlT_T0_E_clISt17integral_constantIbLb0EES19_EEDaS14_S15_EUlS14_E_NS1_11comp_targetILNS1_3genE8ELNS1_11target_archE1030ELNS1_3gpuE2ELNS1_3repE0EEENS1_30default_config_static_selectorELNS0_4arch9wavefront6targetE1EEEvT1_,"axG",@progbits,_ZN7rocprim17ROCPRIM_400000_NS6detail17trampoline_kernelINS0_14default_configENS1_25partition_config_selectorILNS1_17partition_subalgoE1EtNS0_10empty_typeEbEEZZNS1_14partition_implILS5_1ELb0ES3_jN6thrust23THRUST_200600_302600_NS6detail15normal_iteratorINSA_10device_ptrItEEEEPS6_NSA_18transform_iteratorI7is_evenItESF_NSA_11use_defaultESK_EENS0_5tupleIJSF_SF_EEENSM_IJSG_SG_EEES6_PlJS6_EEE10hipError_tPvRmT3_T4_T5_T6_T7_T9_mT8_P12ihipStream_tbDpT10_ENKUlT_T0_E_clISt17integral_constantIbLb0EES19_EEDaS14_S15_EUlS14_E_NS1_11comp_targetILNS1_3genE8ELNS1_11target_archE1030ELNS1_3gpuE2ELNS1_3repE0EEENS1_30default_config_static_selectorELNS0_4arch9wavefront6targetE1EEEvT1_,comdat
	.protected	_ZN7rocprim17ROCPRIM_400000_NS6detail17trampoline_kernelINS0_14default_configENS1_25partition_config_selectorILNS1_17partition_subalgoE1EtNS0_10empty_typeEbEEZZNS1_14partition_implILS5_1ELb0ES3_jN6thrust23THRUST_200600_302600_NS6detail15normal_iteratorINSA_10device_ptrItEEEEPS6_NSA_18transform_iteratorI7is_evenItESF_NSA_11use_defaultESK_EENS0_5tupleIJSF_SF_EEENSM_IJSG_SG_EEES6_PlJS6_EEE10hipError_tPvRmT3_T4_T5_T6_T7_T9_mT8_P12ihipStream_tbDpT10_ENKUlT_T0_E_clISt17integral_constantIbLb0EES19_EEDaS14_S15_EUlS14_E_NS1_11comp_targetILNS1_3genE8ELNS1_11target_archE1030ELNS1_3gpuE2ELNS1_3repE0EEENS1_30default_config_static_selectorELNS0_4arch9wavefront6targetE1EEEvT1_ ; -- Begin function _ZN7rocprim17ROCPRIM_400000_NS6detail17trampoline_kernelINS0_14default_configENS1_25partition_config_selectorILNS1_17partition_subalgoE1EtNS0_10empty_typeEbEEZZNS1_14partition_implILS5_1ELb0ES3_jN6thrust23THRUST_200600_302600_NS6detail15normal_iteratorINSA_10device_ptrItEEEEPS6_NSA_18transform_iteratorI7is_evenItESF_NSA_11use_defaultESK_EENS0_5tupleIJSF_SF_EEENSM_IJSG_SG_EEES6_PlJS6_EEE10hipError_tPvRmT3_T4_T5_T6_T7_T9_mT8_P12ihipStream_tbDpT10_ENKUlT_T0_E_clISt17integral_constantIbLb0EES19_EEDaS14_S15_EUlS14_E_NS1_11comp_targetILNS1_3genE8ELNS1_11target_archE1030ELNS1_3gpuE2ELNS1_3repE0EEENS1_30default_config_static_selectorELNS0_4arch9wavefront6targetE1EEEvT1_
	.globl	_ZN7rocprim17ROCPRIM_400000_NS6detail17trampoline_kernelINS0_14default_configENS1_25partition_config_selectorILNS1_17partition_subalgoE1EtNS0_10empty_typeEbEEZZNS1_14partition_implILS5_1ELb0ES3_jN6thrust23THRUST_200600_302600_NS6detail15normal_iteratorINSA_10device_ptrItEEEEPS6_NSA_18transform_iteratorI7is_evenItESF_NSA_11use_defaultESK_EENS0_5tupleIJSF_SF_EEENSM_IJSG_SG_EEES6_PlJS6_EEE10hipError_tPvRmT3_T4_T5_T6_T7_T9_mT8_P12ihipStream_tbDpT10_ENKUlT_T0_E_clISt17integral_constantIbLb0EES19_EEDaS14_S15_EUlS14_E_NS1_11comp_targetILNS1_3genE8ELNS1_11target_archE1030ELNS1_3gpuE2ELNS1_3repE0EEENS1_30default_config_static_selectorELNS0_4arch9wavefront6targetE1EEEvT1_
	.p2align	8
	.type	_ZN7rocprim17ROCPRIM_400000_NS6detail17trampoline_kernelINS0_14default_configENS1_25partition_config_selectorILNS1_17partition_subalgoE1EtNS0_10empty_typeEbEEZZNS1_14partition_implILS5_1ELb0ES3_jN6thrust23THRUST_200600_302600_NS6detail15normal_iteratorINSA_10device_ptrItEEEEPS6_NSA_18transform_iteratorI7is_evenItESF_NSA_11use_defaultESK_EENS0_5tupleIJSF_SF_EEENSM_IJSG_SG_EEES6_PlJS6_EEE10hipError_tPvRmT3_T4_T5_T6_T7_T9_mT8_P12ihipStream_tbDpT10_ENKUlT_T0_E_clISt17integral_constantIbLb0EES19_EEDaS14_S15_EUlS14_E_NS1_11comp_targetILNS1_3genE8ELNS1_11target_archE1030ELNS1_3gpuE2ELNS1_3repE0EEENS1_30default_config_static_selectorELNS0_4arch9wavefront6targetE1EEEvT1_,@function
_ZN7rocprim17ROCPRIM_400000_NS6detail17trampoline_kernelINS0_14default_configENS1_25partition_config_selectorILNS1_17partition_subalgoE1EtNS0_10empty_typeEbEEZZNS1_14partition_implILS5_1ELb0ES3_jN6thrust23THRUST_200600_302600_NS6detail15normal_iteratorINSA_10device_ptrItEEEEPS6_NSA_18transform_iteratorI7is_evenItESF_NSA_11use_defaultESK_EENS0_5tupleIJSF_SF_EEENSM_IJSG_SG_EEES6_PlJS6_EEE10hipError_tPvRmT3_T4_T5_T6_T7_T9_mT8_P12ihipStream_tbDpT10_ENKUlT_T0_E_clISt17integral_constantIbLb0EES19_EEDaS14_S15_EUlS14_E_NS1_11comp_targetILNS1_3genE8ELNS1_11target_archE1030ELNS1_3gpuE2ELNS1_3repE0EEENS1_30default_config_static_selectorELNS0_4arch9wavefront6targetE1EEEvT1_: ; @_ZN7rocprim17ROCPRIM_400000_NS6detail17trampoline_kernelINS0_14default_configENS1_25partition_config_selectorILNS1_17partition_subalgoE1EtNS0_10empty_typeEbEEZZNS1_14partition_implILS5_1ELb0ES3_jN6thrust23THRUST_200600_302600_NS6detail15normal_iteratorINSA_10device_ptrItEEEEPS6_NSA_18transform_iteratorI7is_evenItESF_NSA_11use_defaultESK_EENS0_5tupleIJSF_SF_EEENSM_IJSG_SG_EEES6_PlJS6_EEE10hipError_tPvRmT3_T4_T5_T6_T7_T9_mT8_P12ihipStream_tbDpT10_ENKUlT_T0_E_clISt17integral_constantIbLb0EES19_EEDaS14_S15_EUlS14_E_NS1_11comp_targetILNS1_3genE8ELNS1_11target_archE1030ELNS1_3gpuE2ELNS1_3repE0EEENS1_30default_config_static_selectorELNS0_4arch9wavefront6targetE1EEEvT1_
; %bb.0:
	.section	.rodata,"a",@progbits
	.p2align	6, 0x0
	.amdhsa_kernel _ZN7rocprim17ROCPRIM_400000_NS6detail17trampoline_kernelINS0_14default_configENS1_25partition_config_selectorILNS1_17partition_subalgoE1EtNS0_10empty_typeEbEEZZNS1_14partition_implILS5_1ELb0ES3_jN6thrust23THRUST_200600_302600_NS6detail15normal_iteratorINSA_10device_ptrItEEEEPS6_NSA_18transform_iteratorI7is_evenItESF_NSA_11use_defaultESK_EENS0_5tupleIJSF_SF_EEENSM_IJSG_SG_EEES6_PlJS6_EEE10hipError_tPvRmT3_T4_T5_T6_T7_T9_mT8_P12ihipStream_tbDpT10_ENKUlT_T0_E_clISt17integral_constantIbLb0EES19_EEDaS14_S15_EUlS14_E_NS1_11comp_targetILNS1_3genE8ELNS1_11target_archE1030ELNS1_3gpuE2ELNS1_3repE0EEENS1_30default_config_static_selectorELNS0_4arch9wavefront6targetE1EEEvT1_
		.amdhsa_group_segment_fixed_size 0
		.amdhsa_private_segment_fixed_size 0
		.amdhsa_kernarg_size 128
		.amdhsa_user_sgpr_count 6
		.amdhsa_user_sgpr_private_segment_buffer 1
		.amdhsa_user_sgpr_dispatch_ptr 0
		.amdhsa_user_sgpr_queue_ptr 0
		.amdhsa_user_sgpr_kernarg_segment_ptr 1
		.amdhsa_user_sgpr_dispatch_id 0
		.amdhsa_user_sgpr_flat_scratch_init 0
		.amdhsa_user_sgpr_kernarg_preload_length 0
		.amdhsa_user_sgpr_kernarg_preload_offset 0
		.amdhsa_user_sgpr_private_segment_size 0
		.amdhsa_uses_dynamic_stack 0
		.amdhsa_system_sgpr_private_segment_wavefront_offset 0
		.amdhsa_system_sgpr_workgroup_id_x 1
		.amdhsa_system_sgpr_workgroup_id_y 0
		.amdhsa_system_sgpr_workgroup_id_z 0
		.amdhsa_system_sgpr_workgroup_info 0
		.amdhsa_system_vgpr_workitem_id 0
		.amdhsa_next_free_vgpr 1
		.amdhsa_next_free_sgpr 0
		.amdhsa_accum_offset 4
		.amdhsa_reserve_vcc 0
		.amdhsa_reserve_flat_scratch 0
		.amdhsa_float_round_mode_32 0
		.amdhsa_float_round_mode_16_64 0
		.amdhsa_float_denorm_mode_32 3
		.amdhsa_float_denorm_mode_16_64 3
		.amdhsa_dx10_clamp 1
		.amdhsa_ieee_mode 1
		.amdhsa_fp16_overflow 0
		.amdhsa_tg_split 0
		.amdhsa_exception_fp_ieee_invalid_op 0
		.amdhsa_exception_fp_denorm_src 0
		.amdhsa_exception_fp_ieee_div_zero 0
		.amdhsa_exception_fp_ieee_overflow 0
		.amdhsa_exception_fp_ieee_underflow 0
		.amdhsa_exception_fp_ieee_inexact 0
		.amdhsa_exception_int_div_zero 0
	.end_amdhsa_kernel
	.section	.text._ZN7rocprim17ROCPRIM_400000_NS6detail17trampoline_kernelINS0_14default_configENS1_25partition_config_selectorILNS1_17partition_subalgoE1EtNS0_10empty_typeEbEEZZNS1_14partition_implILS5_1ELb0ES3_jN6thrust23THRUST_200600_302600_NS6detail15normal_iteratorINSA_10device_ptrItEEEEPS6_NSA_18transform_iteratorI7is_evenItESF_NSA_11use_defaultESK_EENS0_5tupleIJSF_SF_EEENSM_IJSG_SG_EEES6_PlJS6_EEE10hipError_tPvRmT3_T4_T5_T6_T7_T9_mT8_P12ihipStream_tbDpT10_ENKUlT_T0_E_clISt17integral_constantIbLb0EES19_EEDaS14_S15_EUlS14_E_NS1_11comp_targetILNS1_3genE8ELNS1_11target_archE1030ELNS1_3gpuE2ELNS1_3repE0EEENS1_30default_config_static_selectorELNS0_4arch9wavefront6targetE1EEEvT1_,"axG",@progbits,_ZN7rocprim17ROCPRIM_400000_NS6detail17trampoline_kernelINS0_14default_configENS1_25partition_config_selectorILNS1_17partition_subalgoE1EtNS0_10empty_typeEbEEZZNS1_14partition_implILS5_1ELb0ES3_jN6thrust23THRUST_200600_302600_NS6detail15normal_iteratorINSA_10device_ptrItEEEEPS6_NSA_18transform_iteratorI7is_evenItESF_NSA_11use_defaultESK_EENS0_5tupleIJSF_SF_EEENSM_IJSG_SG_EEES6_PlJS6_EEE10hipError_tPvRmT3_T4_T5_T6_T7_T9_mT8_P12ihipStream_tbDpT10_ENKUlT_T0_E_clISt17integral_constantIbLb0EES19_EEDaS14_S15_EUlS14_E_NS1_11comp_targetILNS1_3genE8ELNS1_11target_archE1030ELNS1_3gpuE2ELNS1_3repE0EEENS1_30default_config_static_selectorELNS0_4arch9wavefront6targetE1EEEvT1_,comdat
.Lfunc_end2274:
	.size	_ZN7rocprim17ROCPRIM_400000_NS6detail17trampoline_kernelINS0_14default_configENS1_25partition_config_selectorILNS1_17partition_subalgoE1EtNS0_10empty_typeEbEEZZNS1_14partition_implILS5_1ELb0ES3_jN6thrust23THRUST_200600_302600_NS6detail15normal_iteratorINSA_10device_ptrItEEEEPS6_NSA_18transform_iteratorI7is_evenItESF_NSA_11use_defaultESK_EENS0_5tupleIJSF_SF_EEENSM_IJSG_SG_EEES6_PlJS6_EEE10hipError_tPvRmT3_T4_T5_T6_T7_T9_mT8_P12ihipStream_tbDpT10_ENKUlT_T0_E_clISt17integral_constantIbLb0EES19_EEDaS14_S15_EUlS14_E_NS1_11comp_targetILNS1_3genE8ELNS1_11target_archE1030ELNS1_3gpuE2ELNS1_3repE0EEENS1_30default_config_static_selectorELNS0_4arch9wavefront6targetE1EEEvT1_, .Lfunc_end2274-_ZN7rocprim17ROCPRIM_400000_NS6detail17trampoline_kernelINS0_14default_configENS1_25partition_config_selectorILNS1_17partition_subalgoE1EtNS0_10empty_typeEbEEZZNS1_14partition_implILS5_1ELb0ES3_jN6thrust23THRUST_200600_302600_NS6detail15normal_iteratorINSA_10device_ptrItEEEEPS6_NSA_18transform_iteratorI7is_evenItESF_NSA_11use_defaultESK_EENS0_5tupleIJSF_SF_EEENSM_IJSG_SG_EEES6_PlJS6_EEE10hipError_tPvRmT3_T4_T5_T6_T7_T9_mT8_P12ihipStream_tbDpT10_ENKUlT_T0_E_clISt17integral_constantIbLb0EES19_EEDaS14_S15_EUlS14_E_NS1_11comp_targetILNS1_3genE8ELNS1_11target_archE1030ELNS1_3gpuE2ELNS1_3repE0EEENS1_30default_config_static_selectorELNS0_4arch9wavefront6targetE1EEEvT1_
                                        ; -- End function
	.section	.AMDGPU.csdata,"",@progbits
; Kernel info:
; codeLenInByte = 0
; NumSgprs: 4
; NumVgprs: 0
; NumAgprs: 0
; TotalNumVgprs: 0
; ScratchSize: 0
; MemoryBound: 0
; FloatMode: 240
; IeeeMode: 1
; LDSByteSize: 0 bytes/workgroup (compile time only)
; SGPRBlocks: 0
; VGPRBlocks: 0
; NumSGPRsForWavesPerEU: 4
; NumVGPRsForWavesPerEU: 1
; AccumOffset: 4
; Occupancy: 8
; WaveLimiterHint : 0
; COMPUTE_PGM_RSRC2:SCRATCH_EN: 0
; COMPUTE_PGM_RSRC2:USER_SGPR: 6
; COMPUTE_PGM_RSRC2:TRAP_HANDLER: 0
; COMPUTE_PGM_RSRC2:TGID_X_EN: 1
; COMPUTE_PGM_RSRC2:TGID_Y_EN: 0
; COMPUTE_PGM_RSRC2:TGID_Z_EN: 0
; COMPUTE_PGM_RSRC2:TIDIG_COMP_CNT: 0
; COMPUTE_PGM_RSRC3_GFX90A:ACCUM_OFFSET: 0
; COMPUTE_PGM_RSRC3_GFX90A:TG_SPLIT: 0
	.section	.text._ZN7rocprim17ROCPRIM_400000_NS6detail17trampoline_kernelINS0_14default_configENS1_25partition_config_selectorILNS1_17partition_subalgoE1EtNS0_10empty_typeEbEEZZNS1_14partition_implILS5_1ELb0ES3_jN6thrust23THRUST_200600_302600_NS6detail15normal_iteratorINSA_10device_ptrItEEEEPS6_NSA_18transform_iteratorI7is_evenItESF_NSA_11use_defaultESK_EENS0_5tupleIJSF_SF_EEENSM_IJSG_SG_EEES6_PlJS6_EEE10hipError_tPvRmT3_T4_T5_T6_T7_T9_mT8_P12ihipStream_tbDpT10_ENKUlT_T0_E_clISt17integral_constantIbLb1EES19_EEDaS14_S15_EUlS14_E_NS1_11comp_targetILNS1_3genE0ELNS1_11target_archE4294967295ELNS1_3gpuE0ELNS1_3repE0EEENS1_30default_config_static_selectorELNS0_4arch9wavefront6targetE1EEEvT1_,"axG",@progbits,_ZN7rocprim17ROCPRIM_400000_NS6detail17trampoline_kernelINS0_14default_configENS1_25partition_config_selectorILNS1_17partition_subalgoE1EtNS0_10empty_typeEbEEZZNS1_14partition_implILS5_1ELb0ES3_jN6thrust23THRUST_200600_302600_NS6detail15normal_iteratorINSA_10device_ptrItEEEEPS6_NSA_18transform_iteratorI7is_evenItESF_NSA_11use_defaultESK_EENS0_5tupleIJSF_SF_EEENSM_IJSG_SG_EEES6_PlJS6_EEE10hipError_tPvRmT3_T4_T5_T6_T7_T9_mT8_P12ihipStream_tbDpT10_ENKUlT_T0_E_clISt17integral_constantIbLb1EES19_EEDaS14_S15_EUlS14_E_NS1_11comp_targetILNS1_3genE0ELNS1_11target_archE4294967295ELNS1_3gpuE0ELNS1_3repE0EEENS1_30default_config_static_selectorELNS0_4arch9wavefront6targetE1EEEvT1_,comdat
	.protected	_ZN7rocprim17ROCPRIM_400000_NS6detail17trampoline_kernelINS0_14default_configENS1_25partition_config_selectorILNS1_17partition_subalgoE1EtNS0_10empty_typeEbEEZZNS1_14partition_implILS5_1ELb0ES3_jN6thrust23THRUST_200600_302600_NS6detail15normal_iteratorINSA_10device_ptrItEEEEPS6_NSA_18transform_iteratorI7is_evenItESF_NSA_11use_defaultESK_EENS0_5tupleIJSF_SF_EEENSM_IJSG_SG_EEES6_PlJS6_EEE10hipError_tPvRmT3_T4_T5_T6_T7_T9_mT8_P12ihipStream_tbDpT10_ENKUlT_T0_E_clISt17integral_constantIbLb1EES19_EEDaS14_S15_EUlS14_E_NS1_11comp_targetILNS1_3genE0ELNS1_11target_archE4294967295ELNS1_3gpuE0ELNS1_3repE0EEENS1_30default_config_static_selectorELNS0_4arch9wavefront6targetE1EEEvT1_ ; -- Begin function _ZN7rocprim17ROCPRIM_400000_NS6detail17trampoline_kernelINS0_14default_configENS1_25partition_config_selectorILNS1_17partition_subalgoE1EtNS0_10empty_typeEbEEZZNS1_14partition_implILS5_1ELb0ES3_jN6thrust23THRUST_200600_302600_NS6detail15normal_iteratorINSA_10device_ptrItEEEEPS6_NSA_18transform_iteratorI7is_evenItESF_NSA_11use_defaultESK_EENS0_5tupleIJSF_SF_EEENSM_IJSG_SG_EEES6_PlJS6_EEE10hipError_tPvRmT3_T4_T5_T6_T7_T9_mT8_P12ihipStream_tbDpT10_ENKUlT_T0_E_clISt17integral_constantIbLb1EES19_EEDaS14_S15_EUlS14_E_NS1_11comp_targetILNS1_3genE0ELNS1_11target_archE4294967295ELNS1_3gpuE0ELNS1_3repE0EEENS1_30default_config_static_selectorELNS0_4arch9wavefront6targetE1EEEvT1_
	.globl	_ZN7rocprim17ROCPRIM_400000_NS6detail17trampoline_kernelINS0_14default_configENS1_25partition_config_selectorILNS1_17partition_subalgoE1EtNS0_10empty_typeEbEEZZNS1_14partition_implILS5_1ELb0ES3_jN6thrust23THRUST_200600_302600_NS6detail15normal_iteratorINSA_10device_ptrItEEEEPS6_NSA_18transform_iteratorI7is_evenItESF_NSA_11use_defaultESK_EENS0_5tupleIJSF_SF_EEENSM_IJSG_SG_EEES6_PlJS6_EEE10hipError_tPvRmT3_T4_T5_T6_T7_T9_mT8_P12ihipStream_tbDpT10_ENKUlT_T0_E_clISt17integral_constantIbLb1EES19_EEDaS14_S15_EUlS14_E_NS1_11comp_targetILNS1_3genE0ELNS1_11target_archE4294967295ELNS1_3gpuE0ELNS1_3repE0EEENS1_30default_config_static_selectorELNS0_4arch9wavefront6targetE1EEEvT1_
	.p2align	8
	.type	_ZN7rocprim17ROCPRIM_400000_NS6detail17trampoline_kernelINS0_14default_configENS1_25partition_config_selectorILNS1_17partition_subalgoE1EtNS0_10empty_typeEbEEZZNS1_14partition_implILS5_1ELb0ES3_jN6thrust23THRUST_200600_302600_NS6detail15normal_iteratorINSA_10device_ptrItEEEEPS6_NSA_18transform_iteratorI7is_evenItESF_NSA_11use_defaultESK_EENS0_5tupleIJSF_SF_EEENSM_IJSG_SG_EEES6_PlJS6_EEE10hipError_tPvRmT3_T4_T5_T6_T7_T9_mT8_P12ihipStream_tbDpT10_ENKUlT_T0_E_clISt17integral_constantIbLb1EES19_EEDaS14_S15_EUlS14_E_NS1_11comp_targetILNS1_3genE0ELNS1_11target_archE4294967295ELNS1_3gpuE0ELNS1_3repE0EEENS1_30default_config_static_selectorELNS0_4arch9wavefront6targetE1EEEvT1_,@function
_ZN7rocprim17ROCPRIM_400000_NS6detail17trampoline_kernelINS0_14default_configENS1_25partition_config_selectorILNS1_17partition_subalgoE1EtNS0_10empty_typeEbEEZZNS1_14partition_implILS5_1ELb0ES3_jN6thrust23THRUST_200600_302600_NS6detail15normal_iteratorINSA_10device_ptrItEEEEPS6_NSA_18transform_iteratorI7is_evenItESF_NSA_11use_defaultESK_EENS0_5tupleIJSF_SF_EEENSM_IJSG_SG_EEES6_PlJS6_EEE10hipError_tPvRmT3_T4_T5_T6_T7_T9_mT8_P12ihipStream_tbDpT10_ENKUlT_T0_E_clISt17integral_constantIbLb1EES19_EEDaS14_S15_EUlS14_E_NS1_11comp_targetILNS1_3genE0ELNS1_11target_archE4294967295ELNS1_3gpuE0ELNS1_3repE0EEENS1_30default_config_static_selectorELNS0_4arch9wavefront6targetE1EEEvT1_: ; @_ZN7rocprim17ROCPRIM_400000_NS6detail17trampoline_kernelINS0_14default_configENS1_25partition_config_selectorILNS1_17partition_subalgoE1EtNS0_10empty_typeEbEEZZNS1_14partition_implILS5_1ELb0ES3_jN6thrust23THRUST_200600_302600_NS6detail15normal_iteratorINSA_10device_ptrItEEEEPS6_NSA_18transform_iteratorI7is_evenItESF_NSA_11use_defaultESK_EENS0_5tupleIJSF_SF_EEENSM_IJSG_SG_EEES6_PlJS6_EEE10hipError_tPvRmT3_T4_T5_T6_T7_T9_mT8_P12ihipStream_tbDpT10_ENKUlT_T0_E_clISt17integral_constantIbLb1EES19_EEDaS14_S15_EUlS14_E_NS1_11comp_targetILNS1_3genE0ELNS1_11target_archE4294967295ELNS1_3gpuE0ELNS1_3repE0EEENS1_30default_config_static_selectorELNS0_4arch9wavefront6targetE1EEEvT1_
; %bb.0:
	.section	.rodata,"a",@progbits
	.p2align	6, 0x0
	.amdhsa_kernel _ZN7rocprim17ROCPRIM_400000_NS6detail17trampoline_kernelINS0_14default_configENS1_25partition_config_selectorILNS1_17partition_subalgoE1EtNS0_10empty_typeEbEEZZNS1_14partition_implILS5_1ELb0ES3_jN6thrust23THRUST_200600_302600_NS6detail15normal_iteratorINSA_10device_ptrItEEEEPS6_NSA_18transform_iteratorI7is_evenItESF_NSA_11use_defaultESK_EENS0_5tupleIJSF_SF_EEENSM_IJSG_SG_EEES6_PlJS6_EEE10hipError_tPvRmT3_T4_T5_T6_T7_T9_mT8_P12ihipStream_tbDpT10_ENKUlT_T0_E_clISt17integral_constantIbLb1EES19_EEDaS14_S15_EUlS14_E_NS1_11comp_targetILNS1_3genE0ELNS1_11target_archE4294967295ELNS1_3gpuE0ELNS1_3repE0EEENS1_30default_config_static_selectorELNS0_4arch9wavefront6targetE1EEEvT1_
		.amdhsa_group_segment_fixed_size 0
		.amdhsa_private_segment_fixed_size 0
		.amdhsa_kernarg_size 144
		.amdhsa_user_sgpr_count 6
		.amdhsa_user_sgpr_private_segment_buffer 1
		.amdhsa_user_sgpr_dispatch_ptr 0
		.amdhsa_user_sgpr_queue_ptr 0
		.amdhsa_user_sgpr_kernarg_segment_ptr 1
		.amdhsa_user_sgpr_dispatch_id 0
		.amdhsa_user_sgpr_flat_scratch_init 0
		.amdhsa_user_sgpr_kernarg_preload_length 0
		.amdhsa_user_sgpr_kernarg_preload_offset 0
		.amdhsa_user_sgpr_private_segment_size 0
		.amdhsa_uses_dynamic_stack 0
		.amdhsa_system_sgpr_private_segment_wavefront_offset 0
		.amdhsa_system_sgpr_workgroup_id_x 1
		.amdhsa_system_sgpr_workgroup_id_y 0
		.amdhsa_system_sgpr_workgroup_id_z 0
		.amdhsa_system_sgpr_workgroup_info 0
		.amdhsa_system_vgpr_workitem_id 0
		.amdhsa_next_free_vgpr 1
		.amdhsa_next_free_sgpr 0
		.amdhsa_accum_offset 4
		.amdhsa_reserve_vcc 0
		.amdhsa_reserve_flat_scratch 0
		.amdhsa_float_round_mode_32 0
		.amdhsa_float_round_mode_16_64 0
		.amdhsa_float_denorm_mode_32 3
		.amdhsa_float_denorm_mode_16_64 3
		.amdhsa_dx10_clamp 1
		.amdhsa_ieee_mode 1
		.amdhsa_fp16_overflow 0
		.amdhsa_tg_split 0
		.amdhsa_exception_fp_ieee_invalid_op 0
		.amdhsa_exception_fp_denorm_src 0
		.amdhsa_exception_fp_ieee_div_zero 0
		.amdhsa_exception_fp_ieee_overflow 0
		.amdhsa_exception_fp_ieee_underflow 0
		.amdhsa_exception_fp_ieee_inexact 0
		.amdhsa_exception_int_div_zero 0
	.end_amdhsa_kernel
	.section	.text._ZN7rocprim17ROCPRIM_400000_NS6detail17trampoline_kernelINS0_14default_configENS1_25partition_config_selectorILNS1_17partition_subalgoE1EtNS0_10empty_typeEbEEZZNS1_14partition_implILS5_1ELb0ES3_jN6thrust23THRUST_200600_302600_NS6detail15normal_iteratorINSA_10device_ptrItEEEEPS6_NSA_18transform_iteratorI7is_evenItESF_NSA_11use_defaultESK_EENS0_5tupleIJSF_SF_EEENSM_IJSG_SG_EEES6_PlJS6_EEE10hipError_tPvRmT3_T4_T5_T6_T7_T9_mT8_P12ihipStream_tbDpT10_ENKUlT_T0_E_clISt17integral_constantIbLb1EES19_EEDaS14_S15_EUlS14_E_NS1_11comp_targetILNS1_3genE0ELNS1_11target_archE4294967295ELNS1_3gpuE0ELNS1_3repE0EEENS1_30default_config_static_selectorELNS0_4arch9wavefront6targetE1EEEvT1_,"axG",@progbits,_ZN7rocprim17ROCPRIM_400000_NS6detail17trampoline_kernelINS0_14default_configENS1_25partition_config_selectorILNS1_17partition_subalgoE1EtNS0_10empty_typeEbEEZZNS1_14partition_implILS5_1ELb0ES3_jN6thrust23THRUST_200600_302600_NS6detail15normal_iteratorINSA_10device_ptrItEEEEPS6_NSA_18transform_iteratorI7is_evenItESF_NSA_11use_defaultESK_EENS0_5tupleIJSF_SF_EEENSM_IJSG_SG_EEES6_PlJS6_EEE10hipError_tPvRmT3_T4_T5_T6_T7_T9_mT8_P12ihipStream_tbDpT10_ENKUlT_T0_E_clISt17integral_constantIbLb1EES19_EEDaS14_S15_EUlS14_E_NS1_11comp_targetILNS1_3genE0ELNS1_11target_archE4294967295ELNS1_3gpuE0ELNS1_3repE0EEENS1_30default_config_static_selectorELNS0_4arch9wavefront6targetE1EEEvT1_,comdat
.Lfunc_end2275:
	.size	_ZN7rocprim17ROCPRIM_400000_NS6detail17trampoline_kernelINS0_14default_configENS1_25partition_config_selectorILNS1_17partition_subalgoE1EtNS0_10empty_typeEbEEZZNS1_14partition_implILS5_1ELb0ES3_jN6thrust23THRUST_200600_302600_NS6detail15normal_iteratorINSA_10device_ptrItEEEEPS6_NSA_18transform_iteratorI7is_evenItESF_NSA_11use_defaultESK_EENS0_5tupleIJSF_SF_EEENSM_IJSG_SG_EEES6_PlJS6_EEE10hipError_tPvRmT3_T4_T5_T6_T7_T9_mT8_P12ihipStream_tbDpT10_ENKUlT_T0_E_clISt17integral_constantIbLb1EES19_EEDaS14_S15_EUlS14_E_NS1_11comp_targetILNS1_3genE0ELNS1_11target_archE4294967295ELNS1_3gpuE0ELNS1_3repE0EEENS1_30default_config_static_selectorELNS0_4arch9wavefront6targetE1EEEvT1_, .Lfunc_end2275-_ZN7rocprim17ROCPRIM_400000_NS6detail17trampoline_kernelINS0_14default_configENS1_25partition_config_selectorILNS1_17partition_subalgoE1EtNS0_10empty_typeEbEEZZNS1_14partition_implILS5_1ELb0ES3_jN6thrust23THRUST_200600_302600_NS6detail15normal_iteratorINSA_10device_ptrItEEEEPS6_NSA_18transform_iteratorI7is_evenItESF_NSA_11use_defaultESK_EENS0_5tupleIJSF_SF_EEENSM_IJSG_SG_EEES6_PlJS6_EEE10hipError_tPvRmT3_T4_T5_T6_T7_T9_mT8_P12ihipStream_tbDpT10_ENKUlT_T0_E_clISt17integral_constantIbLb1EES19_EEDaS14_S15_EUlS14_E_NS1_11comp_targetILNS1_3genE0ELNS1_11target_archE4294967295ELNS1_3gpuE0ELNS1_3repE0EEENS1_30default_config_static_selectorELNS0_4arch9wavefront6targetE1EEEvT1_
                                        ; -- End function
	.section	.AMDGPU.csdata,"",@progbits
; Kernel info:
; codeLenInByte = 0
; NumSgprs: 4
; NumVgprs: 0
; NumAgprs: 0
; TotalNumVgprs: 0
; ScratchSize: 0
; MemoryBound: 0
; FloatMode: 240
; IeeeMode: 1
; LDSByteSize: 0 bytes/workgroup (compile time only)
; SGPRBlocks: 0
; VGPRBlocks: 0
; NumSGPRsForWavesPerEU: 4
; NumVGPRsForWavesPerEU: 1
; AccumOffset: 4
; Occupancy: 8
; WaveLimiterHint : 0
; COMPUTE_PGM_RSRC2:SCRATCH_EN: 0
; COMPUTE_PGM_RSRC2:USER_SGPR: 6
; COMPUTE_PGM_RSRC2:TRAP_HANDLER: 0
; COMPUTE_PGM_RSRC2:TGID_X_EN: 1
; COMPUTE_PGM_RSRC2:TGID_Y_EN: 0
; COMPUTE_PGM_RSRC2:TGID_Z_EN: 0
; COMPUTE_PGM_RSRC2:TIDIG_COMP_CNT: 0
; COMPUTE_PGM_RSRC3_GFX90A:ACCUM_OFFSET: 0
; COMPUTE_PGM_RSRC3_GFX90A:TG_SPLIT: 0
	.section	.text._ZN7rocprim17ROCPRIM_400000_NS6detail17trampoline_kernelINS0_14default_configENS1_25partition_config_selectorILNS1_17partition_subalgoE1EtNS0_10empty_typeEbEEZZNS1_14partition_implILS5_1ELb0ES3_jN6thrust23THRUST_200600_302600_NS6detail15normal_iteratorINSA_10device_ptrItEEEEPS6_NSA_18transform_iteratorI7is_evenItESF_NSA_11use_defaultESK_EENS0_5tupleIJSF_SF_EEENSM_IJSG_SG_EEES6_PlJS6_EEE10hipError_tPvRmT3_T4_T5_T6_T7_T9_mT8_P12ihipStream_tbDpT10_ENKUlT_T0_E_clISt17integral_constantIbLb1EES19_EEDaS14_S15_EUlS14_E_NS1_11comp_targetILNS1_3genE5ELNS1_11target_archE942ELNS1_3gpuE9ELNS1_3repE0EEENS1_30default_config_static_selectorELNS0_4arch9wavefront6targetE1EEEvT1_,"axG",@progbits,_ZN7rocprim17ROCPRIM_400000_NS6detail17trampoline_kernelINS0_14default_configENS1_25partition_config_selectorILNS1_17partition_subalgoE1EtNS0_10empty_typeEbEEZZNS1_14partition_implILS5_1ELb0ES3_jN6thrust23THRUST_200600_302600_NS6detail15normal_iteratorINSA_10device_ptrItEEEEPS6_NSA_18transform_iteratorI7is_evenItESF_NSA_11use_defaultESK_EENS0_5tupleIJSF_SF_EEENSM_IJSG_SG_EEES6_PlJS6_EEE10hipError_tPvRmT3_T4_T5_T6_T7_T9_mT8_P12ihipStream_tbDpT10_ENKUlT_T0_E_clISt17integral_constantIbLb1EES19_EEDaS14_S15_EUlS14_E_NS1_11comp_targetILNS1_3genE5ELNS1_11target_archE942ELNS1_3gpuE9ELNS1_3repE0EEENS1_30default_config_static_selectorELNS0_4arch9wavefront6targetE1EEEvT1_,comdat
	.protected	_ZN7rocprim17ROCPRIM_400000_NS6detail17trampoline_kernelINS0_14default_configENS1_25partition_config_selectorILNS1_17partition_subalgoE1EtNS0_10empty_typeEbEEZZNS1_14partition_implILS5_1ELb0ES3_jN6thrust23THRUST_200600_302600_NS6detail15normal_iteratorINSA_10device_ptrItEEEEPS6_NSA_18transform_iteratorI7is_evenItESF_NSA_11use_defaultESK_EENS0_5tupleIJSF_SF_EEENSM_IJSG_SG_EEES6_PlJS6_EEE10hipError_tPvRmT3_T4_T5_T6_T7_T9_mT8_P12ihipStream_tbDpT10_ENKUlT_T0_E_clISt17integral_constantIbLb1EES19_EEDaS14_S15_EUlS14_E_NS1_11comp_targetILNS1_3genE5ELNS1_11target_archE942ELNS1_3gpuE9ELNS1_3repE0EEENS1_30default_config_static_selectorELNS0_4arch9wavefront6targetE1EEEvT1_ ; -- Begin function _ZN7rocprim17ROCPRIM_400000_NS6detail17trampoline_kernelINS0_14default_configENS1_25partition_config_selectorILNS1_17partition_subalgoE1EtNS0_10empty_typeEbEEZZNS1_14partition_implILS5_1ELb0ES3_jN6thrust23THRUST_200600_302600_NS6detail15normal_iteratorINSA_10device_ptrItEEEEPS6_NSA_18transform_iteratorI7is_evenItESF_NSA_11use_defaultESK_EENS0_5tupleIJSF_SF_EEENSM_IJSG_SG_EEES6_PlJS6_EEE10hipError_tPvRmT3_T4_T5_T6_T7_T9_mT8_P12ihipStream_tbDpT10_ENKUlT_T0_E_clISt17integral_constantIbLb1EES19_EEDaS14_S15_EUlS14_E_NS1_11comp_targetILNS1_3genE5ELNS1_11target_archE942ELNS1_3gpuE9ELNS1_3repE0EEENS1_30default_config_static_selectorELNS0_4arch9wavefront6targetE1EEEvT1_
	.globl	_ZN7rocprim17ROCPRIM_400000_NS6detail17trampoline_kernelINS0_14default_configENS1_25partition_config_selectorILNS1_17partition_subalgoE1EtNS0_10empty_typeEbEEZZNS1_14partition_implILS5_1ELb0ES3_jN6thrust23THRUST_200600_302600_NS6detail15normal_iteratorINSA_10device_ptrItEEEEPS6_NSA_18transform_iteratorI7is_evenItESF_NSA_11use_defaultESK_EENS0_5tupleIJSF_SF_EEENSM_IJSG_SG_EEES6_PlJS6_EEE10hipError_tPvRmT3_T4_T5_T6_T7_T9_mT8_P12ihipStream_tbDpT10_ENKUlT_T0_E_clISt17integral_constantIbLb1EES19_EEDaS14_S15_EUlS14_E_NS1_11comp_targetILNS1_3genE5ELNS1_11target_archE942ELNS1_3gpuE9ELNS1_3repE0EEENS1_30default_config_static_selectorELNS0_4arch9wavefront6targetE1EEEvT1_
	.p2align	8
	.type	_ZN7rocprim17ROCPRIM_400000_NS6detail17trampoline_kernelINS0_14default_configENS1_25partition_config_selectorILNS1_17partition_subalgoE1EtNS0_10empty_typeEbEEZZNS1_14partition_implILS5_1ELb0ES3_jN6thrust23THRUST_200600_302600_NS6detail15normal_iteratorINSA_10device_ptrItEEEEPS6_NSA_18transform_iteratorI7is_evenItESF_NSA_11use_defaultESK_EENS0_5tupleIJSF_SF_EEENSM_IJSG_SG_EEES6_PlJS6_EEE10hipError_tPvRmT3_T4_T5_T6_T7_T9_mT8_P12ihipStream_tbDpT10_ENKUlT_T0_E_clISt17integral_constantIbLb1EES19_EEDaS14_S15_EUlS14_E_NS1_11comp_targetILNS1_3genE5ELNS1_11target_archE942ELNS1_3gpuE9ELNS1_3repE0EEENS1_30default_config_static_selectorELNS0_4arch9wavefront6targetE1EEEvT1_,@function
_ZN7rocprim17ROCPRIM_400000_NS6detail17trampoline_kernelINS0_14default_configENS1_25partition_config_selectorILNS1_17partition_subalgoE1EtNS0_10empty_typeEbEEZZNS1_14partition_implILS5_1ELb0ES3_jN6thrust23THRUST_200600_302600_NS6detail15normal_iteratorINSA_10device_ptrItEEEEPS6_NSA_18transform_iteratorI7is_evenItESF_NSA_11use_defaultESK_EENS0_5tupleIJSF_SF_EEENSM_IJSG_SG_EEES6_PlJS6_EEE10hipError_tPvRmT3_T4_T5_T6_T7_T9_mT8_P12ihipStream_tbDpT10_ENKUlT_T0_E_clISt17integral_constantIbLb1EES19_EEDaS14_S15_EUlS14_E_NS1_11comp_targetILNS1_3genE5ELNS1_11target_archE942ELNS1_3gpuE9ELNS1_3repE0EEENS1_30default_config_static_selectorELNS0_4arch9wavefront6targetE1EEEvT1_: ; @_ZN7rocprim17ROCPRIM_400000_NS6detail17trampoline_kernelINS0_14default_configENS1_25partition_config_selectorILNS1_17partition_subalgoE1EtNS0_10empty_typeEbEEZZNS1_14partition_implILS5_1ELb0ES3_jN6thrust23THRUST_200600_302600_NS6detail15normal_iteratorINSA_10device_ptrItEEEEPS6_NSA_18transform_iteratorI7is_evenItESF_NSA_11use_defaultESK_EENS0_5tupleIJSF_SF_EEENSM_IJSG_SG_EEES6_PlJS6_EEE10hipError_tPvRmT3_T4_T5_T6_T7_T9_mT8_P12ihipStream_tbDpT10_ENKUlT_T0_E_clISt17integral_constantIbLb1EES19_EEDaS14_S15_EUlS14_E_NS1_11comp_targetILNS1_3genE5ELNS1_11target_archE942ELNS1_3gpuE9ELNS1_3repE0EEENS1_30default_config_static_selectorELNS0_4arch9wavefront6targetE1EEEvT1_
; %bb.0:
	.section	.rodata,"a",@progbits
	.p2align	6, 0x0
	.amdhsa_kernel _ZN7rocprim17ROCPRIM_400000_NS6detail17trampoline_kernelINS0_14default_configENS1_25partition_config_selectorILNS1_17partition_subalgoE1EtNS0_10empty_typeEbEEZZNS1_14partition_implILS5_1ELb0ES3_jN6thrust23THRUST_200600_302600_NS6detail15normal_iteratorINSA_10device_ptrItEEEEPS6_NSA_18transform_iteratorI7is_evenItESF_NSA_11use_defaultESK_EENS0_5tupleIJSF_SF_EEENSM_IJSG_SG_EEES6_PlJS6_EEE10hipError_tPvRmT3_T4_T5_T6_T7_T9_mT8_P12ihipStream_tbDpT10_ENKUlT_T0_E_clISt17integral_constantIbLb1EES19_EEDaS14_S15_EUlS14_E_NS1_11comp_targetILNS1_3genE5ELNS1_11target_archE942ELNS1_3gpuE9ELNS1_3repE0EEENS1_30default_config_static_selectorELNS0_4arch9wavefront6targetE1EEEvT1_
		.amdhsa_group_segment_fixed_size 0
		.amdhsa_private_segment_fixed_size 0
		.amdhsa_kernarg_size 144
		.amdhsa_user_sgpr_count 6
		.amdhsa_user_sgpr_private_segment_buffer 1
		.amdhsa_user_sgpr_dispatch_ptr 0
		.amdhsa_user_sgpr_queue_ptr 0
		.amdhsa_user_sgpr_kernarg_segment_ptr 1
		.amdhsa_user_sgpr_dispatch_id 0
		.amdhsa_user_sgpr_flat_scratch_init 0
		.amdhsa_user_sgpr_kernarg_preload_length 0
		.amdhsa_user_sgpr_kernarg_preload_offset 0
		.amdhsa_user_sgpr_private_segment_size 0
		.amdhsa_uses_dynamic_stack 0
		.amdhsa_system_sgpr_private_segment_wavefront_offset 0
		.amdhsa_system_sgpr_workgroup_id_x 1
		.amdhsa_system_sgpr_workgroup_id_y 0
		.amdhsa_system_sgpr_workgroup_id_z 0
		.amdhsa_system_sgpr_workgroup_info 0
		.amdhsa_system_vgpr_workitem_id 0
		.amdhsa_next_free_vgpr 1
		.amdhsa_next_free_sgpr 0
		.amdhsa_accum_offset 4
		.amdhsa_reserve_vcc 0
		.amdhsa_reserve_flat_scratch 0
		.amdhsa_float_round_mode_32 0
		.amdhsa_float_round_mode_16_64 0
		.amdhsa_float_denorm_mode_32 3
		.amdhsa_float_denorm_mode_16_64 3
		.amdhsa_dx10_clamp 1
		.amdhsa_ieee_mode 1
		.amdhsa_fp16_overflow 0
		.amdhsa_tg_split 0
		.amdhsa_exception_fp_ieee_invalid_op 0
		.amdhsa_exception_fp_denorm_src 0
		.amdhsa_exception_fp_ieee_div_zero 0
		.amdhsa_exception_fp_ieee_overflow 0
		.amdhsa_exception_fp_ieee_underflow 0
		.amdhsa_exception_fp_ieee_inexact 0
		.amdhsa_exception_int_div_zero 0
	.end_amdhsa_kernel
	.section	.text._ZN7rocprim17ROCPRIM_400000_NS6detail17trampoline_kernelINS0_14default_configENS1_25partition_config_selectorILNS1_17partition_subalgoE1EtNS0_10empty_typeEbEEZZNS1_14partition_implILS5_1ELb0ES3_jN6thrust23THRUST_200600_302600_NS6detail15normal_iteratorINSA_10device_ptrItEEEEPS6_NSA_18transform_iteratorI7is_evenItESF_NSA_11use_defaultESK_EENS0_5tupleIJSF_SF_EEENSM_IJSG_SG_EEES6_PlJS6_EEE10hipError_tPvRmT3_T4_T5_T6_T7_T9_mT8_P12ihipStream_tbDpT10_ENKUlT_T0_E_clISt17integral_constantIbLb1EES19_EEDaS14_S15_EUlS14_E_NS1_11comp_targetILNS1_3genE5ELNS1_11target_archE942ELNS1_3gpuE9ELNS1_3repE0EEENS1_30default_config_static_selectorELNS0_4arch9wavefront6targetE1EEEvT1_,"axG",@progbits,_ZN7rocprim17ROCPRIM_400000_NS6detail17trampoline_kernelINS0_14default_configENS1_25partition_config_selectorILNS1_17partition_subalgoE1EtNS0_10empty_typeEbEEZZNS1_14partition_implILS5_1ELb0ES3_jN6thrust23THRUST_200600_302600_NS6detail15normal_iteratorINSA_10device_ptrItEEEEPS6_NSA_18transform_iteratorI7is_evenItESF_NSA_11use_defaultESK_EENS0_5tupleIJSF_SF_EEENSM_IJSG_SG_EEES6_PlJS6_EEE10hipError_tPvRmT3_T4_T5_T6_T7_T9_mT8_P12ihipStream_tbDpT10_ENKUlT_T0_E_clISt17integral_constantIbLb1EES19_EEDaS14_S15_EUlS14_E_NS1_11comp_targetILNS1_3genE5ELNS1_11target_archE942ELNS1_3gpuE9ELNS1_3repE0EEENS1_30default_config_static_selectorELNS0_4arch9wavefront6targetE1EEEvT1_,comdat
.Lfunc_end2276:
	.size	_ZN7rocprim17ROCPRIM_400000_NS6detail17trampoline_kernelINS0_14default_configENS1_25partition_config_selectorILNS1_17partition_subalgoE1EtNS0_10empty_typeEbEEZZNS1_14partition_implILS5_1ELb0ES3_jN6thrust23THRUST_200600_302600_NS6detail15normal_iteratorINSA_10device_ptrItEEEEPS6_NSA_18transform_iteratorI7is_evenItESF_NSA_11use_defaultESK_EENS0_5tupleIJSF_SF_EEENSM_IJSG_SG_EEES6_PlJS6_EEE10hipError_tPvRmT3_T4_T5_T6_T7_T9_mT8_P12ihipStream_tbDpT10_ENKUlT_T0_E_clISt17integral_constantIbLb1EES19_EEDaS14_S15_EUlS14_E_NS1_11comp_targetILNS1_3genE5ELNS1_11target_archE942ELNS1_3gpuE9ELNS1_3repE0EEENS1_30default_config_static_selectorELNS0_4arch9wavefront6targetE1EEEvT1_, .Lfunc_end2276-_ZN7rocprim17ROCPRIM_400000_NS6detail17trampoline_kernelINS0_14default_configENS1_25partition_config_selectorILNS1_17partition_subalgoE1EtNS0_10empty_typeEbEEZZNS1_14partition_implILS5_1ELb0ES3_jN6thrust23THRUST_200600_302600_NS6detail15normal_iteratorINSA_10device_ptrItEEEEPS6_NSA_18transform_iteratorI7is_evenItESF_NSA_11use_defaultESK_EENS0_5tupleIJSF_SF_EEENSM_IJSG_SG_EEES6_PlJS6_EEE10hipError_tPvRmT3_T4_T5_T6_T7_T9_mT8_P12ihipStream_tbDpT10_ENKUlT_T0_E_clISt17integral_constantIbLb1EES19_EEDaS14_S15_EUlS14_E_NS1_11comp_targetILNS1_3genE5ELNS1_11target_archE942ELNS1_3gpuE9ELNS1_3repE0EEENS1_30default_config_static_selectorELNS0_4arch9wavefront6targetE1EEEvT1_
                                        ; -- End function
	.section	.AMDGPU.csdata,"",@progbits
; Kernel info:
; codeLenInByte = 0
; NumSgprs: 4
; NumVgprs: 0
; NumAgprs: 0
; TotalNumVgprs: 0
; ScratchSize: 0
; MemoryBound: 0
; FloatMode: 240
; IeeeMode: 1
; LDSByteSize: 0 bytes/workgroup (compile time only)
; SGPRBlocks: 0
; VGPRBlocks: 0
; NumSGPRsForWavesPerEU: 4
; NumVGPRsForWavesPerEU: 1
; AccumOffset: 4
; Occupancy: 8
; WaveLimiterHint : 0
; COMPUTE_PGM_RSRC2:SCRATCH_EN: 0
; COMPUTE_PGM_RSRC2:USER_SGPR: 6
; COMPUTE_PGM_RSRC2:TRAP_HANDLER: 0
; COMPUTE_PGM_RSRC2:TGID_X_EN: 1
; COMPUTE_PGM_RSRC2:TGID_Y_EN: 0
; COMPUTE_PGM_RSRC2:TGID_Z_EN: 0
; COMPUTE_PGM_RSRC2:TIDIG_COMP_CNT: 0
; COMPUTE_PGM_RSRC3_GFX90A:ACCUM_OFFSET: 0
; COMPUTE_PGM_RSRC3_GFX90A:TG_SPLIT: 0
	.section	.text._ZN7rocprim17ROCPRIM_400000_NS6detail17trampoline_kernelINS0_14default_configENS1_25partition_config_selectorILNS1_17partition_subalgoE1EtNS0_10empty_typeEbEEZZNS1_14partition_implILS5_1ELb0ES3_jN6thrust23THRUST_200600_302600_NS6detail15normal_iteratorINSA_10device_ptrItEEEEPS6_NSA_18transform_iteratorI7is_evenItESF_NSA_11use_defaultESK_EENS0_5tupleIJSF_SF_EEENSM_IJSG_SG_EEES6_PlJS6_EEE10hipError_tPvRmT3_T4_T5_T6_T7_T9_mT8_P12ihipStream_tbDpT10_ENKUlT_T0_E_clISt17integral_constantIbLb1EES19_EEDaS14_S15_EUlS14_E_NS1_11comp_targetILNS1_3genE4ELNS1_11target_archE910ELNS1_3gpuE8ELNS1_3repE0EEENS1_30default_config_static_selectorELNS0_4arch9wavefront6targetE1EEEvT1_,"axG",@progbits,_ZN7rocprim17ROCPRIM_400000_NS6detail17trampoline_kernelINS0_14default_configENS1_25partition_config_selectorILNS1_17partition_subalgoE1EtNS0_10empty_typeEbEEZZNS1_14partition_implILS5_1ELb0ES3_jN6thrust23THRUST_200600_302600_NS6detail15normal_iteratorINSA_10device_ptrItEEEEPS6_NSA_18transform_iteratorI7is_evenItESF_NSA_11use_defaultESK_EENS0_5tupleIJSF_SF_EEENSM_IJSG_SG_EEES6_PlJS6_EEE10hipError_tPvRmT3_T4_T5_T6_T7_T9_mT8_P12ihipStream_tbDpT10_ENKUlT_T0_E_clISt17integral_constantIbLb1EES19_EEDaS14_S15_EUlS14_E_NS1_11comp_targetILNS1_3genE4ELNS1_11target_archE910ELNS1_3gpuE8ELNS1_3repE0EEENS1_30default_config_static_selectorELNS0_4arch9wavefront6targetE1EEEvT1_,comdat
	.protected	_ZN7rocprim17ROCPRIM_400000_NS6detail17trampoline_kernelINS0_14default_configENS1_25partition_config_selectorILNS1_17partition_subalgoE1EtNS0_10empty_typeEbEEZZNS1_14partition_implILS5_1ELb0ES3_jN6thrust23THRUST_200600_302600_NS6detail15normal_iteratorINSA_10device_ptrItEEEEPS6_NSA_18transform_iteratorI7is_evenItESF_NSA_11use_defaultESK_EENS0_5tupleIJSF_SF_EEENSM_IJSG_SG_EEES6_PlJS6_EEE10hipError_tPvRmT3_T4_T5_T6_T7_T9_mT8_P12ihipStream_tbDpT10_ENKUlT_T0_E_clISt17integral_constantIbLb1EES19_EEDaS14_S15_EUlS14_E_NS1_11comp_targetILNS1_3genE4ELNS1_11target_archE910ELNS1_3gpuE8ELNS1_3repE0EEENS1_30default_config_static_selectorELNS0_4arch9wavefront6targetE1EEEvT1_ ; -- Begin function _ZN7rocprim17ROCPRIM_400000_NS6detail17trampoline_kernelINS0_14default_configENS1_25partition_config_selectorILNS1_17partition_subalgoE1EtNS0_10empty_typeEbEEZZNS1_14partition_implILS5_1ELb0ES3_jN6thrust23THRUST_200600_302600_NS6detail15normal_iteratorINSA_10device_ptrItEEEEPS6_NSA_18transform_iteratorI7is_evenItESF_NSA_11use_defaultESK_EENS0_5tupleIJSF_SF_EEENSM_IJSG_SG_EEES6_PlJS6_EEE10hipError_tPvRmT3_T4_T5_T6_T7_T9_mT8_P12ihipStream_tbDpT10_ENKUlT_T0_E_clISt17integral_constantIbLb1EES19_EEDaS14_S15_EUlS14_E_NS1_11comp_targetILNS1_3genE4ELNS1_11target_archE910ELNS1_3gpuE8ELNS1_3repE0EEENS1_30default_config_static_selectorELNS0_4arch9wavefront6targetE1EEEvT1_
	.globl	_ZN7rocprim17ROCPRIM_400000_NS6detail17trampoline_kernelINS0_14default_configENS1_25partition_config_selectorILNS1_17partition_subalgoE1EtNS0_10empty_typeEbEEZZNS1_14partition_implILS5_1ELb0ES3_jN6thrust23THRUST_200600_302600_NS6detail15normal_iteratorINSA_10device_ptrItEEEEPS6_NSA_18transform_iteratorI7is_evenItESF_NSA_11use_defaultESK_EENS0_5tupleIJSF_SF_EEENSM_IJSG_SG_EEES6_PlJS6_EEE10hipError_tPvRmT3_T4_T5_T6_T7_T9_mT8_P12ihipStream_tbDpT10_ENKUlT_T0_E_clISt17integral_constantIbLb1EES19_EEDaS14_S15_EUlS14_E_NS1_11comp_targetILNS1_3genE4ELNS1_11target_archE910ELNS1_3gpuE8ELNS1_3repE0EEENS1_30default_config_static_selectorELNS0_4arch9wavefront6targetE1EEEvT1_
	.p2align	8
	.type	_ZN7rocprim17ROCPRIM_400000_NS6detail17trampoline_kernelINS0_14default_configENS1_25partition_config_selectorILNS1_17partition_subalgoE1EtNS0_10empty_typeEbEEZZNS1_14partition_implILS5_1ELb0ES3_jN6thrust23THRUST_200600_302600_NS6detail15normal_iteratorINSA_10device_ptrItEEEEPS6_NSA_18transform_iteratorI7is_evenItESF_NSA_11use_defaultESK_EENS0_5tupleIJSF_SF_EEENSM_IJSG_SG_EEES6_PlJS6_EEE10hipError_tPvRmT3_T4_T5_T6_T7_T9_mT8_P12ihipStream_tbDpT10_ENKUlT_T0_E_clISt17integral_constantIbLb1EES19_EEDaS14_S15_EUlS14_E_NS1_11comp_targetILNS1_3genE4ELNS1_11target_archE910ELNS1_3gpuE8ELNS1_3repE0EEENS1_30default_config_static_selectorELNS0_4arch9wavefront6targetE1EEEvT1_,@function
_ZN7rocprim17ROCPRIM_400000_NS6detail17trampoline_kernelINS0_14default_configENS1_25partition_config_selectorILNS1_17partition_subalgoE1EtNS0_10empty_typeEbEEZZNS1_14partition_implILS5_1ELb0ES3_jN6thrust23THRUST_200600_302600_NS6detail15normal_iteratorINSA_10device_ptrItEEEEPS6_NSA_18transform_iteratorI7is_evenItESF_NSA_11use_defaultESK_EENS0_5tupleIJSF_SF_EEENSM_IJSG_SG_EEES6_PlJS6_EEE10hipError_tPvRmT3_T4_T5_T6_T7_T9_mT8_P12ihipStream_tbDpT10_ENKUlT_T0_E_clISt17integral_constantIbLb1EES19_EEDaS14_S15_EUlS14_E_NS1_11comp_targetILNS1_3genE4ELNS1_11target_archE910ELNS1_3gpuE8ELNS1_3repE0EEENS1_30default_config_static_selectorELNS0_4arch9wavefront6targetE1EEEvT1_: ; @_ZN7rocprim17ROCPRIM_400000_NS6detail17trampoline_kernelINS0_14default_configENS1_25partition_config_selectorILNS1_17partition_subalgoE1EtNS0_10empty_typeEbEEZZNS1_14partition_implILS5_1ELb0ES3_jN6thrust23THRUST_200600_302600_NS6detail15normal_iteratorINSA_10device_ptrItEEEEPS6_NSA_18transform_iteratorI7is_evenItESF_NSA_11use_defaultESK_EENS0_5tupleIJSF_SF_EEENSM_IJSG_SG_EEES6_PlJS6_EEE10hipError_tPvRmT3_T4_T5_T6_T7_T9_mT8_P12ihipStream_tbDpT10_ENKUlT_T0_E_clISt17integral_constantIbLb1EES19_EEDaS14_S15_EUlS14_E_NS1_11comp_targetILNS1_3genE4ELNS1_11target_archE910ELNS1_3gpuE8ELNS1_3repE0EEENS1_30default_config_static_selectorELNS0_4arch9wavefront6targetE1EEEvT1_
; %bb.0:
	s_load_dwordx2 s[6:7], s[4:5], 0x20
	s_load_dwordx4 s[20:23], s[4:5], 0x50
	s_load_dwordx2 s[2:3], s[4:5], 0x60
	s_load_dwordx2 s[30:31], s[4:5], 0x70
	v_cmp_eq_u32_e64 s[0:1], 0, v0
	s_and_saveexec_b64 s[8:9], s[0:1]
	s_cbranch_execz .LBB2277_4
; %bb.1:
	s_mov_b64 s[12:13], exec
	v_mbcnt_lo_u32_b32 v1, s12, 0
	v_mbcnt_hi_u32_b32 v1, s13, v1
	v_cmp_eq_u32_e32 vcc, 0, v1
                                        ; implicit-def: $vgpr2
	s_and_saveexec_b64 s[10:11], vcc
	s_cbranch_execz .LBB2277_3
; %bb.2:
	s_load_dwordx2 s[14:15], s[4:5], 0x80
	s_bcnt1_i32_b64 s12, s[12:13]
	v_mov_b32_e32 v2, 0
	v_mov_b32_e32 v3, s12
	s_waitcnt lgkmcnt(0)
	global_atomic_add v2, v2, v3, s[14:15] glc
.LBB2277_3:
	s_or_b64 exec, exec, s[10:11]
	s_waitcnt vmcnt(0)
	v_readfirstlane_b32 s10, v2
	v_add_u32_e32 v1, s10, v1
	v_mov_b32_e32 v2, 0
	ds_write_b32 v2, v1
.LBB2277_4:
	s_or_b64 exec, exec, s[8:9]
	v_mov_b32_e32 v3, 0
	s_load_dwordx4 s[16:19], s[4:5], 0x8
	s_load_dwordx4 s[24:27], s[4:5], 0x30
	s_load_dword s8, s[4:5], 0x78
	s_waitcnt lgkmcnt(0)
	s_barrier
	ds_read_b32 v1, v3
	s_waitcnt lgkmcnt(0)
	s_barrier
	global_load_dwordx2 v[10:11], v3, s[22:23]
	v_mov_b32_e32 v5, s3
	s_lshl_b64 s[4:5], s[18:19], 1
	s_movk_i32 s3, 0x1400
	s_add_u32 s9, s16, s4
	v_mul_lo_u32 v2, v1, s3
	s_mul_i32 s3, s8, 0x1400
	s_addc_u32 s10, s17, s5
	s_add_i32 s11, s8, -1
	s_add_i32 s8, s3, s18
	s_sub_i32 s33, s2, s8
	s_addk_i32 s33, 0x1400
	v_mov_b32_e32 v4, s2
	s_add_u32 s2, s18, s3
	v_readfirstlane_b32 s40, v1
	s_addc_u32 s3, s19, 0
	s_cmp_eq_u32 s40, s11
	s_cselect_b64 s[22:23], -1, 0
	s_cmp_lg_u32 s40, s11
	v_cmp_lt_u64_e32 vcc, s[2:3], v[4:5]
	s_cselect_b64 s[2:3], -1, 0
	v_lshlrev_b64 v[12:13], 1, v[2:3]
	s_or_b64 s[28:29], vcc, s[2:3]
	v_mov_b32_e32 v2, s10
	v_add_co_u32_e32 v1, vcc, s9, v12
	v_addc_co_u32_e32 v2, vcc, v2, v13, vcc
	s_mov_b64 s[2:3], -1
	s_and_b64 vcc, exec, s[28:29]
	v_lshlrev_b32_e32 v30, 1, v0
	s_cbranch_vccz .LBB2277_6
; %bb.5:
	v_add_co_u32_e32 v4, vcc, v1, v30
	v_addc_co_u32_e32 v5, vcc, 0, v2, vcc
	v_add_co_u32_e32 v6, vcc, 0x1000, v4
	v_addc_co_u32_e32 v7, vcc, 0, v5, vcc
	flat_load_ushort v3, v[4:5]
	flat_load_ushort v8, v[4:5] offset:512
	flat_load_ushort v9, v[4:5] offset:1024
	;; [unrolled: 1-line block ×7, first 2 shown]
	v_add_co_u32_e32 v4, vcc, 0x2000, v4
	v_addc_co_u32_e32 v5, vcc, 0, v5, vcc
	flat_load_ushort v19, v[6:7]
	flat_load_ushort v20, v[6:7] offset:512
	flat_load_ushort v21, v[6:7] offset:1024
	;; [unrolled: 1-line block ×7, first 2 shown]
	s_nop 0
	flat_load_ushort v6, v[4:5]
	flat_load_ushort v7, v[4:5] offset:512
	flat_load_ushort v27, v[4:5] offset:1024
	;; [unrolled: 1-line block ×3, first 2 shown]
	s_mov_b64 s[2:3], 0
	s_waitcnt vmcnt(0) lgkmcnt(0)
	ds_write_b16 v30, v3
	ds_write_b16 v30, v8 offset:512
	ds_write_b16 v30, v9 offset:1024
	;; [unrolled: 1-line block ×19, first 2 shown]
	s_waitcnt lgkmcnt(0)
	s_barrier
.LBB2277_6:
	s_andn2_b64 vcc, exec, s[2:3]
	v_cmp_gt_u32_e64 s[2:3], s33, v0
	s_cbranch_vccnz .LBB2277_48
; %bb.7:
                                        ; implicit-def: $vgpr3
	s_and_saveexec_b64 s[8:9], s[2:3]
	s_cbranch_execz .LBB2277_9
; %bb.8:
	v_add_co_u32_e32 v4, vcc, v1, v30
	v_addc_co_u32_e32 v5, vcc, 0, v2, vcc
	flat_load_ushort v3, v[4:5]
.LBB2277_9:
	s_or_b64 exec, exec, s[8:9]
	v_or_b32_e32 v4, 0x100, v0
	v_cmp_gt_u32_e32 vcc, s33, v4
                                        ; implicit-def: $vgpr4
	s_and_saveexec_b64 s[2:3], vcc
	s_cbranch_execz .LBB2277_11
; %bb.10:
	v_add_co_u32_e32 v4, vcc, v1, v30
	v_addc_co_u32_e32 v5, vcc, 0, v2, vcc
	flat_load_ushort v4, v[4:5] offset:512
.LBB2277_11:
	s_or_b64 exec, exec, s[2:3]
	v_or_b32_e32 v5, 0x200, v0
	v_cmp_gt_u32_e32 vcc, s33, v5
                                        ; implicit-def: $vgpr5
	s_and_saveexec_b64 s[2:3], vcc
	s_cbranch_execz .LBB2277_13
; %bb.12:
	v_add_co_u32_e32 v6, vcc, v1, v30
	v_addc_co_u32_e32 v7, vcc, 0, v2, vcc
	flat_load_ushort v5, v[6:7] offset:1024
.LBB2277_13:
	s_or_b64 exec, exec, s[2:3]
	v_or_b32_e32 v6, 0x300, v0
	v_cmp_gt_u32_e32 vcc, s33, v6
                                        ; implicit-def: $vgpr6
	s_and_saveexec_b64 s[2:3], vcc
	s_cbranch_execz .LBB2277_15
; %bb.14:
	v_add_co_u32_e32 v6, vcc, v1, v30
	v_addc_co_u32_e32 v7, vcc, 0, v2, vcc
	flat_load_ushort v6, v[6:7] offset:1536
.LBB2277_15:
	s_or_b64 exec, exec, s[2:3]
	v_or_b32_e32 v7, 0x400, v0
	v_cmp_gt_u32_e32 vcc, s33, v7
                                        ; implicit-def: $vgpr7
	s_and_saveexec_b64 s[2:3], vcc
	s_cbranch_execz .LBB2277_17
; %bb.16:
	v_add_co_u32_e32 v8, vcc, v1, v30
	v_addc_co_u32_e32 v9, vcc, 0, v2, vcc
	flat_load_ushort v7, v[8:9] offset:2048
.LBB2277_17:
	s_or_b64 exec, exec, s[2:3]
	v_or_b32_e32 v8, 0x500, v0
	v_cmp_gt_u32_e32 vcc, s33, v8
                                        ; implicit-def: $vgpr8
	s_and_saveexec_b64 s[2:3], vcc
	s_cbranch_execz .LBB2277_19
; %bb.18:
	v_add_co_u32_e32 v8, vcc, v1, v30
	v_addc_co_u32_e32 v9, vcc, 0, v2, vcc
	flat_load_ushort v8, v[8:9] offset:2560
.LBB2277_19:
	s_or_b64 exec, exec, s[2:3]
	v_or_b32_e32 v9, 0x600, v0
	v_cmp_gt_u32_e32 vcc, s33, v9
                                        ; implicit-def: $vgpr9
	s_and_saveexec_b64 s[2:3], vcc
	s_cbranch_execz .LBB2277_21
; %bb.20:
	v_add_co_u32_e32 v14, vcc, v1, v30
	v_addc_co_u32_e32 v15, vcc, 0, v2, vcc
	flat_load_ushort v9, v[14:15] offset:3072
.LBB2277_21:
	s_or_b64 exec, exec, s[2:3]
	v_or_b32_e32 v14, 0x700, v0
	v_cmp_gt_u32_e32 vcc, s33, v14
                                        ; implicit-def: $vgpr14
	s_and_saveexec_b64 s[2:3], vcc
	s_cbranch_execz .LBB2277_23
; %bb.22:
	v_add_co_u32_e32 v14, vcc, v1, v30
	v_addc_co_u32_e32 v15, vcc, 0, v2, vcc
	flat_load_ushort v14, v[14:15] offset:3584
.LBB2277_23:
	s_or_b64 exec, exec, s[2:3]
	v_or_b32_e32 v16, 0x800, v0
	v_cmp_gt_u32_e32 vcc, s33, v16
                                        ; implicit-def: $vgpr15
	s_and_saveexec_b64 s[2:3], vcc
	s_cbranch_execz .LBB2277_25
; %bb.24:
	v_lshlrev_b32_e32 v15, 1, v16
	v_add_co_u32_e32 v16, vcc, v1, v15
	v_addc_co_u32_e32 v17, vcc, 0, v2, vcc
	flat_load_ushort v15, v[16:17]
.LBB2277_25:
	s_or_b64 exec, exec, s[2:3]
	v_or_b32_e32 v17, 0x900, v0
	v_cmp_gt_u32_e32 vcc, s33, v17
                                        ; implicit-def: $vgpr16
	s_and_saveexec_b64 s[2:3], vcc
	s_cbranch_execz .LBB2277_27
; %bb.26:
	v_lshlrev_b32_e32 v16, 1, v17
	v_add_co_u32_e32 v16, vcc, v1, v16
	v_addc_co_u32_e32 v17, vcc, 0, v2, vcc
	flat_load_ushort v16, v[16:17]
.LBB2277_27:
	s_or_b64 exec, exec, s[2:3]
	v_or_b32_e32 v18, 0xa00, v0
	v_cmp_gt_u32_e32 vcc, s33, v18
                                        ; implicit-def: $vgpr17
	s_and_saveexec_b64 s[2:3], vcc
	s_cbranch_execz .LBB2277_29
; %bb.28:
	v_lshlrev_b32_e32 v17, 1, v18
	v_add_co_u32_e32 v18, vcc, v1, v17
	v_addc_co_u32_e32 v19, vcc, 0, v2, vcc
	flat_load_ushort v17, v[18:19]
.LBB2277_29:
	s_or_b64 exec, exec, s[2:3]
	v_or_b32_e32 v19, 0xb00, v0
	v_cmp_gt_u32_e32 vcc, s33, v19
                                        ; implicit-def: $vgpr18
	s_and_saveexec_b64 s[2:3], vcc
	s_cbranch_execz .LBB2277_31
; %bb.30:
	v_lshlrev_b32_e32 v18, 1, v19
	v_add_co_u32_e32 v18, vcc, v1, v18
	v_addc_co_u32_e32 v19, vcc, 0, v2, vcc
	flat_load_ushort v18, v[18:19]
.LBB2277_31:
	s_or_b64 exec, exec, s[2:3]
	v_or_b32_e32 v20, 0xc00, v0
	v_cmp_gt_u32_e32 vcc, s33, v20
                                        ; implicit-def: $vgpr19
	s_and_saveexec_b64 s[2:3], vcc
	s_cbranch_execz .LBB2277_33
; %bb.32:
	v_lshlrev_b32_e32 v19, 1, v20
	v_add_co_u32_e32 v20, vcc, v1, v19
	v_addc_co_u32_e32 v21, vcc, 0, v2, vcc
	flat_load_ushort v19, v[20:21]
.LBB2277_33:
	s_or_b64 exec, exec, s[2:3]
	v_or_b32_e32 v21, 0xd00, v0
	v_cmp_gt_u32_e32 vcc, s33, v21
                                        ; implicit-def: $vgpr20
	s_and_saveexec_b64 s[2:3], vcc
	s_cbranch_execz .LBB2277_35
; %bb.34:
	v_lshlrev_b32_e32 v20, 1, v21
	v_add_co_u32_e32 v20, vcc, v1, v20
	v_addc_co_u32_e32 v21, vcc, 0, v2, vcc
	flat_load_ushort v20, v[20:21]
.LBB2277_35:
	s_or_b64 exec, exec, s[2:3]
	v_or_b32_e32 v22, 0xe00, v0
	v_cmp_gt_u32_e32 vcc, s33, v22
                                        ; implicit-def: $vgpr21
	s_and_saveexec_b64 s[2:3], vcc
	s_cbranch_execz .LBB2277_37
; %bb.36:
	v_lshlrev_b32_e32 v21, 1, v22
	v_add_co_u32_e32 v22, vcc, v1, v21
	v_addc_co_u32_e32 v23, vcc, 0, v2, vcc
	flat_load_ushort v21, v[22:23]
.LBB2277_37:
	s_or_b64 exec, exec, s[2:3]
	v_or_b32_e32 v23, 0xf00, v0
	v_cmp_gt_u32_e32 vcc, s33, v23
                                        ; implicit-def: $vgpr22
	s_and_saveexec_b64 s[2:3], vcc
	s_cbranch_execz .LBB2277_39
; %bb.38:
	v_lshlrev_b32_e32 v22, 1, v23
	v_add_co_u32_e32 v22, vcc, v1, v22
	v_addc_co_u32_e32 v23, vcc, 0, v2, vcc
	flat_load_ushort v22, v[22:23]
.LBB2277_39:
	s_or_b64 exec, exec, s[2:3]
	v_or_b32_e32 v24, 0x1000, v0
	v_cmp_gt_u32_e32 vcc, s33, v24
                                        ; implicit-def: $vgpr23
	s_and_saveexec_b64 s[2:3], vcc
	s_cbranch_execz .LBB2277_41
; %bb.40:
	v_lshlrev_b32_e32 v23, 1, v24
	v_add_co_u32_e32 v24, vcc, v1, v23
	v_addc_co_u32_e32 v25, vcc, 0, v2, vcc
	flat_load_ushort v23, v[24:25]
.LBB2277_41:
	s_or_b64 exec, exec, s[2:3]
	v_or_b32_e32 v25, 0x1100, v0
	v_cmp_gt_u32_e32 vcc, s33, v25
                                        ; implicit-def: $vgpr24
	s_and_saveexec_b64 s[2:3], vcc
	s_cbranch_execz .LBB2277_43
; %bb.42:
	v_lshlrev_b32_e32 v24, 1, v25
	v_add_co_u32_e32 v24, vcc, v1, v24
	v_addc_co_u32_e32 v25, vcc, 0, v2, vcc
	flat_load_ushort v24, v[24:25]
.LBB2277_43:
	s_or_b64 exec, exec, s[2:3]
	v_or_b32_e32 v26, 0x1200, v0
	v_cmp_gt_u32_e32 vcc, s33, v26
                                        ; implicit-def: $vgpr25
	s_and_saveexec_b64 s[2:3], vcc
	s_cbranch_execz .LBB2277_45
; %bb.44:
	v_lshlrev_b32_e32 v25, 1, v26
	v_add_co_u32_e32 v26, vcc, v1, v25
	v_addc_co_u32_e32 v27, vcc, 0, v2, vcc
	flat_load_ushort v25, v[26:27]
.LBB2277_45:
	s_or_b64 exec, exec, s[2:3]
	v_or_b32_e32 v27, 0x1300, v0
	v_cmp_gt_u32_e32 vcc, s33, v27
                                        ; implicit-def: $vgpr26
	s_and_saveexec_b64 s[2:3], vcc
	s_cbranch_execz .LBB2277_47
; %bb.46:
	v_lshlrev_b32_e32 v26, 1, v27
	v_add_co_u32_e32 v26, vcc, v1, v26
	v_addc_co_u32_e32 v27, vcc, 0, v2, vcc
	flat_load_ushort v26, v[26:27]
.LBB2277_47:
	s_or_b64 exec, exec, s[2:3]
	s_waitcnt vmcnt(0) lgkmcnt(0)
	ds_write_b16 v30, v3
	ds_write_b16 v30, v4 offset:512
	ds_write_b16 v30, v5 offset:1024
	;; [unrolled: 1-line block ×19, first 2 shown]
	s_waitcnt lgkmcnt(0)
	s_barrier
.LBB2277_48:
	v_mul_u32_u24_e32 v31, 20, v0
	v_lshlrev_b32_e32 v1, 1, v31
	ds_read_b64 v[14:15], v1 offset:32
	ds_read2_b64 v[2:5], v1 offset0:2 offset1:3
	ds_read2_b64 v[6:9], v1 offset1:1
	s_add_u32 s2, s6, s4
	s_addc_u32 s3, s7, s5
	v_mov_b32_e32 v1, s3
	v_add_co_u32_e32 v16, vcc, s2, v12
	v_addc_co_u32_e32 v1, vcc, v1, v13, vcc
	s_mov_b64 s[2:3], -1
	s_and_b64 vcc, exec, s[28:29]
	s_waitcnt lgkmcnt(0)
	s_barrier
	s_cbranch_vccz .LBB2277_50
; %bb.49:
	v_add_co_u32_e32 v17, vcc, v16, v30
	v_readfirstlane_b32 s2, v16
	v_readfirstlane_b32 s3, v1
	v_addc_co_u32_e32 v21, vcc, 0, v1, vcc
	s_nop 3
	global_load_ubyte v22, v30, s[2:3]
	global_load_ubyte v23, v30, s[2:3] offset:512
	global_load_ubyte v24, v30, s[2:3] offset:1024
	;; [unrolled: 1-line block ×7, first 2 shown]
	s_movk_i32 s2, 0x1000
	v_add_co_u32_e32 v18, vcc, s2, v17
	v_addc_co_u32_e32 v19, vcc, 0, v21, vcc
	s_movk_i32 s2, 0x2000
	v_add_co_u32_e32 v20, vcc, s2, v17
	v_addc_co_u32_e32 v21, vcc, 0, v21, vcc
	global_load_ubyte v17, v[20:21], off offset:-4096
	global_load_ubyte v32, v[18:19], off offset:512
	global_load_ubyte v33, v[18:19], off offset:1024
	;; [unrolled: 1-line block ×7, first 2 shown]
	global_load_ubyte v39, v[20:21], off
	global_load_ubyte v40, v[20:21], off offset:512
	global_load_ubyte v41, v[20:21], off offset:1024
	;; [unrolled: 1-line block ×3, first 2 shown]
	s_mov_b64 s[2:3], 0
	s_waitcnt vmcnt(19)
	v_xor_b32_e32 v18, -1, v22
	s_waitcnt vmcnt(18)
	v_xor_b32_e32 v19, -1, v23
	;; [unrolled: 2-line block ×8, first 2 shown]
	v_and_b32_e32 v18, 1, v18
	s_waitcnt vmcnt(11)
	v_xor_b32_e32 v17, -1, v17
	s_waitcnt vmcnt(10)
	v_xor_b32_e32 v26, -1, v32
	s_waitcnt vmcnt(9)
	v_xor_b32_e32 v27, -1, v33
	s_waitcnt vmcnt(8)
	v_xor_b32_e32 v28, -1, v34
	s_waitcnt vmcnt(7)
	v_xor_b32_e32 v29, -1, v35
	s_waitcnt vmcnt(6)
	v_xor_b32_e32 v32, -1, v36
	s_waitcnt vmcnt(5)
	v_xor_b32_e32 v33, -1, v37
	s_waitcnt vmcnt(4)
	v_xor_b32_e32 v34, -1, v38
	s_waitcnt vmcnt(3)
	v_xor_b32_e32 v35, -1, v39
	s_waitcnt vmcnt(2)
	v_xor_b32_e32 v36, -1, v40
	s_waitcnt vmcnt(1)
	v_xor_b32_e32 v37, -1, v41
	s_waitcnt vmcnt(0)
	v_xor_b32_e32 v38, -1, v42
	v_and_b32_e32 v19, 1, v19
	v_and_b32_e32 v20, 1, v20
	;; [unrolled: 1-line block ×19, first 2 shown]
	ds_write_b8 v0, v18
	ds_write_b8 v0, v19 offset:256
	ds_write_b8 v0, v20 offset:512
	;; [unrolled: 1-line block ×19, first 2 shown]
	s_waitcnt lgkmcnt(0)
	s_barrier
.LBB2277_50:
	s_andn2_b64 vcc, exec, s[2:3]
	s_cbranch_vccnz .LBB2277_92
; %bb.51:
	v_cmp_gt_u32_e32 vcc, s33, v0
	v_mov_b32_e32 v17, 0
	v_mov_b32_e32 v18, 0
	s_and_saveexec_b64 s[2:3], vcc
	s_cbranch_execz .LBB2277_53
; %bb.52:
	v_readfirstlane_b32 s4, v16
	v_readfirstlane_b32 s5, v1
	s_nop 4
	global_load_ubyte v18, v30, s[4:5]
	s_waitcnt vmcnt(0)
	v_xor_b32_e32 v18, -1, v18
	v_and_b32_e32 v18, 1, v18
.LBB2277_53:
	s_or_b64 exec, exec, s[2:3]
	v_or_b32_e32 v19, 0x100, v0
	v_cmp_gt_u32_e32 vcc, s33, v19
	s_and_saveexec_b64 s[2:3], vcc
	s_cbranch_execz .LBB2277_55
; %bb.54:
	v_readfirstlane_b32 s4, v16
	v_readfirstlane_b32 s5, v1
	s_nop 4
	global_load_ubyte v17, v30, s[4:5] offset:512
	s_waitcnt vmcnt(0)
	v_xor_b32_e32 v17, -1, v17
	v_and_b32_e32 v17, 1, v17
.LBB2277_55:
	s_or_b64 exec, exec, s[2:3]
	v_or_b32_e32 v19, 0x200, v0
	v_cmp_gt_u32_e32 vcc, s33, v19
	v_mov_b32_e32 v19, 0
	v_mov_b32_e32 v20, 0
	s_and_saveexec_b64 s[2:3], vcc
	s_cbranch_execz .LBB2277_57
; %bb.56:
	v_readfirstlane_b32 s4, v16
	v_readfirstlane_b32 s5, v1
	s_nop 4
	global_load_ubyte v20, v30, s[4:5] offset:1024
	s_waitcnt vmcnt(0)
	v_xor_b32_e32 v20, -1, v20
	v_and_b32_e32 v20, 1, v20
.LBB2277_57:
	s_or_b64 exec, exec, s[2:3]
	v_or_b32_e32 v21, 0x300, v0
	v_cmp_gt_u32_e32 vcc, s33, v21
	s_and_saveexec_b64 s[2:3], vcc
	s_cbranch_execz .LBB2277_59
; %bb.58:
	v_readfirstlane_b32 s4, v16
	v_readfirstlane_b32 s5, v1
	s_nop 4
	global_load_ubyte v19, v30, s[4:5] offset:1536
	s_waitcnt vmcnt(0)
	v_xor_b32_e32 v19, -1, v19
	v_and_b32_e32 v19, 1, v19
.LBB2277_59:
	s_or_b64 exec, exec, s[2:3]
	v_or_b32_e32 v21, 0x400, v0
	v_cmp_gt_u32_e32 vcc, s33, v21
	v_mov_b32_e32 v21, 0
	v_mov_b32_e32 v22, 0
	s_and_saveexec_b64 s[2:3], vcc
	s_cbranch_execz .LBB2277_61
; %bb.60:
	v_readfirstlane_b32 s4, v16
	v_readfirstlane_b32 s5, v1
	s_nop 4
	global_load_ubyte v22, v30, s[4:5] offset:2048
	s_waitcnt vmcnt(0)
	v_xor_b32_e32 v22, -1, v22
	v_and_b32_e32 v22, 1, v22
.LBB2277_61:
	;; [unrolled: 30-line block ×3, first 2 shown]
	s_or_b64 exec, exec, s[2:3]
	v_or_b32_e32 v25, 0x700, v0
	v_cmp_gt_u32_e32 vcc, s33, v25
	s_and_saveexec_b64 s[2:3], vcc
	s_cbranch_execz .LBB2277_67
; %bb.66:
	v_readfirstlane_b32 s4, v16
	v_readfirstlane_b32 s5, v1
	s_nop 4
	global_load_ubyte v23, v30, s[4:5] offset:3584
	s_waitcnt vmcnt(0)
	v_xor_b32_e32 v23, -1, v23
	v_and_b32_e32 v23, 1, v23
.LBB2277_67:
	s_or_b64 exec, exec, s[2:3]
	v_or_b32_e32 v27, 0x800, v0
	v_cmp_gt_u32_e32 vcc, s33, v27
	v_mov_b32_e32 v25, 0
	v_mov_b32_e32 v26, 0
	s_and_saveexec_b64 s[2:3], vcc
	s_cbranch_execz .LBB2277_69
; %bb.68:
	v_lshlrev_b32_e32 v26, 1, v27
	v_readfirstlane_b32 s4, v16
	v_readfirstlane_b32 s5, v1
	s_nop 4
	global_load_ubyte v26, v26, s[4:5]
	s_waitcnt vmcnt(0)
	v_xor_b32_e32 v26, -1, v26
	v_and_b32_e32 v26, 1, v26
.LBB2277_69:
	s_or_b64 exec, exec, s[2:3]
	v_or_b32_e32 v27, 0x900, v0
	v_cmp_gt_u32_e32 vcc, s33, v27
	s_and_saveexec_b64 s[2:3], vcc
	s_cbranch_execz .LBB2277_71
; %bb.70:
	v_lshlrev_b32_e32 v25, 1, v27
	v_readfirstlane_b32 s4, v16
	v_readfirstlane_b32 s5, v1
	s_nop 4
	global_load_ubyte v25, v25, s[4:5]
	s_waitcnt vmcnt(0)
	v_xor_b32_e32 v25, -1, v25
	v_and_b32_e32 v25, 1, v25
.LBB2277_71:
	s_or_b64 exec, exec, s[2:3]
	v_or_b32_e32 v29, 0xa00, v0
	v_cmp_gt_u32_e32 vcc, s33, v29
	v_mov_b32_e32 v27, 0
	v_mov_b32_e32 v28, 0
	s_and_saveexec_b64 s[2:3], vcc
	s_cbranch_execz .LBB2277_73
; %bb.72:
	v_lshlrev_b32_e32 v28, 1, v29
	v_readfirstlane_b32 s4, v16
	v_readfirstlane_b32 s5, v1
	s_nop 4
	global_load_ubyte v28, v28, s[4:5]
	s_waitcnt vmcnt(0)
	v_xor_b32_e32 v28, -1, v28
	v_and_b32_e32 v28, 1, v28
.LBB2277_73:
	s_or_b64 exec, exec, s[2:3]
	v_or_b32_e32 v29, 0xb00, v0
	v_cmp_gt_u32_e32 vcc, s33, v29
	s_and_saveexec_b64 s[2:3], vcc
	s_cbranch_execz .LBB2277_75
; %bb.74:
	v_lshlrev_b32_e32 v27, 1, v29
	v_readfirstlane_b32 s4, v16
	v_readfirstlane_b32 s5, v1
	s_nop 4
	global_load_ubyte v27, v27, s[4:5]
	s_waitcnt vmcnt(0)
	v_xor_b32_e32 v27, -1, v27
	v_and_b32_e32 v27, 1, v27
.LBB2277_75:
	;; [unrolled: 32-line block ×6, first 2 shown]
	s_or_b64 exec, exec, s[2:3]
	ds_write_b8 v0, v18
	ds_write_b8 v0, v17 offset:256
	ds_write_b8 v0, v20 offset:512
	;; [unrolled: 1-line block ×19, first 2 shown]
	s_waitcnt lgkmcnt(0)
	s_barrier
.LBB2277_92:
	ds_read2_b32 v[20:21], v31 offset1:1
	ds_read2_b32 v[18:19], v31 offset0:2 offset1:3
	ds_read_b32 v32, v31 offset:16
	s_cmp_lg_u32 s40, 0
	v_lshrrev_b32_e32 v51, 6, v0
	s_waitcnt lgkmcnt(2)
	v_lshrrev_b32_e32 v37, 24, v20
	v_bfe_u32 v49, v20, 16, 8
	v_add_u32_sdwa v16, v20, v20 dst_sel:DWORD dst_unused:UNUSED_PAD src0_sel:BYTE_1 src1_sel:BYTE_0
	v_and_b32_e32 v46, 0xff, v21
	v_bfe_u32 v47, v21, 8, 8
	v_add3_u32 v16, v16, v49, v37
	v_lshrrev_b32_e32 v36, 24, v21
	v_bfe_u32 v48, v21, 16, 8
	v_add3_u32 v16, v16, v46, v47
	s_waitcnt lgkmcnt(1)
	v_and_b32_e32 v43, 0xff, v18
	v_bfe_u32 v44, v18, 8, 8
	v_add3_u32 v16, v16, v48, v36
	v_lshrrev_b32_e32 v35, 24, v18
	v_bfe_u32 v45, v18, 16, 8
	v_add3_u32 v16, v16, v43, v44
	v_and_b32_e32 v40, 0xff, v19
	v_bfe_u32 v41, v19, 8, 8
	v_add3_u32 v16, v16, v45, v35
	v_lshrrev_b32_e32 v34, 24, v19
	v_bfe_u32 v42, v19, 16, 8
	v_add3_u32 v16, v16, v40, v41
	s_waitcnt lgkmcnt(0)
	v_and_b32_e32 v38, 0xff, v32
	v_bfe_u32 v39, v32, 8, 8
	v_add3_u32 v16, v16, v42, v34
	v_lshrrev_b32_e32 v1, 24, v32
	v_bfe_u32 v33, v32, 16, 8
	v_add3_u32 v16, v16, v38, v39
	v_add3_u32 v52, v16, v33, v1
	v_mbcnt_lo_u32_b32 v16, -1, 0
	v_mbcnt_hi_u32_b32 v50, -1, v16
	v_and_b32_e32 v16, 15, v50
	v_cmp_eq_u32_e64 s[14:15], 0, v16
	v_cmp_lt_u32_e64 s[12:13], 1, v16
	v_cmp_lt_u32_e64 s[10:11], 3, v16
	;; [unrolled: 1-line block ×3, first 2 shown]
	v_and_b32_e32 v16, 16, v50
	v_cmp_eq_u32_e64 s[6:7], 0, v16
	v_or_b32_e32 v16, 63, v0
	v_cmp_lt_u32_e64 s[2:3], 31, v50
	v_cmp_eq_u32_e64 s[4:5], v16, v0
	s_barrier
	s_cbranch_scc0 .LBB2277_123
; %bb.93:
	v_mov_b32_dpp v16, v52 row_shr:1 row_mask:0xf bank_mask:0xf
	v_cndmask_b32_e64 v16, v16, 0, s[14:15]
	v_add_u32_e32 v16, v16, v52
	s_nop 1
	v_mov_b32_dpp v17, v16 row_shr:2 row_mask:0xf bank_mask:0xf
	v_cndmask_b32_e64 v17, 0, v17, s[12:13]
	v_add_u32_e32 v16, v16, v17
	s_nop 1
	;; [unrolled: 4-line block ×4, first 2 shown]
	v_mov_b32_dpp v17, v16 row_bcast:15 row_mask:0xf bank_mask:0xf
	v_cndmask_b32_e64 v17, v17, 0, s[6:7]
	v_add_u32_e32 v16, v16, v17
	s_nop 1
	v_mov_b32_dpp v17, v16 row_bcast:31 row_mask:0xf bank_mask:0xf
	v_cndmask_b32_e64 v17, 0, v17, s[2:3]
	v_add_u32_e32 v16, v16, v17
	s_and_saveexec_b64 s[16:17], s[4:5]
	s_cbranch_execz .LBB2277_95
; %bb.94:
	v_lshlrev_b32_e32 v17, 2, v51
	ds_write_b32 v17, v16
.LBB2277_95:
	s_or_b64 exec, exec, s[16:17]
	v_cmp_gt_u32_e32 vcc, 4, v0
	s_waitcnt lgkmcnt(0)
	s_barrier
	s_and_saveexec_b64 s[16:17], vcc
	s_cbranch_execz .LBB2277_97
; %bb.96:
	v_lshlrev_b32_e32 v17, 2, v0
	ds_read_b32 v22, v17
	v_and_b32_e32 v23, 3, v50
	v_cmp_ne_u32_e32 vcc, 0, v23
	s_waitcnt lgkmcnt(0)
	v_mov_b32_dpp v24, v22 row_shr:1 row_mask:0xf bank_mask:0xf
	v_cndmask_b32_e32 v24, 0, v24, vcc
	v_add_u32_e32 v22, v24, v22
	v_cmp_lt_u32_e32 vcc, 1, v23
	s_nop 0
	v_mov_b32_dpp v24, v22 row_shr:2 row_mask:0xf bank_mask:0xf
	v_cndmask_b32_e32 v23, 0, v24, vcc
	v_add_u32_e32 v22, v22, v23
	ds_write_b32 v17, v22
.LBB2277_97:
	s_or_b64 exec, exec, s[16:17]
	v_cmp_gt_u32_e32 vcc, 64, v0
	v_cmp_lt_u32_e64 s[16:17], 63, v0
	s_waitcnt lgkmcnt(0)
	s_barrier
	s_waitcnt lgkmcnt(0)
                                        ; implicit-def: $vgpr53
	s_and_saveexec_b64 s[34:35], s[16:17]
	s_cbranch_execz .LBB2277_99
; %bb.98:
	v_lshl_add_u32 v17, v51, 2, -4
	ds_read_b32 v53, v17
	s_waitcnt lgkmcnt(0)
	v_add_u32_e32 v16, v53, v16
.LBB2277_99:
	s_or_b64 exec, exec, s[34:35]
	v_add_u32_e32 v17, -1, v50
	v_and_b32_e32 v22, 64, v50
	v_cmp_lt_i32_e64 s[16:17], v17, v22
	v_cndmask_b32_e64 v17, v17, v50, s[16:17]
	v_lshlrev_b32_e32 v17, 2, v17
	ds_bpermute_b32 v54, v17, v16
	v_cmp_eq_u32_e64 s[16:17], 0, v50
	s_and_saveexec_b64 s[34:35], vcc
	s_cbranch_execz .LBB2277_122
; %bb.100:
	v_mov_b32_e32 v29, 0
	ds_read_b32 v16, v29 offset:12
	s_and_saveexec_b64 s[36:37], s[16:17]
	s_cbranch_execz .LBB2277_102
; %bb.101:
	s_add_i32 s38, s40, 64
	s_mov_b32 s39, 0
	s_lshl_b64 s[38:39], s[38:39], 3
	s_add_u32 s38, s30, s38
	v_mov_b32_e32 v17, 1
	s_addc_u32 s39, s31, s39
	s_waitcnt lgkmcnt(0)
	global_store_dwordx2 v29, v[16:17], s[38:39]
.LBB2277_102:
	s_or_b64 exec, exec, s[36:37]
	v_xad_u32 v22, v50, -1, s40
	v_add_u32_e32 v28, 64, v22
	v_lshlrev_b64 v[24:25], 3, v[28:29]
	v_mov_b32_e32 v17, s31
	v_add_co_u32_e32 v24, vcc, s30, v24
	v_addc_co_u32_e32 v25, vcc, v17, v25, vcc
	global_load_dwordx2 v[26:27], v[24:25], off glc
	s_waitcnt vmcnt(0)
	v_cmp_eq_u16_sdwa s[38:39], v27, v29 src0_sel:BYTE_0 src1_sel:DWORD
	s_and_saveexec_b64 s[36:37], s[38:39]
	s_cbranch_execz .LBB2277_108
; %bb.103:
	s_mov_b32 s41, 1
	s_mov_b64 s[38:39], 0
	v_mov_b32_e32 v17, 0
.LBB2277_104:                           ; =>This Loop Header: Depth=1
                                        ;     Child Loop BB2277_105 Depth 2
	s_max_u32 s42, s41, 1
.LBB2277_105:                           ;   Parent Loop BB2277_104 Depth=1
                                        ; =>  This Inner Loop Header: Depth=2
	s_add_i32 s42, s42, -1
	s_cmp_eq_u32 s42, 0
	s_sleep 1
	s_cbranch_scc0 .LBB2277_105
; %bb.106:                              ;   in Loop: Header=BB2277_104 Depth=1
	global_load_dwordx2 v[26:27], v[24:25], off glc
	s_cmp_lt_u32 s41, 32
	s_cselect_b64 s[42:43], -1, 0
	s_cmp_lg_u64 s[42:43], 0
	s_addc_u32 s41, s41, 0
	s_waitcnt vmcnt(0)
	v_cmp_ne_u16_sdwa s[42:43], v27, v17 src0_sel:BYTE_0 src1_sel:DWORD
	s_or_b64 s[38:39], s[42:43], s[38:39]
	s_andn2_b64 exec, exec, s[38:39]
	s_cbranch_execnz .LBB2277_104
; %bb.107:
	s_or_b64 exec, exec, s[38:39]
.LBB2277_108:
	s_or_b64 exec, exec, s[36:37]
	v_and_b32_e32 v56, 63, v50
	v_mov_b32_e32 v55, 2
	v_cmp_ne_u32_e32 vcc, 63, v56
	v_cmp_eq_u16_sdwa s[36:37], v27, v55 src0_sel:BYTE_0 src1_sel:DWORD
	v_lshlrev_b64 v[24:25], v50, -1
	v_addc_co_u32_e32 v28, vcc, 0, v50, vcc
	v_and_b32_e32 v17, s37, v25
	v_lshlrev_b32_e32 v57, 2, v28
	v_or_b32_e32 v17, 0x80000000, v17
	ds_bpermute_b32 v28, v57, v26
	v_and_b32_e32 v23, s36, v24
	v_ffbl_b32_e32 v17, v17
	v_add_u32_e32 v17, 32, v17
	v_ffbl_b32_e32 v23, v23
	v_min_u32_e32 v17, v23, v17
	v_cmp_lt_u32_e32 vcc, v56, v17
	s_waitcnt lgkmcnt(0)
	v_cndmask_b32_e32 v23, 0, v28, vcc
	v_cmp_gt_u32_e32 vcc, 62, v56
	v_add_u32_e32 v23, v23, v26
	v_cndmask_b32_e64 v26, 0, 1, vcc
	v_lshlrev_b32_e32 v26, 1, v26
	v_add_lshl_u32 v58, v26, v50, 2
	ds_bpermute_b32 v26, v58, v23
	v_add_u32_e32 v59, 2, v56
	v_cmp_le_u32_e32 vcc, v59, v17
	v_add_u32_e32 v61, 4, v56
	v_add_u32_e32 v63, 8, v56
	s_waitcnt lgkmcnt(0)
	v_cndmask_b32_e32 v26, 0, v26, vcc
	v_cmp_gt_u32_e32 vcc, 60, v56
	v_add_u32_e32 v23, v23, v26
	v_cndmask_b32_e64 v26, 0, 1, vcc
	v_lshlrev_b32_e32 v26, 2, v26
	v_add_lshl_u32 v60, v26, v50, 2
	ds_bpermute_b32 v26, v60, v23
	v_cmp_le_u32_e32 vcc, v61, v17
	v_add_u32_e32 v65, 16, v56
	v_add_u32_e32 v67, 32, v56
	s_waitcnt lgkmcnt(0)
	v_cndmask_b32_e32 v26, 0, v26, vcc
	v_cmp_gt_u32_e32 vcc, 56, v56
	v_add_u32_e32 v23, v23, v26
	v_cndmask_b32_e64 v26, 0, 1, vcc
	v_lshlrev_b32_e32 v26, 3, v26
	v_add_lshl_u32 v62, v26, v50, 2
	ds_bpermute_b32 v26, v62, v23
	v_cmp_le_u32_e32 vcc, v63, v17
	s_waitcnt lgkmcnt(0)
	v_cndmask_b32_e32 v26, 0, v26, vcc
	v_cmp_gt_u32_e32 vcc, 48, v56
	v_add_u32_e32 v23, v23, v26
	v_cndmask_b32_e64 v26, 0, 1, vcc
	v_lshlrev_b32_e32 v26, 4, v26
	v_add_lshl_u32 v64, v26, v50, 2
	ds_bpermute_b32 v26, v64, v23
	v_cmp_le_u32_e32 vcc, v65, v17
	;; [unrolled: 9-line block ×3, first 2 shown]
	s_waitcnt lgkmcnt(0)
	v_cndmask_b32_e32 v17, 0, v26, vcc
	v_add_u32_e32 v26, v23, v17
	v_mov_b32_e32 v23, 0
	s_branch .LBB2277_110
.LBB2277_109:                           ;   in Loop: Header=BB2277_110 Depth=1
	s_or_b64 exec, exec, s[36:37]
	v_cmp_eq_u16_sdwa s[36:37], v27, v55 src0_sel:BYTE_0 src1_sel:DWORD
	v_and_b32_e32 v28, s37, v25
	v_or_b32_e32 v28, 0x80000000, v28
	ds_bpermute_b32 v68, v57, v26
	v_and_b32_e32 v29, s36, v24
	v_ffbl_b32_e32 v28, v28
	v_add_u32_e32 v28, 32, v28
	v_ffbl_b32_e32 v29, v29
	v_min_u32_e32 v28, v29, v28
	v_cmp_lt_u32_e32 vcc, v56, v28
	s_waitcnt lgkmcnt(0)
	v_cndmask_b32_e32 v29, 0, v68, vcc
	v_add_u32_e32 v26, v29, v26
	ds_bpermute_b32 v29, v58, v26
	v_cmp_le_u32_e32 vcc, v59, v28
	v_subrev_u32_e32 v22, 64, v22
	s_waitcnt lgkmcnt(0)
	v_cndmask_b32_e32 v29, 0, v29, vcc
	v_add_u32_e32 v26, v26, v29
	ds_bpermute_b32 v29, v60, v26
	v_cmp_le_u32_e32 vcc, v61, v28
	s_waitcnt lgkmcnt(0)
	v_cndmask_b32_e32 v29, 0, v29, vcc
	v_add_u32_e32 v26, v26, v29
	ds_bpermute_b32 v29, v62, v26
	v_cmp_le_u32_e32 vcc, v63, v28
	;; [unrolled: 5-line block ×4, first 2 shown]
	s_waitcnt lgkmcnt(0)
	v_cndmask_b32_e32 v28, 0, v29, vcc
	v_add3_u32 v26, v28, v17, v26
.LBB2277_110:                           ; =>This Loop Header: Depth=1
                                        ;     Child Loop BB2277_113 Depth 2
                                        ;       Child Loop BB2277_114 Depth 3
	v_cmp_ne_u16_sdwa s[36:37], v27, v55 src0_sel:BYTE_0 src1_sel:DWORD
	v_cndmask_b32_e64 v17, 0, 1, s[36:37]
	;;#ASMSTART
	;;#ASMEND
	v_cmp_ne_u32_e32 vcc, 0, v17
	s_cmp_lg_u64 vcc, exec
	v_mov_b32_e32 v17, v26
	s_cbranch_scc1 .LBB2277_117
; %bb.111:                              ;   in Loop: Header=BB2277_110 Depth=1
	v_lshlrev_b64 v[26:27], 3, v[22:23]
	v_mov_b32_e32 v29, s31
	v_add_co_u32_e32 v28, vcc, s30, v26
	v_addc_co_u32_e32 v29, vcc, v29, v27, vcc
	global_load_dwordx2 v[26:27], v[28:29], off glc
	s_waitcnt vmcnt(0)
	v_cmp_eq_u16_sdwa s[38:39], v27, v23 src0_sel:BYTE_0 src1_sel:DWORD
	s_and_saveexec_b64 s[36:37], s[38:39]
	s_cbranch_execz .LBB2277_109
; %bb.112:                              ;   in Loop: Header=BB2277_110 Depth=1
	s_mov_b32 s41, 1
	s_mov_b64 s[38:39], 0
.LBB2277_113:                           ;   Parent Loop BB2277_110 Depth=1
                                        ; =>  This Loop Header: Depth=2
                                        ;       Child Loop BB2277_114 Depth 3
	s_max_u32 s42, s41, 1
.LBB2277_114:                           ;   Parent Loop BB2277_110 Depth=1
                                        ;     Parent Loop BB2277_113 Depth=2
                                        ; =>    This Inner Loop Header: Depth=3
	s_add_i32 s42, s42, -1
	s_cmp_eq_u32 s42, 0
	s_sleep 1
	s_cbranch_scc0 .LBB2277_114
; %bb.115:                              ;   in Loop: Header=BB2277_113 Depth=2
	global_load_dwordx2 v[26:27], v[28:29], off glc
	s_cmp_lt_u32 s41, 32
	s_cselect_b64 s[42:43], -1, 0
	s_cmp_lg_u64 s[42:43], 0
	s_addc_u32 s41, s41, 0
	s_waitcnt vmcnt(0)
	v_cmp_ne_u16_sdwa s[42:43], v27, v23 src0_sel:BYTE_0 src1_sel:DWORD
	s_or_b64 s[38:39], s[42:43], s[38:39]
	s_andn2_b64 exec, exec, s[38:39]
	s_cbranch_execnz .LBB2277_113
; %bb.116:                              ;   in Loop: Header=BB2277_110 Depth=1
	s_or_b64 exec, exec, s[38:39]
	s_branch .LBB2277_109
.LBB2277_117:                           ;   in Loop: Header=BB2277_110 Depth=1
                                        ; implicit-def: $vgpr26
                                        ; implicit-def: $vgpr27
	s_cbranch_execz .LBB2277_110
; %bb.118:
	s_and_saveexec_b64 s[36:37], s[16:17]
	s_cbranch_execz .LBB2277_120
; %bb.119:
	s_add_i32 s38, s40, 64
	s_mov_b32 s39, 0
	s_lshl_b64 s[38:39], s[38:39], 3
	s_add_u32 s38, s30, s38
	v_add_u32_e32 v22, v17, v16
	v_mov_b32_e32 v23, 2
	s_addc_u32 s39, s31, s39
	v_mov_b32_e32 v24, 0
	global_store_dwordx2 v24, v[22:23], s[38:39]
	ds_write_b64 v24, v[16:17] offset:10240
.LBB2277_120:
	s_or_b64 exec, exec, s[36:37]
	s_and_b64 exec, exec, s[0:1]
	s_cbranch_execz .LBB2277_122
; %bb.121:
	v_mov_b32_e32 v16, 0
	ds_write_b32 v16, v17 offset:12
.LBB2277_122:
	s_or_b64 exec, exec, s[34:35]
	v_mov_b32_e32 v16, 0
	s_waitcnt lgkmcnt(0)
	s_barrier
	ds_read_b32 v22, v16 offset:12
	s_waitcnt lgkmcnt(0)
	s_barrier
	ds_read_b64 v[16:17], v16 offset:10240
	v_cndmask_b32_e64 v23, v54, v53, s[16:17]
	v_cndmask_b32_e64 v23, v23, 0, s[0:1]
	v_add_u32_e32 v26, v22, v23
	s_branch .LBB2277_133
.LBB2277_123:
                                        ; implicit-def: $vgpr17
                                        ; implicit-def: $vgpr26
	s_cbranch_execz .LBB2277_133
; %bb.124:
	s_waitcnt lgkmcnt(0)
	v_mov_b32_dpp v16, v52 row_shr:1 row_mask:0xf bank_mask:0xf
	v_cndmask_b32_e64 v16, v16, 0, s[14:15]
	v_add_u32_e32 v16, v16, v52
	s_nop 1
	v_mov_b32_dpp v17, v16 row_shr:2 row_mask:0xf bank_mask:0xf
	v_cndmask_b32_e64 v17, 0, v17, s[12:13]
	v_add_u32_e32 v16, v16, v17
	s_nop 1
	v_mov_b32_dpp v17, v16 row_shr:4 row_mask:0xf bank_mask:0xf
	v_cndmask_b32_e64 v17, 0, v17, s[10:11]
	v_add_u32_e32 v16, v16, v17
	s_nop 1
	v_mov_b32_dpp v17, v16 row_shr:8 row_mask:0xf bank_mask:0xf
	v_cndmask_b32_e64 v17, 0, v17, s[8:9]
	v_add_u32_e32 v16, v16, v17
	s_nop 1
	v_mov_b32_dpp v17, v16 row_bcast:15 row_mask:0xf bank_mask:0xf
	v_cndmask_b32_e64 v17, v17, 0, s[6:7]
	v_add_u32_e32 v16, v16, v17
	s_nop 1
	v_mov_b32_dpp v17, v16 row_bcast:31 row_mask:0xf bank_mask:0xf
	v_cndmask_b32_e64 v17, 0, v17, s[2:3]
	v_add_u32_e32 v16, v16, v17
	s_and_saveexec_b64 s[2:3], s[4:5]
	s_cbranch_execz .LBB2277_126
; %bb.125:
	v_lshlrev_b32_e32 v17, 2, v51
	ds_write_b32 v17, v16
.LBB2277_126:
	s_or_b64 exec, exec, s[2:3]
	v_cmp_gt_u32_e32 vcc, 4, v0
	s_waitcnt lgkmcnt(0)
	s_barrier
	s_and_saveexec_b64 s[2:3], vcc
	s_cbranch_execz .LBB2277_128
; %bb.127:
	v_lshlrev_b32_e32 v17, 2, v0
	ds_read_b32 v22, v17
	v_and_b32_e32 v23, 3, v50
	v_cmp_ne_u32_e32 vcc, 0, v23
	s_waitcnt lgkmcnt(0)
	v_mov_b32_dpp v24, v22 row_shr:1 row_mask:0xf bank_mask:0xf
	v_cndmask_b32_e32 v24, 0, v24, vcc
	v_add_u32_e32 v22, v24, v22
	v_cmp_lt_u32_e32 vcc, 1, v23
	s_nop 0
	v_mov_b32_dpp v24, v22 row_shr:2 row_mask:0xf bank_mask:0xf
	v_cndmask_b32_e32 v23, 0, v24, vcc
	v_add_u32_e32 v22, v22, v23
	ds_write_b32 v17, v22
.LBB2277_128:
	s_or_b64 exec, exec, s[2:3]
	v_cmp_lt_u32_e32 vcc, 63, v0
	v_mov_b32_e32 v17, 0
	v_mov_b32_e32 v22, 0
	s_waitcnt lgkmcnt(0)
	s_barrier
	s_and_saveexec_b64 s[2:3], vcc
	s_cbranch_execz .LBB2277_130
; %bb.129:
	v_lshl_add_u32 v22, v51, 2, -4
	ds_read_b32 v22, v22
.LBB2277_130:
	s_or_b64 exec, exec, s[2:3]
	v_add_u32_e32 v23, -1, v50
	v_and_b32_e32 v24, 64, v50
	v_cmp_lt_i32_e32 vcc, v23, v24
	v_cndmask_b32_e32 v23, v23, v50, vcc
	s_waitcnt lgkmcnt(0)
	v_add_u32_e32 v16, v22, v16
	v_lshlrev_b32_e32 v23, 2, v23
	ds_bpermute_b32 v23, v23, v16
	ds_read_b32 v16, v17 offset:12
	s_and_saveexec_b64 s[2:3], s[0:1]
	s_cbranch_execz .LBB2277_132
; %bb.131:
	v_mov_b32_e32 v24, 0
	v_mov_b32_e32 v17, 2
	s_waitcnt lgkmcnt(0)
	global_store_dwordx2 v24, v[16:17], s[30:31] offset:512
.LBB2277_132:
	s_or_b64 exec, exec, s[2:3]
	v_cmp_eq_u32_e32 vcc, 0, v50
	s_waitcnt lgkmcnt(1)
	v_cndmask_b32_e32 v22, v23, v22, vcc
	v_mov_b32_e32 v17, 0
	v_cndmask_b32_e64 v26, v22, 0, s[0:1]
	s_waitcnt lgkmcnt(0)
	s_barrier
.LBB2277_133:
	v_add_u32_sdwa v28, v26, v20 dst_sel:DWORD dst_unused:UNUSED_PAD src0_sel:DWORD src1_sel:BYTE_0
	s_waitcnt lgkmcnt(0)
	v_add_u32_e32 v31, v16, v31
	v_sub_u32_e32 v26, v26, v17
	v_and_b32_e32 v55, 1, v20
	v_sub_u32_e32 v54, v31, v26
	v_cmp_eq_u32_e32 vcc, 1, v55
	v_cndmask_b32_e32 v26, v54, v26, vcc
	v_lshlrev_b32_e32 v26, 1, v26
	v_lshrrev_b32_e32 v27, 8, v20
	ds_write_b16 v26, v6
	v_sub_u32_e32 v26, v28, v17
	v_add_u32_sdwa v29, v28, v20 dst_sel:DWORD dst_unused:UNUSED_PAD src0_sel:DWORD src1_sel:BYTE_1
	v_sub_u32_e32 v28, v31, v26
	v_and_b32_e32 v27, 1, v27
	v_add_u32_e32 v28, 1, v28
	v_cmp_eq_u32_e32 vcc, 1, v27
	v_cndmask_b32_e32 v26, v28, v26, vcc
	v_lshlrev_b32_e32 v26, 1, v26
	ds_write_b16_d16_hi v26, v6
	v_sub_u32_e32 v6, v29, v17
	v_mov_b32_e32 v27, 1
	v_sub_u32_e32 v26, v31, v6
	v_and_b32_sdwa v20, v27, v20 dst_sel:DWORD dst_unused:UNUSED_PAD src0_sel:DWORD src1_sel:WORD_1
	v_add_u32_e32 v26, 2, v26
	v_cmp_eq_u32_e32 vcc, 1, v20
	v_cndmask_b32_e32 v6, v26, v6, vcc
	v_add_u32_e32 v49, v29, v49
	v_lshlrev_b32_e32 v6, 1, v6
	ds_write_b16 v6, v7
	v_sub_u32_e32 v6, v49, v17
	v_sub_u32_e32 v20, v31, v6
	v_and_b32_e32 v26, 1, v37
	v_add_u32_e32 v20, 3, v20
	v_cmp_eq_u32_e32 vcc, 1, v26
	v_cndmask_b32_e32 v6, v20, v6, vcc
	v_add_u32_e32 v50, v49, v37
	v_lshlrev_b32_e32 v6, 1, v6
	ds_write_b16_d16_hi v6, v7
	v_sub_u32_e32 v6, v50, v17
	v_sub_u32_e32 v7, v31, v6
	v_and_b32_e32 v20, 1, v21
	v_add_u32_e32 v7, 4, v7
	v_cmp_eq_u32_e32 vcc, 1, v20
	v_cndmask_b32_e32 v6, v7, v6, vcc
	v_add_u32_e32 v46, v50, v46
	v_lshlrev_b32_e32 v6, 1, v6
	v_lshrrev_b32_e32 v25, 8, v21
	ds_write_b16 v6, v8
	v_sub_u32_e32 v6, v46, v17
	v_sub_u32_e32 v7, v31, v6
	v_and_b32_e32 v20, 1, v25
	v_add_u32_e32 v7, 5, v7
	v_cmp_eq_u32_e32 vcc, 1, v20
	v_cndmask_b32_e32 v6, v7, v6, vcc
	v_add_u32_e32 v47, v46, v47
	v_lshlrev_b32_e32 v6, 1, v6
	ds_write_b16_d16_hi v6, v8
	v_sub_u32_e32 v6, v47, v17
	v_sub_u32_e32 v7, v31, v6
	v_and_b32_sdwa v8, v27, v21 dst_sel:DWORD dst_unused:UNUSED_PAD src0_sel:DWORD src1_sel:WORD_1
	v_add_u32_e32 v7, 6, v7
	v_cmp_eq_u32_e32 vcc, 1, v8
	v_cndmask_b32_e32 v6, v7, v6, vcc
	v_add_u32_e32 v48, v47, v48
	v_lshlrev_b32_e32 v6, 1, v6
	ds_write_b16 v6, v9
	v_sub_u32_e32 v6, v48, v17
	v_sub_u32_e32 v7, v31, v6
	v_and_b32_e32 v8, 1, v36
	v_add_u32_e32 v7, 7, v7
	v_cmp_eq_u32_e32 vcc, 1, v8
	v_cndmask_b32_e32 v6, v7, v6, vcc
	v_add_u32_e32 v51, v48, v36
	v_lshlrev_b32_e32 v6, 1, v6
	ds_write_b16_d16_hi v6, v9
	v_sub_u32_e32 v6, v51, v17
	v_sub_u32_e32 v7, v31, v6
	v_and_b32_e32 v8, 1, v18
	v_add_u32_e32 v7, 8, v7
	v_cmp_eq_u32_e32 vcc, 1, v8
	v_cndmask_b32_e32 v6, v7, v6, vcc
	v_add_u32_e32 v43, v51, v43
	v_lshlrev_b32_e32 v6, 1, v6
	v_lshrrev_b32_e32 v24, 8, v18
	ds_write_b16 v6, v2
	v_sub_u32_e32 v6, v43, v17
	v_sub_u32_e32 v7, v31, v6
	v_and_b32_e32 v8, 1, v24
	v_add_u32_e32 v7, 9, v7
	v_cmp_eq_u32_e32 vcc, 1, v8
	v_cndmask_b32_e32 v6, v7, v6, vcc
	v_add_u32_e32 v44, v43, v44
	v_lshlrev_b32_e32 v6, 1, v6
	ds_write_b16_d16_hi v6, v2
	v_sub_u32_e32 v2, v44, v17
	;; [unrolled: 37-line block ×4, first 2 shown]
	v_sub_u32_e32 v3, v31, v2
	v_and_b32_sdwa v4, v27, v32 dst_sel:DWORD dst_unused:UNUSED_PAD src0_sel:DWORD src1_sel:WORD_1
	v_add_u32_e32 v3, 18, v3
	v_cmp_eq_u32_e32 vcc, 1, v4
	v_cndmask_b32_e32 v2, v3, v2, vcc
	v_lshlrev_b32_e32 v2, 1, v2
	ds_write_b16 v2, v15
	v_sub_u32_e32 v2, v33, v17
	v_add_u32_e32 v2, v39, v2
	v_sub_u32_e32 v3, v31, v2
	v_and_b32_e32 v1, 1, v1
	v_add_u32_e32 v3, 19, v3
	v_cmp_eq_u32_e32 vcc, 1, v1
	v_cndmask_b32_e32 v1, v3, v2, vcc
	v_lshlrev_b32_e32 v1, 1, v1
	s_waitcnt vmcnt(0)
	v_add_co_u32_e32 v10, vcc, v10, v17
	ds_write_b16_d16_hi v1, v15
	s_waitcnt lgkmcnt(0)
	s_barrier
	ds_read_u16 v51, v30
	ds_read_u16 v50, v30 offset:512
	ds_read_u16 v48, v30 offset:1024
	ds_read_u16 v46, v30 offset:1536
	ds_read_u16 v44, v30 offset:2048
	ds_read_u16 v42, v30 offset:2560
	ds_read_u16 v40, v30 offset:3072
	ds_read_u16 v38, v30 offset:3584
	ds_read_u16 v36, v30 offset:4096
	ds_read_u16 v34, v30 offset:4608
	ds_read_u16 v32, v30 offset:5120
	ds_read_u16 v29, v30 offset:5632
	ds_read_u16 v27, v30 offset:6144
	ds_read_u16 v25, v30 offset:6656
	ds_read_u16 v23, v30 offset:7168
	ds_read_u16 v21, v30 offset:7680
	v_addc_co_u32_e32 v11, vcc, 0, v11, vcc
	v_add_co_u32_e32 v2, vcc, v10, v16
	v_addc_co_u32_e32 v3, vcc, 0, v11, vcc
	v_mov_b32_e32 v7, s19
	v_sub_co_u32_e32 v8, vcc, s18, v2
	ds_read_u16 v19, v30 offset:8192
	ds_read_u16 v15, v30 offset:8704
	;; [unrolled: 1-line block ×4, first 2 shown]
	v_subb_co_u32_e32 v9, vcc, v7, v3, vcc
	v_lshlrev_b64 v[8:9], 1, v[8:9]
	v_mov_b32_e32 v7, s27
	v_add_co_u32_e32 v8, vcc, s26, v8
	v_addc_co_u32_e32 v9, vcc, v7, v9, vcc
	v_add_co_u32_e32 v7, vcc, v8, v12
	v_lshlrev_b64 v[10:11], 1, v[10:11]
	v_addc_co_u32_e32 v8, vcc, v9, v13, vcc
	v_mov_b32_e32 v12, s25
	v_add_co_u32_e64 v9, s[2:3], s24, v10
	v_or_b32_e32 v49, 0x100, v0
	v_or_b32_e32 v47, 0x200, v0
	;; [unrolled: 1-line block ×19, first 2 shown]
	s_andn2_b64 vcc, exec, s[28:29]
	v_addc_co_u32_e64 v10, s[2:3], v12, v11, s[2:3]
	s_cbranch_vccnz .LBB2277_135
; %bb.134:
	v_cmp_lt_u32_e32 vcc, v0, v16
	v_cndmask_b32_e32 v12, v7, v9, vcc
	v_cndmask_b32_e32 v11, v8, v10, vcc
	v_add_co_u32_e32 v12, vcc, v12, v30
	v_addc_co_u32_e32 v13, vcc, 0, v11, vcc
	v_cmp_lt_u32_e32 vcc, v49, v16
	s_waitcnt lgkmcnt(14)
	global_store_short v[12:13], v51, off
	v_cndmask_b32_e32 v12, v7, v9, vcc
	v_cndmask_b32_e32 v11, v8, v10, vcc
	v_add_co_u32_e32 v12, vcc, v12, v30
	v_addc_co_u32_e32 v13, vcc, 0, v11, vcc
	v_cmp_lt_u32_e32 vcc, v47, v16
	global_store_short v[12:13], v50, off offset:512
	v_cndmask_b32_e32 v12, v7, v9, vcc
	v_cndmask_b32_e32 v11, v8, v10, vcc
	v_add_co_u32_e32 v12, vcc, v12, v30
	v_addc_co_u32_e32 v13, vcc, 0, v11, vcc
	v_cmp_lt_u32_e32 vcc, v45, v16
	global_store_short v[12:13], v48, off offset:1024
	;; [unrolled: 6-line block ×5, first 2 shown]
	v_cndmask_b32_e32 v12, v7, v9, vcc
	v_cndmask_b32_e32 v11, v8, v10, vcc
	v_add_co_u32_e32 v12, vcc, v12, v30
	v_addc_co_u32_e32 v13, vcc, 0, v11, vcc
	v_cmp_lt_u32_e32 vcc, v37, v16
	s_waitcnt lgkmcnt(13)
	global_store_short v[12:13], v40, off offset:3072
	v_cndmask_b32_e32 v12, v7, v9, vcc
	v_cndmask_b32_e32 v11, v8, v10, vcc
	v_add_co_u32_e32 v12, vcc, v12, v30
	v_addc_co_u32_e32 v13, vcc, 0, v11, vcc
	v_cmp_lt_u32_e32 vcc, v35, v16
	s_waitcnt lgkmcnt(12)
	global_store_short v[12:13], v38, off offset:3584
	v_cndmask_b32_e32 v12, v7, v9, vcc
	v_lshlrev_b32_e32 v13, 1, v35
	v_cndmask_b32_e32 v11, v8, v10, vcc
	v_add_co_u32_e32 v12, vcc, v12, v13
	v_addc_co_u32_e32 v13, vcc, 0, v11, vcc
	v_cmp_lt_u32_e32 vcc, v33, v16
	s_waitcnt lgkmcnt(11)
	global_store_short v[12:13], v36, off
	v_cndmask_b32_e32 v12, v7, v9, vcc
	v_lshlrev_b32_e32 v13, 1, v33
	v_cndmask_b32_e32 v11, v8, v10, vcc
	v_add_co_u32_e32 v12, vcc, v12, v13
	v_addc_co_u32_e32 v13, vcc, 0, v11, vcc
	v_cmp_lt_u32_e32 vcc, v31, v16
	s_waitcnt lgkmcnt(10)
	global_store_short v[12:13], v34, off
	;; [unrolled: 8-line block ×10, first 2 shown]
	v_cndmask_b32_e32 v12, v7, v9, vcc
	v_lshlrev_b32_e32 v13, 1, v6
	v_cndmask_b32_e32 v11, v8, v10, vcc
	v_add_co_u32_e32 v12, vcc, v12, v13
	v_addc_co_u32_e32 v13, vcc, 0, v11, vcc
	s_mov_b64 s[2:3], -1
	s_waitcnt lgkmcnt(1)
	global_store_short v[12:13], v5, off
	s_cbranch_execz .LBB2277_136
	s_branch .LBB2277_157
.LBB2277_135:
	s_mov_b64 s[2:3], 0
.LBB2277_136:
	v_cmp_gt_u32_e32 vcc, s33, v0
	s_and_saveexec_b64 s[2:3], vcc
	s_cbranch_execnz .LBB2277_162
; %bb.137:
	s_or_b64 exec, exec, s[2:3]
	v_cmp_gt_u32_e32 vcc, s33, v49
	s_and_saveexec_b64 s[2:3], vcc
	s_cbranch_execnz .LBB2277_163
.LBB2277_138:
	s_or_b64 exec, exec, s[2:3]
	v_cmp_gt_u32_e32 vcc, s33, v47
	s_and_saveexec_b64 s[2:3], vcc
	s_cbranch_execnz .LBB2277_164
.LBB2277_139:
	s_or_b64 exec, exec, s[2:3]
	v_cmp_gt_u32_e32 vcc, s33, v45
	s_and_saveexec_b64 s[2:3], vcc
	s_cbranch_execnz .LBB2277_165
.LBB2277_140:
	s_or_b64 exec, exec, s[2:3]
	v_cmp_gt_u32_e32 vcc, s33, v43
	s_and_saveexec_b64 s[2:3], vcc
	s_cbranch_execnz .LBB2277_166
.LBB2277_141:
	s_or_b64 exec, exec, s[2:3]
	v_cmp_gt_u32_e32 vcc, s33, v41
	s_and_saveexec_b64 s[2:3], vcc
	s_cbranch_execnz .LBB2277_167
.LBB2277_142:
	s_or_b64 exec, exec, s[2:3]
	v_cmp_gt_u32_e32 vcc, s33, v39
	s_and_saveexec_b64 s[2:3], vcc
	s_cbranch_execnz .LBB2277_168
.LBB2277_143:
	s_or_b64 exec, exec, s[2:3]
	v_cmp_gt_u32_e32 vcc, s33, v37
	s_and_saveexec_b64 s[2:3], vcc
	s_cbranch_execnz .LBB2277_169
.LBB2277_144:
	s_or_b64 exec, exec, s[2:3]
	v_cmp_gt_u32_e32 vcc, s33, v35
	s_and_saveexec_b64 s[2:3], vcc
	s_cbranch_execnz .LBB2277_170
.LBB2277_145:
	s_or_b64 exec, exec, s[2:3]
	v_cmp_gt_u32_e32 vcc, s33, v33
	s_and_saveexec_b64 s[2:3], vcc
	s_cbranch_execnz .LBB2277_171
.LBB2277_146:
	s_or_b64 exec, exec, s[2:3]
	v_cmp_gt_u32_e32 vcc, s33, v31
	s_and_saveexec_b64 s[2:3], vcc
	s_cbranch_execnz .LBB2277_172
.LBB2277_147:
	s_or_b64 exec, exec, s[2:3]
	v_cmp_gt_u32_e32 vcc, s33, v28
	s_and_saveexec_b64 s[2:3], vcc
	s_cbranch_execnz .LBB2277_173
.LBB2277_148:
	s_or_b64 exec, exec, s[2:3]
	v_cmp_gt_u32_e32 vcc, s33, v26
	s_and_saveexec_b64 s[2:3], vcc
	s_cbranch_execnz .LBB2277_174
.LBB2277_149:
	s_or_b64 exec, exec, s[2:3]
	v_cmp_gt_u32_e32 vcc, s33, v24
	s_and_saveexec_b64 s[2:3], vcc
	s_cbranch_execnz .LBB2277_175
.LBB2277_150:
	s_or_b64 exec, exec, s[2:3]
	v_cmp_gt_u32_e32 vcc, s33, v22
	s_and_saveexec_b64 s[2:3], vcc
	s_cbranch_execnz .LBB2277_176
.LBB2277_151:
	s_or_b64 exec, exec, s[2:3]
	v_cmp_gt_u32_e32 vcc, s33, v20
	s_and_saveexec_b64 s[2:3], vcc
	s_cbranch_execnz .LBB2277_177
.LBB2277_152:
	s_or_b64 exec, exec, s[2:3]
	v_cmp_gt_u32_e32 vcc, s33, v18
	s_and_saveexec_b64 s[2:3], vcc
	s_cbranch_execnz .LBB2277_178
.LBB2277_153:
	s_or_b64 exec, exec, s[2:3]
	v_cmp_gt_u32_e32 vcc, s33, v14
	s_and_saveexec_b64 s[2:3], vcc
	s_cbranch_execnz .LBB2277_179
.LBB2277_154:
	s_or_b64 exec, exec, s[2:3]
	v_cmp_gt_u32_e32 vcc, s33, v6
	s_and_saveexec_b64 s[2:3], vcc
	s_cbranch_execz .LBB2277_156
.LBB2277_155:
	v_cmp_lt_u32_e32 vcc, v6, v16
	v_cndmask_b32_e32 v11, v7, v9, vcc
	v_lshlrev_b32_e32 v6, 1, v6
	v_cndmask_b32_e32 v0, v8, v10, vcc
	v_add_co_u32_e32 v12, vcc, v11, v6
	v_addc_co_u32_e32 v13, vcc, 0, v0, vcc
	s_waitcnt lgkmcnt(1)
	global_store_short v[12:13], v5, off
.LBB2277_156:
	s_or_b64 exec, exec, s[2:3]
	v_cmp_gt_u32_e64 s[2:3], s33, v4
.LBB2277_157:
	s_and_saveexec_b64 s[4:5], s[2:3]
	s_cbranch_execnz .LBB2277_160
; %bb.158:
	s_or_b64 exec, exec, s[4:5]
	s_and_b64 s[0:1], s[0:1], s[22:23]
	s_and_saveexec_b64 s[2:3], s[0:1]
	s_cbranch_execnz .LBB2277_161
.LBB2277_159:
	s_endpgm
.LBB2277_160:
	v_cmp_lt_u32_e32 vcc, v4, v16
	s_waitcnt lgkmcnt(1)
	v_cndmask_b32_e32 v5, v7, v9, vcc
	v_lshlrev_b32_e32 v4, 1, v4
	v_cndmask_b32_e32 v0, v8, v10, vcc
	v_add_co_u32_e32 v4, vcc, v5, v4
	v_addc_co_u32_e32 v5, vcc, 0, v0, vcc
	s_waitcnt lgkmcnt(0)
	global_store_short v[4:5], v1, off
	s_or_b64 exec, exec, s[4:5]
	s_and_b64 s[0:1], s[0:1], s[22:23]
	s_and_saveexec_b64 s[2:3], s[0:1]
	s_cbranch_execz .LBB2277_159
.LBB2277_161:
	v_mov_b32_e32 v0, 0
	global_store_dwordx2 v0, v[2:3], s[20:21]
	s_endpgm
.LBB2277_162:
	v_cmp_lt_u32_e32 vcc, v0, v16
	v_cndmask_b32_e32 v11, v7, v9, vcc
	v_cndmask_b32_e32 v0, v8, v10, vcc
	v_add_co_u32_e32 v12, vcc, v11, v30
	v_addc_co_u32_e32 v13, vcc, 0, v0, vcc
	s_waitcnt lgkmcnt(14)
	global_store_short v[12:13], v51, off
	s_or_b64 exec, exec, s[2:3]
	v_cmp_gt_u32_e32 vcc, s33, v49
	s_and_saveexec_b64 s[2:3], vcc
	s_cbranch_execz .LBB2277_138
.LBB2277_163:
	v_cmp_lt_u32_e32 vcc, v49, v16
	v_cndmask_b32_e32 v11, v7, v9, vcc
	v_cndmask_b32_e32 v0, v8, v10, vcc
	v_add_co_u32_e32 v12, vcc, v11, v30
	v_addc_co_u32_e32 v13, vcc, 0, v0, vcc
	s_waitcnt lgkmcnt(14)
	global_store_short v[12:13], v50, off offset:512
	s_or_b64 exec, exec, s[2:3]
	v_cmp_gt_u32_e32 vcc, s33, v47
	s_and_saveexec_b64 s[2:3], vcc
	s_cbranch_execz .LBB2277_139
.LBB2277_164:
	v_cmp_lt_u32_e32 vcc, v47, v16
	v_cndmask_b32_e32 v11, v7, v9, vcc
	v_cndmask_b32_e32 v0, v8, v10, vcc
	v_add_co_u32_e32 v12, vcc, v11, v30
	v_addc_co_u32_e32 v13, vcc, 0, v0, vcc
	s_waitcnt lgkmcnt(14)
	global_store_short v[12:13], v48, off offset:1024
	s_or_b64 exec, exec, s[2:3]
	v_cmp_gt_u32_e32 vcc, s33, v45
	s_and_saveexec_b64 s[2:3], vcc
	s_cbranch_execz .LBB2277_140
.LBB2277_165:
	v_cmp_lt_u32_e32 vcc, v45, v16
	v_cndmask_b32_e32 v11, v7, v9, vcc
	v_cndmask_b32_e32 v0, v8, v10, vcc
	v_add_co_u32_e32 v12, vcc, v11, v30
	v_addc_co_u32_e32 v13, vcc, 0, v0, vcc
	s_waitcnt lgkmcnt(14)
	global_store_short v[12:13], v46, off offset:1536
	s_or_b64 exec, exec, s[2:3]
	v_cmp_gt_u32_e32 vcc, s33, v43
	s_and_saveexec_b64 s[2:3], vcc
	s_cbranch_execz .LBB2277_141
.LBB2277_166:
	v_cmp_lt_u32_e32 vcc, v43, v16
	v_cndmask_b32_e32 v11, v7, v9, vcc
	v_cndmask_b32_e32 v0, v8, v10, vcc
	v_add_co_u32_e32 v12, vcc, v11, v30
	v_addc_co_u32_e32 v13, vcc, 0, v0, vcc
	s_waitcnt lgkmcnt(14)
	global_store_short v[12:13], v44, off offset:2048
	s_or_b64 exec, exec, s[2:3]
	v_cmp_gt_u32_e32 vcc, s33, v41
	s_and_saveexec_b64 s[2:3], vcc
	s_cbranch_execz .LBB2277_142
.LBB2277_167:
	v_cmp_lt_u32_e32 vcc, v41, v16
	v_cndmask_b32_e32 v11, v7, v9, vcc
	v_cndmask_b32_e32 v0, v8, v10, vcc
	v_add_co_u32_e32 v12, vcc, v11, v30
	v_addc_co_u32_e32 v13, vcc, 0, v0, vcc
	s_waitcnt lgkmcnt(14)
	global_store_short v[12:13], v42, off offset:2560
	s_or_b64 exec, exec, s[2:3]
	v_cmp_gt_u32_e32 vcc, s33, v39
	s_and_saveexec_b64 s[2:3], vcc
	s_cbranch_execz .LBB2277_143
.LBB2277_168:
	v_cmp_lt_u32_e32 vcc, v39, v16
	v_cndmask_b32_e32 v11, v7, v9, vcc
	v_cndmask_b32_e32 v0, v8, v10, vcc
	v_add_co_u32_e32 v12, vcc, v11, v30
	v_addc_co_u32_e32 v13, vcc, 0, v0, vcc
	s_waitcnt lgkmcnt(13)
	global_store_short v[12:13], v40, off offset:3072
	s_or_b64 exec, exec, s[2:3]
	v_cmp_gt_u32_e32 vcc, s33, v37
	s_and_saveexec_b64 s[2:3], vcc
	s_cbranch_execz .LBB2277_144
.LBB2277_169:
	v_cmp_lt_u32_e32 vcc, v37, v16
	v_cndmask_b32_e32 v11, v7, v9, vcc
	v_cndmask_b32_e32 v0, v8, v10, vcc
	v_add_co_u32_e32 v12, vcc, v11, v30
	v_addc_co_u32_e32 v13, vcc, 0, v0, vcc
	s_waitcnt lgkmcnt(12)
	global_store_short v[12:13], v38, off offset:3584
	s_or_b64 exec, exec, s[2:3]
	v_cmp_gt_u32_e32 vcc, s33, v35
	s_and_saveexec_b64 s[2:3], vcc
	s_cbranch_execz .LBB2277_145
.LBB2277_170:
	v_cmp_lt_u32_e32 vcc, v35, v16
	v_cndmask_b32_e32 v11, v7, v9, vcc
	v_lshlrev_b32_e32 v12, 1, v35
	v_cndmask_b32_e32 v0, v8, v10, vcc
	v_add_co_u32_e32 v12, vcc, v11, v12
	v_addc_co_u32_e32 v13, vcc, 0, v0, vcc
	s_waitcnt lgkmcnt(11)
	global_store_short v[12:13], v36, off
	s_or_b64 exec, exec, s[2:3]
	v_cmp_gt_u32_e32 vcc, s33, v33
	s_and_saveexec_b64 s[2:3], vcc
	s_cbranch_execz .LBB2277_146
.LBB2277_171:
	v_cmp_lt_u32_e32 vcc, v33, v16
	v_cndmask_b32_e32 v11, v7, v9, vcc
	v_lshlrev_b32_e32 v12, 1, v33
	v_cndmask_b32_e32 v0, v8, v10, vcc
	v_add_co_u32_e32 v12, vcc, v11, v12
	v_addc_co_u32_e32 v13, vcc, 0, v0, vcc
	s_waitcnt lgkmcnt(10)
	global_store_short v[12:13], v34, off
	s_or_b64 exec, exec, s[2:3]
	v_cmp_gt_u32_e32 vcc, s33, v31
	s_and_saveexec_b64 s[2:3], vcc
	s_cbranch_execz .LBB2277_147
.LBB2277_172:
	v_cmp_lt_u32_e32 vcc, v31, v16
	v_cndmask_b32_e32 v11, v7, v9, vcc
	v_lshlrev_b32_e32 v12, 1, v31
	v_cndmask_b32_e32 v0, v8, v10, vcc
	v_add_co_u32_e32 v12, vcc, v11, v12
	v_addc_co_u32_e32 v13, vcc, 0, v0, vcc
	s_waitcnt lgkmcnt(9)
	global_store_short v[12:13], v32, off
	s_or_b64 exec, exec, s[2:3]
	v_cmp_gt_u32_e32 vcc, s33, v28
	s_and_saveexec_b64 s[2:3], vcc
	s_cbranch_execz .LBB2277_148
.LBB2277_173:
	v_cmp_lt_u32_e32 vcc, v28, v16
	v_cndmask_b32_e32 v11, v7, v9, vcc
	v_lshlrev_b32_e32 v12, 1, v28
	v_cndmask_b32_e32 v0, v8, v10, vcc
	v_add_co_u32_e32 v12, vcc, v11, v12
	v_addc_co_u32_e32 v13, vcc, 0, v0, vcc
	s_waitcnt lgkmcnt(8)
	global_store_short v[12:13], v29, off
	s_or_b64 exec, exec, s[2:3]
	v_cmp_gt_u32_e32 vcc, s33, v26
	s_and_saveexec_b64 s[2:3], vcc
	s_cbranch_execz .LBB2277_149
.LBB2277_174:
	v_cmp_lt_u32_e32 vcc, v26, v16
	v_cndmask_b32_e32 v11, v7, v9, vcc
	v_lshlrev_b32_e32 v12, 1, v26
	v_cndmask_b32_e32 v0, v8, v10, vcc
	v_add_co_u32_e32 v12, vcc, v11, v12
	v_addc_co_u32_e32 v13, vcc, 0, v0, vcc
	s_waitcnt lgkmcnt(7)
	global_store_short v[12:13], v27, off
	s_or_b64 exec, exec, s[2:3]
	v_cmp_gt_u32_e32 vcc, s33, v24
	s_and_saveexec_b64 s[2:3], vcc
	s_cbranch_execz .LBB2277_150
.LBB2277_175:
	v_cmp_lt_u32_e32 vcc, v24, v16
	v_cndmask_b32_e32 v11, v7, v9, vcc
	v_lshlrev_b32_e32 v12, 1, v24
	v_cndmask_b32_e32 v0, v8, v10, vcc
	v_add_co_u32_e32 v12, vcc, v11, v12
	v_addc_co_u32_e32 v13, vcc, 0, v0, vcc
	s_waitcnt lgkmcnt(6)
	global_store_short v[12:13], v25, off
	s_or_b64 exec, exec, s[2:3]
	v_cmp_gt_u32_e32 vcc, s33, v22
	s_and_saveexec_b64 s[2:3], vcc
	s_cbranch_execz .LBB2277_151
.LBB2277_176:
	v_cmp_lt_u32_e32 vcc, v22, v16
	v_cndmask_b32_e32 v11, v7, v9, vcc
	v_lshlrev_b32_e32 v12, 1, v22
	v_cndmask_b32_e32 v0, v8, v10, vcc
	v_add_co_u32_e32 v12, vcc, v11, v12
	v_addc_co_u32_e32 v13, vcc, 0, v0, vcc
	s_waitcnt lgkmcnt(5)
	global_store_short v[12:13], v23, off
	s_or_b64 exec, exec, s[2:3]
	v_cmp_gt_u32_e32 vcc, s33, v20
	s_and_saveexec_b64 s[2:3], vcc
	s_cbranch_execz .LBB2277_152
.LBB2277_177:
	v_cmp_lt_u32_e32 vcc, v20, v16
	v_cndmask_b32_e32 v11, v7, v9, vcc
	v_lshlrev_b32_e32 v12, 1, v20
	v_cndmask_b32_e32 v0, v8, v10, vcc
	v_add_co_u32_e32 v12, vcc, v11, v12
	v_addc_co_u32_e32 v13, vcc, 0, v0, vcc
	s_waitcnt lgkmcnt(4)
	global_store_short v[12:13], v21, off
	s_or_b64 exec, exec, s[2:3]
	v_cmp_gt_u32_e32 vcc, s33, v18
	s_and_saveexec_b64 s[2:3], vcc
	s_cbranch_execz .LBB2277_153
.LBB2277_178:
	v_cmp_lt_u32_e32 vcc, v18, v16
	v_cndmask_b32_e32 v11, v7, v9, vcc
	v_lshlrev_b32_e32 v12, 1, v18
	v_cndmask_b32_e32 v0, v8, v10, vcc
	v_add_co_u32_e32 v12, vcc, v11, v12
	v_addc_co_u32_e32 v13, vcc, 0, v0, vcc
	s_waitcnt lgkmcnt(3)
	global_store_short v[12:13], v19, off
	s_or_b64 exec, exec, s[2:3]
	v_cmp_gt_u32_e32 vcc, s33, v14
	s_and_saveexec_b64 s[2:3], vcc
	s_cbranch_execz .LBB2277_154
.LBB2277_179:
	v_cmp_lt_u32_e32 vcc, v14, v16
	v_cndmask_b32_e32 v11, v7, v9, vcc
	v_lshlrev_b32_e32 v12, 1, v14
	v_cndmask_b32_e32 v0, v8, v10, vcc
	v_add_co_u32_e32 v12, vcc, v11, v12
	v_addc_co_u32_e32 v13, vcc, 0, v0, vcc
	s_waitcnt lgkmcnt(2)
	global_store_short v[12:13], v15, off
	s_or_b64 exec, exec, s[2:3]
	v_cmp_gt_u32_e32 vcc, s33, v6
	s_and_saveexec_b64 s[2:3], vcc
	s_cbranch_execnz .LBB2277_155
	s_branch .LBB2277_156
	.section	.rodata,"a",@progbits
	.p2align	6, 0x0
	.amdhsa_kernel _ZN7rocprim17ROCPRIM_400000_NS6detail17trampoline_kernelINS0_14default_configENS1_25partition_config_selectorILNS1_17partition_subalgoE1EtNS0_10empty_typeEbEEZZNS1_14partition_implILS5_1ELb0ES3_jN6thrust23THRUST_200600_302600_NS6detail15normal_iteratorINSA_10device_ptrItEEEEPS6_NSA_18transform_iteratorI7is_evenItESF_NSA_11use_defaultESK_EENS0_5tupleIJSF_SF_EEENSM_IJSG_SG_EEES6_PlJS6_EEE10hipError_tPvRmT3_T4_T5_T6_T7_T9_mT8_P12ihipStream_tbDpT10_ENKUlT_T0_E_clISt17integral_constantIbLb1EES19_EEDaS14_S15_EUlS14_E_NS1_11comp_targetILNS1_3genE4ELNS1_11target_archE910ELNS1_3gpuE8ELNS1_3repE0EEENS1_30default_config_static_selectorELNS0_4arch9wavefront6targetE1EEEvT1_
		.amdhsa_group_segment_fixed_size 10248
		.amdhsa_private_segment_fixed_size 0
		.amdhsa_kernarg_size 144
		.amdhsa_user_sgpr_count 6
		.amdhsa_user_sgpr_private_segment_buffer 1
		.amdhsa_user_sgpr_dispatch_ptr 0
		.amdhsa_user_sgpr_queue_ptr 0
		.amdhsa_user_sgpr_kernarg_segment_ptr 1
		.amdhsa_user_sgpr_dispatch_id 0
		.amdhsa_user_sgpr_flat_scratch_init 0
		.amdhsa_user_sgpr_kernarg_preload_length 0
		.amdhsa_user_sgpr_kernarg_preload_offset 0
		.amdhsa_user_sgpr_private_segment_size 0
		.amdhsa_uses_dynamic_stack 0
		.amdhsa_system_sgpr_private_segment_wavefront_offset 0
		.amdhsa_system_sgpr_workgroup_id_x 1
		.amdhsa_system_sgpr_workgroup_id_y 0
		.amdhsa_system_sgpr_workgroup_id_z 0
		.amdhsa_system_sgpr_workgroup_info 0
		.amdhsa_system_vgpr_workitem_id 0
		.amdhsa_next_free_vgpr 69
		.amdhsa_next_free_sgpr 44
		.amdhsa_accum_offset 72
		.amdhsa_reserve_vcc 1
		.amdhsa_reserve_flat_scratch 0
		.amdhsa_float_round_mode_32 0
		.amdhsa_float_round_mode_16_64 0
		.amdhsa_float_denorm_mode_32 3
		.amdhsa_float_denorm_mode_16_64 3
		.amdhsa_dx10_clamp 1
		.amdhsa_ieee_mode 1
		.amdhsa_fp16_overflow 0
		.amdhsa_tg_split 0
		.amdhsa_exception_fp_ieee_invalid_op 0
		.amdhsa_exception_fp_denorm_src 0
		.amdhsa_exception_fp_ieee_div_zero 0
		.amdhsa_exception_fp_ieee_overflow 0
		.amdhsa_exception_fp_ieee_underflow 0
		.amdhsa_exception_fp_ieee_inexact 0
		.amdhsa_exception_int_div_zero 0
	.end_amdhsa_kernel
	.section	.text._ZN7rocprim17ROCPRIM_400000_NS6detail17trampoline_kernelINS0_14default_configENS1_25partition_config_selectorILNS1_17partition_subalgoE1EtNS0_10empty_typeEbEEZZNS1_14partition_implILS5_1ELb0ES3_jN6thrust23THRUST_200600_302600_NS6detail15normal_iteratorINSA_10device_ptrItEEEEPS6_NSA_18transform_iteratorI7is_evenItESF_NSA_11use_defaultESK_EENS0_5tupleIJSF_SF_EEENSM_IJSG_SG_EEES6_PlJS6_EEE10hipError_tPvRmT3_T4_T5_T6_T7_T9_mT8_P12ihipStream_tbDpT10_ENKUlT_T0_E_clISt17integral_constantIbLb1EES19_EEDaS14_S15_EUlS14_E_NS1_11comp_targetILNS1_3genE4ELNS1_11target_archE910ELNS1_3gpuE8ELNS1_3repE0EEENS1_30default_config_static_selectorELNS0_4arch9wavefront6targetE1EEEvT1_,"axG",@progbits,_ZN7rocprim17ROCPRIM_400000_NS6detail17trampoline_kernelINS0_14default_configENS1_25partition_config_selectorILNS1_17partition_subalgoE1EtNS0_10empty_typeEbEEZZNS1_14partition_implILS5_1ELb0ES3_jN6thrust23THRUST_200600_302600_NS6detail15normal_iteratorINSA_10device_ptrItEEEEPS6_NSA_18transform_iteratorI7is_evenItESF_NSA_11use_defaultESK_EENS0_5tupleIJSF_SF_EEENSM_IJSG_SG_EEES6_PlJS6_EEE10hipError_tPvRmT3_T4_T5_T6_T7_T9_mT8_P12ihipStream_tbDpT10_ENKUlT_T0_E_clISt17integral_constantIbLb1EES19_EEDaS14_S15_EUlS14_E_NS1_11comp_targetILNS1_3genE4ELNS1_11target_archE910ELNS1_3gpuE8ELNS1_3repE0EEENS1_30default_config_static_selectorELNS0_4arch9wavefront6targetE1EEEvT1_,comdat
.Lfunc_end2277:
	.size	_ZN7rocprim17ROCPRIM_400000_NS6detail17trampoline_kernelINS0_14default_configENS1_25partition_config_selectorILNS1_17partition_subalgoE1EtNS0_10empty_typeEbEEZZNS1_14partition_implILS5_1ELb0ES3_jN6thrust23THRUST_200600_302600_NS6detail15normal_iteratorINSA_10device_ptrItEEEEPS6_NSA_18transform_iteratorI7is_evenItESF_NSA_11use_defaultESK_EENS0_5tupleIJSF_SF_EEENSM_IJSG_SG_EEES6_PlJS6_EEE10hipError_tPvRmT3_T4_T5_T6_T7_T9_mT8_P12ihipStream_tbDpT10_ENKUlT_T0_E_clISt17integral_constantIbLb1EES19_EEDaS14_S15_EUlS14_E_NS1_11comp_targetILNS1_3genE4ELNS1_11target_archE910ELNS1_3gpuE8ELNS1_3repE0EEENS1_30default_config_static_selectorELNS0_4arch9wavefront6targetE1EEEvT1_, .Lfunc_end2277-_ZN7rocprim17ROCPRIM_400000_NS6detail17trampoline_kernelINS0_14default_configENS1_25partition_config_selectorILNS1_17partition_subalgoE1EtNS0_10empty_typeEbEEZZNS1_14partition_implILS5_1ELb0ES3_jN6thrust23THRUST_200600_302600_NS6detail15normal_iteratorINSA_10device_ptrItEEEEPS6_NSA_18transform_iteratorI7is_evenItESF_NSA_11use_defaultESK_EENS0_5tupleIJSF_SF_EEENSM_IJSG_SG_EEES6_PlJS6_EEE10hipError_tPvRmT3_T4_T5_T6_T7_T9_mT8_P12ihipStream_tbDpT10_ENKUlT_T0_E_clISt17integral_constantIbLb1EES19_EEDaS14_S15_EUlS14_E_NS1_11comp_targetILNS1_3genE4ELNS1_11target_archE910ELNS1_3gpuE8ELNS1_3repE0EEENS1_30default_config_static_selectorELNS0_4arch9wavefront6targetE1EEEvT1_
                                        ; -- End function
	.section	.AMDGPU.csdata,"",@progbits
; Kernel info:
; codeLenInByte = 9316
; NumSgprs: 48
; NumVgprs: 69
; NumAgprs: 0
; TotalNumVgprs: 69
; ScratchSize: 0
; MemoryBound: 0
; FloatMode: 240
; IeeeMode: 1
; LDSByteSize: 10248 bytes/workgroup (compile time only)
; SGPRBlocks: 5
; VGPRBlocks: 8
; NumSGPRsForWavesPerEU: 48
; NumVGPRsForWavesPerEU: 69
; AccumOffset: 72
; Occupancy: 6
; WaveLimiterHint : 1
; COMPUTE_PGM_RSRC2:SCRATCH_EN: 0
; COMPUTE_PGM_RSRC2:USER_SGPR: 6
; COMPUTE_PGM_RSRC2:TRAP_HANDLER: 0
; COMPUTE_PGM_RSRC2:TGID_X_EN: 1
; COMPUTE_PGM_RSRC2:TGID_Y_EN: 0
; COMPUTE_PGM_RSRC2:TGID_Z_EN: 0
; COMPUTE_PGM_RSRC2:TIDIG_COMP_CNT: 0
; COMPUTE_PGM_RSRC3_GFX90A:ACCUM_OFFSET: 17
; COMPUTE_PGM_RSRC3_GFX90A:TG_SPLIT: 0
	.section	.text._ZN7rocprim17ROCPRIM_400000_NS6detail17trampoline_kernelINS0_14default_configENS1_25partition_config_selectorILNS1_17partition_subalgoE1EtNS0_10empty_typeEbEEZZNS1_14partition_implILS5_1ELb0ES3_jN6thrust23THRUST_200600_302600_NS6detail15normal_iteratorINSA_10device_ptrItEEEEPS6_NSA_18transform_iteratorI7is_evenItESF_NSA_11use_defaultESK_EENS0_5tupleIJSF_SF_EEENSM_IJSG_SG_EEES6_PlJS6_EEE10hipError_tPvRmT3_T4_T5_T6_T7_T9_mT8_P12ihipStream_tbDpT10_ENKUlT_T0_E_clISt17integral_constantIbLb1EES19_EEDaS14_S15_EUlS14_E_NS1_11comp_targetILNS1_3genE3ELNS1_11target_archE908ELNS1_3gpuE7ELNS1_3repE0EEENS1_30default_config_static_selectorELNS0_4arch9wavefront6targetE1EEEvT1_,"axG",@progbits,_ZN7rocprim17ROCPRIM_400000_NS6detail17trampoline_kernelINS0_14default_configENS1_25partition_config_selectorILNS1_17partition_subalgoE1EtNS0_10empty_typeEbEEZZNS1_14partition_implILS5_1ELb0ES3_jN6thrust23THRUST_200600_302600_NS6detail15normal_iteratorINSA_10device_ptrItEEEEPS6_NSA_18transform_iteratorI7is_evenItESF_NSA_11use_defaultESK_EENS0_5tupleIJSF_SF_EEENSM_IJSG_SG_EEES6_PlJS6_EEE10hipError_tPvRmT3_T4_T5_T6_T7_T9_mT8_P12ihipStream_tbDpT10_ENKUlT_T0_E_clISt17integral_constantIbLb1EES19_EEDaS14_S15_EUlS14_E_NS1_11comp_targetILNS1_3genE3ELNS1_11target_archE908ELNS1_3gpuE7ELNS1_3repE0EEENS1_30default_config_static_selectorELNS0_4arch9wavefront6targetE1EEEvT1_,comdat
	.protected	_ZN7rocprim17ROCPRIM_400000_NS6detail17trampoline_kernelINS0_14default_configENS1_25partition_config_selectorILNS1_17partition_subalgoE1EtNS0_10empty_typeEbEEZZNS1_14partition_implILS5_1ELb0ES3_jN6thrust23THRUST_200600_302600_NS6detail15normal_iteratorINSA_10device_ptrItEEEEPS6_NSA_18transform_iteratorI7is_evenItESF_NSA_11use_defaultESK_EENS0_5tupleIJSF_SF_EEENSM_IJSG_SG_EEES6_PlJS6_EEE10hipError_tPvRmT3_T4_T5_T6_T7_T9_mT8_P12ihipStream_tbDpT10_ENKUlT_T0_E_clISt17integral_constantIbLb1EES19_EEDaS14_S15_EUlS14_E_NS1_11comp_targetILNS1_3genE3ELNS1_11target_archE908ELNS1_3gpuE7ELNS1_3repE0EEENS1_30default_config_static_selectorELNS0_4arch9wavefront6targetE1EEEvT1_ ; -- Begin function _ZN7rocprim17ROCPRIM_400000_NS6detail17trampoline_kernelINS0_14default_configENS1_25partition_config_selectorILNS1_17partition_subalgoE1EtNS0_10empty_typeEbEEZZNS1_14partition_implILS5_1ELb0ES3_jN6thrust23THRUST_200600_302600_NS6detail15normal_iteratorINSA_10device_ptrItEEEEPS6_NSA_18transform_iteratorI7is_evenItESF_NSA_11use_defaultESK_EENS0_5tupleIJSF_SF_EEENSM_IJSG_SG_EEES6_PlJS6_EEE10hipError_tPvRmT3_T4_T5_T6_T7_T9_mT8_P12ihipStream_tbDpT10_ENKUlT_T0_E_clISt17integral_constantIbLb1EES19_EEDaS14_S15_EUlS14_E_NS1_11comp_targetILNS1_3genE3ELNS1_11target_archE908ELNS1_3gpuE7ELNS1_3repE0EEENS1_30default_config_static_selectorELNS0_4arch9wavefront6targetE1EEEvT1_
	.globl	_ZN7rocprim17ROCPRIM_400000_NS6detail17trampoline_kernelINS0_14default_configENS1_25partition_config_selectorILNS1_17partition_subalgoE1EtNS0_10empty_typeEbEEZZNS1_14partition_implILS5_1ELb0ES3_jN6thrust23THRUST_200600_302600_NS6detail15normal_iteratorINSA_10device_ptrItEEEEPS6_NSA_18transform_iteratorI7is_evenItESF_NSA_11use_defaultESK_EENS0_5tupleIJSF_SF_EEENSM_IJSG_SG_EEES6_PlJS6_EEE10hipError_tPvRmT3_T4_T5_T6_T7_T9_mT8_P12ihipStream_tbDpT10_ENKUlT_T0_E_clISt17integral_constantIbLb1EES19_EEDaS14_S15_EUlS14_E_NS1_11comp_targetILNS1_3genE3ELNS1_11target_archE908ELNS1_3gpuE7ELNS1_3repE0EEENS1_30default_config_static_selectorELNS0_4arch9wavefront6targetE1EEEvT1_
	.p2align	8
	.type	_ZN7rocprim17ROCPRIM_400000_NS6detail17trampoline_kernelINS0_14default_configENS1_25partition_config_selectorILNS1_17partition_subalgoE1EtNS0_10empty_typeEbEEZZNS1_14partition_implILS5_1ELb0ES3_jN6thrust23THRUST_200600_302600_NS6detail15normal_iteratorINSA_10device_ptrItEEEEPS6_NSA_18transform_iteratorI7is_evenItESF_NSA_11use_defaultESK_EENS0_5tupleIJSF_SF_EEENSM_IJSG_SG_EEES6_PlJS6_EEE10hipError_tPvRmT3_T4_T5_T6_T7_T9_mT8_P12ihipStream_tbDpT10_ENKUlT_T0_E_clISt17integral_constantIbLb1EES19_EEDaS14_S15_EUlS14_E_NS1_11comp_targetILNS1_3genE3ELNS1_11target_archE908ELNS1_3gpuE7ELNS1_3repE0EEENS1_30default_config_static_selectorELNS0_4arch9wavefront6targetE1EEEvT1_,@function
_ZN7rocprim17ROCPRIM_400000_NS6detail17trampoline_kernelINS0_14default_configENS1_25partition_config_selectorILNS1_17partition_subalgoE1EtNS0_10empty_typeEbEEZZNS1_14partition_implILS5_1ELb0ES3_jN6thrust23THRUST_200600_302600_NS6detail15normal_iteratorINSA_10device_ptrItEEEEPS6_NSA_18transform_iteratorI7is_evenItESF_NSA_11use_defaultESK_EENS0_5tupleIJSF_SF_EEENSM_IJSG_SG_EEES6_PlJS6_EEE10hipError_tPvRmT3_T4_T5_T6_T7_T9_mT8_P12ihipStream_tbDpT10_ENKUlT_T0_E_clISt17integral_constantIbLb1EES19_EEDaS14_S15_EUlS14_E_NS1_11comp_targetILNS1_3genE3ELNS1_11target_archE908ELNS1_3gpuE7ELNS1_3repE0EEENS1_30default_config_static_selectorELNS0_4arch9wavefront6targetE1EEEvT1_: ; @_ZN7rocprim17ROCPRIM_400000_NS6detail17trampoline_kernelINS0_14default_configENS1_25partition_config_selectorILNS1_17partition_subalgoE1EtNS0_10empty_typeEbEEZZNS1_14partition_implILS5_1ELb0ES3_jN6thrust23THRUST_200600_302600_NS6detail15normal_iteratorINSA_10device_ptrItEEEEPS6_NSA_18transform_iteratorI7is_evenItESF_NSA_11use_defaultESK_EENS0_5tupleIJSF_SF_EEENSM_IJSG_SG_EEES6_PlJS6_EEE10hipError_tPvRmT3_T4_T5_T6_T7_T9_mT8_P12ihipStream_tbDpT10_ENKUlT_T0_E_clISt17integral_constantIbLb1EES19_EEDaS14_S15_EUlS14_E_NS1_11comp_targetILNS1_3genE3ELNS1_11target_archE908ELNS1_3gpuE7ELNS1_3repE0EEENS1_30default_config_static_selectorELNS0_4arch9wavefront6targetE1EEEvT1_
; %bb.0:
	.section	.rodata,"a",@progbits
	.p2align	6, 0x0
	.amdhsa_kernel _ZN7rocprim17ROCPRIM_400000_NS6detail17trampoline_kernelINS0_14default_configENS1_25partition_config_selectorILNS1_17partition_subalgoE1EtNS0_10empty_typeEbEEZZNS1_14partition_implILS5_1ELb0ES3_jN6thrust23THRUST_200600_302600_NS6detail15normal_iteratorINSA_10device_ptrItEEEEPS6_NSA_18transform_iteratorI7is_evenItESF_NSA_11use_defaultESK_EENS0_5tupleIJSF_SF_EEENSM_IJSG_SG_EEES6_PlJS6_EEE10hipError_tPvRmT3_T4_T5_T6_T7_T9_mT8_P12ihipStream_tbDpT10_ENKUlT_T0_E_clISt17integral_constantIbLb1EES19_EEDaS14_S15_EUlS14_E_NS1_11comp_targetILNS1_3genE3ELNS1_11target_archE908ELNS1_3gpuE7ELNS1_3repE0EEENS1_30default_config_static_selectorELNS0_4arch9wavefront6targetE1EEEvT1_
		.amdhsa_group_segment_fixed_size 0
		.amdhsa_private_segment_fixed_size 0
		.amdhsa_kernarg_size 144
		.amdhsa_user_sgpr_count 6
		.amdhsa_user_sgpr_private_segment_buffer 1
		.amdhsa_user_sgpr_dispatch_ptr 0
		.amdhsa_user_sgpr_queue_ptr 0
		.amdhsa_user_sgpr_kernarg_segment_ptr 1
		.amdhsa_user_sgpr_dispatch_id 0
		.amdhsa_user_sgpr_flat_scratch_init 0
		.amdhsa_user_sgpr_kernarg_preload_length 0
		.amdhsa_user_sgpr_kernarg_preload_offset 0
		.amdhsa_user_sgpr_private_segment_size 0
		.amdhsa_uses_dynamic_stack 0
		.amdhsa_system_sgpr_private_segment_wavefront_offset 0
		.amdhsa_system_sgpr_workgroup_id_x 1
		.amdhsa_system_sgpr_workgroup_id_y 0
		.amdhsa_system_sgpr_workgroup_id_z 0
		.amdhsa_system_sgpr_workgroup_info 0
		.amdhsa_system_vgpr_workitem_id 0
		.amdhsa_next_free_vgpr 1
		.amdhsa_next_free_sgpr 0
		.amdhsa_accum_offset 4
		.amdhsa_reserve_vcc 0
		.amdhsa_reserve_flat_scratch 0
		.amdhsa_float_round_mode_32 0
		.amdhsa_float_round_mode_16_64 0
		.amdhsa_float_denorm_mode_32 3
		.amdhsa_float_denorm_mode_16_64 3
		.amdhsa_dx10_clamp 1
		.amdhsa_ieee_mode 1
		.amdhsa_fp16_overflow 0
		.amdhsa_tg_split 0
		.amdhsa_exception_fp_ieee_invalid_op 0
		.amdhsa_exception_fp_denorm_src 0
		.amdhsa_exception_fp_ieee_div_zero 0
		.amdhsa_exception_fp_ieee_overflow 0
		.amdhsa_exception_fp_ieee_underflow 0
		.amdhsa_exception_fp_ieee_inexact 0
		.amdhsa_exception_int_div_zero 0
	.end_amdhsa_kernel
	.section	.text._ZN7rocprim17ROCPRIM_400000_NS6detail17trampoline_kernelINS0_14default_configENS1_25partition_config_selectorILNS1_17partition_subalgoE1EtNS0_10empty_typeEbEEZZNS1_14partition_implILS5_1ELb0ES3_jN6thrust23THRUST_200600_302600_NS6detail15normal_iteratorINSA_10device_ptrItEEEEPS6_NSA_18transform_iteratorI7is_evenItESF_NSA_11use_defaultESK_EENS0_5tupleIJSF_SF_EEENSM_IJSG_SG_EEES6_PlJS6_EEE10hipError_tPvRmT3_T4_T5_T6_T7_T9_mT8_P12ihipStream_tbDpT10_ENKUlT_T0_E_clISt17integral_constantIbLb1EES19_EEDaS14_S15_EUlS14_E_NS1_11comp_targetILNS1_3genE3ELNS1_11target_archE908ELNS1_3gpuE7ELNS1_3repE0EEENS1_30default_config_static_selectorELNS0_4arch9wavefront6targetE1EEEvT1_,"axG",@progbits,_ZN7rocprim17ROCPRIM_400000_NS6detail17trampoline_kernelINS0_14default_configENS1_25partition_config_selectorILNS1_17partition_subalgoE1EtNS0_10empty_typeEbEEZZNS1_14partition_implILS5_1ELb0ES3_jN6thrust23THRUST_200600_302600_NS6detail15normal_iteratorINSA_10device_ptrItEEEEPS6_NSA_18transform_iteratorI7is_evenItESF_NSA_11use_defaultESK_EENS0_5tupleIJSF_SF_EEENSM_IJSG_SG_EEES6_PlJS6_EEE10hipError_tPvRmT3_T4_T5_T6_T7_T9_mT8_P12ihipStream_tbDpT10_ENKUlT_T0_E_clISt17integral_constantIbLb1EES19_EEDaS14_S15_EUlS14_E_NS1_11comp_targetILNS1_3genE3ELNS1_11target_archE908ELNS1_3gpuE7ELNS1_3repE0EEENS1_30default_config_static_selectorELNS0_4arch9wavefront6targetE1EEEvT1_,comdat
.Lfunc_end2278:
	.size	_ZN7rocprim17ROCPRIM_400000_NS6detail17trampoline_kernelINS0_14default_configENS1_25partition_config_selectorILNS1_17partition_subalgoE1EtNS0_10empty_typeEbEEZZNS1_14partition_implILS5_1ELb0ES3_jN6thrust23THRUST_200600_302600_NS6detail15normal_iteratorINSA_10device_ptrItEEEEPS6_NSA_18transform_iteratorI7is_evenItESF_NSA_11use_defaultESK_EENS0_5tupleIJSF_SF_EEENSM_IJSG_SG_EEES6_PlJS6_EEE10hipError_tPvRmT3_T4_T5_T6_T7_T9_mT8_P12ihipStream_tbDpT10_ENKUlT_T0_E_clISt17integral_constantIbLb1EES19_EEDaS14_S15_EUlS14_E_NS1_11comp_targetILNS1_3genE3ELNS1_11target_archE908ELNS1_3gpuE7ELNS1_3repE0EEENS1_30default_config_static_selectorELNS0_4arch9wavefront6targetE1EEEvT1_, .Lfunc_end2278-_ZN7rocprim17ROCPRIM_400000_NS6detail17trampoline_kernelINS0_14default_configENS1_25partition_config_selectorILNS1_17partition_subalgoE1EtNS0_10empty_typeEbEEZZNS1_14partition_implILS5_1ELb0ES3_jN6thrust23THRUST_200600_302600_NS6detail15normal_iteratorINSA_10device_ptrItEEEEPS6_NSA_18transform_iteratorI7is_evenItESF_NSA_11use_defaultESK_EENS0_5tupleIJSF_SF_EEENSM_IJSG_SG_EEES6_PlJS6_EEE10hipError_tPvRmT3_T4_T5_T6_T7_T9_mT8_P12ihipStream_tbDpT10_ENKUlT_T0_E_clISt17integral_constantIbLb1EES19_EEDaS14_S15_EUlS14_E_NS1_11comp_targetILNS1_3genE3ELNS1_11target_archE908ELNS1_3gpuE7ELNS1_3repE0EEENS1_30default_config_static_selectorELNS0_4arch9wavefront6targetE1EEEvT1_
                                        ; -- End function
	.section	.AMDGPU.csdata,"",@progbits
; Kernel info:
; codeLenInByte = 0
; NumSgprs: 4
; NumVgprs: 0
; NumAgprs: 0
; TotalNumVgprs: 0
; ScratchSize: 0
; MemoryBound: 0
; FloatMode: 240
; IeeeMode: 1
; LDSByteSize: 0 bytes/workgroup (compile time only)
; SGPRBlocks: 0
; VGPRBlocks: 0
; NumSGPRsForWavesPerEU: 4
; NumVGPRsForWavesPerEU: 1
; AccumOffset: 4
; Occupancy: 8
; WaveLimiterHint : 0
; COMPUTE_PGM_RSRC2:SCRATCH_EN: 0
; COMPUTE_PGM_RSRC2:USER_SGPR: 6
; COMPUTE_PGM_RSRC2:TRAP_HANDLER: 0
; COMPUTE_PGM_RSRC2:TGID_X_EN: 1
; COMPUTE_PGM_RSRC2:TGID_Y_EN: 0
; COMPUTE_PGM_RSRC2:TGID_Z_EN: 0
; COMPUTE_PGM_RSRC2:TIDIG_COMP_CNT: 0
; COMPUTE_PGM_RSRC3_GFX90A:ACCUM_OFFSET: 0
; COMPUTE_PGM_RSRC3_GFX90A:TG_SPLIT: 0
	.section	.text._ZN7rocprim17ROCPRIM_400000_NS6detail17trampoline_kernelINS0_14default_configENS1_25partition_config_selectorILNS1_17partition_subalgoE1EtNS0_10empty_typeEbEEZZNS1_14partition_implILS5_1ELb0ES3_jN6thrust23THRUST_200600_302600_NS6detail15normal_iteratorINSA_10device_ptrItEEEEPS6_NSA_18transform_iteratorI7is_evenItESF_NSA_11use_defaultESK_EENS0_5tupleIJSF_SF_EEENSM_IJSG_SG_EEES6_PlJS6_EEE10hipError_tPvRmT3_T4_T5_T6_T7_T9_mT8_P12ihipStream_tbDpT10_ENKUlT_T0_E_clISt17integral_constantIbLb1EES19_EEDaS14_S15_EUlS14_E_NS1_11comp_targetILNS1_3genE2ELNS1_11target_archE906ELNS1_3gpuE6ELNS1_3repE0EEENS1_30default_config_static_selectorELNS0_4arch9wavefront6targetE1EEEvT1_,"axG",@progbits,_ZN7rocprim17ROCPRIM_400000_NS6detail17trampoline_kernelINS0_14default_configENS1_25partition_config_selectorILNS1_17partition_subalgoE1EtNS0_10empty_typeEbEEZZNS1_14partition_implILS5_1ELb0ES3_jN6thrust23THRUST_200600_302600_NS6detail15normal_iteratorINSA_10device_ptrItEEEEPS6_NSA_18transform_iteratorI7is_evenItESF_NSA_11use_defaultESK_EENS0_5tupleIJSF_SF_EEENSM_IJSG_SG_EEES6_PlJS6_EEE10hipError_tPvRmT3_T4_T5_T6_T7_T9_mT8_P12ihipStream_tbDpT10_ENKUlT_T0_E_clISt17integral_constantIbLb1EES19_EEDaS14_S15_EUlS14_E_NS1_11comp_targetILNS1_3genE2ELNS1_11target_archE906ELNS1_3gpuE6ELNS1_3repE0EEENS1_30default_config_static_selectorELNS0_4arch9wavefront6targetE1EEEvT1_,comdat
	.protected	_ZN7rocprim17ROCPRIM_400000_NS6detail17trampoline_kernelINS0_14default_configENS1_25partition_config_selectorILNS1_17partition_subalgoE1EtNS0_10empty_typeEbEEZZNS1_14partition_implILS5_1ELb0ES3_jN6thrust23THRUST_200600_302600_NS6detail15normal_iteratorINSA_10device_ptrItEEEEPS6_NSA_18transform_iteratorI7is_evenItESF_NSA_11use_defaultESK_EENS0_5tupleIJSF_SF_EEENSM_IJSG_SG_EEES6_PlJS6_EEE10hipError_tPvRmT3_T4_T5_T6_T7_T9_mT8_P12ihipStream_tbDpT10_ENKUlT_T0_E_clISt17integral_constantIbLb1EES19_EEDaS14_S15_EUlS14_E_NS1_11comp_targetILNS1_3genE2ELNS1_11target_archE906ELNS1_3gpuE6ELNS1_3repE0EEENS1_30default_config_static_selectorELNS0_4arch9wavefront6targetE1EEEvT1_ ; -- Begin function _ZN7rocprim17ROCPRIM_400000_NS6detail17trampoline_kernelINS0_14default_configENS1_25partition_config_selectorILNS1_17partition_subalgoE1EtNS0_10empty_typeEbEEZZNS1_14partition_implILS5_1ELb0ES3_jN6thrust23THRUST_200600_302600_NS6detail15normal_iteratorINSA_10device_ptrItEEEEPS6_NSA_18transform_iteratorI7is_evenItESF_NSA_11use_defaultESK_EENS0_5tupleIJSF_SF_EEENSM_IJSG_SG_EEES6_PlJS6_EEE10hipError_tPvRmT3_T4_T5_T6_T7_T9_mT8_P12ihipStream_tbDpT10_ENKUlT_T0_E_clISt17integral_constantIbLb1EES19_EEDaS14_S15_EUlS14_E_NS1_11comp_targetILNS1_3genE2ELNS1_11target_archE906ELNS1_3gpuE6ELNS1_3repE0EEENS1_30default_config_static_selectorELNS0_4arch9wavefront6targetE1EEEvT1_
	.globl	_ZN7rocprim17ROCPRIM_400000_NS6detail17trampoline_kernelINS0_14default_configENS1_25partition_config_selectorILNS1_17partition_subalgoE1EtNS0_10empty_typeEbEEZZNS1_14partition_implILS5_1ELb0ES3_jN6thrust23THRUST_200600_302600_NS6detail15normal_iteratorINSA_10device_ptrItEEEEPS6_NSA_18transform_iteratorI7is_evenItESF_NSA_11use_defaultESK_EENS0_5tupleIJSF_SF_EEENSM_IJSG_SG_EEES6_PlJS6_EEE10hipError_tPvRmT3_T4_T5_T6_T7_T9_mT8_P12ihipStream_tbDpT10_ENKUlT_T0_E_clISt17integral_constantIbLb1EES19_EEDaS14_S15_EUlS14_E_NS1_11comp_targetILNS1_3genE2ELNS1_11target_archE906ELNS1_3gpuE6ELNS1_3repE0EEENS1_30default_config_static_selectorELNS0_4arch9wavefront6targetE1EEEvT1_
	.p2align	8
	.type	_ZN7rocprim17ROCPRIM_400000_NS6detail17trampoline_kernelINS0_14default_configENS1_25partition_config_selectorILNS1_17partition_subalgoE1EtNS0_10empty_typeEbEEZZNS1_14partition_implILS5_1ELb0ES3_jN6thrust23THRUST_200600_302600_NS6detail15normal_iteratorINSA_10device_ptrItEEEEPS6_NSA_18transform_iteratorI7is_evenItESF_NSA_11use_defaultESK_EENS0_5tupleIJSF_SF_EEENSM_IJSG_SG_EEES6_PlJS6_EEE10hipError_tPvRmT3_T4_T5_T6_T7_T9_mT8_P12ihipStream_tbDpT10_ENKUlT_T0_E_clISt17integral_constantIbLb1EES19_EEDaS14_S15_EUlS14_E_NS1_11comp_targetILNS1_3genE2ELNS1_11target_archE906ELNS1_3gpuE6ELNS1_3repE0EEENS1_30default_config_static_selectorELNS0_4arch9wavefront6targetE1EEEvT1_,@function
_ZN7rocprim17ROCPRIM_400000_NS6detail17trampoline_kernelINS0_14default_configENS1_25partition_config_selectorILNS1_17partition_subalgoE1EtNS0_10empty_typeEbEEZZNS1_14partition_implILS5_1ELb0ES3_jN6thrust23THRUST_200600_302600_NS6detail15normal_iteratorINSA_10device_ptrItEEEEPS6_NSA_18transform_iteratorI7is_evenItESF_NSA_11use_defaultESK_EENS0_5tupleIJSF_SF_EEENSM_IJSG_SG_EEES6_PlJS6_EEE10hipError_tPvRmT3_T4_T5_T6_T7_T9_mT8_P12ihipStream_tbDpT10_ENKUlT_T0_E_clISt17integral_constantIbLb1EES19_EEDaS14_S15_EUlS14_E_NS1_11comp_targetILNS1_3genE2ELNS1_11target_archE906ELNS1_3gpuE6ELNS1_3repE0EEENS1_30default_config_static_selectorELNS0_4arch9wavefront6targetE1EEEvT1_: ; @_ZN7rocprim17ROCPRIM_400000_NS6detail17trampoline_kernelINS0_14default_configENS1_25partition_config_selectorILNS1_17partition_subalgoE1EtNS0_10empty_typeEbEEZZNS1_14partition_implILS5_1ELb0ES3_jN6thrust23THRUST_200600_302600_NS6detail15normal_iteratorINSA_10device_ptrItEEEEPS6_NSA_18transform_iteratorI7is_evenItESF_NSA_11use_defaultESK_EENS0_5tupleIJSF_SF_EEENSM_IJSG_SG_EEES6_PlJS6_EEE10hipError_tPvRmT3_T4_T5_T6_T7_T9_mT8_P12ihipStream_tbDpT10_ENKUlT_T0_E_clISt17integral_constantIbLb1EES19_EEDaS14_S15_EUlS14_E_NS1_11comp_targetILNS1_3genE2ELNS1_11target_archE906ELNS1_3gpuE6ELNS1_3repE0EEENS1_30default_config_static_selectorELNS0_4arch9wavefront6targetE1EEEvT1_
; %bb.0:
	.section	.rodata,"a",@progbits
	.p2align	6, 0x0
	.amdhsa_kernel _ZN7rocprim17ROCPRIM_400000_NS6detail17trampoline_kernelINS0_14default_configENS1_25partition_config_selectorILNS1_17partition_subalgoE1EtNS0_10empty_typeEbEEZZNS1_14partition_implILS5_1ELb0ES3_jN6thrust23THRUST_200600_302600_NS6detail15normal_iteratorINSA_10device_ptrItEEEEPS6_NSA_18transform_iteratorI7is_evenItESF_NSA_11use_defaultESK_EENS0_5tupleIJSF_SF_EEENSM_IJSG_SG_EEES6_PlJS6_EEE10hipError_tPvRmT3_T4_T5_T6_T7_T9_mT8_P12ihipStream_tbDpT10_ENKUlT_T0_E_clISt17integral_constantIbLb1EES19_EEDaS14_S15_EUlS14_E_NS1_11comp_targetILNS1_3genE2ELNS1_11target_archE906ELNS1_3gpuE6ELNS1_3repE0EEENS1_30default_config_static_selectorELNS0_4arch9wavefront6targetE1EEEvT1_
		.amdhsa_group_segment_fixed_size 0
		.amdhsa_private_segment_fixed_size 0
		.amdhsa_kernarg_size 144
		.amdhsa_user_sgpr_count 6
		.amdhsa_user_sgpr_private_segment_buffer 1
		.amdhsa_user_sgpr_dispatch_ptr 0
		.amdhsa_user_sgpr_queue_ptr 0
		.amdhsa_user_sgpr_kernarg_segment_ptr 1
		.amdhsa_user_sgpr_dispatch_id 0
		.amdhsa_user_sgpr_flat_scratch_init 0
		.amdhsa_user_sgpr_kernarg_preload_length 0
		.amdhsa_user_sgpr_kernarg_preload_offset 0
		.amdhsa_user_sgpr_private_segment_size 0
		.amdhsa_uses_dynamic_stack 0
		.amdhsa_system_sgpr_private_segment_wavefront_offset 0
		.amdhsa_system_sgpr_workgroup_id_x 1
		.amdhsa_system_sgpr_workgroup_id_y 0
		.amdhsa_system_sgpr_workgroup_id_z 0
		.amdhsa_system_sgpr_workgroup_info 0
		.amdhsa_system_vgpr_workitem_id 0
		.amdhsa_next_free_vgpr 1
		.amdhsa_next_free_sgpr 0
		.amdhsa_accum_offset 4
		.amdhsa_reserve_vcc 0
		.amdhsa_reserve_flat_scratch 0
		.amdhsa_float_round_mode_32 0
		.amdhsa_float_round_mode_16_64 0
		.amdhsa_float_denorm_mode_32 3
		.amdhsa_float_denorm_mode_16_64 3
		.amdhsa_dx10_clamp 1
		.amdhsa_ieee_mode 1
		.amdhsa_fp16_overflow 0
		.amdhsa_tg_split 0
		.amdhsa_exception_fp_ieee_invalid_op 0
		.amdhsa_exception_fp_denorm_src 0
		.amdhsa_exception_fp_ieee_div_zero 0
		.amdhsa_exception_fp_ieee_overflow 0
		.amdhsa_exception_fp_ieee_underflow 0
		.amdhsa_exception_fp_ieee_inexact 0
		.amdhsa_exception_int_div_zero 0
	.end_amdhsa_kernel
	.section	.text._ZN7rocprim17ROCPRIM_400000_NS6detail17trampoline_kernelINS0_14default_configENS1_25partition_config_selectorILNS1_17partition_subalgoE1EtNS0_10empty_typeEbEEZZNS1_14partition_implILS5_1ELb0ES3_jN6thrust23THRUST_200600_302600_NS6detail15normal_iteratorINSA_10device_ptrItEEEEPS6_NSA_18transform_iteratorI7is_evenItESF_NSA_11use_defaultESK_EENS0_5tupleIJSF_SF_EEENSM_IJSG_SG_EEES6_PlJS6_EEE10hipError_tPvRmT3_T4_T5_T6_T7_T9_mT8_P12ihipStream_tbDpT10_ENKUlT_T0_E_clISt17integral_constantIbLb1EES19_EEDaS14_S15_EUlS14_E_NS1_11comp_targetILNS1_3genE2ELNS1_11target_archE906ELNS1_3gpuE6ELNS1_3repE0EEENS1_30default_config_static_selectorELNS0_4arch9wavefront6targetE1EEEvT1_,"axG",@progbits,_ZN7rocprim17ROCPRIM_400000_NS6detail17trampoline_kernelINS0_14default_configENS1_25partition_config_selectorILNS1_17partition_subalgoE1EtNS0_10empty_typeEbEEZZNS1_14partition_implILS5_1ELb0ES3_jN6thrust23THRUST_200600_302600_NS6detail15normal_iteratorINSA_10device_ptrItEEEEPS6_NSA_18transform_iteratorI7is_evenItESF_NSA_11use_defaultESK_EENS0_5tupleIJSF_SF_EEENSM_IJSG_SG_EEES6_PlJS6_EEE10hipError_tPvRmT3_T4_T5_T6_T7_T9_mT8_P12ihipStream_tbDpT10_ENKUlT_T0_E_clISt17integral_constantIbLb1EES19_EEDaS14_S15_EUlS14_E_NS1_11comp_targetILNS1_3genE2ELNS1_11target_archE906ELNS1_3gpuE6ELNS1_3repE0EEENS1_30default_config_static_selectorELNS0_4arch9wavefront6targetE1EEEvT1_,comdat
.Lfunc_end2279:
	.size	_ZN7rocprim17ROCPRIM_400000_NS6detail17trampoline_kernelINS0_14default_configENS1_25partition_config_selectorILNS1_17partition_subalgoE1EtNS0_10empty_typeEbEEZZNS1_14partition_implILS5_1ELb0ES3_jN6thrust23THRUST_200600_302600_NS6detail15normal_iteratorINSA_10device_ptrItEEEEPS6_NSA_18transform_iteratorI7is_evenItESF_NSA_11use_defaultESK_EENS0_5tupleIJSF_SF_EEENSM_IJSG_SG_EEES6_PlJS6_EEE10hipError_tPvRmT3_T4_T5_T6_T7_T9_mT8_P12ihipStream_tbDpT10_ENKUlT_T0_E_clISt17integral_constantIbLb1EES19_EEDaS14_S15_EUlS14_E_NS1_11comp_targetILNS1_3genE2ELNS1_11target_archE906ELNS1_3gpuE6ELNS1_3repE0EEENS1_30default_config_static_selectorELNS0_4arch9wavefront6targetE1EEEvT1_, .Lfunc_end2279-_ZN7rocprim17ROCPRIM_400000_NS6detail17trampoline_kernelINS0_14default_configENS1_25partition_config_selectorILNS1_17partition_subalgoE1EtNS0_10empty_typeEbEEZZNS1_14partition_implILS5_1ELb0ES3_jN6thrust23THRUST_200600_302600_NS6detail15normal_iteratorINSA_10device_ptrItEEEEPS6_NSA_18transform_iteratorI7is_evenItESF_NSA_11use_defaultESK_EENS0_5tupleIJSF_SF_EEENSM_IJSG_SG_EEES6_PlJS6_EEE10hipError_tPvRmT3_T4_T5_T6_T7_T9_mT8_P12ihipStream_tbDpT10_ENKUlT_T0_E_clISt17integral_constantIbLb1EES19_EEDaS14_S15_EUlS14_E_NS1_11comp_targetILNS1_3genE2ELNS1_11target_archE906ELNS1_3gpuE6ELNS1_3repE0EEENS1_30default_config_static_selectorELNS0_4arch9wavefront6targetE1EEEvT1_
                                        ; -- End function
	.section	.AMDGPU.csdata,"",@progbits
; Kernel info:
; codeLenInByte = 0
; NumSgprs: 4
; NumVgprs: 0
; NumAgprs: 0
; TotalNumVgprs: 0
; ScratchSize: 0
; MemoryBound: 0
; FloatMode: 240
; IeeeMode: 1
; LDSByteSize: 0 bytes/workgroup (compile time only)
; SGPRBlocks: 0
; VGPRBlocks: 0
; NumSGPRsForWavesPerEU: 4
; NumVGPRsForWavesPerEU: 1
; AccumOffset: 4
; Occupancy: 8
; WaveLimiterHint : 0
; COMPUTE_PGM_RSRC2:SCRATCH_EN: 0
; COMPUTE_PGM_RSRC2:USER_SGPR: 6
; COMPUTE_PGM_RSRC2:TRAP_HANDLER: 0
; COMPUTE_PGM_RSRC2:TGID_X_EN: 1
; COMPUTE_PGM_RSRC2:TGID_Y_EN: 0
; COMPUTE_PGM_RSRC2:TGID_Z_EN: 0
; COMPUTE_PGM_RSRC2:TIDIG_COMP_CNT: 0
; COMPUTE_PGM_RSRC3_GFX90A:ACCUM_OFFSET: 0
; COMPUTE_PGM_RSRC3_GFX90A:TG_SPLIT: 0
	.section	.text._ZN7rocprim17ROCPRIM_400000_NS6detail17trampoline_kernelINS0_14default_configENS1_25partition_config_selectorILNS1_17partition_subalgoE1EtNS0_10empty_typeEbEEZZNS1_14partition_implILS5_1ELb0ES3_jN6thrust23THRUST_200600_302600_NS6detail15normal_iteratorINSA_10device_ptrItEEEEPS6_NSA_18transform_iteratorI7is_evenItESF_NSA_11use_defaultESK_EENS0_5tupleIJSF_SF_EEENSM_IJSG_SG_EEES6_PlJS6_EEE10hipError_tPvRmT3_T4_T5_T6_T7_T9_mT8_P12ihipStream_tbDpT10_ENKUlT_T0_E_clISt17integral_constantIbLb1EES19_EEDaS14_S15_EUlS14_E_NS1_11comp_targetILNS1_3genE10ELNS1_11target_archE1200ELNS1_3gpuE4ELNS1_3repE0EEENS1_30default_config_static_selectorELNS0_4arch9wavefront6targetE1EEEvT1_,"axG",@progbits,_ZN7rocprim17ROCPRIM_400000_NS6detail17trampoline_kernelINS0_14default_configENS1_25partition_config_selectorILNS1_17partition_subalgoE1EtNS0_10empty_typeEbEEZZNS1_14partition_implILS5_1ELb0ES3_jN6thrust23THRUST_200600_302600_NS6detail15normal_iteratorINSA_10device_ptrItEEEEPS6_NSA_18transform_iteratorI7is_evenItESF_NSA_11use_defaultESK_EENS0_5tupleIJSF_SF_EEENSM_IJSG_SG_EEES6_PlJS6_EEE10hipError_tPvRmT3_T4_T5_T6_T7_T9_mT8_P12ihipStream_tbDpT10_ENKUlT_T0_E_clISt17integral_constantIbLb1EES19_EEDaS14_S15_EUlS14_E_NS1_11comp_targetILNS1_3genE10ELNS1_11target_archE1200ELNS1_3gpuE4ELNS1_3repE0EEENS1_30default_config_static_selectorELNS0_4arch9wavefront6targetE1EEEvT1_,comdat
	.protected	_ZN7rocprim17ROCPRIM_400000_NS6detail17trampoline_kernelINS0_14default_configENS1_25partition_config_selectorILNS1_17partition_subalgoE1EtNS0_10empty_typeEbEEZZNS1_14partition_implILS5_1ELb0ES3_jN6thrust23THRUST_200600_302600_NS6detail15normal_iteratorINSA_10device_ptrItEEEEPS6_NSA_18transform_iteratorI7is_evenItESF_NSA_11use_defaultESK_EENS0_5tupleIJSF_SF_EEENSM_IJSG_SG_EEES6_PlJS6_EEE10hipError_tPvRmT3_T4_T5_T6_T7_T9_mT8_P12ihipStream_tbDpT10_ENKUlT_T0_E_clISt17integral_constantIbLb1EES19_EEDaS14_S15_EUlS14_E_NS1_11comp_targetILNS1_3genE10ELNS1_11target_archE1200ELNS1_3gpuE4ELNS1_3repE0EEENS1_30default_config_static_selectorELNS0_4arch9wavefront6targetE1EEEvT1_ ; -- Begin function _ZN7rocprim17ROCPRIM_400000_NS6detail17trampoline_kernelINS0_14default_configENS1_25partition_config_selectorILNS1_17partition_subalgoE1EtNS0_10empty_typeEbEEZZNS1_14partition_implILS5_1ELb0ES3_jN6thrust23THRUST_200600_302600_NS6detail15normal_iteratorINSA_10device_ptrItEEEEPS6_NSA_18transform_iteratorI7is_evenItESF_NSA_11use_defaultESK_EENS0_5tupleIJSF_SF_EEENSM_IJSG_SG_EEES6_PlJS6_EEE10hipError_tPvRmT3_T4_T5_T6_T7_T9_mT8_P12ihipStream_tbDpT10_ENKUlT_T0_E_clISt17integral_constantIbLb1EES19_EEDaS14_S15_EUlS14_E_NS1_11comp_targetILNS1_3genE10ELNS1_11target_archE1200ELNS1_3gpuE4ELNS1_3repE0EEENS1_30default_config_static_selectorELNS0_4arch9wavefront6targetE1EEEvT1_
	.globl	_ZN7rocprim17ROCPRIM_400000_NS6detail17trampoline_kernelINS0_14default_configENS1_25partition_config_selectorILNS1_17partition_subalgoE1EtNS0_10empty_typeEbEEZZNS1_14partition_implILS5_1ELb0ES3_jN6thrust23THRUST_200600_302600_NS6detail15normal_iteratorINSA_10device_ptrItEEEEPS6_NSA_18transform_iteratorI7is_evenItESF_NSA_11use_defaultESK_EENS0_5tupleIJSF_SF_EEENSM_IJSG_SG_EEES6_PlJS6_EEE10hipError_tPvRmT3_T4_T5_T6_T7_T9_mT8_P12ihipStream_tbDpT10_ENKUlT_T0_E_clISt17integral_constantIbLb1EES19_EEDaS14_S15_EUlS14_E_NS1_11comp_targetILNS1_3genE10ELNS1_11target_archE1200ELNS1_3gpuE4ELNS1_3repE0EEENS1_30default_config_static_selectorELNS0_4arch9wavefront6targetE1EEEvT1_
	.p2align	8
	.type	_ZN7rocprim17ROCPRIM_400000_NS6detail17trampoline_kernelINS0_14default_configENS1_25partition_config_selectorILNS1_17partition_subalgoE1EtNS0_10empty_typeEbEEZZNS1_14partition_implILS5_1ELb0ES3_jN6thrust23THRUST_200600_302600_NS6detail15normal_iteratorINSA_10device_ptrItEEEEPS6_NSA_18transform_iteratorI7is_evenItESF_NSA_11use_defaultESK_EENS0_5tupleIJSF_SF_EEENSM_IJSG_SG_EEES6_PlJS6_EEE10hipError_tPvRmT3_T4_T5_T6_T7_T9_mT8_P12ihipStream_tbDpT10_ENKUlT_T0_E_clISt17integral_constantIbLb1EES19_EEDaS14_S15_EUlS14_E_NS1_11comp_targetILNS1_3genE10ELNS1_11target_archE1200ELNS1_3gpuE4ELNS1_3repE0EEENS1_30default_config_static_selectorELNS0_4arch9wavefront6targetE1EEEvT1_,@function
_ZN7rocprim17ROCPRIM_400000_NS6detail17trampoline_kernelINS0_14default_configENS1_25partition_config_selectorILNS1_17partition_subalgoE1EtNS0_10empty_typeEbEEZZNS1_14partition_implILS5_1ELb0ES3_jN6thrust23THRUST_200600_302600_NS6detail15normal_iteratorINSA_10device_ptrItEEEEPS6_NSA_18transform_iteratorI7is_evenItESF_NSA_11use_defaultESK_EENS0_5tupleIJSF_SF_EEENSM_IJSG_SG_EEES6_PlJS6_EEE10hipError_tPvRmT3_T4_T5_T6_T7_T9_mT8_P12ihipStream_tbDpT10_ENKUlT_T0_E_clISt17integral_constantIbLb1EES19_EEDaS14_S15_EUlS14_E_NS1_11comp_targetILNS1_3genE10ELNS1_11target_archE1200ELNS1_3gpuE4ELNS1_3repE0EEENS1_30default_config_static_selectorELNS0_4arch9wavefront6targetE1EEEvT1_: ; @_ZN7rocprim17ROCPRIM_400000_NS6detail17trampoline_kernelINS0_14default_configENS1_25partition_config_selectorILNS1_17partition_subalgoE1EtNS0_10empty_typeEbEEZZNS1_14partition_implILS5_1ELb0ES3_jN6thrust23THRUST_200600_302600_NS6detail15normal_iteratorINSA_10device_ptrItEEEEPS6_NSA_18transform_iteratorI7is_evenItESF_NSA_11use_defaultESK_EENS0_5tupleIJSF_SF_EEENSM_IJSG_SG_EEES6_PlJS6_EEE10hipError_tPvRmT3_T4_T5_T6_T7_T9_mT8_P12ihipStream_tbDpT10_ENKUlT_T0_E_clISt17integral_constantIbLb1EES19_EEDaS14_S15_EUlS14_E_NS1_11comp_targetILNS1_3genE10ELNS1_11target_archE1200ELNS1_3gpuE4ELNS1_3repE0EEENS1_30default_config_static_selectorELNS0_4arch9wavefront6targetE1EEEvT1_
; %bb.0:
	.section	.rodata,"a",@progbits
	.p2align	6, 0x0
	.amdhsa_kernel _ZN7rocprim17ROCPRIM_400000_NS6detail17trampoline_kernelINS0_14default_configENS1_25partition_config_selectorILNS1_17partition_subalgoE1EtNS0_10empty_typeEbEEZZNS1_14partition_implILS5_1ELb0ES3_jN6thrust23THRUST_200600_302600_NS6detail15normal_iteratorINSA_10device_ptrItEEEEPS6_NSA_18transform_iteratorI7is_evenItESF_NSA_11use_defaultESK_EENS0_5tupleIJSF_SF_EEENSM_IJSG_SG_EEES6_PlJS6_EEE10hipError_tPvRmT3_T4_T5_T6_T7_T9_mT8_P12ihipStream_tbDpT10_ENKUlT_T0_E_clISt17integral_constantIbLb1EES19_EEDaS14_S15_EUlS14_E_NS1_11comp_targetILNS1_3genE10ELNS1_11target_archE1200ELNS1_3gpuE4ELNS1_3repE0EEENS1_30default_config_static_selectorELNS0_4arch9wavefront6targetE1EEEvT1_
		.amdhsa_group_segment_fixed_size 0
		.amdhsa_private_segment_fixed_size 0
		.amdhsa_kernarg_size 144
		.amdhsa_user_sgpr_count 6
		.amdhsa_user_sgpr_private_segment_buffer 1
		.amdhsa_user_sgpr_dispatch_ptr 0
		.amdhsa_user_sgpr_queue_ptr 0
		.amdhsa_user_sgpr_kernarg_segment_ptr 1
		.amdhsa_user_sgpr_dispatch_id 0
		.amdhsa_user_sgpr_flat_scratch_init 0
		.amdhsa_user_sgpr_kernarg_preload_length 0
		.amdhsa_user_sgpr_kernarg_preload_offset 0
		.amdhsa_user_sgpr_private_segment_size 0
		.amdhsa_uses_dynamic_stack 0
		.amdhsa_system_sgpr_private_segment_wavefront_offset 0
		.amdhsa_system_sgpr_workgroup_id_x 1
		.amdhsa_system_sgpr_workgroup_id_y 0
		.amdhsa_system_sgpr_workgroup_id_z 0
		.amdhsa_system_sgpr_workgroup_info 0
		.amdhsa_system_vgpr_workitem_id 0
		.amdhsa_next_free_vgpr 1
		.amdhsa_next_free_sgpr 0
		.amdhsa_accum_offset 4
		.amdhsa_reserve_vcc 0
		.amdhsa_reserve_flat_scratch 0
		.amdhsa_float_round_mode_32 0
		.amdhsa_float_round_mode_16_64 0
		.amdhsa_float_denorm_mode_32 3
		.amdhsa_float_denorm_mode_16_64 3
		.amdhsa_dx10_clamp 1
		.amdhsa_ieee_mode 1
		.amdhsa_fp16_overflow 0
		.amdhsa_tg_split 0
		.amdhsa_exception_fp_ieee_invalid_op 0
		.amdhsa_exception_fp_denorm_src 0
		.amdhsa_exception_fp_ieee_div_zero 0
		.amdhsa_exception_fp_ieee_overflow 0
		.amdhsa_exception_fp_ieee_underflow 0
		.amdhsa_exception_fp_ieee_inexact 0
		.amdhsa_exception_int_div_zero 0
	.end_amdhsa_kernel
	.section	.text._ZN7rocprim17ROCPRIM_400000_NS6detail17trampoline_kernelINS0_14default_configENS1_25partition_config_selectorILNS1_17partition_subalgoE1EtNS0_10empty_typeEbEEZZNS1_14partition_implILS5_1ELb0ES3_jN6thrust23THRUST_200600_302600_NS6detail15normal_iteratorINSA_10device_ptrItEEEEPS6_NSA_18transform_iteratorI7is_evenItESF_NSA_11use_defaultESK_EENS0_5tupleIJSF_SF_EEENSM_IJSG_SG_EEES6_PlJS6_EEE10hipError_tPvRmT3_T4_T5_T6_T7_T9_mT8_P12ihipStream_tbDpT10_ENKUlT_T0_E_clISt17integral_constantIbLb1EES19_EEDaS14_S15_EUlS14_E_NS1_11comp_targetILNS1_3genE10ELNS1_11target_archE1200ELNS1_3gpuE4ELNS1_3repE0EEENS1_30default_config_static_selectorELNS0_4arch9wavefront6targetE1EEEvT1_,"axG",@progbits,_ZN7rocprim17ROCPRIM_400000_NS6detail17trampoline_kernelINS0_14default_configENS1_25partition_config_selectorILNS1_17partition_subalgoE1EtNS0_10empty_typeEbEEZZNS1_14partition_implILS5_1ELb0ES3_jN6thrust23THRUST_200600_302600_NS6detail15normal_iteratorINSA_10device_ptrItEEEEPS6_NSA_18transform_iteratorI7is_evenItESF_NSA_11use_defaultESK_EENS0_5tupleIJSF_SF_EEENSM_IJSG_SG_EEES6_PlJS6_EEE10hipError_tPvRmT3_T4_T5_T6_T7_T9_mT8_P12ihipStream_tbDpT10_ENKUlT_T0_E_clISt17integral_constantIbLb1EES19_EEDaS14_S15_EUlS14_E_NS1_11comp_targetILNS1_3genE10ELNS1_11target_archE1200ELNS1_3gpuE4ELNS1_3repE0EEENS1_30default_config_static_selectorELNS0_4arch9wavefront6targetE1EEEvT1_,comdat
.Lfunc_end2280:
	.size	_ZN7rocprim17ROCPRIM_400000_NS6detail17trampoline_kernelINS0_14default_configENS1_25partition_config_selectorILNS1_17partition_subalgoE1EtNS0_10empty_typeEbEEZZNS1_14partition_implILS5_1ELb0ES3_jN6thrust23THRUST_200600_302600_NS6detail15normal_iteratorINSA_10device_ptrItEEEEPS6_NSA_18transform_iteratorI7is_evenItESF_NSA_11use_defaultESK_EENS0_5tupleIJSF_SF_EEENSM_IJSG_SG_EEES6_PlJS6_EEE10hipError_tPvRmT3_T4_T5_T6_T7_T9_mT8_P12ihipStream_tbDpT10_ENKUlT_T0_E_clISt17integral_constantIbLb1EES19_EEDaS14_S15_EUlS14_E_NS1_11comp_targetILNS1_3genE10ELNS1_11target_archE1200ELNS1_3gpuE4ELNS1_3repE0EEENS1_30default_config_static_selectorELNS0_4arch9wavefront6targetE1EEEvT1_, .Lfunc_end2280-_ZN7rocprim17ROCPRIM_400000_NS6detail17trampoline_kernelINS0_14default_configENS1_25partition_config_selectorILNS1_17partition_subalgoE1EtNS0_10empty_typeEbEEZZNS1_14partition_implILS5_1ELb0ES3_jN6thrust23THRUST_200600_302600_NS6detail15normal_iteratorINSA_10device_ptrItEEEEPS6_NSA_18transform_iteratorI7is_evenItESF_NSA_11use_defaultESK_EENS0_5tupleIJSF_SF_EEENSM_IJSG_SG_EEES6_PlJS6_EEE10hipError_tPvRmT3_T4_T5_T6_T7_T9_mT8_P12ihipStream_tbDpT10_ENKUlT_T0_E_clISt17integral_constantIbLb1EES19_EEDaS14_S15_EUlS14_E_NS1_11comp_targetILNS1_3genE10ELNS1_11target_archE1200ELNS1_3gpuE4ELNS1_3repE0EEENS1_30default_config_static_selectorELNS0_4arch9wavefront6targetE1EEEvT1_
                                        ; -- End function
	.section	.AMDGPU.csdata,"",@progbits
; Kernel info:
; codeLenInByte = 0
; NumSgprs: 4
; NumVgprs: 0
; NumAgprs: 0
; TotalNumVgprs: 0
; ScratchSize: 0
; MemoryBound: 0
; FloatMode: 240
; IeeeMode: 1
; LDSByteSize: 0 bytes/workgroup (compile time only)
; SGPRBlocks: 0
; VGPRBlocks: 0
; NumSGPRsForWavesPerEU: 4
; NumVGPRsForWavesPerEU: 1
; AccumOffset: 4
; Occupancy: 8
; WaveLimiterHint : 0
; COMPUTE_PGM_RSRC2:SCRATCH_EN: 0
; COMPUTE_PGM_RSRC2:USER_SGPR: 6
; COMPUTE_PGM_RSRC2:TRAP_HANDLER: 0
; COMPUTE_PGM_RSRC2:TGID_X_EN: 1
; COMPUTE_PGM_RSRC2:TGID_Y_EN: 0
; COMPUTE_PGM_RSRC2:TGID_Z_EN: 0
; COMPUTE_PGM_RSRC2:TIDIG_COMP_CNT: 0
; COMPUTE_PGM_RSRC3_GFX90A:ACCUM_OFFSET: 0
; COMPUTE_PGM_RSRC3_GFX90A:TG_SPLIT: 0
	.section	.text._ZN7rocprim17ROCPRIM_400000_NS6detail17trampoline_kernelINS0_14default_configENS1_25partition_config_selectorILNS1_17partition_subalgoE1EtNS0_10empty_typeEbEEZZNS1_14partition_implILS5_1ELb0ES3_jN6thrust23THRUST_200600_302600_NS6detail15normal_iteratorINSA_10device_ptrItEEEEPS6_NSA_18transform_iteratorI7is_evenItESF_NSA_11use_defaultESK_EENS0_5tupleIJSF_SF_EEENSM_IJSG_SG_EEES6_PlJS6_EEE10hipError_tPvRmT3_T4_T5_T6_T7_T9_mT8_P12ihipStream_tbDpT10_ENKUlT_T0_E_clISt17integral_constantIbLb1EES19_EEDaS14_S15_EUlS14_E_NS1_11comp_targetILNS1_3genE9ELNS1_11target_archE1100ELNS1_3gpuE3ELNS1_3repE0EEENS1_30default_config_static_selectorELNS0_4arch9wavefront6targetE1EEEvT1_,"axG",@progbits,_ZN7rocprim17ROCPRIM_400000_NS6detail17trampoline_kernelINS0_14default_configENS1_25partition_config_selectorILNS1_17partition_subalgoE1EtNS0_10empty_typeEbEEZZNS1_14partition_implILS5_1ELb0ES3_jN6thrust23THRUST_200600_302600_NS6detail15normal_iteratorINSA_10device_ptrItEEEEPS6_NSA_18transform_iteratorI7is_evenItESF_NSA_11use_defaultESK_EENS0_5tupleIJSF_SF_EEENSM_IJSG_SG_EEES6_PlJS6_EEE10hipError_tPvRmT3_T4_T5_T6_T7_T9_mT8_P12ihipStream_tbDpT10_ENKUlT_T0_E_clISt17integral_constantIbLb1EES19_EEDaS14_S15_EUlS14_E_NS1_11comp_targetILNS1_3genE9ELNS1_11target_archE1100ELNS1_3gpuE3ELNS1_3repE0EEENS1_30default_config_static_selectorELNS0_4arch9wavefront6targetE1EEEvT1_,comdat
	.protected	_ZN7rocprim17ROCPRIM_400000_NS6detail17trampoline_kernelINS0_14default_configENS1_25partition_config_selectorILNS1_17partition_subalgoE1EtNS0_10empty_typeEbEEZZNS1_14partition_implILS5_1ELb0ES3_jN6thrust23THRUST_200600_302600_NS6detail15normal_iteratorINSA_10device_ptrItEEEEPS6_NSA_18transform_iteratorI7is_evenItESF_NSA_11use_defaultESK_EENS0_5tupleIJSF_SF_EEENSM_IJSG_SG_EEES6_PlJS6_EEE10hipError_tPvRmT3_T4_T5_T6_T7_T9_mT8_P12ihipStream_tbDpT10_ENKUlT_T0_E_clISt17integral_constantIbLb1EES19_EEDaS14_S15_EUlS14_E_NS1_11comp_targetILNS1_3genE9ELNS1_11target_archE1100ELNS1_3gpuE3ELNS1_3repE0EEENS1_30default_config_static_selectorELNS0_4arch9wavefront6targetE1EEEvT1_ ; -- Begin function _ZN7rocprim17ROCPRIM_400000_NS6detail17trampoline_kernelINS0_14default_configENS1_25partition_config_selectorILNS1_17partition_subalgoE1EtNS0_10empty_typeEbEEZZNS1_14partition_implILS5_1ELb0ES3_jN6thrust23THRUST_200600_302600_NS6detail15normal_iteratorINSA_10device_ptrItEEEEPS6_NSA_18transform_iteratorI7is_evenItESF_NSA_11use_defaultESK_EENS0_5tupleIJSF_SF_EEENSM_IJSG_SG_EEES6_PlJS6_EEE10hipError_tPvRmT3_T4_T5_T6_T7_T9_mT8_P12ihipStream_tbDpT10_ENKUlT_T0_E_clISt17integral_constantIbLb1EES19_EEDaS14_S15_EUlS14_E_NS1_11comp_targetILNS1_3genE9ELNS1_11target_archE1100ELNS1_3gpuE3ELNS1_3repE0EEENS1_30default_config_static_selectorELNS0_4arch9wavefront6targetE1EEEvT1_
	.globl	_ZN7rocprim17ROCPRIM_400000_NS6detail17trampoline_kernelINS0_14default_configENS1_25partition_config_selectorILNS1_17partition_subalgoE1EtNS0_10empty_typeEbEEZZNS1_14partition_implILS5_1ELb0ES3_jN6thrust23THRUST_200600_302600_NS6detail15normal_iteratorINSA_10device_ptrItEEEEPS6_NSA_18transform_iteratorI7is_evenItESF_NSA_11use_defaultESK_EENS0_5tupleIJSF_SF_EEENSM_IJSG_SG_EEES6_PlJS6_EEE10hipError_tPvRmT3_T4_T5_T6_T7_T9_mT8_P12ihipStream_tbDpT10_ENKUlT_T0_E_clISt17integral_constantIbLb1EES19_EEDaS14_S15_EUlS14_E_NS1_11comp_targetILNS1_3genE9ELNS1_11target_archE1100ELNS1_3gpuE3ELNS1_3repE0EEENS1_30default_config_static_selectorELNS0_4arch9wavefront6targetE1EEEvT1_
	.p2align	8
	.type	_ZN7rocprim17ROCPRIM_400000_NS6detail17trampoline_kernelINS0_14default_configENS1_25partition_config_selectorILNS1_17partition_subalgoE1EtNS0_10empty_typeEbEEZZNS1_14partition_implILS5_1ELb0ES3_jN6thrust23THRUST_200600_302600_NS6detail15normal_iteratorINSA_10device_ptrItEEEEPS6_NSA_18transform_iteratorI7is_evenItESF_NSA_11use_defaultESK_EENS0_5tupleIJSF_SF_EEENSM_IJSG_SG_EEES6_PlJS6_EEE10hipError_tPvRmT3_T4_T5_T6_T7_T9_mT8_P12ihipStream_tbDpT10_ENKUlT_T0_E_clISt17integral_constantIbLb1EES19_EEDaS14_S15_EUlS14_E_NS1_11comp_targetILNS1_3genE9ELNS1_11target_archE1100ELNS1_3gpuE3ELNS1_3repE0EEENS1_30default_config_static_selectorELNS0_4arch9wavefront6targetE1EEEvT1_,@function
_ZN7rocprim17ROCPRIM_400000_NS6detail17trampoline_kernelINS0_14default_configENS1_25partition_config_selectorILNS1_17partition_subalgoE1EtNS0_10empty_typeEbEEZZNS1_14partition_implILS5_1ELb0ES3_jN6thrust23THRUST_200600_302600_NS6detail15normal_iteratorINSA_10device_ptrItEEEEPS6_NSA_18transform_iteratorI7is_evenItESF_NSA_11use_defaultESK_EENS0_5tupleIJSF_SF_EEENSM_IJSG_SG_EEES6_PlJS6_EEE10hipError_tPvRmT3_T4_T5_T6_T7_T9_mT8_P12ihipStream_tbDpT10_ENKUlT_T0_E_clISt17integral_constantIbLb1EES19_EEDaS14_S15_EUlS14_E_NS1_11comp_targetILNS1_3genE9ELNS1_11target_archE1100ELNS1_3gpuE3ELNS1_3repE0EEENS1_30default_config_static_selectorELNS0_4arch9wavefront6targetE1EEEvT1_: ; @_ZN7rocprim17ROCPRIM_400000_NS6detail17trampoline_kernelINS0_14default_configENS1_25partition_config_selectorILNS1_17partition_subalgoE1EtNS0_10empty_typeEbEEZZNS1_14partition_implILS5_1ELb0ES3_jN6thrust23THRUST_200600_302600_NS6detail15normal_iteratorINSA_10device_ptrItEEEEPS6_NSA_18transform_iteratorI7is_evenItESF_NSA_11use_defaultESK_EENS0_5tupleIJSF_SF_EEENSM_IJSG_SG_EEES6_PlJS6_EEE10hipError_tPvRmT3_T4_T5_T6_T7_T9_mT8_P12ihipStream_tbDpT10_ENKUlT_T0_E_clISt17integral_constantIbLb1EES19_EEDaS14_S15_EUlS14_E_NS1_11comp_targetILNS1_3genE9ELNS1_11target_archE1100ELNS1_3gpuE3ELNS1_3repE0EEENS1_30default_config_static_selectorELNS0_4arch9wavefront6targetE1EEEvT1_
; %bb.0:
	.section	.rodata,"a",@progbits
	.p2align	6, 0x0
	.amdhsa_kernel _ZN7rocprim17ROCPRIM_400000_NS6detail17trampoline_kernelINS0_14default_configENS1_25partition_config_selectorILNS1_17partition_subalgoE1EtNS0_10empty_typeEbEEZZNS1_14partition_implILS5_1ELb0ES3_jN6thrust23THRUST_200600_302600_NS6detail15normal_iteratorINSA_10device_ptrItEEEEPS6_NSA_18transform_iteratorI7is_evenItESF_NSA_11use_defaultESK_EENS0_5tupleIJSF_SF_EEENSM_IJSG_SG_EEES6_PlJS6_EEE10hipError_tPvRmT3_T4_T5_T6_T7_T9_mT8_P12ihipStream_tbDpT10_ENKUlT_T0_E_clISt17integral_constantIbLb1EES19_EEDaS14_S15_EUlS14_E_NS1_11comp_targetILNS1_3genE9ELNS1_11target_archE1100ELNS1_3gpuE3ELNS1_3repE0EEENS1_30default_config_static_selectorELNS0_4arch9wavefront6targetE1EEEvT1_
		.amdhsa_group_segment_fixed_size 0
		.amdhsa_private_segment_fixed_size 0
		.amdhsa_kernarg_size 144
		.amdhsa_user_sgpr_count 6
		.amdhsa_user_sgpr_private_segment_buffer 1
		.amdhsa_user_sgpr_dispatch_ptr 0
		.amdhsa_user_sgpr_queue_ptr 0
		.amdhsa_user_sgpr_kernarg_segment_ptr 1
		.amdhsa_user_sgpr_dispatch_id 0
		.amdhsa_user_sgpr_flat_scratch_init 0
		.amdhsa_user_sgpr_kernarg_preload_length 0
		.amdhsa_user_sgpr_kernarg_preload_offset 0
		.amdhsa_user_sgpr_private_segment_size 0
		.amdhsa_uses_dynamic_stack 0
		.amdhsa_system_sgpr_private_segment_wavefront_offset 0
		.amdhsa_system_sgpr_workgroup_id_x 1
		.amdhsa_system_sgpr_workgroup_id_y 0
		.amdhsa_system_sgpr_workgroup_id_z 0
		.amdhsa_system_sgpr_workgroup_info 0
		.amdhsa_system_vgpr_workitem_id 0
		.amdhsa_next_free_vgpr 1
		.amdhsa_next_free_sgpr 0
		.amdhsa_accum_offset 4
		.amdhsa_reserve_vcc 0
		.amdhsa_reserve_flat_scratch 0
		.amdhsa_float_round_mode_32 0
		.amdhsa_float_round_mode_16_64 0
		.amdhsa_float_denorm_mode_32 3
		.amdhsa_float_denorm_mode_16_64 3
		.amdhsa_dx10_clamp 1
		.amdhsa_ieee_mode 1
		.amdhsa_fp16_overflow 0
		.amdhsa_tg_split 0
		.amdhsa_exception_fp_ieee_invalid_op 0
		.amdhsa_exception_fp_denorm_src 0
		.amdhsa_exception_fp_ieee_div_zero 0
		.amdhsa_exception_fp_ieee_overflow 0
		.amdhsa_exception_fp_ieee_underflow 0
		.amdhsa_exception_fp_ieee_inexact 0
		.amdhsa_exception_int_div_zero 0
	.end_amdhsa_kernel
	.section	.text._ZN7rocprim17ROCPRIM_400000_NS6detail17trampoline_kernelINS0_14default_configENS1_25partition_config_selectorILNS1_17partition_subalgoE1EtNS0_10empty_typeEbEEZZNS1_14partition_implILS5_1ELb0ES3_jN6thrust23THRUST_200600_302600_NS6detail15normal_iteratorINSA_10device_ptrItEEEEPS6_NSA_18transform_iteratorI7is_evenItESF_NSA_11use_defaultESK_EENS0_5tupleIJSF_SF_EEENSM_IJSG_SG_EEES6_PlJS6_EEE10hipError_tPvRmT3_T4_T5_T6_T7_T9_mT8_P12ihipStream_tbDpT10_ENKUlT_T0_E_clISt17integral_constantIbLb1EES19_EEDaS14_S15_EUlS14_E_NS1_11comp_targetILNS1_3genE9ELNS1_11target_archE1100ELNS1_3gpuE3ELNS1_3repE0EEENS1_30default_config_static_selectorELNS0_4arch9wavefront6targetE1EEEvT1_,"axG",@progbits,_ZN7rocprim17ROCPRIM_400000_NS6detail17trampoline_kernelINS0_14default_configENS1_25partition_config_selectorILNS1_17partition_subalgoE1EtNS0_10empty_typeEbEEZZNS1_14partition_implILS5_1ELb0ES3_jN6thrust23THRUST_200600_302600_NS6detail15normal_iteratorINSA_10device_ptrItEEEEPS6_NSA_18transform_iteratorI7is_evenItESF_NSA_11use_defaultESK_EENS0_5tupleIJSF_SF_EEENSM_IJSG_SG_EEES6_PlJS6_EEE10hipError_tPvRmT3_T4_T5_T6_T7_T9_mT8_P12ihipStream_tbDpT10_ENKUlT_T0_E_clISt17integral_constantIbLb1EES19_EEDaS14_S15_EUlS14_E_NS1_11comp_targetILNS1_3genE9ELNS1_11target_archE1100ELNS1_3gpuE3ELNS1_3repE0EEENS1_30default_config_static_selectorELNS0_4arch9wavefront6targetE1EEEvT1_,comdat
.Lfunc_end2281:
	.size	_ZN7rocprim17ROCPRIM_400000_NS6detail17trampoline_kernelINS0_14default_configENS1_25partition_config_selectorILNS1_17partition_subalgoE1EtNS0_10empty_typeEbEEZZNS1_14partition_implILS5_1ELb0ES3_jN6thrust23THRUST_200600_302600_NS6detail15normal_iteratorINSA_10device_ptrItEEEEPS6_NSA_18transform_iteratorI7is_evenItESF_NSA_11use_defaultESK_EENS0_5tupleIJSF_SF_EEENSM_IJSG_SG_EEES6_PlJS6_EEE10hipError_tPvRmT3_T4_T5_T6_T7_T9_mT8_P12ihipStream_tbDpT10_ENKUlT_T0_E_clISt17integral_constantIbLb1EES19_EEDaS14_S15_EUlS14_E_NS1_11comp_targetILNS1_3genE9ELNS1_11target_archE1100ELNS1_3gpuE3ELNS1_3repE0EEENS1_30default_config_static_selectorELNS0_4arch9wavefront6targetE1EEEvT1_, .Lfunc_end2281-_ZN7rocprim17ROCPRIM_400000_NS6detail17trampoline_kernelINS0_14default_configENS1_25partition_config_selectorILNS1_17partition_subalgoE1EtNS0_10empty_typeEbEEZZNS1_14partition_implILS5_1ELb0ES3_jN6thrust23THRUST_200600_302600_NS6detail15normal_iteratorINSA_10device_ptrItEEEEPS6_NSA_18transform_iteratorI7is_evenItESF_NSA_11use_defaultESK_EENS0_5tupleIJSF_SF_EEENSM_IJSG_SG_EEES6_PlJS6_EEE10hipError_tPvRmT3_T4_T5_T6_T7_T9_mT8_P12ihipStream_tbDpT10_ENKUlT_T0_E_clISt17integral_constantIbLb1EES19_EEDaS14_S15_EUlS14_E_NS1_11comp_targetILNS1_3genE9ELNS1_11target_archE1100ELNS1_3gpuE3ELNS1_3repE0EEENS1_30default_config_static_selectorELNS0_4arch9wavefront6targetE1EEEvT1_
                                        ; -- End function
	.section	.AMDGPU.csdata,"",@progbits
; Kernel info:
; codeLenInByte = 0
; NumSgprs: 4
; NumVgprs: 0
; NumAgprs: 0
; TotalNumVgprs: 0
; ScratchSize: 0
; MemoryBound: 0
; FloatMode: 240
; IeeeMode: 1
; LDSByteSize: 0 bytes/workgroup (compile time only)
; SGPRBlocks: 0
; VGPRBlocks: 0
; NumSGPRsForWavesPerEU: 4
; NumVGPRsForWavesPerEU: 1
; AccumOffset: 4
; Occupancy: 8
; WaveLimiterHint : 0
; COMPUTE_PGM_RSRC2:SCRATCH_EN: 0
; COMPUTE_PGM_RSRC2:USER_SGPR: 6
; COMPUTE_PGM_RSRC2:TRAP_HANDLER: 0
; COMPUTE_PGM_RSRC2:TGID_X_EN: 1
; COMPUTE_PGM_RSRC2:TGID_Y_EN: 0
; COMPUTE_PGM_RSRC2:TGID_Z_EN: 0
; COMPUTE_PGM_RSRC2:TIDIG_COMP_CNT: 0
; COMPUTE_PGM_RSRC3_GFX90A:ACCUM_OFFSET: 0
; COMPUTE_PGM_RSRC3_GFX90A:TG_SPLIT: 0
	.section	.text._ZN7rocprim17ROCPRIM_400000_NS6detail17trampoline_kernelINS0_14default_configENS1_25partition_config_selectorILNS1_17partition_subalgoE1EtNS0_10empty_typeEbEEZZNS1_14partition_implILS5_1ELb0ES3_jN6thrust23THRUST_200600_302600_NS6detail15normal_iteratorINSA_10device_ptrItEEEEPS6_NSA_18transform_iteratorI7is_evenItESF_NSA_11use_defaultESK_EENS0_5tupleIJSF_SF_EEENSM_IJSG_SG_EEES6_PlJS6_EEE10hipError_tPvRmT3_T4_T5_T6_T7_T9_mT8_P12ihipStream_tbDpT10_ENKUlT_T0_E_clISt17integral_constantIbLb1EES19_EEDaS14_S15_EUlS14_E_NS1_11comp_targetILNS1_3genE8ELNS1_11target_archE1030ELNS1_3gpuE2ELNS1_3repE0EEENS1_30default_config_static_selectorELNS0_4arch9wavefront6targetE1EEEvT1_,"axG",@progbits,_ZN7rocprim17ROCPRIM_400000_NS6detail17trampoline_kernelINS0_14default_configENS1_25partition_config_selectorILNS1_17partition_subalgoE1EtNS0_10empty_typeEbEEZZNS1_14partition_implILS5_1ELb0ES3_jN6thrust23THRUST_200600_302600_NS6detail15normal_iteratorINSA_10device_ptrItEEEEPS6_NSA_18transform_iteratorI7is_evenItESF_NSA_11use_defaultESK_EENS0_5tupleIJSF_SF_EEENSM_IJSG_SG_EEES6_PlJS6_EEE10hipError_tPvRmT3_T4_T5_T6_T7_T9_mT8_P12ihipStream_tbDpT10_ENKUlT_T0_E_clISt17integral_constantIbLb1EES19_EEDaS14_S15_EUlS14_E_NS1_11comp_targetILNS1_3genE8ELNS1_11target_archE1030ELNS1_3gpuE2ELNS1_3repE0EEENS1_30default_config_static_selectorELNS0_4arch9wavefront6targetE1EEEvT1_,comdat
	.protected	_ZN7rocprim17ROCPRIM_400000_NS6detail17trampoline_kernelINS0_14default_configENS1_25partition_config_selectorILNS1_17partition_subalgoE1EtNS0_10empty_typeEbEEZZNS1_14partition_implILS5_1ELb0ES3_jN6thrust23THRUST_200600_302600_NS6detail15normal_iteratorINSA_10device_ptrItEEEEPS6_NSA_18transform_iteratorI7is_evenItESF_NSA_11use_defaultESK_EENS0_5tupleIJSF_SF_EEENSM_IJSG_SG_EEES6_PlJS6_EEE10hipError_tPvRmT3_T4_T5_T6_T7_T9_mT8_P12ihipStream_tbDpT10_ENKUlT_T0_E_clISt17integral_constantIbLb1EES19_EEDaS14_S15_EUlS14_E_NS1_11comp_targetILNS1_3genE8ELNS1_11target_archE1030ELNS1_3gpuE2ELNS1_3repE0EEENS1_30default_config_static_selectorELNS0_4arch9wavefront6targetE1EEEvT1_ ; -- Begin function _ZN7rocprim17ROCPRIM_400000_NS6detail17trampoline_kernelINS0_14default_configENS1_25partition_config_selectorILNS1_17partition_subalgoE1EtNS0_10empty_typeEbEEZZNS1_14partition_implILS5_1ELb0ES3_jN6thrust23THRUST_200600_302600_NS6detail15normal_iteratorINSA_10device_ptrItEEEEPS6_NSA_18transform_iteratorI7is_evenItESF_NSA_11use_defaultESK_EENS0_5tupleIJSF_SF_EEENSM_IJSG_SG_EEES6_PlJS6_EEE10hipError_tPvRmT3_T4_T5_T6_T7_T9_mT8_P12ihipStream_tbDpT10_ENKUlT_T0_E_clISt17integral_constantIbLb1EES19_EEDaS14_S15_EUlS14_E_NS1_11comp_targetILNS1_3genE8ELNS1_11target_archE1030ELNS1_3gpuE2ELNS1_3repE0EEENS1_30default_config_static_selectorELNS0_4arch9wavefront6targetE1EEEvT1_
	.globl	_ZN7rocprim17ROCPRIM_400000_NS6detail17trampoline_kernelINS0_14default_configENS1_25partition_config_selectorILNS1_17partition_subalgoE1EtNS0_10empty_typeEbEEZZNS1_14partition_implILS5_1ELb0ES3_jN6thrust23THRUST_200600_302600_NS6detail15normal_iteratorINSA_10device_ptrItEEEEPS6_NSA_18transform_iteratorI7is_evenItESF_NSA_11use_defaultESK_EENS0_5tupleIJSF_SF_EEENSM_IJSG_SG_EEES6_PlJS6_EEE10hipError_tPvRmT3_T4_T5_T6_T7_T9_mT8_P12ihipStream_tbDpT10_ENKUlT_T0_E_clISt17integral_constantIbLb1EES19_EEDaS14_S15_EUlS14_E_NS1_11comp_targetILNS1_3genE8ELNS1_11target_archE1030ELNS1_3gpuE2ELNS1_3repE0EEENS1_30default_config_static_selectorELNS0_4arch9wavefront6targetE1EEEvT1_
	.p2align	8
	.type	_ZN7rocprim17ROCPRIM_400000_NS6detail17trampoline_kernelINS0_14default_configENS1_25partition_config_selectorILNS1_17partition_subalgoE1EtNS0_10empty_typeEbEEZZNS1_14partition_implILS5_1ELb0ES3_jN6thrust23THRUST_200600_302600_NS6detail15normal_iteratorINSA_10device_ptrItEEEEPS6_NSA_18transform_iteratorI7is_evenItESF_NSA_11use_defaultESK_EENS0_5tupleIJSF_SF_EEENSM_IJSG_SG_EEES6_PlJS6_EEE10hipError_tPvRmT3_T4_T5_T6_T7_T9_mT8_P12ihipStream_tbDpT10_ENKUlT_T0_E_clISt17integral_constantIbLb1EES19_EEDaS14_S15_EUlS14_E_NS1_11comp_targetILNS1_3genE8ELNS1_11target_archE1030ELNS1_3gpuE2ELNS1_3repE0EEENS1_30default_config_static_selectorELNS0_4arch9wavefront6targetE1EEEvT1_,@function
_ZN7rocprim17ROCPRIM_400000_NS6detail17trampoline_kernelINS0_14default_configENS1_25partition_config_selectorILNS1_17partition_subalgoE1EtNS0_10empty_typeEbEEZZNS1_14partition_implILS5_1ELb0ES3_jN6thrust23THRUST_200600_302600_NS6detail15normal_iteratorINSA_10device_ptrItEEEEPS6_NSA_18transform_iteratorI7is_evenItESF_NSA_11use_defaultESK_EENS0_5tupleIJSF_SF_EEENSM_IJSG_SG_EEES6_PlJS6_EEE10hipError_tPvRmT3_T4_T5_T6_T7_T9_mT8_P12ihipStream_tbDpT10_ENKUlT_T0_E_clISt17integral_constantIbLb1EES19_EEDaS14_S15_EUlS14_E_NS1_11comp_targetILNS1_3genE8ELNS1_11target_archE1030ELNS1_3gpuE2ELNS1_3repE0EEENS1_30default_config_static_selectorELNS0_4arch9wavefront6targetE1EEEvT1_: ; @_ZN7rocprim17ROCPRIM_400000_NS6detail17trampoline_kernelINS0_14default_configENS1_25partition_config_selectorILNS1_17partition_subalgoE1EtNS0_10empty_typeEbEEZZNS1_14partition_implILS5_1ELb0ES3_jN6thrust23THRUST_200600_302600_NS6detail15normal_iteratorINSA_10device_ptrItEEEEPS6_NSA_18transform_iteratorI7is_evenItESF_NSA_11use_defaultESK_EENS0_5tupleIJSF_SF_EEENSM_IJSG_SG_EEES6_PlJS6_EEE10hipError_tPvRmT3_T4_T5_T6_T7_T9_mT8_P12ihipStream_tbDpT10_ENKUlT_T0_E_clISt17integral_constantIbLb1EES19_EEDaS14_S15_EUlS14_E_NS1_11comp_targetILNS1_3genE8ELNS1_11target_archE1030ELNS1_3gpuE2ELNS1_3repE0EEENS1_30default_config_static_selectorELNS0_4arch9wavefront6targetE1EEEvT1_
; %bb.0:
	.section	.rodata,"a",@progbits
	.p2align	6, 0x0
	.amdhsa_kernel _ZN7rocprim17ROCPRIM_400000_NS6detail17trampoline_kernelINS0_14default_configENS1_25partition_config_selectorILNS1_17partition_subalgoE1EtNS0_10empty_typeEbEEZZNS1_14partition_implILS5_1ELb0ES3_jN6thrust23THRUST_200600_302600_NS6detail15normal_iteratorINSA_10device_ptrItEEEEPS6_NSA_18transform_iteratorI7is_evenItESF_NSA_11use_defaultESK_EENS0_5tupleIJSF_SF_EEENSM_IJSG_SG_EEES6_PlJS6_EEE10hipError_tPvRmT3_T4_T5_T6_T7_T9_mT8_P12ihipStream_tbDpT10_ENKUlT_T0_E_clISt17integral_constantIbLb1EES19_EEDaS14_S15_EUlS14_E_NS1_11comp_targetILNS1_3genE8ELNS1_11target_archE1030ELNS1_3gpuE2ELNS1_3repE0EEENS1_30default_config_static_selectorELNS0_4arch9wavefront6targetE1EEEvT1_
		.amdhsa_group_segment_fixed_size 0
		.amdhsa_private_segment_fixed_size 0
		.amdhsa_kernarg_size 144
		.amdhsa_user_sgpr_count 6
		.amdhsa_user_sgpr_private_segment_buffer 1
		.amdhsa_user_sgpr_dispatch_ptr 0
		.amdhsa_user_sgpr_queue_ptr 0
		.amdhsa_user_sgpr_kernarg_segment_ptr 1
		.amdhsa_user_sgpr_dispatch_id 0
		.amdhsa_user_sgpr_flat_scratch_init 0
		.amdhsa_user_sgpr_kernarg_preload_length 0
		.amdhsa_user_sgpr_kernarg_preload_offset 0
		.amdhsa_user_sgpr_private_segment_size 0
		.amdhsa_uses_dynamic_stack 0
		.amdhsa_system_sgpr_private_segment_wavefront_offset 0
		.amdhsa_system_sgpr_workgroup_id_x 1
		.amdhsa_system_sgpr_workgroup_id_y 0
		.amdhsa_system_sgpr_workgroup_id_z 0
		.amdhsa_system_sgpr_workgroup_info 0
		.amdhsa_system_vgpr_workitem_id 0
		.amdhsa_next_free_vgpr 1
		.amdhsa_next_free_sgpr 0
		.amdhsa_accum_offset 4
		.amdhsa_reserve_vcc 0
		.amdhsa_reserve_flat_scratch 0
		.amdhsa_float_round_mode_32 0
		.amdhsa_float_round_mode_16_64 0
		.amdhsa_float_denorm_mode_32 3
		.amdhsa_float_denorm_mode_16_64 3
		.amdhsa_dx10_clamp 1
		.amdhsa_ieee_mode 1
		.amdhsa_fp16_overflow 0
		.amdhsa_tg_split 0
		.amdhsa_exception_fp_ieee_invalid_op 0
		.amdhsa_exception_fp_denorm_src 0
		.amdhsa_exception_fp_ieee_div_zero 0
		.amdhsa_exception_fp_ieee_overflow 0
		.amdhsa_exception_fp_ieee_underflow 0
		.amdhsa_exception_fp_ieee_inexact 0
		.amdhsa_exception_int_div_zero 0
	.end_amdhsa_kernel
	.section	.text._ZN7rocprim17ROCPRIM_400000_NS6detail17trampoline_kernelINS0_14default_configENS1_25partition_config_selectorILNS1_17partition_subalgoE1EtNS0_10empty_typeEbEEZZNS1_14partition_implILS5_1ELb0ES3_jN6thrust23THRUST_200600_302600_NS6detail15normal_iteratorINSA_10device_ptrItEEEEPS6_NSA_18transform_iteratorI7is_evenItESF_NSA_11use_defaultESK_EENS0_5tupleIJSF_SF_EEENSM_IJSG_SG_EEES6_PlJS6_EEE10hipError_tPvRmT3_T4_T5_T6_T7_T9_mT8_P12ihipStream_tbDpT10_ENKUlT_T0_E_clISt17integral_constantIbLb1EES19_EEDaS14_S15_EUlS14_E_NS1_11comp_targetILNS1_3genE8ELNS1_11target_archE1030ELNS1_3gpuE2ELNS1_3repE0EEENS1_30default_config_static_selectorELNS0_4arch9wavefront6targetE1EEEvT1_,"axG",@progbits,_ZN7rocprim17ROCPRIM_400000_NS6detail17trampoline_kernelINS0_14default_configENS1_25partition_config_selectorILNS1_17partition_subalgoE1EtNS0_10empty_typeEbEEZZNS1_14partition_implILS5_1ELb0ES3_jN6thrust23THRUST_200600_302600_NS6detail15normal_iteratorINSA_10device_ptrItEEEEPS6_NSA_18transform_iteratorI7is_evenItESF_NSA_11use_defaultESK_EENS0_5tupleIJSF_SF_EEENSM_IJSG_SG_EEES6_PlJS6_EEE10hipError_tPvRmT3_T4_T5_T6_T7_T9_mT8_P12ihipStream_tbDpT10_ENKUlT_T0_E_clISt17integral_constantIbLb1EES19_EEDaS14_S15_EUlS14_E_NS1_11comp_targetILNS1_3genE8ELNS1_11target_archE1030ELNS1_3gpuE2ELNS1_3repE0EEENS1_30default_config_static_selectorELNS0_4arch9wavefront6targetE1EEEvT1_,comdat
.Lfunc_end2282:
	.size	_ZN7rocprim17ROCPRIM_400000_NS6detail17trampoline_kernelINS0_14default_configENS1_25partition_config_selectorILNS1_17partition_subalgoE1EtNS0_10empty_typeEbEEZZNS1_14partition_implILS5_1ELb0ES3_jN6thrust23THRUST_200600_302600_NS6detail15normal_iteratorINSA_10device_ptrItEEEEPS6_NSA_18transform_iteratorI7is_evenItESF_NSA_11use_defaultESK_EENS0_5tupleIJSF_SF_EEENSM_IJSG_SG_EEES6_PlJS6_EEE10hipError_tPvRmT3_T4_T5_T6_T7_T9_mT8_P12ihipStream_tbDpT10_ENKUlT_T0_E_clISt17integral_constantIbLb1EES19_EEDaS14_S15_EUlS14_E_NS1_11comp_targetILNS1_3genE8ELNS1_11target_archE1030ELNS1_3gpuE2ELNS1_3repE0EEENS1_30default_config_static_selectorELNS0_4arch9wavefront6targetE1EEEvT1_, .Lfunc_end2282-_ZN7rocprim17ROCPRIM_400000_NS6detail17trampoline_kernelINS0_14default_configENS1_25partition_config_selectorILNS1_17partition_subalgoE1EtNS0_10empty_typeEbEEZZNS1_14partition_implILS5_1ELb0ES3_jN6thrust23THRUST_200600_302600_NS6detail15normal_iteratorINSA_10device_ptrItEEEEPS6_NSA_18transform_iteratorI7is_evenItESF_NSA_11use_defaultESK_EENS0_5tupleIJSF_SF_EEENSM_IJSG_SG_EEES6_PlJS6_EEE10hipError_tPvRmT3_T4_T5_T6_T7_T9_mT8_P12ihipStream_tbDpT10_ENKUlT_T0_E_clISt17integral_constantIbLb1EES19_EEDaS14_S15_EUlS14_E_NS1_11comp_targetILNS1_3genE8ELNS1_11target_archE1030ELNS1_3gpuE2ELNS1_3repE0EEENS1_30default_config_static_selectorELNS0_4arch9wavefront6targetE1EEEvT1_
                                        ; -- End function
	.section	.AMDGPU.csdata,"",@progbits
; Kernel info:
; codeLenInByte = 0
; NumSgprs: 4
; NumVgprs: 0
; NumAgprs: 0
; TotalNumVgprs: 0
; ScratchSize: 0
; MemoryBound: 0
; FloatMode: 240
; IeeeMode: 1
; LDSByteSize: 0 bytes/workgroup (compile time only)
; SGPRBlocks: 0
; VGPRBlocks: 0
; NumSGPRsForWavesPerEU: 4
; NumVGPRsForWavesPerEU: 1
; AccumOffset: 4
; Occupancy: 8
; WaveLimiterHint : 0
; COMPUTE_PGM_RSRC2:SCRATCH_EN: 0
; COMPUTE_PGM_RSRC2:USER_SGPR: 6
; COMPUTE_PGM_RSRC2:TRAP_HANDLER: 0
; COMPUTE_PGM_RSRC2:TGID_X_EN: 1
; COMPUTE_PGM_RSRC2:TGID_Y_EN: 0
; COMPUTE_PGM_RSRC2:TGID_Z_EN: 0
; COMPUTE_PGM_RSRC2:TIDIG_COMP_CNT: 0
; COMPUTE_PGM_RSRC3_GFX90A:ACCUM_OFFSET: 0
; COMPUTE_PGM_RSRC3_GFX90A:TG_SPLIT: 0
	.section	.text._ZN7rocprim17ROCPRIM_400000_NS6detail17trampoline_kernelINS0_14default_configENS1_25partition_config_selectorILNS1_17partition_subalgoE1EtNS0_10empty_typeEbEEZZNS1_14partition_implILS5_1ELb0ES3_jN6thrust23THRUST_200600_302600_NS6detail15normal_iteratorINSA_10device_ptrItEEEEPS6_NSA_18transform_iteratorI7is_evenItESF_NSA_11use_defaultESK_EENS0_5tupleIJSF_SF_EEENSM_IJSG_SG_EEES6_PlJS6_EEE10hipError_tPvRmT3_T4_T5_T6_T7_T9_mT8_P12ihipStream_tbDpT10_ENKUlT_T0_E_clISt17integral_constantIbLb1EES18_IbLb0EEEEDaS14_S15_EUlS14_E_NS1_11comp_targetILNS1_3genE0ELNS1_11target_archE4294967295ELNS1_3gpuE0ELNS1_3repE0EEENS1_30default_config_static_selectorELNS0_4arch9wavefront6targetE1EEEvT1_,"axG",@progbits,_ZN7rocprim17ROCPRIM_400000_NS6detail17trampoline_kernelINS0_14default_configENS1_25partition_config_selectorILNS1_17partition_subalgoE1EtNS0_10empty_typeEbEEZZNS1_14partition_implILS5_1ELb0ES3_jN6thrust23THRUST_200600_302600_NS6detail15normal_iteratorINSA_10device_ptrItEEEEPS6_NSA_18transform_iteratorI7is_evenItESF_NSA_11use_defaultESK_EENS0_5tupleIJSF_SF_EEENSM_IJSG_SG_EEES6_PlJS6_EEE10hipError_tPvRmT3_T4_T5_T6_T7_T9_mT8_P12ihipStream_tbDpT10_ENKUlT_T0_E_clISt17integral_constantIbLb1EES18_IbLb0EEEEDaS14_S15_EUlS14_E_NS1_11comp_targetILNS1_3genE0ELNS1_11target_archE4294967295ELNS1_3gpuE0ELNS1_3repE0EEENS1_30default_config_static_selectorELNS0_4arch9wavefront6targetE1EEEvT1_,comdat
	.protected	_ZN7rocprim17ROCPRIM_400000_NS6detail17trampoline_kernelINS0_14default_configENS1_25partition_config_selectorILNS1_17partition_subalgoE1EtNS0_10empty_typeEbEEZZNS1_14partition_implILS5_1ELb0ES3_jN6thrust23THRUST_200600_302600_NS6detail15normal_iteratorINSA_10device_ptrItEEEEPS6_NSA_18transform_iteratorI7is_evenItESF_NSA_11use_defaultESK_EENS0_5tupleIJSF_SF_EEENSM_IJSG_SG_EEES6_PlJS6_EEE10hipError_tPvRmT3_T4_T5_T6_T7_T9_mT8_P12ihipStream_tbDpT10_ENKUlT_T0_E_clISt17integral_constantIbLb1EES18_IbLb0EEEEDaS14_S15_EUlS14_E_NS1_11comp_targetILNS1_3genE0ELNS1_11target_archE4294967295ELNS1_3gpuE0ELNS1_3repE0EEENS1_30default_config_static_selectorELNS0_4arch9wavefront6targetE1EEEvT1_ ; -- Begin function _ZN7rocprim17ROCPRIM_400000_NS6detail17trampoline_kernelINS0_14default_configENS1_25partition_config_selectorILNS1_17partition_subalgoE1EtNS0_10empty_typeEbEEZZNS1_14partition_implILS5_1ELb0ES3_jN6thrust23THRUST_200600_302600_NS6detail15normal_iteratorINSA_10device_ptrItEEEEPS6_NSA_18transform_iteratorI7is_evenItESF_NSA_11use_defaultESK_EENS0_5tupleIJSF_SF_EEENSM_IJSG_SG_EEES6_PlJS6_EEE10hipError_tPvRmT3_T4_T5_T6_T7_T9_mT8_P12ihipStream_tbDpT10_ENKUlT_T0_E_clISt17integral_constantIbLb1EES18_IbLb0EEEEDaS14_S15_EUlS14_E_NS1_11comp_targetILNS1_3genE0ELNS1_11target_archE4294967295ELNS1_3gpuE0ELNS1_3repE0EEENS1_30default_config_static_selectorELNS0_4arch9wavefront6targetE1EEEvT1_
	.globl	_ZN7rocprim17ROCPRIM_400000_NS6detail17trampoline_kernelINS0_14default_configENS1_25partition_config_selectorILNS1_17partition_subalgoE1EtNS0_10empty_typeEbEEZZNS1_14partition_implILS5_1ELb0ES3_jN6thrust23THRUST_200600_302600_NS6detail15normal_iteratorINSA_10device_ptrItEEEEPS6_NSA_18transform_iteratorI7is_evenItESF_NSA_11use_defaultESK_EENS0_5tupleIJSF_SF_EEENSM_IJSG_SG_EEES6_PlJS6_EEE10hipError_tPvRmT3_T4_T5_T6_T7_T9_mT8_P12ihipStream_tbDpT10_ENKUlT_T0_E_clISt17integral_constantIbLb1EES18_IbLb0EEEEDaS14_S15_EUlS14_E_NS1_11comp_targetILNS1_3genE0ELNS1_11target_archE4294967295ELNS1_3gpuE0ELNS1_3repE0EEENS1_30default_config_static_selectorELNS0_4arch9wavefront6targetE1EEEvT1_
	.p2align	8
	.type	_ZN7rocprim17ROCPRIM_400000_NS6detail17trampoline_kernelINS0_14default_configENS1_25partition_config_selectorILNS1_17partition_subalgoE1EtNS0_10empty_typeEbEEZZNS1_14partition_implILS5_1ELb0ES3_jN6thrust23THRUST_200600_302600_NS6detail15normal_iteratorINSA_10device_ptrItEEEEPS6_NSA_18transform_iteratorI7is_evenItESF_NSA_11use_defaultESK_EENS0_5tupleIJSF_SF_EEENSM_IJSG_SG_EEES6_PlJS6_EEE10hipError_tPvRmT3_T4_T5_T6_T7_T9_mT8_P12ihipStream_tbDpT10_ENKUlT_T0_E_clISt17integral_constantIbLb1EES18_IbLb0EEEEDaS14_S15_EUlS14_E_NS1_11comp_targetILNS1_3genE0ELNS1_11target_archE4294967295ELNS1_3gpuE0ELNS1_3repE0EEENS1_30default_config_static_selectorELNS0_4arch9wavefront6targetE1EEEvT1_,@function
_ZN7rocprim17ROCPRIM_400000_NS6detail17trampoline_kernelINS0_14default_configENS1_25partition_config_selectorILNS1_17partition_subalgoE1EtNS0_10empty_typeEbEEZZNS1_14partition_implILS5_1ELb0ES3_jN6thrust23THRUST_200600_302600_NS6detail15normal_iteratorINSA_10device_ptrItEEEEPS6_NSA_18transform_iteratorI7is_evenItESF_NSA_11use_defaultESK_EENS0_5tupleIJSF_SF_EEENSM_IJSG_SG_EEES6_PlJS6_EEE10hipError_tPvRmT3_T4_T5_T6_T7_T9_mT8_P12ihipStream_tbDpT10_ENKUlT_T0_E_clISt17integral_constantIbLb1EES18_IbLb0EEEEDaS14_S15_EUlS14_E_NS1_11comp_targetILNS1_3genE0ELNS1_11target_archE4294967295ELNS1_3gpuE0ELNS1_3repE0EEENS1_30default_config_static_selectorELNS0_4arch9wavefront6targetE1EEEvT1_: ; @_ZN7rocprim17ROCPRIM_400000_NS6detail17trampoline_kernelINS0_14default_configENS1_25partition_config_selectorILNS1_17partition_subalgoE1EtNS0_10empty_typeEbEEZZNS1_14partition_implILS5_1ELb0ES3_jN6thrust23THRUST_200600_302600_NS6detail15normal_iteratorINSA_10device_ptrItEEEEPS6_NSA_18transform_iteratorI7is_evenItESF_NSA_11use_defaultESK_EENS0_5tupleIJSF_SF_EEENSM_IJSG_SG_EEES6_PlJS6_EEE10hipError_tPvRmT3_T4_T5_T6_T7_T9_mT8_P12ihipStream_tbDpT10_ENKUlT_T0_E_clISt17integral_constantIbLb1EES18_IbLb0EEEEDaS14_S15_EUlS14_E_NS1_11comp_targetILNS1_3genE0ELNS1_11target_archE4294967295ELNS1_3gpuE0ELNS1_3repE0EEENS1_30default_config_static_selectorELNS0_4arch9wavefront6targetE1EEEvT1_
; %bb.0:
	.section	.rodata,"a",@progbits
	.p2align	6, 0x0
	.amdhsa_kernel _ZN7rocprim17ROCPRIM_400000_NS6detail17trampoline_kernelINS0_14default_configENS1_25partition_config_selectorILNS1_17partition_subalgoE1EtNS0_10empty_typeEbEEZZNS1_14partition_implILS5_1ELb0ES3_jN6thrust23THRUST_200600_302600_NS6detail15normal_iteratorINSA_10device_ptrItEEEEPS6_NSA_18transform_iteratorI7is_evenItESF_NSA_11use_defaultESK_EENS0_5tupleIJSF_SF_EEENSM_IJSG_SG_EEES6_PlJS6_EEE10hipError_tPvRmT3_T4_T5_T6_T7_T9_mT8_P12ihipStream_tbDpT10_ENKUlT_T0_E_clISt17integral_constantIbLb1EES18_IbLb0EEEEDaS14_S15_EUlS14_E_NS1_11comp_targetILNS1_3genE0ELNS1_11target_archE4294967295ELNS1_3gpuE0ELNS1_3repE0EEENS1_30default_config_static_selectorELNS0_4arch9wavefront6targetE1EEEvT1_
		.amdhsa_group_segment_fixed_size 0
		.amdhsa_private_segment_fixed_size 0
		.amdhsa_kernarg_size 128
		.amdhsa_user_sgpr_count 6
		.amdhsa_user_sgpr_private_segment_buffer 1
		.amdhsa_user_sgpr_dispatch_ptr 0
		.amdhsa_user_sgpr_queue_ptr 0
		.amdhsa_user_sgpr_kernarg_segment_ptr 1
		.amdhsa_user_sgpr_dispatch_id 0
		.amdhsa_user_sgpr_flat_scratch_init 0
		.amdhsa_user_sgpr_kernarg_preload_length 0
		.amdhsa_user_sgpr_kernarg_preload_offset 0
		.amdhsa_user_sgpr_private_segment_size 0
		.amdhsa_uses_dynamic_stack 0
		.amdhsa_system_sgpr_private_segment_wavefront_offset 0
		.amdhsa_system_sgpr_workgroup_id_x 1
		.amdhsa_system_sgpr_workgroup_id_y 0
		.amdhsa_system_sgpr_workgroup_id_z 0
		.amdhsa_system_sgpr_workgroup_info 0
		.amdhsa_system_vgpr_workitem_id 0
		.amdhsa_next_free_vgpr 1
		.amdhsa_next_free_sgpr 0
		.amdhsa_accum_offset 4
		.amdhsa_reserve_vcc 0
		.amdhsa_reserve_flat_scratch 0
		.amdhsa_float_round_mode_32 0
		.amdhsa_float_round_mode_16_64 0
		.amdhsa_float_denorm_mode_32 3
		.amdhsa_float_denorm_mode_16_64 3
		.amdhsa_dx10_clamp 1
		.amdhsa_ieee_mode 1
		.amdhsa_fp16_overflow 0
		.amdhsa_tg_split 0
		.amdhsa_exception_fp_ieee_invalid_op 0
		.amdhsa_exception_fp_denorm_src 0
		.amdhsa_exception_fp_ieee_div_zero 0
		.amdhsa_exception_fp_ieee_overflow 0
		.amdhsa_exception_fp_ieee_underflow 0
		.amdhsa_exception_fp_ieee_inexact 0
		.amdhsa_exception_int_div_zero 0
	.end_amdhsa_kernel
	.section	.text._ZN7rocprim17ROCPRIM_400000_NS6detail17trampoline_kernelINS0_14default_configENS1_25partition_config_selectorILNS1_17partition_subalgoE1EtNS0_10empty_typeEbEEZZNS1_14partition_implILS5_1ELb0ES3_jN6thrust23THRUST_200600_302600_NS6detail15normal_iteratorINSA_10device_ptrItEEEEPS6_NSA_18transform_iteratorI7is_evenItESF_NSA_11use_defaultESK_EENS0_5tupleIJSF_SF_EEENSM_IJSG_SG_EEES6_PlJS6_EEE10hipError_tPvRmT3_T4_T5_T6_T7_T9_mT8_P12ihipStream_tbDpT10_ENKUlT_T0_E_clISt17integral_constantIbLb1EES18_IbLb0EEEEDaS14_S15_EUlS14_E_NS1_11comp_targetILNS1_3genE0ELNS1_11target_archE4294967295ELNS1_3gpuE0ELNS1_3repE0EEENS1_30default_config_static_selectorELNS0_4arch9wavefront6targetE1EEEvT1_,"axG",@progbits,_ZN7rocprim17ROCPRIM_400000_NS6detail17trampoline_kernelINS0_14default_configENS1_25partition_config_selectorILNS1_17partition_subalgoE1EtNS0_10empty_typeEbEEZZNS1_14partition_implILS5_1ELb0ES3_jN6thrust23THRUST_200600_302600_NS6detail15normal_iteratorINSA_10device_ptrItEEEEPS6_NSA_18transform_iteratorI7is_evenItESF_NSA_11use_defaultESK_EENS0_5tupleIJSF_SF_EEENSM_IJSG_SG_EEES6_PlJS6_EEE10hipError_tPvRmT3_T4_T5_T6_T7_T9_mT8_P12ihipStream_tbDpT10_ENKUlT_T0_E_clISt17integral_constantIbLb1EES18_IbLb0EEEEDaS14_S15_EUlS14_E_NS1_11comp_targetILNS1_3genE0ELNS1_11target_archE4294967295ELNS1_3gpuE0ELNS1_3repE0EEENS1_30default_config_static_selectorELNS0_4arch9wavefront6targetE1EEEvT1_,comdat
.Lfunc_end2283:
	.size	_ZN7rocprim17ROCPRIM_400000_NS6detail17trampoline_kernelINS0_14default_configENS1_25partition_config_selectorILNS1_17partition_subalgoE1EtNS0_10empty_typeEbEEZZNS1_14partition_implILS5_1ELb0ES3_jN6thrust23THRUST_200600_302600_NS6detail15normal_iteratorINSA_10device_ptrItEEEEPS6_NSA_18transform_iteratorI7is_evenItESF_NSA_11use_defaultESK_EENS0_5tupleIJSF_SF_EEENSM_IJSG_SG_EEES6_PlJS6_EEE10hipError_tPvRmT3_T4_T5_T6_T7_T9_mT8_P12ihipStream_tbDpT10_ENKUlT_T0_E_clISt17integral_constantIbLb1EES18_IbLb0EEEEDaS14_S15_EUlS14_E_NS1_11comp_targetILNS1_3genE0ELNS1_11target_archE4294967295ELNS1_3gpuE0ELNS1_3repE0EEENS1_30default_config_static_selectorELNS0_4arch9wavefront6targetE1EEEvT1_, .Lfunc_end2283-_ZN7rocprim17ROCPRIM_400000_NS6detail17trampoline_kernelINS0_14default_configENS1_25partition_config_selectorILNS1_17partition_subalgoE1EtNS0_10empty_typeEbEEZZNS1_14partition_implILS5_1ELb0ES3_jN6thrust23THRUST_200600_302600_NS6detail15normal_iteratorINSA_10device_ptrItEEEEPS6_NSA_18transform_iteratorI7is_evenItESF_NSA_11use_defaultESK_EENS0_5tupleIJSF_SF_EEENSM_IJSG_SG_EEES6_PlJS6_EEE10hipError_tPvRmT3_T4_T5_T6_T7_T9_mT8_P12ihipStream_tbDpT10_ENKUlT_T0_E_clISt17integral_constantIbLb1EES18_IbLb0EEEEDaS14_S15_EUlS14_E_NS1_11comp_targetILNS1_3genE0ELNS1_11target_archE4294967295ELNS1_3gpuE0ELNS1_3repE0EEENS1_30default_config_static_selectorELNS0_4arch9wavefront6targetE1EEEvT1_
                                        ; -- End function
	.section	.AMDGPU.csdata,"",@progbits
; Kernel info:
; codeLenInByte = 0
; NumSgprs: 4
; NumVgprs: 0
; NumAgprs: 0
; TotalNumVgprs: 0
; ScratchSize: 0
; MemoryBound: 0
; FloatMode: 240
; IeeeMode: 1
; LDSByteSize: 0 bytes/workgroup (compile time only)
; SGPRBlocks: 0
; VGPRBlocks: 0
; NumSGPRsForWavesPerEU: 4
; NumVGPRsForWavesPerEU: 1
; AccumOffset: 4
; Occupancy: 8
; WaveLimiterHint : 0
; COMPUTE_PGM_RSRC2:SCRATCH_EN: 0
; COMPUTE_PGM_RSRC2:USER_SGPR: 6
; COMPUTE_PGM_RSRC2:TRAP_HANDLER: 0
; COMPUTE_PGM_RSRC2:TGID_X_EN: 1
; COMPUTE_PGM_RSRC2:TGID_Y_EN: 0
; COMPUTE_PGM_RSRC2:TGID_Z_EN: 0
; COMPUTE_PGM_RSRC2:TIDIG_COMP_CNT: 0
; COMPUTE_PGM_RSRC3_GFX90A:ACCUM_OFFSET: 0
; COMPUTE_PGM_RSRC3_GFX90A:TG_SPLIT: 0
	.section	.text._ZN7rocprim17ROCPRIM_400000_NS6detail17trampoline_kernelINS0_14default_configENS1_25partition_config_selectorILNS1_17partition_subalgoE1EtNS0_10empty_typeEbEEZZNS1_14partition_implILS5_1ELb0ES3_jN6thrust23THRUST_200600_302600_NS6detail15normal_iteratorINSA_10device_ptrItEEEEPS6_NSA_18transform_iteratorI7is_evenItESF_NSA_11use_defaultESK_EENS0_5tupleIJSF_SF_EEENSM_IJSG_SG_EEES6_PlJS6_EEE10hipError_tPvRmT3_T4_T5_T6_T7_T9_mT8_P12ihipStream_tbDpT10_ENKUlT_T0_E_clISt17integral_constantIbLb1EES18_IbLb0EEEEDaS14_S15_EUlS14_E_NS1_11comp_targetILNS1_3genE5ELNS1_11target_archE942ELNS1_3gpuE9ELNS1_3repE0EEENS1_30default_config_static_selectorELNS0_4arch9wavefront6targetE1EEEvT1_,"axG",@progbits,_ZN7rocprim17ROCPRIM_400000_NS6detail17trampoline_kernelINS0_14default_configENS1_25partition_config_selectorILNS1_17partition_subalgoE1EtNS0_10empty_typeEbEEZZNS1_14partition_implILS5_1ELb0ES3_jN6thrust23THRUST_200600_302600_NS6detail15normal_iteratorINSA_10device_ptrItEEEEPS6_NSA_18transform_iteratorI7is_evenItESF_NSA_11use_defaultESK_EENS0_5tupleIJSF_SF_EEENSM_IJSG_SG_EEES6_PlJS6_EEE10hipError_tPvRmT3_T4_T5_T6_T7_T9_mT8_P12ihipStream_tbDpT10_ENKUlT_T0_E_clISt17integral_constantIbLb1EES18_IbLb0EEEEDaS14_S15_EUlS14_E_NS1_11comp_targetILNS1_3genE5ELNS1_11target_archE942ELNS1_3gpuE9ELNS1_3repE0EEENS1_30default_config_static_selectorELNS0_4arch9wavefront6targetE1EEEvT1_,comdat
	.protected	_ZN7rocprim17ROCPRIM_400000_NS6detail17trampoline_kernelINS0_14default_configENS1_25partition_config_selectorILNS1_17partition_subalgoE1EtNS0_10empty_typeEbEEZZNS1_14partition_implILS5_1ELb0ES3_jN6thrust23THRUST_200600_302600_NS6detail15normal_iteratorINSA_10device_ptrItEEEEPS6_NSA_18transform_iteratorI7is_evenItESF_NSA_11use_defaultESK_EENS0_5tupleIJSF_SF_EEENSM_IJSG_SG_EEES6_PlJS6_EEE10hipError_tPvRmT3_T4_T5_T6_T7_T9_mT8_P12ihipStream_tbDpT10_ENKUlT_T0_E_clISt17integral_constantIbLb1EES18_IbLb0EEEEDaS14_S15_EUlS14_E_NS1_11comp_targetILNS1_3genE5ELNS1_11target_archE942ELNS1_3gpuE9ELNS1_3repE0EEENS1_30default_config_static_selectorELNS0_4arch9wavefront6targetE1EEEvT1_ ; -- Begin function _ZN7rocprim17ROCPRIM_400000_NS6detail17trampoline_kernelINS0_14default_configENS1_25partition_config_selectorILNS1_17partition_subalgoE1EtNS0_10empty_typeEbEEZZNS1_14partition_implILS5_1ELb0ES3_jN6thrust23THRUST_200600_302600_NS6detail15normal_iteratorINSA_10device_ptrItEEEEPS6_NSA_18transform_iteratorI7is_evenItESF_NSA_11use_defaultESK_EENS0_5tupleIJSF_SF_EEENSM_IJSG_SG_EEES6_PlJS6_EEE10hipError_tPvRmT3_T4_T5_T6_T7_T9_mT8_P12ihipStream_tbDpT10_ENKUlT_T0_E_clISt17integral_constantIbLb1EES18_IbLb0EEEEDaS14_S15_EUlS14_E_NS1_11comp_targetILNS1_3genE5ELNS1_11target_archE942ELNS1_3gpuE9ELNS1_3repE0EEENS1_30default_config_static_selectorELNS0_4arch9wavefront6targetE1EEEvT1_
	.globl	_ZN7rocprim17ROCPRIM_400000_NS6detail17trampoline_kernelINS0_14default_configENS1_25partition_config_selectorILNS1_17partition_subalgoE1EtNS0_10empty_typeEbEEZZNS1_14partition_implILS5_1ELb0ES3_jN6thrust23THRUST_200600_302600_NS6detail15normal_iteratorINSA_10device_ptrItEEEEPS6_NSA_18transform_iteratorI7is_evenItESF_NSA_11use_defaultESK_EENS0_5tupleIJSF_SF_EEENSM_IJSG_SG_EEES6_PlJS6_EEE10hipError_tPvRmT3_T4_T5_T6_T7_T9_mT8_P12ihipStream_tbDpT10_ENKUlT_T0_E_clISt17integral_constantIbLb1EES18_IbLb0EEEEDaS14_S15_EUlS14_E_NS1_11comp_targetILNS1_3genE5ELNS1_11target_archE942ELNS1_3gpuE9ELNS1_3repE0EEENS1_30default_config_static_selectorELNS0_4arch9wavefront6targetE1EEEvT1_
	.p2align	8
	.type	_ZN7rocprim17ROCPRIM_400000_NS6detail17trampoline_kernelINS0_14default_configENS1_25partition_config_selectorILNS1_17partition_subalgoE1EtNS0_10empty_typeEbEEZZNS1_14partition_implILS5_1ELb0ES3_jN6thrust23THRUST_200600_302600_NS6detail15normal_iteratorINSA_10device_ptrItEEEEPS6_NSA_18transform_iteratorI7is_evenItESF_NSA_11use_defaultESK_EENS0_5tupleIJSF_SF_EEENSM_IJSG_SG_EEES6_PlJS6_EEE10hipError_tPvRmT3_T4_T5_T6_T7_T9_mT8_P12ihipStream_tbDpT10_ENKUlT_T0_E_clISt17integral_constantIbLb1EES18_IbLb0EEEEDaS14_S15_EUlS14_E_NS1_11comp_targetILNS1_3genE5ELNS1_11target_archE942ELNS1_3gpuE9ELNS1_3repE0EEENS1_30default_config_static_selectorELNS0_4arch9wavefront6targetE1EEEvT1_,@function
_ZN7rocprim17ROCPRIM_400000_NS6detail17trampoline_kernelINS0_14default_configENS1_25partition_config_selectorILNS1_17partition_subalgoE1EtNS0_10empty_typeEbEEZZNS1_14partition_implILS5_1ELb0ES3_jN6thrust23THRUST_200600_302600_NS6detail15normal_iteratorINSA_10device_ptrItEEEEPS6_NSA_18transform_iteratorI7is_evenItESF_NSA_11use_defaultESK_EENS0_5tupleIJSF_SF_EEENSM_IJSG_SG_EEES6_PlJS6_EEE10hipError_tPvRmT3_T4_T5_T6_T7_T9_mT8_P12ihipStream_tbDpT10_ENKUlT_T0_E_clISt17integral_constantIbLb1EES18_IbLb0EEEEDaS14_S15_EUlS14_E_NS1_11comp_targetILNS1_3genE5ELNS1_11target_archE942ELNS1_3gpuE9ELNS1_3repE0EEENS1_30default_config_static_selectorELNS0_4arch9wavefront6targetE1EEEvT1_: ; @_ZN7rocprim17ROCPRIM_400000_NS6detail17trampoline_kernelINS0_14default_configENS1_25partition_config_selectorILNS1_17partition_subalgoE1EtNS0_10empty_typeEbEEZZNS1_14partition_implILS5_1ELb0ES3_jN6thrust23THRUST_200600_302600_NS6detail15normal_iteratorINSA_10device_ptrItEEEEPS6_NSA_18transform_iteratorI7is_evenItESF_NSA_11use_defaultESK_EENS0_5tupleIJSF_SF_EEENSM_IJSG_SG_EEES6_PlJS6_EEE10hipError_tPvRmT3_T4_T5_T6_T7_T9_mT8_P12ihipStream_tbDpT10_ENKUlT_T0_E_clISt17integral_constantIbLb1EES18_IbLb0EEEEDaS14_S15_EUlS14_E_NS1_11comp_targetILNS1_3genE5ELNS1_11target_archE942ELNS1_3gpuE9ELNS1_3repE0EEENS1_30default_config_static_selectorELNS0_4arch9wavefront6targetE1EEEvT1_
; %bb.0:
	.section	.rodata,"a",@progbits
	.p2align	6, 0x0
	.amdhsa_kernel _ZN7rocprim17ROCPRIM_400000_NS6detail17trampoline_kernelINS0_14default_configENS1_25partition_config_selectorILNS1_17partition_subalgoE1EtNS0_10empty_typeEbEEZZNS1_14partition_implILS5_1ELb0ES3_jN6thrust23THRUST_200600_302600_NS6detail15normal_iteratorINSA_10device_ptrItEEEEPS6_NSA_18transform_iteratorI7is_evenItESF_NSA_11use_defaultESK_EENS0_5tupleIJSF_SF_EEENSM_IJSG_SG_EEES6_PlJS6_EEE10hipError_tPvRmT3_T4_T5_T6_T7_T9_mT8_P12ihipStream_tbDpT10_ENKUlT_T0_E_clISt17integral_constantIbLb1EES18_IbLb0EEEEDaS14_S15_EUlS14_E_NS1_11comp_targetILNS1_3genE5ELNS1_11target_archE942ELNS1_3gpuE9ELNS1_3repE0EEENS1_30default_config_static_selectorELNS0_4arch9wavefront6targetE1EEEvT1_
		.amdhsa_group_segment_fixed_size 0
		.amdhsa_private_segment_fixed_size 0
		.amdhsa_kernarg_size 128
		.amdhsa_user_sgpr_count 6
		.amdhsa_user_sgpr_private_segment_buffer 1
		.amdhsa_user_sgpr_dispatch_ptr 0
		.amdhsa_user_sgpr_queue_ptr 0
		.amdhsa_user_sgpr_kernarg_segment_ptr 1
		.amdhsa_user_sgpr_dispatch_id 0
		.amdhsa_user_sgpr_flat_scratch_init 0
		.amdhsa_user_sgpr_kernarg_preload_length 0
		.amdhsa_user_sgpr_kernarg_preload_offset 0
		.amdhsa_user_sgpr_private_segment_size 0
		.amdhsa_uses_dynamic_stack 0
		.amdhsa_system_sgpr_private_segment_wavefront_offset 0
		.amdhsa_system_sgpr_workgroup_id_x 1
		.amdhsa_system_sgpr_workgroup_id_y 0
		.amdhsa_system_sgpr_workgroup_id_z 0
		.amdhsa_system_sgpr_workgroup_info 0
		.amdhsa_system_vgpr_workitem_id 0
		.amdhsa_next_free_vgpr 1
		.amdhsa_next_free_sgpr 0
		.amdhsa_accum_offset 4
		.amdhsa_reserve_vcc 0
		.amdhsa_reserve_flat_scratch 0
		.amdhsa_float_round_mode_32 0
		.amdhsa_float_round_mode_16_64 0
		.amdhsa_float_denorm_mode_32 3
		.amdhsa_float_denorm_mode_16_64 3
		.amdhsa_dx10_clamp 1
		.amdhsa_ieee_mode 1
		.amdhsa_fp16_overflow 0
		.amdhsa_tg_split 0
		.amdhsa_exception_fp_ieee_invalid_op 0
		.amdhsa_exception_fp_denorm_src 0
		.amdhsa_exception_fp_ieee_div_zero 0
		.amdhsa_exception_fp_ieee_overflow 0
		.amdhsa_exception_fp_ieee_underflow 0
		.amdhsa_exception_fp_ieee_inexact 0
		.amdhsa_exception_int_div_zero 0
	.end_amdhsa_kernel
	.section	.text._ZN7rocprim17ROCPRIM_400000_NS6detail17trampoline_kernelINS0_14default_configENS1_25partition_config_selectorILNS1_17partition_subalgoE1EtNS0_10empty_typeEbEEZZNS1_14partition_implILS5_1ELb0ES3_jN6thrust23THRUST_200600_302600_NS6detail15normal_iteratorINSA_10device_ptrItEEEEPS6_NSA_18transform_iteratorI7is_evenItESF_NSA_11use_defaultESK_EENS0_5tupleIJSF_SF_EEENSM_IJSG_SG_EEES6_PlJS6_EEE10hipError_tPvRmT3_T4_T5_T6_T7_T9_mT8_P12ihipStream_tbDpT10_ENKUlT_T0_E_clISt17integral_constantIbLb1EES18_IbLb0EEEEDaS14_S15_EUlS14_E_NS1_11comp_targetILNS1_3genE5ELNS1_11target_archE942ELNS1_3gpuE9ELNS1_3repE0EEENS1_30default_config_static_selectorELNS0_4arch9wavefront6targetE1EEEvT1_,"axG",@progbits,_ZN7rocprim17ROCPRIM_400000_NS6detail17trampoline_kernelINS0_14default_configENS1_25partition_config_selectorILNS1_17partition_subalgoE1EtNS0_10empty_typeEbEEZZNS1_14partition_implILS5_1ELb0ES3_jN6thrust23THRUST_200600_302600_NS6detail15normal_iteratorINSA_10device_ptrItEEEEPS6_NSA_18transform_iteratorI7is_evenItESF_NSA_11use_defaultESK_EENS0_5tupleIJSF_SF_EEENSM_IJSG_SG_EEES6_PlJS6_EEE10hipError_tPvRmT3_T4_T5_T6_T7_T9_mT8_P12ihipStream_tbDpT10_ENKUlT_T0_E_clISt17integral_constantIbLb1EES18_IbLb0EEEEDaS14_S15_EUlS14_E_NS1_11comp_targetILNS1_3genE5ELNS1_11target_archE942ELNS1_3gpuE9ELNS1_3repE0EEENS1_30default_config_static_selectorELNS0_4arch9wavefront6targetE1EEEvT1_,comdat
.Lfunc_end2284:
	.size	_ZN7rocprim17ROCPRIM_400000_NS6detail17trampoline_kernelINS0_14default_configENS1_25partition_config_selectorILNS1_17partition_subalgoE1EtNS0_10empty_typeEbEEZZNS1_14partition_implILS5_1ELb0ES3_jN6thrust23THRUST_200600_302600_NS6detail15normal_iteratorINSA_10device_ptrItEEEEPS6_NSA_18transform_iteratorI7is_evenItESF_NSA_11use_defaultESK_EENS0_5tupleIJSF_SF_EEENSM_IJSG_SG_EEES6_PlJS6_EEE10hipError_tPvRmT3_T4_T5_T6_T7_T9_mT8_P12ihipStream_tbDpT10_ENKUlT_T0_E_clISt17integral_constantIbLb1EES18_IbLb0EEEEDaS14_S15_EUlS14_E_NS1_11comp_targetILNS1_3genE5ELNS1_11target_archE942ELNS1_3gpuE9ELNS1_3repE0EEENS1_30default_config_static_selectorELNS0_4arch9wavefront6targetE1EEEvT1_, .Lfunc_end2284-_ZN7rocprim17ROCPRIM_400000_NS6detail17trampoline_kernelINS0_14default_configENS1_25partition_config_selectorILNS1_17partition_subalgoE1EtNS0_10empty_typeEbEEZZNS1_14partition_implILS5_1ELb0ES3_jN6thrust23THRUST_200600_302600_NS6detail15normal_iteratorINSA_10device_ptrItEEEEPS6_NSA_18transform_iteratorI7is_evenItESF_NSA_11use_defaultESK_EENS0_5tupleIJSF_SF_EEENSM_IJSG_SG_EEES6_PlJS6_EEE10hipError_tPvRmT3_T4_T5_T6_T7_T9_mT8_P12ihipStream_tbDpT10_ENKUlT_T0_E_clISt17integral_constantIbLb1EES18_IbLb0EEEEDaS14_S15_EUlS14_E_NS1_11comp_targetILNS1_3genE5ELNS1_11target_archE942ELNS1_3gpuE9ELNS1_3repE0EEENS1_30default_config_static_selectorELNS0_4arch9wavefront6targetE1EEEvT1_
                                        ; -- End function
	.section	.AMDGPU.csdata,"",@progbits
; Kernel info:
; codeLenInByte = 0
; NumSgprs: 4
; NumVgprs: 0
; NumAgprs: 0
; TotalNumVgprs: 0
; ScratchSize: 0
; MemoryBound: 0
; FloatMode: 240
; IeeeMode: 1
; LDSByteSize: 0 bytes/workgroup (compile time only)
; SGPRBlocks: 0
; VGPRBlocks: 0
; NumSGPRsForWavesPerEU: 4
; NumVGPRsForWavesPerEU: 1
; AccumOffset: 4
; Occupancy: 8
; WaveLimiterHint : 0
; COMPUTE_PGM_RSRC2:SCRATCH_EN: 0
; COMPUTE_PGM_RSRC2:USER_SGPR: 6
; COMPUTE_PGM_RSRC2:TRAP_HANDLER: 0
; COMPUTE_PGM_RSRC2:TGID_X_EN: 1
; COMPUTE_PGM_RSRC2:TGID_Y_EN: 0
; COMPUTE_PGM_RSRC2:TGID_Z_EN: 0
; COMPUTE_PGM_RSRC2:TIDIG_COMP_CNT: 0
; COMPUTE_PGM_RSRC3_GFX90A:ACCUM_OFFSET: 0
; COMPUTE_PGM_RSRC3_GFX90A:TG_SPLIT: 0
	.section	.text._ZN7rocprim17ROCPRIM_400000_NS6detail17trampoline_kernelINS0_14default_configENS1_25partition_config_selectorILNS1_17partition_subalgoE1EtNS0_10empty_typeEbEEZZNS1_14partition_implILS5_1ELb0ES3_jN6thrust23THRUST_200600_302600_NS6detail15normal_iteratorINSA_10device_ptrItEEEEPS6_NSA_18transform_iteratorI7is_evenItESF_NSA_11use_defaultESK_EENS0_5tupleIJSF_SF_EEENSM_IJSG_SG_EEES6_PlJS6_EEE10hipError_tPvRmT3_T4_T5_T6_T7_T9_mT8_P12ihipStream_tbDpT10_ENKUlT_T0_E_clISt17integral_constantIbLb1EES18_IbLb0EEEEDaS14_S15_EUlS14_E_NS1_11comp_targetILNS1_3genE4ELNS1_11target_archE910ELNS1_3gpuE8ELNS1_3repE0EEENS1_30default_config_static_selectorELNS0_4arch9wavefront6targetE1EEEvT1_,"axG",@progbits,_ZN7rocprim17ROCPRIM_400000_NS6detail17trampoline_kernelINS0_14default_configENS1_25partition_config_selectorILNS1_17partition_subalgoE1EtNS0_10empty_typeEbEEZZNS1_14partition_implILS5_1ELb0ES3_jN6thrust23THRUST_200600_302600_NS6detail15normal_iteratorINSA_10device_ptrItEEEEPS6_NSA_18transform_iteratorI7is_evenItESF_NSA_11use_defaultESK_EENS0_5tupleIJSF_SF_EEENSM_IJSG_SG_EEES6_PlJS6_EEE10hipError_tPvRmT3_T4_T5_T6_T7_T9_mT8_P12ihipStream_tbDpT10_ENKUlT_T0_E_clISt17integral_constantIbLb1EES18_IbLb0EEEEDaS14_S15_EUlS14_E_NS1_11comp_targetILNS1_3genE4ELNS1_11target_archE910ELNS1_3gpuE8ELNS1_3repE0EEENS1_30default_config_static_selectorELNS0_4arch9wavefront6targetE1EEEvT1_,comdat
	.protected	_ZN7rocprim17ROCPRIM_400000_NS6detail17trampoline_kernelINS0_14default_configENS1_25partition_config_selectorILNS1_17partition_subalgoE1EtNS0_10empty_typeEbEEZZNS1_14partition_implILS5_1ELb0ES3_jN6thrust23THRUST_200600_302600_NS6detail15normal_iteratorINSA_10device_ptrItEEEEPS6_NSA_18transform_iteratorI7is_evenItESF_NSA_11use_defaultESK_EENS0_5tupleIJSF_SF_EEENSM_IJSG_SG_EEES6_PlJS6_EEE10hipError_tPvRmT3_T4_T5_T6_T7_T9_mT8_P12ihipStream_tbDpT10_ENKUlT_T0_E_clISt17integral_constantIbLb1EES18_IbLb0EEEEDaS14_S15_EUlS14_E_NS1_11comp_targetILNS1_3genE4ELNS1_11target_archE910ELNS1_3gpuE8ELNS1_3repE0EEENS1_30default_config_static_selectorELNS0_4arch9wavefront6targetE1EEEvT1_ ; -- Begin function _ZN7rocprim17ROCPRIM_400000_NS6detail17trampoline_kernelINS0_14default_configENS1_25partition_config_selectorILNS1_17partition_subalgoE1EtNS0_10empty_typeEbEEZZNS1_14partition_implILS5_1ELb0ES3_jN6thrust23THRUST_200600_302600_NS6detail15normal_iteratorINSA_10device_ptrItEEEEPS6_NSA_18transform_iteratorI7is_evenItESF_NSA_11use_defaultESK_EENS0_5tupleIJSF_SF_EEENSM_IJSG_SG_EEES6_PlJS6_EEE10hipError_tPvRmT3_T4_T5_T6_T7_T9_mT8_P12ihipStream_tbDpT10_ENKUlT_T0_E_clISt17integral_constantIbLb1EES18_IbLb0EEEEDaS14_S15_EUlS14_E_NS1_11comp_targetILNS1_3genE4ELNS1_11target_archE910ELNS1_3gpuE8ELNS1_3repE0EEENS1_30default_config_static_selectorELNS0_4arch9wavefront6targetE1EEEvT1_
	.globl	_ZN7rocprim17ROCPRIM_400000_NS6detail17trampoline_kernelINS0_14default_configENS1_25partition_config_selectorILNS1_17partition_subalgoE1EtNS0_10empty_typeEbEEZZNS1_14partition_implILS5_1ELb0ES3_jN6thrust23THRUST_200600_302600_NS6detail15normal_iteratorINSA_10device_ptrItEEEEPS6_NSA_18transform_iteratorI7is_evenItESF_NSA_11use_defaultESK_EENS0_5tupleIJSF_SF_EEENSM_IJSG_SG_EEES6_PlJS6_EEE10hipError_tPvRmT3_T4_T5_T6_T7_T9_mT8_P12ihipStream_tbDpT10_ENKUlT_T0_E_clISt17integral_constantIbLb1EES18_IbLb0EEEEDaS14_S15_EUlS14_E_NS1_11comp_targetILNS1_3genE4ELNS1_11target_archE910ELNS1_3gpuE8ELNS1_3repE0EEENS1_30default_config_static_selectorELNS0_4arch9wavefront6targetE1EEEvT1_
	.p2align	8
	.type	_ZN7rocprim17ROCPRIM_400000_NS6detail17trampoline_kernelINS0_14default_configENS1_25partition_config_selectorILNS1_17partition_subalgoE1EtNS0_10empty_typeEbEEZZNS1_14partition_implILS5_1ELb0ES3_jN6thrust23THRUST_200600_302600_NS6detail15normal_iteratorINSA_10device_ptrItEEEEPS6_NSA_18transform_iteratorI7is_evenItESF_NSA_11use_defaultESK_EENS0_5tupleIJSF_SF_EEENSM_IJSG_SG_EEES6_PlJS6_EEE10hipError_tPvRmT3_T4_T5_T6_T7_T9_mT8_P12ihipStream_tbDpT10_ENKUlT_T0_E_clISt17integral_constantIbLb1EES18_IbLb0EEEEDaS14_S15_EUlS14_E_NS1_11comp_targetILNS1_3genE4ELNS1_11target_archE910ELNS1_3gpuE8ELNS1_3repE0EEENS1_30default_config_static_selectorELNS0_4arch9wavefront6targetE1EEEvT1_,@function
_ZN7rocprim17ROCPRIM_400000_NS6detail17trampoline_kernelINS0_14default_configENS1_25partition_config_selectorILNS1_17partition_subalgoE1EtNS0_10empty_typeEbEEZZNS1_14partition_implILS5_1ELb0ES3_jN6thrust23THRUST_200600_302600_NS6detail15normal_iteratorINSA_10device_ptrItEEEEPS6_NSA_18transform_iteratorI7is_evenItESF_NSA_11use_defaultESK_EENS0_5tupleIJSF_SF_EEENSM_IJSG_SG_EEES6_PlJS6_EEE10hipError_tPvRmT3_T4_T5_T6_T7_T9_mT8_P12ihipStream_tbDpT10_ENKUlT_T0_E_clISt17integral_constantIbLb1EES18_IbLb0EEEEDaS14_S15_EUlS14_E_NS1_11comp_targetILNS1_3genE4ELNS1_11target_archE910ELNS1_3gpuE8ELNS1_3repE0EEENS1_30default_config_static_selectorELNS0_4arch9wavefront6targetE1EEEvT1_: ; @_ZN7rocprim17ROCPRIM_400000_NS6detail17trampoline_kernelINS0_14default_configENS1_25partition_config_selectorILNS1_17partition_subalgoE1EtNS0_10empty_typeEbEEZZNS1_14partition_implILS5_1ELb0ES3_jN6thrust23THRUST_200600_302600_NS6detail15normal_iteratorINSA_10device_ptrItEEEEPS6_NSA_18transform_iteratorI7is_evenItESF_NSA_11use_defaultESK_EENS0_5tupleIJSF_SF_EEENSM_IJSG_SG_EEES6_PlJS6_EEE10hipError_tPvRmT3_T4_T5_T6_T7_T9_mT8_P12ihipStream_tbDpT10_ENKUlT_T0_E_clISt17integral_constantIbLb1EES18_IbLb0EEEEDaS14_S15_EUlS14_E_NS1_11comp_targetILNS1_3genE4ELNS1_11target_archE910ELNS1_3gpuE8ELNS1_3repE0EEENS1_30default_config_static_selectorELNS0_4arch9wavefront6targetE1EEEvT1_
; %bb.0:
	s_load_dwordx2 s[0:1], s[4:5], 0x60
	s_load_dwordx4 s[24:27], s[4:5], 0x8
	s_load_dwordx2 s[2:3], s[4:5], 0x20
	s_load_dwordx4 s[20:23], s[4:5], 0x50
	s_mul_i32 s10, s6, 0x1400
	s_waitcnt lgkmcnt(0)
	v_mov_b32_e32 v3, s1
	s_load_dword s1, s[4:5], 0x78
	s_lshl_b64 s[8:9], s[26:27], 1
	s_add_u32 s7, s24, s8
	s_addc_u32 s12, s25, s9
	v_mov_b32_e32 v2, s0
	s_waitcnt lgkmcnt(0)
	s_add_i32 s13, s1, -1
	s_mulk_i32 s1, 0x1400
	s_add_i32 s11, s1, s26
	s_sub_i32 s33, s0, s11
	s_addk_i32 s33, 0x1400
	s_add_u32 s0, s26, s1
	s_addc_u32 s1, s27, 0
	s_cmp_eq_u32 s6, s13
	s_load_dwordx2 s[30:31], s[22:23], 0x0
	s_cselect_b64 s[22:23], -1, 0
	s_cmp_lg_u32 s6, s13
	s_mov_b32 s11, 0
	v_cmp_lt_u64_e32 vcc, s[0:1], v[2:3]
	s_cselect_b64 s[0:1], -1, 0
	s_or_b64 s[24:25], s[0:1], vcc
	s_lshl_b64 s[28:29], s[10:11], 1
	s_add_u32 s7, s7, s28
	s_addc_u32 s12, s12, s29
	s_mov_b64 s[0:1], -1
	s_and_b64 vcc, exec, s[24:25]
	v_lshlrev_b32_e32 v1, 1, v0
	s_cbranch_vccz .LBB2285_2
; %bb.1:
	v_mov_b32_e32 v3, s12
	v_add_co_u32_e32 v2, vcc, s7, v1
	v_addc_co_u32_e32 v3, vcc, 0, v3, vcc
	v_add_co_u32_e32 v4, vcc, 0x1000, v2
	v_addc_co_u32_e32 v5, vcc, 0, v3, vcc
	flat_load_ushort v6, v[2:3]
	flat_load_ushort v7, v[2:3] offset:512
	flat_load_ushort v8, v[2:3] offset:1024
	;; [unrolled: 1-line block ×7, first 2 shown]
	v_add_co_u32_e32 v2, vcc, 0x2000, v2
	v_addc_co_u32_e32 v3, vcc, 0, v3, vcc
	flat_load_ushort v14, v[4:5]
	flat_load_ushort v15, v[4:5] offset:512
	flat_load_ushort v16, v[4:5] offset:1024
	;; [unrolled: 1-line block ×7, first 2 shown]
	s_nop 0
	flat_load_ushort v4, v[2:3]
	flat_load_ushort v5, v[2:3] offset:512
	flat_load_ushort v22, v[2:3] offset:1024
	;; [unrolled: 1-line block ×3, first 2 shown]
	s_mov_b64 s[0:1], 0
	s_waitcnt vmcnt(0) lgkmcnt(0)
	ds_write_b16 v1, v6
	ds_write_b16 v1, v7 offset:512
	ds_write_b16 v1, v8 offset:1024
	;; [unrolled: 1-line block ×19, first 2 shown]
	s_waitcnt lgkmcnt(0)
	s_barrier
.LBB2285_2:
	s_andn2_b64 vcc, exec, s[0:1]
	v_cmp_gt_u32_e64 s[0:1], s33, v0
	s_cbranch_vccnz .LBB2285_44
; %bb.3:
                                        ; implicit-def: $vgpr2
	s_and_saveexec_b64 s[10:11], s[0:1]
	s_cbranch_execz .LBB2285_5
; %bb.4:
	v_mov_b32_e32 v3, s12
	v_add_co_u32_e32 v2, vcc, s7, v1
	v_addc_co_u32_e32 v3, vcc, 0, v3, vcc
	flat_load_ushort v2, v[2:3]
.LBB2285_5:
	s_or_b64 exec, exec, s[10:11]
	v_or_b32_e32 v3, 0x100, v0
	v_cmp_gt_u32_e32 vcc, s33, v3
                                        ; implicit-def: $vgpr3
	s_and_saveexec_b64 s[0:1], vcc
	s_cbranch_execz .LBB2285_7
; %bb.6:
	v_mov_b32_e32 v3, s12
	v_add_co_u32_e32 v4, vcc, s7, v1
	v_addc_co_u32_e32 v5, vcc, 0, v3, vcc
	flat_load_ushort v3, v[4:5] offset:512
.LBB2285_7:
	s_or_b64 exec, exec, s[0:1]
	v_or_b32_e32 v4, 0x200, v0
	v_cmp_gt_u32_e32 vcc, s33, v4
                                        ; implicit-def: $vgpr4
	s_and_saveexec_b64 s[0:1], vcc
	s_cbranch_execz .LBB2285_9
; %bb.8:
	v_mov_b32_e32 v5, s12
	v_add_co_u32_e32 v4, vcc, s7, v1
	v_addc_co_u32_e32 v5, vcc, 0, v5, vcc
	flat_load_ushort v4, v[4:5] offset:1024
.LBB2285_9:
	s_or_b64 exec, exec, s[0:1]
	v_or_b32_e32 v5, 0x300, v0
	v_cmp_gt_u32_e32 vcc, s33, v5
                                        ; implicit-def: $vgpr5
	s_and_saveexec_b64 s[0:1], vcc
	s_cbranch_execz .LBB2285_11
; %bb.10:
	v_mov_b32_e32 v5, s12
	v_add_co_u32_e32 v6, vcc, s7, v1
	v_addc_co_u32_e32 v7, vcc, 0, v5, vcc
	flat_load_ushort v5, v[6:7] offset:1536
.LBB2285_11:
	s_or_b64 exec, exec, s[0:1]
	v_or_b32_e32 v6, 0x400, v0
	v_cmp_gt_u32_e32 vcc, s33, v6
                                        ; implicit-def: $vgpr6
	s_and_saveexec_b64 s[0:1], vcc
	s_cbranch_execz .LBB2285_13
; %bb.12:
	v_mov_b32_e32 v7, s12
	v_add_co_u32_e32 v6, vcc, s7, v1
	v_addc_co_u32_e32 v7, vcc, 0, v7, vcc
	flat_load_ushort v6, v[6:7] offset:2048
.LBB2285_13:
	s_or_b64 exec, exec, s[0:1]
	v_or_b32_e32 v7, 0x500, v0
	v_cmp_gt_u32_e32 vcc, s33, v7
                                        ; implicit-def: $vgpr7
	s_and_saveexec_b64 s[0:1], vcc
	s_cbranch_execz .LBB2285_15
; %bb.14:
	v_mov_b32_e32 v7, s12
	v_add_co_u32_e32 v8, vcc, s7, v1
	v_addc_co_u32_e32 v9, vcc, 0, v7, vcc
	flat_load_ushort v7, v[8:9] offset:2560
.LBB2285_15:
	s_or_b64 exec, exec, s[0:1]
	v_or_b32_e32 v8, 0x600, v0
	v_cmp_gt_u32_e32 vcc, s33, v8
                                        ; implicit-def: $vgpr8
	s_and_saveexec_b64 s[0:1], vcc
	s_cbranch_execz .LBB2285_17
; %bb.16:
	v_mov_b32_e32 v9, s12
	v_add_co_u32_e32 v8, vcc, s7, v1
	v_addc_co_u32_e32 v9, vcc, 0, v9, vcc
	flat_load_ushort v8, v[8:9] offset:3072
.LBB2285_17:
	s_or_b64 exec, exec, s[0:1]
	v_or_b32_e32 v9, 0x700, v0
	v_cmp_gt_u32_e32 vcc, s33, v9
                                        ; implicit-def: $vgpr9
	s_and_saveexec_b64 s[0:1], vcc
	s_cbranch_execz .LBB2285_19
; %bb.18:
	v_mov_b32_e32 v9, s12
	v_add_co_u32_e32 v10, vcc, s7, v1
	v_addc_co_u32_e32 v11, vcc, 0, v9, vcc
	flat_load_ushort v9, v[10:11] offset:3584
.LBB2285_19:
	s_or_b64 exec, exec, s[0:1]
	v_or_b32_e32 v11, 0x800, v0
	v_cmp_gt_u32_e32 vcc, s33, v11
                                        ; implicit-def: $vgpr10
	s_and_saveexec_b64 s[0:1], vcc
	s_cbranch_execz .LBB2285_21
; %bb.20:
	v_lshlrev_b32_e32 v10, 1, v11
	v_mov_b32_e32 v11, s12
	v_add_co_u32_e32 v10, vcc, s7, v10
	v_addc_co_u32_e32 v11, vcc, 0, v11, vcc
	flat_load_ushort v10, v[10:11]
.LBB2285_21:
	s_or_b64 exec, exec, s[0:1]
	v_or_b32_e32 v12, 0x900, v0
	v_cmp_gt_u32_e32 vcc, s33, v12
                                        ; implicit-def: $vgpr11
	s_and_saveexec_b64 s[0:1], vcc
	s_cbranch_execz .LBB2285_23
; %bb.22:
	v_lshlrev_b32_e32 v11, 1, v12
	v_mov_b32_e32 v13, s12
	v_add_co_u32_e32 v12, vcc, s7, v11
	v_addc_co_u32_e32 v13, vcc, 0, v13, vcc
	flat_load_ushort v11, v[12:13]
.LBB2285_23:
	s_or_b64 exec, exec, s[0:1]
	v_or_b32_e32 v13, 0xa00, v0
	v_cmp_gt_u32_e32 vcc, s33, v13
                                        ; implicit-def: $vgpr12
	s_and_saveexec_b64 s[0:1], vcc
	s_cbranch_execz .LBB2285_25
; %bb.24:
	v_lshlrev_b32_e32 v12, 1, v13
	v_mov_b32_e32 v13, s12
	v_add_co_u32_e32 v12, vcc, s7, v12
	v_addc_co_u32_e32 v13, vcc, 0, v13, vcc
	flat_load_ushort v12, v[12:13]
.LBB2285_25:
	s_or_b64 exec, exec, s[0:1]
	v_or_b32_e32 v14, 0xb00, v0
	v_cmp_gt_u32_e32 vcc, s33, v14
                                        ; implicit-def: $vgpr13
	s_and_saveexec_b64 s[0:1], vcc
	s_cbranch_execz .LBB2285_27
; %bb.26:
	v_lshlrev_b32_e32 v13, 1, v14
	v_mov_b32_e32 v15, s12
	v_add_co_u32_e32 v14, vcc, s7, v13
	v_addc_co_u32_e32 v15, vcc, 0, v15, vcc
	flat_load_ushort v13, v[14:15]
.LBB2285_27:
	s_or_b64 exec, exec, s[0:1]
	v_or_b32_e32 v15, 0xc00, v0
	v_cmp_gt_u32_e32 vcc, s33, v15
                                        ; implicit-def: $vgpr14
	s_and_saveexec_b64 s[0:1], vcc
	s_cbranch_execz .LBB2285_29
; %bb.28:
	v_lshlrev_b32_e32 v14, 1, v15
	v_mov_b32_e32 v15, s12
	v_add_co_u32_e32 v14, vcc, s7, v14
	v_addc_co_u32_e32 v15, vcc, 0, v15, vcc
	flat_load_ushort v14, v[14:15]
.LBB2285_29:
	s_or_b64 exec, exec, s[0:1]
	v_or_b32_e32 v16, 0xd00, v0
	v_cmp_gt_u32_e32 vcc, s33, v16
                                        ; implicit-def: $vgpr15
	s_and_saveexec_b64 s[0:1], vcc
	s_cbranch_execz .LBB2285_31
; %bb.30:
	v_lshlrev_b32_e32 v15, 1, v16
	v_mov_b32_e32 v17, s12
	v_add_co_u32_e32 v16, vcc, s7, v15
	v_addc_co_u32_e32 v17, vcc, 0, v17, vcc
	flat_load_ushort v15, v[16:17]
.LBB2285_31:
	s_or_b64 exec, exec, s[0:1]
	v_or_b32_e32 v17, 0xe00, v0
	v_cmp_gt_u32_e32 vcc, s33, v17
                                        ; implicit-def: $vgpr16
	s_and_saveexec_b64 s[0:1], vcc
	s_cbranch_execz .LBB2285_33
; %bb.32:
	v_lshlrev_b32_e32 v16, 1, v17
	v_mov_b32_e32 v17, s12
	v_add_co_u32_e32 v16, vcc, s7, v16
	v_addc_co_u32_e32 v17, vcc, 0, v17, vcc
	flat_load_ushort v16, v[16:17]
.LBB2285_33:
	s_or_b64 exec, exec, s[0:1]
	v_or_b32_e32 v18, 0xf00, v0
	v_cmp_gt_u32_e32 vcc, s33, v18
                                        ; implicit-def: $vgpr17
	s_and_saveexec_b64 s[0:1], vcc
	s_cbranch_execz .LBB2285_35
; %bb.34:
	v_lshlrev_b32_e32 v17, 1, v18
	v_mov_b32_e32 v19, s12
	v_add_co_u32_e32 v18, vcc, s7, v17
	v_addc_co_u32_e32 v19, vcc, 0, v19, vcc
	flat_load_ushort v17, v[18:19]
.LBB2285_35:
	s_or_b64 exec, exec, s[0:1]
	v_or_b32_e32 v19, 0x1000, v0
	v_cmp_gt_u32_e32 vcc, s33, v19
                                        ; implicit-def: $vgpr18
	s_and_saveexec_b64 s[0:1], vcc
	s_cbranch_execz .LBB2285_37
; %bb.36:
	v_lshlrev_b32_e32 v18, 1, v19
	v_mov_b32_e32 v19, s12
	v_add_co_u32_e32 v18, vcc, s7, v18
	v_addc_co_u32_e32 v19, vcc, 0, v19, vcc
	flat_load_ushort v18, v[18:19]
.LBB2285_37:
	s_or_b64 exec, exec, s[0:1]
	v_or_b32_e32 v20, 0x1100, v0
	v_cmp_gt_u32_e32 vcc, s33, v20
                                        ; implicit-def: $vgpr19
	s_and_saveexec_b64 s[0:1], vcc
	s_cbranch_execz .LBB2285_39
; %bb.38:
	v_lshlrev_b32_e32 v19, 1, v20
	v_mov_b32_e32 v21, s12
	v_add_co_u32_e32 v20, vcc, s7, v19
	v_addc_co_u32_e32 v21, vcc, 0, v21, vcc
	flat_load_ushort v19, v[20:21]
.LBB2285_39:
	s_or_b64 exec, exec, s[0:1]
	v_or_b32_e32 v21, 0x1200, v0
	v_cmp_gt_u32_e32 vcc, s33, v21
                                        ; implicit-def: $vgpr20
	s_and_saveexec_b64 s[0:1], vcc
	s_cbranch_execz .LBB2285_41
; %bb.40:
	v_lshlrev_b32_e32 v20, 1, v21
	v_mov_b32_e32 v21, s12
	v_add_co_u32_e32 v20, vcc, s7, v20
	v_addc_co_u32_e32 v21, vcc, 0, v21, vcc
	flat_load_ushort v20, v[20:21]
.LBB2285_41:
	s_or_b64 exec, exec, s[0:1]
	v_or_b32_e32 v22, 0x1300, v0
	v_cmp_gt_u32_e32 vcc, s33, v22
                                        ; implicit-def: $vgpr21
	s_and_saveexec_b64 s[0:1], vcc
	s_cbranch_execz .LBB2285_43
; %bb.42:
	v_lshlrev_b32_e32 v21, 1, v22
	v_mov_b32_e32 v23, s12
	v_add_co_u32_e32 v22, vcc, s7, v21
	v_addc_co_u32_e32 v23, vcc, 0, v23, vcc
	flat_load_ushort v21, v[22:23]
.LBB2285_43:
	s_or_b64 exec, exec, s[0:1]
	s_waitcnt vmcnt(0) lgkmcnt(0)
	ds_write_b16 v1, v2
	ds_write_b16 v1, v3 offset:512
	ds_write_b16 v1, v4 offset:1024
	;; [unrolled: 1-line block ×19, first 2 shown]
	s_waitcnt lgkmcnt(0)
	s_barrier
.LBB2285_44:
	v_mul_u32_u24_e32 v26, 20, v0
	v_lshlrev_b32_e32 v6, 1, v26
	s_waitcnt lgkmcnt(0)
	ds_read_b64 v[10:11], v6 offset:32
	ds_read2_b64 v[2:5], v6 offset0:2 offset1:3
	ds_read2_b64 v[6:9], v6 offset1:1
	s_add_u32 s0, s2, s8
	s_addc_u32 s1, s3, s9
	s_add_u32 s0, s0, s28
	s_addc_u32 s1, s1, s29
	s_mov_b64 s[2:3], -1
	s_and_b64 vcc, exec, s[24:25]
	s_waitcnt lgkmcnt(0)
	s_barrier
	s_cbranch_vccz .LBB2285_46
; %bb.45:
	v_mov_b32_e32 v12, s1
	v_add_co_u32_e32 v14, vcc, s0, v1
	s_movk_i32 s2, 0x1000
	v_addc_co_u32_e32 v15, vcc, 0, v12, vcc
	v_add_co_u32_e32 v12, vcc, s2, v14
	s_movk_i32 s3, 0x2000
	v_addc_co_u32_e32 v13, vcc, 0, v15, vcc
	global_load_ubyte v16, v1, s[0:1]
	global_load_ubyte v17, v1, s[0:1] offset:512
	global_load_ubyte v18, v1, s[0:1] offset:1024
	;; [unrolled: 1-line block ×7, first 2 shown]
	v_add_co_u32_e32 v14, vcc, s3, v14
	v_addc_co_u32_e32 v15, vcc, 0, v15, vcc
	global_load_ubyte v24, v[14:15], off offset:-4096
	global_load_ubyte v25, v[12:13], off offset:512
	global_load_ubyte v27, v[12:13], off offset:1024
	;; [unrolled: 1-line block ×7, first 2 shown]
	global_load_ubyte v33, v[14:15], off
	global_load_ubyte v34, v[14:15], off offset:512
	global_load_ubyte v35, v[14:15], off offset:1024
	;; [unrolled: 1-line block ×3, first 2 shown]
	s_mov_b64 s[2:3], 0
	s_waitcnt vmcnt(19)
	v_xor_b32_e32 v12, -1, v16
	s_waitcnt vmcnt(18)
	v_xor_b32_e32 v13, -1, v17
	;; [unrolled: 2-line block ×8, first 2 shown]
	v_and_b32_e32 v12, 1, v12
	v_and_b32_e32 v13, 1, v13
	;; [unrolled: 1-line block ×8, first 2 shown]
	ds_write_b8 v0, v12
	ds_write_b8 v0, v13 offset:256
	ds_write_b8 v0, v14 offset:512
	;; [unrolled: 1-line block ×7, first 2 shown]
	s_waitcnt vmcnt(11)
	v_xor_b32_e32 v12, -1, v24
	s_waitcnt vmcnt(10)
	v_xor_b32_e32 v13, -1, v25
	;; [unrolled: 2-line block ×12, first 2 shown]
	v_and_b32_e32 v12, 1, v12
	v_and_b32_e32 v13, 1, v13
	;; [unrolled: 1-line block ×12, first 2 shown]
	ds_write_b8 v0, v12 offset:2048
	ds_write_b8 v0, v13 offset:2304
	;; [unrolled: 1-line block ×12, first 2 shown]
	s_waitcnt lgkmcnt(0)
	s_barrier
.LBB2285_46:
	s_load_dwordx2 s[34:35], s[4:5], 0x70
	s_andn2_b64 vcc, exec, s[2:3]
	s_cbranch_vccnz .LBB2285_88
; %bb.47:
	v_cmp_gt_u32_e32 vcc, s33, v0
	v_mov_b32_e32 v12, 0
	v_mov_b32_e32 v13, 0
	s_and_saveexec_b64 s[2:3], vcc
	s_cbranch_execz .LBB2285_49
; %bb.48:
	global_load_ubyte v13, v1, s[0:1]
	s_waitcnt vmcnt(0)
	v_xor_b32_e32 v13, -1, v13
	v_and_b32_e32 v13, 1, v13
.LBB2285_49:
	s_or_b64 exec, exec, s[2:3]
	v_or_b32_e32 v14, 0x100, v0
	v_cmp_gt_u32_e32 vcc, s33, v14
	s_and_saveexec_b64 s[2:3], vcc
	s_cbranch_execz .LBB2285_51
; %bb.50:
	global_load_ubyte v12, v1, s[0:1] offset:512
	s_waitcnt vmcnt(0)
	v_xor_b32_e32 v12, -1, v12
	v_and_b32_e32 v12, 1, v12
.LBB2285_51:
	s_or_b64 exec, exec, s[2:3]
	v_or_b32_e32 v14, 0x200, v0
	v_cmp_gt_u32_e32 vcc, s33, v14
	v_mov_b32_e32 v14, 0
	v_mov_b32_e32 v15, 0
	s_and_saveexec_b64 s[2:3], vcc
	s_cbranch_execz .LBB2285_53
; %bb.52:
	global_load_ubyte v15, v1, s[0:1] offset:1024
	s_waitcnt vmcnt(0)
	v_xor_b32_e32 v15, -1, v15
	v_and_b32_e32 v15, 1, v15
.LBB2285_53:
	s_or_b64 exec, exec, s[2:3]
	v_or_b32_e32 v16, 0x300, v0
	v_cmp_gt_u32_e32 vcc, s33, v16
	s_and_saveexec_b64 s[2:3], vcc
	s_cbranch_execz .LBB2285_55
; %bb.54:
	global_load_ubyte v14, v1, s[0:1] offset:1536
	s_waitcnt vmcnt(0)
	v_xor_b32_e32 v14, -1, v14
	v_and_b32_e32 v14, 1, v14
.LBB2285_55:
	s_or_b64 exec, exec, s[2:3]
	v_or_b32_e32 v16, 0x400, v0
	v_cmp_gt_u32_e32 vcc, s33, v16
	v_mov_b32_e32 v16, 0
	v_mov_b32_e32 v17, 0
	s_and_saveexec_b64 s[2:3], vcc
	s_cbranch_execz .LBB2285_57
; %bb.56:
	global_load_ubyte v17, v1, s[0:1] offset:2048
	s_waitcnt vmcnt(0)
	v_xor_b32_e32 v17, -1, v17
	v_and_b32_e32 v17, 1, v17
.LBB2285_57:
	;; [unrolled: 24-line block ×3, first 2 shown]
	s_or_b64 exec, exec, s[2:3]
	v_or_b32_e32 v20, 0x700, v0
	v_cmp_gt_u32_e32 vcc, s33, v20
	s_and_saveexec_b64 s[2:3], vcc
	s_cbranch_execz .LBB2285_63
; %bb.62:
	global_load_ubyte v18, v1, s[0:1] offset:3584
	s_waitcnt vmcnt(0)
	v_xor_b32_e32 v18, -1, v18
	v_and_b32_e32 v18, 1, v18
.LBB2285_63:
	s_or_b64 exec, exec, s[2:3]
	v_or_b32_e32 v22, 0x800, v0
	v_cmp_gt_u32_e32 vcc, s33, v22
	v_mov_b32_e32 v20, 0
	v_mov_b32_e32 v21, 0
	s_and_saveexec_b64 s[2:3], vcc
	s_cbranch_execz .LBB2285_65
; %bb.64:
	v_lshlrev_b32_e32 v21, 1, v22
	global_load_ubyte v21, v21, s[0:1]
	s_waitcnt vmcnt(0)
	v_xor_b32_e32 v21, -1, v21
	v_and_b32_e32 v21, 1, v21
.LBB2285_65:
	s_or_b64 exec, exec, s[2:3]
	v_or_b32_e32 v22, 0x900, v0
	v_cmp_gt_u32_e32 vcc, s33, v22
	s_and_saveexec_b64 s[2:3], vcc
	s_cbranch_execz .LBB2285_67
; %bb.66:
	v_lshlrev_b32_e32 v20, 1, v22
	global_load_ubyte v20, v20, s[0:1]
	s_waitcnt vmcnt(0)
	v_xor_b32_e32 v20, -1, v20
	v_and_b32_e32 v20, 1, v20
.LBB2285_67:
	s_or_b64 exec, exec, s[2:3]
	v_or_b32_e32 v24, 0xa00, v0
	v_cmp_gt_u32_e32 vcc, s33, v24
	v_mov_b32_e32 v22, 0
	v_mov_b32_e32 v23, 0
	s_and_saveexec_b64 s[2:3], vcc
	s_cbranch_execz .LBB2285_69
; %bb.68:
	v_lshlrev_b32_e32 v23, 1, v24
	global_load_ubyte v23, v23, s[0:1]
	s_waitcnt vmcnt(0)
	v_xor_b32_e32 v23, -1, v23
	v_and_b32_e32 v23, 1, v23
.LBB2285_69:
	s_or_b64 exec, exec, s[2:3]
	v_or_b32_e32 v24, 0xb00, v0
	v_cmp_gt_u32_e32 vcc, s33, v24
	s_and_saveexec_b64 s[2:3], vcc
	s_cbranch_execz .LBB2285_71
; %bb.70:
	v_lshlrev_b32_e32 v22, 1, v24
	global_load_ubyte v22, v22, s[0:1]
	s_waitcnt vmcnt(0)
	v_xor_b32_e32 v22, -1, v22
	v_and_b32_e32 v22, 1, v22
.LBB2285_71:
	;; [unrolled: 26-line block ×6, first 2 shown]
	s_or_b64 exec, exec, s[2:3]
	ds_write_b8 v0, v13
	ds_write_b8 v0, v12 offset:256
	ds_write_b8 v0, v15 offset:512
	;; [unrolled: 1-line block ×19, first 2 shown]
	s_waitcnt lgkmcnt(0)
	s_barrier
.LBB2285_88:
	s_waitcnt lgkmcnt(0)
	ds_read2_b32 v[16:17], v26 offset1:1
	ds_read2_b32 v[14:15], v26 offset0:2 offset1:3
	ds_read_b32 v28, v26 offset:16
	s_cmp_lg_u32 s6, 0
	v_lshrrev_b32_e32 v47, 6, v0
	s_waitcnt lgkmcnt(2)
	v_lshrrev_b32_e32 v33, 24, v16
	v_bfe_u32 v45, v16, 16, 8
	v_add_u32_sdwa v12, v16, v16 dst_sel:DWORD dst_unused:UNUSED_PAD src0_sel:BYTE_1 src1_sel:BYTE_0
	v_and_b32_e32 v42, 0xff, v17
	v_bfe_u32 v43, v17, 8, 8
	v_add3_u32 v12, v12, v45, v33
	v_lshrrev_b32_e32 v32, 24, v17
	v_bfe_u32 v44, v17, 16, 8
	v_add3_u32 v12, v12, v42, v43
	s_waitcnt lgkmcnt(1)
	v_and_b32_e32 v39, 0xff, v14
	v_bfe_u32 v40, v14, 8, 8
	v_add3_u32 v12, v12, v44, v32
	v_lshrrev_b32_e32 v31, 24, v14
	v_bfe_u32 v41, v14, 16, 8
	v_add3_u32 v12, v12, v39, v40
	v_and_b32_e32 v36, 0xff, v15
	v_bfe_u32 v37, v15, 8, 8
	v_add3_u32 v12, v12, v41, v31
	v_lshrrev_b32_e32 v30, 24, v15
	v_bfe_u32 v38, v15, 16, 8
	v_add3_u32 v12, v12, v36, v37
	s_waitcnt lgkmcnt(0)
	v_and_b32_e32 v34, 0xff, v28
	v_bfe_u32 v35, v28, 8, 8
	v_add3_u32 v12, v12, v38, v30
	v_lshrrev_b32_e32 v27, 24, v28
	v_bfe_u32 v29, v28, 16, 8
	v_add3_u32 v12, v12, v34, v35
	v_add3_u32 v48, v12, v29, v27
	v_mbcnt_lo_u32_b32 v12, -1, 0
	v_mbcnt_hi_u32_b32 v46, -1, v12
	v_and_b32_e32 v12, 15, v46
	v_cmp_eq_u32_e64 s[14:15], 0, v12
	v_cmp_lt_u32_e64 s[12:13], 1, v12
	v_cmp_lt_u32_e64 s[10:11], 3, v12
	v_cmp_lt_u32_e64 s[8:9], 7, v12
	v_and_b32_e32 v12, 16, v46
	v_cmp_eq_u32_e64 s[18:19], 0, v12
	v_or_b32_e32 v12, 63, v0
	v_cmp_lt_u32_e64 s[0:1], 31, v46
	v_cmp_eq_u32_e64 s[2:3], v12, v0
	s_barrier
	s_cbranch_scc0 .LBB2285_119
; %bb.89:
	v_mov_b32_dpp v12, v48 row_shr:1 row_mask:0xf bank_mask:0xf
	v_cndmask_b32_e64 v12, v12, 0, s[14:15]
	v_add_u32_e32 v12, v12, v48
	s_nop 1
	v_mov_b32_dpp v13, v12 row_shr:2 row_mask:0xf bank_mask:0xf
	v_cndmask_b32_e64 v13, 0, v13, s[12:13]
	v_add_u32_e32 v12, v12, v13
	s_nop 1
	;; [unrolled: 4-line block ×4, first 2 shown]
	v_mov_b32_dpp v13, v12 row_bcast:15 row_mask:0xf bank_mask:0xf
	v_cndmask_b32_e64 v13, v13, 0, s[18:19]
	v_add_u32_e32 v12, v12, v13
	s_nop 1
	v_mov_b32_dpp v13, v12 row_bcast:31 row_mask:0xf bank_mask:0xf
	v_cndmask_b32_e64 v13, 0, v13, s[0:1]
	v_add_u32_e32 v12, v12, v13
	s_and_saveexec_b64 s[16:17], s[2:3]
	s_cbranch_execz .LBB2285_91
; %bb.90:
	v_lshlrev_b32_e32 v13, 2, v47
	ds_write_b32 v13, v12
.LBB2285_91:
	s_or_b64 exec, exec, s[16:17]
	v_cmp_gt_u32_e32 vcc, 4, v0
	s_waitcnt lgkmcnt(0)
	s_barrier
	s_and_saveexec_b64 s[16:17], vcc
	s_cbranch_execz .LBB2285_93
; %bb.92:
	v_lshlrev_b32_e32 v13, 2, v0
	ds_read_b32 v18, v13
	v_and_b32_e32 v19, 3, v46
	v_cmp_ne_u32_e32 vcc, 0, v19
	s_waitcnt lgkmcnt(0)
	v_mov_b32_dpp v20, v18 row_shr:1 row_mask:0xf bank_mask:0xf
	v_cndmask_b32_e32 v20, 0, v20, vcc
	v_add_u32_e32 v18, v20, v18
	v_cmp_lt_u32_e32 vcc, 1, v19
	s_nop 0
	v_mov_b32_dpp v20, v18 row_shr:2 row_mask:0xf bank_mask:0xf
	v_cndmask_b32_e32 v19, 0, v20, vcc
	v_add_u32_e32 v18, v18, v19
	ds_write_b32 v13, v18
.LBB2285_93:
	s_or_b64 exec, exec, s[16:17]
	v_cmp_gt_u32_e32 vcc, 64, v0
	v_cmp_lt_u32_e64 s[16:17], 63, v0
	s_waitcnt lgkmcnt(0)
	s_barrier
	s_waitcnt lgkmcnt(0)
                                        ; implicit-def: $vgpr49
	s_and_saveexec_b64 s[36:37], s[16:17]
	s_cbranch_execz .LBB2285_95
; %bb.94:
	v_lshl_add_u32 v13, v47, 2, -4
	ds_read_b32 v49, v13
	s_waitcnt lgkmcnt(0)
	v_add_u32_e32 v12, v49, v12
.LBB2285_95:
	s_or_b64 exec, exec, s[36:37]
	v_add_u32_e32 v13, -1, v46
	v_and_b32_e32 v18, 64, v46
	v_cmp_lt_i32_e64 s[16:17], v13, v18
	v_cndmask_b32_e64 v13, v13, v46, s[16:17]
	v_lshlrev_b32_e32 v13, 2, v13
	ds_bpermute_b32 v50, v13, v12
	v_cmp_eq_u32_e64 s[16:17], 0, v46
	s_and_saveexec_b64 s[36:37], vcc
	s_cbranch_execz .LBB2285_118
; %bb.96:
	v_mov_b32_e32 v25, 0
	ds_read_b32 v12, v25 offset:12
	s_and_saveexec_b64 s[38:39], s[16:17]
	s_cbranch_execz .LBB2285_98
; %bb.97:
	s_add_i32 s40, s6, 64
	s_mov_b32 s41, 0
	s_lshl_b64 s[40:41], s[40:41], 3
	s_add_u32 s40, s34, s40
	v_mov_b32_e32 v13, 1
	s_addc_u32 s41, s35, s41
	s_waitcnt lgkmcnt(0)
	global_store_dwordx2 v25, v[12:13], s[40:41]
.LBB2285_98:
	s_or_b64 exec, exec, s[38:39]
	v_xad_u32 v18, v46, -1, s6
	v_add_u32_e32 v24, 64, v18
	v_lshlrev_b64 v[20:21], 3, v[24:25]
	v_mov_b32_e32 v13, s35
	v_add_co_u32_e32 v20, vcc, s34, v20
	v_addc_co_u32_e32 v21, vcc, v13, v21, vcc
	global_load_dwordx2 v[22:23], v[20:21], off glc
	s_waitcnt vmcnt(0)
	v_cmp_eq_u16_sdwa s[40:41], v23, v25 src0_sel:BYTE_0 src1_sel:DWORD
	s_and_saveexec_b64 s[38:39], s[40:41]
	s_cbranch_execz .LBB2285_104
; %bb.99:
	s_mov_b32 s7, 1
	s_mov_b64 s[40:41], 0
	v_mov_b32_e32 v13, 0
.LBB2285_100:                           ; =>This Loop Header: Depth=1
                                        ;     Child Loop BB2285_101 Depth 2
	s_max_u32 s42, s7, 1
.LBB2285_101:                           ;   Parent Loop BB2285_100 Depth=1
                                        ; =>  This Inner Loop Header: Depth=2
	s_add_i32 s42, s42, -1
	s_cmp_eq_u32 s42, 0
	s_sleep 1
	s_cbranch_scc0 .LBB2285_101
; %bb.102:                              ;   in Loop: Header=BB2285_100 Depth=1
	global_load_dwordx2 v[22:23], v[20:21], off glc
	s_cmp_lt_u32 s7, 32
	s_cselect_b64 s[42:43], -1, 0
	s_cmp_lg_u64 s[42:43], 0
	s_addc_u32 s7, s7, 0
	s_waitcnt vmcnt(0)
	v_cmp_ne_u16_sdwa s[42:43], v23, v13 src0_sel:BYTE_0 src1_sel:DWORD
	s_or_b64 s[40:41], s[42:43], s[40:41]
	s_andn2_b64 exec, exec, s[40:41]
	s_cbranch_execnz .LBB2285_100
; %bb.103:
	s_or_b64 exec, exec, s[40:41]
.LBB2285_104:
	s_or_b64 exec, exec, s[38:39]
	v_and_b32_e32 v52, 63, v46
	v_mov_b32_e32 v51, 2
	v_cmp_ne_u32_e32 vcc, 63, v52
	v_cmp_eq_u16_sdwa s[38:39], v23, v51 src0_sel:BYTE_0 src1_sel:DWORD
	v_lshlrev_b64 v[20:21], v46, -1
	v_addc_co_u32_e32 v24, vcc, 0, v46, vcc
	v_and_b32_e32 v13, s39, v21
	v_lshlrev_b32_e32 v53, 2, v24
	v_or_b32_e32 v13, 0x80000000, v13
	ds_bpermute_b32 v24, v53, v22
	v_and_b32_e32 v19, s38, v20
	v_ffbl_b32_e32 v13, v13
	v_add_u32_e32 v13, 32, v13
	v_ffbl_b32_e32 v19, v19
	v_min_u32_e32 v13, v19, v13
	v_cmp_lt_u32_e32 vcc, v52, v13
	s_waitcnt lgkmcnt(0)
	v_cndmask_b32_e32 v19, 0, v24, vcc
	v_cmp_gt_u32_e32 vcc, 62, v52
	v_add_u32_e32 v19, v19, v22
	v_cndmask_b32_e64 v22, 0, 1, vcc
	v_lshlrev_b32_e32 v22, 1, v22
	v_add_lshl_u32 v54, v22, v46, 2
	ds_bpermute_b32 v22, v54, v19
	v_add_u32_e32 v55, 2, v52
	v_cmp_le_u32_e32 vcc, v55, v13
	v_add_u32_e32 v57, 4, v52
	v_add_u32_e32 v59, 8, v52
	s_waitcnt lgkmcnt(0)
	v_cndmask_b32_e32 v22, 0, v22, vcc
	v_cmp_gt_u32_e32 vcc, 60, v52
	v_add_u32_e32 v19, v19, v22
	v_cndmask_b32_e64 v22, 0, 1, vcc
	v_lshlrev_b32_e32 v22, 2, v22
	v_add_lshl_u32 v56, v22, v46, 2
	ds_bpermute_b32 v22, v56, v19
	v_cmp_le_u32_e32 vcc, v57, v13
	v_add_u32_e32 v61, 16, v52
	v_add_u32_e32 v63, 32, v52
	s_waitcnt lgkmcnt(0)
	v_cndmask_b32_e32 v22, 0, v22, vcc
	v_cmp_gt_u32_e32 vcc, 56, v52
	v_add_u32_e32 v19, v19, v22
	v_cndmask_b32_e64 v22, 0, 1, vcc
	v_lshlrev_b32_e32 v22, 3, v22
	v_add_lshl_u32 v58, v22, v46, 2
	ds_bpermute_b32 v22, v58, v19
	v_cmp_le_u32_e32 vcc, v59, v13
	s_waitcnt lgkmcnt(0)
	v_cndmask_b32_e32 v22, 0, v22, vcc
	v_cmp_gt_u32_e32 vcc, 48, v52
	v_add_u32_e32 v19, v19, v22
	v_cndmask_b32_e64 v22, 0, 1, vcc
	v_lshlrev_b32_e32 v22, 4, v22
	v_add_lshl_u32 v60, v22, v46, 2
	ds_bpermute_b32 v22, v60, v19
	v_cmp_le_u32_e32 vcc, v61, v13
	;; [unrolled: 9-line block ×3, first 2 shown]
	s_waitcnt lgkmcnt(0)
	v_cndmask_b32_e32 v13, 0, v22, vcc
	v_add_u32_e32 v22, v19, v13
	v_mov_b32_e32 v19, 0
	s_branch .LBB2285_106
.LBB2285_105:                           ;   in Loop: Header=BB2285_106 Depth=1
	s_or_b64 exec, exec, s[38:39]
	v_cmp_eq_u16_sdwa s[38:39], v23, v51 src0_sel:BYTE_0 src1_sel:DWORD
	v_and_b32_e32 v24, s39, v21
	v_or_b32_e32 v24, 0x80000000, v24
	ds_bpermute_b32 v64, v53, v22
	v_and_b32_e32 v25, s38, v20
	v_ffbl_b32_e32 v24, v24
	v_add_u32_e32 v24, 32, v24
	v_ffbl_b32_e32 v25, v25
	v_min_u32_e32 v24, v25, v24
	v_cmp_lt_u32_e32 vcc, v52, v24
	s_waitcnt lgkmcnt(0)
	v_cndmask_b32_e32 v25, 0, v64, vcc
	v_add_u32_e32 v22, v25, v22
	ds_bpermute_b32 v25, v54, v22
	v_cmp_le_u32_e32 vcc, v55, v24
	v_subrev_u32_e32 v18, 64, v18
	s_waitcnt lgkmcnt(0)
	v_cndmask_b32_e32 v25, 0, v25, vcc
	v_add_u32_e32 v22, v22, v25
	ds_bpermute_b32 v25, v56, v22
	v_cmp_le_u32_e32 vcc, v57, v24
	s_waitcnt lgkmcnt(0)
	v_cndmask_b32_e32 v25, 0, v25, vcc
	v_add_u32_e32 v22, v22, v25
	ds_bpermute_b32 v25, v58, v22
	v_cmp_le_u32_e32 vcc, v59, v24
	;; [unrolled: 5-line block ×4, first 2 shown]
	s_waitcnt lgkmcnt(0)
	v_cndmask_b32_e32 v24, 0, v25, vcc
	v_add3_u32 v22, v24, v13, v22
.LBB2285_106:                           ; =>This Loop Header: Depth=1
                                        ;     Child Loop BB2285_109 Depth 2
                                        ;       Child Loop BB2285_110 Depth 3
	v_cmp_ne_u16_sdwa s[38:39], v23, v51 src0_sel:BYTE_0 src1_sel:DWORD
	v_cndmask_b32_e64 v13, 0, 1, s[38:39]
	;;#ASMSTART
	;;#ASMEND
	v_cmp_ne_u32_e32 vcc, 0, v13
	s_cmp_lg_u64 vcc, exec
	v_mov_b32_e32 v13, v22
	s_cbranch_scc1 .LBB2285_113
; %bb.107:                              ;   in Loop: Header=BB2285_106 Depth=1
	v_lshlrev_b64 v[22:23], 3, v[18:19]
	v_mov_b32_e32 v25, s35
	v_add_co_u32_e32 v24, vcc, s34, v22
	v_addc_co_u32_e32 v25, vcc, v25, v23, vcc
	global_load_dwordx2 v[22:23], v[24:25], off glc
	s_waitcnt vmcnt(0)
	v_cmp_eq_u16_sdwa s[40:41], v23, v19 src0_sel:BYTE_0 src1_sel:DWORD
	s_and_saveexec_b64 s[38:39], s[40:41]
	s_cbranch_execz .LBB2285_105
; %bb.108:                              ;   in Loop: Header=BB2285_106 Depth=1
	s_mov_b32 s7, 1
	s_mov_b64 s[40:41], 0
.LBB2285_109:                           ;   Parent Loop BB2285_106 Depth=1
                                        ; =>  This Loop Header: Depth=2
                                        ;       Child Loop BB2285_110 Depth 3
	s_max_u32 s42, s7, 1
.LBB2285_110:                           ;   Parent Loop BB2285_106 Depth=1
                                        ;     Parent Loop BB2285_109 Depth=2
                                        ; =>    This Inner Loop Header: Depth=3
	s_add_i32 s42, s42, -1
	s_cmp_eq_u32 s42, 0
	s_sleep 1
	s_cbranch_scc0 .LBB2285_110
; %bb.111:                              ;   in Loop: Header=BB2285_109 Depth=2
	global_load_dwordx2 v[22:23], v[24:25], off glc
	s_cmp_lt_u32 s7, 32
	s_cselect_b64 s[42:43], -1, 0
	s_cmp_lg_u64 s[42:43], 0
	s_addc_u32 s7, s7, 0
	s_waitcnt vmcnt(0)
	v_cmp_ne_u16_sdwa s[42:43], v23, v19 src0_sel:BYTE_0 src1_sel:DWORD
	s_or_b64 s[40:41], s[42:43], s[40:41]
	s_andn2_b64 exec, exec, s[40:41]
	s_cbranch_execnz .LBB2285_109
; %bb.112:                              ;   in Loop: Header=BB2285_106 Depth=1
	s_or_b64 exec, exec, s[40:41]
	s_branch .LBB2285_105
.LBB2285_113:                           ;   in Loop: Header=BB2285_106 Depth=1
                                        ; implicit-def: $vgpr22
                                        ; implicit-def: $vgpr23
	s_cbranch_execz .LBB2285_106
; %bb.114:
	s_and_saveexec_b64 s[38:39], s[16:17]
	s_cbranch_execz .LBB2285_116
; %bb.115:
	s_add_i32 s6, s6, 64
	s_mov_b32 s7, 0
	s_lshl_b64 s[6:7], s[6:7], 3
	s_add_u32 s6, s34, s6
	v_add_u32_e32 v18, v13, v12
	v_mov_b32_e32 v19, 2
	s_addc_u32 s7, s35, s7
	v_mov_b32_e32 v20, 0
	global_store_dwordx2 v20, v[18:19], s[6:7]
	ds_write_b64 v20, v[12:13] offset:10240
.LBB2285_116:
	s_or_b64 exec, exec, s[38:39]
	v_cmp_eq_u32_e32 vcc, 0, v0
	s_and_b64 exec, exec, vcc
	s_cbranch_execz .LBB2285_118
; %bb.117:
	v_mov_b32_e32 v12, 0
	ds_write_b32 v12, v13 offset:12
.LBB2285_118:
	s_or_b64 exec, exec, s[36:37]
	v_mov_b32_e32 v12, 0
	s_waitcnt lgkmcnt(0)
	s_barrier
	ds_read_b32 v19, v12 offset:12
	s_waitcnt lgkmcnt(0)
	s_barrier
	ds_read_b64 v[12:13], v12 offset:10240
	v_cndmask_b32_e64 v18, v50, v49, s[16:17]
	v_cmp_ne_u32_e32 vcc, 0, v0
	v_cndmask_b32_e32 v18, 0, v18, vcc
	v_add_u32_e32 v22, v19, v18
	s_branch .LBB2285_129
.LBB2285_119:
                                        ; implicit-def: $vgpr13
                                        ; implicit-def: $vgpr22
	s_cbranch_execz .LBB2285_129
; %bb.120:
	s_waitcnt lgkmcnt(0)
	v_mov_b32_dpp v12, v48 row_shr:1 row_mask:0xf bank_mask:0xf
	v_cndmask_b32_e64 v12, v12, 0, s[14:15]
	v_add_u32_e32 v12, v12, v48
	s_nop 1
	v_mov_b32_dpp v13, v12 row_shr:2 row_mask:0xf bank_mask:0xf
	v_cndmask_b32_e64 v13, 0, v13, s[12:13]
	v_add_u32_e32 v12, v12, v13
	s_nop 1
	;; [unrolled: 4-line block ×4, first 2 shown]
	v_mov_b32_dpp v13, v12 row_bcast:15 row_mask:0xf bank_mask:0xf
	v_cndmask_b32_e64 v13, v13, 0, s[18:19]
	v_add_u32_e32 v12, v12, v13
	s_nop 1
	v_mov_b32_dpp v13, v12 row_bcast:31 row_mask:0xf bank_mask:0xf
	v_cndmask_b32_e64 v13, 0, v13, s[0:1]
	v_add_u32_e32 v12, v12, v13
	s_and_saveexec_b64 s[0:1], s[2:3]
	s_cbranch_execz .LBB2285_122
; %bb.121:
	v_lshlrev_b32_e32 v13, 2, v47
	ds_write_b32 v13, v12
.LBB2285_122:
	s_or_b64 exec, exec, s[0:1]
	v_cmp_gt_u32_e32 vcc, 4, v0
	s_waitcnt lgkmcnt(0)
	s_barrier
	s_and_saveexec_b64 s[0:1], vcc
	s_cbranch_execz .LBB2285_124
; %bb.123:
	v_lshlrev_b32_e32 v13, 2, v0
	ds_read_b32 v18, v13
	v_and_b32_e32 v19, 3, v46
	v_cmp_ne_u32_e32 vcc, 0, v19
	s_waitcnt lgkmcnt(0)
	v_mov_b32_dpp v20, v18 row_shr:1 row_mask:0xf bank_mask:0xf
	v_cndmask_b32_e32 v20, 0, v20, vcc
	v_add_u32_e32 v18, v20, v18
	v_cmp_lt_u32_e32 vcc, 1, v19
	s_nop 0
	v_mov_b32_dpp v20, v18 row_shr:2 row_mask:0xf bank_mask:0xf
	v_cndmask_b32_e32 v19, 0, v20, vcc
	v_add_u32_e32 v18, v18, v19
	ds_write_b32 v13, v18
.LBB2285_124:
	s_or_b64 exec, exec, s[0:1]
	v_cmp_lt_u32_e32 vcc, 63, v0
	v_mov_b32_e32 v13, 0
	v_mov_b32_e32 v18, 0
	s_waitcnt lgkmcnt(0)
	s_barrier
	s_and_saveexec_b64 s[0:1], vcc
	s_cbranch_execz .LBB2285_126
; %bb.125:
	v_lshl_add_u32 v18, v47, 2, -4
	ds_read_b32 v18, v18
.LBB2285_126:
	s_or_b64 exec, exec, s[0:1]
	v_add_u32_e32 v19, -1, v46
	v_and_b32_e32 v20, 64, v46
	v_cmp_lt_i32_e32 vcc, v19, v20
	v_cndmask_b32_e32 v19, v19, v46, vcc
	s_waitcnt lgkmcnt(0)
	v_add_u32_e32 v12, v18, v12
	v_lshlrev_b32_e32 v19, 2, v19
	ds_bpermute_b32 v19, v19, v12
	ds_read_b32 v12, v13 offset:12
	v_cmp_eq_u32_e32 vcc, 0, v0
	s_and_saveexec_b64 s[0:1], vcc
	s_cbranch_execz .LBB2285_128
; %bb.127:
	v_mov_b32_e32 v20, 0
	v_mov_b32_e32 v13, 2
	s_waitcnt lgkmcnt(0)
	global_store_dwordx2 v20, v[12:13], s[34:35] offset:512
.LBB2285_128:
	s_or_b64 exec, exec, s[0:1]
	v_cmp_eq_u32_e64 s[0:1], 0, v46
	s_waitcnt lgkmcnt(1)
	v_cndmask_b32_e64 v18, v19, v18, s[0:1]
	v_mov_b32_e32 v13, 0
	v_cndmask_b32_e64 v22, v18, 0, vcc
	s_waitcnt lgkmcnt(0)
	s_barrier
.LBB2285_129:
	v_add_u32_sdwa v24, v22, v16 dst_sel:DWORD dst_unused:UNUSED_PAD src0_sel:DWORD src1_sel:BYTE_0
	s_waitcnt lgkmcnt(0)
	v_add_u32_e32 v26, v12, v26
	v_sub_u32_e32 v22, v22, v13
	v_and_b32_e32 v51, 1, v16
	v_sub_u32_e32 v50, v26, v22
	v_cmp_eq_u32_e32 vcc, 1, v51
	v_cndmask_b32_e32 v22, v50, v22, vcc
	v_lshlrev_b32_e32 v22, 1, v22
	v_lshrrev_b32_e32 v23, 8, v16
	ds_write_b16 v22, v6
	v_sub_u32_e32 v22, v24, v13
	v_add_u32_sdwa v25, v24, v16 dst_sel:DWORD dst_unused:UNUSED_PAD src0_sel:DWORD src1_sel:BYTE_1
	v_sub_u32_e32 v24, v26, v22
	v_and_b32_e32 v23, 1, v23
	v_add_u32_e32 v24, 1, v24
	v_cmp_eq_u32_e32 vcc, 1, v23
	v_cndmask_b32_e32 v22, v24, v22, vcc
	v_lshlrev_b32_e32 v22, 1, v22
	ds_write_b16_d16_hi v22, v6
	v_sub_u32_e32 v6, v25, v13
	v_mov_b32_e32 v23, 1
	v_sub_u32_e32 v22, v26, v6
	v_and_b32_sdwa v16, v23, v16 dst_sel:DWORD dst_unused:UNUSED_PAD src0_sel:DWORD src1_sel:WORD_1
	v_add_u32_e32 v22, 2, v22
	v_cmp_eq_u32_e32 vcc, 1, v16
	v_cndmask_b32_e32 v6, v22, v6, vcc
	v_add_u32_e32 v45, v25, v45
	v_lshlrev_b32_e32 v6, 1, v6
	ds_write_b16 v6, v7
	v_sub_u32_e32 v6, v45, v13
	v_sub_u32_e32 v16, v26, v6
	v_and_b32_e32 v22, 1, v33
	v_add_u32_e32 v16, 3, v16
	v_cmp_eq_u32_e32 vcc, 1, v22
	v_cndmask_b32_e32 v6, v16, v6, vcc
	v_add_u32_e32 v46, v45, v33
	v_lshlrev_b32_e32 v6, 1, v6
	ds_write_b16_d16_hi v6, v7
	v_sub_u32_e32 v6, v46, v13
	v_sub_u32_e32 v7, v26, v6
	v_and_b32_e32 v16, 1, v17
	v_add_u32_e32 v7, 4, v7
	v_cmp_eq_u32_e32 vcc, 1, v16
	v_cndmask_b32_e32 v6, v7, v6, vcc
	v_add_u32_e32 v42, v46, v42
	v_lshlrev_b32_e32 v6, 1, v6
	v_lshrrev_b32_e32 v21, 8, v17
	ds_write_b16 v6, v8
	v_sub_u32_e32 v6, v42, v13
	v_sub_u32_e32 v7, v26, v6
	v_and_b32_e32 v16, 1, v21
	v_add_u32_e32 v7, 5, v7
	v_cmp_eq_u32_e32 vcc, 1, v16
	v_cndmask_b32_e32 v6, v7, v6, vcc
	v_add_u32_e32 v43, v42, v43
	v_lshlrev_b32_e32 v6, 1, v6
	ds_write_b16_d16_hi v6, v8
	v_sub_u32_e32 v6, v43, v13
	v_sub_u32_e32 v7, v26, v6
	v_and_b32_sdwa v8, v23, v17 dst_sel:DWORD dst_unused:UNUSED_PAD src0_sel:DWORD src1_sel:WORD_1
	v_add_u32_e32 v7, 6, v7
	v_cmp_eq_u32_e32 vcc, 1, v8
	v_cndmask_b32_e32 v6, v7, v6, vcc
	v_add_u32_e32 v44, v43, v44
	v_lshlrev_b32_e32 v6, 1, v6
	ds_write_b16 v6, v9
	v_sub_u32_e32 v6, v44, v13
	v_sub_u32_e32 v7, v26, v6
	v_and_b32_e32 v8, 1, v32
	v_add_u32_e32 v7, 7, v7
	v_cmp_eq_u32_e32 vcc, 1, v8
	v_cndmask_b32_e32 v6, v7, v6, vcc
	v_add_u32_e32 v47, v44, v32
	v_lshlrev_b32_e32 v6, 1, v6
	ds_write_b16_d16_hi v6, v9
	v_sub_u32_e32 v6, v47, v13
	v_sub_u32_e32 v7, v26, v6
	v_and_b32_e32 v8, 1, v14
	v_add_u32_e32 v7, 8, v7
	v_cmp_eq_u32_e32 vcc, 1, v8
	v_cndmask_b32_e32 v6, v7, v6, vcc
	v_add_u32_e32 v39, v47, v39
	v_lshlrev_b32_e32 v6, 1, v6
	v_lshrrev_b32_e32 v20, 8, v14
	ds_write_b16 v6, v2
	v_sub_u32_e32 v6, v39, v13
	v_sub_u32_e32 v7, v26, v6
	v_and_b32_e32 v8, 1, v20
	v_add_u32_e32 v7, 9, v7
	v_cmp_eq_u32_e32 vcc, 1, v8
	v_cndmask_b32_e32 v6, v7, v6, vcc
	v_add_u32_e32 v40, v39, v40
	v_lshlrev_b32_e32 v6, 1, v6
	ds_write_b16_d16_hi v6, v2
	v_sub_u32_e32 v2, v40, v13
	;; [unrolled: 37-line block ×4, first 2 shown]
	v_sub_u32_e32 v3, v26, v2
	v_and_b32_sdwa v4, v23, v28 dst_sel:DWORD dst_unused:UNUSED_PAD src0_sel:DWORD src1_sel:WORD_1
	v_add_u32_e32 v3, 18, v3
	v_cmp_eq_u32_e32 vcc, 1, v4
	v_cndmask_b32_e32 v2, v3, v2, vcc
	v_lshlrev_b32_e32 v2, 1, v2
	ds_write_b16 v2, v11
	v_sub_u32_e32 v2, v29, v13
	v_add_u32_e32 v2, v35, v2
	v_sub_u32_e32 v3, v26, v2
	v_and_b32_e32 v4, 1, v27
	v_add_u32_e32 v3, 19, v3
	v_cmp_eq_u32_e32 vcc, 1, v4
	v_cndmask_b32_e32 v2, v3, v2, vcc
	v_lshlrev_b32_e32 v2, 1, v2
	ds_write_b16_d16_hi v2, v11
	v_mov_b32_e32 v2, s31
	v_add_co_u32_e32 v48, vcc, s30, v13
	s_waitcnt lgkmcnt(0)
	s_barrier
	ds_read_u16 v47, v1
	ds_read_u16 v46, v1 offset:512
	ds_read_u16 v44, v1 offset:1024
	;; [unrolled: 1-line block ×15, first 2 shown]
	v_addc_co_u32_e32 v49, vcc, 0, v2, vcc
	s_load_dwordx4 s[0:3], s[4:5], 0x30
	v_add_co_u32_e32 v2, vcc, v48, v12
	v_addc_co_u32_e32 v3, vcc, 0, v49, vcc
	v_mov_b32_e32 v9, s27
	v_sub_co_u32_e32 v8, vcc, s26, v2
	ds_read_u16 v16, v1 offset:8192
	ds_read_u16 v11, v1 offset:8704
	;; [unrolled: 1-line block ×4, first 2 shown]
	v_subb_co_u32_e32 v9, vcc, v9, v3, vcc
	v_lshlrev_b64 v[8:9], 1, v[8:9]
	s_waitcnt lgkmcnt(0)
	v_mov_b32_e32 v13, s3
	v_add_co_u32_e32 v8, vcc, s2, v8
	v_addc_co_u32_e32 v9, vcc, v13, v9, vcc
	v_mov_b32_e32 v13, s29
	v_add_co_u32_e32 v8, vcc, s28, v8
	v_lshlrev_b64 v[48:49], 1, v[48:49]
	v_addc_co_u32_e32 v9, vcc, v9, v13, vcc
	v_mov_b32_e32 v14, s1
	v_add_co_u32_e64 v13, s[0:1], s0, v48
	v_or_b32_e32 v45, 0x100, v0
	v_or_b32_e32 v43, 0x200, v0
	;; [unrolled: 1-line block ×19, first 2 shown]
	s_andn2_b64 vcc, exec, s[24:25]
	v_addc_co_u32_e64 v14, s[0:1], v14, v49, s[0:1]
	s_cbranch_vccnz .LBB2285_131
; %bb.130:
	v_cmp_lt_u32_e32 vcc, v0, v12
	v_cndmask_b32_e32 v48, v8, v13, vcc
	v_cndmask_b32_e32 v49, v9, v14, vcc
	v_add_co_u32_e32 v48, vcc, v48, v1
	v_addc_co_u32_e32 v49, vcc, 0, v49, vcc
	v_cmp_lt_u32_e32 vcc, v45, v12
	global_store_short v[48:49], v47, off
	v_cndmask_b32_e32 v48, v8, v13, vcc
	v_cndmask_b32_e32 v49, v9, v14, vcc
	v_add_co_u32_e32 v48, vcc, v48, v1
	v_addc_co_u32_e32 v49, vcc, 0, v49, vcc
	v_cmp_lt_u32_e32 vcc, v43, v12
	global_store_short v[48:49], v46, off offset:512
	v_cndmask_b32_e32 v48, v8, v13, vcc
	v_cndmask_b32_e32 v49, v9, v14, vcc
	v_add_co_u32_e32 v48, vcc, v48, v1
	v_addc_co_u32_e32 v49, vcc, 0, v49, vcc
	v_cmp_lt_u32_e32 vcc, v41, v12
	global_store_short v[48:49], v44, off offset:1024
	;; [unrolled: 6-line block ×7, first 2 shown]
	v_cndmask_b32_e32 v48, v8, v13, vcc
	v_lshlrev_b32_e32 v50, 1, v31
	v_cndmask_b32_e32 v49, v9, v14, vcc
	v_add_co_u32_e32 v48, vcc, v48, v50
	v_addc_co_u32_e32 v49, vcc, 0, v49, vcc
	v_cmp_lt_u32_e32 vcc, v29, v12
	global_store_short v[48:49], v32, off
	v_cndmask_b32_e32 v48, v8, v13, vcc
	v_lshlrev_b32_e32 v50, 1, v29
	v_cndmask_b32_e32 v49, v9, v14, vcc
	v_add_co_u32_e32 v48, vcc, v48, v50
	v_addc_co_u32_e32 v49, vcc, 0, v49, vcc
	v_cmp_lt_u32_e32 vcc, v27, v12
	global_store_short v[48:49], v30, off
	;; [unrolled: 7-line block ×10, first 2 shown]
	v_cndmask_b32_e32 v48, v8, v13, vcc
	v_lshlrev_b32_e32 v50, 1, v7
	v_cndmask_b32_e32 v49, v9, v14, vcc
	v_add_co_u32_e32 v48, vcc, v48, v50
	v_addc_co_u32_e32 v49, vcc, 0, v49, vcc
	s_mov_b64 s[0:1], -1
	global_store_short v[48:49], v6, off
	s_cbranch_execz .LBB2285_132
	s_branch .LBB2285_153
.LBB2285_131:
	s_mov_b64 s[0:1], 0
.LBB2285_132:
	v_cmp_gt_u32_e32 vcc, s33, v0
	s_and_saveexec_b64 s[0:1], vcc
	s_cbranch_execnz .LBB2285_158
; %bb.133:
	s_or_b64 exec, exec, s[0:1]
	v_cmp_gt_u32_e32 vcc, s33, v45
	s_and_saveexec_b64 s[0:1], vcc
	s_cbranch_execnz .LBB2285_159
.LBB2285_134:
	s_or_b64 exec, exec, s[0:1]
	v_cmp_gt_u32_e32 vcc, s33, v43
	s_and_saveexec_b64 s[0:1], vcc
	s_cbranch_execnz .LBB2285_160
.LBB2285_135:
	s_or_b64 exec, exec, s[0:1]
	v_cmp_gt_u32_e32 vcc, s33, v41
	s_and_saveexec_b64 s[0:1], vcc
	s_cbranch_execnz .LBB2285_161
.LBB2285_136:
	s_or_b64 exec, exec, s[0:1]
	v_cmp_gt_u32_e32 vcc, s33, v39
	s_and_saveexec_b64 s[0:1], vcc
	s_cbranch_execnz .LBB2285_162
.LBB2285_137:
	s_or_b64 exec, exec, s[0:1]
	v_cmp_gt_u32_e32 vcc, s33, v37
	s_and_saveexec_b64 s[0:1], vcc
	s_cbranch_execnz .LBB2285_163
.LBB2285_138:
	s_or_b64 exec, exec, s[0:1]
	v_cmp_gt_u32_e32 vcc, s33, v35
	s_and_saveexec_b64 s[0:1], vcc
	s_cbranch_execnz .LBB2285_164
.LBB2285_139:
	s_or_b64 exec, exec, s[0:1]
	v_cmp_gt_u32_e32 vcc, s33, v33
	s_and_saveexec_b64 s[0:1], vcc
	s_cbranch_execnz .LBB2285_165
.LBB2285_140:
	s_or_b64 exec, exec, s[0:1]
	v_cmp_gt_u32_e32 vcc, s33, v31
	s_and_saveexec_b64 s[0:1], vcc
	s_cbranch_execnz .LBB2285_166
.LBB2285_141:
	s_or_b64 exec, exec, s[0:1]
	v_cmp_gt_u32_e32 vcc, s33, v29
	s_and_saveexec_b64 s[0:1], vcc
	s_cbranch_execnz .LBB2285_167
.LBB2285_142:
	s_or_b64 exec, exec, s[0:1]
	v_cmp_gt_u32_e32 vcc, s33, v27
	s_and_saveexec_b64 s[0:1], vcc
	s_cbranch_execnz .LBB2285_168
.LBB2285_143:
	s_or_b64 exec, exec, s[0:1]
	v_cmp_gt_u32_e32 vcc, s33, v25
	s_and_saveexec_b64 s[0:1], vcc
	s_cbranch_execnz .LBB2285_169
.LBB2285_144:
	s_or_b64 exec, exec, s[0:1]
	v_cmp_gt_u32_e32 vcc, s33, v23
	s_and_saveexec_b64 s[0:1], vcc
	s_cbranch_execnz .LBB2285_170
.LBB2285_145:
	s_or_b64 exec, exec, s[0:1]
	v_cmp_gt_u32_e32 vcc, s33, v21
	s_and_saveexec_b64 s[0:1], vcc
	s_cbranch_execnz .LBB2285_171
.LBB2285_146:
	s_or_b64 exec, exec, s[0:1]
	v_cmp_gt_u32_e32 vcc, s33, v19
	s_and_saveexec_b64 s[0:1], vcc
	s_cbranch_execnz .LBB2285_172
.LBB2285_147:
	s_or_b64 exec, exec, s[0:1]
	v_cmp_gt_u32_e32 vcc, s33, v17
	s_and_saveexec_b64 s[0:1], vcc
	s_cbranch_execnz .LBB2285_173
.LBB2285_148:
	s_or_b64 exec, exec, s[0:1]
	v_cmp_gt_u32_e32 vcc, s33, v15
	s_and_saveexec_b64 s[0:1], vcc
	s_cbranch_execnz .LBB2285_174
.LBB2285_149:
	s_or_b64 exec, exec, s[0:1]
	v_cmp_gt_u32_e32 vcc, s33, v10
	s_and_saveexec_b64 s[0:1], vcc
	s_cbranch_execnz .LBB2285_175
.LBB2285_150:
	s_or_b64 exec, exec, s[0:1]
	v_cmp_gt_u32_e32 vcc, s33, v7
	s_and_saveexec_b64 s[0:1], vcc
	s_cbranch_execz .LBB2285_152
.LBB2285_151:
	v_cmp_lt_u32_e32 vcc, v7, v12
	v_cndmask_b32_e32 v10, v8, v13, vcc
	v_lshlrev_b32_e32 v7, 1, v7
	v_cndmask_b32_e32 v1, v9, v14, vcc
	v_add_co_u32_e32 v10, vcc, v10, v7
	v_addc_co_u32_e32 v11, vcc, 0, v1, vcc
	global_store_short v[10:11], v6, off
.LBB2285_152:
	s_or_b64 exec, exec, s[0:1]
	v_cmp_gt_u32_e64 s[0:1], s33, v5
.LBB2285_153:
	s_and_saveexec_b64 s[2:3], s[0:1]
	s_cbranch_execz .LBB2285_155
; %bb.154:
	v_cmp_lt_u32_e32 vcc, v5, v12
	v_cndmask_b32_e32 v6, v8, v13, vcc
	v_lshlrev_b32_e32 v5, 1, v5
	v_cndmask_b32_e32 v1, v9, v14, vcc
	v_add_co_u32_e32 v6, vcc, v6, v5
	v_addc_co_u32_e32 v7, vcc, 0, v1, vcc
	global_store_short v[6:7], v4, off
.LBB2285_155:
	s_or_b64 exec, exec, s[2:3]
	v_cmp_eq_u32_e32 vcc, 0, v0
	s_and_b64 s[0:1], vcc, s[22:23]
	s_and_saveexec_b64 s[2:3], s[0:1]
	s_cbranch_execz .LBB2285_157
; %bb.156:
	v_mov_b32_e32 v0, 0
	global_store_dwordx2 v0, v[2:3], s[20:21]
.LBB2285_157:
	s_endpgm
.LBB2285_158:
	v_cmp_lt_u32_e32 vcc, v0, v12
	v_cndmask_b32_e32 v48, v8, v13, vcc
	v_cndmask_b32_e32 v49, v9, v14, vcc
	v_add_co_u32_e32 v48, vcc, v48, v1
	v_addc_co_u32_e32 v49, vcc, 0, v49, vcc
	global_store_short v[48:49], v47, off
	s_or_b64 exec, exec, s[0:1]
	v_cmp_gt_u32_e32 vcc, s33, v45
	s_and_saveexec_b64 s[0:1], vcc
	s_cbranch_execz .LBB2285_134
.LBB2285_159:
	v_cmp_lt_u32_e32 vcc, v45, v12
	v_cndmask_b32_e32 v47, v8, v13, vcc
	v_cndmask_b32_e32 v45, v9, v14, vcc
	v_add_co_u32_e32 v48, vcc, v47, v1
	v_addc_co_u32_e32 v49, vcc, 0, v45, vcc
	global_store_short v[48:49], v46, off offset:512
	s_or_b64 exec, exec, s[0:1]
	v_cmp_gt_u32_e32 vcc, s33, v43
	s_and_saveexec_b64 s[0:1], vcc
	s_cbranch_execz .LBB2285_135
.LBB2285_160:
	v_cmp_lt_u32_e32 vcc, v43, v12
	v_cndmask_b32_e32 v45, v8, v13, vcc
	v_cndmask_b32_e32 v43, v9, v14, vcc
	v_add_co_u32_e32 v46, vcc, v45, v1
	v_addc_co_u32_e32 v47, vcc, 0, v43, vcc
	global_store_short v[46:47], v44, off offset:1024
	s_or_b64 exec, exec, s[0:1]
	v_cmp_gt_u32_e32 vcc, s33, v41
	s_and_saveexec_b64 s[0:1], vcc
	s_cbranch_execz .LBB2285_136
.LBB2285_161:
	v_cmp_lt_u32_e32 vcc, v41, v12
	v_cndmask_b32_e32 v43, v8, v13, vcc
	v_cndmask_b32_e32 v41, v9, v14, vcc
	v_add_co_u32_e32 v44, vcc, v43, v1
	v_addc_co_u32_e32 v45, vcc, 0, v41, vcc
	global_store_short v[44:45], v42, off offset:1536
	s_or_b64 exec, exec, s[0:1]
	v_cmp_gt_u32_e32 vcc, s33, v39
	s_and_saveexec_b64 s[0:1], vcc
	s_cbranch_execz .LBB2285_137
.LBB2285_162:
	v_cmp_lt_u32_e32 vcc, v39, v12
	v_cndmask_b32_e32 v41, v8, v13, vcc
	v_cndmask_b32_e32 v39, v9, v14, vcc
	v_add_co_u32_e32 v42, vcc, v41, v1
	v_addc_co_u32_e32 v43, vcc, 0, v39, vcc
	global_store_short v[42:43], v40, off offset:2048
	s_or_b64 exec, exec, s[0:1]
	v_cmp_gt_u32_e32 vcc, s33, v37
	s_and_saveexec_b64 s[0:1], vcc
	s_cbranch_execz .LBB2285_138
.LBB2285_163:
	v_cmp_lt_u32_e32 vcc, v37, v12
	v_cndmask_b32_e32 v39, v8, v13, vcc
	v_cndmask_b32_e32 v37, v9, v14, vcc
	v_add_co_u32_e32 v40, vcc, v39, v1
	v_addc_co_u32_e32 v41, vcc, 0, v37, vcc
	global_store_short v[40:41], v38, off offset:2560
	s_or_b64 exec, exec, s[0:1]
	v_cmp_gt_u32_e32 vcc, s33, v35
	s_and_saveexec_b64 s[0:1], vcc
	s_cbranch_execz .LBB2285_139
.LBB2285_164:
	v_cmp_lt_u32_e32 vcc, v35, v12
	v_cndmask_b32_e32 v37, v8, v13, vcc
	v_cndmask_b32_e32 v35, v9, v14, vcc
	v_add_co_u32_e32 v38, vcc, v37, v1
	v_addc_co_u32_e32 v39, vcc, 0, v35, vcc
	global_store_short v[38:39], v36, off offset:3072
	s_or_b64 exec, exec, s[0:1]
	v_cmp_gt_u32_e32 vcc, s33, v33
	s_and_saveexec_b64 s[0:1], vcc
	s_cbranch_execz .LBB2285_140
.LBB2285_165:
	v_cmp_lt_u32_e32 vcc, v33, v12
	v_cndmask_b32_e32 v35, v8, v13, vcc
	v_cndmask_b32_e32 v33, v9, v14, vcc
	v_add_co_u32_e32 v36, vcc, v35, v1
	v_addc_co_u32_e32 v37, vcc, 0, v33, vcc
	global_store_short v[36:37], v34, off offset:3584
	s_or_b64 exec, exec, s[0:1]
	v_cmp_gt_u32_e32 vcc, s33, v31
	s_and_saveexec_b64 s[0:1], vcc
	s_cbranch_execz .LBB2285_141
.LBB2285_166:
	v_cmp_lt_u32_e32 vcc, v31, v12
	v_cndmask_b32_e32 v33, v8, v13, vcc
	v_lshlrev_b32_e32 v31, 1, v31
	v_cndmask_b32_e32 v1, v9, v14, vcc
	v_add_co_u32_e32 v34, vcc, v33, v31
	v_addc_co_u32_e32 v35, vcc, 0, v1, vcc
	global_store_short v[34:35], v32, off
	s_or_b64 exec, exec, s[0:1]
	v_cmp_gt_u32_e32 vcc, s33, v29
	s_and_saveexec_b64 s[0:1], vcc
	s_cbranch_execz .LBB2285_142
.LBB2285_167:
	v_cmp_lt_u32_e32 vcc, v29, v12
	v_cndmask_b32_e32 v31, v8, v13, vcc
	v_lshlrev_b32_e32 v29, 1, v29
	v_cndmask_b32_e32 v1, v9, v14, vcc
	v_add_co_u32_e32 v32, vcc, v31, v29
	v_addc_co_u32_e32 v33, vcc, 0, v1, vcc
	global_store_short v[32:33], v30, off
	s_or_b64 exec, exec, s[0:1]
	v_cmp_gt_u32_e32 vcc, s33, v27
	s_and_saveexec_b64 s[0:1], vcc
	s_cbranch_execz .LBB2285_143
.LBB2285_168:
	v_cmp_lt_u32_e32 vcc, v27, v12
	v_cndmask_b32_e32 v29, v8, v13, vcc
	v_lshlrev_b32_e32 v27, 1, v27
	v_cndmask_b32_e32 v1, v9, v14, vcc
	v_add_co_u32_e32 v30, vcc, v29, v27
	v_addc_co_u32_e32 v31, vcc, 0, v1, vcc
	global_store_short v[30:31], v28, off
	s_or_b64 exec, exec, s[0:1]
	v_cmp_gt_u32_e32 vcc, s33, v25
	s_and_saveexec_b64 s[0:1], vcc
	s_cbranch_execz .LBB2285_144
.LBB2285_169:
	v_cmp_lt_u32_e32 vcc, v25, v12
	v_cndmask_b32_e32 v27, v8, v13, vcc
	v_lshlrev_b32_e32 v25, 1, v25
	v_cndmask_b32_e32 v1, v9, v14, vcc
	v_add_co_u32_e32 v28, vcc, v27, v25
	v_addc_co_u32_e32 v29, vcc, 0, v1, vcc
	global_store_short v[28:29], v26, off
	s_or_b64 exec, exec, s[0:1]
	v_cmp_gt_u32_e32 vcc, s33, v23
	s_and_saveexec_b64 s[0:1], vcc
	s_cbranch_execz .LBB2285_145
.LBB2285_170:
	v_cmp_lt_u32_e32 vcc, v23, v12
	v_cndmask_b32_e32 v25, v8, v13, vcc
	v_lshlrev_b32_e32 v23, 1, v23
	v_cndmask_b32_e32 v1, v9, v14, vcc
	v_add_co_u32_e32 v26, vcc, v25, v23
	v_addc_co_u32_e32 v27, vcc, 0, v1, vcc
	global_store_short v[26:27], v24, off
	s_or_b64 exec, exec, s[0:1]
	v_cmp_gt_u32_e32 vcc, s33, v21
	s_and_saveexec_b64 s[0:1], vcc
	s_cbranch_execz .LBB2285_146
.LBB2285_171:
	v_cmp_lt_u32_e32 vcc, v21, v12
	v_cndmask_b32_e32 v23, v8, v13, vcc
	v_lshlrev_b32_e32 v21, 1, v21
	v_cndmask_b32_e32 v1, v9, v14, vcc
	v_add_co_u32_e32 v24, vcc, v23, v21
	v_addc_co_u32_e32 v25, vcc, 0, v1, vcc
	global_store_short v[24:25], v22, off
	s_or_b64 exec, exec, s[0:1]
	v_cmp_gt_u32_e32 vcc, s33, v19
	s_and_saveexec_b64 s[0:1], vcc
	s_cbranch_execz .LBB2285_147
.LBB2285_172:
	v_cmp_lt_u32_e32 vcc, v19, v12
	v_cndmask_b32_e32 v21, v8, v13, vcc
	v_lshlrev_b32_e32 v19, 1, v19
	v_cndmask_b32_e32 v1, v9, v14, vcc
	v_add_co_u32_e32 v22, vcc, v21, v19
	v_addc_co_u32_e32 v23, vcc, 0, v1, vcc
	global_store_short v[22:23], v20, off
	s_or_b64 exec, exec, s[0:1]
	v_cmp_gt_u32_e32 vcc, s33, v17
	s_and_saveexec_b64 s[0:1], vcc
	s_cbranch_execz .LBB2285_148
.LBB2285_173:
	v_cmp_lt_u32_e32 vcc, v17, v12
	v_cndmask_b32_e32 v19, v8, v13, vcc
	v_lshlrev_b32_e32 v17, 1, v17
	v_cndmask_b32_e32 v1, v9, v14, vcc
	v_add_co_u32_e32 v20, vcc, v19, v17
	v_addc_co_u32_e32 v21, vcc, 0, v1, vcc
	global_store_short v[20:21], v18, off
	s_or_b64 exec, exec, s[0:1]
	v_cmp_gt_u32_e32 vcc, s33, v15
	s_and_saveexec_b64 s[0:1], vcc
	s_cbranch_execz .LBB2285_149
.LBB2285_174:
	v_cmp_lt_u32_e32 vcc, v15, v12
	v_cndmask_b32_e32 v17, v8, v13, vcc
	v_lshlrev_b32_e32 v15, 1, v15
	v_cndmask_b32_e32 v1, v9, v14, vcc
	v_add_co_u32_e32 v18, vcc, v17, v15
	v_addc_co_u32_e32 v19, vcc, 0, v1, vcc
	global_store_short v[18:19], v16, off
	s_or_b64 exec, exec, s[0:1]
	v_cmp_gt_u32_e32 vcc, s33, v10
	s_and_saveexec_b64 s[0:1], vcc
	s_cbranch_execz .LBB2285_150
.LBB2285_175:
	v_cmp_lt_u32_e32 vcc, v10, v12
	v_cndmask_b32_e32 v15, v8, v13, vcc
	v_lshlrev_b32_e32 v10, 1, v10
	v_cndmask_b32_e32 v1, v9, v14, vcc
	v_add_co_u32_e32 v16, vcc, v15, v10
	v_addc_co_u32_e32 v17, vcc, 0, v1, vcc
	global_store_short v[16:17], v11, off
	s_or_b64 exec, exec, s[0:1]
	v_cmp_gt_u32_e32 vcc, s33, v7
	s_and_saveexec_b64 s[0:1], vcc
	s_cbranch_execnz .LBB2285_151
	s_branch .LBB2285_152
	.section	.rodata,"a",@progbits
	.p2align	6, 0x0
	.amdhsa_kernel _ZN7rocprim17ROCPRIM_400000_NS6detail17trampoline_kernelINS0_14default_configENS1_25partition_config_selectorILNS1_17partition_subalgoE1EtNS0_10empty_typeEbEEZZNS1_14partition_implILS5_1ELb0ES3_jN6thrust23THRUST_200600_302600_NS6detail15normal_iteratorINSA_10device_ptrItEEEEPS6_NSA_18transform_iteratorI7is_evenItESF_NSA_11use_defaultESK_EENS0_5tupleIJSF_SF_EEENSM_IJSG_SG_EEES6_PlJS6_EEE10hipError_tPvRmT3_T4_T5_T6_T7_T9_mT8_P12ihipStream_tbDpT10_ENKUlT_T0_E_clISt17integral_constantIbLb1EES18_IbLb0EEEEDaS14_S15_EUlS14_E_NS1_11comp_targetILNS1_3genE4ELNS1_11target_archE910ELNS1_3gpuE8ELNS1_3repE0EEENS1_30default_config_static_selectorELNS0_4arch9wavefront6targetE1EEEvT1_
		.amdhsa_group_segment_fixed_size 10248
		.amdhsa_private_segment_fixed_size 0
		.amdhsa_kernarg_size 128
		.amdhsa_user_sgpr_count 6
		.amdhsa_user_sgpr_private_segment_buffer 1
		.amdhsa_user_sgpr_dispatch_ptr 0
		.amdhsa_user_sgpr_queue_ptr 0
		.amdhsa_user_sgpr_kernarg_segment_ptr 1
		.amdhsa_user_sgpr_dispatch_id 0
		.amdhsa_user_sgpr_flat_scratch_init 0
		.amdhsa_user_sgpr_kernarg_preload_length 0
		.amdhsa_user_sgpr_kernarg_preload_offset 0
		.amdhsa_user_sgpr_private_segment_size 0
		.amdhsa_uses_dynamic_stack 0
		.amdhsa_system_sgpr_private_segment_wavefront_offset 0
		.amdhsa_system_sgpr_workgroup_id_x 1
		.amdhsa_system_sgpr_workgroup_id_y 0
		.amdhsa_system_sgpr_workgroup_id_z 0
		.amdhsa_system_sgpr_workgroup_info 0
		.amdhsa_system_vgpr_workitem_id 0
		.amdhsa_next_free_vgpr 65
		.amdhsa_next_free_sgpr 44
		.amdhsa_accum_offset 68
		.amdhsa_reserve_vcc 1
		.amdhsa_reserve_flat_scratch 0
		.amdhsa_float_round_mode_32 0
		.amdhsa_float_round_mode_16_64 0
		.amdhsa_float_denorm_mode_32 3
		.amdhsa_float_denorm_mode_16_64 3
		.amdhsa_dx10_clamp 1
		.amdhsa_ieee_mode 1
		.amdhsa_fp16_overflow 0
		.amdhsa_tg_split 0
		.amdhsa_exception_fp_ieee_invalid_op 0
		.amdhsa_exception_fp_denorm_src 0
		.amdhsa_exception_fp_ieee_div_zero 0
		.amdhsa_exception_fp_ieee_overflow 0
		.amdhsa_exception_fp_ieee_underflow 0
		.amdhsa_exception_fp_ieee_inexact 0
		.amdhsa_exception_int_div_zero 0
	.end_amdhsa_kernel
	.section	.text._ZN7rocprim17ROCPRIM_400000_NS6detail17trampoline_kernelINS0_14default_configENS1_25partition_config_selectorILNS1_17partition_subalgoE1EtNS0_10empty_typeEbEEZZNS1_14partition_implILS5_1ELb0ES3_jN6thrust23THRUST_200600_302600_NS6detail15normal_iteratorINSA_10device_ptrItEEEEPS6_NSA_18transform_iteratorI7is_evenItESF_NSA_11use_defaultESK_EENS0_5tupleIJSF_SF_EEENSM_IJSG_SG_EEES6_PlJS6_EEE10hipError_tPvRmT3_T4_T5_T6_T7_T9_mT8_P12ihipStream_tbDpT10_ENKUlT_T0_E_clISt17integral_constantIbLb1EES18_IbLb0EEEEDaS14_S15_EUlS14_E_NS1_11comp_targetILNS1_3genE4ELNS1_11target_archE910ELNS1_3gpuE8ELNS1_3repE0EEENS1_30default_config_static_selectorELNS0_4arch9wavefront6targetE1EEEvT1_,"axG",@progbits,_ZN7rocprim17ROCPRIM_400000_NS6detail17trampoline_kernelINS0_14default_configENS1_25partition_config_selectorILNS1_17partition_subalgoE1EtNS0_10empty_typeEbEEZZNS1_14partition_implILS5_1ELb0ES3_jN6thrust23THRUST_200600_302600_NS6detail15normal_iteratorINSA_10device_ptrItEEEEPS6_NSA_18transform_iteratorI7is_evenItESF_NSA_11use_defaultESK_EENS0_5tupleIJSF_SF_EEENSM_IJSG_SG_EEES6_PlJS6_EEE10hipError_tPvRmT3_T4_T5_T6_T7_T9_mT8_P12ihipStream_tbDpT10_ENKUlT_T0_E_clISt17integral_constantIbLb1EES18_IbLb0EEEEDaS14_S15_EUlS14_E_NS1_11comp_targetILNS1_3genE4ELNS1_11target_archE910ELNS1_3gpuE8ELNS1_3repE0EEENS1_30default_config_static_selectorELNS0_4arch9wavefront6targetE1EEEvT1_,comdat
.Lfunc_end2285:
	.size	_ZN7rocprim17ROCPRIM_400000_NS6detail17trampoline_kernelINS0_14default_configENS1_25partition_config_selectorILNS1_17partition_subalgoE1EtNS0_10empty_typeEbEEZZNS1_14partition_implILS5_1ELb0ES3_jN6thrust23THRUST_200600_302600_NS6detail15normal_iteratorINSA_10device_ptrItEEEEPS6_NSA_18transform_iteratorI7is_evenItESF_NSA_11use_defaultESK_EENS0_5tupleIJSF_SF_EEENSM_IJSG_SG_EEES6_PlJS6_EEE10hipError_tPvRmT3_T4_T5_T6_T7_T9_mT8_P12ihipStream_tbDpT10_ENKUlT_T0_E_clISt17integral_constantIbLb1EES18_IbLb0EEEEDaS14_S15_EUlS14_E_NS1_11comp_targetILNS1_3genE4ELNS1_11target_archE910ELNS1_3gpuE8ELNS1_3repE0EEENS1_30default_config_static_selectorELNS0_4arch9wavefront6targetE1EEEvT1_, .Lfunc_end2285-_ZN7rocprim17ROCPRIM_400000_NS6detail17trampoline_kernelINS0_14default_configENS1_25partition_config_selectorILNS1_17partition_subalgoE1EtNS0_10empty_typeEbEEZZNS1_14partition_implILS5_1ELb0ES3_jN6thrust23THRUST_200600_302600_NS6detail15normal_iteratorINSA_10device_ptrItEEEEPS6_NSA_18transform_iteratorI7is_evenItESF_NSA_11use_defaultESK_EENS0_5tupleIJSF_SF_EEENSM_IJSG_SG_EEES6_PlJS6_EEE10hipError_tPvRmT3_T4_T5_T6_T7_T9_mT8_P12ihipStream_tbDpT10_ENKUlT_T0_E_clISt17integral_constantIbLb1EES18_IbLb0EEEEDaS14_S15_EUlS14_E_NS1_11comp_targetILNS1_3genE4ELNS1_11target_archE910ELNS1_3gpuE8ELNS1_3repE0EEENS1_30default_config_static_selectorELNS0_4arch9wavefront6targetE1EEEvT1_
                                        ; -- End function
	.section	.AMDGPU.csdata,"",@progbits
; Kernel info:
; codeLenInByte = 8876
; NumSgprs: 48
; NumVgprs: 65
; NumAgprs: 0
; TotalNumVgprs: 65
; ScratchSize: 0
; MemoryBound: 0
; FloatMode: 240
; IeeeMode: 1
; LDSByteSize: 10248 bytes/workgroup (compile time only)
; SGPRBlocks: 5
; VGPRBlocks: 8
; NumSGPRsForWavesPerEU: 48
; NumVGPRsForWavesPerEU: 65
; AccumOffset: 68
; Occupancy: 6
; WaveLimiterHint : 1
; COMPUTE_PGM_RSRC2:SCRATCH_EN: 0
; COMPUTE_PGM_RSRC2:USER_SGPR: 6
; COMPUTE_PGM_RSRC2:TRAP_HANDLER: 0
; COMPUTE_PGM_RSRC2:TGID_X_EN: 1
; COMPUTE_PGM_RSRC2:TGID_Y_EN: 0
; COMPUTE_PGM_RSRC2:TGID_Z_EN: 0
; COMPUTE_PGM_RSRC2:TIDIG_COMP_CNT: 0
; COMPUTE_PGM_RSRC3_GFX90A:ACCUM_OFFSET: 16
; COMPUTE_PGM_RSRC3_GFX90A:TG_SPLIT: 0
	.section	.text._ZN7rocprim17ROCPRIM_400000_NS6detail17trampoline_kernelINS0_14default_configENS1_25partition_config_selectorILNS1_17partition_subalgoE1EtNS0_10empty_typeEbEEZZNS1_14partition_implILS5_1ELb0ES3_jN6thrust23THRUST_200600_302600_NS6detail15normal_iteratorINSA_10device_ptrItEEEEPS6_NSA_18transform_iteratorI7is_evenItESF_NSA_11use_defaultESK_EENS0_5tupleIJSF_SF_EEENSM_IJSG_SG_EEES6_PlJS6_EEE10hipError_tPvRmT3_T4_T5_T6_T7_T9_mT8_P12ihipStream_tbDpT10_ENKUlT_T0_E_clISt17integral_constantIbLb1EES18_IbLb0EEEEDaS14_S15_EUlS14_E_NS1_11comp_targetILNS1_3genE3ELNS1_11target_archE908ELNS1_3gpuE7ELNS1_3repE0EEENS1_30default_config_static_selectorELNS0_4arch9wavefront6targetE1EEEvT1_,"axG",@progbits,_ZN7rocprim17ROCPRIM_400000_NS6detail17trampoline_kernelINS0_14default_configENS1_25partition_config_selectorILNS1_17partition_subalgoE1EtNS0_10empty_typeEbEEZZNS1_14partition_implILS5_1ELb0ES3_jN6thrust23THRUST_200600_302600_NS6detail15normal_iteratorINSA_10device_ptrItEEEEPS6_NSA_18transform_iteratorI7is_evenItESF_NSA_11use_defaultESK_EENS0_5tupleIJSF_SF_EEENSM_IJSG_SG_EEES6_PlJS6_EEE10hipError_tPvRmT3_T4_T5_T6_T7_T9_mT8_P12ihipStream_tbDpT10_ENKUlT_T0_E_clISt17integral_constantIbLb1EES18_IbLb0EEEEDaS14_S15_EUlS14_E_NS1_11comp_targetILNS1_3genE3ELNS1_11target_archE908ELNS1_3gpuE7ELNS1_3repE0EEENS1_30default_config_static_selectorELNS0_4arch9wavefront6targetE1EEEvT1_,comdat
	.protected	_ZN7rocprim17ROCPRIM_400000_NS6detail17trampoline_kernelINS0_14default_configENS1_25partition_config_selectorILNS1_17partition_subalgoE1EtNS0_10empty_typeEbEEZZNS1_14partition_implILS5_1ELb0ES3_jN6thrust23THRUST_200600_302600_NS6detail15normal_iteratorINSA_10device_ptrItEEEEPS6_NSA_18transform_iteratorI7is_evenItESF_NSA_11use_defaultESK_EENS0_5tupleIJSF_SF_EEENSM_IJSG_SG_EEES6_PlJS6_EEE10hipError_tPvRmT3_T4_T5_T6_T7_T9_mT8_P12ihipStream_tbDpT10_ENKUlT_T0_E_clISt17integral_constantIbLb1EES18_IbLb0EEEEDaS14_S15_EUlS14_E_NS1_11comp_targetILNS1_3genE3ELNS1_11target_archE908ELNS1_3gpuE7ELNS1_3repE0EEENS1_30default_config_static_selectorELNS0_4arch9wavefront6targetE1EEEvT1_ ; -- Begin function _ZN7rocprim17ROCPRIM_400000_NS6detail17trampoline_kernelINS0_14default_configENS1_25partition_config_selectorILNS1_17partition_subalgoE1EtNS0_10empty_typeEbEEZZNS1_14partition_implILS5_1ELb0ES3_jN6thrust23THRUST_200600_302600_NS6detail15normal_iteratorINSA_10device_ptrItEEEEPS6_NSA_18transform_iteratorI7is_evenItESF_NSA_11use_defaultESK_EENS0_5tupleIJSF_SF_EEENSM_IJSG_SG_EEES6_PlJS6_EEE10hipError_tPvRmT3_T4_T5_T6_T7_T9_mT8_P12ihipStream_tbDpT10_ENKUlT_T0_E_clISt17integral_constantIbLb1EES18_IbLb0EEEEDaS14_S15_EUlS14_E_NS1_11comp_targetILNS1_3genE3ELNS1_11target_archE908ELNS1_3gpuE7ELNS1_3repE0EEENS1_30default_config_static_selectorELNS0_4arch9wavefront6targetE1EEEvT1_
	.globl	_ZN7rocprim17ROCPRIM_400000_NS6detail17trampoline_kernelINS0_14default_configENS1_25partition_config_selectorILNS1_17partition_subalgoE1EtNS0_10empty_typeEbEEZZNS1_14partition_implILS5_1ELb0ES3_jN6thrust23THRUST_200600_302600_NS6detail15normal_iteratorINSA_10device_ptrItEEEEPS6_NSA_18transform_iteratorI7is_evenItESF_NSA_11use_defaultESK_EENS0_5tupleIJSF_SF_EEENSM_IJSG_SG_EEES6_PlJS6_EEE10hipError_tPvRmT3_T4_T5_T6_T7_T9_mT8_P12ihipStream_tbDpT10_ENKUlT_T0_E_clISt17integral_constantIbLb1EES18_IbLb0EEEEDaS14_S15_EUlS14_E_NS1_11comp_targetILNS1_3genE3ELNS1_11target_archE908ELNS1_3gpuE7ELNS1_3repE0EEENS1_30default_config_static_selectorELNS0_4arch9wavefront6targetE1EEEvT1_
	.p2align	8
	.type	_ZN7rocprim17ROCPRIM_400000_NS6detail17trampoline_kernelINS0_14default_configENS1_25partition_config_selectorILNS1_17partition_subalgoE1EtNS0_10empty_typeEbEEZZNS1_14partition_implILS5_1ELb0ES3_jN6thrust23THRUST_200600_302600_NS6detail15normal_iteratorINSA_10device_ptrItEEEEPS6_NSA_18transform_iteratorI7is_evenItESF_NSA_11use_defaultESK_EENS0_5tupleIJSF_SF_EEENSM_IJSG_SG_EEES6_PlJS6_EEE10hipError_tPvRmT3_T4_T5_T6_T7_T9_mT8_P12ihipStream_tbDpT10_ENKUlT_T0_E_clISt17integral_constantIbLb1EES18_IbLb0EEEEDaS14_S15_EUlS14_E_NS1_11comp_targetILNS1_3genE3ELNS1_11target_archE908ELNS1_3gpuE7ELNS1_3repE0EEENS1_30default_config_static_selectorELNS0_4arch9wavefront6targetE1EEEvT1_,@function
_ZN7rocprim17ROCPRIM_400000_NS6detail17trampoline_kernelINS0_14default_configENS1_25partition_config_selectorILNS1_17partition_subalgoE1EtNS0_10empty_typeEbEEZZNS1_14partition_implILS5_1ELb0ES3_jN6thrust23THRUST_200600_302600_NS6detail15normal_iteratorINSA_10device_ptrItEEEEPS6_NSA_18transform_iteratorI7is_evenItESF_NSA_11use_defaultESK_EENS0_5tupleIJSF_SF_EEENSM_IJSG_SG_EEES6_PlJS6_EEE10hipError_tPvRmT3_T4_T5_T6_T7_T9_mT8_P12ihipStream_tbDpT10_ENKUlT_T0_E_clISt17integral_constantIbLb1EES18_IbLb0EEEEDaS14_S15_EUlS14_E_NS1_11comp_targetILNS1_3genE3ELNS1_11target_archE908ELNS1_3gpuE7ELNS1_3repE0EEENS1_30default_config_static_selectorELNS0_4arch9wavefront6targetE1EEEvT1_: ; @_ZN7rocprim17ROCPRIM_400000_NS6detail17trampoline_kernelINS0_14default_configENS1_25partition_config_selectorILNS1_17partition_subalgoE1EtNS0_10empty_typeEbEEZZNS1_14partition_implILS5_1ELb0ES3_jN6thrust23THRUST_200600_302600_NS6detail15normal_iteratorINSA_10device_ptrItEEEEPS6_NSA_18transform_iteratorI7is_evenItESF_NSA_11use_defaultESK_EENS0_5tupleIJSF_SF_EEENSM_IJSG_SG_EEES6_PlJS6_EEE10hipError_tPvRmT3_T4_T5_T6_T7_T9_mT8_P12ihipStream_tbDpT10_ENKUlT_T0_E_clISt17integral_constantIbLb1EES18_IbLb0EEEEDaS14_S15_EUlS14_E_NS1_11comp_targetILNS1_3genE3ELNS1_11target_archE908ELNS1_3gpuE7ELNS1_3repE0EEENS1_30default_config_static_selectorELNS0_4arch9wavefront6targetE1EEEvT1_
; %bb.0:
	.section	.rodata,"a",@progbits
	.p2align	6, 0x0
	.amdhsa_kernel _ZN7rocprim17ROCPRIM_400000_NS6detail17trampoline_kernelINS0_14default_configENS1_25partition_config_selectorILNS1_17partition_subalgoE1EtNS0_10empty_typeEbEEZZNS1_14partition_implILS5_1ELb0ES3_jN6thrust23THRUST_200600_302600_NS6detail15normal_iteratorINSA_10device_ptrItEEEEPS6_NSA_18transform_iteratorI7is_evenItESF_NSA_11use_defaultESK_EENS0_5tupleIJSF_SF_EEENSM_IJSG_SG_EEES6_PlJS6_EEE10hipError_tPvRmT3_T4_T5_T6_T7_T9_mT8_P12ihipStream_tbDpT10_ENKUlT_T0_E_clISt17integral_constantIbLb1EES18_IbLb0EEEEDaS14_S15_EUlS14_E_NS1_11comp_targetILNS1_3genE3ELNS1_11target_archE908ELNS1_3gpuE7ELNS1_3repE0EEENS1_30default_config_static_selectorELNS0_4arch9wavefront6targetE1EEEvT1_
		.amdhsa_group_segment_fixed_size 0
		.amdhsa_private_segment_fixed_size 0
		.amdhsa_kernarg_size 128
		.amdhsa_user_sgpr_count 6
		.amdhsa_user_sgpr_private_segment_buffer 1
		.amdhsa_user_sgpr_dispatch_ptr 0
		.amdhsa_user_sgpr_queue_ptr 0
		.amdhsa_user_sgpr_kernarg_segment_ptr 1
		.amdhsa_user_sgpr_dispatch_id 0
		.amdhsa_user_sgpr_flat_scratch_init 0
		.amdhsa_user_sgpr_kernarg_preload_length 0
		.amdhsa_user_sgpr_kernarg_preload_offset 0
		.amdhsa_user_sgpr_private_segment_size 0
		.amdhsa_uses_dynamic_stack 0
		.amdhsa_system_sgpr_private_segment_wavefront_offset 0
		.amdhsa_system_sgpr_workgroup_id_x 1
		.amdhsa_system_sgpr_workgroup_id_y 0
		.amdhsa_system_sgpr_workgroup_id_z 0
		.amdhsa_system_sgpr_workgroup_info 0
		.amdhsa_system_vgpr_workitem_id 0
		.amdhsa_next_free_vgpr 1
		.amdhsa_next_free_sgpr 0
		.amdhsa_accum_offset 4
		.amdhsa_reserve_vcc 0
		.amdhsa_reserve_flat_scratch 0
		.amdhsa_float_round_mode_32 0
		.amdhsa_float_round_mode_16_64 0
		.amdhsa_float_denorm_mode_32 3
		.amdhsa_float_denorm_mode_16_64 3
		.amdhsa_dx10_clamp 1
		.amdhsa_ieee_mode 1
		.amdhsa_fp16_overflow 0
		.amdhsa_tg_split 0
		.amdhsa_exception_fp_ieee_invalid_op 0
		.amdhsa_exception_fp_denorm_src 0
		.amdhsa_exception_fp_ieee_div_zero 0
		.amdhsa_exception_fp_ieee_overflow 0
		.amdhsa_exception_fp_ieee_underflow 0
		.amdhsa_exception_fp_ieee_inexact 0
		.amdhsa_exception_int_div_zero 0
	.end_amdhsa_kernel
	.section	.text._ZN7rocprim17ROCPRIM_400000_NS6detail17trampoline_kernelINS0_14default_configENS1_25partition_config_selectorILNS1_17partition_subalgoE1EtNS0_10empty_typeEbEEZZNS1_14partition_implILS5_1ELb0ES3_jN6thrust23THRUST_200600_302600_NS6detail15normal_iteratorINSA_10device_ptrItEEEEPS6_NSA_18transform_iteratorI7is_evenItESF_NSA_11use_defaultESK_EENS0_5tupleIJSF_SF_EEENSM_IJSG_SG_EEES6_PlJS6_EEE10hipError_tPvRmT3_T4_T5_T6_T7_T9_mT8_P12ihipStream_tbDpT10_ENKUlT_T0_E_clISt17integral_constantIbLb1EES18_IbLb0EEEEDaS14_S15_EUlS14_E_NS1_11comp_targetILNS1_3genE3ELNS1_11target_archE908ELNS1_3gpuE7ELNS1_3repE0EEENS1_30default_config_static_selectorELNS0_4arch9wavefront6targetE1EEEvT1_,"axG",@progbits,_ZN7rocprim17ROCPRIM_400000_NS6detail17trampoline_kernelINS0_14default_configENS1_25partition_config_selectorILNS1_17partition_subalgoE1EtNS0_10empty_typeEbEEZZNS1_14partition_implILS5_1ELb0ES3_jN6thrust23THRUST_200600_302600_NS6detail15normal_iteratorINSA_10device_ptrItEEEEPS6_NSA_18transform_iteratorI7is_evenItESF_NSA_11use_defaultESK_EENS0_5tupleIJSF_SF_EEENSM_IJSG_SG_EEES6_PlJS6_EEE10hipError_tPvRmT3_T4_T5_T6_T7_T9_mT8_P12ihipStream_tbDpT10_ENKUlT_T0_E_clISt17integral_constantIbLb1EES18_IbLb0EEEEDaS14_S15_EUlS14_E_NS1_11comp_targetILNS1_3genE3ELNS1_11target_archE908ELNS1_3gpuE7ELNS1_3repE0EEENS1_30default_config_static_selectorELNS0_4arch9wavefront6targetE1EEEvT1_,comdat
.Lfunc_end2286:
	.size	_ZN7rocprim17ROCPRIM_400000_NS6detail17trampoline_kernelINS0_14default_configENS1_25partition_config_selectorILNS1_17partition_subalgoE1EtNS0_10empty_typeEbEEZZNS1_14partition_implILS5_1ELb0ES3_jN6thrust23THRUST_200600_302600_NS6detail15normal_iteratorINSA_10device_ptrItEEEEPS6_NSA_18transform_iteratorI7is_evenItESF_NSA_11use_defaultESK_EENS0_5tupleIJSF_SF_EEENSM_IJSG_SG_EEES6_PlJS6_EEE10hipError_tPvRmT3_T4_T5_T6_T7_T9_mT8_P12ihipStream_tbDpT10_ENKUlT_T0_E_clISt17integral_constantIbLb1EES18_IbLb0EEEEDaS14_S15_EUlS14_E_NS1_11comp_targetILNS1_3genE3ELNS1_11target_archE908ELNS1_3gpuE7ELNS1_3repE0EEENS1_30default_config_static_selectorELNS0_4arch9wavefront6targetE1EEEvT1_, .Lfunc_end2286-_ZN7rocprim17ROCPRIM_400000_NS6detail17trampoline_kernelINS0_14default_configENS1_25partition_config_selectorILNS1_17partition_subalgoE1EtNS0_10empty_typeEbEEZZNS1_14partition_implILS5_1ELb0ES3_jN6thrust23THRUST_200600_302600_NS6detail15normal_iteratorINSA_10device_ptrItEEEEPS6_NSA_18transform_iteratorI7is_evenItESF_NSA_11use_defaultESK_EENS0_5tupleIJSF_SF_EEENSM_IJSG_SG_EEES6_PlJS6_EEE10hipError_tPvRmT3_T4_T5_T6_T7_T9_mT8_P12ihipStream_tbDpT10_ENKUlT_T0_E_clISt17integral_constantIbLb1EES18_IbLb0EEEEDaS14_S15_EUlS14_E_NS1_11comp_targetILNS1_3genE3ELNS1_11target_archE908ELNS1_3gpuE7ELNS1_3repE0EEENS1_30default_config_static_selectorELNS0_4arch9wavefront6targetE1EEEvT1_
                                        ; -- End function
	.section	.AMDGPU.csdata,"",@progbits
; Kernel info:
; codeLenInByte = 0
; NumSgprs: 4
; NumVgprs: 0
; NumAgprs: 0
; TotalNumVgprs: 0
; ScratchSize: 0
; MemoryBound: 0
; FloatMode: 240
; IeeeMode: 1
; LDSByteSize: 0 bytes/workgroup (compile time only)
; SGPRBlocks: 0
; VGPRBlocks: 0
; NumSGPRsForWavesPerEU: 4
; NumVGPRsForWavesPerEU: 1
; AccumOffset: 4
; Occupancy: 8
; WaveLimiterHint : 0
; COMPUTE_PGM_RSRC2:SCRATCH_EN: 0
; COMPUTE_PGM_RSRC2:USER_SGPR: 6
; COMPUTE_PGM_RSRC2:TRAP_HANDLER: 0
; COMPUTE_PGM_RSRC2:TGID_X_EN: 1
; COMPUTE_PGM_RSRC2:TGID_Y_EN: 0
; COMPUTE_PGM_RSRC2:TGID_Z_EN: 0
; COMPUTE_PGM_RSRC2:TIDIG_COMP_CNT: 0
; COMPUTE_PGM_RSRC3_GFX90A:ACCUM_OFFSET: 0
; COMPUTE_PGM_RSRC3_GFX90A:TG_SPLIT: 0
	.section	.text._ZN7rocprim17ROCPRIM_400000_NS6detail17trampoline_kernelINS0_14default_configENS1_25partition_config_selectorILNS1_17partition_subalgoE1EtNS0_10empty_typeEbEEZZNS1_14partition_implILS5_1ELb0ES3_jN6thrust23THRUST_200600_302600_NS6detail15normal_iteratorINSA_10device_ptrItEEEEPS6_NSA_18transform_iteratorI7is_evenItESF_NSA_11use_defaultESK_EENS0_5tupleIJSF_SF_EEENSM_IJSG_SG_EEES6_PlJS6_EEE10hipError_tPvRmT3_T4_T5_T6_T7_T9_mT8_P12ihipStream_tbDpT10_ENKUlT_T0_E_clISt17integral_constantIbLb1EES18_IbLb0EEEEDaS14_S15_EUlS14_E_NS1_11comp_targetILNS1_3genE2ELNS1_11target_archE906ELNS1_3gpuE6ELNS1_3repE0EEENS1_30default_config_static_selectorELNS0_4arch9wavefront6targetE1EEEvT1_,"axG",@progbits,_ZN7rocprim17ROCPRIM_400000_NS6detail17trampoline_kernelINS0_14default_configENS1_25partition_config_selectorILNS1_17partition_subalgoE1EtNS0_10empty_typeEbEEZZNS1_14partition_implILS5_1ELb0ES3_jN6thrust23THRUST_200600_302600_NS6detail15normal_iteratorINSA_10device_ptrItEEEEPS6_NSA_18transform_iteratorI7is_evenItESF_NSA_11use_defaultESK_EENS0_5tupleIJSF_SF_EEENSM_IJSG_SG_EEES6_PlJS6_EEE10hipError_tPvRmT3_T4_T5_T6_T7_T9_mT8_P12ihipStream_tbDpT10_ENKUlT_T0_E_clISt17integral_constantIbLb1EES18_IbLb0EEEEDaS14_S15_EUlS14_E_NS1_11comp_targetILNS1_3genE2ELNS1_11target_archE906ELNS1_3gpuE6ELNS1_3repE0EEENS1_30default_config_static_selectorELNS0_4arch9wavefront6targetE1EEEvT1_,comdat
	.protected	_ZN7rocprim17ROCPRIM_400000_NS6detail17trampoline_kernelINS0_14default_configENS1_25partition_config_selectorILNS1_17partition_subalgoE1EtNS0_10empty_typeEbEEZZNS1_14partition_implILS5_1ELb0ES3_jN6thrust23THRUST_200600_302600_NS6detail15normal_iteratorINSA_10device_ptrItEEEEPS6_NSA_18transform_iteratorI7is_evenItESF_NSA_11use_defaultESK_EENS0_5tupleIJSF_SF_EEENSM_IJSG_SG_EEES6_PlJS6_EEE10hipError_tPvRmT3_T4_T5_T6_T7_T9_mT8_P12ihipStream_tbDpT10_ENKUlT_T0_E_clISt17integral_constantIbLb1EES18_IbLb0EEEEDaS14_S15_EUlS14_E_NS1_11comp_targetILNS1_3genE2ELNS1_11target_archE906ELNS1_3gpuE6ELNS1_3repE0EEENS1_30default_config_static_selectorELNS0_4arch9wavefront6targetE1EEEvT1_ ; -- Begin function _ZN7rocprim17ROCPRIM_400000_NS6detail17trampoline_kernelINS0_14default_configENS1_25partition_config_selectorILNS1_17partition_subalgoE1EtNS0_10empty_typeEbEEZZNS1_14partition_implILS5_1ELb0ES3_jN6thrust23THRUST_200600_302600_NS6detail15normal_iteratorINSA_10device_ptrItEEEEPS6_NSA_18transform_iteratorI7is_evenItESF_NSA_11use_defaultESK_EENS0_5tupleIJSF_SF_EEENSM_IJSG_SG_EEES6_PlJS6_EEE10hipError_tPvRmT3_T4_T5_T6_T7_T9_mT8_P12ihipStream_tbDpT10_ENKUlT_T0_E_clISt17integral_constantIbLb1EES18_IbLb0EEEEDaS14_S15_EUlS14_E_NS1_11comp_targetILNS1_3genE2ELNS1_11target_archE906ELNS1_3gpuE6ELNS1_3repE0EEENS1_30default_config_static_selectorELNS0_4arch9wavefront6targetE1EEEvT1_
	.globl	_ZN7rocprim17ROCPRIM_400000_NS6detail17trampoline_kernelINS0_14default_configENS1_25partition_config_selectorILNS1_17partition_subalgoE1EtNS0_10empty_typeEbEEZZNS1_14partition_implILS5_1ELb0ES3_jN6thrust23THRUST_200600_302600_NS6detail15normal_iteratorINSA_10device_ptrItEEEEPS6_NSA_18transform_iteratorI7is_evenItESF_NSA_11use_defaultESK_EENS0_5tupleIJSF_SF_EEENSM_IJSG_SG_EEES6_PlJS6_EEE10hipError_tPvRmT3_T4_T5_T6_T7_T9_mT8_P12ihipStream_tbDpT10_ENKUlT_T0_E_clISt17integral_constantIbLb1EES18_IbLb0EEEEDaS14_S15_EUlS14_E_NS1_11comp_targetILNS1_3genE2ELNS1_11target_archE906ELNS1_3gpuE6ELNS1_3repE0EEENS1_30default_config_static_selectorELNS0_4arch9wavefront6targetE1EEEvT1_
	.p2align	8
	.type	_ZN7rocprim17ROCPRIM_400000_NS6detail17trampoline_kernelINS0_14default_configENS1_25partition_config_selectorILNS1_17partition_subalgoE1EtNS0_10empty_typeEbEEZZNS1_14partition_implILS5_1ELb0ES3_jN6thrust23THRUST_200600_302600_NS6detail15normal_iteratorINSA_10device_ptrItEEEEPS6_NSA_18transform_iteratorI7is_evenItESF_NSA_11use_defaultESK_EENS0_5tupleIJSF_SF_EEENSM_IJSG_SG_EEES6_PlJS6_EEE10hipError_tPvRmT3_T4_T5_T6_T7_T9_mT8_P12ihipStream_tbDpT10_ENKUlT_T0_E_clISt17integral_constantIbLb1EES18_IbLb0EEEEDaS14_S15_EUlS14_E_NS1_11comp_targetILNS1_3genE2ELNS1_11target_archE906ELNS1_3gpuE6ELNS1_3repE0EEENS1_30default_config_static_selectorELNS0_4arch9wavefront6targetE1EEEvT1_,@function
_ZN7rocprim17ROCPRIM_400000_NS6detail17trampoline_kernelINS0_14default_configENS1_25partition_config_selectorILNS1_17partition_subalgoE1EtNS0_10empty_typeEbEEZZNS1_14partition_implILS5_1ELb0ES3_jN6thrust23THRUST_200600_302600_NS6detail15normal_iteratorINSA_10device_ptrItEEEEPS6_NSA_18transform_iteratorI7is_evenItESF_NSA_11use_defaultESK_EENS0_5tupleIJSF_SF_EEENSM_IJSG_SG_EEES6_PlJS6_EEE10hipError_tPvRmT3_T4_T5_T6_T7_T9_mT8_P12ihipStream_tbDpT10_ENKUlT_T0_E_clISt17integral_constantIbLb1EES18_IbLb0EEEEDaS14_S15_EUlS14_E_NS1_11comp_targetILNS1_3genE2ELNS1_11target_archE906ELNS1_3gpuE6ELNS1_3repE0EEENS1_30default_config_static_selectorELNS0_4arch9wavefront6targetE1EEEvT1_: ; @_ZN7rocprim17ROCPRIM_400000_NS6detail17trampoline_kernelINS0_14default_configENS1_25partition_config_selectorILNS1_17partition_subalgoE1EtNS0_10empty_typeEbEEZZNS1_14partition_implILS5_1ELb0ES3_jN6thrust23THRUST_200600_302600_NS6detail15normal_iteratorINSA_10device_ptrItEEEEPS6_NSA_18transform_iteratorI7is_evenItESF_NSA_11use_defaultESK_EENS0_5tupleIJSF_SF_EEENSM_IJSG_SG_EEES6_PlJS6_EEE10hipError_tPvRmT3_T4_T5_T6_T7_T9_mT8_P12ihipStream_tbDpT10_ENKUlT_T0_E_clISt17integral_constantIbLb1EES18_IbLb0EEEEDaS14_S15_EUlS14_E_NS1_11comp_targetILNS1_3genE2ELNS1_11target_archE906ELNS1_3gpuE6ELNS1_3repE0EEENS1_30default_config_static_selectorELNS0_4arch9wavefront6targetE1EEEvT1_
; %bb.0:
	.section	.rodata,"a",@progbits
	.p2align	6, 0x0
	.amdhsa_kernel _ZN7rocprim17ROCPRIM_400000_NS6detail17trampoline_kernelINS0_14default_configENS1_25partition_config_selectorILNS1_17partition_subalgoE1EtNS0_10empty_typeEbEEZZNS1_14partition_implILS5_1ELb0ES3_jN6thrust23THRUST_200600_302600_NS6detail15normal_iteratorINSA_10device_ptrItEEEEPS6_NSA_18transform_iteratorI7is_evenItESF_NSA_11use_defaultESK_EENS0_5tupleIJSF_SF_EEENSM_IJSG_SG_EEES6_PlJS6_EEE10hipError_tPvRmT3_T4_T5_T6_T7_T9_mT8_P12ihipStream_tbDpT10_ENKUlT_T0_E_clISt17integral_constantIbLb1EES18_IbLb0EEEEDaS14_S15_EUlS14_E_NS1_11comp_targetILNS1_3genE2ELNS1_11target_archE906ELNS1_3gpuE6ELNS1_3repE0EEENS1_30default_config_static_selectorELNS0_4arch9wavefront6targetE1EEEvT1_
		.amdhsa_group_segment_fixed_size 0
		.amdhsa_private_segment_fixed_size 0
		.amdhsa_kernarg_size 128
		.amdhsa_user_sgpr_count 6
		.amdhsa_user_sgpr_private_segment_buffer 1
		.amdhsa_user_sgpr_dispatch_ptr 0
		.amdhsa_user_sgpr_queue_ptr 0
		.amdhsa_user_sgpr_kernarg_segment_ptr 1
		.amdhsa_user_sgpr_dispatch_id 0
		.amdhsa_user_sgpr_flat_scratch_init 0
		.amdhsa_user_sgpr_kernarg_preload_length 0
		.amdhsa_user_sgpr_kernarg_preload_offset 0
		.amdhsa_user_sgpr_private_segment_size 0
		.amdhsa_uses_dynamic_stack 0
		.amdhsa_system_sgpr_private_segment_wavefront_offset 0
		.amdhsa_system_sgpr_workgroup_id_x 1
		.amdhsa_system_sgpr_workgroup_id_y 0
		.amdhsa_system_sgpr_workgroup_id_z 0
		.amdhsa_system_sgpr_workgroup_info 0
		.amdhsa_system_vgpr_workitem_id 0
		.amdhsa_next_free_vgpr 1
		.amdhsa_next_free_sgpr 0
		.amdhsa_accum_offset 4
		.amdhsa_reserve_vcc 0
		.amdhsa_reserve_flat_scratch 0
		.amdhsa_float_round_mode_32 0
		.amdhsa_float_round_mode_16_64 0
		.amdhsa_float_denorm_mode_32 3
		.amdhsa_float_denorm_mode_16_64 3
		.amdhsa_dx10_clamp 1
		.amdhsa_ieee_mode 1
		.amdhsa_fp16_overflow 0
		.amdhsa_tg_split 0
		.amdhsa_exception_fp_ieee_invalid_op 0
		.amdhsa_exception_fp_denorm_src 0
		.amdhsa_exception_fp_ieee_div_zero 0
		.amdhsa_exception_fp_ieee_overflow 0
		.amdhsa_exception_fp_ieee_underflow 0
		.amdhsa_exception_fp_ieee_inexact 0
		.amdhsa_exception_int_div_zero 0
	.end_amdhsa_kernel
	.section	.text._ZN7rocprim17ROCPRIM_400000_NS6detail17trampoline_kernelINS0_14default_configENS1_25partition_config_selectorILNS1_17partition_subalgoE1EtNS0_10empty_typeEbEEZZNS1_14partition_implILS5_1ELb0ES3_jN6thrust23THRUST_200600_302600_NS6detail15normal_iteratorINSA_10device_ptrItEEEEPS6_NSA_18transform_iteratorI7is_evenItESF_NSA_11use_defaultESK_EENS0_5tupleIJSF_SF_EEENSM_IJSG_SG_EEES6_PlJS6_EEE10hipError_tPvRmT3_T4_T5_T6_T7_T9_mT8_P12ihipStream_tbDpT10_ENKUlT_T0_E_clISt17integral_constantIbLb1EES18_IbLb0EEEEDaS14_S15_EUlS14_E_NS1_11comp_targetILNS1_3genE2ELNS1_11target_archE906ELNS1_3gpuE6ELNS1_3repE0EEENS1_30default_config_static_selectorELNS0_4arch9wavefront6targetE1EEEvT1_,"axG",@progbits,_ZN7rocprim17ROCPRIM_400000_NS6detail17trampoline_kernelINS0_14default_configENS1_25partition_config_selectorILNS1_17partition_subalgoE1EtNS0_10empty_typeEbEEZZNS1_14partition_implILS5_1ELb0ES3_jN6thrust23THRUST_200600_302600_NS6detail15normal_iteratorINSA_10device_ptrItEEEEPS6_NSA_18transform_iteratorI7is_evenItESF_NSA_11use_defaultESK_EENS0_5tupleIJSF_SF_EEENSM_IJSG_SG_EEES6_PlJS6_EEE10hipError_tPvRmT3_T4_T5_T6_T7_T9_mT8_P12ihipStream_tbDpT10_ENKUlT_T0_E_clISt17integral_constantIbLb1EES18_IbLb0EEEEDaS14_S15_EUlS14_E_NS1_11comp_targetILNS1_3genE2ELNS1_11target_archE906ELNS1_3gpuE6ELNS1_3repE0EEENS1_30default_config_static_selectorELNS0_4arch9wavefront6targetE1EEEvT1_,comdat
.Lfunc_end2287:
	.size	_ZN7rocprim17ROCPRIM_400000_NS6detail17trampoline_kernelINS0_14default_configENS1_25partition_config_selectorILNS1_17partition_subalgoE1EtNS0_10empty_typeEbEEZZNS1_14partition_implILS5_1ELb0ES3_jN6thrust23THRUST_200600_302600_NS6detail15normal_iteratorINSA_10device_ptrItEEEEPS6_NSA_18transform_iteratorI7is_evenItESF_NSA_11use_defaultESK_EENS0_5tupleIJSF_SF_EEENSM_IJSG_SG_EEES6_PlJS6_EEE10hipError_tPvRmT3_T4_T5_T6_T7_T9_mT8_P12ihipStream_tbDpT10_ENKUlT_T0_E_clISt17integral_constantIbLb1EES18_IbLb0EEEEDaS14_S15_EUlS14_E_NS1_11comp_targetILNS1_3genE2ELNS1_11target_archE906ELNS1_3gpuE6ELNS1_3repE0EEENS1_30default_config_static_selectorELNS0_4arch9wavefront6targetE1EEEvT1_, .Lfunc_end2287-_ZN7rocprim17ROCPRIM_400000_NS6detail17trampoline_kernelINS0_14default_configENS1_25partition_config_selectorILNS1_17partition_subalgoE1EtNS0_10empty_typeEbEEZZNS1_14partition_implILS5_1ELb0ES3_jN6thrust23THRUST_200600_302600_NS6detail15normal_iteratorINSA_10device_ptrItEEEEPS6_NSA_18transform_iteratorI7is_evenItESF_NSA_11use_defaultESK_EENS0_5tupleIJSF_SF_EEENSM_IJSG_SG_EEES6_PlJS6_EEE10hipError_tPvRmT3_T4_T5_T6_T7_T9_mT8_P12ihipStream_tbDpT10_ENKUlT_T0_E_clISt17integral_constantIbLb1EES18_IbLb0EEEEDaS14_S15_EUlS14_E_NS1_11comp_targetILNS1_3genE2ELNS1_11target_archE906ELNS1_3gpuE6ELNS1_3repE0EEENS1_30default_config_static_selectorELNS0_4arch9wavefront6targetE1EEEvT1_
                                        ; -- End function
	.section	.AMDGPU.csdata,"",@progbits
; Kernel info:
; codeLenInByte = 0
; NumSgprs: 4
; NumVgprs: 0
; NumAgprs: 0
; TotalNumVgprs: 0
; ScratchSize: 0
; MemoryBound: 0
; FloatMode: 240
; IeeeMode: 1
; LDSByteSize: 0 bytes/workgroup (compile time only)
; SGPRBlocks: 0
; VGPRBlocks: 0
; NumSGPRsForWavesPerEU: 4
; NumVGPRsForWavesPerEU: 1
; AccumOffset: 4
; Occupancy: 8
; WaveLimiterHint : 0
; COMPUTE_PGM_RSRC2:SCRATCH_EN: 0
; COMPUTE_PGM_RSRC2:USER_SGPR: 6
; COMPUTE_PGM_RSRC2:TRAP_HANDLER: 0
; COMPUTE_PGM_RSRC2:TGID_X_EN: 1
; COMPUTE_PGM_RSRC2:TGID_Y_EN: 0
; COMPUTE_PGM_RSRC2:TGID_Z_EN: 0
; COMPUTE_PGM_RSRC2:TIDIG_COMP_CNT: 0
; COMPUTE_PGM_RSRC3_GFX90A:ACCUM_OFFSET: 0
; COMPUTE_PGM_RSRC3_GFX90A:TG_SPLIT: 0
	.section	.text._ZN7rocprim17ROCPRIM_400000_NS6detail17trampoline_kernelINS0_14default_configENS1_25partition_config_selectorILNS1_17partition_subalgoE1EtNS0_10empty_typeEbEEZZNS1_14partition_implILS5_1ELb0ES3_jN6thrust23THRUST_200600_302600_NS6detail15normal_iteratorINSA_10device_ptrItEEEEPS6_NSA_18transform_iteratorI7is_evenItESF_NSA_11use_defaultESK_EENS0_5tupleIJSF_SF_EEENSM_IJSG_SG_EEES6_PlJS6_EEE10hipError_tPvRmT3_T4_T5_T6_T7_T9_mT8_P12ihipStream_tbDpT10_ENKUlT_T0_E_clISt17integral_constantIbLb1EES18_IbLb0EEEEDaS14_S15_EUlS14_E_NS1_11comp_targetILNS1_3genE10ELNS1_11target_archE1200ELNS1_3gpuE4ELNS1_3repE0EEENS1_30default_config_static_selectorELNS0_4arch9wavefront6targetE1EEEvT1_,"axG",@progbits,_ZN7rocprim17ROCPRIM_400000_NS6detail17trampoline_kernelINS0_14default_configENS1_25partition_config_selectorILNS1_17partition_subalgoE1EtNS0_10empty_typeEbEEZZNS1_14partition_implILS5_1ELb0ES3_jN6thrust23THRUST_200600_302600_NS6detail15normal_iteratorINSA_10device_ptrItEEEEPS6_NSA_18transform_iteratorI7is_evenItESF_NSA_11use_defaultESK_EENS0_5tupleIJSF_SF_EEENSM_IJSG_SG_EEES6_PlJS6_EEE10hipError_tPvRmT3_T4_T5_T6_T7_T9_mT8_P12ihipStream_tbDpT10_ENKUlT_T0_E_clISt17integral_constantIbLb1EES18_IbLb0EEEEDaS14_S15_EUlS14_E_NS1_11comp_targetILNS1_3genE10ELNS1_11target_archE1200ELNS1_3gpuE4ELNS1_3repE0EEENS1_30default_config_static_selectorELNS0_4arch9wavefront6targetE1EEEvT1_,comdat
	.protected	_ZN7rocprim17ROCPRIM_400000_NS6detail17trampoline_kernelINS0_14default_configENS1_25partition_config_selectorILNS1_17partition_subalgoE1EtNS0_10empty_typeEbEEZZNS1_14partition_implILS5_1ELb0ES3_jN6thrust23THRUST_200600_302600_NS6detail15normal_iteratorINSA_10device_ptrItEEEEPS6_NSA_18transform_iteratorI7is_evenItESF_NSA_11use_defaultESK_EENS0_5tupleIJSF_SF_EEENSM_IJSG_SG_EEES6_PlJS6_EEE10hipError_tPvRmT3_T4_T5_T6_T7_T9_mT8_P12ihipStream_tbDpT10_ENKUlT_T0_E_clISt17integral_constantIbLb1EES18_IbLb0EEEEDaS14_S15_EUlS14_E_NS1_11comp_targetILNS1_3genE10ELNS1_11target_archE1200ELNS1_3gpuE4ELNS1_3repE0EEENS1_30default_config_static_selectorELNS0_4arch9wavefront6targetE1EEEvT1_ ; -- Begin function _ZN7rocprim17ROCPRIM_400000_NS6detail17trampoline_kernelINS0_14default_configENS1_25partition_config_selectorILNS1_17partition_subalgoE1EtNS0_10empty_typeEbEEZZNS1_14partition_implILS5_1ELb0ES3_jN6thrust23THRUST_200600_302600_NS6detail15normal_iteratorINSA_10device_ptrItEEEEPS6_NSA_18transform_iteratorI7is_evenItESF_NSA_11use_defaultESK_EENS0_5tupleIJSF_SF_EEENSM_IJSG_SG_EEES6_PlJS6_EEE10hipError_tPvRmT3_T4_T5_T6_T7_T9_mT8_P12ihipStream_tbDpT10_ENKUlT_T0_E_clISt17integral_constantIbLb1EES18_IbLb0EEEEDaS14_S15_EUlS14_E_NS1_11comp_targetILNS1_3genE10ELNS1_11target_archE1200ELNS1_3gpuE4ELNS1_3repE0EEENS1_30default_config_static_selectorELNS0_4arch9wavefront6targetE1EEEvT1_
	.globl	_ZN7rocprim17ROCPRIM_400000_NS6detail17trampoline_kernelINS0_14default_configENS1_25partition_config_selectorILNS1_17partition_subalgoE1EtNS0_10empty_typeEbEEZZNS1_14partition_implILS5_1ELb0ES3_jN6thrust23THRUST_200600_302600_NS6detail15normal_iteratorINSA_10device_ptrItEEEEPS6_NSA_18transform_iteratorI7is_evenItESF_NSA_11use_defaultESK_EENS0_5tupleIJSF_SF_EEENSM_IJSG_SG_EEES6_PlJS6_EEE10hipError_tPvRmT3_T4_T5_T6_T7_T9_mT8_P12ihipStream_tbDpT10_ENKUlT_T0_E_clISt17integral_constantIbLb1EES18_IbLb0EEEEDaS14_S15_EUlS14_E_NS1_11comp_targetILNS1_3genE10ELNS1_11target_archE1200ELNS1_3gpuE4ELNS1_3repE0EEENS1_30default_config_static_selectorELNS0_4arch9wavefront6targetE1EEEvT1_
	.p2align	8
	.type	_ZN7rocprim17ROCPRIM_400000_NS6detail17trampoline_kernelINS0_14default_configENS1_25partition_config_selectorILNS1_17partition_subalgoE1EtNS0_10empty_typeEbEEZZNS1_14partition_implILS5_1ELb0ES3_jN6thrust23THRUST_200600_302600_NS6detail15normal_iteratorINSA_10device_ptrItEEEEPS6_NSA_18transform_iteratorI7is_evenItESF_NSA_11use_defaultESK_EENS0_5tupleIJSF_SF_EEENSM_IJSG_SG_EEES6_PlJS6_EEE10hipError_tPvRmT3_T4_T5_T6_T7_T9_mT8_P12ihipStream_tbDpT10_ENKUlT_T0_E_clISt17integral_constantIbLb1EES18_IbLb0EEEEDaS14_S15_EUlS14_E_NS1_11comp_targetILNS1_3genE10ELNS1_11target_archE1200ELNS1_3gpuE4ELNS1_3repE0EEENS1_30default_config_static_selectorELNS0_4arch9wavefront6targetE1EEEvT1_,@function
_ZN7rocprim17ROCPRIM_400000_NS6detail17trampoline_kernelINS0_14default_configENS1_25partition_config_selectorILNS1_17partition_subalgoE1EtNS0_10empty_typeEbEEZZNS1_14partition_implILS5_1ELb0ES3_jN6thrust23THRUST_200600_302600_NS6detail15normal_iteratorINSA_10device_ptrItEEEEPS6_NSA_18transform_iteratorI7is_evenItESF_NSA_11use_defaultESK_EENS0_5tupleIJSF_SF_EEENSM_IJSG_SG_EEES6_PlJS6_EEE10hipError_tPvRmT3_T4_T5_T6_T7_T9_mT8_P12ihipStream_tbDpT10_ENKUlT_T0_E_clISt17integral_constantIbLb1EES18_IbLb0EEEEDaS14_S15_EUlS14_E_NS1_11comp_targetILNS1_3genE10ELNS1_11target_archE1200ELNS1_3gpuE4ELNS1_3repE0EEENS1_30default_config_static_selectorELNS0_4arch9wavefront6targetE1EEEvT1_: ; @_ZN7rocprim17ROCPRIM_400000_NS6detail17trampoline_kernelINS0_14default_configENS1_25partition_config_selectorILNS1_17partition_subalgoE1EtNS0_10empty_typeEbEEZZNS1_14partition_implILS5_1ELb0ES3_jN6thrust23THRUST_200600_302600_NS6detail15normal_iteratorINSA_10device_ptrItEEEEPS6_NSA_18transform_iteratorI7is_evenItESF_NSA_11use_defaultESK_EENS0_5tupleIJSF_SF_EEENSM_IJSG_SG_EEES6_PlJS6_EEE10hipError_tPvRmT3_T4_T5_T6_T7_T9_mT8_P12ihipStream_tbDpT10_ENKUlT_T0_E_clISt17integral_constantIbLb1EES18_IbLb0EEEEDaS14_S15_EUlS14_E_NS1_11comp_targetILNS1_3genE10ELNS1_11target_archE1200ELNS1_3gpuE4ELNS1_3repE0EEENS1_30default_config_static_selectorELNS0_4arch9wavefront6targetE1EEEvT1_
; %bb.0:
	.section	.rodata,"a",@progbits
	.p2align	6, 0x0
	.amdhsa_kernel _ZN7rocprim17ROCPRIM_400000_NS6detail17trampoline_kernelINS0_14default_configENS1_25partition_config_selectorILNS1_17partition_subalgoE1EtNS0_10empty_typeEbEEZZNS1_14partition_implILS5_1ELb0ES3_jN6thrust23THRUST_200600_302600_NS6detail15normal_iteratorINSA_10device_ptrItEEEEPS6_NSA_18transform_iteratorI7is_evenItESF_NSA_11use_defaultESK_EENS0_5tupleIJSF_SF_EEENSM_IJSG_SG_EEES6_PlJS6_EEE10hipError_tPvRmT3_T4_T5_T6_T7_T9_mT8_P12ihipStream_tbDpT10_ENKUlT_T0_E_clISt17integral_constantIbLb1EES18_IbLb0EEEEDaS14_S15_EUlS14_E_NS1_11comp_targetILNS1_3genE10ELNS1_11target_archE1200ELNS1_3gpuE4ELNS1_3repE0EEENS1_30default_config_static_selectorELNS0_4arch9wavefront6targetE1EEEvT1_
		.amdhsa_group_segment_fixed_size 0
		.amdhsa_private_segment_fixed_size 0
		.amdhsa_kernarg_size 128
		.amdhsa_user_sgpr_count 6
		.amdhsa_user_sgpr_private_segment_buffer 1
		.amdhsa_user_sgpr_dispatch_ptr 0
		.amdhsa_user_sgpr_queue_ptr 0
		.amdhsa_user_sgpr_kernarg_segment_ptr 1
		.amdhsa_user_sgpr_dispatch_id 0
		.amdhsa_user_sgpr_flat_scratch_init 0
		.amdhsa_user_sgpr_kernarg_preload_length 0
		.amdhsa_user_sgpr_kernarg_preload_offset 0
		.amdhsa_user_sgpr_private_segment_size 0
		.amdhsa_uses_dynamic_stack 0
		.amdhsa_system_sgpr_private_segment_wavefront_offset 0
		.amdhsa_system_sgpr_workgroup_id_x 1
		.amdhsa_system_sgpr_workgroup_id_y 0
		.amdhsa_system_sgpr_workgroup_id_z 0
		.amdhsa_system_sgpr_workgroup_info 0
		.amdhsa_system_vgpr_workitem_id 0
		.amdhsa_next_free_vgpr 1
		.amdhsa_next_free_sgpr 0
		.amdhsa_accum_offset 4
		.amdhsa_reserve_vcc 0
		.amdhsa_reserve_flat_scratch 0
		.amdhsa_float_round_mode_32 0
		.amdhsa_float_round_mode_16_64 0
		.amdhsa_float_denorm_mode_32 3
		.amdhsa_float_denorm_mode_16_64 3
		.amdhsa_dx10_clamp 1
		.amdhsa_ieee_mode 1
		.amdhsa_fp16_overflow 0
		.amdhsa_tg_split 0
		.amdhsa_exception_fp_ieee_invalid_op 0
		.amdhsa_exception_fp_denorm_src 0
		.amdhsa_exception_fp_ieee_div_zero 0
		.amdhsa_exception_fp_ieee_overflow 0
		.amdhsa_exception_fp_ieee_underflow 0
		.amdhsa_exception_fp_ieee_inexact 0
		.amdhsa_exception_int_div_zero 0
	.end_amdhsa_kernel
	.section	.text._ZN7rocprim17ROCPRIM_400000_NS6detail17trampoline_kernelINS0_14default_configENS1_25partition_config_selectorILNS1_17partition_subalgoE1EtNS0_10empty_typeEbEEZZNS1_14partition_implILS5_1ELb0ES3_jN6thrust23THRUST_200600_302600_NS6detail15normal_iteratorINSA_10device_ptrItEEEEPS6_NSA_18transform_iteratorI7is_evenItESF_NSA_11use_defaultESK_EENS0_5tupleIJSF_SF_EEENSM_IJSG_SG_EEES6_PlJS6_EEE10hipError_tPvRmT3_T4_T5_T6_T7_T9_mT8_P12ihipStream_tbDpT10_ENKUlT_T0_E_clISt17integral_constantIbLb1EES18_IbLb0EEEEDaS14_S15_EUlS14_E_NS1_11comp_targetILNS1_3genE10ELNS1_11target_archE1200ELNS1_3gpuE4ELNS1_3repE0EEENS1_30default_config_static_selectorELNS0_4arch9wavefront6targetE1EEEvT1_,"axG",@progbits,_ZN7rocprim17ROCPRIM_400000_NS6detail17trampoline_kernelINS0_14default_configENS1_25partition_config_selectorILNS1_17partition_subalgoE1EtNS0_10empty_typeEbEEZZNS1_14partition_implILS5_1ELb0ES3_jN6thrust23THRUST_200600_302600_NS6detail15normal_iteratorINSA_10device_ptrItEEEEPS6_NSA_18transform_iteratorI7is_evenItESF_NSA_11use_defaultESK_EENS0_5tupleIJSF_SF_EEENSM_IJSG_SG_EEES6_PlJS6_EEE10hipError_tPvRmT3_T4_T5_T6_T7_T9_mT8_P12ihipStream_tbDpT10_ENKUlT_T0_E_clISt17integral_constantIbLb1EES18_IbLb0EEEEDaS14_S15_EUlS14_E_NS1_11comp_targetILNS1_3genE10ELNS1_11target_archE1200ELNS1_3gpuE4ELNS1_3repE0EEENS1_30default_config_static_selectorELNS0_4arch9wavefront6targetE1EEEvT1_,comdat
.Lfunc_end2288:
	.size	_ZN7rocprim17ROCPRIM_400000_NS6detail17trampoline_kernelINS0_14default_configENS1_25partition_config_selectorILNS1_17partition_subalgoE1EtNS0_10empty_typeEbEEZZNS1_14partition_implILS5_1ELb0ES3_jN6thrust23THRUST_200600_302600_NS6detail15normal_iteratorINSA_10device_ptrItEEEEPS6_NSA_18transform_iteratorI7is_evenItESF_NSA_11use_defaultESK_EENS0_5tupleIJSF_SF_EEENSM_IJSG_SG_EEES6_PlJS6_EEE10hipError_tPvRmT3_T4_T5_T6_T7_T9_mT8_P12ihipStream_tbDpT10_ENKUlT_T0_E_clISt17integral_constantIbLb1EES18_IbLb0EEEEDaS14_S15_EUlS14_E_NS1_11comp_targetILNS1_3genE10ELNS1_11target_archE1200ELNS1_3gpuE4ELNS1_3repE0EEENS1_30default_config_static_selectorELNS0_4arch9wavefront6targetE1EEEvT1_, .Lfunc_end2288-_ZN7rocprim17ROCPRIM_400000_NS6detail17trampoline_kernelINS0_14default_configENS1_25partition_config_selectorILNS1_17partition_subalgoE1EtNS0_10empty_typeEbEEZZNS1_14partition_implILS5_1ELb0ES3_jN6thrust23THRUST_200600_302600_NS6detail15normal_iteratorINSA_10device_ptrItEEEEPS6_NSA_18transform_iteratorI7is_evenItESF_NSA_11use_defaultESK_EENS0_5tupleIJSF_SF_EEENSM_IJSG_SG_EEES6_PlJS6_EEE10hipError_tPvRmT3_T4_T5_T6_T7_T9_mT8_P12ihipStream_tbDpT10_ENKUlT_T0_E_clISt17integral_constantIbLb1EES18_IbLb0EEEEDaS14_S15_EUlS14_E_NS1_11comp_targetILNS1_3genE10ELNS1_11target_archE1200ELNS1_3gpuE4ELNS1_3repE0EEENS1_30default_config_static_selectorELNS0_4arch9wavefront6targetE1EEEvT1_
                                        ; -- End function
	.section	.AMDGPU.csdata,"",@progbits
; Kernel info:
; codeLenInByte = 0
; NumSgprs: 4
; NumVgprs: 0
; NumAgprs: 0
; TotalNumVgprs: 0
; ScratchSize: 0
; MemoryBound: 0
; FloatMode: 240
; IeeeMode: 1
; LDSByteSize: 0 bytes/workgroup (compile time only)
; SGPRBlocks: 0
; VGPRBlocks: 0
; NumSGPRsForWavesPerEU: 4
; NumVGPRsForWavesPerEU: 1
; AccumOffset: 4
; Occupancy: 8
; WaveLimiterHint : 0
; COMPUTE_PGM_RSRC2:SCRATCH_EN: 0
; COMPUTE_PGM_RSRC2:USER_SGPR: 6
; COMPUTE_PGM_RSRC2:TRAP_HANDLER: 0
; COMPUTE_PGM_RSRC2:TGID_X_EN: 1
; COMPUTE_PGM_RSRC2:TGID_Y_EN: 0
; COMPUTE_PGM_RSRC2:TGID_Z_EN: 0
; COMPUTE_PGM_RSRC2:TIDIG_COMP_CNT: 0
; COMPUTE_PGM_RSRC3_GFX90A:ACCUM_OFFSET: 0
; COMPUTE_PGM_RSRC3_GFX90A:TG_SPLIT: 0
	.section	.text._ZN7rocprim17ROCPRIM_400000_NS6detail17trampoline_kernelINS0_14default_configENS1_25partition_config_selectorILNS1_17partition_subalgoE1EtNS0_10empty_typeEbEEZZNS1_14partition_implILS5_1ELb0ES3_jN6thrust23THRUST_200600_302600_NS6detail15normal_iteratorINSA_10device_ptrItEEEEPS6_NSA_18transform_iteratorI7is_evenItESF_NSA_11use_defaultESK_EENS0_5tupleIJSF_SF_EEENSM_IJSG_SG_EEES6_PlJS6_EEE10hipError_tPvRmT3_T4_T5_T6_T7_T9_mT8_P12ihipStream_tbDpT10_ENKUlT_T0_E_clISt17integral_constantIbLb1EES18_IbLb0EEEEDaS14_S15_EUlS14_E_NS1_11comp_targetILNS1_3genE9ELNS1_11target_archE1100ELNS1_3gpuE3ELNS1_3repE0EEENS1_30default_config_static_selectorELNS0_4arch9wavefront6targetE1EEEvT1_,"axG",@progbits,_ZN7rocprim17ROCPRIM_400000_NS6detail17trampoline_kernelINS0_14default_configENS1_25partition_config_selectorILNS1_17partition_subalgoE1EtNS0_10empty_typeEbEEZZNS1_14partition_implILS5_1ELb0ES3_jN6thrust23THRUST_200600_302600_NS6detail15normal_iteratorINSA_10device_ptrItEEEEPS6_NSA_18transform_iteratorI7is_evenItESF_NSA_11use_defaultESK_EENS0_5tupleIJSF_SF_EEENSM_IJSG_SG_EEES6_PlJS6_EEE10hipError_tPvRmT3_T4_T5_T6_T7_T9_mT8_P12ihipStream_tbDpT10_ENKUlT_T0_E_clISt17integral_constantIbLb1EES18_IbLb0EEEEDaS14_S15_EUlS14_E_NS1_11comp_targetILNS1_3genE9ELNS1_11target_archE1100ELNS1_3gpuE3ELNS1_3repE0EEENS1_30default_config_static_selectorELNS0_4arch9wavefront6targetE1EEEvT1_,comdat
	.protected	_ZN7rocprim17ROCPRIM_400000_NS6detail17trampoline_kernelINS0_14default_configENS1_25partition_config_selectorILNS1_17partition_subalgoE1EtNS0_10empty_typeEbEEZZNS1_14partition_implILS5_1ELb0ES3_jN6thrust23THRUST_200600_302600_NS6detail15normal_iteratorINSA_10device_ptrItEEEEPS6_NSA_18transform_iteratorI7is_evenItESF_NSA_11use_defaultESK_EENS0_5tupleIJSF_SF_EEENSM_IJSG_SG_EEES6_PlJS6_EEE10hipError_tPvRmT3_T4_T5_T6_T7_T9_mT8_P12ihipStream_tbDpT10_ENKUlT_T0_E_clISt17integral_constantIbLb1EES18_IbLb0EEEEDaS14_S15_EUlS14_E_NS1_11comp_targetILNS1_3genE9ELNS1_11target_archE1100ELNS1_3gpuE3ELNS1_3repE0EEENS1_30default_config_static_selectorELNS0_4arch9wavefront6targetE1EEEvT1_ ; -- Begin function _ZN7rocprim17ROCPRIM_400000_NS6detail17trampoline_kernelINS0_14default_configENS1_25partition_config_selectorILNS1_17partition_subalgoE1EtNS0_10empty_typeEbEEZZNS1_14partition_implILS5_1ELb0ES3_jN6thrust23THRUST_200600_302600_NS6detail15normal_iteratorINSA_10device_ptrItEEEEPS6_NSA_18transform_iteratorI7is_evenItESF_NSA_11use_defaultESK_EENS0_5tupleIJSF_SF_EEENSM_IJSG_SG_EEES6_PlJS6_EEE10hipError_tPvRmT3_T4_T5_T6_T7_T9_mT8_P12ihipStream_tbDpT10_ENKUlT_T0_E_clISt17integral_constantIbLb1EES18_IbLb0EEEEDaS14_S15_EUlS14_E_NS1_11comp_targetILNS1_3genE9ELNS1_11target_archE1100ELNS1_3gpuE3ELNS1_3repE0EEENS1_30default_config_static_selectorELNS0_4arch9wavefront6targetE1EEEvT1_
	.globl	_ZN7rocprim17ROCPRIM_400000_NS6detail17trampoline_kernelINS0_14default_configENS1_25partition_config_selectorILNS1_17partition_subalgoE1EtNS0_10empty_typeEbEEZZNS1_14partition_implILS5_1ELb0ES3_jN6thrust23THRUST_200600_302600_NS6detail15normal_iteratorINSA_10device_ptrItEEEEPS6_NSA_18transform_iteratorI7is_evenItESF_NSA_11use_defaultESK_EENS0_5tupleIJSF_SF_EEENSM_IJSG_SG_EEES6_PlJS6_EEE10hipError_tPvRmT3_T4_T5_T6_T7_T9_mT8_P12ihipStream_tbDpT10_ENKUlT_T0_E_clISt17integral_constantIbLb1EES18_IbLb0EEEEDaS14_S15_EUlS14_E_NS1_11comp_targetILNS1_3genE9ELNS1_11target_archE1100ELNS1_3gpuE3ELNS1_3repE0EEENS1_30default_config_static_selectorELNS0_4arch9wavefront6targetE1EEEvT1_
	.p2align	8
	.type	_ZN7rocprim17ROCPRIM_400000_NS6detail17trampoline_kernelINS0_14default_configENS1_25partition_config_selectorILNS1_17partition_subalgoE1EtNS0_10empty_typeEbEEZZNS1_14partition_implILS5_1ELb0ES3_jN6thrust23THRUST_200600_302600_NS6detail15normal_iteratorINSA_10device_ptrItEEEEPS6_NSA_18transform_iteratorI7is_evenItESF_NSA_11use_defaultESK_EENS0_5tupleIJSF_SF_EEENSM_IJSG_SG_EEES6_PlJS6_EEE10hipError_tPvRmT3_T4_T5_T6_T7_T9_mT8_P12ihipStream_tbDpT10_ENKUlT_T0_E_clISt17integral_constantIbLb1EES18_IbLb0EEEEDaS14_S15_EUlS14_E_NS1_11comp_targetILNS1_3genE9ELNS1_11target_archE1100ELNS1_3gpuE3ELNS1_3repE0EEENS1_30default_config_static_selectorELNS0_4arch9wavefront6targetE1EEEvT1_,@function
_ZN7rocprim17ROCPRIM_400000_NS6detail17trampoline_kernelINS0_14default_configENS1_25partition_config_selectorILNS1_17partition_subalgoE1EtNS0_10empty_typeEbEEZZNS1_14partition_implILS5_1ELb0ES3_jN6thrust23THRUST_200600_302600_NS6detail15normal_iteratorINSA_10device_ptrItEEEEPS6_NSA_18transform_iteratorI7is_evenItESF_NSA_11use_defaultESK_EENS0_5tupleIJSF_SF_EEENSM_IJSG_SG_EEES6_PlJS6_EEE10hipError_tPvRmT3_T4_T5_T6_T7_T9_mT8_P12ihipStream_tbDpT10_ENKUlT_T0_E_clISt17integral_constantIbLb1EES18_IbLb0EEEEDaS14_S15_EUlS14_E_NS1_11comp_targetILNS1_3genE9ELNS1_11target_archE1100ELNS1_3gpuE3ELNS1_3repE0EEENS1_30default_config_static_selectorELNS0_4arch9wavefront6targetE1EEEvT1_: ; @_ZN7rocprim17ROCPRIM_400000_NS6detail17trampoline_kernelINS0_14default_configENS1_25partition_config_selectorILNS1_17partition_subalgoE1EtNS0_10empty_typeEbEEZZNS1_14partition_implILS5_1ELb0ES3_jN6thrust23THRUST_200600_302600_NS6detail15normal_iteratorINSA_10device_ptrItEEEEPS6_NSA_18transform_iteratorI7is_evenItESF_NSA_11use_defaultESK_EENS0_5tupleIJSF_SF_EEENSM_IJSG_SG_EEES6_PlJS6_EEE10hipError_tPvRmT3_T4_T5_T6_T7_T9_mT8_P12ihipStream_tbDpT10_ENKUlT_T0_E_clISt17integral_constantIbLb1EES18_IbLb0EEEEDaS14_S15_EUlS14_E_NS1_11comp_targetILNS1_3genE9ELNS1_11target_archE1100ELNS1_3gpuE3ELNS1_3repE0EEENS1_30default_config_static_selectorELNS0_4arch9wavefront6targetE1EEEvT1_
; %bb.0:
	.section	.rodata,"a",@progbits
	.p2align	6, 0x0
	.amdhsa_kernel _ZN7rocprim17ROCPRIM_400000_NS6detail17trampoline_kernelINS0_14default_configENS1_25partition_config_selectorILNS1_17partition_subalgoE1EtNS0_10empty_typeEbEEZZNS1_14partition_implILS5_1ELb0ES3_jN6thrust23THRUST_200600_302600_NS6detail15normal_iteratorINSA_10device_ptrItEEEEPS6_NSA_18transform_iteratorI7is_evenItESF_NSA_11use_defaultESK_EENS0_5tupleIJSF_SF_EEENSM_IJSG_SG_EEES6_PlJS6_EEE10hipError_tPvRmT3_T4_T5_T6_T7_T9_mT8_P12ihipStream_tbDpT10_ENKUlT_T0_E_clISt17integral_constantIbLb1EES18_IbLb0EEEEDaS14_S15_EUlS14_E_NS1_11comp_targetILNS1_3genE9ELNS1_11target_archE1100ELNS1_3gpuE3ELNS1_3repE0EEENS1_30default_config_static_selectorELNS0_4arch9wavefront6targetE1EEEvT1_
		.amdhsa_group_segment_fixed_size 0
		.amdhsa_private_segment_fixed_size 0
		.amdhsa_kernarg_size 128
		.amdhsa_user_sgpr_count 6
		.amdhsa_user_sgpr_private_segment_buffer 1
		.amdhsa_user_sgpr_dispatch_ptr 0
		.amdhsa_user_sgpr_queue_ptr 0
		.amdhsa_user_sgpr_kernarg_segment_ptr 1
		.amdhsa_user_sgpr_dispatch_id 0
		.amdhsa_user_sgpr_flat_scratch_init 0
		.amdhsa_user_sgpr_kernarg_preload_length 0
		.amdhsa_user_sgpr_kernarg_preload_offset 0
		.amdhsa_user_sgpr_private_segment_size 0
		.amdhsa_uses_dynamic_stack 0
		.amdhsa_system_sgpr_private_segment_wavefront_offset 0
		.amdhsa_system_sgpr_workgroup_id_x 1
		.amdhsa_system_sgpr_workgroup_id_y 0
		.amdhsa_system_sgpr_workgroup_id_z 0
		.amdhsa_system_sgpr_workgroup_info 0
		.amdhsa_system_vgpr_workitem_id 0
		.amdhsa_next_free_vgpr 1
		.amdhsa_next_free_sgpr 0
		.amdhsa_accum_offset 4
		.amdhsa_reserve_vcc 0
		.amdhsa_reserve_flat_scratch 0
		.amdhsa_float_round_mode_32 0
		.amdhsa_float_round_mode_16_64 0
		.amdhsa_float_denorm_mode_32 3
		.amdhsa_float_denorm_mode_16_64 3
		.amdhsa_dx10_clamp 1
		.amdhsa_ieee_mode 1
		.amdhsa_fp16_overflow 0
		.amdhsa_tg_split 0
		.amdhsa_exception_fp_ieee_invalid_op 0
		.amdhsa_exception_fp_denorm_src 0
		.amdhsa_exception_fp_ieee_div_zero 0
		.amdhsa_exception_fp_ieee_overflow 0
		.amdhsa_exception_fp_ieee_underflow 0
		.amdhsa_exception_fp_ieee_inexact 0
		.amdhsa_exception_int_div_zero 0
	.end_amdhsa_kernel
	.section	.text._ZN7rocprim17ROCPRIM_400000_NS6detail17trampoline_kernelINS0_14default_configENS1_25partition_config_selectorILNS1_17partition_subalgoE1EtNS0_10empty_typeEbEEZZNS1_14partition_implILS5_1ELb0ES3_jN6thrust23THRUST_200600_302600_NS6detail15normal_iteratorINSA_10device_ptrItEEEEPS6_NSA_18transform_iteratorI7is_evenItESF_NSA_11use_defaultESK_EENS0_5tupleIJSF_SF_EEENSM_IJSG_SG_EEES6_PlJS6_EEE10hipError_tPvRmT3_T4_T5_T6_T7_T9_mT8_P12ihipStream_tbDpT10_ENKUlT_T0_E_clISt17integral_constantIbLb1EES18_IbLb0EEEEDaS14_S15_EUlS14_E_NS1_11comp_targetILNS1_3genE9ELNS1_11target_archE1100ELNS1_3gpuE3ELNS1_3repE0EEENS1_30default_config_static_selectorELNS0_4arch9wavefront6targetE1EEEvT1_,"axG",@progbits,_ZN7rocprim17ROCPRIM_400000_NS6detail17trampoline_kernelINS0_14default_configENS1_25partition_config_selectorILNS1_17partition_subalgoE1EtNS0_10empty_typeEbEEZZNS1_14partition_implILS5_1ELb0ES3_jN6thrust23THRUST_200600_302600_NS6detail15normal_iteratorINSA_10device_ptrItEEEEPS6_NSA_18transform_iteratorI7is_evenItESF_NSA_11use_defaultESK_EENS0_5tupleIJSF_SF_EEENSM_IJSG_SG_EEES6_PlJS6_EEE10hipError_tPvRmT3_T4_T5_T6_T7_T9_mT8_P12ihipStream_tbDpT10_ENKUlT_T0_E_clISt17integral_constantIbLb1EES18_IbLb0EEEEDaS14_S15_EUlS14_E_NS1_11comp_targetILNS1_3genE9ELNS1_11target_archE1100ELNS1_3gpuE3ELNS1_3repE0EEENS1_30default_config_static_selectorELNS0_4arch9wavefront6targetE1EEEvT1_,comdat
.Lfunc_end2289:
	.size	_ZN7rocprim17ROCPRIM_400000_NS6detail17trampoline_kernelINS0_14default_configENS1_25partition_config_selectorILNS1_17partition_subalgoE1EtNS0_10empty_typeEbEEZZNS1_14partition_implILS5_1ELb0ES3_jN6thrust23THRUST_200600_302600_NS6detail15normal_iteratorINSA_10device_ptrItEEEEPS6_NSA_18transform_iteratorI7is_evenItESF_NSA_11use_defaultESK_EENS0_5tupleIJSF_SF_EEENSM_IJSG_SG_EEES6_PlJS6_EEE10hipError_tPvRmT3_T4_T5_T6_T7_T9_mT8_P12ihipStream_tbDpT10_ENKUlT_T0_E_clISt17integral_constantIbLb1EES18_IbLb0EEEEDaS14_S15_EUlS14_E_NS1_11comp_targetILNS1_3genE9ELNS1_11target_archE1100ELNS1_3gpuE3ELNS1_3repE0EEENS1_30default_config_static_selectorELNS0_4arch9wavefront6targetE1EEEvT1_, .Lfunc_end2289-_ZN7rocprim17ROCPRIM_400000_NS6detail17trampoline_kernelINS0_14default_configENS1_25partition_config_selectorILNS1_17partition_subalgoE1EtNS0_10empty_typeEbEEZZNS1_14partition_implILS5_1ELb0ES3_jN6thrust23THRUST_200600_302600_NS6detail15normal_iteratorINSA_10device_ptrItEEEEPS6_NSA_18transform_iteratorI7is_evenItESF_NSA_11use_defaultESK_EENS0_5tupleIJSF_SF_EEENSM_IJSG_SG_EEES6_PlJS6_EEE10hipError_tPvRmT3_T4_T5_T6_T7_T9_mT8_P12ihipStream_tbDpT10_ENKUlT_T0_E_clISt17integral_constantIbLb1EES18_IbLb0EEEEDaS14_S15_EUlS14_E_NS1_11comp_targetILNS1_3genE9ELNS1_11target_archE1100ELNS1_3gpuE3ELNS1_3repE0EEENS1_30default_config_static_selectorELNS0_4arch9wavefront6targetE1EEEvT1_
                                        ; -- End function
	.section	.AMDGPU.csdata,"",@progbits
; Kernel info:
; codeLenInByte = 0
; NumSgprs: 4
; NumVgprs: 0
; NumAgprs: 0
; TotalNumVgprs: 0
; ScratchSize: 0
; MemoryBound: 0
; FloatMode: 240
; IeeeMode: 1
; LDSByteSize: 0 bytes/workgroup (compile time only)
; SGPRBlocks: 0
; VGPRBlocks: 0
; NumSGPRsForWavesPerEU: 4
; NumVGPRsForWavesPerEU: 1
; AccumOffset: 4
; Occupancy: 8
; WaveLimiterHint : 0
; COMPUTE_PGM_RSRC2:SCRATCH_EN: 0
; COMPUTE_PGM_RSRC2:USER_SGPR: 6
; COMPUTE_PGM_RSRC2:TRAP_HANDLER: 0
; COMPUTE_PGM_RSRC2:TGID_X_EN: 1
; COMPUTE_PGM_RSRC2:TGID_Y_EN: 0
; COMPUTE_PGM_RSRC2:TGID_Z_EN: 0
; COMPUTE_PGM_RSRC2:TIDIG_COMP_CNT: 0
; COMPUTE_PGM_RSRC3_GFX90A:ACCUM_OFFSET: 0
; COMPUTE_PGM_RSRC3_GFX90A:TG_SPLIT: 0
	.section	.text._ZN7rocprim17ROCPRIM_400000_NS6detail17trampoline_kernelINS0_14default_configENS1_25partition_config_selectorILNS1_17partition_subalgoE1EtNS0_10empty_typeEbEEZZNS1_14partition_implILS5_1ELb0ES3_jN6thrust23THRUST_200600_302600_NS6detail15normal_iteratorINSA_10device_ptrItEEEEPS6_NSA_18transform_iteratorI7is_evenItESF_NSA_11use_defaultESK_EENS0_5tupleIJSF_SF_EEENSM_IJSG_SG_EEES6_PlJS6_EEE10hipError_tPvRmT3_T4_T5_T6_T7_T9_mT8_P12ihipStream_tbDpT10_ENKUlT_T0_E_clISt17integral_constantIbLb1EES18_IbLb0EEEEDaS14_S15_EUlS14_E_NS1_11comp_targetILNS1_3genE8ELNS1_11target_archE1030ELNS1_3gpuE2ELNS1_3repE0EEENS1_30default_config_static_selectorELNS0_4arch9wavefront6targetE1EEEvT1_,"axG",@progbits,_ZN7rocprim17ROCPRIM_400000_NS6detail17trampoline_kernelINS0_14default_configENS1_25partition_config_selectorILNS1_17partition_subalgoE1EtNS0_10empty_typeEbEEZZNS1_14partition_implILS5_1ELb0ES3_jN6thrust23THRUST_200600_302600_NS6detail15normal_iteratorINSA_10device_ptrItEEEEPS6_NSA_18transform_iteratorI7is_evenItESF_NSA_11use_defaultESK_EENS0_5tupleIJSF_SF_EEENSM_IJSG_SG_EEES6_PlJS6_EEE10hipError_tPvRmT3_T4_T5_T6_T7_T9_mT8_P12ihipStream_tbDpT10_ENKUlT_T0_E_clISt17integral_constantIbLb1EES18_IbLb0EEEEDaS14_S15_EUlS14_E_NS1_11comp_targetILNS1_3genE8ELNS1_11target_archE1030ELNS1_3gpuE2ELNS1_3repE0EEENS1_30default_config_static_selectorELNS0_4arch9wavefront6targetE1EEEvT1_,comdat
	.protected	_ZN7rocprim17ROCPRIM_400000_NS6detail17trampoline_kernelINS0_14default_configENS1_25partition_config_selectorILNS1_17partition_subalgoE1EtNS0_10empty_typeEbEEZZNS1_14partition_implILS5_1ELb0ES3_jN6thrust23THRUST_200600_302600_NS6detail15normal_iteratorINSA_10device_ptrItEEEEPS6_NSA_18transform_iteratorI7is_evenItESF_NSA_11use_defaultESK_EENS0_5tupleIJSF_SF_EEENSM_IJSG_SG_EEES6_PlJS6_EEE10hipError_tPvRmT3_T4_T5_T6_T7_T9_mT8_P12ihipStream_tbDpT10_ENKUlT_T0_E_clISt17integral_constantIbLb1EES18_IbLb0EEEEDaS14_S15_EUlS14_E_NS1_11comp_targetILNS1_3genE8ELNS1_11target_archE1030ELNS1_3gpuE2ELNS1_3repE0EEENS1_30default_config_static_selectorELNS0_4arch9wavefront6targetE1EEEvT1_ ; -- Begin function _ZN7rocprim17ROCPRIM_400000_NS6detail17trampoline_kernelINS0_14default_configENS1_25partition_config_selectorILNS1_17partition_subalgoE1EtNS0_10empty_typeEbEEZZNS1_14partition_implILS5_1ELb0ES3_jN6thrust23THRUST_200600_302600_NS6detail15normal_iteratorINSA_10device_ptrItEEEEPS6_NSA_18transform_iteratorI7is_evenItESF_NSA_11use_defaultESK_EENS0_5tupleIJSF_SF_EEENSM_IJSG_SG_EEES6_PlJS6_EEE10hipError_tPvRmT3_T4_T5_T6_T7_T9_mT8_P12ihipStream_tbDpT10_ENKUlT_T0_E_clISt17integral_constantIbLb1EES18_IbLb0EEEEDaS14_S15_EUlS14_E_NS1_11comp_targetILNS1_3genE8ELNS1_11target_archE1030ELNS1_3gpuE2ELNS1_3repE0EEENS1_30default_config_static_selectorELNS0_4arch9wavefront6targetE1EEEvT1_
	.globl	_ZN7rocprim17ROCPRIM_400000_NS6detail17trampoline_kernelINS0_14default_configENS1_25partition_config_selectorILNS1_17partition_subalgoE1EtNS0_10empty_typeEbEEZZNS1_14partition_implILS5_1ELb0ES3_jN6thrust23THRUST_200600_302600_NS6detail15normal_iteratorINSA_10device_ptrItEEEEPS6_NSA_18transform_iteratorI7is_evenItESF_NSA_11use_defaultESK_EENS0_5tupleIJSF_SF_EEENSM_IJSG_SG_EEES6_PlJS6_EEE10hipError_tPvRmT3_T4_T5_T6_T7_T9_mT8_P12ihipStream_tbDpT10_ENKUlT_T0_E_clISt17integral_constantIbLb1EES18_IbLb0EEEEDaS14_S15_EUlS14_E_NS1_11comp_targetILNS1_3genE8ELNS1_11target_archE1030ELNS1_3gpuE2ELNS1_3repE0EEENS1_30default_config_static_selectorELNS0_4arch9wavefront6targetE1EEEvT1_
	.p2align	8
	.type	_ZN7rocprim17ROCPRIM_400000_NS6detail17trampoline_kernelINS0_14default_configENS1_25partition_config_selectorILNS1_17partition_subalgoE1EtNS0_10empty_typeEbEEZZNS1_14partition_implILS5_1ELb0ES3_jN6thrust23THRUST_200600_302600_NS6detail15normal_iteratorINSA_10device_ptrItEEEEPS6_NSA_18transform_iteratorI7is_evenItESF_NSA_11use_defaultESK_EENS0_5tupleIJSF_SF_EEENSM_IJSG_SG_EEES6_PlJS6_EEE10hipError_tPvRmT3_T4_T5_T6_T7_T9_mT8_P12ihipStream_tbDpT10_ENKUlT_T0_E_clISt17integral_constantIbLb1EES18_IbLb0EEEEDaS14_S15_EUlS14_E_NS1_11comp_targetILNS1_3genE8ELNS1_11target_archE1030ELNS1_3gpuE2ELNS1_3repE0EEENS1_30default_config_static_selectorELNS0_4arch9wavefront6targetE1EEEvT1_,@function
_ZN7rocprim17ROCPRIM_400000_NS6detail17trampoline_kernelINS0_14default_configENS1_25partition_config_selectorILNS1_17partition_subalgoE1EtNS0_10empty_typeEbEEZZNS1_14partition_implILS5_1ELb0ES3_jN6thrust23THRUST_200600_302600_NS6detail15normal_iteratorINSA_10device_ptrItEEEEPS6_NSA_18transform_iteratorI7is_evenItESF_NSA_11use_defaultESK_EENS0_5tupleIJSF_SF_EEENSM_IJSG_SG_EEES6_PlJS6_EEE10hipError_tPvRmT3_T4_T5_T6_T7_T9_mT8_P12ihipStream_tbDpT10_ENKUlT_T0_E_clISt17integral_constantIbLb1EES18_IbLb0EEEEDaS14_S15_EUlS14_E_NS1_11comp_targetILNS1_3genE8ELNS1_11target_archE1030ELNS1_3gpuE2ELNS1_3repE0EEENS1_30default_config_static_selectorELNS0_4arch9wavefront6targetE1EEEvT1_: ; @_ZN7rocprim17ROCPRIM_400000_NS6detail17trampoline_kernelINS0_14default_configENS1_25partition_config_selectorILNS1_17partition_subalgoE1EtNS0_10empty_typeEbEEZZNS1_14partition_implILS5_1ELb0ES3_jN6thrust23THRUST_200600_302600_NS6detail15normal_iteratorINSA_10device_ptrItEEEEPS6_NSA_18transform_iteratorI7is_evenItESF_NSA_11use_defaultESK_EENS0_5tupleIJSF_SF_EEENSM_IJSG_SG_EEES6_PlJS6_EEE10hipError_tPvRmT3_T4_T5_T6_T7_T9_mT8_P12ihipStream_tbDpT10_ENKUlT_T0_E_clISt17integral_constantIbLb1EES18_IbLb0EEEEDaS14_S15_EUlS14_E_NS1_11comp_targetILNS1_3genE8ELNS1_11target_archE1030ELNS1_3gpuE2ELNS1_3repE0EEENS1_30default_config_static_selectorELNS0_4arch9wavefront6targetE1EEEvT1_
; %bb.0:
	.section	.rodata,"a",@progbits
	.p2align	6, 0x0
	.amdhsa_kernel _ZN7rocprim17ROCPRIM_400000_NS6detail17trampoline_kernelINS0_14default_configENS1_25partition_config_selectorILNS1_17partition_subalgoE1EtNS0_10empty_typeEbEEZZNS1_14partition_implILS5_1ELb0ES3_jN6thrust23THRUST_200600_302600_NS6detail15normal_iteratorINSA_10device_ptrItEEEEPS6_NSA_18transform_iteratorI7is_evenItESF_NSA_11use_defaultESK_EENS0_5tupleIJSF_SF_EEENSM_IJSG_SG_EEES6_PlJS6_EEE10hipError_tPvRmT3_T4_T5_T6_T7_T9_mT8_P12ihipStream_tbDpT10_ENKUlT_T0_E_clISt17integral_constantIbLb1EES18_IbLb0EEEEDaS14_S15_EUlS14_E_NS1_11comp_targetILNS1_3genE8ELNS1_11target_archE1030ELNS1_3gpuE2ELNS1_3repE0EEENS1_30default_config_static_selectorELNS0_4arch9wavefront6targetE1EEEvT1_
		.amdhsa_group_segment_fixed_size 0
		.amdhsa_private_segment_fixed_size 0
		.amdhsa_kernarg_size 128
		.amdhsa_user_sgpr_count 6
		.amdhsa_user_sgpr_private_segment_buffer 1
		.amdhsa_user_sgpr_dispatch_ptr 0
		.amdhsa_user_sgpr_queue_ptr 0
		.amdhsa_user_sgpr_kernarg_segment_ptr 1
		.amdhsa_user_sgpr_dispatch_id 0
		.amdhsa_user_sgpr_flat_scratch_init 0
		.amdhsa_user_sgpr_kernarg_preload_length 0
		.amdhsa_user_sgpr_kernarg_preload_offset 0
		.amdhsa_user_sgpr_private_segment_size 0
		.amdhsa_uses_dynamic_stack 0
		.amdhsa_system_sgpr_private_segment_wavefront_offset 0
		.amdhsa_system_sgpr_workgroup_id_x 1
		.amdhsa_system_sgpr_workgroup_id_y 0
		.amdhsa_system_sgpr_workgroup_id_z 0
		.amdhsa_system_sgpr_workgroup_info 0
		.amdhsa_system_vgpr_workitem_id 0
		.amdhsa_next_free_vgpr 1
		.amdhsa_next_free_sgpr 0
		.amdhsa_accum_offset 4
		.amdhsa_reserve_vcc 0
		.amdhsa_reserve_flat_scratch 0
		.amdhsa_float_round_mode_32 0
		.amdhsa_float_round_mode_16_64 0
		.amdhsa_float_denorm_mode_32 3
		.amdhsa_float_denorm_mode_16_64 3
		.amdhsa_dx10_clamp 1
		.amdhsa_ieee_mode 1
		.amdhsa_fp16_overflow 0
		.amdhsa_tg_split 0
		.amdhsa_exception_fp_ieee_invalid_op 0
		.amdhsa_exception_fp_denorm_src 0
		.amdhsa_exception_fp_ieee_div_zero 0
		.amdhsa_exception_fp_ieee_overflow 0
		.amdhsa_exception_fp_ieee_underflow 0
		.amdhsa_exception_fp_ieee_inexact 0
		.amdhsa_exception_int_div_zero 0
	.end_amdhsa_kernel
	.section	.text._ZN7rocprim17ROCPRIM_400000_NS6detail17trampoline_kernelINS0_14default_configENS1_25partition_config_selectorILNS1_17partition_subalgoE1EtNS0_10empty_typeEbEEZZNS1_14partition_implILS5_1ELb0ES3_jN6thrust23THRUST_200600_302600_NS6detail15normal_iteratorINSA_10device_ptrItEEEEPS6_NSA_18transform_iteratorI7is_evenItESF_NSA_11use_defaultESK_EENS0_5tupleIJSF_SF_EEENSM_IJSG_SG_EEES6_PlJS6_EEE10hipError_tPvRmT3_T4_T5_T6_T7_T9_mT8_P12ihipStream_tbDpT10_ENKUlT_T0_E_clISt17integral_constantIbLb1EES18_IbLb0EEEEDaS14_S15_EUlS14_E_NS1_11comp_targetILNS1_3genE8ELNS1_11target_archE1030ELNS1_3gpuE2ELNS1_3repE0EEENS1_30default_config_static_selectorELNS0_4arch9wavefront6targetE1EEEvT1_,"axG",@progbits,_ZN7rocprim17ROCPRIM_400000_NS6detail17trampoline_kernelINS0_14default_configENS1_25partition_config_selectorILNS1_17partition_subalgoE1EtNS0_10empty_typeEbEEZZNS1_14partition_implILS5_1ELb0ES3_jN6thrust23THRUST_200600_302600_NS6detail15normal_iteratorINSA_10device_ptrItEEEEPS6_NSA_18transform_iteratorI7is_evenItESF_NSA_11use_defaultESK_EENS0_5tupleIJSF_SF_EEENSM_IJSG_SG_EEES6_PlJS6_EEE10hipError_tPvRmT3_T4_T5_T6_T7_T9_mT8_P12ihipStream_tbDpT10_ENKUlT_T0_E_clISt17integral_constantIbLb1EES18_IbLb0EEEEDaS14_S15_EUlS14_E_NS1_11comp_targetILNS1_3genE8ELNS1_11target_archE1030ELNS1_3gpuE2ELNS1_3repE0EEENS1_30default_config_static_selectorELNS0_4arch9wavefront6targetE1EEEvT1_,comdat
.Lfunc_end2290:
	.size	_ZN7rocprim17ROCPRIM_400000_NS6detail17trampoline_kernelINS0_14default_configENS1_25partition_config_selectorILNS1_17partition_subalgoE1EtNS0_10empty_typeEbEEZZNS1_14partition_implILS5_1ELb0ES3_jN6thrust23THRUST_200600_302600_NS6detail15normal_iteratorINSA_10device_ptrItEEEEPS6_NSA_18transform_iteratorI7is_evenItESF_NSA_11use_defaultESK_EENS0_5tupleIJSF_SF_EEENSM_IJSG_SG_EEES6_PlJS6_EEE10hipError_tPvRmT3_T4_T5_T6_T7_T9_mT8_P12ihipStream_tbDpT10_ENKUlT_T0_E_clISt17integral_constantIbLb1EES18_IbLb0EEEEDaS14_S15_EUlS14_E_NS1_11comp_targetILNS1_3genE8ELNS1_11target_archE1030ELNS1_3gpuE2ELNS1_3repE0EEENS1_30default_config_static_selectorELNS0_4arch9wavefront6targetE1EEEvT1_, .Lfunc_end2290-_ZN7rocprim17ROCPRIM_400000_NS6detail17trampoline_kernelINS0_14default_configENS1_25partition_config_selectorILNS1_17partition_subalgoE1EtNS0_10empty_typeEbEEZZNS1_14partition_implILS5_1ELb0ES3_jN6thrust23THRUST_200600_302600_NS6detail15normal_iteratorINSA_10device_ptrItEEEEPS6_NSA_18transform_iteratorI7is_evenItESF_NSA_11use_defaultESK_EENS0_5tupleIJSF_SF_EEENSM_IJSG_SG_EEES6_PlJS6_EEE10hipError_tPvRmT3_T4_T5_T6_T7_T9_mT8_P12ihipStream_tbDpT10_ENKUlT_T0_E_clISt17integral_constantIbLb1EES18_IbLb0EEEEDaS14_S15_EUlS14_E_NS1_11comp_targetILNS1_3genE8ELNS1_11target_archE1030ELNS1_3gpuE2ELNS1_3repE0EEENS1_30default_config_static_selectorELNS0_4arch9wavefront6targetE1EEEvT1_
                                        ; -- End function
	.section	.AMDGPU.csdata,"",@progbits
; Kernel info:
; codeLenInByte = 0
; NumSgprs: 4
; NumVgprs: 0
; NumAgprs: 0
; TotalNumVgprs: 0
; ScratchSize: 0
; MemoryBound: 0
; FloatMode: 240
; IeeeMode: 1
; LDSByteSize: 0 bytes/workgroup (compile time only)
; SGPRBlocks: 0
; VGPRBlocks: 0
; NumSGPRsForWavesPerEU: 4
; NumVGPRsForWavesPerEU: 1
; AccumOffset: 4
; Occupancy: 8
; WaveLimiterHint : 0
; COMPUTE_PGM_RSRC2:SCRATCH_EN: 0
; COMPUTE_PGM_RSRC2:USER_SGPR: 6
; COMPUTE_PGM_RSRC2:TRAP_HANDLER: 0
; COMPUTE_PGM_RSRC2:TGID_X_EN: 1
; COMPUTE_PGM_RSRC2:TGID_Y_EN: 0
; COMPUTE_PGM_RSRC2:TGID_Z_EN: 0
; COMPUTE_PGM_RSRC2:TIDIG_COMP_CNT: 0
; COMPUTE_PGM_RSRC3_GFX90A:ACCUM_OFFSET: 0
; COMPUTE_PGM_RSRC3_GFX90A:TG_SPLIT: 0
	.section	.text._ZN7rocprim17ROCPRIM_400000_NS6detail17trampoline_kernelINS0_14default_configENS1_25partition_config_selectorILNS1_17partition_subalgoE1EtNS0_10empty_typeEbEEZZNS1_14partition_implILS5_1ELb0ES3_jN6thrust23THRUST_200600_302600_NS6detail15normal_iteratorINSA_10device_ptrItEEEEPS6_NSA_18transform_iteratorI7is_evenItESF_NSA_11use_defaultESK_EENS0_5tupleIJSF_SF_EEENSM_IJSG_SG_EEES6_PlJS6_EEE10hipError_tPvRmT3_T4_T5_T6_T7_T9_mT8_P12ihipStream_tbDpT10_ENKUlT_T0_E_clISt17integral_constantIbLb0EES18_IbLb1EEEEDaS14_S15_EUlS14_E_NS1_11comp_targetILNS1_3genE0ELNS1_11target_archE4294967295ELNS1_3gpuE0ELNS1_3repE0EEENS1_30default_config_static_selectorELNS0_4arch9wavefront6targetE1EEEvT1_,"axG",@progbits,_ZN7rocprim17ROCPRIM_400000_NS6detail17trampoline_kernelINS0_14default_configENS1_25partition_config_selectorILNS1_17partition_subalgoE1EtNS0_10empty_typeEbEEZZNS1_14partition_implILS5_1ELb0ES3_jN6thrust23THRUST_200600_302600_NS6detail15normal_iteratorINSA_10device_ptrItEEEEPS6_NSA_18transform_iteratorI7is_evenItESF_NSA_11use_defaultESK_EENS0_5tupleIJSF_SF_EEENSM_IJSG_SG_EEES6_PlJS6_EEE10hipError_tPvRmT3_T4_T5_T6_T7_T9_mT8_P12ihipStream_tbDpT10_ENKUlT_T0_E_clISt17integral_constantIbLb0EES18_IbLb1EEEEDaS14_S15_EUlS14_E_NS1_11comp_targetILNS1_3genE0ELNS1_11target_archE4294967295ELNS1_3gpuE0ELNS1_3repE0EEENS1_30default_config_static_selectorELNS0_4arch9wavefront6targetE1EEEvT1_,comdat
	.protected	_ZN7rocprim17ROCPRIM_400000_NS6detail17trampoline_kernelINS0_14default_configENS1_25partition_config_selectorILNS1_17partition_subalgoE1EtNS0_10empty_typeEbEEZZNS1_14partition_implILS5_1ELb0ES3_jN6thrust23THRUST_200600_302600_NS6detail15normal_iteratorINSA_10device_ptrItEEEEPS6_NSA_18transform_iteratorI7is_evenItESF_NSA_11use_defaultESK_EENS0_5tupleIJSF_SF_EEENSM_IJSG_SG_EEES6_PlJS6_EEE10hipError_tPvRmT3_T4_T5_T6_T7_T9_mT8_P12ihipStream_tbDpT10_ENKUlT_T0_E_clISt17integral_constantIbLb0EES18_IbLb1EEEEDaS14_S15_EUlS14_E_NS1_11comp_targetILNS1_3genE0ELNS1_11target_archE4294967295ELNS1_3gpuE0ELNS1_3repE0EEENS1_30default_config_static_selectorELNS0_4arch9wavefront6targetE1EEEvT1_ ; -- Begin function _ZN7rocprim17ROCPRIM_400000_NS6detail17trampoline_kernelINS0_14default_configENS1_25partition_config_selectorILNS1_17partition_subalgoE1EtNS0_10empty_typeEbEEZZNS1_14partition_implILS5_1ELb0ES3_jN6thrust23THRUST_200600_302600_NS6detail15normal_iteratorINSA_10device_ptrItEEEEPS6_NSA_18transform_iteratorI7is_evenItESF_NSA_11use_defaultESK_EENS0_5tupleIJSF_SF_EEENSM_IJSG_SG_EEES6_PlJS6_EEE10hipError_tPvRmT3_T4_T5_T6_T7_T9_mT8_P12ihipStream_tbDpT10_ENKUlT_T0_E_clISt17integral_constantIbLb0EES18_IbLb1EEEEDaS14_S15_EUlS14_E_NS1_11comp_targetILNS1_3genE0ELNS1_11target_archE4294967295ELNS1_3gpuE0ELNS1_3repE0EEENS1_30default_config_static_selectorELNS0_4arch9wavefront6targetE1EEEvT1_
	.globl	_ZN7rocprim17ROCPRIM_400000_NS6detail17trampoline_kernelINS0_14default_configENS1_25partition_config_selectorILNS1_17partition_subalgoE1EtNS0_10empty_typeEbEEZZNS1_14partition_implILS5_1ELb0ES3_jN6thrust23THRUST_200600_302600_NS6detail15normal_iteratorINSA_10device_ptrItEEEEPS6_NSA_18transform_iteratorI7is_evenItESF_NSA_11use_defaultESK_EENS0_5tupleIJSF_SF_EEENSM_IJSG_SG_EEES6_PlJS6_EEE10hipError_tPvRmT3_T4_T5_T6_T7_T9_mT8_P12ihipStream_tbDpT10_ENKUlT_T0_E_clISt17integral_constantIbLb0EES18_IbLb1EEEEDaS14_S15_EUlS14_E_NS1_11comp_targetILNS1_3genE0ELNS1_11target_archE4294967295ELNS1_3gpuE0ELNS1_3repE0EEENS1_30default_config_static_selectorELNS0_4arch9wavefront6targetE1EEEvT1_
	.p2align	8
	.type	_ZN7rocprim17ROCPRIM_400000_NS6detail17trampoline_kernelINS0_14default_configENS1_25partition_config_selectorILNS1_17partition_subalgoE1EtNS0_10empty_typeEbEEZZNS1_14partition_implILS5_1ELb0ES3_jN6thrust23THRUST_200600_302600_NS6detail15normal_iteratorINSA_10device_ptrItEEEEPS6_NSA_18transform_iteratorI7is_evenItESF_NSA_11use_defaultESK_EENS0_5tupleIJSF_SF_EEENSM_IJSG_SG_EEES6_PlJS6_EEE10hipError_tPvRmT3_T4_T5_T6_T7_T9_mT8_P12ihipStream_tbDpT10_ENKUlT_T0_E_clISt17integral_constantIbLb0EES18_IbLb1EEEEDaS14_S15_EUlS14_E_NS1_11comp_targetILNS1_3genE0ELNS1_11target_archE4294967295ELNS1_3gpuE0ELNS1_3repE0EEENS1_30default_config_static_selectorELNS0_4arch9wavefront6targetE1EEEvT1_,@function
_ZN7rocprim17ROCPRIM_400000_NS6detail17trampoline_kernelINS0_14default_configENS1_25partition_config_selectorILNS1_17partition_subalgoE1EtNS0_10empty_typeEbEEZZNS1_14partition_implILS5_1ELb0ES3_jN6thrust23THRUST_200600_302600_NS6detail15normal_iteratorINSA_10device_ptrItEEEEPS6_NSA_18transform_iteratorI7is_evenItESF_NSA_11use_defaultESK_EENS0_5tupleIJSF_SF_EEENSM_IJSG_SG_EEES6_PlJS6_EEE10hipError_tPvRmT3_T4_T5_T6_T7_T9_mT8_P12ihipStream_tbDpT10_ENKUlT_T0_E_clISt17integral_constantIbLb0EES18_IbLb1EEEEDaS14_S15_EUlS14_E_NS1_11comp_targetILNS1_3genE0ELNS1_11target_archE4294967295ELNS1_3gpuE0ELNS1_3repE0EEENS1_30default_config_static_selectorELNS0_4arch9wavefront6targetE1EEEvT1_: ; @_ZN7rocprim17ROCPRIM_400000_NS6detail17trampoline_kernelINS0_14default_configENS1_25partition_config_selectorILNS1_17partition_subalgoE1EtNS0_10empty_typeEbEEZZNS1_14partition_implILS5_1ELb0ES3_jN6thrust23THRUST_200600_302600_NS6detail15normal_iteratorINSA_10device_ptrItEEEEPS6_NSA_18transform_iteratorI7is_evenItESF_NSA_11use_defaultESK_EENS0_5tupleIJSF_SF_EEENSM_IJSG_SG_EEES6_PlJS6_EEE10hipError_tPvRmT3_T4_T5_T6_T7_T9_mT8_P12ihipStream_tbDpT10_ENKUlT_T0_E_clISt17integral_constantIbLb0EES18_IbLb1EEEEDaS14_S15_EUlS14_E_NS1_11comp_targetILNS1_3genE0ELNS1_11target_archE4294967295ELNS1_3gpuE0ELNS1_3repE0EEENS1_30default_config_static_selectorELNS0_4arch9wavefront6targetE1EEEvT1_
; %bb.0:
	.section	.rodata,"a",@progbits
	.p2align	6, 0x0
	.amdhsa_kernel _ZN7rocprim17ROCPRIM_400000_NS6detail17trampoline_kernelINS0_14default_configENS1_25partition_config_selectorILNS1_17partition_subalgoE1EtNS0_10empty_typeEbEEZZNS1_14partition_implILS5_1ELb0ES3_jN6thrust23THRUST_200600_302600_NS6detail15normal_iteratorINSA_10device_ptrItEEEEPS6_NSA_18transform_iteratorI7is_evenItESF_NSA_11use_defaultESK_EENS0_5tupleIJSF_SF_EEENSM_IJSG_SG_EEES6_PlJS6_EEE10hipError_tPvRmT3_T4_T5_T6_T7_T9_mT8_P12ihipStream_tbDpT10_ENKUlT_T0_E_clISt17integral_constantIbLb0EES18_IbLb1EEEEDaS14_S15_EUlS14_E_NS1_11comp_targetILNS1_3genE0ELNS1_11target_archE4294967295ELNS1_3gpuE0ELNS1_3repE0EEENS1_30default_config_static_selectorELNS0_4arch9wavefront6targetE1EEEvT1_
		.amdhsa_group_segment_fixed_size 0
		.amdhsa_private_segment_fixed_size 0
		.amdhsa_kernarg_size 144
		.amdhsa_user_sgpr_count 6
		.amdhsa_user_sgpr_private_segment_buffer 1
		.amdhsa_user_sgpr_dispatch_ptr 0
		.amdhsa_user_sgpr_queue_ptr 0
		.amdhsa_user_sgpr_kernarg_segment_ptr 1
		.amdhsa_user_sgpr_dispatch_id 0
		.amdhsa_user_sgpr_flat_scratch_init 0
		.amdhsa_user_sgpr_kernarg_preload_length 0
		.amdhsa_user_sgpr_kernarg_preload_offset 0
		.amdhsa_user_sgpr_private_segment_size 0
		.amdhsa_uses_dynamic_stack 0
		.amdhsa_system_sgpr_private_segment_wavefront_offset 0
		.amdhsa_system_sgpr_workgroup_id_x 1
		.amdhsa_system_sgpr_workgroup_id_y 0
		.amdhsa_system_sgpr_workgroup_id_z 0
		.amdhsa_system_sgpr_workgroup_info 0
		.amdhsa_system_vgpr_workitem_id 0
		.amdhsa_next_free_vgpr 1
		.amdhsa_next_free_sgpr 0
		.amdhsa_accum_offset 4
		.amdhsa_reserve_vcc 0
		.amdhsa_reserve_flat_scratch 0
		.amdhsa_float_round_mode_32 0
		.amdhsa_float_round_mode_16_64 0
		.amdhsa_float_denorm_mode_32 3
		.amdhsa_float_denorm_mode_16_64 3
		.amdhsa_dx10_clamp 1
		.amdhsa_ieee_mode 1
		.amdhsa_fp16_overflow 0
		.amdhsa_tg_split 0
		.amdhsa_exception_fp_ieee_invalid_op 0
		.amdhsa_exception_fp_denorm_src 0
		.amdhsa_exception_fp_ieee_div_zero 0
		.amdhsa_exception_fp_ieee_overflow 0
		.amdhsa_exception_fp_ieee_underflow 0
		.amdhsa_exception_fp_ieee_inexact 0
		.amdhsa_exception_int_div_zero 0
	.end_amdhsa_kernel
	.section	.text._ZN7rocprim17ROCPRIM_400000_NS6detail17trampoline_kernelINS0_14default_configENS1_25partition_config_selectorILNS1_17partition_subalgoE1EtNS0_10empty_typeEbEEZZNS1_14partition_implILS5_1ELb0ES3_jN6thrust23THRUST_200600_302600_NS6detail15normal_iteratorINSA_10device_ptrItEEEEPS6_NSA_18transform_iteratorI7is_evenItESF_NSA_11use_defaultESK_EENS0_5tupleIJSF_SF_EEENSM_IJSG_SG_EEES6_PlJS6_EEE10hipError_tPvRmT3_T4_T5_T6_T7_T9_mT8_P12ihipStream_tbDpT10_ENKUlT_T0_E_clISt17integral_constantIbLb0EES18_IbLb1EEEEDaS14_S15_EUlS14_E_NS1_11comp_targetILNS1_3genE0ELNS1_11target_archE4294967295ELNS1_3gpuE0ELNS1_3repE0EEENS1_30default_config_static_selectorELNS0_4arch9wavefront6targetE1EEEvT1_,"axG",@progbits,_ZN7rocprim17ROCPRIM_400000_NS6detail17trampoline_kernelINS0_14default_configENS1_25partition_config_selectorILNS1_17partition_subalgoE1EtNS0_10empty_typeEbEEZZNS1_14partition_implILS5_1ELb0ES3_jN6thrust23THRUST_200600_302600_NS6detail15normal_iteratorINSA_10device_ptrItEEEEPS6_NSA_18transform_iteratorI7is_evenItESF_NSA_11use_defaultESK_EENS0_5tupleIJSF_SF_EEENSM_IJSG_SG_EEES6_PlJS6_EEE10hipError_tPvRmT3_T4_T5_T6_T7_T9_mT8_P12ihipStream_tbDpT10_ENKUlT_T0_E_clISt17integral_constantIbLb0EES18_IbLb1EEEEDaS14_S15_EUlS14_E_NS1_11comp_targetILNS1_3genE0ELNS1_11target_archE4294967295ELNS1_3gpuE0ELNS1_3repE0EEENS1_30default_config_static_selectorELNS0_4arch9wavefront6targetE1EEEvT1_,comdat
.Lfunc_end2291:
	.size	_ZN7rocprim17ROCPRIM_400000_NS6detail17trampoline_kernelINS0_14default_configENS1_25partition_config_selectorILNS1_17partition_subalgoE1EtNS0_10empty_typeEbEEZZNS1_14partition_implILS5_1ELb0ES3_jN6thrust23THRUST_200600_302600_NS6detail15normal_iteratorINSA_10device_ptrItEEEEPS6_NSA_18transform_iteratorI7is_evenItESF_NSA_11use_defaultESK_EENS0_5tupleIJSF_SF_EEENSM_IJSG_SG_EEES6_PlJS6_EEE10hipError_tPvRmT3_T4_T5_T6_T7_T9_mT8_P12ihipStream_tbDpT10_ENKUlT_T0_E_clISt17integral_constantIbLb0EES18_IbLb1EEEEDaS14_S15_EUlS14_E_NS1_11comp_targetILNS1_3genE0ELNS1_11target_archE4294967295ELNS1_3gpuE0ELNS1_3repE0EEENS1_30default_config_static_selectorELNS0_4arch9wavefront6targetE1EEEvT1_, .Lfunc_end2291-_ZN7rocprim17ROCPRIM_400000_NS6detail17trampoline_kernelINS0_14default_configENS1_25partition_config_selectorILNS1_17partition_subalgoE1EtNS0_10empty_typeEbEEZZNS1_14partition_implILS5_1ELb0ES3_jN6thrust23THRUST_200600_302600_NS6detail15normal_iteratorINSA_10device_ptrItEEEEPS6_NSA_18transform_iteratorI7is_evenItESF_NSA_11use_defaultESK_EENS0_5tupleIJSF_SF_EEENSM_IJSG_SG_EEES6_PlJS6_EEE10hipError_tPvRmT3_T4_T5_T6_T7_T9_mT8_P12ihipStream_tbDpT10_ENKUlT_T0_E_clISt17integral_constantIbLb0EES18_IbLb1EEEEDaS14_S15_EUlS14_E_NS1_11comp_targetILNS1_3genE0ELNS1_11target_archE4294967295ELNS1_3gpuE0ELNS1_3repE0EEENS1_30default_config_static_selectorELNS0_4arch9wavefront6targetE1EEEvT1_
                                        ; -- End function
	.section	.AMDGPU.csdata,"",@progbits
; Kernel info:
; codeLenInByte = 0
; NumSgprs: 4
; NumVgprs: 0
; NumAgprs: 0
; TotalNumVgprs: 0
; ScratchSize: 0
; MemoryBound: 0
; FloatMode: 240
; IeeeMode: 1
; LDSByteSize: 0 bytes/workgroup (compile time only)
; SGPRBlocks: 0
; VGPRBlocks: 0
; NumSGPRsForWavesPerEU: 4
; NumVGPRsForWavesPerEU: 1
; AccumOffset: 4
; Occupancy: 8
; WaveLimiterHint : 0
; COMPUTE_PGM_RSRC2:SCRATCH_EN: 0
; COMPUTE_PGM_RSRC2:USER_SGPR: 6
; COMPUTE_PGM_RSRC2:TRAP_HANDLER: 0
; COMPUTE_PGM_RSRC2:TGID_X_EN: 1
; COMPUTE_PGM_RSRC2:TGID_Y_EN: 0
; COMPUTE_PGM_RSRC2:TGID_Z_EN: 0
; COMPUTE_PGM_RSRC2:TIDIG_COMP_CNT: 0
; COMPUTE_PGM_RSRC3_GFX90A:ACCUM_OFFSET: 0
; COMPUTE_PGM_RSRC3_GFX90A:TG_SPLIT: 0
	.section	.text._ZN7rocprim17ROCPRIM_400000_NS6detail17trampoline_kernelINS0_14default_configENS1_25partition_config_selectorILNS1_17partition_subalgoE1EtNS0_10empty_typeEbEEZZNS1_14partition_implILS5_1ELb0ES3_jN6thrust23THRUST_200600_302600_NS6detail15normal_iteratorINSA_10device_ptrItEEEEPS6_NSA_18transform_iteratorI7is_evenItESF_NSA_11use_defaultESK_EENS0_5tupleIJSF_SF_EEENSM_IJSG_SG_EEES6_PlJS6_EEE10hipError_tPvRmT3_T4_T5_T6_T7_T9_mT8_P12ihipStream_tbDpT10_ENKUlT_T0_E_clISt17integral_constantIbLb0EES18_IbLb1EEEEDaS14_S15_EUlS14_E_NS1_11comp_targetILNS1_3genE5ELNS1_11target_archE942ELNS1_3gpuE9ELNS1_3repE0EEENS1_30default_config_static_selectorELNS0_4arch9wavefront6targetE1EEEvT1_,"axG",@progbits,_ZN7rocprim17ROCPRIM_400000_NS6detail17trampoline_kernelINS0_14default_configENS1_25partition_config_selectorILNS1_17partition_subalgoE1EtNS0_10empty_typeEbEEZZNS1_14partition_implILS5_1ELb0ES3_jN6thrust23THRUST_200600_302600_NS6detail15normal_iteratorINSA_10device_ptrItEEEEPS6_NSA_18transform_iteratorI7is_evenItESF_NSA_11use_defaultESK_EENS0_5tupleIJSF_SF_EEENSM_IJSG_SG_EEES6_PlJS6_EEE10hipError_tPvRmT3_T4_T5_T6_T7_T9_mT8_P12ihipStream_tbDpT10_ENKUlT_T0_E_clISt17integral_constantIbLb0EES18_IbLb1EEEEDaS14_S15_EUlS14_E_NS1_11comp_targetILNS1_3genE5ELNS1_11target_archE942ELNS1_3gpuE9ELNS1_3repE0EEENS1_30default_config_static_selectorELNS0_4arch9wavefront6targetE1EEEvT1_,comdat
	.protected	_ZN7rocprim17ROCPRIM_400000_NS6detail17trampoline_kernelINS0_14default_configENS1_25partition_config_selectorILNS1_17partition_subalgoE1EtNS0_10empty_typeEbEEZZNS1_14partition_implILS5_1ELb0ES3_jN6thrust23THRUST_200600_302600_NS6detail15normal_iteratorINSA_10device_ptrItEEEEPS6_NSA_18transform_iteratorI7is_evenItESF_NSA_11use_defaultESK_EENS0_5tupleIJSF_SF_EEENSM_IJSG_SG_EEES6_PlJS6_EEE10hipError_tPvRmT3_T4_T5_T6_T7_T9_mT8_P12ihipStream_tbDpT10_ENKUlT_T0_E_clISt17integral_constantIbLb0EES18_IbLb1EEEEDaS14_S15_EUlS14_E_NS1_11comp_targetILNS1_3genE5ELNS1_11target_archE942ELNS1_3gpuE9ELNS1_3repE0EEENS1_30default_config_static_selectorELNS0_4arch9wavefront6targetE1EEEvT1_ ; -- Begin function _ZN7rocprim17ROCPRIM_400000_NS6detail17trampoline_kernelINS0_14default_configENS1_25partition_config_selectorILNS1_17partition_subalgoE1EtNS0_10empty_typeEbEEZZNS1_14partition_implILS5_1ELb0ES3_jN6thrust23THRUST_200600_302600_NS6detail15normal_iteratorINSA_10device_ptrItEEEEPS6_NSA_18transform_iteratorI7is_evenItESF_NSA_11use_defaultESK_EENS0_5tupleIJSF_SF_EEENSM_IJSG_SG_EEES6_PlJS6_EEE10hipError_tPvRmT3_T4_T5_T6_T7_T9_mT8_P12ihipStream_tbDpT10_ENKUlT_T0_E_clISt17integral_constantIbLb0EES18_IbLb1EEEEDaS14_S15_EUlS14_E_NS1_11comp_targetILNS1_3genE5ELNS1_11target_archE942ELNS1_3gpuE9ELNS1_3repE0EEENS1_30default_config_static_selectorELNS0_4arch9wavefront6targetE1EEEvT1_
	.globl	_ZN7rocprim17ROCPRIM_400000_NS6detail17trampoline_kernelINS0_14default_configENS1_25partition_config_selectorILNS1_17partition_subalgoE1EtNS0_10empty_typeEbEEZZNS1_14partition_implILS5_1ELb0ES3_jN6thrust23THRUST_200600_302600_NS6detail15normal_iteratorINSA_10device_ptrItEEEEPS6_NSA_18transform_iteratorI7is_evenItESF_NSA_11use_defaultESK_EENS0_5tupleIJSF_SF_EEENSM_IJSG_SG_EEES6_PlJS6_EEE10hipError_tPvRmT3_T4_T5_T6_T7_T9_mT8_P12ihipStream_tbDpT10_ENKUlT_T0_E_clISt17integral_constantIbLb0EES18_IbLb1EEEEDaS14_S15_EUlS14_E_NS1_11comp_targetILNS1_3genE5ELNS1_11target_archE942ELNS1_3gpuE9ELNS1_3repE0EEENS1_30default_config_static_selectorELNS0_4arch9wavefront6targetE1EEEvT1_
	.p2align	8
	.type	_ZN7rocprim17ROCPRIM_400000_NS6detail17trampoline_kernelINS0_14default_configENS1_25partition_config_selectorILNS1_17partition_subalgoE1EtNS0_10empty_typeEbEEZZNS1_14partition_implILS5_1ELb0ES3_jN6thrust23THRUST_200600_302600_NS6detail15normal_iteratorINSA_10device_ptrItEEEEPS6_NSA_18transform_iteratorI7is_evenItESF_NSA_11use_defaultESK_EENS0_5tupleIJSF_SF_EEENSM_IJSG_SG_EEES6_PlJS6_EEE10hipError_tPvRmT3_T4_T5_T6_T7_T9_mT8_P12ihipStream_tbDpT10_ENKUlT_T0_E_clISt17integral_constantIbLb0EES18_IbLb1EEEEDaS14_S15_EUlS14_E_NS1_11comp_targetILNS1_3genE5ELNS1_11target_archE942ELNS1_3gpuE9ELNS1_3repE0EEENS1_30default_config_static_selectorELNS0_4arch9wavefront6targetE1EEEvT1_,@function
_ZN7rocprim17ROCPRIM_400000_NS6detail17trampoline_kernelINS0_14default_configENS1_25partition_config_selectorILNS1_17partition_subalgoE1EtNS0_10empty_typeEbEEZZNS1_14partition_implILS5_1ELb0ES3_jN6thrust23THRUST_200600_302600_NS6detail15normal_iteratorINSA_10device_ptrItEEEEPS6_NSA_18transform_iteratorI7is_evenItESF_NSA_11use_defaultESK_EENS0_5tupleIJSF_SF_EEENSM_IJSG_SG_EEES6_PlJS6_EEE10hipError_tPvRmT3_T4_T5_T6_T7_T9_mT8_P12ihipStream_tbDpT10_ENKUlT_T0_E_clISt17integral_constantIbLb0EES18_IbLb1EEEEDaS14_S15_EUlS14_E_NS1_11comp_targetILNS1_3genE5ELNS1_11target_archE942ELNS1_3gpuE9ELNS1_3repE0EEENS1_30default_config_static_selectorELNS0_4arch9wavefront6targetE1EEEvT1_: ; @_ZN7rocprim17ROCPRIM_400000_NS6detail17trampoline_kernelINS0_14default_configENS1_25partition_config_selectorILNS1_17partition_subalgoE1EtNS0_10empty_typeEbEEZZNS1_14partition_implILS5_1ELb0ES3_jN6thrust23THRUST_200600_302600_NS6detail15normal_iteratorINSA_10device_ptrItEEEEPS6_NSA_18transform_iteratorI7is_evenItESF_NSA_11use_defaultESK_EENS0_5tupleIJSF_SF_EEENSM_IJSG_SG_EEES6_PlJS6_EEE10hipError_tPvRmT3_T4_T5_T6_T7_T9_mT8_P12ihipStream_tbDpT10_ENKUlT_T0_E_clISt17integral_constantIbLb0EES18_IbLb1EEEEDaS14_S15_EUlS14_E_NS1_11comp_targetILNS1_3genE5ELNS1_11target_archE942ELNS1_3gpuE9ELNS1_3repE0EEENS1_30default_config_static_selectorELNS0_4arch9wavefront6targetE1EEEvT1_
; %bb.0:
	.section	.rodata,"a",@progbits
	.p2align	6, 0x0
	.amdhsa_kernel _ZN7rocprim17ROCPRIM_400000_NS6detail17trampoline_kernelINS0_14default_configENS1_25partition_config_selectorILNS1_17partition_subalgoE1EtNS0_10empty_typeEbEEZZNS1_14partition_implILS5_1ELb0ES3_jN6thrust23THRUST_200600_302600_NS6detail15normal_iteratorINSA_10device_ptrItEEEEPS6_NSA_18transform_iteratorI7is_evenItESF_NSA_11use_defaultESK_EENS0_5tupleIJSF_SF_EEENSM_IJSG_SG_EEES6_PlJS6_EEE10hipError_tPvRmT3_T4_T5_T6_T7_T9_mT8_P12ihipStream_tbDpT10_ENKUlT_T0_E_clISt17integral_constantIbLb0EES18_IbLb1EEEEDaS14_S15_EUlS14_E_NS1_11comp_targetILNS1_3genE5ELNS1_11target_archE942ELNS1_3gpuE9ELNS1_3repE0EEENS1_30default_config_static_selectorELNS0_4arch9wavefront6targetE1EEEvT1_
		.amdhsa_group_segment_fixed_size 0
		.amdhsa_private_segment_fixed_size 0
		.amdhsa_kernarg_size 144
		.amdhsa_user_sgpr_count 6
		.amdhsa_user_sgpr_private_segment_buffer 1
		.amdhsa_user_sgpr_dispatch_ptr 0
		.amdhsa_user_sgpr_queue_ptr 0
		.amdhsa_user_sgpr_kernarg_segment_ptr 1
		.amdhsa_user_sgpr_dispatch_id 0
		.amdhsa_user_sgpr_flat_scratch_init 0
		.amdhsa_user_sgpr_kernarg_preload_length 0
		.amdhsa_user_sgpr_kernarg_preload_offset 0
		.amdhsa_user_sgpr_private_segment_size 0
		.amdhsa_uses_dynamic_stack 0
		.amdhsa_system_sgpr_private_segment_wavefront_offset 0
		.amdhsa_system_sgpr_workgroup_id_x 1
		.amdhsa_system_sgpr_workgroup_id_y 0
		.amdhsa_system_sgpr_workgroup_id_z 0
		.amdhsa_system_sgpr_workgroup_info 0
		.amdhsa_system_vgpr_workitem_id 0
		.amdhsa_next_free_vgpr 1
		.amdhsa_next_free_sgpr 0
		.amdhsa_accum_offset 4
		.amdhsa_reserve_vcc 0
		.amdhsa_reserve_flat_scratch 0
		.amdhsa_float_round_mode_32 0
		.amdhsa_float_round_mode_16_64 0
		.amdhsa_float_denorm_mode_32 3
		.amdhsa_float_denorm_mode_16_64 3
		.amdhsa_dx10_clamp 1
		.amdhsa_ieee_mode 1
		.amdhsa_fp16_overflow 0
		.amdhsa_tg_split 0
		.amdhsa_exception_fp_ieee_invalid_op 0
		.amdhsa_exception_fp_denorm_src 0
		.amdhsa_exception_fp_ieee_div_zero 0
		.amdhsa_exception_fp_ieee_overflow 0
		.amdhsa_exception_fp_ieee_underflow 0
		.amdhsa_exception_fp_ieee_inexact 0
		.amdhsa_exception_int_div_zero 0
	.end_amdhsa_kernel
	.section	.text._ZN7rocprim17ROCPRIM_400000_NS6detail17trampoline_kernelINS0_14default_configENS1_25partition_config_selectorILNS1_17partition_subalgoE1EtNS0_10empty_typeEbEEZZNS1_14partition_implILS5_1ELb0ES3_jN6thrust23THRUST_200600_302600_NS6detail15normal_iteratorINSA_10device_ptrItEEEEPS6_NSA_18transform_iteratorI7is_evenItESF_NSA_11use_defaultESK_EENS0_5tupleIJSF_SF_EEENSM_IJSG_SG_EEES6_PlJS6_EEE10hipError_tPvRmT3_T4_T5_T6_T7_T9_mT8_P12ihipStream_tbDpT10_ENKUlT_T0_E_clISt17integral_constantIbLb0EES18_IbLb1EEEEDaS14_S15_EUlS14_E_NS1_11comp_targetILNS1_3genE5ELNS1_11target_archE942ELNS1_3gpuE9ELNS1_3repE0EEENS1_30default_config_static_selectorELNS0_4arch9wavefront6targetE1EEEvT1_,"axG",@progbits,_ZN7rocprim17ROCPRIM_400000_NS6detail17trampoline_kernelINS0_14default_configENS1_25partition_config_selectorILNS1_17partition_subalgoE1EtNS0_10empty_typeEbEEZZNS1_14partition_implILS5_1ELb0ES3_jN6thrust23THRUST_200600_302600_NS6detail15normal_iteratorINSA_10device_ptrItEEEEPS6_NSA_18transform_iteratorI7is_evenItESF_NSA_11use_defaultESK_EENS0_5tupleIJSF_SF_EEENSM_IJSG_SG_EEES6_PlJS6_EEE10hipError_tPvRmT3_T4_T5_T6_T7_T9_mT8_P12ihipStream_tbDpT10_ENKUlT_T0_E_clISt17integral_constantIbLb0EES18_IbLb1EEEEDaS14_S15_EUlS14_E_NS1_11comp_targetILNS1_3genE5ELNS1_11target_archE942ELNS1_3gpuE9ELNS1_3repE0EEENS1_30default_config_static_selectorELNS0_4arch9wavefront6targetE1EEEvT1_,comdat
.Lfunc_end2292:
	.size	_ZN7rocprim17ROCPRIM_400000_NS6detail17trampoline_kernelINS0_14default_configENS1_25partition_config_selectorILNS1_17partition_subalgoE1EtNS0_10empty_typeEbEEZZNS1_14partition_implILS5_1ELb0ES3_jN6thrust23THRUST_200600_302600_NS6detail15normal_iteratorINSA_10device_ptrItEEEEPS6_NSA_18transform_iteratorI7is_evenItESF_NSA_11use_defaultESK_EENS0_5tupleIJSF_SF_EEENSM_IJSG_SG_EEES6_PlJS6_EEE10hipError_tPvRmT3_T4_T5_T6_T7_T9_mT8_P12ihipStream_tbDpT10_ENKUlT_T0_E_clISt17integral_constantIbLb0EES18_IbLb1EEEEDaS14_S15_EUlS14_E_NS1_11comp_targetILNS1_3genE5ELNS1_11target_archE942ELNS1_3gpuE9ELNS1_3repE0EEENS1_30default_config_static_selectorELNS0_4arch9wavefront6targetE1EEEvT1_, .Lfunc_end2292-_ZN7rocprim17ROCPRIM_400000_NS6detail17trampoline_kernelINS0_14default_configENS1_25partition_config_selectorILNS1_17partition_subalgoE1EtNS0_10empty_typeEbEEZZNS1_14partition_implILS5_1ELb0ES3_jN6thrust23THRUST_200600_302600_NS6detail15normal_iteratorINSA_10device_ptrItEEEEPS6_NSA_18transform_iteratorI7is_evenItESF_NSA_11use_defaultESK_EENS0_5tupleIJSF_SF_EEENSM_IJSG_SG_EEES6_PlJS6_EEE10hipError_tPvRmT3_T4_T5_T6_T7_T9_mT8_P12ihipStream_tbDpT10_ENKUlT_T0_E_clISt17integral_constantIbLb0EES18_IbLb1EEEEDaS14_S15_EUlS14_E_NS1_11comp_targetILNS1_3genE5ELNS1_11target_archE942ELNS1_3gpuE9ELNS1_3repE0EEENS1_30default_config_static_selectorELNS0_4arch9wavefront6targetE1EEEvT1_
                                        ; -- End function
	.section	.AMDGPU.csdata,"",@progbits
; Kernel info:
; codeLenInByte = 0
; NumSgprs: 4
; NumVgprs: 0
; NumAgprs: 0
; TotalNumVgprs: 0
; ScratchSize: 0
; MemoryBound: 0
; FloatMode: 240
; IeeeMode: 1
; LDSByteSize: 0 bytes/workgroup (compile time only)
; SGPRBlocks: 0
; VGPRBlocks: 0
; NumSGPRsForWavesPerEU: 4
; NumVGPRsForWavesPerEU: 1
; AccumOffset: 4
; Occupancy: 8
; WaveLimiterHint : 0
; COMPUTE_PGM_RSRC2:SCRATCH_EN: 0
; COMPUTE_PGM_RSRC2:USER_SGPR: 6
; COMPUTE_PGM_RSRC2:TRAP_HANDLER: 0
; COMPUTE_PGM_RSRC2:TGID_X_EN: 1
; COMPUTE_PGM_RSRC2:TGID_Y_EN: 0
; COMPUTE_PGM_RSRC2:TGID_Z_EN: 0
; COMPUTE_PGM_RSRC2:TIDIG_COMP_CNT: 0
; COMPUTE_PGM_RSRC3_GFX90A:ACCUM_OFFSET: 0
; COMPUTE_PGM_RSRC3_GFX90A:TG_SPLIT: 0
	.section	.text._ZN7rocprim17ROCPRIM_400000_NS6detail17trampoline_kernelINS0_14default_configENS1_25partition_config_selectorILNS1_17partition_subalgoE1EtNS0_10empty_typeEbEEZZNS1_14partition_implILS5_1ELb0ES3_jN6thrust23THRUST_200600_302600_NS6detail15normal_iteratorINSA_10device_ptrItEEEEPS6_NSA_18transform_iteratorI7is_evenItESF_NSA_11use_defaultESK_EENS0_5tupleIJSF_SF_EEENSM_IJSG_SG_EEES6_PlJS6_EEE10hipError_tPvRmT3_T4_T5_T6_T7_T9_mT8_P12ihipStream_tbDpT10_ENKUlT_T0_E_clISt17integral_constantIbLb0EES18_IbLb1EEEEDaS14_S15_EUlS14_E_NS1_11comp_targetILNS1_3genE4ELNS1_11target_archE910ELNS1_3gpuE8ELNS1_3repE0EEENS1_30default_config_static_selectorELNS0_4arch9wavefront6targetE1EEEvT1_,"axG",@progbits,_ZN7rocprim17ROCPRIM_400000_NS6detail17trampoline_kernelINS0_14default_configENS1_25partition_config_selectorILNS1_17partition_subalgoE1EtNS0_10empty_typeEbEEZZNS1_14partition_implILS5_1ELb0ES3_jN6thrust23THRUST_200600_302600_NS6detail15normal_iteratorINSA_10device_ptrItEEEEPS6_NSA_18transform_iteratorI7is_evenItESF_NSA_11use_defaultESK_EENS0_5tupleIJSF_SF_EEENSM_IJSG_SG_EEES6_PlJS6_EEE10hipError_tPvRmT3_T4_T5_T6_T7_T9_mT8_P12ihipStream_tbDpT10_ENKUlT_T0_E_clISt17integral_constantIbLb0EES18_IbLb1EEEEDaS14_S15_EUlS14_E_NS1_11comp_targetILNS1_3genE4ELNS1_11target_archE910ELNS1_3gpuE8ELNS1_3repE0EEENS1_30default_config_static_selectorELNS0_4arch9wavefront6targetE1EEEvT1_,comdat
	.protected	_ZN7rocprim17ROCPRIM_400000_NS6detail17trampoline_kernelINS0_14default_configENS1_25partition_config_selectorILNS1_17partition_subalgoE1EtNS0_10empty_typeEbEEZZNS1_14partition_implILS5_1ELb0ES3_jN6thrust23THRUST_200600_302600_NS6detail15normal_iteratorINSA_10device_ptrItEEEEPS6_NSA_18transform_iteratorI7is_evenItESF_NSA_11use_defaultESK_EENS0_5tupleIJSF_SF_EEENSM_IJSG_SG_EEES6_PlJS6_EEE10hipError_tPvRmT3_T4_T5_T6_T7_T9_mT8_P12ihipStream_tbDpT10_ENKUlT_T0_E_clISt17integral_constantIbLb0EES18_IbLb1EEEEDaS14_S15_EUlS14_E_NS1_11comp_targetILNS1_3genE4ELNS1_11target_archE910ELNS1_3gpuE8ELNS1_3repE0EEENS1_30default_config_static_selectorELNS0_4arch9wavefront6targetE1EEEvT1_ ; -- Begin function _ZN7rocprim17ROCPRIM_400000_NS6detail17trampoline_kernelINS0_14default_configENS1_25partition_config_selectorILNS1_17partition_subalgoE1EtNS0_10empty_typeEbEEZZNS1_14partition_implILS5_1ELb0ES3_jN6thrust23THRUST_200600_302600_NS6detail15normal_iteratorINSA_10device_ptrItEEEEPS6_NSA_18transform_iteratorI7is_evenItESF_NSA_11use_defaultESK_EENS0_5tupleIJSF_SF_EEENSM_IJSG_SG_EEES6_PlJS6_EEE10hipError_tPvRmT3_T4_T5_T6_T7_T9_mT8_P12ihipStream_tbDpT10_ENKUlT_T0_E_clISt17integral_constantIbLb0EES18_IbLb1EEEEDaS14_S15_EUlS14_E_NS1_11comp_targetILNS1_3genE4ELNS1_11target_archE910ELNS1_3gpuE8ELNS1_3repE0EEENS1_30default_config_static_selectorELNS0_4arch9wavefront6targetE1EEEvT1_
	.globl	_ZN7rocprim17ROCPRIM_400000_NS6detail17trampoline_kernelINS0_14default_configENS1_25partition_config_selectorILNS1_17partition_subalgoE1EtNS0_10empty_typeEbEEZZNS1_14partition_implILS5_1ELb0ES3_jN6thrust23THRUST_200600_302600_NS6detail15normal_iteratorINSA_10device_ptrItEEEEPS6_NSA_18transform_iteratorI7is_evenItESF_NSA_11use_defaultESK_EENS0_5tupleIJSF_SF_EEENSM_IJSG_SG_EEES6_PlJS6_EEE10hipError_tPvRmT3_T4_T5_T6_T7_T9_mT8_P12ihipStream_tbDpT10_ENKUlT_T0_E_clISt17integral_constantIbLb0EES18_IbLb1EEEEDaS14_S15_EUlS14_E_NS1_11comp_targetILNS1_3genE4ELNS1_11target_archE910ELNS1_3gpuE8ELNS1_3repE0EEENS1_30default_config_static_selectorELNS0_4arch9wavefront6targetE1EEEvT1_
	.p2align	8
	.type	_ZN7rocprim17ROCPRIM_400000_NS6detail17trampoline_kernelINS0_14default_configENS1_25partition_config_selectorILNS1_17partition_subalgoE1EtNS0_10empty_typeEbEEZZNS1_14partition_implILS5_1ELb0ES3_jN6thrust23THRUST_200600_302600_NS6detail15normal_iteratorINSA_10device_ptrItEEEEPS6_NSA_18transform_iteratorI7is_evenItESF_NSA_11use_defaultESK_EENS0_5tupleIJSF_SF_EEENSM_IJSG_SG_EEES6_PlJS6_EEE10hipError_tPvRmT3_T4_T5_T6_T7_T9_mT8_P12ihipStream_tbDpT10_ENKUlT_T0_E_clISt17integral_constantIbLb0EES18_IbLb1EEEEDaS14_S15_EUlS14_E_NS1_11comp_targetILNS1_3genE4ELNS1_11target_archE910ELNS1_3gpuE8ELNS1_3repE0EEENS1_30default_config_static_selectorELNS0_4arch9wavefront6targetE1EEEvT1_,@function
_ZN7rocprim17ROCPRIM_400000_NS6detail17trampoline_kernelINS0_14default_configENS1_25partition_config_selectorILNS1_17partition_subalgoE1EtNS0_10empty_typeEbEEZZNS1_14partition_implILS5_1ELb0ES3_jN6thrust23THRUST_200600_302600_NS6detail15normal_iteratorINSA_10device_ptrItEEEEPS6_NSA_18transform_iteratorI7is_evenItESF_NSA_11use_defaultESK_EENS0_5tupleIJSF_SF_EEENSM_IJSG_SG_EEES6_PlJS6_EEE10hipError_tPvRmT3_T4_T5_T6_T7_T9_mT8_P12ihipStream_tbDpT10_ENKUlT_T0_E_clISt17integral_constantIbLb0EES18_IbLb1EEEEDaS14_S15_EUlS14_E_NS1_11comp_targetILNS1_3genE4ELNS1_11target_archE910ELNS1_3gpuE8ELNS1_3repE0EEENS1_30default_config_static_selectorELNS0_4arch9wavefront6targetE1EEEvT1_: ; @_ZN7rocprim17ROCPRIM_400000_NS6detail17trampoline_kernelINS0_14default_configENS1_25partition_config_selectorILNS1_17partition_subalgoE1EtNS0_10empty_typeEbEEZZNS1_14partition_implILS5_1ELb0ES3_jN6thrust23THRUST_200600_302600_NS6detail15normal_iteratorINSA_10device_ptrItEEEEPS6_NSA_18transform_iteratorI7is_evenItESF_NSA_11use_defaultESK_EENS0_5tupleIJSF_SF_EEENSM_IJSG_SG_EEES6_PlJS6_EEE10hipError_tPvRmT3_T4_T5_T6_T7_T9_mT8_P12ihipStream_tbDpT10_ENKUlT_T0_E_clISt17integral_constantIbLb0EES18_IbLb1EEEEDaS14_S15_EUlS14_E_NS1_11comp_targetILNS1_3genE4ELNS1_11target_archE910ELNS1_3gpuE8ELNS1_3repE0EEENS1_30default_config_static_selectorELNS0_4arch9wavefront6targetE1EEEvT1_
; %bb.0:
	s_load_dwordx2 s[6:7], s[4:5], 0x20
	s_load_dwordx4 s[20:23], s[4:5], 0x50
	s_load_dwordx2 s[2:3], s[4:5], 0x60
	s_load_dwordx2 s[30:31], s[4:5], 0x70
	v_cmp_eq_u32_e64 s[0:1], 0, v0
	s_and_saveexec_b64 s[8:9], s[0:1]
	s_cbranch_execz .LBB2293_4
; %bb.1:
	s_mov_b64 s[12:13], exec
	v_mbcnt_lo_u32_b32 v1, s12, 0
	v_mbcnt_hi_u32_b32 v1, s13, v1
	v_cmp_eq_u32_e32 vcc, 0, v1
                                        ; implicit-def: $vgpr2
	s_and_saveexec_b64 s[10:11], vcc
	s_cbranch_execz .LBB2293_3
; %bb.2:
	s_load_dwordx2 s[14:15], s[4:5], 0x80
	s_bcnt1_i32_b64 s12, s[12:13]
	v_mov_b32_e32 v2, 0
	v_mov_b32_e32 v3, s12
	s_waitcnt lgkmcnt(0)
	global_atomic_add v2, v2, v3, s[14:15] glc
.LBB2293_3:
	s_or_b64 exec, exec, s[10:11]
	s_waitcnt vmcnt(0)
	v_readfirstlane_b32 s10, v2
	v_add_u32_e32 v1, s10, v1
	v_mov_b32_e32 v2, 0
	ds_write_b32 v2, v1
.LBB2293_4:
	s_or_b64 exec, exec, s[8:9]
	v_mov_b32_e32 v3, 0
	s_load_dwordx4 s[16:19], s[4:5], 0x8
	s_load_dwordx4 s[24:27], s[4:5], 0x30
	s_load_dword s8, s[4:5], 0x78
	s_waitcnt lgkmcnt(0)
	s_barrier
	ds_read_b32 v1, v3
	s_waitcnt lgkmcnt(0)
	s_barrier
	global_load_dwordx2 v[10:11], v3, s[22:23]
	v_mov_b32_e32 v5, s3
	s_lshl_b64 s[4:5], s[18:19], 1
	s_movk_i32 s3, 0x1400
	s_add_u32 s9, s16, s4
	v_mul_lo_u32 v2, v1, s3
	s_mul_i32 s3, s8, 0x1400
	s_addc_u32 s10, s17, s5
	s_add_i32 s11, s8, -1
	s_add_i32 s8, s3, s18
	s_sub_i32 s33, s2, s8
	s_addk_i32 s33, 0x1400
	v_mov_b32_e32 v4, s2
	s_add_u32 s2, s18, s3
	v_readfirstlane_b32 s40, v1
	s_addc_u32 s3, s19, 0
	s_cmp_eq_u32 s40, s11
	s_cselect_b64 s[22:23], -1, 0
	s_cmp_lg_u32 s40, s11
	v_cmp_lt_u64_e32 vcc, s[2:3], v[4:5]
	s_cselect_b64 s[2:3], -1, 0
	v_lshlrev_b64 v[12:13], 1, v[2:3]
	s_or_b64 s[28:29], vcc, s[2:3]
	v_mov_b32_e32 v2, s10
	v_add_co_u32_e32 v1, vcc, s9, v12
	v_addc_co_u32_e32 v2, vcc, v2, v13, vcc
	s_mov_b64 s[2:3], -1
	s_and_b64 vcc, exec, s[28:29]
	v_lshlrev_b32_e32 v30, 1, v0
	s_cbranch_vccz .LBB2293_6
; %bb.5:
	v_add_co_u32_e32 v4, vcc, v1, v30
	v_addc_co_u32_e32 v5, vcc, 0, v2, vcc
	v_add_co_u32_e32 v6, vcc, 0x1000, v4
	v_addc_co_u32_e32 v7, vcc, 0, v5, vcc
	flat_load_ushort v3, v[4:5]
	flat_load_ushort v8, v[4:5] offset:512
	flat_load_ushort v9, v[4:5] offset:1024
	;; [unrolled: 1-line block ×7, first 2 shown]
	v_add_co_u32_e32 v4, vcc, 0x2000, v4
	v_addc_co_u32_e32 v5, vcc, 0, v5, vcc
	flat_load_ushort v19, v[6:7]
	flat_load_ushort v20, v[6:7] offset:512
	flat_load_ushort v21, v[6:7] offset:1024
	;; [unrolled: 1-line block ×7, first 2 shown]
	s_nop 0
	flat_load_ushort v6, v[4:5]
	flat_load_ushort v7, v[4:5] offset:512
	flat_load_ushort v27, v[4:5] offset:1024
	;; [unrolled: 1-line block ×3, first 2 shown]
	s_mov_b64 s[2:3], 0
	s_waitcnt vmcnt(0) lgkmcnt(0)
	ds_write_b16 v30, v3
	ds_write_b16 v30, v8 offset:512
	ds_write_b16 v30, v9 offset:1024
	ds_write_b16 v30, v14 offset:1536
	ds_write_b16 v30, v15 offset:2048
	ds_write_b16 v30, v16 offset:2560
	ds_write_b16 v30, v17 offset:3072
	ds_write_b16 v30, v18 offset:3584
	ds_write_b16 v30, v19 offset:4096
	ds_write_b16 v30, v20 offset:4608
	ds_write_b16 v30, v21 offset:5120
	ds_write_b16 v30, v22 offset:5632
	ds_write_b16 v30, v23 offset:6144
	ds_write_b16 v30, v24 offset:6656
	ds_write_b16 v30, v25 offset:7168
	ds_write_b16 v30, v26 offset:7680
	ds_write_b16 v30, v6 offset:8192
	ds_write_b16 v30, v7 offset:8704
	ds_write_b16 v30, v27 offset:9216
	ds_write_b16 v30, v28 offset:9728
	s_waitcnt lgkmcnt(0)
	s_barrier
.LBB2293_6:
	s_andn2_b64 vcc, exec, s[2:3]
	v_cmp_gt_u32_e64 s[2:3], s33, v0
	s_cbranch_vccnz .LBB2293_48
; %bb.7:
                                        ; implicit-def: $vgpr3
	s_and_saveexec_b64 s[8:9], s[2:3]
	s_cbranch_execz .LBB2293_9
; %bb.8:
	v_add_co_u32_e32 v4, vcc, v1, v30
	v_addc_co_u32_e32 v5, vcc, 0, v2, vcc
	flat_load_ushort v3, v[4:5]
.LBB2293_9:
	s_or_b64 exec, exec, s[8:9]
	v_or_b32_e32 v4, 0x100, v0
	v_cmp_gt_u32_e32 vcc, s33, v4
                                        ; implicit-def: $vgpr4
	s_and_saveexec_b64 s[2:3], vcc
	s_cbranch_execz .LBB2293_11
; %bb.10:
	v_add_co_u32_e32 v4, vcc, v1, v30
	v_addc_co_u32_e32 v5, vcc, 0, v2, vcc
	flat_load_ushort v4, v[4:5] offset:512
.LBB2293_11:
	s_or_b64 exec, exec, s[2:3]
	v_or_b32_e32 v5, 0x200, v0
	v_cmp_gt_u32_e32 vcc, s33, v5
                                        ; implicit-def: $vgpr5
	s_and_saveexec_b64 s[2:3], vcc
	s_cbranch_execz .LBB2293_13
; %bb.12:
	v_add_co_u32_e32 v6, vcc, v1, v30
	v_addc_co_u32_e32 v7, vcc, 0, v2, vcc
	flat_load_ushort v5, v[6:7] offset:1024
.LBB2293_13:
	s_or_b64 exec, exec, s[2:3]
	v_or_b32_e32 v6, 0x300, v0
	v_cmp_gt_u32_e32 vcc, s33, v6
                                        ; implicit-def: $vgpr6
	s_and_saveexec_b64 s[2:3], vcc
	s_cbranch_execz .LBB2293_15
; %bb.14:
	v_add_co_u32_e32 v6, vcc, v1, v30
	v_addc_co_u32_e32 v7, vcc, 0, v2, vcc
	flat_load_ushort v6, v[6:7] offset:1536
.LBB2293_15:
	s_or_b64 exec, exec, s[2:3]
	v_or_b32_e32 v7, 0x400, v0
	v_cmp_gt_u32_e32 vcc, s33, v7
                                        ; implicit-def: $vgpr7
	s_and_saveexec_b64 s[2:3], vcc
	s_cbranch_execz .LBB2293_17
; %bb.16:
	v_add_co_u32_e32 v8, vcc, v1, v30
	v_addc_co_u32_e32 v9, vcc, 0, v2, vcc
	flat_load_ushort v7, v[8:9] offset:2048
.LBB2293_17:
	s_or_b64 exec, exec, s[2:3]
	v_or_b32_e32 v8, 0x500, v0
	v_cmp_gt_u32_e32 vcc, s33, v8
                                        ; implicit-def: $vgpr8
	s_and_saveexec_b64 s[2:3], vcc
	s_cbranch_execz .LBB2293_19
; %bb.18:
	v_add_co_u32_e32 v8, vcc, v1, v30
	v_addc_co_u32_e32 v9, vcc, 0, v2, vcc
	flat_load_ushort v8, v[8:9] offset:2560
.LBB2293_19:
	s_or_b64 exec, exec, s[2:3]
	v_or_b32_e32 v9, 0x600, v0
	v_cmp_gt_u32_e32 vcc, s33, v9
                                        ; implicit-def: $vgpr9
	s_and_saveexec_b64 s[2:3], vcc
	s_cbranch_execz .LBB2293_21
; %bb.20:
	v_add_co_u32_e32 v14, vcc, v1, v30
	v_addc_co_u32_e32 v15, vcc, 0, v2, vcc
	flat_load_ushort v9, v[14:15] offset:3072
.LBB2293_21:
	s_or_b64 exec, exec, s[2:3]
	v_or_b32_e32 v14, 0x700, v0
	v_cmp_gt_u32_e32 vcc, s33, v14
                                        ; implicit-def: $vgpr14
	s_and_saveexec_b64 s[2:3], vcc
	s_cbranch_execz .LBB2293_23
; %bb.22:
	v_add_co_u32_e32 v14, vcc, v1, v30
	v_addc_co_u32_e32 v15, vcc, 0, v2, vcc
	flat_load_ushort v14, v[14:15] offset:3584
.LBB2293_23:
	s_or_b64 exec, exec, s[2:3]
	v_or_b32_e32 v16, 0x800, v0
	v_cmp_gt_u32_e32 vcc, s33, v16
                                        ; implicit-def: $vgpr15
	s_and_saveexec_b64 s[2:3], vcc
	s_cbranch_execz .LBB2293_25
; %bb.24:
	v_lshlrev_b32_e32 v15, 1, v16
	v_add_co_u32_e32 v16, vcc, v1, v15
	v_addc_co_u32_e32 v17, vcc, 0, v2, vcc
	flat_load_ushort v15, v[16:17]
.LBB2293_25:
	s_or_b64 exec, exec, s[2:3]
	v_or_b32_e32 v17, 0x900, v0
	v_cmp_gt_u32_e32 vcc, s33, v17
                                        ; implicit-def: $vgpr16
	s_and_saveexec_b64 s[2:3], vcc
	s_cbranch_execz .LBB2293_27
; %bb.26:
	v_lshlrev_b32_e32 v16, 1, v17
	v_add_co_u32_e32 v16, vcc, v1, v16
	v_addc_co_u32_e32 v17, vcc, 0, v2, vcc
	flat_load_ushort v16, v[16:17]
.LBB2293_27:
	s_or_b64 exec, exec, s[2:3]
	v_or_b32_e32 v18, 0xa00, v0
	v_cmp_gt_u32_e32 vcc, s33, v18
                                        ; implicit-def: $vgpr17
	s_and_saveexec_b64 s[2:3], vcc
	s_cbranch_execz .LBB2293_29
; %bb.28:
	v_lshlrev_b32_e32 v17, 1, v18
	v_add_co_u32_e32 v18, vcc, v1, v17
	v_addc_co_u32_e32 v19, vcc, 0, v2, vcc
	flat_load_ushort v17, v[18:19]
.LBB2293_29:
	s_or_b64 exec, exec, s[2:3]
	v_or_b32_e32 v19, 0xb00, v0
	v_cmp_gt_u32_e32 vcc, s33, v19
                                        ; implicit-def: $vgpr18
	s_and_saveexec_b64 s[2:3], vcc
	s_cbranch_execz .LBB2293_31
; %bb.30:
	v_lshlrev_b32_e32 v18, 1, v19
	v_add_co_u32_e32 v18, vcc, v1, v18
	v_addc_co_u32_e32 v19, vcc, 0, v2, vcc
	flat_load_ushort v18, v[18:19]
.LBB2293_31:
	s_or_b64 exec, exec, s[2:3]
	v_or_b32_e32 v20, 0xc00, v0
	v_cmp_gt_u32_e32 vcc, s33, v20
                                        ; implicit-def: $vgpr19
	s_and_saveexec_b64 s[2:3], vcc
	s_cbranch_execz .LBB2293_33
; %bb.32:
	v_lshlrev_b32_e32 v19, 1, v20
	v_add_co_u32_e32 v20, vcc, v1, v19
	v_addc_co_u32_e32 v21, vcc, 0, v2, vcc
	flat_load_ushort v19, v[20:21]
.LBB2293_33:
	s_or_b64 exec, exec, s[2:3]
	v_or_b32_e32 v21, 0xd00, v0
	v_cmp_gt_u32_e32 vcc, s33, v21
                                        ; implicit-def: $vgpr20
	s_and_saveexec_b64 s[2:3], vcc
	s_cbranch_execz .LBB2293_35
; %bb.34:
	v_lshlrev_b32_e32 v20, 1, v21
	v_add_co_u32_e32 v20, vcc, v1, v20
	v_addc_co_u32_e32 v21, vcc, 0, v2, vcc
	flat_load_ushort v20, v[20:21]
.LBB2293_35:
	s_or_b64 exec, exec, s[2:3]
	v_or_b32_e32 v22, 0xe00, v0
	v_cmp_gt_u32_e32 vcc, s33, v22
                                        ; implicit-def: $vgpr21
	s_and_saveexec_b64 s[2:3], vcc
	s_cbranch_execz .LBB2293_37
; %bb.36:
	v_lshlrev_b32_e32 v21, 1, v22
	v_add_co_u32_e32 v22, vcc, v1, v21
	v_addc_co_u32_e32 v23, vcc, 0, v2, vcc
	flat_load_ushort v21, v[22:23]
.LBB2293_37:
	s_or_b64 exec, exec, s[2:3]
	v_or_b32_e32 v23, 0xf00, v0
	v_cmp_gt_u32_e32 vcc, s33, v23
                                        ; implicit-def: $vgpr22
	s_and_saveexec_b64 s[2:3], vcc
	s_cbranch_execz .LBB2293_39
; %bb.38:
	v_lshlrev_b32_e32 v22, 1, v23
	v_add_co_u32_e32 v22, vcc, v1, v22
	v_addc_co_u32_e32 v23, vcc, 0, v2, vcc
	flat_load_ushort v22, v[22:23]
.LBB2293_39:
	s_or_b64 exec, exec, s[2:3]
	v_or_b32_e32 v24, 0x1000, v0
	v_cmp_gt_u32_e32 vcc, s33, v24
                                        ; implicit-def: $vgpr23
	s_and_saveexec_b64 s[2:3], vcc
	s_cbranch_execz .LBB2293_41
; %bb.40:
	v_lshlrev_b32_e32 v23, 1, v24
	v_add_co_u32_e32 v24, vcc, v1, v23
	v_addc_co_u32_e32 v25, vcc, 0, v2, vcc
	flat_load_ushort v23, v[24:25]
.LBB2293_41:
	s_or_b64 exec, exec, s[2:3]
	v_or_b32_e32 v25, 0x1100, v0
	v_cmp_gt_u32_e32 vcc, s33, v25
                                        ; implicit-def: $vgpr24
	s_and_saveexec_b64 s[2:3], vcc
	s_cbranch_execz .LBB2293_43
; %bb.42:
	v_lshlrev_b32_e32 v24, 1, v25
	v_add_co_u32_e32 v24, vcc, v1, v24
	v_addc_co_u32_e32 v25, vcc, 0, v2, vcc
	flat_load_ushort v24, v[24:25]
.LBB2293_43:
	s_or_b64 exec, exec, s[2:3]
	v_or_b32_e32 v26, 0x1200, v0
	v_cmp_gt_u32_e32 vcc, s33, v26
                                        ; implicit-def: $vgpr25
	s_and_saveexec_b64 s[2:3], vcc
	s_cbranch_execz .LBB2293_45
; %bb.44:
	v_lshlrev_b32_e32 v25, 1, v26
	v_add_co_u32_e32 v26, vcc, v1, v25
	v_addc_co_u32_e32 v27, vcc, 0, v2, vcc
	flat_load_ushort v25, v[26:27]
.LBB2293_45:
	s_or_b64 exec, exec, s[2:3]
	v_or_b32_e32 v27, 0x1300, v0
	v_cmp_gt_u32_e32 vcc, s33, v27
                                        ; implicit-def: $vgpr26
	s_and_saveexec_b64 s[2:3], vcc
	s_cbranch_execz .LBB2293_47
; %bb.46:
	v_lshlrev_b32_e32 v26, 1, v27
	v_add_co_u32_e32 v26, vcc, v1, v26
	v_addc_co_u32_e32 v27, vcc, 0, v2, vcc
	flat_load_ushort v26, v[26:27]
.LBB2293_47:
	s_or_b64 exec, exec, s[2:3]
	s_waitcnt vmcnt(0) lgkmcnt(0)
	ds_write_b16 v30, v3
	ds_write_b16 v30, v4 offset:512
	ds_write_b16 v30, v5 offset:1024
	;; [unrolled: 1-line block ×19, first 2 shown]
	s_waitcnt lgkmcnt(0)
	s_barrier
.LBB2293_48:
	v_mul_u32_u24_e32 v31, 20, v0
	v_lshlrev_b32_e32 v1, 1, v31
	ds_read_b64 v[14:15], v1 offset:32
	ds_read2_b64 v[2:5], v1 offset0:2 offset1:3
	ds_read2_b64 v[6:9], v1 offset1:1
	s_add_u32 s2, s6, s4
	s_addc_u32 s3, s7, s5
	v_mov_b32_e32 v1, s3
	v_add_co_u32_e32 v16, vcc, s2, v12
	v_addc_co_u32_e32 v1, vcc, v1, v13, vcc
	s_mov_b64 s[2:3], -1
	s_and_b64 vcc, exec, s[28:29]
	s_waitcnt lgkmcnt(0)
	s_barrier
	s_cbranch_vccz .LBB2293_50
; %bb.49:
	v_add_co_u32_e32 v17, vcc, v16, v30
	v_readfirstlane_b32 s2, v16
	v_readfirstlane_b32 s3, v1
	v_addc_co_u32_e32 v21, vcc, 0, v1, vcc
	s_nop 3
	global_load_ubyte v22, v30, s[2:3]
	global_load_ubyte v23, v30, s[2:3] offset:512
	global_load_ubyte v24, v30, s[2:3] offset:1024
	;; [unrolled: 1-line block ×7, first 2 shown]
	s_movk_i32 s2, 0x1000
	v_add_co_u32_e32 v18, vcc, s2, v17
	v_addc_co_u32_e32 v19, vcc, 0, v21, vcc
	s_movk_i32 s2, 0x2000
	v_add_co_u32_e32 v20, vcc, s2, v17
	v_addc_co_u32_e32 v21, vcc, 0, v21, vcc
	global_load_ubyte v17, v[20:21], off offset:-4096
	global_load_ubyte v32, v[18:19], off offset:512
	global_load_ubyte v33, v[18:19], off offset:1024
	;; [unrolled: 1-line block ×7, first 2 shown]
	global_load_ubyte v39, v[20:21], off
	global_load_ubyte v40, v[20:21], off offset:512
	global_load_ubyte v41, v[20:21], off offset:1024
	;; [unrolled: 1-line block ×3, first 2 shown]
	s_mov_b64 s[2:3], 0
	s_waitcnt vmcnt(19)
	v_xor_b32_e32 v18, -1, v22
	s_waitcnt vmcnt(18)
	v_xor_b32_e32 v19, -1, v23
	;; [unrolled: 2-line block ×8, first 2 shown]
	v_and_b32_e32 v18, 1, v18
	s_waitcnt vmcnt(11)
	v_xor_b32_e32 v17, -1, v17
	s_waitcnt vmcnt(10)
	v_xor_b32_e32 v26, -1, v32
	;; [unrolled: 2-line block ×12, first 2 shown]
	v_and_b32_e32 v19, 1, v19
	v_and_b32_e32 v20, 1, v20
	;; [unrolled: 1-line block ×19, first 2 shown]
	ds_write_b8 v0, v18
	ds_write_b8 v0, v19 offset:256
	ds_write_b8 v0, v20 offset:512
	;; [unrolled: 1-line block ×19, first 2 shown]
	s_waitcnt lgkmcnt(0)
	s_barrier
.LBB2293_50:
	s_andn2_b64 vcc, exec, s[2:3]
	s_cbranch_vccnz .LBB2293_92
; %bb.51:
	v_cmp_gt_u32_e32 vcc, s33, v0
	v_mov_b32_e32 v17, 0
	v_mov_b32_e32 v18, 0
	s_and_saveexec_b64 s[2:3], vcc
	s_cbranch_execz .LBB2293_53
; %bb.52:
	v_readfirstlane_b32 s4, v16
	v_readfirstlane_b32 s5, v1
	s_nop 4
	global_load_ubyte v18, v30, s[4:5]
	s_waitcnt vmcnt(0)
	v_xor_b32_e32 v18, -1, v18
	v_and_b32_e32 v18, 1, v18
.LBB2293_53:
	s_or_b64 exec, exec, s[2:3]
	v_or_b32_e32 v19, 0x100, v0
	v_cmp_gt_u32_e32 vcc, s33, v19
	s_and_saveexec_b64 s[2:3], vcc
	s_cbranch_execz .LBB2293_55
; %bb.54:
	v_readfirstlane_b32 s4, v16
	v_readfirstlane_b32 s5, v1
	s_nop 4
	global_load_ubyte v17, v30, s[4:5] offset:512
	s_waitcnt vmcnt(0)
	v_xor_b32_e32 v17, -1, v17
	v_and_b32_e32 v17, 1, v17
.LBB2293_55:
	s_or_b64 exec, exec, s[2:3]
	v_or_b32_e32 v19, 0x200, v0
	v_cmp_gt_u32_e32 vcc, s33, v19
	v_mov_b32_e32 v19, 0
	v_mov_b32_e32 v20, 0
	s_and_saveexec_b64 s[2:3], vcc
	s_cbranch_execz .LBB2293_57
; %bb.56:
	v_readfirstlane_b32 s4, v16
	v_readfirstlane_b32 s5, v1
	s_nop 4
	global_load_ubyte v20, v30, s[4:5] offset:1024
	s_waitcnt vmcnt(0)
	v_xor_b32_e32 v20, -1, v20
	v_and_b32_e32 v20, 1, v20
.LBB2293_57:
	s_or_b64 exec, exec, s[2:3]
	v_or_b32_e32 v21, 0x300, v0
	v_cmp_gt_u32_e32 vcc, s33, v21
	s_and_saveexec_b64 s[2:3], vcc
	s_cbranch_execz .LBB2293_59
; %bb.58:
	v_readfirstlane_b32 s4, v16
	v_readfirstlane_b32 s5, v1
	s_nop 4
	global_load_ubyte v19, v30, s[4:5] offset:1536
	s_waitcnt vmcnt(0)
	v_xor_b32_e32 v19, -1, v19
	v_and_b32_e32 v19, 1, v19
.LBB2293_59:
	s_or_b64 exec, exec, s[2:3]
	v_or_b32_e32 v21, 0x400, v0
	v_cmp_gt_u32_e32 vcc, s33, v21
	v_mov_b32_e32 v21, 0
	v_mov_b32_e32 v22, 0
	s_and_saveexec_b64 s[2:3], vcc
	s_cbranch_execz .LBB2293_61
; %bb.60:
	v_readfirstlane_b32 s4, v16
	v_readfirstlane_b32 s5, v1
	s_nop 4
	global_load_ubyte v22, v30, s[4:5] offset:2048
	s_waitcnt vmcnt(0)
	v_xor_b32_e32 v22, -1, v22
	v_and_b32_e32 v22, 1, v22
.LBB2293_61:
	;; [unrolled: 30-line block ×3, first 2 shown]
	s_or_b64 exec, exec, s[2:3]
	v_or_b32_e32 v25, 0x700, v0
	v_cmp_gt_u32_e32 vcc, s33, v25
	s_and_saveexec_b64 s[2:3], vcc
	s_cbranch_execz .LBB2293_67
; %bb.66:
	v_readfirstlane_b32 s4, v16
	v_readfirstlane_b32 s5, v1
	s_nop 4
	global_load_ubyte v23, v30, s[4:5] offset:3584
	s_waitcnt vmcnt(0)
	v_xor_b32_e32 v23, -1, v23
	v_and_b32_e32 v23, 1, v23
.LBB2293_67:
	s_or_b64 exec, exec, s[2:3]
	v_or_b32_e32 v27, 0x800, v0
	v_cmp_gt_u32_e32 vcc, s33, v27
	v_mov_b32_e32 v25, 0
	v_mov_b32_e32 v26, 0
	s_and_saveexec_b64 s[2:3], vcc
	s_cbranch_execz .LBB2293_69
; %bb.68:
	v_lshlrev_b32_e32 v26, 1, v27
	v_readfirstlane_b32 s4, v16
	v_readfirstlane_b32 s5, v1
	s_nop 4
	global_load_ubyte v26, v26, s[4:5]
	s_waitcnt vmcnt(0)
	v_xor_b32_e32 v26, -1, v26
	v_and_b32_e32 v26, 1, v26
.LBB2293_69:
	s_or_b64 exec, exec, s[2:3]
	v_or_b32_e32 v27, 0x900, v0
	v_cmp_gt_u32_e32 vcc, s33, v27
	s_and_saveexec_b64 s[2:3], vcc
	s_cbranch_execz .LBB2293_71
; %bb.70:
	v_lshlrev_b32_e32 v25, 1, v27
	v_readfirstlane_b32 s4, v16
	v_readfirstlane_b32 s5, v1
	s_nop 4
	global_load_ubyte v25, v25, s[4:5]
	s_waitcnt vmcnt(0)
	v_xor_b32_e32 v25, -1, v25
	v_and_b32_e32 v25, 1, v25
.LBB2293_71:
	s_or_b64 exec, exec, s[2:3]
	v_or_b32_e32 v29, 0xa00, v0
	v_cmp_gt_u32_e32 vcc, s33, v29
	v_mov_b32_e32 v27, 0
	v_mov_b32_e32 v28, 0
	s_and_saveexec_b64 s[2:3], vcc
	s_cbranch_execz .LBB2293_73
; %bb.72:
	v_lshlrev_b32_e32 v28, 1, v29
	v_readfirstlane_b32 s4, v16
	v_readfirstlane_b32 s5, v1
	s_nop 4
	global_load_ubyte v28, v28, s[4:5]
	s_waitcnt vmcnt(0)
	v_xor_b32_e32 v28, -1, v28
	v_and_b32_e32 v28, 1, v28
.LBB2293_73:
	s_or_b64 exec, exec, s[2:3]
	v_or_b32_e32 v29, 0xb00, v0
	v_cmp_gt_u32_e32 vcc, s33, v29
	s_and_saveexec_b64 s[2:3], vcc
	s_cbranch_execz .LBB2293_75
; %bb.74:
	v_lshlrev_b32_e32 v27, 1, v29
	v_readfirstlane_b32 s4, v16
	v_readfirstlane_b32 s5, v1
	s_nop 4
	global_load_ubyte v27, v27, s[4:5]
	s_waitcnt vmcnt(0)
	v_xor_b32_e32 v27, -1, v27
	v_and_b32_e32 v27, 1, v27
.LBB2293_75:
	;; [unrolled: 32-line block ×6, first 2 shown]
	s_or_b64 exec, exec, s[2:3]
	ds_write_b8 v0, v18
	ds_write_b8 v0, v17 offset:256
	ds_write_b8 v0, v20 offset:512
	;; [unrolled: 1-line block ×19, first 2 shown]
	s_waitcnt lgkmcnt(0)
	s_barrier
.LBB2293_92:
	ds_read2_b32 v[20:21], v31 offset1:1
	ds_read2_b32 v[18:19], v31 offset0:2 offset1:3
	ds_read_b32 v32, v31 offset:16
	s_cmp_lg_u32 s40, 0
	v_lshrrev_b32_e32 v51, 6, v0
	s_waitcnt lgkmcnt(2)
	v_lshrrev_b32_e32 v37, 24, v20
	v_bfe_u32 v49, v20, 16, 8
	v_add_u32_sdwa v16, v20, v20 dst_sel:DWORD dst_unused:UNUSED_PAD src0_sel:BYTE_1 src1_sel:BYTE_0
	v_and_b32_e32 v46, 0xff, v21
	v_bfe_u32 v47, v21, 8, 8
	v_add3_u32 v16, v16, v49, v37
	v_lshrrev_b32_e32 v36, 24, v21
	v_bfe_u32 v48, v21, 16, 8
	v_add3_u32 v16, v16, v46, v47
	s_waitcnt lgkmcnt(1)
	v_and_b32_e32 v43, 0xff, v18
	v_bfe_u32 v44, v18, 8, 8
	v_add3_u32 v16, v16, v48, v36
	v_lshrrev_b32_e32 v35, 24, v18
	v_bfe_u32 v45, v18, 16, 8
	v_add3_u32 v16, v16, v43, v44
	v_and_b32_e32 v40, 0xff, v19
	v_bfe_u32 v41, v19, 8, 8
	v_add3_u32 v16, v16, v45, v35
	v_lshrrev_b32_e32 v34, 24, v19
	v_bfe_u32 v42, v19, 16, 8
	v_add3_u32 v16, v16, v40, v41
	s_waitcnt lgkmcnt(0)
	v_and_b32_e32 v38, 0xff, v32
	v_bfe_u32 v39, v32, 8, 8
	v_add3_u32 v16, v16, v42, v34
	v_lshrrev_b32_e32 v1, 24, v32
	v_bfe_u32 v33, v32, 16, 8
	v_add3_u32 v16, v16, v38, v39
	v_add3_u32 v52, v16, v33, v1
	v_mbcnt_lo_u32_b32 v16, -1, 0
	v_mbcnt_hi_u32_b32 v50, -1, v16
	v_and_b32_e32 v16, 15, v50
	v_cmp_eq_u32_e64 s[14:15], 0, v16
	v_cmp_lt_u32_e64 s[12:13], 1, v16
	v_cmp_lt_u32_e64 s[10:11], 3, v16
	;; [unrolled: 1-line block ×3, first 2 shown]
	v_and_b32_e32 v16, 16, v50
	v_cmp_eq_u32_e64 s[6:7], 0, v16
	v_or_b32_e32 v16, 63, v0
	v_cmp_lt_u32_e64 s[2:3], 31, v50
	v_cmp_eq_u32_e64 s[4:5], v16, v0
	s_barrier
	s_cbranch_scc0 .LBB2293_119
; %bb.93:
	v_mov_b32_dpp v16, v52 row_shr:1 row_mask:0xf bank_mask:0xf
	v_cndmask_b32_e64 v16, v16, 0, s[14:15]
	v_add_u32_e32 v16, v16, v52
	s_nop 1
	v_mov_b32_dpp v17, v16 row_shr:2 row_mask:0xf bank_mask:0xf
	v_cndmask_b32_e64 v17, 0, v17, s[12:13]
	v_add_u32_e32 v16, v16, v17
	s_nop 1
	;; [unrolled: 4-line block ×4, first 2 shown]
	v_mov_b32_dpp v17, v16 row_bcast:15 row_mask:0xf bank_mask:0xf
	v_cndmask_b32_e64 v17, v17, 0, s[6:7]
	v_add_u32_e32 v16, v16, v17
	s_nop 1
	v_mov_b32_dpp v17, v16 row_bcast:31 row_mask:0xf bank_mask:0xf
	v_cndmask_b32_e64 v17, 0, v17, s[2:3]
	v_add_u32_e32 v16, v16, v17
	s_and_saveexec_b64 s[16:17], s[4:5]
	s_cbranch_execz .LBB2293_95
; %bb.94:
	v_lshlrev_b32_e32 v17, 2, v51
	ds_write_b32 v17, v16
.LBB2293_95:
	s_or_b64 exec, exec, s[16:17]
	v_cmp_gt_u32_e32 vcc, 4, v0
	s_waitcnt lgkmcnt(0)
	s_barrier
	s_and_saveexec_b64 s[16:17], vcc
	s_cbranch_execz .LBB2293_97
; %bb.96:
	v_lshlrev_b32_e32 v17, 2, v0
	ds_read_b32 v22, v17
	v_and_b32_e32 v23, 3, v50
	v_cmp_ne_u32_e32 vcc, 0, v23
	s_waitcnt lgkmcnt(0)
	v_mov_b32_dpp v24, v22 row_shr:1 row_mask:0xf bank_mask:0xf
	v_cndmask_b32_e32 v24, 0, v24, vcc
	v_add_u32_e32 v22, v24, v22
	v_cmp_lt_u32_e32 vcc, 1, v23
	s_nop 0
	v_mov_b32_dpp v24, v22 row_shr:2 row_mask:0xf bank_mask:0xf
	v_cndmask_b32_e32 v23, 0, v24, vcc
	v_add_u32_e32 v22, v22, v23
	ds_write_b32 v17, v22
.LBB2293_97:
	s_or_b64 exec, exec, s[16:17]
	v_cmp_gt_u32_e32 vcc, 64, v0
	v_cmp_lt_u32_e64 s[16:17], 63, v0
	s_waitcnt lgkmcnt(0)
	s_barrier
	s_waitcnt lgkmcnt(0)
                                        ; implicit-def: $vgpr53
	s_and_saveexec_b64 s[34:35], s[16:17]
	s_cbranch_execz .LBB2293_99
; %bb.98:
	v_lshl_add_u32 v17, v51, 2, -4
	ds_read_b32 v53, v17
	s_waitcnt lgkmcnt(0)
	v_add_u32_e32 v16, v53, v16
.LBB2293_99:
	s_or_b64 exec, exec, s[34:35]
	v_add_u32_e32 v17, -1, v50
	v_and_b32_e32 v22, 64, v50
	v_cmp_lt_i32_e64 s[16:17], v17, v22
	v_cndmask_b32_e64 v17, v17, v50, s[16:17]
	v_lshlrev_b32_e32 v17, 2, v17
	ds_bpermute_b32 v54, v17, v16
	v_cmp_eq_u32_e64 s[16:17], 0, v50
	s_and_saveexec_b64 s[34:35], vcc
	s_cbranch_execz .LBB2293_118
; %bb.100:
	v_mov_b32_e32 v27, 0
	ds_read_b32 v16, v27 offset:12
	s_and_saveexec_b64 s[36:37], s[16:17]
	s_cbranch_execz .LBB2293_102
; %bb.101:
	s_add_i32 s38, s40, 64
	s_mov_b32 s39, 0
	s_lshl_b64 s[38:39], s[38:39], 3
	s_add_u32 s38, s30, s38
	v_mov_b32_e32 v17, 1
	s_addc_u32 s39, s31, s39
	s_waitcnt lgkmcnt(0)
	global_store_dwordx2 v27, v[16:17], s[38:39]
.LBB2293_102:
	s_or_b64 exec, exec, s[36:37]
	v_xad_u32 v22, v50, -1, s40
	v_add_u32_e32 v26, 64, v22
	v_lshlrev_b64 v[24:25], 3, v[26:27]
	v_mov_b32_e32 v17, s31
	v_add_co_u32_e32 v28, vcc, s30, v24
	v_addc_co_u32_e32 v29, vcc, v17, v25, vcc
	global_load_dwordx2 v[24:25], v[28:29], off glc
	s_waitcnt vmcnt(0)
	v_cmp_eq_u16_sdwa s[38:39], v25, v27 src0_sel:BYTE_0 src1_sel:DWORD
	s_and_saveexec_b64 s[36:37], s[38:39]
	s_cbranch_execz .LBB2293_106
; %bb.103:
	s_mov_b64 s[38:39], 0
	v_mov_b32_e32 v17, 0
.LBB2293_104:                           ; =>This Inner Loop Header: Depth=1
	global_load_dwordx2 v[24:25], v[28:29], off glc
	s_waitcnt vmcnt(0)
	v_cmp_ne_u16_sdwa s[42:43], v25, v17 src0_sel:BYTE_0 src1_sel:DWORD
	s_or_b64 s[38:39], s[42:43], s[38:39]
	s_andn2_b64 exec, exec, s[38:39]
	s_cbranch_execnz .LBB2293_104
; %bb.105:
	s_or_b64 exec, exec, s[38:39]
.LBB2293_106:
	s_or_b64 exec, exec, s[36:37]
	v_and_b32_e32 v56, 63, v50
	v_mov_b32_e32 v55, 2
	v_cmp_ne_u32_e32 vcc, 63, v56
	v_cmp_eq_u16_sdwa s[36:37], v25, v55 src0_sel:BYTE_0 src1_sel:DWORD
	v_lshlrev_b64 v[26:27], v50, -1
	v_addc_co_u32_e32 v28, vcc, 0, v50, vcc
	v_and_b32_e32 v17, s37, v27
	v_lshlrev_b32_e32 v57, 2, v28
	v_or_b32_e32 v17, 0x80000000, v17
	ds_bpermute_b32 v28, v57, v24
	v_and_b32_e32 v23, s36, v26
	v_ffbl_b32_e32 v17, v17
	v_add_u32_e32 v17, 32, v17
	v_ffbl_b32_e32 v23, v23
	v_min_u32_e32 v17, v23, v17
	v_cmp_lt_u32_e32 vcc, v56, v17
	s_waitcnt lgkmcnt(0)
	v_cndmask_b32_e32 v23, 0, v28, vcc
	v_cmp_gt_u32_e32 vcc, 62, v56
	v_add_u32_e32 v23, v23, v24
	v_cndmask_b32_e64 v24, 0, 1, vcc
	v_lshlrev_b32_e32 v24, 1, v24
	v_add_lshl_u32 v58, v24, v50, 2
	ds_bpermute_b32 v24, v58, v23
	v_add_u32_e32 v59, 2, v56
	v_cmp_le_u32_e32 vcc, v59, v17
	v_add_u32_e32 v61, 4, v56
	v_add_u32_e32 v63, 8, v56
	s_waitcnt lgkmcnt(0)
	v_cndmask_b32_e32 v24, 0, v24, vcc
	v_cmp_gt_u32_e32 vcc, 60, v56
	v_add_u32_e32 v23, v23, v24
	v_cndmask_b32_e64 v24, 0, 1, vcc
	v_lshlrev_b32_e32 v24, 2, v24
	v_add_lshl_u32 v60, v24, v50, 2
	ds_bpermute_b32 v24, v60, v23
	v_cmp_le_u32_e32 vcc, v61, v17
	v_add_u32_e32 v65, 16, v56
	v_add_u32_e32 v67, 32, v56
	s_waitcnt lgkmcnt(0)
	v_cndmask_b32_e32 v24, 0, v24, vcc
	v_cmp_gt_u32_e32 vcc, 56, v56
	v_add_u32_e32 v23, v23, v24
	v_cndmask_b32_e64 v24, 0, 1, vcc
	v_lshlrev_b32_e32 v24, 3, v24
	v_add_lshl_u32 v62, v24, v50, 2
	ds_bpermute_b32 v24, v62, v23
	v_cmp_le_u32_e32 vcc, v63, v17
	s_waitcnt lgkmcnt(0)
	v_cndmask_b32_e32 v24, 0, v24, vcc
	v_cmp_gt_u32_e32 vcc, 48, v56
	v_add_u32_e32 v23, v23, v24
	v_cndmask_b32_e64 v24, 0, 1, vcc
	v_lshlrev_b32_e32 v24, 4, v24
	v_add_lshl_u32 v64, v24, v50, 2
	ds_bpermute_b32 v24, v64, v23
	v_cmp_le_u32_e32 vcc, v65, v17
	;; [unrolled: 9-line block ×3, first 2 shown]
	s_waitcnt lgkmcnt(0)
	v_cndmask_b32_e32 v17, 0, v24, vcc
	v_add_u32_e32 v24, v23, v17
	v_mov_b32_e32 v23, 0
	s_branch .LBB2293_108
.LBB2293_107:                           ;   in Loop: Header=BB2293_108 Depth=1
	s_or_b64 exec, exec, s[36:37]
	v_cmp_eq_u16_sdwa s[36:37], v25, v55 src0_sel:BYTE_0 src1_sel:DWORD
	v_and_b32_e32 v28, s37, v27
	v_or_b32_e32 v28, 0x80000000, v28
	ds_bpermute_b32 v68, v57, v24
	v_and_b32_e32 v29, s36, v26
	v_ffbl_b32_e32 v28, v28
	v_add_u32_e32 v28, 32, v28
	v_ffbl_b32_e32 v29, v29
	v_min_u32_e32 v28, v29, v28
	v_cmp_lt_u32_e32 vcc, v56, v28
	s_waitcnt lgkmcnt(0)
	v_cndmask_b32_e32 v29, 0, v68, vcc
	v_add_u32_e32 v24, v29, v24
	ds_bpermute_b32 v29, v58, v24
	v_cmp_le_u32_e32 vcc, v59, v28
	v_subrev_u32_e32 v22, 64, v22
	s_waitcnt lgkmcnt(0)
	v_cndmask_b32_e32 v29, 0, v29, vcc
	v_add_u32_e32 v24, v24, v29
	ds_bpermute_b32 v29, v60, v24
	v_cmp_le_u32_e32 vcc, v61, v28
	s_waitcnt lgkmcnt(0)
	v_cndmask_b32_e32 v29, 0, v29, vcc
	v_add_u32_e32 v24, v24, v29
	ds_bpermute_b32 v29, v62, v24
	v_cmp_le_u32_e32 vcc, v63, v28
	;; [unrolled: 5-line block ×4, first 2 shown]
	s_waitcnt lgkmcnt(0)
	v_cndmask_b32_e32 v28, 0, v29, vcc
	v_add3_u32 v24, v28, v17, v24
.LBB2293_108:                           ; =>This Loop Header: Depth=1
                                        ;     Child Loop BB2293_111 Depth 2
	v_cmp_ne_u16_sdwa s[36:37], v25, v55 src0_sel:BYTE_0 src1_sel:DWORD
	v_cndmask_b32_e64 v17, 0, 1, s[36:37]
	;;#ASMSTART
	;;#ASMEND
	v_cmp_ne_u32_e32 vcc, 0, v17
	s_cmp_lg_u64 vcc, exec
	v_mov_b32_e32 v17, v24
	s_cbranch_scc1 .LBB2293_113
; %bb.109:                              ;   in Loop: Header=BB2293_108 Depth=1
	v_lshlrev_b64 v[24:25], 3, v[22:23]
	v_mov_b32_e32 v29, s31
	v_add_co_u32_e32 v28, vcc, s30, v24
	v_addc_co_u32_e32 v29, vcc, v29, v25, vcc
	global_load_dwordx2 v[24:25], v[28:29], off glc
	s_waitcnt vmcnt(0)
	v_cmp_eq_u16_sdwa s[38:39], v25, v23 src0_sel:BYTE_0 src1_sel:DWORD
	s_and_saveexec_b64 s[36:37], s[38:39]
	s_cbranch_execz .LBB2293_107
; %bb.110:                              ;   in Loop: Header=BB2293_108 Depth=1
	s_mov_b64 s[38:39], 0
.LBB2293_111:                           ;   Parent Loop BB2293_108 Depth=1
                                        ; =>  This Inner Loop Header: Depth=2
	global_load_dwordx2 v[24:25], v[28:29], off glc
	s_waitcnt vmcnt(0)
	v_cmp_ne_u16_sdwa s[42:43], v25, v23 src0_sel:BYTE_0 src1_sel:DWORD
	s_or_b64 s[38:39], s[42:43], s[38:39]
	s_andn2_b64 exec, exec, s[38:39]
	s_cbranch_execnz .LBB2293_111
; %bb.112:                              ;   in Loop: Header=BB2293_108 Depth=1
	s_or_b64 exec, exec, s[38:39]
	s_branch .LBB2293_107
.LBB2293_113:                           ;   in Loop: Header=BB2293_108 Depth=1
                                        ; implicit-def: $vgpr24
                                        ; implicit-def: $vgpr25
	s_cbranch_execz .LBB2293_108
; %bb.114:
	s_and_saveexec_b64 s[36:37], s[16:17]
	s_cbranch_execz .LBB2293_116
; %bb.115:
	s_add_i32 s38, s40, 64
	s_mov_b32 s39, 0
	s_lshl_b64 s[38:39], s[38:39], 3
	s_add_u32 s38, s30, s38
	v_add_u32_e32 v22, v17, v16
	v_mov_b32_e32 v23, 2
	s_addc_u32 s39, s31, s39
	v_mov_b32_e32 v24, 0
	global_store_dwordx2 v24, v[22:23], s[38:39]
	ds_write_b64 v24, v[16:17] offset:10240
.LBB2293_116:
	s_or_b64 exec, exec, s[36:37]
	s_and_b64 exec, exec, s[0:1]
	s_cbranch_execz .LBB2293_118
; %bb.117:
	v_mov_b32_e32 v16, 0
	ds_write_b32 v16, v17 offset:12
.LBB2293_118:
	s_or_b64 exec, exec, s[34:35]
	v_mov_b32_e32 v16, 0
	s_waitcnt lgkmcnt(0)
	s_barrier
	ds_read_b32 v22, v16 offset:12
	s_waitcnt lgkmcnt(0)
	s_barrier
	ds_read_b64 v[16:17], v16 offset:10240
	v_cndmask_b32_e64 v23, v54, v53, s[16:17]
	v_cndmask_b32_e64 v23, v23, 0, s[0:1]
	v_add_u32_e32 v26, v22, v23
	s_branch .LBB2293_129
.LBB2293_119:
                                        ; implicit-def: $vgpr17
                                        ; implicit-def: $vgpr26
	s_cbranch_execz .LBB2293_129
; %bb.120:
	s_waitcnt lgkmcnt(0)
	v_mov_b32_dpp v16, v52 row_shr:1 row_mask:0xf bank_mask:0xf
	v_cndmask_b32_e64 v16, v16, 0, s[14:15]
	v_add_u32_e32 v16, v16, v52
	s_nop 1
	v_mov_b32_dpp v17, v16 row_shr:2 row_mask:0xf bank_mask:0xf
	v_cndmask_b32_e64 v17, 0, v17, s[12:13]
	v_add_u32_e32 v16, v16, v17
	s_nop 1
	;; [unrolled: 4-line block ×4, first 2 shown]
	v_mov_b32_dpp v17, v16 row_bcast:15 row_mask:0xf bank_mask:0xf
	v_cndmask_b32_e64 v17, v17, 0, s[6:7]
	v_add_u32_e32 v16, v16, v17
	s_nop 1
	v_mov_b32_dpp v17, v16 row_bcast:31 row_mask:0xf bank_mask:0xf
	v_cndmask_b32_e64 v17, 0, v17, s[2:3]
	v_add_u32_e32 v16, v16, v17
	s_and_saveexec_b64 s[2:3], s[4:5]
	s_cbranch_execz .LBB2293_122
; %bb.121:
	v_lshlrev_b32_e32 v17, 2, v51
	ds_write_b32 v17, v16
.LBB2293_122:
	s_or_b64 exec, exec, s[2:3]
	v_cmp_gt_u32_e32 vcc, 4, v0
	s_waitcnt lgkmcnt(0)
	s_barrier
	s_and_saveexec_b64 s[2:3], vcc
	s_cbranch_execz .LBB2293_124
; %bb.123:
	v_lshlrev_b32_e32 v17, 2, v0
	ds_read_b32 v22, v17
	v_and_b32_e32 v23, 3, v50
	v_cmp_ne_u32_e32 vcc, 0, v23
	s_waitcnt lgkmcnt(0)
	v_mov_b32_dpp v24, v22 row_shr:1 row_mask:0xf bank_mask:0xf
	v_cndmask_b32_e32 v24, 0, v24, vcc
	v_add_u32_e32 v22, v24, v22
	v_cmp_lt_u32_e32 vcc, 1, v23
	s_nop 0
	v_mov_b32_dpp v24, v22 row_shr:2 row_mask:0xf bank_mask:0xf
	v_cndmask_b32_e32 v23, 0, v24, vcc
	v_add_u32_e32 v22, v22, v23
	ds_write_b32 v17, v22
.LBB2293_124:
	s_or_b64 exec, exec, s[2:3]
	v_cmp_lt_u32_e32 vcc, 63, v0
	v_mov_b32_e32 v17, 0
	v_mov_b32_e32 v22, 0
	s_waitcnt lgkmcnt(0)
	s_barrier
	s_and_saveexec_b64 s[2:3], vcc
	s_cbranch_execz .LBB2293_126
; %bb.125:
	v_lshl_add_u32 v22, v51, 2, -4
	ds_read_b32 v22, v22
.LBB2293_126:
	s_or_b64 exec, exec, s[2:3]
	v_add_u32_e32 v23, -1, v50
	v_and_b32_e32 v24, 64, v50
	v_cmp_lt_i32_e32 vcc, v23, v24
	v_cndmask_b32_e32 v23, v23, v50, vcc
	s_waitcnt lgkmcnt(0)
	v_add_u32_e32 v16, v22, v16
	v_lshlrev_b32_e32 v23, 2, v23
	ds_bpermute_b32 v23, v23, v16
	ds_read_b32 v16, v17 offset:12
	s_and_saveexec_b64 s[2:3], s[0:1]
	s_cbranch_execz .LBB2293_128
; %bb.127:
	v_mov_b32_e32 v24, 0
	v_mov_b32_e32 v17, 2
	s_waitcnt lgkmcnt(0)
	global_store_dwordx2 v24, v[16:17], s[30:31] offset:512
.LBB2293_128:
	s_or_b64 exec, exec, s[2:3]
	v_cmp_eq_u32_e32 vcc, 0, v50
	s_waitcnt lgkmcnt(1)
	v_cndmask_b32_e32 v22, v23, v22, vcc
	v_mov_b32_e32 v17, 0
	v_cndmask_b32_e64 v26, v22, 0, s[0:1]
	s_waitcnt lgkmcnt(0)
	s_barrier
.LBB2293_129:
	v_add_u32_sdwa v28, v26, v20 dst_sel:DWORD dst_unused:UNUSED_PAD src0_sel:DWORD src1_sel:BYTE_0
	s_waitcnt lgkmcnt(0)
	v_add_u32_e32 v31, v16, v31
	v_sub_u32_e32 v26, v26, v17
	v_and_b32_e32 v55, 1, v20
	v_sub_u32_e32 v54, v31, v26
	v_cmp_eq_u32_e32 vcc, 1, v55
	v_cndmask_b32_e32 v26, v54, v26, vcc
	v_lshlrev_b32_e32 v26, 1, v26
	v_lshrrev_b32_e32 v27, 8, v20
	ds_write_b16 v26, v6
	v_sub_u32_e32 v26, v28, v17
	v_add_u32_sdwa v29, v28, v20 dst_sel:DWORD dst_unused:UNUSED_PAD src0_sel:DWORD src1_sel:BYTE_1
	v_sub_u32_e32 v28, v31, v26
	v_and_b32_e32 v27, 1, v27
	v_add_u32_e32 v28, 1, v28
	v_cmp_eq_u32_e32 vcc, 1, v27
	v_cndmask_b32_e32 v26, v28, v26, vcc
	v_lshlrev_b32_e32 v26, 1, v26
	ds_write_b16_d16_hi v26, v6
	v_sub_u32_e32 v6, v29, v17
	v_mov_b32_e32 v27, 1
	v_sub_u32_e32 v26, v31, v6
	v_and_b32_sdwa v20, v27, v20 dst_sel:DWORD dst_unused:UNUSED_PAD src0_sel:DWORD src1_sel:WORD_1
	v_add_u32_e32 v26, 2, v26
	v_cmp_eq_u32_e32 vcc, 1, v20
	v_cndmask_b32_e32 v6, v26, v6, vcc
	v_add_u32_e32 v49, v29, v49
	v_lshlrev_b32_e32 v6, 1, v6
	ds_write_b16 v6, v7
	v_sub_u32_e32 v6, v49, v17
	v_sub_u32_e32 v20, v31, v6
	v_and_b32_e32 v26, 1, v37
	v_add_u32_e32 v20, 3, v20
	v_cmp_eq_u32_e32 vcc, 1, v26
	v_cndmask_b32_e32 v6, v20, v6, vcc
	v_add_u32_e32 v50, v49, v37
	v_lshlrev_b32_e32 v6, 1, v6
	ds_write_b16_d16_hi v6, v7
	v_sub_u32_e32 v6, v50, v17
	v_sub_u32_e32 v7, v31, v6
	v_and_b32_e32 v20, 1, v21
	v_add_u32_e32 v7, 4, v7
	v_cmp_eq_u32_e32 vcc, 1, v20
	v_cndmask_b32_e32 v6, v7, v6, vcc
	v_add_u32_e32 v46, v50, v46
	v_lshlrev_b32_e32 v6, 1, v6
	v_lshrrev_b32_e32 v25, 8, v21
	ds_write_b16 v6, v8
	v_sub_u32_e32 v6, v46, v17
	v_sub_u32_e32 v7, v31, v6
	v_and_b32_e32 v20, 1, v25
	v_add_u32_e32 v7, 5, v7
	v_cmp_eq_u32_e32 vcc, 1, v20
	v_cndmask_b32_e32 v6, v7, v6, vcc
	v_add_u32_e32 v47, v46, v47
	v_lshlrev_b32_e32 v6, 1, v6
	ds_write_b16_d16_hi v6, v8
	v_sub_u32_e32 v6, v47, v17
	v_sub_u32_e32 v7, v31, v6
	v_and_b32_sdwa v8, v27, v21 dst_sel:DWORD dst_unused:UNUSED_PAD src0_sel:DWORD src1_sel:WORD_1
	v_add_u32_e32 v7, 6, v7
	v_cmp_eq_u32_e32 vcc, 1, v8
	v_cndmask_b32_e32 v6, v7, v6, vcc
	v_add_u32_e32 v48, v47, v48
	v_lshlrev_b32_e32 v6, 1, v6
	ds_write_b16 v6, v9
	v_sub_u32_e32 v6, v48, v17
	v_sub_u32_e32 v7, v31, v6
	v_and_b32_e32 v8, 1, v36
	v_add_u32_e32 v7, 7, v7
	v_cmp_eq_u32_e32 vcc, 1, v8
	v_cndmask_b32_e32 v6, v7, v6, vcc
	v_add_u32_e32 v51, v48, v36
	v_lshlrev_b32_e32 v6, 1, v6
	ds_write_b16_d16_hi v6, v9
	v_sub_u32_e32 v6, v51, v17
	v_sub_u32_e32 v7, v31, v6
	v_and_b32_e32 v8, 1, v18
	v_add_u32_e32 v7, 8, v7
	v_cmp_eq_u32_e32 vcc, 1, v8
	v_cndmask_b32_e32 v6, v7, v6, vcc
	v_add_u32_e32 v43, v51, v43
	v_lshlrev_b32_e32 v6, 1, v6
	v_lshrrev_b32_e32 v24, 8, v18
	ds_write_b16 v6, v2
	v_sub_u32_e32 v6, v43, v17
	v_sub_u32_e32 v7, v31, v6
	v_and_b32_e32 v8, 1, v24
	v_add_u32_e32 v7, 9, v7
	v_cmp_eq_u32_e32 vcc, 1, v8
	v_cndmask_b32_e32 v6, v7, v6, vcc
	v_add_u32_e32 v44, v43, v44
	v_lshlrev_b32_e32 v6, 1, v6
	ds_write_b16_d16_hi v6, v2
	v_sub_u32_e32 v2, v44, v17
	;; [unrolled: 37-line block ×4, first 2 shown]
	v_sub_u32_e32 v3, v31, v2
	v_and_b32_sdwa v4, v27, v32 dst_sel:DWORD dst_unused:UNUSED_PAD src0_sel:DWORD src1_sel:WORD_1
	v_add_u32_e32 v3, 18, v3
	v_cmp_eq_u32_e32 vcc, 1, v4
	v_cndmask_b32_e32 v2, v3, v2, vcc
	v_lshlrev_b32_e32 v2, 1, v2
	ds_write_b16 v2, v15
	v_sub_u32_e32 v2, v33, v17
	v_add_u32_e32 v2, v39, v2
	v_sub_u32_e32 v3, v31, v2
	v_and_b32_e32 v1, 1, v1
	v_add_u32_e32 v3, 19, v3
	v_cmp_eq_u32_e32 vcc, 1, v1
	v_cndmask_b32_e32 v1, v3, v2, vcc
	v_lshlrev_b32_e32 v1, 1, v1
	s_waitcnt vmcnt(0)
	v_add_co_u32_e32 v10, vcc, v10, v17
	ds_write_b16_d16_hi v1, v15
	s_waitcnt lgkmcnt(0)
	s_barrier
	ds_read_u16 v51, v30
	ds_read_u16 v50, v30 offset:512
	ds_read_u16 v48, v30 offset:1024
	;; [unrolled: 1-line block ×15, first 2 shown]
	v_addc_co_u32_e32 v11, vcc, 0, v11, vcc
	v_add_co_u32_e32 v2, vcc, v10, v16
	v_addc_co_u32_e32 v3, vcc, 0, v11, vcc
	v_mov_b32_e32 v7, s19
	v_sub_co_u32_e32 v8, vcc, s18, v2
	ds_read_u16 v19, v30 offset:8192
	ds_read_u16 v15, v30 offset:8704
	;; [unrolled: 1-line block ×4, first 2 shown]
	v_subb_co_u32_e32 v9, vcc, v7, v3, vcc
	v_lshlrev_b64 v[8:9], 1, v[8:9]
	v_mov_b32_e32 v7, s27
	v_add_co_u32_e32 v8, vcc, s26, v8
	v_addc_co_u32_e32 v9, vcc, v7, v9, vcc
	v_add_co_u32_e32 v7, vcc, v8, v12
	v_lshlrev_b64 v[10:11], 1, v[10:11]
	v_addc_co_u32_e32 v8, vcc, v9, v13, vcc
	v_mov_b32_e32 v12, s25
	v_add_co_u32_e64 v9, s[2:3], s24, v10
	v_or_b32_e32 v49, 0x100, v0
	v_or_b32_e32 v47, 0x200, v0
	;; [unrolled: 1-line block ×19, first 2 shown]
	s_andn2_b64 vcc, exec, s[28:29]
	v_addc_co_u32_e64 v10, s[2:3], v12, v11, s[2:3]
	s_cbranch_vccnz .LBB2293_131
; %bb.130:
	v_cmp_lt_u32_e32 vcc, v0, v16
	v_cndmask_b32_e32 v12, v7, v9, vcc
	v_cndmask_b32_e32 v11, v8, v10, vcc
	v_add_co_u32_e32 v12, vcc, v12, v30
	v_addc_co_u32_e32 v13, vcc, 0, v11, vcc
	v_cmp_lt_u32_e32 vcc, v49, v16
	s_waitcnt lgkmcnt(14)
	global_store_short v[12:13], v51, off
	v_cndmask_b32_e32 v12, v7, v9, vcc
	v_cndmask_b32_e32 v11, v8, v10, vcc
	v_add_co_u32_e32 v12, vcc, v12, v30
	v_addc_co_u32_e32 v13, vcc, 0, v11, vcc
	v_cmp_lt_u32_e32 vcc, v47, v16
	global_store_short v[12:13], v50, off offset:512
	v_cndmask_b32_e32 v12, v7, v9, vcc
	v_cndmask_b32_e32 v11, v8, v10, vcc
	v_add_co_u32_e32 v12, vcc, v12, v30
	v_addc_co_u32_e32 v13, vcc, 0, v11, vcc
	v_cmp_lt_u32_e32 vcc, v45, v16
	global_store_short v[12:13], v48, off offset:1024
	;; [unrolled: 6-line block ×5, first 2 shown]
	v_cndmask_b32_e32 v12, v7, v9, vcc
	v_cndmask_b32_e32 v11, v8, v10, vcc
	v_add_co_u32_e32 v12, vcc, v12, v30
	v_addc_co_u32_e32 v13, vcc, 0, v11, vcc
	v_cmp_lt_u32_e32 vcc, v37, v16
	s_waitcnt lgkmcnt(13)
	global_store_short v[12:13], v40, off offset:3072
	v_cndmask_b32_e32 v12, v7, v9, vcc
	v_cndmask_b32_e32 v11, v8, v10, vcc
	v_add_co_u32_e32 v12, vcc, v12, v30
	v_addc_co_u32_e32 v13, vcc, 0, v11, vcc
	v_cmp_lt_u32_e32 vcc, v35, v16
	s_waitcnt lgkmcnt(12)
	global_store_short v[12:13], v38, off offset:3584
	v_cndmask_b32_e32 v12, v7, v9, vcc
	v_lshlrev_b32_e32 v13, 1, v35
	v_cndmask_b32_e32 v11, v8, v10, vcc
	v_add_co_u32_e32 v12, vcc, v12, v13
	v_addc_co_u32_e32 v13, vcc, 0, v11, vcc
	v_cmp_lt_u32_e32 vcc, v33, v16
	s_waitcnt lgkmcnt(11)
	global_store_short v[12:13], v36, off
	v_cndmask_b32_e32 v12, v7, v9, vcc
	v_lshlrev_b32_e32 v13, 1, v33
	v_cndmask_b32_e32 v11, v8, v10, vcc
	v_add_co_u32_e32 v12, vcc, v12, v13
	v_addc_co_u32_e32 v13, vcc, 0, v11, vcc
	v_cmp_lt_u32_e32 vcc, v31, v16
	s_waitcnt lgkmcnt(10)
	global_store_short v[12:13], v34, off
	;; [unrolled: 8-line block ×10, first 2 shown]
	v_cndmask_b32_e32 v12, v7, v9, vcc
	v_lshlrev_b32_e32 v13, 1, v6
	v_cndmask_b32_e32 v11, v8, v10, vcc
	v_add_co_u32_e32 v12, vcc, v12, v13
	v_addc_co_u32_e32 v13, vcc, 0, v11, vcc
	s_mov_b64 s[2:3], -1
	s_waitcnt lgkmcnt(1)
	global_store_short v[12:13], v5, off
	s_cbranch_execz .LBB2293_132
	s_branch .LBB2293_153
.LBB2293_131:
	s_mov_b64 s[2:3], 0
.LBB2293_132:
	v_cmp_gt_u32_e32 vcc, s33, v0
	s_and_saveexec_b64 s[2:3], vcc
	s_cbranch_execnz .LBB2293_158
; %bb.133:
	s_or_b64 exec, exec, s[2:3]
	v_cmp_gt_u32_e32 vcc, s33, v49
	s_and_saveexec_b64 s[2:3], vcc
	s_cbranch_execnz .LBB2293_159
.LBB2293_134:
	s_or_b64 exec, exec, s[2:3]
	v_cmp_gt_u32_e32 vcc, s33, v47
	s_and_saveexec_b64 s[2:3], vcc
	s_cbranch_execnz .LBB2293_160
.LBB2293_135:
	s_or_b64 exec, exec, s[2:3]
	v_cmp_gt_u32_e32 vcc, s33, v45
	s_and_saveexec_b64 s[2:3], vcc
	s_cbranch_execnz .LBB2293_161
.LBB2293_136:
	s_or_b64 exec, exec, s[2:3]
	v_cmp_gt_u32_e32 vcc, s33, v43
	s_and_saveexec_b64 s[2:3], vcc
	s_cbranch_execnz .LBB2293_162
.LBB2293_137:
	s_or_b64 exec, exec, s[2:3]
	v_cmp_gt_u32_e32 vcc, s33, v41
	s_and_saveexec_b64 s[2:3], vcc
	s_cbranch_execnz .LBB2293_163
.LBB2293_138:
	s_or_b64 exec, exec, s[2:3]
	v_cmp_gt_u32_e32 vcc, s33, v39
	s_and_saveexec_b64 s[2:3], vcc
	s_cbranch_execnz .LBB2293_164
.LBB2293_139:
	s_or_b64 exec, exec, s[2:3]
	v_cmp_gt_u32_e32 vcc, s33, v37
	s_and_saveexec_b64 s[2:3], vcc
	s_cbranch_execnz .LBB2293_165
.LBB2293_140:
	s_or_b64 exec, exec, s[2:3]
	v_cmp_gt_u32_e32 vcc, s33, v35
	s_and_saveexec_b64 s[2:3], vcc
	s_cbranch_execnz .LBB2293_166
.LBB2293_141:
	s_or_b64 exec, exec, s[2:3]
	v_cmp_gt_u32_e32 vcc, s33, v33
	s_and_saveexec_b64 s[2:3], vcc
	s_cbranch_execnz .LBB2293_167
.LBB2293_142:
	s_or_b64 exec, exec, s[2:3]
	v_cmp_gt_u32_e32 vcc, s33, v31
	s_and_saveexec_b64 s[2:3], vcc
	s_cbranch_execnz .LBB2293_168
.LBB2293_143:
	s_or_b64 exec, exec, s[2:3]
	v_cmp_gt_u32_e32 vcc, s33, v28
	s_and_saveexec_b64 s[2:3], vcc
	s_cbranch_execnz .LBB2293_169
.LBB2293_144:
	s_or_b64 exec, exec, s[2:3]
	v_cmp_gt_u32_e32 vcc, s33, v26
	s_and_saveexec_b64 s[2:3], vcc
	s_cbranch_execnz .LBB2293_170
.LBB2293_145:
	s_or_b64 exec, exec, s[2:3]
	v_cmp_gt_u32_e32 vcc, s33, v24
	s_and_saveexec_b64 s[2:3], vcc
	s_cbranch_execnz .LBB2293_171
.LBB2293_146:
	s_or_b64 exec, exec, s[2:3]
	v_cmp_gt_u32_e32 vcc, s33, v22
	s_and_saveexec_b64 s[2:3], vcc
	s_cbranch_execnz .LBB2293_172
.LBB2293_147:
	s_or_b64 exec, exec, s[2:3]
	v_cmp_gt_u32_e32 vcc, s33, v20
	s_and_saveexec_b64 s[2:3], vcc
	s_cbranch_execnz .LBB2293_173
.LBB2293_148:
	s_or_b64 exec, exec, s[2:3]
	v_cmp_gt_u32_e32 vcc, s33, v18
	s_and_saveexec_b64 s[2:3], vcc
	s_cbranch_execnz .LBB2293_174
.LBB2293_149:
	s_or_b64 exec, exec, s[2:3]
	v_cmp_gt_u32_e32 vcc, s33, v14
	s_and_saveexec_b64 s[2:3], vcc
	s_cbranch_execnz .LBB2293_175
.LBB2293_150:
	s_or_b64 exec, exec, s[2:3]
	v_cmp_gt_u32_e32 vcc, s33, v6
	s_and_saveexec_b64 s[2:3], vcc
	s_cbranch_execz .LBB2293_152
.LBB2293_151:
	v_cmp_lt_u32_e32 vcc, v6, v16
	v_cndmask_b32_e32 v11, v7, v9, vcc
	v_lshlrev_b32_e32 v6, 1, v6
	v_cndmask_b32_e32 v0, v8, v10, vcc
	v_add_co_u32_e32 v12, vcc, v11, v6
	v_addc_co_u32_e32 v13, vcc, 0, v0, vcc
	s_waitcnt lgkmcnt(1)
	global_store_short v[12:13], v5, off
.LBB2293_152:
	s_or_b64 exec, exec, s[2:3]
	v_cmp_gt_u32_e64 s[2:3], s33, v4
.LBB2293_153:
	s_and_saveexec_b64 s[4:5], s[2:3]
	s_cbranch_execnz .LBB2293_156
; %bb.154:
	s_or_b64 exec, exec, s[4:5]
	s_and_b64 s[0:1], s[0:1], s[22:23]
	s_and_saveexec_b64 s[2:3], s[0:1]
	s_cbranch_execnz .LBB2293_157
.LBB2293_155:
	s_endpgm
.LBB2293_156:
	v_cmp_lt_u32_e32 vcc, v4, v16
	s_waitcnt lgkmcnt(1)
	v_cndmask_b32_e32 v5, v7, v9, vcc
	v_lshlrev_b32_e32 v4, 1, v4
	v_cndmask_b32_e32 v0, v8, v10, vcc
	v_add_co_u32_e32 v4, vcc, v5, v4
	v_addc_co_u32_e32 v5, vcc, 0, v0, vcc
	s_waitcnt lgkmcnt(0)
	global_store_short v[4:5], v1, off
	s_or_b64 exec, exec, s[4:5]
	s_and_b64 s[0:1], s[0:1], s[22:23]
	s_and_saveexec_b64 s[2:3], s[0:1]
	s_cbranch_execz .LBB2293_155
.LBB2293_157:
	v_mov_b32_e32 v0, 0
	global_store_dwordx2 v0, v[2:3], s[20:21]
	s_endpgm
.LBB2293_158:
	v_cmp_lt_u32_e32 vcc, v0, v16
	v_cndmask_b32_e32 v11, v7, v9, vcc
	v_cndmask_b32_e32 v0, v8, v10, vcc
	v_add_co_u32_e32 v12, vcc, v11, v30
	v_addc_co_u32_e32 v13, vcc, 0, v0, vcc
	s_waitcnt lgkmcnt(14)
	global_store_short v[12:13], v51, off
	s_or_b64 exec, exec, s[2:3]
	v_cmp_gt_u32_e32 vcc, s33, v49
	s_and_saveexec_b64 s[2:3], vcc
	s_cbranch_execz .LBB2293_134
.LBB2293_159:
	v_cmp_lt_u32_e32 vcc, v49, v16
	v_cndmask_b32_e32 v11, v7, v9, vcc
	v_cndmask_b32_e32 v0, v8, v10, vcc
	v_add_co_u32_e32 v12, vcc, v11, v30
	v_addc_co_u32_e32 v13, vcc, 0, v0, vcc
	s_waitcnt lgkmcnt(14)
	global_store_short v[12:13], v50, off offset:512
	s_or_b64 exec, exec, s[2:3]
	v_cmp_gt_u32_e32 vcc, s33, v47
	s_and_saveexec_b64 s[2:3], vcc
	s_cbranch_execz .LBB2293_135
.LBB2293_160:
	v_cmp_lt_u32_e32 vcc, v47, v16
	v_cndmask_b32_e32 v11, v7, v9, vcc
	v_cndmask_b32_e32 v0, v8, v10, vcc
	v_add_co_u32_e32 v12, vcc, v11, v30
	v_addc_co_u32_e32 v13, vcc, 0, v0, vcc
	s_waitcnt lgkmcnt(14)
	global_store_short v[12:13], v48, off offset:1024
	s_or_b64 exec, exec, s[2:3]
	v_cmp_gt_u32_e32 vcc, s33, v45
	s_and_saveexec_b64 s[2:3], vcc
	s_cbranch_execz .LBB2293_136
.LBB2293_161:
	v_cmp_lt_u32_e32 vcc, v45, v16
	v_cndmask_b32_e32 v11, v7, v9, vcc
	v_cndmask_b32_e32 v0, v8, v10, vcc
	v_add_co_u32_e32 v12, vcc, v11, v30
	v_addc_co_u32_e32 v13, vcc, 0, v0, vcc
	s_waitcnt lgkmcnt(14)
	global_store_short v[12:13], v46, off offset:1536
	s_or_b64 exec, exec, s[2:3]
	v_cmp_gt_u32_e32 vcc, s33, v43
	s_and_saveexec_b64 s[2:3], vcc
	s_cbranch_execz .LBB2293_137
.LBB2293_162:
	v_cmp_lt_u32_e32 vcc, v43, v16
	v_cndmask_b32_e32 v11, v7, v9, vcc
	v_cndmask_b32_e32 v0, v8, v10, vcc
	v_add_co_u32_e32 v12, vcc, v11, v30
	v_addc_co_u32_e32 v13, vcc, 0, v0, vcc
	s_waitcnt lgkmcnt(14)
	global_store_short v[12:13], v44, off offset:2048
	s_or_b64 exec, exec, s[2:3]
	v_cmp_gt_u32_e32 vcc, s33, v41
	s_and_saveexec_b64 s[2:3], vcc
	s_cbranch_execz .LBB2293_138
.LBB2293_163:
	v_cmp_lt_u32_e32 vcc, v41, v16
	v_cndmask_b32_e32 v11, v7, v9, vcc
	v_cndmask_b32_e32 v0, v8, v10, vcc
	v_add_co_u32_e32 v12, vcc, v11, v30
	v_addc_co_u32_e32 v13, vcc, 0, v0, vcc
	s_waitcnt lgkmcnt(14)
	global_store_short v[12:13], v42, off offset:2560
	s_or_b64 exec, exec, s[2:3]
	v_cmp_gt_u32_e32 vcc, s33, v39
	s_and_saveexec_b64 s[2:3], vcc
	s_cbranch_execz .LBB2293_139
.LBB2293_164:
	v_cmp_lt_u32_e32 vcc, v39, v16
	v_cndmask_b32_e32 v11, v7, v9, vcc
	v_cndmask_b32_e32 v0, v8, v10, vcc
	v_add_co_u32_e32 v12, vcc, v11, v30
	v_addc_co_u32_e32 v13, vcc, 0, v0, vcc
	s_waitcnt lgkmcnt(13)
	global_store_short v[12:13], v40, off offset:3072
	s_or_b64 exec, exec, s[2:3]
	v_cmp_gt_u32_e32 vcc, s33, v37
	s_and_saveexec_b64 s[2:3], vcc
	s_cbranch_execz .LBB2293_140
.LBB2293_165:
	v_cmp_lt_u32_e32 vcc, v37, v16
	v_cndmask_b32_e32 v11, v7, v9, vcc
	v_cndmask_b32_e32 v0, v8, v10, vcc
	v_add_co_u32_e32 v12, vcc, v11, v30
	v_addc_co_u32_e32 v13, vcc, 0, v0, vcc
	s_waitcnt lgkmcnt(12)
	global_store_short v[12:13], v38, off offset:3584
	s_or_b64 exec, exec, s[2:3]
	v_cmp_gt_u32_e32 vcc, s33, v35
	s_and_saveexec_b64 s[2:3], vcc
	s_cbranch_execz .LBB2293_141
.LBB2293_166:
	v_cmp_lt_u32_e32 vcc, v35, v16
	v_cndmask_b32_e32 v11, v7, v9, vcc
	v_lshlrev_b32_e32 v12, 1, v35
	v_cndmask_b32_e32 v0, v8, v10, vcc
	v_add_co_u32_e32 v12, vcc, v11, v12
	v_addc_co_u32_e32 v13, vcc, 0, v0, vcc
	s_waitcnt lgkmcnt(11)
	global_store_short v[12:13], v36, off
	s_or_b64 exec, exec, s[2:3]
	v_cmp_gt_u32_e32 vcc, s33, v33
	s_and_saveexec_b64 s[2:3], vcc
	s_cbranch_execz .LBB2293_142
.LBB2293_167:
	v_cmp_lt_u32_e32 vcc, v33, v16
	v_cndmask_b32_e32 v11, v7, v9, vcc
	v_lshlrev_b32_e32 v12, 1, v33
	v_cndmask_b32_e32 v0, v8, v10, vcc
	v_add_co_u32_e32 v12, vcc, v11, v12
	v_addc_co_u32_e32 v13, vcc, 0, v0, vcc
	s_waitcnt lgkmcnt(10)
	global_store_short v[12:13], v34, off
	s_or_b64 exec, exec, s[2:3]
	v_cmp_gt_u32_e32 vcc, s33, v31
	s_and_saveexec_b64 s[2:3], vcc
	s_cbranch_execz .LBB2293_143
.LBB2293_168:
	v_cmp_lt_u32_e32 vcc, v31, v16
	v_cndmask_b32_e32 v11, v7, v9, vcc
	v_lshlrev_b32_e32 v12, 1, v31
	v_cndmask_b32_e32 v0, v8, v10, vcc
	v_add_co_u32_e32 v12, vcc, v11, v12
	v_addc_co_u32_e32 v13, vcc, 0, v0, vcc
	s_waitcnt lgkmcnt(9)
	global_store_short v[12:13], v32, off
	s_or_b64 exec, exec, s[2:3]
	v_cmp_gt_u32_e32 vcc, s33, v28
	s_and_saveexec_b64 s[2:3], vcc
	s_cbranch_execz .LBB2293_144
.LBB2293_169:
	v_cmp_lt_u32_e32 vcc, v28, v16
	v_cndmask_b32_e32 v11, v7, v9, vcc
	v_lshlrev_b32_e32 v12, 1, v28
	v_cndmask_b32_e32 v0, v8, v10, vcc
	v_add_co_u32_e32 v12, vcc, v11, v12
	v_addc_co_u32_e32 v13, vcc, 0, v0, vcc
	s_waitcnt lgkmcnt(8)
	global_store_short v[12:13], v29, off
	s_or_b64 exec, exec, s[2:3]
	v_cmp_gt_u32_e32 vcc, s33, v26
	s_and_saveexec_b64 s[2:3], vcc
	s_cbranch_execz .LBB2293_145
.LBB2293_170:
	v_cmp_lt_u32_e32 vcc, v26, v16
	v_cndmask_b32_e32 v11, v7, v9, vcc
	v_lshlrev_b32_e32 v12, 1, v26
	v_cndmask_b32_e32 v0, v8, v10, vcc
	v_add_co_u32_e32 v12, vcc, v11, v12
	v_addc_co_u32_e32 v13, vcc, 0, v0, vcc
	s_waitcnt lgkmcnt(7)
	global_store_short v[12:13], v27, off
	s_or_b64 exec, exec, s[2:3]
	v_cmp_gt_u32_e32 vcc, s33, v24
	s_and_saveexec_b64 s[2:3], vcc
	s_cbranch_execz .LBB2293_146
.LBB2293_171:
	v_cmp_lt_u32_e32 vcc, v24, v16
	v_cndmask_b32_e32 v11, v7, v9, vcc
	v_lshlrev_b32_e32 v12, 1, v24
	v_cndmask_b32_e32 v0, v8, v10, vcc
	v_add_co_u32_e32 v12, vcc, v11, v12
	v_addc_co_u32_e32 v13, vcc, 0, v0, vcc
	s_waitcnt lgkmcnt(6)
	global_store_short v[12:13], v25, off
	s_or_b64 exec, exec, s[2:3]
	v_cmp_gt_u32_e32 vcc, s33, v22
	s_and_saveexec_b64 s[2:3], vcc
	s_cbranch_execz .LBB2293_147
.LBB2293_172:
	v_cmp_lt_u32_e32 vcc, v22, v16
	v_cndmask_b32_e32 v11, v7, v9, vcc
	v_lshlrev_b32_e32 v12, 1, v22
	v_cndmask_b32_e32 v0, v8, v10, vcc
	v_add_co_u32_e32 v12, vcc, v11, v12
	v_addc_co_u32_e32 v13, vcc, 0, v0, vcc
	s_waitcnt lgkmcnt(5)
	global_store_short v[12:13], v23, off
	s_or_b64 exec, exec, s[2:3]
	v_cmp_gt_u32_e32 vcc, s33, v20
	s_and_saveexec_b64 s[2:3], vcc
	s_cbranch_execz .LBB2293_148
.LBB2293_173:
	v_cmp_lt_u32_e32 vcc, v20, v16
	v_cndmask_b32_e32 v11, v7, v9, vcc
	v_lshlrev_b32_e32 v12, 1, v20
	v_cndmask_b32_e32 v0, v8, v10, vcc
	v_add_co_u32_e32 v12, vcc, v11, v12
	v_addc_co_u32_e32 v13, vcc, 0, v0, vcc
	s_waitcnt lgkmcnt(4)
	global_store_short v[12:13], v21, off
	s_or_b64 exec, exec, s[2:3]
	v_cmp_gt_u32_e32 vcc, s33, v18
	s_and_saveexec_b64 s[2:3], vcc
	s_cbranch_execz .LBB2293_149
.LBB2293_174:
	v_cmp_lt_u32_e32 vcc, v18, v16
	v_cndmask_b32_e32 v11, v7, v9, vcc
	v_lshlrev_b32_e32 v12, 1, v18
	v_cndmask_b32_e32 v0, v8, v10, vcc
	v_add_co_u32_e32 v12, vcc, v11, v12
	v_addc_co_u32_e32 v13, vcc, 0, v0, vcc
	s_waitcnt lgkmcnt(3)
	global_store_short v[12:13], v19, off
	s_or_b64 exec, exec, s[2:3]
	v_cmp_gt_u32_e32 vcc, s33, v14
	s_and_saveexec_b64 s[2:3], vcc
	s_cbranch_execz .LBB2293_150
.LBB2293_175:
	v_cmp_lt_u32_e32 vcc, v14, v16
	v_cndmask_b32_e32 v11, v7, v9, vcc
	v_lshlrev_b32_e32 v12, 1, v14
	v_cndmask_b32_e32 v0, v8, v10, vcc
	v_add_co_u32_e32 v12, vcc, v11, v12
	v_addc_co_u32_e32 v13, vcc, 0, v0, vcc
	s_waitcnt lgkmcnt(2)
	global_store_short v[12:13], v15, off
	s_or_b64 exec, exec, s[2:3]
	v_cmp_gt_u32_e32 vcc, s33, v6
	s_and_saveexec_b64 s[2:3], vcc
	s_cbranch_execnz .LBB2293_151
	s_branch .LBB2293_152
	.section	.rodata,"a",@progbits
	.p2align	6, 0x0
	.amdhsa_kernel _ZN7rocprim17ROCPRIM_400000_NS6detail17trampoline_kernelINS0_14default_configENS1_25partition_config_selectorILNS1_17partition_subalgoE1EtNS0_10empty_typeEbEEZZNS1_14partition_implILS5_1ELb0ES3_jN6thrust23THRUST_200600_302600_NS6detail15normal_iteratorINSA_10device_ptrItEEEEPS6_NSA_18transform_iteratorI7is_evenItESF_NSA_11use_defaultESK_EENS0_5tupleIJSF_SF_EEENSM_IJSG_SG_EEES6_PlJS6_EEE10hipError_tPvRmT3_T4_T5_T6_T7_T9_mT8_P12ihipStream_tbDpT10_ENKUlT_T0_E_clISt17integral_constantIbLb0EES18_IbLb1EEEEDaS14_S15_EUlS14_E_NS1_11comp_targetILNS1_3genE4ELNS1_11target_archE910ELNS1_3gpuE8ELNS1_3repE0EEENS1_30default_config_static_selectorELNS0_4arch9wavefront6targetE1EEEvT1_
		.amdhsa_group_segment_fixed_size 10248
		.amdhsa_private_segment_fixed_size 0
		.amdhsa_kernarg_size 144
		.amdhsa_user_sgpr_count 6
		.amdhsa_user_sgpr_private_segment_buffer 1
		.amdhsa_user_sgpr_dispatch_ptr 0
		.amdhsa_user_sgpr_queue_ptr 0
		.amdhsa_user_sgpr_kernarg_segment_ptr 1
		.amdhsa_user_sgpr_dispatch_id 0
		.amdhsa_user_sgpr_flat_scratch_init 0
		.amdhsa_user_sgpr_kernarg_preload_length 0
		.amdhsa_user_sgpr_kernarg_preload_offset 0
		.amdhsa_user_sgpr_private_segment_size 0
		.amdhsa_uses_dynamic_stack 0
		.amdhsa_system_sgpr_private_segment_wavefront_offset 0
		.amdhsa_system_sgpr_workgroup_id_x 1
		.amdhsa_system_sgpr_workgroup_id_y 0
		.amdhsa_system_sgpr_workgroup_id_z 0
		.amdhsa_system_sgpr_workgroup_info 0
		.amdhsa_system_vgpr_workitem_id 0
		.amdhsa_next_free_vgpr 69
		.amdhsa_next_free_sgpr 44
		.amdhsa_accum_offset 72
		.amdhsa_reserve_vcc 1
		.amdhsa_reserve_flat_scratch 0
		.amdhsa_float_round_mode_32 0
		.amdhsa_float_round_mode_16_64 0
		.amdhsa_float_denorm_mode_32 3
		.amdhsa_float_denorm_mode_16_64 3
		.amdhsa_dx10_clamp 1
		.amdhsa_ieee_mode 1
		.amdhsa_fp16_overflow 0
		.amdhsa_tg_split 0
		.amdhsa_exception_fp_ieee_invalid_op 0
		.amdhsa_exception_fp_denorm_src 0
		.amdhsa_exception_fp_ieee_div_zero 0
		.amdhsa_exception_fp_ieee_overflow 0
		.amdhsa_exception_fp_ieee_underflow 0
		.amdhsa_exception_fp_ieee_inexact 0
		.amdhsa_exception_int_div_zero 0
	.end_amdhsa_kernel
	.section	.text._ZN7rocprim17ROCPRIM_400000_NS6detail17trampoline_kernelINS0_14default_configENS1_25partition_config_selectorILNS1_17partition_subalgoE1EtNS0_10empty_typeEbEEZZNS1_14partition_implILS5_1ELb0ES3_jN6thrust23THRUST_200600_302600_NS6detail15normal_iteratorINSA_10device_ptrItEEEEPS6_NSA_18transform_iteratorI7is_evenItESF_NSA_11use_defaultESK_EENS0_5tupleIJSF_SF_EEENSM_IJSG_SG_EEES6_PlJS6_EEE10hipError_tPvRmT3_T4_T5_T6_T7_T9_mT8_P12ihipStream_tbDpT10_ENKUlT_T0_E_clISt17integral_constantIbLb0EES18_IbLb1EEEEDaS14_S15_EUlS14_E_NS1_11comp_targetILNS1_3genE4ELNS1_11target_archE910ELNS1_3gpuE8ELNS1_3repE0EEENS1_30default_config_static_selectorELNS0_4arch9wavefront6targetE1EEEvT1_,"axG",@progbits,_ZN7rocprim17ROCPRIM_400000_NS6detail17trampoline_kernelINS0_14default_configENS1_25partition_config_selectorILNS1_17partition_subalgoE1EtNS0_10empty_typeEbEEZZNS1_14partition_implILS5_1ELb0ES3_jN6thrust23THRUST_200600_302600_NS6detail15normal_iteratorINSA_10device_ptrItEEEEPS6_NSA_18transform_iteratorI7is_evenItESF_NSA_11use_defaultESK_EENS0_5tupleIJSF_SF_EEENSM_IJSG_SG_EEES6_PlJS6_EEE10hipError_tPvRmT3_T4_T5_T6_T7_T9_mT8_P12ihipStream_tbDpT10_ENKUlT_T0_E_clISt17integral_constantIbLb0EES18_IbLb1EEEEDaS14_S15_EUlS14_E_NS1_11comp_targetILNS1_3genE4ELNS1_11target_archE910ELNS1_3gpuE8ELNS1_3repE0EEENS1_30default_config_static_selectorELNS0_4arch9wavefront6targetE1EEEvT1_,comdat
.Lfunc_end2293:
	.size	_ZN7rocprim17ROCPRIM_400000_NS6detail17trampoline_kernelINS0_14default_configENS1_25partition_config_selectorILNS1_17partition_subalgoE1EtNS0_10empty_typeEbEEZZNS1_14partition_implILS5_1ELb0ES3_jN6thrust23THRUST_200600_302600_NS6detail15normal_iteratorINSA_10device_ptrItEEEEPS6_NSA_18transform_iteratorI7is_evenItESF_NSA_11use_defaultESK_EENS0_5tupleIJSF_SF_EEENSM_IJSG_SG_EEES6_PlJS6_EEE10hipError_tPvRmT3_T4_T5_T6_T7_T9_mT8_P12ihipStream_tbDpT10_ENKUlT_T0_E_clISt17integral_constantIbLb0EES18_IbLb1EEEEDaS14_S15_EUlS14_E_NS1_11comp_targetILNS1_3genE4ELNS1_11target_archE910ELNS1_3gpuE8ELNS1_3repE0EEENS1_30default_config_static_selectorELNS0_4arch9wavefront6targetE1EEEvT1_, .Lfunc_end2293-_ZN7rocprim17ROCPRIM_400000_NS6detail17trampoline_kernelINS0_14default_configENS1_25partition_config_selectorILNS1_17partition_subalgoE1EtNS0_10empty_typeEbEEZZNS1_14partition_implILS5_1ELb0ES3_jN6thrust23THRUST_200600_302600_NS6detail15normal_iteratorINSA_10device_ptrItEEEEPS6_NSA_18transform_iteratorI7is_evenItESF_NSA_11use_defaultESK_EENS0_5tupleIJSF_SF_EEENSM_IJSG_SG_EEES6_PlJS6_EEE10hipError_tPvRmT3_T4_T5_T6_T7_T9_mT8_P12ihipStream_tbDpT10_ENKUlT_T0_E_clISt17integral_constantIbLb0EES18_IbLb1EEEEDaS14_S15_EUlS14_E_NS1_11comp_targetILNS1_3genE4ELNS1_11target_archE910ELNS1_3gpuE8ELNS1_3repE0EEENS1_30default_config_static_selectorELNS0_4arch9wavefront6targetE1EEEvT1_
                                        ; -- End function
	.section	.AMDGPU.csdata,"",@progbits
; Kernel info:
; codeLenInByte = 9236
; NumSgprs: 48
; NumVgprs: 69
; NumAgprs: 0
; TotalNumVgprs: 69
; ScratchSize: 0
; MemoryBound: 0
; FloatMode: 240
; IeeeMode: 1
; LDSByteSize: 10248 bytes/workgroup (compile time only)
; SGPRBlocks: 5
; VGPRBlocks: 8
; NumSGPRsForWavesPerEU: 48
; NumVGPRsForWavesPerEU: 69
; AccumOffset: 72
; Occupancy: 6
; WaveLimiterHint : 1
; COMPUTE_PGM_RSRC2:SCRATCH_EN: 0
; COMPUTE_PGM_RSRC2:USER_SGPR: 6
; COMPUTE_PGM_RSRC2:TRAP_HANDLER: 0
; COMPUTE_PGM_RSRC2:TGID_X_EN: 1
; COMPUTE_PGM_RSRC2:TGID_Y_EN: 0
; COMPUTE_PGM_RSRC2:TGID_Z_EN: 0
; COMPUTE_PGM_RSRC2:TIDIG_COMP_CNT: 0
; COMPUTE_PGM_RSRC3_GFX90A:ACCUM_OFFSET: 17
; COMPUTE_PGM_RSRC3_GFX90A:TG_SPLIT: 0
	.section	.text._ZN7rocprim17ROCPRIM_400000_NS6detail17trampoline_kernelINS0_14default_configENS1_25partition_config_selectorILNS1_17partition_subalgoE1EtNS0_10empty_typeEbEEZZNS1_14partition_implILS5_1ELb0ES3_jN6thrust23THRUST_200600_302600_NS6detail15normal_iteratorINSA_10device_ptrItEEEEPS6_NSA_18transform_iteratorI7is_evenItESF_NSA_11use_defaultESK_EENS0_5tupleIJSF_SF_EEENSM_IJSG_SG_EEES6_PlJS6_EEE10hipError_tPvRmT3_T4_T5_T6_T7_T9_mT8_P12ihipStream_tbDpT10_ENKUlT_T0_E_clISt17integral_constantIbLb0EES18_IbLb1EEEEDaS14_S15_EUlS14_E_NS1_11comp_targetILNS1_3genE3ELNS1_11target_archE908ELNS1_3gpuE7ELNS1_3repE0EEENS1_30default_config_static_selectorELNS0_4arch9wavefront6targetE1EEEvT1_,"axG",@progbits,_ZN7rocprim17ROCPRIM_400000_NS6detail17trampoline_kernelINS0_14default_configENS1_25partition_config_selectorILNS1_17partition_subalgoE1EtNS0_10empty_typeEbEEZZNS1_14partition_implILS5_1ELb0ES3_jN6thrust23THRUST_200600_302600_NS6detail15normal_iteratorINSA_10device_ptrItEEEEPS6_NSA_18transform_iteratorI7is_evenItESF_NSA_11use_defaultESK_EENS0_5tupleIJSF_SF_EEENSM_IJSG_SG_EEES6_PlJS6_EEE10hipError_tPvRmT3_T4_T5_T6_T7_T9_mT8_P12ihipStream_tbDpT10_ENKUlT_T0_E_clISt17integral_constantIbLb0EES18_IbLb1EEEEDaS14_S15_EUlS14_E_NS1_11comp_targetILNS1_3genE3ELNS1_11target_archE908ELNS1_3gpuE7ELNS1_3repE0EEENS1_30default_config_static_selectorELNS0_4arch9wavefront6targetE1EEEvT1_,comdat
	.protected	_ZN7rocprim17ROCPRIM_400000_NS6detail17trampoline_kernelINS0_14default_configENS1_25partition_config_selectorILNS1_17partition_subalgoE1EtNS0_10empty_typeEbEEZZNS1_14partition_implILS5_1ELb0ES3_jN6thrust23THRUST_200600_302600_NS6detail15normal_iteratorINSA_10device_ptrItEEEEPS6_NSA_18transform_iteratorI7is_evenItESF_NSA_11use_defaultESK_EENS0_5tupleIJSF_SF_EEENSM_IJSG_SG_EEES6_PlJS6_EEE10hipError_tPvRmT3_T4_T5_T6_T7_T9_mT8_P12ihipStream_tbDpT10_ENKUlT_T0_E_clISt17integral_constantIbLb0EES18_IbLb1EEEEDaS14_S15_EUlS14_E_NS1_11comp_targetILNS1_3genE3ELNS1_11target_archE908ELNS1_3gpuE7ELNS1_3repE0EEENS1_30default_config_static_selectorELNS0_4arch9wavefront6targetE1EEEvT1_ ; -- Begin function _ZN7rocprim17ROCPRIM_400000_NS6detail17trampoline_kernelINS0_14default_configENS1_25partition_config_selectorILNS1_17partition_subalgoE1EtNS0_10empty_typeEbEEZZNS1_14partition_implILS5_1ELb0ES3_jN6thrust23THRUST_200600_302600_NS6detail15normal_iteratorINSA_10device_ptrItEEEEPS6_NSA_18transform_iteratorI7is_evenItESF_NSA_11use_defaultESK_EENS0_5tupleIJSF_SF_EEENSM_IJSG_SG_EEES6_PlJS6_EEE10hipError_tPvRmT3_T4_T5_T6_T7_T9_mT8_P12ihipStream_tbDpT10_ENKUlT_T0_E_clISt17integral_constantIbLb0EES18_IbLb1EEEEDaS14_S15_EUlS14_E_NS1_11comp_targetILNS1_3genE3ELNS1_11target_archE908ELNS1_3gpuE7ELNS1_3repE0EEENS1_30default_config_static_selectorELNS0_4arch9wavefront6targetE1EEEvT1_
	.globl	_ZN7rocprim17ROCPRIM_400000_NS6detail17trampoline_kernelINS0_14default_configENS1_25partition_config_selectorILNS1_17partition_subalgoE1EtNS0_10empty_typeEbEEZZNS1_14partition_implILS5_1ELb0ES3_jN6thrust23THRUST_200600_302600_NS6detail15normal_iteratorINSA_10device_ptrItEEEEPS6_NSA_18transform_iteratorI7is_evenItESF_NSA_11use_defaultESK_EENS0_5tupleIJSF_SF_EEENSM_IJSG_SG_EEES6_PlJS6_EEE10hipError_tPvRmT3_T4_T5_T6_T7_T9_mT8_P12ihipStream_tbDpT10_ENKUlT_T0_E_clISt17integral_constantIbLb0EES18_IbLb1EEEEDaS14_S15_EUlS14_E_NS1_11comp_targetILNS1_3genE3ELNS1_11target_archE908ELNS1_3gpuE7ELNS1_3repE0EEENS1_30default_config_static_selectorELNS0_4arch9wavefront6targetE1EEEvT1_
	.p2align	8
	.type	_ZN7rocprim17ROCPRIM_400000_NS6detail17trampoline_kernelINS0_14default_configENS1_25partition_config_selectorILNS1_17partition_subalgoE1EtNS0_10empty_typeEbEEZZNS1_14partition_implILS5_1ELb0ES3_jN6thrust23THRUST_200600_302600_NS6detail15normal_iteratorINSA_10device_ptrItEEEEPS6_NSA_18transform_iteratorI7is_evenItESF_NSA_11use_defaultESK_EENS0_5tupleIJSF_SF_EEENSM_IJSG_SG_EEES6_PlJS6_EEE10hipError_tPvRmT3_T4_T5_T6_T7_T9_mT8_P12ihipStream_tbDpT10_ENKUlT_T0_E_clISt17integral_constantIbLb0EES18_IbLb1EEEEDaS14_S15_EUlS14_E_NS1_11comp_targetILNS1_3genE3ELNS1_11target_archE908ELNS1_3gpuE7ELNS1_3repE0EEENS1_30default_config_static_selectorELNS0_4arch9wavefront6targetE1EEEvT1_,@function
_ZN7rocprim17ROCPRIM_400000_NS6detail17trampoline_kernelINS0_14default_configENS1_25partition_config_selectorILNS1_17partition_subalgoE1EtNS0_10empty_typeEbEEZZNS1_14partition_implILS5_1ELb0ES3_jN6thrust23THRUST_200600_302600_NS6detail15normal_iteratorINSA_10device_ptrItEEEEPS6_NSA_18transform_iteratorI7is_evenItESF_NSA_11use_defaultESK_EENS0_5tupleIJSF_SF_EEENSM_IJSG_SG_EEES6_PlJS6_EEE10hipError_tPvRmT3_T4_T5_T6_T7_T9_mT8_P12ihipStream_tbDpT10_ENKUlT_T0_E_clISt17integral_constantIbLb0EES18_IbLb1EEEEDaS14_S15_EUlS14_E_NS1_11comp_targetILNS1_3genE3ELNS1_11target_archE908ELNS1_3gpuE7ELNS1_3repE0EEENS1_30default_config_static_selectorELNS0_4arch9wavefront6targetE1EEEvT1_: ; @_ZN7rocprim17ROCPRIM_400000_NS6detail17trampoline_kernelINS0_14default_configENS1_25partition_config_selectorILNS1_17partition_subalgoE1EtNS0_10empty_typeEbEEZZNS1_14partition_implILS5_1ELb0ES3_jN6thrust23THRUST_200600_302600_NS6detail15normal_iteratorINSA_10device_ptrItEEEEPS6_NSA_18transform_iteratorI7is_evenItESF_NSA_11use_defaultESK_EENS0_5tupleIJSF_SF_EEENSM_IJSG_SG_EEES6_PlJS6_EEE10hipError_tPvRmT3_T4_T5_T6_T7_T9_mT8_P12ihipStream_tbDpT10_ENKUlT_T0_E_clISt17integral_constantIbLb0EES18_IbLb1EEEEDaS14_S15_EUlS14_E_NS1_11comp_targetILNS1_3genE3ELNS1_11target_archE908ELNS1_3gpuE7ELNS1_3repE0EEENS1_30default_config_static_selectorELNS0_4arch9wavefront6targetE1EEEvT1_
; %bb.0:
	.section	.rodata,"a",@progbits
	.p2align	6, 0x0
	.amdhsa_kernel _ZN7rocprim17ROCPRIM_400000_NS6detail17trampoline_kernelINS0_14default_configENS1_25partition_config_selectorILNS1_17partition_subalgoE1EtNS0_10empty_typeEbEEZZNS1_14partition_implILS5_1ELb0ES3_jN6thrust23THRUST_200600_302600_NS6detail15normal_iteratorINSA_10device_ptrItEEEEPS6_NSA_18transform_iteratorI7is_evenItESF_NSA_11use_defaultESK_EENS0_5tupleIJSF_SF_EEENSM_IJSG_SG_EEES6_PlJS6_EEE10hipError_tPvRmT3_T4_T5_T6_T7_T9_mT8_P12ihipStream_tbDpT10_ENKUlT_T0_E_clISt17integral_constantIbLb0EES18_IbLb1EEEEDaS14_S15_EUlS14_E_NS1_11comp_targetILNS1_3genE3ELNS1_11target_archE908ELNS1_3gpuE7ELNS1_3repE0EEENS1_30default_config_static_selectorELNS0_4arch9wavefront6targetE1EEEvT1_
		.amdhsa_group_segment_fixed_size 0
		.amdhsa_private_segment_fixed_size 0
		.amdhsa_kernarg_size 144
		.amdhsa_user_sgpr_count 6
		.amdhsa_user_sgpr_private_segment_buffer 1
		.amdhsa_user_sgpr_dispatch_ptr 0
		.amdhsa_user_sgpr_queue_ptr 0
		.amdhsa_user_sgpr_kernarg_segment_ptr 1
		.amdhsa_user_sgpr_dispatch_id 0
		.amdhsa_user_sgpr_flat_scratch_init 0
		.amdhsa_user_sgpr_kernarg_preload_length 0
		.amdhsa_user_sgpr_kernarg_preload_offset 0
		.amdhsa_user_sgpr_private_segment_size 0
		.amdhsa_uses_dynamic_stack 0
		.amdhsa_system_sgpr_private_segment_wavefront_offset 0
		.amdhsa_system_sgpr_workgroup_id_x 1
		.amdhsa_system_sgpr_workgroup_id_y 0
		.amdhsa_system_sgpr_workgroup_id_z 0
		.amdhsa_system_sgpr_workgroup_info 0
		.amdhsa_system_vgpr_workitem_id 0
		.amdhsa_next_free_vgpr 1
		.amdhsa_next_free_sgpr 0
		.amdhsa_accum_offset 4
		.amdhsa_reserve_vcc 0
		.amdhsa_reserve_flat_scratch 0
		.amdhsa_float_round_mode_32 0
		.amdhsa_float_round_mode_16_64 0
		.amdhsa_float_denorm_mode_32 3
		.amdhsa_float_denorm_mode_16_64 3
		.amdhsa_dx10_clamp 1
		.amdhsa_ieee_mode 1
		.amdhsa_fp16_overflow 0
		.amdhsa_tg_split 0
		.amdhsa_exception_fp_ieee_invalid_op 0
		.amdhsa_exception_fp_denorm_src 0
		.amdhsa_exception_fp_ieee_div_zero 0
		.amdhsa_exception_fp_ieee_overflow 0
		.amdhsa_exception_fp_ieee_underflow 0
		.amdhsa_exception_fp_ieee_inexact 0
		.amdhsa_exception_int_div_zero 0
	.end_amdhsa_kernel
	.section	.text._ZN7rocprim17ROCPRIM_400000_NS6detail17trampoline_kernelINS0_14default_configENS1_25partition_config_selectorILNS1_17partition_subalgoE1EtNS0_10empty_typeEbEEZZNS1_14partition_implILS5_1ELb0ES3_jN6thrust23THRUST_200600_302600_NS6detail15normal_iteratorINSA_10device_ptrItEEEEPS6_NSA_18transform_iteratorI7is_evenItESF_NSA_11use_defaultESK_EENS0_5tupleIJSF_SF_EEENSM_IJSG_SG_EEES6_PlJS6_EEE10hipError_tPvRmT3_T4_T5_T6_T7_T9_mT8_P12ihipStream_tbDpT10_ENKUlT_T0_E_clISt17integral_constantIbLb0EES18_IbLb1EEEEDaS14_S15_EUlS14_E_NS1_11comp_targetILNS1_3genE3ELNS1_11target_archE908ELNS1_3gpuE7ELNS1_3repE0EEENS1_30default_config_static_selectorELNS0_4arch9wavefront6targetE1EEEvT1_,"axG",@progbits,_ZN7rocprim17ROCPRIM_400000_NS6detail17trampoline_kernelINS0_14default_configENS1_25partition_config_selectorILNS1_17partition_subalgoE1EtNS0_10empty_typeEbEEZZNS1_14partition_implILS5_1ELb0ES3_jN6thrust23THRUST_200600_302600_NS6detail15normal_iteratorINSA_10device_ptrItEEEEPS6_NSA_18transform_iteratorI7is_evenItESF_NSA_11use_defaultESK_EENS0_5tupleIJSF_SF_EEENSM_IJSG_SG_EEES6_PlJS6_EEE10hipError_tPvRmT3_T4_T5_T6_T7_T9_mT8_P12ihipStream_tbDpT10_ENKUlT_T0_E_clISt17integral_constantIbLb0EES18_IbLb1EEEEDaS14_S15_EUlS14_E_NS1_11comp_targetILNS1_3genE3ELNS1_11target_archE908ELNS1_3gpuE7ELNS1_3repE0EEENS1_30default_config_static_selectorELNS0_4arch9wavefront6targetE1EEEvT1_,comdat
.Lfunc_end2294:
	.size	_ZN7rocprim17ROCPRIM_400000_NS6detail17trampoline_kernelINS0_14default_configENS1_25partition_config_selectorILNS1_17partition_subalgoE1EtNS0_10empty_typeEbEEZZNS1_14partition_implILS5_1ELb0ES3_jN6thrust23THRUST_200600_302600_NS6detail15normal_iteratorINSA_10device_ptrItEEEEPS6_NSA_18transform_iteratorI7is_evenItESF_NSA_11use_defaultESK_EENS0_5tupleIJSF_SF_EEENSM_IJSG_SG_EEES6_PlJS6_EEE10hipError_tPvRmT3_T4_T5_T6_T7_T9_mT8_P12ihipStream_tbDpT10_ENKUlT_T0_E_clISt17integral_constantIbLb0EES18_IbLb1EEEEDaS14_S15_EUlS14_E_NS1_11comp_targetILNS1_3genE3ELNS1_11target_archE908ELNS1_3gpuE7ELNS1_3repE0EEENS1_30default_config_static_selectorELNS0_4arch9wavefront6targetE1EEEvT1_, .Lfunc_end2294-_ZN7rocprim17ROCPRIM_400000_NS6detail17trampoline_kernelINS0_14default_configENS1_25partition_config_selectorILNS1_17partition_subalgoE1EtNS0_10empty_typeEbEEZZNS1_14partition_implILS5_1ELb0ES3_jN6thrust23THRUST_200600_302600_NS6detail15normal_iteratorINSA_10device_ptrItEEEEPS6_NSA_18transform_iteratorI7is_evenItESF_NSA_11use_defaultESK_EENS0_5tupleIJSF_SF_EEENSM_IJSG_SG_EEES6_PlJS6_EEE10hipError_tPvRmT3_T4_T5_T6_T7_T9_mT8_P12ihipStream_tbDpT10_ENKUlT_T0_E_clISt17integral_constantIbLb0EES18_IbLb1EEEEDaS14_S15_EUlS14_E_NS1_11comp_targetILNS1_3genE3ELNS1_11target_archE908ELNS1_3gpuE7ELNS1_3repE0EEENS1_30default_config_static_selectorELNS0_4arch9wavefront6targetE1EEEvT1_
                                        ; -- End function
	.section	.AMDGPU.csdata,"",@progbits
; Kernel info:
; codeLenInByte = 0
; NumSgprs: 4
; NumVgprs: 0
; NumAgprs: 0
; TotalNumVgprs: 0
; ScratchSize: 0
; MemoryBound: 0
; FloatMode: 240
; IeeeMode: 1
; LDSByteSize: 0 bytes/workgroup (compile time only)
; SGPRBlocks: 0
; VGPRBlocks: 0
; NumSGPRsForWavesPerEU: 4
; NumVGPRsForWavesPerEU: 1
; AccumOffset: 4
; Occupancy: 8
; WaveLimiterHint : 0
; COMPUTE_PGM_RSRC2:SCRATCH_EN: 0
; COMPUTE_PGM_RSRC2:USER_SGPR: 6
; COMPUTE_PGM_RSRC2:TRAP_HANDLER: 0
; COMPUTE_PGM_RSRC2:TGID_X_EN: 1
; COMPUTE_PGM_RSRC2:TGID_Y_EN: 0
; COMPUTE_PGM_RSRC2:TGID_Z_EN: 0
; COMPUTE_PGM_RSRC2:TIDIG_COMP_CNT: 0
; COMPUTE_PGM_RSRC3_GFX90A:ACCUM_OFFSET: 0
; COMPUTE_PGM_RSRC3_GFX90A:TG_SPLIT: 0
	.section	.text._ZN7rocprim17ROCPRIM_400000_NS6detail17trampoline_kernelINS0_14default_configENS1_25partition_config_selectorILNS1_17partition_subalgoE1EtNS0_10empty_typeEbEEZZNS1_14partition_implILS5_1ELb0ES3_jN6thrust23THRUST_200600_302600_NS6detail15normal_iteratorINSA_10device_ptrItEEEEPS6_NSA_18transform_iteratorI7is_evenItESF_NSA_11use_defaultESK_EENS0_5tupleIJSF_SF_EEENSM_IJSG_SG_EEES6_PlJS6_EEE10hipError_tPvRmT3_T4_T5_T6_T7_T9_mT8_P12ihipStream_tbDpT10_ENKUlT_T0_E_clISt17integral_constantIbLb0EES18_IbLb1EEEEDaS14_S15_EUlS14_E_NS1_11comp_targetILNS1_3genE2ELNS1_11target_archE906ELNS1_3gpuE6ELNS1_3repE0EEENS1_30default_config_static_selectorELNS0_4arch9wavefront6targetE1EEEvT1_,"axG",@progbits,_ZN7rocprim17ROCPRIM_400000_NS6detail17trampoline_kernelINS0_14default_configENS1_25partition_config_selectorILNS1_17partition_subalgoE1EtNS0_10empty_typeEbEEZZNS1_14partition_implILS5_1ELb0ES3_jN6thrust23THRUST_200600_302600_NS6detail15normal_iteratorINSA_10device_ptrItEEEEPS6_NSA_18transform_iteratorI7is_evenItESF_NSA_11use_defaultESK_EENS0_5tupleIJSF_SF_EEENSM_IJSG_SG_EEES6_PlJS6_EEE10hipError_tPvRmT3_T4_T5_T6_T7_T9_mT8_P12ihipStream_tbDpT10_ENKUlT_T0_E_clISt17integral_constantIbLb0EES18_IbLb1EEEEDaS14_S15_EUlS14_E_NS1_11comp_targetILNS1_3genE2ELNS1_11target_archE906ELNS1_3gpuE6ELNS1_3repE0EEENS1_30default_config_static_selectorELNS0_4arch9wavefront6targetE1EEEvT1_,comdat
	.protected	_ZN7rocprim17ROCPRIM_400000_NS6detail17trampoline_kernelINS0_14default_configENS1_25partition_config_selectorILNS1_17partition_subalgoE1EtNS0_10empty_typeEbEEZZNS1_14partition_implILS5_1ELb0ES3_jN6thrust23THRUST_200600_302600_NS6detail15normal_iteratorINSA_10device_ptrItEEEEPS6_NSA_18transform_iteratorI7is_evenItESF_NSA_11use_defaultESK_EENS0_5tupleIJSF_SF_EEENSM_IJSG_SG_EEES6_PlJS6_EEE10hipError_tPvRmT3_T4_T5_T6_T7_T9_mT8_P12ihipStream_tbDpT10_ENKUlT_T0_E_clISt17integral_constantIbLb0EES18_IbLb1EEEEDaS14_S15_EUlS14_E_NS1_11comp_targetILNS1_3genE2ELNS1_11target_archE906ELNS1_3gpuE6ELNS1_3repE0EEENS1_30default_config_static_selectorELNS0_4arch9wavefront6targetE1EEEvT1_ ; -- Begin function _ZN7rocprim17ROCPRIM_400000_NS6detail17trampoline_kernelINS0_14default_configENS1_25partition_config_selectorILNS1_17partition_subalgoE1EtNS0_10empty_typeEbEEZZNS1_14partition_implILS5_1ELb0ES3_jN6thrust23THRUST_200600_302600_NS6detail15normal_iteratorINSA_10device_ptrItEEEEPS6_NSA_18transform_iteratorI7is_evenItESF_NSA_11use_defaultESK_EENS0_5tupleIJSF_SF_EEENSM_IJSG_SG_EEES6_PlJS6_EEE10hipError_tPvRmT3_T4_T5_T6_T7_T9_mT8_P12ihipStream_tbDpT10_ENKUlT_T0_E_clISt17integral_constantIbLb0EES18_IbLb1EEEEDaS14_S15_EUlS14_E_NS1_11comp_targetILNS1_3genE2ELNS1_11target_archE906ELNS1_3gpuE6ELNS1_3repE0EEENS1_30default_config_static_selectorELNS0_4arch9wavefront6targetE1EEEvT1_
	.globl	_ZN7rocprim17ROCPRIM_400000_NS6detail17trampoline_kernelINS0_14default_configENS1_25partition_config_selectorILNS1_17partition_subalgoE1EtNS0_10empty_typeEbEEZZNS1_14partition_implILS5_1ELb0ES3_jN6thrust23THRUST_200600_302600_NS6detail15normal_iteratorINSA_10device_ptrItEEEEPS6_NSA_18transform_iteratorI7is_evenItESF_NSA_11use_defaultESK_EENS0_5tupleIJSF_SF_EEENSM_IJSG_SG_EEES6_PlJS6_EEE10hipError_tPvRmT3_T4_T5_T6_T7_T9_mT8_P12ihipStream_tbDpT10_ENKUlT_T0_E_clISt17integral_constantIbLb0EES18_IbLb1EEEEDaS14_S15_EUlS14_E_NS1_11comp_targetILNS1_3genE2ELNS1_11target_archE906ELNS1_3gpuE6ELNS1_3repE0EEENS1_30default_config_static_selectorELNS0_4arch9wavefront6targetE1EEEvT1_
	.p2align	8
	.type	_ZN7rocprim17ROCPRIM_400000_NS6detail17trampoline_kernelINS0_14default_configENS1_25partition_config_selectorILNS1_17partition_subalgoE1EtNS0_10empty_typeEbEEZZNS1_14partition_implILS5_1ELb0ES3_jN6thrust23THRUST_200600_302600_NS6detail15normal_iteratorINSA_10device_ptrItEEEEPS6_NSA_18transform_iteratorI7is_evenItESF_NSA_11use_defaultESK_EENS0_5tupleIJSF_SF_EEENSM_IJSG_SG_EEES6_PlJS6_EEE10hipError_tPvRmT3_T4_T5_T6_T7_T9_mT8_P12ihipStream_tbDpT10_ENKUlT_T0_E_clISt17integral_constantIbLb0EES18_IbLb1EEEEDaS14_S15_EUlS14_E_NS1_11comp_targetILNS1_3genE2ELNS1_11target_archE906ELNS1_3gpuE6ELNS1_3repE0EEENS1_30default_config_static_selectorELNS0_4arch9wavefront6targetE1EEEvT1_,@function
_ZN7rocprim17ROCPRIM_400000_NS6detail17trampoline_kernelINS0_14default_configENS1_25partition_config_selectorILNS1_17partition_subalgoE1EtNS0_10empty_typeEbEEZZNS1_14partition_implILS5_1ELb0ES3_jN6thrust23THRUST_200600_302600_NS6detail15normal_iteratorINSA_10device_ptrItEEEEPS6_NSA_18transform_iteratorI7is_evenItESF_NSA_11use_defaultESK_EENS0_5tupleIJSF_SF_EEENSM_IJSG_SG_EEES6_PlJS6_EEE10hipError_tPvRmT3_T4_T5_T6_T7_T9_mT8_P12ihipStream_tbDpT10_ENKUlT_T0_E_clISt17integral_constantIbLb0EES18_IbLb1EEEEDaS14_S15_EUlS14_E_NS1_11comp_targetILNS1_3genE2ELNS1_11target_archE906ELNS1_3gpuE6ELNS1_3repE0EEENS1_30default_config_static_selectorELNS0_4arch9wavefront6targetE1EEEvT1_: ; @_ZN7rocprim17ROCPRIM_400000_NS6detail17trampoline_kernelINS0_14default_configENS1_25partition_config_selectorILNS1_17partition_subalgoE1EtNS0_10empty_typeEbEEZZNS1_14partition_implILS5_1ELb0ES3_jN6thrust23THRUST_200600_302600_NS6detail15normal_iteratorINSA_10device_ptrItEEEEPS6_NSA_18transform_iteratorI7is_evenItESF_NSA_11use_defaultESK_EENS0_5tupleIJSF_SF_EEENSM_IJSG_SG_EEES6_PlJS6_EEE10hipError_tPvRmT3_T4_T5_T6_T7_T9_mT8_P12ihipStream_tbDpT10_ENKUlT_T0_E_clISt17integral_constantIbLb0EES18_IbLb1EEEEDaS14_S15_EUlS14_E_NS1_11comp_targetILNS1_3genE2ELNS1_11target_archE906ELNS1_3gpuE6ELNS1_3repE0EEENS1_30default_config_static_selectorELNS0_4arch9wavefront6targetE1EEEvT1_
; %bb.0:
	.section	.rodata,"a",@progbits
	.p2align	6, 0x0
	.amdhsa_kernel _ZN7rocprim17ROCPRIM_400000_NS6detail17trampoline_kernelINS0_14default_configENS1_25partition_config_selectorILNS1_17partition_subalgoE1EtNS0_10empty_typeEbEEZZNS1_14partition_implILS5_1ELb0ES3_jN6thrust23THRUST_200600_302600_NS6detail15normal_iteratorINSA_10device_ptrItEEEEPS6_NSA_18transform_iteratorI7is_evenItESF_NSA_11use_defaultESK_EENS0_5tupleIJSF_SF_EEENSM_IJSG_SG_EEES6_PlJS6_EEE10hipError_tPvRmT3_T4_T5_T6_T7_T9_mT8_P12ihipStream_tbDpT10_ENKUlT_T0_E_clISt17integral_constantIbLb0EES18_IbLb1EEEEDaS14_S15_EUlS14_E_NS1_11comp_targetILNS1_3genE2ELNS1_11target_archE906ELNS1_3gpuE6ELNS1_3repE0EEENS1_30default_config_static_selectorELNS0_4arch9wavefront6targetE1EEEvT1_
		.amdhsa_group_segment_fixed_size 0
		.amdhsa_private_segment_fixed_size 0
		.amdhsa_kernarg_size 144
		.amdhsa_user_sgpr_count 6
		.amdhsa_user_sgpr_private_segment_buffer 1
		.amdhsa_user_sgpr_dispatch_ptr 0
		.amdhsa_user_sgpr_queue_ptr 0
		.amdhsa_user_sgpr_kernarg_segment_ptr 1
		.amdhsa_user_sgpr_dispatch_id 0
		.amdhsa_user_sgpr_flat_scratch_init 0
		.amdhsa_user_sgpr_kernarg_preload_length 0
		.amdhsa_user_sgpr_kernarg_preload_offset 0
		.amdhsa_user_sgpr_private_segment_size 0
		.amdhsa_uses_dynamic_stack 0
		.amdhsa_system_sgpr_private_segment_wavefront_offset 0
		.amdhsa_system_sgpr_workgroup_id_x 1
		.amdhsa_system_sgpr_workgroup_id_y 0
		.amdhsa_system_sgpr_workgroup_id_z 0
		.amdhsa_system_sgpr_workgroup_info 0
		.amdhsa_system_vgpr_workitem_id 0
		.amdhsa_next_free_vgpr 1
		.amdhsa_next_free_sgpr 0
		.amdhsa_accum_offset 4
		.amdhsa_reserve_vcc 0
		.amdhsa_reserve_flat_scratch 0
		.amdhsa_float_round_mode_32 0
		.amdhsa_float_round_mode_16_64 0
		.amdhsa_float_denorm_mode_32 3
		.amdhsa_float_denorm_mode_16_64 3
		.amdhsa_dx10_clamp 1
		.amdhsa_ieee_mode 1
		.amdhsa_fp16_overflow 0
		.amdhsa_tg_split 0
		.amdhsa_exception_fp_ieee_invalid_op 0
		.amdhsa_exception_fp_denorm_src 0
		.amdhsa_exception_fp_ieee_div_zero 0
		.amdhsa_exception_fp_ieee_overflow 0
		.amdhsa_exception_fp_ieee_underflow 0
		.amdhsa_exception_fp_ieee_inexact 0
		.amdhsa_exception_int_div_zero 0
	.end_amdhsa_kernel
	.section	.text._ZN7rocprim17ROCPRIM_400000_NS6detail17trampoline_kernelINS0_14default_configENS1_25partition_config_selectorILNS1_17partition_subalgoE1EtNS0_10empty_typeEbEEZZNS1_14partition_implILS5_1ELb0ES3_jN6thrust23THRUST_200600_302600_NS6detail15normal_iteratorINSA_10device_ptrItEEEEPS6_NSA_18transform_iteratorI7is_evenItESF_NSA_11use_defaultESK_EENS0_5tupleIJSF_SF_EEENSM_IJSG_SG_EEES6_PlJS6_EEE10hipError_tPvRmT3_T4_T5_T6_T7_T9_mT8_P12ihipStream_tbDpT10_ENKUlT_T0_E_clISt17integral_constantIbLb0EES18_IbLb1EEEEDaS14_S15_EUlS14_E_NS1_11comp_targetILNS1_3genE2ELNS1_11target_archE906ELNS1_3gpuE6ELNS1_3repE0EEENS1_30default_config_static_selectorELNS0_4arch9wavefront6targetE1EEEvT1_,"axG",@progbits,_ZN7rocprim17ROCPRIM_400000_NS6detail17trampoline_kernelINS0_14default_configENS1_25partition_config_selectorILNS1_17partition_subalgoE1EtNS0_10empty_typeEbEEZZNS1_14partition_implILS5_1ELb0ES3_jN6thrust23THRUST_200600_302600_NS6detail15normal_iteratorINSA_10device_ptrItEEEEPS6_NSA_18transform_iteratorI7is_evenItESF_NSA_11use_defaultESK_EENS0_5tupleIJSF_SF_EEENSM_IJSG_SG_EEES6_PlJS6_EEE10hipError_tPvRmT3_T4_T5_T6_T7_T9_mT8_P12ihipStream_tbDpT10_ENKUlT_T0_E_clISt17integral_constantIbLb0EES18_IbLb1EEEEDaS14_S15_EUlS14_E_NS1_11comp_targetILNS1_3genE2ELNS1_11target_archE906ELNS1_3gpuE6ELNS1_3repE0EEENS1_30default_config_static_selectorELNS0_4arch9wavefront6targetE1EEEvT1_,comdat
.Lfunc_end2295:
	.size	_ZN7rocprim17ROCPRIM_400000_NS6detail17trampoline_kernelINS0_14default_configENS1_25partition_config_selectorILNS1_17partition_subalgoE1EtNS0_10empty_typeEbEEZZNS1_14partition_implILS5_1ELb0ES3_jN6thrust23THRUST_200600_302600_NS6detail15normal_iteratorINSA_10device_ptrItEEEEPS6_NSA_18transform_iteratorI7is_evenItESF_NSA_11use_defaultESK_EENS0_5tupleIJSF_SF_EEENSM_IJSG_SG_EEES6_PlJS6_EEE10hipError_tPvRmT3_T4_T5_T6_T7_T9_mT8_P12ihipStream_tbDpT10_ENKUlT_T0_E_clISt17integral_constantIbLb0EES18_IbLb1EEEEDaS14_S15_EUlS14_E_NS1_11comp_targetILNS1_3genE2ELNS1_11target_archE906ELNS1_3gpuE6ELNS1_3repE0EEENS1_30default_config_static_selectorELNS0_4arch9wavefront6targetE1EEEvT1_, .Lfunc_end2295-_ZN7rocprim17ROCPRIM_400000_NS6detail17trampoline_kernelINS0_14default_configENS1_25partition_config_selectorILNS1_17partition_subalgoE1EtNS0_10empty_typeEbEEZZNS1_14partition_implILS5_1ELb0ES3_jN6thrust23THRUST_200600_302600_NS6detail15normal_iteratorINSA_10device_ptrItEEEEPS6_NSA_18transform_iteratorI7is_evenItESF_NSA_11use_defaultESK_EENS0_5tupleIJSF_SF_EEENSM_IJSG_SG_EEES6_PlJS6_EEE10hipError_tPvRmT3_T4_T5_T6_T7_T9_mT8_P12ihipStream_tbDpT10_ENKUlT_T0_E_clISt17integral_constantIbLb0EES18_IbLb1EEEEDaS14_S15_EUlS14_E_NS1_11comp_targetILNS1_3genE2ELNS1_11target_archE906ELNS1_3gpuE6ELNS1_3repE0EEENS1_30default_config_static_selectorELNS0_4arch9wavefront6targetE1EEEvT1_
                                        ; -- End function
	.section	.AMDGPU.csdata,"",@progbits
; Kernel info:
; codeLenInByte = 0
; NumSgprs: 4
; NumVgprs: 0
; NumAgprs: 0
; TotalNumVgprs: 0
; ScratchSize: 0
; MemoryBound: 0
; FloatMode: 240
; IeeeMode: 1
; LDSByteSize: 0 bytes/workgroup (compile time only)
; SGPRBlocks: 0
; VGPRBlocks: 0
; NumSGPRsForWavesPerEU: 4
; NumVGPRsForWavesPerEU: 1
; AccumOffset: 4
; Occupancy: 8
; WaveLimiterHint : 0
; COMPUTE_PGM_RSRC2:SCRATCH_EN: 0
; COMPUTE_PGM_RSRC2:USER_SGPR: 6
; COMPUTE_PGM_RSRC2:TRAP_HANDLER: 0
; COMPUTE_PGM_RSRC2:TGID_X_EN: 1
; COMPUTE_PGM_RSRC2:TGID_Y_EN: 0
; COMPUTE_PGM_RSRC2:TGID_Z_EN: 0
; COMPUTE_PGM_RSRC2:TIDIG_COMP_CNT: 0
; COMPUTE_PGM_RSRC3_GFX90A:ACCUM_OFFSET: 0
; COMPUTE_PGM_RSRC3_GFX90A:TG_SPLIT: 0
	.section	.text._ZN7rocprim17ROCPRIM_400000_NS6detail17trampoline_kernelINS0_14default_configENS1_25partition_config_selectorILNS1_17partition_subalgoE1EtNS0_10empty_typeEbEEZZNS1_14partition_implILS5_1ELb0ES3_jN6thrust23THRUST_200600_302600_NS6detail15normal_iteratorINSA_10device_ptrItEEEEPS6_NSA_18transform_iteratorI7is_evenItESF_NSA_11use_defaultESK_EENS0_5tupleIJSF_SF_EEENSM_IJSG_SG_EEES6_PlJS6_EEE10hipError_tPvRmT3_T4_T5_T6_T7_T9_mT8_P12ihipStream_tbDpT10_ENKUlT_T0_E_clISt17integral_constantIbLb0EES18_IbLb1EEEEDaS14_S15_EUlS14_E_NS1_11comp_targetILNS1_3genE10ELNS1_11target_archE1200ELNS1_3gpuE4ELNS1_3repE0EEENS1_30default_config_static_selectorELNS0_4arch9wavefront6targetE1EEEvT1_,"axG",@progbits,_ZN7rocprim17ROCPRIM_400000_NS6detail17trampoline_kernelINS0_14default_configENS1_25partition_config_selectorILNS1_17partition_subalgoE1EtNS0_10empty_typeEbEEZZNS1_14partition_implILS5_1ELb0ES3_jN6thrust23THRUST_200600_302600_NS6detail15normal_iteratorINSA_10device_ptrItEEEEPS6_NSA_18transform_iteratorI7is_evenItESF_NSA_11use_defaultESK_EENS0_5tupleIJSF_SF_EEENSM_IJSG_SG_EEES6_PlJS6_EEE10hipError_tPvRmT3_T4_T5_T6_T7_T9_mT8_P12ihipStream_tbDpT10_ENKUlT_T0_E_clISt17integral_constantIbLb0EES18_IbLb1EEEEDaS14_S15_EUlS14_E_NS1_11comp_targetILNS1_3genE10ELNS1_11target_archE1200ELNS1_3gpuE4ELNS1_3repE0EEENS1_30default_config_static_selectorELNS0_4arch9wavefront6targetE1EEEvT1_,comdat
	.protected	_ZN7rocprim17ROCPRIM_400000_NS6detail17trampoline_kernelINS0_14default_configENS1_25partition_config_selectorILNS1_17partition_subalgoE1EtNS0_10empty_typeEbEEZZNS1_14partition_implILS5_1ELb0ES3_jN6thrust23THRUST_200600_302600_NS6detail15normal_iteratorINSA_10device_ptrItEEEEPS6_NSA_18transform_iteratorI7is_evenItESF_NSA_11use_defaultESK_EENS0_5tupleIJSF_SF_EEENSM_IJSG_SG_EEES6_PlJS6_EEE10hipError_tPvRmT3_T4_T5_T6_T7_T9_mT8_P12ihipStream_tbDpT10_ENKUlT_T0_E_clISt17integral_constantIbLb0EES18_IbLb1EEEEDaS14_S15_EUlS14_E_NS1_11comp_targetILNS1_3genE10ELNS1_11target_archE1200ELNS1_3gpuE4ELNS1_3repE0EEENS1_30default_config_static_selectorELNS0_4arch9wavefront6targetE1EEEvT1_ ; -- Begin function _ZN7rocprim17ROCPRIM_400000_NS6detail17trampoline_kernelINS0_14default_configENS1_25partition_config_selectorILNS1_17partition_subalgoE1EtNS0_10empty_typeEbEEZZNS1_14partition_implILS5_1ELb0ES3_jN6thrust23THRUST_200600_302600_NS6detail15normal_iteratorINSA_10device_ptrItEEEEPS6_NSA_18transform_iteratorI7is_evenItESF_NSA_11use_defaultESK_EENS0_5tupleIJSF_SF_EEENSM_IJSG_SG_EEES6_PlJS6_EEE10hipError_tPvRmT3_T4_T5_T6_T7_T9_mT8_P12ihipStream_tbDpT10_ENKUlT_T0_E_clISt17integral_constantIbLb0EES18_IbLb1EEEEDaS14_S15_EUlS14_E_NS1_11comp_targetILNS1_3genE10ELNS1_11target_archE1200ELNS1_3gpuE4ELNS1_3repE0EEENS1_30default_config_static_selectorELNS0_4arch9wavefront6targetE1EEEvT1_
	.globl	_ZN7rocprim17ROCPRIM_400000_NS6detail17trampoline_kernelINS0_14default_configENS1_25partition_config_selectorILNS1_17partition_subalgoE1EtNS0_10empty_typeEbEEZZNS1_14partition_implILS5_1ELb0ES3_jN6thrust23THRUST_200600_302600_NS6detail15normal_iteratorINSA_10device_ptrItEEEEPS6_NSA_18transform_iteratorI7is_evenItESF_NSA_11use_defaultESK_EENS0_5tupleIJSF_SF_EEENSM_IJSG_SG_EEES6_PlJS6_EEE10hipError_tPvRmT3_T4_T5_T6_T7_T9_mT8_P12ihipStream_tbDpT10_ENKUlT_T0_E_clISt17integral_constantIbLb0EES18_IbLb1EEEEDaS14_S15_EUlS14_E_NS1_11comp_targetILNS1_3genE10ELNS1_11target_archE1200ELNS1_3gpuE4ELNS1_3repE0EEENS1_30default_config_static_selectorELNS0_4arch9wavefront6targetE1EEEvT1_
	.p2align	8
	.type	_ZN7rocprim17ROCPRIM_400000_NS6detail17trampoline_kernelINS0_14default_configENS1_25partition_config_selectorILNS1_17partition_subalgoE1EtNS0_10empty_typeEbEEZZNS1_14partition_implILS5_1ELb0ES3_jN6thrust23THRUST_200600_302600_NS6detail15normal_iteratorINSA_10device_ptrItEEEEPS6_NSA_18transform_iteratorI7is_evenItESF_NSA_11use_defaultESK_EENS0_5tupleIJSF_SF_EEENSM_IJSG_SG_EEES6_PlJS6_EEE10hipError_tPvRmT3_T4_T5_T6_T7_T9_mT8_P12ihipStream_tbDpT10_ENKUlT_T0_E_clISt17integral_constantIbLb0EES18_IbLb1EEEEDaS14_S15_EUlS14_E_NS1_11comp_targetILNS1_3genE10ELNS1_11target_archE1200ELNS1_3gpuE4ELNS1_3repE0EEENS1_30default_config_static_selectorELNS0_4arch9wavefront6targetE1EEEvT1_,@function
_ZN7rocprim17ROCPRIM_400000_NS6detail17trampoline_kernelINS0_14default_configENS1_25partition_config_selectorILNS1_17partition_subalgoE1EtNS0_10empty_typeEbEEZZNS1_14partition_implILS5_1ELb0ES3_jN6thrust23THRUST_200600_302600_NS6detail15normal_iteratorINSA_10device_ptrItEEEEPS6_NSA_18transform_iteratorI7is_evenItESF_NSA_11use_defaultESK_EENS0_5tupleIJSF_SF_EEENSM_IJSG_SG_EEES6_PlJS6_EEE10hipError_tPvRmT3_T4_T5_T6_T7_T9_mT8_P12ihipStream_tbDpT10_ENKUlT_T0_E_clISt17integral_constantIbLb0EES18_IbLb1EEEEDaS14_S15_EUlS14_E_NS1_11comp_targetILNS1_3genE10ELNS1_11target_archE1200ELNS1_3gpuE4ELNS1_3repE0EEENS1_30default_config_static_selectorELNS0_4arch9wavefront6targetE1EEEvT1_: ; @_ZN7rocprim17ROCPRIM_400000_NS6detail17trampoline_kernelINS0_14default_configENS1_25partition_config_selectorILNS1_17partition_subalgoE1EtNS0_10empty_typeEbEEZZNS1_14partition_implILS5_1ELb0ES3_jN6thrust23THRUST_200600_302600_NS6detail15normal_iteratorINSA_10device_ptrItEEEEPS6_NSA_18transform_iteratorI7is_evenItESF_NSA_11use_defaultESK_EENS0_5tupleIJSF_SF_EEENSM_IJSG_SG_EEES6_PlJS6_EEE10hipError_tPvRmT3_T4_T5_T6_T7_T9_mT8_P12ihipStream_tbDpT10_ENKUlT_T0_E_clISt17integral_constantIbLb0EES18_IbLb1EEEEDaS14_S15_EUlS14_E_NS1_11comp_targetILNS1_3genE10ELNS1_11target_archE1200ELNS1_3gpuE4ELNS1_3repE0EEENS1_30default_config_static_selectorELNS0_4arch9wavefront6targetE1EEEvT1_
; %bb.0:
	.section	.rodata,"a",@progbits
	.p2align	6, 0x0
	.amdhsa_kernel _ZN7rocprim17ROCPRIM_400000_NS6detail17trampoline_kernelINS0_14default_configENS1_25partition_config_selectorILNS1_17partition_subalgoE1EtNS0_10empty_typeEbEEZZNS1_14partition_implILS5_1ELb0ES3_jN6thrust23THRUST_200600_302600_NS6detail15normal_iteratorINSA_10device_ptrItEEEEPS6_NSA_18transform_iteratorI7is_evenItESF_NSA_11use_defaultESK_EENS0_5tupleIJSF_SF_EEENSM_IJSG_SG_EEES6_PlJS6_EEE10hipError_tPvRmT3_T4_T5_T6_T7_T9_mT8_P12ihipStream_tbDpT10_ENKUlT_T0_E_clISt17integral_constantIbLb0EES18_IbLb1EEEEDaS14_S15_EUlS14_E_NS1_11comp_targetILNS1_3genE10ELNS1_11target_archE1200ELNS1_3gpuE4ELNS1_3repE0EEENS1_30default_config_static_selectorELNS0_4arch9wavefront6targetE1EEEvT1_
		.amdhsa_group_segment_fixed_size 0
		.amdhsa_private_segment_fixed_size 0
		.amdhsa_kernarg_size 144
		.amdhsa_user_sgpr_count 6
		.amdhsa_user_sgpr_private_segment_buffer 1
		.amdhsa_user_sgpr_dispatch_ptr 0
		.amdhsa_user_sgpr_queue_ptr 0
		.amdhsa_user_sgpr_kernarg_segment_ptr 1
		.amdhsa_user_sgpr_dispatch_id 0
		.amdhsa_user_sgpr_flat_scratch_init 0
		.amdhsa_user_sgpr_kernarg_preload_length 0
		.amdhsa_user_sgpr_kernarg_preload_offset 0
		.amdhsa_user_sgpr_private_segment_size 0
		.amdhsa_uses_dynamic_stack 0
		.amdhsa_system_sgpr_private_segment_wavefront_offset 0
		.amdhsa_system_sgpr_workgroup_id_x 1
		.amdhsa_system_sgpr_workgroup_id_y 0
		.amdhsa_system_sgpr_workgroup_id_z 0
		.amdhsa_system_sgpr_workgroup_info 0
		.amdhsa_system_vgpr_workitem_id 0
		.amdhsa_next_free_vgpr 1
		.amdhsa_next_free_sgpr 0
		.amdhsa_accum_offset 4
		.amdhsa_reserve_vcc 0
		.amdhsa_reserve_flat_scratch 0
		.amdhsa_float_round_mode_32 0
		.amdhsa_float_round_mode_16_64 0
		.amdhsa_float_denorm_mode_32 3
		.amdhsa_float_denorm_mode_16_64 3
		.amdhsa_dx10_clamp 1
		.amdhsa_ieee_mode 1
		.amdhsa_fp16_overflow 0
		.amdhsa_tg_split 0
		.amdhsa_exception_fp_ieee_invalid_op 0
		.amdhsa_exception_fp_denorm_src 0
		.amdhsa_exception_fp_ieee_div_zero 0
		.amdhsa_exception_fp_ieee_overflow 0
		.amdhsa_exception_fp_ieee_underflow 0
		.amdhsa_exception_fp_ieee_inexact 0
		.amdhsa_exception_int_div_zero 0
	.end_amdhsa_kernel
	.section	.text._ZN7rocprim17ROCPRIM_400000_NS6detail17trampoline_kernelINS0_14default_configENS1_25partition_config_selectorILNS1_17partition_subalgoE1EtNS0_10empty_typeEbEEZZNS1_14partition_implILS5_1ELb0ES3_jN6thrust23THRUST_200600_302600_NS6detail15normal_iteratorINSA_10device_ptrItEEEEPS6_NSA_18transform_iteratorI7is_evenItESF_NSA_11use_defaultESK_EENS0_5tupleIJSF_SF_EEENSM_IJSG_SG_EEES6_PlJS6_EEE10hipError_tPvRmT3_T4_T5_T6_T7_T9_mT8_P12ihipStream_tbDpT10_ENKUlT_T0_E_clISt17integral_constantIbLb0EES18_IbLb1EEEEDaS14_S15_EUlS14_E_NS1_11comp_targetILNS1_3genE10ELNS1_11target_archE1200ELNS1_3gpuE4ELNS1_3repE0EEENS1_30default_config_static_selectorELNS0_4arch9wavefront6targetE1EEEvT1_,"axG",@progbits,_ZN7rocprim17ROCPRIM_400000_NS6detail17trampoline_kernelINS0_14default_configENS1_25partition_config_selectorILNS1_17partition_subalgoE1EtNS0_10empty_typeEbEEZZNS1_14partition_implILS5_1ELb0ES3_jN6thrust23THRUST_200600_302600_NS6detail15normal_iteratorINSA_10device_ptrItEEEEPS6_NSA_18transform_iteratorI7is_evenItESF_NSA_11use_defaultESK_EENS0_5tupleIJSF_SF_EEENSM_IJSG_SG_EEES6_PlJS6_EEE10hipError_tPvRmT3_T4_T5_T6_T7_T9_mT8_P12ihipStream_tbDpT10_ENKUlT_T0_E_clISt17integral_constantIbLb0EES18_IbLb1EEEEDaS14_S15_EUlS14_E_NS1_11comp_targetILNS1_3genE10ELNS1_11target_archE1200ELNS1_3gpuE4ELNS1_3repE0EEENS1_30default_config_static_selectorELNS0_4arch9wavefront6targetE1EEEvT1_,comdat
.Lfunc_end2296:
	.size	_ZN7rocprim17ROCPRIM_400000_NS6detail17trampoline_kernelINS0_14default_configENS1_25partition_config_selectorILNS1_17partition_subalgoE1EtNS0_10empty_typeEbEEZZNS1_14partition_implILS5_1ELb0ES3_jN6thrust23THRUST_200600_302600_NS6detail15normal_iteratorINSA_10device_ptrItEEEEPS6_NSA_18transform_iteratorI7is_evenItESF_NSA_11use_defaultESK_EENS0_5tupleIJSF_SF_EEENSM_IJSG_SG_EEES6_PlJS6_EEE10hipError_tPvRmT3_T4_T5_T6_T7_T9_mT8_P12ihipStream_tbDpT10_ENKUlT_T0_E_clISt17integral_constantIbLb0EES18_IbLb1EEEEDaS14_S15_EUlS14_E_NS1_11comp_targetILNS1_3genE10ELNS1_11target_archE1200ELNS1_3gpuE4ELNS1_3repE0EEENS1_30default_config_static_selectorELNS0_4arch9wavefront6targetE1EEEvT1_, .Lfunc_end2296-_ZN7rocprim17ROCPRIM_400000_NS6detail17trampoline_kernelINS0_14default_configENS1_25partition_config_selectorILNS1_17partition_subalgoE1EtNS0_10empty_typeEbEEZZNS1_14partition_implILS5_1ELb0ES3_jN6thrust23THRUST_200600_302600_NS6detail15normal_iteratorINSA_10device_ptrItEEEEPS6_NSA_18transform_iteratorI7is_evenItESF_NSA_11use_defaultESK_EENS0_5tupleIJSF_SF_EEENSM_IJSG_SG_EEES6_PlJS6_EEE10hipError_tPvRmT3_T4_T5_T6_T7_T9_mT8_P12ihipStream_tbDpT10_ENKUlT_T0_E_clISt17integral_constantIbLb0EES18_IbLb1EEEEDaS14_S15_EUlS14_E_NS1_11comp_targetILNS1_3genE10ELNS1_11target_archE1200ELNS1_3gpuE4ELNS1_3repE0EEENS1_30default_config_static_selectorELNS0_4arch9wavefront6targetE1EEEvT1_
                                        ; -- End function
	.section	.AMDGPU.csdata,"",@progbits
; Kernel info:
; codeLenInByte = 0
; NumSgprs: 4
; NumVgprs: 0
; NumAgprs: 0
; TotalNumVgprs: 0
; ScratchSize: 0
; MemoryBound: 0
; FloatMode: 240
; IeeeMode: 1
; LDSByteSize: 0 bytes/workgroup (compile time only)
; SGPRBlocks: 0
; VGPRBlocks: 0
; NumSGPRsForWavesPerEU: 4
; NumVGPRsForWavesPerEU: 1
; AccumOffset: 4
; Occupancy: 8
; WaveLimiterHint : 0
; COMPUTE_PGM_RSRC2:SCRATCH_EN: 0
; COMPUTE_PGM_RSRC2:USER_SGPR: 6
; COMPUTE_PGM_RSRC2:TRAP_HANDLER: 0
; COMPUTE_PGM_RSRC2:TGID_X_EN: 1
; COMPUTE_PGM_RSRC2:TGID_Y_EN: 0
; COMPUTE_PGM_RSRC2:TGID_Z_EN: 0
; COMPUTE_PGM_RSRC2:TIDIG_COMP_CNT: 0
; COMPUTE_PGM_RSRC3_GFX90A:ACCUM_OFFSET: 0
; COMPUTE_PGM_RSRC3_GFX90A:TG_SPLIT: 0
	.section	.text._ZN7rocprim17ROCPRIM_400000_NS6detail17trampoline_kernelINS0_14default_configENS1_25partition_config_selectorILNS1_17partition_subalgoE1EtNS0_10empty_typeEbEEZZNS1_14partition_implILS5_1ELb0ES3_jN6thrust23THRUST_200600_302600_NS6detail15normal_iteratorINSA_10device_ptrItEEEEPS6_NSA_18transform_iteratorI7is_evenItESF_NSA_11use_defaultESK_EENS0_5tupleIJSF_SF_EEENSM_IJSG_SG_EEES6_PlJS6_EEE10hipError_tPvRmT3_T4_T5_T6_T7_T9_mT8_P12ihipStream_tbDpT10_ENKUlT_T0_E_clISt17integral_constantIbLb0EES18_IbLb1EEEEDaS14_S15_EUlS14_E_NS1_11comp_targetILNS1_3genE9ELNS1_11target_archE1100ELNS1_3gpuE3ELNS1_3repE0EEENS1_30default_config_static_selectorELNS0_4arch9wavefront6targetE1EEEvT1_,"axG",@progbits,_ZN7rocprim17ROCPRIM_400000_NS6detail17trampoline_kernelINS0_14default_configENS1_25partition_config_selectorILNS1_17partition_subalgoE1EtNS0_10empty_typeEbEEZZNS1_14partition_implILS5_1ELb0ES3_jN6thrust23THRUST_200600_302600_NS6detail15normal_iteratorINSA_10device_ptrItEEEEPS6_NSA_18transform_iteratorI7is_evenItESF_NSA_11use_defaultESK_EENS0_5tupleIJSF_SF_EEENSM_IJSG_SG_EEES6_PlJS6_EEE10hipError_tPvRmT3_T4_T5_T6_T7_T9_mT8_P12ihipStream_tbDpT10_ENKUlT_T0_E_clISt17integral_constantIbLb0EES18_IbLb1EEEEDaS14_S15_EUlS14_E_NS1_11comp_targetILNS1_3genE9ELNS1_11target_archE1100ELNS1_3gpuE3ELNS1_3repE0EEENS1_30default_config_static_selectorELNS0_4arch9wavefront6targetE1EEEvT1_,comdat
	.protected	_ZN7rocprim17ROCPRIM_400000_NS6detail17trampoline_kernelINS0_14default_configENS1_25partition_config_selectorILNS1_17partition_subalgoE1EtNS0_10empty_typeEbEEZZNS1_14partition_implILS5_1ELb0ES3_jN6thrust23THRUST_200600_302600_NS6detail15normal_iteratorINSA_10device_ptrItEEEEPS6_NSA_18transform_iteratorI7is_evenItESF_NSA_11use_defaultESK_EENS0_5tupleIJSF_SF_EEENSM_IJSG_SG_EEES6_PlJS6_EEE10hipError_tPvRmT3_T4_T5_T6_T7_T9_mT8_P12ihipStream_tbDpT10_ENKUlT_T0_E_clISt17integral_constantIbLb0EES18_IbLb1EEEEDaS14_S15_EUlS14_E_NS1_11comp_targetILNS1_3genE9ELNS1_11target_archE1100ELNS1_3gpuE3ELNS1_3repE0EEENS1_30default_config_static_selectorELNS0_4arch9wavefront6targetE1EEEvT1_ ; -- Begin function _ZN7rocprim17ROCPRIM_400000_NS6detail17trampoline_kernelINS0_14default_configENS1_25partition_config_selectorILNS1_17partition_subalgoE1EtNS0_10empty_typeEbEEZZNS1_14partition_implILS5_1ELb0ES3_jN6thrust23THRUST_200600_302600_NS6detail15normal_iteratorINSA_10device_ptrItEEEEPS6_NSA_18transform_iteratorI7is_evenItESF_NSA_11use_defaultESK_EENS0_5tupleIJSF_SF_EEENSM_IJSG_SG_EEES6_PlJS6_EEE10hipError_tPvRmT3_T4_T5_T6_T7_T9_mT8_P12ihipStream_tbDpT10_ENKUlT_T0_E_clISt17integral_constantIbLb0EES18_IbLb1EEEEDaS14_S15_EUlS14_E_NS1_11comp_targetILNS1_3genE9ELNS1_11target_archE1100ELNS1_3gpuE3ELNS1_3repE0EEENS1_30default_config_static_selectorELNS0_4arch9wavefront6targetE1EEEvT1_
	.globl	_ZN7rocprim17ROCPRIM_400000_NS6detail17trampoline_kernelINS0_14default_configENS1_25partition_config_selectorILNS1_17partition_subalgoE1EtNS0_10empty_typeEbEEZZNS1_14partition_implILS5_1ELb0ES3_jN6thrust23THRUST_200600_302600_NS6detail15normal_iteratorINSA_10device_ptrItEEEEPS6_NSA_18transform_iteratorI7is_evenItESF_NSA_11use_defaultESK_EENS0_5tupleIJSF_SF_EEENSM_IJSG_SG_EEES6_PlJS6_EEE10hipError_tPvRmT3_T4_T5_T6_T7_T9_mT8_P12ihipStream_tbDpT10_ENKUlT_T0_E_clISt17integral_constantIbLb0EES18_IbLb1EEEEDaS14_S15_EUlS14_E_NS1_11comp_targetILNS1_3genE9ELNS1_11target_archE1100ELNS1_3gpuE3ELNS1_3repE0EEENS1_30default_config_static_selectorELNS0_4arch9wavefront6targetE1EEEvT1_
	.p2align	8
	.type	_ZN7rocprim17ROCPRIM_400000_NS6detail17trampoline_kernelINS0_14default_configENS1_25partition_config_selectorILNS1_17partition_subalgoE1EtNS0_10empty_typeEbEEZZNS1_14partition_implILS5_1ELb0ES3_jN6thrust23THRUST_200600_302600_NS6detail15normal_iteratorINSA_10device_ptrItEEEEPS6_NSA_18transform_iteratorI7is_evenItESF_NSA_11use_defaultESK_EENS0_5tupleIJSF_SF_EEENSM_IJSG_SG_EEES6_PlJS6_EEE10hipError_tPvRmT3_T4_T5_T6_T7_T9_mT8_P12ihipStream_tbDpT10_ENKUlT_T0_E_clISt17integral_constantIbLb0EES18_IbLb1EEEEDaS14_S15_EUlS14_E_NS1_11comp_targetILNS1_3genE9ELNS1_11target_archE1100ELNS1_3gpuE3ELNS1_3repE0EEENS1_30default_config_static_selectorELNS0_4arch9wavefront6targetE1EEEvT1_,@function
_ZN7rocprim17ROCPRIM_400000_NS6detail17trampoline_kernelINS0_14default_configENS1_25partition_config_selectorILNS1_17partition_subalgoE1EtNS0_10empty_typeEbEEZZNS1_14partition_implILS5_1ELb0ES3_jN6thrust23THRUST_200600_302600_NS6detail15normal_iteratorINSA_10device_ptrItEEEEPS6_NSA_18transform_iteratorI7is_evenItESF_NSA_11use_defaultESK_EENS0_5tupleIJSF_SF_EEENSM_IJSG_SG_EEES6_PlJS6_EEE10hipError_tPvRmT3_T4_T5_T6_T7_T9_mT8_P12ihipStream_tbDpT10_ENKUlT_T0_E_clISt17integral_constantIbLb0EES18_IbLb1EEEEDaS14_S15_EUlS14_E_NS1_11comp_targetILNS1_3genE9ELNS1_11target_archE1100ELNS1_3gpuE3ELNS1_3repE0EEENS1_30default_config_static_selectorELNS0_4arch9wavefront6targetE1EEEvT1_: ; @_ZN7rocprim17ROCPRIM_400000_NS6detail17trampoline_kernelINS0_14default_configENS1_25partition_config_selectorILNS1_17partition_subalgoE1EtNS0_10empty_typeEbEEZZNS1_14partition_implILS5_1ELb0ES3_jN6thrust23THRUST_200600_302600_NS6detail15normal_iteratorINSA_10device_ptrItEEEEPS6_NSA_18transform_iteratorI7is_evenItESF_NSA_11use_defaultESK_EENS0_5tupleIJSF_SF_EEENSM_IJSG_SG_EEES6_PlJS6_EEE10hipError_tPvRmT3_T4_T5_T6_T7_T9_mT8_P12ihipStream_tbDpT10_ENKUlT_T0_E_clISt17integral_constantIbLb0EES18_IbLb1EEEEDaS14_S15_EUlS14_E_NS1_11comp_targetILNS1_3genE9ELNS1_11target_archE1100ELNS1_3gpuE3ELNS1_3repE0EEENS1_30default_config_static_selectorELNS0_4arch9wavefront6targetE1EEEvT1_
; %bb.0:
	.section	.rodata,"a",@progbits
	.p2align	6, 0x0
	.amdhsa_kernel _ZN7rocprim17ROCPRIM_400000_NS6detail17trampoline_kernelINS0_14default_configENS1_25partition_config_selectorILNS1_17partition_subalgoE1EtNS0_10empty_typeEbEEZZNS1_14partition_implILS5_1ELb0ES3_jN6thrust23THRUST_200600_302600_NS6detail15normal_iteratorINSA_10device_ptrItEEEEPS6_NSA_18transform_iteratorI7is_evenItESF_NSA_11use_defaultESK_EENS0_5tupleIJSF_SF_EEENSM_IJSG_SG_EEES6_PlJS6_EEE10hipError_tPvRmT3_T4_T5_T6_T7_T9_mT8_P12ihipStream_tbDpT10_ENKUlT_T0_E_clISt17integral_constantIbLb0EES18_IbLb1EEEEDaS14_S15_EUlS14_E_NS1_11comp_targetILNS1_3genE9ELNS1_11target_archE1100ELNS1_3gpuE3ELNS1_3repE0EEENS1_30default_config_static_selectorELNS0_4arch9wavefront6targetE1EEEvT1_
		.amdhsa_group_segment_fixed_size 0
		.amdhsa_private_segment_fixed_size 0
		.amdhsa_kernarg_size 144
		.amdhsa_user_sgpr_count 6
		.amdhsa_user_sgpr_private_segment_buffer 1
		.amdhsa_user_sgpr_dispatch_ptr 0
		.amdhsa_user_sgpr_queue_ptr 0
		.amdhsa_user_sgpr_kernarg_segment_ptr 1
		.amdhsa_user_sgpr_dispatch_id 0
		.amdhsa_user_sgpr_flat_scratch_init 0
		.amdhsa_user_sgpr_kernarg_preload_length 0
		.amdhsa_user_sgpr_kernarg_preload_offset 0
		.amdhsa_user_sgpr_private_segment_size 0
		.amdhsa_uses_dynamic_stack 0
		.amdhsa_system_sgpr_private_segment_wavefront_offset 0
		.amdhsa_system_sgpr_workgroup_id_x 1
		.amdhsa_system_sgpr_workgroup_id_y 0
		.amdhsa_system_sgpr_workgroup_id_z 0
		.amdhsa_system_sgpr_workgroup_info 0
		.amdhsa_system_vgpr_workitem_id 0
		.amdhsa_next_free_vgpr 1
		.amdhsa_next_free_sgpr 0
		.amdhsa_accum_offset 4
		.amdhsa_reserve_vcc 0
		.amdhsa_reserve_flat_scratch 0
		.amdhsa_float_round_mode_32 0
		.amdhsa_float_round_mode_16_64 0
		.amdhsa_float_denorm_mode_32 3
		.amdhsa_float_denorm_mode_16_64 3
		.amdhsa_dx10_clamp 1
		.amdhsa_ieee_mode 1
		.amdhsa_fp16_overflow 0
		.amdhsa_tg_split 0
		.amdhsa_exception_fp_ieee_invalid_op 0
		.amdhsa_exception_fp_denorm_src 0
		.amdhsa_exception_fp_ieee_div_zero 0
		.amdhsa_exception_fp_ieee_overflow 0
		.amdhsa_exception_fp_ieee_underflow 0
		.amdhsa_exception_fp_ieee_inexact 0
		.amdhsa_exception_int_div_zero 0
	.end_amdhsa_kernel
	.section	.text._ZN7rocprim17ROCPRIM_400000_NS6detail17trampoline_kernelINS0_14default_configENS1_25partition_config_selectorILNS1_17partition_subalgoE1EtNS0_10empty_typeEbEEZZNS1_14partition_implILS5_1ELb0ES3_jN6thrust23THRUST_200600_302600_NS6detail15normal_iteratorINSA_10device_ptrItEEEEPS6_NSA_18transform_iteratorI7is_evenItESF_NSA_11use_defaultESK_EENS0_5tupleIJSF_SF_EEENSM_IJSG_SG_EEES6_PlJS6_EEE10hipError_tPvRmT3_T4_T5_T6_T7_T9_mT8_P12ihipStream_tbDpT10_ENKUlT_T0_E_clISt17integral_constantIbLb0EES18_IbLb1EEEEDaS14_S15_EUlS14_E_NS1_11comp_targetILNS1_3genE9ELNS1_11target_archE1100ELNS1_3gpuE3ELNS1_3repE0EEENS1_30default_config_static_selectorELNS0_4arch9wavefront6targetE1EEEvT1_,"axG",@progbits,_ZN7rocprim17ROCPRIM_400000_NS6detail17trampoline_kernelINS0_14default_configENS1_25partition_config_selectorILNS1_17partition_subalgoE1EtNS0_10empty_typeEbEEZZNS1_14partition_implILS5_1ELb0ES3_jN6thrust23THRUST_200600_302600_NS6detail15normal_iteratorINSA_10device_ptrItEEEEPS6_NSA_18transform_iteratorI7is_evenItESF_NSA_11use_defaultESK_EENS0_5tupleIJSF_SF_EEENSM_IJSG_SG_EEES6_PlJS6_EEE10hipError_tPvRmT3_T4_T5_T6_T7_T9_mT8_P12ihipStream_tbDpT10_ENKUlT_T0_E_clISt17integral_constantIbLb0EES18_IbLb1EEEEDaS14_S15_EUlS14_E_NS1_11comp_targetILNS1_3genE9ELNS1_11target_archE1100ELNS1_3gpuE3ELNS1_3repE0EEENS1_30default_config_static_selectorELNS0_4arch9wavefront6targetE1EEEvT1_,comdat
.Lfunc_end2297:
	.size	_ZN7rocprim17ROCPRIM_400000_NS6detail17trampoline_kernelINS0_14default_configENS1_25partition_config_selectorILNS1_17partition_subalgoE1EtNS0_10empty_typeEbEEZZNS1_14partition_implILS5_1ELb0ES3_jN6thrust23THRUST_200600_302600_NS6detail15normal_iteratorINSA_10device_ptrItEEEEPS6_NSA_18transform_iteratorI7is_evenItESF_NSA_11use_defaultESK_EENS0_5tupleIJSF_SF_EEENSM_IJSG_SG_EEES6_PlJS6_EEE10hipError_tPvRmT3_T4_T5_T6_T7_T9_mT8_P12ihipStream_tbDpT10_ENKUlT_T0_E_clISt17integral_constantIbLb0EES18_IbLb1EEEEDaS14_S15_EUlS14_E_NS1_11comp_targetILNS1_3genE9ELNS1_11target_archE1100ELNS1_3gpuE3ELNS1_3repE0EEENS1_30default_config_static_selectorELNS0_4arch9wavefront6targetE1EEEvT1_, .Lfunc_end2297-_ZN7rocprim17ROCPRIM_400000_NS6detail17trampoline_kernelINS0_14default_configENS1_25partition_config_selectorILNS1_17partition_subalgoE1EtNS0_10empty_typeEbEEZZNS1_14partition_implILS5_1ELb0ES3_jN6thrust23THRUST_200600_302600_NS6detail15normal_iteratorINSA_10device_ptrItEEEEPS6_NSA_18transform_iteratorI7is_evenItESF_NSA_11use_defaultESK_EENS0_5tupleIJSF_SF_EEENSM_IJSG_SG_EEES6_PlJS6_EEE10hipError_tPvRmT3_T4_T5_T6_T7_T9_mT8_P12ihipStream_tbDpT10_ENKUlT_T0_E_clISt17integral_constantIbLb0EES18_IbLb1EEEEDaS14_S15_EUlS14_E_NS1_11comp_targetILNS1_3genE9ELNS1_11target_archE1100ELNS1_3gpuE3ELNS1_3repE0EEENS1_30default_config_static_selectorELNS0_4arch9wavefront6targetE1EEEvT1_
                                        ; -- End function
	.section	.AMDGPU.csdata,"",@progbits
; Kernel info:
; codeLenInByte = 0
; NumSgprs: 4
; NumVgprs: 0
; NumAgprs: 0
; TotalNumVgprs: 0
; ScratchSize: 0
; MemoryBound: 0
; FloatMode: 240
; IeeeMode: 1
; LDSByteSize: 0 bytes/workgroup (compile time only)
; SGPRBlocks: 0
; VGPRBlocks: 0
; NumSGPRsForWavesPerEU: 4
; NumVGPRsForWavesPerEU: 1
; AccumOffset: 4
; Occupancy: 8
; WaveLimiterHint : 0
; COMPUTE_PGM_RSRC2:SCRATCH_EN: 0
; COMPUTE_PGM_RSRC2:USER_SGPR: 6
; COMPUTE_PGM_RSRC2:TRAP_HANDLER: 0
; COMPUTE_PGM_RSRC2:TGID_X_EN: 1
; COMPUTE_PGM_RSRC2:TGID_Y_EN: 0
; COMPUTE_PGM_RSRC2:TGID_Z_EN: 0
; COMPUTE_PGM_RSRC2:TIDIG_COMP_CNT: 0
; COMPUTE_PGM_RSRC3_GFX90A:ACCUM_OFFSET: 0
; COMPUTE_PGM_RSRC3_GFX90A:TG_SPLIT: 0
	.section	.text._ZN7rocprim17ROCPRIM_400000_NS6detail17trampoline_kernelINS0_14default_configENS1_25partition_config_selectorILNS1_17partition_subalgoE1EtNS0_10empty_typeEbEEZZNS1_14partition_implILS5_1ELb0ES3_jN6thrust23THRUST_200600_302600_NS6detail15normal_iteratorINSA_10device_ptrItEEEEPS6_NSA_18transform_iteratorI7is_evenItESF_NSA_11use_defaultESK_EENS0_5tupleIJSF_SF_EEENSM_IJSG_SG_EEES6_PlJS6_EEE10hipError_tPvRmT3_T4_T5_T6_T7_T9_mT8_P12ihipStream_tbDpT10_ENKUlT_T0_E_clISt17integral_constantIbLb0EES18_IbLb1EEEEDaS14_S15_EUlS14_E_NS1_11comp_targetILNS1_3genE8ELNS1_11target_archE1030ELNS1_3gpuE2ELNS1_3repE0EEENS1_30default_config_static_selectorELNS0_4arch9wavefront6targetE1EEEvT1_,"axG",@progbits,_ZN7rocprim17ROCPRIM_400000_NS6detail17trampoline_kernelINS0_14default_configENS1_25partition_config_selectorILNS1_17partition_subalgoE1EtNS0_10empty_typeEbEEZZNS1_14partition_implILS5_1ELb0ES3_jN6thrust23THRUST_200600_302600_NS6detail15normal_iteratorINSA_10device_ptrItEEEEPS6_NSA_18transform_iteratorI7is_evenItESF_NSA_11use_defaultESK_EENS0_5tupleIJSF_SF_EEENSM_IJSG_SG_EEES6_PlJS6_EEE10hipError_tPvRmT3_T4_T5_T6_T7_T9_mT8_P12ihipStream_tbDpT10_ENKUlT_T0_E_clISt17integral_constantIbLb0EES18_IbLb1EEEEDaS14_S15_EUlS14_E_NS1_11comp_targetILNS1_3genE8ELNS1_11target_archE1030ELNS1_3gpuE2ELNS1_3repE0EEENS1_30default_config_static_selectorELNS0_4arch9wavefront6targetE1EEEvT1_,comdat
	.protected	_ZN7rocprim17ROCPRIM_400000_NS6detail17trampoline_kernelINS0_14default_configENS1_25partition_config_selectorILNS1_17partition_subalgoE1EtNS0_10empty_typeEbEEZZNS1_14partition_implILS5_1ELb0ES3_jN6thrust23THRUST_200600_302600_NS6detail15normal_iteratorINSA_10device_ptrItEEEEPS6_NSA_18transform_iteratorI7is_evenItESF_NSA_11use_defaultESK_EENS0_5tupleIJSF_SF_EEENSM_IJSG_SG_EEES6_PlJS6_EEE10hipError_tPvRmT3_T4_T5_T6_T7_T9_mT8_P12ihipStream_tbDpT10_ENKUlT_T0_E_clISt17integral_constantIbLb0EES18_IbLb1EEEEDaS14_S15_EUlS14_E_NS1_11comp_targetILNS1_3genE8ELNS1_11target_archE1030ELNS1_3gpuE2ELNS1_3repE0EEENS1_30default_config_static_selectorELNS0_4arch9wavefront6targetE1EEEvT1_ ; -- Begin function _ZN7rocprim17ROCPRIM_400000_NS6detail17trampoline_kernelINS0_14default_configENS1_25partition_config_selectorILNS1_17partition_subalgoE1EtNS0_10empty_typeEbEEZZNS1_14partition_implILS5_1ELb0ES3_jN6thrust23THRUST_200600_302600_NS6detail15normal_iteratorINSA_10device_ptrItEEEEPS6_NSA_18transform_iteratorI7is_evenItESF_NSA_11use_defaultESK_EENS0_5tupleIJSF_SF_EEENSM_IJSG_SG_EEES6_PlJS6_EEE10hipError_tPvRmT3_T4_T5_T6_T7_T9_mT8_P12ihipStream_tbDpT10_ENKUlT_T0_E_clISt17integral_constantIbLb0EES18_IbLb1EEEEDaS14_S15_EUlS14_E_NS1_11comp_targetILNS1_3genE8ELNS1_11target_archE1030ELNS1_3gpuE2ELNS1_3repE0EEENS1_30default_config_static_selectorELNS0_4arch9wavefront6targetE1EEEvT1_
	.globl	_ZN7rocprim17ROCPRIM_400000_NS6detail17trampoline_kernelINS0_14default_configENS1_25partition_config_selectorILNS1_17partition_subalgoE1EtNS0_10empty_typeEbEEZZNS1_14partition_implILS5_1ELb0ES3_jN6thrust23THRUST_200600_302600_NS6detail15normal_iteratorINSA_10device_ptrItEEEEPS6_NSA_18transform_iteratorI7is_evenItESF_NSA_11use_defaultESK_EENS0_5tupleIJSF_SF_EEENSM_IJSG_SG_EEES6_PlJS6_EEE10hipError_tPvRmT3_T4_T5_T6_T7_T9_mT8_P12ihipStream_tbDpT10_ENKUlT_T0_E_clISt17integral_constantIbLb0EES18_IbLb1EEEEDaS14_S15_EUlS14_E_NS1_11comp_targetILNS1_3genE8ELNS1_11target_archE1030ELNS1_3gpuE2ELNS1_3repE0EEENS1_30default_config_static_selectorELNS0_4arch9wavefront6targetE1EEEvT1_
	.p2align	8
	.type	_ZN7rocprim17ROCPRIM_400000_NS6detail17trampoline_kernelINS0_14default_configENS1_25partition_config_selectorILNS1_17partition_subalgoE1EtNS0_10empty_typeEbEEZZNS1_14partition_implILS5_1ELb0ES3_jN6thrust23THRUST_200600_302600_NS6detail15normal_iteratorINSA_10device_ptrItEEEEPS6_NSA_18transform_iteratorI7is_evenItESF_NSA_11use_defaultESK_EENS0_5tupleIJSF_SF_EEENSM_IJSG_SG_EEES6_PlJS6_EEE10hipError_tPvRmT3_T4_T5_T6_T7_T9_mT8_P12ihipStream_tbDpT10_ENKUlT_T0_E_clISt17integral_constantIbLb0EES18_IbLb1EEEEDaS14_S15_EUlS14_E_NS1_11comp_targetILNS1_3genE8ELNS1_11target_archE1030ELNS1_3gpuE2ELNS1_3repE0EEENS1_30default_config_static_selectorELNS0_4arch9wavefront6targetE1EEEvT1_,@function
_ZN7rocprim17ROCPRIM_400000_NS6detail17trampoline_kernelINS0_14default_configENS1_25partition_config_selectorILNS1_17partition_subalgoE1EtNS0_10empty_typeEbEEZZNS1_14partition_implILS5_1ELb0ES3_jN6thrust23THRUST_200600_302600_NS6detail15normal_iteratorINSA_10device_ptrItEEEEPS6_NSA_18transform_iteratorI7is_evenItESF_NSA_11use_defaultESK_EENS0_5tupleIJSF_SF_EEENSM_IJSG_SG_EEES6_PlJS6_EEE10hipError_tPvRmT3_T4_T5_T6_T7_T9_mT8_P12ihipStream_tbDpT10_ENKUlT_T0_E_clISt17integral_constantIbLb0EES18_IbLb1EEEEDaS14_S15_EUlS14_E_NS1_11comp_targetILNS1_3genE8ELNS1_11target_archE1030ELNS1_3gpuE2ELNS1_3repE0EEENS1_30default_config_static_selectorELNS0_4arch9wavefront6targetE1EEEvT1_: ; @_ZN7rocprim17ROCPRIM_400000_NS6detail17trampoline_kernelINS0_14default_configENS1_25partition_config_selectorILNS1_17partition_subalgoE1EtNS0_10empty_typeEbEEZZNS1_14partition_implILS5_1ELb0ES3_jN6thrust23THRUST_200600_302600_NS6detail15normal_iteratorINSA_10device_ptrItEEEEPS6_NSA_18transform_iteratorI7is_evenItESF_NSA_11use_defaultESK_EENS0_5tupleIJSF_SF_EEENSM_IJSG_SG_EEES6_PlJS6_EEE10hipError_tPvRmT3_T4_T5_T6_T7_T9_mT8_P12ihipStream_tbDpT10_ENKUlT_T0_E_clISt17integral_constantIbLb0EES18_IbLb1EEEEDaS14_S15_EUlS14_E_NS1_11comp_targetILNS1_3genE8ELNS1_11target_archE1030ELNS1_3gpuE2ELNS1_3repE0EEENS1_30default_config_static_selectorELNS0_4arch9wavefront6targetE1EEEvT1_
; %bb.0:
	.section	.rodata,"a",@progbits
	.p2align	6, 0x0
	.amdhsa_kernel _ZN7rocprim17ROCPRIM_400000_NS6detail17trampoline_kernelINS0_14default_configENS1_25partition_config_selectorILNS1_17partition_subalgoE1EtNS0_10empty_typeEbEEZZNS1_14partition_implILS5_1ELb0ES3_jN6thrust23THRUST_200600_302600_NS6detail15normal_iteratorINSA_10device_ptrItEEEEPS6_NSA_18transform_iteratorI7is_evenItESF_NSA_11use_defaultESK_EENS0_5tupleIJSF_SF_EEENSM_IJSG_SG_EEES6_PlJS6_EEE10hipError_tPvRmT3_T4_T5_T6_T7_T9_mT8_P12ihipStream_tbDpT10_ENKUlT_T0_E_clISt17integral_constantIbLb0EES18_IbLb1EEEEDaS14_S15_EUlS14_E_NS1_11comp_targetILNS1_3genE8ELNS1_11target_archE1030ELNS1_3gpuE2ELNS1_3repE0EEENS1_30default_config_static_selectorELNS0_4arch9wavefront6targetE1EEEvT1_
		.amdhsa_group_segment_fixed_size 0
		.amdhsa_private_segment_fixed_size 0
		.amdhsa_kernarg_size 144
		.amdhsa_user_sgpr_count 6
		.amdhsa_user_sgpr_private_segment_buffer 1
		.amdhsa_user_sgpr_dispatch_ptr 0
		.amdhsa_user_sgpr_queue_ptr 0
		.amdhsa_user_sgpr_kernarg_segment_ptr 1
		.amdhsa_user_sgpr_dispatch_id 0
		.amdhsa_user_sgpr_flat_scratch_init 0
		.amdhsa_user_sgpr_kernarg_preload_length 0
		.amdhsa_user_sgpr_kernarg_preload_offset 0
		.amdhsa_user_sgpr_private_segment_size 0
		.amdhsa_uses_dynamic_stack 0
		.amdhsa_system_sgpr_private_segment_wavefront_offset 0
		.amdhsa_system_sgpr_workgroup_id_x 1
		.amdhsa_system_sgpr_workgroup_id_y 0
		.amdhsa_system_sgpr_workgroup_id_z 0
		.amdhsa_system_sgpr_workgroup_info 0
		.amdhsa_system_vgpr_workitem_id 0
		.amdhsa_next_free_vgpr 1
		.amdhsa_next_free_sgpr 0
		.amdhsa_accum_offset 4
		.amdhsa_reserve_vcc 0
		.amdhsa_reserve_flat_scratch 0
		.amdhsa_float_round_mode_32 0
		.amdhsa_float_round_mode_16_64 0
		.amdhsa_float_denorm_mode_32 3
		.amdhsa_float_denorm_mode_16_64 3
		.amdhsa_dx10_clamp 1
		.amdhsa_ieee_mode 1
		.amdhsa_fp16_overflow 0
		.amdhsa_tg_split 0
		.amdhsa_exception_fp_ieee_invalid_op 0
		.amdhsa_exception_fp_denorm_src 0
		.amdhsa_exception_fp_ieee_div_zero 0
		.amdhsa_exception_fp_ieee_overflow 0
		.amdhsa_exception_fp_ieee_underflow 0
		.amdhsa_exception_fp_ieee_inexact 0
		.amdhsa_exception_int_div_zero 0
	.end_amdhsa_kernel
	.section	.text._ZN7rocprim17ROCPRIM_400000_NS6detail17trampoline_kernelINS0_14default_configENS1_25partition_config_selectorILNS1_17partition_subalgoE1EtNS0_10empty_typeEbEEZZNS1_14partition_implILS5_1ELb0ES3_jN6thrust23THRUST_200600_302600_NS6detail15normal_iteratorINSA_10device_ptrItEEEEPS6_NSA_18transform_iteratorI7is_evenItESF_NSA_11use_defaultESK_EENS0_5tupleIJSF_SF_EEENSM_IJSG_SG_EEES6_PlJS6_EEE10hipError_tPvRmT3_T4_T5_T6_T7_T9_mT8_P12ihipStream_tbDpT10_ENKUlT_T0_E_clISt17integral_constantIbLb0EES18_IbLb1EEEEDaS14_S15_EUlS14_E_NS1_11comp_targetILNS1_3genE8ELNS1_11target_archE1030ELNS1_3gpuE2ELNS1_3repE0EEENS1_30default_config_static_selectorELNS0_4arch9wavefront6targetE1EEEvT1_,"axG",@progbits,_ZN7rocprim17ROCPRIM_400000_NS6detail17trampoline_kernelINS0_14default_configENS1_25partition_config_selectorILNS1_17partition_subalgoE1EtNS0_10empty_typeEbEEZZNS1_14partition_implILS5_1ELb0ES3_jN6thrust23THRUST_200600_302600_NS6detail15normal_iteratorINSA_10device_ptrItEEEEPS6_NSA_18transform_iteratorI7is_evenItESF_NSA_11use_defaultESK_EENS0_5tupleIJSF_SF_EEENSM_IJSG_SG_EEES6_PlJS6_EEE10hipError_tPvRmT3_T4_T5_T6_T7_T9_mT8_P12ihipStream_tbDpT10_ENKUlT_T0_E_clISt17integral_constantIbLb0EES18_IbLb1EEEEDaS14_S15_EUlS14_E_NS1_11comp_targetILNS1_3genE8ELNS1_11target_archE1030ELNS1_3gpuE2ELNS1_3repE0EEENS1_30default_config_static_selectorELNS0_4arch9wavefront6targetE1EEEvT1_,comdat
.Lfunc_end2298:
	.size	_ZN7rocprim17ROCPRIM_400000_NS6detail17trampoline_kernelINS0_14default_configENS1_25partition_config_selectorILNS1_17partition_subalgoE1EtNS0_10empty_typeEbEEZZNS1_14partition_implILS5_1ELb0ES3_jN6thrust23THRUST_200600_302600_NS6detail15normal_iteratorINSA_10device_ptrItEEEEPS6_NSA_18transform_iteratorI7is_evenItESF_NSA_11use_defaultESK_EENS0_5tupleIJSF_SF_EEENSM_IJSG_SG_EEES6_PlJS6_EEE10hipError_tPvRmT3_T4_T5_T6_T7_T9_mT8_P12ihipStream_tbDpT10_ENKUlT_T0_E_clISt17integral_constantIbLb0EES18_IbLb1EEEEDaS14_S15_EUlS14_E_NS1_11comp_targetILNS1_3genE8ELNS1_11target_archE1030ELNS1_3gpuE2ELNS1_3repE0EEENS1_30default_config_static_selectorELNS0_4arch9wavefront6targetE1EEEvT1_, .Lfunc_end2298-_ZN7rocprim17ROCPRIM_400000_NS6detail17trampoline_kernelINS0_14default_configENS1_25partition_config_selectorILNS1_17partition_subalgoE1EtNS0_10empty_typeEbEEZZNS1_14partition_implILS5_1ELb0ES3_jN6thrust23THRUST_200600_302600_NS6detail15normal_iteratorINSA_10device_ptrItEEEEPS6_NSA_18transform_iteratorI7is_evenItESF_NSA_11use_defaultESK_EENS0_5tupleIJSF_SF_EEENSM_IJSG_SG_EEES6_PlJS6_EEE10hipError_tPvRmT3_T4_T5_T6_T7_T9_mT8_P12ihipStream_tbDpT10_ENKUlT_T0_E_clISt17integral_constantIbLb0EES18_IbLb1EEEEDaS14_S15_EUlS14_E_NS1_11comp_targetILNS1_3genE8ELNS1_11target_archE1030ELNS1_3gpuE2ELNS1_3repE0EEENS1_30default_config_static_selectorELNS0_4arch9wavefront6targetE1EEEvT1_
                                        ; -- End function
	.section	.AMDGPU.csdata,"",@progbits
; Kernel info:
; codeLenInByte = 0
; NumSgprs: 4
; NumVgprs: 0
; NumAgprs: 0
; TotalNumVgprs: 0
; ScratchSize: 0
; MemoryBound: 0
; FloatMode: 240
; IeeeMode: 1
; LDSByteSize: 0 bytes/workgroup (compile time only)
; SGPRBlocks: 0
; VGPRBlocks: 0
; NumSGPRsForWavesPerEU: 4
; NumVGPRsForWavesPerEU: 1
; AccumOffset: 4
; Occupancy: 8
; WaveLimiterHint : 0
; COMPUTE_PGM_RSRC2:SCRATCH_EN: 0
; COMPUTE_PGM_RSRC2:USER_SGPR: 6
; COMPUTE_PGM_RSRC2:TRAP_HANDLER: 0
; COMPUTE_PGM_RSRC2:TGID_X_EN: 1
; COMPUTE_PGM_RSRC2:TGID_Y_EN: 0
; COMPUTE_PGM_RSRC2:TGID_Z_EN: 0
; COMPUTE_PGM_RSRC2:TIDIG_COMP_CNT: 0
; COMPUTE_PGM_RSRC3_GFX90A:ACCUM_OFFSET: 0
; COMPUTE_PGM_RSRC3_GFX90A:TG_SPLIT: 0
	.section	.text._ZN7rocprim17ROCPRIM_400000_NS6detail17trampoline_kernelINS0_14default_configENS1_25partition_config_selectorILNS1_17partition_subalgoE0EyNS0_10empty_typeEbEEZZNS1_14partition_implILS5_0ELb0ES3_jN6thrust23THRUST_200600_302600_NS6detail15normal_iteratorINSA_10device_ptrIyEEEEPS6_SG_NS0_5tupleIJNSA_16discard_iteratorINSA_11use_defaultEEESK_EEENSH_IJSG_SG_EEES6_PlJ7is_evenIyEEEE10hipError_tPvRmT3_T4_T5_T6_T7_T9_mT8_P12ihipStream_tbDpT10_ENKUlT_T0_E_clISt17integral_constantIbLb0EES19_EEDaS14_S15_EUlS14_E_NS1_11comp_targetILNS1_3genE0ELNS1_11target_archE4294967295ELNS1_3gpuE0ELNS1_3repE0EEENS1_30default_config_static_selectorELNS0_4arch9wavefront6targetE1EEEvT1_,"axG",@progbits,_ZN7rocprim17ROCPRIM_400000_NS6detail17trampoline_kernelINS0_14default_configENS1_25partition_config_selectorILNS1_17partition_subalgoE0EyNS0_10empty_typeEbEEZZNS1_14partition_implILS5_0ELb0ES3_jN6thrust23THRUST_200600_302600_NS6detail15normal_iteratorINSA_10device_ptrIyEEEEPS6_SG_NS0_5tupleIJNSA_16discard_iteratorINSA_11use_defaultEEESK_EEENSH_IJSG_SG_EEES6_PlJ7is_evenIyEEEE10hipError_tPvRmT3_T4_T5_T6_T7_T9_mT8_P12ihipStream_tbDpT10_ENKUlT_T0_E_clISt17integral_constantIbLb0EES19_EEDaS14_S15_EUlS14_E_NS1_11comp_targetILNS1_3genE0ELNS1_11target_archE4294967295ELNS1_3gpuE0ELNS1_3repE0EEENS1_30default_config_static_selectorELNS0_4arch9wavefront6targetE1EEEvT1_,comdat
	.protected	_ZN7rocprim17ROCPRIM_400000_NS6detail17trampoline_kernelINS0_14default_configENS1_25partition_config_selectorILNS1_17partition_subalgoE0EyNS0_10empty_typeEbEEZZNS1_14partition_implILS5_0ELb0ES3_jN6thrust23THRUST_200600_302600_NS6detail15normal_iteratorINSA_10device_ptrIyEEEEPS6_SG_NS0_5tupleIJNSA_16discard_iteratorINSA_11use_defaultEEESK_EEENSH_IJSG_SG_EEES6_PlJ7is_evenIyEEEE10hipError_tPvRmT3_T4_T5_T6_T7_T9_mT8_P12ihipStream_tbDpT10_ENKUlT_T0_E_clISt17integral_constantIbLb0EES19_EEDaS14_S15_EUlS14_E_NS1_11comp_targetILNS1_3genE0ELNS1_11target_archE4294967295ELNS1_3gpuE0ELNS1_3repE0EEENS1_30default_config_static_selectorELNS0_4arch9wavefront6targetE1EEEvT1_ ; -- Begin function _ZN7rocprim17ROCPRIM_400000_NS6detail17trampoline_kernelINS0_14default_configENS1_25partition_config_selectorILNS1_17partition_subalgoE0EyNS0_10empty_typeEbEEZZNS1_14partition_implILS5_0ELb0ES3_jN6thrust23THRUST_200600_302600_NS6detail15normal_iteratorINSA_10device_ptrIyEEEEPS6_SG_NS0_5tupleIJNSA_16discard_iteratorINSA_11use_defaultEEESK_EEENSH_IJSG_SG_EEES6_PlJ7is_evenIyEEEE10hipError_tPvRmT3_T4_T5_T6_T7_T9_mT8_P12ihipStream_tbDpT10_ENKUlT_T0_E_clISt17integral_constantIbLb0EES19_EEDaS14_S15_EUlS14_E_NS1_11comp_targetILNS1_3genE0ELNS1_11target_archE4294967295ELNS1_3gpuE0ELNS1_3repE0EEENS1_30default_config_static_selectorELNS0_4arch9wavefront6targetE1EEEvT1_
	.globl	_ZN7rocprim17ROCPRIM_400000_NS6detail17trampoline_kernelINS0_14default_configENS1_25partition_config_selectorILNS1_17partition_subalgoE0EyNS0_10empty_typeEbEEZZNS1_14partition_implILS5_0ELb0ES3_jN6thrust23THRUST_200600_302600_NS6detail15normal_iteratorINSA_10device_ptrIyEEEEPS6_SG_NS0_5tupleIJNSA_16discard_iteratorINSA_11use_defaultEEESK_EEENSH_IJSG_SG_EEES6_PlJ7is_evenIyEEEE10hipError_tPvRmT3_T4_T5_T6_T7_T9_mT8_P12ihipStream_tbDpT10_ENKUlT_T0_E_clISt17integral_constantIbLb0EES19_EEDaS14_S15_EUlS14_E_NS1_11comp_targetILNS1_3genE0ELNS1_11target_archE4294967295ELNS1_3gpuE0ELNS1_3repE0EEENS1_30default_config_static_selectorELNS0_4arch9wavefront6targetE1EEEvT1_
	.p2align	8
	.type	_ZN7rocprim17ROCPRIM_400000_NS6detail17trampoline_kernelINS0_14default_configENS1_25partition_config_selectorILNS1_17partition_subalgoE0EyNS0_10empty_typeEbEEZZNS1_14partition_implILS5_0ELb0ES3_jN6thrust23THRUST_200600_302600_NS6detail15normal_iteratorINSA_10device_ptrIyEEEEPS6_SG_NS0_5tupleIJNSA_16discard_iteratorINSA_11use_defaultEEESK_EEENSH_IJSG_SG_EEES6_PlJ7is_evenIyEEEE10hipError_tPvRmT3_T4_T5_T6_T7_T9_mT8_P12ihipStream_tbDpT10_ENKUlT_T0_E_clISt17integral_constantIbLb0EES19_EEDaS14_S15_EUlS14_E_NS1_11comp_targetILNS1_3genE0ELNS1_11target_archE4294967295ELNS1_3gpuE0ELNS1_3repE0EEENS1_30default_config_static_selectorELNS0_4arch9wavefront6targetE1EEEvT1_,@function
_ZN7rocprim17ROCPRIM_400000_NS6detail17trampoline_kernelINS0_14default_configENS1_25partition_config_selectorILNS1_17partition_subalgoE0EyNS0_10empty_typeEbEEZZNS1_14partition_implILS5_0ELb0ES3_jN6thrust23THRUST_200600_302600_NS6detail15normal_iteratorINSA_10device_ptrIyEEEEPS6_SG_NS0_5tupleIJNSA_16discard_iteratorINSA_11use_defaultEEESK_EEENSH_IJSG_SG_EEES6_PlJ7is_evenIyEEEE10hipError_tPvRmT3_T4_T5_T6_T7_T9_mT8_P12ihipStream_tbDpT10_ENKUlT_T0_E_clISt17integral_constantIbLb0EES19_EEDaS14_S15_EUlS14_E_NS1_11comp_targetILNS1_3genE0ELNS1_11target_archE4294967295ELNS1_3gpuE0ELNS1_3repE0EEENS1_30default_config_static_selectorELNS0_4arch9wavefront6targetE1EEEvT1_: ; @_ZN7rocprim17ROCPRIM_400000_NS6detail17trampoline_kernelINS0_14default_configENS1_25partition_config_selectorILNS1_17partition_subalgoE0EyNS0_10empty_typeEbEEZZNS1_14partition_implILS5_0ELb0ES3_jN6thrust23THRUST_200600_302600_NS6detail15normal_iteratorINSA_10device_ptrIyEEEEPS6_SG_NS0_5tupleIJNSA_16discard_iteratorINSA_11use_defaultEEESK_EEENSH_IJSG_SG_EEES6_PlJ7is_evenIyEEEE10hipError_tPvRmT3_T4_T5_T6_T7_T9_mT8_P12ihipStream_tbDpT10_ENKUlT_T0_E_clISt17integral_constantIbLb0EES19_EEDaS14_S15_EUlS14_E_NS1_11comp_targetILNS1_3genE0ELNS1_11target_archE4294967295ELNS1_3gpuE0ELNS1_3repE0EEENS1_30default_config_static_selectorELNS0_4arch9wavefront6targetE1EEEvT1_
; %bb.0:
	.section	.rodata,"a",@progbits
	.p2align	6, 0x0
	.amdhsa_kernel _ZN7rocprim17ROCPRIM_400000_NS6detail17trampoline_kernelINS0_14default_configENS1_25partition_config_selectorILNS1_17partition_subalgoE0EyNS0_10empty_typeEbEEZZNS1_14partition_implILS5_0ELb0ES3_jN6thrust23THRUST_200600_302600_NS6detail15normal_iteratorINSA_10device_ptrIyEEEEPS6_SG_NS0_5tupleIJNSA_16discard_iteratorINSA_11use_defaultEEESK_EEENSH_IJSG_SG_EEES6_PlJ7is_evenIyEEEE10hipError_tPvRmT3_T4_T5_T6_T7_T9_mT8_P12ihipStream_tbDpT10_ENKUlT_T0_E_clISt17integral_constantIbLb0EES19_EEDaS14_S15_EUlS14_E_NS1_11comp_targetILNS1_3genE0ELNS1_11target_archE4294967295ELNS1_3gpuE0ELNS1_3repE0EEENS1_30default_config_static_selectorELNS0_4arch9wavefront6targetE1EEEvT1_
		.amdhsa_group_segment_fixed_size 0
		.amdhsa_private_segment_fixed_size 0
		.amdhsa_kernarg_size 136
		.amdhsa_user_sgpr_count 6
		.amdhsa_user_sgpr_private_segment_buffer 1
		.amdhsa_user_sgpr_dispatch_ptr 0
		.amdhsa_user_sgpr_queue_ptr 0
		.amdhsa_user_sgpr_kernarg_segment_ptr 1
		.amdhsa_user_sgpr_dispatch_id 0
		.amdhsa_user_sgpr_flat_scratch_init 0
		.amdhsa_user_sgpr_kernarg_preload_length 0
		.amdhsa_user_sgpr_kernarg_preload_offset 0
		.amdhsa_user_sgpr_private_segment_size 0
		.amdhsa_uses_dynamic_stack 0
		.amdhsa_system_sgpr_private_segment_wavefront_offset 0
		.amdhsa_system_sgpr_workgroup_id_x 1
		.amdhsa_system_sgpr_workgroup_id_y 0
		.amdhsa_system_sgpr_workgroup_id_z 0
		.amdhsa_system_sgpr_workgroup_info 0
		.amdhsa_system_vgpr_workitem_id 0
		.amdhsa_next_free_vgpr 1
		.amdhsa_next_free_sgpr 0
		.amdhsa_accum_offset 4
		.amdhsa_reserve_vcc 0
		.amdhsa_reserve_flat_scratch 0
		.amdhsa_float_round_mode_32 0
		.amdhsa_float_round_mode_16_64 0
		.amdhsa_float_denorm_mode_32 3
		.amdhsa_float_denorm_mode_16_64 3
		.amdhsa_dx10_clamp 1
		.amdhsa_ieee_mode 1
		.amdhsa_fp16_overflow 0
		.amdhsa_tg_split 0
		.amdhsa_exception_fp_ieee_invalid_op 0
		.amdhsa_exception_fp_denorm_src 0
		.amdhsa_exception_fp_ieee_div_zero 0
		.amdhsa_exception_fp_ieee_overflow 0
		.amdhsa_exception_fp_ieee_underflow 0
		.amdhsa_exception_fp_ieee_inexact 0
		.amdhsa_exception_int_div_zero 0
	.end_amdhsa_kernel
	.section	.text._ZN7rocprim17ROCPRIM_400000_NS6detail17trampoline_kernelINS0_14default_configENS1_25partition_config_selectorILNS1_17partition_subalgoE0EyNS0_10empty_typeEbEEZZNS1_14partition_implILS5_0ELb0ES3_jN6thrust23THRUST_200600_302600_NS6detail15normal_iteratorINSA_10device_ptrIyEEEEPS6_SG_NS0_5tupleIJNSA_16discard_iteratorINSA_11use_defaultEEESK_EEENSH_IJSG_SG_EEES6_PlJ7is_evenIyEEEE10hipError_tPvRmT3_T4_T5_T6_T7_T9_mT8_P12ihipStream_tbDpT10_ENKUlT_T0_E_clISt17integral_constantIbLb0EES19_EEDaS14_S15_EUlS14_E_NS1_11comp_targetILNS1_3genE0ELNS1_11target_archE4294967295ELNS1_3gpuE0ELNS1_3repE0EEENS1_30default_config_static_selectorELNS0_4arch9wavefront6targetE1EEEvT1_,"axG",@progbits,_ZN7rocprim17ROCPRIM_400000_NS6detail17trampoline_kernelINS0_14default_configENS1_25partition_config_selectorILNS1_17partition_subalgoE0EyNS0_10empty_typeEbEEZZNS1_14partition_implILS5_0ELb0ES3_jN6thrust23THRUST_200600_302600_NS6detail15normal_iteratorINSA_10device_ptrIyEEEEPS6_SG_NS0_5tupleIJNSA_16discard_iteratorINSA_11use_defaultEEESK_EEENSH_IJSG_SG_EEES6_PlJ7is_evenIyEEEE10hipError_tPvRmT3_T4_T5_T6_T7_T9_mT8_P12ihipStream_tbDpT10_ENKUlT_T0_E_clISt17integral_constantIbLb0EES19_EEDaS14_S15_EUlS14_E_NS1_11comp_targetILNS1_3genE0ELNS1_11target_archE4294967295ELNS1_3gpuE0ELNS1_3repE0EEENS1_30default_config_static_selectorELNS0_4arch9wavefront6targetE1EEEvT1_,comdat
.Lfunc_end2299:
	.size	_ZN7rocprim17ROCPRIM_400000_NS6detail17trampoline_kernelINS0_14default_configENS1_25partition_config_selectorILNS1_17partition_subalgoE0EyNS0_10empty_typeEbEEZZNS1_14partition_implILS5_0ELb0ES3_jN6thrust23THRUST_200600_302600_NS6detail15normal_iteratorINSA_10device_ptrIyEEEEPS6_SG_NS0_5tupleIJNSA_16discard_iteratorINSA_11use_defaultEEESK_EEENSH_IJSG_SG_EEES6_PlJ7is_evenIyEEEE10hipError_tPvRmT3_T4_T5_T6_T7_T9_mT8_P12ihipStream_tbDpT10_ENKUlT_T0_E_clISt17integral_constantIbLb0EES19_EEDaS14_S15_EUlS14_E_NS1_11comp_targetILNS1_3genE0ELNS1_11target_archE4294967295ELNS1_3gpuE0ELNS1_3repE0EEENS1_30default_config_static_selectorELNS0_4arch9wavefront6targetE1EEEvT1_, .Lfunc_end2299-_ZN7rocprim17ROCPRIM_400000_NS6detail17trampoline_kernelINS0_14default_configENS1_25partition_config_selectorILNS1_17partition_subalgoE0EyNS0_10empty_typeEbEEZZNS1_14partition_implILS5_0ELb0ES3_jN6thrust23THRUST_200600_302600_NS6detail15normal_iteratorINSA_10device_ptrIyEEEEPS6_SG_NS0_5tupleIJNSA_16discard_iteratorINSA_11use_defaultEEESK_EEENSH_IJSG_SG_EEES6_PlJ7is_evenIyEEEE10hipError_tPvRmT3_T4_T5_T6_T7_T9_mT8_P12ihipStream_tbDpT10_ENKUlT_T0_E_clISt17integral_constantIbLb0EES19_EEDaS14_S15_EUlS14_E_NS1_11comp_targetILNS1_3genE0ELNS1_11target_archE4294967295ELNS1_3gpuE0ELNS1_3repE0EEENS1_30default_config_static_selectorELNS0_4arch9wavefront6targetE1EEEvT1_
                                        ; -- End function
	.section	.AMDGPU.csdata,"",@progbits
; Kernel info:
; codeLenInByte = 0
; NumSgprs: 4
; NumVgprs: 0
; NumAgprs: 0
; TotalNumVgprs: 0
; ScratchSize: 0
; MemoryBound: 0
; FloatMode: 240
; IeeeMode: 1
; LDSByteSize: 0 bytes/workgroup (compile time only)
; SGPRBlocks: 0
; VGPRBlocks: 0
; NumSGPRsForWavesPerEU: 4
; NumVGPRsForWavesPerEU: 1
; AccumOffset: 4
; Occupancy: 8
; WaveLimiterHint : 0
; COMPUTE_PGM_RSRC2:SCRATCH_EN: 0
; COMPUTE_PGM_RSRC2:USER_SGPR: 6
; COMPUTE_PGM_RSRC2:TRAP_HANDLER: 0
; COMPUTE_PGM_RSRC2:TGID_X_EN: 1
; COMPUTE_PGM_RSRC2:TGID_Y_EN: 0
; COMPUTE_PGM_RSRC2:TGID_Z_EN: 0
; COMPUTE_PGM_RSRC2:TIDIG_COMP_CNT: 0
; COMPUTE_PGM_RSRC3_GFX90A:ACCUM_OFFSET: 0
; COMPUTE_PGM_RSRC3_GFX90A:TG_SPLIT: 0
	.section	.text._ZN7rocprim17ROCPRIM_400000_NS6detail17trampoline_kernelINS0_14default_configENS1_25partition_config_selectorILNS1_17partition_subalgoE0EyNS0_10empty_typeEbEEZZNS1_14partition_implILS5_0ELb0ES3_jN6thrust23THRUST_200600_302600_NS6detail15normal_iteratorINSA_10device_ptrIyEEEEPS6_SG_NS0_5tupleIJNSA_16discard_iteratorINSA_11use_defaultEEESK_EEENSH_IJSG_SG_EEES6_PlJ7is_evenIyEEEE10hipError_tPvRmT3_T4_T5_T6_T7_T9_mT8_P12ihipStream_tbDpT10_ENKUlT_T0_E_clISt17integral_constantIbLb0EES19_EEDaS14_S15_EUlS14_E_NS1_11comp_targetILNS1_3genE5ELNS1_11target_archE942ELNS1_3gpuE9ELNS1_3repE0EEENS1_30default_config_static_selectorELNS0_4arch9wavefront6targetE1EEEvT1_,"axG",@progbits,_ZN7rocprim17ROCPRIM_400000_NS6detail17trampoline_kernelINS0_14default_configENS1_25partition_config_selectorILNS1_17partition_subalgoE0EyNS0_10empty_typeEbEEZZNS1_14partition_implILS5_0ELb0ES3_jN6thrust23THRUST_200600_302600_NS6detail15normal_iteratorINSA_10device_ptrIyEEEEPS6_SG_NS0_5tupleIJNSA_16discard_iteratorINSA_11use_defaultEEESK_EEENSH_IJSG_SG_EEES6_PlJ7is_evenIyEEEE10hipError_tPvRmT3_T4_T5_T6_T7_T9_mT8_P12ihipStream_tbDpT10_ENKUlT_T0_E_clISt17integral_constantIbLb0EES19_EEDaS14_S15_EUlS14_E_NS1_11comp_targetILNS1_3genE5ELNS1_11target_archE942ELNS1_3gpuE9ELNS1_3repE0EEENS1_30default_config_static_selectorELNS0_4arch9wavefront6targetE1EEEvT1_,comdat
	.protected	_ZN7rocprim17ROCPRIM_400000_NS6detail17trampoline_kernelINS0_14default_configENS1_25partition_config_selectorILNS1_17partition_subalgoE0EyNS0_10empty_typeEbEEZZNS1_14partition_implILS5_0ELb0ES3_jN6thrust23THRUST_200600_302600_NS6detail15normal_iteratorINSA_10device_ptrIyEEEEPS6_SG_NS0_5tupleIJNSA_16discard_iteratorINSA_11use_defaultEEESK_EEENSH_IJSG_SG_EEES6_PlJ7is_evenIyEEEE10hipError_tPvRmT3_T4_T5_T6_T7_T9_mT8_P12ihipStream_tbDpT10_ENKUlT_T0_E_clISt17integral_constantIbLb0EES19_EEDaS14_S15_EUlS14_E_NS1_11comp_targetILNS1_3genE5ELNS1_11target_archE942ELNS1_3gpuE9ELNS1_3repE0EEENS1_30default_config_static_selectorELNS0_4arch9wavefront6targetE1EEEvT1_ ; -- Begin function _ZN7rocprim17ROCPRIM_400000_NS6detail17trampoline_kernelINS0_14default_configENS1_25partition_config_selectorILNS1_17partition_subalgoE0EyNS0_10empty_typeEbEEZZNS1_14partition_implILS5_0ELb0ES3_jN6thrust23THRUST_200600_302600_NS6detail15normal_iteratorINSA_10device_ptrIyEEEEPS6_SG_NS0_5tupleIJNSA_16discard_iteratorINSA_11use_defaultEEESK_EEENSH_IJSG_SG_EEES6_PlJ7is_evenIyEEEE10hipError_tPvRmT3_T4_T5_T6_T7_T9_mT8_P12ihipStream_tbDpT10_ENKUlT_T0_E_clISt17integral_constantIbLb0EES19_EEDaS14_S15_EUlS14_E_NS1_11comp_targetILNS1_3genE5ELNS1_11target_archE942ELNS1_3gpuE9ELNS1_3repE0EEENS1_30default_config_static_selectorELNS0_4arch9wavefront6targetE1EEEvT1_
	.globl	_ZN7rocprim17ROCPRIM_400000_NS6detail17trampoline_kernelINS0_14default_configENS1_25partition_config_selectorILNS1_17partition_subalgoE0EyNS0_10empty_typeEbEEZZNS1_14partition_implILS5_0ELb0ES3_jN6thrust23THRUST_200600_302600_NS6detail15normal_iteratorINSA_10device_ptrIyEEEEPS6_SG_NS0_5tupleIJNSA_16discard_iteratorINSA_11use_defaultEEESK_EEENSH_IJSG_SG_EEES6_PlJ7is_evenIyEEEE10hipError_tPvRmT3_T4_T5_T6_T7_T9_mT8_P12ihipStream_tbDpT10_ENKUlT_T0_E_clISt17integral_constantIbLb0EES19_EEDaS14_S15_EUlS14_E_NS1_11comp_targetILNS1_3genE5ELNS1_11target_archE942ELNS1_3gpuE9ELNS1_3repE0EEENS1_30default_config_static_selectorELNS0_4arch9wavefront6targetE1EEEvT1_
	.p2align	8
	.type	_ZN7rocprim17ROCPRIM_400000_NS6detail17trampoline_kernelINS0_14default_configENS1_25partition_config_selectorILNS1_17partition_subalgoE0EyNS0_10empty_typeEbEEZZNS1_14partition_implILS5_0ELb0ES3_jN6thrust23THRUST_200600_302600_NS6detail15normal_iteratorINSA_10device_ptrIyEEEEPS6_SG_NS0_5tupleIJNSA_16discard_iteratorINSA_11use_defaultEEESK_EEENSH_IJSG_SG_EEES6_PlJ7is_evenIyEEEE10hipError_tPvRmT3_T4_T5_T6_T7_T9_mT8_P12ihipStream_tbDpT10_ENKUlT_T0_E_clISt17integral_constantIbLb0EES19_EEDaS14_S15_EUlS14_E_NS1_11comp_targetILNS1_3genE5ELNS1_11target_archE942ELNS1_3gpuE9ELNS1_3repE0EEENS1_30default_config_static_selectorELNS0_4arch9wavefront6targetE1EEEvT1_,@function
_ZN7rocprim17ROCPRIM_400000_NS6detail17trampoline_kernelINS0_14default_configENS1_25partition_config_selectorILNS1_17partition_subalgoE0EyNS0_10empty_typeEbEEZZNS1_14partition_implILS5_0ELb0ES3_jN6thrust23THRUST_200600_302600_NS6detail15normal_iteratorINSA_10device_ptrIyEEEEPS6_SG_NS0_5tupleIJNSA_16discard_iteratorINSA_11use_defaultEEESK_EEENSH_IJSG_SG_EEES6_PlJ7is_evenIyEEEE10hipError_tPvRmT3_T4_T5_T6_T7_T9_mT8_P12ihipStream_tbDpT10_ENKUlT_T0_E_clISt17integral_constantIbLb0EES19_EEDaS14_S15_EUlS14_E_NS1_11comp_targetILNS1_3genE5ELNS1_11target_archE942ELNS1_3gpuE9ELNS1_3repE0EEENS1_30default_config_static_selectorELNS0_4arch9wavefront6targetE1EEEvT1_: ; @_ZN7rocprim17ROCPRIM_400000_NS6detail17trampoline_kernelINS0_14default_configENS1_25partition_config_selectorILNS1_17partition_subalgoE0EyNS0_10empty_typeEbEEZZNS1_14partition_implILS5_0ELb0ES3_jN6thrust23THRUST_200600_302600_NS6detail15normal_iteratorINSA_10device_ptrIyEEEEPS6_SG_NS0_5tupleIJNSA_16discard_iteratorINSA_11use_defaultEEESK_EEENSH_IJSG_SG_EEES6_PlJ7is_evenIyEEEE10hipError_tPvRmT3_T4_T5_T6_T7_T9_mT8_P12ihipStream_tbDpT10_ENKUlT_T0_E_clISt17integral_constantIbLb0EES19_EEDaS14_S15_EUlS14_E_NS1_11comp_targetILNS1_3genE5ELNS1_11target_archE942ELNS1_3gpuE9ELNS1_3repE0EEENS1_30default_config_static_selectorELNS0_4arch9wavefront6targetE1EEEvT1_
; %bb.0:
	.section	.rodata,"a",@progbits
	.p2align	6, 0x0
	.amdhsa_kernel _ZN7rocprim17ROCPRIM_400000_NS6detail17trampoline_kernelINS0_14default_configENS1_25partition_config_selectorILNS1_17partition_subalgoE0EyNS0_10empty_typeEbEEZZNS1_14partition_implILS5_0ELb0ES3_jN6thrust23THRUST_200600_302600_NS6detail15normal_iteratorINSA_10device_ptrIyEEEEPS6_SG_NS0_5tupleIJNSA_16discard_iteratorINSA_11use_defaultEEESK_EEENSH_IJSG_SG_EEES6_PlJ7is_evenIyEEEE10hipError_tPvRmT3_T4_T5_T6_T7_T9_mT8_P12ihipStream_tbDpT10_ENKUlT_T0_E_clISt17integral_constantIbLb0EES19_EEDaS14_S15_EUlS14_E_NS1_11comp_targetILNS1_3genE5ELNS1_11target_archE942ELNS1_3gpuE9ELNS1_3repE0EEENS1_30default_config_static_selectorELNS0_4arch9wavefront6targetE1EEEvT1_
		.amdhsa_group_segment_fixed_size 0
		.amdhsa_private_segment_fixed_size 0
		.amdhsa_kernarg_size 136
		.amdhsa_user_sgpr_count 6
		.amdhsa_user_sgpr_private_segment_buffer 1
		.amdhsa_user_sgpr_dispatch_ptr 0
		.amdhsa_user_sgpr_queue_ptr 0
		.amdhsa_user_sgpr_kernarg_segment_ptr 1
		.amdhsa_user_sgpr_dispatch_id 0
		.amdhsa_user_sgpr_flat_scratch_init 0
		.amdhsa_user_sgpr_kernarg_preload_length 0
		.amdhsa_user_sgpr_kernarg_preload_offset 0
		.amdhsa_user_sgpr_private_segment_size 0
		.amdhsa_uses_dynamic_stack 0
		.amdhsa_system_sgpr_private_segment_wavefront_offset 0
		.amdhsa_system_sgpr_workgroup_id_x 1
		.amdhsa_system_sgpr_workgroup_id_y 0
		.amdhsa_system_sgpr_workgroup_id_z 0
		.amdhsa_system_sgpr_workgroup_info 0
		.amdhsa_system_vgpr_workitem_id 0
		.amdhsa_next_free_vgpr 1
		.amdhsa_next_free_sgpr 0
		.amdhsa_accum_offset 4
		.amdhsa_reserve_vcc 0
		.amdhsa_reserve_flat_scratch 0
		.amdhsa_float_round_mode_32 0
		.amdhsa_float_round_mode_16_64 0
		.amdhsa_float_denorm_mode_32 3
		.amdhsa_float_denorm_mode_16_64 3
		.amdhsa_dx10_clamp 1
		.amdhsa_ieee_mode 1
		.amdhsa_fp16_overflow 0
		.amdhsa_tg_split 0
		.amdhsa_exception_fp_ieee_invalid_op 0
		.amdhsa_exception_fp_denorm_src 0
		.amdhsa_exception_fp_ieee_div_zero 0
		.amdhsa_exception_fp_ieee_overflow 0
		.amdhsa_exception_fp_ieee_underflow 0
		.amdhsa_exception_fp_ieee_inexact 0
		.amdhsa_exception_int_div_zero 0
	.end_amdhsa_kernel
	.section	.text._ZN7rocprim17ROCPRIM_400000_NS6detail17trampoline_kernelINS0_14default_configENS1_25partition_config_selectorILNS1_17partition_subalgoE0EyNS0_10empty_typeEbEEZZNS1_14partition_implILS5_0ELb0ES3_jN6thrust23THRUST_200600_302600_NS6detail15normal_iteratorINSA_10device_ptrIyEEEEPS6_SG_NS0_5tupleIJNSA_16discard_iteratorINSA_11use_defaultEEESK_EEENSH_IJSG_SG_EEES6_PlJ7is_evenIyEEEE10hipError_tPvRmT3_T4_T5_T6_T7_T9_mT8_P12ihipStream_tbDpT10_ENKUlT_T0_E_clISt17integral_constantIbLb0EES19_EEDaS14_S15_EUlS14_E_NS1_11comp_targetILNS1_3genE5ELNS1_11target_archE942ELNS1_3gpuE9ELNS1_3repE0EEENS1_30default_config_static_selectorELNS0_4arch9wavefront6targetE1EEEvT1_,"axG",@progbits,_ZN7rocprim17ROCPRIM_400000_NS6detail17trampoline_kernelINS0_14default_configENS1_25partition_config_selectorILNS1_17partition_subalgoE0EyNS0_10empty_typeEbEEZZNS1_14partition_implILS5_0ELb0ES3_jN6thrust23THRUST_200600_302600_NS6detail15normal_iteratorINSA_10device_ptrIyEEEEPS6_SG_NS0_5tupleIJNSA_16discard_iteratorINSA_11use_defaultEEESK_EEENSH_IJSG_SG_EEES6_PlJ7is_evenIyEEEE10hipError_tPvRmT3_T4_T5_T6_T7_T9_mT8_P12ihipStream_tbDpT10_ENKUlT_T0_E_clISt17integral_constantIbLb0EES19_EEDaS14_S15_EUlS14_E_NS1_11comp_targetILNS1_3genE5ELNS1_11target_archE942ELNS1_3gpuE9ELNS1_3repE0EEENS1_30default_config_static_selectorELNS0_4arch9wavefront6targetE1EEEvT1_,comdat
.Lfunc_end2300:
	.size	_ZN7rocprim17ROCPRIM_400000_NS6detail17trampoline_kernelINS0_14default_configENS1_25partition_config_selectorILNS1_17partition_subalgoE0EyNS0_10empty_typeEbEEZZNS1_14partition_implILS5_0ELb0ES3_jN6thrust23THRUST_200600_302600_NS6detail15normal_iteratorINSA_10device_ptrIyEEEEPS6_SG_NS0_5tupleIJNSA_16discard_iteratorINSA_11use_defaultEEESK_EEENSH_IJSG_SG_EEES6_PlJ7is_evenIyEEEE10hipError_tPvRmT3_T4_T5_T6_T7_T9_mT8_P12ihipStream_tbDpT10_ENKUlT_T0_E_clISt17integral_constantIbLb0EES19_EEDaS14_S15_EUlS14_E_NS1_11comp_targetILNS1_3genE5ELNS1_11target_archE942ELNS1_3gpuE9ELNS1_3repE0EEENS1_30default_config_static_selectorELNS0_4arch9wavefront6targetE1EEEvT1_, .Lfunc_end2300-_ZN7rocprim17ROCPRIM_400000_NS6detail17trampoline_kernelINS0_14default_configENS1_25partition_config_selectorILNS1_17partition_subalgoE0EyNS0_10empty_typeEbEEZZNS1_14partition_implILS5_0ELb0ES3_jN6thrust23THRUST_200600_302600_NS6detail15normal_iteratorINSA_10device_ptrIyEEEEPS6_SG_NS0_5tupleIJNSA_16discard_iteratorINSA_11use_defaultEEESK_EEENSH_IJSG_SG_EEES6_PlJ7is_evenIyEEEE10hipError_tPvRmT3_T4_T5_T6_T7_T9_mT8_P12ihipStream_tbDpT10_ENKUlT_T0_E_clISt17integral_constantIbLb0EES19_EEDaS14_S15_EUlS14_E_NS1_11comp_targetILNS1_3genE5ELNS1_11target_archE942ELNS1_3gpuE9ELNS1_3repE0EEENS1_30default_config_static_selectorELNS0_4arch9wavefront6targetE1EEEvT1_
                                        ; -- End function
	.section	.AMDGPU.csdata,"",@progbits
; Kernel info:
; codeLenInByte = 0
; NumSgprs: 4
; NumVgprs: 0
; NumAgprs: 0
; TotalNumVgprs: 0
; ScratchSize: 0
; MemoryBound: 0
; FloatMode: 240
; IeeeMode: 1
; LDSByteSize: 0 bytes/workgroup (compile time only)
; SGPRBlocks: 0
; VGPRBlocks: 0
; NumSGPRsForWavesPerEU: 4
; NumVGPRsForWavesPerEU: 1
; AccumOffset: 4
; Occupancy: 8
; WaveLimiterHint : 0
; COMPUTE_PGM_RSRC2:SCRATCH_EN: 0
; COMPUTE_PGM_RSRC2:USER_SGPR: 6
; COMPUTE_PGM_RSRC2:TRAP_HANDLER: 0
; COMPUTE_PGM_RSRC2:TGID_X_EN: 1
; COMPUTE_PGM_RSRC2:TGID_Y_EN: 0
; COMPUTE_PGM_RSRC2:TGID_Z_EN: 0
; COMPUTE_PGM_RSRC2:TIDIG_COMP_CNT: 0
; COMPUTE_PGM_RSRC3_GFX90A:ACCUM_OFFSET: 0
; COMPUTE_PGM_RSRC3_GFX90A:TG_SPLIT: 0
	.section	.text._ZN7rocprim17ROCPRIM_400000_NS6detail17trampoline_kernelINS0_14default_configENS1_25partition_config_selectorILNS1_17partition_subalgoE0EyNS0_10empty_typeEbEEZZNS1_14partition_implILS5_0ELb0ES3_jN6thrust23THRUST_200600_302600_NS6detail15normal_iteratorINSA_10device_ptrIyEEEEPS6_SG_NS0_5tupleIJNSA_16discard_iteratorINSA_11use_defaultEEESK_EEENSH_IJSG_SG_EEES6_PlJ7is_evenIyEEEE10hipError_tPvRmT3_T4_T5_T6_T7_T9_mT8_P12ihipStream_tbDpT10_ENKUlT_T0_E_clISt17integral_constantIbLb0EES19_EEDaS14_S15_EUlS14_E_NS1_11comp_targetILNS1_3genE4ELNS1_11target_archE910ELNS1_3gpuE8ELNS1_3repE0EEENS1_30default_config_static_selectorELNS0_4arch9wavefront6targetE1EEEvT1_,"axG",@progbits,_ZN7rocprim17ROCPRIM_400000_NS6detail17trampoline_kernelINS0_14default_configENS1_25partition_config_selectorILNS1_17partition_subalgoE0EyNS0_10empty_typeEbEEZZNS1_14partition_implILS5_0ELb0ES3_jN6thrust23THRUST_200600_302600_NS6detail15normal_iteratorINSA_10device_ptrIyEEEEPS6_SG_NS0_5tupleIJNSA_16discard_iteratorINSA_11use_defaultEEESK_EEENSH_IJSG_SG_EEES6_PlJ7is_evenIyEEEE10hipError_tPvRmT3_T4_T5_T6_T7_T9_mT8_P12ihipStream_tbDpT10_ENKUlT_T0_E_clISt17integral_constantIbLb0EES19_EEDaS14_S15_EUlS14_E_NS1_11comp_targetILNS1_3genE4ELNS1_11target_archE910ELNS1_3gpuE8ELNS1_3repE0EEENS1_30default_config_static_selectorELNS0_4arch9wavefront6targetE1EEEvT1_,comdat
	.protected	_ZN7rocprim17ROCPRIM_400000_NS6detail17trampoline_kernelINS0_14default_configENS1_25partition_config_selectorILNS1_17partition_subalgoE0EyNS0_10empty_typeEbEEZZNS1_14partition_implILS5_0ELb0ES3_jN6thrust23THRUST_200600_302600_NS6detail15normal_iteratorINSA_10device_ptrIyEEEEPS6_SG_NS0_5tupleIJNSA_16discard_iteratorINSA_11use_defaultEEESK_EEENSH_IJSG_SG_EEES6_PlJ7is_evenIyEEEE10hipError_tPvRmT3_T4_T5_T6_T7_T9_mT8_P12ihipStream_tbDpT10_ENKUlT_T0_E_clISt17integral_constantIbLb0EES19_EEDaS14_S15_EUlS14_E_NS1_11comp_targetILNS1_3genE4ELNS1_11target_archE910ELNS1_3gpuE8ELNS1_3repE0EEENS1_30default_config_static_selectorELNS0_4arch9wavefront6targetE1EEEvT1_ ; -- Begin function _ZN7rocprim17ROCPRIM_400000_NS6detail17trampoline_kernelINS0_14default_configENS1_25partition_config_selectorILNS1_17partition_subalgoE0EyNS0_10empty_typeEbEEZZNS1_14partition_implILS5_0ELb0ES3_jN6thrust23THRUST_200600_302600_NS6detail15normal_iteratorINSA_10device_ptrIyEEEEPS6_SG_NS0_5tupleIJNSA_16discard_iteratorINSA_11use_defaultEEESK_EEENSH_IJSG_SG_EEES6_PlJ7is_evenIyEEEE10hipError_tPvRmT3_T4_T5_T6_T7_T9_mT8_P12ihipStream_tbDpT10_ENKUlT_T0_E_clISt17integral_constantIbLb0EES19_EEDaS14_S15_EUlS14_E_NS1_11comp_targetILNS1_3genE4ELNS1_11target_archE910ELNS1_3gpuE8ELNS1_3repE0EEENS1_30default_config_static_selectorELNS0_4arch9wavefront6targetE1EEEvT1_
	.globl	_ZN7rocprim17ROCPRIM_400000_NS6detail17trampoline_kernelINS0_14default_configENS1_25partition_config_selectorILNS1_17partition_subalgoE0EyNS0_10empty_typeEbEEZZNS1_14partition_implILS5_0ELb0ES3_jN6thrust23THRUST_200600_302600_NS6detail15normal_iteratorINSA_10device_ptrIyEEEEPS6_SG_NS0_5tupleIJNSA_16discard_iteratorINSA_11use_defaultEEESK_EEENSH_IJSG_SG_EEES6_PlJ7is_evenIyEEEE10hipError_tPvRmT3_T4_T5_T6_T7_T9_mT8_P12ihipStream_tbDpT10_ENKUlT_T0_E_clISt17integral_constantIbLb0EES19_EEDaS14_S15_EUlS14_E_NS1_11comp_targetILNS1_3genE4ELNS1_11target_archE910ELNS1_3gpuE8ELNS1_3repE0EEENS1_30default_config_static_selectorELNS0_4arch9wavefront6targetE1EEEvT1_
	.p2align	8
	.type	_ZN7rocprim17ROCPRIM_400000_NS6detail17trampoline_kernelINS0_14default_configENS1_25partition_config_selectorILNS1_17partition_subalgoE0EyNS0_10empty_typeEbEEZZNS1_14partition_implILS5_0ELb0ES3_jN6thrust23THRUST_200600_302600_NS6detail15normal_iteratorINSA_10device_ptrIyEEEEPS6_SG_NS0_5tupleIJNSA_16discard_iteratorINSA_11use_defaultEEESK_EEENSH_IJSG_SG_EEES6_PlJ7is_evenIyEEEE10hipError_tPvRmT3_T4_T5_T6_T7_T9_mT8_P12ihipStream_tbDpT10_ENKUlT_T0_E_clISt17integral_constantIbLb0EES19_EEDaS14_S15_EUlS14_E_NS1_11comp_targetILNS1_3genE4ELNS1_11target_archE910ELNS1_3gpuE8ELNS1_3repE0EEENS1_30default_config_static_selectorELNS0_4arch9wavefront6targetE1EEEvT1_,@function
_ZN7rocprim17ROCPRIM_400000_NS6detail17trampoline_kernelINS0_14default_configENS1_25partition_config_selectorILNS1_17partition_subalgoE0EyNS0_10empty_typeEbEEZZNS1_14partition_implILS5_0ELb0ES3_jN6thrust23THRUST_200600_302600_NS6detail15normal_iteratorINSA_10device_ptrIyEEEEPS6_SG_NS0_5tupleIJNSA_16discard_iteratorINSA_11use_defaultEEESK_EEENSH_IJSG_SG_EEES6_PlJ7is_evenIyEEEE10hipError_tPvRmT3_T4_T5_T6_T7_T9_mT8_P12ihipStream_tbDpT10_ENKUlT_T0_E_clISt17integral_constantIbLb0EES19_EEDaS14_S15_EUlS14_E_NS1_11comp_targetILNS1_3genE4ELNS1_11target_archE910ELNS1_3gpuE8ELNS1_3repE0EEENS1_30default_config_static_selectorELNS0_4arch9wavefront6targetE1EEEvT1_: ; @_ZN7rocprim17ROCPRIM_400000_NS6detail17trampoline_kernelINS0_14default_configENS1_25partition_config_selectorILNS1_17partition_subalgoE0EyNS0_10empty_typeEbEEZZNS1_14partition_implILS5_0ELb0ES3_jN6thrust23THRUST_200600_302600_NS6detail15normal_iteratorINSA_10device_ptrIyEEEEPS6_SG_NS0_5tupleIJNSA_16discard_iteratorINSA_11use_defaultEEESK_EEENSH_IJSG_SG_EEES6_PlJ7is_evenIyEEEE10hipError_tPvRmT3_T4_T5_T6_T7_T9_mT8_P12ihipStream_tbDpT10_ENKUlT_T0_E_clISt17integral_constantIbLb0EES19_EEDaS14_S15_EUlS14_E_NS1_11comp_targetILNS1_3genE4ELNS1_11target_archE910ELNS1_3gpuE8ELNS1_3repE0EEENS1_30default_config_static_selectorELNS0_4arch9wavefront6targetE1EEEvT1_
; %bb.0:
	s_load_dwordx2 s[8:9], s[4:5], 0x68
	s_load_dwordx4 s[0:3], s[4:5], 0x8
	s_load_dwordx4 s[20:23], s[4:5], 0x58
	s_load_dword s7, s[4:5], 0x80
	v_lshlrev_b32_e32 v1, 3, v0
	s_waitcnt lgkmcnt(0)
	v_mov_b32_e32 v3, s9
	s_lshl_b64 s[10:11], s[2:3], 3
	s_add_u32 s9, s0, s10
	s_mul_i32 s0, s7, 0x300
	s_addc_u32 s12, s1, s11
	s_add_i32 s1, s0, s2
	s_add_i32 s13, s7, -1
	s_sub_i32 s7, s8, s1
	s_add_u32 s0, s2, s0
	s_addc_u32 s1, s3, 0
	s_cmp_eq_u32 s6, s13
	v_mov_b32_e32 v2, s8
	s_load_dwordx2 s[18:19], s[22:23], 0x0
	s_cselect_b64 s[22:23], -1, 0
	s_cmp_lg_u32 s6, s13
	s_mul_i32 s10, s6, 0x300
	s_mov_b32 s11, 0
	v_cmp_lt_u64_e32 vcc, s[0:1], v[2:3]
	s_cselect_b64 s[0:1], -1, 0
	s_or_b64 s[0:1], s[0:1], vcc
	s_lshl_b64 s[2:3], s[10:11], 3
	s_add_u32 s8, s9, s2
	s_addc_u32 s9, s12, s3
	s_mov_b64 s[2:3], -1
	s_and_b64 vcc, exec, s[0:1]
	v_lshrrev_b32_e32 v10, 2, v0
	s_cbranch_vccz .LBB2301_2
; %bb.1:
	v_mov_b32_e32 v3, s9
	v_add_co_u32_e32 v2, vcc, s8, v1
	v_addc_co_u32_e32 v3, vcc, 0, v3, vcc
	v_add_co_u32_e32 v4, vcc, 0x1000, v2
	v_addc_co_u32_e32 v5, vcc, 0, v3, vcc
	flat_load_dwordx2 v[6:7], v[2:3]
	flat_load_dwordx2 v[8:9], v[2:3] offset:1536
	flat_load_dwordx2 v[12:13], v[2:3] offset:3072
	;; [unrolled: 1-line block ×3, first 2 shown]
	v_add_u32_e32 v3, 0xc0, v0
	v_add_u32_e32 v4, 0x180, v0
	;; [unrolled: 1-line block ×3, first 2 shown]
	v_and_b32_e32 v2, 56, v10
	v_lshrrev_b32_e32 v3, 2, v3
	v_lshrrev_b32_e32 v4, 2, v4
	v_lshrrev_b32_e32 v5, 2, v5
	v_add_u32_e32 v2, v2, v1
	v_and_b32_e32 v3, 0x78, v3
	v_and_b32_e32 v4, 0xf8, v4
	;; [unrolled: 1-line block ×3, first 2 shown]
	v_add_u32_e32 v3, v3, v1
	v_add_u32_e32 v4, v4, v1
	;; [unrolled: 1-line block ×3, first 2 shown]
	s_mov_b64 s[2:3], 0
	s_waitcnt vmcnt(0) lgkmcnt(0)
	ds_write_b64 v2, v[6:7]
	ds_write_b64 v3, v[8:9] offset:1536
	ds_write_b64 v4, v[12:13] offset:3072
	;; [unrolled: 1-line block ×3, first 2 shown]
	s_waitcnt lgkmcnt(0)
	s_barrier
.LBB2301_2:
	s_andn2_b64 vcc, exec, s[2:3]
	s_addk_i32 s7, 0x300
	s_cbranch_vccnz .LBB2301_12
; %bb.3:
	v_cmp_gt_u32_e32 vcc, s7, v0
                                        ; implicit-def: $vgpr2_vgpr3_vgpr4_vgpr5_vgpr6_vgpr7_vgpr8_vgpr9
	s_and_saveexec_b64 s[2:3], vcc
	s_cbranch_execz .LBB2301_5
; %bb.4:
	v_mov_b32_e32 v3, s9
	v_add_co_u32_e32 v2, vcc, s8, v1
	v_addc_co_u32_e32 v3, vcc, 0, v3, vcc
	flat_load_dwordx2 v[2:3], v[2:3]
.LBB2301_5:
	s_or_b64 exec, exec, s[2:3]
	v_add_u32_e32 v11, 0xc0, v0
	v_cmp_gt_u32_e32 vcc, s7, v11
	s_and_saveexec_b64 s[2:3], vcc
	s_cbranch_execz .LBB2301_7
; %bb.6:
	v_mov_b32_e32 v5, s9
	v_add_co_u32_e32 v4, vcc, s8, v1
	v_addc_co_u32_e32 v5, vcc, 0, v5, vcc
	flat_load_dwordx2 v[4:5], v[4:5] offset:1536
.LBB2301_7:
	s_or_b64 exec, exec, s[2:3]
	v_add_u32_e32 v12, 0x180, v0
	v_cmp_gt_u32_e32 vcc, s7, v12
	s_and_saveexec_b64 s[2:3], vcc
	s_cbranch_execz .LBB2301_9
; %bb.8:
	v_mov_b32_e32 v7, s9
	v_add_co_u32_e32 v6, vcc, s8, v1
	v_addc_co_u32_e32 v7, vcc, 0, v7, vcc
	flat_load_dwordx2 v[6:7], v[6:7] offset:3072
.LBB2301_9:
	s_or_b64 exec, exec, s[2:3]
	v_add_u32_e32 v13, 0x240, v0
	v_cmp_gt_u32_e32 vcc, s7, v13
	s_and_saveexec_b64 s[2:3], vcc
	s_cbranch_execz .LBB2301_11
; %bb.10:
	v_lshlrev_b32_e32 v8, 3, v13
	v_mov_b32_e32 v9, s9
	v_add_co_u32_e32 v8, vcc, s8, v8
	v_addc_co_u32_e32 v9, vcc, 0, v9, vcc
	flat_load_dwordx2 v[8:9], v[8:9]
.LBB2301_11:
	s_or_b64 exec, exec, s[2:3]
	v_and_b32_e32 v10, 56, v10
	v_add_u32_e32 v10, v10, v1
	s_waitcnt vmcnt(0) lgkmcnt(0)
	ds_write_b64 v10, v[2:3]
	v_lshrrev_b32_e32 v2, 2, v11
	v_and_b32_e32 v2, 0x78, v2
	v_add_u32_e32 v2, v2, v1
	ds_write_b64 v2, v[4:5] offset:1536
	v_lshrrev_b32_e32 v2, 2, v12
	v_and_b32_e32 v2, 0xf8, v2
	v_add_u32_e32 v2, v2, v1
	ds_write_b64 v2, v[6:7] offset:3072
	;; [unrolled: 4-line block ×3, first 2 shown]
	s_waitcnt lgkmcnt(0)
	s_barrier
.LBB2301_12:
	v_lshlrev_b32_e32 v1, 2, v0
	v_lshrrev_b32_e32 v2, 3, v0
	v_add_lshl_u32 v2, v2, v1, 3
	s_waitcnt lgkmcnt(0)
	ds_read2_b64 v[6:9], v2 offset1:1
	ds_read2_b64 v[2:5], v2 offset0:2 offset1:3
	s_andn2_b64 vcc, exec, s[0:1]
	s_waitcnt lgkmcnt(0)
	s_barrier
	v_xor_b32_e32 v13, -1, v6
	v_xor_b32_e32 v12, -1, v8
	;; [unrolled: 1-line block ×4, first 2 shown]
	s_cbranch_vccnz .LBB2301_14
; %bb.13:
	v_mov_b32_e32 v15, 1
	v_and_b32_e32 v14, 1, v13
	v_and_b32_sdwa v16, v12, v15 dst_sel:BYTE_1 dst_unused:UNUSED_PAD src0_sel:DWORD src1_sel:DWORD
	v_and_b32_e32 v17, 1, v11
	v_and_b32_sdwa v15, v10, v15 dst_sel:BYTE_1 dst_unused:UNUSED_PAD src0_sel:DWORD src1_sel:DWORD
	v_or_b32_e32 v14, v14, v16
	v_or_b32_sdwa v15, v17, v15 dst_sel:WORD_1 dst_unused:UNUSED_PAD src0_sel:DWORD src1_sel:DWORD
	v_or_b32_sdwa v20, v14, v15 dst_sel:DWORD dst_unused:UNUSED_PAD src0_sel:WORD_0 src1_sel:DWORD
	s_load_dwordx2 s[24:25], s[4:5], 0x78
	s_cbranch_execz .LBB2301_15
	s_branch .LBB2301_16
.LBB2301_14:
                                        ; implicit-def: $vgpr20
	s_load_dwordx2 s[24:25], s[4:5], 0x78
.LBB2301_15:
	v_cmp_gt_u32_e32 vcc, s7, v1
	v_cndmask_b32_e64 v14, 0, 1, vcc
	v_and_b32_e32 v13, v14, v13
	v_or_b32_e32 v14, 1, v1
	v_cmp_gt_u32_e32 vcc, s7, v14
	v_cndmask_b32_e64 v14, 0, 1, vcc
	v_and_b32_sdwa v12, v14, v12 dst_sel:BYTE_1 dst_unused:UNUSED_PAD src0_sel:DWORD src1_sel:DWORD
	v_or_b32_e32 v14, 2, v1
	v_cmp_gt_u32_e32 vcc, s7, v14
	v_cndmask_b32_e64 v14, 0, 1, vcc
	v_and_b32_e32 v11, v14, v11
	v_or_b32_e32 v14, 3, v1
	v_cmp_gt_u32_e32 vcc, s7, v14
	v_cndmask_b32_e64 v14, 0, 1, vcc
	v_and_b32_sdwa v10, v14, v10 dst_sel:BYTE_1 dst_unused:UNUSED_PAD src0_sel:DWORD src1_sel:DWORD
	v_or_b32_e32 v12, v13, v12
	v_or_b32_sdwa v10, v11, v10 dst_sel:WORD_1 dst_unused:UNUSED_PAD src0_sel:DWORD src1_sel:DWORD
	v_or_b32_sdwa v20, v12, v10 dst_sel:DWORD dst_unused:UNUSED_PAD src0_sel:WORD_0 src1_sel:DWORD
.LBB2301_16:
	v_bfe_u32 v22, v20, 16, 8
	v_lshrrev_b32_e32 v21, 24, v20
	v_add_u32_sdwa v10, v20, v20 dst_sel:DWORD dst_unused:UNUSED_PAD src0_sel:BYTE_1 src1_sel:BYTE_0
	v_add3_u32 v25, v10, v22, v21
	v_mbcnt_lo_u32_b32 v10, -1, 0
	v_mbcnt_hi_u32_b32 v23, -1, v10
	v_and_b32_e32 v10, 15, v23
	v_cmp_eq_u32_e64 s[12:13], 0, v10
	v_cmp_lt_u32_e64 s[10:11], 1, v10
	v_cmp_lt_u32_e64 s[8:9], 3, v10
	;; [unrolled: 1-line block ×3, first 2 shown]
	v_and_b32_e32 v10, 16, v23
	v_cmp_eq_u32_e64 s[2:3], 0, v10
	v_and_b32_e32 v10, 0xc0, v0
	v_min_u32_e32 v10, 0x80, v10
	v_or_b32_e32 v10, 63, v10
	s_cmp_lg_u32 s6, 0
	v_cmp_lt_u32_e64 s[0:1], 31, v23
	v_lshrrev_b32_e32 v24, 6, v0
	v_cmp_eq_u32_e64 s[4:5], v10, v0
	s_cbranch_scc0 .LBB2301_43
; %bb.17:
	v_mov_b32_dpp v10, v25 row_shr:1 row_mask:0xf bank_mask:0xf
	v_cndmask_b32_e64 v10, v10, 0, s[12:13]
	v_add_u32_e32 v10, v10, v25
	s_nop 1
	v_mov_b32_dpp v11, v10 row_shr:2 row_mask:0xf bank_mask:0xf
	v_cndmask_b32_e64 v11, 0, v11, s[10:11]
	v_add_u32_e32 v10, v10, v11
	s_nop 1
	v_mov_b32_dpp v11, v10 row_shr:4 row_mask:0xf bank_mask:0xf
	v_cndmask_b32_e64 v11, 0, v11, s[8:9]
	v_add_u32_e32 v10, v10, v11
	s_nop 1
	v_mov_b32_dpp v11, v10 row_shr:8 row_mask:0xf bank_mask:0xf
	v_cndmask_b32_e64 v11, 0, v11, s[16:17]
	v_add_u32_e32 v10, v10, v11
	s_nop 1
	v_mov_b32_dpp v11, v10 row_bcast:15 row_mask:0xf bank_mask:0xf
	v_cndmask_b32_e64 v11, v11, 0, s[2:3]
	v_add_u32_e32 v10, v10, v11
	s_nop 1
	v_mov_b32_dpp v11, v10 row_bcast:31 row_mask:0xf bank_mask:0xf
	v_cndmask_b32_e64 v11, 0, v11, s[0:1]
	v_add_u32_e32 v10, v10, v11
	s_and_saveexec_b64 s[14:15], s[4:5]
	s_cbranch_execz .LBB2301_19
; %bb.18:
	v_lshlrev_b32_e32 v11, 2, v24
	ds_write_b32 v11, v10
.LBB2301_19:
	s_or_b64 exec, exec, s[14:15]
	v_cmp_gt_u32_e32 vcc, 3, v0
	s_waitcnt lgkmcnt(0)
	s_barrier
	s_and_saveexec_b64 s[14:15], vcc
	s_cbranch_execz .LBB2301_21
; %bb.20:
	ds_read_b32 v11, v1
	v_and_b32_e32 v12, 3, v23
	v_cmp_ne_u32_e32 vcc, 0, v12
	s_waitcnt lgkmcnt(0)
	v_mov_b32_dpp v13, v11 row_shr:1 row_mask:0xf bank_mask:0xf
	v_cndmask_b32_e32 v13, 0, v13, vcc
	v_add_u32_e32 v11, v13, v11
	v_cmp_lt_u32_e32 vcc, 1, v12
	s_nop 0
	v_mov_b32_dpp v13, v11 row_shr:2 row_mask:0xf bank_mask:0xf
	v_cndmask_b32_e32 v12, 0, v13, vcc
	v_add_u32_e32 v11, v11, v12
	ds_write_b32 v1, v11
.LBB2301_21:
	s_or_b64 exec, exec, s[14:15]
	v_cmp_gt_u32_e32 vcc, 64, v0
	v_cmp_lt_u32_e64 s[14:15], 63, v0
	s_waitcnt lgkmcnt(0)
	s_barrier
	s_waitcnt lgkmcnt(0)
                                        ; implicit-def: $vgpr26
	s_and_saveexec_b64 s[26:27], s[14:15]
	s_cbranch_execz .LBB2301_23
; %bb.22:
	v_lshl_add_u32 v11, v24, 2, -4
	ds_read_b32 v26, v11
	s_waitcnt lgkmcnt(0)
	v_add_u32_e32 v10, v26, v10
.LBB2301_23:
	s_or_b64 exec, exec, s[26:27]
	v_add_u32_e32 v11, -1, v23
	v_and_b32_e32 v12, 64, v23
	v_cmp_lt_i32_e64 s[14:15], v11, v12
	v_cndmask_b32_e64 v11, v11, v23, s[14:15]
	v_lshlrev_b32_e32 v11, 2, v11
	ds_bpermute_b32 v27, v11, v10
	v_cmp_eq_u32_e64 s[14:15], 0, v23
	s_and_saveexec_b64 s[26:27], vcc
	s_cbranch_execz .LBB2301_42
; %bb.24:
	v_mov_b32_e32 v17, 0
	ds_read_b32 v10, v17 offset:8
	s_and_saveexec_b64 s[28:29], s[14:15]
	s_cbranch_execz .LBB2301_26
; %bb.25:
	s_add_i32 s30, s6, 64
	s_mov_b32 s31, 0
	s_lshl_b64 s[30:31], s[30:31], 3
	s_add_u32 s30, s24, s30
	v_mov_b32_e32 v11, 1
	s_addc_u32 s31, s25, s31
	s_waitcnt lgkmcnt(0)
	global_store_dwordx2 v17, v[10:11], s[30:31]
.LBB2301_26:
	s_or_b64 exec, exec, s[28:29]
	v_xad_u32 v12, v23, -1, s6
	v_add_u32_e32 v16, 64, v12
	v_lshlrev_b64 v[14:15], 3, v[16:17]
	v_mov_b32_e32 v11, s25
	v_add_co_u32_e32 v18, vcc, s24, v14
	v_addc_co_u32_e32 v19, vcc, v11, v15, vcc
	global_load_dwordx2 v[14:15], v[18:19], off glc
	s_waitcnt vmcnt(0)
	v_cmp_eq_u16_sdwa s[30:31], v15, v17 src0_sel:BYTE_0 src1_sel:DWORD
	s_and_saveexec_b64 s[28:29], s[30:31]
	s_cbranch_execz .LBB2301_30
; %bb.27:
	s_mov_b64 s[30:31], 0
	v_mov_b32_e32 v11, 0
.LBB2301_28:                            ; =>This Inner Loop Header: Depth=1
	global_load_dwordx2 v[14:15], v[18:19], off glc
	s_waitcnt vmcnt(0)
	v_cmp_ne_u16_sdwa s[34:35], v15, v11 src0_sel:BYTE_0 src1_sel:DWORD
	s_or_b64 s[30:31], s[34:35], s[30:31]
	s_andn2_b64 exec, exec, s[30:31]
	s_cbranch_execnz .LBB2301_28
; %bb.29:
	s_or_b64 exec, exec, s[30:31]
.LBB2301_30:
	s_or_b64 exec, exec, s[28:29]
	v_and_b32_e32 v29, 63, v23
	v_mov_b32_e32 v28, 2
	v_cmp_ne_u32_e32 vcc, 63, v29
	v_cmp_eq_u16_sdwa s[28:29], v15, v28 src0_sel:BYTE_0 src1_sel:DWORD
	v_lshlrev_b64 v[16:17], v23, -1
	v_addc_co_u32_e32 v18, vcc, 0, v23, vcc
	v_and_b32_e32 v11, s29, v17
	v_lshlrev_b32_e32 v30, 2, v18
	v_or_b32_e32 v11, 0x80000000, v11
	ds_bpermute_b32 v18, v30, v14
	v_and_b32_e32 v13, s28, v16
	v_ffbl_b32_e32 v11, v11
	v_add_u32_e32 v11, 32, v11
	v_ffbl_b32_e32 v13, v13
	v_min_u32_e32 v11, v13, v11
	v_cmp_lt_u32_e32 vcc, v29, v11
	s_waitcnt lgkmcnt(0)
	v_cndmask_b32_e32 v13, 0, v18, vcc
	v_cmp_gt_u32_e32 vcc, 62, v29
	v_add_u32_e32 v13, v13, v14
	v_cndmask_b32_e64 v14, 0, 1, vcc
	v_lshlrev_b32_e32 v14, 1, v14
	v_add_lshl_u32 v31, v14, v23, 2
	ds_bpermute_b32 v14, v31, v13
	v_add_u32_e32 v32, 2, v29
	v_cmp_le_u32_e32 vcc, v32, v11
	v_add_u32_e32 v34, 4, v29
	v_add_u32_e32 v36, 8, v29
	s_waitcnt lgkmcnt(0)
	v_cndmask_b32_e32 v14, 0, v14, vcc
	v_cmp_gt_u32_e32 vcc, 60, v29
	v_add_u32_e32 v13, v13, v14
	v_cndmask_b32_e64 v14, 0, 1, vcc
	v_lshlrev_b32_e32 v14, 2, v14
	v_add_lshl_u32 v33, v14, v23, 2
	ds_bpermute_b32 v14, v33, v13
	v_cmp_le_u32_e32 vcc, v34, v11
	v_add_u32_e32 v38, 16, v29
	v_add_u32_e32 v40, 32, v29
	s_waitcnt lgkmcnt(0)
	v_cndmask_b32_e32 v14, 0, v14, vcc
	v_cmp_gt_u32_e32 vcc, 56, v29
	v_add_u32_e32 v13, v13, v14
	v_cndmask_b32_e64 v14, 0, 1, vcc
	v_lshlrev_b32_e32 v14, 3, v14
	v_add_lshl_u32 v35, v14, v23, 2
	ds_bpermute_b32 v14, v35, v13
	v_cmp_le_u32_e32 vcc, v36, v11
	s_waitcnt lgkmcnt(0)
	v_cndmask_b32_e32 v14, 0, v14, vcc
	v_cmp_gt_u32_e32 vcc, 48, v29
	v_add_u32_e32 v13, v13, v14
	v_cndmask_b32_e64 v14, 0, 1, vcc
	v_lshlrev_b32_e32 v14, 4, v14
	v_add_lshl_u32 v37, v14, v23, 2
	ds_bpermute_b32 v14, v37, v13
	v_cmp_le_u32_e32 vcc, v38, v11
	;; [unrolled: 9-line block ×3, first 2 shown]
	s_waitcnt lgkmcnt(0)
	v_cndmask_b32_e32 v11, 0, v14, vcc
	v_add_u32_e32 v14, v13, v11
	v_mov_b32_e32 v13, 0
	s_branch .LBB2301_32
.LBB2301_31:                            ;   in Loop: Header=BB2301_32 Depth=1
	s_or_b64 exec, exec, s[28:29]
	v_cmp_eq_u16_sdwa s[28:29], v15, v28 src0_sel:BYTE_0 src1_sel:DWORD
	v_and_b32_e32 v18, s29, v17
	v_or_b32_e32 v18, 0x80000000, v18
	ds_bpermute_b32 v41, v30, v14
	v_and_b32_e32 v19, s28, v16
	v_ffbl_b32_e32 v18, v18
	v_add_u32_e32 v18, 32, v18
	v_ffbl_b32_e32 v19, v19
	v_min_u32_e32 v18, v19, v18
	v_cmp_lt_u32_e32 vcc, v29, v18
	s_waitcnt lgkmcnt(0)
	v_cndmask_b32_e32 v19, 0, v41, vcc
	v_add_u32_e32 v14, v19, v14
	ds_bpermute_b32 v19, v31, v14
	v_cmp_le_u32_e32 vcc, v32, v18
	v_subrev_u32_e32 v12, 64, v12
	s_waitcnt lgkmcnt(0)
	v_cndmask_b32_e32 v19, 0, v19, vcc
	v_add_u32_e32 v14, v14, v19
	ds_bpermute_b32 v19, v33, v14
	v_cmp_le_u32_e32 vcc, v34, v18
	s_waitcnt lgkmcnt(0)
	v_cndmask_b32_e32 v19, 0, v19, vcc
	v_add_u32_e32 v14, v14, v19
	ds_bpermute_b32 v19, v35, v14
	v_cmp_le_u32_e32 vcc, v36, v18
	;; [unrolled: 5-line block ×4, first 2 shown]
	s_waitcnt lgkmcnt(0)
	v_cndmask_b32_e32 v18, 0, v19, vcc
	v_add3_u32 v14, v18, v11, v14
.LBB2301_32:                            ; =>This Loop Header: Depth=1
                                        ;     Child Loop BB2301_35 Depth 2
	v_cmp_ne_u16_sdwa s[28:29], v15, v28 src0_sel:BYTE_0 src1_sel:DWORD
	v_cndmask_b32_e64 v11, 0, 1, s[28:29]
	;;#ASMSTART
	;;#ASMEND
	v_cmp_ne_u32_e32 vcc, 0, v11
	s_cmp_lg_u64 vcc, exec
	v_mov_b32_e32 v11, v14
	s_cbranch_scc1 .LBB2301_37
; %bb.33:                               ;   in Loop: Header=BB2301_32 Depth=1
	v_lshlrev_b64 v[14:15], 3, v[12:13]
	v_mov_b32_e32 v19, s25
	v_add_co_u32_e32 v18, vcc, s24, v14
	v_addc_co_u32_e32 v19, vcc, v19, v15, vcc
	global_load_dwordx2 v[14:15], v[18:19], off glc
	s_waitcnt vmcnt(0)
	v_cmp_eq_u16_sdwa s[30:31], v15, v13 src0_sel:BYTE_0 src1_sel:DWORD
	s_and_saveexec_b64 s[28:29], s[30:31]
	s_cbranch_execz .LBB2301_31
; %bb.34:                               ;   in Loop: Header=BB2301_32 Depth=1
	s_mov_b64 s[30:31], 0
.LBB2301_35:                            ;   Parent Loop BB2301_32 Depth=1
                                        ; =>  This Inner Loop Header: Depth=2
	global_load_dwordx2 v[14:15], v[18:19], off glc
	s_waitcnt vmcnt(0)
	v_cmp_ne_u16_sdwa s[34:35], v15, v13 src0_sel:BYTE_0 src1_sel:DWORD
	s_or_b64 s[30:31], s[34:35], s[30:31]
	s_andn2_b64 exec, exec, s[30:31]
	s_cbranch_execnz .LBB2301_35
; %bb.36:                               ;   in Loop: Header=BB2301_32 Depth=1
	s_or_b64 exec, exec, s[30:31]
	s_branch .LBB2301_31
.LBB2301_37:                            ;   in Loop: Header=BB2301_32 Depth=1
                                        ; implicit-def: $vgpr14
                                        ; implicit-def: $vgpr15
	s_cbranch_execz .LBB2301_32
; %bb.38:
	s_and_saveexec_b64 s[28:29], s[14:15]
	s_cbranch_execz .LBB2301_40
; %bb.39:
	s_add_i32 s6, s6, 64
	s_mov_b32 s7, 0
	s_lshl_b64 s[6:7], s[6:7], 3
	s_add_u32 s6, s24, s6
	v_add_u32_e32 v12, v11, v10
	v_mov_b32_e32 v13, 2
	s_addc_u32 s7, s25, s7
	v_mov_b32_e32 v14, 0
	global_store_dwordx2 v14, v[12:13], s[6:7]
	ds_write_b64 v14, v[10:11] offset:6336
.LBB2301_40:
	s_or_b64 exec, exec, s[28:29]
	v_cmp_eq_u32_e32 vcc, 0, v0
	s_and_b64 exec, exec, vcc
	s_cbranch_execz .LBB2301_42
; %bb.41:
	v_mov_b32_e32 v10, 0
	ds_write_b32 v10, v11 offset:8
.LBB2301_42:
	s_or_b64 exec, exec, s[26:27]
	v_mov_b32_e32 v10, 0
	s_waitcnt lgkmcnt(0)
	s_barrier
	ds_read_b32 v11, v10 offset:8
	v_cndmask_b32_e64 v12, v27, v26, s[14:15]
	v_cmp_ne_u32_e32 vcc, 0, v0
	v_cndmask_b32_e32 v12, 0, v12, vcc
	s_waitcnt lgkmcnt(0)
	v_add_u32_e32 v14, v11, v12
	s_barrier
	ds_read_b64 v[10:11], v10 offset:6336
	v_add_u32_sdwa v15, v14, v20 dst_sel:DWORD dst_unused:UNUSED_PAD src0_sel:DWORD src1_sel:BYTE_0
	v_add_u32_sdwa v13, v15, v20 dst_sel:DWORD dst_unused:UNUSED_PAD src0_sel:DWORD src1_sel:BYTE_1
	v_add_u32_e32 v12, v13, v22
	s_branch .LBB2301_53
.LBB2301_43:
                                        ; implicit-def: $vgpr11
                                        ; implicit-def: $vgpr12
                                        ; implicit-def: $vgpr13
                                        ; implicit-def: $vgpr15
                                        ; implicit-def: $vgpr14
	s_cbranch_execz .LBB2301_53
; %bb.44:
	s_waitcnt lgkmcnt(0)
	v_mov_b32_dpp v10, v25 row_shr:1 row_mask:0xf bank_mask:0xf
	v_cndmask_b32_e64 v10, v10, 0, s[12:13]
	v_add_u32_e32 v10, v10, v25
	s_nop 1
	v_mov_b32_dpp v11, v10 row_shr:2 row_mask:0xf bank_mask:0xf
	v_cndmask_b32_e64 v11, 0, v11, s[10:11]
	v_add_u32_e32 v10, v10, v11
	s_nop 1
	;; [unrolled: 4-line block ×4, first 2 shown]
	v_mov_b32_dpp v11, v10 row_bcast:15 row_mask:0xf bank_mask:0xf
	v_cndmask_b32_e64 v11, v11, 0, s[2:3]
	v_add_u32_e32 v10, v10, v11
	s_nop 1
	v_mov_b32_dpp v11, v10 row_bcast:31 row_mask:0xf bank_mask:0xf
	v_cndmask_b32_e64 v11, 0, v11, s[0:1]
	v_add_u32_e32 v10, v10, v11
	s_and_saveexec_b64 s[0:1], s[4:5]
	s_cbranch_execz .LBB2301_46
; %bb.45:
	v_lshlrev_b32_e32 v11, 2, v24
	ds_write_b32 v11, v10
.LBB2301_46:
	s_or_b64 exec, exec, s[0:1]
	v_cmp_gt_u32_e32 vcc, 3, v0
	s_waitcnt lgkmcnt(0)
	s_barrier
	s_and_saveexec_b64 s[0:1], vcc
	s_cbranch_execz .LBB2301_48
; %bb.47:
	ds_read_b32 v11, v1
	v_and_b32_e32 v12, 3, v23
	v_cmp_ne_u32_e32 vcc, 0, v12
	s_waitcnt lgkmcnt(0)
	v_mov_b32_dpp v13, v11 row_shr:1 row_mask:0xf bank_mask:0xf
	v_cndmask_b32_e32 v13, 0, v13, vcc
	v_add_u32_e32 v11, v13, v11
	v_cmp_lt_u32_e32 vcc, 1, v12
	s_nop 0
	v_mov_b32_dpp v13, v11 row_shr:2 row_mask:0xf bank_mask:0xf
	v_cndmask_b32_e32 v12, 0, v13, vcc
	v_add_u32_e32 v11, v11, v12
	ds_write_b32 v1, v11
.LBB2301_48:
	s_or_b64 exec, exec, s[0:1]
	v_cmp_lt_u32_e32 vcc, 63, v0
	v_mov_b32_e32 v11, 0
	v_mov_b32_e32 v12, 0
	s_waitcnt lgkmcnt(0)
	s_barrier
	s_and_saveexec_b64 s[0:1], vcc
	s_cbranch_execz .LBB2301_50
; %bb.49:
	v_lshl_add_u32 v12, v24, 2, -4
	ds_read_b32 v12, v12
.LBB2301_50:
	s_or_b64 exec, exec, s[0:1]
	v_add_u32_e32 v13, -1, v23
	v_and_b32_e32 v14, 64, v23
	v_cmp_lt_i32_e32 vcc, v13, v14
	v_cndmask_b32_e32 v13, v13, v23, vcc
	s_waitcnt lgkmcnt(0)
	v_add_u32_e32 v10, v12, v10
	v_lshlrev_b32_e32 v13, 2, v13
	ds_bpermute_b32 v13, v13, v10
	ds_read_b32 v10, v11 offset:8
	v_cmp_eq_u32_e32 vcc, 0, v0
	s_and_saveexec_b64 s[0:1], vcc
	s_cbranch_execz .LBB2301_52
; %bb.51:
	v_mov_b32_e32 v14, 0
	v_mov_b32_e32 v11, 2
	s_waitcnt lgkmcnt(0)
	global_store_dwordx2 v14, v[10:11], s[24:25] offset:512
.LBB2301_52:
	s_or_b64 exec, exec, s[0:1]
	v_cmp_eq_u32_e64 s[0:1], 0, v23
	s_waitcnt lgkmcnt(1)
	v_cndmask_b32_e64 v12, v13, v12, s[0:1]
	v_cndmask_b32_e64 v14, v12, 0, vcc
	v_add_u32_sdwa v15, v14, v20 dst_sel:DWORD dst_unused:UNUSED_PAD src0_sel:DWORD src1_sel:BYTE_0
	v_add_u32_sdwa v13, v15, v20 dst_sel:DWORD dst_unused:UNUSED_PAD src0_sel:DWORD src1_sel:BYTE_1
	v_mov_b32_e32 v11, 0
	v_add_u32_e32 v12, v13, v22
	s_waitcnt lgkmcnt(0)
	s_barrier
.LBB2301_53:
	s_waitcnt lgkmcnt(0)
	v_add_u32_e32 v1, v10, v1
	v_sub_u32_e32 v14, v14, v11
	v_and_b32_e32 v18, 1, v20
	v_sub_u32_e32 v17, v1, v14
	v_cmp_eq_u32_e32 vcc, 1, v18
	v_cndmask_b32_e32 v14, v17, v14, vcc
	v_lshlrev_b32_e32 v14, 3, v14
	v_lshrrev_b32_e32 v16, 8, v20
	ds_write_b64 v14, v[6:7]
	v_sub_u32_e32 v6, v15, v11
	v_sub_u32_e32 v7, v1, v6
	v_and_b32_e32 v14, 1, v16
	v_add_u32_e32 v7, 1, v7
	v_cmp_eq_u32_e32 vcc, 1, v14
	v_cndmask_b32_e32 v6, v7, v6, vcc
	v_lshlrev_b32_e32 v6, 3, v6
	ds_write_b64 v6, v[8:9]
	v_sub_u32_e32 v6, v13, v11
	v_mov_b32_e32 v8, 1
	v_sub_u32_e32 v7, v1, v6
	v_and_b32_sdwa v8, v8, v20 dst_sel:DWORD dst_unused:UNUSED_PAD src0_sel:DWORD src1_sel:WORD_1
	v_add_u32_e32 v7, 2, v7
	v_cmp_eq_u32_e32 vcc, 1, v8
	v_cndmask_b32_e32 v6, v7, v6, vcc
	v_lshlrev_b32_e32 v6, 3, v6
	ds_write_b64 v6, v[2:3]
	v_sub_u32_e32 v2, v12, v11
	v_sub_u32_e32 v1, v1, v2
	v_and_b32_e32 v3, 1, v21
	v_add_u32_e32 v1, 3, v1
	v_cmp_eq_u32_e32 vcc, 1, v3
	v_cndmask_b32_e32 v1, v1, v2, vcc
	v_cmp_eq_u32_e32 vcc, 0, v0
	v_lshlrev_b32_e32 v1, 3, v1
	s_and_b64 s[0:1], vcc, s[22:23]
	ds_write_b64 v1, v[4:5]
	s_waitcnt lgkmcnt(0)
	s_barrier
	s_and_saveexec_b64 s[2:3], s[0:1]
	s_cbranch_execz .LBB2301_55
; %bb.54:
	v_mov_b32_e32 v0, s19
	v_add_co_u32_e32 v1, vcc, s18, v10
	v_addc_co_u32_e32 v3, vcc, 0, v0, vcc
	v_add_co_u32_e32 v0, vcc, v1, v11
	v_mov_b32_e32 v2, 0
	v_addc_co_u32_e32 v1, vcc, 0, v3, vcc
	global_store_dwordx2 v2, v[0:1], s[20:21]
.LBB2301_55:
	s_endpgm
	.section	.rodata,"a",@progbits
	.p2align	6, 0x0
	.amdhsa_kernel _ZN7rocprim17ROCPRIM_400000_NS6detail17trampoline_kernelINS0_14default_configENS1_25partition_config_selectorILNS1_17partition_subalgoE0EyNS0_10empty_typeEbEEZZNS1_14partition_implILS5_0ELb0ES3_jN6thrust23THRUST_200600_302600_NS6detail15normal_iteratorINSA_10device_ptrIyEEEEPS6_SG_NS0_5tupleIJNSA_16discard_iteratorINSA_11use_defaultEEESK_EEENSH_IJSG_SG_EEES6_PlJ7is_evenIyEEEE10hipError_tPvRmT3_T4_T5_T6_T7_T9_mT8_P12ihipStream_tbDpT10_ENKUlT_T0_E_clISt17integral_constantIbLb0EES19_EEDaS14_S15_EUlS14_E_NS1_11comp_targetILNS1_3genE4ELNS1_11target_archE910ELNS1_3gpuE8ELNS1_3repE0EEENS1_30default_config_static_selectorELNS0_4arch9wavefront6targetE1EEEvT1_
		.amdhsa_group_segment_fixed_size 6344
		.amdhsa_private_segment_fixed_size 0
		.amdhsa_kernarg_size 136
		.amdhsa_user_sgpr_count 6
		.amdhsa_user_sgpr_private_segment_buffer 1
		.amdhsa_user_sgpr_dispatch_ptr 0
		.amdhsa_user_sgpr_queue_ptr 0
		.amdhsa_user_sgpr_kernarg_segment_ptr 1
		.amdhsa_user_sgpr_dispatch_id 0
		.amdhsa_user_sgpr_flat_scratch_init 0
		.amdhsa_user_sgpr_kernarg_preload_length 0
		.amdhsa_user_sgpr_kernarg_preload_offset 0
		.amdhsa_user_sgpr_private_segment_size 0
		.amdhsa_uses_dynamic_stack 0
		.amdhsa_system_sgpr_private_segment_wavefront_offset 0
		.amdhsa_system_sgpr_workgroup_id_x 1
		.amdhsa_system_sgpr_workgroup_id_y 0
		.amdhsa_system_sgpr_workgroup_id_z 0
		.amdhsa_system_sgpr_workgroup_info 0
		.amdhsa_system_vgpr_workitem_id 0
		.amdhsa_next_free_vgpr 42
		.amdhsa_next_free_sgpr 36
		.amdhsa_accum_offset 44
		.amdhsa_reserve_vcc 1
		.amdhsa_reserve_flat_scratch 0
		.amdhsa_float_round_mode_32 0
		.amdhsa_float_round_mode_16_64 0
		.amdhsa_float_denorm_mode_32 3
		.amdhsa_float_denorm_mode_16_64 3
		.amdhsa_dx10_clamp 1
		.amdhsa_ieee_mode 1
		.amdhsa_fp16_overflow 0
		.amdhsa_tg_split 0
		.amdhsa_exception_fp_ieee_invalid_op 0
		.amdhsa_exception_fp_denorm_src 0
		.amdhsa_exception_fp_ieee_div_zero 0
		.amdhsa_exception_fp_ieee_overflow 0
		.amdhsa_exception_fp_ieee_underflow 0
		.amdhsa_exception_fp_ieee_inexact 0
		.amdhsa_exception_int_div_zero 0
	.end_amdhsa_kernel
	.section	.text._ZN7rocprim17ROCPRIM_400000_NS6detail17trampoline_kernelINS0_14default_configENS1_25partition_config_selectorILNS1_17partition_subalgoE0EyNS0_10empty_typeEbEEZZNS1_14partition_implILS5_0ELb0ES3_jN6thrust23THRUST_200600_302600_NS6detail15normal_iteratorINSA_10device_ptrIyEEEEPS6_SG_NS0_5tupleIJNSA_16discard_iteratorINSA_11use_defaultEEESK_EEENSH_IJSG_SG_EEES6_PlJ7is_evenIyEEEE10hipError_tPvRmT3_T4_T5_T6_T7_T9_mT8_P12ihipStream_tbDpT10_ENKUlT_T0_E_clISt17integral_constantIbLb0EES19_EEDaS14_S15_EUlS14_E_NS1_11comp_targetILNS1_3genE4ELNS1_11target_archE910ELNS1_3gpuE8ELNS1_3repE0EEENS1_30default_config_static_selectorELNS0_4arch9wavefront6targetE1EEEvT1_,"axG",@progbits,_ZN7rocprim17ROCPRIM_400000_NS6detail17trampoline_kernelINS0_14default_configENS1_25partition_config_selectorILNS1_17partition_subalgoE0EyNS0_10empty_typeEbEEZZNS1_14partition_implILS5_0ELb0ES3_jN6thrust23THRUST_200600_302600_NS6detail15normal_iteratorINSA_10device_ptrIyEEEEPS6_SG_NS0_5tupleIJNSA_16discard_iteratorINSA_11use_defaultEEESK_EEENSH_IJSG_SG_EEES6_PlJ7is_evenIyEEEE10hipError_tPvRmT3_T4_T5_T6_T7_T9_mT8_P12ihipStream_tbDpT10_ENKUlT_T0_E_clISt17integral_constantIbLb0EES19_EEDaS14_S15_EUlS14_E_NS1_11comp_targetILNS1_3genE4ELNS1_11target_archE910ELNS1_3gpuE8ELNS1_3repE0EEENS1_30default_config_static_selectorELNS0_4arch9wavefront6targetE1EEEvT1_,comdat
.Lfunc_end2301:
	.size	_ZN7rocprim17ROCPRIM_400000_NS6detail17trampoline_kernelINS0_14default_configENS1_25partition_config_selectorILNS1_17partition_subalgoE0EyNS0_10empty_typeEbEEZZNS1_14partition_implILS5_0ELb0ES3_jN6thrust23THRUST_200600_302600_NS6detail15normal_iteratorINSA_10device_ptrIyEEEEPS6_SG_NS0_5tupleIJNSA_16discard_iteratorINSA_11use_defaultEEESK_EEENSH_IJSG_SG_EEES6_PlJ7is_evenIyEEEE10hipError_tPvRmT3_T4_T5_T6_T7_T9_mT8_P12ihipStream_tbDpT10_ENKUlT_T0_E_clISt17integral_constantIbLb0EES19_EEDaS14_S15_EUlS14_E_NS1_11comp_targetILNS1_3genE4ELNS1_11target_archE910ELNS1_3gpuE8ELNS1_3repE0EEENS1_30default_config_static_selectorELNS0_4arch9wavefront6targetE1EEEvT1_, .Lfunc_end2301-_ZN7rocprim17ROCPRIM_400000_NS6detail17trampoline_kernelINS0_14default_configENS1_25partition_config_selectorILNS1_17partition_subalgoE0EyNS0_10empty_typeEbEEZZNS1_14partition_implILS5_0ELb0ES3_jN6thrust23THRUST_200600_302600_NS6detail15normal_iteratorINSA_10device_ptrIyEEEEPS6_SG_NS0_5tupleIJNSA_16discard_iteratorINSA_11use_defaultEEESK_EEENSH_IJSG_SG_EEES6_PlJ7is_evenIyEEEE10hipError_tPvRmT3_T4_T5_T6_T7_T9_mT8_P12ihipStream_tbDpT10_ENKUlT_T0_E_clISt17integral_constantIbLb0EES19_EEDaS14_S15_EUlS14_E_NS1_11comp_targetILNS1_3genE4ELNS1_11target_archE910ELNS1_3gpuE8ELNS1_3repE0EEENS1_30default_config_static_selectorELNS0_4arch9wavefront6targetE1EEEvT1_
                                        ; -- End function
	.section	.AMDGPU.csdata,"",@progbits
; Kernel info:
; codeLenInByte = 3072
; NumSgprs: 40
; NumVgprs: 42
; NumAgprs: 0
; TotalNumVgprs: 42
; ScratchSize: 0
; MemoryBound: 0
; FloatMode: 240
; IeeeMode: 1
; LDSByteSize: 6344 bytes/workgroup (compile time only)
; SGPRBlocks: 4
; VGPRBlocks: 5
; NumSGPRsForWavesPerEU: 40
; NumVGPRsForWavesPerEU: 42
; AccumOffset: 44
; Occupancy: 8
; WaveLimiterHint : 1
; COMPUTE_PGM_RSRC2:SCRATCH_EN: 0
; COMPUTE_PGM_RSRC2:USER_SGPR: 6
; COMPUTE_PGM_RSRC2:TRAP_HANDLER: 0
; COMPUTE_PGM_RSRC2:TGID_X_EN: 1
; COMPUTE_PGM_RSRC2:TGID_Y_EN: 0
; COMPUTE_PGM_RSRC2:TGID_Z_EN: 0
; COMPUTE_PGM_RSRC2:TIDIG_COMP_CNT: 0
; COMPUTE_PGM_RSRC3_GFX90A:ACCUM_OFFSET: 10
; COMPUTE_PGM_RSRC3_GFX90A:TG_SPLIT: 0
	.section	.text._ZN7rocprim17ROCPRIM_400000_NS6detail17trampoline_kernelINS0_14default_configENS1_25partition_config_selectorILNS1_17partition_subalgoE0EyNS0_10empty_typeEbEEZZNS1_14partition_implILS5_0ELb0ES3_jN6thrust23THRUST_200600_302600_NS6detail15normal_iteratorINSA_10device_ptrIyEEEEPS6_SG_NS0_5tupleIJNSA_16discard_iteratorINSA_11use_defaultEEESK_EEENSH_IJSG_SG_EEES6_PlJ7is_evenIyEEEE10hipError_tPvRmT3_T4_T5_T6_T7_T9_mT8_P12ihipStream_tbDpT10_ENKUlT_T0_E_clISt17integral_constantIbLb0EES19_EEDaS14_S15_EUlS14_E_NS1_11comp_targetILNS1_3genE3ELNS1_11target_archE908ELNS1_3gpuE7ELNS1_3repE0EEENS1_30default_config_static_selectorELNS0_4arch9wavefront6targetE1EEEvT1_,"axG",@progbits,_ZN7rocprim17ROCPRIM_400000_NS6detail17trampoline_kernelINS0_14default_configENS1_25partition_config_selectorILNS1_17partition_subalgoE0EyNS0_10empty_typeEbEEZZNS1_14partition_implILS5_0ELb0ES3_jN6thrust23THRUST_200600_302600_NS6detail15normal_iteratorINSA_10device_ptrIyEEEEPS6_SG_NS0_5tupleIJNSA_16discard_iteratorINSA_11use_defaultEEESK_EEENSH_IJSG_SG_EEES6_PlJ7is_evenIyEEEE10hipError_tPvRmT3_T4_T5_T6_T7_T9_mT8_P12ihipStream_tbDpT10_ENKUlT_T0_E_clISt17integral_constantIbLb0EES19_EEDaS14_S15_EUlS14_E_NS1_11comp_targetILNS1_3genE3ELNS1_11target_archE908ELNS1_3gpuE7ELNS1_3repE0EEENS1_30default_config_static_selectorELNS0_4arch9wavefront6targetE1EEEvT1_,comdat
	.protected	_ZN7rocprim17ROCPRIM_400000_NS6detail17trampoline_kernelINS0_14default_configENS1_25partition_config_selectorILNS1_17partition_subalgoE0EyNS0_10empty_typeEbEEZZNS1_14partition_implILS5_0ELb0ES3_jN6thrust23THRUST_200600_302600_NS6detail15normal_iteratorINSA_10device_ptrIyEEEEPS6_SG_NS0_5tupleIJNSA_16discard_iteratorINSA_11use_defaultEEESK_EEENSH_IJSG_SG_EEES6_PlJ7is_evenIyEEEE10hipError_tPvRmT3_T4_T5_T6_T7_T9_mT8_P12ihipStream_tbDpT10_ENKUlT_T0_E_clISt17integral_constantIbLb0EES19_EEDaS14_S15_EUlS14_E_NS1_11comp_targetILNS1_3genE3ELNS1_11target_archE908ELNS1_3gpuE7ELNS1_3repE0EEENS1_30default_config_static_selectorELNS0_4arch9wavefront6targetE1EEEvT1_ ; -- Begin function _ZN7rocprim17ROCPRIM_400000_NS6detail17trampoline_kernelINS0_14default_configENS1_25partition_config_selectorILNS1_17partition_subalgoE0EyNS0_10empty_typeEbEEZZNS1_14partition_implILS5_0ELb0ES3_jN6thrust23THRUST_200600_302600_NS6detail15normal_iteratorINSA_10device_ptrIyEEEEPS6_SG_NS0_5tupleIJNSA_16discard_iteratorINSA_11use_defaultEEESK_EEENSH_IJSG_SG_EEES6_PlJ7is_evenIyEEEE10hipError_tPvRmT3_T4_T5_T6_T7_T9_mT8_P12ihipStream_tbDpT10_ENKUlT_T0_E_clISt17integral_constantIbLb0EES19_EEDaS14_S15_EUlS14_E_NS1_11comp_targetILNS1_3genE3ELNS1_11target_archE908ELNS1_3gpuE7ELNS1_3repE0EEENS1_30default_config_static_selectorELNS0_4arch9wavefront6targetE1EEEvT1_
	.globl	_ZN7rocprim17ROCPRIM_400000_NS6detail17trampoline_kernelINS0_14default_configENS1_25partition_config_selectorILNS1_17partition_subalgoE0EyNS0_10empty_typeEbEEZZNS1_14partition_implILS5_0ELb0ES3_jN6thrust23THRUST_200600_302600_NS6detail15normal_iteratorINSA_10device_ptrIyEEEEPS6_SG_NS0_5tupleIJNSA_16discard_iteratorINSA_11use_defaultEEESK_EEENSH_IJSG_SG_EEES6_PlJ7is_evenIyEEEE10hipError_tPvRmT3_T4_T5_T6_T7_T9_mT8_P12ihipStream_tbDpT10_ENKUlT_T0_E_clISt17integral_constantIbLb0EES19_EEDaS14_S15_EUlS14_E_NS1_11comp_targetILNS1_3genE3ELNS1_11target_archE908ELNS1_3gpuE7ELNS1_3repE0EEENS1_30default_config_static_selectorELNS0_4arch9wavefront6targetE1EEEvT1_
	.p2align	8
	.type	_ZN7rocprim17ROCPRIM_400000_NS6detail17trampoline_kernelINS0_14default_configENS1_25partition_config_selectorILNS1_17partition_subalgoE0EyNS0_10empty_typeEbEEZZNS1_14partition_implILS5_0ELb0ES3_jN6thrust23THRUST_200600_302600_NS6detail15normal_iteratorINSA_10device_ptrIyEEEEPS6_SG_NS0_5tupleIJNSA_16discard_iteratorINSA_11use_defaultEEESK_EEENSH_IJSG_SG_EEES6_PlJ7is_evenIyEEEE10hipError_tPvRmT3_T4_T5_T6_T7_T9_mT8_P12ihipStream_tbDpT10_ENKUlT_T0_E_clISt17integral_constantIbLb0EES19_EEDaS14_S15_EUlS14_E_NS1_11comp_targetILNS1_3genE3ELNS1_11target_archE908ELNS1_3gpuE7ELNS1_3repE0EEENS1_30default_config_static_selectorELNS0_4arch9wavefront6targetE1EEEvT1_,@function
_ZN7rocprim17ROCPRIM_400000_NS6detail17trampoline_kernelINS0_14default_configENS1_25partition_config_selectorILNS1_17partition_subalgoE0EyNS0_10empty_typeEbEEZZNS1_14partition_implILS5_0ELb0ES3_jN6thrust23THRUST_200600_302600_NS6detail15normal_iteratorINSA_10device_ptrIyEEEEPS6_SG_NS0_5tupleIJNSA_16discard_iteratorINSA_11use_defaultEEESK_EEENSH_IJSG_SG_EEES6_PlJ7is_evenIyEEEE10hipError_tPvRmT3_T4_T5_T6_T7_T9_mT8_P12ihipStream_tbDpT10_ENKUlT_T0_E_clISt17integral_constantIbLb0EES19_EEDaS14_S15_EUlS14_E_NS1_11comp_targetILNS1_3genE3ELNS1_11target_archE908ELNS1_3gpuE7ELNS1_3repE0EEENS1_30default_config_static_selectorELNS0_4arch9wavefront6targetE1EEEvT1_: ; @_ZN7rocprim17ROCPRIM_400000_NS6detail17trampoline_kernelINS0_14default_configENS1_25partition_config_selectorILNS1_17partition_subalgoE0EyNS0_10empty_typeEbEEZZNS1_14partition_implILS5_0ELb0ES3_jN6thrust23THRUST_200600_302600_NS6detail15normal_iteratorINSA_10device_ptrIyEEEEPS6_SG_NS0_5tupleIJNSA_16discard_iteratorINSA_11use_defaultEEESK_EEENSH_IJSG_SG_EEES6_PlJ7is_evenIyEEEE10hipError_tPvRmT3_T4_T5_T6_T7_T9_mT8_P12ihipStream_tbDpT10_ENKUlT_T0_E_clISt17integral_constantIbLb0EES19_EEDaS14_S15_EUlS14_E_NS1_11comp_targetILNS1_3genE3ELNS1_11target_archE908ELNS1_3gpuE7ELNS1_3repE0EEENS1_30default_config_static_selectorELNS0_4arch9wavefront6targetE1EEEvT1_
; %bb.0:
	.section	.rodata,"a",@progbits
	.p2align	6, 0x0
	.amdhsa_kernel _ZN7rocprim17ROCPRIM_400000_NS6detail17trampoline_kernelINS0_14default_configENS1_25partition_config_selectorILNS1_17partition_subalgoE0EyNS0_10empty_typeEbEEZZNS1_14partition_implILS5_0ELb0ES3_jN6thrust23THRUST_200600_302600_NS6detail15normal_iteratorINSA_10device_ptrIyEEEEPS6_SG_NS0_5tupleIJNSA_16discard_iteratorINSA_11use_defaultEEESK_EEENSH_IJSG_SG_EEES6_PlJ7is_evenIyEEEE10hipError_tPvRmT3_T4_T5_T6_T7_T9_mT8_P12ihipStream_tbDpT10_ENKUlT_T0_E_clISt17integral_constantIbLb0EES19_EEDaS14_S15_EUlS14_E_NS1_11comp_targetILNS1_3genE3ELNS1_11target_archE908ELNS1_3gpuE7ELNS1_3repE0EEENS1_30default_config_static_selectorELNS0_4arch9wavefront6targetE1EEEvT1_
		.amdhsa_group_segment_fixed_size 0
		.amdhsa_private_segment_fixed_size 0
		.amdhsa_kernarg_size 136
		.amdhsa_user_sgpr_count 6
		.amdhsa_user_sgpr_private_segment_buffer 1
		.amdhsa_user_sgpr_dispatch_ptr 0
		.amdhsa_user_sgpr_queue_ptr 0
		.amdhsa_user_sgpr_kernarg_segment_ptr 1
		.amdhsa_user_sgpr_dispatch_id 0
		.amdhsa_user_sgpr_flat_scratch_init 0
		.amdhsa_user_sgpr_kernarg_preload_length 0
		.amdhsa_user_sgpr_kernarg_preload_offset 0
		.amdhsa_user_sgpr_private_segment_size 0
		.amdhsa_uses_dynamic_stack 0
		.amdhsa_system_sgpr_private_segment_wavefront_offset 0
		.amdhsa_system_sgpr_workgroup_id_x 1
		.amdhsa_system_sgpr_workgroup_id_y 0
		.amdhsa_system_sgpr_workgroup_id_z 0
		.amdhsa_system_sgpr_workgroup_info 0
		.amdhsa_system_vgpr_workitem_id 0
		.amdhsa_next_free_vgpr 1
		.amdhsa_next_free_sgpr 0
		.amdhsa_accum_offset 4
		.amdhsa_reserve_vcc 0
		.amdhsa_reserve_flat_scratch 0
		.amdhsa_float_round_mode_32 0
		.amdhsa_float_round_mode_16_64 0
		.amdhsa_float_denorm_mode_32 3
		.amdhsa_float_denorm_mode_16_64 3
		.amdhsa_dx10_clamp 1
		.amdhsa_ieee_mode 1
		.amdhsa_fp16_overflow 0
		.amdhsa_tg_split 0
		.amdhsa_exception_fp_ieee_invalid_op 0
		.amdhsa_exception_fp_denorm_src 0
		.amdhsa_exception_fp_ieee_div_zero 0
		.amdhsa_exception_fp_ieee_overflow 0
		.amdhsa_exception_fp_ieee_underflow 0
		.amdhsa_exception_fp_ieee_inexact 0
		.amdhsa_exception_int_div_zero 0
	.end_amdhsa_kernel
	.section	.text._ZN7rocprim17ROCPRIM_400000_NS6detail17trampoline_kernelINS0_14default_configENS1_25partition_config_selectorILNS1_17partition_subalgoE0EyNS0_10empty_typeEbEEZZNS1_14partition_implILS5_0ELb0ES3_jN6thrust23THRUST_200600_302600_NS6detail15normal_iteratorINSA_10device_ptrIyEEEEPS6_SG_NS0_5tupleIJNSA_16discard_iteratorINSA_11use_defaultEEESK_EEENSH_IJSG_SG_EEES6_PlJ7is_evenIyEEEE10hipError_tPvRmT3_T4_T5_T6_T7_T9_mT8_P12ihipStream_tbDpT10_ENKUlT_T0_E_clISt17integral_constantIbLb0EES19_EEDaS14_S15_EUlS14_E_NS1_11comp_targetILNS1_3genE3ELNS1_11target_archE908ELNS1_3gpuE7ELNS1_3repE0EEENS1_30default_config_static_selectorELNS0_4arch9wavefront6targetE1EEEvT1_,"axG",@progbits,_ZN7rocprim17ROCPRIM_400000_NS6detail17trampoline_kernelINS0_14default_configENS1_25partition_config_selectorILNS1_17partition_subalgoE0EyNS0_10empty_typeEbEEZZNS1_14partition_implILS5_0ELb0ES3_jN6thrust23THRUST_200600_302600_NS6detail15normal_iteratorINSA_10device_ptrIyEEEEPS6_SG_NS0_5tupleIJNSA_16discard_iteratorINSA_11use_defaultEEESK_EEENSH_IJSG_SG_EEES6_PlJ7is_evenIyEEEE10hipError_tPvRmT3_T4_T5_T6_T7_T9_mT8_P12ihipStream_tbDpT10_ENKUlT_T0_E_clISt17integral_constantIbLb0EES19_EEDaS14_S15_EUlS14_E_NS1_11comp_targetILNS1_3genE3ELNS1_11target_archE908ELNS1_3gpuE7ELNS1_3repE0EEENS1_30default_config_static_selectorELNS0_4arch9wavefront6targetE1EEEvT1_,comdat
.Lfunc_end2302:
	.size	_ZN7rocprim17ROCPRIM_400000_NS6detail17trampoline_kernelINS0_14default_configENS1_25partition_config_selectorILNS1_17partition_subalgoE0EyNS0_10empty_typeEbEEZZNS1_14partition_implILS5_0ELb0ES3_jN6thrust23THRUST_200600_302600_NS6detail15normal_iteratorINSA_10device_ptrIyEEEEPS6_SG_NS0_5tupleIJNSA_16discard_iteratorINSA_11use_defaultEEESK_EEENSH_IJSG_SG_EEES6_PlJ7is_evenIyEEEE10hipError_tPvRmT3_T4_T5_T6_T7_T9_mT8_P12ihipStream_tbDpT10_ENKUlT_T0_E_clISt17integral_constantIbLb0EES19_EEDaS14_S15_EUlS14_E_NS1_11comp_targetILNS1_3genE3ELNS1_11target_archE908ELNS1_3gpuE7ELNS1_3repE0EEENS1_30default_config_static_selectorELNS0_4arch9wavefront6targetE1EEEvT1_, .Lfunc_end2302-_ZN7rocprim17ROCPRIM_400000_NS6detail17trampoline_kernelINS0_14default_configENS1_25partition_config_selectorILNS1_17partition_subalgoE0EyNS0_10empty_typeEbEEZZNS1_14partition_implILS5_0ELb0ES3_jN6thrust23THRUST_200600_302600_NS6detail15normal_iteratorINSA_10device_ptrIyEEEEPS6_SG_NS0_5tupleIJNSA_16discard_iteratorINSA_11use_defaultEEESK_EEENSH_IJSG_SG_EEES6_PlJ7is_evenIyEEEE10hipError_tPvRmT3_T4_T5_T6_T7_T9_mT8_P12ihipStream_tbDpT10_ENKUlT_T0_E_clISt17integral_constantIbLb0EES19_EEDaS14_S15_EUlS14_E_NS1_11comp_targetILNS1_3genE3ELNS1_11target_archE908ELNS1_3gpuE7ELNS1_3repE0EEENS1_30default_config_static_selectorELNS0_4arch9wavefront6targetE1EEEvT1_
                                        ; -- End function
	.section	.AMDGPU.csdata,"",@progbits
; Kernel info:
; codeLenInByte = 0
; NumSgprs: 4
; NumVgprs: 0
; NumAgprs: 0
; TotalNumVgprs: 0
; ScratchSize: 0
; MemoryBound: 0
; FloatMode: 240
; IeeeMode: 1
; LDSByteSize: 0 bytes/workgroup (compile time only)
; SGPRBlocks: 0
; VGPRBlocks: 0
; NumSGPRsForWavesPerEU: 4
; NumVGPRsForWavesPerEU: 1
; AccumOffset: 4
; Occupancy: 8
; WaveLimiterHint : 0
; COMPUTE_PGM_RSRC2:SCRATCH_EN: 0
; COMPUTE_PGM_RSRC2:USER_SGPR: 6
; COMPUTE_PGM_RSRC2:TRAP_HANDLER: 0
; COMPUTE_PGM_RSRC2:TGID_X_EN: 1
; COMPUTE_PGM_RSRC2:TGID_Y_EN: 0
; COMPUTE_PGM_RSRC2:TGID_Z_EN: 0
; COMPUTE_PGM_RSRC2:TIDIG_COMP_CNT: 0
; COMPUTE_PGM_RSRC3_GFX90A:ACCUM_OFFSET: 0
; COMPUTE_PGM_RSRC3_GFX90A:TG_SPLIT: 0
	.section	.text._ZN7rocprim17ROCPRIM_400000_NS6detail17trampoline_kernelINS0_14default_configENS1_25partition_config_selectorILNS1_17partition_subalgoE0EyNS0_10empty_typeEbEEZZNS1_14partition_implILS5_0ELb0ES3_jN6thrust23THRUST_200600_302600_NS6detail15normal_iteratorINSA_10device_ptrIyEEEEPS6_SG_NS0_5tupleIJNSA_16discard_iteratorINSA_11use_defaultEEESK_EEENSH_IJSG_SG_EEES6_PlJ7is_evenIyEEEE10hipError_tPvRmT3_T4_T5_T6_T7_T9_mT8_P12ihipStream_tbDpT10_ENKUlT_T0_E_clISt17integral_constantIbLb0EES19_EEDaS14_S15_EUlS14_E_NS1_11comp_targetILNS1_3genE2ELNS1_11target_archE906ELNS1_3gpuE6ELNS1_3repE0EEENS1_30default_config_static_selectorELNS0_4arch9wavefront6targetE1EEEvT1_,"axG",@progbits,_ZN7rocprim17ROCPRIM_400000_NS6detail17trampoline_kernelINS0_14default_configENS1_25partition_config_selectorILNS1_17partition_subalgoE0EyNS0_10empty_typeEbEEZZNS1_14partition_implILS5_0ELb0ES3_jN6thrust23THRUST_200600_302600_NS6detail15normal_iteratorINSA_10device_ptrIyEEEEPS6_SG_NS0_5tupleIJNSA_16discard_iteratorINSA_11use_defaultEEESK_EEENSH_IJSG_SG_EEES6_PlJ7is_evenIyEEEE10hipError_tPvRmT3_T4_T5_T6_T7_T9_mT8_P12ihipStream_tbDpT10_ENKUlT_T0_E_clISt17integral_constantIbLb0EES19_EEDaS14_S15_EUlS14_E_NS1_11comp_targetILNS1_3genE2ELNS1_11target_archE906ELNS1_3gpuE6ELNS1_3repE0EEENS1_30default_config_static_selectorELNS0_4arch9wavefront6targetE1EEEvT1_,comdat
	.protected	_ZN7rocprim17ROCPRIM_400000_NS6detail17trampoline_kernelINS0_14default_configENS1_25partition_config_selectorILNS1_17partition_subalgoE0EyNS0_10empty_typeEbEEZZNS1_14partition_implILS5_0ELb0ES3_jN6thrust23THRUST_200600_302600_NS6detail15normal_iteratorINSA_10device_ptrIyEEEEPS6_SG_NS0_5tupleIJNSA_16discard_iteratorINSA_11use_defaultEEESK_EEENSH_IJSG_SG_EEES6_PlJ7is_evenIyEEEE10hipError_tPvRmT3_T4_T5_T6_T7_T9_mT8_P12ihipStream_tbDpT10_ENKUlT_T0_E_clISt17integral_constantIbLb0EES19_EEDaS14_S15_EUlS14_E_NS1_11comp_targetILNS1_3genE2ELNS1_11target_archE906ELNS1_3gpuE6ELNS1_3repE0EEENS1_30default_config_static_selectorELNS0_4arch9wavefront6targetE1EEEvT1_ ; -- Begin function _ZN7rocprim17ROCPRIM_400000_NS6detail17trampoline_kernelINS0_14default_configENS1_25partition_config_selectorILNS1_17partition_subalgoE0EyNS0_10empty_typeEbEEZZNS1_14partition_implILS5_0ELb0ES3_jN6thrust23THRUST_200600_302600_NS6detail15normal_iteratorINSA_10device_ptrIyEEEEPS6_SG_NS0_5tupleIJNSA_16discard_iteratorINSA_11use_defaultEEESK_EEENSH_IJSG_SG_EEES6_PlJ7is_evenIyEEEE10hipError_tPvRmT3_T4_T5_T6_T7_T9_mT8_P12ihipStream_tbDpT10_ENKUlT_T0_E_clISt17integral_constantIbLb0EES19_EEDaS14_S15_EUlS14_E_NS1_11comp_targetILNS1_3genE2ELNS1_11target_archE906ELNS1_3gpuE6ELNS1_3repE0EEENS1_30default_config_static_selectorELNS0_4arch9wavefront6targetE1EEEvT1_
	.globl	_ZN7rocprim17ROCPRIM_400000_NS6detail17trampoline_kernelINS0_14default_configENS1_25partition_config_selectorILNS1_17partition_subalgoE0EyNS0_10empty_typeEbEEZZNS1_14partition_implILS5_0ELb0ES3_jN6thrust23THRUST_200600_302600_NS6detail15normal_iteratorINSA_10device_ptrIyEEEEPS6_SG_NS0_5tupleIJNSA_16discard_iteratorINSA_11use_defaultEEESK_EEENSH_IJSG_SG_EEES6_PlJ7is_evenIyEEEE10hipError_tPvRmT3_T4_T5_T6_T7_T9_mT8_P12ihipStream_tbDpT10_ENKUlT_T0_E_clISt17integral_constantIbLb0EES19_EEDaS14_S15_EUlS14_E_NS1_11comp_targetILNS1_3genE2ELNS1_11target_archE906ELNS1_3gpuE6ELNS1_3repE0EEENS1_30default_config_static_selectorELNS0_4arch9wavefront6targetE1EEEvT1_
	.p2align	8
	.type	_ZN7rocprim17ROCPRIM_400000_NS6detail17trampoline_kernelINS0_14default_configENS1_25partition_config_selectorILNS1_17partition_subalgoE0EyNS0_10empty_typeEbEEZZNS1_14partition_implILS5_0ELb0ES3_jN6thrust23THRUST_200600_302600_NS6detail15normal_iteratorINSA_10device_ptrIyEEEEPS6_SG_NS0_5tupleIJNSA_16discard_iteratorINSA_11use_defaultEEESK_EEENSH_IJSG_SG_EEES6_PlJ7is_evenIyEEEE10hipError_tPvRmT3_T4_T5_T6_T7_T9_mT8_P12ihipStream_tbDpT10_ENKUlT_T0_E_clISt17integral_constantIbLb0EES19_EEDaS14_S15_EUlS14_E_NS1_11comp_targetILNS1_3genE2ELNS1_11target_archE906ELNS1_3gpuE6ELNS1_3repE0EEENS1_30default_config_static_selectorELNS0_4arch9wavefront6targetE1EEEvT1_,@function
_ZN7rocprim17ROCPRIM_400000_NS6detail17trampoline_kernelINS0_14default_configENS1_25partition_config_selectorILNS1_17partition_subalgoE0EyNS0_10empty_typeEbEEZZNS1_14partition_implILS5_0ELb0ES3_jN6thrust23THRUST_200600_302600_NS6detail15normal_iteratorINSA_10device_ptrIyEEEEPS6_SG_NS0_5tupleIJNSA_16discard_iteratorINSA_11use_defaultEEESK_EEENSH_IJSG_SG_EEES6_PlJ7is_evenIyEEEE10hipError_tPvRmT3_T4_T5_T6_T7_T9_mT8_P12ihipStream_tbDpT10_ENKUlT_T0_E_clISt17integral_constantIbLb0EES19_EEDaS14_S15_EUlS14_E_NS1_11comp_targetILNS1_3genE2ELNS1_11target_archE906ELNS1_3gpuE6ELNS1_3repE0EEENS1_30default_config_static_selectorELNS0_4arch9wavefront6targetE1EEEvT1_: ; @_ZN7rocprim17ROCPRIM_400000_NS6detail17trampoline_kernelINS0_14default_configENS1_25partition_config_selectorILNS1_17partition_subalgoE0EyNS0_10empty_typeEbEEZZNS1_14partition_implILS5_0ELb0ES3_jN6thrust23THRUST_200600_302600_NS6detail15normal_iteratorINSA_10device_ptrIyEEEEPS6_SG_NS0_5tupleIJNSA_16discard_iteratorINSA_11use_defaultEEESK_EEENSH_IJSG_SG_EEES6_PlJ7is_evenIyEEEE10hipError_tPvRmT3_T4_T5_T6_T7_T9_mT8_P12ihipStream_tbDpT10_ENKUlT_T0_E_clISt17integral_constantIbLb0EES19_EEDaS14_S15_EUlS14_E_NS1_11comp_targetILNS1_3genE2ELNS1_11target_archE906ELNS1_3gpuE6ELNS1_3repE0EEENS1_30default_config_static_selectorELNS0_4arch9wavefront6targetE1EEEvT1_
; %bb.0:
	.section	.rodata,"a",@progbits
	.p2align	6, 0x0
	.amdhsa_kernel _ZN7rocprim17ROCPRIM_400000_NS6detail17trampoline_kernelINS0_14default_configENS1_25partition_config_selectorILNS1_17partition_subalgoE0EyNS0_10empty_typeEbEEZZNS1_14partition_implILS5_0ELb0ES3_jN6thrust23THRUST_200600_302600_NS6detail15normal_iteratorINSA_10device_ptrIyEEEEPS6_SG_NS0_5tupleIJNSA_16discard_iteratorINSA_11use_defaultEEESK_EEENSH_IJSG_SG_EEES6_PlJ7is_evenIyEEEE10hipError_tPvRmT3_T4_T5_T6_T7_T9_mT8_P12ihipStream_tbDpT10_ENKUlT_T0_E_clISt17integral_constantIbLb0EES19_EEDaS14_S15_EUlS14_E_NS1_11comp_targetILNS1_3genE2ELNS1_11target_archE906ELNS1_3gpuE6ELNS1_3repE0EEENS1_30default_config_static_selectorELNS0_4arch9wavefront6targetE1EEEvT1_
		.amdhsa_group_segment_fixed_size 0
		.amdhsa_private_segment_fixed_size 0
		.amdhsa_kernarg_size 136
		.amdhsa_user_sgpr_count 6
		.amdhsa_user_sgpr_private_segment_buffer 1
		.amdhsa_user_sgpr_dispatch_ptr 0
		.amdhsa_user_sgpr_queue_ptr 0
		.amdhsa_user_sgpr_kernarg_segment_ptr 1
		.amdhsa_user_sgpr_dispatch_id 0
		.amdhsa_user_sgpr_flat_scratch_init 0
		.amdhsa_user_sgpr_kernarg_preload_length 0
		.amdhsa_user_sgpr_kernarg_preload_offset 0
		.amdhsa_user_sgpr_private_segment_size 0
		.amdhsa_uses_dynamic_stack 0
		.amdhsa_system_sgpr_private_segment_wavefront_offset 0
		.amdhsa_system_sgpr_workgroup_id_x 1
		.amdhsa_system_sgpr_workgroup_id_y 0
		.amdhsa_system_sgpr_workgroup_id_z 0
		.amdhsa_system_sgpr_workgroup_info 0
		.amdhsa_system_vgpr_workitem_id 0
		.amdhsa_next_free_vgpr 1
		.amdhsa_next_free_sgpr 0
		.amdhsa_accum_offset 4
		.amdhsa_reserve_vcc 0
		.amdhsa_reserve_flat_scratch 0
		.amdhsa_float_round_mode_32 0
		.amdhsa_float_round_mode_16_64 0
		.amdhsa_float_denorm_mode_32 3
		.amdhsa_float_denorm_mode_16_64 3
		.amdhsa_dx10_clamp 1
		.amdhsa_ieee_mode 1
		.amdhsa_fp16_overflow 0
		.amdhsa_tg_split 0
		.amdhsa_exception_fp_ieee_invalid_op 0
		.amdhsa_exception_fp_denorm_src 0
		.amdhsa_exception_fp_ieee_div_zero 0
		.amdhsa_exception_fp_ieee_overflow 0
		.amdhsa_exception_fp_ieee_underflow 0
		.amdhsa_exception_fp_ieee_inexact 0
		.amdhsa_exception_int_div_zero 0
	.end_amdhsa_kernel
	.section	.text._ZN7rocprim17ROCPRIM_400000_NS6detail17trampoline_kernelINS0_14default_configENS1_25partition_config_selectorILNS1_17partition_subalgoE0EyNS0_10empty_typeEbEEZZNS1_14partition_implILS5_0ELb0ES3_jN6thrust23THRUST_200600_302600_NS6detail15normal_iteratorINSA_10device_ptrIyEEEEPS6_SG_NS0_5tupleIJNSA_16discard_iteratorINSA_11use_defaultEEESK_EEENSH_IJSG_SG_EEES6_PlJ7is_evenIyEEEE10hipError_tPvRmT3_T4_T5_T6_T7_T9_mT8_P12ihipStream_tbDpT10_ENKUlT_T0_E_clISt17integral_constantIbLb0EES19_EEDaS14_S15_EUlS14_E_NS1_11comp_targetILNS1_3genE2ELNS1_11target_archE906ELNS1_3gpuE6ELNS1_3repE0EEENS1_30default_config_static_selectorELNS0_4arch9wavefront6targetE1EEEvT1_,"axG",@progbits,_ZN7rocprim17ROCPRIM_400000_NS6detail17trampoline_kernelINS0_14default_configENS1_25partition_config_selectorILNS1_17partition_subalgoE0EyNS0_10empty_typeEbEEZZNS1_14partition_implILS5_0ELb0ES3_jN6thrust23THRUST_200600_302600_NS6detail15normal_iteratorINSA_10device_ptrIyEEEEPS6_SG_NS0_5tupleIJNSA_16discard_iteratorINSA_11use_defaultEEESK_EEENSH_IJSG_SG_EEES6_PlJ7is_evenIyEEEE10hipError_tPvRmT3_T4_T5_T6_T7_T9_mT8_P12ihipStream_tbDpT10_ENKUlT_T0_E_clISt17integral_constantIbLb0EES19_EEDaS14_S15_EUlS14_E_NS1_11comp_targetILNS1_3genE2ELNS1_11target_archE906ELNS1_3gpuE6ELNS1_3repE0EEENS1_30default_config_static_selectorELNS0_4arch9wavefront6targetE1EEEvT1_,comdat
.Lfunc_end2303:
	.size	_ZN7rocprim17ROCPRIM_400000_NS6detail17trampoline_kernelINS0_14default_configENS1_25partition_config_selectorILNS1_17partition_subalgoE0EyNS0_10empty_typeEbEEZZNS1_14partition_implILS5_0ELb0ES3_jN6thrust23THRUST_200600_302600_NS6detail15normal_iteratorINSA_10device_ptrIyEEEEPS6_SG_NS0_5tupleIJNSA_16discard_iteratorINSA_11use_defaultEEESK_EEENSH_IJSG_SG_EEES6_PlJ7is_evenIyEEEE10hipError_tPvRmT3_T4_T5_T6_T7_T9_mT8_P12ihipStream_tbDpT10_ENKUlT_T0_E_clISt17integral_constantIbLb0EES19_EEDaS14_S15_EUlS14_E_NS1_11comp_targetILNS1_3genE2ELNS1_11target_archE906ELNS1_3gpuE6ELNS1_3repE0EEENS1_30default_config_static_selectorELNS0_4arch9wavefront6targetE1EEEvT1_, .Lfunc_end2303-_ZN7rocprim17ROCPRIM_400000_NS6detail17trampoline_kernelINS0_14default_configENS1_25partition_config_selectorILNS1_17partition_subalgoE0EyNS0_10empty_typeEbEEZZNS1_14partition_implILS5_0ELb0ES3_jN6thrust23THRUST_200600_302600_NS6detail15normal_iteratorINSA_10device_ptrIyEEEEPS6_SG_NS0_5tupleIJNSA_16discard_iteratorINSA_11use_defaultEEESK_EEENSH_IJSG_SG_EEES6_PlJ7is_evenIyEEEE10hipError_tPvRmT3_T4_T5_T6_T7_T9_mT8_P12ihipStream_tbDpT10_ENKUlT_T0_E_clISt17integral_constantIbLb0EES19_EEDaS14_S15_EUlS14_E_NS1_11comp_targetILNS1_3genE2ELNS1_11target_archE906ELNS1_3gpuE6ELNS1_3repE0EEENS1_30default_config_static_selectorELNS0_4arch9wavefront6targetE1EEEvT1_
                                        ; -- End function
	.section	.AMDGPU.csdata,"",@progbits
; Kernel info:
; codeLenInByte = 0
; NumSgprs: 4
; NumVgprs: 0
; NumAgprs: 0
; TotalNumVgprs: 0
; ScratchSize: 0
; MemoryBound: 0
; FloatMode: 240
; IeeeMode: 1
; LDSByteSize: 0 bytes/workgroup (compile time only)
; SGPRBlocks: 0
; VGPRBlocks: 0
; NumSGPRsForWavesPerEU: 4
; NumVGPRsForWavesPerEU: 1
; AccumOffset: 4
; Occupancy: 8
; WaveLimiterHint : 0
; COMPUTE_PGM_RSRC2:SCRATCH_EN: 0
; COMPUTE_PGM_RSRC2:USER_SGPR: 6
; COMPUTE_PGM_RSRC2:TRAP_HANDLER: 0
; COMPUTE_PGM_RSRC2:TGID_X_EN: 1
; COMPUTE_PGM_RSRC2:TGID_Y_EN: 0
; COMPUTE_PGM_RSRC2:TGID_Z_EN: 0
; COMPUTE_PGM_RSRC2:TIDIG_COMP_CNT: 0
; COMPUTE_PGM_RSRC3_GFX90A:ACCUM_OFFSET: 0
; COMPUTE_PGM_RSRC3_GFX90A:TG_SPLIT: 0
	.section	.text._ZN7rocprim17ROCPRIM_400000_NS6detail17trampoline_kernelINS0_14default_configENS1_25partition_config_selectorILNS1_17partition_subalgoE0EyNS0_10empty_typeEbEEZZNS1_14partition_implILS5_0ELb0ES3_jN6thrust23THRUST_200600_302600_NS6detail15normal_iteratorINSA_10device_ptrIyEEEEPS6_SG_NS0_5tupleIJNSA_16discard_iteratorINSA_11use_defaultEEESK_EEENSH_IJSG_SG_EEES6_PlJ7is_evenIyEEEE10hipError_tPvRmT3_T4_T5_T6_T7_T9_mT8_P12ihipStream_tbDpT10_ENKUlT_T0_E_clISt17integral_constantIbLb0EES19_EEDaS14_S15_EUlS14_E_NS1_11comp_targetILNS1_3genE10ELNS1_11target_archE1200ELNS1_3gpuE4ELNS1_3repE0EEENS1_30default_config_static_selectorELNS0_4arch9wavefront6targetE1EEEvT1_,"axG",@progbits,_ZN7rocprim17ROCPRIM_400000_NS6detail17trampoline_kernelINS0_14default_configENS1_25partition_config_selectorILNS1_17partition_subalgoE0EyNS0_10empty_typeEbEEZZNS1_14partition_implILS5_0ELb0ES3_jN6thrust23THRUST_200600_302600_NS6detail15normal_iteratorINSA_10device_ptrIyEEEEPS6_SG_NS0_5tupleIJNSA_16discard_iteratorINSA_11use_defaultEEESK_EEENSH_IJSG_SG_EEES6_PlJ7is_evenIyEEEE10hipError_tPvRmT3_T4_T5_T6_T7_T9_mT8_P12ihipStream_tbDpT10_ENKUlT_T0_E_clISt17integral_constantIbLb0EES19_EEDaS14_S15_EUlS14_E_NS1_11comp_targetILNS1_3genE10ELNS1_11target_archE1200ELNS1_3gpuE4ELNS1_3repE0EEENS1_30default_config_static_selectorELNS0_4arch9wavefront6targetE1EEEvT1_,comdat
	.protected	_ZN7rocprim17ROCPRIM_400000_NS6detail17trampoline_kernelINS0_14default_configENS1_25partition_config_selectorILNS1_17partition_subalgoE0EyNS0_10empty_typeEbEEZZNS1_14partition_implILS5_0ELb0ES3_jN6thrust23THRUST_200600_302600_NS6detail15normal_iteratorINSA_10device_ptrIyEEEEPS6_SG_NS0_5tupleIJNSA_16discard_iteratorINSA_11use_defaultEEESK_EEENSH_IJSG_SG_EEES6_PlJ7is_evenIyEEEE10hipError_tPvRmT3_T4_T5_T6_T7_T9_mT8_P12ihipStream_tbDpT10_ENKUlT_T0_E_clISt17integral_constantIbLb0EES19_EEDaS14_S15_EUlS14_E_NS1_11comp_targetILNS1_3genE10ELNS1_11target_archE1200ELNS1_3gpuE4ELNS1_3repE0EEENS1_30default_config_static_selectorELNS0_4arch9wavefront6targetE1EEEvT1_ ; -- Begin function _ZN7rocprim17ROCPRIM_400000_NS6detail17trampoline_kernelINS0_14default_configENS1_25partition_config_selectorILNS1_17partition_subalgoE0EyNS0_10empty_typeEbEEZZNS1_14partition_implILS5_0ELb0ES3_jN6thrust23THRUST_200600_302600_NS6detail15normal_iteratorINSA_10device_ptrIyEEEEPS6_SG_NS0_5tupleIJNSA_16discard_iteratorINSA_11use_defaultEEESK_EEENSH_IJSG_SG_EEES6_PlJ7is_evenIyEEEE10hipError_tPvRmT3_T4_T5_T6_T7_T9_mT8_P12ihipStream_tbDpT10_ENKUlT_T0_E_clISt17integral_constantIbLb0EES19_EEDaS14_S15_EUlS14_E_NS1_11comp_targetILNS1_3genE10ELNS1_11target_archE1200ELNS1_3gpuE4ELNS1_3repE0EEENS1_30default_config_static_selectorELNS0_4arch9wavefront6targetE1EEEvT1_
	.globl	_ZN7rocprim17ROCPRIM_400000_NS6detail17trampoline_kernelINS0_14default_configENS1_25partition_config_selectorILNS1_17partition_subalgoE0EyNS0_10empty_typeEbEEZZNS1_14partition_implILS5_0ELb0ES3_jN6thrust23THRUST_200600_302600_NS6detail15normal_iteratorINSA_10device_ptrIyEEEEPS6_SG_NS0_5tupleIJNSA_16discard_iteratorINSA_11use_defaultEEESK_EEENSH_IJSG_SG_EEES6_PlJ7is_evenIyEEEE10hipError_tPvRmT3_T4_T5_T6_T7_T9_mT8_P12ihipStream_tbDpT10_ENKUlT_T0_E_clISt17integral_constantIbLb0EES19_EEDaS14_S15_EUlS14_E_NS1_11comp_targetILNS1_3genE10ELNS1_11target_archE1200ELNS1_3gpuE4ELNS1_3repE0EEENS1_30default_config_static_selectorELNS0_4arch9wavefront6targetE1EEEvT1_
	.p2align	8
	.type	_ZN7rocprim17ROCPRIM_400000_NS6detail17trampoline_kernelINS0_14default_configENS1_25partition_config_selectorILNS1_17partition_subalgoE0EyNS0_10empty_typeEbEEZZNS1_14partition_implILS5_0ELb0ES3_jN6thrust23THRUST_200600_302600_NS6detail15normal_iteratorINSA_10device_ptrIyEEEEPS6_SG_NS0_5tupleIJNSA_16discard_iteratorINSA_11use_defaultEEESK_EEENSH_IJSG_SG_EEES6_PlJ7is_evenIyEEEE10hipError_tPvRmT3_T4_T5_T6_T7_T9_mT8_P12ihipStream_tbDpT10_ENKUlT_T0_E_clISt17integral_constantIbLb0EES19_EEDaS14_S15_EUlS14_E_NS1_11comp_targetILNS1_3genE10ELNS1_11target_archE1200ELNS1_3gpuE4ELNS1_3repE0EEENS1_30default_config_static_selectorELNS0_4arch9wavefront6targetE1EEEvT1_,@function
_ZN7rocprim17ROCPRIM_400000_NS6detail17trampoline_kernelINS0_14default_configENS1_25partition_config_selectorILNS1_17partition_subalgoE0EyNS0_10empty_typeEbEEZZNS1_14partition_implILS5_0ELb0ES3_jN6thrust23THRUST_200600_302600_NS6detail15normal_iteratorINSA_10device_ptrIyEEEEPS6_SG_NS0_5tupleIJNSA_16discard_iteratorINSA_11use_defaultEEESK_EEENSH_IJSG_SG_EEES6_PlJ7is_evenIyEEEE10hipError_tPvRmT3_T4_T5_T6_T7_T9_mT8_P12ihipStream_tbDpT10_ENKUlT_T0_E_clISt17integral_constantIbLb0EES19_EEDaS14_S15_EUlS14_E_NS1_11comp_targetILNS1_3genE10ELNS1_11target_archE1200ELNS1_3gpuE4ELNS1_3repE0EEENS1_30default_config_static_selectorELNS0_4arch9wavefront6targetE1EEEvT1_: ; @_ZN7rocprim17ROCPRIM_400000_NS6detail17trampoline_kernelINS0_14default_configENS1_25partition_config_selectorILNS1_17partition_subalgoE0EyNS0_10empty_typeEbEEZZNS1_14partition_implILS5_0ELb0ES3_jN6thrust23THRUST_200600_302600_NS6detail15normal_iteratorINSA_10device_ptrIyEEEEPS6_SG_NS0_5tupleIJNSA_16discard_iteratorINSA_11use_defaultEEESK_EEENSH_IJSG_SG_EEES6_PlJ7is_evenIyEEEE10hipError_tPvRmT3_T4_T5_T6_T7_T9_mT8_P12ihipStream_tbDpT10_ENKUlT_T0_E_clISt17integral_constantIbLb0EES19_EEDaS14_S15_EUlS14_E_NS1_11comp_targetILNS1_3genE10ELNS1_11target_archE1200ELNS1_3gpuE4ELNS1_3repE0EEENS1_30default_config_static_selectorELNS0_4arch9wavefront6targetE1EEEvT1_
; %bb.0:
	.section	.rodata,"a",@progbits
	.p2align	6, 0x0
	.amdhsa_kernel _ZN7rocprim17ROCPRIM_400000_NS6detail17trampoline_kernelINS0_14default_configENS1_25partition_config_selectorILNS1_17partition_subalgoE0EyNS0_10empty_typeEbEEZZNS1_14partition_implILS5_0ELb0ES3_jN6thrust23THRUST_200600_302600_NS6detail15normal_iteratorINSA_10device_ptrIyEEEEPS6_SG_NS0_5tupleIJNSA_16discard_iteratorINSA_11use_defaultEEESK_EEENSH_IJSG_SG_EEES6_PlJ7is_evenIyEEEE10hipError_tPvRmT3_T4_T5_T6_T7_T9_mT8_P12ihipStream_tbDpT10_ENKUlT_T0_E_clISt17integral_constantIbLb0EES19_EEDaS14_S15_EUlS14_E_NS1_11comp_targetILNS1_3genE10ELNS1_11target_archE1200ELNS1_3gpuE4ELNS1_3repE0EEENS1_30default_config_static_selectorELNS0_4arch9wavefront6targetE1EEEvT1_
		.amdhsa_group_segment_fixed_size 0
		.amdhsa_private_segment_fixed_size 0
		.amdhsa_kernarg_size 136
		.amdhsa_user_sgpr_count 6
		.amdhsa_user_sgpr_private_segment_buffer 1
		.amdhsa_user_sgpr_dispatch_ptr 0
		.amdhsa_user_sgpr_queue_ptr 0
		.amdhsa_user_sgpr_kernarg_segment_ptr 1
		.amdhsa_user_sgpr_dispatch_id 0
		.amdhsa_user_sgpr_flat_scratch_init 0
		.amdhsa_user_sgpr_kernarg_preload_length 0
		.amdhsa_user_sgpr_kernarg_preload_offset 0
		.amdhsa_user_sgpr_private_segment_size 0
		.amdhsa_uses_dynamic_stack 0
		.amdhsa_system_sgpr_private_segment_wavefront_offset 0
		.amdhsa_system_sgpr_workgroup_id_x 1
		.amdhsa_system_sgpr_workgroup_id_y 0
		.amdhsa_system_sgpr_workgroup_id_z 0
		.amdhsa_system_sgpr_workgroup_info 0
		.amdhsa_system_vgpr_workitem_id 0
		.amdhsa_next_free_vgpr 1
		.amdhsa_next_free_sgpr 0
		.amdhsa_accum_offset 4
		.amdhsa_reserve_vcc 0
		.amdhsa_reserve_flat_scratch 0
		.amdhsa_float_round_mode_32 0
		.amdhsa_float_round_mode_16_64 0
		.amdhsa_float_denorm_mode_32 3
		.amdhsa_float_denorm_mode_16_64 3
		.amdhsa_dx10_clamp 1
		.amdhsa_ieee_mode 1
		.amdhsa_fp16_overflow 0
		.amdhsa_tg_split 0
		.amdhsa_exception_fp_ieee_invalid_op 0
		.amdhsa_exception_fp_denorm_src 0
		.amdhsa_exception_fp_ieee_div_zero 0
		.amdhsa_exception_fp_ieee_overflow 0
		.amdhsa_exception_fp_ieee_underflow 0
		.amdhsa_exception_fp_ieee_inexact 0
		.amdhsa_exception_int_div_zero 0
	.end_amdhsa_kernel
	.section	.text._ZN7rocprim17ROCPRIM_400000_NS6detail17trampoline_kernelINS0_14default_configENS1_25partition_config_selectorILNS1_17partition_subalgoE0EyNS0_10empty_typeEbEEZZNS1_14partition_implILS5_0ELb0ES3_jN6thrust23THRUST_200600_302600_NS6detail15normal_iteratorINSA_10device_ptrIyEEEEPS6_SG_NS0_5tupleIJNSA_16discard_iteratorINSA_11use_defaultEEESK_EEENSH_IJSG_SG_EEES6_PlJ7is_evenIyEEEE10hipError_tPvRmT3_T4_T5_T6_T7_T9_mT8_P12ihipStream_tbDpT10_ENKUlT_T0_E_clISt17integral_constantIbLb0EES19_EEDaS14_S15_EUlS14_E_NS1_11comp_targetILNS1_3genE10ELNS1_11target_archE1200ELNS1_3gpuE4ELNS1_3repE0EEENS1_30default_config_static_selectorELNS0_4arch9wavefront6targetE1EEEvT1_,"axG",@progbits,_ZN7rocprim17ROCPRIM_400000_NS6detail17trampoline_kernelINS0_14default_configENS1_25partition_config_selectorILNS1_17partition_subalgoE0EyNS0_10empty_typeEbEEZZNS1_14partition_implILS5_0ELb0ES3_jN6thrust23THRUST_200600_302600_NS6detail15normal_iteratorINSA_10device_ptrIyEEEEPS6_SG_NS0_5tupleIJNSA_16discard_iteratorINSA_11use_defaultEEESK_EEENSH_IJSG_SG_EEES6_PlJ7is_evenIyEEEE10hipError_tPvRmT3_T4_T5_T6_T7_T9_mT8_P12ihipStream_tbDpT10_ENKUlT_T0_E_clISt17integral_constantIbLb0EES19_EEDaS14_S15_EUlS14_E_NS1_11comp_targetILNS1_3genE10ELNS1_11target_archE1200ELNS1_3gpuE4ELNS1_3repE0EEENS1_30default_config_static_selectorELNS0_4arch9wavefront6targetE1EEEvT1_,comdat
.Lfunc_end2304:
	.size	_ZN7rocprim17ROCPRIM_400000_NS6detail17trampoline_kernelINS0_14default_configENS1_25partition_config_selectorILNS1_17partition_subalgoE0EyNS0_10empty_typeEbEEZZNS1_14partition_implILS5_0ELb0ES3_jN6thrust23THRUST_200600_302600_NS6detail15normal_iteratorINSA_10device_ptrIyEEEEPS6_SG_NS0_5tupleIJNSA_16discard_iteratorINSA_11use_defaultEEESK_EEENSH_IJSG_SG_EEES6_PlJ7is_evenIyEEEE10hipError_tPvRmT3_T4_T5_T6_T7_T9_mT8_P12ihipStream_tbDpT10_ENKUlT_T0_E_clISt17integral_constantIbLb0EES19_EEDaS14_S15_EUlS14_E_NS1_11comp_targetILNS1_3genE10ELNS1_11target_archE1200ELNS1_3gpuE4ELNS1_3repE0EEENS1_30default_config_static_selectorELNS0_4arch9wavefront6targetE1EEEvT1_, .Lfunc_end2304-_ZN7rocprim17ROCPRIM_400000_NS6detail17trampoline_kernelINS0_14default_configENS1_25partition_config_selectorILNS1_17partition_subalgoE0EyNS0_10empty_typeEbEEZZNS1_14partition_implILS5_0ELb0ES3_jN6thrust23THRUST_200600_302600_NS6detail15normal_iteratorINSA_10device_ptrIyEEEEPS6_SG_NS0_5tupleIJNSA_16discard_iteratorINSA_11use_defaultEEESK_EEENSH_IJSG_SG_EEES6_PlJ7is_evenIyEEEE10hipError_tPvRmT3_T4_T5_T6_T7_T9_mT8_P12ihipStream_tbDpT10_ENKUlT_T0_E_clISt17integral_constantIbLb0EES19_EEDaS14_S15_EUlS14_E_NS1_11comp_targetILNS1_3genE10ELNS1_11target_archE1200ELNS1_3gpuE4ELNS1_3repE0EEENS1_30default_config_static_selectorELNS0_4arch9wavefront6targetE1EEEvT1_
                                        ; -- End function
	.section	.AMDGPU.csdata,"",@progbits
; Kernel info:
; codeLenInByte = 0
; NumSgprs: 4
; NumVgprs: 0
; NumAgprs: 0
; TotalNumVgprs: 0
; ScratchSize: 0
; MemoryBound: 0
; FloatMode: 240
; IeeeMode: 1
; LDSByteSize: 0 bytes/workgroup (compile time only)
; SGPRBlocks: 0
; VGPRBlocks: 0
; NumSGPRsForWavesPerEU: 4
; NumVGPRsForWavesPerEU: 1
; AccumOffset: 4
; Occupancy: 8
; WaveLimiterHint : 0
; COMPUTE_PGM_RSRC2:SCRATCH_EN: 0
; COMPUTE_PGM_RSRC2:USER_SGPR: 6
; COMPUTE_PGM_RSRC2:TRAP_HANDLER: 0
; COMPUTE_PGM_RSRC2:TGID_X_EN: 1
; COMPUTE_PGM_RSRC2:TGID_Y_EN: 0
; COMPUTE_PGM_RSRC2:TGID_Z_EN: 0
; COMPUTE_PGM_RSRC2:TIDIG_COMP_CNT: 0
; COMPUTE_PGM_RSRC3_GFX90A:ACCUM_OFFSET: 0
; COMPUTE_PGM_RSRC3_GFX90A:TG_SPLIT: 0
	.section	.text._ZN7rocprim17ROCPRIM_400000_NS6detail17trampoline_kernelINS0_14default_configENS1_25partition_config_selectorILNS1_17partition_subalgoE0EyNS0_10empty_typeEbEEZZNS1_14partition_implILS5_0ELb0ES3_jN6thrust23THRUST_200600_302600_NS6detail15normal_iteratorINSA_10device_ptrIyEEEEPS6_SG_NS0_5tupleIJNSA_16discard_iteratorINSA_11use_defaultEEESK_EEENSH_IJSG_SG_EEES6_PlJ7is_evenIyEEEE10hipError_tPvRmT3_T4_T5_T6_T7_T9_mT8_P12ihipStream_tbDpT10_ENKUlT_T0_E_clISt17integral_constantIbLb0EES19_EEDaS14_S15_EUlS14_E_NS1_11comp_targetILNS1_3genE9ELNS1_11target_archE1100ELNS1_3gpuE3ELNS1_3repE0EEENS1_30default_config_static_selectorELNS0_4arch9wavefront6targetE1EEEvT1_,"axG",@progbits,_ZN7rocprim17ROCPRIM_400000_NS6detail17trampoline_kernelINS0_14default_configENS1_25partition_config_selectorILNS1_17partition_subalgoE0EyNS0_10empty_typeEbEEZZNS1_14partition_implILS5_0ELb0ES3_jN6thrust23THRUST_200600_302600_NS6detail15normal_iteratorINSA_10device_ptrIyEEEEPS6_SG_NS0_5tupleIJNSA_16discard_iteratorINSA_11use_defaultEEESK_EEENSH_IJSG_SG_EEES6_PlJ7is_evenIyEEEE10hipError_tPvRmT3_T4_T5_T6_T7_T9_mT8_P12ihipStream_tbDpT10_ENKUlT_T0_E_clISt17integral_constantIbLb0EES19_EEDaS14_S15_EUlS14_E_NS1_11comp_targetILNS1_3genE9ELNS1_11target_archE1100ELNS1_3gpuE3ELNS1_3repE0EEENS1_30default_config_static_selectorELNS0_4arch9wavefront6targetE1EEEvT1_,comdat
	.protected	_ZN7rocprim17ROCPRIM_400000_NS6detail17trampoline_kernelINS0_14default_configENS1_25partition_config_selectorILNS1_17partition_subalgoE0EyNS0_10empty_typeEbEEZZNS1_14partition_implILS5_0ELb0ES3_jN6thrust23THRUST_200600_302600_NS6detail15normal_iteratorINSA_10device_ptrIyEEEEPS6_SG_NS0_5tupleIJNSA_16discard_iteratorINSA_11use_defaultEEESK_EEENSH_IJSG_SG_EEES6_PlJ7is_evenIyEEEE10hipError_tPvRmT3_T4_T5_T6_T7_T9_mT8_P12ihipStream_tbDpT10_ENKUlT_T0_E_clISt17integral_constantIbLb0EES19_EEDaS14_S15_EUlS14_E_NS1_11comp_targetILNS1_3genE9ELNS1_11target_archE1100ELNS1_3gpuE3ELNS1_3repE0EEENS1_30default_config_static_selectorELNS0_4arch9wavefront6targetE1EEEvT1_ ; -- Begin function _ZN7rocprim17ROCPRIM_400000_NS6detail17trampoline_kernelINS0_14default_configENS1_25partition_config_selectorILNS1_17partition_subalgoE0EyNS0_10empty_typeEbEEZZNS1_14partition_implILS5_0ELb0ES3_jN6thrust23THRUST_200600_302600_NS6detail15normal_iteratorINSA_10device_ptrIyEEEEPS6_SG_NS0_5tupleIJNSA_16discard_iteratorINSA_11use_defaultEEESK_EEENSH_IJSG_SG_EEES6_PlJ7is_evenIyEEEE10hipError_tPvRmT3_T4_T5_T6_T7_T9_mT8_P12ihipStream_tbDpT10_ENKUlT_T0_E_clISt17integral_constantIbLb0EES19_EEDaS14_S15_EUlS14_E_NS1_11comp_targetILNS1_3genE9ELNS1_11target_archE1100ELNS1_3gpuE3ELNS1_3repE0EEENS1_30default_config_static_selectorELNS0_4arch9wavefront6targetE1EEEvT1_
	.globl	_ZN7rocprim17ROCPRIM_400000_NS6detail17trampoline_kernelINS0_14default_configENS1_25partition_config_selectorILNS1_17partition_subalgoE0EyNS0_10empty_typeEbEEZZNS1_14partition_implILS5_0ELb0ES3_jN6thrust23THRUST_200600_302600_NS6detail15normal_iteratorINSA_10device_ptrIyEEEEPS6_SG_NS0_5tupleIJNSA_16discard_iteratorINSA_11use_defaultEEESK_EEENSH_IJSG_SG_EEES6_PlJ7is_evenIyEEEE10hipError_tPvRmT3_T4_T5_T6_T7_T9_mT8_P12ihipStream_tbDpT10_ENKUlT_T0_E_clISt17integral_constantIbLb0EES19_EEDaS14_S15_EUlS14_E_NS1_11comp_targetILNS1_3genE9ELNS1_11target_archE1100ELNS1_3gpuE3ELNS1_3repE0EEENS1_30default_config_static_selectorELNS0_4arch9wavefront6targetE1EEEvT1_
	.p2align	8
	.type	_ZN7rocprim17ROCPRIM_400000_NS6detail17trampoline_kernelINS0_14default_configENS1_25partition_config_selectorILNS1_17partition_subalgoE0EyNS0_10empty_typeEbEEZZNS1_14partition_implILS5_0ELb0ES3_jN6thrust23THRUST_200600_302600_NS6detail15normal_iteratorINSA_10device_ptrIyEEEEPS6_SG_NS0_5tupleIJNSA_16discard_iteratorINSA_11use_defaultEEESK_EEENSH_IJSG_SG_EEES6_PlJ7is_evenIyEEEE10hipError_tPvRmT3_T4_T5_T6_T7_T9_mT8_P12ihipStream_tbDpT10_ENKUlT_T0_E_clISt17integral_constantIbLb0EES19_EEDaS14_S15_EUlS14_E_NS1_11comp_targetILNS1_3genE9ELNS1_11target_archE1100ELNS1_3gpuE3ELNS1_3repE0EEENS1_30default_config_static_selectorELNS0_4arch9wavefront6targetE1EEEvT1_,@function
_ZN7rocprim17ROCPRIM_400000_NS6detail17trampoline_kernelINS0_14default_configENS1_25partition_config_selectorILNS1_17partition_subalgoE0EyNS0_10empty_typeEbEEZZNS1_14partition_implILS5_0ELb0ES3_jN6thrust23THRUST_200600_302600_NS6detail15normal_iteratorINSA_10device_ptrIyEEEEPS6_SG_NS0_5tupleIJNSA_16discard_iteratorINSA_11use_defaultEEESK_EEENSH_IJSG_SG_EEES6_PlJ7is_evenIyEEEE10hipError_tPvRmT3_T4_T5_T6_T7_T9_mT8_P12ihipStream_tbDpT10_ENKUlT_T0_E_clISt17integral_constantIbLb0EES19_EEDaS14_S15_EUlS14_E_NS1_11comp_targetILNS1_3genE9ELNS1_11target_archE1100ELNS1_3gpuE3ELNS1_3repE0EEENS1_30default_config_static_selectorELNS0_4arch9wavefront6targetE1EEEvT1_: ; @_ZN7rocprim17ROCPRIM_400000_NS6detail17trampoline_kernelINS0_14default_configENS1_25partition_config_selectorILNS1_17partition_subalgoE0EyNS0_10empty_typeEbEEZZNS1_14partition_implILS5_0ELb0ES3_jN6thrust23THRUST_200600_302600_NS6detail15normal_iteratorINSA_10device_ptrIyEEEEPS6_SG_NS0_5tupleIJNSA_16discard_iteratorINSA_11use_defaultEEESK_EEENSH_IJSG_SG_EEES6_PlJ7is_evenIyEEEE10hipError_tPvRmT3_T4_T5_T6_T7_T9_mT8_P12ihipStream_tbDpT10_ENKUlT_T0_E_clISt17integral_constantIbLb0EES19_EEDaS14_S15_EUlS14_E_NS1_11comp_targetILNS1_3genE9ELNS1_11target_archE1100ELNS1_3gpuE3ELNS1_3repE0EEENS1_30default_config_static_selectorELNS0_4arch9wavefront6targetE1EEEvT1_
; %bb.0:
	.section	.rodata,"a",@progbits
	.p2align	6, 0x0
	.amdhsa_kernel _ZN7rocprim17ROCPRIM_400000_NS6detail17trampoline_kernelINS0_14default_configENS1_25partition_config_selectorILNS1_17partition_subalgoE0EyNS0_10empty_typeEbEEZZNS1_14partition_implILS5_0ELb0ES3_jN6thrust23THRUST_200600_302600_NS6detail15normal_iteratorINSA_10device_ptrIyEEEEPS6_SG_NS0_5tupleIJNSA_16discard_iteratorINSA_11use_defaultEEESK_EEENSH_IJSG_SG_EEES6_PlJ7is_evenIyEEEE10hipError_tPvRmT3_T4_T5_T6_T7_T9_mT8_P12ihipStream_tbDpT10_ENKUlT_T0_E_clISt17integral_constantIbLb0EES19_EEDaS14_S15_EUlS14_E_NS1_11comp_targetILNS1_3genE9ELNS1_11target_archE1100ELNS1_3gpuE3ELNS1_3repE0EEENS1_30default_config_static_selectorELNS0_4arch9wavefront6targetE1EEEvT1_
		.amdhsa_group_segment_fixed_size 0
		.amdhsa_private_segment_fixed_size 0
		.amdhsa_kernarg_size 136
		.amdhsa_user_sgpr_count 6
		.amdhsa_user_sgpr_private_segment_buffer 1
		.amdhsa_user_sgpr_dispatch_ptr 0
		.amdhsa_user_sgpr_queue_ptr 0
		.amdhsa_user_sgpr_kernarg_segment_ptr 1
		.amdhsa_user_sgpr_dispatch_id 0
		.amdhsa_user_sgpr_flat_scratch_init 0
		.amdhsa_user_sgpr_kernarg_preload_length 0
		.amdhsa_user_sgpr_kernarg_preload_offset 0
		.amdhsa_user_sgpr_private_segment_size 0
		.amdhsa_uses_dynamic_stack 0
		.amdhsa_system_sgpr_private_segment_wavefront_offset 0
		.amdhsa_system_sgpr_workgroup_id_x 1
		.amdhsa_system_sgpr_workgroup_id_y 0
		.amdhsa_system_sgpr_workgroup_id_z 0
		.amdhsa_system_sgpr_workgroup_info 0
		.amdhsa_system_vgpr_workitem_id 0
		.amdhsa_next_free_vgpr 1
		.amdhsa_next_free_sgpr 0
		.amdhsa_accum_offset 4
		.amdhsa_reserve_vcc 0
		.amdhsa_reserve_flat_scratch 0
		.amdhsa_float_round_mode_32 0
		.amdhsa_float_round_mode_16_64 0
		.amdhsa_float_denorm_mode_32 3
		.amdhsa_float_denorm_mode_16_64 3
		.amdhsa_dx10_clamp 1
		.amdhsa_ieee_mode 1
		.amdhsa_fp16_overflow 0
		.amdhsa_tg_split 0
		.amdhsa_exception_fp_ieee_invalid_op 0
		.amdhsa_exception_fp_denorm_src 0
		.amdhsa_exception_fp_ieee_div_zero 0
		.amdhsa_exception_fp_ieee_overflow 0
		.amdhsa_exception_fp_ieee_underflow 0
		.amdhsa_exception_fp_ieee_inexact 0
		.amdhsa_exception_int_div_zero 0
	.end_amdhsa_kernel
	.section	.text._ZN7rocprim17ROCPRIM_400000_NS6detail17trampoline_kernelINS0_14default_configENS1_25partition_config_selectorILNS1_17partition_subalgoE0EyNS0_10empty_typeEbEEZZNS1_14partition_implILS5_0ELb0ES3_jN6thrust23THRUST_200600_302600_NS6detail15normal_iteratorINSA_10device_ptrIyEEEEPS6_SG_NS0_5tupleIJNSA_16discard_iteratorINSA_11use_defaultEEESK_EEENSH_IJSG_SG_EEES6_PlJ7is_evenIyEEEE10hipError_tPvRmT3_T4_T5_T6_T7_T9_mT8_P12ihipStream_tbDpT10_ENKUlT_T0_E_clISt17integral_constantIbLb0EES19_EEDaS14_S15_EUlS14_E_NS1_11comp_targetILNS1_3genE9ELNS1_11target_archE1100ELNS1_3gpuE3ELNS1_3repE0EEENS1_30default_config_static_selectorELNS0_4arch9wavefront6targetE1EEEvT1_,"axG",@progbits,_ZN7rocprim17ROCPRIM_400000_NS6detail17trampoline_kernelINS0_14default_configENS1_25partition_config_selectorILNS1_17partition_subalgoE0EyNS0_10empty_typeEbEEZZNS1_14partition_implILS5_0ELb0ES3_jN6thrust23THRUST_200600_302600_NS6detail15normal_iteratorINSA_10device_ptrIyEEEEPS6_SG_NS0_5tupleIJNSA_16discard_iteratorINSA_11use_defaultEEESK_EEENSH_IJSG_SG_EEES6_PlJ7is_evenIyEEEE10hipError_tPvRmT3_T4_T5_T6_T7_T9_mT8_P12ihipStream_tbDpT10_ENKUlT_T0_E_clISt17integral_constantIbLb0EES19_EEDaS14_S15_EUlS14_E_NS1_11comp_targetILNS1_3genE9ELNS1_11target_archE1100ELNS1_3gpuE3ELNS1_3repE0EEENS1_30default_config_static_selectorELNS0_4arch9wavefront6targetE1EEEvT1_,comdat
.Lfunc_end2305:
	.size	_ZN7rocprim17ROCPRIM_400000_NS6detail17trampoline_kernelINS0_14default_configENS1_25partition_config_selectorILNS1_17partition_subalgoE0EyNS0_10empty_typeEbEEZZNS1_14partition_implILS5_0ELb0ES3_jN6thrust23THRUST_200600_302600_NS6detail15normal_iteratorINSA_10device_ptrIyEEEEPS6_SG_NS0_5tupleIJNSA_16discard_iteratorINSA_11use_defaultEEESK_EEENSH_IJSG_SG_EEES6_PlJ7is_evenIyEEEE10hipError_tPvRmT3_T4_T5_T6_T7_T9_mT8_P12ihipStream_tbDpT10_ENKUlT_T0_E_clISt17integral_constantIbLb0EES19_EEDaS14_S15_EUlS14_E_NS1_11comp_targetILNS1_3genE9ELNS1_11target_archE1100ELNS1_3gpuE3ELNS1_3repE0EEENS1_30default_config_static_selectorELNS0_4arch9wavefront6targetE1EEEvT1_, .Lfunc_end2305-_ZN7rocprim17ROCPRIM_400000_NS6detail17trampoline_kernelINS0_14default_configENS1_25partition_config_selectorILNS1_17partition_subalgoE0EyNS0_10empty_typeEbEEZZNS1_14partition_implILS5_0ELb0ES3_jN6thrust23THRUST_200600_302600_NS6detail15normal_iteratorINSA_10device_ptrIyEEEEPS6_SG_NS0_5tupleIJNSA_16discard_iteratorINSA_11use_defaultEEESK_EEENSH_IJSG_SG_EEES6_PlJ7is_evenIyEEEE10hipError_tPvRmT3_T4_T5_T6_T7_T9_mT8_P12ihipStream_tbDpT10_ENKUlT_T0_E_clISt17integral_constantIbLb0EES19_EEDaS14_S15_EUlS14_E_NS1_11comp_targetILNS1_3genE9ELNS1_11target_archE1100ELNS1_3gpuE3ELNS1_3repE0EEENS1_30default_config_static_selectorELNS0_4arch9wavefront6targetE1EEEvT1_
                                        ; -- End function
	.section	.AMDGPU.csdata,"",@progbits
; Kernel info:
; codeLenInByte = 0
; NumSgprs: 4
; NumVgprs: 0
; NumAgprs: 0
; TotalNumVgprs: 0
; ScratchSize: 0
; MemoryBound: 0
; FloatMode: 240
; IeeeMode: 1
; LDSByteSize: 0 bytes/workgroup (compile time only)
; SGPRBlocks: 0
; VGPRBlocks: 0
; NumSGPRsForWavesPerEU: 4
; NumVGPRsForWavesPerEU: 1
; AccumOffset: 4
; Occupancy: 8
; WaveLimiterHint : 0
; COMPUTE_PGM_RSRC2:SCRATCH_EN: 0
; COMPUTE_PGM_RSRC2:USER_SGPR: 6
; COMPUTE_PGM_RSRC2:TRAP_HANDLER: 0
; COMPUTE_PGM_RSRC2:TGID_X_EN: 1
; COMPUTE_PGM_RSRC2:TGID_Y_EN: 0
; COMPUTE_PGM_RSRC2:TGID_Z_EN: 0
; COMPUTE_PGM_RSRC2:TIDIG_COMP_CNT: 0
; COMPUTE_PGM_RSRC3_GFX90A:ACCUM_OFFSET: 0
; COMPUTE_PGM_RSRC3_GFX90A:TG_SPLIT: 0
	.section	.text._ZN7rocprim17ROCPRIM_400000_NS6detail17trampoline_kernelINS0_14default_configENS1_25partition_config_selectorILNS1_17partition_subalgoE0EyNS0_10empty_typeEbEEZZNS1_14partition_implILS5_0ELb0ES3_jN6thrust23THRUST_200600_302600_NS6detail15normal_iteratorINSA_10device_ptrIyEEEEPS6_SG_NS0_5tupleIJNSA_16discard_iteratorINSA_11use_defaultEEESK_EEENSH_IJSG_SG_EEES6_PlJ7is_evenIyEEEE10hipError_tPvRmT3_T4_T5_T6_T7_T9_mT8_P12ihipStream_tbDpT10_ENKUlT_T0_E_clISt17integral_constantIbLb0EES19_EEDaS14_S15_EUlS14_E_NS1_11comp_targetILNS1_3genE8ELNS1_11target_archE1030ELNS1_3gpuE2ELNS1_3repE0EEENS1_30default_config_static_selectorELNS0_4arch9wavefront6targetE1EEEvT1_,"axG",@progbits,_ZN7rocprim17ROCPRIM_400000_NS6detail17trampoline_kernelINS0_14default_configENS1_25partition_config_selectorILNS1_17partition_subalgoE0EyNS0_10empty_typeEbEEZZNS1_14partition_implILS5_0ELb0ES3_jN6thrust23THRUST_200600_302600_NS6detail15normal_iteratorINSA_10device_ptrIyEEEEPS6_SG_NS0_5tupleIJNSA_16discard_iteratorINSA_11use_defaultEEESK_EEENSH_IJSG_SG_EEES6_PlJ7is_evenIyEEEE10hipError_tPvRmT3_T4_T5_T6_T7_T9_mT8_P12ihipStream_tbDpT10_ENKUlT_T0_E_clISt17integral_constantIbLb0EES19_EEDaS14_S15_EUlS14_E_NS1_11comp_targetILNS1_3genE8ELNS1_11target_archE1030ELNS1_3gpuE2ELNS1_3repE0EEENS1_30default_config_static_selectorELNS0_4arch9wavefront6targetE1EEEvT1_,comdat
	.protected	_ZN7rocprim17ROCPRIM_400000_NS6detail17trampoline_kernelINS0_14default_configENS1_25partition_config_selectorILNS1_17partition_subalgoE0EyNS0_10empty_typeEbEEZZNS1_14partition_implILS5_0ELb0ES3_jN6thrust23THRUST_200600_302600_NS6detail15normal_iteratorINSA_10device_ptrIyEEEEPS6_SG_NS0_5tupleIJNSA_16discard_iteratorINSA_11use_defaultEEESK_EEENSH_IJSG_SG_EEES6_PlJ7is_evenIyEEEE10hipError_tPvRmT3_T4_T5_T6_T7_T9_mT8_P12ihipStream_tbDpT10_ENKUlT_T0_E_clISt17integral_constantIbLb0EES19_EEDaS14_S15_EUlS14_E_NS1_11comp_targetILNS1_3genE8ELNS1_11target_archE1030ELNS1_3gpuE2ELNS1_3repE0EEENS1_30default_config_static_selectorELNS0_4arch9wavefront6targetE1EEEvT1_ ; -- Begin function _ZN7rocprim17ROCPRIM_400000_NS6detail17trampoline_kernelINS0_14default_configENS1_25partition_config_selectorILNS1_17partition_subalgoE0EyNS0_10empty_typeEbEEZZNS1_14partition_implILS5_0ELb0ES3_jN6thrust23THRUST_200600_302600_NS6detail15normal_iteratorINSA_10device_ptrIyEEEEPS6_SG_NS0_5tupleIJNSA_16discard_iteratorINSA_11use_defaultEEESK_EEENSH_IJSG_SG_EEES6_PlJ7is_evenIyEEEE10hipError_tPvRmT3_T4_T5_T6_T7_T9_mT8_P12ihipStream_tbDpT10_ENKUlT_T0_E_clISt17integral_constantIbLb0EES19_EEDaS14_S15_EUlS14_E_NS1_11comp_targetILNS1_3genE8ELNS1_11target_archE1030ELNS1_3gpuE2ELNS1_3repE0EEENS1_30default_config_static_selectorELNS0_4arch9wavefront6targetE1EEEvT1_
	.globl	_ZN7rocprim17ROCPRIM_400000_NS6detail17trampoline_kernelINS0_14default_configENS1_25partition_config_selectorILNS1_17partition_subalgoE0EyNS0_10empty_typeEbEEZZNS1_14partition_implILS5_0ELb0ES3_jN6thrust23THRUST_200600_302600_NS6detail15normal_iteratorINSA_10device_ptrIyEEEEPS6_SG_NS0_5tupleIJNSA_16discard_iteratorINSA_11use_defaultEEESK_EEENSH_IJSG_SG_EEES6_PlJ7is_evenIyEEEE10hipError_tPvRmT3_T4_T5_T6_T7_T9_mT8_P12ihipStream_tbDpT10_ENKUlT_T0_E_clISt17integral_constantIbLb0EES19_EEDaS14_S15_EUlS14_E_NS1_11comp_targetILNS1_3genE8ELNS1_11target_archE1030ELNS1_3gpuE2ELNS1_3repE0EEENS1_30default_config_static_selectorELNS0_4arch9wavefront6targetE1EEEvT1_
	.p2align	8
	.type	_ZN7rocprim17ROCPRIM_400000_NS6detail17trampoline_kernelINS0_14default_configENS1_25partition_config_selectorILNS1_17partition_subalgoE0EyNS0_10empty_typeEbEEZZNS1_14partition_implILS5_0ELb0ES3_jN6thrust23THRUST_200600_302600_NS6detail15normal_iteratorINSA_10device_ptrIyEEEEPS6_SG_NS0_5tupleIJNSA_16discard_iteratorINSA_11use_defaultEEESK_EEENSH_IJSG_SG_EEES6_PlJ7is_evenIyEEEE10hipError_tPvRmT3_T4_T5_T6_T7_T9_mT8_P12ihipStream_tbDpT10_ENKUlT_T0_E_clISt17integral_constantIbLb0EES19_EEDaS14_S15_EUlS14_E_NS1_11comp_targetILNS1_3genE8ELNS1_11target_archE1030ELNS1_3gpuE2ELNS1_3repE0EEENS1_30default_config_static_selectorELNS0_4arch9wavefront6targetE1EEEvT1_,@function
_ZN7rocprim17ROCPRIM_400000_NS6detail17trampoline_kernelINS0_14default_configENS1_25partition_config_selectorILNS1_17partition_subalgoE0EyNS0_10empty_typeEbEEZZNS1_14partition_implILS5_0ELb0ES3_jN6thrust23THRUST_200600_302600_NS6detail15normal_iteratorINSA_10device_ptrIyEEEEPS6_SG_NS0_5tupleIJNSA_16discard_iteratorINSA_11use_defaultEEESK_EEENSH_IJSG_SG_EEES6_PlJ7is_evenIyEEEE10hipError_tPvRmT3_T4_T5_T6_T7_T9_mT8_P12ihipStream_tbDpT10_ENKUlT_T0_E_clISt17integral_constantIbLb0EES19_EEDaS14_S15_EUlS14_E_NS1_11comp_targetILNS1_3genE8ELNS1_11target_archE1030ELNS1_3gpuE2ELNS1_3repE0EEENS1_30default_config_static_selectorELNS0_4arch9wavefront6targetE1EEEvT1_: ; @_ZN7rocprim17ROCPRIM_400000_NS6detail17trampoline_kernelINS0_14default_configENS1_25partition_config_selectorILNS1_17partition_subalgoE0EyNS0_10empty_typeEbEEZZNS1_14partition_implILS5_0ELb0ES3_jN6thrust23THRUST_200600_302600_NS6detail15normal_iteratorINSA_10device_ptrIyEEEEPS6_SG_NS0_5tupleIJNSA_16discard_iteratorINSA_11use_defaultEEESK_EEENSH_IJSG_SG_EEES6_PlJ7is_evenIyEEEE10hipError_tPvRmT3_T4_T5_T6_T7_T9_mT8_P12ihipStream_tbDpT10_ENKUlT_T0_E_clISt17integral_constantIbLb0EES19_EEDaS14_S15_EUlS14_E_NS1_11comp_targetILNS1_3genE8ELNS1_11target_archE1030ELNS1_3gpuE2ELNS1_3repE0EEENS1_30default_config_static_selectorELNS0_4arch9wavefront6targetE1EEEvT1_
; %bb.0:
	.section	.rodata,"a",@progbits
	.p2align	6, 0x0
	.amdhsa_kernel _ZN7rocprim17ROCPRIM_400000_NS6detail17trampoline_kernelINS0_14default_configENS1_25partition_config_selectorILNS1_17partition_subalgoE0EyNS0_10empty_typeEbEEZZNS1_14partition_implILS5_0ELb0ES3_jN6thrust23THRUST_200600_302600_NS6detail15normal_iteratorINSA_10device_ptrIyEEEEPS6_SG_NS0_5tupleIJNSA_16discard_iteratorINSA_11use_defaultEEESK_EEENSH_IJSG_SG_EEES6_PlJ7is_evenIyEEEE10hipError_tPvRmT3_T4_T5_T6_T7_T9_mT8_P12ihipStream_tbDpT10_ENKUlT_T0_E_clISt17integral_constantIbLb0EES19_EEDaS14_S15_EUlS14_E_NS1_11comp_targetILNS1_3genE8ELNS1_11target_archE1030ELNS1_3gpuE2ELNS1_3repE0EEENS1_30default_config_static_selectorELNS0_4arch9wavefront6targetE1EEEvT1_
		.amdhsa_group_segment_fixed_size 0
		.amdhsa_private_segment_fixed_size 0
		.amdhsa_kernarg_size 136
		.amdhsa_user_sgpr_count 6
		.amdhsa_user_sgpr_private_segment_buffer 1
		.amdhsa_user_sgpr_dispatch_ptr 0
		.amdhsa_user_sgpr_queue_ptr 0
		.amdhsa_user_sgpr_kernarg_segment_ptr 1
		.amdhsa_user_sgpr_dispatch_id 0
		.amdhsa_user_sgpr_flat_scratch_init 0
		.amdhsa_user_sgpr_kernarg_preload_length 0
		.amdhsa_user_sgpr_kernarg_preload_offset 0
		.amdhsa_user_sgpr_private_segment_size 0
		.amdhsa_uses_dynamic_stack 0
		.amdhsa_system_sgpr_private_segment_wavefront_offset 0
		.amdhsa_system_sgpr_workgroup_id_x 1
		.amdhsa_system_sgpr_workgroup_id_y 0
		.amdhsa_system_sgpr_workgroup_id_z 0
		.amdhsa_system_sgpr_workgroup_info 0
		.amdhsa_system_vgpr_workitem_id 0
		.amdhsa_next_free_vgpr 1
		.amdhsa_next_free_sgpr 0
		.amdhsa_accum_offset 4
		.amdhsa_reserve_vcc 0
		.amdhsa_reserve_flat_scratch 0
		.amdhsa_float_round_mode_32 0
		.amdhsa_float_round_mode_16_64 0
		.amdhsa_float_denorm_mode_32 3
		.amdhsa_float_denorm_mode_16_64 3
		.amdhsa_dx10_clamp 1
		.amdhsa_ieee_mode 1
		.amdhsa_fp16_overflow 0
		.amdhsa_tg_split 0
		.amdhsa_exception_fp_ieee_invalid_op 0
		.amdhsa_exception_fp_denorm_src 0
		.amdhsa_exception_fp_ieee_div_zero 0
		.amdhsa_exception_fp_ieee_overflow 0
		.amdhsa_exception_fp_ieee_underflow 0
		.amdhsa_exception_fp_ieee_inexact 0
		.amdhsa_exception_int_div_zero 0
	.end_amdhsa_kernel
	.section	.text._ZN7rocprim17ROCPRIM_400000_NS6detail17trampoline_kernelINS0_14default_configENS1_25partition_config_selectorILNS1_17partition_subalgoE0EyNS0_10empty_typeEbEEZZNS1_14partition_implILS5_0ELb0ES3_jN6thrust23THRUST_200600_302600_NS6detail15normal_iteratorINSA_10device_ptrIyEEEEPS6_SG_NS0_5tupleIJNSA_16discard_iteratorINSA_11use_defaultEEESK_EEENSH_IJSG_SG_EEES6_PlJ7is_evenIyEEEE10hipError_tPvRmT3_T4_T5_T6_T7_T9_mT8_P12ihipStream_tbDpT10_ENKUlT_T0_E_clISt17integral_constantIbLb0EES19_EEDaS14_S15_EUlS14_E_NS1_11comp_targetILNS1_3genE8ELNS1_11target_archE1030ELNS1_3gpuE2ELNS1_3repE0EEENS1_30default_config_static_selectorELNS0_4arch9wavefront6targetE1EEEvT1_,"axG",@progbits,_ZN7rocprim17ROCPRIM_400000_NS6detail17trampoline_kernelINS0_14default_configENS1_25partition_config_selectorILNS1_17partition_subalgoE0EyNS0_10empty_typeEbEEZZNS1_14partition_implILS5_0ELb0ES3_jN6thrust23THRUST_200600_302600_NS6detail15normal_iteratorINSA_10device_ptrIyEEEEPS6_SG_NS0_5tupleIJNSA_16discard_iteratorINSA_11use_defaultEEESK_EEENSH_IJSG_SG_EEES6_PlJ7is_evenIyEEEE10hipError_tPvRmT3_T4_T5_T6_T7_T9_mT8_P12ihipStream_tbDpT10_ENKUlT_T0_E_clISt17integral_constantIbLb0EES19_EEDaS14_S15_EUlS14_E_NS1_11comp_targetILNS1_3genE8ELNS1_11target_archE1030ELNS1_3gpuE2ELNS1_3repE0EEENS1_30default_config_static_selectorELNS0_4arch9wavefront6targetE1EEEvT1_,comdat
.Lfunc_end2306:
	.size	_ZN7rocprim17ROCPRIM_400000_NS6detail17trampoline_kernelINS0_14default_configENS1_25partition_config_selectorILNS1_17partition_subalgoE0EyNS0_10empty_typeEbEEZZNS1_14partition_implILS5_0ELb0ES3_jN6thrust23THRUST_200600_302600_NS6detail15normal_iteratorINSA_10device_ptrIyEEEEPS6_SG_NS0_5tupleIJNSA_16discard_iteratorINSA_11use_defaultEEESK_EEENSH_IJSG_SG_EEES6_PlJ7is_evenIyEEEE10hipError_tPvRmT3_T4_T5_T6_T7_T9_mT8_P12ihipStream_tbDpT10_ENKUlT_T0_E_clISt17integral_constantIbLb0EES19_EEDaS14_S15_EUlS14_E_NS1_11comp_targetILNS1_3genE8ELNS1_11target_archE1030ELNS1_3gpuE2ELNS1_3repE0EEENS1_30default_config_static_selectorELNS0_4arch9wavefront6targetE1EEEvT1_, .Lfunc_end2306-_ZN7rocprim17ROCPRIM_400000_NS6detail17trampoline_kernelINS0_14default_configENS1_25partition_config_selectorILNS1_17partition_subalgoE0EyNS0_10empty_typeEbEEZZNS1_14partition_implILS5_0ELb0ES3_jN6thrust23THRUST_200600_302600_NS6detail15normal_iteratorINSA_10device_ptrIyEEEEPS6_SG_NS0_5tupleIJNSA_16discard_iteratorINSA_11use_defaultEEESK_EEENSH_IJSG_SG_EEES6_PlJ7is_evenIyEEEE10hipError_tPvRmT3_T4_T5_T6_T7_T9_mT8_P12ihipStream_tbDpT10_ENKUlT_T0_E_clISt17integral_constantIbLb0EES19_EEDaS14_S15_EUlS14_E_NS1_11comp_targetILNS1_3genE8ELNS1_11target_archE1030ELNS1_3gpuE2ELNS1_3repE0EEENS1_30default_config_static_selectorELNS0_4arch9wavefront6targetE1EEEvT1_
                                        ; -- End function
	.section	.AMDGPU.csdata,"",@progbits
; Kernel info:
; codeLenInByte = 0
; NumSgprs: 4
; NumVgprs: 0
; NumAgprs: 0
; TotalNumVgprs: 0
; ScratchSize: 0
; MemoryBound: 0
; FloatMode: 240
; IeeeMode: 1
; LDSByteSize: 0 bytes/workgroup (compile time only)
; SGPRBlocks: 0
; VGPRBlocks: 0
; NumSGPRsForWavesPerEU: 4
; NumVGPRsForWavesPerEU: 1
; AccumOffset: 4
; Occupancy: 8
; WaveLimiterHint : 0
; COMPUTE_PGM_RSRC2:SCRATCH_EN: 0
; COMPUTE_PGM_RSRC2:USER_SGPR: 6
; COMPUTE_PGM_RSRC2:TRAP_HANDLER: 0
; COMPUTE_PGM_RSRC2:TGID_X_EN: 1
; COMPUTE_PGM_RSRC2:TGID_Y_EN: 0
; COMPUTE_PGM_RSRC2:TGID_Z_EN: 0
; COMPUTE_PGM_RSRC2:TIDIG_COMP_CNT: 0
; COMPUTE_PGM_RSRC3_GFX90A:ACCUM_OFFSET: 0
; COMPUTE_PGM_RSRC3_GFX90A:TG_SPLIT: 0
	.section	.text._ZN7rocprim17ROCPRIM_400000_NS6detail17trampoline_kernelINS0_14default_configENS1_25partition_config_selectorILNS1_17partition_subalgoE0EyNS0_10empty_typeEbEEZZNS1_14partition_implILS5_0ELb0ES3_jN6thrust23THRUST_200600_302600_NS6detail15normal_iteratorINSA_10device_ptrIyEEEEPS6_SG_NS0_5tupleIJNSA_16discard_iteratorINSA_11use_defaultEEESK_EEENSH_IJSG_SG_EEES6_PlJ7is_evenIyEEEE10hipError_tPvRmT3_T4_T5_T6_T7_T9_mT8_P12ihipStream_tbDpT10_ENKUlT_T0_E_clISt17integral_constantIbLb1EES19_EEDaS14_S15_EUlS14_E_NS1_11comp_targetILNS1_3genE0ELNS1_11target_archE4294967295ELNS1_3gpuE0ELNS1_3repE0EEENS1_30default_config_static_selectorELNS0_4arch9wavefront6targetE1EEEvT1_,"axG",@progbits,_ZN7rocprim17ROCPRIM_400000_NS6detail17trampoline_kernelINS0_14default_configENS1_25partition_config_selectorILNS1_17partition_subalgoE0EyNS0_10empty_typeEbEEZZNS1_14partition_implILS5_0ELb0ES3_jN6thrust23THRUST_200600_302600_NS6detail15normal_iteratorINSA_10device_ptrIyEEEEPS6_SG_NS0_5tupleIJNSA_16discard_iteratorINSA_11use_defaultEEESK_EEENSH_IJSG_SG_EEES6_PlJ7is_evenIyEEEE10hipError_tPvRmT3_T4_T5_T6_T7_T9_mT8_P12ihipStream_tbDpT10_ENKUlT_T0_E_clISt17integral_constantIbLb1EES19_EEDaS14_S15_EUlS14_E_NS1_11comp_targetILNS1_3genE0ELNS1_11target_archE4294967295ELNS1_3gpuE0ELNS1_3repE0EEENS1_30default_config_static_selectorELNS0_4arch9wavefront6targetE1EEEvT1_,comdat
	.protected	_ZN7rocprim17ROCPRIM_400000_NS6detail17trampoline_kernelINS0_14default_configENS1_25partition_config_selectorILNS1_17partition_subalgoE0EyNS0_10empty_typeEbEEZZNS1_14partition_implILS5_0ELb0ES3_jN6thrust23THRUST_200600_302600_NS6detail15normal_iteratorINSA_10device_ptrIyEEEEPS6_SG_NS0_5tupleIJNSA_16discard_iteratorINSA_11use_defaultEEESK_EEENSH_IJSG_SG_EEES6_PlJ7is_evenIyEEEE10hipError_tPvRmT3_T4_T5_T6_T7_T9_mT8_P12ihipStream_tbDpT10_ENKUlT_T0_E_clISt17integral_constantIbLb1EES19_EEDaS14_S15_EUlS14_E_NS1_11comp_targetILNS1_3genE0ELNS1_11target_archE4294967295ELNS1_3gpuE0ELNS1_3repE0EEENS1_30default_config_static_selectorELNS0_4arch9wavefront6targetE1EEEvT1_ ; -- Begin function _ZN7rocprim17ROCPRIM_400000_NS6detail17trampoline_kernelINS0_14default_configENS1_25partition_config_selectorILNS1_17partition_subalgoE0EyNS0_10empty_typeEbEEZZNS1_14partition_implILS5_0ELb0ES3_jN6thrust23THRUST_200600_302600_NS6detail15normal_iteratorINSA_10device_ptrIyEEEEPS6_SG_NS0_5tupleIJNSA_16discard_iteratorINSA_11use_defaultEEESK_EEENSH_IJSG_SG_EEES6_PlJ7is_evenIyEEEE10hipError_tPvRmT3_T4_T5_T6_T7_T9_mT8_P12ihipStream_tbDpT10_ENKUlT_T0_E_clISt17integral_constantIbLb1EES19_EEDaS14_S15_EUlS14_E_NS1_11comp_targetILNS1_3genE0ELNS1_11target_archE4294967295ELNS1_3gpuE0ELNS1_3repE0EEENS1_30default_config_static_selectorELNS0_4arch9wavefront6targetE1EEEvT1_
	.globl	_ZN7rocprim17ROCPRIM_400000_NS6detail17trampoline_kernelINS0_14default_configENS1_25partition_config_selectorILNS1_17partition_subalgoE0EyNS0_10empty_typeEbEEZZNS1_14partition_implILS5_0ELb0ES3_jN6thrust23THRUST_200600_302600_NS6detail15normal_iteratorINSA_10device_ptrIyEEEEPS6_SG_NS0_5tupleIJNSA_16discard_iteratorINSA_11use_defaultEEESK_EEENSH_IJSG_SG_EEES6_PlJ7is_evenIyEEEE10hipError_tPvRmT3_T4_T5_T6_T7_T9_mT8_P12ihipStream_tbDpT10_ENKUlT_T0_E_clISt17integral_constantIbLb1EES19_EEDaS14_S15_EUlS14_E_NS1_11comp_targetILNS1_3genE0ELNS1_11target_archE4294967295ELNS1_3gpuE0ELNS1_3repE0EEENS1_30default_config_static_selectorELNS0_4arch9wavefront6targetE1EEEvT1_
	.p2align	8
	.type	_ZN7rocprim17ROCPRIM_400000_NS6detail17trampoline_kernelINS0_14default_configENS1_25partition_config_selectorILNS1_17partition_subalgoE0EyNS0_10empty_typeEbEEZZNS1_14partition_implILS5_0ELb0ES3_jN6thrust23THRUST_200600_302600_NS6detail15normal_iteratorINSA_10device_ptrIyEEEEPS6_SG_NS0_5tupleIJNSA_16discard_iteratorINSA_11use_defaultEEESK_EEENSH_IJSG_SG_EEES6_PlJ7is_evenIyEEEE10hipError_tPvRmT3_T4_T5_T6_T7_T9_mT8_P12ihipStream_tbDpT10_ENKUlT_T0_E_clISt17integral_constantIbLb1EES19_EEDaS14_S15_EUlS14_E_NS1_11comp_targetILNS1_3genE0ELNS1_11target_archE4294967295ELNS1_3gpuE0ELNS1_3repE0EEENS1_30default_config_static_selectorELNS0_4arch9wavefront6targetE1EEEvT1_,@function
_ZN7rocprim17ROCPRIM_400000_NS6detail17trampoline_kernelINS0_14default_configENS1_25partition_config_selectorILNS1_17partition_subalgoE0EyNS0_10empty_typeEbEEZZNS1_14partition_implILS5_0ELb0ES3_jN6thrust23THRUST_200600_302600_NS6detail15normal_iteratorINSA_10device_ptrIyEEEEPS6_SG_NS0_5tupleIJNSA_16discard_iteratorINSA_11use_defaultEEESK_EEENSH_IJSG_SG_EEES6_PlJ7is_evenIyEEEE10hipError_tPvRmT3_T4_T5_T6_T7_T9_mT8_P12ihipStream_tbDpT10_ENKUlT_T0_E_clISt17integral_constantIbLb1EES19_EEDaS14_S15_EUlS14_E_NS1_11comp_targetILNS1_3genE0ELNS1_11target_archE4294967295ELNS1_3gpuE0ELNS1_3repE0EEENS1_30default_config_static_selectorELNS0_4arch9wavefront6targetE1EEEvT1_: ; @_ZN7rocprim17ROCPRIM_400000_NS6detail17trampoline_kernelINS0_14default_configENS1_25partition_config_selectorILNS1_17partition_subalgoE0EyNS0_10empty_typeEbEEZZNS1_14partition_implILS5_0ELb0ES3_jN6thrust23THRUST_200600_302600_NS6detail15normal_iteratorINSA_10device_ptrIyEEEEPS6_SG_NS0_5tupleIJNSA_16discard_iteratorINSA_11use_defaultEEESK_EEENSH_IJSG_SG_EEES6_PlJ7is_evenIyEEEE10hipError_tPvRmT3_T4_T5_T6_T7_T9_mT8_P12ihipStream_tbDpT10_ENKUlT_T0_E_clISt17integral_constantIbLb1EES19_EEDaS14_S15_EUlS14_E_NS1_11comp_targetILNS1_3genE0ELNS1_11target_archE4294967295ELNS1_3gpuE0ELNS1_3repE0EEENS1_30default_config_static_selectorELNS0_4arch9wavefront6targetE1EEEvT1_
; %bb.0:
	.section	.rodata,"a",@progbits
	.p2align	6, 0x0
	.amdhsa_kernel _ZN7rocprim17ROCPRIM_400000_NS6detail17trampoline_kernelINS0_14default_configENS1_25partition_config_selectorILNS1_17partition_subalgoE0EyNS0_10empty_typeEbEEZZNS1_14partition_implILS5_0ELb0ES3_jN6thrust23THRUST_200600_302600_NS6detail15normal_iteratorINSA_10device_ptrIyEEEEPS6_SG_NS0_5tupleIJNSA_16discard_iteratorINSA_11use_defaultEEESK_EEENSH_IJSG_SG_EEES6_PlJ7is_evenIyEEEE10hipError_tPvRmT3_T4_T5_T6_T7_T9_mT8_P12ihipStream_tbDpT10_ENKUlT_T0_E_clISt17integral_constantIbLb1EES19_EEDaS14_S15_EUlS14_E_NS1_11comp_targetILNS1_3genE0ELNS1_11target_archE4294967295ELNS1_3gpuE0ELNS1_3repE0EEENS1_30default_config_static_selectorELNS0_4arch9wavefront6targetE1EEEvT1_
		.amdhsa_group_segment_fixed_size 0
		.amdhsa_private_segment_fixed_size 0
		.amdhsa_kernarg_size 152
		.amdhsa_user_sgpr_count 6
		.amdhsa_user_sgpr_private_segment_buffer 1
		.amdhsa_user_sgpr_dispatch_ptr 0
		.amdhsa_user_sgpr_queue_ptr 0
		.amdhsa_user_sgpr_kernarg_segment_ptr 1
		.amdhsa_user_sgpr_dispatch_id 0
		.amdhsa_user_sgpr_flat_scratch_init 0
		.amdhsa_user_sgpr_kernarg_preload_length 0
		.amdhsa_user_sgpr_kernarg_preload_offset 0
		.amdhsa_user_sgpr_private_segment_size 0
		.amdhsa_uses_dynamic_stack 0
		.amdhsa_system_sgpr_private_segment_wavefront_offset 0
		.amdhsa_system_sgpr_workgroup_id_x 1
		.amdhsa_system_sgpr_workgroup_id_y 0
		.amdhsa_system_sgpr_workgroup_id_z 0
		.amdhsa_system_sgpr_workgroup_info 0
		.amdhsa_system_vgpr_workitem_id 0
		.amdhsa_next_free_vgpr 1
		.amdhsa_next_free_sgpr 0
		.amdhsa_accum_offset 4
		.amdhsa_reserve_vcc 0
		.amdhsa_reserve_flat_scratch 0
		.amdhsa_float_round_mode_32 0
		.amdhsa_float_round_mode_16_64 0
		.amdhsa_float_denorm_mode_32 3
		.amdhsa_float_denorm_mode_16_64 3
		.amdhsa_dx10_clamp 1
		.amdhsa_ieee_mode 1
		.amdhsa_fp16_overflow 0
		.amdhsa_tg_split 0
		.amdhsa_exception_fp_ieee_invalid_op 0
		.amdhsa_exception_fp_denorm_src 0
		.amdhsa_exception_fp_ieee_div_zero 0
		.amdhsa_exception_fp_ieee_overflow 0
		.amdhsa_exception_fp_ieee_underflow 0
		.amdhsa_exception_fp_ieee_inexact 0
		.amdhsa_exception_int_div_zero 0
	.end_amdhsa_kernel
	.section	.text._ZN7rocprim17ROCPRIM_400000_NS6detail17trampoline_kernelINS0_14default_configENS1_25partition_config_selectorILNS1_17partition_subalgoE0EyNS0_10empty_typeEbEEZZNS1_14partition_implILS5_0ELb0ES3_jN6thrust23THRUST_200600_302600_NS6detail15normal_iteratorINSA_10device_ptrIyEEEEPS6_SG_NS0_5tupleIJNSA_16discard_iteratorINSA_11use_defaultEEESK_EEENSH_IJSG_SG_EEES6_PlJ7is_evenIyEEEE10hipError_tPvRmT3_T4_T5_T6_T7_T9_mT8_P12ihipStream_tbDpT10_ENKUlT_T0_E_clISt17integral_constantIbLb1EES19_EEDaS14_S15_EUlS14_E_NS1_11comp_targetILNS1_3genE0ELNS1_11target_archE4294967295ELNS1_3gpuE0ELNS1_3repE0EEENS1_30default_config_static_selectorELNS0_4arch9wavefront6targetE1EEEvT1_,"axG",@progbits,_ZN7rocprim17ROCPRIM_400000_NS6detail17trampoline_kernelINS0_14default_configENS1_25partition_config_selectorILNS1_17partition_subalgoE0EyNS0_10empty_typeEbEEZZNS1_14partition_implILS5_0ELb0ES3_jN6thrust23THRUST_200600_302600_NS6detail15normal_iteratorINSA_10device_ptrIyEEEEPS6_SG_NS0_5tupleIJNSA_16discard_iteratorINSA_11use_defaultEEESK_EEENSH_IJSG_SG_EEES6_PlJ7is_evenIyEEEE10hipError_tPvRmT3_T4_T5_T6_T7_T9_mT8_P12ihipStream_tbDpT10_ENKUlT_T0_E_clISt17integral_constantIbLb1EES19_EEDaS14_S15_EUlS14_E_NS1_11comp_targetILNS1_3genE0ELNS1_11target_archE4294967295ELNS1_3gpuE0ELNS1_3repE0EEENS1_30default_config_static_selectorELNS0_4arch9wavefront6targetE1EEEvT1_,comdat
.Lfunc_end2307:
	.size	_ZN7rocprim17ROCPRIM_400000_NS6detail17trampoline_kernelINS0_14default_configENS1_25partition_config_selectorILNS1_17partition_subalgoE0EyNS0_10empty_typeEbEEZZNS1_14partition_implILS5_0ELb0ES3_jN6thrust23THRUST_200600_302600_NS6detail15normal_iteratorINSA_10device_ptrIyEEEEPS6_SG_NS0_5tupleIJNSA_16discard_iteratorINSA_11use_defaultEEESK_EEENSH_IJSG_SG_EEES6_PlJ7is_evenIyEEEE10hipError_tPvRmT3_T4_T5_T6_T7_T9_mT8_P12ihipStream_tbDpT10_ENKUlT_T0_E_clISt17integral_constantIbLb1EES19_EEDaS14_S15_EUlS14_E_NS1_11comp_targetILNS1_3genE0ELNS1_11target_archE4294967295ELNS1_3gpuE0ELNS1_3repE0EEENS1_30default_config_static_selectorELNS0_4arch9wavefront6targetE1EEEvT1_, .Lfunc_end2307-_ZN7rocprim17ROCPRIM_400000_NS6detail17trampoline_kernelINS0_14default_configENS1_25partition_config_selectorILNS1_17partition_subalgoE0EyNS0_10empty_typeEbEEZZNS1_14partition_implILS5_0ELb0ES3_jN6thrust23THRUST_200600_302600_NS6detail15normal_iteratorINSA_10device_ptrIyEEEEPS6_SG_NS0_5tupleIJNSA_16discard_iteratorINSA_11use_defaultEEESK_EEENSH_IJSG_SG_EEES6_PlJ7is_evenIyEEEE10hipError_tPvRmT3_T4_T5_T6_T7_T9_mT8_P12ihipStream_tbDpT10_ENKUlT_T0_E_clISt17integral_constantIbLb1EES19_EEDaS14_S15_EUlS14_E_NS1_11comp_targetILNS1_3genE0ELNS1_11target_archE4294967295ELNS1_3gpuE0ELNS1_3repE0EEENS1_30default_config_static_selectorELNS0_4arch9wavefront6targetE1EEEvT1_
                                        ; -- End function
	.section	.AMDGPU.csdata,"",@progbits
; Kernel info:
; codeLenInByte = 0
; NumSgprs: 4
; NumVgprs: 0
; NumAgprs: 0
; TotalNumVgprs: 0
; ScratchSize: 0
; MemoryBound: 0
; FloatMode: 240
; IeeeMode: 1
; LDSByteSize: 0 bytes/workgroup (compile time only)
; SGPRBlocks: 0
; VGPRBlocks: 0
; NumSGPRsForWavesPerEU: 4
; NumVGPRsForWavesPerEU: 1
; AccumOffset: 4
; Occupancy: 8
; WaveLimiterHint : 0
; COMPUTE_PGM_RSRC2:SCRATCH_EN: 0
; COMPUTE_PGM_RSRC2:USER_SGPR: 6
; COMPUTE_PGM_RSRC2:TRAP_HANDLER: 0
; COMPUTE_PGM_RSRC2:TGID_X_EN: 1
; COMPUTE_PGM_RSRC2:TGID_Y_EN: 0
; COMPUTE_PGM_RSRC2:TGID_Z_EN: 0
; COMPUTE_PGM_RSRC2:TIDIG_COMP_CNT: 0
; COMPUTE_PGM_RSRC3_GFX90A:ACCUM_OFFSET: 0
; COMPUTE_PGM_RSRC3_GFX90A:TG_SPLIT: 0
	.section	.text._ZN7rocprim17ROCPRIM_400000_NS6detail17trampoline_kernelINS0_14default_configENS1_25partition_config_selectorILNS1_17partition_subalgoE0EyNS0_10empty_typeEbEEZZNS1_14partition_implILS5_0ELb0ES3_jN6thrust23THRUST_200600_302600_NS6detail15normal_iteratorINSA_10device_ptrIyEEEEPS6_SG_NS0_5tupleIJNSA_16discard_iteratorINSA_11use_defaultEEESK_EEENSH_IJSG_SG_EEES6_PlJ7is_evenIyEEEE10hipError_tPvRmT3_T4_T5_T6_T7_T9_mT8_P12ihipStream_tbDpT10_ENKUlT_T0_E_clISt17integral_constantIbLb1EES19_EEDaS14_S15_EUlS14_E_NS1_11comp_targetILNS1_3genE5ELNS1_11target_archE942ELNS1_3gpuE9ELNS1_3repE0EEENS1_30default_config_static_selectorELNS0_4arch9wavefront6targetE1EEEvT1_,"axG",@progbits,_ZN7rocprim17ROCPRIM_400000_NS6detail17trampoline_kernelINS0_14default_configENS1_25partition_config_selectorILNS1_17partition_subalgoE0EyNS0_10empty_typeEbEEZZNS1_14partition_implILS5_0ELb0ES3_jN6thrust23THRUST_200600_302600_NS6detail15normal_iteratorINSA_10device_ptrIyEEEEPS6_SG_NS0_5tupleIJNSA_16discard_iteratorINSA_11use_defaultEEESK_EEENSH_IJSG_SG_EEES6_PlJ7is_evenIyEEEE10hipError_tPvRmT3_T4_T5_T6_T7_T9_mT8_P12ihipStream_tbDpT10_ENKUlT_T0_E_clISt17integral_constantIbLb1EES19_EEDaS14_S15_EUlS14_E_NS1_11comp_targetILNS1_3genE5ELNS1_11target_archE942ELNS1_3gpuE9ELNS1_3repE0EEENS1_30default_config_static_selectorELNS0_4arch9wavefront6targetE1EEEvT1_,comdat
	.protected	_ZN7rocprim17ROCPRIM_400000_NS6detail17trampoline_kernelINS0_14default_configENS1_25partition_config_selectorILNS1_17partition_subalgoE0EyNS0_10empty_typeEbEEZZNS1_14partition_implILS5_0ELb0ES3_jN6thrust23THRUST_200600_302600_NS6detail15normal_iteratorINSA_10device_ptrIyEEEEPS6_SG_NS0_5tupleIJNSA_16discard_iteratorINSA_11use_defaultEEESK_EEENSH_IJSG_SG_EEES6_PlJ7is_evenIyEEEE10hipError_tPvRmT3_T4_T5_T6_T7_T9_mT8_P12ihipStream_tbDpT10_ENKUlT_T0_E_clISt17integral_constantIbLb1EES19_EEDaS14_S15_EUlS14_E_NS1_11comp_targetILNS1_3genE5ELNS1_11target_archE942ELNS1_3gpuE9ELNS1_3repE0EEENS1_30default_config_static_selectorELNS0_4arch9wavefront6targetE1EEEvT1_ ; -- Begin function _ZN7rocprim17ROCPRIM_400000_NS6detail17trampoline_kernelINS0_14default_configENS1_25partition_config_selectorILNS1_17partition_subalgoE0EyNS0_10empty_typeEbEEZZNS1_14partition_implILS5_0ELb0ES3_jN6thrust23THRUST_200600_302600_NS6detail15normal_iteratorINSA_10device_ptrIyEEEEPS6_SG_NS0_5tupleIJNSA_16discard_iteratorINSA_11use_defaultEEESK_EEENSH_IJSG_SG_EEES6_PlJ7is_evenIyEEEE10hipError_tPvRmT3_T4_T5_T6_T7_T9_mT8_P12ihipStream_tbDpT10_ENKUlT_T0_E_clISt17integral_constantIbLb1EES19_EEDaS14_S15_EUlS14_E_NS1_11comp_targetILNS1_3genE5ELNS1_11target_archE942ELNS1_3gpuE9ELNS1_3repE0EEENS1_30default_config_static_selectorELNS0_4arch9wavefront6targetE1EEEvT1_
	.globl	_ZN7rocprim17ROCPRIM_400000_NS6detail17trampoline_kernelINS0_14default_configENS1_25partition_config_selectorILNS1_17partition_subalgoE0EyNS0_10empty_typeEbEEZZNS1_14partition_implILS5_0ELb0ES3_jN6thrust23THRUST_200600_302600_NS6detail15normal_iteratorINSA_10device_ptrIyEEEEPS6_SG_NS0_5tupleIJNSA_16discard_iteratorINSA_11use_defaultEEESK_EEENSH_IJSG_SG_EEES6_PlJ7is_evenIyEEEE10hipError_tPvRmT3_T4_T5_T6_T7_T9_mT8_P12ihipStream_tbDpT10_ENKUlT_T0_E_clISt17integral_constantIbLb1EES19_EEDaS14_S15_EUlS14_E_NS1_11comp_targetILNS1_3genE5ELNS1_11target_archE942ELNS1_3gpuE9ELNS1_3repE0EEENS1_30default_config_static_selectorELNS0_4arch9wavefront6targetE1EEEvT1_
	.p2align	8
	.type	_ZN7rocprim17ROCPRIM_400000_NS6detail17trampoline_kernelINS0_14default_configENS1_25partition_config_selectorILNS1_17partition_subalgoE0EyNS0_10empty_typeEbEEZZNS1_14partition_implILS5_0ELb0ES3_jN6thrust23THRUST_200600_302600_NS6detail15normal_iteratorINSA_10device_ptrIyEEEEPS6_SG_NS0_5tupleIJNSA_16discard_iteratorINSA_11use_defaultEEESK_EEENSH_IJSG_SG_EEES6_PlJ7is_evenIyEEEE10hipError_tPvRmT3_T4_T5_T6_T7_T9_mT8_P12ihipStream_tbDpT10_ENKUlT_T0_E_clISt17integral_constantIbLb1EES19_EEDaS14_S15_EUlS14_E_NS1_11comp_targetILNS1_3genE5ELNS1_11target_archE942ELNS1_3gpuE9ELNS1_3repE0EEENS1_30default_config_static_selectorELNS0_4arch9wavefront6targetE1EEEvT1_,@function
_ZN7rocprim17ROCPRIM_400000_NS6detail17trampoline_kernelINS0_14default_configENS1_25partition_config_selectorILNS1_17partition_subalgoE0EyNS0_10empty_typeEbEEZZNS1_14partition_implILS5_0ELb0ES3_jN6thrust23THRUST_200600_302600_NS6detail15normal_iteratorINSA_10device_ptrIyEEEEPS6_SG_NS0_5tupleIJNSA_16discard_iteratorINSA_11use_defaultEEESK_EEENSH_IJSG_SG_EEES6_PlJ7is_evenIyEEEE10hipError_tPvRmT3_T4_T5_T6_T7_T9_mT8_P12ihipStream_tbDpT10_ENKUlT_T0_E_clISt17integral_constantIbLb1EES19_EEDaS14_S15_EUlS14_E_NS1_11comp_targetILNS1_3genE5ELNS1_11target_archE942ELNS1_3gpuE9ELNS1_3repE0EEENS1_30default_config_static_selectorELNS0_4arch9wavefront6targetE1EEEvT1_: ; @_ZN7rocprim17ROCPRIM_400000_NS6detail17trampoline_kernelINS0_14default_configENS1_25partition_config_selectorILNS1_17partition_subalgoE0EyNS0_10empty_typeEbEEZZNS1_14partition_implILS5_0ELb0ES3_jN6thrust23THRUST_200600_302600_NS6detail15normal_iteratorINSA_10device_ptrIyEEEEPS6_SG_NS0_5tupleIJNSA_16discard_iteratorINSA_11use_defaultEEESK_EEENSH_IJSG_SG_EEES6_PlJ7is_evenIyEEEE10hipError_tPvRmT3_T4_T5_T6_T7_T9_mT8_P12ihipStream_tbDpT10_ENKUlT_T0_E_clISt17integral_constantIbLb1EES19_EEDaS14_S15_EUlS14_E_NS1_11comp_targetILNS1_3genE5ELNS1_11target_archE942ELNS1_3gpuE9ELNS1_3repE0EEENS1_30default_config_static_selectorELNS0_4arch9wavefront6targetE1EEEvT1_
; %bb.0:
	.section	.rodata,"a",@progbits
	.p2align	6, 0x0
	.amdhsa_kernel _ZN7rocprim17ROCPRIM_400000_NS6detail17trampoline_kernelINS0_14default_configENS1_25partition_config_selectorILNS1_17partition_subalgoE0EyNS0_10empty_typeEbEEZZNS1_14partition_implILS5_0ELb0ES3_jN6thrust23THRUST_200600_302600_NS6detail15normal_iteratorINSA_10device_ptrIyEEEEPS6_SG_NS0_5tupleIJNSA_16discard_iteratorINSA_11use_defaultEEESK_EEENSH_IJSG_SG_EEES6_PlJ7is_evenIyEEEE10hipError_tPvRmT3_T4_T5_T6_T7_T9_mT8_P12ihipStream_tbDpT10_ENKUlT_T0_E_clISt17integral_constantIbLb1EES19_EEDaS14_S15_EUlS14_E_NS1_11comp_targetILNS1_3genE5ELNS1_11target_archE942ELNS1_3gpuE9ELNS1_3repE0EEENS1_30default_config_static_selectorELNS0_4arch9wavefront6targetE1EEEvT1_
		.amdhsa_group_segment_fixed_size 0
		.amdhsa_private_segment_fixed_size 0
		.amdhsa_kernarg_size 152
		.amdhsa_user_sgpr_count 6
		.amdhsa_user_sgpr_private_segment_buffer 1
		.amdhsa_user_sgpr_dispatch_ptr 0
		.amdhsa_user_sgpr_queue_ptr 0
		.amdhsa_user_sgpr_kernarg_segment_ptr 1
		.amdhsa_user_sgpr_dispatch_id 0
		.amdhsa_user_sgpr_flat_scratch_init 0
		.amdhsa_user_sgpr_kernarg_preload_length 0
		.amdhsa_user_sgpr_kernarg_preload_offset 0
		.amdhsa_user_sgpr_private_segment_size 0
		.amdhsa_uses_dynamic_stack 0
		.amdhsa_system_sgpr_private_segment_wavefront_offset 0
		.amdhsa_system_sgpr_workgroup_id_x 1
		.amdhsa_system_sgpr_workgroup_id_y 0
		.amdhsa_system_sgpr_workgroup_id_z 0
		.amdhsa_system_sgpr_workgroup_info 0
		.amdhsa_system_vgpr_workitem_id 0
		.amdhsa_next_free_vgpr 1
		.amdhsa_next_free_sgpr 0
		.amdhsa_accum_offset 4
		.amdhsa_reserve_vcc 0
		.amdhsa_reserve_flat_scratch 0
		.amdhsa_float_round_mode_32 0
		.amdhsa_float_round_mode_16_64 0
		.amdhsa_float_denorm_mode_32 3
		.amdhsa_float_denorm_mode_16_64 3
		.amdhsa_dx10_clamp 1
		.amdhsa_ieee_mode 1
		.amdhsa_fp16_overflow 0
		.amdhsa_tg_split 0
		.amdhsa_exception_fp_ieee_invalid_op 0
		.amdhsa_exception_fp_denorm_src 0
		.amdhsa_exception_fp_ieee_div_zero 0
		.amdhsa_exception_fp_ieee_overflow 0
		.amdhsa_exception_fp_ieee_underflow 0
		.amdhsa_exception_fp_ieee_inexact 0
		.amdhsa_exception_int_div_zero 0
	.end_amdhsa_kernel
	.section	.text._ZN7rocprim17ROCPRIM_400000_NS6detail17trampoline_kernelINS0_14default_configENS1_25partition_config_selectorILNS1_17partition_subalgoE0EyNS0_10empty_typeEbEEZZNS1_14partition_implILS5_0ELb0ES3_jN6thrust23THRUST_200600_302600_NS6detail15normal_iteratorINSA_10device_ptrIyEEEEPS6_SG_NS0_5tupleIJNSA_16discard_iteratorINSA_11use_defaultEEESK_EEENSH_IJSG_SG_EEES6_PlJ7is_evenIyEEEE10hipError_tPvRmT3_T4_T5_T6_T7_T9_mT8_P12ihipStream_tbDpT10_ENKUlT_T0_E_clISt17integral_constantIbLb1EES19_EEDaS14_S15_EUlS14_E_NS1_11comp_targetILNS1_3genE5ELNS1_11target_archE942ELNS1_3gpuE9ELNS1_3repE0EEENS1_30default_config_static_selectorELNS0_4arch9wavefront6targetE1EEEvT1_,"axG",@progbits,_ZN7rocprim17ROCPRIM_400000_NS6detail17trampoline_kernelINS0_14default_configENS1_25partition_config_selectorILNS1_17partition_subalgoE0EyNS0_10empty_typeEbEEZZNS1_14partition_implILS5_0ELb0ES3_jN6thrust23THRUST_200600_302600_NS6detail15normal_iteratorINSA_10device_ptrIyEEEEPS6_SG_NS0_5tupleIJNSA_16discard_iteratorINSA_11use_defaultEEESK_EEENSH_IJSG_SG_EEES6_PlJ7is_evenIyEEEE10hipError_tPvRmT3_T4_T5_T6_T7_T9_mT8_P12ihipStream_tbDpT10_ENKUlT_T0_E_clISt17integral_constantIbLb1EES19_EEDaS14_S15_EUlS14_E_NS1_11comp_targetILNS1_3genE5ELNS1_11target_archE942ELNS1_3gpuE9ELNS1_3repE0EEENS1_30default_config_static_selectorELNS0_4arch9wavefront6targetE1EEEvT1_,comdat
.Lfunc_end2308:
	.size	_ZN7rocprim17ROCPRIM_400000_NS6detail17trampoline_kernelINS0_14default_configENS1_25partition_config_selectorILNS1_17partition_subalgoE0EyNS0_10empty_typeEbEEZZNS1_14partition_implILS5_0ELb0ES3_jN6thrust23THRUST_200600_302600_NS6detail15normal_iteratorINSA_10device_ptrIyEEEEPS6_SG_NS0_5tupleIJNSA_16discard_iteratorINSA_11use_defaultEEESK_EEENSH_IJSG_SG_EEES6_PlJ7is_evenIyEEEE10hipError_tPvRmT3_T4_T5_T6_T7_T9_mT8_P12ihipStream_tbDpT10_ENKUlT_T0_E_clISt17integral_constantIbLb1EES19_EEDaS14_S15_EUlS14_E_NS1_11comp_targetILNS1_3genE5ELNS1_11target_archE942ELNS1_3gpuE9ELNS1_3repE0EEENS1_30default_config_static_selectorELNS0_4arch9wavefront6targetE1EEEvT1_, .Lfunc_end2308-_ZN7rocprim17ROCPRIM_400000_NS6detail17trampoline_kernelINS0_14default_configENS1_25partition_config_selectorILNS1_17partition_subalgoE0EyNS0_10empty_typeEbEEZZNS1_14partition_implILS5_0ELb0ES3_jN6thrust23THRUST_200600_302600_NS6detail15normal_iteratorINSA_10device_ptrIyEEEEPS6_SG_NS0_5tupleIJNSA_16discard_iteratorINSA_11use_defaultEEESK_EEENSH_IJSG_SG_EEES6_PlJ7is_evenIyEEEE10hipError_tPvRmT3_T4_T5_T6_T7_T9_mT8_P12ihipStream_tbDpT10_ENKUlT_T0_E_clISt17integral_constantIbLb1EES19_EEDaS14_S15_EUlS14_E_NS1_11comp_targetILNS1_3genE5ELNS1_11target_archE942ELNS1_3gpuE9ELNS1_3repE0EEENS1_30default_config_static_selectorELNS0_4arch9wavefront6targetE1EEEvT1_
                                        ; -- End function
	.section	.AMDGPU.csdata,"",@progbits
; Kernel info:
; codeLenInByte = 0
; NumSgprs: 4
; NumVgprs: 0
; NumAgprs: 0
; TotalNumVgprs: 0
; ScratchSize: 0
; MemoryBound: 0
; FloatMode: 240
; IeeeMode: 1
; LDSByteSize: 0 bytes/workgroup (compile time only)
; SGPRBlocks: 0
; VGPRBlocks: 0
; NumSGPRsForWavesPerEU: 4
; NumVGPRsForWavesPerEU: 1
; AccumOffset: 4
; Occupancy: 8
; WaveLimiterHint : 0
; COMPUTE_PGM_RSRC2:SCRATCH_EN: 0
; COMPUTE_PGM_RSRC2:USER_SGPR: 6
; COMPUTE_PGM_RSRC2:TRAP_HANDLER: 0
; COMPUTE_PGM_RSRC2:TGID_X_EN: 1
; COMPUTE_PGM_RSRC2:TGID_Y_EN: 0
; COMPUTE_PGM_RSRC2:TGID_Z_EN: 0
; COMPUTE_PGM_RSRC2:TIDIG_COMP_CNT: 0
; COMPUTE_PGM_RSRC3_GFX90A:ACCUM_OFFSET: 0
; COMPUTE_PGM_RSRC3_GFX90A:TG_SPLIT: 0
	.section	.text._ZN7rocprim17ROCPRIM_400000_NS6detail17trampoline_kernelINS0_14default_configENS1_25partition_config_selectorILNS1_17partition_subalgoE0EyNS0_10empty_typeEbEEZZNS1_14partition_implILS5_0ELb0ES3_jN6thrust23THRUST_200600_302600_NS6detail15normal_iteratorINSA_10device_ptrIyEEEEPS6_SG_NS0_5tupleIJNSA_16discard_iteratorINSA_11use_defaultEEESK_EEENSH_IJSG_SG_EEES6_PlJ7is_evenIyEEEE10hipError_tPvRmT3_T4_T5_T6_T7_T9_mT8_P12ihipStream_tbDpT10_ENKUlT_T0_E_clISt17integral_constantIbLb1EES19_EEDaS14_S15_EUlS14_E_NS1_11comp_targetILNS1_3genE4ELNS1_11target_archE910ELNS1_3gpuE8ELNS1_3repE0EEENS1_30default_config_static_selectorELNS0_4arch9wavefront6targetE1EEEvT1_,"axG",@progbits,_ZN7rocprim17ROCPRIM_400000_NS6detail17trampoline_kernelINS0_14default_configENS1_25partition_config_selectorILNS1_17partition_subalgoE0EyNS0_10empty_typeEbEEZZNS1_14partition_implILS5_0ELb0ES3_jN6thrust23THRUST_200600_302600_NS6detail15normal_iteratorINSA_10device_ptrIyEEEEPS6_SG_NS0_5tupleIJNSA_16discard_iteratorINSA_11use_defaultEEESK_EEENSH_IJSG_SG_EEES6_PlJ7is_evenIyEEEE10hipError_tPvRmT3_T4_T5_T6_T7_T9_mT8_P12ihipStream_tbDpT10_ENKUlT_T0_E_clISt17integral_constantIbLb1EES19_EEDaS14_S15_EUlS14_E_NS1_11comp_targetILNS1_3genE4ELNS1_11target_archE910ELNS1_3gpuE8ELNS1_3repE0EEENS1_30default_config_static_selectorELNS0_4arch9wavefront6targetE1EEEvT1_,comdat
	.protected	_ZN7rocprim17ROCPRIM_400000_NS6detail17trampoline_kernelINS0_14default_configENS1_25partition_config_selectorILNS1_17partition_subalgoE0EyNS0_10empty_typeEbEEZZNS1_14partition_implILS5_0ELb0ES3_jN6thrust23THRUST_200600_302600_NS6detail15normal_iteratorINSA_10device_ptrIyEEEEPS6_SG_NS0_5tupleIJNSA_16discard_iteratorINSA_11use_defaultEEESK_EEENSH_IJSG_SG_EEES6_PlJ7is_evenIyEEEE10hipError_tPvRmT3_T4_T5_T6_T7_T9_mT8_P12ihipStream_tbDpT10_ENKUlT_T0_E_clISt17integral_constantIbLb1EES19_EEDaS14_S15_EUlS14_E_NS1_11comp_targetILNS1_3genE4ELNS1_11target_archE910ELNS1_3gpuE8ELNS1_3repE0EEENS1_30default_config_static_selectorELNS0_4arch9wavefront6targetE1EEEvT1_ ; -- Begin function _ZN7rocprim17ROCPRIM_400000_NS6detail17trampoline_kernelINS0_14default_configENS1_25partition_config_selectorILNS1_17partition_subalgoE0EyNS0_10empty_typeEbEEZZNS1_14partition_implILS5_0ELb0ES3_jN6thrust23THRUST_200600_302600_NS6detail15normal_iteratorINSA_10device_ptrIyEEEEPS6_SG_NS0_5tupleIJNSA_16discard_iteratorINSA_11use_defaultEEESK_EEENSH_IJSG_SG_EEES6_PlJ7is_evenIyEEEE10hipError_tPvRmT3_T4_T5_T6_T7_T9_mT8_P12ihipStream_tbDpT10_ENKUlT_T0_E_clISt17integral_constantIbLb1EES19_EEDaS14_S15_EUlS14_E_NS1_11comp_targetILNS1_3genE4ELNS1_11target_archE910ELNS1_3gpuE8ELNS1_3repE0EEENS1_30default_config_static_selectorELNS0_4arch9wavefront6targetE1EEEvT1_
	.globl	_ZN7rocprim17ROCPRIM_400000_NS6detail17trampoline_kernelINS0_14default_configENS1_25partition_config_selectorILNS1_17partition_subalgoE0EyNS0_10empty_typeEbEEZZNS1_14partition_implILS5_0ELb0ES3_jN6thrust23THRUST_200600_302600_NS6detail15normal_iteratorINSA_10device_ptrIyEEEEPS6_SG_NS0_5tupleIJNSA_16discard_iteratorINSA_11use_defaultEEESK_EEENSH_IJSG_SG_EEES6_PlJ7is_evenIyEEEE10hipError_tPvRmT3_T4_T5_T6_T7_T9_mT8_P12ihipStream_tbDpT10_ENKUlT_T0_E_clISt17integral_constantIbLb1EES19_EEDaS14_S15_EUlS14_E_NS1_11comp_targetILNS1_3genE4ELNS1_11target_archE910ELNS1_3gpuE8ELNS1_3repE0EEENS1_30default_config_static_selectorELNS0_4arch9wavefront6targetE1EEEvT1_
	.p2align	8
	.type	_ZN7rocprim17ROCPRIM_400000_NS6detail17trampoline_kernelINS0_14default_configENS1_25partition_config_selectorILNS1_17partition_subalgoE0EyNS0_10empty_typeEbEEZZNS1_14partition_implILS5_0ELb0ES3_jN6thrust23THRUST_200600_302600_NS6detail15normal_iteratorINSA_10device_ptrIyEEEEPS6_SG_NS0_5tupleIJNSA_16discard_iteratorINSA_11use_defaultEEESK_EEENSH_IJSG_SG_EEES6_PlJ7is_evenIyEEEE10hipError_tPvRmT3_T4_T5_T6_T7_T9_mT8_P12ihipStream_tbDpT10_ENKUlT_T0_E_clISt17integral_constantIbLb1EES19_EEDaS14_S15_EUlS14_E_NS1_11comp_targetILNS1_3genE4ELNS1_11target_archE910ELNS1_3gpuE8ELNS1_3repE0EEENS1_30default_config_static_selectorELNS0_4arch9wavefront6targetE1EEEvT1_,@function
_ZN7rocprim17ROCPRIM_400000_NS6detail17trampoline_kernelINS0_14default_configENS1_25partition_config_selectorILNS1_17partition_subalgoE0EyNS0_10empty_typeEbEEZZNS1_14partition_implILS5_0ELb0ES3_jN6thrust23THRUST_200600_302600_NS6detail15normal_iteratorINSA_10device_ptrIyEEEEPS6_SG_NS0_5tupleIJNSA_16discard_iteratorINSA_11use_defaultEEESK_EEENSH_IJSG_SG_EEES6_PlJ7is_evenIyEEEE10hipError_tPvRmT3_T4_T5_T6_T7_T9_mT8_P12ihipStream_tbDpT10_ENKUlT_T0_E_clISt17integral_constantIbLb1EES19_EEDaS14_S15_EUlS14_E_NS1_11comp_targetILNS1_3genE4ELNS1_11target_archE910ELNS1_3gpuE8ELNS1_3repE0EEENS1_30default_config_static_selectorELNS0_4arch9wavefront6targetE1EEEvT1_: ; @_ZN7rocprim17ROCPRIM_400000_NS6detail17trampoline_kernelINS0_14default_configENS1_25partition_config_selectorILNS1_17partition_subalgoE0EyNS0_10empty_typeEbEEZZNS1_14partition_implILS5_0ELb0ES3_jN6thrust23THRUST_200600_302600_NS6detail15normal_iteratorINSA_10device_ptrIyEEEEPS6_SG_NS0_5tupleIJNSA_16discard_iteratorINSA_11use_defaultEEESK_EEENSH_IJSG_SG_EEES6_PlJ7is_evenIyEEEE10hipError_tPvRmT3_T4_T5_T6_T7_T9_mT8_P12ihipStream_tbDpT10_ENKUlT_T0_E_clISt17integral_constantIbLb1EES19_EEDaS14_S15_EUlS14_E_NS1_11comp_targetILNS1_3genE4ELNS1_11target_archE910ELNS1_3gpuE8ELNS1_3repE0EEENS1_30default_config_static_selectorELNS0_4arch9wavefront6targetE1EEEvT1_
; %bb.0:
	s_load_dwordx2 s[2:3], s[4:5], 0x68
	s_load_dwordx4 s[20:23], s[4:5], 0x58
	s_load_dwordx2 s[18:19], s[4:5], 0x78
	v_cmp_eq_u32_e64 s[0:1], 0, v0
	s_and_saveexec_b64 s[6:7], s[0:1]
	s_cbranch_execz .LBB2309_4
; %bb.1:
	s_mov_b64 s[10:11], exec
	v_mbcnt_lo_u32_b32 v1, s10, 0
	v_mbcnt_hi_u32_b32 v1, s11, v1
	v_cmp_eq_u32_e32 vcc, 0, v1
                                        ; implicit-def: $vgpr2
	s_and_saveexec_b64 s[8:9], vcc
	s_cbranch_execz .LBB2309_3
; %bb.2:
	s_load_dwordx2 s[12:13], s[4:5], 0x88
	s_bcnt1_i32_b64 s10, s[10:11]
	v_mov_b32_e32 v2, 0
	v_mov_b32_e32 v3, s10
	s_waitcnt lgkmcnt(0)
	global_atomic_add v2, v2, v3, s[12:13] glc
.LBB2309_3:
	s_or_b64 exec, exec, s[8:9]
	s_waitcnt vmcnt(0)
	v_readfirstlane_b32 s8, v2
	v_add_u32_e32 v1, s8, v1
	v_mov_b32_e32 v2, 0
	ds_write_b32 v2, v1
.LBB2309_4:
	s_or_b64 exec, exec, s[6:7]
	v_mov_b32_e32 v3, 0
	s_load_dwordx4 s[8:11], s[4:5], 0x8
	s_load_dword s6, s[4:5], 0x80
	s_waitcnt lgkmcnt(0)
	s_barrier
	ds_read_b32 v1, v3
	s_waitcnt lgkmcnt(0)
	s_barrier
	global_load_dwordx2 v[10:11], v3, s[22:23]
	v_mov_b32_e32 v5, s3
	s_lshl_b64 s[4:5], s[10:11], 3
	s_movk_i32 s3, 0x300
	s_add_u32 s4, s8, s4
	v_mul_lo_u32 v2, v1, s3
	s_mul_i32 s3, s6, 0x300
	s_addc_u32 s5, s9, s5
	s_add_i32 s7, s6, -1
	s_add_i32 s6, s3, s10
	s_sub_i32 s6, s2, s6
	v_mov_b32_e32 v4, s2
	s_add_u32 s2, s10, s3
	v_readfirstlane_b32 s30, v1
	s_addc_u32 s3, s11, 0
	s_cmp_eq_u32 s30, s7
	s_cselect_b64 s[22:23], -1, 0
	s_cmp_lg_u32 s30, s7
	v_cmp_lt_u64_e32 vcc, s[2:3], v[4:5]
	s_cselect_b64 s[2:3], -1, 0
	v_lshlrev_b64 v[2:3], 3, v[2:3]
	s_or_b64 s[2:3], vcc, s[2:3]
	v_mov_b32_e32 v1, s5
	v_add_co_u32_e32 v13, vcc, s4, v2
	v_addc_co_u32_e32 v14, vcc, v1, v3, vcc
	s_mov_b64 s[4:5], -1
	s_and_b64 vcc, exec, s[2:3]
	v_lshlrev_b32_e32 v1, 3, v0
	v_lshrrev_b32_e32 v12, 2, v0
	s_cbranch_vccz .LBB2309_6
; %bb.5:
	v_add_co_u32_e32 v2, vcc, v13, v1
	v_addc_co_u32_e32 v3, vcc, 0, v14, vcc
	v_add_co_u32_e32 v4, vcc, 0x1000, v2
	v_addc_co_u32_e32 v5, vcc, 0, v3, vcc
	flat_load_dwordx2 v[6:7], v[2:3]
	flat_load_dwordx2 v[8:9], v[2:3] offset:1536
	flat_load_dwordx2 v[16:17], v[2:3] offset:3072
	;; [unrolled: 1-line block ×3, first 2 shown]
	v_add_u32_e32 v3, 0xc0, v0
	v_add_u32_e32 v4, 0x180, v0
	;; [unrolled: 1-line block ×3, first 2 shown]
	v_and_b32_e32 v2, 56, v12
	v_lshrrev_b32_e32 v3, 2, v3
	v_lshrrev_b32_e32 v4, 2, v4
	v_lshrrev_b32_e32 v5, 2, v5
	v_add_u32_e32 v2, v2, v1
	v_and_b32_e32 v3, 0x78, v3
	v_and_b32_e32 v4, 0xf8, v4
	;; [unrolled: 1-line block ×3, first 2 shown]
	v_add_u32_e32 v3, v3, v1
	v_add_u32_e32 v4, v4, v1
	v_add_u32_e32 v5, v5, v1
	s_mov_b64 s[4:5], 0
	s_waitcnt vmcnt(0) lgkmcnt(0)
	ds_write_b64 v2, v[6:7]
	ds_write_b64 v3, v[8:9] offset:1536
	ds_write_b64 v4, v[16:17] offset:3072
	;; [unrolled: 1-line block ×3, first 2 shown]
	s_waitcnt lgkmcnt(0)
	s_barrier
.LBB2309_6:
	s_andn2_b64 vcc, exec, s[4:5]
	s_addk_i32 s6, 0x300
	s_cbranch_vccnz .LBB2309_16
; %bb.7:
	v_cmp_gt_u32_e32 vcc, s6, v0
                                        ; implicit-def: $vgpr2_vgpr3_vgpr4_vgpr5_vgpr6_vgpr7_vgpr8_vgpr9
	s_and_saveexec_b64 s[4:5], vcc
	s_cbranch_execz .LBB2309_9
; %bb.8:
	v_add_co_u32_e32 v2, vcc, v13, v1
	v_addc_co_u32_e32 v3, vcc, 0, v14, vcc
	flat_load_dwordx2 v[2:3], v[2:3]
.LBB2309_9:
	s_or_b64 exec, exec, s[4:5]
	v_add_u32_e32 v15, 0xc0, v0
	v_cmp_gt_u32_e32 vcc, s6, v15
	s_and_saveexec_b64 s[4:5], vcc
	s_cbranch_execz .LBB2309_11
; %bb.10:
	v_add_co_u32_e32 v4, vcc, v13, v1
	v_addc_co_u32_e32 v5, vcc, 0, v14, vcc
	flat_load_dwordx2 v[4:5], v[4:5] offset:1536
.LBB2309_11:
	s_or_b64 exec, exec, s[4:5]
	v_add_u32_e32 v16, 0x180, v0
	v_cmp_gt_u32_e32 vcc, s6, v16
	s_and_saveexec_b64 s[4:5], vcc
	s_cbranch_execz .LBB2309_13
; %bb.12:
	v_add_co_u32_e32 v6, vcc, v13, v1
	v_addc_co_u32_e32 v7, vcc, 0, v14, vcc
	flat_load_dwordx2 v[6:7], v[6:7] offset:3072
.LBB2309_13:
	s_or_b64 exec, exec, s[4:5]
	v_add_u32_e32 v17, 0x240, v0
	v_cmp_gt_u32_e32 vcc, s6, v17
	s_and_saveexec_b64 s[4:5], vcc
	s_cbranch_execz .LBB2309_15
; %bb.14:
	v_lshlrev_b32_e32 v8, 3, v17
	v_add_co_u32_e32 v8, vcc, v13, v8
	v_addc_co_u32_e32 v9, vcc, 0, v14, vcc
	flat_load_dwordx2 v[8:9], v[8:9]
.LBB2309_15:
	s_or_b64 exec, exec, s[4:5]
	v_and_b32_e32 v12, 56, v12
	v_add_u32_e32 v12, v12, v1
	s_waitcnt vmcnt(0) lgkmcnt(0)
	ds_write_b64 v12, v[2:3]
	v_lshrrev_b32_e32 v2, 2, v15
	v_and_b32_e32 v2, 0x78, v2
	v_add_u32_e32 v2, v2, v1
	ds_write_b64 v2, v[4:5] offset:1536
	v_lshrrev_b32_e32 v2, 2, v16
	v_and_b32_e32 v2, 0xf8, v2
	v_add_u32_e32 v2, v2, v1
	ds_write_b64 v2, v[6:7] offset:3072
	;; [unrolled: 4-line block ×3, first 2 shown]
	s_waitcnt lgkmcnt(0)
	s_barrier
.LBB2309_16:
	v_lshlrev_b32_e32 v1, 2, v0
	v_lshrrev_b32_e32 v2, 3, v0
	v_add_lshl_u32 v2, v2, v1, 3
	ds_read2_b64 v[6:9], v2 offset1:1
	ds_read2_b64 v[2:5], v2 offset0:2 offset1:3
	s_andn2_b64 vcc, exec, s[2:3]
	s_waitcnt lgkmcnt(0)
	s_barrier
	v_xor_b32_e32 v15, -1, v6
	v_xor_b32_e32 v14, -1, v8
	v_xor_b32_e32 v13, -1, v2
	v_xor_b32_e32 v12, -1, v4
	s_cbranch_vccnz .LBB2309_18
; %bb.17:
	v_mov_b32_e32 v17, 1
	v_and_b32_e32 v16, 1, v15
	v_and_b32_sdwa v18, v14, v17 dst_sel:BYTE_1 dst_unused:UNUSED_PAD src0_sel:DWORD src1_sel:DWORD
	v_and_b32_e32 v19, 1, v13
	v_and_b32_sdwa v17, v12, v17 dst_sel:BYTE_1 dst_unused:UNUSED_PAD src0_sel:DWORD src1_sel:DWORD
	v_or_b32_e32 v16, v16, v18
	v_or_b32_sdwa v17, v19, v17 dst_sel:WORD_1 dst_unused:UNUSED_PAD src0_sel:DWORD src1_sel:DWORD
	v_or_b32_sdwa v22, v16, v17 dst_sel:DWORD dst_unused:UNUSED_PAD src0_sel:WORD_0 src1_sel:DWORD
	s_cbranch_execz .LBB2309_19
	s_branch .LBB2309_20
.LBB2309_18:
                                        ; implicit-def: $vgpr22
.LBB2309_19:
	v_cmp_gt_u32_e32 vcc, s6, v1
	v_cndmask_b32_e64 v16, 0, 1, vcc
	v_and_b32_e32 v15, v16, v15
	v_or_b32_e32 v16, 1, v1
	v_cmp_gt_u32_e32 vcc, s6, v16
	v_cndmask_b32_e64 v16, 0, 1, vcc
	v_and_b32_sdwa v14, v16, v14 dst_sel:BYTE_1 dst_unused:UNUSED_PAD src0_sel:DWORD src1_sel:DWORD
	v_or_b32_e32 v16, 2, v1
	v_cmp_gt_u32_e32 vcc, s6, v16
	v_cndmask_b32_e64 v16, 0, 1, vcc
	v_and_b32_e32 v13, v16, v13
	v_or_b32_e32 v16, 3, v1
	v_cmp_gt_u32_e32 vcc, s6, v16
	v_cndmask_b32_e64 v16, 0, 1, vcc
	v_and_b32_sdwa v12, v16, v12 dst_sel:BYTE_1 dst_unused:UNUSED_PAD src0_sel:DWORD src1_sel:DWORD
	v_or_b32_e32 v14, v15, v14
	v_or_b32_sdwa v12, v13, v12 dst_sel:WORD_1 dst_unused:UNUSED_PAD src0_sel:DWORD src1_sel:DWORD
	v_or_b32_sdwa v22, v14, v12 dst_sel:DWORD dst_unused:UNUSED_PAD src0_sel:WORD_0 src1_sel:DWORD
.LBB2309_20:
	v_bfe_u32 v24, v22, 16, 8
	v_lshrrev_b32_e32 v23, 24, v22
	v_add_u32_sdwa v12, v22, v22 dst_sel:DWORD dst_unused:UNUSED_PAD src0_sel:BYTE_1 src1_sel:BYTE_0
	v_add3_u32 v27, v12, v24, v23
	v_mbcnt_lo_u32_b32 v12, -1, 0
	v_mbcnt_hi_u32_b32 v25, -1, v12
	v_and_b32_e32 v12, 15, v25
	v_cmp_eq_u32_e64 s[14:15], 0, v12
	v_cmp_lt_u32_e64 s[12:13], 1, v12
	v_cmp_lt_u32_e64 s[10:11], 3, v12
	;; [unrolled: 1-line block ×3, first 2 shown]
	v_and_b32_e32 v12, 16, v25
	v_cmp_eq_u32_e64 s[4:5], 0, v12
	v_and_b32_e32 v12, 0xc0, v0
	v_min_u32_e32 v12, 0x80, v12
	v_or_b32_e32 v12, 63, v12
	s_cmp_lg_u32 s30, 0
	v_cmp_lt_u32_e64 s[2:3], 31, v25
	v_lshrrev_b32_e32 v26, 6, v0
	v_cmp_eq_u32_e64 s[6:7], v12, v0
	s_cbranch_scc0 .LBB2309_51
; %bb.21:
	v_mov_b32_dpp v12, v27 row_shr:1 row_mask:0xf bank_mask:0xf
	v_cndmask_b32_e64 v12, v12, 0, s[14:15]
	v_add_u32_e32 v12, v12, v27
	s_nop 1
	v_mov_b32_dpp v13, v12 row_shr:2 row_mask:0xf bank_mask:0xf
	v_cndmask_b32_e64 v13, 0, v13, s[12:13]
	v_add_u32_e32 v12, v12, v13
	s_nop 1
	;; [unrolled: 4-line block ×4, first 2 shown]
	v_mov_b32_dpp v13, v12 row_bcast:15 row_mask:0xf bank_mask:0xf
	v_cndmask_b32_e64 v13, v13, 0, s[4:5]
	v_add_u32_e32 v12, v12, v13
	s_nop 1
	v_mov_b32_dpp v13, v12 row_bcast:31 row_mask:0xf bank_mask:0xf
	v_cndmask_b32_e64 v13, 0, v13, s[2:3]
	v_add_u32_e32 v12, v12, v13
	s_and_saveexec_b64 s[16:17], s[6:7]
	s_cbranch_execz .LBB2309_23
; %bb.22:
	v_lshlrev_b32_e32 v13, 2, v26
	ds_write_b32 v13, v12
.LBB2309_23:
	s_or_b64 exec, exec, s[16:17]
	v_cmp_gt_u32_e32 vcc, 3, v0
	s_waitcnt lgkmcnt(0)
	s_barrier
	s_and_saveexec_b64 s[16:17], vcc
	s_cbranch_execz .LBB2309_25
; %bb.24:
	ds_read_b32 v13, v1
	v_and_b32_e32 v14, 3, v25
	v_cmp_ne_u32_e32 vcc, 0, v14
	s_waitcnt lgkmcnt(0)
	v_mov_b32_dpp v15, v13 row_shr:1 row_mask:0xf bank_mask:0xf
	v_cndmask_b32_e32 v15, 0, v15, vcc
	v_add_u32_e32 v13, v15, v13
	v_cmp_lt_u32_e32 vcc, 1, v14
	s_nop 0
	v_mov_b32_dpp v15, v13 row_shr:2 row_mask:0xf bank_mask:0xf
	v_cndmask_b32_e32 v14, 0, v15, vcc
	v_add_u32_e32 v13, v13, v14
	ds_write_b32 v1, v13
.LBB2309_25:
	s_or_b64 exec, exec, s[16:17]
	v_cmp_gt_u32_e32 vcc, 64, v0
	v_cmp_lt_u32_e64 s[16:17], 63, v0
	s_waitcnt lgkmcnt(0)
	s_barrier
	s_waitcnt lgkmcnt(0)
                                        ; implicit-def: $vgpr28
	s_and_saveexec_b64 s[24:25], s[16:17]
	s_cbranch_execz .LBB2309_27
; %bb.26:
	v_lshl_add_u32 v13, v26, 2, -4
	ds_read_b32 v28, v13
	s_waitcnt lgkmcnt(0)
	v_add_u32_e32 v12, v28, v12
.LBB2309_27:
	s_or_b64 exec, exec, s[24:25]
	v_add_u32_e32 v13, -1, v25
	v_and_b32_e32 v14, 64, v25
	v_cmp_lt_i32_e64 s[16:17], v13, v14
	v_cndmask_b32_e64 v13, v13, v25, s[16:17]
	v_lshlrev_b32_e32 v13, 2, v13
	ds_bpermute_b32 v29, v13, v12
	v_cmp_eq_u32_e64 s[16:17], 0, v25
	s_and_saveexec_b64 s[24:25], vcc
	s_cbranch_execz .LBB2309_50
; %bb.28:
	v_mov_b32_e32 v21, 0
	ds_read_b32 v12, v21 offset:8
	s_and_saveexec_b64 s[26:27], s[16:17]
	s_cbranch_execz .LBB2309_30
; %bb.29:
	s_add_i32 s28, s30, 64
	s_mov_b32 s29, 0
	s_lshl_b64 s[28:29], s[28:29], 3
	s_add_u32 s28, s18, s28
	v_mov_b32_e32 v13, 1
	s_addc_u32 s29, s19, s29
	s_waitcnt lgkmcnt(0)
	global_store_dwordx2 v21, v[12:13], s[28:29]
.LBB2309_30:
	s_or_b64 exec, exec, s[26:27]
	v_xad_u32 v14, v25, -1, s30
	v_add_u32_e32 v20, 64, v14
	v_lshlrev_b64 v[16:17], 3, v[20:21]
	v_mov_b32_e32 v13, s19
	v_add_co_u32_e32 v16, vcc, s18, v16
	v_addc_co_u32_e32 v17, vcc, v13, v17, vcc
	global_load_dwordx2 v[18:19], v[16:17], off glc
	s_waitcnt vmcnt(0)
	v_cmp_eq_u16_sdwa s[28:29], v19, v21 src0_sel:BYTE_0 src1_sel:DWORD
	s_and_saveexec_b64 s[26:27], s[28:29]
	s_cbranch_execz .LBB2309_36
; %bb.31:
	s_mov_b32 s31, 1
	s_mov_b64 s[28:29], 0
	v_mov_b32_e32 v13, 0
.LBB2309_32:                            ; =>This Loop Header: Depth=1
                                        ;     Child Loop BB2309_33 Depth 2
	s_max_u32 s33, s31, 1
.LBB2309_33:                            ;   Parent Loop BB2309_32 Depth=1
                                        ; =>  This Inner Loop Header: Depth=2
	s_add_i32 s33, s33, -1
	s_cmp_eq_u32 s33, 0
	s_sleep 1
	s_cbranch_scc0 .LBB2309_33
; %bb.34:                               ;   in Loop: Header=BB2309_32 Depth=1
	global_load_dwordx2 v[18:19], v[16:17], off glc
	s_cmp_lt_u32 s31, 32
	s_cselect_b64 s[34:35], -1, 0
	s_cmp_lg_u64 s[34:35], 0
	s_addc_u32 s31, s31, 0
	s_waitcnt vmcnt(0)
	v_cmp_ne_u16_sdwa s[34:35], v19, v13 src0_sel:BYTE_0 src1_sel:DWORD
	s_or_b64 s[28:29], s[34:35], s[28:29]
	s_andn2_b64 exec, exec, s[28:29]
	s_cbranch_execnz .LBB2309_32
; %bb.35:
	s_or_b64 exec, exec, s[28:29]
.LBB2309_36:
	s_or_b64 exec, exec, s[26:27]
	v_and_b32_e32 v31, 63, v25
	v_mov_b32_e32 v30, 2
	v_cmp_ne_u32_e32 vcc, 63, v31
	v_cmp_eq_u16_sdwa s[26:27], v19, v30 src0_sel:BYTE_0 src1_sel:DWORD
	v_lshlrev_b64 v[16:17], v25, -1
	v_addc_co_u32_e32 v20, vcc, 0, v25, vcc
	v_and_b32_e32 v13, s27, v17
	v_lshlrev_b32_e32 v32, 2, v20
	v_or_b32_e32 v13, 0x80000000, v13
	ds_bpermute_b32 v20, v32, v18
	v_and_b32_e32 v15, s26, v16
	v_ffbl_b32_e32 v13, v13
	v_add_u32_e32 v13, 32, v13
	v_ffbl_b32_e32 v15, v15
	v_min_u32_e32 v13, v15, v13
	v_cmp_lt_u32_e32 vcc, v31, v13
	s_waitcnt lgkmcnt(0)
	v_cndmask_b32_e32 v15, 0, v20, vcc
	v_cmp_gt_u32_e32 vcc, 62, v31
	v_add_u32_e32 v15, v15, v18
	v_cndmask_b32_e64 v18, 0, 1, vcc
	v_lshlrev_b32_e32 v18, 1, v18
	v_add_lshl_u32 v33, v18, v25, 2
	ds_bpermute_b32 v18, v33, v15
	v_add_u32_e32 v34, 2, v31
	v_cmp_le_u32_e32 vcc, v34, v13
	v_add_u32_e32 v36, 4, v31
	v_add_u32_e32 v38, 8, v31
	s_waitcnt lgkmcnt(0)
	v_cndmask_b32_e32 v18, 0, v18, vcc
	v_cmp_gt_u32_e32 vcc, 60, v31
	v_add_u32_e32 v15, v15, v18
	v_cndmask_b32_e64 v18, 0, 1, vcc
	v_lshlrev_b32_e32 v18, 2, v18
	v_add_lshl_u32 v35, v18, v25, 2
	ds_bpermute_b32 v18, v35, v15
	v_cmp_le_u32_e32 vcc, v36, v13
	v_add_u32_e32 v40, 16, v31
	v_add_u32_e32 v42, 32, v31
	s_waitcnt lgkmcnt(0)
	v_cndmask_b32_e32 v18, 0, v18, vcc
	v_cmp_gt_u32_e32 vcc, 56, v31
	v_add_u32_e32 v15, v15, v18
	v_cndmask_b32_e64 v18, 0, 1, vcc
	v_lshlrev_b32_e32 v18, 3, v18
	v_add_lshl_u32 v37, v18, v25, 2
	ds_bpermute_b32 v18, v37, v15
	v_cmp_le_u32_e32 vcc, v38, v13
	s_waitcnt lgkmcnt(0)
	v_cndmask_b32_e32 v18, 0, v18, vcc
	v_cmp_gt_u32_e32 vcc, 48, v31
	v_add_u32_e32 v15, v15, v18
	v_cndmask_b32_e64 v18, 0, 1, vcc
	v_lshlrev_b32_e32 v18, 4, v18
	v_add_lshl_u32 v39, v18, v25, 2
	ds_bpermute_b32 v18, v39, v15
	v_cmp_le_u32_e32 vcc, v40, v13
	;; [unrolled: 9-line block ×3, first 2 shown]
	s_waitcnt lgkmcnt(0)
	v_cndmask_b32_e32 v13, 0, v18, vcc
	v_add_u32_e32 v18, v15, v13
	v_mov_b32_e32 v15, 0
	s_branch .LBB2309_38
.LBB2309_37:                            ;   in Loop: Header=BB2309_38 Depth=1
	s_or_b64 exec, exec, s[26:27]
	v_cmp_eq_u16_sdwa s[26:27], v19, v30 src0_sel:BYTE_0 src1_sel:DWORD
	v_and_b32_e32 v20, s27, v17
	v_or_b32_e32 v20, 0x80000000, v20
	ds_bpermute_b32 v43, v32, v18
	v_and_b32_e32 v21, s26, v16
	v_ffbl_b32_e32 v20, v20
	v_add_u32_e32 v20, 32, v20
	v_ffbl_b32_e32 v21, v21
	v_min_u32_e32 v20, v21, v20
	v_cmp_lt_u32_e32 vcc, v31, v20
	s_waitcnt lgkmcnt(0)
	v_cndmask_b32_e32 v21, 0, v43, vcc
	v_add_u32_e32 v18, v21, v18
	ds_bpermute_b32 v21, v33, v18
	v_cmp_le_u32_e32 vcc, v34, v20
	v_subrev_u32_e32 v14, 64, v14
	s_waitcnt lgkmcnt(0)
	v_cndmask_b32_e32 v21, 0, v21, vcc
	v_add_u32_e32 v18, v18, v21
	ds_bpermute_b32 v21, v35, v18
	v_cmp_le_u32_e32 vcc, v36, v20
	s_waitcnt lgkmcnt(0)
	v_cndmask_b32_e32 v21, 0, v21, vcc
	v_add_u32_e32 v18, v18, v21
	ds_bpermute_b32 v21, v37, v18
	v_cmp_le_u32_e32 vcc, v38, v20
	;; [unrolled: 5-line block ×4, first 2 shown]
	s_waitcnt lgkmcnt(0)
	v_cndmask_b32_e32 v20, 0, v21, vcc
	v_add3_u32 v18, v20, v13, v18
.LBB2309_38:                            ; =>This Loop Header: Depth=1
                                        ;     Child Loop BB2309_41 Depth 2
                                        ;       Child Loop BB2309_42 Depth 3
	v_cmp_ne_u16_sdwa s[26:27], v19, v30 src0_sel:BYTE_0 src1_sel:DWORD
	v_cndmask_b32_e64 v13, 0, 1, s[26:27]
	;;#ASMSTART
	;;#ASMEND
	v_cmp_ne_u32_e32 vcc, 0, v13
	s_cmp_lg_u64 vcc, exec
	v_mov_b32_e32 v13, v18
	s_cbranch_scc1 .LBB2309_45
; %bb.39:                               ;   in Loop: Header=BB2309_38 Depth=1
	v_lshlrev_b64 v[18:19], 3, v[14:15]
	v_mov_b32_e32 v21, s19
	v_add_co_u32_e32 v20, vcc, s18, v18
	v_addc_co_u32_e32 v21, vcc, v21, v19, vcc
	global_load_dwordx2 v[18:19], v[20:21], off glc
	s_waitcnt vmcnt(0)
	v_cmp_eq_u16_sdwa s[28:29], v19, v15 src0_sel:BYTE_0 src1_sel:DWORD
	s_and_saveexec_b64 s[26:27], s[28:29]
	s_cbranch_execz .LBB2309_37
; %bb.40:                               ;   in Loop: Header=BB2309_38 Depth=1
	s_mov_b32 s31, 1
	s_mov_b64 s[28:29], 0
.LBB2309_41:                            ;   Parent Loop BB2309_38 Depth=1
                                        ; =>  This Loop Header: Depth=2
                                        ;       Child Loop BB2309_42 Depth 3
	s_max_u32 s33, s31, 1
.LBB2309_42:                            ;   Parent Loop BB2309_38 Depth=1
                                        ;     Parent Loop BB2309_41 Depth=2
                                        ; =>    This Inner Loop Header: Depth=3
	s_add_i32 s33, s33, -1
	s_cmp_eq_u32 s33, 0
	s_sleep 1
	s_cbranch_scc0 .LBB2309_42
; %bb.43:                               ;   in Loop: Header=BB2309_41 Depth=2
	global_load_dwordx2 v[18:19], v[20:21], off glc
	s_cmp_lt_u32 s31, 32
	s_cselect_b64 s[34:35], -1, 0
	s_cmp_lg_u64 s[34:35], 0
	s_addc_u32 s31, s31, 0
	s_waitcnt vmcnt(0)
	v_cmp_ne_u16_sdwa s[34:35], v19, v15 src0_sel:BYTE_0 src1_sel:DWORD
	s_or_b64 s[28:29], s[34:35], s[28:29]
	s_andn2_b64 exec, exec, s[28:29]
	s_cbranch_execnz .LBB2309_41
; %bb.44:                               ;   in Loop: Header=BB2309_38 Depth=1
	s_or_b64 exec, exec, s[28:29]
	s_branch .LBB2309_37
.LBB2309_45:                            ;   in Loop: Header=BB2309_38 Depth=1
                                        ; implicit-def: $vgpr18
                                        ; implicit-def: $vgpr19
	s_cbranch_execz .LBB2309_38
; %bb.46:
	s_and_saveexec_b64 s[26:27], s[16:17]
	s_cbranch_execz .LBB2309_48
; %bb.47:
	s_add_i32 s28, s30, 64
	s_mov_b32 s29, 0
	s_lshl_b64 s[28:29], s[28:29], 3
	s_add_u32 s28, s18, s28
	v_add_u32_e32 v14, v13, v12
	v_mov_b32_e32 v15, 2
	s_addc_u32 s29, s19, s29
	v_mov_b32_e32 v16, 0
	global_store_dwordx2 v16, v[14:15], s[28:29]
	ds_write_b64 v16, v[12:13] offset:6336
.LBB2309_48:
	s_or_b64 exec, exec, s[26:27]
	s_and_b64 exec, exec, s[0:1]
	s_cbranch_execz .LBB2309_50
; %bb.49:
	v_mov_b32_e32 v12, 0
	ds_write_b32 v12, v13 offset:8
.LBB2309_50:
	s_or_b64 exec, exec, s[24:25]
	v_mov_b32_e32 v12, 0
	s_waitcnt lgkmcnt(0)
	s_barrier
	ds_read_b32 v13, v12 offset:8
	v_cndmask_b32_e64 v14, v29, v28, s[16:17]
	v_cndmask_b32_e64 v14, v14, 0, s[0:1]
	s_waitcnt lgkmcnt(0)
	s_barrier
	v_add_u32_e32 v16, v13, v14
	ds_read_b64 v[12:13], v12 offset:6336
	v_add_u32_sdwa v17, v16, v22 dst_sel:DWORD dst_unused:UNUSED_PAD src0_sel:DWORD src1_sel:BYTE_0
	v_add_u32_sdwa v15, v17, v22 dst_sel:DWORD dst_unused:UNUSED_PAD src0_sel:DWORD src1_sel:BYTE_1
	v_add_u32_e32 v14, v15, v24
	s_branch .LBB2309_61
.LBB2309_51:
                                        ; implicit-def: $vgpr13
                                        ; implicit-def: $vgpr14
                                        ; implicit-def: $vgpr15
                                        ; implicit-def: $vgpr17
                                        ; implicit-def: $vgpr16
	s_cbranch_execz .LBB2309_61
; %bb.52:
	s_waitcnt lgkmcnt(0)
	v_mov_b32_dpp v12, v27 row_shr:1 row_mask:0xf bank_mask:0xf
	v_cndmask_b32_e64 v12, v12, 0, s[14:15]
	v_add_u32_e32 v12, v12, v27
	s_nop 1
	v_mov_b32_dpp v13, v12 row_shr:2 row_mask:0xf bank_mask:0xf
	v_cndmask_b32_e64 v13, 0, v13, s[12:13]
	v_add_u32_e32 v12, v12, v13
	s_nop 1
	;; [unrolled: 4-line block ×4, first 2 shown]
	v_mov_b32_dpp v13, v12 row_bcast:15 row_mask:0xf bank_mask:0xf
	v_cndmask_b32_e64 v13, v13, 0, s[4:5]
	v_add_u32_e32 v12, v12, v13
	s_nop 1
	v_mov_b32_dpp v13, v12 row_bcast:31 row_mask:0xf bank_mask:0xf
	v_cndmask_b32_e64 v13, 0, v13, s[2:3]
	v_add_u32_e32 v12, v12, v13
	s_and_saveexec_b64 s[2:3], s[6:7]
	s_cbranch_execz .LBB2309_54
; %bb.53:
	v_lshlrev_b32_e32 v13, 2, v26
	ds_write_b32 v13, v12
.LBB2309_54:
	s_or_b64 exec, exec, s[2:3]
	v_cmp_gt_u32_e32 vcc, 3, v0
	s_waitcnt lgkmcnt(0)
	s_barrier
	s_and_saveexec_b64 s[2:3], vcc
	s_cbranch_execz .LBB2309_56
; %bb.55:
	ds_read_b32 v13, v1
	v_and_b32_e32 v14, 3, v25
	v_cmp_ne_u32_e32 vcc, 0, v14
	s_waitcnt lgkmcnt(0)
	v_mov_b32_dpp v15, v13 row_shr:1 row_mask:0xf bank_mask:0xf
	v_cndmask_b32_e32 v15, 0, v15, vcc
	v_add_u32_e32 v13, v15, v13
	v_cmp_lt_u32_e32 vcc, 1, v14
	s_nop 0
	v_mov_b32_dpp v15, v13 row_shr:2 row_mask:0xf bank_mask:0xf
	v_cndmask_b32_e32 v14, 0, v15, vcc
	v_add_u32_e32 v13, v13, v14
	ds_write_b32 v1, v13
.LBB2309_56:
	s_or_b64 exec, exec, s[2:3]
	v_cmp_lt_u32_e32 vcc, 63, v0
	v_mov_b32_e32 v13, 0
	v_mov_b32_e32 v0, 0
	s_waitcnt lgkmcnt(0)
	s_barrier
	s_and_saveexec_b64 s[2:3], vcc
	s_cbranch_execz .LBB2309_58
; %bb.57:
	v_lshl_add_u32 v0, v26, 2, -4
	ds_read_b32 v0, v0
.LBB2309_58:
	s_or_b64 exec, exec, s[2:3]
	v_add_u32_e32 v14, -1, v25
	v_and_b32_e32 v15, 64, v25
	v_cmp_lt_i32_e32 vcc, v14, v15
	v_cndmask_b32_e32 v14, v14, v25, vcc
	s_waitcnt lgkmcnt(0)
	v_add_u32_e32 v12, v0, v12
	v_lshlrev_b32_e32 v14, 2, v14
	ds_bpermute_b32 v14, v14, v12
	ds_read_b32 v12, v13 offset:8
	s_and_saveexec_b64 s[2:3], s[0:1]
	s_cbranch_execz .LBB2309_60
; %bb.59:
	v_mov_b32_e32 v15, 0
	v_mov_b32_e32 v13, 2
	s_waitcnt lgkmcnt(0)
	global_store_dwordx2 v15, v[12:13], s[18:19] offset:512
.LBB2309_60:
	s_or_b64 exec, exec, s[2:3]
	v_cmp_eq_u32_e32 vcc, 0, v25
	s_waitcnt lgkmcnt(1)
	v_cndmask_b32_e32 v0, v14, v0, vcc
	v_cndmask_b32_e64 v16, v0, 0, s[0:1]
	v_add_u32_sdwa v17, v16, v22 dst_sel:DWORD dst_unused:UNUSED_PAD src0_sel:DWORD src1_sel:BYTE_0
	v_add_u32_sdwa v15, v17, v22 dst_sel:DWORD dst_unused:UNUSED_PAD src0_sel:DWORD src1_sel:BYTE_1
	v_mov_b32_e32 v13, 0
	v_add_u32_e32 v14, v15, v24
	s_waitcnt lgkmcnt(0)
	s_barrier
.LBB2309_61:
	s_waitcnt lgkmcnt(0)
	v_add_u32_e32 v1, v12, v1
	v_sub_u32_e32 v16, v16, v13
	v_and_b32_e32 v19, 1, v22
	v_sub_u32_e32 v18, v1, v16
	v_cmp_eq_u32_e32 vcc, 1, v19
	v_cndmask_b32_e32 v16, v18, v16, vcc
	v_lshlrev_b32_e32 v16, 3, v16
	v_lshrrev_b32_e32 v0, 8, v22
	ds_write_b64 v16, v[6:7]
	v_sub_u32_e32 v6, v17, v13
	v_sub_u32_e32 v7, v1, v6
	v_and_b32_e32 v0, 1, v0
	v_add_u32_e32 v7, 1, v7
	v_cmp_eq_u32_e32 vcc, 1, v0
	v_cndmask_b32_e32 v0, v7, v6, vcc
	v_lshlrev_b32_e32 v0, 3, v0
	ds_write_b64 v0, v[8:9]
	v_sub_u32_e32 v0, v15, v13
	v_mov_b32_e32 v7, 1
	v_sub_u32_e32 v6, v1, v0
	v_and_b32_sdwa v7, v7, v22 dst_sel:DWORD dst_unused:UNUSED_PAD src0_sel:DWORD src1_sel:WORD_1
	v_add_u32_e32 v6, 2, v6
	v_cmp_eq_u32_e32 vcc, 1, v7
	v_cndmask_b32_e32 v0, v6, v0, vcc
	v_lshlrev_b32_e32 v0, 3, v0
	ds_write_b64 v0, v[2:3]
	v_sub_u32_e32 v0, v14, v13
	v_sub_u32_e32 v1, v1, v0
	v_and_b32_e32 v2, 1, v23
	v_add_u32_e32 v1, 3, v1
	v_cmp_eq_u32_e32 vcc, 1, v2
	v_cndmask_b32_e32 v0, v1, v0, vcc
	v_lshlrev_b32_e32 v0, 3, v0
	s_and_b64 s[0:1], s[0:1], s[22:23]
	ds_write_b64 v0, v[4:5]
	s_waitcnt lgkmcnt(0)
	s_barrier
	s_and_saveexec_b64 s[2:3], s[0:1]
	s_cbranch_execz .LBB2309_63
; %bb.62:
	s_waitcnt vmcnt(0)
	v_add_co_u32_e32 v0, vcc, v10, v12
	v_addc_co_u32_e32 v1, vcc, 0, v11, vcc
	v_add_co_u32_e32 v0, vcc, v0, v13
	v_mov_b32_e32 v2, 0
	v_addc_co_u32_e32 v1, vcc, 0, v1, vcc
	global_store_dwordx2 v2, v[0:1], s[20:21]
.LBB2309_63:
	s_endpgm
	.section	.rodata,"a",@progbits
	.p2align	6, 0x0
	.amdhsa_kernel _ZN7rocprim17ROCPRIM_400000_NS6detail17trampoline_kernelINS0_14default_configENS1_25partition_config_selectorILNS1_17partition_subalgoE0EyNS0_10empty_typeEbEEZZNS1_14partition_implILS5_0ELb0ES3_jN6thrust23THRUST_200600_302600_NS6detail15normal_iteratorINSA_10device_ptrIyEEEEPS6_SG_NS0_5tupleIJNSA_16discard_iteratorINSA_11use_defaultEEESK_EEENSH_IJSG_SG_EEES6_PlJ7is_evenIyEEEE10hipError_tPvRmT3_T4_T5_T6_T7_T9_mT8_P12ihipStream_tbDpT10_ENKUlT_T0_E_clISt17integral_constantIbLb1EES19_EEDaS14_S15_EUlS14_E_NS1_11comp_targetILNS1_3genE4ELNS1_11target_archE910ELNS1_3gpuE8ELNS1_3repE0EEENS1_30default_config_static_selectorELNS0_4arch9wavefront6targetE1EEEvT1_
		.amdhsa_group_segment_fixed_size 6344
		.amdhsa_private_segment_fixed_size 0
		.amdhsa_kernarg_size 152
		.amdhsa_user_sgpr_count 6
		.amdhsa_user_sgpr_private_segment_buffer 1
		.amdhsa_user_sgpr_dispatch_ptr 0
		.amdhsa_user_sgpr_queue_ptr 0
		.amdhsa_user_sgpr_kernarg_segment_ptr 1
		.amdhsa_user_sgpr_dispatch_id 0
		.amdhsa_user_sgpr_flat_scratch_init 0
		.amdhsa_user_sgpr_kernarg_preload_length 0
		.amdhsa_user_sgpr_kernarg_preload_offset 0
		.amdhsa_user_sgpr_private_segment_size 0
		.amdhsa_uses_dynamic_stack 0
		.amdhsa_system_sgpr_private_segment_wavefront_offset 0
		.amdhsa_system_sgpr_workgroup_id_x 1
		.amdhsa_system_sgpr_workgroup_id_y 0
		.amdhsa_system_sgpr_workgroup_id_z 0
		.amdhsa_system_sgpr_workgroup_info 0
		.amdhsa_system_vgpr_workitem_id 0
		.amdhsa_next_free_vgpr 44
		.amdhsa_next_free_sgpr 36
		.amdhsa_accum_offset 44
		.amdhsa_reserve_vcc 1
		.amdhsa_reserve_flat_scratch 0
		.amdhsa_float_round_mode_32 0
		.amdhsa_float_round_mode_16_64 0
		.amdhsa_float_denorm_mode_32 3
		.amdhsa_float_denorm_mode_16_64 3
		.amdhsa_dx10_clamp 1
		.amdhsa_ieee_mode 1
		.amdhsa_fp16_overflow 0
		.amdhsa_tg_split 0
		.amdhsa_exception_fp_ieee_invalid_op 0
		.amdhsa_exception_fp_denorm_src 0
		.amdhsa_exception_fp_ieee_div_zero 0
		.amdhsa_exception_fp_ieee_overflow 0
		.amdhsa_exception_fp_ieee_underflow 0
		.amdhsa_exception_fp_ieee_inexact 0
		.amdhsa_exception_int_div_zero 0
	.end_amdhsa_kernel
	.section	.text._ZN7rocprim17ROCPRIM_400000_NS6detail17trampoline_kernelINS0_14default_configENS1_25partition_config_selectorILNS1_17partition_subalgoE0EyNS0_10empty_typeEbEEZZNS1_14partition_implILS5_0ELb0ES3_jN6thrust23THRUST_200600_302600_NS6detail15normal_iteratorINSA_10device_ptrIyEEEEPS6_SG_NS0_5tupleIJNSA_16discard_iteratorINSA_11use_defaultEEESK_EEENSH_IJSG_SG_EEES6_PlJ7is_evenIyEEEE10hipError_tPvRmT3_T4_T5_T6_T7_T9_mT8_P12ihipStream_tbDpT10_ENKUlT_T0_E_clISt17integral_constantIbLb1EES19_EEDaS14_S15_EUlS14_E_NS1_11comp_targetILNS1_3genE4ELNS1_11target_archE910ELNS1_3gpuE8ELNS1_3repE0EEENS1_30default_config_static_selectorELNS0_4arch9wavefront6targetE1EEEvT1_,"axG",@progbits,_ZN7rocprim17ROCPRIM_400000_NS6detail17trampoline_kernelINS0_14default_configENS1_25partition_config_selectorILNS1_17partition_subalgoE0EyNS0_10empty_typeEbEEZZNS1_14partition_implILS5_0ELb0ES3_jN6thrust23THRUST_200600_302600_NS6detail15normal_iteratorINSA_10device_ptrIyEEEEPS6_SG_NS0_5tupleIJNSA_16discard_iteratorINSA_11use_defaultEEESK_EEENSH_IJSG_SG_EEES6_PlJ7is_evenIyEEEE10hipError_tPvRmT3_T4_T5_T6_T7_T9_mT8_P12ihipStream_tbDpT10_ENKUlT_T0_E_clISt17integral_constantIbLb1EES19_EEDaS14_S15_EUlS14_E_NS1_11comp_targetILNS1_3genE4ELNS1_11target_archE910ELNS1_3gpuE8ELNS1_3repE0EEENS1_30default_config_static_selectorELNS0_4arch9wavefront6targetE1EEEvT1_,comdat
.Lfunc_end2309:
	.size	_ZN7rocprim17ROCPRIM_400000_NS6detail17trampoline_kernelINS0_14default_configENS1_25partition_config_selectorILNS1_17partition_subalgoE0EyNS0_10empty_typeEbEEZZNS1_14partition_implILS5_0ELb0ES3_jN6thrust23THRUST_200600_302600_NS6detail15normal_iteratorINSA_10device_ptrIyEEEEPS6_SG_NS0_5tupleIJNSA_16discard_iteratorINSA_11use_defaultEEESK_EEENSH_IJSG_SG_EEES6_PlJ7is_evenIyEEEE10hipError_tPvRmT3_T4_T5_T6_T7_T9_mT8_P12ihipStream_tbDpT10_ENKUlT_T0_E_clISt17integral_constantIbLb1EES19_EEDaS14_S15_EUlS14_E_NS1_11comp_targetILNS1_3genE4ELNS1_11target_archE910ELNS1_3gpuE8ELNS1_3repE0EEENS1_30default_config_static_selectorELNS0_4arch9wavefront6targetE1EEEvT1_, .Lfunc_end2309-_ZN7rocprim17ROCPRIM_400000_NS6detail17trampoline_kernelINS0_14default_configENS1_25partition_config_selectorILNS1_17partition_subalgoE0EyNS0_10empty_typeEbEEZZNS1_14partition_implILS5_0ELb0ES3_jN6thrust23THRUST_200600_302600_NS6detail15normal_iteratorINSA_10device_ptrIyEEEEPS6_SG_NS0_5tupleIJNSA_16discard_iteratorINSA_11use_defaultEEESK_EEENSH_IJSG_SG_EEES6_PlJ7is_evenIyEEEE10hipError_tPvRmT3_T4_T5_T6_T7_T9_mT8_P12ihipStream_tbDpT10_ENKUlT_T0_E_clISt17integral_constantIbLb1EES19_EEDaS14_S15_EUlS14_E_NS1_11comp_targetILNS1_3genE4ELNS1_11target_archE910ELNS1_3gpuE8ELNS1_3repE0EEENS1_30default_config_static_selectorELNS0_4arch9wavefront6targetE1EEEvT1_
                                        ; -- End function
	.section	.AMDGPU.csdata,"",@progbits
; Kernel info:
; codeLenInByte = 3248
; NumSgprs: 40
; NumVgprs: 44
; NumAgprs: 0
; TotalNumVgprs: 44
; ScratchSize: 0
; MemoryBound: 0
; FloatMode: 240
; IeeeMode: 1
; LDSByteSize: 6344 bytes/workgroup (compile time only)
; SGPRBlocks: 4
; VGPRBlocks: 5
; NumSGPRsForWavesPerEU: 40
; NumVGPRsForWavesPerEU: 44
; AccumOffset: 44
; Occupancy: 8
; WaveLimiterHint : 1
; COMPUTE_PGM_RSRC2:SCRATCH_EN: 0
; COMPUTE_PGM_RSRC2:USER_SGPR: 6
; COMPUTE_PGM_RSRC2:TRAP_HANDLER: 0
; COMPUTE_PGM_RSRC2:TGID_X_EN: 1
; COMPUTE_PGM_RSRC2:TGID_Y_EN: 0
; COMPUTE_PGM_RSRC2:TGID_Z_EN: 0
; COMPUTE_PGM_RSRC2:TIDIG_COMP_CNT: 0
; COMPUTE_PGM_RSRC3_GFX90A:ACCUM_OFFSET: 10
; COMPUTE_PGM_RSRC3_GFX90A:TG_SPLIT: 0
	.section	.text._ZN7rocprim17ROCPRIM_400000_NS6detail17trampoline_kernelINS0_14default_configENS1_25partition_config_selectorILNS1_17partition_subalgoE0EyNS0_10empty_typeEbEEZZNS1_14partition_implILS5_0ELb0ES3_jN6thrust23THRUST_200600_302600_NS6detail15normal_iteratorINSA_10device_ptrIyEEEEPS6_SG_NS0_5tupleIJNSA_16discard_iteratorINSA_11use_defaultEEESK_EEENSH_IJSG_SG_EEES6_PlJ7is_evenIyEEEE10hipError_tPvRmT3_T4_T5_T6_T7_T9_mT8_P12ihipStream_tbDpT10_ENKUlT_T0_E_clISt17integral_constantIbLb1EES19_EEDaS14_S15_EUlS14_E_NS1_11comp_targetILNS1_3genE3ELNS1_11target_archE908ELNS1_3gpuE7ELNS1_3repE0EEENS1_30default_config_static_selectorELNS0_4arch9wavefront6targetE1EEEvT1_,"axG",@progbits,_ZN7rocprim17ROCPRIM_400000_NS6detail17trampoline_kernelINS0_14default_configENS1_25partition_config_selectorILNS1_17partition_subalgoE0EyNS0_10empty_typeEbEEZZNS1_14partition_implILS5_0ELb0ES3_jN6thrust23THRUST_200600_302600_NS6detail15normal_iteratorINSA_10device_ptrIyEEEEPS6_SG_NS0_5tupleIJNSA_16discard_iteratorINSA_11use_defaultEEESK_EEENSH_IJSG_SG_EEES6_PlJ7is_evenIyEEEE10hipError_tPvRmT3_T4_T5_T6_T7_T9_mT8_P12ihipStream_tbDpT10_ENKUlT_T0_E_clISt17integral_constantIbLb1EES19_EEDaS14_S15_EUlS14_E_NS1_11comp_targetILNS1_3genE3ELNS1_11target_archE908ELNS1_3gpuE7ELNS1_3repE0EEENS1_30default_config_static_selectorELNS0_4arch9wavefront6targetE1EEEvT1_,comdat
	.protected	_ZN7rocprim17ROCPRIM_400000_NS6detail17trampoline_kernelINS0_14default_configENS1_25partition_config_selectorILNS1_17partition_subalgoE0EyNS0_10empty_typeEbEEZZNS1_14partition_implILS5_0ELb0ES3_jN6thrust23THRUST_200600_302600_NS6detail15normal_iteratorINSA_10device_ptrIyEEEEPS6_SG_NS0_5tupleIJNSA_16discard_iteratorINSA_11use_defaultEEESK_EEENSH_IJSG_SG_EEES6_PlJ7is_evenIyEEEE10hipError_tPvRmT3_T4_T5_T6_T7_T9_mT8_P12ihipStream_tbDpT10_ENKUlT_T0_E_clISt17integral_constantIbLb1EES19_EEDaS14_S15_EUlS14_E_NS1_11comp_targetILNS1_3genE3ELNS1_11target_archE908ELNS1_3gpuE7ELNS1_3repE0EEENS1_30default_config_static_selectorELNS0_4arch9wavefront6targetE1EEEvT1_ ; -- Begin function _ZN7rocprim17ROCPRIM_400000_NS6detail17trampoline_kernelINS0_14default_configENS1_25partition_config_selectorILNS1_17partition_subalgoE0EyNS0_10empty_typeEbEEZZNS1_14partition_implILS5_0ELb0ES3_jN6thrust23THRUST_200600_302600_NS6detail15normal_iteratorINSA_10device_ptrIyEEEEPS6_SG_NS0_5tupleIJNSA_16discard_iteratorINSA_11use_defaultEEESK_EEENSH_IJSG_SG_EEES6_PlJ7is_evenIyEEEE10hipError_tPvRmT3_T4_T5_T6_T7_T9_mT8_P12ihipStream_tbDpT10_ENKUlT_T0_E_clISt17integral_constantIbLb1EES19_EEDaS14_S15_EUlS14_E_NS1_11comp_targetILNS1_3genE3ELNS1_11target_archE908ELNS1_3gpuE7ELNS1_3repE0EEENS1_30default_config_static_selectorELNS0_4arch9wavefront6targetE1EEEvT1_
	.globl	_ZN7rocprim17ROCPRIM_400000_NS6detail17trampoline_kernelINS0_14default_configENS1_25partition_config_selectorILNS1_17partition_subalgoE0EyNS0_10empty_typeEbEEZZNS1_14partition_implILS5_0ELb0ES3_jN6thrust23THRUST_200600_302600_NS6detail15normal_iteratorINSA_10device_ptrIyEEEEPS6_SG_NS0_5tupleIJNSA_16discard_iteratorINSA_11use_defaultEEESK_EEENSH_IJSG_SG_EEES6_PlJ7is_evenIyEEEE10hipError_tPvRmT3_T4_T5_T6_T7_T9_mT8_P12ihipStream_tbDpT10_ENKUlT_T0_E_clISt17integral_constantIbLb1EES19_EEDaS14_S15_EUlS14_E_NS1_11comp_targetILNS1_3genE3ELNS1_11target_archE908ELNS1_3gpuE7ELNS1_3repE0EEENS1_30default_config_static_selectorELNS0_4arch9wavefront6targetE1EEEvT1_
	.p2align	8
	.type	_ZN7rocprim17ROCPRIM_400000_NS6detail17trampoline_kernelINS0_14default_configENS1_25partition_config_selectorILNS1_17partition_subalgoE0EyNS0_10empty_typeEbEEZZNS1_14partition_implILS5_0ELb0ES3_jN6thrust23THRUST_200600_302600_NS6detail15normal_iteratorINSA_10device_ptrIyEEEEPS6_SG_NS0_5tupleIJNSA_16discard_iteratorINSA_11use_defaultEEESK_EEENSH_IJSG_SG_EEES6_PlJ7is_evenIyEEEE10hipError_tPvRmT3_T4_T5_T6_T7_T9_mT8_P12ihipStream_tbDpT10_ENKUlT_T0_E_clISt17integral_constantIbLb1EES19_EEDaS14_S15_EUlS14_E_NS1_11comp_targetILNS1_3genE3ELNS1_11target_archE908ELNS1_3gpuE7ELNS1_3repE0EEENS1_30default_config_static_selectorELNS0_4arch9wavefront6targetE1EEEvT1_,@function
_ZN7rocprim17ROCPRIM_400000_NS6detail17trampoline_kernelINS0_14default_configENS1_25partition_config_selectorILNS1_17partition_subalgoE0EyNS0_10empty_typeEbEEZZNS1_14partition_implILS5_0ELb0ES3_jN6thrust23THRUST_200600_302600_NS6detail15normal_iteratorINSA_10device_ptrIyEEEEPS6_SG_NS0_5tupleIJNSA_16discard_iteratorINSA_11use_defaultEEESK_EEENSH_IJSG_SG_EEES6_PlJ7is_evenIyEEEE10hipError_tPvRmT3_T4_T5_T6_T7_T9_mT8_P12ihipStream_tbDpT10_ENKUlT_T0_E_clISt17integral_constantIbLb1EES19_EEDaS14_S15_EUlS14_E_NS1_11comp_targetILNS1_3genE3ELNS1_11target_archE908ELNS1_3gpuE7ELNS1_3repE0EEENS1_30default_config_static_selectorELNS0_4arch9wavefront6targetE1EEEvT1_: ; @_ZN7rocprim17ROCPRIM_400000_NS6detail17trampoline_kernelINS0_14default_configENS1_25partition_config_selectorILNS1_17partition_subalgoE0EyNS0_10empty_typeEbEEZZNS1_14partition_implILS5_0ELb0ES3_jN6thrust23THRUST_200600_302600_NS6detail15normal_iteratorINSA_10device_ptrIyEEEEPS6_SG_NS0_5tupleIJNSA_16discard_iteratorINSA_11use_defaultEEESK_EEENSH_IJSG_SG_EEES6_PlJ7is_evenIyEEEE10hipError_tPvRmT3_T4_T5_T6_T7_T9_mT8_P12ihipStream_tbDpT10_ENKUlT_T0_E_clISt17integral_constantIbLb1EES19_EEDaS14_S15_EUlS14_E_NS1_11comp_targetILNS1_3genE3ELNS1_11target_archE908ELNS1_3gpuE7ELNS1_3repE0EEENS1_30default_config_static_selectorELNS0_4arch9wavefront6targetE1EEEvT1_
; %bb.0:
	.section	.rodata,"a",@progbits
	.p2align	6, 0x0
	.amdhsa_kernel _ZN7rocprim17ROCPRIM_400000_NS6detail17trampoline_kernelINS0_14default_configENS1_25partition_config_selectorILNS1_17partition_subalgoE0EyNS0_10empty_typeEbEEZZNS1_14partition_implILS5_0ELb0ES3_jN6thrust23THRUST_200600_302600_NS6detail15normal_iteratorINSA_10device_ptrIyEEEEPS6_SG_NS0_5tupleIJNSA_16discard_iteratorINSA_11use_defaultEEESK_EEENSH_IJSG_SG_EEES6_PlJ7is_evenIyEEEE10hipError_tPvRmT3_T4_T5_T6_T7_T9_mT8_P12ihipStream_tbDpT10_ENKUlT_T0_E_clISt17integral_constantIbLb1EES19_EEDaS14_S15_EUlS14_E_NS1_11comp_targetILNS1_3genE3ELNS1_11target_archE908ELNS1_3gpuE7ELNS1_3repE0EEENS1_30default_config_static_selectorELNS0_4arch9wavefront6targetE1EEEvT1_
		.amdhsa_group_segment_fixed_size 0
		.amdhsa_private_segment_fixed_size 0
		.amdhsa_kernarg_size 152
		.amdhsa_user_sgpr_count 6
		.amdhsa_user_sgpr_private_segment_buffer 1
		.amdhsa_user_sgpr_dispatch_ptr 0
		.amdhsa_user_sgpr_queue_ptr 0
		.amdhsa_user_sgpr_kernarg_segment_ptr 1
		.amdhsa_user_sgpr_dispatch_id 0
		.amdhsa_user_sgpr_flat_scratch_init 0
		.amdhsa_user_sgpr_kernarg_preload_length 0
		.amdhsa_user_sgpr_kernarg_preload_offset 0
		.amdhsa_user_sgpr_private_segment_size 0
		.amdhsa_uses_dynamic_stack 0
		.amdhsa_system_sgpr_private_segment_wavefront_offset 0
		.amdhsa_system_sgpr_workgroup_id_x 1
		.amdhsa_system_sgpr_workgroup_id_y 0
		.amdhsa_system_sgpr_workgroup_id_z 0
		.amdhsa_system_sgpr_workgroup_info 0
		.amdhsa_system_vgpr_workitem_id 0
		.amdhsa_next_free_vgpr 1
		.amdhsa_next_free_sgpr 0
		.amdhsa_accum_offset 4
		.amdhsa_reserve_vcc 0
		.amdhsa_reserve_flat_scratch 0
		.amdhsa_float_round_mode_32 0
		.amdhsa_float_round_mode_16_64 0
		.amdhsa_float_denorm_mode_32 3
		.amdhsa_float_denorm_mode_16_64 3
		.amdhsa_dx10_clamp 1
		.amdhsa_ieee_mode 1
		.amdhsa_fp16_overflow 0
		.amdhsa_tg_split 0
		.amdhsa_exception_fp_ieee_invalid_op 0
		.amdhsa_exception_fp_denorm_src 0
		.amdhsa_exception_fp_ieee_div_zero 0
		.amdhsa_exception_fp_ieee_overflow 0
		.amdhsa_exception_fp_ieee_underflow 0
		.amdhsa_exception_fp_ieee_inexact 0
		.amdhsa_exception_int_div_zero 0
	.end_amdhsa_kernel
	.section	.text._ZN7rocprim17ROCPRIM_400000_NS6detail17trampoline_kernelINS0_14default_configENS1_25partition_config_selectorILNS1_17partition_subalgoE0EyNS0_10empty_typeEbEEZZNS1_14partition_implILS5_0ELb0ES3_jN6thrust23THRUST_200600_302600_NS6detail15normal_iteratorINSA_10device_ptrIyEEEEPS6_SG_NS0_5tupleIJNSA_16discard_iteratorINSA_11use_defaultEEESK_EEENSH_IJSG_SG_EEES6_PlJ7is_evenIyEEEE10hipError_tPvRmT3_T4_T5_T6_T7_T9_mT8_P12ihipStream_tbDpT10_ENKUlT_T0_E_clISt17integral_constantIbLb1EES19_EEDaS14_S15_EUlS14_E_NS1_11comp_targetILNS1_3genE3ELNS1_11target_archE908ELNS1_3gpuE7ELNS1_3repE0EEENS1_30default_config_static_selectorELNS0_4arch9wavefront6targetE1EEEvT1_,"axG",@progbits,_ZN7rocprim17ROCPRIM_400000_NS6detail17trampoline_kernelINS0_14default_configENS1_25partition_config_selectorILNS1_17partition_subalgoE0EyNS0_10empty_typeEbEEZZNS1_14partition_implILS5_0ELb0ES3_jN6thrust23THRUST_200600_302600_NS6detail15normal_iteratorINSA_10device_ptrIyEEEEPS6_SG_NS0_5tupleIJNSA_16discard_iteratorINSA_11use_defaultEEESK_EEENSH_IJSG_SG_EEES6_PlJ7is_evenIyEEEE10hipError_tPvRmT3_T4_T5_T6_T7_T9_mT8_P12ihipStream_tbDpT10_ENKUlT_T0_E_clISt17integral_constantIbLb1EES19_EEDaS14_S15_EUlS14_E_NS1_11comp_targetILNS1_3genE3ELNS1_11target_archE908ELNS1_3gpuE7ELNS1_3repE0EEENS1_30default_config_static_selectorELNS0_4arch9wavefront6targetE1EEEvT1_,comdat
.Lfunc_end2310:
	.size	_ZN7rocprim17ROCPRIM_400000_NS6detail17trampoline_kernelINS0_14default_configENS1_25partition_config_selectorILNS1_17partition_subalgoE0EyNS0_10empty_typeEbEEZZNS1_14partition_implILS5_0ELb0ES3_jN6thrust23THRUST_200600_302600_NS6detail15normal_iteratorINSA_10device_ptrIyEEEEPS6_SG_NS0_5tupleIJNSA_16discard_iteratorINSA_11use_defaultEEESK_EEENSH_IJSG_SG_EEES6_PlJ7is_evenIyEEEE10hipError_tPvRmT3_T4_T5_T6_T7_T9_mT8_P12ihipStream_tbDpT10_ENKUlT_T0_E_clISt17integral_constantIbLb1EES19_EEDaS14_S15_EUlS14_E_NS1_11comp_targetILNS1_3genE3ELNS1_11target_archE908ELNS1_3gpuE7ELNS1_3repE0EEENS1_30default_config_static_selectorELNS0_4arch9wavefront6targetE1EEEvT1_, .Lfunc_end2310-_ZN7rocprim17ROCPRIM_400000_NS6detail17trampoline_kernelINS0_14default_configENS1_25partition_config_selectorILNS1_17partition_subalgoE0EyNS0_10empty_typeEbEEZZNS1_14partition_implILS5_0ELb0ES3_jN6thrust23THRUST_200600_302600_NS6detail15normal_iteratorINSA_10device_ptrIyEEEEPS6_SG_NS0_5tupleIJNSA_16discard_iteratorINSA_11use_defaultEEESK_EEENSH_IJSG_SG_EEES6_PlJ7is_evenIyEEEE10hipError_tPvRmT3_T4_T5_T6_T7_T9_mT8_P12ihipStream_tbDpT10_ENKUlT_T0_E_clISt17integral_constantIbLb1EES19_EEDaS14_S15_EUlS14_E_NS1_11comp_targetILNS1_3genE3ELNS1_11target_archE908ELNS1_3gpuE7ELNS1_3repE0EEENS1_30default_config_static_selectorELNS0_4arch9wavefront6targetE1EEEvT1_
                                        ; -- End function
	.section	.AMDGPU.csdata,"",@progbits
; Kernel info:
; codeLenInByte = 0
; NumSgprs: 4
; NumVgprs: 0
; NumAgprs: 0
; TotalNumVgprs: 0
; ScratchSize: 0
; MemoryBound: 0
; FloatMode: 240
; IeeeMode: 1
; LDSByteSize: 0 bytes/workgroup (compile time only)
; SGPRBlocks: 0
; VGPRBlocks: 0
; NumSGPRsForWavesPerEU: 4
; NumVGPRsForWavesPerEU: 1
; AccumOffset: 4
; Occupancy: 8
; WaveLimiterHint : 0
; COMPUTE_PGM_RSRC2:SCRATCH_EN: 0
; COMPUTE_PGM_RSRC2:USER_SGPR: 6
; COMPUTE_PGM_RSRC2:TRAP_HANDLER: 0
; COMPUTE_PGM_RSRC2:TGID_X_EN: 1
; COMPUTE_PGM_RSRC2:TGID_Y_EN: 0
; COMPUTE_PGM_RSRC2:TGID_Z_EN: 0
; COMPUTE_PGM_RSRC2:TIDIG_COMP_CNT: 0
; COMPUTE_PGM_RSRC3_GFX90A:ACCUM_OFFSET: 0
; COMPUTE_PGM_RSRC3_GFX90A:TG_SPLIT: 0
	.section	.text._ZN7rocprim17ROCPRIM_400000_NS6detail17trampoline_kernelINS0_14default_configENS1_25partition_config_selectorILNS1_17partition_subalgoE0EyNS0_10empty_typeEbEEZZNS1_14partition_implILS5_0ELb0ES3_jN6thrust23THRUST_200600_302600_NS6detail15normal_iteratorINSA_10device_ptrIyEEEEPS6_SG_NS0_5tupleIJNSA_16discard_iteratorINSA_11use_defaultEEESK_EEENSH_IJSG_SG_EEES6_PlJ7is_evenIyEEEE10hipError_tPvRmT3_T4_T5_T6_T7_T9_mT8_P12ihipStream_tbDpT10_ENKUlT_T0_E_clISt17integral_constantIbLb1EES19_EEDaS14_S15_EUlS14_E_NS1_11comp_targetILNS1_3genE2ELNS1_11target_archE906ELNS1_3gpuE6ELNS1_3repE0EEENS1_30default_config_static_selectorELNS0_4arch9wavefront6targetE1EEEvT1_,"axG",@progbits,_ZN7rocprim17ROCPRIM_400000_NS6detail17trampoline_kernelINS0_14default_configENS1_25partition_config_selectorILNS1_17partition_subalgoE0EyNS0_10empty_typeEbEEZZNS1_14partition_implILS5_0ELb0ES3_jN6thrust23THRUST_200600_302600_NS6detail15normal_iteratorINSA_10device_ptrIyEEEEPS6_SG_NS0_5tupleIJNSA_16discard_iteratorINSA_11use_defaultEEESK_EEENSH_IJSG_SG_EEES6_PlJ7is_evenIyEEEE10hipError_tPvRmT3_T4_T5_T6_T7_T9_mT8_P12ihipStream_tbDpT10_ENKUlT_T0_E_clISt17integral_constantIbLb1EES19_EEDaS14_S15_EUlS14_E_NS1_11comp_targetILNS1_3genE2ELNS1_11target_archE906ELNS1_3gpuE6ELNS1_3repE0EEENS1_30default_config_static_selectorELNS0_4arch9wavefront6targetE1EEEvT1_,comdat
	.protected	_ZN7rocprim17ROCPRIM_400000_NS6detail17trampoline_kernelINS0_14default_configENS1_25partition_config_selectorILNS1_17partition_subalgoE0EyNS0_10empty_typeEbEEZZNS1_14partition_implILS5_0ELb0ES3_jN6thrust23THRUST_200600_302600_NS6detail15normal_iteratorINSA_10device_ptrIyEEEEPS6_SG_NS0_5tupleIJNSA_16discard_iteratorINSA_11use_defaultEEESK_EEENSH_IJSG_SG_EEES6_PlJ7is_evenIyEEEE10hipError_tPvRmT3_T4_T5_T6_T7_T9_mT8_P12ihipStream_tbDpT10_ENKUlT_T0_E_clISt17integral_constantIbLb1EES19_EEDaS14_S15_EUlS14_E_NS1_11comp_targetILNS1_3genE2ELNS1_11target_archE906ELNS1_3gpuE6ELNS1_3repE0EEENS1_30default_config_static_selectorELNS0_4arch9wavefront6targetE1EEEvT1_ ; -- Begin function _ZN7rocprim17ROCPRIM_400000_NS6detail17trampoline_kernelINS0_14default_configENS1_25partition_config_selectorILNS1_17partition_subalgoE0EyNS0_10empty_typeEbEEZZNS1_14partition_implILS5_0ELb0ES3_jN6thrust23THRUST_200600_302600_NS6detail15normal_iteratorINSA_10device_ptrIyEEEEPS6_SG_NS0_5tupleIJNSA_16discard_iteratorINSA_11use_defaultEEESK_EEENSH_IJSG_SG_EEES6_PlJ7is_evenIyEEEE10hipError_tPvRmT3_T4_T5_T6_T7_T9_mT8_P12ihipStream_tbDpT10_ENKUlT_T0_E_clISt17integral_constantIbLb1EES19_EEDaS14_S15_EUlS14_E_NS1_11comp_targetILNS1_3genE2ELNS1_11target_archE906ELNS1_3gpuE6ELNS1_3repE0EEENS1_30default_config_static_selectorELNS0_4arch9wavefront6targetE1EEEvT1_
	.globl	_ZN7rocprim17ROCPRIM_400000_NS6detail17trampoline_kernelINS0_14default_configENS1_25partition_config_selectorILNS1_17partition_subalgoE0EyNS0_10empty_typeEbEEZZNS1_14partition_implILS5_0ELb0ES3_jN6thrust23THRUST_200600_302600_NS6detail15normal_iteratorINSA_10device_ptrIyEEEEPS6_SG_NS0_5tupleIJNSA_16discard_iteratorINSA_11use_defaultEEESK_EEENSH_IJSG_SG_EEES6_PlJ7is_evenIyEEEE10hipError_tPvRmT3_T4_T5_T6_T7_T9_mT8_P12ihipStream_tbDpT10_ENKUlT_T0_E_clISt17integral_constantIbLb1EES19_EEDaS14_S15_EUlS14_E_NS1_11comp_targetILNS1_3genE2ELNS1_11target_archE906ELNS1_3gpuE6ELNS1_3repE0EEENS1_30default_config_static_selectorELNS0_4arch9wavefront6targetE1EEEvT1_
	.p2align	8
	.type	_ZN7rocprim17ROCPRIM_400000_NS6detail17trampoline_kernelINS0_14default_configENS1_25partition_config_selectorILNS1_17partition_subalgoE0EyNS0_10empty_typeEbEEZZNS1_14partition_implILS5_0ELb0ES3_jN6thrust23THRUST_200600_302600_NS6detail15normal_iteratorINSA_10device_ptrIyEEEEPS6_SG_NS0_5tupleIJNSA_16discard_iteratorINSA_11use_defaultEEESK_EEENSH_IJSG_SG_EEES6_PlJ7is_evenIyEEEE10hipError_tPvRmT3_T4_T5_T6_T7_T9_mT8_P12ihipStream_tbDpT10_ENKUlT_T0_E_clISt17integral_constantIbLb1EES19_EEDaS14_S15_EUlS14_E_NS1_11comp_targetILNS1_3genE2ELNS1_11target_archE906ELNS1_3gpuE6ELNS1_3repE0EEENS1_30default_config_static_selectorELNS0_4arch9wavefront6targetE1EEEvT1_,@function
_ZN7rocprim17ROCPRIM_400000_NS6detail17trampoline_kernelINS0_14default_configENS1_25partition_config_selectorILNS1_17partition_subalgoE0EyNS0_10empty_typeEbEEZZNS1_14partition_implILS5_0ELb0ES3_jN6thrust23THRUST_200600_302600_NS6detail15normal_iteratorINSA_10device_ptrIyEEEEPS6_SG_NS0_5tupleIJNSA_16discard_iteratorINSA_11use_defaultEEESK_EEENSH_IJSG_SG_EEES6_PlJ7is_evenIyEEEE10hipError_tPvRmT3_T4_T5_T6_T7_T9_mT8_P12ihipStream_tbDpT10_ENKUlT_T0_E_clISt17integral_constantIbLb1EES19_EEDaS14_S15_EUlS14_E_NS1_11comp_targetILNS1_3genE2ELNS1_11target_archE906ELNS1_3gpuE6ELNS1_3repE0EEENS1_30default_config_static_selectorELNS0_4arch9wavefront6targetE1EEEvT1_: ; @_ZN7rocprim17ROCPRIM_400000_NS6detail17trampoline_kernelINS0_14default_configENS1_25partition_config_selectorILNS1_17partition_subalgoE0EyNS0_10empty_typeEbEEZZNS1_14partition_implILS5_0ELb0ES3_jN6thrust23THRUST_200600_302600_NS6detail15normal_iteratorINSA_10device_ptrIyEEEEPS6_SG_NS0_5tupleIJNSA_16discard_iteratorINSA_11use_defaultEEESK_EEENSH_IJSG_SG_EEES6_PlJ7is_evenIyEEEE10hipError_tPvRmT3_T4_T5_T6_T7_T9_mT8_P12ihipStream_tbDpT10_ENKUlT_T0_E_clISt17integral_constantIbLb1EES19_EEDaS14_S15_EUlS14_E_NS1_11comp_targetILNS1_3genE2ELNS1_11target_archE906ELNS1_3gpuE6ELNS1_3repE0EEENS1_30default_config_static_selectorELNS0_4arch9wavefront6targetE1EEEvT1_
; %bb.0:
	.section	.rodata,"a",@progbits
	.p2align	6, 0x0
	.amdhsa_kernel _ZN7rocprim17ROCPRIM_400000_NS6detail17trampoline_kernelINS0_14default_configENS1_25partition_config_selectorILNS1_17partition_subalgoE0EyNS0_10empty_typeEbEEZZNS1_14partition_implILS5_0ELb0ES3_jN6thrust23THRUST_200600_302600_NS6detail15normal_iteratorINSA_10device_ptrIyEEEEPS6_SG_NS0_5tupleIJNSA_16discard_iteratorINSA_11use_defaultEEESK_EEENSH_IJSG_SG_EEES6_PlJ7is_evenIyEEEE10hipError_tPvRmT3_T4_T5_T6_T7_T9_mT8_P12ihipStream_tbDpT10_ENKUlT_T0_E_clISt17integral_constantIbLb1EES19_EEDaS14_S15_EUlS14_E_NS1_11comp_targetILNS1_3genE2ELNS1_11target_archE906ELNS1_3gpuE6ELNS1_3repE0EEENS1_30default_config_static_selectorELNS0_4arch9wavefront6targetE1EEEvT1_
		.amdhsa_group_segment_fixed_size 0
		.amdhsa_private_segment_fixed_size 0
		.amdhsa_kernarg_size 152
		.amdhsa_user_sgpr_count 6
		.amdhsa_user_sgpr_private_segment_buffer 1
		.amdhsa_user_sgpr_dispatch_ptr 0
		.amdhsa_user_sgpr_queue_ptr 0
		.amdhsa_user_sgpr_kernarg_segment_ptr 1
		.amdhsa_user_sgpr_dispatch_id 0
		.amdhsa_user_sgpr_flat_scratch_init 0
		.amdhsa_user_sgpr_kernarg_preload_length 0
		.amdhsa_user_sgpr_kernarg_preload_offset 0
		.amdhsa_user_sgpr_private_segment_size 0
		.amdhsa_uses_dynamic_stack 0
		.amdhsa_system_sgpr_private_segment_wavefront_offset 0
		.amdhsa_system_sgpr_workgroup_id_x 1
		.amdhsa_system_sgpr_workgroup_id_y 0
		.amdhsa_system_sgpr_workgroup_id_z 0
		.amdhsa_system_sgpr_workgroup_info 0
		.amdhsa_system_vgpr_workitem_id 0
		.amdhsa_next_free_vgpr 1
		.amdhsa_next_free_sgpr 0
		.amdhsa_accum_offset 4
		.amdhsa_reserve_vcc 0
		.amdhsa_reserve_flat_scratch 0
		.amdhsa_float_round_mode_32 0
		.amdhsa_float_round_mode_16_64 0
		.amdhsa_float_denorm_mode_32 3
		.amdhsa_float_denorm_mode_16_64 3
		.amdhsa_dx10_clamp 1
		.amdhsa_ieee_mode 1
		.amdhsa_fp16_overflow 0
		.amdhsa_tg_split 0
		.amdhsa_exception_fp_ieee_invalid_op 0
		.amdhsa_exception_fp_denorm_src 0
		.amdhsa_exception_fp_ieee_div_zero 0
		.amdhsa_exception_fp_ieee_overflow 0
		.amdhsa_exception_fp_ieee_underflow 0
		.amdhsa_exception_fp_ieee_inexact 0
		.amdhsa_exception_int_div_zero 0
	.end_amdhsa_kernel
	.section	.text._ZN7rocprim17ROCPRIM_400000_NS6detail17trampoline_kernelINS0_14default_configENS1_25partition_config_selectorILNS1_17partition_subalgoE0EyNS0_10empty_typeEbEEZZNS1_14partition_implILS5_0ELb0ES3_jN6thrust23THRUST_200600_302600_NS6detail15normal_iteratorINSA_10device_ptrIyEEEEPS6_SG_NS0_5tupleIJNSA_16discard_iteratorINSA_11use_defaultEEESK_EEENSH_IJSG_SG_EEES6_PlJ7is_evenIyEEEE10hipError_tPvRmT3_T4_T5_T6_T7_T9_mT8_P12ihipStream_tbDpT10_ENKUlT_T0_E_clISt17integral_constantIbLb1EES19_EEDaS14_S15_EUlS14_E_NS1_11comp_targetILNS1_3genE2ELNS1_11target_archE906ELNS1_3gpuE6ELNS1_3repE0EEENS1_30default_config_static_selectorELNS0_4arch9wavefront6targetE1EEEvT1_,"axG",@progbits,_ZN7rocprim17ROCPRIM_400000_NS6detail17trampoline_kernelINS0_14default_configENS1_25partition_config_selectorILNS1_17partition_subalgoE0EyNS0_10empty_typeEbEEZZNS1_14partition_implILS5_0ELb0ES3_jN6thrust23THRUST_200600_302600_NS6detail15normal_iteratorINSA_10device_ptrIyEEEEPS6_SG_NS0_5tupleIJNSA_16discard_iteratorINSA_11use_defaultEEESK_EEENSH_IJSG_SG_EEES6_PlJ7is_evenIyEEEE10hipError_tPvRmT3_T4_T5_T6_T7_T9_mT8_P12ihipStream_tbDpT10_ENKUlT_T0_E_clISt17integral_constantIbLb1EES19_EEDaS14_S15_EUlS14_E_NS1_11comp_targetILNS1_3genE2ELNS1_11target_archE906ELNS1_3gpuE6ELNS1_3repE0EEENS1_30default_config_static_selectorELNS0_4arch9wavefront6targetE1EEEvT1_,comdat
.Lfunc_end2311:
	.size	_ZN7rocprim17ROCPRIM_400000_NS6detail17trampoline_kernelINS0_14default_configENS1_25partition_config_selectorILNS1_17partition_subalgoE0EyNS0_10empty_typeEbEEZZNS1_14partition_implILS5_0ELb0ES3_jN6thrust23THRUST_200600_302600_NS6detail15normal_iteratorINSA_10device_ptrIyEEEEPS6_SG_NS0_5tupleIJNSA_16discard_iteratorINSA_11use_defaultEEESK_EEENSH_IJSG_SG_EEES6_PlJ7is_evenIyEEEE10hipError_tPvRmT3_T4_T5_T6_T7_T9_mT8_P12ihipStream_tbDpT10_ENKUlT_T0_E_clISt17integral_constantIbLb1EES19_EEDaS14_S15_EUlS14_E_NS1_11comp_targetILNS1_3genE2ELNS1_11target_archE906ELNS1_3gpuE6ELNS1_3repE0EEENS1_30default_config_static_selectorELNS0_4arch9wavefront6targetE1EEEvT1_, .Lfunc_end2311-_ZN7rocprim17ROCPRIM_400000_NS6detail17trampoline_kernelINS0_14default_configENS1_25partition_config_selectorILNS1_17partition_subalgoE0EyNS0_10empty_typeEbEEZZNS1_14partition_implILS5_0ELb0ES3_jN6thrust23THRUST_200600_302600_NS6detail15normal_iteratorINSA_10device_ptrIyEEEEPS6_SG_NS0_5tupleIJNSA_16discard_iteratorINSA_11use_defaultEEESK_EEENSH_IJSG_SG_EEES6_PlJ7is_evenIyEEEE10hipError_tPvRmT3_T4_T5_T6_T7_T9_mT8_P12ihipStream_tbDpT10_ENKUlT_T0_E_clISt17integral_constantIbLb1EES19_EEDaS14_S15_EUlS14_E_NS1_11comp_targetILNS1_3genE2ELNS1_11target_archE906ELNS1_3gpuE6ELNS1_3repE0EEENS1_30default_config_static_selectorELNS0_4arch9wavefront6targetE1EEEvT1_
                                        ; -- End function
	.section	.AMDGPU.csdata,"",@progbits
; Kernel info:
; codeLenInByte = 0
; NumSgprs: 4
; NumVgprs: 0
; NumAgprs: 0
; TotalNumVgprs: 0
; ScratchSize: 0
; MemoryBound: 0
; FloatMode: 240
; IeeeMode: 1
; LDSByteSize: 0 bytes/workgroup (compile time only)
; SGPRBlocks: 0
; VGPRBlocks: 0
; NumSGPRsForWavesPerEU: 4
; NumVGPRsForWavesPerEU: 1
; AccumOffset: 4
; Occupancy: 8
; WaveLimiterHint : 0
; COMPUTE_PGM_RSRC2:SCRATCH_EN: 0
; COMPUTE_PGM_RSRC2:USER_SGPR: 6
; COMPUTE_PGM_RSRC2:TRAP_HANDLER: 0
; COMPUTE_PGM_RSRC2:TGID_X_EN: 1
; COMPUTE_PGM_RSRC2:TGID_Y_EN: 0
; COMPUTE_PGM_RSRC2:TGID_Z_EN: 0
; COMPUTE_PGM_RSRC2:TIDIG_COMP_CNT: 0
; COMPUTE_PGM_RSRC3_GFX90A:ACCUM_OFFSET: 0
; COMPUTE_PGM_RSRC3_GFX90A:TG_SPLIT: 0
	.section	.text._ZN7rocprim17ROCPRIM_400000_NS6detail17trampoline_kernelINS0_14default_configENS1_25partition_config_selectorILNS1_17partition_subalgoE0EyNS0_10empty_typeEbEEZZNS1_14partition_implILS5_0ELb0ES3_jN6thrust23THRUST_200600_302600_NS6detail15normal_iteratorINSA_10device_ptrIyEEEEPS6_SG_NS0_5tupleIJNSA_16discard_iteratorINSA_11use_defaultEEESK_EEENSH_IJSG_SG_EEES6_PlJ7is_evenIyEEEE10hipError_tPvRmT3_T4_T5_T6_T7_T9_mT8_P12ihipStream_tbDpT10_ENKUlT_T0_E_clISt17integral_constantIbLb1EES19_EEDaS14_S15_EUlS14_E_NS1_11comp_targetILNS1_3genE10ELNS1_11target_archE1200ELNS1_3gpuE4ELNS1_3repE0EEENS1_30default_config_static_selectorELNS0_4arch9wavefront6targetE1EEEvT1_,"axG",@progbits,_ZN7rocprim17ROCPRIM_400000_NS6detail17trampoline_kernelINS0_14default_configENS1_25partition_config_selectorILNS1_17partition_subalgoE0EyNS0_10empty_typeEbEEZZNS1_14partition_implILS5_0ELb0ES3_jN6thrust23THRUST_200600_302600_NS6detail15normal_iteratorINSA_10device_ptrIyEEEEPS6_SG_NS0_5tupleIJNSA_16discard_iteratorINSA_11use_defaultEEESK_EEENSH_IJSG_SG_EEES6_PlJ7is_evenIyEEEE10hipError_tPvRmT3_T4_T5_T6_T7_T9_mT8_P12ihipStream_tbDpT10_ENKUlT_T0_E_clISt17integral_constantIbLb1EES19_EEDaS14_S15_EUlS14_E_NS1_11comp_targetILNS1_3genE10ELNS1_11target_archE1200ELNS1_3gpuE4ELNS1_3repE0EEENS1_30default_config_static_selectorELNS0_4arch9wavefront6targetE1EEEvT1_,comdat
	.protected	_ZN7rocprim17ROCPRIM_400000_NS6detail17trampoline_kernelINS0_14default_configENS1_25partition_config_selectorILNS1_17partition_subalgoE0EyNS0_10empty_typeEbEEZZNS1_14partition_implILS5_0ELb0ES3_jN6thrust23THRUST_200600_302600_NS6detail15normal_iteratorINSA_10device_ptrIyEEEEPS6_SG_NS0_5tupleIJNSA_16discard_iteratorINSA_11use_defaultEEESK_EEENSH_IJSG_SG_EEES6_PlJ7is_evenIyEEEE10hipError_tPvRmT3_T4_T5_T6_T7_T9_mT8_P12ihipStream_tbDpT10_ENKUlT_T0_E_clISt17integral_constantIbLb1EES19_EEDaS14_S15_EUlS14_E_NS1_11comp_targetILNS1_3genE10ELNS1_11target_archE1200ELNS1_3gpuE4ELNS1_3repE0EEENS1_30default_config_static_selectorELNS0_4arch9wavefront6targetE1EEEvT1_ ; -- Begin function _ZN7rocprim17ROCPRIM_400000_NS6detail17trampoline_kernelINS0_14default_configENS1_25partition_config_selectorILNS1_17partition_subalgoE0EyNS0_10empty_typeEbEEZZNS1_14partition_implILS5_0ELb0ES3_jN6thrust23THRUST_200600_302600_NS6detail15normal_iteratorINSA_10device_ptrIyEEEEPS6_SG_NS0_5tupleIJNSA_16discard_iteratorINSA_11use_defaultEEESK_EEENSH_IJSG_SG_EEES6_PlJ7is_evenIyEEEE10hipError_tPvRmT3_T4_T5_T6_T7_T9_mT8_P12ihipStream_tbDpT10_ENKUlT_T0_E_clISt17integral_constantIbLb1EES19_EEDaS14_S15_EUlS14_E_NS1_11comp_targetILNS1_3genE10ELNS1_11target_archE1200ELNS1_3gpuE4ELNS1_3repE0EEENS1_30default_config_static_selectorELNS0_4arch9wavefront6targetE1EEEvT1_
	.globl	_ZN7rocprim17ROCPRIM_400000_NS6detail17trampoline_kernelINS0_14default_configENS1_25partition_config_selectorILNS1_17partition_subalgoE0EyNS0_10empty_typeEbEEZZNS1_14partition_implILS5_0ELb0ES3_jN6thrust23THRUST_200600_302600_NS6detail15normal_iteratorINSA_10device_ptrIyEEEEPS6_SG_NS0_5tupleIJNSA_16discard_iteratorINSA_11use_defaultEEESK_EEENSH_IJSG_SG_EEES6_PlJ7is_evenIyEEEE10hipError_tPvRmT3_T4_T5_T6_T7_T9_mT8_P12ihipStream_tbDpT10_ENKUlT_T0_E_clISt17integral_constantIbLb1EES19_EEDaS14_S15_EUlS14_E_NS1_11comp_targetILNS1_3genE10ELNS1_11target_archE1200ELNS1_3gpuE4ELNS1_3repE0EEENS1_30default_config_static_selectorELNS0_4arch9wavefront6targetE1EEEvT1_
	.p2align	8
	.type	_ZN7rocprim17ROCPRIM_400000_NS6detail17trampoline_kernelINS0_14default_configENS1_25partition_config_selectorILNS1_17partition_subalgoE0EyNS0_10empty_typeEbEEZZNS1_14partition_implILS5_0ELb0ES3_jN6thrust23THRUST_200600_302600_NS6detail15normal_iteratorINSA_10device_ptrIyEEEEPS6_SG_NS0_5tupleIJNSA_16discard_iteratorINSA_11use_defaultEEESK_EEENSH_IJSG_SG_EEES6_PlJ7is_evenIyEEEE10hipError_tPvRmT3_T4_T5_T6_T7_T9_mT8_P12ihipStream_tbDpT10_ENKUlT_T0_E_clISt17integral_constantIbLb1EES19_EEDaS14_S15_EUlS14_E_NS1_11comp_targetILNS1_3genE10ELNS1_11target_archE1200ELNS1_3gpuE4ELNS1_3repE0EEENS1_30default_config_static_selectorELNS0_4arch9wavefront6targetE1EEEvT1_,@function
_ZN7rocprim17ROCPRIM_400000_NS6detail17trampoline_kernelINS0_14default_configENS1_25partition_config_selectorILNS1_17partition_subalgoE0EyNS0_10empty_typeEbEEZZNS1_14partition_implILS5_0ELb0ES3_jN6thrust23THRUST_200600_302600_NS6detail15normal_iteratorINSA_10device_ptrIyEEEEPS6_SG_NS0_5tupleIJNSA_16discard_iteratorINSA_11use_defaultEEESK_EEENSH_IJSG_SG_EEES6_PlJ7is_evenIyEEEE10hipError_tPvRmT3_T4_T5_T6_T7_T9_mT8_P12ihipStream_tbDpT10_ENKUlT_T0_E_clISt17integral_constantIbLb1EES19_EEDaS14_S15_EUlS14_E_NS1_11comp_targetILNS1_3genE10ELNS1_11target_archE1200ELNS1_3gpuE4ELNS1_3repE0EEENS1_30default_config_static_selectorELNS0_4arch9wavefront6targetE1EEEvT1_: ; @_ZN7rocprim17ROCPRIM_400000_NS6detail17trampoline_kernelINS0_14default_configENS1_25partition_config_selectorILNS1_17partition_subalgoE0EyNS0_10empty_typeEbEEZZNS1_14partition_implILS5_0ELb0ES3_jN6thrust23THRUST_200600_302600_NS6detail15normal_iteratorINSA_10device_ptrIyEEEEPS6_SG_NS0_5tupleIJNSA_16discard_iteratorINSA_11use_defaultEEESK_EEENSH_IJSG_SG_EEES6_PlJ7is_evenIyEEEE10hipError_tPvRmT3_T4_T5_T6_T7_T9_mT8_P12ihipStream_tbDpT10_ENKUlT_T0_E_clISt17integral_constantIbLb1EES19_EEDaS14_S15_EUlS14_E_NS1_11comp_targetILNS1_3genE10ELNS1_11target_archE1200ELNS1_3gpuE4ELNS1_3repE0EEENS1_30default_config_static_selectorELNS0_4arch9wavefront6targetE1EEEvT1_
; %bb.0:
	.section	.rodata,"a",@progbits
	.p2align	6, 0x0
	.amdhsa_kernel _ZN7rocprim17ROCPRIM_400000_NS6detail17trampoline_kernelINS0_14default_configENS1_25partition_config_selectorILNS1_17partition_subalgoE0EyNS0_10empty_typeEbEEZZNS1_14partition_implILS5_0ELb0ES3_jN6thrust23THRUST_200600_302600_NS6detail15normal_iteratorINSA_10device_ptrIyEEEEPS6_SG_NS0_5tupleIJNSA_16discard_iteratorINSA_11use_defaultEEESK_EEENSH_IJSG_SG_EEES6_PlJ7is_evenIyEEEE10hipError_tPvRmT3_T4_T5_T6_T7_T9_mT8_P12ihipStream_tbDpT10_ENKUlT_T0_E_clISt17integral_constantIbLb1EES19_EEDaS14_S15_EUlS14_E_NS1_11comp_targetILNS1_3genE10ELNS1_11target_archE1200ELNS1_3gpuE4ELNS1_3repE0EEENS1_30default_config_static_selectorELNS0_4arch9wavefront6targetE1EEEvT1_
		.amdhsa_group_segment_fixed_size 0
		.amdhsa_private_segment_fixed_size 0
		.amdhsa_kernarg_size 152
		.amdhsa_user_sgpr_count 6
		.amdhsa_user_sgpr_private_segment_buffer 1
		.amdhsa_user_sgpr_dispatch_ptr 0
		.amdhsa_user_sgpr_queue_ptr 0
		.amdhsa_user_sgpr_kernarg_segment_ptr 1
		.amdhsa_user_sgpr_dispatch_id 0
		.amdhsa_user_sgpr_flat_scratch_init 0
		.amdhsa_user_sgpr_kernarg_preload_length 0
		.amdhsa_user_sgpr_kernarg_preload_offset 0
		.amdhsa_user_sgpr_private_segment_size 0
		.amdhsa_uses_dynamic_stack 0
		.amdhsa_system_sgpr_private_segment_wavefront_offset 0
		.amdhsa_system_sgpr_workgroup_id_x 1
		.amdhsa_system_sgpr_workgroup_id_y 0
		.amdhsa_system_sgpr_workgroup_id_z 0
		.amdhsa_system_sgpr_workgroup_info 0
		.amdhsa_system_vgpr_workitem_id 0
		.amdhsa_next_free_vgpr 1
		.amdhsa_next_free_sgpr 0
		.amdhsa_accum_offset 4
		.amdhsa_reserve_vcc 0
		.amdhsa_reserve_flat_scratch 0
		.amdhsa_float_round_mode_32 0
		.amdhsa_float_round_mode_16_64 0
		.amdhsa_float_denorm_mode_32 3
		.amdhsa_float_denorm_mode_16_64 3
		.amdhsa_dx10_clamp 1
		.amdhsa_ieee_mode 1
		.amdhsa_fp16_overflow 0
		.amdhsa_tg_split 0
		.amdhsa_exception_fp_ieee_invalid_op 0
		.amdhsa_exception_fp_denorm_src 0
		.amdhsa_exception_fp_ieee_div_zero 0
		.amdhsa_exception_fp_ieee_overflow 0
		.amdhsa_exception_fp_ieee_underflow 0
		.amdhsa_exception_fp_ieee_inexact 0
		.amdhsa_exception_int_div_zero 0
	.end_amdhsa_kernel
	.section	.text._ZN7rocprim17ROCPRIM_400000_NS6detail17trampoline_kernelINS0_14default_configENS1_25partition_config_selectorILNS1_17partition_subalgoE0EyNS0_10empty_typeEbEEZZNS1_14partition_implILS5_0ELb0ES3_jN6thrust23THRUST_200600_302600_NS6detail15normal_iteratorINSA_10device_ptrIyEEEEPS6_SG_NS0_5tupleIJNSA_16discard_iteratorINSA_11use_defaultEEESK_EEENSH_IJSG_SG_EEES6_PlJ7is_evenIyEEEE10hipError_tPvRmT3_T4_T5_T6_T7_T9_mT8_P12ihipStream_tbDpT10_ENKUlT_T0_E_clISt17integral_constantIbLb1EES19_EEDaS14_S15_EUlS14_E_NS1_11comp_targetILNS1_3genE10ELNS1_11target_archE1200ELNS1_3gpuE4ELNS1_3repE0EEENS1_30default_config_static_selectorELNS0_4arch9wavefront6targetE1EEEvT1_,"axG",@progbits,_ZN7rocprim17ROCPRIM_400000_NS6detail17trampoline_kernelINS0_14default_configENS1_25partition_config_selectorILNS1_17partition_subalgoE0EyNS0_10empty_typeEbEEZZNS1_14partition_implILS5_0ELb0ES3_jN6thrust23THRUST_200600_302600_NS6detail15normal_iteratorINSA_10device_ptrIyEEEEPS6_SG_NS0_5tupleIJNSA_16discard_iteratorINSA_11use_defaultEEESK_EEENSH_IJSG_SG_EEES6_PlJ7is_evenIyEEEE10hipError_tPvRmT3_T4_T5_T6_T7_T9_mT8_P12ihipStream_tbDpT10_ENKUlT_T0_E_clISt17integral_constantIbLb1EES19_EEDaS14_S15_EUlS14_E_NS1_11comp_targetILNS1_3genE10ELNS1_11target_archE1200ELNS1_3gpuE4ELNS1_3repE0EEENS1_30default_config_static_selectorELNS0_4arch9wavefront6targetE1EEEvT1_,comdat
.Lfunc_end2312:
	.size	_ZN7rocprim17ROCPRIM_400000_NS6detail17trampoline_kernelINS0_14default_configENS1_25partition_config_selectorILNS1_17partition_subalgoE0EyNS0_10empty_typeEbEEZZNS1_14partition_implILS5_0ELb0ES3_jN6thrust23THRUST_200600_302600_NS6detail15normal_iteratorINSA_10device_ptrIyEEEEPS6_SG_NS0_5tupleIJNSA_16discard_iteratorINSA_11use_defaultEEESK_EEENSH_IJSG_SG_EEES6_PlJ7is_evenIyEEEE10hipError_tPvRmT3_T4_T5_T6_T7_T9_mT8_P12ihipStream_tbDpT10_ENKUlT_T0_E_clISt17integral_constantIbLb1EES19_EEDaS14_S15_EUlS14_E_NS1_11comp_targetILNS1_3genE10ELNS1_11target_archE1200ELNS1_3gpuE4ELNS1_3repE0EEENS1_30default_config_static_selectorELNS0_4arch9wavefront6targetE1EEEvT1_, .Lfunc_end2312-_ZN7rocprim17ROCPRIM_400000_NS6detail17trampoline_kernelINS0_14default_configENS1_25partition_config_selectorILNS1_17partition_subalgoE0EyNS0_10empty_typeEbEEZZNS1_14partition_implILS5_0ELb0ES3_jN6thrust23THRUST_200600_302600_NS6detail15normal_iteratorINSA_10device_ptrIyEEEEPS6_SG_NS0_5tupleIJNSA_16discard_iteratorINSA_11use_defaultEEESK_EEENSH_IJSG_SG_EEES6_PlJ7is_evenIyEEEE10hipError_tPvRmT3_T4_T5_T6_T7_T9_mT8_P12ihipStream_tbDpT10_ENKUlT_T0_E_clISt17integral_constantIbLb1EES19_EEDaS14_S15_EUlS14_E_NS1_11comp_targetILNS1_3genE10ELNS1_11target_archE1200ELNS1_3gpuE4ELNS1_3repE0EEENS1_30default_config_static_selectorELNS0_4arch9wavefront6targetE1EEEvT1_
                                        ; -- End function
	.section	.AMDGPU.csdata,"",@progbits
; Kernel info:
; codeLenInByte = 0
; NumSgprs: 4
; NumVgprs: 0
; NumAgprs: 0
; TotalNumVgprs: 0
; ScratchSize: 0
; MemoryBound: 0
; FloatMode: 240
; IeeeMode: 1
; LDSByteSize: 0 bytes/workgroup (compile time only)
; SGPRBlocks: 0
; VGPRBlocks: 0
; NumSGPRsForWavesPerEU: 4
; NumVGPRsForWavesPerEU: 1
; AccumOffset: 4
; Occupancy: 8
; WaveLimiterHint : 0
; COMPUTE_PGM_RSRC2:SCRATCH_EN: 0
; COMPUTE_PGM_RSRC2:USER_SGPR: 6
; COMPUTE_PGM_RSRC2:TRAP_HANDLER: 0
; COMPUTE_PGM_RSRC2:TGID_X_EN: 1
; COMPUTE_PGM_RSRC2:TGID_Y_EN: 0
; COMPUTE_PGM_RSRC2:TGID_Z_EN: 0
; COMPUTE_PGM_RSRC2:TIDIG_COMP_CNT: 0
; COMPUTE_PGM_RSRC3_GFX90A:ACCUM_OFFSET: 0
; COMPUTE_PGM_RSRC3_GFX90A:TG_SPLIT: 0
	.section	.text._ZN7rocprim17ROCPRIM_400000_NS6detail17trampoline_kernelINS0_14default_configENS1_25partition_config_selectorILNS1_17partition_subalgoE0EyNS0_10empty_typeEbEEZZNS1_14partition_implILS5_0ELb0ES3_jN6thrust23THRUST_200600_302600_NS6detail15normal_iteratorINSA_10device_ptrIyEEEEPS6_SG_NS0_5tupleIJNSA_16discard_iteratorINSA_11use_defaultEEESK_EEENSH_IJSG_SG_EEES6_PlJ7is_evenIyEEEE10hipError_tPvRmT3_T4_T5_T6_T7_T9_mT8_P12ihipStream_tbDpT10_ENKUlT_T0_E_clISt17integral_constantIbLb1EES19_EEDaS14_S15_EUlS14_E_NS1_11comp_targetILNS1_3genE9ELNS1_11target_archE1100ELNS1_3gpuE3ELNS1_3repE0EEENS1_30default_config_static_selectorELNS0_4arch9wavefront6targetE1EEEvT1_,"axG",@progbits,_ZN7rocprim17ROCPRIM_400000_NS6detail17trampoline_kernelINS0_14default_configENS1_25partition_config_selectorILNS1_17partition_subalgoE0EyNS0_10empty_typeEbEEZZNS1_14partition_implILS5_0ELb0ES3_jN6thrust23THRUST_200600_302600_NS6detail15normal_iteratorINSA_10device_ptrIyEEEEPS6_SG_NS0_5tupleIJNSA_16discard_iteratorINSA_11use_defaultEEESK_EEENSH_IJSG_SG_EEES6_PlJ7is_evenIyEEEE10hipError_tPvRmT3_T4_T5_T6_T7_T9_mT8_P12ihipStream_tbDpT10_ENKUlT_T0_E_clISt17integral_constantIbLb1EES19_EEDaS14_S15_EUlS14_E_NS1_11comp_targetILNS1_3genE9ELNS1_11target_archE1100ELNS1_3gpuE3ELNS1_3repE0EEENS1_30default_config_static_selectorELNS0_4arch9wavefront6targetE1EEEvT1_,comdat
	.protected	_ZN7rocprim17ROCPRIM_400000_NS6detail17trampoline_kernelINS0_14default_configENS1_25partition_config_selectorILNS1_17partition_subalgoE0EyNS0_10empty_typeEbEEZZNS1_14partition_implILS5_0ELb0ES3_jN6thrust23THRUST_200600_302600_NS6detail15normal_iteratorINSA_10device_ptrIyEEEEPS6_SG_NS0_5tupleIJNSA_16discard_iteratorINSA_11use_defaultEEESK_EEENSH_IJSG_SG_EEES6_PlJ7is_evenIyEEEE10hipError_tPvRmT3_T4_T5_T6_T7_T9_mT8_P12ihipStream_tbDpT10_ENKUlT_T0_E_clISt17integral_constantIbLb1EES19_EEDaS14_S15_EUlS14_E_NS1_11comp_targetILNS1_3genE9ELNS1_11target_archE1100ELNS1_3gpuE3ELNS1_3repE0EEENS1_30default_config_static_selectorELNS0_4arch9wavefront6targetE1EEEvT1_ ; -- Begin function _ZN7rocprim17ROCPRIM_400000_NS6detail17trampoline_kernelINS0_14default_configENS1_25partition_config_selectorILNS1_17partition_subalgoE0EyNS0_10empty_typeEbEEZZNS1_14partition_implILS5_0ELb0ES3_jN6thrust23THRUST_200600_302600_NS6detail15normal_iteratorINSA_10device_ptrIyEEEEPS6_SG_NS0_5tupleIJNSA_16discard_iteratorINSA_11use_defaultEEESK_EEENSH_IJSG_SG_EEES6_PlJ7is_evenIyEEEE10hipError_tPvRmT3_T4_T5_T6_T7_T9_mT8_P12ihipStream_tbDpT10_ENKUlT_T0_E_clISt17integral_constantIbLb1EES19_EEDaS14_S15_EUlS14_E_NS1_11comp_targetILNS1_3genE9ELNS1_11target_archE1100ELNS1_3gpuE3ELNS1_3repE0EEENS1_30default_config_static_selectorELNS0_4arch9wavefront6targetE1EEEvT1_
	.globl	_ZN7rocprim17ROCPRIM_400000_NS6detail17trampoline_kernelINS0_14default_configENS1_25partition_config_selectorILNS1_17partition_subalgoE0EyNS0_10empty_typeEbEEZZNS1_14partition_implILS5_0ELb0ES3_jN6thrust23THRUST_200600_302600_NS6detail15normal_iteratorINSA_10device_ptrIyEEEEPS6_SG_NS0_5tupleIJNSA_16discard_iteratorINSA_11use_defaultEEESK_EEENSH_IJSG_SG_EEES6_PlJ7is_evenIyEEEE10hipError_tPvRmT3_T4_T5_T6_T7_T9_mT8_P12ihipStream_tbDpT10_ENKUlT_T0_E_clISt17integral_constantIbLb1EES19_EEDaS14_S15_EUlS14_E_NS1_11comp_targetILNS1_3genE9ELNS1_11target_archE1100ELNS1_3gpuE3ELNS1_3repE0EEENS1_30default_config_static_selectorELNS0_4arch9wavefront6targetE1EEEvT1_
	.p2align	8
	.type	_ZN7rocprim17ROCPRIM_400000_NS6detail17trampoline_kernelINS0_14default_configENS1_25partition_config_selectorILNS1_17partition_subalgoE0EyNS0_10empty_typeEbEEZZNS1_14partition_implILS5_0ELb0ES3_jN6thrust23THRUST_200600_302600_NS6detail15normal_iteratorINSA_10device_ptrIyEEEEPS6_SG_NS0_5tupleIJNSA_16discard_iteratorINSA_11use_defaultEEESK_EEENSH_IJSG_SG_EEES6_PlJ7is_evenIyEEEE10hipError_tPvRmT3_T4_T5_T6_T7_T9_mT8_P12ihipStream_tbDpT10_ENKUlT_T0_E_clISt17integral_constantIbLb1EES19_EEDaS14_S15_EUlS14_E_NS1_11comp_targetILNS1_3genE9ELNS1_11target_archE1100ELNS1_3gpuE3ELNS1_3repE0EEENS1_30default_config_static_selectorELNS0_4arch9wavefront6targetE1EEEvT1_,@function
_ZN7rocprim17ROCPRIM_400000_NS6detail17trampoline_kernelINS0_14default_configENS1_25partition_config_selectorILNS1_17partition_subalgoE0EyNS0_10empty_typeEbEEZZNS1_14partition_implILS5_0ELb0ES3_jN6thrust23THRUST_200600_302600_NS6detail15normal_iteratorINSA_10device_ptrIyEEEEPS6_SG_NS0_5tupleIJNSA_16discard_iteratorINSA_11use_defaultEEESK_EEENSH_IJSG_SG_EEES6_PlJ7is_evenIyEEEE10hipError_tPvRmT3_T4_T5_T6_T7_T9_mT8_P12ihipStream_tbDpT10_ENKUlT_T0_E_clISt17integral_constantIbLb1EES19_EEDaS14_S15_EUlS14_E_NS1_11comp_targetILNS1_3genE9ELNS1_11target_archE1100ELNS1_3gpuE3ELNS1_3repE0EEENS1_30default_config_static_selectorELNS0_4arch9wavefront6targetE1EEEvT1_: ; @_ZN7rocprim17ROCPRIM_400000_NS6detail17trampoline_kernelINS0_14default_configENS1_25partition_config_selectorILNS1_17partition_subalgoE0EyNS0_10empty_typeEbEEZZNS1_14partition_implILS5_0ELb0ES3_jN6thrust23THRUST_200600_302600_NS6detail15normal_iteratorINSA_10device_ptrIyEEEEPS6_SG_NS0_5tupleIJNSA_16discard_iteratorINSA_11use_defaultEEESK_EEENSH_IJSG_SG_EEES6_PlJ7is_evenIyEEEE10hipError_tPvRmT3_T4_T5_T6_T7_T9_mT8_P12ihipStream_tbDpT10_ENKUlT_T0_E_clISt17integral_constantIbLb1EES19_EEDaS14_S15_EUlS14_E_NS1_11comp_targetILNS1_3genE9ELNS1_11target_archE1100ELNS1_3gpuE3ELNS1_3repE0EEENS1_30default_config_static_selectorELNS0_4arch9wavefront6targetE1EEEvT1_
; %bb.0:
	.section	.rodata,"a",@progbits
	.p2align	6, 0x0
	.amdhsa_kernel _ZN7rocprim17ROCPRIM_400000_NS6detail17trampoline_kernelINS0_14default_configENS1_25partition_config_selectorILNS1_17partition_subalgoE0EyNS0_10empty_typeEbEEZZNS1_14partition_implILS5_0ELb0ES3_jN6thrust23THRUST_200600_302600_NS6detail15normal_iteratorINSA_10device_ptrIyEEEEPS6_SG_NS0_5tupleIJNSA_16discard_iteratorINSA_11use_defaultEEESK_EEENSH_IJSG_SG_EEES6_PlJ7is_evenIyEEEE10hipError_tPvRmT3_T4_T5_T6_T7_T9_mT8_P12ihipStream_tbDpT10_ENKUlT_T0_E_clISt17integral_constantIbLb1EES19_EEDaS14_S15_EUlS14_E_NS1_11comp_targetILNS1_3genE9ELNS1_11target_archE1100ELNS1_3gpuE3ELNS1_3repE0EEENS1_30default_config_static_selectorELNS0_4arch9wavefront6targetE1EEEvT1_
		.amdhsa_group_segment_fixed_size 0
		.amdhsa_private_segment_fixed_size 0
		.amdhsa_kernarg_size 152
		.amdhsa_user_sgpr_count 6
		.amdhsa_user_sgpr_private_segment_buffer 1
		.amdhsa_user_sgpr_dispatch_ptr 0
		.amdhsa_user_sgpr_queue_ptr 0
		.amdhsa_user_sgpr_kernarg_segment_ptr 1
		.amdhsa_user_sgpr_dispatch_id 0
		.amdhsa_user_sgpr_flat_scratch_init 0
		.amdhsa_user_sgpr_kernarg_preload_length 0
		.amdhsa_user_sgpr_kernarg_preload_offset 0
		.amdhsa_user_sgpr_private_segment_size 0
		.amdhsa_uses_dynamic_stack 0
		.amdhsa_system_sgpr_private_segment_wavefront_offset 0
		.amdhsa_system_sgpr_workgroup_id_x 1
		.amdhsa_system_sgpr_workgroup_id_y 0
		.amdhsa_system_sgpr_workgroup_id_z 0
		.amdhsa_system_sgpr_workgroup_info 0
		.amdhsa_system_vgpr_workitem_id 0
		.amdhsa_next_free_vgpr 1
		.amdhsa_next_free_sgpr 0
		.amdhsa_accum_offset 4
		.amdhsa_reserve_vcc 0
		.amdhsa_reserve_flat_scratch 0
		.amdhsa_float_round_mode_32 0
		.amdhsa_float_round_mode_16_64 0
		.amdhsa_float_denorm_mode_32 3
		.amdhsa_float_denorm_mode_16_64 3
		.amdhsa_dx10_clamp 1
		.amdhsa_ieee_mode 1
		.amdhsa_fp16_overflow 0
		.amdhsa_tg_split 0
		.amdhsa_exception_fp_ieee_invalid_op 0
		.amdhsa_exception_fp_denorm_src 0
		.amdhsa_exception_fp_ieee_div_zero 0
		.amdhsa_exception_fp_ieee_overflow 0
		.amdhsa_exception_fp_ieee_underflow 0
		.amdhsa_exception_fp_ieee_inexact 0
		.amdhsa_exception_int_div_zero 0
	.end_amdhsa_kernel
	.section	.text._ZN7rocprim17ROCPRIM_400000_NS6detail17trampoline_kernelINS0_14default_configENS1_25partition_config_selectorILNS1_17partition_subalgoE0EyNS0_10empty_typeEbEEZZNS1_14partition_implILS5_0ELb0ES3_jN6thrust23THRUST_200600_302600_NS6detail15normal_iteratorINSA_10device_ptrIyEEEEPS6_SG_NS0_5tupleIJNSA_16discard_iteratorINSA_11use_defaultEEESK_EEENSH_IJSG_SG_EEES6_PlJ7is_evenIyEEEE10hipError_tPvRmT3_T4_T5_T6_T7_T9_mT8_P12ihipStream_tbDpT10_ENKUlT_T0_E_clISt17integral_constantIbLb1EES19_EEDaS14_S15_EUlS14_E_NS1_11comp_targetILNS1_3genE9ELNS1_11target_archE1100ELNS1_3gpuE3ELNS1_3repE0EEENS1_30default_config_static_selectorELNS0_4arch9wavefront6targetE1EEEvT1_,"axG",@progbits,_ZN7rocprim17ROCPRIM_400000_NS6detail17trampoline_kernelINS0_14default_configENS1_25partition_config_selectorILNS1_17partition_subalgoE0EyNS0_10empty_typeEbEEZZNS1_14partition_implILS5_0ELb0ES3_jN6thrust23THRUST_200600_302600_NS6detail15normal_iteratorINSA_10device_ptrIyEEEEPS6_SG_NS0_5tupleIJNSA_16discard_iteratorINSA_11use_defaultEEESK_EEENSH_IJSG_SG_EEES6_PlJ7is_evenIyEEEE10hipError_tPvRmT3_T4_T5_T6_T7_T9_mT8_P12ihipStream_tbDpT10_ENKUlT_T0_E_clISt17integral_constantIbLb1EES19_EEDaS14_S15_EUlS14_E_NS1_11comp_targetILNS1_3genE9ELNS1_11target_archE1100ELNS1_3gpuE3ELNS1_3repE0EEENS1_30default_config_static_selectorELNS0_4arch9wavefront6targetE1EEEvT1_,comdat
.Lfunc_end2313:
	.size	_ZN7rocprim17ROCPRIM_400000_NS6detail17trampoline_kernelINS0_14default_configENS1_25partition_config_selectorILNS1_17partition_subalgoE0EyNS0_10empty_typeEbEEZZNS1_14partition_implILS5_0ELb0ES3_jN6thrust23THRUST_200600_302600_NS6detail15normal_iteratorINSA_10device_ptrIyEEEEPS6_SG_NS0_5tupleIJNSA_16discard_iteratorINSA_11use_defaultEEESK_EEENSH_IJSG_SG_EEES6_PlJ7is_evenIyEEEE10hipError_tPvRmT3_T4_T5_T6_T7_T9_mT8_P12ihipStream_tbDpT10_ENKUlT_T0_E_clISt17integral_constantIbLb1EES19_EEDaS14_S15_EUlS14_E_NS1_11comp_targetILNS1_3genE9ELNS1_11target_archE1100ELNS1_3gpuE3ELNS1_3repE0EEENS1_30default_config_static_selectorELNS0_4arch9wavefront6targetE1EEEvT1_, .Lfunc_end2313-_ZN7rocprim17ROCPRIM_400000_NS6detail17trampoline_kernelINS0_14default_configENS1_25partition_config_selectorILNS1_17partition_subalgoE0EyNS0_10empty_typeEbEEZZNS1_14partition_implILS5_0ELb0ES3_jN6thrust23THRUST_200600_302600_NS6detail15normal_iteratorINSA_10device_ptrIyEEEEPS6_SG_NS0_5tupleIJNSA_16discard_iteratorINSA_11use_defaultEEESK_EEENSH_IJSG_SG_EEES6_PlJ7is_evenIyEEEE10hipError_tPvRmT3_T4_T5_T6_T7_T9_mT8_P12ihipStream_tbDpT10_ENKUlT_T0_E_clISt17integral_constantIbLb1EES19_EEDaS14_S15_EUlS14_E_NS1_11comp_targetILNS1_3genE9ELNS1_11target_archE1100ELNS1_3gpuE3ELNS1_3repE0EEENS1_30default_config_static_selectorELNS0_4arch9wavefront6targetE1EEEvT1_
                                        ; -- End function
	.section	.AMDGPU.csdata,"",@progbits
; Kernel info:
; codeLenInByte = 0
; NumSgprs: 4
; NumVgprs: 0
; NumAgprs: 0
; TotalNumVgprs: 0
; ScratchSize: 0
; MemoryBound: 0
; FloatMode: 240
; IeeeMode: 1
; LDSByteSize: 0 bytes/workgroup (compile time only)
; SGPRBlocks: 0
; VGPRBlocks: 0
; NumSGPRsForWavesPerEU: 4
; NumVGPRsForWavesPerEU: 1
; AccumOffset: 4
; Occupancy: 8
; WaveLimiterHint : 0
; COMPUTE_PGM_RSRC2:SCRATCH_EN: 0
; COMPUTE_PGM_RSRC2:USER_SGPR: 6
; COMPUTE_PGM_RSRC2:TRAP_HANDLER: 0
; COMPUTE_PGM_RSRC2:TGID_X_EN: 1
; COMPUTE_PGM_RSRC2:TGID_Y_EN: 0
; COMPUTE_PGM_RSRC2:TGID_Z_EN: 0
; COMPUTE_PGM_RSRC2:TIDIG_COMP_CNT: 0
; COMPUTE_PGM_RSRC3_GFX90A:ACCUM_OFFSET: 0
; COMPUTE_PGM_RSRC3_GFX90A:TG_SPLIT: 0
	.section	.text._ZN7rocprim17ROCPRIM_400000_NS6detail17trampoline_kernelINS0_14default_configENS1_25partition_config_selectorILNS1_17partition_subalgoE0EyNS0_10empty_typeEbEEZZNS1_14partition_implILS5_0ELb0ES3_jN6thrust23THRUST_200600_302600_NS6detail15normal_iteratorINSA_10device_ptrIyEEEEPS6_SG_NS0_5tupleIJNSA_16discard_iteratorINSA_11use_defaultEEESK_EEENSH_IJSG_SG_EEES6_PlJ7is_evenIyEEEE10hipError_tPvRmT3_T4_T5_T6_T7_T9_mT8_P12ihipStream_tbDpT10_ENKUlT_T0_E_clISt17integral_constantIbLb1EES19_EEDaS14_S15_EUlS14_E_NS1_11comp_targetILNS1_3genE8ELNS1_11target_archE1030ELNS1_3gpuE2ELNS1_3repE0EEENS1_30default_config_static_selectorELNS0_4arch9wavefront6targetE1EEEvT1_,"axG",@progbits,_ZN7rocprim17ROCPRIM_400000_NS6detail17trampoline_kernelINS0_14default_configENS1_25partition_config_selectorILNS1_17partition_subalgoE0EyNS0_10empty_typeEbEEZZNS1_14partition_implILS5_0ELb0ES3_jN6thrust23THRUST_200600_302600_NS6detail15normal_iteratorINSA_10device_ptrIyEEEEPS6_SG_NS0_5tupleIJNSA_16discard_iteratorINSA_11use_defaultEEESK_EEENSH_IJSG_SG_EEES6_PlJ7is_evenIyEEEE10hipError_tPvRmT3_T4_T5_T6_T7_T9_mT8_P12ihipStream_tbDpT10_ENKUlT_T0_E_clISt17integral_constantIbLb1EES19_EEDaS14_S15_EUlS14_E_NS1_11comp_targetILNS1_3genE8ELNS1_11target_archE1030ELNS1_3gpuE2ELNS1_3repE0EEENS1_30default_config_static_selectorELNS0_4arch9wavefront6targetE1EEEvT1_,comdat
	.protected	_ZN7rocprim17ROCPRIM_400000_NS6detail17trampoline_kernelINS0_14default_configENS1_25partition_config_selectorILNS1_17partition_subalgoE0EyNS0_10empty_typeEbEEZZNS1_14partition_implILS5_0ELb0ES3_jN6thrust23THRUST_200600_302600_NS6detail15normal_iteratorINSA_10device_ptrIyEEEEPS6_SG_NS0_5tupleIJNSA_16discard_iteratorINSA_11use_defaultEEESK_EEENSH_IJSG_SG_EEES6_PlJ7is_evenIyEEEE10hipError_tPvRmT3_T4_T5_T6_T7_T9_mT8_P12ihipStream_tbDpT10_ENKUlT_T0_E_clISt17integral_constantIbLb1EES19_EEDaS14_S15_EUlS14_E_NS1_11comp_targetILNS1_3genE8ELNS1_11target_archE1030ELNS1_3gpuE2ELNS1_3repE0EEENS1_30default_config_static_selectorELNS0_4arch9wavefront6targetE1EEEvT1_ ; -- Begin function _ZN7rocprim17ROCPRIM_400000_NS6detail17trampoline_kernelINS0_14default_configENS1_25partition_config_selectorILNS1_17partition_subalgoE0EyNS0_10empty_typeEbEEZZNS1_14partition_implILS5_0ELb0ES3_jN6thrust23THRUST_200600_302600_NS6detail15normal_iteratorINSA_10device_ptrIyEEEEPS6_SG_NS0_5tupleIJNSA_16discard_iteratorINSA_11use_defaultEEESK_EEENSH_IJSG_SG_EEES6_PlJ7is_evenIyEEEE10hipError_tPvRmT3_T4_T5_T6_T7_T9_mT8_P12ihipStream_tbDpT10_ENKUlT_T0_E_clISt17integral_constantIbLb1EES19_EEDaS14_S15_EUlS14_E_NS1_11comp_targetILNS1_3genE8ELNS1_11target_archE1030ELNS1_3gpuE2ELNS1_3repE0EEENS1_30default_config_static_selectorELNS0_4arch9wavefront6targetE1EEEvT1_
	.globl	_ZN7rocprim17ROCPRIM_400000_NS6detail17trampoline_kernelINS0_14default_configENS1_25partition_config_selectorILNS1_17partition_subalgoE0EyNS0_10empty_typeEbEEZZNS1_14partition_implILS5_0ELb0ES3_jN6thrust23THRUST_200600_302600_NS6detail15normal_iteratorINSA_10device_ptrIyEEEEPS6_SG_NS0_5tupleIJNSA_16discard_iteratorINSA_11use_defaultEEESK_EEENSH_IJSG_SG_EEES6_PlJ7is_evenIyEEEE10hipError_tPvRmT3_T4_T5_T6_T7_T9_mT8_P12ihipStream_tbDpT10_ENKUlT_T0_E_clISt17integral_constantIbLb1EES19_EEDaS14_S15_EUlS14_E_NS1_11comp_targetILNS1_3genE8ELNS1_11target_archE1030ELNS1_3gpuE2ELNS1_3repE0EEENS1_30default_config_static_selectorELNS0_4arch9wavefront6targetE1EEEvT1_
	.p2align	8
	.type	_ZN7rocprim17ROCPRIM_400000_NS6detail17trampoline_kernelINS0_14default_configENS1_25partition_config_selectorILNS1_17partition_subalgoE0EyNS0_10empty_typeEbEEZZNS1_14partition_implILS5_0ELb0ES3_jN6thrust23THRUST_200600_302600_NS6detail15normal_iteratorINSA_10device_ptrIyEEEEPS6_SG_NS0_5tupleIJNSA_16discard_iteratorINSA_11use_defaultEEESK_EEENSH_IJSG_SG_EEES6_PlJ7is_evenIyEEEE10hipError_tPvRmT3_T4_T5_T6_T7_T9_mT8_P12ihipStream_tbDpT10_ENKUlT_T0_E_clISt17integral_constantIbLb1EES19_EEDaS14_S15_EUlS14_E_NS1_11comp_targetILNS1_3genE8ELNS1_11target_archE1030ELNS1_3gpuE2ELNS1_3repE0EEENS1_30default_config_static_selectorELNS0_4arch9wavefront6targetE1EEEvT1_,@function
_ZN7rocprim17ROCPRIM_400000_NS6detail17trampoline_kernelINS0_14default_configENS1_25partition_config_selectorILNS1_17partition_subalgoE0EyNS0_10empty_typeEbEEZZNS1_14partition_implILS5_0ELb0ES3_jN6thrust23THRUST_200600_302600_NS6detail15normal_iteratorINSA_10device_ptrIyEEEEPS6_SG_NS0_5tupleIJNSA_16discard_iteratorINSA_11use_defaultEEESK_EEENSH_IJSG_SG_EEES6_PlJ7is_evenIyEEEE10hipError_tPvRmT3_T4_T5_T6_T7_T9_mT8_P12ihipStream_tbDpT10_ENKUlT_T0_E_clISt17integral_constantIbLb1EES19_EEDaS14_S15_EUlS14_E_NS1_11comp_targetILNS1_3genE8ELNS1_11target_archE1030ELNS1_3gpuE2ELNS1_3repE0EEENS1_30default_config_static_selectorELNS0_4arch9wavefront6targetE1EEEvT1_: ; @_ZN7rocprim17ROCPRIM_400000_NS6detail17trampoline_kernelINS0_14default_configENS1_25partition_config_selectorILNS1_17partition_subalgoE0EyNS0_10empty_typeEbEEZZNS1_14partition_implILS5_0ELb0ES3_jN6thrust23THRUST_200600_302600_NS6detail15normal_iteratorINSA_10device_ptrIyEEEEPS6_SG_NS0_5tupleIJNSA_16discard_iteratorINSA_11use_defaultEEESK_EEENSH_IJSG_SG_EEES6_PlJ7is_evenIyEEEE10hipError_tPvRmT3_T4_T5_T6_T7_T9_mT8_P12ihipStream_tbDpT10_ENKUlT_T0_E_clISt17integral_constantIbLb1EES19_EEDaS14_S15_EUlS14_E_NS1_11comp_targetILNS1_3genE8ELNS1_11target_archE1030ELNS1_3gpuE2ELNS1_3repE0EEENS1_30default_config_static_selectorELNS0_4arch9wavefront6targetE1EEEvT1_
; %bb.0:
	.section	.rodata,"a",@progbits
	.p2align	6, 0x0
	.amdhsa_kernel _ZN7rocprim17ROCPRIM_400000_NS6detail17trampoline_kernelINS0_14default_configENS1_25partition_config_selectorILNS1_17partition_subalgoE0EyNS0_10empty_typeEbEEZZNS1_14partition_implILS5_0ELb0ES3_jN6thrust23THRUST_200600_302600_NS6detail15normal_iteratorINSA_10device_ptrIyEEEEPS6_SG_NS0_5tupleIJNSA_16discard_iteratorINSA_11use_defaultEEESK_EEENSH_IJSG_SG_EEES6_PlJ7is_evenIyEEEE10hipError_tPvRmT3_T4_T5_T6_T7_T9_mT8_P12ihipStream_tbDpT10_ENKUlT_T0_E_clISt17integral_constantIbLb1EES19_EEDaS14_S15_EUlS14_E_NS1_11comp_targetILNS1_3genE8ELNS1_11target_archE1030ELNS1_3gpuE2ELNS1_3repE0EEENS1_30default_config_static_selectorELNS0_4arch9wavefront6targetE1EEEvT1_
		.amdhsa_group_segment_fixed_size 0
		.amdhsa_private_segment_fixed_size 0
		.amdhsa_kernarg_size 152
		.amdhsa_user_sgpr_count 6
		.amdhsa_user_sgpr_private_segment_buffer 1
		.amdhsa_user_sgpr_dispatch_ptr 0
		.amdhsa_user_sgpr_queue_ptr 0
		.amdhsa_user_sgpr_kernarg_segment_ptr 1
		.amdhsa_user_sgpr_dispatch_id 0
		.amdhsa_user_sgpr_flat_scratch_init 0
		.amdhsa_user_sgpr_kernarg_preload_length 0
		.amdhsa_user_sgpr_kernarg_preload_offset 0
		.amdhsa_user_sgpr_private_segment_size 0
		.amdhsa_uses_dynamic_stack 0
		.amdhsa_system_sgpr_private_segment_wavefront_offset 0
		.amdhsa_system_sgpr_workgroup_id_x 1
		.amdhsa_system_sgpr_workgroup_id_y 0
		.amdhsa_system_sgpr_workgroup_id_z 0
		.amdhsa_system_sgpr_workgroup_info 0
		.amdhsa_system_vgpr_workitem_id 0
		.amdhsa_next_free_vgpr 1
		.amdhsa_next_free_sgpr 0
		.amdhsa_accum_offset 4
		.amdhsa_reserve_vcc 0
		.amdhsa_reserve_flat_scratch 0
		.amdhsa_float_round_mode_32 0
		.amdhsa_float_round_mode_16_64 0
		.amdhsa_float_denorm_mode_32 3
		.amdhsa_float_denorm_mode_16_64 3
		.amdhsa_dx10_clamp 1
		.amdhsa_ieee_mode 1
		.amdhsa_fp16_overflow 0
		.amdhsa_tg_split 0
		.amdhsa_exception_fp_ieee_invalid_op 0
		.amdhsa_exception_fp_denorm_src 0
		.amdhsa_exception_fp_ieee_div_zero 0
		.amdhsa_exception_fp_ieee_overflow 0
		.amdhsa_exception_fp_ieee_underflow 0
		.amdhsa_exception_fp_ieee_inexact 0
		.amdhsa_exception_int_div_zero 0
	.end_amdhsa_kernel
	.section	.text._ZN7rocprim17ROCPRIM_400000_NS6detail17trampoline_kernelINS0_14default_configENS1_25partition_config_selectorILNS1_17partition_subalgoE0EyNS0_10empty_typeEbEEZZNS1_14partition_implILS5_0ELb0ES3_jN6thrust23THRUST_200600_302600_NS6detail15normal_iteratorINSA_10device_ptrIyEEEEPS6_SG_NS0_5tupleIJNSA_16discard_iteratorINSA_11use_defaultEEESK_EEENSH_IJSG_SG_EEES6_PlJ7is_evenIyEEEE10hipError_tPvRmT3_T4_T5_T6_T7_T9_mT8_P12ihipStream_tbDpT10_ENKUlT_T0_E_clISt17integral_constantIbLb1EES19_EEDaS14_S15_EUlS14_E_NS1_11comp_targetILNS1_3genE8ELNS1_11target_archE1030ELNS1_3gpuE2ELNS1_3repE0EEENS1_30default_config_static_selectorELNS0_4arch9wavefront6targetE1EEEvT1_,"axG",@progbits,_ZN7rocprim17ROCPRIM_400000_NS6detail17trampoline_kernelINS0_14default_configENS1_25partition_config_selectorILNS1_17partition_subalgoE0EyNS0_10empty_typeEbEEZZNS1_14partition_implILS5_0ELb0ES3_jN6thrust23THRUST_200600_302600_NS6detail15normal_iteratorINSA_10device_ptrIyEEEEPS6_SG_NS0_5tupleIJNSA_16discard_iteratorINSA_11use_defaultEEESK_EEENSH_IJSG_SG_EEES6_PlJ7is_evenIyEEEE10hipError_tPvRmT3_T4_T5_T6_T7_T9_mT8_P12ihipStream_tbDpT10_ENKUlT_T0_E_clISt17integral_constantIbLb1EES19_EEDaS14_S15_EUlS14_E_NS1_11comp_targetILNS1_3genE8ELNS1_11target_archE1030ELNS1_3gpuE2ELNS1_3repE0EEENS1_30default_config_static_selectorELNS0_4arch9wavefront6targetE1EEEvT1_,comdat
.Lfunc_end2314:
	.size	_ZN7rocprim17ROCPRIM_400000_NS6detail17trampoline_kernelINS0_14default_configENS1_25partition_config_selectorILNS1_17partition_subalgoE0EyNS0_10empty_typeEbEEZZNS1_14partition_implILS5_0ELb0ES3_jN6thrust23THRUST_200600_302600_NS6detail15normal_iteratorINSA_10device_ptrIyEEEEPS6_SG_NS0_5tupleIJNSA_16discard_iteratorINSA_11use_defaultEEESK_EEENSH_IJSG_SG_EEES6_PlJ7is_evenIyEEEE10hipError_tPvRmT3_T4_T5_T6_T7_T9_mT8_P12ihipStream_tbDpT10_ENKUlT_T0_E_clISt17integral_constantIbLb1EES19_EEDaS14_S15_EUlS14_E_NS1_11comp_targetILNS1_3genE8ELNS1_11target_archE1030ELNS1_3gpuE2ELNS1_3repE0EEENS1_30default_config_static_selectorELNS0_4arch9wavefront6targetE1EEEvT1_, .Lfunc_end2314-_ZN7rocprim17ROCPRIM_400000_NS6detail17trampoline_kernelINS0_14default_configENS1_25partition_config_selectorILNS1_17partition_subalgoE0EyNS0_10empty_typeEbEEZZNS1_14partition_implILS5_0ELb0ES3_jN6thrust23THRUST_200600_302600_NS6detail15normal_iteratorINSA_10device_ptrIyEEEEPS6_SG_NS0_5tupleIJNSA_16discard_iteratorINSA_11use_defaultEEESK_EEENSH_IJSG_SG_EEES6_PlJ7is_evenIyEEEE10hipError_tPvRmT3_T4_T5_T6_T7_T9_mT8_P12ihipStream_tbDpT10_ENKUlT_T0_E_clISt17integral_constantIbLb1EES19_EEDaS14_S15_EUlS14_E_NS1_11comp_targetILNS1_3genE8ELNS1_11target_archE1030ELNS1_3gpuE2ELNS1_3repE0EEENS1_30default_config_static_selectorELNS0_4arch9wavefront6targetE1EEEvT1_
                                        ; -- End function
	.section	.AMDGPU.csdata,"",@progbits
; Kernel info:
; codeLenInByte = 0
; NumSgprs: 4
; NumVgprs: 0
; NumAgprs: 0
; TotalNumVgprs: 0
; ScratchSize: 0
; MemoryBound: 0
; FloatMode: 240
; IeeeMode: 1
; LDSByteSize: 0 bytes/workgroup (compile time only)
; SGPRBlocks: 0
; VGPRBlocks: 0
; NumSGPRsForWavesPerEU: 4
; NumVGPRsForWavesPerEU: 1
; AccumOffset: 4
; Occupancy: 8
; WaveLimiterHint : 0
; COMPUTE_PGM_RSRC2:SCRATCH_EN: 0
; COMPUTE_PGM_RSRC2:USER_SGPR: 6
; COMPUTE_PGM_RSRC2:TRAP_HANDLER: 0
; COMPUTE_PGM_RSRC2:TGID_X_EN: 1
; COMPUTE_PGM_RSRC2:TGID_Y_EN: 0
; COMPUTE_PGM_RSRC2:TGID_Z_EN: 0
; COMPUTE_PGM_RSRC2:TIDIG_COMP_CNT: 0
; COMPUTE_PGM_RSRC3_GFX90A:ACCUM_OFFSET: 0
; COMPUTE_PGM_RSRC3_GFX90A:TG_SPLIT: 0
	.section	.text._ZN7rocprim17ROCPRIM_400000_NS6detail17trampoline_kernelINS0_14default_configENS1_25partition_config_selectorILNS1_17partition_subalgoE0EyNS0_10empty_typeEbEEZZNS1_14partition_implILS5_0ELb0ES3_jN6thrust23THRUST_200600_302600_NS6detail15normal_iteratorINSA_10device_ptrIyEEEEPS6_SG_NS0_5tupleIJNSA_16discard_iteratorINSA_11use_defaultEEESK_EEENSH_IJSG_SG_EEES6_PlJ7is_evenIyEEEE10hipError_tPvRmT3_T4_T5_T6_T7_T9_mT8_P12ihipStream_tbDpT10_ENKUlT_T0_E_clISt17integral_constantIbLb1EES18_IbLb0EEEEDaS14_S15_EUlS14_E_NS1_11comp_targetILNS1_3genE0ELNS1_11target_archE4294967295ELNS1_3gpuE0ELNS1_3repE0EEENS1_30default_config_static_selectorELNS0_4arch9wavefront6targetE1EEEvT1_,"axG",@progbits,_ZN7rocprim17ROCPRIM_400000_NS6detail17trampoline_kernelINS0_14default_configENS1_25partition_config_selectorILNS1_17partition_subalgoE0EyNS0_10empty_typeEbEEZZNS1_14partition_implILS5_0ELb0ES3_jN6thrust23THRUST_200600_302600_NS6detail15normal_iteratorINSA_10device_ptrIyEEEEPS6_SG_NS0_5tupleIJNSA_16discard_iteratorINSA_11use_defaultEEESK_EEENSH_IJSG_SG_EEES6_PlJ7is_evenIyEEEE10hipError_tPvRmT3_T4_T5_T6_T7_T9_mT8_P12ihipStream_tbDpT10_ENKUlT_T0_E_clISt17integral_constantIbLb1EES18_IbLb0EEEEDaS14_S15_EUlS14_E_NS1_11comp_targetILNS1_3genE0ELNS1_11target_archE4294967295ELNS1_3gpuE0ELNS1_3repE0EEENS1_30default_config_static_selectorELNS0_4arch9wavefront6targetE1EEEvT1_,comdat
	.protected	_ZN7rocprim17ROCPRIM_400000_NS6detail17trampoline_kernelINS0_14default_configENS1_25partition_config_selectorILNS1_17partition_subalgoE0EyNS0_10empty_typeEbEEZZNS1_14partition_implILS5_0ELb0ES3_jN6thrust23THRUST_200600_302600_NS6detail15normal_iteratorINSA_10device_ptrIyEEEEPS6_SG_NS0_5tupleIJNSA_16discard_iteratorINSA_11use_defaultEEESK_EEENSH_IJSG_SG_EEES6_PlJ7is_evenIyEEEE10hipError_tPvRmT3_T4_T5_T6_T7_T9_mT8_P12ihipStream_tbDpT10_ENKUlT_T0_E_clISt17integral_constantIbLb1EES18_IbLb0EEEEDaS14_S15_EUlS14_E_NS1_11comp_targetILNS1_3genE0ELNS1_11target_archE4294967295ELNS1_3gpuE0ELNS1_3repE0EEENS1_30default_config_static_selectorELNS0_4arch9wavefront6targetE1EEEvT1_ ; -- Begin function _ZN7rocprim17ROCPRIM_400000_NS6detail17trampoline_kernelINS0_14default_configENS1_25partition_config_selectorILNS1_17partition_subalgoE0EyNS0_10empty_typeEbEEZZNS1_14partition_implILS5_0ELb0ES3_jN6thrust23THRUST_200600_302600_NS6detail15normal_iteratorINSA_10device_ptrIyEEEEPS6_SG_NS0_5tupleIJNSA_16discard_iteratorINSA_11use_defaultEEESK_EEENSH_IJSG_SG_EEES6_PlJ7is_evenIyEEEE10hipError_tPvRmT3_T4_T5_T6_T7_T9_mT8_P12ihipStream_tbDpT10_ENKUlT_T0_E_clISt17integral_constantIbLb1EES18_IbLb0EEEEDaS14_S15_EUlS14_E_NS1_11comp_targetILNS1_3genE0ELNS1_11target_archE4294967295ELNS1_3gpuE0ELNS1_3repE0EEENS1_30default_config_static_selectorELNS0_4arch9wavefront6targetE1EEEvT1_
	.globl	_ZN7rocprim17ROCPRIM_400000_NS6detail17trampoline_kernelINS0_14default_configENS1_25partition_config_selectorILNS1_17partition_subalgoE0EyNS0_10empty_typeEbEEZZNS1_14partition_implILS5_0ELb0ES3_jN6thrust23THRUST_200600_302600_NS6detail15normal_iteratorINSA_10device_ptrIyEEEEPS6_SG_NS0_5tupleIJNSA_16discard_iteratorINSA_11use_defaultEEESK_EEENSH_IJSG_SG_EEES6_PlJ7is_evenIyEEEE10hipError_tPvRmT3_T4_T5_T6_T7_T9_mT8_P12ihipStream_tbDpT10_ENKUlT_T0_E_clISt17integral_constantIbLb1EES18_IbLb0EEEEDaS14_S15_EUlS14_E_NS1_11comp_targetILNS1_3genE0ELNS1_11target_archE4294967295ELNS1_3gpuE0ELNS1_3repE0EEENS1_30default_config_static_selectorELNS0_4arch9wavefront6targetE1EEEvT1_
	.p2align	8
	.type	_ZN7rocprim17ROCPRIM_400000_NS6detail17trampoline_kernelINS0_14default_configENS1_25partition_config_selectorILNS1_17partition_subalgoE0EyNS0_10empty_typeEbEEZZNS1_14partition_implILS5_0ELb0ES3_jN6thrust23THRUST_200600_302600_NS6detail15normal_iteratorINSA_10device_ptrIyEEEEPS6_SG_NS0_5tupleIJNSA_16discard_iteratorINSA_11use_defaultEEESK_EEENSH_IJSG_SG_EEES6_PlJ7is_evenIyEEEE10hipError_tPvRmT3_T4_T5_T6_T7_T9_mT8_P12ihipStream_tbDpT10_ENKUlT_T0_E_clISt17integral_constantIbLb1EES18_IbLb0EEEEDaS14_S15_EUlS14_E_NS1_11comp_targetILNS1_3genE0ELNS1_11target_archE4294967295ELNS1_3gpuE0ELNS1_3repE0EEENS1_30default_config_static_selectorELNS0_4arch9wavefront6targetE1EEEvT1_,@function
_ZN7rocprim17ROCPRIM_400000_NS6detail17trampoline_kernelINS0_14default_configENS1_25partition_config_selectorILNS1_17partition_subalgoE0EyNS0_10empty_typeEbEEZZNS1_14partition_implILS5_0ELb0ES3_jN6thrust23THRUST_200600_302600_NS6detail15normal_iteratorINSA_10device_ptrIyEEEEPS6_SG_NS0_5tupleIJNSA_16discard_iteratorINSA_11use_defaultEEESK_EEENSH_IJSG_SG_EEES6_PlJ7is_evenIyEEEE10hipError_tPvRmT3_T4_T5_T6_T7_T9_mT8_P12ihipStream_tbDpT10_ENKUlT_T0_E_clISt17integral_constantIbLb1EES18_IbLb0EEEEDaS14_S15_EUlS14_E_NS1_11comp_targetILNS1_3genE0ELNS1_11target_archE4294967295ELNS1_3gpuE0ELNS1_3repE0EEENS1_30default_config_static_selectorELNS0_4arch9wavefront6targetE1EEEvT1_: ; @_ZN7rocprim17ROCPRIM_400000_NS6detail17trampoline_kernelINS0_14default_configENS1_25partition_config_selectorILNS1_17partition_subalgoE0EyNS0_10empty_typeEbEEZZNS1_14partition_implILS5_0ELb0ES3_jN6thrust23THRUST_200600_302600_NS6detail15normal_iteratorINSA_10device_ptrIyEEEEPS6_SG_NS0_5tupleIJNSA_16discard_iteratorINSA_11use_defaultEEESK_EEENSH_IJSG_SG_EEES6_PlJ7is_evenIyEEEE10hipError_tPvRmT3_T4_T5_T6_T7_T9_mT8_P12ihipStream_tbDpT10_ENKUlT_T0_E_clISt17integral_constantIbLb1EES18_IbLb0EEEEDaS14_S15_EUlS14_E_NS1_11comp_targetILNS1_3genE0ELNS1_11target_archE4294967295ELNS1_3gpuE0ELNS1_3repE0EEENS1_30default_config_static_selectorELNS0_4arch9wavefront6targetE1EEEvT1_
; %bb.0:
	.section	.rodata,"a",@progbits
	.p2align	6, 0x0
	.amdhsa_kernel _ZN7rocprim17ROCPRIM_400000_NS6detail17trampoline_kernelINS0_14default_configENS1_25partition_config_selectorILNS1_17partition_subalgoE0EyNS0_10empty_typeEbEEZZNS1_14partition_implILS5_0ELb0ES3_jN6thrust23THRUST_200600_302600_NS6detail15normal_iteratorINSA_10device_ptrIyEEEEPS6_SG_NS0_5tupleIJNSA_16discard_iteratorINSA_11use_defaultEEESK_EEENSH_IJSG_SG_EEES6_PlJ7is_evenIyEEEE10hipError_tPvRmT3_T4_T5_T6_T7_T9_mT8_P12ihipStream_tbDpT10_ENKUlT_T0_E_clISt17integral_constantIbLb1EES18_IbLb0EEEEDaS14_S15_EUlS14_E_NS1_11comp_targetILNS1_3genE0ELNS1_11target_archE4294967295ELNS1_3gpuE0ELNS1_3repE0EEENS1_30default_config_static_selectorELNS0_4arch9wavefront6targetE1EEEvT1_
		.amdhsa_group_segment_fixed_size 0
		.amdhsa_private_segment_fixed_size 0
		.amdhsa_kernarg_size 136
		.amdhsa_user_sgpr_count 6
		.amdhsa_user_sgpr_private_segment_buffer 1
		.amdhsa_user_sgpr_dispatch_ptr 0
		.amdhsa_user_sgpr_queue_ptr 0
		.amdhsa_user_sgpr_kernarg_segment_ptr 1
		.amdhsa_user_sgpr_dispatch_id 0
		.amdhsa_user_sgpr_flat_scratch_init 0
		.amdhsa_user_sgpr_kernarg_preload_length 0
		.amdhsa_user_sgpr_kernarg_preload_offset 0
		.amdhsa_user_sgpr_private_segment_size 0
		.amdhsa_uses_dynamic_stack 0
		.amdhsa_system_sgpr_private_segment_wavefront_offset 0
		.amdhsa_system_sgpr_workgroup_id_x 1
		.amdhsa_system_sgpr_workgroup_id_y 0
		.amdhsa_system_sgpr_workgroup_id_z 0
		.amdhsa_system_sgpr_workgroup_info 0
		.amdhsa_system_vgpr_workitem_id 0
		.amdhsa_next_free_vgpr 1
		.amdhsa_next_free_sgpr 0
		.amdhsa_accum_offset 4
		.amdhsa_reserve_vcc 0
		.amdhsa_reserve_flat_scratch 0
		.amdhsa_float_round_mode_32 0
		.amdhsa_float_round_mode_16_64 0
		.amdhsa_float_denorm_mode_32 3
		.amdhsa_float_denorm_mode_16_64 3
		.amdhsa_dx10_clamp 1
		.amdhsa_ieee_mode 1
		.amdhsa_fp16_overflow 0
		.amdhsa_tg_split 0
		.amdhsa_exception_fp_ieee_invalid_op 0
		.amdhsa_exception_fp_denorm_src 0
		.amdhsa_exception_fp_ieee_div_zero 0
		.amdhsa_exception_fp_ieee_overflow 0
		.amdhsa_exception_fp_ieee_underflow 0
		.amdhsa_exception_fp_ieee_inexact 0
		.amdhsa_exception_int_div_zero 0
	.end_amdhsa_kernel
	.section	.text._ZN7rocprim17ROCPRIM_400000_NS6detail17trampoline_kernelINS0_14default_configENS1_25partition_config_selectorILNS1_17partition_subalgoE0EyNS0_10empty_typeEbEEZZNS1_14partition_implILS5_0ELb0ES3_jN6thrust23THRUST_200600_302600_NS6detail15normal_iteratorINSA_10device_ptrIyEEEEPS6_SG_NS0_5tupleIJNSA_16discard_iteratorINSA_11use_defaultEEESK_EEENSH_IJSG_SG_EEES6_PlJ7is_evenIyEEEE10hipError_tPvRmT3_T4_T5_T6_T7_T9_mT8_P12ihipStream_tbDpT10_ENKUlT_T0_E_clISt17integral_constantIbLb1EES18_IbLb0EEEEDaS14_S15_EUlS14_E_NS1_11comp_targetILNS1_3genE0ELNS1_11target_archE4294967295ELNS1_3gpuE0ELNS1_3repE0EEENS1_30default_config_static_selectorELNS0_4arch9wavefront6targetE1EEEvT1_,"axG",@progbits,_ZN7rocprim17ROCPRIM_400000_NS6detail17trampoline_kernelINS0_14default_configENS1_25partition_config_selectorILNS1_17partition_subalgoE0EyNS0_10empty_typeEbEEZZNS1_14partition_implILS5_0ELb0ES3_jN6thrust23THRUST_200600_302600_NS6detail15normal_iteratorINSA_10device_ptrIyEEEEPS6_SG_NS0_5tupleIJNSA_16discard_iteratorINSA_11use_defaultEEESK_EEENSH_IJSG_SG_EEES6_PlJ7is_evenIyEEEE10hipError_tPvRmT3_T4_T5_T6_T7_T9_mT8_P12ihipStream_tbDpT10_ENKUlT_T0_E_clISt17integral_constantIbLb1EES18_IbLb0EEEEDaS14_S15_EUlS14_E_NS1_11comp_targetILNS1_3genE0ELNS1_11target_archE4294967295ELNS1_3gpuE0ELNS1_3repE0EEENS1_30default_config_static_selectorELNS0_4arch9wavefront6targetE1EEEvT1_,comdat
.Lfunc_end2315:
	.size	_ZN7rocprim17ROCPRIM_400000_NS6detail17trampoline_kernelINS0_14default_configENS1_25partition_config_selectorILNS1_17partition_subalgoE0EyNS0_10empty_typeEbEEZZNS1_14partition_implILS5_0ELb0ES3_jN6thrust23THRUST_200600_302600_NS6detail15normal_iteratorINSA_10device_ptrIyEEEEPS6_SG_NS0_5tupleIJNSA_16discard_iteratorINSA_11use_defaultEEESK_EEENSH_IJSG_SG_EEES6_PlJ7is_evenIyEEEE10hipError_tPvRmT3_T4_T5_T6_T7_T9_mT8_P12ihipStream_tbDpT10_ENKUlT_T0_E_clISt17integral_constantIbLb1EES18_IbLb0EEEEDaS14_S15_EUlS14_E_NS1_11comp_targetILNS1_3genE0ELNS1_11target_archE4294967295ELNS1_3gpuE0ELNS1_3repE0EEENS1_30default_config_static_selectorELNS0_4arch9wavefront6targetE1EEEvT1_, .Lfunc_end2315-_ZN7rocprim17ROCPRIM_400000_NS6detail17trampoline_kernelINS0_14default_configENS1_25partition_config_selectorILNS1_17partition_subalgoE0EyNS0_10empty_typeEbEEZZNS1_14partition_implILS5_0ELb0ES3_jN6thrust23THRUST_200600_302600_NS6detail15normal_iteratorINSA_10device_ptrIyEEEEPS6_SG_NS0_5tupleIJNSA_16discard_iteratorINSA_11use_defaultEEESK_EEENSH_IJSG_SG_EEES6_PlJ7is_evenIyEEEE10hipError_tPvRmT3_T4_T5_T6_T7_T9_mT8_P12ihipStream_tbDpT10_ENKUlT_T0_E_clISt17integral_constantIbLb1EES18_IbLb0EEEEDaS14_S15_EUlS14_E_NS1_11comp_targetILNS1_3genE0ELNS1_11target_archE4294967295ELNS1_3gpuE0ELNS1_3repE0EEENS1_30default_config_static_selectorELNS0_4arch9wavefront6targetE1EEEvT1_
                                        ; -- End function
	.section	.AMDGPU.csdata,"",@progbits
; Kernel info:
; codeLenInByte = 0
; NumSgprs: 4
; NumVgprs: 0
; NumAgprs: 0
; TotalNumVgprs: 0
; ScratchSize: 0
; MemoryBound: 0
; FloatMode: 240
; IeeeMode: 1
; LDSByteSize: 0 bytes/workgroup (compile time only)
; SGPRBlocks: 0
; VGPRBlocks: 0
; NumSGPRsForWavesPerEU: 4
; NumVGPRsForWavesPerEU: 1
; AccumOffset: 4
; Occupancy: 8
; WaveLimiterHint : 0
; COMPUTE_PGM_RSRC2:SCRATCH_EN: 0
; COMPUTE_PGM_RSRC2:USER_SGPR: 6
; COMPUTE_PGM_RSRC2:TRAP_HANDLER: 0
; COMPUTE_PGM_RSRC2:TGID_X_EN: 1
; COMPUTE_PGM_RSRC2:TGID_Y_EN: 0
; COMPUTE_PGM_RSRC2:TGID_Z_EN: 0
; COMPUTE_PGM_RSRC2:TIDIG_COMP_CNT: 0
; COMPUTE_PGM_RSRC3_GFX90A:ACCUM_OFFSET: 0
; COMPUTE_PGM_RSRC3_GFX90A:TG_SPLIT: 0
	.section	.text._ZN7rocprim17ROCPRIM_400000_NS6detail17trampoline_kernelINS0_14default_configENS1_25partition_config_selectorILNS1_17partition_subalgoE0EyNS0_10empty_typeEbEEZZNS1_14partition_implILS5_0ELb0ES3_jN6thrust23THRUST_200600_302600_NS6detail15normal_iteratorINSA_10device_ptrIyEEEEPS6_SG_NS0_5tupleIJNSA_16discard_iteratorINSA_11use_defaultEEESK_EEENSH_IJSG_SG_EEES6_PlJ7is_evenIyEEEE10hipError_tPvRmT3_T4_T5_T6_T7_T9_mT8_P12ihipStream_tbDpT10_ENKUlT_T0_E_clISt17integral_constantIbLb1EES18_IbLb0EEEEDaS14_S15_EUlS14_E_NS1_11comp_targetILNS1_3genE5ELNS1_11target_archE942ELNS1_3gpuE9ELNS1_3repE0EEENS1_30default_config_static_selectorELNS0_4arch9wavefront6targetE1EEEvT1_,"axG",@progbits,_ZN7rocprim17ROCPRIM_400000_NS6detail17trampoline_kernelINS0_14default_configENS1_25partition_config_selectorILNS1_17partition_subalgoE0EyNS0_10empty_typeEbEEZZNS1_14partition_implILS5_0ELb0ES3_jN6thrust23THRUST_200600_302600_NS6detail15normal_iteratorINSA_10device_ptrIyEEEEPS6_SG_NS0_5tupleIJNSA_16discard_iteratorINSA_11use_defaultEEESK_EEENSH_IJSG_SG_EEES6_PlJ7is_evenIyEEEE10hipError_tPvRmT3_T4_T5_T6_T7_T9_mT8_P12ihipStream_tbDpT10_ENKUlT_T0_E_clISt17integral_constantIbLb1EES18_IbLb0EEEEDaS14_S15_EUlS14_E_NS1_11comp_targetILNS1_3genE5ELNS1_11target_archE942ELNS1_3gpuE9ELNS1_3repE0EEENS1_30default_config_static_selectorELNS0_4arch9wavefront6targetE1EEEvT1_,comdat
	.protected	_ZN7rocprim17ROCPRIM_400000_NS6detail17trampoline_kernelINS0_14default_configENS1_25partition_config_selectorILNS1_17partition_subalgoE0EyNS0_10empty_typeEbEEZZNS1_14partition_implILS5_0ELb0ES3_jN6thrust23THRUST_200600_302600_NS6detail15normal_iteratorINSA_10device_ptrIyEEEEPS6_SG_NS0_5tupleIJNSA_16discard_iteratorINSA_11use_defaultEEESK_EEENSH_IJSG_SG_EEES6_PlJ7is_evenIyEEEE10hipError_tPvRmT3_T4_T5_T6_T7_T9_mT8_P12ihipStream_tbDpT10_ENKUlT_T0_E_clISt17integral_constantIbLb1EES18_IbLb0EEEEDaS14_S15_EUlS14_E_NS1_11comp_targetILNS1_3genE5ELNS1_11target_archE942ELNS1_3gpuE9ELNS1_3repE0EEENS1_30default_config_static_selectorELNS0_4arch9wavefront6targetE1EEEvT1_ ; -- Begin function _ZN7rocprim17ROCPRIM_400000_NS6detail17trampoline_kernelINS0_14default_configENS1_25partition_config_selectorILNS1_17partition_subalgoE0EyNS0_10empty_typeEbEEZZNS1_14partition_implILS5_0ELb0ES3_jN6thrust23THRUST_200600_302600_NS6detail15normal_iteratorINSA_10device_ptrIyEEEEPS6_SG_NS0_5tupleIJNSA_16discard_iteratorINSA_11use_defaultEEESK_EEENSH_IJSG_SG_EEES6_PlJ7is_evenIyEEEE10hipError_tPvRmT3_T4_T5_T6_T7_T9_mT8_P12ihipStream_tbDpT10_ENKUlT_T0_E_clISt17integral_constantIbLb1EES18_IbLb0EEEEDaS14_S15_EUlS14_E_NS1_11comp_targetILNS1_3genE5ELNS1_11target_archE942ELNS1_3gpuE9ELNS1_3repE0EEENS1_30default_config_static_selectorELNS0_4arch9wavefront6targetE1EEEvT1_
	.globl	_ZN7rocprim17ROCPRIM_400000_NS6detail17trampoline_kernelINS0_14default_configENS1_25partition_config_selectorILNS1_17partition_subalgoE0EyNS0_10empty_typeEbEEZZNS1_14partition_implILS5_0ELb0ES3_jN6thrust23THRUST_200600_302600_NS6detail15normal_iteratorINSA_10device_ptrIyEEEEPS6_SG_NS0_5tupleIJNSA_16discard_iteratorINSA_11use_defaultEEESK_EEENSH_IJSG_SG_EEES6_PlJ7is_evenIyEEEE10hipError_tPvRmT3_T4_T5_T6_T7_T9_mT8_P12ihipStream_tbDpT10_ENKUlT_T0_E_clISt17integral_constantIbLb1EES18_IbLb0EEEEDaS14_S15_EUlS14_E_NS1_11comp_targetILNS1_3genE5ELNS1_11target_archE942ELNS1_3gpuE9ELNS1_3repE0EEENS1_30default_config_static_selectorELNS0_4arch9wavefront6targetE1EEEvT1_
	.p2align	8
	.type	_ZN7rocprim17ROCPRIM_400000_NS6detail17trampoline_kernelINS0_14default_configENS1_25partition_config_selectorILNS1_17partition_subalgoE0EyNS0_10empty_typeEbEEZZNS1_14partition_implILS5_0ELb0ES3_jN6thrust23THRUST_200600_302600_NS6detail15normal_iteratorINSA_10device_ptrIyEEEEPS6_SG_NS0_5tupleIJNSA_16discard_iteratorINSA_11use_defaultEEESK_EEENSH_IJSG_SG_EEES6_PlJ7is_evenIyEEEE10hipError_tPvRmT3_T4_T5_T6_T7_T9_mT8_P12ihipStream_tbDpT10_ENKUlT_T0_E_clISt17integral_constantIbLb1EES18_IbLb0EEEEDaS14_S15_EUlS14_E_NS1_11comp_targetILNS1_3genE5ELNS1_11target_archE942ELNS1_3gpuE9ELNS1_3repE0EEENS1_30default_config_static_selectorELNS0_4arch9wavefront6targetE1EEEvT1_,@function
_ZN7rocprim17ROCPRIM_400000_NS6detail17trampoline_kernelINS0_14default_configENS1_25partition_config_selectorILNS1_17partition_subalgoE0EyNS0_10empty_typeEbEEZZNS1_14partition_implILS5_0ELb0ES3_jN6thrust23THRUST_200600_302600_NS6detail15normal_iteratorINSA_10device_ptrIyEEEEPS6_SG_NS0_5tupleIJNSA_16discard_iteratorINSA_11use_defaultEEESK_EEENSH_IJSG_SG_EEES6_PlJ7is_evenIyEEEE10hipError_tPvRmT3_T4_T5_T6_T7_T9_mT8_P12ihipStream_tbDpT10_ENKUlT_T0_E_clISt17integral_constantIbLb1EES18_IbLb0EEEEDaS14_S15_EUlS14_E_NS1_11comp_targetILNS1_3genE5ELNS1_11target_archE942ELNS1_3gpuE9ELNS1_3repE0EEENS1_30default_config_static_selectorELNS0_4arch9wavefront6targetE1EEEvT1_: ; @_ZN7rocprim17ROCPRIM_400000_NS6detail17trampoline_kernelINS0_14default_configENS1_25partition_config_selectorILNS1_17partition_subalgoE0EyNS0_10empty_typeEbEEZZNS1_14partition_implILS5_0ELb0ES3_jN6thrust23THRUST_200600_302600_NS6detail15normal_iteratorINSA_10device_ptrIyEEEEPS6_SG_NS0_5tupleIJNSA_16discard_iteratorINSA_11use_defaultEEESK_EEENSH_IJSG_SG_EEES6_PlJ7is_evenIyEEEE10hipError_tPvRmT3_T4_T5_T6_T7_T9_mT8_P12ihipStream_tbDpT10_ENKUlT_T0_E_clISt17integral_constantIbLb1EES18_IbLb0EEEEDaS14_S15_EUlS14_E_NS1_11comp_targetILNS1_3genE5ELNS1_11target_archE942ELNS1_3gpuE9ELNS1_3repE0EEENS1_30default_config_static_selectorELNS0_4arch9wavefront6targetE1EEEvT1_
; %bb.0:
	.section	.rodata,"a",@progbits
	.p2align	6, 0x0
	.amdhsa_kernel _ZN7rocprim17ROCPRIM_400000_NS6detail17trampoline_kernelINS0_14default_configENS1_25partition_config_selectorILNS1_17partition_subalgoE0EyNS0_10empty_typeEbEEZZNS1_14partition_implILS5_0ELb0ES3_jN6thrust23THRUST_200600_302600_NS6detail15normal_iteratorINSA_10device_ptrIyEEEEPS6_SG_NS0_5tupleIJNSA_16discard_iteratorINSA_11use_defaultEEESK_EEENSH_IJSG_SG_EEES6_PlJ7is_evenIyEEEE10hipError_tPvRmT3_T4_T5_T6_T7_T9_mT8_P12ihipStream_tbDpT10_ENKUlT_T0_E_clISt17integral_constantIbLb1EES18_IbLb0EEEEDaS14_S15_EUlS14_E_NS1_11comp_targetILNS1_3genE5ELNS1_11target_archE942ELNS1_3gpuE9ELNS1_3repE0EEENS1_30default_config_static_selectorELNS0_4arch9wavefront6targetE1EEEvT1_
		.amdhsa_group_segment_fixed_size 0
		.amdhsa_private_segment_fixed_size 0
		.amdhsa_kernarg_size 136
		.amdhsa_user_sgpr_count 6
		.amdhsa_user_sgpr_private_segment_buffer 1
		.amdhsa_user_sgpr_dispatch_ptr 0
		.amdhsa_user_sgpr_queue_ptr 0
		.amdhsa_user_sgpr_kernarg_segment_ptr 1
		.amdhsa_user_sgpr_dispatch_id 0
		.amdhsa_user_sgpr_flat_scratch_init 0
		.amdhsa_user_sgpr_kernarg_preload_length 0
		.amdhsa_user_sgpr_kernarg_preload_offset 0
		.amdhsa_user_sgpr_private_segment_size 0
		.amdhsa_uses_dynamic_stack 0
		.amdhsa_system_sgpr_private_segment_wavefront_offset 0
		.amdhsa_system_sgpr_workgroup_id_x 1
		.amdhsa_system_sgpr_workgroup_id_y 0
		.amdhsa_system_sgpr_workgroup_id_z 0
		.amdhsa_system_sgpr_workgroup_info 0
		.amdhsa_system_vgpr_workitem_id 0
		.amdhsa_next_free_vgpr 1
		.amdhsa_next_free_sgpr 0
		.amdhsa_accum_offset 4
		.amdhsa_reserve_vcc 0
		.amdhsa_reserve_flat_scratch 0
		.amdhsa_float_round_mode_32 0
		.amdhsa_float_round_mode_16_64 0
		.amdhsa_float_denorm_mode_32 3
		.amdhsa_float_denorm_mode_16_64 3
		.amdhsa_dx10_clamp 1
		.amdhsa_ieee_mode 1
		.amdhsa_fp16_overflow 0
		.amdhsa_tg_split 0
		.amdhsa_exception_fp_ieee_invalid_op 0
		.amdhsa_exception_fp_denorm_src 0
		.amdhsa_exception_fp_ieee_div_zero 0
		.amdhsa_exception_fp_ieee_overflow 0
		.amdhsa_exception_fp_ieee_underflow 0
		.amdhsa_exception_fp_ieee_inexact 0
		.amdhsa_exception_int_div_zero 0
	.end_amdhsa_kernel
	.section	.text._ZN7rocprim17ROCPRIM_400000_NS6detail17trampoline_kernelINS0_14default_configENS1_25partition_config_selectorILNS1_17partition_subalgoE0EyNS0_10empty_typeEbEEZZNS1_14partition_implILS5_0ELb0ES3_jN6thrust23THRUST_200600_302600_NS6detail15normal_iteratorINSA_10device_ptrIyEEEEPS6_SG_NS0_5tupleIJNSA_16discard_iteratorINSA_11use_defaultEEESK_EEENSH_IJSG_SG_EEES6_PlJ7is_evenIyEEEE10hipError_tPvRmT3_T4_T5_T6_T7_T9_mT8_P12ihipStream_tbDpT10_ENKUlT_T0_E_clISt17integral_constantIbLb1EES18_IbLb0EEEEDaS14_S15_EUlS14_E_NS1_11comp_targetILNS1_3genE5ELNS1_11target_archE942ELNS1_3gpuE9ELNS1_3repE0EEENS1_30default_config_static_selectorELNS0_4arch9wavefront6targetE1EEEvT1_,"axG",@progbits,_ZN7rocprim17ROCPRIM_400000_NS6detail17trampoline_kernelINS0_14default_configENS1_25partition_config_selectorILNS1_17partition_subalgoE0EyNS0_10empty_typeEbEEZZNS1_14partition_implILS5_0ELb0ES3_jN6thrust23THRUST_200600_302600_NS6detail15normal_iteratorINSA_10device_ptrIyEEEEPS6_SG_NS0_5tupleIJNSA_16discard_iteratorINSA_11use_defaultEEESK_EEENSH_IJSG_SG_EEES6_PlJ7is_evenIyEEEE10hipError_tPvRmT3_T4_T5_T6_T7_T9_mT8_P12ihipStream_tbDpT10_ENKUlT_T0_E_clISt17integral_constantIbLb1EES18_IbLb0EEEEDaS14_S15_EUlS14_E_NS1_11comp_targetILNS1_3genE5ELNS1_11target_archE942ELNS1_3gpuE9ELNS1_3repE0EEENS1_30default_config_static_selectorELNS0_4arch9wavefront6targetE1EEEvT1_,comdat
.Lfunc_end2316:
	.size	_ZN7rocprim17ROCPRIM_400000_NS6detail17trampoline_kernelINS0_14default_configENS1_25partition_config_selectorILNS1_17partition_subalgoE0EyNS0_10empty_typeEbEEZZNS1_14partition_implILS5_0ELb0ES3_jN6thrust23THRUST_200600_302600_NS6detail15normal_iteratorINSA_10device_ptrIyEEEEPS6_SG_NS0_5tupleIJNSA_16discard_iteratorINSA_11use_defaultEEESK_EEENSH_IJSG_SG_EEES6_PlJ7is_evenIyEEEE10hipError_tPvRmT3_T4_T5_T6_T7_T9_mT8_P12ihipStream_tbDpT10_ENKUlT_T0_E_clISt17integral_constantIbLb1EES18_IbLb0EEEEDaS14_S15_EUlS14_E_NS1_11comp_targetILNS1_3genE5ELNS1_11target_archE942ELNS1_3gpuE9ELNS1_3repE0EEENS1_30default_config_static_selectorELNS0_4arch9wavefront6targetE1EEEvT1_, .Lfunc_end2316-_ZN7rocprim17ROCPRIM_400000_NS6detail17trampoline_kernelINS0_14default_configENS1_25partition_config_selectorILNS1_17partition_subalgoE0EyNS0_10empty_typeEbEEZZNS1_14partition_implILS5_0ELb0ES3_jN6thrust23THRUST_200600_302600_NS6detail15normal_iteratorINSA_10device_ptrIyEEEEPS6_SG_NS0_5tupleIJNSA_16discard_iteratorINSA_11use_defaultEEESK_EEENSH_IJSG_SG_EEES6_PlJ7is_evenIyEEEE10hipError_tPvRmT3_T4_T5_T6_T7_T9_mT8_P12ihipStream_tbDpT10_ENKUlT_T0_E_clISt17integral_constantIbLb1EES18_IbLb0EEEEDaS14_S15_EUlS14_E_NS1_11comp_targetILNS1_3genE5ELNS1_11target_archE942ELNS1_3gpuE9ELNS1_3repE0EEENS1_30default_config_static_selectorELNS0_4arch9wavefront6targetE1EEEvT1_
                                        ; -- End function
	.section	.AMDGPU.csdata,"",@progbits
; Kernel info:
; codeLenInByte = 0
; NumSgprs: 4
; NumVgprs: 0
; NumAgprs: 0
; TotalNumVgprs: 0
; ScratchSize: 0
; MemoryBound: 0
; FloatMode: 240
; IeeeMode: 1
; LDSByteSize: 0 bytes/workgroup (compile time only)
; SGPRBlocks: 0
; VGPRBlocks: 0
; NumSGPRsForWavesPerEU: 4
; NumVGPRsForWavesPerEU: 1
; AccumOffset: 4
; Occupancy: 8
; WaveLimiterHint : 0
; COMPUTE_PGM_RSRC2:SCRATCH_EN: 0
; COMPUTE_PGM_RSRC2:USER_SGPR: 6
; COMPUTE_PGM_RSRC2:TRAP_HANDLER: 0
; COMPUTE_PGM_RSRC2:TGID_X_EN: 1
; COMPUTE_PGM_RSRC2:TGID_Y_EN: 0
; COMPUTE_PGM_RSRC2:TGID_Z_EN: 0
; COMPUTE_PGM_RSRC2:TIDIG_COMP_CNT: 0
; COMPUTE_PGM_RSRC3_GFX90A:ACCUM_OFFSET: 0
; COMPUTE_PGM_RSRC3_GFX90A:TG_SPLIT: 0
	.section	.text._ZN7rocprim17ROCPRIM_400000_NS6detail17trampoline_kernelINS0_14default_configENS1_25partition_config_selectorILNS1_17partition_subalgoE0EyNS0_10empty_typeEbEEZZNS1_14partition_implILS5_0ELb0ES3_jN6thrust23THRUST_200600_302600_NS6detail15normal_iteratorINSA_10device_ptrIyEEEEPS6_SG_NS0_5tupleIJNSA_16discard_iteratorINSA_11use_defaultEEESK_EEENSH_IJSG_SG_EEES6_PlJ7is_evenIyEEEE10hipError_tPvRmT3_T4_T5_T6_T7_T9_mT8_P12ihipStream_tbDpT10_ENKUlT_T0_E_clISt17integral_constantIbLb1EES18_IbLb0EEEEDaS14_S15_EUlS14_E_NS1_11comp_targetILNS1_3genE4ELNS1_11target_archE910ELNS1_3gpuE8ELNS1_3repE0EEENS1_30default_config_static_selectorELNS0_4arch9wavefront6targetE1EEEvT1_,"axG",@progbits,_ZN7rocprim17ROCPRIM_400000_NS6detail17trampoline_kernelINS0_14default_configENS1_25partition_config_selectorILNS1_17partition_subalgoE0EyNS0_10empty_typeEbEEZZNS1_14partition_implILS5_0ELb0ES3_jN6thrust23THRUST_200600_302600_NS6detail15normal_iteratorINSA_10device_ptrIyEEEEPS6_SG_NS0_5tupleIJNSA_16discard_iteratorINSA_11use_defaultEEESK_EEENSH_IJSG_SG_EEES6_PlJ7is_evenIyEEEE10hipError_tPvRmT3_T4_T5_T6_T7_T9_mT8_P12ihipStream_tbDpT10_ENKUlT_T0_E_clISt17integral_constantIbLb1EES18_IbLb0EEEEDaS14_S15_EUlS14_E_NS1_11comp_targetILNS1_3genE4ELNS1_11target_archE910ELNS1_3gpuE8ELNS1_3repE0EEENS1_30default_config_static_selectorELNS0_4arch9wavefront6targetE1EEEvT1_,comdat
	.protected	_ZN7rocprim17ROCPRIM_400000_NS6detail17trampoline_kernelINS0_14default_configENS1_25partition_config_selectorILNS1_17partition_subalgoE0EyNS0_10empty_typeEbEEZZNS1_14partition_implILS5_0ELb0ES3_jN6thrust23THRUST_200600_302600_NS6detail15normal_iteratorINSA_10device_ptrIyEEEEPS6_SG_NS0_5tupleIJNSA_16discard_iteratorINSA_11use_defaultEEESK_EEENSH_IJSG_SG_EEES6_PlJ7is_evenIyEEEE10hipError_tPvRmT3_T4_T5_T6_T7_T9_mT8_P12ihipStream_tbDpT10_ENKUlT_T0_E_clISt17integral_constantIbLb1EES18_IbLb0EEEEDaS14_S15_EUlS14_E_NS1_11comp_targetILNS1_3genE4ELNS1_11target_archE910ELNS1_3gpuE8ELNS1_3repE0EEENS1_30default_config_static_selectorELNS0_4arch9wavefront6targetE1EEEvT1_ ; -- Begin function _ZN7rocprim17ROCPRIM_400000_NS6detail17trampoline_kernelINS0_14default_configENS1_25partition_config_selectorILNS1_17partition_subalgoE0EyNS0_10empty_typeEbEEZZNS1_14partition_implILS5_0ELb0ES3_jN6thrust23THRUST_200600_302600_NS6detail15normal_iteratorINSA_10device_ptrIyEEEEPS6_SG_NS0_5tupleIJNSA_16discard_iteratorINSA_11use_defaultEEESK_EEENSH_IJSG_SG_EEES6_PlJ7is_evenIyEEEE10hipError_tPvRmT3_T4_T5_T6_T7_T9_mT8_P12ihipStream_tbDpT10_ENKUlT_T0_E_clISt17integral_constantIbLb1EES18_IbLb0EEEEDaS14_S15_EUlS14_E_NS1_11comp_targetILNS1_3genE4ELNS1_11target_archE910ELNS1_3gpuE8ELNS1_3repE0EEENS1_30default_config_static_selectorELNS0_4arch9wavefront6targetE1EEEvT1_
	.globl	_ZN7rocprim17ROCPRIM_400000_NS6detail17trampoline_kernelINS0_14default_configENS1_25partition_config_selectorILNS1_17partition_subalgoE0EyNS0_10empty_typeEbEEZZNS1_14partition_implILS5_0ELb0ES3_jN6thrust23THRUST_200600_302600_NS6detail15normal_iteratorINSA_10device_ptrIyEEEEPS6_SG_NS0_5tupleIJNSA_16discard_iteratorINSA_11use_defaultEEESK_EEENSH_IJSG_SG_EEES6_PlJ7is_evenIyEEEE10hipError_tPvRmT3_T4_T5_T6_T7_T9_mT8_P12ihipStream_tbDpT10_ENKUlT_T0_E_clISt17integral_constantIbLb1EES18_IbLb0EEEEDaS14_S15_EUlS14_E_NS1_11comp_targetILNS1_3genE4ELNS1_11target_archE910ELNS1_3gpuE8ELNS1_3repE0EEENS1_30default_config_static_selectorELNS0_4arch9wavefront6targetE1EEEvT1_
	.p2align	8
	.type	_ZN7rocprim17ROCPRIM_400000_NS6detail17trampoline_kernelINS0_14default_configENS1_25partition_config_selectorILNS1_17partition_subalgoE0EyNS0_10empty_typeEbEEZZNS1_14partition_implILS5_0ELb0ES3_jN6thrust23THRUST_200600_302600_NS6detail15normal_iteratorINSA_10device_ptrIyEEEEPS6_SG_NS0_5tupleIJNSA_16discard_iteratorINSA_11use_defaultEEESK_EEENSH_IJSG_SG_EEES6_PlJ7is_evenIyEEEE10hipError_tPvRmT3_T4_T5_T6_T7_T9_mT8_P12ihipStream_tbDpT10_ENKUlT_T0_E_clISt17integral_constantIbLb1EES18_IbLb0EEEEDaS14_S15_EUlS14_E_NS1_11comp_targetILNS1_3genE4ELNS1_11target_archE910ELNS1_3gpuE8ELNS1_3repE0EEENS1_30default_config_static_selectorELNS0_4arch9wavefront6targetE1EEEvT1_,@function
_ZN7rocprim17ROCPRIM_400000_NS6detail17trampoline_kernelINS0_14default_configENS1_25partition_config_selectorILNS1_17partition_subalgoE0EyNS0_10empty_typeEbEEZZNS1_14partition_implILS5_0ELb0ES3_jN6thrust23THRUST_200600_302600_NS6detail15normal_iteratorINSA_10device_ptrIyEEEEPS6_SG_NS0_5tupleIJNSA_16discard_iteratorINSA_11use_defaultEEESK_EEENSH_IJSG_SG_EEES6_PlJ7is_evenIyEEEE10hipError_tPvRmT3_T4_T5_T6_T7_T9_mT8_P12ihipStream_tbDpT10_ENKUlT_T0_E_clISt17integral_constantIbLb1EES18_IbLb0EEEEDaS14_S15_EUlS14_E_NS1_11comp_targetILNS1_3genE4ELNS1_11target_archE910ELNS1_3gpuE8ELNS1_3repE0EEENS1_30default_config_static_selectorELNS0_4arch9wavefront6targetE1EEEvT1_: ; @_ZN7rocprim17ROCPRIM_400000_NS6detail17trampoline_kernelINS0_14default_configENS1_25partition_config_selectorILNS1_17partition_subalgoE0EyNS0_10empty_typeEbEEZZNS1_14partition_implILS5_0ELb0ES3_jN6thrust23THRUST_200600_302600_NS6detail15normal_iteratorINSA_10device_ptrIyEEEEPS6_SG_NS0_5tupleIJNSA_16discard_iteratorINSA_11use_defaultEEESK_EEENSH_IJSG_SG_EEES6_PlJ7is_evenIyEEEE10hipError_tPvRmT3_T4_T5_T6_T7_T9_mT8_P12ihipStream_tbDpT10_ENKUlT_T0_E_clISt17integral_constantIbLb1EES18_IbLb0EEEEDaS14_S15_EUlS14_E_NS1_11comp_targetILNS1_3genE4ELNS1_11target_archE910ELNS1_3gpuE8ELNS1_3repE0EEENS1_30default_config_static_selectorELNS0_4arch9wavefront6targetE1EEEvT1_
; %bb.0:
	s_load_dwordx2 s[8:9], s[4:5], 0x68
	s_load_dwordx4 s[0:3], s[4:5], 0x8
	s_load_dwordx4 s[20:23], s[4:5], 0x58
	s_load_dword s7, s[4:5], 0x80
	v_lshlrev_b32_e32 v1, 3, v0
	s_waitcnt lgkmcnt(0)
	v_mov_b32_e32 v3, s9
	s_lshl_b64 s[10:11], s[2:3], 3
	s_add_u32 s9, s0, s10
	s_mul_i32 s0, s7, 0x300
	s_addc_u32 s12, s1, s11
	s_add_i32 s1, s0, s2
	s_add_i32 s13, s7, -1
	s_sub_i32 s7, s8, s1
	s_add_u32 s0, s2, s0
	s_addc_u32 s1, s3, 0
	s_cmp_eq_u32 s6, s13
	v_mov_b32_e32 v2, s8
	s_load_dwordx2 s[18:19], s[22:23], 0x0
	s_cselect_b64 s[22:23], -1, 0
	s_cmp_lg_u32 s6, s13
	s_mul_i32 s10, s6, 0x300
	s_mov_b32 s11, 0
	v_cmp_lt_u64_e32 vcc, s[0:1], v[2:3]
	s_cselect_b64 s[0:1], -1, 0
	s_or_b64 s[0:1], s[0:1], vcc
	s_lshl_b64 s[2:3], s[10:11], 3
	s_add_u32 s8, s9, s2
	s_addc_u32 s9, s12, s3
	s_mov_b64 s[2:3], -1
	s_and_b64 vcc, exec, s[0:1]
	v_lshrrev_b32_e32 v10, 2, v0
	s_cbranch_vccz .LBB2317_2
; %bb.1:
	v_mov_b32_e32 v3, s9
	v_add_co_u32_e32 v2, vcc, s8, v1
	v_addc_co_u32_e32 v3, vcc, 0, v3, vcc
	v_add_co_u32_e32 v4, vcc, 0x1000, v2
	v_addc_co_u32_e32 v5, vcc, 0, v3, vcc
	flat_load_dwordx2 v[6:7], v[2:3]
	flat_load_dwordx2 v[8:9], v[2:3] offset:1536
	flat_load_dwordx2 v[12:13], v[2:3] offset:3072
	;; [unrolled: 1-line block ×3, first 2 shown]
	v_add_u32_e32 v3, 0xc0, v0
	v_add_u32_e32 v4, 0x180, v0
	;; [unrolled: 1-line block ×3, first 2 shown]
	v_and_b32_e32 v2, 56, v10
	v_lshrrev_b32_e32 v3, 2, v3
	v_lshrrev_b32_e32 v4, 2, v4
	;; [unrolled: 1-line block ×3, first 2 shown]
	v_add_u32_e32 v2, v2, v1
	v_and_b32_e32 v3, 0x78, v3
	v_and_b32_e32 v4, 0xf8, v4
	;; [unrolled: 1-line block ×3, first 2 shown]
	v_add_u32_e32 v3, v3, v1
	v_add_u32_e32 v4, v4, v1
	;; [unrolled: 1-line block ×3, first 2 shown]
	s_mov_b64 s[2:3], 0
	s_waitcnt vmcnt(0) lgkmcnt(0)
	ds_write_b64 v2, v[6:7]
	ds_write_b64 v3, v[8:9] offset:1536
	ds_write_b64 v4, v[12:13] offset:3072
	;; [unrolled: 1-line block ×3, first 2 shown]
	s_waitcnt lgkmcnt(0)
	s_barrier
.LBB2317_2:
	s_andn2_b64 vcc, exec, s[2:3]
	s_addk_i32 s7, 0x300
	s_cbranch_vccnz .LBB2317_12
; %bb.3:
	v_cmp_gt_u32_e32 vcc, s7, v0
                                        ; implicit-def: $vgpr2_vgpr3_vgpr4_vgpr5_vgpr6_vgpr7_vgpr8_vgpr9
	s_and_saveexec_b64 s[2:3], vcc
	s_cbranch_execz .LBB2317_5
; %bb.4:
	v_mov_b32_e32 v3, s9
	v_add_co_u32_e32 v2, vcc, s8, v1
	v_addc_co_u32_e32 v3, vcc, 0, v3, vcc
	flat_load_dwordx2 v[2:3], v[2:3]
.LBB2317_5:
	s_or_b64 exec, exec, s[2:3]
	v_add_u32_e32 v11, 0xc0, v0
	v_cmp_gt_u32_e32 vcc, s7, v11
	s_and_saveexec_b64 s[2:3], vcc
	s_cbranch_execz .LBB2317_7
; %bb.6:
	v_mov_b32_e32 v5, s9
	v_add_co_u32_e32 v4, vcc, s8, v1
	v_addc_co_u32_e32 v5, vcc, 0, v5, vcc
	flat_load_dwordx2 v[4:5], v[4:5] offset:1536
.LBB2317_7:
	s_or_b64 exec, exec, s[2:3]
	v_add_u32_e32 v12, 0x180, v0
	v_cmp_gt_u32_e32 vcc, s7, v12
	s_and_saveexec_b64 s[2:3], vcc
	s_cbranch_execz .LBB2317_9
; %bb.8:
	v_mov_b32_e32 v7, s9
	v_add_co_u32_e32 v6, vcc, s8, v1
	v_addc_co_u32_e32 v7, vcc, 0, v7, vcc
	flat_load_dwordx2 v[6:7], v[6:7] offset:3072
.LBB2317_9:
	s_or_b64 exec, exec, s[2:3]
	v_add_u32_e32 v13, 0x240, v0
	v_cmp_gt_u32_e32 vcc, s7, v13
	s_and_saveexec_b64 s[2:3], vcc
	s_cbranch_execz .LBB2317_11
; %bb.10:
	v_lshlrev_b32_e32 v8, 3, v13
	v_mov_b32_e32 v9, s9
	v_add_co_u32_e32 v8, vcc, s8, v8
	v_addc_co_u32_e32 v9, vcc, 0, v9, vcc
	flat_load_dwordx2 v[8:9], v[8:9]
.LBB2317_11:
	s_or_b64 exec, exec, s[2:3]
	v_and_b32_e32 v10, 56, v10
	v_add_u32_e32 v10, v10, v1
	s_waitcnt vmcnt(0) lgkmcnt(0)
	ds_write_b64 v10, v[2:3]
	v_lshrrev_b32_e32 v2, 2, v11
	v_and_b32_e32 v2, 0x78, v2
	v_add_u32_e32 v2, v2, v1
	ds_write_b64 v2, v[4:5] offset:1536
	v_lshrrev_b32_e32 v2, 2, v12
	v_and_b32_e32 v2, 0xf8, v2
	v_add_u32_e32 v2, v2, v1
	ds_write_b64 v2, v[6:7] offset:3072
	;; [unrolled: 4-line block ×3, first 2 shown]
	s_waitcnt lgkmcnt(0)
	s_barrier
.LBB2317_12:
	v_lshlrev_b32_e32 v1, 2, v0
	v_lshrrev_b32_e32 v2, 3, v0
	v_add_lshl_u32 v2, v2, v1, 3
	s_waitcnt lgkmcnt(0)
	ds_read2_b64 v[6:9], v2 offset1:1
	ds_read2_b64 v[2:5], v2 offset0:2 offset1:3
	s_andn2_b64 vcc, exec, s[0:1]
	s_waitcnt lgkmcnt(0)
	s_barrier
	v_xor_b32_e32 v13, -1, v6
	v_xor_b32_e32 v12, -1, v8
	;; [unrolled: 1-line block ×4, first 2 shown]
	s_cbranch_vccnz .LBB2317_14
; %bb.13:
	v_mov_b32_e32 v15, 1
	v_and_b32_e32 v14, 1, v13
	v_and_b32_sdwa v16, v12, v15 dst_sel:BYTE_1 dst_unused:UNUSED_PAD src0_sel:DWORD src1_sel:DWORD
	v_and_b32_e32 v17, 1, v11
	v_and_b32_sdwa v15, v10, v15 dst_sel:BYTE_1 dst_unused:UNUSED_PAD src0_sel:DWORD src1_sel:DWORD
	v_or_b32_e32 v14, v14, v16
	v_or_b32_sdwa v15, v17, v15 dst_sel:WORD_1 dst_unused:UNUSED_PAD src0_sel:DWORD src1_sel:DWORD
	v_or_b32_sdwa v20, v14, v15 dst_sel:DWORD dst_unused:UNUSED_PAD src0_sel:WORD_0 src1_sel:DWORD
	s_load_dwordx2 s[24:25], s[4:5], 0x78
	s_cbranch_execz .LBB2317_15
	s_branch .LBB2317_16
.LBB2317_14:
                                        ; implicit-def: $vgpr20
	s_load_dwordx2 s[24:25], s[4:5], 0x78
.LBB2317_15:
	v_cmp_gt_u32_e32 vcc, s7, v1
	v_cndmask_b32_e64 v14, 0, 1, vcc
	v_and_b32_e32 v13, v14, v13
	v_or_b32_e32 v14, 1, v1
	v_cmp_gt_u32_e32 vcc, s7, v14
	v_cndmask_b32_e64 v14, 0, 1, vcc
	v_and_b32_sdwa v12, v14, v12 dst_sel:BYTE_1 dst_unused:UNUSED_PAD src0_sel:DWORD src1_sel:DWORD
	v_or_b32_e32 v14, 2, v1
	v_cmp_gt_u32_e32 vcc, s7, v14
	v_cndmask_b32_e64 v14, 0, 1, vcc
	v_and_b32_e32 v11, v14, v11
	v_or_b32_e32 v14, 3, v1
	v_cmp_gt_u32_e32 vcc, s7, v14
	v_cndmask_b32_e64 v14, 0, 1, vcc
	v_and_b32_sdwa v10, v14, v10 dst_sel:BYTE_1 dst_unused:UNUSED_PAD src0_sel:DWORD src1_sel:DWORD
	v_or_b32_e32 v12, v13, v12
	v_or_b32_sdwa v10, v11, v10 dst_sel:WORD_1 dst_unused:UNUSED_PAD src0_sel:DWORD src1_sel:DWORD
	v_or_b32_sdwa v20, v12, v10 dst_sel:DWORD dst_unused:UNUSED_PAD src0_sel:WORD_0 src1_sel:DWORD
.LBB2317_16:
	v_bfe_u32 v22, v20, 16, 8
	v_lshrrev_b32_e32 v21, 24, v20
	v_add_u32_sdwa v10, v20, v20 dst_sel:DWORD dst_unused:UNUSED_PAD src0_sel:BYTE_1 src1_sel:BYTE_0
	v_add3_u32 v25, v10, v22, v21
	v_mbcnt_lo_u32_b32 v10, -1, 0
	v_mbcnt_hi_u32_b32 v23, -1, v10
	v_and_b32_e32 v10, 15, v23
	v_cmp_eq_u32_e64 s[12:13], 0, v10
	v_cmp_lt_u32_e64 s[10:11], 1, v10
	v_cmp_lt_u32_e64 s[8:9], 3, v10
	;; [unrolled: 1-line block ×3, first 2 shown]
	v_and_b32_e32 v10, 16, v23
	v_cmp_eq_u32_e64 s[2:3], 0, v10
	v_and_b32_e32 v10, 0xc0, v0
	v_min_u32_e32 v10, 0x80, v10
	v_or_b32_e32 v10, 63, v10
	s_cmp_lg_u32 s6, 0
	v_cmp_lt_u32_e64 s[0:1], 31, v23
	v_lshrrev_b32_e32 v24, 6, v0
	v_cmp_eq_u32_e64 s[4:5], v10, v0
	s_cbranch_scc0 .LBB2317_47
; %bb.17:
	v_mov_b32_dpp v10, v25 row_shr:1 row_mask:0xf bank_mask:0xf
	v_cndmask_b32_e64 v10, v10, 0, s[12:13]
	v_add_u32_e32 v10, v10, v25
	s_nop 1
	v_mov_b32_dpp v11, v10 row_shr:2 row_mask:0xf bank_mask:0xf
	v_cndmask_b32_e64 v11, 0, v11, s[10:11]
	v_add_u32_e32 v10, v10, v11
	s_nop 1
	;; [unrolled: 4-line block ×4, first 2 shown]
	v_mov_b32_dpp v11, v10 row_bcast:15 row_mask:0xf bank_mask:0xf
	v_cndmask_b32_e64 v11, v11, 0, s[2:3]
	v_add_u32_e32 v10, v10, v11
	s_nop 1
	v_mov_b32_dpp v11, v10 row_bcast:31 row_mask:0xf bank_mask:0xf
	v_cndmask_b32_e64 v11, 0, v11, s[0:1]
	v_add_u32_e32 v10, v10, v11
	s_and_saveexec_b64 s[14:15], s[4:5]
	s_cbranch_execz .LBB2317_19
; %bb.18:
	v_lshlrev_b32_e32 v11, 2, v24
	ds_write_b32 v11, v10
.LBB2317_19:
	s_or_b64 exec, exec, s[14:15]
	v_cmp_gt_u32_e32 vcc, 3, v0
	s_waitcnt lgkmcnt(0)
	s_barrier
	s_and_saveexec_b64 s[14:15], vcc
	s_cbranch_execz .LBB2317_21
; %bb.20:
	ds_read_b32 v11, v1
	v_and_b32_e32 v12, 3, v23
	v_cmp_ne_u32_e32 vcc, 0, v12
	s_waitcnt lgkmcnt(0)
	v_mov_b32_dpp v13, v11 row_shr:1 row_mask:0xf bank_mask:0xf
	v_cndmask_b32_e32 v13, 0, v13, vcc
	v_add_u32_e32 v11, v13, v11
	v_cmp_lt_u32_e32 vcc, 1, v12
	s_nop 0
	v_mov_b32_dpp v13, v11 row_shr:2 row_mask:0xf bank_mask:0xf
	v_cndmask_b32_e32 v12, 0, v13, vcc
	v_add_u32_e32 v11, v11, v12
	ds_write_b32 v1, v11
.LBB2317_21:
	s_or_b64 exec, exec, s[14:15]
	v_cmp_gt_u32_e32 vcc, 64, v0
	v_cmp_lt_u32_e64 s[14:15], 63, v0
	s_waitcnt lgkmcnt(0)
	s_barrier
	s_waitcnt lgkmcnt(0)
                                        ; implicit-def: $vgpr26
	s_and_saveexec_b64 s[26:27], s[14:15]
	s_cbranch_execz .LBB2317_23
; %bb.22:
	v_lshl_add_u32 v11, v24, 2, -4
	ds_read_b32 v26, v11
	s_waitcnt lgkmcnt(0)
	v_add_u32_e32 v10, v26, v10
.LBB2317_23:
	s_or_b64 exec, exec, s[26:27]
	v_add_u32_e32 v11, -1, v23
	v_and_b32_e32 v12, 64, v23
	v_cmp_lt_i32_e64 s[14:15], v11, v12
	v_cndmask_b32_e64 v11, v11, v23, s[14:15]
	v_lshlrev_b32_e32 v11, 2, v11
	ds_bpermute_b32 v27, v11, v10
	v_cmp_eq_u32_e64 s[14:15], 0, v23
	s_and_saveexec_b64 s[26:27], vcc
	s_cbranch_execz .LBB2317_46
; %bb.24:
	v_mov_b32_e32 v19, 0
	ds_read_b32 v10, v19 offset:8
	s_and_saveexec_b64 s[28:29], s[14:15]
	s_cbranch_execz .LBB2317_26
; %bb.25:
	s_add_i32 s30, s6, 64
	s_mov_b32 s31, 0
	s_lshl_b64 s[30:31], s[30:31], 3
	s_add_u32 s30, s24, s30
	v_mov_b32_e32 v11, 1
	s_addc_u32 s31, s25, s31
	s_waitcnt lgkmcnt(0)
	global_store_dwordx2 v19, v[10:11], s[30:31]
.LBB2317_26:
	s_or_b64 exec, exec, s[28:29]
	v_xad_u32 v12, v23, -1, s6
	v_add_u32_e32 v18, 64, v12
	v_lshlrev_b64 v[14:15], 3, v[18:19]
	v_mov_b32_e32 v11, s25
	v_add_co_u32_e32 v14, vcc, s24, v14
	v_addc_co_u32_e32 v15, vcc, v11, v15, vcc
	global_load_dwordx2 v[16:17], v[14:15], off glc
	s_waitcnt vmcnt(0)
	v_cmp_eq_u16_sdwa s[30:31], v17, v19 src0_sel:BYTE_0 src1_sel:DWORD
	s_and_saveexec_b64 s[28:29], s[30:31]
	s_cbranch_execz .LBB2317_32
; %bb.27:
	s_mov_b32 s7, 1
	s_mov_b64 s[30:31], 0
	v_mov_b32_e32 v11, 0
.LBB2317_28:                            ; =>This Loop Header: Depth=1
                                        ;     Child Loop BB2317_29 Depth 2
	s_max_u32 s33, s7, 1
.LBB2317_29:                            ;   Parent Loop BB2317_28 Depth=1
                                        ; =>  This Inner Loop Header: Depth=2
	s_add_i32 s33, s33, -1
	s_cmp_eq_u32 s33, 0
	s_sleep 1
	s_cbranch_scc0 .LBB2317_29
; %bb.30:                               ;   in Loop: Header=BB2317_28 Depth=1
	global_load_dwordx2 v[16:17], v[14:15], off glc
	s_cmp_lt_u32 s7, 32
	s_cselect_b64 s[34:35], -1, 0
	s_cmp_lg_u64 s[34:35], 0
	s_addc_u32 s7, s7, 0
	s_waitcnt vmcnt(0)
	v_cmp_ne_u16_sdwa s[34:35], v17, v11 src0_sel:BYTE_0 src1_sel:DWORD
	s_or_b64 s[30:31], s[34:35], s[30:31]
	s_andn2_b64 exec, exec, s[30:31]
	s_cbranch_execnz .LBB2317_28
; %bb.31:
	s_or_b64 exec, exec, s[30:31]
.LBB2317_32:
	s_or_b64 exec, exec, s[28:29]
	v_and_b32_e32 v29, 63, v23
	v_mov_b32_e32 v28, 2
	v_cmp_ne_u32_e32 vcc, 63, v29
	v_cmp_eq_u16_sdwa s[28:29], v17, v28 src0_sel:BYTE_0 src1_sel:DWORD
	v_lshlrev_b64 v[14:15], v23, -1
	v_addc_co_u32_e32 v18, vcc, 0, v23, vcc
	v_and_b32_e32 v11, s29, v15
	v_lshlrev_b32_e32 v30, 2, v18
	v_or_b32_e32 v11, 0x80000000, v11
	ds_bpermute_b32 v18, v30, v16
	v_and_b32_e32 v13, s28, v14
	v_ffbl_b32_e32 v11, v11
	v_add_u32_e32 v11, 32, v11
	v_ffbl_b32_e32 v13, v13
	v_min_u32_e32 v11, v13, v11
	v_cmp_lt_u32_e32 vcc, v29, v11
	s_waitcnt lgkmcnt(0)
	v_cndmask_b32_e32 v13, 0, v18, vcc
	v_cmp_gt_u32_e32 vcc, 62, v29
	v_add_u32_e32 v13, v13, v16
	v_cndmask_b32_e64 v16, 0, 1, vcc
	v_lshlrev_b32_e32 v16, 1, v16
	v_add_lshl_u32 v31, v16, v23, 2
	ds_bpermute_b32 v16, v31, v13
	v_add_u32_e32 v32, 2, v29
	v_cmp_le_u32_e32 vcc, v32, v11
	v_add_u32_e32 v34, 4, v29
	v_add_u32_e32 v36, 8, v29
	s_waitcnt lgkmcnt(0)
	v_cndmask_b32_e32 v16, 0, v16, vcc
	v_cmp_gt_u32_e32 vcc, 60, v29
	v_add_u32_e32 v13, v13, v16
	v_cndmask_b32_e64 v16, 0, 1, vcc
	v_lshlrev_b32_e32 v16, 2, v16
	v_add_lshl_u32 v33, v16, v23, 2
	ds_bpermute_b32 v16, v33, v13
	v_cmp_le_u32_e32 vcc, v34, v11
	v_add_u32_e32 v38, 16, v29
	v_add_u32_e32 v40, 32, v29
	s_waitcnt lgkmcnt(0)
	v_cndmask_b32_e32 v16, 0, v16, vcc
	v_cmp_gt_u32_e32 vcc, 56, v29
	v_add_u32_e32 v13, v13, v16
	v_cndmask_b32_e64 v16, 0, 1, vcc
	v_lshlrev_b32_e32 v16, 3, v16
	v_add_lshl_u32 v35, v16, v23, 2
	ds_bpermute_b32 v16, v35, v13
	v_cmp_le_u32_e32 vcc, v36, v11
	s_waitcnt lgkmcnt(0)
	v_cndmask_b32_e32 v16, 0, v16, vcc
	v_cmp_gt_u32_e32 vcc, 48, v29
	v_add_u32_e32 v13, v13, v16
	v_cndmask_b32_e64 v16, 0, 1, vcc
	v_lshlrev_b32_e32 v16, 4, v16
	v_add_lshl_u32 v37, v16, v23, 2
	ds_bpermute_b32 v16, v37, v13
	v_cmp_le_u32_e32 vcc, v38, v11
	;; [unrolled: 9-line block ×3, first 2 shown]
	s_waitcnt lgkmcnt(0)
	v_cndmask_b32_e32 v11, 0, v16, vcc
	v_add_u32_e32 v16, v13, v11
	v_mov_b32_e32 v13, 0
	s_branch .LBB2317_34
.LBB2317_33:                            ;   in Loop: Header=BB2317_34 Depth=1
	s_or_b64 exec, exec, s[28:29]
	v_cmp_eq_u16_sdwa s[28:29], v17, v28 src0_sel:BYTE_0 src1_sel:DWORD
	v_and_b32_e32 v18, s29, v15
	v_or_b32_e32 v18, 0x80000000, v18
	ds_bpermute_b32 v41, v30, v16
	v_and_b32_e32 v19, s28, v14
	v_ffbl_b32_e32 v18, v18
	v_add_u32_e32 v18, 32, v18
	v_ffbl_b32_e32 v19, v19
	v_min_u32_e32 v18, v19, v18
	v_cmp_lt_u32_e32 vcc, v29, v18
	s_waitcnt lgkmcnt(0)
	v_cndmask_b32_e32 v19, 0, v41, vcc
	v_add_u32_e32 v16, v19, v16
	ds_bpermute_b32 v19, v31, v16
	v_cmp_le_u32_e32 vcc, v32, v18
	v_subrev_u32_e32 v12, 64, v12
	s_waitcnt lgkmcnt(0)
	v_cndmask_b32_e32 v19, 0, v19, vcc
	v_add_u32_e32 v16, v16, v19
	ds_bpermute_b32 v19, v33, v16
	v_cmp_le_u32_e32 vcc, v34, v18
	s_waitcnt lgkmcnt(0)
	v_cndmask_b32_e32 v19, 0, v19, vcc
	v_add_u32_e32 v16, v16, v19
	ds_bpermute_b32 v19, v35, v16
	v_cmp_le_u32_e32 vcc, v36, v18
	;; [unrolled: 5-line block ×4, first 2 shown]
	s_waitcnt lgkmcnt(0)
	v_cndmask_b32_e32 v18, 0, v19, vcc
	v_add3_u32 v16, v18, v11, v16
.LBB2317_34:                            ; =>This Loop Header: Depth=1
                                        ;     Child Loop BB2317_37 Depth 2
                                        ;       Child Loop BB2317_38 Depth 3
	v_cmp_ne_u16_sdwa s[28:29], v17, v28 src0_sel:BYTE_0 src1_sel:DWORD
	v_cndmask_b32_e64 v11, 0, 1, s[28:29]
	;;#ASMSTART
	;;#ASMEND
	v_cmp_ne_u32_e32 vcc, 0, v11
	s_cmp_lg_u64 vcc, exec
	v_mov_b32_e32 v11, v16
	s_cbranch_scc1 .LBB2317_41
; %bb.35:                               ;   in Loop: Header=BB2317_34 Depth=1
	v_lshlrev_b64 v[16:17], 3, v[12:13]
	v_mov_b32_e32 v19, s25
	v_add_co_u32_e32 v18, vcc, s24, v16
	v_addc_co_u32_e32 v19, vcc, v19, v17, vcc
	global_load_dwordx2 v[16:17], v[18:19], off glc
	s_waitcnt vmcnt(0)
	v_cmp_eq_u16_sdwa s[30:31], v17, v13 src0_sel:BYTE_0 src1_sel:DWORD
	s_and_saveexec_b64 s[28:29], s[30:31]
	s_cbranch_execz .LBB2317_33
; %bb.36:                               ;   in Loop: Header=BB2317_34 Depth=1
	s_mov_b32 s7, 1
	s_mov_b64 s[30:31], 0
.LBB2317_37:                            ;   Parent Loop BB2317_34 Depth=1
                                        ; =>  This Loop Header: Depth=2
                                        ;       Child Loop BB2317_38 Depth 3
	s_max_u32 s33, s7, 1
.LBB2317_38:                            ;   Parent Loop BB2317_34 Depth=1
                                        ;     Parent Loop BB2317_37 Depth=2
                                        ; =>    This Inner Loop Header: Depth=3
	s_add_i32 s33, s33, -1
	s_cmp_eq_u32 s33, 0
	s_sleep 1
	s_cbranch_scc0 .LBB2317_38
; %bb.39:                               ;   in Loop: Header=BB2317_37 Depth=2
	global_load_dwordx2 v[16:17], v[18:19], off glc
	s_cmp_lt_u32 s7, 32
	s_cselect_b64 s[34:35], -1, 0
	s_cmp_lg_u64 s[34:35], 0
	s_addc_u32 s7, s7, 0
	s_waitcnt vmcnt(0)
	v_cmp_ne_u16_sdwa s[34:35], v17, v13 src0_sel:BYTE_0 src1_sel:DWORD
	s_or_b64 s[30:31], s[34:35], s[30:31]
	s_andn2_b64 exec, exec, s[30:31]
	s_cbranch_execnz .LBB2317_37
; %bb.40:                               ;   in Loop: Header=BB2317_34 Depth=1
	s_or_b64 exec, exec, s[30:31]
	s_branch .LBB2317_33
.LBB2317_41:                            ;   in Loop: Header=BB2317_34 Depth=1
                                        ; implicit-def: $vgpr16
                                        ; implicit-def: $vgpr17
	s_cbranch_execz .LBB2317_34
; %bb.42:
	s_and_saveexec_b64 s[28:29], s[14:15]
	s_cbranch_execz .LBB2317_44
; %bb.43:
	s_add_i32 s6, s6, 64
	s_mov_b32 s7, 0
	s_lshl_b64 s[6:7], s[6:7], 3
	s_add_u32 s6, s24, s6
	v_add_u32_e32 v12, v11, v10
	v_mov_b32_e32 v13, 2
	s_addc_u32 s7, s25, s7
	v_mov_b32_e32 v14, 0
	global_store_dwordx2 v14, v[12:13], s[6:7]
	ds_write_b64 v14, v[10:11] offset:6336
.LBB2317_44:
	s_or_b64 exec, exec, s[28:29]
	v_cmp_eq_u32_e32 vcc, 0, v0
	s_and_b64 exec, exec, vcc
	s_cbranch_execz .LBB2317_46
; %bb.45:
	v_mov_b32_e32 v10, 0
	ds_write_b32 v10, v11 offset:8
.LBB2317_46:
	s_or_b64 exec, exec, s[26:27]
	v_mov_b32_e32 v10, 0
	s_waitcnt lgkmcnt(0)
	s_barrier
	ds_read_b32 v11, v10 offset:8
	v_cndmask_b32_e64 v12, v27, v26, s[14:15]
	v_cmp_ne_u32_e32 vcc, 0, v0
	v_cndmask_b32_e32 v12, 0, v12, vcc
	s_waitcnt lgkmcnt(0)
	v_add_u32_e32 v14, v11, v12
	s_barrier
	ds_read_b64 v[10:11], v10 offset:6336
	v_add_u32_sdwa v15, v14, v20 dst_sel:DWORD dst_unused:UNUSED_PAD src0_sel:DWORD src1_sel:BYTE_0
	v_add_u32_sdwa v13, v15, v20 dst_sel:DWORD dst_unused:UNUSED_PAD src0_sel:DWORD src1_sel:BYTE_1
	v_add_u32_e32 v12, v13, v22
	s_branch .LBB2317_57
.LBB2317_47:
                                        ; implicit-def: $vgpr11
                                        ; implicit-def: $vgpr12
                                        ; implicit-def: $vgpr13
                                        ; implicit-def: $vgpr15
                                        ; implicit-def: $vgpr14
	s_cbranch_execz .LBB2317_57
; %bb.48:
	s_waitcnt lgkmcnt(0)
	v_mov_b32_dpp v10, v25 row_shr:1 row_mask:0xf bank_mask:0xf
	v_cndmask_b32_e64 v10, v10, 0, s[12:13]
	v_add_u32_e32 v10, v10, v25
	s_nop 1
	v_mov_b32_dpp v11, v10 row_shr:2 row_mask:0xf bank_mask:0xf
	v_cndmask_b32_e64 v11, 0, v11, s[10:11]
	v_add_u32_e32 v10, v10, v11
	s_nop 1
	v_mov_b32_dpp v11, v10 row_shr:4 row_mask:0xf bank_mask:0xf
	v_cndmask_b32_e64 v11, 0, v11, s[8:9]
	v_add_u32_e32 v10, v10, v11
	s_nop 1
	v_mov_b32_dpp v11, v10 row_shr:8 row_mask:0xf bank_mask:0xf
	v_cndmask_b32_e64 v11, 0, v11, s[16:17]
	v_add_u32_e32 v10, v10, v11
	s_nop 1
	v_mov_b32_dpp v11, v10 row_bcast:15 row_mask:0xf bank_mask:0xf
	v_cndmask_b32_e64 v11, v11, 0, s[2:3]
	v_add_u32_e32 v10, v10, v11
	s_nop 1
	v_mov_b32_dpp v11, v10 row_bcast:31 row_mask:0xf bank_mask:0xf
	v_cndmask_b32_e64 v11, 0, v11, s[0:1]
	v_add_u32_e32 v10, v10, v11
	s_and_saveexec_b64 s[0:1], s[4:5]
	s_cbranch_execz .LBB2317_50
; %bb.49:
	v_lshlrev_b32_e32 v11, 2, v24
	ds_write_b32 v11, v10
.LBB2317_50:
	s_or_b64 exec, exec, s[0:1]
	v_cmp_gt_u32_e32 vcc, 3, v0
	s_waitcnt lgkmcnt(0)
	s_barrier
	s_and_saveexec_b64 s[0:1], vcc
	s_cbranch_execz .LBB2317_52
; %bb.51:
	ds_read_b32 v11, v1
	v_and_b32_e32 v12, 3, v23
	v_cmp_ne_u32_e32 vcc, 0, v12
	s_waitcnt lgkmcnt(0)
	v_mov_b32_dpp v13, v11 row_shr:1 row_mask:0xf bank_mask:0xf
	v_cndmask_b32_e32 v13, 0, v13, vcc
	v_add_u32_e32 v11, v13, v11
	v_cmp_lt_u32_e32 vcc, 1, v12
	s_nop 0
	v_mov_b32_dpp v13, v11 row_shr:2 row_mask:0xf bank_mask:0xf
	v_cndmask_b32_e32 v12, 0, v13, vcc
	v_add_u32_e32 v11, v11, v12
	ds_write_b32 v1, v11
.LBB2317_52:
	s_or_b64 exec, exec, s[0:1]
	v_cmp_lt_u32_e32 vcc, 63, v0
	v_mov_b32_e32 v11, 0
	v_mov_b32_e32 v12, 0
	s_waitcnt lgkmcnt(0)
	s_barrier
	s_and_saveexec_b64 s[0:1], vcc
	s_cbranch_execz .LBB2317_54
; %bb.53:
	v_lshl_add_u32 v12, v24, 2, -4
	ds_read_b32 v12, v12
.LBB2317_54:
	s_or_b64 exec, exec, s[0:1]
	v_add_u32_e32 v13, -1, v23
	v_and_b32_e32 v14, 64, v23
	v_cmp_lt_i32_e32 vcc, v13, v14
	v_cndmask_b32_e32 v13, v13, v23, vcc
	s_waitcnt lgkmcnt(0)
	v_add_u32_e32 v10, v12, v10
	v_lshlrev_b32_e32 v13, 2, v13
	ds_bpermute_b32 v13, v13, v10
	ds_read_b32 v10, v11 offset:8
	v_cmp_eq_u32_e32 vcc, 0, v0
	s_and_saveexec_b64 s[0:1], vcc
	s_cbranch_execz .LBB2317_56
; %bb.55:
	v_mov_b32_e32 v14, 0
	v_mov_b32_e32 v11, 2
	s_waitcnt lgkmcnt(0)
	global_store_dwordx2 v14, v[10:11], s[24:25] offset:512
.LBB2317_56:
	s_or_b64 exec, exec, s[0:1]
	v_cmp_eq_u32_e64 s[0:1], 0, v23
	s_waitcnt lgkmcnt(1)
	v_cndmask_b32_e64 v12, v13, v12, s[0:1]
	v_cndmask_b32_e64 v14, v12, 0, vcc
	v_add_u32_sdwa v15, v14, v20 dst_sel:DWORD dst_unused:UNUSED_PAD src0_sel:DWORD src1_sel:BYTE_0
	v_add_u32_sdwa v13, v15, v20 dst_sel:DWORD dst_unused:UNUSED_PAD src0_sel:DWORD src1_sel:BYTE_1
	v_mov_b32_e32 v11, 0
	v_add_u32_e32 v12, v13, v22
	s_waitcnt lgkmcnt(0)
	s_barrier
.LBB2317_57:
	s_waitcnt lgkmcnt(0)
	v_add_u32_e32 v1, v10, v1
	v_sub_u32_e32 v14, v14, v11
	v_and_b32_e32 v18, 1, v20
	v_sub_u32_e32 v17, v1, v14
	v_cmp_eq_u32_e32 vcc, 1, v18
	v_cndmask_b32_e32 v14, v17, v14, vcc
	v_lshlrev_b32_e32 v14, 3, v14
	v_lshrrev_b32_e32 v16, 8, v20
	ds_write_b64 v14, v[6:7]
	v_sub_u32_e32 v6, v15, v11
	v_sub_u32_e32 v7, v1, v6
	v_and_b32_e32 v14, 1, v16
	v_add_u32_e32 v7, 1, v7
	v_cmp_eq_u32_e32 vcc, 1, v14
	v_cndmask_b32_e32 v6, v7, v6, vcc
	v_lshlrev_b32_e32 v6, 3, v6
	ds_write_b64 v6, v[8:9]
	v_sub_u32_e32 v6, v13, v11
	v_mov_b32_e32 v8, 1
	v_sub_u32_e32 v7, v1, v6
	v_and_b32_sdwa v8, v8, v20 dst_sel:DWORD dst_unused:UNUSED_PAD src0_sel:DWORD src1_sel:WORD_1
	v_add_u32_e32 v7, 2, v7
	v_cmp_eq_u32_e32 vcc, 1, v8
	v_cndmask_b32_e32 v6, v7, v6, vcc
	v_lshlrev_b32_e32 v6, 3, v6
	ds_write_b64 v6, v[2:3]
	v_sub_u32_e32 v2, v12, v11
	v_sub_u32_e32 v1, v1, v2
	v_and_b32_e32 v3, 1, v21
	v_add_u32_e32 v1, 3, v1
	v_cmp_eq_u32_e32 vcc, 1, v3
	v_cndmask_b32_e32 v1, v1, v2, vcc
	v_cmp_eq_u32_e32 vcc, 0, v0
	v_lshlrev_b32_e32 v1, 3, v1
	s_and_b64 s[0:1], vcc, s[22:23]
	ds_write_b64 v1, v[4:5]
	s_waitcnt lgkmcnt(0)
	s_barrier
	s_and_saveexec_b64 s[2:3], s[0:1]
	s_cbranch_execz .LBB2317_59
; %bb.58:
	v_mov_b32_e32 v0, s19
	v_add_co_u32_e32 v1, vcc, s18, v10
	v_addc_co_u32_e32 v3, vcc, 0, v0, vcc
	v_add_co_u32_e32 v0, vcc, v1, v11
	v_mov_b32_e32 v2, 0
	v_addc_co_u32_e32 v1, vcc, 0, v3, vcc
	global_store_dwordx2 v2, v[0:1], s[20:21]
.LBB2317_59:
	s_endpgm
	.section	.rodata,"a",@progbits
	.p2align	6, 0x0
	.amdhsa_kernel _ZN7rocprim17ROCPRIM_400000_NS6detail17trampoline_kernelINS0_14default_configENS1_25partition_config_selectorILNS1_17partition_subalgoE0EyNS0_10empty_typeEbEEZZNS1_14partition_implILS5_0ELb0ES3_jN6thrust23THRUST_200600_302600_NS6detail15normal_iteratorINSA_10device_ptrIyEEEEPS6_SG_NS0_5tupleIJNSA_16discard_iteratorINSA_11use_defaultEEESK_EEENSH_IJSG_SG_EEES6_PlJ7is_evenIyEEEE10hipError_tPvRmT3_T4_T5_T6_T7_T9_mT8_P12ihipStream_tbDpT10_ENKUlT_T0_E_clISt17integral_constantIbLb1EES18_IbLb0EEEEDaS14_S15_EUlS14_E_NS1_11comp_targetILNS1_3genE4ELNS1_11target_archE910ELNS1_3gpuE8ELNS1_3repE0EEENS1_30default_config_static_selectorELNS0_4arch9wavefront6targetE1EEEvT1_
		.amdhsa_group_segment_fixed_size 6344
		.amdhsa_private_segment_fixed_size 0
		.amdhsa_kernarg_size 136
		.amdhsa_user_sgpr_count 6
		.amdhsa_user_sgpr_private_segment_buffer 1
		.amdhsa_user_sgpr_dispatch_ptr 0
		.amdhsa_user_sgpr_queue_ptr 0
		.amdhsa_user_sgpr_kernarg_segment_ptr 1
		.amdhsa_user_sgpr_dispatch_id 0
		.amdhsa_user_sgpr_flat_scratch_init 0
		.amdhsa_user_sgpr_kernarg_preload_length 0
		.amdhsa_user_sgpr_kernarg_preload_offset 0
		.amdhsa_user_sgpr_private_segment_size 0
		.amdhsa_uses_dynamic_stack 0
		.amdhsa_system_sgpr_private_segment_wavefront_offset 0
		.amdhsa_system_sgpr_workgroup_id_x 1
		.amdhsa_system_sgpr_workgroup_id_y 0
		.amdhsa_system_sgpr_workgroup_id_z 0
		.amdhsa_system_sgpr_workgroup_info 0
		.amdhsa_system_vgpr_workitem_id 0
		.amdhsa_next_free_vgpr 42
		.amdhsa_next_free_sgpr 36
		.amdhsa_accum_offset 44
		.amdhsa_reserve_vcc 1
		.amdhsa_reserve_flat_scratch 0
		.amdhsa_float_round_mode_32 0
		.amdhsa_float_round_mode_16_64 0
		.amdhsa_float_denorm_mode_32 3
		.amdhsa_float_denorm_mode_16_64 3
		.amdhsa_dx10_clamp 1
		.amdhsa_ieee_mode 1
		.amdhsa_fp16_overflow 0
		.amdhsa_tg_split 0
		.amdhsa_exception_fp_ieee_invalid_op 0
		.amdhsa_exception_fp_denorm_src 0
		.amdhsa_exception_fp_ieee_div_zero 0
		.amdhsa_exception_fp_ieee_overflow 0
		.amdhsa_exception_fp_ieee_underflow 0
		.amdhsa_exception_fp_ieee_inexact 0
		.amdhsa_exception_int_div_zero 0
	.end_amdhsa_kernel
	.section	.text._ZN7rocprim17ROCPRIM_400000_NS6detail17trampoline_kernelINS0_14default_configENS1_25partition_config_selectorILNS1_17partition_subalgoE0EyNS0_10empty_typeEbEEZZNS1_14partition_implILS5_0ELb0ES3_jN6thrust23THRUST_200600_302600_NS6detail15normal_iteratorINSA_10device_ptrIyEEEEPS6_SG_NS0_5tupleIJNSA_16discard_iteratorINSA_11use_defaultEEESK_EEENSH_IJSG_SG_EEES6_PlJ7is_evenIyEEEE10hipError_tPvRmT3_T4_T5_T6_T7_T9_mT8_P12ihipStream_tbDpT10_ENKUlT_T0_E_clISt17integral_constantIbLb1EES18_IbLb0EEEEDaS14_S15_EUlS14_E_NS1_11comp_targetILNS1_3genE4ELNS1_11target_archE910ELNS1_3gpuE8ELNS1_3repE0EEENS1_30default_config_static_selectorELNS0_4arch9wavefront6targetE1EEEvT1_,"axG",@progbits,_ZN7rocprim17ROCPRIM_400000_NS6detail17trampoline_kernelINS0_14default_configENS1_25partition_config_selectorILNS1_17partition_subalgoE0EyNS0_10empty_typeEbEEZZNS1_14partition_implILS5_0ELb0ES3_jN6thrust23THRUST_200600_302600_NS6detail15normal_iteratorINSA_10device_ptrIyEEEEPS6_SG_NS0_5tupleIJNSA_16discard_iteratorINSA_11use_defaultEEESK_EEENSH_IJSG_SG_EEES6_PlJ7is_evenIyEEEE10hipError_tPvRmT3_T4_T5_T6_T7_T9_mT8_P12ihipStream_tbDpT10_ENKUlT_T0_E_clISt17integral_constantIbLb1EES18_IbLb0EEEEDaS14_S15_EUlS14_E_NS1_11comp_targetILNS1_3genE4ELNS1_11target_archE910ELNS1_3gpuE8ELNS1_3repE0EEENS1_30default_config_static_selectorELNS0_4arch9wavefront6targetE1EEEvT1_,comdat
.Lfunc_end2317:
	.size	_ZN7rocprim17ROCPRIM_400000_NS6detail17trampoline_kernelINS0_14default_configENS1_25partition_config_selectorILNS1_17partition_subalgoE0EyNS0_10empty_typeEbEEZZNS1_14partition_implILS5_0ELb0ES3_jN6thrust23THRUST_200600_302600_NS6detail15normal_iteratorINSA_10device_ptrIyEEEEPS6_SG_NS0_5tupleIJNSA_16discard_iteratorINSA_11use_defaultEEESK_EEENSH_IJSG_SG_EEES6_PlJ7is_evenIyEEEE10hipError_tPvRmT3_T4_T5_T6_T7_T9_mT8_P12ihipStream_tbDpT10_ENKUlT_T0_E_clISt17integral_constantIbLb1EES18_IbLb0EEEEDaS14_S15_EUlS14_E_NS1_11comp_targetILNS1_3genE4ELNS1_11target_archE910ELNS1_3gpuE8ELNS1_3repE0EEENS1_30default_config_static_selectorELNS0_4arch9wavefront6targetE1EEEvT1_, .Lfunc_end2317-_ZN7rocprim17ROCPRIM_400000_NS6detail17trampoline_kernelINS0_14default_configENS1_25partition_config_selectorILNS1_17partition_subalgoE0EyNS0_10empty_typeEbEEZZNS1_14partition_implILS5_0ELb0ES3_jN6thrust23THRUST_200600_302600_NS6detail15normal_iteratorINSA_10device_ptrIyEEEEPS6_SG_NS0_5tupleIJNSA_16discard_iteratorINSA_11use_defaultEEESK_EEENSH_IJSG_SG_EEES6_PlJ7is_evenIyEEEE10hipError_tPvRmT3_T4_T5_T6_T7_T9_mT8_P12ihipStream_tbDpT10_ENKUlT_T0_E_clISt17integral_constantIbLb1EES18_IbLb0EEEEDaS14_S15_EUlS14_E_NS1_11comp_targetILNS1_3genE4ELNS1_11target_archE910ELNS1_3gpuE8ELNS1_3repE0EEENS1_30default_config_static_selectorELNS0_4arch9wavefront6targetE1EEEvT1_
                                        ; -- End function
	.section	.AMDGPU.csdata,"",@progbits
; Kernel info:
; codeLenInByte = 3152
; NumSgprs: 40
; NumVgprs: 42
; NumAgprs: 0
; TotalNumVgprs: 42
; ScratchSize: 0
; MemoryBound: 0
; FloatMode: 240
; IeeeMode: 1
; LDSByteSize: 6344 bytes/workgroup (compile time only)
; SGPRBlocks: 4
; VGPRBlocks: 5
; NumSGPRsForWavesPerEU: 40
; NumVGPRsForWavesPerEU: 42
; AccumOffset: 44
; Occupancy: 8
; WaveLimiterHint : 1
; COMPUTE_PGM_RSRC2:SCRATCH_EN: 0
; COMPUTE_PGM_RSRC2:USER_SGPR: 6
; COMPUTE_PGM_RSRC2:TRAP_HANDLER: 0
; COMPUTE_PGM_RSRC2:TGID_X_EN: 1
; COMPUTE_PGM_RSRC2:TGID_Y_EN: 0
; COMPUTE_PGM_RSRC2:TGID_Z_EN: 0
; COMPUTE_PGM_RSRC2:TIDIG_COMP_CNT: 0
; COMPUTE_PGM_RSRC3_GFX90A:ACCUM_OFFSET: 10
; COMPUTE_PGM_RSRC3_GFX90A:TG_SPLIT: 0
	.section	.text._ZN7rocprim17ROCPRIM_400000_NS6detail17trampoline_kernelINS0_14default_configENS1_25partition_config_selectorILNS1_17partition_subalgoE0EyNS0_10empty_typeEbEEZZNS1_14partition_implILS5_0ELb0ES3_jN6thrust23THRUST_200600_302600_NS6detail15normal_iteratorINSA_10device_ptrIyEEEEPS6_SG_NS0_5tupleIJNSA_16discard_iteratorINSA_11use_defaultEEESK_EEENSH_IJSG_SG_EEES6_PlJ7is_evenIyEEEE10hipError_tPvRmT3_T4_T5_T6_T7_T9_mT8_P12ihipStream_tbDpT10_ENKUlT_T0_E_clISt17integral_constantIbLb1EES18_IbLb0EEEEDaS14_S15_EUlS14_E_NS1_11comp_targetILNS1_3genE3ELNS1_11target_archE908ELNS1_3gpuE7ELNS1_3repE0EEENS1_30default_config_static_selectorELNS0_4arch9wavefront6targetE1EEEvT1_,"axG",@progbits,_ZN7rocprim17ROCPRIM_400000_NS6detail17trampoline_kernelINS0_14default_configENS1_25partition_config_selectorILNS1_17partition_subalgoE0EyNS0_10empty_typeEbEEZZNS1_14partition_implILS5_0ELb0ES3_jN6thrust23THRUST_200600_302600_NS6detail15normal_iteratorINSA_10device_ptrIyEEEEPS6_SG_NS0_5tupleIJNSA_16discard_iteratorINSA_11use_defaultEEESK_EEENSH_IJSG_SG_EEES6_PlJ7is_evenIyEEEE10hipError_tPvRmT3_T4_T5_T6_T7_T9_mT8_P12ihipStream_tbDpT10_ENKUlT_T0_E_clISt17integral_constantIbLb1EES18_IbLb0EEEEDaS14_S15_EUlS14_E_NS1_11comp_targetILNS1_3genE3ELNS1_11target_archE908ELNS1_3gpuE7ELNS1_3repE0EEENS1_30default_config_static_selectorELNS0_4arch9wavefront6targetE1EEEvT1_,comdat
	.protected	_ZN7rocprim17ROCPRIM_400000_NS6detail17trampoline_kernelINS0_14default_configENS1_25partition_config_selectorILNS1_17partition_subalgoE0EyNS0_10empty_typeEbEEZZNS1_14partition_implILS5_0ELb0ES3_jN6thrust23THRUST_200600_302600_NS6detail15normal_iteratorINSA_10device_ptrIyEEEEPS6_SG_NS0_5tupleIJNSA_16discard_iteratorINSA_11use_defaultEEESK_EEENSH_IJSG_SG_EEES6_PlJ7is_evenIyEEEE10hipError_tPvRmT3_T4_T5_T6_T7_T9_mT8_P12ihipStream_tbDpT10_ENKUlT_T0_E_clISt17integral_constantIbLb1EES18_IbLb0EEEEDaS14_S15_EUlS14_E_NS1_11comp_targetILNS1_3genE3ELNS1_11target_archE908ELNS1_3gpuE7ELNS1_3repE0EEENS1_30default_config_static_selectorELNS0_4arch9wavefront6targetE1EEEvT1_ ; -- Begin function _ZN7rocprim17ROCPRIM_400000_NS6detail17trampoline_kernelINS0_14default_configENS1_25partition_config_selectorILNS1_17partition_subalgoE0EyNS0_10empty_typeEbEEZZNS1_14partition_implILS5_0ELb0ES3_jN6thrust23THRUST_200600_302600_NS6detail15normal_iteratorINSA_10device_ptrIyEEEEPS6_SG_NS0_5tupleIJNSA_16discard_iteratorINSA_11use_defaultEEESK_EEENSH_IJSG_SG_EEES6_PlJ7is_evenIyEEEE10hipError_tPvRmT3_T4_T5_T6_T7_T9_mT8_P12ihipStream_tbDpT10_ENKUlT_T0_E_clISt17integral_constantIbLb1EES18_IbLb0EEEEDaS14_S15_EUlS14_E_NS1_11comp_targetILNS1_3genE3ELNS1_11target_archE908ELNS1_3gpuE7ELNS1_3repE0EEENS1_30default_config_static_selectorELNS0_4arch9wavefront6targetE1EEEvT1_
	.globl	_ZN7rocprim17ROCPRIM_400000_NS6detail17trampoline_kernelINS0_14default_configENS1_25partition_config_selectorILNS1_17partition_subalgoE0EyNS0_10empty_typeEbEEZZNS1_14partition_implILS5_0ELb0ES3_jN6thrust23THRUST_200600_302600_NS6detail15normal_iteratorINSA_10device_ptrIyEEEEPS6_SG_NS0_5tupleIJNSA_16discard_iteratorINSA_11use_defaultEEESK_EEENSH_IJSG_SG_EEES6_PlJ7is_evenIyEEEE10hipError_tPvRmT3_T4_T5_T6_T7_T9_mT8_P12ihipStream_tbDpT10_ENKUlT_T0_E_clISt17integral_constantIbLb1EES18_IbLb0EEEEDaS14_S15_EUlS14_E_NS1_11comp_targetILNS1_3genE3ELNS1_11target_archE908ELNS1_3gpuE7ELNS1_3repE0EEENS1_30default_config_static_selectorELNS0_4arch9wavefront6targetE1EEEvT1_
	.p2align	8
	.type	_ZN7rocprim17ROCPRIM_400000_NS6detail17trampoline_kernelINS0_14default_configENS1_25partition_config_selectorILNS1_17partition_subalgoE0EyNS0_10empty_typeEbEEZZNS1_14partition_implILS5_0ELb0ES3_jN6thrust23THRUST_200600_302600_NS6detail15normal_iteratorINSA_10device_ptrIyEEEEPS6_SG_NS0_5tupleIJNSA_16discard_iteratorINSA_11use_defaultEEESK_EEENSH_IJSG_SG_EEES6_PlJ7is_evenIyEEEE10hipError_tPvRmT3_T4_T5_T6_T7_T9_mT8_P12ihipStream_tbDpT10_ENKUlT_T0_E_clISt17integral_constantIbLb1EES18_IbLb0EEEEDaS14_S15_EUlS14_E_NS1_11comp_targetILNS1_3genE3ELNS1_11target_archE908ELNS1_3gpuE7ELNS1_3repE0EEENS1_30default_config_static_selectorELNS0_4arch9wavefront6targetE1EEEvT1_,@function
_ZN7rocprim17ROCPRIM_400000_NS6detail17trampoline_kernelINS0_14default_configENS1_25partition_config_selectorILNS1_17partition_subalgoE0EyNS0_10empty_typeEbEEZZNS1_14partition_implILS5_0ELb0ES3_jN6thrust23THRUST_200600_302600_NS6detail15normal_iteratorINSA_10device_ptrIyEEEEPS6_SG_NS0_5tupleIJNSA_16discard_iteratorINSA_11use_defaultEEESK_EEENSH_IJSG_SG_EEES6_PlJ7is_evenIyEEEE10hipError_tPvRmT3_T4_T5_T6_T7_T9_mT8_P12ihipStream_tbDpT10_ENKUlT_T0_E_clISt17integral_constantIbLb1EES18_IbLb0EEEEDaS14_S15_EUlS14_E_NS1_11comp_targetILNS1_3genE3ELNS1_11target_archE908ELNS1_3gpuE7ELNS1_3repE0EEENS1_30default_config_static_selectorELNS0_4arch9wavefront6targetE1EEEvT1_: ; @_ZN7rocprim17ROCPRIM_400000_NS6detail17trampoline_kernelINS0_14default_configENS1_25partition_config_selectorILNS1_17partition_subalgoE0EyNS0_10empty_typeEbEEZZNS1_14partition_implILS5_0ELb0ES3_jN6thrust23THRUST_200600_302600_NS6detail15normal_iteratorINSA_10device_ptrIyEEEEPS6_SG_NS0_5tupleIJNSA_16discard_iteratorINSA_11use_defaultEEESK_EEENSH_IJSG_SG_EEES6_PlJ7is_evenIyEEEE10hipError_tPvRmT3_T4_T5_T6_T7_T9_mT8_P12ihipStream_tbDpT10_ENKUlT_T0_E_clISt17integral_constantIbLb1EES18_IbLb0EEEEDaS14_S15_EUlS14_E_NS1_11comp_targetILNS1_3genE3ELNS1_11target_archE908ELNS1_3gpuE7ELNS1_3repE0EEENS1_30default_config_static_selectorELNS0_4arch9wavefront6targetE1EEEvT1_
; %bb.0:
	.section	.rodata,"a",@progbits
	.p2align	6, 0x0
	.amdhsa_kernel _ZN7rocprim17ROCPRIM_400000_NS6detail17trampoline_kernelINS0_14default_configENS1_25partition_config_selectorILNS1_17partition_subalgoE0EyNS0_10empty_typeEbEEZZNS1_14partition_implILS5_0ELb0ES3_jN6thrust23THRUST_200600_302600_NS6detail15normal_iteratorINSA_10device_ptrIyEEEEPS6_SG_NS0_5tupleIJNSA_16discard_iteratorINSA_11use_defaultEEESK_EEENSH_IJSG_SG_EEES6_PlJ7is_evenIyEEEE10hipError_tPvRmT3_T4_T5_T6_T7_T9_mT8_P12ihipStream_tbDpT10_ENKUlT_T0_E_clISt17integral_constantIbLb1EES18_IbLb0EEEEDaS14_S15_EUlS14_E_NS1_11comp_targetILNS1_3genE3ELNS1_11target_archE908ELNS1_3gpuE7ELNS1_3repE0EEENS1_30default_config_static_selectorELNS0_4arch9wavefront6targetE1EEEvT1_
		.amdhsa_group_segment_fixed_size 0
		.amdhsa_private_segment_fixed_size 0
		.amdhsa_kernarg_size 136
		.amdhsa_user_sgpr_count 6
		.amdhsa_user_sgpr_private_segment_buffer 1
		.amdhsa_user_sgpr_dispatch_ptr 0
		.amdhsa_user_sgpr_queue_ptr 0
		.amdhsa_user_sgpr_kernarg_segment_ptr 1
		.amdhsa_user_sgpr_dispatch_id 0
		.amdhsa_user_sgpr_flat_scratch_init 0
		.amdhsa_user_sgpr_kernarg_preload_length 0
		.amdhsa_user_sgpr_kernarg_preload_offset 0
		.amdhsa_user_sgpr_private_segment_size 0
		.amdhsa_uses_dynamic_stack 0
		.amdhsa_system_sgpr_private_segment_wavefront_offset 0
		.amdhsa_system_sgpr_workgroup_id_x 1
		.amdhsa_system_sgpr_workgroup_id_y 0
		.amdhsa_system_sgpr_workgroup_id_z 0
		.amdhsa_system_sgpr_workgroup_info 0
		.amdhsa_system_vgpr_workitem_id 0
		.amdhsa_next_free_vgpr 1
		.amdhsa_next_free_sgpr 0
		.amdhsa_accum_offset 4
		.amdhsa_reserve_vcc 0
		.amdhsa_reserve_flat_scratch 0
		.amdhsa_float_round_mode_32 0
		.amdhsa_float_round_mode_16_64 0
		.amdhsa_float_denorm_mode_32 3
		.amdhsa_float_denorm_mode_16_64 3
		.amdhsa_dx10_clamp 1
		.amdhsa_ieee_mode 1
		.amdhsa_fp16_overflow 0
		.amdhsa_tg_split 0
		.amdhsa_exception_fp_ieee_invalid_op 0
		.amdhsa_exception_fp_denorm_src 0
		.amdhsa_exception_fp_ieee_div_zero 0
		.amdhsa_exception_fp_ieee_overflow 0
		.amdhsa_exception_fp_ieee_underflow 0
		.amdhsa_exception_fp_ieee_inexact 0
		.amdhsa_exception_int_div_zero 0
	.end_amdhsa_kernel
	.section	.text._ZN7rocprim17ROCPRIM_400000_NS6detail17trampoline_kernelINS0_14default_configENS1_25partition_config_selectorILNS1_17partition_subalgoE0EyNS0_10empty_typeEbEEZZNS1_14partition_implILS5_0ELb0ES3_jN6thrust23THRUST_200600_302600_NS6detail15normal_iteratorINSA_10device_ptrIyEEEEPS6_SG_NS0_5tupleIJNSA_16discard_iteratorINSA_11use_defaultEEESK_EEENSH_IJSG_SG_EEES6_PlJ7is_evenIyEEEE10hipError_tPvRmT3_T4_T5_T6_T7_T9_mT8_P12ihipStream_tbDpT10_ENKUlT_T0_E_clISt17integral_constantIbLb1EES18_IbLb0EEEEDaS14_S15_EUlS14_E_NS1_11comp_targetILNS1_3genE3ELNS1_11target_archE908ELNS1_3gpuE7ELNS1_3repE0EEENS1_30default_config_static_selectorELNS0_4arch9wavefront6targetE1EEEvT1_,"axG",@progbits,_ZN7rocprim17ROCPRIM_400000_NS6detail17trampoline_kernelINS0_14default_configENS1_25partition_config_selectorILNS1_17partition_subalgoE0EyNS0_10empty_typeEbEEZZNS1_14partition_implILS5_0ELb0ES3_jN6thrust23THRUST_200600_302600_NS6detail15normal_iteratorINSA_10device_ptrIyEEEEPS6_SG_NS0_5tupleIJNSA_16discard_iteratorINSA_11use_defaultEEESK_EEENSH_IJSG_SG_EEES6_PlJ7is_evenIyEEEE10hipError_tPvRmT3_T4_T5_T6_T7_T9_mT8_P12ihipStream_tbDpT10_ENKUlT_T0_E_clISt17integral_constantIbLb1EES18_IbLb0EEEEDaS14_S15_EUlS14_E_NS1_11comp_targetILNS1_3genE3ELNS1_11target_archE908ELNS1_3gpuE7ELNS1_3repE0EEENS1_30default_config_static_selectorELNS0_4arch9wavefront6targetE1EEEvT1_,comdat
.Lfunc_end2318:
	.size	_ZN7rocprim17ROCPRIM_400000_NS6detail17trampoline_kernelINS0_14default_configENS1_25partition_config_selectorILNS1_17partition_subalgoE0EyNS0_10empty_typeEbEEZZNS1_14partition_implILS5_0ELb0ES3_jN6thrust23THRUST_200600_302600_NS6detail15normal_iteratorINSA_10device_ptrIyEEEEPS6_SG_NS0_5tupleIJNSA_16discard_iteratorINSA_11use_defaultEEESK_EEENSH_IJSG_SG_EEES6_PlJ7is_evenIyEEEE10hipError_tPvRmT3_T4_T5_T6_T7_T9_mT8_P12ihipStream_tbDpT10_ENKUlT_T0_E_clISt17integral_constantIbLb1EES18_IbLb0EEEEDaS14_S15_EUlS14_E_NS1_11comp_targetILNS1_3genE3ELNS1_11target_archE908ELNS1_3gpuE7ELNS1_3repE0EEENS1_30default_config_static_selectorELNS0_4arch9wavefront6targetE1EEEvT1_, .Lfunc_end2318-_ZN7rocprim17ROCPRIM_400000_NS6detail17trampoline_kernelINS0_14default_configENS1_25partition_config_selectorILNS1_17partition_subalgoE0EyNS0_10empty_typeEbEEZZNS1_14partition_implILS5_0ELb0ES3_jN6thrust23THRUST_200600_302600_NS6detail15normal_iteratorINSA_10device_ptrIyEEEEPS6_SG_NS0_5tupleIJNSA_16discard_iteratorINSA_11use_defaultEEESK_EEENSH_IJSG_SG_EEES6_PlJ7is_evenIyEEEE10hipError_tPvRmT3_T4_T5_T6_T7_T9_mT8_P12ihipStream_tbDpT10_ENKUlT_T0_E_clISt17integral_constantIbLb1EES18_IbLb0EEEEDaS14_S15_EUlS14_E_NS1_11comp_targetILNS1_3genE3ELNS1_11target_archE908ELNS1_3gpuE7ELNS1_3repE0EEENS1_30default_config_static_selectorELNS0_4arch9wavefront6targetE1EEEvT1_
                                        ; -- End function
	.section	.AMDGPU.csdata,"",@progbits
; Kernel info:
; codeLenInByte = 0
; NumSgprs: 4
; NumVgprs: 0
; NumAgprs: 0
; TotalNumVgprs: 0
; ScratchSize: 0
; MemoryBound: 0
; FloatMode: 240
; IeeeMode: 1
; LDSByteSize: 0 bytes/workgroup (compile time only)
; SGPRBlocks: 0
; VGPRBlocks: 0
; NumSGPRsForWavesPerEU: 4
; NumVGPRsForWavesPerEU: 1
; AccumOffset: 4
; Occupancy: 8
; WaveLimiterHint : 0
; COMPUTE_PGM_RSRC2:SCRATCH_EN: 0
; COMPUTE_PGM_RSRC2:USER_SGPR: 6
; COMPUTE_PGM_RSRC2:TRAP_HANDLER: 0
; COMPUTE_PGM_RSRC2:TGID_X_EN: 1
; COMPUTE_PGM_RSRC2:TGID_Y_EN: 0
; COMPUTE_PGM_RSRC2:TGID_Z_EN: 0
; COMPUTE_PGM_RSRC2:TIDIG_COMP_CNT: 0
; COMPUTE_PGM_RSRC3_GFX90A:ACCUM_OFFSET: 0
; COMPUTE_PGM_RSRC3_GFX90A:TG_SPLIT: 0
	.section	.text._ZN7rocprim17ROCPRIM_400000_NS6detail17trampoline_kernelINS0_14default_configENS1_25partition_config_selectorILNS1_17partition_subalgoE0EyNS0_10empty_typeEbEEZZNS1_14partition_implILS5_0ELb0ES3_jN6thrust23THRUST_200600_302600_NS6detail15normal_iteratorINSA_10device_ptrIyEEEEPS6_SG_NS0_5tupleIJNSA_16discard_iteratorINSA_11use_defaultEEESK_EEENSH_IJSG_SG_EEES6_PlJ7is_evenIyEEEE10hipError_tPvRmT3_T4_T5_T6_T7_T9_mT8_P12ihipStream_tbDpT10_ENKUlT_T0_E_clISt17integral_constantIbLb1EES18_IbLb0EEEEDaS14_S15_EUlS14_E_NS1_11comp_targetILNS1_3genE2ELNS1_11target_archE906ELNS1_3gpuE6ELNS1_3repE0EEENS1_30default_config_static_selectorELNS0_4arch9wavefront6targetE1EEEvT1_,"axG",@progbits,_ZN7rocprim17ROCPRIM_400000_NS6detail17trampoline_kernelINS0_14default_configENS1_25partition_config_selectorILNS1_17partition_subalgoE0EyNS0_10empty_typeEbEEZZNS1_14partition_implILS5_0ELb0ES3_jN6thrust23THRUST_200600_302600_NS6detail15normal_iteratorINSA_10device_ptrIyEEEEPS6_SG_NS0_5tupleIJNSA_16discard_iteratorINSA_11use_defaultEEESK_EEENSH_IJSG_SG_EEES6_PlJ7is_evenIyEEEE10hipError_tPvRmT3_T4_T5_T6_T7_T9_mT8_P12ihipStream_tbDpT10_ENKUlT_T0_E_clISt17integral_constantIbLb1EES18_IbLb0EEEEDaS14_S15_EUlS14_E_NS1_11comp_targetILNS1_3genE2ELNS1_11target_archE906ELNS1_3gpuE6ELNS1_3repE0EEENS1_30default_config_static_selectorELNS0_4arch9wavefront6targetE1EEEvT1_,comdat
	.protected	_ZN7rocprim17ROCPRIM_400000_NS6detail17trampoline_kernelINS0_14default_configENS1_25partition_config_selectorILNS1_17partition_subalgoE0EyNS0_10empty_typeEbEEZZNS1_14partition_implILS5_0ELb0ES3_jN6thrust23THRUST_200600_302600_NS6detail15normal_iteratorINSA_10device_ptrIyEEEEPS6_SG_NS0_5tupleIJNSA_16discard_iteratorINSA_11use_defaultEEESK_EEENSH_IJSG_SG_EEES6_PlJ7is_evenIyEEEE10hipError_tPvRmT3_T4_T5_T6_T7_T9_mT8_P12ihipStream_tbDpT10_ENKUlT_T0_E_clISt17integral_constantIbLb1EES18_IbLb0EEEEDaS14_S15_EUlS14_E_NS1_11comp_targetILNS1_3genE2ELNS1_11target_archE906ELNS1_3gpuE6ELNS1_3repE0EEENS1_30default_config_static_selectorELNS0_4arch9wavefront6targetE1EEEvT1_ ; -- Begin function _ZN7rocprim17ROCPRIM_400000_NS6detail17trampoline_kernelINS0_14default_configENS1_25partition_config_selectorILNS1_17partition_subalgoE0EyNS0_10empty_typeEbEEZZNS1_14partition_implILS5_0ELb0ES3_jN6thrust23THRUST_200600_302600_NS6detail15normal_iteratorINSA_10device_ptrIyEEEEPS6_SG_NS0_5tupleIJNSA_16discard_iteratorINSA_11use_defaultEEESK_EEENSH_IJSG_SG_EEES6_PlJ7is_evenIyEEEE10hipError_tPvRmT3_T4_T5_T6_T7_T9_mT8_P12ihipStream_tbDpT10_ENKUlT_T0_E_clISt17integral_constantIbLb1EES18_IbLb0EEEEDaS14_S15_EUlS14_E_NS1_11comp_targetILNS1_3genE2ELNS1_11target_archE906ELNS1_3gpuE6ELNS1_3repE0EEENS1_30default_config_static_selectorELNS0_4arch9wavefront6targetE1EEEvT1_
	.globl	_ZN7rocprim17ROCPRIM_400000_NS6detail17trampoline_kernelINS0_14default_configENS1_25partition_config_selectorILNS1_17partition_subalgoE0EyNS0_10empty_typeEbEEZZNS1_14partition_implILS5_0ELb0ES3_jN6thrust23THRUST_200600_302600_NS6detail15normal_iteratorINSA_10device_ptrIyEEEEPS6_SG_NS0_5tupleIJNSA_16discard_iteratorINSA_11use_defaultEEESK_EEENSH_IJSG_SG_EEES6_PlJ7is_evenIyEEEE10hipError_tPvRmT3_T4_T5_T6_T7_T9_mT8_P12ihipStream_tbDpT10_ENKUlT_T0_E_clISt17integral_constantIbLb1EES18_IbLb0EEEEDaS14_S15_EUlS14_E_NS1_11comp_targetILNS1_3genE2ELNS1_11target_archE906ELNS1_3gpuE6ELNS1_3repE0EEENS1_30default_config_static_selectorELNS0_4arch9wavefront6targetE1EEEvT1_
	.p2align	8
	.type	_ZN7rocprim17ROCPRIM_400000_NS6detail17trampoline_kernelINS0_14default_configENS1_25partition_config_selectorILNS1_17partition_subalgoE0EyNS0_10empty_typeEbEEZZNS1_14partition_implILS5_0ELb0ES3_jN6thrust23THRUST_200600_302600_NS6detail15normal_iteratorINSA_10device_ptrIyEEEEPS6_SG_NS0_5tupleIJNSA_16discard_iteratorINSA_11use_defaultEEESK_EEENSH_IJSG_SG_EEES6_PlJ7is_evenIyEEEE10hipError_tPvRmT3_T4_T5_T6_T7_T9_mT8_P12ihipStream_tbDpT10_ENKUlT_T0_E_clISt17integral_constantIbLb1EES18_IbLb0EEEEDaS14_S15_EUlS14_E_NS1_11comp_targetILNS1_3genE2ELNS1_11target_archE906ELNS1_3gpuE6ELNS1_3repE0EEENS1_30default_config_static_selectorELNS0_4arch9wavefront6targetE1EEEvT1_,@function
_ZN7rocprim17ROCPRIM_400000_NS6detail17trampoline_kernelINS0_14default_configENS1_25partition_config_selectorILNS1_17partition_subalgoE0EyNS0_10empty_typeEbEEZZNS1_14partition_implILS5_0ELb0ES3_jN6thrust23THRUST_200600_302600_NS6detail15normal_iteratorINSA_10device_ptrIyEEEEPS6_SG_NS0_5tupleIJNSA_16discard_iteratorINSA_11use_defaultEEESK_EEENSH_IJSG_SG_EEES6_PlJ7is_evenIyEEEE10hipError_tPvRmT3_T4_T5_T6_T7_T9_mT8_P12ihipStream_tbDpT10_ENKUlT_T0_E_clISt17integral_constantIbLb1EES18_IbLb0EEEEDaS14_S15_EUlS14_E_NS1_11comp_targetILNS1_3genE2ELNS1_11target_archE906ELNS1_3gpuE6ELNS1_3repE0EEENS1_30default_config_static_selectorELNS0_4arch9wavefront6targetE1EEEvT1_: ; @_ZN7rocprim17ROCPRIM_400000_NS6detail17trampoline_kernelINS0_14default_configENS1_25partition_config_selectorILNS1_17partition_subalgoE0EyNS0_10empty_typeEbEEZZNS1_14partition_implILS5_0ELb0ES3_jN6thrust23THRUST_200600_302600_NS6detail15normal_iteratorINSA_10device_ptrIyEEEEPS6_SG_NS0_5tupleIJNSA_16discard_iteratorINSA_11use_defaultEEESK_EEENSH_IJSG_SG_EEES6_PlJ7is_evenIyEEEE10hipError_tPvRmT3_T4_T5_T6_T7_T9_mT8_P12ihipStream_tbDpT10_ENKUlT_T0_E_clISt17integral_constantIbLb1EES18_IbLb0EEEEDaS14_S15_EUlS14_E_NS1_11comp_targetILNS1_3genE2ELNS1_11target_archE906ELNS1_3gpuE6ELNS1_3repE0EEENS1_30default_config_static_selectorELNS0_4arch9wavefront6targetE1EEEvT1_
; %bb.0:
	.section	.rodata,"a",@progbits
	.p2align	6, 0x0
	.amdhsa_kernel _ZN7rocprim17ROCPRIM_400000_NS6detail17trampoline_kernelINS0_14default_configENS1_25partition_config_selectorILNS1_17partition_subalgoE0EyNS0_10empty_typeEbEEZZNS1_14partition_implILS5_0ELb0ES3_jN6thrust23THRUST_200600_302600_NS6detail15normal_iteratorINSA_10device_ptrIyEEEEPS6_SG_NS0_5tupleIJNSA_16discard_iteratorINSA_11use_defaultEEESK_EEENSH_IJSG_SG_EEES6_PlJ7is_evenIyEEEE10hipError_tPvRmT3_T4_T5_T6_T7_T9_mT8_P12ihipStream_tbDpT10_ENKUlT_T0_E_clISt17integral_constantIbLb1EES18_IbLb0EEEEDaS14_S15_EUlS14_E_NS1_11comp_targetILNS1_3genE2ELNS1_11target_archE906ELNS1_3gpuE6ELNS1_3repE0EEENS1_30default_config_static_selectorELNS0_4arch9wavefront6targetE1EEEvT1_
		.amdhsa_group_segment_fixed_size 0
		.amdhsa_private_segment_fixed_size 0
		.amdhsa_kernarg_size 136
		.amdhsa_user_sgpr_count 6
		.amdhsa_user_sgpr_private_segment_buffer 1
		.amdhsa_user_sgpr_dispatch_ptr 0
		.amdhsa_user_sgpr_queue_ptr 0
		.amdhsa_user_sgpr_kernarg_segment_ptr 1
		.amdhsa_user_sgpr_dispatch_id 0
		.amdhsa_user_sgpr_flat_scratch_init 0
		.amdhsa_user_sgpr_kernarg_preload_length 0
		.amdhsa_user_sgpr_kernarg_preload_offset 0
		.amdhsa_user_sgpr_private_segment_size 0
		.amdhsa_uses_dynamic_stack 0
		.amdhsa_system_sgpr_private_segment_wavefront_offset 0
		.amdhsa_system_sgpr_workgroup_id_x 1
		.amdhsa_system_sgpr_workgroup_id_y 0
		.amdhsa_system_sgpr_workgroup_id_z 0
		.amdhsa_system_sgpr_workgroup_info 0
		.amdhsa_system_vgpr_workitem_id 0
		.amdhsa_next_free_vgpr 1
		.amdhsa_next_free_sgpr 0
		.amdhsa_accum_offset 4
		.amdhsa_reserve_vcc 0
		.amdhsa_reserve_flat_scratch 0
		.amdhsa_float_round_mode_32 0
		.amdhsa_float_round_mode_16_64 0
		.amdhsa_float_denorm_mode_32 3
		.amdhsa_float_denorm_mode_16_64 3
		.amdhsa_dx10_clamp 1
		.amdhsa_ieee_mode 1
		.amdhsa_fp16_overflow 0
		.amdhsa_tg_split 0
		.amdhsa_exception_fp_ieee_invalid_op 0
		.amdhsa_exception_fp_denorm_src 0
		.amdhsa_exception_fp_ieee_div_zero 0
		.amdhsa_exception_fp_ieee_overflow 0
		.amdhsa_exception_fp_ieee_underflow 0
		.amdhsa_exception_fp_ieee_inexact 0
		.amdhsa_exception_int_div_zero 0
	.end_amdhsa_kernel
	.section	.text._ZN7rocprim17ROCPRIM_400000_NS6detail17trampoline_kernelINS0_14default_configENS1_25partition_config_selectorILNS1_17partition_subalgoE0EyNS0_10empty_typeEbEEZZNS1_14partition_implILS5_0ELb0ES3_jN6thrust23THRUST_200600_302600_NS6detail15normal_iteratorINSA_10device_ptrIyEEEEPS6_SG_NS0_5tupleIJNSA_16discard_iteratorINSA_11use_defaultEEESK_EEENSH_IJSG_SG_EEES6_PlJ7is_evenIyEEEE10hipError_tPvRmT3_T4_T5_T6_T7_T9_mT8_P12ihipStream_tbDpT10_ENKUlT_T0_E_clISt17integral_constantIbLb1EES18_IbLb0EEEEDaS14_S15_EUlS14_E_NS1_11comp_targetILNS1_3genE2ELNS1_11target_archE906ELNS1_3gpuE6ELNS1_3repE0EEENS1_30default_config_static_selectorELNS0_4arch9wavefront6targetE1EEEvT1_,"axG",@progbits,_ZN7rocprim17ROCPRIM_400000_NS6detail17trampoline_kernelINS0_14default_configENS1_25partition_config_selectorILNS1_17partition_subalgoE0EyNS0_10empty_typeEbEEZZNS1_14partition_implILS5_0ELb0ES3_jN6thrust23THRUST_200600_302600_NS6detail15normal_iteratorINSA_10device_ptrIyEEEEPS6_SG_NS0_5tupleIJNSA_16discard_iteratorINSA_11use_defaultEEESK_EEENSH_IJSG_SG_EEES6_PlJ7is_evenIyEEEE10hipError_tPvRmT3_T4_T5_T6_T7_T9_mT8_P12ihipStream_tbDpT10_ENKUlT_T0_E_clISt17integral_constantIbLb1EES18_IbLb0EEEEDaS14_S15_EUlS14_E_NS1_11comp_targetILNS1_3genE2ELNS1_11target_archE906ELNS1_3gpuE6ELNS1_3repE0EEENS1_30default_config_static_selectorELNS0_4arch9wavefront6targetE1EEEvT1_,comdat
.Lfunc_end2319:
	.size	_ZN7rocprim17ROCPRIM_400000_NS6detail17trampoline_kernelINS0_14default_configENS1_25partition_config_selectorILNS1_17partition_subalgoE0EyNS0_10empty_typeEbEEZZNS1_14partition_implILS5_0ELb0ES3_jN6thrust23THRUST_200600_302600_NS6detail15normal_iteratorINSA_10device_ptrIyEEEEPS6_SG_NS0_5tupleIJNSA_16discard_iteratorINSA_11use_defaultEEESK_EEENSH_IJSG_SG_EEES6_PlJ7is_evenIyEEEE10hipError_tPvRmT3_T4_T5_T6_T7_T9_mT8_P12ihipStream_tbDpT10_ENKUlT_T0_E_clISt17integral_constantIbLb1EES18_IbLb0EEEEDaS14_S15_EUlS14_E_NS1_11comp_targetILNS1_3genE2ELNS1_11target_archE906ELNS1_3gpuE6ELNS1_3repE0EEENS1_30default_config_static_selectorELNS0_4arch9wavefront6targetE1EEEvT1_, .Lfunc_end2319-_ZN7rocprim17ROCPRIM_400000_NS6detail17trampoline_kernelINS0_14default_configENS1_25partition_config_selectorILNS1_17partition_subalgoE0EyNS0_10empty_typeEbEEZZNS1_14partition_implILS5_0ELb0ES3_jN6thrust23THRUST_200600_302600_NS6detail15normal_iteratorINSA_10device_ptrIyEEEEPS6_SG_NS0_5tupleIJNSA_16discard_iteratorINSA_11use_defaultEEESK_EEENSH_IJSG_SG_EEES6_PlJ7is_evenIyEEEE10hipError_tPvRmT3_T4_T5_T6_T7_T9_mT8_P12ihipStream_tbDpT10_ENKUlT_T0_E_clISt17integral_constantIbLb1EES18_IbLb0EEEEDaS14_S15_EUlS14_E_NS1_11comp_targetILNS1_3genE2ELNS1_11target_archE906ELNS1_3gpuE6ELNS1_3repE0EEENS1_30default_config_static_selectorELNS0_4arch9wavefront6targetE1EEEvT1_
                                        ; -- End function
	.section	.AMDGPU.csdata,"",@progbits
; Kernel info:
; codeLenInByte = 0
; NumSgprs: 4
; NumVgprs: 0
; NumAgprs: 0
; TotalNumVgprs: 0
; ScratchSize: 0
; MemoryBound: 0
; FloatMode: 240
; IeeeMode: 1
; LDSByteSize: 0 bytes/workgroup (compile time only)
; SGPRBlocks: 0
; VGPRBlocks: 0
; NumSGPRsForWavesPerEU: 4
; NumVGPRsForWavesPerEU: 1
; AccumOffset: 4
; Occupancy: 8
; WaveLimiterHint : 0
; COMPUTE_PGM_RSRC2:SCRATCH_EN: 0
; COMPUTE_PGM_RSRC2:USER_SGPR: 6
; COMPUTE_PGM_RSRC2:TRAP_HANDLER: 0
; COMPUTE_PGM_RSRC2:TGID_X_EN: 1
; COMPUTE_PGM_RSRC2:TGID_Y_EN: 0
; COMPUTE_PGM_RSRC2:TGID_Z_EN: 0
; COMPUTE_PGM_RSRC2:TIDIG_COMP_CNT: 0
; COMPUTE_PGM_RSRC3_GFX90A:ACCUM_OFFSET: 0
; COMPUTE_PGM_RSRC3_GFX90A:TG_SPLIT: 0
	.section	.text._ZN7rocprim17ROCPRIM_400000_NS6detail17trampoline_kernelINS0_14default_configENS1_25partition_config_selectorILNS1_17partition_subalgoE0EyNS0_10empty_typeEbEEZZNS1_14partition_implILS5_0ELb0ES3_jN6thrust23THRUST_200600_302600_NS6detail15normal_iteratorINSA_10device_ptrIyEEEEPS6_SG_NS0_5tupleIJNSA_16discard_iteratorINSA_11use_defaultEEESK_EEENSH_IJSG_SG_EEES6_PlJ7is_evenIyEEEE10hipError_tPvRmT3_T4_T5_T6_T7_T9_mT8_P12ihipStream_tbDpT10_ENKUlT_T0_E_clISt17integral_constantIbLb1EES18_IbLb0EEEEDaS14_S15_EUlS14_E_NS1_11comp_targetILNS1_3genE10ELNS1_11target_archE1200ELNS1_3gpuE4ELNS1_3repE0EEENS1_30default_config_static_selectorELNS0_4arch9wavefront6targetE1EEEvT1_,"axG",@progbits,_ZN7rocprim17ROCPRIM_400000_NS6detail17trampoline_kernelINS0_14default_configENS1_25partition_config_selectorILNS1_17partition_subalgoE0EyNS0_10empty_typeEbEEZZNS1_14partition_implILS5_0ELb0ES3_jN6thrust23THRUST_200600_302600_NS6detail15normal_iteratorINSA_10device_ptrIyEEEEPS6_SG_NS0_5tupleIJNSA_16discard_iteratorINSA_11use_defaultEEESK_EEENSH_IJSG_SG_EEES6_PlJ7is_evenIyEEEE10hipError_tPvRmT3_T4_T5_T6_T7_T9_mT8_P12ihipStream_tbDpT10_ENKUlT_T0_E_clISt17integral_constantIbLb1EES18_IbLb0EEEEDaS14_S15_EUlS14_E_NS1_11comp_targetILNS1_3genE10ELNS1_11target_archE1200ELNS1_3gpuE4ELNS1_3repE0EEENS1_30default_config_static_selectorELNS0_4arch9wavefront6targetE1EEEvT1_,comdat
	.protected	_ZN7rocprim17ROCPRIM_400000_NS6detail17trampoline_kernelINS0_14default_configENS1_25partition_config_selectorILNS1_17partition_subalgoE0EyNS0_10empty_typeEbEEZZNS1_14partition_implILS5_0ELb0ES3_jN6thrust23THRUST_200600_302600_NS6detail15normal_iteratorINSA_10device_ptrIyEEEEPS6_SG_NS0_5tupleIJNSA_16discard_iteratorINSA_11use_defaultEEESK_EEENSH_IJSG_SG_EEES6_PlJ7is_evenIyEEEE10hipError_tPvRmT3_T4_T5_T6_T7_T9_mT8_P12ihipStream_tbDpT10_ENKUlT_T0_E_clISt17integral_constantIbLb1EES18_IbLb0EEEEDaS14_S15_EUlS14_E_NS1_11comp_targetILNS1_3genE10ELNS1_11target_archE1200ELNS1_3gpuE4ELNS1_3repE0EEENS1_30default_config_static_selectorELNS0_4arch9wavefront6targetE1EEEvT1_ ; -- Begin function _ZN7rocprim17ROCPRIM_400000_NS6detail17trampoline_kernelINS0_14default_configENS1_25partition_config_selectorILNS1_17partition_subalgoE0EyNS0_10empty_typeEbEEZZNS1_14partition_implILS5_0ELb0ES3_jN6thrust23THRUST_200600_302600_NS6detail15normal_iteratorINSA_10device_ptrIyEEEEPS6_SG_NS0_5tupleIJNSA_16discard_iteratorINSA_11use_defaultEEESK_EEENSH_IJSG_SG_EEES6_PlJ7is_evenIyEEEE10hipError_tPvRmT3_T4_T5_T6_T7_T9_mT8_P12ihipStream_tbDpT10_ENKUlT_T0_E_clISt17integral_constantIbLb1EES18_IbLb0EEEEDaS14_S15_EUlS14_E_NS1_11comp_targetILNS1_3genE10ELNS1_11target_archE1200ELNS1_3gpuE4ELNS1_3repE0EEENS1_30default_config_static_selectorELNS0_4arch9wavefront6targetE1EEEvT1_
	.globl	_ZN7rocprim17ROCPRIM_400000_NS6detail17trampoline_kernelINS0_14default_configENS1_25partition_config_selectorILNS1_17partition_subalgoE0EyNS0_10empty_typeEbEEZZNS1_14partition_implILS5_0ELb0ES3_jN6thrust23THRUST_200600_302600_NS6detail15normal_iteratorINSA_10device_ptrIyEEEEPS6_SG_NS0_5tupleIJNSA_16discard_iteratorINSA_11use_defaultEEESK_EEENSH_IJSG_SG_EEES6_PlJ7is_evenIyEEEE10hipError_tPvRmT3_T4_T5_T6_T7_T9_mT8_P12ihipStream_tbDpT10_ENKUlT_T0_E_clISt17integral_constantIbLb1EES18_IbLb0EEEEDaS14_S15_EUlS14_E_NS1_11comp_targetILNS1_3genE10ELNS1_11target_archE1200ELNS1_3gpuE4ELNS1_3repE0EEENS1_30default_config_static_selectorELNS0_4arch9wavefront6targetE1EEEvT1_
	.p2align	8
	.type	_ZN7rocprim17ROCPRIM_400000_NS6detail17trampoline_kernelINS0_14default_configENS1_25partition_config_selectorILNS1_17partition_subalgoE0EyNS0_10empty_typeEbEEZZNS1_14partition_implILS5_0ELb0ES3_jN6thrust23THRUST_200600_302600_NS6detail15normal_iteratorINSA_10device_ptrIyEEEEPS6_SG_NS0_5tupleIJNSA_16discard_iteratorINSA_11use_defaultEEESK_EEENSH_IJSG_SG_EEES6_PlJ7is_evenIyEEEE10hipError_tPvRmT3_T4_T5_T6_T7_T9_mT8_P12ihipStream_tbDpT10_ENKUlT_T0_E_clISt17integral_constantIbLb1EES18_IbLb0EEEEDaS14_S15_EUlS14_E_NS1_11comp_targetILNS1_3genE10ELNS1_11target_archE1200ELNS1_3gpuE4ELNS1_3repE0EEENS1_30default_config_static_selectorELNS0_4arch9wavefront6targetE1EEEvT1_,@function
_ZN7rocprim17ROCPRIM_400000_NS6detail17trampoline_kernelINS0_14default_configENS1_25partition_config_selectorILNS1_17partition_subalgoE0EyNS0_10empty_typeEbEEZZNS1_14partition_implILS5_0ELb0ES3_jN6thrust23THRUST_200600_302600_NS6detail15normal_iteratorINSA_10device_ptrIyEEEEPS6_SG_NS0_5tupleIJNSA_16discard_iteratorINSA_11use_defaultEEESK_EEENSH_IJSG_SG_EEES6_PlJ7is_evenIyEEEE10hipError_tPvRmT3_T4_T5_T6_T7_T9_mT8_P12ihipStream_tbDpT10_ENKUlT_T0_E_clISt17integral_constantIbLb1EES18_IbLb0EEEEDaS14_S15_EUlS14_E_NS1_11comp_targetILNS1_3genE10ELNS1_11target_archE1200ELNS1_3gpuE4ELNS1_3repE0EEENS1_30default_config_static_selectorELNS0_4arch9wavefront6targetE1EEEvT1_: ; @_ZN7rocprim17ROCPRIM_400000_NS6detail17trampoline_kernelINS0_14default_configENS1_25partition_config_selectorILNS1_17partition_subalgoE0EyNS0_10empty_typeEbEEZZNS1_14partition_implILS5_0ELb0ES3_jN6thrust23THRUST_200600_302600_NS6detail15normal_iteratorINSA_10device_ptrIyEEEEPS6_SG_NS0_5tupleIJNSA_16discard_iteratorINSA_11use_defaultEEESK_EEENSH_IJSG_SG_EEES6_PlJ7is_evenIyEEEE10hipError_tPvRmT3_T4_T5_T6_T7_T9_mT8_P12ihipStream_tbDpT10_ENKUlT_T0_E_clISt17integral_constantIbLb1EES18_IbLb0EEEEDaS14_S15_EUlS14_E_NS1_11comp_targetILNS1_3genE10ELNS1_11target_archE1200ELNS1_3gpuE4ELNS1_3repE0EEENS1_30default_config_static_selectorELNS0_4arch9wavefront6targetE1EEEvT1_
; %bb.0:
	.section	.rodata,"a",@progbits
	.p2align	6, 0x0
	.amdhsa_kernel _ZN7rocprim17ROCPRIM_400000_NS6detail17trampoline_kernelINS0_14default_configENS1_25partition_config_selectorILNS1_17partition_subalgoE0EyNS0_10empty_typeEbEEZZNS1_14partition_implILS5_0ELb0ES3_jN6thrust23THRUST_200600_302600_NS6detail15normal_iteratorINSA_10device_ptrIyEEEEPS6_SG_NS0_5tupleIJNSA_16discard_iteratorINSA_11use_defaultEEESK_EEENSH_IJSG_SG_EEES6_PlJ7is_evenIyEEEE10hipError_tPvRmT3_T4_T5_T6_T7_T9_mT8_P12ihipStream_tbDpT10_ENKUlT_T0_E_clISt17integral_constantIbLb1EES18_IbLb0EEEEDaS14_S15_EUlS14_E_NS1_11comp_targetILNS1_3genE10ELNS1_11target_archE1200ELNS1_3gpuE4ELNS1_3repE0EEENS1_30default_config_static_selectorELNS0_4arch9wavefront6targetE1EEEvT1_
		.amdhsa_group_segment_fixed_size 0
		.amdhsa_private_segment_fixed_size 0
		.amdhsa_kernarg_size 136
		.amdhsa_user_sgpr_count 6
		.amdhsa_user_sgpr_private_segment_buffer 1
		.amdhsa_user_sgpr_dispatch_ptr 0
		.amdhsa_user_sgpr_queue_ptr 0
		.amdhsa_user_sgpr_kernarg_segment_ptr 1
		.amdhsa_user_sgpr_dispatch_id 0
		.amdhsa_user_sgpr_flat_scratch_init 0
		.amdhsa_user_sgpr_kernarg_preload_length 0
		.amdhsa_user_sgpr_kernarg_preload_offset 0
		.amdhsa_user_sgpr_private_segment_size 0
		.amdhsa_uses_dynamic_stack 0
		.amdhsa_system_sgpr_private_segment_wavefront_offset 0
		.amdhsa_system_sgpr_workgroup_id_x 1
		.amdhsa_system_sgpr_workgroup_id_y 0
		.amdhsa_system_sgpr_workgroup_id_z 0
		.amdhsa_system_sgpr_workgroup_info 0
		.amdhsa_system_vgpr_workitem_id 0
		.amdhsa_next_free_vgpr 1
		.amdhsa_next_free_sgpr 0
		.amdhsa_accum_offset 4
		.amdhsa_reserve_vcc 0
		.amdhsa_reserve_flat_scratch 0
		.amdhsa_float_round_mode_32 0
		.amdhsa_float_round_mode_16_64 0
		.amdhsa_float_denorm_mode_32 3
		.amdhsa_float_denorm_mode_16_64 3
		.amdhsa_dx10_clamp 1
		.amdhsa_ieee_mode 1
		.amdhsa_fp16_overflow 0
		.amdhsa_tg_split 0
		.amdhsa_exception_fp_ieee_invalid_op 0
		.amdhsa_exception_fp_denorm_src 0
		.amdhsa_exception_fp_ieee_div_zero 0
		.amdhsa_exception_fp_ieee_overflow 0
		.amdhsa_exception_fp_ieee_underflow 0
		.amdhsa_exception_fp_ieee_inexact 0
		.amdhsa_exception_int_div_zero 0
	.end_amdhsa_kernel
	.section	.text._ZN7rocprim17ROCPRIM_400000_NS6detail17trampoline_kernelINS0_14default_configENS1_25partition_config_selectorILNS1_17partition_subalgoE0EyNS0_10empty_typeEbEEZZNS1_14partition_implILS5_0ELb0ES3_jN6thrust23THRUST_200600_302600_NS6detail15normal_iteratorINSA_10device_ptrIyEEEEPS6_SG_NS0_5tupleIJNSA_16discard_iteratorINSA_11use_defaultEEESK_EEENSH_IJSG_SG_EEES6_PlJ7is_evenIyEEEE10hipError_tPvRmT3_T4_T5_T6_T7_T9_mT8_P12ihipStream_tbDpT10_ENKUlT_T0_E_clISt17integral_constantIbLb1EES18_IbLb0EEEEDaS14_S15_EUlS14_E_NS1_11comp_targetILNS1_3genE10ELNS1_11target_archE1200ELNS1_3gpuE4ELNS1_3repE0EEENS1_30default_config_static_selectorELNS0_4arch9wavefront6targetE1EEEvT1_,"axG",@progbits,_ZN7rocprim17ROCPRIM_400000_NS6detail17trampoline_kernelINS0_14default_configENS1_25partition_config_selectorILNS1_17partition_subalgoE0EyNS0_10empty_typeEbEEZZNS1_14partition_implILS5_0ELb0ES3_jN6thrust23THRUST_200600_302600_NS6detail15normal_iteratorINSA_10device_ptrIyEEEEPS6_SG_NS0_5tupleIJNSA_16discard_iteratorINSA_11use_defaultEEESK_EEENSH_IJSG_SG_EEES6_PlJ7is_evenIyEEEE10hipError_tPvRmT3_T4_T5_T6_T7_T9_mT8_P12ihipStream_tbDpT10_ENKUlT_T0_E_clISt17integral_constantIbLb1EES18_IbLb0EEEEDaS14_S15_EUlS14_E_NS1_11comp_targetILNS1_3genE10ELNS1_11target_archE1200ELNS1_3gpuE4ELNS1_3repE0EEENS1_30default_config_static_selectorELNS0_4arch9wavefront6targetE1EEEvT1_,comdat
.Lfunc_end2320:
	.size	_ZN7rocprim17ROCPRIM_400000_NS6detail17trampoline_kernelINS0_14default_configENS1_25partition_config_selectorILNS1_17partition_subalgoE0EyNS0_10empty_typeEbEEZZNS1_14partition_implILS5_0ELb0ES3_jN6thrust23THRUST_200600_302600_NS6detail15normal_iteratorINSA_10device_ptrIyEEEEPS6_SG_NS0_5tupleIJNSA_16discard_iteratorINSA_11use_defaultEEESK_EEENSH_IJSG_SG_EEES6_PlJ7is_evenIyEEEE10hipError_tPvRmT3_T4_T5_T6_T7_T9_mT8_P12ihipStream_tbDpT10_ENKUlT_T0_E_clISt17integral_constantIbLb1EES18_IbLb0EEEEDaS14_S15_EUlS14_E_NS1_11comp_targetILNS1_3genE10ELNS1_11target_archE1200ELNS1_3gpuE4ELNS1_3repE0EEENS1_30default_config_static_selectorELNS0_4arch9wavefront6targetE1EEEvT1_, .Lfunc_end2320-_ZN7rocprim17ROCPRIM_400000_NS6detail17trampoline_kernelINS0_14default_configENS1_25partition_config_selectorILNS1_17partition_subalgoE0EyNS0_10empty_typeEbEEZZNS1_14partition_implILS5_0ELb0ES3_jN6thrust23THRUST_200600_302600_NS6detail15normal_iteratorINSA_10device_ptrIyEEEEPS6_SG_NS0_5tupleIJNSA_16discard_iteratorINSA_11use_defaultEEESK_EEENSH_IJSG_SG_EEES6_PlJ7is_evenIyEEEE10hipError_tPvRmT3_T4_T5_T6_T7_T9_mT8_P12ihipStream_tbDpT10_ENKUlT_T0_E_clISt17integral_constantIbLb1EES18_IbLb0EEEEDaS14_S15_EUlS14_E_NS1_11comp_targetILNS1_3genE10ELNS1_11target_archE1200ELNS1_3gpuE4ELNS1_3repE0EEENS1_30default_config_static_selectorELNS0_4arch9wavefront6targetE1EEEvT1_
                                        ; -- End function
	.section	.AMDGPU.csdata,"",@progbits
; Kernel info:
; codeLenInByte = 0
; NumSgprs: 4
; NumVgprs: 0
; NumAgprs: 0
; TotalNumVgprs: 0
; ScratchSize: 0
; MemoryBound: 0
; FloatMode: 240
; IeeeMode: 1
; LDSByteSize: 0 bytes/workgroup (compile time only)
; SGPRBlocks: 0
; VGPRBlocks: 0
; NumSGPRsForWavesPerEU: 4
; NumVGPRsForWavesPerEU: 1
; AccumOffset: 4
; Occupancy: 8
; WaveLimiterHint : 0
; COMPUTE_PGM_RSRC2:SCRATCH_EN: 0
; COMPUTE_PGM_RSRC2:USER_SGPR: 6
; COMPUTE_PGM_RSRC2:TRAP_HANDLER: 0
; COMPUTE_PGM_RSRC2:TGID_X_EN: 1
; COMPUTE_PGM_RSRC2:TGID_Y_EN: 0
; COMPUTE_PGM_RSRC2:TGID_Z_EN: 0
; COMPUTE_PGM_RSRC2:TIDIG_COMP_CNT: 0
; COMPUTE_PGM_RSRC3_GFX90A:ACCUM_OFFSET: 0
; COMPUTE_PGM_RSRC3_GFX90A:TG_SPLIT: 0
	.section	.text._ZN7rocprim17ROCPRIM_400000_NS6detail17trampoline_kernelINS0_14default_configENS1_25partition_config_selectorILNS1_17partition_subalgoE0EyNS0_10empty_typeEbEEZZNS1_14partition_implILS5_0ELb0ES3_jN6thrust23THRUST_200600_302600_NS6detail15normal_iteratorINSA_10device_ptrIyEEEEPS6_SG_NS0_5tupleIJNSA_16discard_iteratorINSA_11use_defaultEEESK_EEENSH_IJSG_SG_EEES6_PlJ7is_evenIyEEEE10hipError_tPvRmT3_T4_T5_T6_T7_T9_mT8_P12ihipStream_tbDpT10_ENKUlT_T0_E_clISt17integral_constantIbLb1EES18_IbLb0EEEEDaS14_S15_EUlS14_E_NS1_11comp_targetILNS1_3genE9ELNS1_11target_archE1100ELNS1_3gpuE3ELNS1_3repE0EEENS1_30default_config_static_selectorELNS0_4arch9wavefront6targetE1EEEvT1_,"axG",@progbits,_ZN7rocprim17ROCPRIM_400000_NS6detail17trampoline_kernelINS0_14default_configENS1_25partition_config_selectorILNS1_17partition_subalgoE0EyNS0_10empty_typeEbEEZZNS1_14partition_implILS5_0ELb0ES3_jN6thrust23THRUST_200600_302600_NS6detail15normal_iteratorINSA_10device_ptrIyEEEEPS6_SG_NS0_5tupleIJNSA_16discard_iteratorINSA_11use_defaultEEESK_EEENSH_IJSG_SG_EEES6_PlJ7is_evenIyEEEE10hipError_tPvRmT3_T4_T5_T6_T7_T9_mT8_P12ihipStream_tbDpT10_ENKUlT_T0_E_clISt17integral_constantIbLb1EES18_IbLb0EEEEDaS14_S15_EUlS14_E_NS1_11comp_targetILNS1_3genE9ELNS1_11target_archE1100ELNS1_3gpuE3ELNS1_3repE0EEENS1_30default_config_static_selectorELNS0_4arch9wavefront6targetE1EEEvT1_,comdat
	.protected	_ZN7rocprim17ROCPRIM_400000_NS6detail17trampoline_kernelINS0_14default_configENS1_25partition_config_selectorILNS1_17partition_subalgoE0EyNS0_10empty_typeEbEEZZNS1_14partition_implILS5_0ELb0ES3_jN6thrust23THRUST_200600_302600_NS6detail15normal_iteratorINSA_10device_ptrIyEEEEPS6_SG_NS0_5tupleIJNSA_16discard_iteratorINSA_11use_defaultEEESK_EEENSH_IJSG_SG_EEES6_PlJ7is_evenIyEEEE10hipError_tPvRmT3_T4_T5_T6_T7_T9_mT8_P12ihipStream_tbDpT10_ENKUlT_T0_E_clISt17integral_constantIbLb1EES18_IbLb0EEEEDaS14_S15_EUlS14_E_NS1_11comp_targetILNS1_3genE9ELNS1_11target_archE1100ELNS1_3gpuE3ELNS1_3repE0EEENS1_30default_config_static_selectorELNS0_4arch9wavefront6targetE1EEEvT1_ ; -- Begin function _ZN7rocprim17ROCPRIM_400000_NS6detail17trampoline_kernelINS0_14default_configENS1_25partition_config_selectorILNS1_17partition_subalgoE0EyNS0_10empty_typeEbEEZZNS1_14partition_implILS5_0ELb0ES3_jN6thrust23THRUST_200600_302600_NS6detail15normal_iteratorINSA_10device_ptrIyEEEEPS6_SG_NS0_5tupleIJNSA_16discard_iteratorINSA_11use_defaultEEESK_EEENSH_IJSG_SG_EEES6_PlJ7is_evenIyEEEE10hipError_tPvRmT3_T4_T5_T6_T7_T9_mT8_P12ihipStream_tbDpT10_ENKUlT_T0_E_clISt17integral_constantIbLb1EES18_IbLb0EEEEDaS14_S15_EUlS14_E_NS1_11comp_targetILNS1_3genE9ELNS1_11target_archE1100ELNS1_3gpuE3ELNS1_3repE0EEENS1_30default_config_static_selectorELNS0_4arch9wavefront6targetE1EEEvT1_
	.globl	_ZN7rocprim17ROCPRIM_400000_NS6detail17trampoline_kernelINS0_14default_configENS1_25partition_config_selectorILNS1_17partition_subalgoE0EyNS0_10empty_typeEbEEZZNS1_14partition_implILS5_0ELb0ES3_jN6thrust23THRUST_200600_302600_NS6detail15normal_iteratorINSA_10device_ptrIyEEEEPS6_SG_NS0_5tupleIJNSA_16discard_iteratorINSA_11use_defaultEEESK_EEENSH_IJSG_SG_EEES6_PlJ7is_evenIyEEEE10hipError_tPvRmT3_T4_T5_T6_T7_T9_mT8_P12ihipStream_tbDpT10_ENKUlT_T0_E_clISt17integral_constantIbLb1EES18_IbLb0EEEEDaS14_S15_EUlS14_E_NS1_11comp_targetILNS1_3genE9ELNS1_11target_archE1100ELNS1_3gpuE3ELNS1_3repE0EEENS1_30default_config_static_selectorELNS0_4arch9wavefront6targetE1EEEvT1_
	.p2align	8
	.type	_ZN7rocprim17ROCPRIM_400000_NS6detail17trampoline_kernelINS0_14default_configENS1_25partition_config_selectorILNS1_17partition_subalgoE0EyNS0_10empty_typeEbEEZZNS1_14partition_implILS5_0ELb0ES3_jN6thrust23THRUST_200600_302600_NS6detail15normal_iteratorINSA_10device_ptrIyEEEEPS6_SG_NS0_5tupleIJNSA_16discard_iteratorINSA_11use_defaultEEESK_EEENSH_IJSG_SG_EEES6_PlJ7is_evenIyEEEE10hipError_tPvRmT3_T4_T5_T6_T7_T9_mT8_P12ihipStream_tbDpT10_ENKUlT_T0_E_clISt17integral_constantIbLb1EES18_IbLb0EEEEDaS14_S15_EUlS14_E_NS1_11comp_targetILNS1_3genE9ELNS1_11target_archE1100ELNS1_3gpuE3ELNS1_3repE0EEENS1_30default_config_static_selectorELNS0_4arch9wavefront6targetE1EEEvT1_,@function
_ZN7rocprim17ROCPRIM_400000_NS6detail17trampoline_kernelINS0_14default_configENS1_25partition_config_selectorILNS1_17partition_subalgoE0EyNS0_10empty_typeEbEEZZNS1_14partition_implILS5_0ELb0ES3_jN6thrust23THRUST_200600_302600_NS6detail15normal_iteratorINSA_10device_ptrIyEEEEPS6_SG_NS0_5tupleIJNSA_16discard_iteratorINSA_11use_defaultEEESK_EEENSH_IJSG_SG_EEES6_PlJ7is_evenIyEEEE10hipError_tPvRmT3_T4_T5_T6_T7_T9_mT8_P12ihipStream_tbDpT10_ENKUlT_T0_E_clISt17integral_constantIbLb1EES18_IbLb0EEEEDaS14_S15_EUlS14_E_NS1_11comp_targetILNS1_3genE9ELNS1_11target_archE1100ELNS1_3gpuE3ELNS1_3repE0EEENS1_30default_config_static_selectorELNS0_4arch9wavefront6targetE1EEEvT1_: ; @_ZN7rocprim17ROCPRIM_400000_NS6detail17trampoline_kernelINS0_14default_configENS1_25partition_config_selectorILNS1_17partition_subalgoE0EyNS0_10empty_typeEbEEZZNS1_14partition_implILS5_0ELb0ES3_jN6thrust23THRUST_200600_302600_NS6detail15normal_iteratorINSA_10device_ptrIyEEEEPS6_SG_NS0_5tupleIJNSA_16discard_iteratorINSA_11use_defaultEEESK_EEENSH_IJSG_SG_EEES6_PlJ7is_evenIyEEEE10hipError_tPvRmT3_T4_T5_T6_T7_T9_mT8_P12ihipStream_tbDpT10_ENKUlT_T0_E_clISt17integral_constantIbLb1EES18_IbLb0EEEEDaS14_S15_EUlS14_E_NS1_11comp_targetILNS1_3genE9ELNS1_11target_archE1100ELNS1_3gpuE3ELNS1_3repE0EEENS1_30default_config_static_selectorELNS0_4arch9wavefront6targetE1EEEvT1_
; %bb.0:
	.section	.rodata,"a",@progbits
	.p2align	6, 0x0
	.amdhsa_kernel _ZN7rocprim17ROCPRIM_400000_NS6detail17trampoline_kernelINS0_14default_configENS1_25partition_config_selectorILNS1_17partition_subalgoE0EyNS0_10empty_typeEbEEZZNS1_14partition_implILS5_0ELb0ES3_jN6thrust23THRUST_200600_302600_NS6detail15normal_iteratorINSA_10device_ptrIyEEEEPS6_SG_NS0_5tupleIJNSA_16discard_iteratorINSA_11use_defaultEEESK_EEENSH_IJSG_SG_EEES6_PlJ7is_evenIyEEEE10hipError_tPvRmT3_T4_T5_T6_T7_T9_mT8_P12ihipStream_tbDpT10_ENKUlT_T0_E_clISt17integral_constantIbLb1EES18_IbLb0EEEEDaS14_S15_EUlS14_E_NS1_11comp_targetILNS1_3genE9ELNS1_11target_archE1100ELNS1_3gpuE3ELNS1_3repE0EEENS1_30default_config_static_selectorELNS0_4arch9wavefront6targetE1EEEvT1_
		.amdhsa_group_segment_fixed_size 0
		.amdhsa_private_segment_fixed_size 0
		.amdhsa_kernarg_size 136
		.amdhsa_user_sgpr_count 6
		.amdhsa_user_sgpr_private_segment_buffer 1
		.amdhsa_user_sgpr_dispatch_ptr 0
		.amdhsa_user_sgpr_queue_ptr 0
		.amdhsa_user_sgpr_kernarg_segment_ptr 1
		.amdhsa_user_sgpr_dispatch_id 0
		.amdhsa_user_sgpr_flat_scratch_init 0
		.amdhsa_user_sgpr_kernarg_preload_length 0
		.amdhsa_user_sgpr_kernarg_preload_offset 0
		.amdhsa_user_sgpr_private_segment_size 0
		.amdhsa_uses_dynamic_stack 0
		.amdhsa_system_sgpr_private_segment_wavefront_offset 0
		.amdhsa_system_sgpr_workgroup_id_x 1
		.amdhsa_system_sgpr_workgroup_id_y 0
		.amdhsa_system_sgpr_workgroup_id_z 0
		.amdhsa_system_sgpr_workgroup_info 0
		.amdhsa_system_vgpr_workitem_id 0
		.amdhsa_next_free_vgpr 1
		.amdhsa_next_free_sgpr 0
		.amdhsa_accum_offset 4
		.amdhsa_reserve_vcc 0
		.amdhsa_reserve_flat_scratch 0
		.amdhsa_float_round_mode_32 0
		.amdhsa_float_round_mode_16_64 0
		.amdhsa_float_denorm_mode_32 3
		.amdhsa_float_denorm_mode_16_64 3
		.amdhsa_dx10_clamp 1
		.amdhsa_ieee_mode 1
		.amdhsa_fp16_overflow 0
		.amdhsa_tg_split 0
		.amdhsa_exception_fp_ieee_invalid_op 0
		.amdhsa_exception_fp_denorm_src 0
		.amdhsa_exception_fp_ieee_div_zero 0
		.amdhsa_exception_fp_ieee_overflow 0
		.amdhsa_exception_fp_ieee_underflow 0
		.amdhsa_exception_fp_ieee_inexact 0
		.amdhsa_exception_int_div_zero 0
	.end_amdhsa_kernel
	.section	.text._ZN7rocprim17ROCPRIM_400000_NS6detail17trampoline_kernelINS0_14default_configENS1_25partition_config_selectorILNS1_17partition_subalgoE0EyNS0_10empty_typeEbEEZZNS1_14partition_implILS5_0ELb0ES3_jN6thrust23THRUST_200600_302600_NS6detail15normal_iteratorINSA_10device_ptrIyEEEEPS6_SG_NS0_5tupleIJNSA_16discard_iteratorINSA_11use_defaultEEESK_EEENSH_IJSG_SG_EEES6_PlJ7is_evenIyEEEE10hipError_tPvRmT3_T4_T5_T6_T7_T9_mT8_P12ihipStream_tbDpT10_ENKUlT_T0_E_clISt17integral_constantIbLb1EES18_IbLb0EEEEDaS14_S15_EUlS14_E_NS1_11comp_targetILNS1_3genE9ELNS1_11target_archE1100ELNS1_3gpuE3ELNS1_3repE0EEENS1_30default_config_static_selectorELNS0_4arch9wavefront6targetE1EEEvT1_,"axG",@progbits,_ZN7rocprim17ROCPRIM_400000_NS6detail17trampoline_kernelINS0_14default_configENS1_25partition_config_selectorILNS1_17partition_subalgoE0EyNS0_10empty_typeEbEEZZNS1_14partition_implILS5_0ELb0ES3_jN6thrust23THRUST_200600_302600_NS6detail15normal_iteratorINSA_10device_ptrIyEEEEPS6_SG_NS0_5tupleIJNSA_16discard_iteratorINSA_11use_defaultEEESK_EEENSH_IJSG_SG_EEES6_PlJ7is_evenIyEEEE10hipError_tPvRmT3_T4_T5_T6_T7_T9_mT8_P12ihipStream_tbDpT10_ENKUlT_T0_E_clISt17integral_constantIbLb1EES18_IbLb0EEEEDaS14_S15_EUlS14_E_NS1_11comp_targetILNS1_3genE9ELNS1_11target_archE1100ELNS1_3gpuE3ELNS1_3repE0EEENS1_30default_config_static_selectorELNS0_4arch9wavefront6targetE1EEEvT1_,comdat
.Lfunc_end2321:
	.size	_ZN7rocprim17ROCPRIM_400000_NS6detail17trampoline_kernelINS0_14default_configENS1_25partition_config_selectorILNS1_17partition_subalgoE0EyNS0_10empty_typeEbEEZZNS1_14partition_implILS5_0ELb0ES3_jN6thrust23THRUST_200600_302600_NS6detail15normal_iteratorINSA_10device_ptrIyEEEEPS6_SG_NS0_5tupleIJNSA_16discard_iteratorINSA_11use_defaultEEESK_EEENSH_IJSG_SG_EEES6_PlJ7is_evenIyEEEE10hipError_tPvRmT3_T4_T5_T6_T7_T9_mT8_P12ihipStream_tbDpT10_ENKUlT_T0_E_clISt17integral_constantIbLb1EES18_IbLb0EEEEDaS14_S15_EUlS14_E_NS1_11comp_targetILNS1_3genE9ELNS1_11target_archE1100ELNS1_3gpuE3ELNS1_3repE0EEENS1_30default_config_static_selectorELNS0_4arch9wavefront6targetE1EEEvT1_, .Lfunc_end2321-_ZN7rocprim17ROCPRIM_400000_NS6detail17trampoline_kernelINS0_14default_configENS1_25partition_config_selectorILNS1_17partition_subalgoE0EyNS0_10empty_typeEbEEZZNS1_14partition_implILS5_0ELb0ES3_jN6thrust23THRUST_200600_302600_NS6detail15normal_iteratorINSA_10device_ptrIyEEEEPS6_SG_NS0_5tupleIJNSA_16discard_iteratorINSA_11use_defaultEEESK_EEENSH_IJSG_SG_EEES6_PlJ7is_evenIyEEEE10hipError_tPvRmT3_T4_T5_T6_T7_T9_mT8_P12ihipStream_tbDpT10_ENKUlT_T0_E_clISt17integral_constantIbLb1EES18_IbLb0EEEEDaS14_S15_EUlS14_E_NS1_11comp_targetILNS1_3genE9ELNS1_11target_archE1100ELNS1_3gpuE3ELNS1_3repE0EEENS1_30default_config_static_selectorELNS0_4arch9wavefront6targetE1EEEvT1_
                                        ; -- End function
	.section	.AMDGPU.csdata,"",@progbits
; Kernel info:
; codeLenInByte = 0
; NumSgprs: 4
; NumVgprs: 0
; NumAgprs: 0
; TotalNumVgprs: 0
; ScratchSize: 0
; MemoryBound: 0
; FloatMode: 240
; IeeeMode: 1
; LDSByteSize: 0 bytes/workgroup (compile time only)
; SGPRBlocks: 0
; VGPRBlocks: 0
; NumSGPRsForWavesPerEU: 4
; NumVGPRsForWavesPerEU: 1
; AccumOffset: 4
; Occupancy: 8
; WaveLimiterHint : 0
; COMPUTE_PGM_RSRC2:SCRATCH_EN: 0
; COMPUTE_PGM_RSRC2:USER_SGPR: 6
; COMPUTE_PGM_RSRC2:TRAP_HANDLER: 0
; COMPUTE_PGM_RSRC2:TGID_X_EN: 1
; COMPUTE_PGM_RSRC2:TGID_Y_EN: 0
; COMPUTE_PGM_RSRC2:TGID_Z_EN: 0
; COMPUTE_PGM_RSRC2:TIDIG_COMP_CNT: 0
; COMPUTE_PGM_RSRC3_GFX90A:ACCUM_OFFSET: 0
; COMPUTE_PGM_RSRC3_GFX90A:TG_SPLIT: 0
	.section	.text._ZN7rocprim17ROCPRIM_400000_NS6detail17trampoline_kernelINS0_14default_configENS1_25partition_config_selectorILNS1_17partition_subalgoE0EyNS0_10empty_typeEbEEZZNS1_14partition_implILS5_0ELb0ES3_jN6thrust23THRUST_200600_302600_NS6detail15normal_iteratorINSA_10device_ptrIyEEEEPS6_SG_NS0_5tupleIJNSA_16discard_iteratorINSA_11use_defaultEEESK_EEENSH_IJSG_SG_EEES6_PlJ7is_evenIyEEEE10hipError_tPvRmT3_T4_T5_T6_T7_T9_mT8_P12ihipStream_tbDpT10_ENKUlT_T0_E_clISt17integral_constantIbLb1EES18_IbLb0EEEEDaS14_S15_EUlS14_E_NS1_11comp_targetILNS1_3genE8ELNS1_11target_archE1030ELNS1_3gpuE2ELNS1_3repE0EEENS1_30default_config_static_selectorELNS0_4arch9wavefront6targetE1EEEvT1_,"axG",@progbits,_ZN7rocprim17ROCPRIM_400000_NS6detail17trampoline_kernelINS0_14default_configENS1_25partition_config_selectorILNS1_17partition_subalgoE0EyNS0_10empty_typeEbEEZZNS1_14partition_implILS5_0ELb0ES3_jN6thrust23THRUST_200600_302600_NS6detail15normal_iteratorINSA_10device_ptrIyEEEEPS6_SG_NS0_5tupleIJNSA_16discard_iteratorINSA_11use_defaultEEESK_EEENSH_IJSG_SG_EEES6_PlJ7is_evenIyEEEE10hipError_tPvRmT3_T4_T5_T6_T7_T9_mT8_P12ihipStream_tbDpT10_ENKUlT_T0_E_clISt17integral_constantIbLb1EES18_IbLb0EEEEDaS14_S15_EUlS14_E_NS1_11comp_targetILNS1_3genE8ELNS1_11target_archE1030ELNS1_3gpuE2ELNS1_3repE0EEENS1_30default_config_static_selectorELNS0_4arch9wavefront6targetE1EEEvT1_,comdat
	.protected	_ZN7rocprim17ROCPRIM_400000_NS6detail17trampoline_kernelINS0_14default_configENS1_25partition_config_selectorILNS1_17partition_subalgoE0EyNS0_10empty_typeEbEEZZNS1_14partition_implILS5_0ELb0ES3_jN6thrust23THRUST_200600_302600_NS6detail15normal_iteratorINSA_10device_ptrIyEEEEPS6_SG_NS0_5tupleIJNSA_16discard_iteratorINSA_11use_defaultEEESK_EEENSH_IJSG_SG_EEES6_PlJ7is_evenIyEEEE10hipError_tPvRmT3_T4_T5_T6_T7_T9_mT8_P12ihipStream_tbDpT10_ENKUlT_T0_E_clISt17integral_constantIbLb1EES18_IbLb0EEEEDaS14_S15_EUlS14_E_NS1_11comp_targetILNS1_3genE8ELNS1_11target_archE1030ELNS1_3gpuE2ELNS1_3repE0EEENS1_30default_config_static_selectorELNS0_4arch9wavefront6targetE1EEEvT1_ ; -- Begin function _ZN7rocprim17ROCPRIM_400000_NS6detail17trampoline_kernelINS0_14default_configENS1_25partition_config_selectorILNS1_17partition_subalgoE0EyNS0_10empty_typeEbEEZZNS1_14partition_implILS5_0ELb0ES3_jN6thrust23THRUST_200600_302600_NS6detail15normal_iteratorINSA_10device_ptrIyEEEEPS6_SG_NS0_5tupleIJNSA_16discard_iteratorINSA_11use_defaultEEESK_EEENSH_IJSG_SG_EEES6_PlJ7is_evenIyEEEE10hipError_tPvRmT3_T4_T5_T6_T7_T9_mT8_P12ihipStream_tbDpT10_ENKUlT_T0_E_clISt17integral_constantIbLb1EES18_IbLb0EEEEDaS14_S15_EUlS14_E_NS1_11comp_targetILNS1_3genE8ELNS1_11target_archE1030ELNS1_3gpuE2ELNS1_3repE0EEENS1_30default_config_static_selectorELNS0_4arch9wavefront6targetE1EEEvT1_
	.globl	_ZN7rocprim17ROCPRIM_400000_NS6detail17trampoline_kernelINS0_14default_configENS1_25partition_config_selectorILNS1_17partition_subalgoE0EyNS0_10empty_typeEbEEZZNS1_14partition_implILS5_0ELb0ES3_jN6thrust23THRUST_200600_302600_NS6detail15normal_iteratorINSA_10device_ptrIyEEEEPS6_SG_NS0_5tupleIJNSA_16discard_iteratorINSA_11use_defaultEEESK_EEENSH_IJSG_SG_EEES6_PlJ7is_evenIyEEEE10hipError_tPvRmT3_T4_T5_T6_T7_T9_mT8_P12ihipStream_tbDpT10_ENKUlT_T0_E_clISt17integral_constantIbLb1EES18_IbLb0EEEEDaS14_S15_EUlS14_E_NS1_11comp_targetILNS1_3genE8ELNS1_11target_archE1030ELNS1_3gpuE2ELNS1_3repE0EEENS1_30default_config_static_selectorELNS0_4arch9wavefront6targetE1EEEvT1_
	.p2align	8
	.type	_ZN7rocprim17ROCPRIM_400000_NS6detail17trampoline_kernelINS0_14default_configENS1_25partition_config_selectorILNS1_17partition_subalgoE0EyNS0_10empty_typeEbEEZZNS1_14partition_implILS5_0ELb0ES3_jN6thrust23THRUST_200600_302600_NS6detail15normal_iteratorINSA_10device_ptrIyEEEEPS6_SG_NS0_5tupleIJNSA_16discard_iteratorINSA_11use_defaultEEESK_EEENSH_IJSG_SG_EEES6_PlJ7is_evenIyEEEE10hipError_tPvRmT3_T4_T5_T6_T7_T9_mT8_P12ihipStream_tbDpT10_ENKUlT_T0_E_clISt17integral_constantIbLb1EES18_IbLb0EEEEDaS14_S15_EUlS14_E_NS1_11comp_targetILNS1_3genE8ELNS1_11target_archE1030ELNS1_3gpuE2ELNS1_3repE0EEENS1_30default_config_static_selectorELNS0_4arch9wavefront6targetE1EEEvT1_,@function
_ZN7rocprim17ROCPRIM_400000_NS6detail17trampoline_kernelINS0_14default_configENS1_25partition_config_selectorILNS1_17partition_subalgoE0EyNS0_10empty_typeEbEEZZNS1_14partition_implILS5_0ELb0ES3_jN6thrust23THRUST_200600_302600_NS6detail15normal_iteratorINSA_10device_ptrIyEEEEPS6_SG_NS0_5tupleIJNSA_16discard_iteratorINSA_11use_defaultEEESK_EEENSH_IJSG_SG_EEES6_PlJ7is_evenIyEEEE10hipError_tPvRmT3_T4_T5_T6_T7_T9_mT8_P12ihipStream_tbDpT10_ENKUlT_T0_E_clISt17integral_constantIbLb1EES18_IbLb0EEEEDaS14_S15_EUlS14_E_NS1_11comp_targetILNS1_3genE8ELNS1_11target_archE1030ELNS1_3gpuE2ELNS1_3repE0EEENS1_30default_config_static_selectorELNS0_4arch9wavefront6targetE1EEEvT1_: ; @_ZN7rocprim17ROCPRIM_400000_NS6detail17trampoline_kernelINS0_14default_configENS1_25partition_config_selectorILNS1_17partition_subalgoE0EyNS0_10empty_typeEbEEZZNS1_14partition_implILS5_0ELb0ES3_jN6thrust23THRUST_200600_302600_NS6detail15normal_iteratorINSA_10device_ptrIyEEEEPS6_SG_NS0_5tupleIJNSA_16discard_iteratorINSA_11use_defaultEEESK_EEENSH_IJSG_SG_EEES6_PlJ7is_evenIyEEEE10hipError_tPvRmT3_T4_T5_T6_T7_T9_mT8_P12ihipStream_tbDpT10_ENKUlT_T0_E_clISt17integral_constantIbLb1EES18_IbLb0EEEEDaS14_S15_EUlS14_E_NS1_11comp_targetILNS1_3genE8ELNS1_11target_archE1030ELNS1_3gpuE2ELNS1_3repE0EEENS1_30default_config_static_selectorELNS0_4arch9wavefront6targetE1EEEvT1_
; %bb.0:
	.section	.rodata,"a",@progbits
	.p2align	6, 0x0
	.amdhsa_kernel _ZN7rocprim17ROCPRIM_400000_NS6detail17trampoline_kernelINS0_14default_configENS1_25partition_config_selectorILNS1_17partition_subalgoE0EyNS0_10empty_typeEbEEZZNS1_14partition_implILS5_0ELb0ES3_jN6thrust23THRUST_200600_302600_NS6detail15normal_iteratorINSA_10device_ptrIyEEEEPS6_SG_NS0_5tupleIJNSA_16discard_iteratorINSA_11use_defaultEEESK_EEENSH_IJSG_SG_EEES6_PlJ7is_evenIyEEEE10hipError_tPvRmT3_T4_T5_T6_T7_T9_mT8_P12ihipStream_tbDpT10_ENKUlT_T0_E_clISt17integral_constantIbLb1EES18_IbLb0EEEEDaS14_S15_EUlS14_E_NS1_11comp_targetILNS1_3genE8ELNS1_11target_archE1030ELNS1_3gpuE2ELNS1_3repE0EEENS1_30default_config_static_selectorELNS0_4arch9wavefront6targetE1EEEvT1_
		.amdhsa_group_segment_fixed_size 0
		.amdhsa_private_segment_fixed_size 0
		.amdhsa_kernarg_size 136
		.amdhsa_user_sgpr_count 6
		.amdhsa_user_sgpr_private_segment_buffer 1
		.amdhsa_user_sgpr_dispatch_ptr 0
		.amdhsa_user_sgpr_queue_ptr 0
		.amdhsa_user_sgpr_kernarg_segment_ptr 1
		.amdhsa_user_sgpr_dispatch_id 0
		.amdhsa_user_sgpr_flat_scratch_init 0
		.amdhsa_user_sgpr_kernarg_preload_length 0
		.amdhsa_user_sgpr_kernarg_preload_offset 0
		.amdhsa_user_sgpr_private_segment_size 0
		.amdhsa_uses_dynamic_stack 0
		.amdhsa_system_sgpr_private_segment_wavefront_offset 0
		.amdhsa_system_sgpr_workgroup_id_x 1
		.amdhsa_system_sgpr_workgroup_id_y 0
		.amdhsa_system_sgpr_workgroup_id_z 0
		.amdhsa_system_sgpr_workgroup_info 0
		.amdhsa_system_vgpr_workitem_id 0
		.amdhsa_next_free_vgpr 1
		.amdhsa_next_free_sgpr 0
		.amdhsa_accum_offset 4
		.amdhsa_reserve_vcc 0
		.amdhsa_reserve_flat_scratch 0
		.amdhsa_float_round_mode_32 0
		.amdhsa_float_round_mode_16_64 0
		.amdhsa_float_denorm_mode_32 3
		.amdhsa_float_denorm_mode_16_64 3
		.amdhsa_dx10_clamp 1
		.amdhsa_ieee_mode 1
		.amdhsa_fp16_overflow 0
		.amdhsa_tg_split 0
		.amdhsa_exception_fp_ieee_invalid_op 0
		.amdhsa_exception_fp_denorm_src 0
		.amdhsa_exception_fp_ieee_div_zero 0
		.amdhsa_exception_fp_ieee_overflow 0
		.amdhsa_exception_fp_ieee_underflow 0
		.amdhsa_exception_fp_ieee_inexact 0
		.amdhsa_exception_int_div_zero 0
	.end_amdhsa_kernel
	.section	.text._ZN7rocprim17ROCPRIM_400000_NS6detail17trampoline_kernelINS0_14default_configENS1_25partition_config_selectorILNS1_17partition_subalgoE0EyNS0_10empty_typeEbEEZZNS1_14partition_implILS5_0ELb0ES3_jN6thrust23THRUST_200600_302600_NS6detail15normal_iteratorINSA_10device_ptrIyEEEEPS6_SG_NS0_5tupleIJNSA_16discard_iteratorINSA_11use_defaultEEESK_EEENSH_IJSG_SG_EEES6_PlJ7is_evenIyEEEE10hipError_tPvRmT3_T4_T5_T6_T7_T9_mT8_P12ihipStream_tbDpT10_ENKUlT_T0_E_clISt17integral_constantIbLb1EES18_IbLb0EEEEDaS14_S15_EUlS14_E_NS1_11comp_targetILNS1_3genE8ELNS1_11target_archE1030ELNS1_3gpuE2ELNS1_3repE0EEENS1_30default_config_static_selectorELNS0_4arch9wavefront6targetE1EEEvT1_,"axG",@progbits,_ZN7rocprim17ROCPRIM_400000_NS6detail17trampoline_kernelINS0_14default_configENS1_25partition_config_selectorILNS1_17partition_subalgoE0EyNS0_10empty_typeEbEEZZNS1_14partition_implILS5_0ELb0ES3_jN6thrust23THRUST_200600_302600_NS6detail15normal_iteratorINSA_10device_ptrIyEEEEPS6_SG_NS0_5tupleIJNSA_16discard_iteratorINSA_11use_defaultEEESK_EEENSH_IJSG_SG_EEES6_PlJ7is_evenIyEEEE10hipError_tPvRmT3_T4_T5_T6_T7_T9_mT8_P12ihipStream_tbDpT10_ENKUlT_T0_E_clISt17integral_constantIbLb1EES18_IbLb0EEEEDaS14_S15_EUlS14_E_NS1_11comp_targetILNS1_3genE8ELNS1_11target_archE1030ELNS1_3gpuE2ELNS1_3repE0EEENS1_30default_config_static_selectorELNS0_4arch9wavefront6targetE1EEEvT1_,comdat
.Lfunc_end2322:
	.size	_ZN7rocprim17ROCPRIM_400000_NS6detail17trampoline_kernelINS0_14default_configENS1_25partition_config_selectorILNS1_17partition_subalgoE0EyNS0_10empty_typeEbEEZZNS1_14partition_implILS5_0ELb0ES3_jN6thrust23THRUST_200600_302600_NS6detail15normal_iteratorINSA_10device_ptrIyEEEEPS6_SG_NS0_5tupleIJNSA_16discard_iteratorINSA_11use_defaultEEESK_EEENSH_IJSG_SG_EEES6_PlJ7is_evenIyEEEE10hipError_tPvRmT3_T4_T5_T6_T7_T9_mT8_P12ihipStream_tbDpT10_ENKUlT_T0_E_clISt17integral_constantIbLb1EES18_IbLb0EEEEDaS14_S15_EUlS14_E_NS1_11comp_targetILNS1_3genE8ELNS1_11target_archE1030ELNS1_3gpuE2ELNS1_3repE0EEENS1_30default_config_static_selectorELNS0_4arch9wavefront6targetE1EEEvT1_, .Lfunc_end2322-_ZN7rocprim17ROCPRIM_400000_NS6detail17trampoline_kernelINS0_14default_configENS1_25partition_config_selectorILNS1_17partition_subalgoE0EyNS0_10empty_typeEbEEZZNS1_14partition_implILS5_0ELb0ES3_jN6thrust23THRUST_200600_302600_NS6detail15normal_iteratorINSA_10device_ptrIyEEEEPS6_SG_NS0_5tupleIJNSA_16discard_iteratorINSA_11use_defaultEEESK_EEENSH_IJSG_SG_EEES6_PlJ7is_evenIyEEEE10hipError_tPvRmT3_T4_T5_T6_T7_T9_mT8_P12ihipStream_tbDpT10_ENKUlT_T0_E_clISt17integral_constantIbLb1EES18_IbLb0EEEEDaS14_S15_EUlS14_E_NS1_11comp_targetILNS1_3genE8ELNS1_11target_archE1030ELNS1_3gpuE2ELNS1_3repE0EEENS1_30default_config_static_selectorELNS0_4arch9wavefront6targetE1EEEvT1_
                                        ; -- End function
	.section	.AMDGPU.csdata,"",@progbits
; Kernel info:
; codeLenInByte = 0
; NumSgprs: 4
; NumVgprs: 0
; NumAgprs: 0
; TotalNumVgprs: 0
; ScratchSize: 0
; MemoryBound: 0
; FloatMode: 240
; IeeeMode: 1
; LDSByteSize: 0 bytes/workgroup (compile time only)
; SGPRBlocks: 0
; VGPRBlocks: 0
; NumSGPRsForWavesPerEU: 4
; NumVGPRsForWavesPerEU: 1
; AccumOffset: 4
; Occupancy: 8
; WaveLimiterHint : 0
; COMPUTE_PGM_RSRC2:SCRATCH_EN: 0
; COMPUTE_PGM_RSRC2:USER_SGPR: 6
; COMPUTE_PGM_RSRC2:TRAP_HANDLER: 0
; COMPUTE_PGM_RSRC2:TGID_X_EN: 1
; COMPUTE_PGM_RSRC2:TGID_Y_EN: 0
; COMPUTE_PGM_RSRC2:TGID_Z_EN: 0
; COMPUTE_PGM_RSRC2:TIDIG_COMP_CNT: 0
; COMPUTE_PGM_RSRC3_GFX90A:ACCUM_OFFSET: 0
; COMPUTE_PGM_RSRC3_GFX90A:TG_SPLIT: 0
	.section	.text._ZN7rocprim17ROCPRIM_400000_NS6detail17trampoline_kernelINS0_14default_configENS1_25partition_config_selectorILNS1_17partition_subalgoE0EyNS0_10empty_typeEbEEZZNS1_14partition_implILS5_0ELb0ES3_jN6thrust23THRUST_200600_302600_NS6detail15normal_iteratorINSA_10device_ptrIyEEEEPS6_SG_NS0_5tupleIJNSA_16discard_iteratorINSA_11use_defaultEEESK_EEENSH_IJSG_SG_EEES6_PlJ7is_evenIyEEEE10hipError_tPvRmT3_T4_T5_T6_T7_T9_mT8_P12ihipStream_tbDpT10_ENKUlT_T0_E_clISt17integral_constantIbLb0EES18_IbLb1EEEEDaS14_S15_EUlS14_E_NS1_11comp_targetILNS1_3genE0ELNS1_11target_archE4294967295ELNS1_3gpuE0ELNS1_3repE0EEENS1_30default_config_static_selectorELNS0_4arch9wavefront6targetE1EEEvT1_,"axG",@progbits,_ZN7rocprim17ROCPRIM_400000_NS6detail17trampoline_kernelINS0_14default_configENS1_25partition_config_selectorILNS1_17partition_subalgoE0EyNS0_10empty_typeEbEEZZNS1_14partition_implILS5_0ELb0ES3_jN6thrust23THRUST_200600_302600_NS6detail15normal_iteratorINSA_10device_ptrIyEEEEPS6_SG_NS0_5tupleIJNSA_16discard_iteratorINSA_11use_defaultEEESK_EEENSH_IJSG_SG_EEES6_PlJ7is_evenIyEEEE10hipError_tPvRmT3_T4_T5_T6_T7_T9_mT8_P12ihipStream_tbDpT10_ENKUlT_T0_E_clISt17integral_constantIbLb0EES18_IbLb1EEEEDaS14_S15_EUlS14_E_NS1_11comp_targetILNS1_3genE0ELNS1_11target_archE4294967295ELNS1_3gpuE0ELNS1_3repE0EEENS1_30default_config_static_selectorELNS0_4arch9wavefront6targetE1EEEvT1_,comdat
	.protected	_ZN7rocprim17ROCPRIM_400000_NS6detail17trampoline_kernelINS0_14default_configENS1_25partition_config_selectorILNS1_17partition_subalgoE0EyNS0_10empty_typeEbEEZZNS1_14partition_implILS5_0ELb0ES3_jN6thrust23THRUST_200600_302600_NS6detail15normal_iteratorINSA_10device_ptrIyEEEEPS6_SG_NS0_5tupleIJNSA_16discard_iteratorINSA_11use_defaultEEESK_EEENSH_IJSG_SG_EEES6_PlJ7is_evenIyEEEE10hipError_tPvRmT3_T4_T5_T6_T7_T9_mT8_P12ihipStream_tbDpT10_ENKUlT_T0_E_clISt17integral_constantIbLb0EES18_IbLb1EEEEDaS14_S15_EUlS14_E_NS1_11comp_targetILNS1_3genE0ELNS1_11target_archE4294967295ELNS1_3gpuE0ELNS1_3repE0EEENS1_30default_config_static_selectorELNS0_4arch9wavefront6targetE1EEEvT1_ ; -- Begin function _ZN7rocprim17ROCPRIM_400000_NS6detail17trampoline_kernelINS0_14default_configENS1_25partition_config_selectorILNS1_17partition_subalgoE0EyNS0_10empty_typeEbEEZZNS1_14partition_implILS5_0ELb0ES3_jN6thrust23THRUST_200600_302600_NS6detail15normal_iteratorINSA_10device_ptrIyEEEEPS6_SG_NS0_5tupleIJNSA_16discard_iteratorINSA_11use_defaultEEESK_EEENSH_IJSG_SG_EEES6_PlJ7is_evenIyEEEE10hipError_tPvRmT3_T4_T5_T6_T7_T9_mT8_P12ihipStream_tbDpT10_ENKUlT_T0_E_clISt17integral_constantIbLb0EES18_IbLb1EEEEDaS14_S15_EUlS14_E_NS1_11comp_targetILNS1_3genE0ELNS1_11target_archE4294967295ELNS1_3gpuE0ELNS1_3repE0EEENS1_30default_config_static_selectorELNS0_4arch9wavefront6targetE1EEEvT1_
	.globl	_ZN7rocprim17ROCPRIM_400000_NS6detail17trampoline_kernelINS0_14default_configENS1_25partition_config_selectorILNS1_17partition_subalgoE0EyNS0_10empty_typeEbEEZZNS1_14partition_implILS5_0ELb0ES3_jN6thrust23THRUST_200600_302600_NS6detail15normal_iteratorINSA_10device_ptrIyEEEEPS6_SG_NS0_5tupleIJNSA_16discard_iteratorINSA_11use_defaultEEESK_EEENSH_IJSG_SG_EEES6_PlJ7is_evenIyEEEE10hipError_tPvRmT3_T4_T5_T6_T7_T9_mT8_P12ihipStream_tbDpT10_ENKUlT_T0_E_clISt17integral_constantIbLb0EES18_IbLb1EEEEDaS14_S15_EUlS14_E_NS1_11comp_targetILNS1_3genE0ELNS1_11target_archE4294967295ELNS1_3gpuE0ELNS1_3repE0EEENS1_30default_config_static_selectorELNS0_4arch9wavefront6targetE1EEEvT1_
	.p2align	8
	.type	_ZN7rocprim17ROCPRIM_400000_NS6detail17trampoline_kernelINS0_14default_configENS1_25partition_config_selectorILNS1_17partition_subalgoE0EyNS0_10empty_typeEbEEZZNS1_14partition_implILS5_0ELb0ES3_jN6thrust23THRUST_200600_302600_NS6detail15normal_iteratorINSA_10device_ptrIyEEEEPS6_SG_NS0_5tupleIJNSA_16discard_iteratorINSA_11use_defaultEEESK_EEENSH_IJSG_SG_EEES6_PlJ7is_evenIyEEEE10hipError_tPvRmT3_T4_T5_T6_T7_T9_mT8_P12ihipStream_tbDpT10_ENKUlT_T0_E_clISt17integral_constantIbLb0EES18_IbLb1EEEEDaS14_S15_EUlS14_E_NS1_11comp_targetILNS1_3genE0ELNS1_11target_archE4294967295ELNS1_3gpuE0ELNS1_3repE0EEENS1_30default_config_static_selectorELNS0_4arch9wavefront6targetE1EEEvT1_,@function
_ZN7rocprim17ROCPRIM_400000_NS6detail17trampoline_kernelINS0_14default_configENS1_25partition_config_selectorILNS1_17partition_subalgoE0EyNS0_10empty_typeEbEEZZNS1_14partition_implILS5_0ELb0ES3_jN6thrust23THRUST_200600_302600_NS6detail15normal_iteratorINSA_10device_ptrIyEEEEPS6_SG_NS0_5tupleIJNSA_16discard_iteratorINSA_11use_defaultEEESK_EEENSH_IJSG_SG_EEES6_PlJ7is_evenIyEEEE10hipError_tPvRmT3_T4_T5_T6_T7_T9_mT8_P12ihipStream_tbDpT10_ENKUlT_T0_E_clISt17integral_constantIbLb0EES18_IbLb1EEEEDaS14_S15_EUlS14_E_NS1_11comp_targetILNS1_3genE0ELNS1_11target_archE4294967295ELNS1_3gpuE0ELNS1_3repE0EEENS1_30default_config_static_selectorELNS0_4arch9wavefront6targetE1EEEvT1_: ; @_ZN7rocprim17ROCPRIM_400000_NS6detail17trampoline_kernelINS0_14default_configENS1_25partition_config_selectorILNS1_17partition_subalgoE0EyNS0_10empty_typeEbEEZZNS1_14partition_implILS5_0ELb0ES3_jN6thrust23THRUST_200600_302600_NS6detail15normal_iteratorINSA_10device_ptrIyEEEEPS6_SG_NS0_5tupleIJNSA_16discard_iteratorINSA_11use_defaultEEESK_EEENSH_IJSG_SG_EEES6_PlJ7is_evenIyEEEE10hipError_tPvRmT3_T4_T5_T6_T7_T9_mT8_P12ihipStream_tbDpT10_ENKUlT_T0_E_clISt17integral_constantIbLb0EES18_IbLb1EEEEDaS14_S15_EUlS14_E_NS1_11comp_targetILNS1_3genE0ELNS1_11target_archE4294967295ELNS1_3gpuE0ELNS1_3repE0EEENS1_30default_config_static_selectorELNS0_4arch9wavefront6targetE1EEEvT1_
; %bb.0:
	.section	.rodata,"a",@progbits
	.p2align	6, 0x0
	.amdhsa_kernel _ZN7rocprim17ROCPRIM_400000_NS6detail17trampoline_kernelINS0_14default_configENS1_25partition_config_selectorILNS1_17partition_subalgoE0EyNS0_10empty_typeEbEEZZNS1_14partition_implILS5_0ELb0ES3_jN6thrust23THRUST_200600_302600_NS6detail15normal_iteratorINSA_10device_ptrIyEEEEPS6_SG_NS0_5tupleIJNSA_16discard_iteratorINSA_11use_defaultEEESK_EEENSH_IJSG_SG_EEES6_PlJ7is_evenIyEEEE10hipError_tPvRmT3_T4_T5_T6_T7_T9_mT8_P12ihipStream_tbDpT10_ENKUlT_T0_E_clISt17integral_constantIbLb0EES18_IbLb1EEEEDaS14_S15_EUlS14_E_NS1_11comp_targetILNS1_3genE0ELNS1_11target_archE4294967295ELNS1_3gpuE0ELNS1_3repE0EEENS1_30default_config_static_selectorELNS0_4arch9wavefront6targetE1EEEvT1_
		.amdhsa_group_segment_fixed_size 0
		.amdhsa_private_segment_fixed_size 0
		.amdhsa_kernarg_size 152
		.amdhsa_user_sgpr_count 6
		.amdhsa_user_sgpr_private_segment_buffer 1
		.amdhsa_user_sgpr_dispatch_ptr 0
		.amdhsa_user_sgpr_queue_ptr 0
		.amdhsa_user_sgpr_kernarg_segment_ptr 1
		.amdhsa_user_sgpr_dispatch_id 0
		.amdhsa_user_sgpr_flat_scratch_init 0
		.amdhsa_user_sgpr_kernarg_preload_length 0
		.amdhsa_user_sgpr_kernarg_preload_offset 0
		.amdhsa_user_sgpr_private_segment_size 0
		.amdhsa_uses_dynamic_stack 0
		.amdhsa_system_sgpr_private_segment_wavefront_offset 0
		.amdhsa_system_sgpr_workgroup_id_x 1
		.amdhsa_system_sgpr_workgroup_id_y 0
		.amdhsa_system_sgpr_workgroup_id_z 0
		.amdhsa_system_sgpr_workgroup_info 0
		.amdhsa_system_vgpr_workitem_id 0
		.amdhsa_next_free_vgpr 1
		.amdhsa_next_free_sgpr 0
		.amdhsa_accum_offset 4
		.amdhsa_reserve_vcc 0
		.amdhsa_reserve_flat_scratch 0
		.amdhsa_float_round_mode_32 0
		.amdhsa_float_round_mode_16_64 0
		.amdhsa_float_denorm_mode_32 3
		.amdhsa_float_denorm_mode_16_64 3
		.amdhsa_dx10_clamp 1
		.amdhsa_ieee_mode 1
		.amdhsa_fp16_overflow 0
		.amdhsa_tg_split 0
		.amdhsa_exception_fp_ieee_invalid_op 0
		.amdhsa_exception_fp_denorm_src 0
		.amdhsa_exception_fp_ieee_div_zero 0
		.amdhsa_exception_fp_ieee_overflow 0
		.amdhsa_exception_fp_ieee_underflow 0
		.amdhsa_exception_fp_ieee_inexact 0
		.amdhsa_exception_int_div_zero 0
	.end_amdhsa_kernel
	.section	.text._ZN7rocprim17ROCPRIM_400000_NS6detail17trampoline_kernelINS0_14default_configENS1_25partition_config_selectorILNS1_17partition_subalgoE0EyNS0_10empty_typeEbEEZZNS1_14partition_implILS5_0ELb0ES3_jN6thrust23THRUST_200600_302600_NS6detail15normal_iteratorINSA_10device_ptrIyEEEEPS6_SG_NS0_5tupleIJNSA_16discard_iteratorINSA_11use_defaultEEESK_EEENSH_IJSG_SG_EEES6_PlJ7is_evenIyEEEE10hipError_tPvRmT3_T4_T5_T6_T7_T9_mT8_P12ihipStream_tbDpT10_ENKUlT_T0_E_clISt17integral_constantIbLb0EES18_IbLb1EEEEDaS14_S15_EUlS14_E_NS1_11comp_targetILNS1_3genE0ELNS1_11target_archE4294967295ELNS1_3gpuE0ELNS1_3repE0EEENS1_30default_config_static_selectorELNS0_4arch9wavefront6targetE1EEEvT1_,"axG",@progbits,_ZN7rocprim17ROCPRIM_400000_NS6detail17trampoline_kernelINS0_14default_configENS1_25partition_config_selectorILNS1_17partition_subalgoE0EyNS0_10empty_typeEbEEZZNS1_14partition_implILS5_0ELb0ES3_jN6thrust23THRUST_200600_302600_NS6detail15normal_iteratorINSA_10device_ptrIyEEEEPS6_SG_NS0_5tupleIJNSA_16discard_iteratorINSA_11use_defaultEEESK_EEENSH_IJSG_SG_EEES6_PlJ7is_evenIyEEEE10hipError_tPvRmT3_T4_T5_T6_T7_T9_mT8_P12ihipStream_tbDpT10_ENKUlT_T0_E_clISt17integral_constantIbLb0EES18_IbLb1EEEEDaS14_S15_EUlS14_E_NS1_11comp_targetILNS1_3genE0ELNS1_11target_archE4294967295ELNS1_3gpuE0ELNS1_3repE0EEENS1_30default_config_static_selectorELNS0_4arch9wavefront6targetE1EEEvT1_,comdat
.Lfunc_end2323:
	.size	_ZN7rocprim17ROCPRIM_400000_NS6detail17trampoline_kernelINS0_14default_configENS1_25partition_config_selectorILNS1_17partition_subalgoE0EyNS0_10empty_typeEbEEZZNS1_14partition_implILS5_0ELb0ES3_jN6thrust23THRUST_200600_302600_NS6detail15normal_iteratorINSA_10device_ptrIyEEEEPS6_SG_NS0_5tupleIJNSA_16discard_iteratorINSA_11use_defaultEEESK_EEENSH_IJSG_SG_EEES6_PlJ7is_evenIyEEEE10hipError_tPvRmT3_T4_T5_T6_T7_T9_mT8_P12ihipStream_tbDpT10_ENKUlT_T0_E_clISt17integral_constantIbLb0EES18_IbLb1EEEEDaS14_S15_EUlS14_E_NS1_11comp_targetILNS1_3genE0ELNS1_11target_archE4294967295ELNS1_3gpuE0ELNS1_3repE0EEENS1_30default_config_static_selectorELNS0_4arch9wavefront6targetE1EEEvT1_, .Lfunc_end2323-_ZN7rocprim17ROCPRIM_400000_NS6detail17trampoline_kernelINS0_14default_configENS1_25partition_config_selectorILNS1_17partition_subalgoE0EyNS0_10empty_typeEbEEZZNS1_14partition_implILS5_0ELb0ES3_jN6thrust23THRUST_200600_302600_NS6detail15normal_iteratorINSA_10device_ptrIyEEEEPS6_SG_NS0_5tupleIJNSA_16discard_iteratorINSA_11use_defaultEEESK_EEENSH_IJSG_SG_EEES6_PlJ7is_evenIyEEEE10hipError_tPvRmT3_T4_T5_T6_T7_T9_mT8_P12ihipStream_tbDpT10_ENKUlT_T0_E_clISt17integral_constantIbLb0EES18_IbLb1EEEEDaS14_S15_EUlS14_E_NS1_11comp_targetILNS1_3genE0ELNS1_11target_archE4294967295ELNS1_3gpuE0ELNS1_3repE0EEENS1_30default_config_static_selectorELNS0_4arch9wavefront6targetE1EEEvT1_
                                        ; -- End function
	.section	.AMDGPU.csdata,"",@progbits
; Kernel info:
; codeLenInByte = 0
; NumSgprs: 4
; NumVgprs: 0
; NumAgprs: 0
; TotalNumVgprs: 0
; ScratchSize: 0
; MemoryBound: 0
; FloatMode: 240
; IeeeMode: 1
; LDSByteSize: 0 bytes/workgroup (compile time only)
; SGPRBlocks: 0
; VGPRBlocks: 0
; NumSGPRsForWavesPerEU: 4
; NumVGPRsForWavesPerEU: 1
; AccumOffset: 4
; Occupancy: 8
; WaveLimiterHint : 0
; COMPUTE_PGM_RSRC2:SCRATCH_EN: 0
; COMPUTE_PGM_RSRC2:USER_SGPR: 6
; COMPUTE_PGM_RSRC2:TRAP_HANDLER: 0
; COMPUTE_PGM_RSRC2:TGID_X_EN: 1
; COMPUTE_PGM_RSRC2:TGID_Y_EN: 0
; COMPUTE_PGM_RSRC2:TGID_Z_EN: 0
; COMPUTE_PGM_RSRC2:TIDIG_COMP_CNT: 0
; COMPUTE_PGM_RSRC3_GFX90A:ACCUM_OFFSET: 0
; COMPUTE_PGM_RSRC3_GFX90A:TG_SPLIT: 0
	.section	.text._ZN7rocprim17ROCPRIM_400000_NS6detail17trampoline_kernelINS0_14default_configENS1_25partition_config_selectorILNS1_17partition_subalgoE0EyNS0_10empty_typeEbEEZZNS1_14partition_implILS5_0ELb0ES3_jN6thrust23THRUST_200600_302600_NS6detail15normal_iteratorINSA_10device_ptrIyEEEEPS6_SG_NS0_5tupleIJNSA_16discard_iteratorINSA_11use_defaultEEESK_EEENSH_IJSG_SG_EEES6_PlJ7is_evenIyEEEE10hipError_tPvRmT3_T4_T5_T6_T7_T9_mT8_P12ihipStream_tbDpT10_ENKUlT_T0_E_clISt17integral_constantIbLb0EES18_IbLb1EEEEDaS14_S15_EUlS14_E_NS1_11comp_targetILNS1_3genE5ELNS1_11target_archE942ELNS1_3gpuE9ELNS1_3repE0EEENS1_30default_config_static_selectorELNS0_4arch9wavefront6targetE1EEEvT1_,"axG",@progbits,_ZN7rocprim17ROCPRIM_400000_NS6detail17trampoline_kernelINS0_14default_configENS1_25partition_config_selectorILNS1_17partition_subalgoE0EyNS0_10empty_typeEbEEZZNS1_14partition_implILS5_0ELb0ES3_jN6thrust23THRUST_200600_302600_NS6detail15normal_iteratorINSA_10device_ptrIyEEEEPS6_SG_NS0_5tupleIJNSA_16discard_iteratorINSA_11use_defaultEEESK_EEENSH_IJSG_SG_EEES6_PlJ7is_evenIyEEEE10hipError_tPvRmT3_T4_T5_T6_T7_T9_mT8_P12ihipStream_tbDpT10_ENKUlT_T0_E_clISt17integral_constantIbLb0EES18_IbLb1EEEEDaS14_S15_EUlS14_E_NS1_11comp_targetILNS1_3genE5ELNS1_11target_archE942ELNS1_3gpuE9ELNS1_3repE0EEENS1_30default_config_static_selectorELNS0_4arch9wavefront6targetE1EEEvT1_,comdat
	.protected	_ZN7rocprim17ROCPRIM_400000_NS6detail17trampoline_kernelINS0_14default_configENS1_25partition_config_selectorILNS1_17partition_subalgoE0EyNS0_10empty_typeEbEEZZNS1_14partition_implILS5_0ELb0ES3_jN6thrust23THRUST_200600_302600_NS6detail15normal_iteratorINSA_10device_ptrIyEEEEPS6_SG_NS0_5tupleIJNSA_16discard_iteratorINSA_11use_defaultEEESK_EEENSH_IJSG_SG_EEES6_PlJ7is_evenIyEEEE10hipError_tPvRmT3_T4_T5_T6_T7_T9_mT8_P12ihipStream_tbDpT10_ENKUlT_T0_E_clISt17integral_constantIbLb0EES18_IbLb1EEEEDaS14_S15_EUlS14_E_NS1_11comp_targetILNS1_3genE5ELNS1_11target_archE942ELNS1_3gpuE9ELNS1_3repE0EEENS1_30default_config_static_selectorELNS0_4arch9wavefront6targetE1EEEvT1_ ; -- Begin function _ZN7rocprim17ROCPRIM_400000_NS6detail17trampoline_kernelINS0_14default_configENS1_25partition_config_selectorILNS1_17partition_subalgoE0EyNS0_10empty_typeEbEEZZNS1_14partition_implILS5_0ELb0ES3_jN6thrust23THRUST_200600_302600_NS6detail15normal_iteratorINSA_10device_ptrIyEEEEPS6_SG_NS0_5tupleIJNSA_16discard_iteratorINSA_11use_defaultEEESK_EEENSH_IJSG_SG_EEES6_PlJ7is_evenIyEEEE10hipError_tPvRmT3_T4_T5_T6_T7_T9_mT8_P12ihipStream_tbDpT10_ENKUlT_T0_E_clISt17integral_constantIbLb0EES18_IbLb1EEEEDaS14_S15_EUlS14_E_NS1_11comp_targetILNS1_3genE5ELNS1_11target_archE942ELNS1_3gpuE9ELNS1_3repE0EEENS1_30default_config_static_selectorELNS0_4arch9wavefront6targetE1EEEvT1_
	.globl	_ZN7rocprim17ROCPRIM_400000_NS6detail17trampoline_kernelINS0_14default_configENS1_25partition_config_selectorILNS1_17partition_subalgoE0EyNS0_10empty_typeEbEEZZNS1_14partition_implILS5_0ELb0ES3_jN6thrust23THRUST_200600_302600_NS6detail15normal_iteratorINSA_10device_ptrIyEEEEPS6_SG_NS0_5tupleIJNSA_16discard_iteratorINSA_11use_defaultEEESK_EEENSH_IJSG_SG_EEES6_PlJ7is_evenIyEEEE10hipError_tPvRmT3_T4_T5_T6_T7_T9_mT8_P12ihipStream_tbDpT10_ENKUlT_T0_E_clISt17integral_constantIbLb0EES18_IbLb1EEEEDaS14_S15_EUlS14_E_NS1_11comp_targetILNS1_3genE5ELNS1_11target_archE942ELNS1_3gpuE9ELNS1_3repE0EEENS1_30default_config_static_selectorELNS0_4arch9wavefront6targetE1EEEvT1_
	.p2align	8
	.type	_ZN7rocprim17ROCPRIM_400000_NS6detail17trampoline_kernelINS0_14default_configENS1_25partition_config_selectorILNS1_17partition_subalgoE0EyNS0_10empty_typeEbEEZZNS1_14partition_implILS5_0ELb0ES3_jN6thrust23THRUST_200600_302600_NS6detail15normal_iteratorINSA_10device_ptrIyEEEEPS6_SG_NS0_5tupleIJNSA_16discard_iteratorINSA_11use_defaultEEESK_EEENSH_IJSG_SG_EEES6_PlJ7is_evenIyEEEE10hipError_tPvRmT3_T4_T5_T6_T7_T9_mT8_P12ihipStream_tbDpT10_ENKUlT_T0_E_clISt17integral_constantIbLb0EES18_IbLb1EEEEDaS14_S15_EUlS14_E_NS1_11comp_targetILNS1_3genE5ELNS1_11target_archE942ELNS1_3gpuE9ELNS1_3repE0EEENS1_30default_config_static_selectorELNS0_4arch9wavefront6targetE1EEEvT1_,@function
_ZN7rocprim17ROCPRIM_400000_NS6detail17trampoline_kernelINS0_14default_configENS1_25partition_config_selectorILNS1_17partition_subalgoE0EyNS0_10empty_typeEbEEZZNS1_14partition_implILS5_0ELb0ES3_jN6thrust23THRUST_200600_302600_NS6detail15normal_iteratorINSA_10device_ptrIyEEEEPS6_SG_NS0_5tupleIJNSA_16discard_iteratorINSA_11use_defaultEEESK_EEENSH_IJSG_SG_EEES6_PlJ7is_evenIyEEEE10hipError_tPvRmT3_T4_T5_T6_T7_T9_mT8_P12ihipStream_tbDpT10_ENKUlT_T0_E_clISt17integral_constantIbLb0EES18_IbLb1EEEEDaS14_S15_EUlS14_E_NS1_11comp_targetILNS1_3genE5ELNS1_11target_archE942ELNS1_3gpuE9ELNS1_3repE0EEENS1_30default_config_static_selectorELNS0_4arch9wavefront6targetE1EEEvT1_: ; @_ZN7rocprim17ROCPRIM_400000_NS6detail17trampoline_kernelINS0_14default_configENS1_25partition_config_selectorILNS1_17partition_subalgoE0EyNS0_10empty_typeEbEEZZNS1_14partition_implILS5_0ELb0ES3_jN6thrust23THRUST_200600_302600_NS6detail15normal_iteratorINSA_10device_ptrIyEEEEPS6_SG_NS0_5tupleIJNSA_16discard_iteratorINSA_11use_defaultEEESK_EEENSH_IJSG_SG_EEES6_PlJ7is_evenIyEEEE10hipError_tPvRmT3_T4_T5_T6_T7_T9_mT8_P12ihipStream_tbDpT10_ENKUlT_T0_E_clISt17integral_constantIbLb0EES18_IbLb1EEEEDaS14_S15_EUlS14_E_NS1_11comp_targetILNS1_3genE5ELNS1_11target_archE942ELNS1_3gpuE9ELNS1_3repE0EEENS1_30default_config_static_selectorELNS0_4arch9wavefront6targetE1EEEvT1_
; %bb.0:
	.section	.rodata,"a",@progbits
	.p2align	6, 0x0
	.amdhsa_kernel _ZN7rocprim17ROCPRIM_400000_NS6detail17trampoline_kernelINS0_14default_configENS1_25partition_config_selectorILNS1_17partition_subalgoE0EyNS0_10empty_typeEbEEZZNS1_14partition_implILS5_0ELb0ES3_jN6thrust23THRUST_200600_302600_NS6detail15normal_iteratorINSA_10device_ptrIyEEEEPS6_SG_NS0_5tupleIJNSA_16discard_iteratorINSA_11use_defaultEEESK_EEENSH_IJSG_SG_EEES6_PlJ7is_evenIyEEEE10hipError_tPvRmT3_T4_T5_T6_T7_T9_mT8_P12ihipStream_tbDpT10_ENKUlT_T0_E_clISt17integral_constantIbLb0EES18_IbLb1EEEEDaS14_S15_EUlS14_E_NS1_11comp_targetILNS1_3genE5ELNS1_11target_archE942ELNS1_3gpuE9ELNS1_3repE0EEENS1_30default_config_static_selectorELNS0_4arch9wavefront6targetE1EEEvT1_
		.amdhsa_group_segment_fixed_size 0
		.amdhsa_private_segment_fixed_size 0
		.amdhsa_kernarg_size 152
		.amdhsa_user_sgpr_count 6
		.amdhsa_user_sgpr_private_segment_buffer 1
		.amdhsa_user_sgpr_dispatch_ptr 0
		.amdhsa_user_sgpr_queue_ptr 0
		.amdhsa_user_sgpr_kernarg_segment_ptr 1
		.amdhsa_user_sgpr_dispatch_id 0
		.amdhsa_user_sgpr_flat_scratch_init 0
		.amdhsa_user_sgpr_kernarg_preload_length 0
		.amdhsa_user_sgpr_kernarg_preload_offset 0
		.amdhsa_user_sgpr_private_segment_size 0
		.amdhsa_uses_dynamic_stack 0
		.amdhsa_system_sgpr_private_segment_wavefront_offset 0
		.amdhsa_system_sgpr_workgroup_id_x 1
		.amdhsa_system_sgpr_workgroup_id_y 0
		.amdhsa_system_sgpr_workgroup_id_z 0
		.amdhsa_system_sgpr_workgroup_info 0
		.amdhsa_system_vgpr_workitem_id 0
		.amdhsa_next_free_vgpr 1
		.amdhsa_next_free_sgpr 0
		.amdhsa_accum_offset 4
		.amdhsa_reserve_vcc 0
		.amdhsa_reserve_flat_scratch 0
		.amdhsa_float_round_mode_32 0
		.amdhsa_float_round_mode_16_64 0
		.amdhsa_float_denorm_mode_32 3
		.amdhsa_float_denorm_mode_16_64 3
		.amdhsa_dx10_clamp 1
		.amdhsa_ieee_mode 1
		.amdhsa_fp16_overflow 0
		.amdhsa_tg_split 0
		.amdhsa_exception_fp_ieee_invalid_op 0
		.amdhsa_exception_fp_denorm_src 0
		.amdhsa_exception_fp_ieee_div_zero 0
		.amdhsa_exception_fp_ieee_overflow 0
		.amdhsa_exception_fp_ieee_underflow 0
		.amdhsa_exception_fp_ieee_inexact 0
		.amdhsa_exception_int_div_zero 0
	.end_amdhsa_kernel
	.section	.text._ZN7rocprim17ROCPRIM_400000_NS6detail17trampoline_kernelINS0_14default_configENS1_25partition_config_selectorILNS1_17partition_subalgoE0EyNS0_10empty_typeEbEEZZNS1_14partition_implILS5_0ELb0ES3_jN6thrust23THRUST_200600_302600_NS6detail15normal_iteratorINSA_10device_ptrIyEEEEPS6_SG_NS0_5tupleIJNSA_16discard_iteratorINSA_11use_defaultEEESK_EEENSH_IJSG_SG_EEES6_PlJ7is_evenIyEEEE10hipError_tPvRmT3_T4_T5_T6_T7_T9_mT8_P12ihipStream_tbDpT10_ENKUlT_T0_E_clISt17integral_constantIbLb0EES18_IbLb1EEEEDaS14_S15_EUlS14_E_NS1_11comp_targetILNS1_3genE5ELNS1_11target_archE942ELNS1_3gpuE9ELNS1_3repE0EEENS1_30default_config_static_selectorELNS0_4arch9wavefront6targetE1EEEvT1_,"axG",@progbits,_ZN7rocprim17ROCPRIM_400000_NS6detail17trampoline_kernelINS0_14default_configENS1_25partition_config_selectorILNS1_17partition_subalgoE0EyNS0_10empty_typeEbEEZZNS1_14partition_implILS5_0ELb0ES3_jN6thrust23THRUST_200600_302600_NS6detail15normal_iteratorINSA_10device_ptrIyEEEEPS6_SG_NS0_5tupleIJNSA_16discard_iteratorINSA_11use_defaultEEESK_EEENSH_IJSG_SG_EEES6_PlJ7is_evenIyEEEE10hipError_tPvRmT3_T4_T5_T6_T7_T9_mT8_P12ihipStream_tbDpT10_ENKUlT_T0_E_clISt17integral_constantIbLb0EES18_IbLb1EEEEDaS14_S15_EUlS14_E_NS1_11comp_targetILNS1_3genE5ELNS1_11target_archE942ELNS1_3gpuE9ELNS1_3repE0EEENS1_30default_config_static_selectorELNS0_4arch9wavefront6targetE1EEEvT1_,comdat
.Lfunc_end2324:
	.size	_ZN7rocprim17ROCPRIM_400000_NS6detail17trampoline_kernelINS0_14default_configENS1_25partition_config_selectorILNS1_17partition_subalgoE0EyNS0_10empty_typeEbEEZZNS1_14partition_implILS5_0ELb0ES3_jN6thrust23THRUST_200600_302600_NS6detail15normal_iteratorINSA_10device_ptrIyEEEEPS6_SG_NS0_5tupleIJNSA_16discard_iteratorINSA_11use_defaultEEESK_EEENSH_IJSG_SG_EEES6_PlJ7is_evenIyEEEE10hipError_tPvRmT3_T4_T5_T6_T7_T9_mT8_P12ihipStream_tbDpT10_ENKUlT_T0_E_clISt17integral_constantIbLb0EES18_IbLb1EEEEDaS14_S15_EUlS14_E_NS1_11comp_targetILNS1_3genE5ELNS1_11target_archE942ELNS1_3gpuE9ELNS1_3repE0EEENS1_30default_config_static_selectorELNS0_4arch9wavefront6targetE1EEEvT1_, .Lfunc_end2324-_ZN7rocprim17ROCPRIM_400000_NS6detail17trampoline_kernelINS0_14default_configENS1_25partition_config_selectorILNS1_17partition_subalgoE0EyNS0_10empty_typeEbEEZZNS1_14partition_implILS5_0ELb0ES3_jN6thrust23THRUST_200600_302600_NS6detail15normal_iteratorINSA_10device_ptrIyEEEEPS6_SG_NS0_5tupleIJNSA_16discard_iteratorINSA_11use_defaultEEESK_EEENSH_IJSG_SG_EEES6_PlJ7is_evenIyEEEE10hipError_tPvRmT3_T4_T5_T6_T7_T9_mT8_P12ihipStream_tbDpT10_ENKUlT_T0_E_clISt17integral_constantIbLb0EES18_IbLb1EEEEDaS14_S15_EUlS14_E_NS1_11comp_targetILNS1_3genE5ELNS1_11target_archE942ELNS1_3gpuE9ELNS1_3repE0EEENS1_30default_config_static_selectorELNS0_4arch9wavefront6targetE1EEEvT1_
                                        ; -- End function
	.section	.AMDGPU.csdata,"",@progbits
; Kernel info:
; codeLenInByte = 0
; NumSgprs: 4
; NumVgprs: 0
; NumAgprs: 0
; TotalNumVgprs: 0
; ScratchSize: 0
; MemoryBound: 0
; FloatMode: 240
; IeeeMode: 1
; LDSByteSize: 0 bytes/workgroup (compile time only)
; SGPRBlocks: 0
; VGPRBlocks: 0
; NumSGPRsForWavesPerEU: 4
; NumVGPRsForWavesPerEU: 1
; AccumOffset: 4
; Occupancy: 8
; WaveLimiterHint : 0
; COMPUTE_PGM_RSRC2:SCRATCH_EN: 0
; COMPUTE_PGM_RSRC2:USER_SGPR: 6
; COMPUTE_PGM_RSRC2:TRAP_HANDLER: 0
; COMPUTE_PGM_RSRC2:TGID_X_EN: 1
; COMPUTE_PGM_RSRC2:TGID_Y_EN: 0
; COMPUTE_PGM_RSRC2:TGID_Z_EN: 0
; COMPUTE_PGM_RSRC2:TIDIG_COMP_CNT: 0
; COMPUTE_PGM_RSRC3_GFX90A:ACCUM_OFFSET: 0
; COMPUTE_PGM_RSRC3_GFX90A:TG_SPLIT: 0
	.section	.text._ZN7rocprim17ROCPRIM_400000_NS6detail17trampoline_kernelINS0_14default_configENS1_25partition_config_selectorILNS1_17partition_subalgoE0EyNS0_10empty_typeEbEEZZNS1_14partition_implILS5_0ELb0ES3_jN6thrust23THRUST_200600_302600_NS6detail15normal_iteratorINSA_10device_ptrIyEEEEPS6_SG_NS0_5tupleIJNSA_16discard_iteratorINSA_11use_defaultEEESK_EEENSH_IJSG_SG_EEES6_PlJ7is_evenIyEEEE10hipError_tPvRmT3_T4_T5_T6_T7_T9_mT8_P12ihipStream_tbDpT10_ENKUlT_T0_E_clISt17integral_constantIbLb0EES18_IbLb1EEEEDaS14_S15_EUlS14_E_NS1_11comp_targetILNS1_3genE4ELNS1_11target_archE910ELNS1_3gpuE8ELNS1_3repE0EEENS1_30default_config_static_selectorELNS0_4arch9wavefront6targetE1EEEvT1_,"axG",@progbits,_ZN7rocprim17ROCPRIM_400000_NS6detail17trampoline_kernelINS0_14default_configENS1_25partition_config_selectorILNS1_17partition_subalgoE0EyNS0_10empty_typeEbEEZZNS1_14partition_implILS5_0ELb0ES3_jN6thrust23THRUST_200600_302600_NS6detail15normal_iteratorINSA_10device_ptrIyEEEEPS6_SG_NS0_5tupleIJNSA_16discard_iteratorINSA_11use_defaultEEESK_EEENSH_IJSG_SG_EEES6_PlJ7is_evenIyEEEE10hipError_tPvRmT3_T4_T5_T6_T7_T9_mT8_P12ihipStream_tbDpT10_ENKUlT_T0_E_clISt17integral_constantIbLb0EES18_IbLb1EEEEDaS14_S15_EUlS14_E_NS1_11comp_targetILNS1_3genE4ELNS1_11target_archE910ELNS1_3gpuE8ELNS1_3repE0EEENS1_30default_config_static_selectorELNS0_4arch9wavefront6targetE1EEEvT1_,comdat
	.protected	_ZN7rocprim17ROCPRIM_400000_NS6detail17trampoline_kernelINS0_14default_configENS1_25partition_config_selectorILNS1_17partition_subalgoE0EyNS0_10empty_typeEbEEZZNS1_14partition_implILS5_0ELb0ES3_jN6thrust23THRUST_200600_302600_NS6detail15normal_iteratorINSA_10device_ptrIyEEEEPS6_SG_NS0_5tupleIJNSA_16discard_iteratorINSA_11use_defaultEEESK_EEENSH_IJSG_SG_EEES6_PlJ7is_evenIyEEEE10hipError_tPvRmT3_T4_T5_T6_T7_T9_mT8_P12ihipStream_tbDpT10_ENKUlT_T0_E_clISt17integral_constantIbLb0EES18_IbLb1EEEEDaS14_S15_EUlS14_E_NS1_11comp_targetILNS1_3genE4ELNS1_11target_archE910ELNS1_3gpuE8ELNS1_3repE0EEENS1_30default_config_static_selectorELNS0_4arch9wavefront6targetE1EEEvT1_ ; -- Begin function _ZN7rocprim17ROCPRIM_400000_NS6detail17trampoline_kernelINS0_14default_configENS1_25partition_config_selectorILNS1_17partition_subalgoE0EyNS0_10empty_typeEbEEZZNS1_14partition_implILS5_0ELb0ES3_jN6thrust23THRUST_200600_302600_NS6detail15normal_iteratorINSA_10device_ptrIyEEEEPS6_SG_NS0_5tupleIJNSA_16discard_iteratorINSA_11use_defaultEEESK_EEENSH_IJSG_SG_EEES6_PlJ7is_evenIyEEEE10hipError_tPvRmT3_T4_T5_T6_T7_T9_mT8_P12ihipStream_tbDpT10_ENKUlT_T0_E_clISt17integral_constantIbLb0EES18_IbLb1EEEEDaS14_S15_EUlS14_E_NS1_11comp_targetILNS1_3genE4ELNS1_11target_archE910ELNS1_3gpuE8ELNS1_3repE0EEENS1_30default_config_static_selectorELNS0_4arch9wavefront6targetE1EEEvT1_
	.globl	_ZN7rocprim17ROCPRIM_400000_NS6detail17trampoline_kernelINS0_14default_configENS1_25partition_config_selectorILNS1_17partition_subalgoE0EyNS0_10empty_typeEbEEZZNS1_14partition_implILS5_0ELb0ES3_jN6thrust23THRUST_200600_302600_NS6detail15normal_iteratorINSA_10device_ptrIyEEEEPS6_SG_NS0_5tupleIJNSA_16discard_iteratorINSA_11use_defaultEEESK_EEENSH_IJSG_SG_EEES6_PlJ7is_evenIyEEEE10hipError_tPvRmT3_T4_T5_T6_T7_T9_mT8_P12ihipStream_tbDpT10_ENKUlT_T0_E_clISt17integral_constantIbLb0EES18_IbLb1EEEEDaS14_S15_EUlS14_E_NS1_11comp_targetILNS1_3genE4ELNS1_11target_archE910ELNS1_3gpuE8ELNS1_3repE0EEENS1_30default_config_static_selectorELNS0_4arch9wavefront6targetE1EEEvT1_
	.p2align	8
	.type	_ZN7rocprim17ROCPRIM_400000_NS6detail17trampoline_kernelINS0_14default_configENS1_25partition_config_selectorILNS1_17partition_subalgoE0EyNS0_10empty_typeEbEEZZNS1_14partition_implILS5_0ELb0ES3_jN6thrust23THRUST_200600_302600_NS6detail15normal_iteratorINSA_10device_ptrIyEEEEPS6_SG_NS0_5tupleIJNSA_16discard_iteratorINSA_11use_defaultEEESK_EEENSH_IJSG_SG_EEES6_PlJ7is_evenIyEEEE10hipError_tPvRmT3_T4_T5_T6_T7_T9_mT8_P12ihipStream_tbDpT10_ENKUlT_T0_E_clISt17integral_constantIbLb0EES18_IbLb1EEEEDaS14_S15_EUlS14_E_NS1_11comp_targetILNS1_3genE4ELNS1_11target_archE910ELNS1_3gpuE8ELNS1_3repE0EEENS1_30default_config_static_selectorELNS0_4arch9wavefront6targetE1EEEvT1_,@function
_ZN7rocprim17ROCPRIM_400000_NS6detail17trampoline_kernelINS0_14default_configENS1_25partition_config_selectorILNS1_17partition_subalgoE0EyNS0_10empty_typeEbEEZZNS1_14partition_implILS5_0ELb0ES3_jN6thrust23THRUST_200600_302600_NS6detail15normal_iteratorINSA_10device_ptrIyEEEEPS6_SG_NS0_5tupleIJNSA_16discard_iteratorINSA_11use_defaultEEESK_EEENSH_IJSG_SG_EEES6_PlJ7is_evenIyEEEE10hipError_tPvRmT3_T4_T5_T6_T7_T9_mT8_P12ihipStream_tbDpT10_ENKUlT_T0_E_clISt17integral_constantIbLb0EES18_IbLb1EEEEDaS14_S15_EUlS14_E_NS1_11comp_targetILNS1_3genE4ELNS1_11target_archE910ELNS1_3gpuE8ELNS1_3repE0EEENS1_30default_config_static_selectorELNS0_4arch9wavefront6targetE1EEEvT1_: ; @_ZN7rocprim17ROCPRIM_400000_NS6detail17trampoline_kernelINS0_14default_configENS1_25partition_config_selectorILNS1_17partition_subalgoE0EyNS0_10empty_typeEbEEZZNS1_14partition_implILS5_0ELb0ES3_jN6thrust23THRUST_200600_302600_NS6detail15normal_iteratorINSA_10device_ptrIyEEEEPS6_SG_NS0_5tupleIJNSA_16discard_iteratorINSA_11use_defaultEEESK_EEENSH_IJSG_SG_EEES6_PlJ7is_evenIyEEEE10hipError_tPvRmT3_T4_T5_T6_T7_T9_mT8_P12ihipStream_tbDpT10_ENKUlT_T0_E_clISt17integral_constantIbLb0EES18_IbLb1EEEEDaS14_S15_EUlS14_E_NS1_11comp_targetILNS1_3genE4ELNS1_11target_archE910ELNS1_3gpuE8ELNS1_3repE0EEENS1_30default_config_static_selectorELNS0_4arch9wavefront6targetE1EEEvT1_
; %bb.0:
	s_load_dwordx2 s[2:3], s[4:5], 0x68
	s_load_dwordx4 s[20:23], s[4:5], 0x58
	s_load_dwordx2 s[18:19], s[4:5], 0x78
	v_cmp_eq_u32_e64 s[0:1], 0, v0
	s_and_saveexec_b64 s[6:7], s[0:1]
	s_cbranch_execz .LBB2325_4
; %bb.1:
	s_mov_b64 s[10:11], exec
	v_mbcnt_lo_u32_b32 v1, s10, 0
	v_mbcnt_hi_u32_b32 v1, s11, v1
	v_cmp_eq_u32_e32 vcc, 0, v1
                                        ; implicit-def: $vgpr2
	s_and_saveexec_b64 s[8:9], vcc
	s_cbranch_execz .LBB2325_3
; %bb.2:
	s_load_dwordx2 s[12:13], s[4:5], 0x88
	s_bcnt1_i32_b64 s10, s[10:11]
	v_mov_b32_e32 v2, 0
	v_mov_b32_e32 v3, s10
	s_waitcnt lgkmcnt(0)
	global_atomic_add v2, v2, v3, s[12:13] glc
.LBB2325_3:
	s_or_b64 exec, exec, s[8:9]
	s_waitcnt vmcnt(0)
	v_readfirstlane_b32 s8, v2
	v_add_u32_e32 v1, s8, v1
	v_mov_b32_e32 v2, 0
	ds_write_b32 v2, v1
.LBB2325_4:
	s_or_b64 exec, exec, s[6:7]
	v_mov_b32_e32 v3, 0
	s_load_dwordx4 s[8:11], s[4:5], 0x8
	s_load_dword s6, s[4:5], 0x80
	s_waitcnt lgkmcnt(0)
	s_barrier
	ds_read_b32 v1, v3
	s_waitcnt lgkmcnt(0)
	s_barrier
	global_load_dwordx2 v[10:11], v3, s[22:23]
	v_mov_b32_e32 v5, s3
	s_lshl_b64 s[4:5], s[10:11], 3
	s_movk_i32 s3, 0x300
	s_add_u32 s4, s8, s4
	v_mul_lo_u32 v2, v1, s3
	s_mul_i32 s3, s6, 0x300
	s_addc_u32 s5, s9, s5
	s_add_i32 s7, s6, -1
	s_add_i32 s6, s3, s10
	s_sub_i32 s6, s2, s6
	v_mov_b32_e32 v4, s2
	s_add_u32 s2, s10, s3
	v_readfirstlane_b32 s30, v1
	s_addc_u32 s3, s11, 0
	s_cmp_eq_u32 s30, s7
	s_cselect_b64 s[22:23], -1, 0
	s_cmp_lg_u32 s30, s7
	v_cmp_lt_u64_e32 vcc, s[2:3], v[4:5]
	s_cselect_b64 s[2:3], -1, 0
	v_lshlrev_b64 v[2:3], 3, v[2:3]
	s_or_b64 s[2:3], vcc, s[2:3]
	v_mov_b32_e32 v1, s5
	v_add_co_u32_e32 v13, vcc, s4, v2
	v_addc_co_u32_e32 v14, vcc, v1, v3, vcc
	s_mov_b64 s[4:5], -1
	s_and_b64 vcc, exec, s[2:3]
	v_lshlrev_b32_e32 v1, 3, v0
	v_lshrrev_b32_e32 v12, 2, v0
	s_cbranch_vccz .LBB2325_6
; %bb.5:
	v_add_co_u32_e32 v2, vcc, v13, v1
	v_addc_co_u32_e32 v3, vcc, 0, v14, vcc
	v_add_co_u32_e32 v4, vcc, 0x1000, v2
	v_addc_co_u32_e32 v5, vcc, 0, v3, vcc
	flat_load_dwordx2 v[6:7], v[2:3]
	flat_load_dwordx2 v[8:9], v[2:3] offset:1536
	flat_load_dwordx2 v[16:17], v[2:3] offset:3072
	;; [unrolled: 1-line block ×3, first 2 shown]
	v_add_u32_e32 v3, 0xc0, v0
	v_add_u32_e32 v4, 0x180, v0
	;; [unrolled: 1-line block ×3, first 2 shown]
	v_and_b32_e32 v2, 56, v12
	v_lshrrev_b32_e32 v3, 2, v3
	v_lshrrev_b32_e32 v4, 2, v4
	;; [unrolled: 1-line block ×3, first 2 shown]
	v_add_u32_e32 v2, v2, v1
	v_and_b32_e32 v3, 0x78, v3
	v_and_b32_e32 v4, 0xf8, v4
	;; [unrolled: 1-line block ×3, first 2 shown]
	v_add_u32_e32 v3, v3, v1
	v_add_u32_e32 v4, v4, v1
	;; [unrolled: 1-line block ×3, first 2 shown]
	s_mov_b64 s[4:5], 0
	s_waitcnt vmcnt(0) lgkmcnt(0)
	ds_write_b64 v2, v[6:7]
	ds_write_b64 v3, v[8:9] offset:1536
	ds_write_b64 v4, v[16:17] offset:3072
	;; [unrolled: 1-line block ×3, first 2 shown]
	s_waitcnt lgkmcnt(0)
	s_barrier
.LBB2325_6:
	s_andn2_b64 vcc, exec, s[4:5]
	s_addk_i32 s6, 0x300
	s_cbranch_vccnz .LBB2325_16
; %bb.7:
	v_cmp_gt_u32_e32 vcc, s6, v0
                                        ; implicit-def: $vgpr2_vgpr3_vgpr4_vgpr5_vgpr6_vgpr7_vgpr8_vgpr9
	s_and_saveexec_b64 s[4:5], vcc
	s_cbranch_execz .LBB2325_9
; %bb.8:
	v_add_co_u32_e32 v2, vcc, v13, v1
	v_addc_co_u32_e32 v3, vcc, 0, v14, vcc
	flat_load_dwordx2 v[2:3], v[2:3]
.LBB2325_9:
	s_or_b64 exec, exec, s[4:5]
	v_add_u32_e32 v15, 0xc0, v0
	v_cmp_gt_u32_e32 vcc, s6, v15
	s_and_saveexec_b64 s[4:5], vcc
	s_cbranch_execz .LBB2325_11
; %bb.10:
	v_add_co_u32_e32 v4, vcc, v13, v1
	v_addc_co_u32_e32 v5, vcc, 0, v14, vcc
	flat_load_dwordx2 v[4:5], v[4:5] offset:1536
.LBB2325_11:
	s_or_b64 exec, exec, s[4:5]
	v_add_u32_e32 v16, 0x180, v0
	v_cmp_gt_u32_e32 vcc, s6, v16
	s_and_saveexec_b64 s[4:5], vcc
	s_cbranch_execz .LBB2325_13
; %bb.12:
	v_add_co_u32_e32 v6, vcc, v13, v1
	v_addc_co_u32_e32 v7, vcc, 0, v14, vcc
	flat_load_dwordx2 v[6:7], v[6:7] offset:3072
.LBB2325_13:
	s_or_b64 exec, exec, s[4:5]
	v_add_u32_e32 v17, 0x240, v0
	v_cmp_gt_u32_e32 vcc, s6, v17
	s_and_saveexec_b64 s[4:5], vcc
	s_cbranch_execz .LBB2325_15
; %bb.14:
	v_lshlrev_b32_e32 v8, 3, v17
	v_add_co_u32_e32 v8, vcc, v13, v8
	v_addc_co_u32_e32 v9, vcc, 0, v14, vcc
	flat_load_dwordx2 v[8:9], v[8:9]
.LBB2325_15:
	s_or_b64 exec, exec, s[4:5]
	v_and_b32_e32 v12, 56, v12
	v_add_u32_e32 v12, v12, v1
	s_waitcnt vmcnt(0) lgkmcnt(0)
	ds_write_b64 v12, v[2:3]
	v_lshrrev_b32_e32 v2, 2, v15
	v_and_b32_e32 v2, 0x78, v2
	v_add_u32_e32 v2, v2, v1
	ds_write_b64 v2, v[4:5] offset:1536
	v_lshrrev_b32_e32 v2, 2, v16
	v_and_b32_e32 v2, 0xf8, v2
	v_add_u32_e32 v2, v2, v1
	ds_write_b64 v2, v[6:7] offset:3072
	;; [unrolled: 4-line block ×3, first 2 shown]
	s_waitcnt lgkmcnt(0)
	s_barrier
.LBB2325_16:
	v_lshlrev_b32_e32 v1, 2, v0
	v_lshrrev_b32_e32 v2, 3, v0
	v_add_lshl_u32 v2, v2, v1, 3
	ds_read2_b64 v[6:9], v2 offset1:1
	ds_read2_b64 v[2:5], v2 offset0:2 offset1:3
	s_andn2_b64 vcc, exec, s[2:3]
	s_waitcnt lgkmcnt(0)
	s_barrier
	v_xor_b32_e32 v15, -1, v6
	v_xor_b32_e32 v14, -1, v8
	;; [unrolled: 1-line block ×4, first 2 shown]
	s_cbranch_vccnz .LBB2325_18
; %bb.17:
	v_mov_b32_e32 v17, 1
	v_and_b32_e32 v16, 1, v15
	v_and_b32_sdwa v18, v14, v17 dst_sel:BYTE_1 dst_unused:UNUSED_PAD src0_sel:DWORD src1_sel:DWORD
	v_and_b32_e32 v19, 1, v13
	v_and_b32_sdwa v17, v12, v17 dst_sel:BYTE_1 dst_unused:UNUSED_PAD src0_sel:DWORD src1_sel:DWORD
	v_or_b32_e32 v16, v16, v18
	v_or_b32_sdwa v17, v19, v17 dst_sel:WORD_1 dst_unused:UNUSED_PAD src0_sel:DWORD src1_sel:DWORD
	v_or_b32_sdwa v22, v16, v17 dst_sel:DWORD dst_unused:UNUSED_PAD src0_sel:WORD_0 src1_sel:DWORD
	s_cbranch_execz .LBB2325_19
	s_branch .LBB2325_20
.LBB2325_18:
                                        ; implicit-def: $vgpr22
.LBB2325_19:
	v_cmp_gt_u32_e32 vcc, s6, v1
	v_cndmask_b32_e64 v16, 0, 1, vcc
	v_and_b32_e32 v15, v16, v15
	v_or_b32_e32 v16, 1, v1
	v_cmp_gt_u32_e32 vcc, s6, v16
	v_cndmask_b32_e64 v16, 0, 1, vcc
	v_and_b32_sdwa v14, v16, v14 dst_sel:BYTE_1 dst_unused:UNUSED_PAD src0_sel:DWORD src1_sel:DWORD
	v_or_b32_e32 v16, 2, v1
	v_cmp_gt_u32_e32 vcc, s6, v16
	v_cndmask_b32_e64 v16, 0, 1, vcc
	v_and_b32_e32 v13, v16, v13
	v_or_b32_e32 v16, 3, v1
	v_cmp_gt_u32_e32 vcc, s6, v16
	v_cndmask_b32_e64 v16, 0, 1, vcc
	v_and_b32_sdwa v12, v16, v12 dst_sel:BYTE_1 dst_unused:UNUSED_PAD src0_sel:DWORD src1_sel:DWORD
	v_or_b32_e32 v14, v15, v14
	v_or_b32_sdwa v12, v13, v12 dst_sel:WORD_1 dst_unused:UNUSED_PAD src0_sel:DWORD src1_sel:DWORD
	v_or_b32_sdwa v22, v14, v12 dst_sel:DWORD dst_unused:UNUSED_PAD src0_sel:WORD_0 src1_sel:DWORD
.LBB2325_20:
	v_bfe_u32 v24, v22, 16, 8
	v_lshrrev_b32_e32 v23, 24, v22
	v_add_u32_sdwa v12, v22, v22 dst_sel:DWORD dst_unused:UNUSED_PAD src0_sel:BYTE_1 src1_sel:BYTE_0
	v_add3_u32 v27, v12, v24, v23
	v_mbcnt_lo_u32_b32 v12, -1, 0
	v_mbcnt_hi_u32_b32 v25, -1, v12
	v_and_b32_e32 v12, 15, v25
	v_cmp_eq_u32_e64 s[14:15], 0, v12
	v_cmp_lt_u32_e64 s[12:13], 1, v12
	v_cmp_lt_u32_e64 s[10:11], 3, v12
	v_cmp_lt_u32_e64 s[8:9], 7, v12
	v_and_b32_e32 v12, 16, v25
	v_cmp_eq_u32_e64 s[4:5], 0, v12
	v_and_b32_e32 v12, 0xc0, v0
	v_min_u32_e32 v12, 0x80, v12
	v_or_b32_e32 v12, 63, v12
	s_cmp_lg_u32 s30, 0
	v_cmp_lt_u32_e64 s[2:3], 31, v25
	v_lshrrev_b32_e32 v26, 6, v0
	v_cmp_eq_u32_e64 s[6:7], v12, v0
	s_cbranch_scc0 .LBB2325_47
; %bb.21:
	v_mov_b32_dpp v12, v27 row_shr:1 row_mask:0xf bank_mask:0xf
	v_cndmask_b32_e64 v12, v12, 0, s[14:15]
	v_add_u32_e32 v12, v12, v27
	s_nop 1
	v_mov_b32_dpp v13, v12 row_shr:2 row_mask:0xf bank_mask:0xf
	v_cndmask_b32_e64 v13, 0, v13, s[12:13]
	v_add_u32_e32 v12, v12, v13
	s_nop 1
	;; [unrolled: 4-line block ×4, first 2 shown]
	v_mov_b32_dpp v13, v12 row_bcast:15 row_mask:0xf bank_mask:0xf
	v_cndmask_b32_e64 v13, v13, 0, s[4:5]
	v_add_u32_e32 v12, v12, v13
	s_nop 1
	v_mov_b32_dpp v13, v12 row_bcast:31 row_mask:0xf bank_mask:0xf
	v_cndmask_b32_e64 v13, 0, v13, s[2:3]
	v_add_u32_e32 v12, v12, v13
	s_and_saveexec_b64 s[16:17], s[6:7]
	s_cbranch_execz .LBB2325_23
; %bb.22:
	v_lshlrev_b32_e32 v13, 2, v26
	ds_write_b32 v13, v12
.LBB2325_23:
	s_or_b64 exec, exec, s[16:17]
	v_cmp_gt_u32_e32 vcc, 3, v0
	s_waitcnt lgkmcnt(0)
	s_barrier
	s_and_saveexec_b64 s[16:17], vcc
	s_cbranch_execz .LBB2325_25
; %bb.24:
	ds_read_b32 v13, v1
	v_and_b32_e32 v14, 3, v25
	v_cmp_ne_u32_e32 vcc, 0, v14
	s_waitcnt lgkmcnt(0)
	v_mov_b32_dpp v15, v13 row_shr:1 row_mask:0xf bank_mask:0xf
	v_cndmask_b32_e32 v15, 0, v15, vcc
	v_add_u32_e32 v13, v15, v13
	v_cmp_lt_u32_e32 vcc, 1, v14
	s_nop 0
	v_mov_b32_dpp v15, v13 row_shr:2 row_mask:0xf bank_mask:0xf
	v_cndmask_b32_e32 v14, 0, v15, vcc
	v_add_u32_e32 v13, v13, v14
	ds_write_b32 v1, v13
.LBB2325_25:
	s_or_b64 exec, exec, s[16:17]
	v_cmp_gt_u32_e32 vcc, 64, v0
	v_cmp_lt_u32_e64 s[16:17], 63, v0
	s_waitcnt lgkmcnt(0)
	s_barrier
	s_waitcnt lgkmcnt(0)
                                        ; implicit-def: $vgpr28
	s_and_saveexec_b64 s[24:25], s[16:17]
	s_cbranch_execz .LBB2325_27
; %bb.26:
	v_lshl_add_u32 v13, v26, 2, -4
	ds_read_b32 v28, v13
	s_waitcnt lgkmcnt(0)
	v_add_u32_e32 v12, v28, v12
.LBB2325_27:
	s_or_b64 exec, exec, s[24:25]
	v_add_u32_e32 v13, -1, v25
	v_and_b32_e32 v14, 64, v25
	v_cmp_lt_i32_e64 s[16:17], v13, v14
	v_cndmask_b32_e64 v13, v13, v25, s[16:17]
	v_lshlrev_b32_e32 v13, 2, v13
	ds_bpermute_b32 v29, v13, v12
	v_cmp_eq_u32_e64 s[16:17], 0, v25
	s_and_saveexec_b64 s[24:25], vcc
	s_cbranch_execz .LBB2325_46
; %bb.28:
	v_mov_b32_e32 v19, 0
	ds_read_b32 v12, v19 offset:8
	s_and_saveexec_b64 s[26:27], s[16:17]
	s_cbranch_execz .LBB2325_30
; %bb.29:
	s_add_i32 s28, s30, 64
	s_mov_b32 s29, 0
	s_lshl_b64 s[28:29], s[28:29], 3
	s_add_u32 s28, s18, s28
	v_mov_b32_e32 v13, 1
	s_addc_u32 s29, s19, s29
	s_waitcnt lgkmcnt(0)
	global_store_dwordx2 v19, v[12:13], s[28:29]
.LBB2325_30:
	s_or_b64 exec, exec, s[26:27]
	v_xad_u32 v14, v25, -1, s30
	v_add_u32_e32 v18, 64, v14
	v_lshlrev_b64 v[16:17], 3, v[18:19]
	v_mov_b32_e32 v13, s19
	v_add_co_u32_e32 v20, vcc, s18, v16
	v_addc_co_u32_e32 v21, vcc, v13, v17, vcc
	global_load_dwordx2 v[16:17], v[20:21], off glc
	s_waitcnt vmcnt(0)
	v_cmp_eq_u16_sdwa s[28:29], v17, v19 src0_sel:BYTE_0 src1_sel:DWORD
	s_and_saveexec_b64 s[26:27], s[28:29]
	s_cbranch_execz .LBB2325_34
; %bb.31:
	s_mov_b64 s[28:29], 0
	v_mov_b32_e32 v13, 0
.LBB2325_32:                            ; =>This Inner Loop Header: Depth=1
	global_load_dwordx2 v[16:17], v[20:21], off glc
	s_waitcnt vmcnt(0)
	v_cmp_ne_u16_sdwa s[34:35], v17, v13 src0_sel:BYTE_0 src1_sel:DWORD
	s_or_b64 s[28:29], s[34:35], s[28:29]
	s_andn2_b64 exec, exec, s[28:29]
	s_cbranch_execnz .LBB2325_32
; %bb.33:
	s_or_b64 exec, exec, s[28:29]
.LBB2325_34:
	s_or_b64 exec, exec, s[26:27]
	v_and_b32_e32 v31, 63, v25
	v_mov_b32_e32 v30, 2
	v_cmp_ne_u32_e32 vcc, 63, v31
	v_cmp_eq_u16_sdwa s[26:27], v17, v30 src0_sel:BYTE_0 src1_sel:DWORD
	v_lshlrev_b64 v[18:19], v25, -1
	v_addc_co_u32_e32 v20, vcc, 0, v25, vcc
	v_and_b32_e32 v13, s27, v19
	v_lshlrev_b32_e32 v32, 2, v20
	v_or_b32_e32 v13, 0x80000000, v13
	ds_bpermute_b32 v20, v32, v16
	v_and_b32_e32 v15, s26, v18
	v_ffbl_b32_e32 v13, v13
	v_add_u32_e32 v13, 32, v13
	v_ffbl_b32_e32 v15, v15
	v_min_u32_e32 v13, v15, v13
	v_cmp_lt_u32_e32 vcc, v31, v13
	s_waitcnt lgkmcnt(0)
	v_cndmask_b32_e32 v15, 0, v20, vcc
	v_cmp_gt_u32_e32 vcc, 62, v31
	v_add_u32_e32 v15, v15, v16
	v_cndmask_b32_e64 v16, 0, 1, vcc
	v_lshlrev_b32_e32 v16, 1, v16
	v_add_lshl_u32 v33, v16, v25, 2
	ds_bpermute_b32 v16, v33, v15
	v_add_u32_e32 v34, 2, v31
	v_cmp_le_u32_e32 vcc, v34, v13
	v_add_u32_e32 v36, 4, v31
	v_add_u32_e32 v38, 8, v31
	s_waitcnt lgkmcnt(0)
	v_cndmask_b32_e32 v16, 0, v16, vcc
	v_cmp_gt_u32_e32 vcc, 60, v31
	v_add_u32_e32 v15, v15, v16
	v_cndmask_b32_e64 v16, 0, 1, vcc
	v_lshlrev_b32_e32 v16, 2, v16
	v_add_lshl_u32 v35, v16, v25, 2
	ds_bpermute_b32 v16, v35, v15
	v_cmp_le_u32_e32 vcc, v36, v13
	v_add_u32_e32 v40, 16, v31
	v_add_u32_e32 v42, 32, v31
	s_waitcnt lgkmcnt(0)
	v_cndmask_b32_e32 v16, 0, v16, vcc
	v_cmp_gt_u32_e32 vcc, 56, v31
	v_add_u32_e32 v15, v15, v16
	v_cndmask_b32_e64 v16, 0, 1, vcc
	v_lshlrev_b32_e32 v16, 3, v16
	v_add_lshl_u32 v37, v16, v25, 2
	ds_bpermute_b32 v16, v37, v15
	v_cmp_le_u32_e32 vcc, v38, v13
	s_waitcnt lgkmcnt(0)
	v_cndmask_b32_e32 v16, 0, v16, vcc
	v_cmp_gt_u32_e32 vcc, 48, v31
	v_add_u32_e32 v15, v15, v16
	v_cndmask_b32_e64 v16, 0, 1, vcc
	v_lshlrev_b32_e32 v16, 4, v16
	v_add_lshl_u32 v39, v16, v25, 2
	ds_bpermute_b32 v16, v39, v15
	v_cmp_le_u32_e32 vcc, v40, v13
	;; [unrolled: 9-line block ×3, first 2 shown]
	s_waitcnt lgkmcnt(0)
	v_cndmask_b32_e32 v13, 0, v16, vcc
	v_add_u32_e32 v16, v15, v13
	v_mov_b32_e32 v15, 0
	s_branch .LBB2325_36
.LBB2325_35:                            ;   in Loop: Header=BB2325_36 Depth=1
	s_or_b64 exec, exec, s[26:27]
	v_cmp_eq_u16_sdwa s[26:27], v17, v30 src0_sel:BYTE_0 src1_sel:DWORD
	v_and_b32_e32 v20, s27, v19
	v_or_b32_e32 v20, 0x80000000, v20
	ds_bpermute_b32 v43, v32, v16
	v_and_b32_e32 v21, s26, v18
	v_ffbl_b32_e32 v20, v20
	v_add_u32_e32 v20, 32, v20
	v_ffbl_b32_e32 v21, v21
	v_min_u32_e32 v20, v21, v20
	v_cmp_lt_u32_e32 vcc, v31, v20
	s_waitcnt lgkmcnt(0)
	v_cndmask_b32_e32 v21, 0, v43, vcc
	v_add_u32_e32 v16, v21, v16
	ds_bpermute_b32 v21, v33, v16
	v_cmp_le_u32_e32 vcc, v34, v20
	v_subrev_u32_e32 v14, 64, v14
	s_waitcnt lgkmcnt(0)
	v_cndmask_b32_e32 v21, 0, v21, vcc
	v_add_u32_e32 v16, v16, v21
	ds_bpermute_b32 v21, v35, v16
	v_cmp_le_u32_e32 vcc, v36, v20
	s_waitcnt lgkmcnt(0)
	v_cndmask_b32_e32 v21, 0, v21, vcc
	v_add_u32_e32 v16, v16, v21
	ds_bpermute_b32 v21, v37, v16
	v_cmp_le_u32_e32 vcc, v38, v20
	;; [unrolled: 5-line block ×4, first 2 shown]
	s_waitcnt lgkmcnt(0)
	v_cndmask_b32_e32 v20, 0, v21, vcc
	v_add3_u32 v16, v20, v13, v16
.LBB2325_36:                            ; =>This Loop Header: Depth=1
                                        ;     Child Loop BB2325_39 Depth 2
	v_cmp_ne_u16_sdwa s[26:27], v17, v30 src0_sel:BYTE_0 src1_sel:DWORD
	v_cndmask_b32_e64 v13, 0, 1, s[26:27]
	;;#ASMSTART
	;;#ASMEND
	v_cmp_ne_u32_e32 vcc, 0, v13
	s_cmp_lg_u64 vcc, exec
	v_mov_b32_e32 v13, v16
	s_cbranch_scc1 .LBB2325_41
; %bb.37:                               ;   in Loop: Header=BB2325_36 Depth=1
	v_lshlrev_b64 v[16:17], 3, v[14:15]
	v_mov_b32_e32 v21, s19
	v_add_co_u32_e32 v20, vcc, s18, v16
	v_addc_co_u32_e32 v21, vcc, v21, v17, vcc
	global_load_dwordx2 v[16:17], v[20:21], off glc
	s_waitcnt vmcnt(0)
	v_cmp_eq_u16_sdwa s[28:29], v17, v15 src0_sel:BYTE_0 src1_sel:DWORD
	s_and_saveexec_b64 s[26:27], s[28:29]
	s_cbranch_execz .LBB2325_35
; %bb.38:                               ;   in Loop: Header=BB2325_36 Depth=1
	s_mov_b64 s[28:29], 0
.LBB2325_39:                            ;   Parent Loop BB2325_36 Depth=1
                                        ; =>  This Inner Loop Header: Depth=2
	global_load_dwordx2 v[16:17], v[20:21], off glc
	s_waitcnt vmcnt(0)
	v_cmp_ne_u16_sdwa s[34:35], v17, v15 src0_sel:BYTE_0 src1_sel:DWORD
	s_or_b64 s[28:29], s[34:35], s[28:29]
	s_andn2_b64 exec, exec, s[28:29]
	s_cbranch_execnz .LBB2325_39
; %bb.40:                               ;   in Loop: Header=BB2325_36 Depth=1
	s_or_b64 exec, exec, s[28:29]
	s_branch .LBB2325_35
.LBB2325_41:                            ;   in Loop: Header=BB2325_36 Depth=1
                                        ; implicit-def: $vgpr16
                                        ; implicit-def: $vgpr17
	s_cbranch_execz .LBB2325_36
; %bb.42:
	s_and_saveexec_b64 s[26:27], s[16:17]
	s_cbranch_execz .LBB2325_44
; %bb.43:
	s_add_i32 s28, s30, 64
	s_mov_b32 s29, 0
	s_lshl_b64 s[28:29], s[28:29], 3
	s_add_u32 s28, s18, s28
	v_add_u32_e32 v14, v13, v12
	v_mov_b32_e32 v15, 2
	s_addc_u32 s29, s19, s29
	v_mov_b32_e32 v16, 0
	global_store_dwordx2 v16, v[14:15], s[28:29]
	ds_write_b64 v16, v[12:13] offset:6336
.LBB2325_44:
	s_or_b64 exec, exec, s[26:27]
	s_and_b64 exec, exec, s[0:1]
	s_cbranch_execz .LBB2325_46
; %bb.45:
	v_mov_b32_e32 v12, 0
	ds_write_b32 v12, v13 offset:8
.LBB2325_46:
	s_or_b64 exec, exec, s[24:25]
	v_mov_b32_e32 v12, 0
	s_waitcnt lgkmcnt(0)
	s_barrier
	ds_read_b32 v13, v12 offset:8
	v_cndmask_b32_e64 v14, v29, v28, s[16:17]
	v_cndmask_b32_e64 v14, v14, 0, s[0:1]
	s_waitcnt lgkmcnt(0)
	s_barrier
	v_add_u32_e32 v16, v13, v14
	ds_read_b64 v[12:13], v12 offset:6336
	v_add_u32_sdwa v17, v16, v22 dst_sel:DWORD dst_unused:UNUSED_PAD src0_sel:DWORD src1_sel:BYTE_0
	v_add_u32_sdwa v15, v17, v22 dst_sel:DWORD dst_unused:UNUSED_PAD src0_sel:DWORD src1_sel:BYTE_1
	v_add_u32_e32 v14, v15, v24
	s_branch .LBB2325_57
.LBB2325_47:
                                        ; implicit-def: $vgpr13
                                        ; implicit-def: $vgpr14
                                        ; implicit-def: $vgpr15
                                        ; implicit-def: $vgpr17
                                        ; implicit-def: $vgpr16
	s_cbranch_execz .LBB2325_57
; %bb.48:
	s_waitcnt lgkmcnt(0)
	v_mov_b32_dpp v12, v27 row_shr:1 row_mask:0xf bank_mask:0xf
	v_cndmask_b32_e64 v12, v12, 0, s[14:15]
	v_add_u32_e32 v12, v12, v27
	s_nop 1
	v_mov_b32_dpp v13, v12 row_shr:2 row_mask:0xf bank_mask:0xf
	v_cndmask_b32_e64 v13, 0, v13, s[12:13]
	v_add_u32_e32 v12, v12, v13
	s_nop 1
	;; [unrolled: 4-line block ×4, first 2 shown]
	v_mov_b32_dpp v13, v12 row_bcast:15 row_mask:0xf bank_mask:0xf
	v_cndmask_b32_e64 v13, v13, 0, s[4:5]
	v_add_u32_e32 v12, v12, v13
	s_nop 1
	v_mov_b32_dpp v13, v12 row_bcast:31 row_mask:0xf bank_mask:0xf
	v_cndmask_b32_e64 v13, 0, v13, s[2:3]
	v_add_u32_e32 v12, v12, v13
	s_and_saveexec_b64 s[2:3], s[6:7]
	s_cbranch_execz .LBB2325_50
; %bb.49:
	v_lshlrev_b32_e32 v13, 2, v26
	ds_write_b32 v13, v12
.LBB2325_50:
	s_or_b64 exec, exec, s[2:3]
	v_cmp_gt_u32_e32 vcc, 3, v0
	s_waitcnt lgkmcnt(0)
	s_barrier
	s_and_saveexec_b64 s[2:3], vcc
	s_cbranch_execz .LBB2325_52
; %bb.51:
	ds_read_b32 v13, v1
	v_and_b32_e32 v14, 3, v25
	v_cmp_ne_u32_e32 vcc, 0, v14
	s_waitcnt lgkmcnt(0)
	v_mov_b32_dpp v15, v13 row_shr:1 row_mask:0xf bank_mask:0xf
	v_cndmask_b32_e32 v15, 0, v15, vcc
	v_add_u32_e32 v13, v15, v13
	v_cmp_lt_u32_e32 vcc, 1, v14
	s_nop 0
	v_mov_b32_dpp v15, v13 row_shr:2 row_mask:0xf bank_mask:0xf
	v_cndmask_b32_e32 v14, 0, v15, vcc
	v_add_u32_e32 v13, v13, v14
	ds_write_b32 v1, v13
.LBB2325_52:
	s_or_b64 exec, exec, s[2:3]
	v_cmp_lt_u32_e32 vcc, 63, v0
	v_mov_b32_e32 v13, 0
	v_mov_b32_e32 v0, 0
	s_waitcnt lgkmcnt(0)
	s_barrier
	s_and_saveexec_b64 s[2:3], vcc
	s_cbranch_execz .LBB2325_54
; %bb.53:
	v_lshl_add_u32 v0, v26, 2, -4
	ds_read_b32 v0, v0
.LBB2325_54:
	s_or_b64 exec, exec, s[2:3]
	v_add_u32_e32 v14, -1, v25
	v_and_b32_e32 v15, 64, v25
	v_cmp_lt_i32_e32 vcc, v14, v15
	v_cndmask_b32_e32 v14, v14, v25, vcc
	s_waitcnt lgkmcnt(0)
	v_add_u32_e32 v12, v0, v12
	v_lshlrev_b32_e32 v14, 2, v14
	ds_bpermute_b32 v14, v14, v12
	ds_read_b32 v12, v13 offset:8
	s_and_saveexec_b64 s[2:3], s[0:1]
	s_cbranch_execz .LBB2325_56
; %bb.55:
	v_mov_b32_e32 v15, 0
	v_mov_b32_e32 v13, 2
	s_waitcnt lgkmcnt(0)
	global_store_dwordx2 v15, v[12:13], s[18:19] offset:512
.LBB2325_56:
	s_or_b64 exec, exec, s[2:3]
	v_cmp_eq_u32_e32 vcc, 0, v25
	s_waitcnt lgkmcnt(1)
	v_cndmask_b32_e32 v0, v14, v0, vcc
	v_cndmask_b32_e64 v16, v0, 0, s[0:1]
	v_add_u32_sdwa v17, v16, v22 dst_sel:DWORD dst_unused:UNUSED_PAD src0_sel:DWORD src1_sel:BYTE_0
	v_add_u32_sdwa v15, v17, v22 dst_sel:DWORD dst_unused:UNUSED_PAD src0_sel:DWORD src1_sel:BYTE_1
	v_mov_b32_e32 v13, 0
	v_add_u32_e32 v14, v15, v24
	s_waitcnt lgkmcnt(0)
	s_barrier
.LBB2325_57:
	s_waitcnt lgkmcnt(0)
	v_add_u32_e32 v1, v12, v1
	v_sub_u32_e32 v16, v16, v13
	v_and_b32_e32 v19, 1, v22
	v_sub_u32_e32 v18, v1, v16
	v_cmp_eq_u32_e32 vcc, 1, v19
	v_cndmask_b32_e32 v16, v18, v16, vcc
	v_lshlrev_b32_e32 v16, 3, v16
	v_lshrrev_b32_e32 v0, 8, v22
	ds_write_b64 v16, v[6:7]
	v_sub_u32_e32 v6, v17, v13
	v_sub_u32_e32 v7, v1, v6
	v_and_b32_e32 v0, 1, v0
	v_add_u32_e32 v7, 1, v7
	v_cmp_eq_u32_e32 vcc, 1, v0
	v_cndmask_b32_e32 v0, v7, v6, vcc
	v_lshlrev_b32_e32 v0, 3, v0
	ds_write_b64 v0, v[8:9]
	v_sub_u32_e32 v0, v15, v13
	v_mov_b32_e32 v7, 1
	v_sub_u32_e32 v6, v1, v0
	v_and_b32_sdwa v7, v7, v22 dst_sel:DWORD dst_unused:UNUSED_PAD src0_sel:DWORD src1_sel:WORD_1
	v_add_u32_e32 v6, 2, v6
	v_cmp_eq_u32_e32 vcc, 1, v7
	v_cndmask_b32_e32 v0, v6, v0, vcc
	v_lshlrev_b32_e32 v0, 3, v0
	ds_write_b64 v0, v[2:3]
	v_sub_u32_e32 v0, v14, v13
	v_sub_u32_e32 v1, v1, v0
	v_and_b32_e32 v2, 1, v23
	v_add_u32_e32 v1, 3, v1
	v_cmp_eq_u32_e32 vcc, 1, v2
	v_cndmask_b32_e32 v0, v1, v0, vcc
	v_lshlrev_b32_e32 v0, 3, v0
	s_and_b64 s[0:1], s[0:1], s[22:23]
	ds_write_b64 v0, v[4:5]
	s_waitcnt lgkmcnt(0)
	s_barrier
	s_and_saveexec_b64 s[2:3], s[0:1]
	s_cbranch_execz .LBB2325_59
; %bb.58:
	s_waitcnt vmcnt(0)
	v_add_co_u32_e32 v0, vcc, v10, v12
	v_addc_co_u32_e32 v1, vcc, 0, v11, vcc
	v_add_co_u32_e32 v0, vcc, v0, v13
	v_mov_b32_e32 v2, 0
	v_addc_co_u32_e32 v1, vcc, 0, v1, vcc
	global_store_dwordx2 v2, v[0:1], s[20:21]
.LBB2325_59:
	s_endpgm
	.section	.rodata,"a",@progbits
	.p2align	6, 0x0
	.amdhsa_kernel _ZN7rocprim17ROCPRIM_400000_NS6detail17trampoline_kernelINS0_14default_configENS1_25partition_config_selectorILNS1_17partition_subalgoE0EyNS0_10empty_typeEbEEZZNS1_14partition_implILS5_0ELb0ES3_jN6thrust23THRUST_200600_302600_NS6detail15normal_iteratorINSA_10device_ptrIyEEEEPS6_SG_NS0_5tupleIJNSA_16discard_iteratorINSA_11use_defaultEEESK_EEENSH_IJSG_SG_EEES6_PlJ7is_evenIyEEEE10hipError_tPvRmT3_T4_T5_T6_T7_T9_mT8_P12ihipStream_tbDpT10_ENKUlT_T0_E_clISt17integral_constantIbLb0EES18_IbLb1EEEEDaS14_S15_EUlS14_E_NS1_11comp_targetILNS1_3genE4ELNS1_11target_archE910ELNS1_3gpuE8ELNS1_3repE0EEENS1_30default_config_static_selectorELNS0_4arch9wavefront6targetE1EEEvT1_
		.amdhsa_group_segment_fixed_size 6344
		.amdhsa_private_segment_fixed_size 0
		.amdhsa_kernarg_size 152
		.amdhsa_user_sgpr_count 6
		.amdhsa_user_sgpr_private_segment_buffer 1
		.amdhsa_user_sgpr_dispatch_ptr 0
		.amdhsa_user_sgpr_queue_ptr 0
		.amdhsa_user_sgpr_kernarg_segment_ptr 1
		.amdhsa_user_sgpr_dispatch_id 0
		.amdhsa_user_sgpr_flat_scratch_init 0
		.amdhsa_user_sgpr_kernarg_preload_length 0
		.amdhsa_user_sgpr_kernarg_preload_offset 0
		.amdhsa_user_sgpr_private_segment_size 0
		.amdhsa_uses_dynamic_stack 0
		.amdhsa_system_sgpr_private_segment_wavefront_offset 0
		.amdhsa_system_sgpr_workgroup_id_x 1
		.amdhsa_system_sgpr_workgroup_id_y 0
		.amdhsa_system_sgpr_workgroup_id_z 0
		.amdhsa_system_sgpr_workgroup_info 0
		.amdhsa_system_vgpr_workitem_id 0
		.amdhsa_next_free_vgpr 44
		.amdhsa_next_free_sgpr 36
		.amdhsa_accum_offset 44
		.amdhsa_reserve_vcc 1
		.amdhsa_reserve_flat_scratch 0
		.amdhsa_float_round_mode_32 0
		.amdhsa_float_round_mode_16_64 0
		.amdhsa_float_denorm_mode_32 3
		.amdhsa_float_denorm_mode_16_64 3
		.amdhsa_dx10_clamp 1
		.amdhsa_ieee_mode 1
		.amdhsa_fp16_overflow 0
		.amdhsa_tg_split 0
		.amdhsa_exception_fp_ieee_invalid_op 0
		.amdhsa_exception_fp_denorm_src 0
		.amdhsa_exception_fp_ieee_div_zero 0
		.amdhsa_exception_fp_ieee_overflow 0
		.amdhsa_exception_fp_ieee_underflow 0
		.amdhsa_exception_fp_ieee_inexact 0
		.amdhsa_exception_int_div_zero 0
	.end_amdhsa_kernel
	.section	.text._ZN7rocprim17ROCPRIM_400000_NS6detail17trampoline_kernelINS0_14default_configENS1_25partition_config_selectorILNS1_17partition_subalgoE0EyNS0_10empty_typeEbEEZZNS1_14partition_implILS5_0ELb0ES3_jN6thrust23THRUST_200600_302600_NS6detail15normal_iteratorINSA_10device_ptrIyEEEEPS6_SG_NS0_5tupleIJNSA_16discard_iteratorINSA_11use_defaultEEESK_EEENSH_IJSG_SG_EEES6_PlJ7is_evenIyEEEE10hipError_tPvRmT3_T4_T5_T6_T7_T9_mT8_P12ihipStream_tbDpT10_ENKUlT_T0_E_clISt17integral_constantIbLb0EES18_IbLb1EEEEDaS14_S15_EUlS14_E_NS1_11comp_targetILNS1_3genE4ELNS1_11target_archE910ELNS1_3gpuE8ELNS1_3repE0EEENS1_30default_config_static_selectorELNS0_4arch9wavefront6targetE1EEEvT1_,"axG",@progbits,_ZN7rocprim17ROCPRIM_400000_NS6detail17trampoline_kernelINS0_14default_configENS1_25partition_config_selectorILNS1_17partition_subalgoE0EyNS0_10empty_typeEbEEZZNS1_14partition_implILS5_0ELb0ES3_jN6thrust23THRUST_200600_302600_NS6detail15normal_iteratorINSA_10device_ptrIyEEEEPS6_SG_NS0_5tupleIJNSA_16discard_iteratorINSA_11use_defaultEEESK_EEENSH_IJSG_SG_EEES6_PlJ7is_evenIyEEEE10hipError_tPvRmT3_T4_T5_T6_T7_T9_mT8_P12ihipStream_tbDpT10_ENKUlT_T0_E_clISt17integral_constantIbLb0EES18_IbLb1EEEEDaS14_S15_EUlS14_E_NS1_11comp_targetILNS1_3genE4ELNS1_11target_archE910ELNS1_3gpuE8ELNS1_3repE0EEENS1_30default_config_static_selectorELNS0_4arch9wavefront6targetE1EEEvT1_,comdat
.Lfunc_end2325:
	.size	_ZN7rocprim17ROCPRIM_400000_NS6detail17trampoline_kernelINS0_14default_configENS1_25partition_config_selectorILNS1_17partition_subalgoE0EyNS0_10empty_typeEbEEZZNS1_14partition_implILS5_0ELb0ES3_jN6thrust23THRUST_200600_302600_NS6detail15normal_iteratorINSA_10device_ptrIyEEEEPS6_SG_NS0_5tupleIJNSA_16discard_iteratorINSA_11use_defaultEEESK_EEENSH_IJSG_SG_EEES6_PlJ7is_evenIyEEEE10hipError_tPvRmT3_T4_T5_T6_T7_T9_mT8_P12ihipStream_tbDpT10_ENKUlT_T0_E_clISt17integral_constantIbLb0EES18_IbLb1EEEEDaS14_S15_EUlS14_E_NS1_11comp_targetILNS1_3genE4ELNS1_11target_archE910ELNS1_3gpuE8ELNS1_3repE0EEENS1_30default_config_static_selectorELNS0_4arch9wavefront6targetE1EEEvT1_, .Lfunc_end2325-_ZN7rocprim17ROCPRIM_400000_NS6detail17trampoline_kernelINS0_14default_configENS1_25partition_config_selectorILNS1_17partition_subalgoE0EyNS0_10empty_typeEbEEZZNS1_14partition_implILS5_0ELb0ES3_jN6thrust23THRUST_200600_302600_NS6detail15normal_iteratorINSA_10device_ptrIyEEEEPS6_SG_NS0_5tupleIJNSA_16discard_iteratorINSA_11use_defaultEEESK_EEENSH_IJSG_SG_EEES6_PlJ7is_evenIyEEEE10hipError_tPvRmT3_T4_T5_T6_T7_T9_mT8_P12ihipStream_tbDpT10_ENKUlT_T0_E_clISt17integral_constantIbLb0EES18_IbLb1EEEEDaS14_S15_EUlS14_E_NS1_11comp_targetILNS1_3genE4ELNS1_11target_archE910ELNS1_3gpuE8ELNS1_3repE0EEENS1_30default_config_static_selectorELNS0_4arch9wavefront6targetE1EEEvT1_
                                        ; -- End function
	.section	.AMDGPU.csdata,"",@progbits
; Kernel info:
; codeLenInByte = 3168
; NumSgprs: 40
; NumVgprs: 44
; NumAgprs: 0
; TotalNumVgprs: 44
; ScratchSize: 0
; MemoryBound: 0
; FloatMode: 240
; IeeeMode: 1
; LDSByteSize: 6344 bytes/workgroup (compile time only)
; SGPRBlocks: 4
; VGPRBlocks: 5
; NumSGPRsForWavesPerEU: 40
; NumVGPRsForWavesPerEU: 44
; AccumOffset: 44
; Occupancy: 8
; WaveLimiterHint : 1
; COMPUTE_PGM_RSRC2:SCRATCH_EN: 0
; COMPUTE_PGM_RSRC2:USER_SGPR: 6
; COMPUTE_PGM_RSRC2:TRAP_HANDLER: 0
; COMPUTE_PGM_RSRC2:TGID_X_EN: 1
; COMPUTE_PGM_RSRC2:TGID_Y_EN: 0
; COMPUTE_PGM_RSRC2:TGID_Z_EN: 0
; COMPUTE_PGM_RSRC2:TIDIG_COMP_CNT: 0
; COMPUTE_PGM_RSRC3_GFX90A:ACCUM_OFFSET: 10
; COMPUTE_PGM_RSRC3_GFX90A:TG_SPLIT: 0
	.section	.text._ZN7rocprim17ROCPRIM_400000_NS6detail17trampoline_kernelINS0_14default_configENS1_25partition_config_selectorILNS1_17partition_subalgoE0EyNS0_10empty_typeEbEEZZNS1_14partition_implILS5_0ELb0ES3_jN6thrust23THRUST_200600_302600_NS6detail15normal_iteratorINSA_10device_ptrIyEEEEPS6_SG_NS0_5tupleIJNSA_16discard_iteratorINSA_11use_defaultEEESK_EEENSH_IJSG_SG_EEES6_PlJ7is_evenIyEEEE10hipError_tPvRmT3_T4_T5_T6_T7_T9_mT8_P12ihipStream_tbDpT10_ENKUlT_T0_E_clISt17integral_constantIbLb0EES18_IbLb1EEEEDaS14_S15_EUlS14_E_NS1_11comp_targetILNS1_3genE3ELNS1_11target_archE908ELNS1_3gpuE7ELNS1_3repE0EEENS1_30default_config_static_selectorELNS0_4arch9wavefront6targetE1EEEvT1_,"axG",@progbits,_ZN7rocprim17ROCPRIM_400000_NS6detail17trampoline_kernelINS0_14default_configENS1_25partition_config_selectorILNS1_17partition_subalgoE0EyNS0_10empty_typeEbEEZZNS1_14partition_implILS5_0ELb0ES3_jN6thrust23THRUST_200600_302600_NS6detail15normal_iteratorINSA_10device_ptrIyEEEEPS6_SG_NS0_5tupleIJNSA_16discard_iteratorINSA_11use_defaultEEESK_EEENSH_IJSG_SG_EEES6_PlJ7is_evenIyEEEE10hipError_tPvRmT3_T4_T5_T6_T7_T9_mT8_P12ihipStream_tbDpT10_ENKUlT_T0_E_clISt17integral_constantIbLb0EES18_IbLb1EEEEDaS14_S15_EUlS14_E_NS1_11comp_targetILNS1_3genE3ELNS1_11target_archE908ELNS1_3gpuE7ELNS1_3repE0EEENS1_30default_config_static_selectorELNS0_4arch9wavefront6targetE1EEEvT1_,comdat
	.protected	_ZN7rocprim17ROCPRIM_400000_NS6detail17trampoline_kernelINS0_14default_configENS1_25partition_config_selectorILNS1_17partition_subalgoE0EyNS0_10empty_typeEbEEZZNS1_14partition_implILS5_0ELb0ES3_jN6thrust23THRUST_200600_302600_NS6detail15normal_iteratorINSA_10device_ptrIyEEEEPS6_SG_NS0_5tupleIJNSA_16discard_iteratorINSA_11use_defaultEEESK_EEENSH_IJSG_SG_EEES6_PlJ7is_evenIyEEEE10hipError_tPvRmT3_T4_T5_T6_T7_T9_mT8_P12ihipStream_tbDpT10_ENKUlT_T0_E_clISt17integral_constantIbLb0EES18_IbLb1EEEEDaS14_S15_EUlS14_E_NS1_11comp_targetILNS1_3genE3ELNS1_11target_archE908ELNS1_3gpuE7ELNS1_3repE0EEENS1_30default_config_static_selectorELNS0_4arch9wavefront6targetE1EEEvT1_ ; -- Begin function _ZN7rocprim17ROCPRIM_400000_NS6detail17trampoline_kernelINS0_14default_configENS1_25partition_config_selectorILNS1_17partition_subalgoE0EyNS0_10empty_typeEbEEZZNS1_14partition_implILS5_0ELb0ES3_jN6thrust23THRUST_200600_302600_NS6detail15normal_iteratorINSA_10device_ptrIyEEEEPS6_SG_NS0_5tupleIJNSA_16discard_iteratorINSA_11use_defaultEEESK_EEENSH_IJSG_SG_EEES6_PlJ7is_evenIyEEEE10hipError_tPvRmT3_T4_T5_T6_T7_T9_mT8_P12ihipStream_tbDpT10_ENKUlT_T0_E_clISt17integral_constantIbLb0EES18_IbLb1EEEEDaS14_S15_EUlS14_E_NS1_11comp_targetILNS1_3genE3ELNS1_11target_archE908ELNS1_3gpuE7ELNS1_3repE0EEENS1_30default_config_static_selectorELNS0_4arch9wavefront6targetE1EEEvT1_
	.globl	_ZN7rocprim17ROCPRIM_400000_NS6detail17trampoline_kernelINS0_14default_configENS1_25partition_config_selectorILNS1_17partition_subalgoE0EyNS0_10empty_typeEbEEZZNS1_14partition_implILS5_0ELb0ES3_jN6thrust23THRUST_200600_302600_NS6detail15normal_iteratorINSA_10device_ptrIyEEEEPS6_SG_NS0_5tupleIJNSA_16discard_iteratorINSA_11use_defaultEEESK_EEENSH_IJSG_SG_EEES6_PlJ7is_evenIyEEEE10hipError_tPvRmT3_T4_T5_T6_T7_T9_mT8_P12ihipStream_tbDpT10_ENKUlT_T0_E_clISt17integral_constantIbLb0EES18_IbLb1EEEEDaS14_S15_EUlS14_E_NS1_11comp_targetILNS1_3genE3ELNS1_11target_archE908ELNS1_3gpuE7ELNS1_3repE0EEENS1_30default_config_static_selectorELNS0_4arch9wavefront6targetE1EEEvT1_
	.p2align	8
	.type	_ZN7rocprim17ROCPRIM_400000_NS6detail17trampoline_kernelINS0_14default_configENS1_25partition_config_selectorILNS1_17partition_subalgoE0EyNS0_10empty_typeEbEEZZNS1_14partition_implILS5_0ELb0ES3_jN6thrust23THRUST_200600_302600_NS6detail15normal_iteratorINSA_10device_ptrIyEEEEPS6_SG_NS0_5tupleIJNSA_16discard_iteratorINSA_11use_defaultEEESK_EEENSH_IJSG_SG_EEES6_PlJ7is_evenIyEEEE10hipError_tPvRmT3_T4_T5_T6_T7_T9_mT8_P12ihipStream_tbDpT10_ENKUlT_T0_E_clISt17integral_constantIbLb0EES18_IbLb1EEEEDaS14_S15_EUlS14_E_NS1_11comp_targetILNS1_3genE3ELNS1_11target_archE908ELNS1_3gpuE7ELNS1_3repE0EEENS1_30default_config_static_selectorELNS0_4arch9wavefront6targetE1EEEvT1_,@function
_ZN7rocprim17ROCPRIM_400000_NS6detail17trampoline_kernelINS0_14default_configENS1_25partition_config_selectorILNS1_17partition_subalgoE0EyNS0_10empty_typeEbEEZZNS1_14partition_implILS5_0ELb0ES3_jN6thrust23THRUST_200600_302600_NS6detail15normal_iteratorINSA_10device_ptrIyEEEEPS6_SG_NS0_5tupleIJNSA_16discard_iteratorINSA_11use_defaultEEESK_EEENSH_IJSG_SG_EEES6_PlJ7is_evenIyEEEE10hipError_tPvRmT3_T4_T5_T6_T7_T9_mT8_P12ihipStream_tbDpT10_ENKUlT_T0_E_clISt17integral_constantIbLb0EES18_IbLb1EEEEDaS14_S15_EUlS14_E_NS1_11comp_targetILNS1_3genE3ELNS1_11target_archE908ELNS1_3gpuE7ELNS1_3repE0EEENS1_30default_config_static_selectorELNS0_4arch9wavefront6targetE1EEEvT1_: ; @_ZN7rocprim17ROCPRIM_400000_NS6detail17trampoline_kernelINS0_14default_configENS1_25partition_config_selectorILNS1_17partition_subalgoE0EyNS0_10empty_typeEbEEZZNS1_14partition_implILS5_0ELb0ES3_jN6thrust23THRUST_200600_302600_NS6detail15normal_iteratorINSA_10device_ptrIyEEEEPS6_SG_NS0_5tupleIJNSA_16discard_iteratorINSA_11use_defaultEEESK_EEENSH_IJSG_SG_EEES6_PlJ7is_evenIyEEEE10hipError_tPvRmT3_T4_T5_T6_T7_T9_mT8_P12ihipStream_tbDpT10_ENKUlT_T0_E_clISt17integral_constantIbLb0EES18_IbLb1EEEEDaS14_S15_EUlS14_E_NS1_11comp_targetILNS1_3genE3ELNS1_11target_archE908ELNS1_3gpuE7ELNS1_3repE0EEENS1_30default_config_static_selectorELNS0_4arch9wavefront6targetE1EEEvT1_
; %bb.0:
	.section	.rodata,"a",@progbits
	.p2align	6, 0x0
	.amdhsa_kernel _ZN7rocprim17ROCPRIM_400000_NS6detail17trampoline_kernelINS0_14default_configENS1_25partition_config_selectorILNS1_17partition_subalgoE0EyNS0_10empty_typeEbEEZZNS1_14partition_implILS5_0ELb0ES3_jN6thrust23THRUST_200600_302600_NS6detail15normal_iteratorINSA_10device_ptrIyEEEEPS6_SG_NS0_5tupleIJNSA_16discard_iteratorINSA_11use_defaultEEESK_EEENSH_IJSG_SG_EEES6_PlJ7is_evenIyEEEE10hipError_tPvRmT3_T4_T5_T6_T7_T9_mT8_P12ihipStream_tbDpT10_ENKUlT_T0_E_clISt17integral_constantIbLb0EES18_IbLb1EEEEDaS14_S15_EUlS14_E_NS1_11comp_targetILNS1_3genE3ELNS1_11target_archE908ELNS1_3gpuE7ELNS1_3repE0EEENS1_30default_config_static_selectorELNS0_4arch9wavefront6targetE1EEEvT1_
		.amdhsa_group_segment_fixed_size 0
		.amdhsa_private_segment_fixed_size 0
		.amdhsa_kernarg_size 152
		.amdhsa_user_sgpr_count 6
		.amdhsa_user_sgpr_private_segment_buffer 1
		.amdhsa_user_sgpr_dispatch_ptr 0
		.amdhsa_user_sgpr_queue_ptr 0
		.amdhsa_user_sgpr_kernarg_segment_ptr 1
		.amdhsa_user_sgpr_dispatch_id 0
		.amdhsa_user_sgpr_flat_scratch_init 0
		.amdhsa_user_sgpr_kernarg_preload_length 0
		.amdhsa_user_sgpr_kernarg_preload_offset 0
		.amdhsa_user_sgpr_private_segment_size 0
		.amdhsa_uses_dynamic_stack 0
		.amdhsa_system_sgpr_private_segment_wavefront_offset 0
		.amdhsa_system_sgpr_workgroup_id_x 1
		.amdhsa_system_sgpr_workgroup_id_y 0
		.amdhsa_system_sgpr_workgroup_id_z 0
		.amdhsa_system_sgpr_workgroup_info 0
		.amdhsa_system_vgpr_workitem_id 0
		.amdhsa_next_free_vgpr 1
		.amdhsa_next_free_sgpr 0
		.amdhsa_accum_offset 4
		.amdhsa_reserve_vcc 0
		.amdhsa_reserve_flat_scratch 0
		.amdhsa_float_round_mode_32 0
		.amdhsa_float_round_mode_16_64 0
		.amdhsa_float_denorm_mode_32 3
		.amdhsa_float_denorm_mode_16_64 3
		.amdhsa_dx10_clamp 1
		.amdhsa_ieee_mode 1
		.amdhsa_fp16_overflow 0
		.amdhsa_tg_split 0
		.amdhsa_exception_fp_ieee_invalid_op 0
		.amdhsa_exception_fp_denorm_src 0
		.amdhsa_exception_fp_ieee_div_zero 0
		.amdhsa_exception_fp_ieee_overflow 0
		.amdhsa_exception_fp_ieee_underflow 0
		.amdhsa_exception_fp_ieee_inexact 0
		.amdhsa_exception_int_div_zero 0
	.end_amdhsa_kernel
	.section	.text._ZN7rocprim17ROCPRIM_400000_NS6detail17trampoline_kernelINS0_14default_configENS1_25partition_config_selectorILNS1_17partition_subalgoE0EyNS0_10empty_typeEbEEZZNS1_14partition_implILS5_0ELb0ES3_jN6thrust23THRUST_200600_302600_NS6detail15normal_iteratorINSA_10device_ptrIyEEEEPS6_SG_NS0_5tupleIJNSA_16discard_iteratorINSA_11use_defaultEEESK_EEENSH_IJSG_SG_EEES6_PlJ7is_evenIyEEEE10hipError_tPvRmT3_T4_T5_T6_T7_T9_mT8_P12ihipStream_tbDpT10_ENKUlT_T0_E_clISt17integral_constantIbLb0EES18_IbLb1EEEEDaS14_S15_EUlS14_E_NS1_11comp_targetILNS1_3genE3ELNS1_11target_archE908ELNS1_3gpuE7ELNS1_3repE0EEENS1_30default_config_static_selectorELNS0_4arch9wavefront6targetE1EEEvT1_,"axG",@progbits,_ZN7rocprim17ROCPRIM_400000_NS6detail17trampoline_kernelINS0_14default_configENS1_25partition_config_selectorILNS1_17partition_subalgoE0EyNS0_10empty_typeEbEEZZNS1_14partition_implILS5_0ELb0ES3_jN6thrust23THRUST_200600_302600_NS6detail15normal_iteratorINSA_10device_ptrIyEEEEPS6_SG_NS0_5tupleIJNSA_16discard_iteratorINSA_11use_defaultEEESK_EEENSH_IJSG_SG_EEES6_PlJ7is_evenIyEEEE10hipError_tPvRmT3_T4_T5_T6_T7_T9_mT8_P12ihipStream_tbDpT10_ENKUlT_T0_E_clISt17integral_constantIbLb0EES18_IbLb1EEEEDaS14_S15_EUlS14_E_NS1_11comp_targetILNS1_3genE3ELNS1_11target_archE908ELNS1_3gpuE7ELNS1_3repE0EEENS1_30default_config_static_selectorELNS0_4arch9wavefront6targetE1EEEvT1_,comdat
.Lfunc_end2326:
	.size	_ZN7rocprim17ROCPRIM_400000_NS6detail17trampoline_kernelINS0_14default_configENS1_25partition_config_selectorILNS1_17partition_subalgoE0EyNS0_10empty_typeEbEEZZNS1_14partition_implILS5_0ELb0ES3_jN6thrust23THRUST_200600_302600_NS6detail15normal_iteratorINSA_10device_ptrIyEEEEPS6_SG_NS0_5tupleIJNSA_16discard_iteratorINSA_11use_defaultEEESK_EEENSH_IJSG_SG_EEES6_PlJ7is_evenIyEEEE10hipError_tPvRmT3_T4_T5_T6_T7_T9_mT8_P12ihipStream_tbDpT10_ENKUlT_T0_E_clISt17integral_constantIbLb0EES18_IbLb1EEEEDaS14_S15_EUlS14_E_NS1_11comp_targetILNS1_3genE3ELNS1_11target_archE908ELNS1_3gpuE7ELNS1_3repE0EEENS1_30default_config_static_selectorELNS0_4arch9wavefront6targetE1EEEvT1_, .Lfunc_end2326-_ZN7rocprim17ROCPRIM_400000_NS6detail17trampoline_kernelINS0_14default_configENS1_25partition_config_selectorILNS1_17partition_subalgoE0EyNS0_10empty_typeEbEEZZNS1_14partition_implILS5_0ELb0ES3_jN6thrust23THRUST_200600_302600_NS6detail15normal_iteratorINSA_10device_ptrIyEEEEPS6_SG_NS0_5tupleIJNSA_16discard_iteratorINSA_11use_defaultEEESK_EEENSH_IJSG_SG_EEES6_PlJ7is_evenIyEEEE10hipError_tPvRmT3_T4_T5_T6_T7_T9_mT8_P12ihipStream_tbDpT10_ENKUlT_T0_E_clISt17integral_constantIbLb0EES18_IbLb1EEEEDaS14_S15_EUlS14_E_NS1_11comp_targetILNS1_3genE3ELNS1_11target_archE908ELNS1_3gpuE7ELNS1_3repE0EEENS1_30default_config_static_selectorELNS0_4arch9wavefront6targetE1EEEvT1_
                                        ; -- End function
	.section	.AMDGPU.csdata,"",@progbits
; Kernel info:
; codeLenInByte = 0
; NumSgprs: 4
; NumVgprs: 0
; NumAgprs: 0
; TotalNumVgprs: 0
; ScratchSize: 0
; MemoryBound: 0
; FloatMode: 240
; IeeeMode: 1
; LDSByteSize: 0 bytes/workgroup (compile time only)
; SGPRBlocks: 0
; VGPRBlocks: 0
; NumSGPRsForWavesPerEU: 4
; NumVGPRsForWavesPerEU: 1
; AccumOffset: 4
; Occupancy: 8
; WaveLimiterHint : 0
; COMPUTE_PGM_RSRC2:SCRATCH_EN: 0
; COMPUTE_PGM_RSRC2:USER_SGPR: 6
; COMPUTE_PGM_RSRC2:TRAP_HANDLER: 0
; COMPUTE_PGM_RSRC2:TGID_X_EN: 1
; COMPUTE_PGM_RSRC2:TGID_Y_EN: 0
; COMPUTE_PGM_RSRC2:TGID_Z_EN: 0
; COMPUTE_PGM_RSRC2:TIDIG_COMP_CNT: 0
; COMPUTE_PGM_RSRC3_GFX90A:ACCUM_OFFSET: 0
; COMPUTE_PGM_RSRC3_GFX90A:TG_SPLIT: 0
	.section	.text._ZN7rocprim17ROCPRIM_400000_NS6detail17trampoline_kernelINS0_14default_configENS1_25partition_config_selectorILNS1_17partition_subalgoE0EyNS0_10empty_typeEbEEZZNS1_14partition_implILS5_0ELb0ES3_jN6thrust23THRUST_200600_302600_NS6detail15normal_iteratorINSA_10device_ptrIyEEEEPS6_SG_NS0_5tupleIJNSA_16discard_iteratorINSA_11use_defaultEEESK_EEENSH_IJSG_SG_EEES6_PlJ7is_evenIyEEEE10hipError_tPvRmT3_T4_T5_T6_T7_T9_mT8_P12ihipStream_tbDpT10_ENKUlT_T0_E_clISt17integral_constantIbLb0EES18_IbLb1EEEEDaS14_S15_EUlS14_E_NS1_11comp_targetILNS1_3genE2ELNS1_11target_archE906ELNS1_3gpuE6ELNS1_3repE0EEENS1_30default_config_static_selectorELNS0_4arch9wavefront6targetE1EEEvT1_,"axG",@progbits,_ZN7rocprim17ROCPRIM_400000_NS6detail17trampoline_kernelINS0_14default_configENS1_25partition_config_selectorILNS1_17partition_subalgoE0EyNS0_10empty_typeEbEEZZNS1_14partition_implILS5_0ELb0ES3_jN6thrust23THRUST_200600_302600_NS6detail15normal_iteratorINSA_10device_ptrIyEEEEPS6_SG_NS0_5tupleIJNSA_16discard_iteratorINSA_11use_defaultEEESK_EEENSH_IJSG_SG_EEES6_PlJ7is_evenIyEEEE10hipError_tPvRmT3_T4_T5_T6_T7_T9_mT8_P12ihipStream_tbDpT10_ENKUlT_T0_E_clISt17integral_constantIbLb0EES18_IbLb1EEEEDaS14_S15_EUlS14_E_NS1_11comp_targetILNS1_3genE2ELNS1_11target_archE906ELNS1_3gpuE6ELNS1_3repE0EEENS1_30default_config_static_selectorELNS0_4arch9wavefront6targetE1EEEvT1_,comdat
	.protected	_ZN7rocprim17ROCPRIM_400000_NS6detail17trampoline_kernelINS0_14default_configENS1_25partition_config_selectorILNS1_17partition_subalgoE0EyNS0_10empty_typeEbEEZZNS1_14partition_implILS5_0ELb0ES3_jN6thrust23THRUST_200600_302600_NS6detail15normal_iteratorINSA_10device_ptrIyEEEEPS6_SG_NS0_5tupleIJNSA_16discard_iteratorINSA_11use_defaultEEESK_EEENSH_IJSG_SG_EEES6_PlJ7is_evenIyEEEE10hipError_tPvRmT3_T4_T5_T6_T7_T9_mT8_P12ihipStream_tbDpT10_ENKUlT_T0_E_clISt17integral_constantIbLb0EES18_IbLb1EEEEDaS14_S15_EUlS14_E_NS1_11comp_targetILNS1_3genE2ELNS1_11target_archE906ELNS1_3gpuE6ELNS1_3repE0EEENS1_30default_config_static_selectorELNS0_4arch9wavefront6targetE1EEEvT1_ ; -- Begin function _ZN7rocprim17ROCPRIM_400000_NS6detail17trampoline_kernelINS0_14default_configENS1_25partition_config_selectorILNS1_17partition_subalgoE0EyNS0_10empty_typeEbEEZZNS1_14partition_implILS5_0ELb0ES3_jN6thrust23THRUST_200600_302600_NS6detail15normal_iteratorINSA_10device_ptrIyEEEEPS6_SG_NS0_5tupleIJNSA_16discard_iteratorINSA_11use_defaultEEESK_EEENSH_IJSG_SG_EEES6_PlJ7is_evenIyEEEE10hipError_tPvRmT3_T4_T5_T6_T7_T9_mT8_P12ihipStream_tbDpT10_ENKUlT_T0_E_clISt17integral_constantIbLb0EES18_IbLb1EEEEDaS14_S15_EUlS14_E_NS1_11comp_targetILNS1_3genE2ELNS1_11target_archE906ELNS1_3gpuE6ELNS1_3repE0EEENS1_30default_config_static_selectorELNS0_4arch9wavefront6targetE1EEEvT1_
	.globl	_ZN7rocprim17ROCPRIM_400000_NS6detail17trampoline_kernelINS0_14default_configENS1_25partition_config_selectorILNS1_17partition_subalgoE0EyNS0_10empty_typeEbEEZZNS1_14partition_implILS5_0ELb0ES3_jN6thrust23THRUST_200600_302600_NS6detail15normal_iteratorINSA_10device_ptrIyEEEEPS6_SG_NS0_5tupleIJNSA_16discard_iteratorINSA_11use_defaultEEESK_EEENSH_IJSG_SG_EEES6_PlJ7is_evenIyEEEE10hipError_tPvRmT3_T4_T5_T6_T7_T9_mT8_P12ihipStream_tbDpT10_ENKUlT_T0_E_clISt17integral_constantIbLb0EES18_IbLb1EEEEDaS14_S15_EUlS14_E_NS1_11comp_targetILNS1_3genE2ELNS1_11target_archE906ELNS1_3gpuE6ELNS1_3repE0EEENS1_30default_config_static_selectorELNS0_4arch9wavefront6targetE1EEEvT1_
	.p2align	8
	.type	_ZN7rocprim17ROCPRIM_400000_NS6detail17trampoline_kernelINS0_14default_configENS1_25partition_config_selectorILNS1_17partition_subalgoE0EyNS0_10empty_typeEbEEZZNS1_14partition_implILS5_0ELb0ES3_jN6thrust23THRUST_200600_302600_NS6detail15normal_iteratorINSA_10device_ptrIyEEEEPS6_SG_NS0_5tupleIJNSA_16discard_iteratorINSA_11use_defaultEEESK_EEENSH_IJSG_SG_EEES6_PlJ7is_evenIyEEEE10hipError_tPvRmT3_T4_T5_T6_T7_T9_mT8_P12ihipStream_tbDpT10_ENKUlT_T0_E_clISt17integral_constantIbLb0EES18_IbLb1EEEEDaS14_S15_EUlS14_E_NS1_11comp_targetILNS1_3genE2ELNS1_11target_archE906ELNS1_3gpuE6ELNS1_3repE0EEENS1_30default_config_static_selectorELNS0_4arch9wavefront6targetE1EEEvT1_,@function
_ZN7rocprim17ROCPRIM_400000_NS6detail17trampoline_kernelINS0_14default_configENS1_25partition_config_selectorILNS1_17partition_subalgoE0EyNS0_10empty_typeEbEEZZNS1_14partition_implILS5_0ELb0ES3_jN6thrust23THRUST_200600_302600_NS6detail15normal_iteratorINSA_10device_ptrIyEEEEPS6_SG_NS0_5tupleIJNSA_16discard_iteratorINSA_11use_defaultEEESK_EEENSH_IJSG_SG_EEES6_PlJ7is_evenIyEEEE10hipError_tPvRmT3_T4_T5_T6_T7_T9_mT8_P12ihipStream_tbDpT10_ENKUlT_T0_E_clISt17integral_constantIbLb0EES18_IbLb1EEEEDaS14_S15_EUlS14_E_NS1_11comp_targetILNS1_3genE2ELNS1_11target_archE906ELNS1_3gpuE6ELNS1_3repE0EEENS1_30default_config_static_selectorELNS0_4arch9wavefront6targetE1EEEvT1_: ; @_ZN7rocprim17ROCPRIM_400000_NS6detail17trampoline_kernelINS0_14default_configENS1_25partition_config_selectorILNS1_17partition_subalgoE0EyNS0_10empty_typeEbEEZZNS1_14partition_implILS5_0ELb0ES3_jN6thrust23THRUST_200600_302600_NS6detail15normal_iteratorINSA_10device_ptrIyEEEEPS6_SG_NS0_5tupleIJNSA_16discard_iteratorINSA_11use_defaultEEESK_EEENSH_IJSG_SG_EEES6_PlJ7is_evenIyEEEE10hipError_tPvRmT3_T4_T5_T6_T7_T9_mT8_P12ihipStream_tbDpT10_ENKUlT_T0_E_clISt17integral_constantIbLb0EES18_IbLb1EEEEDaS14_S15_EUlS14_E_NS1_11comp_targetILNS1_3genE2ELNS1_11target_archE906ELNS1_3gpuE6ELNS1_3repE0EEENS1_30default_config_static_selectorELNS0_4arch9wavefront6targetE1EEEvT1_
; %bb.0:
	.section	.rodata,"a",@progbits
	.p2align	6, 0x0
	.amdhsa_kernel _ZN7rocprim17ROCPRIM_400000_NS6detail17trampoline_kernelINS0_14default_configENS1_25partition_config_selectorILNS1_17partition_subalgoE0EyNS0_10empty_typeEbEEZZNS1_14partition_implILS5_0ELb0ES3_jN6thrust23THRUST_200600_302600_NS6detail15normal_iteratorINSA_10device_ptrIyEEEEPS6_SG_NS0_5tupleIJNSA_16discard_iteratorINSA_11use_defaultEEESK_EEENSH_IJSG_SG_EEES6_PlJ7is_evenIyEEEE10hipError_tPvRmT3_T4_T5_T6_T7_T9_mT8_P12ihipStream_tbDpT10_ENKUlT_T0_E_clISt17integral_constantIbLb0EES18_IbLb1EEEEDaS14_S15_EUlS14_E_NS1_11comp_targetILNS1_3genE2ELNS1_11target_archE906ELNS1_3gpuE6ELNS1_3repE0EEENS1_30default_config_static_selectorELNS0_4arch9wavefront6targetE1EEEvT1_
		.amdhsa_group_segment_fixed_size 0
		.amdhsa_private_segment_fixed_size 0
		.amdhsa_kernarg_size 152
		.amdhsa_user_sgpr_count 6
		.amdhsa_user_sgpr_private_segment_buffer 1
		.amdhsa_user_sgpr_dispatch_ptr 0
		.amdhsa_user_sgpr_queue_ptr 0
		.amdhsa_user_sgpr_kernarg_segment_ptr 1
		.amdhsa_user_sgpr_dispatch_id 0
		.amdhsa_user_sgpr_flat_scratch_init 0
		.amdhsa_user_sgpr_kernarg_preload_length 0
		.amdhsa_user_sgpr_kernarg_preload_offset 0
		.amdhsa_user_sgpr_private_segment_size 0
		.amdhsa_uses_dynamic_stack 0
		.amdhsa_system_sgpr_private_segment_wavefront_offset 0
		.amdhsa_system_sgpr_workgroup_id_x 1
		.amdhsa_system_sgpr_workgroup_id_y 0
		.amdhsa_system_sgpr_workgroup_id_z 0
		.amdhsa_system_sgpr_workgroup_info 0
		.amdhsa_system_vgpr_workitem_id 0
		.amdhsa_next_free_vgpr 1
		.amdhsa_next_free_sgpr 0
		.amdhsa_accum_offset 4
		.amdhsa_reserve_vcc 0
		.amdhsa_reserve_flat_scratch 0
		.amdhsa_float_round_mode_32 0
		.amdhsa_float_round_mode_16_64 0
		.amdhsa_float_denorm_mode_32 3
		.amdhsa_float_denorm_mode_16_64 3
		.amdhsa_dx10_clamp 1
		.amdhsa_ieee_mode 1
		.amdhsa_fp16_overflow 0
		.amdhsa_tg_split 0
		.amdhsa_exception_fp_ieee_invalid_op 0
		.amdhsa_exception_fp_denorm_src 0
		.amdhsa_exception_fp_ieee_div_zero 0
		.amdhsa_exception_fp_ieee_overflow 0
		.amdhsa_exception_fp_ieee_underflow 0
		.amdhsa_exception_fp_ieee_inexact 0
		.amdhsa_exception_int_div_zero 0
	.end_amdhsa_kernel
	.section	.text._ZN7rocprim17ROCPRIM_400000_NS6detail17trampoline_kernelINS0_14default_configENS1_25partition_config_selectorILNS1_17partition_subalgoE0EyNS0_10empty_typeEbEEZZNS1_14partition_implILS5_0ELb0ES3_jN6thrust23THRUST_200600_302600_NS6detail15normal_iteratorINSA_10device_ptrIyEEEEPS6_SG_NS0_5tupleIJNSA_16discard_iteratorINSA_11use_defaultEEESK_EEENSH_IJSG_SG_EEES6_PlJ7is_evenIyEEEE10hipError_tPvRmT3_T4_T5_T6_T7_T9_mT8_P12ihipStream_tbDpT10_ENKUlT_T0_E_clISt17integral_constantIbLb0EES18_IbLb1EEEEDaS14_S15_EUlS14_E_NS1_11comp_targetILNS1_3genE2ELNS1_11target_archE906ELNS1_3gpuE6ELNS1_3repE0EEENS1_30default_config_static_selectorELNS0_4arch9wavefront6targetE1EEEvT1_,"axG",@progbits,_ZN7rocprim17ROCPRIM_400000_NS6detail17trampoline_kernelINS0_14default_configENS1_25partition_config_selectorILNS1_17partition_subalgoE0EyNS0_10empty_typeEbEEZZNS1_14partition_implILS5_0ELb0ES3_jN6thrust23THRUST_200600_302600_NS6detail15normal_iteratorINSA_10device_ptrIyEEEEPS6_SG_NS0_5tupleIJNSA_16discard_iteratorINSA_11use_defaultEEESK_EEENSH_IJSG_SG_EEES6_PlJ7is_evenIyEEEE10hipError_tPvRmT3_T4_T5_T6_T7_T9_mT8_P12ihipStream_tbDpT10_ENKUlT_T0_E_clISt17integral_constantIbLb0EES18_IbLb1EEEEDaS14_S15_EUlS14_E_NS1_11comp_targetILNS1_3genE2ELNS1_11target_archE906ELNS1_3gpuE6ELNS1_3repE0EEENS1_30default_config_static_selectorELNS0_4arch9wavefront6targetE1EEEvT1_,comdat
.Lfunc_end2327:
	.size	_ZN7rocprim17ROCPRIM_400000_NS6detail17trampoline_kernelINS0_14default_configENS1_25partition_config_selectorILNS1_17partition_subalgoE0EyNS0_10empty_typeEbEEZZNS1_14partition_implILS5_0ELb0ES3_jN6thrust23THRUST_200600_302600_NS6detail15normal_iteratorINSA_10device_ptrIyEEEEPS6_SG_NS0_5tupleIJNSA_16discard_iteratorINSA_11use_defaultEEESK_EEENSH_IJSG_SG_EEES6_PlJ7is_evenIyEEEE10hipError_tPvRmT3_T4_T5_T6_T7_T9_mT8_P12ihipStream_tbDpT10_ENKUlT_T0_E_clISt17integral_constantIbLb0EES18_IbLb1EEEEDaS14_S15_EUlS14_E_NS1_11comp_targetILNS1_3genE2ELNS1_11target_archE906ELNS1_3gpuE6ELNS1_3repE0EEENS1_30default_config_static_selectorELNS0_4arch9wavefront6targetE1EEEvT1_, .Lfunc_end2327-_ZN7rocprim17ROCPRIM_400000_NS6detail17trampoline_kernelINS0_14default_configENS1_25partition_config_selectorILNS1_17partition_subalgoE0EyNS0_10empty_typeEbEEZZNS1_14partition_implILS5_0ELb0ES3_jN6thrust23THRUST_200600_302600_NS6detail15normal_iteratorINSA_10device_ptrIyEEEEPS6_SG_NS0_5tupleIJNSA_16discard_iteratorINSA_11use_defaultEEESK_EEENSH_IJSG_SG_EEES6_PlJ7is_evenIyEEEE10hipError_tPvRmT3_T4_T5_T6_T7_T9_mT8_P12ihipStream_tbDpT10_ENKUlT_T0_E_clISt17integral_constantIbLb0EES18_IbLb1EEEEDaS14_S15_EUlS14_E_NS1_11comp_targetILNS1_3genE2ELNS1_11target_archE906ELNS1_3gpuE6ELNS1_3repE0EEENS1_30default_config_static_selectorELNS0_4arch9wavefront6targetE1EEEvT1_
                                        ; -- End function
	.section	.AMDGPU.csdata,"",@progbits
; Kernel info:
; codeLenInByte = 0
; NumSgprs: 4
; NumVgprs: 0
; NumAgprs: 0
; TotalNumVgprs: 0
; ScratchSize: 0
; MemoryBound: 0
; FloatMode: 240
; IeeeMode: 1
; LDSByteSize: 0 bytes/workgroup (compile time only)
; SGPRBlocks: 0
; VGPRBlocks: 0
; NumSGPRsForWavesPerEU: 4
; NumVGPRsForWavesPerEU: 1
; AccumOffset: 4
; Occupancy: 8
; WaveLimiterHint : 0
; COMPUTE_PGM_RSRC2:SCRATCH_EN: 0
; COMPUTE_PGM_RSRC2:USER_SGPR: 6
; COMPUTE_PGM_RSRC2:TRAP_HANDLER: 0
; COMPUTE_PGM_RSRC2:TGID_X_EN: 1
; COMPUTE_PGM_RSRC2:TGID_Y_EN: 0
; COMPUTE_PGM_RSRC2:TGID_Z_EN: 0
; COMPUTE_PGM_RSRC2:TIDIG_COMP_CNT: 0
; COMPUTE_PGM_RSRC3_GFX90A:ACCUM_OFFSET: 0
; COMPUTE_PGM_RSRC3_GFX90A:TG_SPLIT: 0
	.section	.text._ZN7rocprim17ROCPRIM_400000_NS6detail17trampoline_kernelINS0_14default_configENS1_25partition_config_selectorILNS1_17partition_subalgoE0EyNS0_10empty_typeEbEEZZNS1_14partition_implILS5_0ELb0ES3_jN6thrust23THRUST_200600_302600_NS6detail15normal_iteratorINSA_10device_ptrIyEEEEPS6_SG_NS0_5tupleIJNSA_16discard_iteratorINSA_11use_defaultEEESK_EEENSH_IJSG_SG_EEES6_PlJ7is_evenIyEEEE10hipError_tPvRmT3_T4_T5_T6_T7_T9_mT8_P12ihipStream_tbDpT10_ENKUlT_T0_E_clISt17integral_constantIbLb0EES18_IbLb1EEEEDaS14_S15_EUlS14_E_NS1_11comp_targetILNS1_3genE10ELNS1_11target_archE1200ELNS1_3gpuE4ELNS1_3repE0EEENS1_30default_config_static_selectorELNS0_4arch9wavefront6targetE1EEEvT1_,"axG",@progbits,_ZN7rocprim17ROCPRIM_400000_NS6detail17trampoline_kernelINS0_14default_configENS1_25partition_config_selectorILNS1_17partition_subalgoE0EyNS0_10empty_typeEbEEZZNS1_14partition_implILS5_0ELb0ES3_jN6thrust23THRUST_200600_302600_NS6detail15normal_iteratorINSA_10device_ptrIyEEEEPS6_SG_NS0_5tupleIJNSA_16discard_iteratorINSA_11use_defaultEEESK_EEENSH_IJSG_SG_EEES6_PlJ7is_evenIyEEEE10hipError_tPvRmT3_T4_T5_T6_T7_T9_mT8_P12ihipStream_tbDpT10_ENKUlT_T0_E_clISt17integral_constantIbLb0EES18_IbLb1EEEEDaS14_S15_EUlS14_E_NS1_11comp_targetILNS1_3genE10ELNS1_11target_archE1200ELNS1_3gpuE4ELNS1_3repE0EEENS1_30default_config_static_selectorELNS0_4arch9wavefront6targetE1EEEvT1_,comdat
	.protected	_ZN7rocprim17ROCPRIM_400000_NS6detail17trampoline_kernelINS0_14default_configENS1_25partition_config_selectorILNS1_17partition_subalgoE0EyNS0_10empty_typeEbEEZZNS1_14partition_implILS5_0ELb0ES3_jN6thrust23THRUST_200600_302600_NS6detail15normal_iteratorINSA_10device_ptrIyEEEEPS6_SG_NS0_5tupleIJNSA_16discard_iteratorINSA_11use_defaultEEESK_EEENSH_IJSG_SG_EEES6_PlJ7is_evenIyEEEE10hipError_tPvRmT3_T4_T5_T6_T7_T9_mT8_P12ihipStream_tbDpT10_ENKUlT_T0_E_clISt17integral_constantIbLb0EES18_IbLb1EEEEDaS14_S15_EUlS14_E_NS1_11comp_targetILNS1_3genE10ELNS1_11target_archE1200ELNS1_3gpuE4ELNS1_3repE0EEENS1_30default_config_static_selectorELNS0_4arch9wavefront6targetE1EEEvT1_ ; -- Begin function _ZN7rocprim17ROCPRIM_400000_NS6detail17trampoline_kernelINS0_14default_configENS1_25partition_config_selectorILNS1_17partition_subalgoE0EyNS0_10empty_typeEbEEZZNS1_14partition_implILS5_0ELb0ES3_jN6thrust23THRUST_200600_302600_NS6detail15normal_iteratorINSA_10device_ptrIyEEEEPS6_SG_NS0_5tupleIJNSA_16discard_iteratorINSA_11use_defaultEEESK_EEENSH_IJSG_SG_EEES6_PlJ7is_evenIyEEEE10hipError_tPvRmT3_T4_T5_T6_T7_T9_mT8_P12ihipStream_tbDpT10_ENKUlT_T0_E_clISt17integral_constantIbLb0EES18_IbLb1EEEEDaS14_S15_EUlS14_E_NS1_11comp_targetILNS1_3genE10ELNS1_11target_archE1200ELNS1_3gpuE4ELNS1_3repE0EEENS1_30default_config_static_selectorELNS0_4arch9wavefront6targetE1EEEvT1_
	.globl	_ZN7rocprim17ROCPRIM_400000_NS6detail17trampoline_kernelINS0_14default_configENS1_25partition_config_selectorILNS1_17partition_subalgoE0EyNS0_10empty_typeEbEEZZNS1_14partition_implILS5_0ELb0ES3_jN6thrust23THRUST_200600_302600_NS6detail15normal_iteratorINSA_10device_ptrIyEEEEPS6_SG_NS0_5tupleIJNSA_16discard_iteratorINSA_11use_defaultEEESK_EEENSH_IJSG_SG_EEES6_PlJ7is_evenIyEEEE10hipError_tPvRmT3_T4_T5_T6_T7_T9_mT8_P12ihipStream_tbDpT10_ENKUlT_T0_E_clISt17integral_constantIbLb0EES18_IbLb1EEEEDaS14_S15_EUlS14_E_NS1_11comp_targetILNS1_3genE10ELNS1_11target_archE1200ELNS1_3gpuE4ELNS1_3repE0EEENS1_30default_config_static_selectorELNS0_4arch9wavefront6targetE1EEEvT1_
	.p2align	8
	.type	_ZN7rocprim17ROCPRIM_400000_NS6detail17trampoline_kernelINS0_14default_configENS1_25partition_config_selectorILNS1_17partition_subalgoE0EyNS0_10empty_typeEbEEZZNS1_14partition_implILS5_0ELb0ES3_jN6thrust23THRUST_200600_302600_NS6detail15normal_iteratorINSA_10device_ptrIyEEEEPS6_SG_NS0_5tupleIJNSA_16discard_iteratorINSA_11use_defaultEEESK_EEENSH_IJSG_SG_EEES6_PlJ7is_evenIyEEEE10hipError_tPvRmT3_T4_T5_T6_T7_T9_mT8_P12ihipStream_tbDpT10_ENKUlT_T0_E_clISt17integral_constantIbLb0EES18_IbLb1EEEEDaS14_S15_EUlS14_E_NS1_11comp_targetILNS1_3genE10ELNS1_11target_archE1200ELNS1_3gpuE4ELNS1_3repE0EEENS1_30default_config_static_selectorELNS0_4arch9wavefront6targetE1EEEvT1_,@function
_ZN7rocprim17ROCPRIM_400000_NS6detail17trampoline_kernelINS0_14default_configENS1_25partition_config_selectorILNS1_17partition_subalgoE0EyNS0_10empty_typeEbEEZZNS1_14partition_implILS5_0ELb0ES3_jN6thrust23THRUST_200600_302600_NS6detail15normal_iteratorINSA_10device_ptrIyEEEEPS6_SG_NS0_5tupleIJNSA_16discard_iteratorINSA_11use_defaultEEESK_EEENSH_IJSG_SG_EEES6_PlJ7is_evenIyEEEE10hipError_tPvRmT3_T4_T5_T6_T7_T9_mT8_P12ihipStream_tbDpT10_ENKUlT_T0_E_clISt17integral_constantIbLb0EES18_IbLb1EEEEDaS14_S15_EUlS14_E_NS1_11comp_targetILNS1_3genE10ELNS1_11target_archE1200ELNS1_3gpuE4ELNS1_3repE0EEENS1_30default_config_static_selectorELNS0_4arch9wavefront6targetE1EEEvT1_: ; @_ZN7rocprim17ROCPRIM_400000_NS6detail17trampoline_kernelINS0_14default_configENS1_25partition_config_selectorILNS1_17partition_subalgoE0EyNS0_10empty_typeEbEEZZNS1_14partition_implILS5_0ELb0ES3_jN6thrust23THRUST_200600_302600_NS6detail15normal_iteratorINSA_10device_ptrIyEEEEPS6_SG_NS0_5tupleIJNSA_16discard_iteratorINSA_11use_defaultEEESK_EEENSH_IJSG_SG_EEES6_PlJ7is_evenIyEEEE10hipError_tPvRmT3_T4_T5_T6_T7_T9_mT8_P12ihipStream_tbDpT10_ENKUlT_T0_E_clISt17integral_constantIbLb0EES18_IbLb1EEEEDaS14_S15_EUlS14_E_NS1_11comp_targetILNS1_3genE10ELNS1_11target_archE1200ELNS1_3gpuE4ELNS1_3repE0EEENS1_30default_config_static_selectorELNS0_4arch9wavefront6targetE1EEEvT1_
; %bb.0:
	.section	.rodata,"a",@progbits
	.p2align	6, 0x0
	.amdhsa_kernel _ZN7rocprim17ROCPRIM_400000_NS6detail17trampoline_kernelINS0_14default_configENS1_25partition_config_selectorILNS1_17partition_subalgoE0EyNS0_10empty_typeEbEEZZNS1_14partition_implILS5_0ELb0ES3_jN6thrust23THRUST_200600_302600_NS6detail15normal_iteratorINSA_10device_ptrIyEEEEPS6_SG_NS0_5tupleIJNSA_16discard_iteratorINSA_11use_defaultEEESK_EEENSH_IJSG_SG_EEES6_PlJ7is_evenIyEEEE10hipError_tPvRmT3_T4_T5_T6_T7_T9_mT8_P12ihipStream_tbDpT10_ENKUlT_T0_E_clISt17integral_constantIbLb0EES18_IbLb1EEEEDaS14_S15_EUlS14_E_NS1_11comp_targetILNS1_3genE10ELNS1_11target_archE1200ELNS1_3gpuE4ELNS1_3repE0EEENS1_30default_config_static_selectorELNS0_4arch9wavefront6targetE1EEEvT1_
		.amdhsa_group_segment_fixed_size 0
		.amdhsa_private_segment_fixed_size 0
		.amdhsa_kernarg_size 152
		.amdhsa_user_sgpr_count 6
		.amdhsa_user_sgpr_private_segment_buffer 1
		.amdhsa_user_sgpr_dispatch_ptr 0
		.amdhsa_user_sgpr_queue_ptr 0
		.amdhsa_user_sgpr_kernarg_segment_ptr 1
		.amdhsa_user_sgpr_dispatch_id 0
		.amdhsa_user_sgpr_flat_scratch_init 0
		.amdhsa_user_sgpr_kernarg_preload_length 0
		.amdhsa_user_sgpr_kernarg_preload_offset 0
		.amdhsa_user_sgpr_private_segment_size 0
		.amdhsa_uses_dynamic_stack 0
		.amdhsa_system_sgpr_private_segment_wavefront_offset 0
		.amdhsa_system_sgpr_workgroup_id_x 1
		.amdhsa_system_sgpr_workgroup_id_y 0
		.amdhsa_system_sgpr_workgroup_id_z 0
		.amdhsa_system_sgpr_workgroup_info 0
		.amdhsa_system_vgpr_workitem_id 0
		.amdhsa_next_free_vgpr 1
		.amdhsa_next_free_sgpr 0
		.amdhsa_accum_offset 4
		.amdhsa_reserve_vcc 0
		.amdhsa_reserve_flat_scratch 0
		.amdhsa_float_round_mode_32 0
		.amdhsa_float_round_mode_16_64 0
		.amdhsa_float_denorm_mode_32 3
		.amdhsa_float_denorm_mode_16_64 3
		.amdhsa_dx10_clamp 1
		.amdhsa_ieee_mode 1
		.amdhsa_fp16_overflow 0
		.amdhsa_tg_split 0
		.amdhsa_exception_fp_ieee_invalid_op 0
		.amdhsa_exception_fp_denorm_src 0
		.amdhsa_exception_fp_ieee_div_zero 0
		.amdhsa_exception_fp_ieee_overflow 0
		.amdhsa_exception_fp_ieee_underflow 0
		.amdhsa_exception_fp_ieee_inexact 0
		.amdhsa_exception_int_div_zero 0
	.end_amdhsa_kernel
	.section	.text._ZN7rocprim17ROCPRIM_400000_NS6detail17trampoline_kernelINS0_14default_configENS1_25partition_config_selectorILNS1_17partition_subalgoE0EyNS0_10empty_typeEbEEZZNS1_14partition_implILS5_0ELb0ES3_jN6thrust23THRUST_200600_302600_NS6detail15normal_iteratorINSA_10device_ptrIyEEEEPS6_SG_NS0_5tupleIJNSA_16discard_iteratorINSA_11use_defaultEEESK_EEENSH_IJSG_SG_EEES6_PlJ7is_evenIyEEEE10hipError_tPvRmT3_T4_T5_T6_T7_T9_mT8_P12ihipStream_tbDpT10_ENKUlT_T0_E_clISt17integral_constantIbLb0EES18_IbLb1EEEEDaS14_S15_EUlS14_E_NS1_11comp_targetILNS1_3genE10ELNS1_11target_archE1200ELNS1_3gpuE4ELNS1_3repE0EEENS1_30default_config_static_selectorELNS0_4arch9wavefront6targetE1EEEvT1_,"axG",@progbits,_ZN7rocprim17ROCPRIM_400000_NS6detail17trampoline_kernelINS0_14default_configENS1_25partition_config_selectorILNS1_17partition_subalgoE0EyNS0_10empty_typeEbEEZZNS1_14partition_implILS5_0ELb0ES3_jN6thrust23THRUST_200600_302600_NS6detail15normal_iteratorINSA_10device_ptrIyEEEEPS6_SG_NS0_5tupleIJNSA_16discard_iteratorINSA_11use_defaultEEESK_EEENSH_IJSG_SG_EEES6_PlJ7is_evenIyEEEE10hipError_tPvRmT3_T4_T5_T6_T7_T9_mT8_P12ihipStream_tbDpT10_ENKUlT_T0_E_clISt17integral_constantIbLb0EES18_IbLb1EEEEDaS14_S15_EUlS14_E_NS1_11comp_targetILNS1_3genE10ELNS1_11target_archE1200ELNS1_3gpuE4ELNS1_3repE0EEENS1_30default_config_static_selectorELNS0_4arch9wavefront6targetE1EEEvT1_,comdat
.Lfunc_end2328:
	.size	_ZN7rocprim17ROCPRIM_400000_NS6detail17trampoline_kernelINS0_14default_configENS1_25partition_config_selectorILNS1_17partition_subalgoE0EyNS0_10empty_typeEbEEZZNS1_14partition_implILS5_0ELb0ES3_jN6thrust23THRUST_200600_302600_NS6detail15normal_iteratorINSA_10device_ptrIyEEEEPS6_SG_NS0_5tupleIJNSA_16discard_iteratorINSA_11use_defaultEEESK_EEENSH_IJSG_SG_EEES6_PlJ7is_evenIyEEEE10hipError_tPvRmT3_T4_T5_T6_T7_T9_mT8_P12ihipStream_tbDpT10_ENKUlT_T0_E_clISt17integral_constantIbLb0EES18_IbLb1EEEEDaS14_S15_EUlS14_E_NS1_11comp_targetILNS1_3genE10ELNS1_11target_archE1200ELNS1_3gpuE4ELNS1_3repE0EEENS1_30default_config_static_selectorELNS0_4arch9wavefront6targetE1EEEvT1_, .Lfunc_end2328-_ZN7rocprim17ROCPRIM_400000_NS6detail17trampoline_kernelINS0_14default_configENS1_25partition_config_selectorILNS1_17partition_subalgoE0EyNS0_10empty_typeEbEEZZNS1_14partition_implILS5_0ELb0ES3_jN6thrust23THRUST_200600_302600_NS6detail15normal_iteratorINSA_10device_ptrIyEEEEPS6_SG_NS0_5tupleIJNSA_16discard_iteratorINSA_11use_defaultEEESK_EEENSH_IJSG_SG_EEES6_PlJ7is_evenIyEEEE10hipError_tPvRmT3_T4_T5_T6_T7_T9_mT8_P12ihipStream_tbDpT10_ENKUlT_T0_E_clISt17integral_constantIbLb0EES18_IbLb1EEEEDaS14_S15_EUlS14_E_NS1_11comp_targetILNS1_3genE10ELNS1_11target_archE1200ELNS1_3gpuE4ELNS1_3repE0EEENS1_30default_config_static_selectorELNS0_4arch9wavefront6targetE1EEEvT1_
                                        ; -- End function
	.section	.AMDGPU.csdata,"",@progbits
; Kernel info:
; codeLenInByte = 0
; NumSgprs: 4
; NumVgprs: 0
; NumAgprs: 0
; TotalNumVgprs: 0
; ScratchSize: 0
; MemoryBound: 0
; FloatMode: 240
; IeeeMode: 1
; LDSByteSize: 0 bytes/workgroup (compile time only)
; SGPRBlocks: 0
; VGPRBlocks: 0
; NumSGPRsForWavesPerEU: 4
; NumVGPRsForWavesPerEU: 1
; AccumOffset: 4
; Occupancy: 8
; WaveLimiterHint : 0
; COMPUTE_PGM_RSRC2:SCRATCH_EN: 0
; COMPUTE_PGM_RSRC2:USER_SGPR: 6
; COMPUTE_PGM_RSRC2:TRAP_HANDLER: 0
; COMPUTE_PGM_RSRC2:TGID_X_EN: 1
; COMPUTE_PGM_RSRC2:TGID_Y_EN: 0
; COMPUTE_PGM_RSRC2:TGID_Z_EN: 0
; COMPUTE_PGM_RSRC2:TIDIG_COMP_CNT: 0
; COMPUTE_PGM_RSRC3_GFX90A:ACCUM_OFFSET: 0
; COMPUTE_PGM_RSRC3_GFX90A:TG_SPLIT: 0
	.section	.text._ZN7rocprim17ROCPRIM_400000_NS6detail17trampoline_kernelINS0_14default_configENS1_25partition_config_selectorILNS1_17partition_subalgoE0EyNS0_10empty_typeEbEEZZNS1_14partition_implILS5_0ELb0ES3_jN6thrust23THRUST_200600_302600_NS6detail15normal_iteratorINSA_10device_ptrIyEEEEPS6_SG_NS0_5tupleIJNSA_16discard_iteratorINSA_11use_defaultEEESK_EEENSH_IJSG_SG_EEES6_PlJ7is_evenIyEEEE10hipError_tPvRmT3_T4_T5_T6_T7_T9_mT8_P12ihipStream_tbDpT10_ENKUlT_T0_E_clISt17integral_constantIbLb0EES18_IbLb1EEEEDaS14_S15_EUlS14_E_NS1_11comp_targetILNS1_3genE9ELNS1_11target_archE1100ELNS1_3gpuE3ELNS1_3repE0EEENS1_30default_config_static_selectorELNS0_4arch9wavefront6targetE1EEEvT1_,"axG",@progbits,_ZN7rocprim17ROCPRIM_400000_NS6detail17trampoline_kernelINS0_14default_configENS1_25partition_config_selectorILNS1_17partition_subalgoE0EyNS0_10empty_typeEbEEZZNS1_14partition_implILS5_0ELb0ES3_jN6thrust23THRUST_200600_302600_NS6detail15normal_iteratorINSA_10device_ptrIyEEEEPS6_SG_NS0_5tupleIJNSA_16discard_iteratorINSA_11use_defaultEEESK_EEENSH_IJSG_SG_EEES6_PlJ7is_evenIyEEEE10hipError_tPvRmT3_T4_T5_T6_T7_T9_mT8_P12ihipStream_tbDpT10_ENKUlT_T0_E_clISt17integral_constantIbLb0EES18_IbLb1EEEEDaS14_S15_EUlS14_E_NS1_11comp_targetILNS1_3genE9ELNS1_11target_archE1100ELNS1_3gpuE3ELNS1_3repE0EEENS1_30default_config_static_selectorELNS0_4arch9wavefront6targetE1EEEvT1_,comdat
	.protected	_ZN7rocprim17ROCPRIM_400000_NS6detail17trampoline_kernelINS0_14default_configENS1_25partition_config_selectorILNS1_17partition_subalgoE0EyNS0_10empty_typeEbEEZZNS1_14partition_implILS5_0ELb0ES3_jN6thrust23THRUST_200600_302600_NS6detail15normal_iteratorINSA_10device_ptrIyEEEEPS6_SG_NS0_5tupleIJNSA_16discard_iteratorINSA_11use_defaultEEESK_EEENSH_IJSG_SG_EEES6_PlJ7is_evenIyEEEE10hipError_tPvRmT3_T4_T5_T6_T7_T9_mT8_P12ihipStream_tbDpT10_ENKUlT_T0_E_clISt17integral_constantIbLb0EES18_IbLb1EEEEDaS14_S15_EUlS14_E_NS1_11comp_targetILNS1_3genE9ELNS1_11target_archE1100ELNS1_3gpuE3ELNS1_3repE0EEENS1_30default_config_static_selectorELNS0_4arch9wavefront6targetE1EEEvT1_ ; -- Begin function _ZN7rocprim17ROCPRIM_400000_NS6detail17trampoline_kernelINS0_14default_configENS1_25partition_config_selectorILNS1_17partition_subalgoE0EyNS0_10empty_typeEbEEZZNS1_14partition_implILS5_0ELb0ES3_jN6thrust23THRUST_200600_302600_NS6detail15normal_iteratorINSA_10device_ptrIyEEEEPS6_SG_NS0_5tupleIJNSA_16discard_iteratorINSA_11use_defaultEEESK_EEENSH_IJSG_SG_EEES6_PlJ7is_evenIyEEEE10hipError_tPvRmT3_T4_T5_T6_T7_T9_mT8_P12ihipStream_tbDpT10_ENKUlT_T0_E_clISt17integral_constantIbLb0EES18_IbLb1EEEEDaS14_S15_EUlS14_E_NS1_11comp_targetILNS1_3genE9ELNS1_11target_archE1100ELNS1_3gpuE3ELNS1_3repE0EEENS1_30default_config_static_selectorELNS0_4arch9wavefront6targetE1EEEvT1_
	.globl	_ZN7rocprim17ROCPRIM_400000_NS6detail17trampoline_kernelINS0_14default_configENS1_25partition_config_selectorILNS1_17partition_subalgoE0EyNS0_10empty_typeEbEEZZNS1_14partition_implILS5_0ELb0ES3_jN6thrust23THRUST_200600_302600_NS6detail15normal_iteratorINSA_10device_ptrIyEEEEPS6_SG_NS0_5tupleIJNSA_16discard_iteratorINSA_11use_defaultEEESK_EEENSH_IJSG_SG_EEES6_PlJ7is_evenIyEEEE10hipError_tPvRmT3_T4_T5_T6_T7_T9_mT8_P12ihipStream_tbDpT10_ENKUlT_T0_E_clISt17integral_constantIbLb0EES18_IbLb1EEEEDaS14_S15_EUlS14_E_NS1_11comp_targetILNS1_3genE9ELNS1_11target_archE1100ELNS1_3gpuE3ELNS1_3repE0EEENS1_30default_config_static_selectorELNS0_4arch9wavefront6targetE1EEEvT1_
	.p2align	8
	.type	_ZN7rocprim17ROCPRIM_400000_NS6detail17trampoline_kernelINS0_14default_configENS1_25partition_config_selectorILNS1_17partition_subalgoE0EyNS0_10empty_typeEbEEZZNS1_14partition_implILS5_0ELb0ES3_jN6thrust23THRUST_200600_302600_NS6detail15normal_iteratorINSA_10device_ptrIyEEEEPS6_SG_NS0_5tupleIJNSA_16discard_iteratorINSA_11use_defaultEEESK_EEENSH_IJSG_SG_EEES6_PlJ7is_evenIyEEEE10hipError_tPvRmT3_T4_T5_T6_T7_T9_mT8_P12ihipStream_tbDpT10_ENKUlT_T0_E_clISt17integral_constantIbLb0EES18_IbLb1EEEEDaS14_S15_EUlS14_E_NS1_11comp_targetILNS1_3genE9ELNS1_11target_archE1100ELNS1_3gpuE3ELNS1_3repE0EEENS1_30default_config_static_selectorELNS0_4arch9wavefront6targetE1EEEvT1_,@function
_ZN7rocprim17ROCPRIM_400000_NS6detail17trampoline_kernelINS0_14default_configENS1_25partition_config_selectorILNS1_17partition_subalgoE0EyNS0_10empty_typeEbEEZZNS1_14partition_implILS5_0ELb0ES3_jN6thrust23THRUST_200600_302600_NS6detail15normal_iteratorINSA_10device_ptrIyEEEEPS6_SG_NS0_5tupleIJNSA_16discard_iteratorINSA_11use_defaultEEESK_EEENSH_IJSG_SG_EEES6_PlJ7is_evenIyEEEE10hipError_tPvRmT3_T4_T5_T6_T7_T9_mT8_P12ihipStream_tbDpT10_ENKUlT_T0_E_clISt17integral_constantIbLb0EES18_IbLb1EEEEDaS14_S15_EUlS14_E_NS1_11comp_targetILNS1_3genE9ELNS1_11target_archE1100ELNS1_3gpuE3ELNS1_3repE0EEENS1_30default_config_static_selectorELNS0_4arch9wavefront6targetE1EEEvT1_: ; @_ZN7rocprim17ROCPRIM_400000_NS6detail17trampoline_kernelINS0_14default_configENS1_25partition_config_selectorILNS1_17partition_subalgoE0EyNS0_10empty_typeEbEEZZNS1_14partition_implILS5_0ELb0ES3_jN6thrust23THRUST_200600_302600_NS6detail15normal_iteratorINSA_10device_ptrIyEEEEPS6_SG_NS0_5tupleIJNSA_16discard_iteratorINSA_11use_defaultEEESK_EEENSH_IJSG_SG_EEES6_PlJ7is_evenIyEEEE10hipError_tPvRmT3_T4_T5_T6_T7_T9_mT8_P12ihipStream_tbDpT10_ENKUlT_T0_E_clISt17integral_constantIbLb0EES18_IbLb1EEEEDaS14_S15_EUlS14_E_NS1_11comp_targetILNS1_3genE9ELNS1_11target_archE1100ELNS1_3gpuE3ELNS1_3repE0EEENS1_30default_config_static_selectorELNS0_4arch9wavefront6targetE1EEEvT1_
; %bb.0:
	.section	.rodata,"a",@progbits
	.p2align	6, 0x0
	.amdhsa_kernel _ZN7rocprim17ROCPRIM_400000_NS6detail17trampoline_kernelINS0_14default_configENS1_25partition_config_selectorILNS1_17partition_subalgoE0EyNS0_10empty_typeEbEEZZNS1_14partition_implILS5_0ELb0ES3_jN6thrust23THRUST_200600_302600_NS6detail15normal_iteratorINSA_10device_ptrIyEEEEPS6_SG_NS0_5tupleIJNSA_16discard_iteratorINSA_11use_defaultEEESK_EEENSH_IJSG_SG_EEES6_PlJ7is_evenIyEEEE10hipError_tPvRmT3_T4_T5_T6_T7_T9_mT8_P12ihipStream_tbDpT10_ENKUlT_T0_E_clISt17integral_constantIbLb0EES18_IbLb1EEEEDaS14_S15_EUlS14_E_NS1_11comp_targetILNS1_3genE9ELNS1_11target_archE1100ELNS1_3gpuE3ELNS1_3repE0EEENS1_30default_config_static_selectorELNS0_4arch9wavefront6targetE1EEEvT1_
		.amdhsa_group_segment_fixed_size 0
		.amdhsa_private_segment_fixed_size 0
		.amdhsa_kernarg_size 152
		.amdhsa_user_sgpr_count 6
		.amdhsa_user_sgpr_private_segment_buffer 1
		.amdhsa_user_sgpr_dispatch_ptr 0
		.amdhsa_user_sgpr_queue_ptr 0
		.amdhsa_user_sgpr_kernarg_segment_ptr 1
		.amdhsa_user_sgpr_dispatch_id 0
		.amdhsa_user_sgpr_flat_scratch_init 0
		.amdhsa_user_sgpr_kernarg_preload_length 0
		.amdhsa_user_sgpr_kernarg_preload_offset 0
		.amdhsa_user_sgpr_private_segment_size 0
		.amdhsa_uses_dynamic_stack 0
		.amdhsa_system_sgpr_private_segment_wavefront_offset 0
		.amdhsa_system_sgpr_workgroup_id_x 1
		.amdhsa_system_sgpr_workgroup_id_y 0
		.amdhsa_system_sgpr_workgroup_id_z 0
		.amdhsa_system_sgpr_workgroup_info 0
		.amdhsa_system_vgpr_workitem_id 0
		.amdhsa_next_free_vgpr 1
		.amdhsa_next_free_sgpr 0
		.amdhsa_accum_offset 4
		.amdhsa_reserve_vcc 0
		.amdhsa_reserve_flat_scratch 0
		.amdhsa_float_round_mode_32 0
		.amdhsa_float_round_mode_16_64 0
		.amdhsa_float_denorm_mode_32 3
		.amdhsa_float_denorm_mode_16_64 3
		.amdhsa_dx10_clamp 1
		.amdhsa_ieee_mode 1
		.amdhsa_fp16_overflow 0
		.amdhsa_tg_split 0
		.amdhsa_exception_fp_ieee_invalid_op 0
		.amdhsa_exception_fp_denorm_src 0
		.amdhsa_exception_fp_ieee_div_zero 0
		.amdhsa_exception_fp_ieee_overflow 0
		.amdhsa_exception_fp_ieee_underflow 0
		.amdhsa_exception_fp_ieee_inexact 0
		.amdhsa_exception_int_div_zero 0
	.end_amdhsa_kernel
	.section	.text._ZN7rocprim17ROCPRIM_400000_NS6detail17trampoline_kernelINS0_14default_configENS1_25partition_config_selectorILNS1_17partition_subalgoE0EyNS0_10empty_typeEbEEZZNS1_14partition_implILS5_0ELb0ES3_jN6thrust23THRUST_200600_302600_NS6detail15normal_iteratorINSA_10device_ptrIyEEEEPS6_SG_NS0_5tupleIJNSA_16discard_iteratorINSA_11use_defaultEEESK_EEENSH_IJSG_SG_EEES6_PlJ7is_evenIyEEEE10hipError_tPvRmT3_T4_T5_T6_T7_T9_mT8_P12ihipStream_tbDpT10_ENKUlT_T0_E_clISt17integral_constantIbLb0EES18_IbLb1EEEEDaS14_S15_EUlS14_E_NS1_11comp_targetILNS1_3genE9ELNS1_11target_archE1100ELNS1_3gpuE3ELNS1_3repE0EEENS1_30default_config_static_selectorELNS0_4arch9wavefront6targetE1EEEvT1_,"axG",@progbits,_ZN7rocprim17ROCPRIM_400000_NS6detail17trampoline_kernelINS0_14default_configENS1_25partition_config_selectorILNS1_17partition_subalgoE0EyNS0_10empty_typeEbEEZZNS1_14partition_implILS5_0ELb0ES3_jN6thrust23THRUST_200600_302600_NS6detail15normal_iteratorINSA_10device_ptrIyEEEEPS6_SG_NS0_5tupleIJNSA_16discard_iteratorINSA_11use_defaultEEESK_EEENSH_IJSG_SG_EEES6_PlJ7is_evenIyEEEE10hipError_tPvRmT3_T4_T5_T6_T7_T9_mT8_P12ihipStream_tbDpT10_ENKUlT_T0_E_clISt17integral_constantIbLb0EES18_IbLb1EEEEDaS14_S15_EUlS14_E_NS1_11comp_targetILNS1_3genE9ELNS1_11target_archE1100ELNS1_3gpuE3ELNS1_3repE0EEENS1_30default_config_static_selectorELNS0_4arch9wavefront6targetE1EEEvT1_,comdat
.Lfunc_end2329:
	.size	_ZN7rocprim17ROCPRIM_400000_NS6detail17trampoline_kernelINS0_14default_configENS1_25partition_config_selectorILNS1_17partition_subalgoE0EyNS0_10empty_typeEbEEZZNS1_14partition_implILS5_0ELb0ES3_jN6thrust23THRUST_200600_302600_NS6detail15normal_iteratorINSA_10device_ptrIyEEEEPS6_SG_NS0_5tupleIJNSA_16discard_iteratorINSA_11use_defaultEEESK_EEENSH_IJSG_SG_EEES6_PlJ7is_evenIyEEEE10hipError_tPvRmT3_T4_T5_T6_T7_T9_mT8_P12ihipStream_tbDpT10_ENKUlT_T0_E_clISt17integral_constantIbLb0EES18_IbLb1EEEEDaS14_S15_EUlS14_E_NS1_11comp_targetILNS1_3genE9ELNS1_11target_archE1100ELNS1_3gpuE3ELNS1_3repE0EEENS1_30default_config_static_selectorELNS0_4arch9wavefront6targetE1EEEvT1_, .Lfunc_end2329-_ZN7rocprim17ROCPRIM_400000_NS6detail17trampoline_kernelINS0_14default_configENS1_25partition_config_selectorILNS1_17partition_subalgoE0EyNS0_10empty_typeEbEEZZNS1_14partition_implILS5_0ELb0ES3_jN6thrust23THRUST_200600_302600_NS6detail15normal_iteratorINSA_10device_ptrIyEEEEPS6_SG_NS0_5tupleIJNSA_16discard_iteratorINSA_11use_defaultEEESK_EEENSH_IJSG_SG_EEES6_PlJ7is_evenIyEEEE10hipError_tPvRmT3_T4_T5_T6_T7_T9_mT8_P12ihipStream_tbDpT10_ENKUlT_T0_E_clISt17integral_constantIbLb0EES18_IbLb1EEEEDaS14_S15_EUlS14_E_NS1_11comp_targetILNS1_3genE9ELNS1_11target_archE1100ELNS1_3gpuE3ELNS1_3repE0EEENS1_30default_config_static_selectorELNS0_4arch9wavefront6targetE1EEEvT1_
                                        ; -- End function
	.section	.AMDGPU.csdata,"",@progbits
; Kernel info:
; codeLenInByte = 0
; NumSgprs: 4
; NumVgprs: 0
; NumAgprs: 0
; TotalNumVgprs: 0
; ScratchSize: 0
; MemoryBound: 0
; FloatMode: 240
; IeeeMode: 1
; LDSByteSize: 0 bytes/workgroup (compile time only)
; SGPRBlocks: 0
; VGPRBlocks: 0
; NumSGPRsForWavesPerEU: 4
; NumVGPRsForWavesPerEU: 1
; AccumOffset: 4
; Occupancy: 8
; WaveLimiterHint : 0
; COMPUTE_PGM_RSRC2:SCRATCH_EN: 0
; COMPUTE_PGM_RSRC2:USER_SGPR: 6
; COMPUTE_PGM_RSRC2:TRAP_HANDLER: 0
; COMPUTE_PGM_RSRC2:TGID_X_EN: 1
; COMPUTE_PGM_RSRC2:TGID_Y_EN: 0
; COMPUTE_PGM_RSRC2:TGID_Z_EN: 0
; COMPUTE_PGM_RSRC2:TIDIG_COMP_CNT: 0
; COMPUTE_PGM_RSRC3_GFX90A:ACCUM_OFFSET: 0
; COMPUTE_PGM_RSRC3_GFX90A:TG_SPLIT: 0
	.section	.text._ZN7rocprim17ROCPRIM_400000_NS6detail17trampoline_kernelINS0_14default_configENS1_25partition_config_selectorILNS1_17partition_subalgoE0EyNS0_10empty_typeEbEEZZNS1_14partition_implILS5_0ELb0ES3_jN6thrust23THRUST_200600_302600_NS6detail15normal_iteratorINSA_10device_ptrIyEEEEPS6_SG_NS0_5tupleIJNSA_16discard_iteratorINSA_11use_defaultEEESK_EEENSH_IJSG_SG_EEES6_PlJ7is_evenIyEEEE10hipError_tPvRmT3_T4_T5_T6_T7_T9_mT8_P12ihipStream_tbDpT10_ENKUlT_T0_E_clISt17integral_constantIbLb0EES18_IbLb1EEEEDaS14_S15_EUlS14_E_NS1_11comp_targetILNS1_3genE8ELNS1_11target_archE1030ELNS1_3gpuE2ELNS1_3repE0EEENS1_30default_config_static_selectorELNS0_4arch9wavefront6targetE1EEEvT1_,"axG",@progbits,_ZN7rocprim17ROCPRIM_400000_NS6detail17trampoline_kernelINS0_14default_configENS1_25partition_config_selectorILNS1_17partition_subalgoE0EyNS0_10empty_typeEbEEZZNS1_14partition_implILS5_0ELb0ES3_jN6thrust23THRUST_200600_302600_NS6detail15normal_iteratorINSA_10device_ptrIyEEEEPS6_SG_NS0_5tupleIJNSA_16discard_iteratorINSA_11use_defaultEEESK_EEENSH_IJSG_SG_EEES6_PlJ7is_evenIyEEEE10hipError_tPvRmT3_T4_T5_T6_T7_T9_mT8_P12ihipStream_tbDpT10_ENKUlT_T0_E_clISt17integral_constantIbLb0EES18_IbLb1EEEEDaS14_S15_EUlS14_E_NS1_11comp_targetILNS1_3genE8ELNS1_11target_archE1030ELNS1_3gpuE2ELNS1_3repE0EEENS1_30default_config_static_selectorELNS0_4arch9wavefront6targetE1EEEvT1_,comdat
	.protected	_ZN7rocprim17ROCPRIM_400000_NS6detail17trampoline_kernelINS0_14default_configENS1_25partition_config_selectorILNS1_17partition_subalgoE0EyNS0_10empty_typeEbEEZZNS1_14partition_implILS5_0ELb0ES3_jN6thrust23THRUST_200600_302600_NS6detail15normal_iteratorINSA_10device_ptrIyEEEEPS6_SG_NS0_5tupleIJNSA_16discard_iteratorINSA_11use_defaultEEESK_EEENSH_IJSG_SG_EEES6_PlJ7is_evenIyEEEE10hipError_tPvRmT3_T4_T5_T6_T7_T9_mT8_P12ihipStream_tbDpT10_ENKUlT_T0_E_clISt17integral_constantIbLb0EES18_IbLb1EEEEDaS14_S15_EUlS14_E_NS1_11comp_targetILNS1_3genE8ELNS1_11target_archE1030ELNS1_3gpuE2ELNS1_3repE0EEENS1_30default_config_static_selectorELNS0_4arch9wavefront6targetE1EEEvT1_ ; -- Begin function _ZN7rocprim17ROCPRIM_400000_NS6detail17trampoline_kernelINS0_14default_configENS1_25partition_config_selectorILNS1_17partition_subalgoE0EyNS0_10empty_typeEbEEZZNS1_14partition_implILS5_0ELb0ES3_jN6thrust23THRUST_200600_302600_NS6detail15normal_iteratorINSA_10device_ptrIyEEEEPS6_SG_NS0_5tupleIJNSA_16discard_iteratorINSA_11use_defaultEEESK_EEENSH_IJSG_SG_EEES6_PlJ7is_evenIyEEEE10hipError_tPvRmT3_T4_T5_T6_T7_T9_mT8_P12ihipStream_tbDpT10_ENKUlT_T0_E_clISt17integral_constantIbLb0EES18_IbLb1EEEEDaS14_S15_EUlS14_E_NS1_11comp_targetILNS1_3genE8ELNS1_11target_archE1030ELNS1_3gpuE2ELNS1_3repE0EEENS1_30default_config_static_selectorELNS0_4arch9wavefront6targetE1EEEvT1_
	.globl	_ZN7rocprim17ROCPRIM_400000_NS6detail17trampoline_kernelINS0_14default_configENS1_25partition_config_selectorILNS1_17partition_subalgoE0EyNS0_10empty_typeEbEEZZNS1_14partition_implILS5_0ELb0ES3_jN6thrust23THRUST_200600_302600_NS6detail15normal_iteratorINSA_10device_ptrIyEEEEPS6_SG_NS0_5tupleIJNSA_16discard_iteratorINSA_11use_defaultEEESK_EEENSH_IJSG_SG_EEES6_PlJ7is_evenIyEEEE10hipError_tPvRmT3_T4_T5_T6_T7_T9_mT8_P12ihipStream_tbDpT10_ENKUlT_T0_E_clISt17integral_constantIbLb0EES18_IbLb1EEEEDaS14_S15_EUlS14_E_NS1_11comp_targetILNS1_3genE8ELNS1_11target_archE1030ELNS1_3gpuE2ELNS1_3repE0EEENS1_30default_config_static_selectorELNS0_4arch9wavefront6targetE1EEEvT1_
	.p2align	8
	.type	_ZN7rocprim17ROCPRIM_400000_NS6detail17trampoline_kernelINS0_14default_configENS1_25partition_config_selectorILNS1_17partition_subalgoE0EyNS0_10empty_typeEbEEZZNS1_14partition_implILS5_0ELb0ES3_jN6thrust23THRUST_200600_302600_NS6detail15normal_iteratorINSA_10device_ptrIyEEEEPS6_SG_NS0_5tupleIJNSA_16discard_iteratorINSA_11use_defaultEEESK_EEENSH_IJSG_SG_EEES6_PlJ7is_evenIyEEEE10hipError_tPvRmT3_T4_T5_T6_T7_T9_mT8_P12ihipStream_tbDpT10_ENKUlT_T0_E_clISt17integral_constantIbLb0EES18_IbLb1EEEEDaS14_S15_EUlS14_E_NS1_11comp_targetILNS1_3genE8ELNS1_11target_archE1030ELNS1_3gpuE2ELNS1_3repE0EEENS1_30default_config_static_selectorELNS0_4arch9wavefront6targetE1EEEvT1_,@function
_ZN7rocprim17ROCPRIM_400000_NS6detail17trampoline_kernelINS0_14default_configENS1_25partition_config_selectorILNS1_17partition_subalgoE0EyNS0_10empty_typeEbEEZZNS1_14partition_implILS5_0ELb0ES3_jN6thrust23THRUST_200600_302600_NS6detail15normal_iteratorINSA_10device_ptrIyEEEEPS6_SG_NS0_5tupleIJNSA_16discard_iteratorINSA_11use_defaultEEESK_EEENSH_IJSG_SG_EEES6_PlJ7is_evenIyEEEE10hipError_tPvRmT3_T4_T5_T6_T7_T9_mT8_P12ihipStream_tbDpT10_ENKUlT_T0_E_clISt17integral_constantIbLb0EES18_IbLb1EEEEDaS14_S15_EUlS14_E_NS1_11comp_targetILNS1_3genE8ELNS1_11target_archE1030ELNS1_3gpuE2ELNS1_3repE0EEENS1_30default_config_static_selectorELNS0_4arch9wavefront6targetE1EEEvT1_: ; @_ZN7rocprim17ROCPRIM_400000_NS6detail17trampoline_kernelINS0_14default_configENS1_25partition_config_selectorILNS1_17partition_subalgoE0EyNS0_10empty_typeEbEEZZNS1_14partition_implILS5_0ELb0ES3_jN6thrust23THRUST_200600_302600_NS6detail15normal_iteratorINSA_10device_ptrIyEEEEPS6_SG_NS0_5tupleIJNSA_16discard_iteratorINSA_11use_defaultEEESK_EEENSH_IJSG_SG_EEES6_PlJ7is_evenIyEEEE10hipError_tPvRmT3_T4_T5_T6_T7_T9_mT8_P12ihipStream_tbDpT10_ENKUlT_T0_E_clISt17integral_constantIbLb0EES18_IbLb1EEEEDaS14_S15_EUlS14_E_NS1_11comp_targetILNS1_3genE8ELNS1_11target_archE1030ELNS1_3gpuE2ELNS1_3repE0EEENS1_30default_config_static_selectorELNS0_4arch9wavefront6targetE1EEEvT1_
; %bb.0:
	.section	.rodata,"a",@progbits
	.p2align	6, 0x0
	.amdhsa_kernel _ZN7rocprim17ROCPRIM_400000_NS6detail17trampoline_kernelINS0_14default_configENS1_25partition_config_selectorILNS1_17partition_subalgoE0EyNS0_10empty_typeEbEEZZNS1_14partition_implILS5_0ELb0ES3_jN6thrust23THRUST_200600_302600_NS6detail15normal_iteratorINSA_10device_ptrIyEEEEPS6_SG_NS0_5tupleIJNSA_16discard_iteratorINSA_11use_defaultEEESK_EEENSH_IJSG_SG_EEES6_PlJ7is_evenIyEEEE10hipError_tPvRmT3_T4_T5_T6_T7_T9_mT8_P12ihipStream_tbDpT10_ENKUlT_T0_E_clISt17integral_constantIbLb0EES18_IbLb1EEEEDaS14_S15_EUlS14_E_NS1_11comp_targetILNS1_3genE8ELNS1_11target_archE1030ELNS1_3gpuE2ELNS1_3repE0EEENS1_30default_config_static_selectorELNS0_4arch9wavefront6targetE1EEEvT1_
		.amdhsa_group_segment_fixed_size 0
		.amdhsa_private_segment_fixed_size 0
		.amdhsa_kernarg_size 152
		.amdhsa_user_sgpr_count 6
		.amdhsa_user_sgpr_private_segment_buffer 1
		.amdhsa_user_sgpr_dispatch_ptr 0
		.amdhsa_user_sgpr_queue_ptr 0
		.amdhsa_user_sgpr_kernarg_segment_ptr 1
		.amdhsa_user_sgpr_dispatch_id 0
		.amdhsa_user_sgpr_flat_scratch_init 0
		.amdhsa_user_sgpr_kernarg_preload_length 0
		.amdhsa_user_sgpr_kernarg_preload_offset 0
		.amdhsa_user_sgpr_private_segment_size 0
		.amdhsa_uses_dynamic_stack 0
		.amdhsa_system_sgpr_private_segment_wavefront_offset 0
		.amdhsa_system_sgpr_workgroup_id_x 1
		.amdhsa_system_sgpr_workgroup_id_y 0
		.amdhsa_system_sgpr_workgroup_id_z 0
		.amdhsa_system_sgpr_workgroup_info 0
		.amdhsa_system_vgpr_workitem_id 0
		.amdhsa_next_free_vgpr 1
		.amdhsa_next_free_sgpr 0
		.amdhsa_accum_offset 4
		.amdhsa_reserve_vcc 0
		.amdhsa_reserve_flat_scratch 0
		.amdhsa_float_round_mode_32 0
		.amdhsa_float_round_mode_16_64 0
		.amdhsa_float_denorm_mode_32 3
		.amdhsa_float_denorm_mode_16_64 3
		.amdhsa_dx10_clamp 1
		.amdhsa_ieee_mode 1
		.amdhsa_fp16_overflow 0
		.amdhsa_tg_split 0
		.amdhsa_exception_fp_ieee_invalid_op 0
		.amdhsa_exception_fp_denorm_src 0
		.amdhsa_exception_fp_ieee_div_zero 0
		.amdhsa_exception_fp_ieee_overflow 0
		.amdhsa_exception_fp_ieee_underflow 0
		.amdhsa_exception_fp_ieee_inexact 0
		.amdhsa_exception_int_div_zero 0
	.end_amdhsa_kernel
	.section	.text._ZN7rocprim17ROCPRIM_400000_NS6detail17trampoline_kernelINS0_14default_configENS1_25partition_config_selectorILNS1_17partition_subalgoE0EyNS0_10empty_typeEbEEZZNS1_14partition_implILS5_0ELb0ES3_jN6thrust23THRUST_200600_302600_NS6detail15normal_iteratorINSA_10device_ptrIyEEEEPS6_SG_NS0_5tupleIJNSA_16discard_iteratorINSA_11use_defaultEEESK_EEENSH_IJSG_SG_EEES6_PlJ7is_evenIyEEEE10hipError_tPvRmT3_T4_T5_T6_T7_T9_mT8_P12ihipStream_tbDpT10_ENKUlT_T0_E_clISt17integral_constantIbLb0EES18_IbLb1EEEEDaS14_S15_EUlS14_E_NS1_11comp_targetILNS1_3genE8ELNS1_11target_archE1030ELNS1_3gpuE2ELNS1_3repE0EEENS1_30default_config_static_selectorELNS0_4arch9wavefront6targetE1EEEvT1_,"axG",@progbits,_ZN7rocprim17ROCPRIM_400000_NS6detail17trampoline_kernelINS0_14default_configENS1_25partition_config_selectorILNS1_17partition_subalgoE0EyNS0_10empty_typeEbEEZZNS1_14partition_implILS5_0ELb0ES3_jN6thrust23THRUST_200600_302600_NS6detail15normal_iteratorINSA_10device_ptrIyEEEEPS6_SG_NS0_5tupleIJNSA_16discard_iteratorINSA_11use_defaultEEESK_EEENSH_IJSG_SG_EEES6_PlJ7is_evenIyEEEE10hipError_tPvRmT3_T4_T5_T6_T7_T9_mT8_P12ihipStream_tbDpT10_ENKUlT_T0_E_clISt17integral_constantIbLb0EES18_IbLb1EEEEDaS14_S15_EUlS14_E_NS1_11comp_targetILNS1_3genE8ELNS1_11target_archE1030ELNS1_3gpuE2ELNS1_3repE0EEENS1_30default_config_static_selectorELNS0_4arch9wavefront6targetE1EEEvT1_,comdat
.Lfunc_end2330:
	.size	_ZN7rocprim17ROCPRIM_400000_NS6detail17trampoline_kernelINS0_14default_configENS1_25partition_config_selectorILNS1_17partition_subalgoE0EyNS0_10empty_typeEbEEZZNS1_14partition_implILS5_0ELb0ES3_jN6thrust23THRUST_200600_302600_NS6detail15normal_iteratorINSA_10device_ptrIyEEEEPS6_SG_NS0_5tupleIJNSA_16discard_iteratorINSA_11use_defaultEEESK_EEENSH_IJSG_SG_EEES6_PlJ7is_evenIyEEEE10hipError_tPvRmT3_T4_T5_T6_T7_T9_mT8_P12ihipStream_tbDpT10_ENKUlT_T0_E_clISt17integral_constantIbLb0EES18_IbLb1EEEEDaS14_S15_EUlS14_E_NS1_11comp_targetILNS1_3genE8ELNS1_11target_archE1030ELNS1_3gpuE2ELNS1_3repE0EEENS1_30default_config_static_selectorELNS0_4arch9wavefront6targetE1EEEvT1_, .Lfunc_end2330-_ZN7rocprim17ROCPRIM_400000_NS6detail17trampoline_kernelINS0_14default_configENS1_25partition_config_selectorILNS1_17partition_subalgoE0EyNS0_10empty_typeEbEEZZNS1_14partition_implILS5_0ELb0ES3_jN6thrust23THRUST_200600_302600_NS6detail15normal_iteratorINSA_10device_ptrIyEEEEPS6_SG_NS0_5tupleIJNSA_16discard_iteratorINSA_11use_defaultEEESK_EEENSH_IJSG_SG_EEES6_PlJ7is_evenIyEEEE10hipError_tPvRmT3_T4_T5_T6_T7_T9_mT8_P12ihipStream_tbDpT10_ENKUlT_T0_E_clISt17integral_constantIbLb0EES18_IbLb1EEEEDaS14_S15_EUlS14_E_NS1_11comp_targetILNS1_3genE8ELNS1_11target_archE1030ELNS1_3gpuE2ELNS1_3repE0EEENS1_30default_config_static_selectorELNS0_4arch9wavefront6targetE1EEEvT1_
                                        ; -- End function
	.section	.AMDGPU.csdata,"",@progbits
; Kernel info:
; codeLenInByte = 0
; NumSgprs: 4
; NumVgprs: 0
; NumAgprs: 0
; TotalNumVgprs: 0
; ScratchSize: 0
; MemoryBound: 0
; FloatMode: 240
; IeeeMode: 1
; LDSByteSize: 0 bytes/workgroup (compile time only)
; SGPRBlocks: 0
; VGPRBlocks: 0
; NumSGPRsForWavesPerEU: 4
; NumVGPRsForWavesPerEU: 1
; AccumOffset: 4
; Occupancy: 8
; WaveLimiterHint : 0
; COMPUTE_PGM_RSRC2:SCRATCH_EN: 0
; COMPUTE_PGM_RSRC2:USER_SGPR: 6
; COMPUTE_PGM_RSRC2:TRAP_HANDLER: 0
; COMPUTE_PGM_RSRC2:TGID_X_EN: 1
; COMPUTE_PGM_RSRC2:TGID_Y_EN: 0
; COMPUTE_PGM_RSRC2:TGID_Z_EN: 0
; COMPUTE_PGM_RSRC2:TIDIG_COMP_CNT: 0
; COMPUTE_PGM_RSRC3_GFX90A:ACCUM_OFFSET: 0
; COMPUTE_PGM_RSRC3_GFX90A:TG_SPLIT: 0
	.section	.text._ZN7rocprim17ROCPRIM_400000_NS6detail17trampoline_kernelINS0_14default_configENS1_25partition_config_selectorILNS1_17partition_subalgoE0EyNS0_10empty_typeEbEEZZNS1_14partition_implILS5_0ELb0ES3_jN6thrust23THRUST_200600_302600_NS6detail15normal_iteratorINSA_10device_ptrIyEEEEPS6_SG_NS0_5tupleIJSF_NSA_16discard_iteratorINSA_11use_defaultEEEEEENSH_IJSG_SG_EEES6_PlJ7is_evenIyEEEE10hipError_tPvRmT3_T4_T5_T6_T7_T9_mT8_P12ihipStream_tbDpT10_ENKUlT_T0_E_clISt17integral_constantIbLb0EES19_EEDaS14_S15_EUlS14_E_NS1_11comp_targetILNS1_3genE0ELNS1_11target_archE4294967295ELNS1_3gpuE0ELNS1_3repE0EEENS1_30default_config_static_selectorELNS0_4arch9wavefront6targetE1EEEvT1_,"axG",@progbits,_ZN7rocprim17ROCPRIM_400000_NS6detail17trampoline_kernelINS0_14default_configENS1_25partition_config_selectorILNS1_17partition_subalgoE0EyNS0_10empty_typeEbEEZZNS1_14partition_implILS5_0ELb0ES3_jN6thrust23THRUST_200600_302600_NS6detail15normal_iteratorINSA_10device_ptrIyEEEEPS6_SG_NS0_5tupleIJSF_NSA_16discard_iteratorINSA_11use_defaultEEEEEENSH_IJSG_SG_EEES6_PlJ7is_evenIyEEEE10hipError_tPvRmT3_T4_T5_T6_T7_T9_mT8_P12ihipStream_tbDpT10_ENKUlT_T0_E_clISt17integral_constantIbLb0EES19_EEDaS14_S15_EUlS14_E_NS1_11comp_targetILNS1_3genE0ELNS1_11target_archE4294967295ELNS1_3gpuE0ELNS1_3repE0EEENS1_30default_config_static_selectorELNS0_4arch9wavefront6targetE1EEEvT1_,comdat
	.protected	_ZN7rocprim17ROCPRIM_400000_NS6detail17trampoline_kernelINS0_14default_configENS1_25partition_config_selectorILNS1_17partition_subalgoE0EyNS0_10empty_typeEbEEZZNS1_14partition_implILS5_0ELb0ES3_jN6thrust23THRUST_200600_302600_NS6detail15normal_iteratorINSA_10device_ptrIyEEEEPS6_SG_NS0_5tupleIJSF_NSA_16discard_iteratorINSA_11use_defaultEEEEEENSH_IJSG_SG_EEES6_PlJ7is_evenIyEEEE10hipError_tPvRmT3_T4_T5_T6_T7_T9_mT8_P12ihipStream_tbDpT10_ENKUlT_T0_E_clISt17integral_constantIbLb0EES19_EEDaS14_S15_EUlS14_E_NS1_11comp_targetILNS1_3genE0ELNS1_11target_archE4294967295ELNS1_3gpuE0ELNS1_3repE0EEENS1_30default_config_static_selectorELNS0_4arch9wavefront6targetE1EEEvT1_ ; -- Begin function _ZN7rocprim17ROCPRIM_400000_NS6detail17trampoline_kernelINS0_14default_configENS1_25partition_config_selectorILNS1_17partition_subalgoE0EyNS0_10empty_typeEbEEZZNS1_14partition_implILS5_0ELb0ES3_jN6thrust23THRUST_200600_302600_NS6detail15normal_iteratorINSA_10device_ptrIyEEEEPS6_SG_NS0_5tupleIJSF_NSA_16discard_iteratorINSA_11use_defaultEEEEEENSH_IJSG_SG_EEES6_PlJ7is_evenIyEEEE10hipError_tPvRmT3_T4_T5_T6_T7_T9_mT8_P12ihipStream_tbDpT10_ENKUlT_T0_E_clISt17integral_constantIbLb0EES19_EEDaS14_S15_EUlS14_E_NS1_11comp_targetILNS1_3genE0ELNS1_11target_archE4294967295ELNS1_3gpuE0ELNS1_3repE0EEENS1_30default_config_static_selectorELNS0_4arch9wavefront6targetE1EEEvT1_
	.globl	_ZN7rocprim17ROCPRIM_400000_NS6detail17trampoline_kernelINS0_14default_configENS1_25partition_config_selectorILNS1_17partition_subalgoE0EyNS0_10empty_typeEbEEZZNS1_14partition_implILS5_0ELb0ES3_jN6thrust23THRUST_200600_302600_NS6detail15normal_iteratorINSA_10device_ptrIyEEEEPS6_SG_NS0_5tupleIJSF_NSA_16discard_iteratorINSA_11use_defaultEEEEEENSH_IJSG_SG_EEES6_PlJ7is_evenIyEEEE10hipError_tPvRmT3_T4_T5_T6_T7_T9_mT8_P12ihipStream_tbDpT10_ENKUlT_T0_E_clISt17integral_constantIbLb0EES19_EEDaS14_S15_EUlS14_E_NS1_11comp_targetILNS1_3genE0ELNS1_11target_archE4294967295ELNS1_3gpuE0ELNS1_3repE0EEENS1_30default_config_static_selectorELNS0_4arch9wavefront6targetE1EEEvT1_
	.p2align	8
	.type	_ZN7rocprim17ROCPRIM_400000_NS6detail17trampoline_kernelINS0_14default_configENS1_25partition_config_selectorILNS1_17partition_subalgoE0EyNS0_10empty_typeEbEEZZNS1_14partition_implILS5_0ELb0ES3_jN6thrust23THRUST_200600_302600_NS6detail15normal_iteratorINSA_10device_ptrIyEEEEPS6_SG_NS0_5tupleIJSF_NSA_16discard_iteratorINSA_11use_defaultEEEEEENSH_IJSG_SG_EEES6_PlJ7is_evenIyEEEE10hipError_tPvRmT3_T4_T5_T6_T7_T9_mT8_P12ihipStream_tbDpT10_ENKUlT_T0_E_clISt17integral_constantIbLb0EES19_EEDaS14_S15_EUlS14_E_NS1_11comp_targetILNS1_3genE0ELNS1_11target_archE4294967295ELNS1_3gpuE0ELNS1_3repE0EEENS1_30default_config_static_selectorELNS0_4arch9wavefront6targetE1EEEvT1_,@function
_ZN7rocprim17ROCPRIM_400000_NS6detail17trampoline_kernelINS0_14default_configENS1_25partition_config_selectorILNS1_17partition_subalgoE0EyNS0_10empty_typeEbEEZZNS1_14partition_implILS5_0ELb0ES3_jN6thrust23THRUST_200600_302600_NS6detail15normal_iteratorINSA_10device_ptrIyEEEEPS6_SG_NS0_5tupleIJSF_NSA_16discard_iteratorINSA_11use_defaultEEEEEENSH_IJSG_SG_EEES6_PlJ7is_evenIyEEEE10hipError_tPvRmT3_T4_T5_T6_T7_T9_mT8_P12ihipStream_tbDpT10_ENKUlT_T0_E_clISt17integral_constantIbLb0EES19_EEDaS14_S15_EUlS14_E_NS1_11comp_targetILNS1_3genE0ELNS1_11target_archE4294967295ELNS1_3gpuE0ELNS1_3repE0EEENS1_30default_config_static_selectorELNS0_4arch9wavefront6targetE1EEEvT1_: ; @_ZN7rocprim17ROCPRIM_400000_NS6detail17trampoline_kernelINS0_14default_configENS1_25partition_config_selectorILNS1_17partition_subalgoE0EyNS0_10empty_typeEbEEZZNS1_14partition_implILS5_0ELb0ES3_jN6thrust23THRUST_200600_302600_NS6detail15normal_iteratorINSA_10device_ptrIyEEEEPS6_SG_NS0_5tupleIJSF_NSA_16discard_iteratorINSA_11use_defaultEEEEEENSH_IJSG_SG_EEES6_PlJ7is_evenIyEEEE10hipError_tPvRmT3_T4_T5_T6_T7_T9_mT8_P12ihipStream_tbDpT10_ENKUlT_T0_E_clISt17integral_constantIbLb0EES19_EEDaS14_S15_EUlS14_E_NS1_11comp_targetILNS1_3genE0ELNS1_11target_archE4294967295ELNS1_3gpuE0ELNS1_3repE0EEENS1_30default_config_static_selectorELNS0_4arch9wavefront6targetE1EEEvT1_
; %bb.0:
	.section	.rodata,"a",@progbits
	.p2align	6, 0x0
	.amdhsa_kernel _ZN7rocprim17ROCPRIM_400000_NS6detail17trampoline_kernelINS0_14default_configENS1_25partition_config_selectorILNS1_17partition_subalgoE0EyNS0_10empty_typeEbEEZZNS1_14partition_implILS5_0ELb0ES3_jN6thrust23THRUST_200600_302600_NS6detail15normal_iteratorINSA_10device_ptrIyEEEEPS6_SG_NS0_5tupleIJSF_NSA_16discard_iteratorINSA_11use_defaultEEEEEENSH_IJSG_SG_EEES6_PlJ7is_evenIyEEEE10hipError_tPvRmT3_T4_T5_T6_T7_T9_mT8_P12ihipStream_tbDpT10_ENKUlT_T0_E_clISt17integral_constantIbLb0EES19_EEDaS14_S15_EUlS14_E_NS1_11comp_targetILNS1_3genE0ELNS1_11target_archE4294967295ELNS1_3gpuE0ELNS1_3repE0EEENS1_30default_config_static_selectorELNS0_4arch9wavefront6targetE1EEEvT1_
		.amdhsa_group_segment_fixed_size 0
		.amdhsa_private_segment_fixed_size 0
		.amdhsa_kernarg_size 128
		.amdhsa_user_sgpr_count 6
		.amdhsa_user_sgpr_private_segment_buffer 1
		.amdhsa_user_sgpr_dispatch_ptr 0
		.amdhsa_user_sgpr_queue_ptr 0
		.amdhsa_user_sgpr_kernarg_segment_ptr 1
		.amdhsa_user_sgpr_dispatch_id 0
		.amdhsa_user_sgpr_flat_scratch_init 0
		.amdhsa_user_sgpr_kernarg_preload_length 0
		.amdhsa_user_sgpr_kernarg_preload_offset 0
		.amdhsa_user_sgpr_private_segment_size 0
		.amdhsa_uses_dynamic_stack 0
		.amdhsa_system_sgpr_private_segment_wavefront_offset 0
		.amdhsa_system_sgpr_workgroup_id_x 1
		.amdhsa_system_sgpr_workgroup_id_y 0
		.amdhsa_system_sgpr_workgroup_id_z 0
		.amdhsa_system_sgpr_workgroup_info 0
		.amdhsa_system_vgpr_workitem_id 0
		.amdhsa_next_free_vgpr 1
		.amdhsa_next_free_sgpr 0
		.amdhsa_accum_offset 4
		.amdhsa_reserve_vcc 0
		.amdhsa_reserve_flat_scratch 0
		.amdhsa_float_round_mode_32 0
		.amdhsa_float_round_mode_16_64 0
		.amdhsa_float_denorm_mode_32 3
		.amdhsa_float_denorm_mode_16_64 3
		.amdhsa_dx10_clamp 1
		.amdhsa_ieee_mode 1
		.amdhsa_fp16_overflow 0
		.amdhsa_tg_split 0
		.amdhsa_exception_fp_ieee_invalid_op 0
		.amdhsa_exception_fp_denorm_src 0
		.amdhsa_exception_fp_ieee_div_zero 0
		.amdhsa_exception_fp_ieee_overflow 0
		.amdhsa_exception_fp_ieee_underflow 0
		.amdhsa_exception_fp_ieee_inexact 0
		.amdhsa_exception_int_div_zero 0
	.end_amdhsa_kernel
	.section	.text._ZN7rocprim17ROCPRIM_400000_NS6detail17trampoline_kernelINS0_14default_configENS1_25partition_config_selectorILNS1_17partition_subalgoE0EyNS0_10empty_typeEbEEZZNS1_14partition_implILS5_0ELb0ES3_jN6thrust23THRUST_200600_302600_NS6detail15normal_iteratorINSA_10device_ptrIyEEEEPS6_SG_NS0_5tupleIJSF_NSA_16discard_iteratorINSA_11use_defaultEEEEEENSH_IJSG_SG_EEES6_PlJ7is_evenIyEEEE10hipError_tPvRmT3_T4_T5_T6_T7_T9_mT8_P12ihipStream_tbDpT10_ENKUlT_T0_E_clISt17integral_constantIbLb0EES19_EEDaS14_S15_EUlS14_E_NS1_11comp_targetILNS1_3genE0ELNS1_11target_archE4294967295ELNS1_3gpuE0ELNS1_3repE0EEENS1_30default_config_static_selectorELNS0_4arch9wavefront6targetE1EEEvT1_,"axG",@progbits,_ZN7rocprim17ROCPRIM_400000_NS6detail17trampoline_kernelINS0_14default_configENS1_25partition_config_selectorILNS1_17partition_subalgoE0EyNS0_10empty_typeEbEEZZNS1_14partition_implILS5_0ELb0ES3_jN6thrust23THRUST_200600_302600_NS6detail15normal_iteratorINSA_10device_ptrIyEEEEPS6_SG_NS0_5tupleIJSF_NSA_16discard_iteratorINSA_11use_defaultEEEEEENSH_IJSG_SG_EEES6_PlJ7is_evenIyEEEE10hipError_tPvRmT3_T4_T5_T6_T7_T9_mT8_P12ihipStream_tbDpT10_ENKUlT_T0_E_clISt17integral_constantIbLb0EES19_EEDaS14_S15_EUlS14_E_NS1_11comp_targetILNS1_3genE0ELNS1_11target_archE4294967295ELNS1_3gpuE0ELNS1_3repE0EEENS1_30default_config_static_selectorELNS0_4arch9wavefront6targetE1EEEvT1_,comdat
.Lfunc_end2331:
	.size	_ZN7rocprim17ROCPRIM_400000_NS6detail17trampoline_kernelINS0_14default_configENS1_25partition_config_selectorILNS1_17partition_subalgoE0EyNS0_10empty_typeEbEEZZNS1_14partition_implILS5_0ELb0ES3_jN6thrust23THRUST_200600_302600_NS6detail15normal_iteratorINSA_10device_ptrIyEEEEPS6_SG_NS0_5tupleIJSF_NSA_16discard_iteratorINSA_11use_defaultEEEEEENSH_IJSG_SG_EEES6_PlJ7is_evenIyEEEE10hipError_tPvRmT3_T4_T5_T6_T7_T9_mT8_P12ihipStream_tbDpT10_ENKUlT_T0_E_clISt17integral_constantIbLb0EES19_EEDaS14_S15_EUlS14_E_NS1_11comp_targetILNS1_3genE0ELNS1_11target_archE4294967295ELNS1_3gpuE0ELNS1_3repE0EEENS1_30default_config_static_selectorELNS0_4arch9wavefront6targetE1EEEvT1_, .Lfunc_end2331-_ZN7rocprim17ROCPRIM_400000_NS6detail17trampoline_kernelINS0_14default_configENS1_25partition_config_selectorILNS1_17partition_subalgoE0EyNS0_10empty_typeEbEEZZNS1_14partition_implILS5_0ELb0ES3_jN6thrust23THRUST_200600_302600_NS6detail15normal_iteratorINSA_10device_ptrIyEEEEPS6_SG_NS0_5tupleIJSF_NSA_16discard_iteratorINSA_11use_defaultEEEEEENSH_IJSG_SG_EEES6_PlJ7is_evenIyEEEE10hipError_tPvRmT3_T4_T5_T6_T7_T9_mT8_P12ihipStream_tbDpT10_ENKUlT_T0_E_clISt17integral_constantIbLb0EES19_EEDaS14_S15_EUlS14_E_NS1_11comp_targetILNS1_3genE0ELNS1_11target_archE4294967295ELNS1_3gpuE0ELNS1_3repE0EEENS1_30default_config_static_selectorELNS0_4arch9wavefront6targetE1EEEvT1_
                                        ; -- End function
	.section	.AMDGPU.csdata,"",@progbits
; Kernel info:
; codeLenInByte = 0
; NumSgprs: 4
; NumVgprs: 0
; NumAgprs: 0
; TotalNumVgprs: 0
; ScratchSize: 0
; MemoryBound: 0
; FloatMode: 240
; IeeeMode: 1
; LDSByteSize: 0 bytes/workgroup (compile time only)
; SGPRBlocks: 0
; VGPRBlocks: 0
; NumSGPRsForWavesPerEU: 4
; NumVGPRsForWavesPerEU: 1
; AccumOffset: 4
; Occupancy: 8
; WaveLimiterHint : 0
; COMPUTE_PGM_RSRC2:SCRATCH_EN: 0
; COMPUTE_PGM_RSRC2:USER_SGPR: 6
; COMPUTE_PGM_RSRC2:TRAP_HANDLER: 0
; COMPUTE_PGM_RSRC2:TGID_X_EN: 1
; COMPUTE_PGM_RSRC2:TGID_Y_EN: 0
; COMPUTE_PGM_RSRC2:TGID_Z_EN: 0
; COMPUTE_PGM_RSRC2:TIDIG_COMP_CNT: 0
; COMPUTE_PGM_RSRC3_GFX90A:ACCUM_OFFSET: 0
; COMPUTE_PGM_RSRC3_GFX90A:TG_SPLIT: 0
	.section	.text._ZN7rocprim17ROCPRIM_400000_NS6detail17trampoline_kernelINS0_14default_configENS1_25partition_config_selectorILNS1_17partition_subalgoE0EyNS0_10empty_typeEbEEZZNS1_14partition_implILS5_0ELb0ES3_jN6thrust23THRUST_200600_302600_NS6detail15normal_iteratorINSA_10device_ptrIyEEEEPS6_SG_NS0_5tupleIJSF_NSA_16discard_iteratorINSA_11use_defaultEEEEEENSH_IJSG_SG_EEES6_PlJ7is_evenIyEEEE10hipError_tPvRmT3_T4_T5_T6_T7_T9_mT8_P12ihipStream_tbDpT10_ENKUlT_T0_E_clISt17integral_constantIbLb0EES19_EEDaS14_S15_EUlS14_E_NS1_11comp_targetILNS1_3genE5ELNS1_11target_archE942ELNS1_3gpuE9ELNS1_3repE0EEENS1_30default_config_static_selectorELNS0_4arch9wavefront6targetE1EEEvT1_,"axG",@progbits,_ZN7rocprim17ROCPRIM_400000_NS6detail17trampoline_kernelINS0_14default_configENS1_25partition_config_selectorILNS1_17partition_subalgoE0EyNS0_10empty_typeEbEEZZNS1_14partition_implILS5_0ELb0ES3_jN6thrust23THRUST_200600_302600_NS6detail15normal_iteratorINSA_10device_ptrIyEEEEPS6_SG_NS0_5tupleIJSF_NSA_16discard_iteratorINSA_11use_defaultEEEEEENSH_IJSG_SG_EEES6_PlJ7is_evenIyEEEE10hipError_tPvRmT3_T4_T5_T6_T7_T9_mT8_P12ihipStream_tbDpT10_ENKUlT_T0_E_clISt17integral_constantIbLb0EES19_EEDaS14_S15_EUlS14_E_NS1_11comp_targetILNS1_3genE5ELNS1_11target_archE942ELNS1_3gpuE9ELNS1_3repE0EEENS1_30default_config_static_selectorELNS0_4arch9wavefront6targetE1EEEvT1_,comdat
	.protected	_ZN7rocprim17ROCPRIM_400000_NS6detail17trampoline_kernelINS0_14default_configENS1_25partition_config_selectorILNS1_17partition_subalgoE0EyNS0_10empty_typeEbEEZZNS1_14partition_implILS5_0ELb0ES3_jN6thrust23THRUST_200600_302600_NS6detail15normal_iteratorINSA_10device_ptrIyEEEEPS6_SG_NS0_5tupleIJSF_NSA_16discard_iteratorINSA_11use_defaultEEEEEENSH_IJSG_SG_EEES6_PlJ7is_evenIyEEEE10hipError_tPvRmT3_T4_T5_T6_T7_T9_mT8_P12ihipStream_tbDpT10_ENKUlT_T0_E_clISt17integral_constantIbLb0EES19_EEDaS14_S15_EUlS14_E_NS1_11comp_targetILNS1_3genE5ELNS1_11target_archE942ELNS1_3gpuE9ELNS1_3repE0EEENS1_30default_config_static_selectorELNS0_4arch9wavefront6targetE1EEEvT1_ ; -- Begin function _ZN7rocprim17ROCPRIM_400000_NS6detail17trampoline_kernelINS0_14default_configENS1_25partition_config_selectorILNS1_17partition_subalgoE0EyNS0_10empty_typeEbEEZZNS1_14partition_implILS5_0ELb0ES3_jN6thrust23THRUST_200600_302600_NS6detail15normal_iteratorINSA_10device_ptrIyEEEEPS6_SG_NS0_5tupleIJSF_NSA_16discard_iteratorINSA_11use_defaultEEEEEENSH_IJSG_SG_EEES6_PlJ7is_evenIyEEEE10hipError_tPvRmT3_T4_T5_T6_T7_T9_mT8_P12ihipStream_tbDpT10_ENKUlT_T0_E_clISt17integral_constantIbLb0EES19_EEDaS14_S15_EUlS14_E_NS1_11comp_targetILNS1_3genE5ELNS1_11target_archE942ELNS1_3gpuE9ELNS1_3repE0EEENS1_30default_config_static_selectorELNS0_4arch9wavefront6targetE1EEEvT1_
	.globl	_ZN7rocprim17ROCPRIM_400000_NS6detail17trampoline_kernelINS0_14default_configENS1_25partition_config_selectorILNS1_17partition_subalgoE0EyNS0_10empty_typeEbEEZZNS1_14partition_implILS5_0ELb0ES3_jN6thrust23THRUST_200600_302600_NS6detail15normal_iteratorINSA_10device_ptrIyEEEEPS6_SG_NS0_5tupleIJSF_NSA_16discard_iteratorINSA_11use_defaultEEEEEENSH_IJSG_SG_EEES6_PlJ7is_evenIyEEEE10hipError_tPvRmT3_T4_T5_T6_T7_T9_mT8_P12ihipStream_tbDpT10_ENKUlT_T0_E_clISt17integral_constantIbLb0EES19_EEDaS14_S15_EUlS14_E_NS1_11comp_targetILNS1_3genE5ELNS1_11target_archE942ELNS1_3gpuE9ELNS1_3repE0EEENS1_30default_config_static_selectorELNS0_4arch9wavefront6targetE1EEEvT1_
	.p2align	8
	.type	_ZN7rocprim17ROCPRIM_400000_NS6detail17trampoline_kernelINS0_14default_configENS1_25partition_config_selectorILNS1_17partition_subalgoE0EyNS0_10empty_typeEbEEZZNS1_14partition_implILS5_0ELb0ES3_jN6thrust23THRUST_200600_302600_NS6detail15normal_iteratorINSA_10device_ptrIyEEEEPS6_SG_NS0_5tupleIJSF_NSA_16discard_iteratorINSA_11use_defaultEEEEEENSH_IJSG_SG_EEES6_PlJ7is_evenIyEEEE10hipError_tPvRmT3_T4_T5_T6_T7_T9_mT8_P12ihipStream_tbDpT10_ENKUlT_T0_E_clISt17integral_constantIbLb0EES19_EEDaS14_S15_EUlS14_E_NS1_11comp_targetILNS1_3genE5ELNS1_11target_archE942ELNS1_3gpuE9ELNS1_3repE0EEENS1_30default_config_static_selectorELNS0_4arch9wavefront6targetE1EEEvT1_,@function
_ZN7rocprim17ROCPRIM_400000_NS6detail17trampoline_kernelINS0_14default_configENS1_25partition_config_selectorILNS1_17partition_subalgoE0EyNS0_10empty_typeEbEEZZNS1_14partition_implILS5_0ELb0ES3_jN6thrust23THRUST_200600_302600_NS6detail15normal_iteratorINSA_10device_ptrIyEEEEPS6_SG_NS0_5tupleIJSF_NSA_16discard_iteratorINSA_11use_defaultEEEEEENSH_IJSG_SG_EEES6_PlJ7is_evenIyEEEE10hipError_tPvRmT3_T4_T5_T6_T7_T9_mT8_P12ihipStream_tbDpT10_ENKUlT_T0_E_clISt17integral_constantIbLb0EES19_EEDaS14_S15_EUlS14_E_NS1_11comp_targetILNS1_3genE5ELNS1_11target_archE942ELNS1_3gpuE9ELNS1_3repE0EEENS1_30default_config_static_selectorELNS0_4arch9wavefront6targetE1EEEvT1_: ; @_ZN7rocprim17ROCPRIM_400000_NS6detail17trampoline_kernelINS0_14default_configENS1_25partition_config_selectorILNS1_17partition_subalgoE0EyNS0_10empty_typeEbEEZZNS1_14partition_implILS5_0ELb0ES3_jN6thrust23THRUST_200600_302600_NS6detail15normal_iteratorINSA_10device_ptrIyEEEEPS6_SG_NS0_5tupleIJSF_NSA_16discard_iteratorINSA_11use_defaultEEEEEENSH_IJSG_SG_EEES6_PlJ7is_evenIyEEEE10hipError_tPvRmT3_T4_T5_T6_T7_T9_mT8_P12ihipStream_tbDpT10_ENKUlT_T0_E_clISt17integral_constantIbLb0EES19_EEDaS14_S15_EUlS14_E_NS1_11comp_targetILNS1_3genE5ELNS1_11target_archE942ELNS1_3gpuE9ELNS1_3repE0EEENS1_30default_config_static_selectorELNS0_4arch9wavefront6targetE1EEEvT1_
; %bb.0:
	.section	.rodata,"a",@progbits
	.p2align	6, 0x0
	.amdhsa_kernel _ZN7rocprim17ROCPRIM_400000_NS6detail17trampoline_kernelINS0_14default_configENS1_25partition_config_selectorILNS1_17partition_subalgoE0EyNS0_10empty_typeEbEEZZNS1_14partition_implILS5_0ELb0ES3_jN6thrust23THRUST_200600_302600_NS6detail15normal_iteratorINSA_10device_ptrIyEEEEPS6_SG_NS0_5tupleIJSF_NSA_16discard_iteratorINSA_11use_defaultEEEEEENSH_IJSG_SG_EEES6_PlJ7is_evenIyEEEE10hipError_tPvRmT3_T4_T5_T6_T7_T9_mT8_P12ihipStream_tbDpT10_ENKUlT_T0_E_clISt17integral_constantIbLb0EES19_EEDaS14_S15_EUlS14_E_NS1_11comp_targetILNS1_3genE5ELNS1_11target_archE942ELNS1_3gpuE9ELNS1_3repE0EEENS1_30default_config_static_selectorELNS0_4arch9wavefront6targetE1EEEvT1_
		.amdhsa_group_segment_fixed_size 0
		.amdhsa_private_segment_fixed_size 0
		.amdhsa_kernarg_size 128
		.amdhsa_user_sgpr_count 6
		.amdhsa_user_sgpr_private_segment_buffer 1
		.amdhsa_user_sgpr_dispatch_ptr 0
		.amdhsa_user_sgpr_queue_ptr 0
		.amdhsa_user_sgpr_kernarg_segment_ptr 1
		.amdhsa_user_sgpr_dispatch_id 0
		.amdhsa_user_sgpr_flat_scratch_init 0
		.amdhsa_user_sgpr_kernarg_preload_length 0
		.amdhsa_user_sgpr_kernarg_preload_offset 0
		.amdhsa_user_sgpr_private_segment_size 0
		.amdhsa_uses_dynamic_stack 0
		.amdhsa_system_sgpr_private_segment_wavefront_offset 0
		.amdhsa_system_sgpr_workgroup_id_x 1
		.amdhsa_system_sgpr_workgroup_id_y 0
		.amdhsa_system_sgpr_workgroup_id_z 0
		.amdhsa_system_sgpr_workgroup_info 0
		.amdhsa_system_vgpr_workitem_id 0
		.amdhsa_next_free_vgpr 1
		.amdhsa_next_free_sgpr 0
		.amdhsa_accum_offset 4
		.amdhsa_reserve_vcc 0
		.amdhsa_reserve_flat_scratch 0
		.amdhsa_float_round_mode_32 0
		.amdhsa_float_round_mode_16_64 0
		.amdhsa_float_denorm_mode_32 3
		.amdhsa_float_denorm_mode_16_64 3
		.amdhsa_dx10_clamp 1
		.amdhsa_ieee_mode 1
		.amdhsa_fp16_overflow 0
		.amdhsa_tg_split 0
		.amdhsa_exception_fp_ieee_invalid_op 0
		.amdhsa_exception_fp_denorm_src 0
		.amdhsa_exception_fp_ieee_div_zero 0
		.amdhsa_exception_fp_ieee_overflow 0
		.amdhsa_exception_fp_ieee_underflow 0
		.amdhsa_exception_fp_ieee_inexact 0
		.amdhsa_exception_int_div_zero 0
	.end_amdhsa_kernel
	.section	.text._ZN7rocprim17ROCPRIM_400000_NS6detail17trampoline_kernelINS0_14default_configENS1_25partition_config_selectorILNS1_17partition_subalgoE0EyNS0_10empty_typeEbEEZZNS1_14partition_implILS5_0ELb0ES3_jN6thrust23THRUST_200600_302600_NS6detail15normal_iteratorINSA_10device_ptrIyEEEEPS6_SG_NS0_5tupleIJSF_NSA_16discard_iteratorINSA_11use_defaultEEEEEENSH_IJSG_SG_EEES6_PlJ7is_evenIyEEEE10hipError_tPvRmT3_T4_T5_T6_T7_T9_mT8_P12ihipStream_tbDpT10_ENKUlT_T0_E_clISt17integral_constantIbLb0EES19_EEDaS14_S15_EUlS14_E_NS1_11comp_targetILNS1_3genE5ELNS1_11target_archE942ELNS1_3gpuE9ELNS1_3repE0EEENS1_30default_config_static_selectorELNS0_4arch9wavefront6targetE1EEEvT1_,"axG",@progbits,_ZN7rocprim17ROCPRIM_400000_NS6detail17trampoline_kernelINS0_14default_configENS1_25partition_config_selectorILNS1_17partition_subalgoE0EyNS0_10empty_typeEbEEZZNS1_14partition_implILS5_0ELb0ES3_jN6thrust23THRUST_200600_302600_NS6detail15normal_iteratorINSA_10device_ptrIyEEEEPS6_SG_NS0_5tupleIJSF_NSA_16discard_iteratorINSA_11use_defaultEEEEEENSH_IJSG_SG_EEES6_PlJ7is_evenIyEEEE10hipError_tPvRmT3_T4_T5_T6_T7_T9_mT8_P12ihipStream_tbDpT10_ENKUlT_T0_E_clISt17integral_constantIbLb0EES19_EEDaS14_S15_EUlS14_E_NS1_11comp_targetILNS1_3genE5ELNS1_11target_archE942ELNS1_3gpuE9ELNS1_3repE0EEENS1_30default_config_static_selectorELNS0_4arch9wavefront6targetE1EEEvT1_,comdat
.Lfunc_end2332:
	.size	_ZN7rocprim17ROCPRIM_400000_NS6detail17trampoline_kernelINS0_14default_configENS1_25partition_config_selectorILNS1_17partition_subalgoE0EyNS0_10empty_typeEbEEZZNS1_14partition_implILS5_0ELb0ES3_jN6thrust23THRUST_200600_302600_NS6detail15normal_iteratorINSA_10device_ptrIyEEEEPS6_SG_NS0_5tupleIJSF_NSA_16discard_iteratorINSA_11use_defaultEEEEEENSH_IJSG_SG_EEES6_PlJ7is_evenIyEEEE10hipError_tPvRmT3_T4_T5_T6_T7_T9_mT8_P12ihipStream_tbDpT10_ENKUlT_T0_E_clISt17integral_constantIbLb0EES19_EEDaS14_S15_EUlS14_E_NS1_11comp_targetILNS1_3genE5ELNS1_11target_archE942ELNS1_3gpuE9ELNS1_3repE0EEENS1_30default_config_static_selectorELNS0_4arch9wavefront6targetE1EEEvT1_, .Lfunc_end2332-_ZN7rocprim17ROCPRIM_400000_NS6detail17trampoline_kernelINS0_14default_configENS1_25partition_config_selectorILNS1_17partition_subalgoE0EyNS0_10empty_typeEbEEZZNS1_14partition_implILS5_0ELb0ES3_jN6thrust23THRUST_200600_302600_NS6detail15normal_iteratorINSA_10device_ptrIyEEEEPS6_SG_NS0_5tupleIJSF_NSA_16discard_iteratorINSA_11use_defaultEEEEEENSH_IJSG_SG_EEES6_PlJ7is_evenIyEEEE10hipError_tPvRmT3_T4_T5_T6_T7_T9_mT8_P12ihipStream_tbDpT10_ENKUlT_T0_E_clISt17integral_constantIbLb0EES19_EEDaS14_S15_EUlS14_E_NS1_11comp_targetILNS1_3genE5ELNS1_11target_archE942ELNS1_3gpuE9ELNS1_3repE0EEENS1_30default_config_static_selectorELNS0_4arch9wavefront6targetE1EEEvT1_
                                        ; -- End function
	.section	.AMDGPU.csdata,"",@progbits
; Kernel info:
; codeLenInByte = 0
; NumSgprs: 4
; NumVgprs: 0
; NumAgprs: 0
; TotalNumVgprs: 0
; ScratchSize: 0
; MemoryBound: 0
; FloatMode: 240
; IeeeMode: 1
; LDSByteSize: 0 bytes/workgroup (compile time only)
; SGPRBlocks: 0
; VGPRBlocks: 0
; NumSGPRsForWavesPerEU: 4
; NumVGPRsForWavesPerEU: 1
; AccumOffset: 4
; Occupancy: 8
; WaveLimiterHint : 0
; COMPUTE_PGM_RSRC2:SCRATCH_EN: 0
; COMPUTE_PGM_RSRC2:USER_SGPR: 6
; COMPUTE_PGM_RSRC2:TRAP_HANDLER: 0
; COMPUTE_PGM_RSRC2:TGID_X_EN: 1
; COMPUTE_PGM_RSRC2:TGID_Y_EN: 0
; COMPUTE_PGM_RSRC2:TGID_Z_EN: 0
; COMPUTE_PGM_RSRC2:TIDIG_COMP_CNT: 0
; COMPUTE_PGM_RSRC3_GFX90A:ACCUM_OFFSET: 0
; COMPUTE_PGM_RSRC3_GFX90A:TG_SPLIT: 0
	.section	.text._ZN7rocprim17ROCPRIM_400000_NS6detail17trampoline_kernelINS0_14default_configENS1_25partition_config_selectorILNS1_17partition_subalgoE0EyNS0_10empty_typeEbEEZZNS1_14partition_implILS5_0ELb0ES3_jN6thrust23THRUST_200600_302600_NS6detail15normal_iteratorINSA_10device_ptrIyEEEEPS6_SG_NS0_5tupleIJSF_NSA_16discard_iteratorINSA_11use_defaultEEEEEENSH_IJSG_SG_EEES6_PlJ7is_evenIyEEEE10hipError_tPvRmT3_T4_T5_T6_T7_T9_mT8_P12ihipStream_tbDpT10_ENKUlT_T0_E_clISt17integral_constantIbLb0EES19_EEDaS14_S15_EUlS14_E_NS1_11comp_targetILNS1_3genE4ELNS1_11target_archE910ELNS1_3gpuE8ELNS1_3repE0EEENS1_30default_config_static_selectorELNS0_4arch9wavefront6targetE1EEEvT1_,"axG",@progbits,_ZN7rocprim17ROCPRIM_400000_NS6detail17trampoline_kernelINS0_14default_configENS1_25partition_config_selectorILNS1_17partition_subalgoE0EyNS0_10empty_typeEbEEZZNS1_14partition_implILS5_0ELb0ES3_jN6thrust23THRUST_200600_302600_NS6detail15normal_iteratorINSA_10device_ptrIyEEEEPS6_SG_NS0_5tupleIJSF_NSA_16discard_iteratorINSA_11use_defaultEEEEEENSH_IJSG_SG_EEES6_PlJ7is_evenIyEEEE10hipError_tPvRmT3_T4_T5_T6_T7_T9_mT8_P12ihipStream_tbDpT10_ENKUlT_T0_E_clISt17integral_constantIbLb0EES19_EEDaS14_S15_EUlS14_E_NS1_11comp_targetILNS1_3genE4ELNS1_11target_archE910ELNS1_3gpuE8ELNS1_3repE0EEENS1_30default_config_static_selectorELNS0_4arch9wavefront6targetE1EEEvT1_,comdat
	.protected	_ZN7rocprim17ROCPRIM_400000_NS6detail17trampoline_kernelINS0_14default_configENS1_25partition_config_selectorILNS1_17partition_subalgoE0EyNS0_10empty_typeEbEEZZNS1_14partition_implILS5_0ELb0ES3_jN6thrust23THRUST_200600_302600_NS6detail15normal_iteratorINSA_10device_ptrIyEEEEPS6_SG_NS0_5tupleIJSF_NSA_16discard_iteratorINSA_11use_defaultEEEEEENSH_IJSG_SG_EEES6_PlJ7is_evenIyEEEE10hipError_tPvRmT3_T4_T5_T6_T7_T9_mT8_P12ihipStream_tbDpT10_ENKUlT_T0_E_clISt17integral_constantIbLb0EES19_EEDaS14_S15_EUlS14_E_NS1_11comp_targetILNS1_3genE4ELNS1_11target_archE910ELNS1_3gpuE8ELNS1_3repE0EEENS1_30default_config_static_selectorELNS0_4arch9wavefront6targetE1EEEvT1_ ; -- Begin function _ZN7rocprim17ROCPRIM_400000_NS6detail17trampoline_kernelINS0_14default_configENS1_25partition_config_selectorILNS1_17partition_subalgoE0EyNS0_10empty_typeEbEEZZNS1_14partition_implILS5_0ELb0ES3_jN6thrust23THRUST_200600_302600_NS6detail15normal_iteratorINSA_10device_ptrIyEEEEPS6_SG_NS0_5tupleIJSF_NSA_16discard_iteratorINSA_11use_defaultEEEEEENSH_IJSG_SG_EEES6_PlJ7is_evenIyEEEE10hipError_tPvRmT3_T4_T5_T6_T7_T9_mT8_P12ihipStream_tbDpT10_ENKUlT_T0_E_clISt17integral_constantIbLb0EES19_EEDaS14_S15_EUlS14_E_NS1_11comp_targetILNS1_3genE4ELNS1_11target_archE910ELNS1_3gpuE8ELNS1_3repE0EEENS1_30default_config_static_selectorELNS0_4arch9wavefront6targetE1EEEvT1_
	.globl	_ZN7rocprim17ROCPRIM_400000_NS6detail17trampoline_kernelINS0_14default_configENS1_25partition_config_selectorILNS1_17partition_subalgoE0EyNS0_10empty_typeEbEEZZNS1_14partition_implILS5_0ELb0ES3_jN6thrust23THRUST_200600_302600_NS6detail15normal_iteratorINSA_10device_ptrIyEEEEPS6_SG_NS0_5tupleIJSF_NSA_16discard_iteratorINSA_11use_defaultEEEEEENSH_IJSG_SG_EEES6_PlJ7is_evenIyEEEE10hipError_tPvRmT3_T4_T5_T6_T7_T9_mT8_P12ihipStream_tbDpT10_ENKUlT_T0_E_clISt17integral_constantIbLb0EES19_EEDaS14_S15_EUlS14_E_NS1_11comp_targetILNS1_3genE4ELNS1_11target_archE910ELNS1_3gpuE8ELNS1_3repE0EEENS1_30default_config_static_selectorELNS0_4arch9wavefront6targetE1EEEvT1_
	.p2align	8
	.type	_ZN7rocprim17ROCPRIM_400000_NS6detail17trampoline_kernelINS0_14default_configENS1_25partition_config_selectorILNS1_17partition_subalgoE0EyNS0_10empty_typeEbEEZZNS1_14partition_implILS5_0ELb0ES3_jN6thrust23THRUST_200600_302600_NS6detail15normal_iteratorINSA_10device_ptrIyEEEEPS6_SG_NS0_5tupleIJSF_NSA_16discard_iteratorINSA_11use_defaultEEEEEENSH_IJSG_SG_EEES6_PlJ7is_evenIyEEEE10hipError_tPvRmT3_T4_T5_T6_T7_T9_mT8_P12ihipStream_tbDpT10_ENKUlT_T0_E_clISt17integral_constantIbLb0EES19_EEDaS14_S15_EUlS14_E_NS1_11comp_targetILNS1_3genE4ELNS1_11target_archE910ELNS1_3gpuE8ELNS1_3repE0EEENS1_30default_config_static_selectorELNS0_4arch9wavefront6targetE1EEEvT1_,@function
_ZN7rocprim17ROCPRIM_400000_NS6detail17trampoline_kernelINS0_14default_configENS1_25partition_config_selectorILNS1_17partition_subalgoE0EyNS0_10empty_typeEbEEZZNS1_14partition_implILS5_0ELb0ES3_jN6thrust23THRUST_200600_302600_NS6detail15normal_iteratorINSA_10device_ptrIyEEEEPS6_SG_NS0_5tupleIJSF_NSA_16discard_iteratorINSA_11use_defaultEEEEEENSH_IJSG_SG_EEES6_PlJ7is_evenIyEEEE10hipError_tPvRmT3_T4_T5_T6_T7_T9_mT8_P12ihipStream_tbDpT10_ENKUlT_T0_E_clISt17integral_constantIbLb0EES19_EEDaS14_S15_EUlS14_E_NS1_11comp_targetILNS1_3genE4ELNS1_11target_archE910ELNS1_3gpuE8ELNS1_3repE0EEENS1_30default_config_static_selectorELNS0_4arch9wavefront6targetE1EEEvT1_: ; @_ZN7rocprim17ROCPRIM_400000_NS6detail17trampoline_kernelINS0_14default_configENS1_25partition_config_selectorILNS1_17partition_subalgoE0EyNS0_10empty_typeEbEEZZNS1_14partition_implILS5_0ELb0ES3_jN6thrust23THRUST_200600_302600_NS6detail15normal_iteratorINSA_10device_ptrIyEEEEPS6_SG_NS0_5tupleIJSF_NSA_16discard_iteratorINSA_11use_defaultEEEEEENSH_IJSG_SG_EEES6_PlJ7is_evenIyEEEE10hipError_tPvRmT3_T4_T5_T6_T7_T9_mT8_P12ihipStream_tbDpT10_ENKUlT_T0_E_clISt17integral_constantIbLb0EES19_EEDaS14_S15_EUlS14_E_NS1_11comp_targetILNS1_3genE4ELNS1_11target_archE910ELNS1_3gpuE8ELNS1_3repE0EEENS1_30default_config_static_selectorELNS0_4arch9wavefront6targetE1EEEvT1_
; %bb.0:
	s_load_dwordx2 s[8:9], s[4:5], 0x60
	s_load_dwordx4 s[0:3], s[4:5], 0x8
	s_load_dwordx4 s[24:27], s[4:5], 0x50
	s_load_dword s7, s[4:5], 0x78
	v_lshlrev_b32_e32 v1, 3, v0
	s_waitcnt lgkmcnt(0)
	v_mov_b32_e32 v3, s9
	s_lshl_b64 s[10:11], s[2:3], 3
	s_add_u32 s9, s0, s10
	s_addc_u32 s10, s1, s11
	s_add_i32 s11, s7, -1
	s_mulk_i32 s7, 0x300
	s_add_i32 s1, s7, s2
	s_sub_i32 s33, s8, s1
	s_add_u32 s2, s2, s7
	s_addc_u32 s3, s3, 0
	s_cmp_eq_u32 s6, s11
	v_mov_b32_e32 v2, s8
	s_load_dwordx2 s[22:23], s[26:27], 0x0
	s_cselect_b64 s[26:27], -1, 0
	s_cmp_lg_u32 s6, s11
	s_mul_i32 s0, s6, 0x300
	s_mov_b32 s1, 0
	v_cmp_lt_u64_e32 vcc, s[2:3], v[2:3]
	s_cselect_b64 s[2:3], -1, 0
	s_or_b64 s[2:3], s[2:3], vcc
	s_lshl_b64 s[0:1], s[0:1], 3
	s_add_u32 s7, s9, s0
	s_addc_u32 s8, s10, s1
	s_mov_b64 s[0:1], -1
	s_and_b64 vcc, exec, s[2:3]
	v_lshrrev_b32_e32 v10, 2, v0
	s_cbranch_vccz .LBB2333_2
; %bb.1:
	v_mov_b32_e32 v3, s8
	v_add_co_u32_e32 v2, vcc, s7, v1
	v_addc_co_u32_e32 v3, vcc, 0, v3, vcc
	v_add_co_u32_e32 v4, vcc, 0x1000, v2
	v_addc_co_u32_e32 v5, vcc, 0, v3, vcc
	flat_load_dwordx2 v[6:7], v[2:3]
	flat_load_dwordx2 v[8:9], v[2:3] offset:1536
	flat_load_dwordx2 v[12:13], v[2:3] offset:3072
	;; [unrolled: 1-line block ×3, first 2 shown]
	v_add_u32_e32 v3, 0xc0, v0
	v_add_u32_e32 v4, 0x180, v0
	v_add_u32_e32 v5, 0x240, v0
	v_and_b32_e32 v2, 56, v10
	v_lshrrev_b32_e32 v3, 2, v3
	v_lshrrev_b32_e32 v4, 2, v4
	;; [unrolled: 1-line block ×3, first 2 shown]
	v_add_u32_e32 v2, v2, v1
	v_and_b32_e32 v3, 0x78, v3
	v_and_b32_e32 v4, 0xf8, v4
	;; [unrolled: 1-line block ×3, first 2 shown]
	v_add_u32_e32 v3, v3, v1
	v_add_u32_e32 v4, v4, v1
	;; [unrolled: 1-line block ×3, first 2 shown]
	s_mov_b64 s[0:1], 0
	s_waitcnt vmcnt(0) lgkmcnt(0)
	ds_write_b64 v2, v[6:7]
	ds_write_b64 v3, v[8:9] offset:1536
	ds_write_b64 v4, v[12:13] offset:3072
	;; [unrolled: 1-line block ×3, first 2 shown]
	s_waitcnt lgkmcnt(0)
	s_barrier
.LBB2333_2:
	s_andn2_b64 vcc, exec, s[0:1]
	s_addk_i32 s33, 0x300
	s_cbranch_vccnz .LBB2333_12
; %bb.3:
	v_cmp_gt_u32_e32 vcc, s33, v0
                                        ; implicit-def: $vgpr2_vgpr3_vgpr4_vgpr5_vgpr6_vgpr7_vgpr8_vgpr9
	s_and_saveexec_b64 s[0:1], vcc
	s_cbranch_execz .LBB2333_5
; %bb.4:
	v_mov_b32_e32 v3, s8
	v_add_co_u32_e32 v2, vcc, s7, v1
	v_addc_co_u32_e32 v3, vcc, 0, v3, vcc
	flat_load_dwordx2 v[2:3], v[2:3]
.LBB2333_5:
	s_or_b64 exec, exec, s[0:1]
	v_add_u32_e32 v11, 0xc0, v0
	v_cmp_gt_u32_e32 vcc, s33, v11
	s_and_saveexec_b64 s[0:1], vcc
	s_cbranch_execz .LBB2333_7
; %bb.6:
	v_mov_b32_e32 v5, s8
	v_add_co_u32_e32 v4, vcc, s7, v1
	v_addc_co_u32_e32 v5, vcc, 0, v5, vcc
	flat_load_dwordx2 v[4:5], v[4:5] offset:1536
.LBB2333_7:
	s_or_b64 exec, exec, s[0:1]
	v_add_u32_e32 v12, 0x180, v0
	v_cmp_gt_u32_e32 vcc, s33, v12
	s_and_saveexec_b64 s[0:1], vcc
	s_cbranch_execz .LBB2333_9
; %bb.8:
	v_mov_b32_e32 v7, s8
	v_add_co_u32_e32 v6, vcc, s7, v1
	v_addc_co_u32_e32 v7, vcc, 0, v7, vcc
	flat_load_dwordx2 v[6:7], v[6:7] offset:3072
.LBB2333_9:
	s_or_b64 exec, exec, s[0:1]
	v_add_u32_e32 v13, 0x240, v0
	v_cmp_gt_u32_e32 vcc, s33, v13
	s_and_saveexec_b64 s[0:1], vcc
	s_cbranch_execz .LBB2333_11
; %bb.10:
	v_lshlrev_b32_e32 v8, 3, v13
	v_mov_b32_e32 v9, s8
	v_add_co_u32_e32 v8, vcc, s7, v8
	v_addc_co_u32_e32 v9, vcc, 0, v9, vcc
	flat_load_dwordx2 v[8:9], v[8:9]
.LBB2333_11:
	s_or_b64 exec, exec, s[0:1]
	v_and_b32_e32 v10, 56, v10
	v_add_u32_e32 v10, v10, v1
	s_waitcnt vmcnt(0) lgkmcnt(0)
	ds_write_b64 v10, v[2:3]
	v_lshrrev_b32_e32 v2, 2, v11
	v_and_b32_e32 v2, 0x78, v2
	v_add_u32_e32 v2, v2, v1
	ds_write_b64 v2, v[4:5] offset:1536
	v_lshrrev_b32_e32 v2, 2, v12
	v_and_b32_e32 v2, 0xf8, v2
	v_add_u32_e32 v2, v2, v1
	ds_write_b64 v2, v[6:7] offset:3072
	;; [unrolled: 4-line block ×3, first 2 shown]
	s_waitcnt lgkmcnt(0)
	s_barrier
.LBB2333_12:
	v_lshlrev_b32_e32 v20, 2, v0
	v_lshrrev_b32_e32 v2, 3, v0
	v_add_lshl_u32 v2, v2, v20, 3
	s_waitcnt lgkmcnt(0)
	ds_read2_b64 v[6:9], v2 offset1:1
	ds_read2_b64 v[2:5], v2 offset0:2 offset1:3
	v_cndmask_b32_e64 v10, 0, 1, s[2:3]
	v_cmp_ne_u32_e64 s[0:1], 1, v10
	s_andn2_b64 vcc, exec, s[2:3]
	s_waitcnt lgkmcnt(1)
	v_xor_b32_e32 v13, -1, v6
	v_xor_b32_e32 v12, -1, v8
	s_waitcnt lgkmcnt(0)
	v_xor_b32_e32 v11, -1, v2
	v_xor_b32_e32 v10, -1, v4
	s_barrier
	s_cbranch_vccnz .LBB2333_14
; %bb.13:
	v_mov_b32_e32 v15, 1
	v_and_b32_e32 v14, 1, v13
	v_and_b32_sdwa v16, v12, v15 dst_sel:BYTE_1 dst_unused:UNUSED_PAD src0_sel:DWORD src1_sel:DWORD
	v_and_b32_e32 v17, 1, v11
	v_and_b32_sdwa v15, v10, v15 dst_sel:BYTE_1 dst_unused:UNUSED_PAD src0_sel:DWORD src1_sel:DWORD
	v_or_b32_e32 v14, v14, v16
	v_or_b32_sdwa v15, v17, v15 dst_sel:WORD_1 dst_unused:UNUSED_PAD src0_sel:DWORD src1_sel:DWORD
	v_or_b32_sdwa v21, v14, v15 dst_sel:DWORD dst_unused:UNUSED_PAD src0_sel:WORD_0 src1_sel:DWORD
	s_load_dwordx2 s[28:29], s[4:5], 0x70
	s_cbranch_execz .LBB2333_15
	s_branch .LBB2333_16
.LBB2333_14:
                                        ; implicit-def: $vgpr21
	s_load_dwordx2 s[28:29], s[4:5], 0x70
.LBB2333_15:
	v_cmp_gt_u32_e32 vcc, s33, v20
	v_cndmask_b32_e64 v14, 0, 1, vcc
	v_and_b32_e32 v13, v14, v13
	v_or_b32_e32 v14, 1, v20
	v_cmp_gt_u32_e32 vcc, s33, v14
	v_cndmask_b32_e64 v14, 0, 1, vcc
	v_and_b32_sdwa v12, v14, v12 dst_sel:BYTE_1 dst_unused:UNUSED_PAD src0_sel:DWORD src1_sel:DWORD
	v_or_b32_e32 v14, 2, v20
	v_cmp_gt_u32_e32 vcc, s33, v14
	v_cndmask_b32_e64 v14, 0, 1, vcc
	v_and_b32_e32 v11, v14, v11
	v_or_b32_e32 v14, 3, v20
	v_cmp_gt_u32_e32 vcc, s33, v14
	v_cndmask_b32_e64 v14, 0, 1, vcc
	v_and_b32_sdwa v10, v14, v10 dst_sel:BYTE_1 dst_unused:UNUSED_PAD src0_sel:DWORD src1_sel:DWORD
	v_or_b32_e32 v12, v13, v12
	v_or_b32_sdwa v10, v11, v10 dst_sel:WORD_1 dst_unused:UNUSED_PAD src0_sel:DWORD src1_sel:DWORD
	v_or_b32_sdwa v21, v12, v10 dst_sel:DWORD dst_unused:UNUSED_PAD src0_sel:WORD_0 src1_sel:DWORD
.LBB2333_16:
	v_bfe_u32 v23, v21, 16, 8
	v_lshrrev_b32_e32 v22, 24, v21
	v_add_u32_sdwa v10, v21, v21 dst_sel:DWORD dst_unused:UNUSED_PAD src0_sel:BYTE_1 src1_sel:BYTE_0
	v_add3_u32 v26, v10, v23, v22
	v_mbcnt_lo_u32_b32 v10, -1, 0
	v_mbcnt_hi_u32_b32 v24, -1, v10
	v_and_b32_e32 v10, 15, v24
	v_cmp_eq_u32_e64 s[16:17], 0, v10
	v_cmp_lt_u32_e64 s[14:15], 1, v10
	v_cmp_lt_u32_e64 s[12:13], 3, v10
	;; [unrolled: 1-line block ×3, first 2 shown]
	v_and_b32_e32 v10, 16, v24
	v_cmp_eq_u32_e64 s[20:21], 0, v10
	v_and_b32_e32 v10, 0xc0, v0
	v_min_u32_e32 v10, 0x80, v10
	v_or_b32_e32 v10, 63, v10
	s_cmp_lg_u32 s6, 0
	v_cmp_lt_u32_e64 s[2:3], 31, v24
	v_lshrrev_b32_e32 v25, 6, v0
	v_cmp_eq_u32_e64 s[8:9], v10, v0
	s_cbranch_scc0 .LBB2333_43
; %bb.17:
	v_mov_b32_dpp v10, v26 row_shr:1 row_mask:0xf bank_mask:0xf
	v_cndmask_b32_e64 v10, v10, 0, s[16:17]
	v_add_u32_e32 v10, v10, v26
	s_nop 1
	v_mov_b32_dpp v11, v10 row_shr:2 row_mask:0xf bank_mask:0xf
	v_cndmask_b32_e64 v11, 0, v11, s[14:15]
	v_add_u32_e32 v10, v10, v11
	s_nop 1
	;; [unrolled: 4-line block ×4, first 2 shown]
	v_mov_b32_dpp v11, v10 row_bcast:15 row_mask:0xf bank_mask:0xf
	v_cndmask_b32_e64 v11, v11, 0, s[20:21]
	v_add_u32_e32 v10, v10, v11
	s_nop 1
	v_mov_b32_dpp v11, v10 row_bcast:31 row_mask:0xf bank_mask:0xf
	v_cndmask_b32_e64 v11, 0, v11, s[2:3]
	v_add_u32_e32 v10, v10, v11
	s_and_saveexec_b64 s[18:19], s[8:9]
	s_cbranch_execz .LBB2333_19
; %bb.18:
	v_lshlrev_b32_e32 v11, 2, v25
	ds_write_b32 v11, v10
.LBB2333_19:
	s_or_b64 exec, exec, s[18:19]
	v_cmp_gt_u32_e32 vcc, 3, v0
	s_waitcnt lgkmcnt(0)
	s_barrier
	s_and_saveexec_b64 s[18:19], vcc
	s_cbranch_execz .LBB2333_21
; %bb.20:
	ds_read_b32 v11, v20
	v_and_b32_e32 v12, 3, v24
	v_cmp_ne_u32_e32 vcc, 0, v12
	s_waitcnt lgkmcnt(0)
	v_mov_b32_dpp v13, v11 row_shr:1 row_mask:0xf bank_mask:0xf
	v_cndmask_b32_e32 v13, 0, v13, vcc
	v_add_u32_e32 v11, v13, v11
	v_cmp_lt_u32_e32 vcc, 1, v12
	s_nop 0
	v_mov_b32_dpp v13, v11 row_shr:2 row_mask:0xf bank_mask:0xf
	v_cndmask_b32_e32 v12, 0, v13, vcc
	v_add_u32_e32 v11, v11, v12
	ds_write_b32 v20, v11
.LBB2333_21:
	s_or_b64 exec, exec, s[18:19]
	v_cmp_gt_u32_e32 vcc, 64, v0
	v_cmp_lt_u32_e64 s[18:19], 63, v0
	s_waitcnt lgkmcnt(0)
	s_barrier
	s_waitcnt lgkmcnt(0)
                                        ; implicit-def: $vgpr27
	s_and_saveexec_b64 s[30:31], s[18:19]
	s_cbranch_execz .LBB2333_23
; %bb.22:
	v_lshl_add_u32 v11, v25, 2, -4
	ds_read_b32 v27, v11
	s_waitcnt lgkmcnt(0)
	v_add_u32_e32 v10, v27, v10
.LBB2333_23:
	s_or_b64 exec, exec, s[30:31]
	v_add_u32_e32 v11, -1, v24
	v_and_b32_e32 v12, 64, v24
	v_cmp_lt_i32_e64 s[18:19], v11, v12
	v_cndmask_b32_e64 v11, v11, v24, s[18:19]
	v_lshlrev_b32_e32 v11, 2, v11
	ds_bpermute_b32 v28, v11, v10
	v_cmp_eq_u32_e64 s[18:19], 0, v24
	s_and_saveexec_b64 s[30:31], vcc
	s_cbranch_execz .LBB2333_42
; %bb.24:
	v_mov_b32_e32 v17, 0
	ds_read_b32 v10, v17 offset:8
	s_and_saveexec_b64 s[34:35], s[18:19]
	s_cbranch_execz .LBB2333_26
; %bb.25:
	s_add_i32 s36, s6, 64
	s_mov_b32 s37, 0
	s_lshl_b64 s[36:37], s[36:37], 3
	s_add_u32 s36, s28, s36
	v_mov_b32_e32 v11, 1
	s_addc_u32 s37, s29, s37
	s_waitcnt lgkmcnt(0)
	global_store_dwordx2 v17, v[10:11], s[36:37]
.LBB2333_26:
	s_or_b64 exec, exec, s[34:35]
	v_xad_u32 v12, v24, -1, s6
	v_add_u32_e32 v16, 64, v12
	v_lshlrev_b64 v[14:15], 3, v[16:17]
	v_mov_b32_e32 v11, s29
	v_add_co_u32_e32 v18, vcc, s28, v14
	v_addc_co_u32_e32 v19, vcc, v11, v15, vcc
	global_load_dwordx2 v[14:15], v[18:19], off glc
	s_waitcnt vmcnt(0)
	v_cmp_eq_u16_sdwa s[36:37], v15, v17 src0_sel:BYTE_0 src1_sel:DWORD
	s_and_saveexec_b64 s[34:35], s[36:37]
	s_cbranch_execz .LBB2333_30
; %bb.27:
	s_mov_b64 s[36:37], 0
	v_mov_b32_e32 v11, 0
.LBB2333_28:                            ; =>This Inner Loop Header: Depth=1
	global_load_dwordx2 v[14:15], v[18:19], off glc
	s_waitcnt vmcnt(0)
	v_cmp_ne_u16_sdwa s[38:39], v15, v11 src0_sel:BYTE_0 src1_sel:DWORD
	s_or_b64 s[36:37], s[38:39], s[36:37]
	s_andn2_b64 exec, exec, s[36:37]
	s_cbranch_execnz .LBB2333_28
; %bb.29:
	s_or_b64 exec, exec, s[36:37]
.LBB2333_30:
	s_or_b64 exec, exec, s[34:35]
	v_and_b32_e32 v30, 63, v24
	v_mov_b32_e32 v29, 2
	v_cmp_ne_u32_e32 vcc, 63, v30
	v_cmp_eq_u16_sdwa s[34:35], v15, v29 src0_sel:BYTE_0 src1_sel:DWORD
	v_lshlrev_b64 v[16:17], v24, -1
	v_addc_co_u32_e32 v18, vcc, 0, v24, vcc
	v_and_b32_e32 v11, s35, v17
	v_lshlrev_b32_e32 v31, 2, v18
	v_or_b32_e32 v11, 0x80000000, v11
	ds_bpermute_b32 v18, v31, v14
	v_and_b32_e32 v13, s34, v16
	v_ffbl_b32_e32 v11, v11
	v_add_u32_e32 v11, 32, v11
	v_ffbl_b32_e32 v13, v13
	v_min_u32_e32 v11, v13, v11
	v_cmp_lt_u32_e32 vcc, v30, v11
	s_waitcnt lgkmcnt(0)
	v_cndmask_b32_e32 v13, 0, v18, vcc
	v_cmp_gt_u32_e32 vcc, 62, v30
	v_add_u32_e32 v13, v13, v14
	v_cndmask_b32_e64 v14, 0, 1, vcc
	v_lshlrev_b32_e32 v14, 1, v14
	v_add_lshl_u32 v32, v14, v24, 2
	ds_bpermute_b32 v14, v32, v13
	v_add_u32_e32 v33, 2, v30
	v_cmp_le_u32_e32 vcc, v33, v11
	v_add_u32_e32 v35, 4, v30
	v_add_u32_e32 v37, 8, v30
	s_waitcnt lgkmcnt(0)
	v_cndmask_b32_e32 v14, 0, v14, vcc
	v_cmp_gt_u32_e32 vcc, 60, v30
	v_add_u32_e32 v13, v13, v14
	v_cndmask_b32_e64 v14, 0, 1, vcc
	v_lshlrev_b32_e32 v14, 2, v14
	v_add_lshl_u32 v34, v14, v24, 2
	ds_bpermute_b32 v14, v34, v13
	v_cmp_le_u32_e32 vcc, v35, v11
	v_add_u32_e32 v39, 16, v30
	v_add_u32_e32 v41, 32, v30
	s_waitcnt lgkmcnt(0)
	v_cndmask_b32_e32 v14, 0, v14, vcc
	v_cmp_gt_u32_e32 vcc, 56, v30
	v_add_u32_e32 v13, v13, v14
	v_cndmask_b32_e64 v14, 0, 1, vcc
	v_lshlrev_b32_e32 v14, 3, v14
	v_add_lshl_u32 v36, v14, v24, 2
	ds_bpermute_b32 v14, v36, v13
	v_cmp_le_u32_e32 vcc, v37, v11
	s_waitcnt lgkmcnt(0)
	v_cndmask_b32_e32 v14, 0, v14, vcc
	v_cmp_gt_u32_e32 vcc, 48, v30
	v_add_u32_e32 v13, v13, v14
	v_cndmask_b32_e64 v14, 0, 1, vcc
	v_lshlrev_b32_e32 v14, 4, v14
	v_add_lshl_u32 v38, v14, v24, 2
	ds_bpermute_b32 v14, v38, v13
	v_cmp_le_u32_e32 vcc, v39, v11
	;; [unrolled: 9-line block ×3, first 2 shown]
	s_waitcnt lgkmcnt(0)
	v_cndmask_b32_e32 v11, 0, v14, vcc
	v_add_u32_e32 v14, v13, v11
	v_mov_b32_e32 v13, 0
	s_branch .LBB2333_32
.LBB2333_31:                            ;   in Loop: Header=BB2333_32 Depth=1
	s_or_b64 exec, exec, s[34:35]
	v_cmp_eq_u16_sdwa s[34:35], v15, v29 src0_sel:BYTE_0 src1_sel:DWORD
	v_and_b32_e32 v18, s35, v17
	v_or_b32_e32 v18, 0x80000000, v18
	ds_bpermute_b32 v42, v31, v14
	v_and_b32_e32 v19, s34, v16
	v_ffbl_b32_e32 v18, v18
	v_add_u32_e32 v18, 32, v18
	v_ffbl_b32_e32 v19, v19
	v_min_u32_e32 v18, v19, v18
	v_cmp_lt_u32_e32 vcc, v30, v18
	s_waitcnt lgkmcnt(0)
	v_cndmask_b32_e32 v19, 0, v42, vcc
	v_add_u32_e32 v14, v19, v14
	ds_bpermute_b32 v19, v32, v14
	v_cmp_le_u32_e32 vcc, v33, v18
	v_subrev_u32_e32 v12, 64, v12
	s_waitcnt lgkmcnt(0)
	v_cndmask_b32_e32 v19, 0, v19, vcc
	v_add_u32_e32 v14, v14, v19
	ds_bpermute_b32 v19, v34, v14
	v_cmp_le_u32_e32 vcc, v35, v18
	s_waitcnt lgkmcnt(0)
	v_cndmask_b32_e32 v19, 0, v19, vcc
	v_add_u32_e32 v14, v14, v19
	ds_bpermute_b32 v19, v36, v14
	v_cmp_le_u32_e32 vcc, v37, v18
	;; [unrolled: 5-line block ×4, first 2 shown]
	s_waitcnt lgkmcnt(0)
	v_cndmask_b32_e32 v18, 0, v19, vcc
	v_add3_u32 v14, v18, v11, v14
.LBB2333_32:                            ; =>This Loop Header: Depth=1
                                        ;     Child Loop BB2333_35 Depth 2
	v_cmp_ne_u16_sdwa s[34:35], v15, v29 src0_sel:BYTE_0 src1_sel:DWORD
	v_cndmask_b32_e64 v11, 0, 1, s[34:35]
	;;#ASMSTART
	;;#ASMEND
	v_cmp_ne_u32_e32 vcc, 0, v11
	s_cmp_lg_u64 vcc, exec
	v_mov_b32_e32 v11, v14
	s_cbranch_scc1 .LBB2333_37
; %bb.33:                               ;   in Loop: Header=BB2333_32 Depth=1
	v_lshlrev_b64 v[14:15], 3, v[12:13]
	v_mov_b32_e32 v19, s29
	v_add_co_u32_e32 v18, vcc, s28, v14
	v_addc_co_u32_e32 v19, vcc, v19, v15, vcc
	global_load_dwordx2 v[14:15], v[18:19], off glc
	s_waitcnt vmcnt(0)
	v_cmp_eq_u16_sdwa s[36:37], v15, v13 src0_sel:BYTE_0 src1_sel:DWORD
	s_and_saveexec_b64 s[34:35], s[36:37]
	s_cbranch_execz .LBB2333_31
; %bb.34:                               ;   in Loop: Header=BB2333_32 Depth=1
	s_mov_b64 s[36:37], 0
.LBB2333_35:                            ;   Parent Loop BB2333_32 Depth=1
                                        ; =>  This Inner Loop Header: Depth=2
	global_load_dwordx2 v[14:15], v[18:19], off glc
	s_waitcnt vmcnt(0)
	v_cmp_ne_u16_sdwa s[38:39], v15, v13 src0_sel:BYTE_0 src1_sel:DWORD
	s_or_b64 s[36:37], s[38:39], s[36:37]
	s_andn2_b64 exec, exec, s[36:37]
	s_cbranch_execnz .LBB2333_35
; %bb.36:                               ;   in Loop: Header=BB2333_32 Depth=1
	s_or_b64 exec, exec, s[36:37]
	s_branch .LBB2333_31
.LBB2333_37:                            ;   in Loop: Header=BB2333_32 Depth=1
                                        ; implicit-def: $vgpr14
                                        ; implicit-def: $vgpr15
	s_cbranch_execz .LBB2333_32
; %bb.38:
	s_and_saveexec_b64 s[34:35], s[18:19]
	s_cbranch_execz .LBB2333_40
; %bb.39:
	s_add_i32 s6, s6, 64
	s_mov_b32 s7, 0
	s_lshl_b64 s[6:7], s[6:7], 3
	s_add_u32 s6, s28, s6
	v_add_u32_e32 v12, v11, v10
	v_mov_b32_e32 v13, 2
	s_addc_u32 s7, s29, s7
	v_mov_b32_e32 v14, 0
	global_store_dwordx2 v14, v[12:13], s[6:7]
	ds_write_b64 v14, v[10:11] offset:6336
.LBB2333_40:
	s_or_b64 exec, exec, s[34:35]
	v_cmp_eq_u32_e32 vcc, 0, v0
	s_and_b64 exec, exec, vcc
	s_cbranch_execz .LBB2333_42
; %bb.41:
	v_mov_b32_e32 v10, 0
	ds_write_b32 v10, v11 offset:8
.LBB2333_42:
	s_or_b64 exec, exec, s[30:31]
	v_mov_b32_e32 v10, 0
	s_waitcnt lgkmcnt(0)
	s_barrier
	ds_read_b32 v11, v10 offset:8
	v_cndmask_b32_e64 v12, v28, v27, s[18:19]
	v_cmp_ne_u32_e32 vcc, 0, v0
	v_cndmask_b32_e32 v12, 0, v12, vcc
	s_waitcnt lgkmcnt(0)
	v_add_u32_e32 v15, v11, v12
	s_barrier
	ds_read_b64 v[10:11], v10 offset:6336
	v_add_u32_sdwa v16, v15, v21 dst_sel:DWORD dst_unused:UNUSED_PAD src0_sel:DWORD src1_sel:BYTE_0
	v_add_u32_sdwa v14, v16, v21 dst_sel:DWORD dst_unused:UNUSED_PAD src0_sel:DWORD src1_sel:BYTE_1
	v_add_u32_e32 v13, v14, v23
	s_waitcnt lgkmcnt(0)
	v_mov_b32_e32 v12, v11
	s_load_dwordx2 s[4:5], s[4:5], 0x28
	s_branch .LBB2333_53
.LBB2333_43:
                                        ; implicit-def: $vgpr12
                                        ; implicit-def: $vgpr10
                                        ; implicit-def: $vgpr13
                                        ; implicit-def: $vgpr14
                                        ; implicit-def: $vgpr16
                                        ; implicit-def: $vgpr15
	s_load_dwordx2 s[4:5], s[4:5], 0x28
	s_cbranch_execz .LBB2333_53
; %bb.44:
	v_mov_b32_dpp v10, v26 row_shr:1 row_mask:0xf bank_mask:0xf
	v_cndmask_b32_e64 v10, v10, 0, s[16:17]
	v_add_u32_e32 v10, v10, v26
	s_nop 1
	v_mov_b32_dpp v11, v10 row_shr:2 row_mask:0xf bank_mask:0xf
	v_cndmask_b32_e64 v11, 0, v11, s[14:15]
	v_add_u32_e32 v10, v10, v11
	s_nop 1
	v_mov_b32_dpp v11, v10 row_shr:4 row_mask:0xf bank_mask:0xf
	v_cndmask_b32_e64 v11, 0, v11, s[12:13]
	v_add_u32_e32 v10, v10, v11
	s_nop 1
	v_mov_b32_dpp v11, v10 row_shr:8 row_mask:0xf bank_mask:0xf
	v_cndmask_b32_e64 v11, 0, v11, s[10:11]
	v_add_u32_e32 v10, v10, v11
	s_nop 1
	v_mov_b32_dpp v11, v10 row_bcast:15 row_mask:0xf bank_mask:0xf
	v_cndmask_b32_e64 v11, v11, 0, s[20:21]
	v_add_u32_e32 v10, v10, v11
	s_nop 1
	v_mov_b32_dpp v11, v10 row_bcast:31 row_mask:0xf bank_mask:0xf
	v_cndmask_b32_e64 v11, 0, v11, s[2:3]
	v_add_u32_e32 v10, v10, v11
	s_and_saveexec_b64 s[2:3], s[8:9]
	s_cbranch_execz .LBB2333_46
; %bb.45:
	v_lshlrev_b32_e32 v11, 2, v25
	ds_write_b32 v11, v10
.LBB2333_46:
	s_or_b64 exec, exec, s[2:3]
	v_cmp_gt_u32_e32 vcc, 3, v0
	s_waitcnt lgkmcnt(0)
	s_barrier
	s_and_saveexec_b64 s[2:3], vcc
	s_cbranch_execz .LBB2333_48
; %bb.47:
	ds_read_b32 v11, v20
	v_and_b32_e32 v12, 3, v24
	v_cmp_ne_u32_e32 vcc, 0, v12
	s_waitcnt lgkmcnt(0)
	v_mov_b32_dpp v13, v11 row_shr:1 row_mask:0xf bank_mask:0xf
	v_cndmask_b32_e32 v13, 0, v13, vcc
	v_add_u32_e32 v11, v13, v11
	v_cmp_lt_u32_e32 vcc, 1, v12
	s_nop 0
	v_mov_b32_dpp v13, v11 row_shr:2 row_mask:0xf bank_mask:0xf
	v_cndmask_b32_e32 v12, 0, v13, vcc
	v_add_u32_e32 v11, v11, v12
	ds_write_b32 v20, v11
.LBB2333_48:
	s_or_b64 exec, exec, s[2:3]
	v_cmp_lt_u32_e32 vcc, 63, v0
	v_mov_b32_e32 v11, 0
	v_mov_b32_e32 v12, 0
	s_waitcnt lgkmcnt(0)
	s_barrier
	s_and_saveexec_b64 s[2:3], vcc
	s_cbranch_execz .LBB2333_50
; %bb.49:
	v_lshl_add_u32 v12, v25, 2, -4
	ds_read_b32 v12, v12
.LBB2333_50:
	s_or_b64 exec, exec, s[2:3]
	v_add_u32_e32 v13, -1, v24
	v_and_b32_e32 v14, 64, v24
	v_cmp_lt_i32_e32 vcc, v13, v14
	v_cndmask_b32_e32 v13, v13, v24, vcc
	s_waitcnt lgkmcnt(0)
	v_add_u32_e32 v10, v12, v10
	v_lshlrev_b32_e32 v13, 2, v13
	ds_bpermute_b32 v13, v13, v10
	ds_read_b32 v10, v11 offset:8
	v_cmp_eq_u32_e32 vcc, 0, v0
	s_and_saveexec_b64 s[2:3], vcc
	s_cbranch_execz .LBB2333_52
; %bb.51:
	v_mov_b32_e32 v14, 0
	v_mov_b32_e32 v11, 2
	s_waitcnt lgkmcnt(0)
	global_store_dwordx2 v14, v[10:11], s[28:29] offset:512
.LBB2333_52:
	s_or_b64 exec, exec, s[2:3]
	v_cmp_eq_u32_e64 s[2:3], 0, v24
	s_waitcnt lgkmcnt(1)
	v_cndmask_b32_e64 v11, v13, v12, s[2:3]
	v_cndmask_b32_e64 v15, v11, 0, vcc
	v_add_u32_sdwa v16, v15, v21 dst_sel:DWORD dst_unused:UNUSED_PAD src0_sel:DWORD src1_sel:BYTE_0
	v_add_u32_sdwa v14, v16, v21 dst_sel:DWORD dst_unused:UNUSED_PAD src0_sel:DWORD src1_sel:BYTE_1
	v_mov_b32_e32 v12, 0
	v_add_u32_e32 v13, v14, v23
	s_waitcnt lgkmcnt(0)
	s_barrier
.LBB2333_53:
	v_add_u32_e32 v17, v10, v20
	v_sub_u32_e32 v15, v15, v12
	v_and_b32_e32 v19, 1, v21
	v_sub_u32_e32 v18, v17, v15
	v_cmp_eq_u32_e32 vcc, 1, v19
	v_cndmask_b32_e32 v15, v18, v15, vcc
	v_lshlrev_b32_e32 v15, 3, v15
	v_lshrrev_b32_e32 v11, 8, v21
	ds_write_b64 v15, v[6:7]
	v_sub_u32_e32 v6, v16, v12
	v_sub_u32_e32 v7, v17, v6
	v_and_b32_e32 v11, 1, v11
	v_add_u32_e32 v7, 1, v7
	v_cmp_eq_u32_e32 vcc, 1, v11
	v_cndmask_b32_e32 v6, v7, v6, vcc
	v_lshlrev_b32_e32 v6, 3, v6
	ds_write_b64 v6, v[8:9]
	v_sub_u32_e32 v6, v14, v12
	v_mov_b32_e32 v8, 1
	v_sub_u32_e32 v7, v17, v6
	v_and_b32_sdwa v8, v8, v21 dst_sel:DWORD dst_unused:UNUSED_PAD src0_sel:DWORD src1_sel:WORD_1
	v_add_u32_e32 v7, 2, v7
	v_cmp_eq_u32_e32 vcc, 1, v8
	v_cndmask_b32_e32 v6, v7, v6, vcc
	v_lshlrev_b32_e32 v6, 3, v6
	ds_write_b64 v6, v[2:3]
	v_sub_u32_e32 v2, v13, v12
	v_sub_u32_e32 v3, v17, v2
	v_and_b32_e32 v6, 1, v22
	v_add_u32_e32 v3, 3, v3
	v_cmp_eq_u32_e32 vcc, 1, v6
	v_cndmask_b32_e32 v2, v3, v2, vcc
	v_lshlrev_b32_e32 v2, 3, v2
	ds_write_b64 v2, v[4:5]
	s_waitcnt lgkmcnt(0)
	s_barrier
	ds_read2st64_b64 v[6:9], v1 offset1:3
	ds_read2st64_b64 v[2:5], v1 offset0:6 offset1:9
	v_add_u32_e32 v17, 0xc0, v0
	v_add_u32_e32 v16, 0x180, v0
	s_and_b64 vcc, exec, s[0:1]
	v_add_u32_e32 v11, 0x240, v0
	s_cbranch_vccnz .LBB2333_59
; %bb.54:
	s_lshl_b64 s[0:1], s[22:23], 3
	v_mov_b32_e32 v13, 0
	s_add_u32 s0, s4, s0
	s_addc_u32 s1, s5, s1
	v_lshlrev_b64 v[14:15], 3, v[12:13]
	v_mov_b32_e32 v13, s1
	v_add_co_u32_e32 v14, vcc, s0, v14
	v_addc_co_u32_e32 v15, vcc, v13, v15, vcc
	v_cmp_lt_u32_e32 vcc, v0, v10
	s_and_saveexec_b64 s[0:1], vcc
	s_cbranch_execnz .LBB2333_70
; %bb.55:
	s_or_b64 exec, exec, s[0:1]
	v_cmp_lt_u32_e32 vcc, v17, v10
	s_and_saveexec_b64 s[0:1], vcc
	s_cbranch_execnz .LBB2333_71
.LBB2333_56:
	s_or_b64 exec, exec, s[0:1]
	v_cmp_lt_u32_e32 vcc, v16, v10
	s_and_saveexec_b64 s[0:1], vcc
	s_cbranch_execz .LBB2333_58
.LBB2333_57:
	v_readfirstlane_b32 s2, v14
	v_readfirstlane_b32 s3, v15
	s_waitcnt lgkmcnt(0)
	s_nop 3
	global_store_dwordx2 v1, v[2:3], s[2:3] offset:3072
.LBB2333_58:
	s_or_b64 exec, exec, s[0:1]
	v_cmp_lt_u32_e64 s[0:1], v11, v10
	s_branch .LBB2333_65
.LBB2333_59:
	s_mov_b64 s[0:1], 0
                                        ; implicit-def: $vgpr14_vgpr15
	s_cbranch_execz .LBB2333_65
; %bb.60:
	s_lshl_b64 s[0:1], s[22:23], 3
	v_mov_b32_e32 v13, 0
	s_add_u32 s0, s4, s0
	s_addc_u32 s1, s5, s1
	v_lshlrev_b64 v[14:15], 3, v[12:13]
	v_mov_b32_e32 v13, s1
	v_add_co_u32_e32 v14, vcc, s0, v14
	v_min_u32_e32 v18, s33, v10
	v_addc_co_u32_e32 v15, vcc, v13, v15, vcc
	v_cmp_gt_u32_e32 vcc, v18, v0
	s_and_saveexec_b64 s[0:1], vcc
	s_cbranch_execnz .LBB2333_72
; %bb.61:
	s_or_b64 exec, exec, s[0:1]
	v_cmp_lt_u32_e32 vcc, v17, v18
	s_and_saveexec_b64 s[0:1], vcc
	s_cbranch_execnz .LBB2333_73
.LBB2333_62:
	s_or_b64 exec, exec, s[0:1]
	v_cmp_lt_u32_e32 vcc, v16, v18
	s_and_saveexec_b64 s[0:1], vcc
	s_cbranch_execz .LBB2333_64
.LBB2333_63:
	v_readfirstlane_b32 s2, v14
	v_readfirstlane_b32 s3, v15
	s_waitcnt lgkmcnt(0)
	s_nop 3
	global_store_dwordx2 v1, v[2:3], s[2:3] offset:3072
.LBB2333_64:
	s_or_b64 exec, exec, s[0:1]
	v_cmp_lt_u32_e64 s[0:1], v11, v18
.LBB2333_65:
	s_and_saveexec_b64 s[2:3], s[0:1]
	s_cbranch_execz .LBB2333_67
; %bb.66:
	v_lshlrev_b32_e32 v1, 3, v11
	v_readfirstlane_b32 s0, v14
	v_readfirstlane_b32 s1, v15
	s_waitcnt lgkmcnt(0)
	s_nop 3
	global_store_dwordx2 v1, v[4:5], s[0:1]
.LBB2333_67:
	s_or_b64 exec, exec, s[2:3]
	v_cmp_eq_u32_e32 vcc, 0, v0
	s_and_b64 s[0:1], vcc, s[26:27]
	s_and_saveexec_b64 s[2:3], s[0:1]
	s_cbranch_execz .LBB2333_69
; %bb.68:
	v_mov_b32_e32 v0, s23
	v_add_co_u32_e32 v1, vcc, s22, v10
	s_waitcnt lgkmcnt(0)
	v_addc_co_u32_e32 v3, vcc, 0, v0, vcc
	v_add_co_u32_e32 v0, vcc, v1, v12
	v_mov_b32_e32 v2, 0
	v_addc_co_u32_e32 v1, vcc, 0, v3, vcc
	global_store_dwordx2 v2, v[0:1], s[24:25]
.LBB2333_69:
	s_endpgm
.LBB2333_70:
	v_readfirstlane_b32 s2, v14
	v_readfirstlane_b32 s3, v15
	s_waitcnt lgkmcnt(1)
	s_nop 3
	global_store_dwordx2 v1, v[6:7], s[2:3]
	s_or_b64 exec, exec, s[0:1]
	v_cmp_lt_u32_e32 vcc, v17, v10
	s_and_saveexec_b64 s[0:1], vcc
	s_cbranch_execz .LBB2333_56
.LBB2333_71:
	v_readfirstlane_b32 s2, v14
	v_readfirstlane_b32 s3, v15
	s_waitcnt lgkmcnt(1)
	s_nop 3
	global_store_dwordx2 v1, v[8:9], s[2:3] offset:1536
	s_or_b64 exec, exec, s[0:1]
	v_cmp_lt_u32_e32 vcc, v16, v10
	s_and_saveexec_b64 s[0:1], vcc
	s_cbranch_execnz .LBB2333_57
	s_branch .LBB2333_58
.LBB2333_72:
	v_readfirstlane_b32 s2, v14
	v_readfirstlane_b32 s3, v15
	s_waitcnt lgkmcnt(1)
	s_nop 3
	global_store_dwordx2 v1, v[6:7], s[2:3]
	s_or_b64 exec, exec, s[0:1]
	v_cmp_lt_u32_e32 vcc, v17, v18
	s_and_saveexec_b64 s[0:1], vcc
	s_cbranch_execz .LBB2333_62
.LBB2333_73:
	v_readfirstlane_b32 s2, v14
	v_readfirstlane_b32 s3, v15
	s_waitcnt lgkmcnt(1)
	s_nop 3
	global_store_dwordx2 v1, v[8:9], s[2:3] offset:1536
	s_or_b64 exec, exec, s[0:1]
	v_cmp_lt_u32_e32 vcc, v16, v18
	s_and_saveexec_b64 s[0:1], vcc
	s_cbranch_execnz .LBB2333_63
	s_branch .LBB2333_64
	.section	.rodata,"a",@progbits
	.p2align	6, 0x0
	.amdhsa_kernel _ZN7rocprim17ROCPRIM_400000_NS6detail17trampoline_kernelINS0_14default_configENS1_25partition_config_selectorILNS1_17partition_subalgoE0EyNS0_10empty_typeEbEEZZNS1_14partition_implILS5_0ELb0ES3_jN6thrust23THRUST_200600_302600_NS6detail15normal_iteratorINSA_10device_ptrIyEEEEPS6_SG_NS0_5tupleIJSF_NSA_16discard_iteratorINSA_11use_defaultEEEEEENSH_IJSG_SG_EEES6_PlJ7is_evenIyEEEE10hipError_tPvRmT3_T4_T5_T6_T7_T9_mT8_P12ihipStream_tbDpT10_ENKUlT_T0_E_clISt17integral_constantIbLb0EES19_EEDaS14_S15_EUlS14_E_NS1_11comp_targetILNS1_3genE4ELNS1_11target_archE910ELNS1_3gpuE8ELNS1_3repE0EEENS1_30default_config_static_selectorELNS0_4arch9wavefront6targetE1EEEvT1_
		.amdhsa_group_segment_fixed_size 6344
		.amdhsa_private_segment_fixed_size 0
		.amdhsa_kernarg_size 128
		.amdhsa_user_sgpr_count 6
		.amdhsa_user_sgpr_private_segment_buffer 1
		.amdhsa_user_sgpr_dispatch_ptr 0
		.amdhsa_user_sgpr_queue_ptr 0
		.amdhsa_user_sgpr_kernarg_segment_ptr 1
		.amdhsa_user_sgpr_dispatch_id 0
		.amdhsa_user_sgpr_flat_scratch_init 0
		.amdhsa_user_sgpr_kernarg_preload_length 0
		.amdhsa_user_sgpr_kernarg_preload_offset 0
		.amdhsa_user_sgpr_private_segment_size 0
		.amdhsa_uses_dynamic_stack 0
		.amdhsa_system_sgpr_private_segment_wavefront_offset 0
		.amdhsa_system_sgpr_workgroup_id_x 1
		.amdhsa_system_sgpr_workgroup_id_y 0
		.amdhsa_system_sgpr_workgroup_id_z 0
		.amdhsa_system_sgpr_workgroup_info 0
		.amdhsa_system_vgpr_workitem_id 0
		.amdhsa_next_free_vgpr 43
		.amdhsa_next_free_sgpr 40
		.amdhsa_accum_offset 44
		.amdhsa_reserve_vcc 1
		.amdhsa_reserve_flat_scratch 0
		.amdhsa_float_round_mode_32 0
		.amdhsa_float_round_mode_16_64 0
		.amdhsa_float_denorm_mode_32 3
		.amdhsa_float_denorm_mode_16_64 3
		.amdhsa_dx10_clamp 1
		.amdhsa_ieee_mode 1
		.amdhsa_fp16_overflow 0
		.amdhsa_tg_split 0
		.amdhsa_exception_fp_ieee_invalid_op 0
		.amdhsa_exception_fp_denorm_src 0
		.amdhsa_exception_fp_ieee_div_zero 0
		.amdhsa_exception_fp_ieee_overflow 0
		.amdhsa_exception_fp_ieee_underflow 0
		.amdhsa_exception_fp_ieee_inexact 0
		.amdhsa_exception_int_div_zero 0
	.end_amdhsa_kernel
	.section	.text._ZN7rocprim17ROCPRIM_400000_NS6detail17trampoline_kernelINS0_14default_configENS1_25partition_config_selectorILNS1_17partition_subalgoE0EyNS0_10empty_typeEbEEZZNS1_14partition_implILS5_0ELb0ES3_jN6thrust23THRUST_200600_302600_NS6detail15normal_iteratorINSA_10device_ptrIyEEEEPS6_SG_NS0_5tupleIJSF_NSA_16discard_iteratorINSA_11use_defaultEEEEEENSH_IJSG_SG_EEES6_PlJ7is_evenIyEEEE10hipError_tPvRmT3_T4_T5_T6_T7_T9_mT8_P12ihipStream_tbDpT10_ENKUlT_T0_E_clISt17integral_constantIbLb0EES19_EEDaS14_S15_EUlS14_E_NS1_11comp_targetILNS1_3genE4ELNS1_11target_archE910ELNS1_3gpuE8ELNS1_3repE0EEENS1_30default_config_static_selectorELNS0_4arch9wavefront6targetE1EEEvT1_,"axG",@progbits,_ZN7rocprim17ROCPRIM_400000_NS6detail17trampoline_kernelINS0_14default_configENS1_25partition_config_selectorILNS1_17partition_subalgoE0EyNS0_10empty_typeEbEEZZNS1_14partition_implILS5_0ELb0ES3_jN6thrust23THRUST_200600_302600_NS6detail15normal_iteratorINSA_10device_ptrIyEEEEPS6_SG_NS0_5tupleIJSF_NSA_16discard_iteratorINSA_11use_defaultEEEEEENSH_IJSG_SG_EEES6_PlJ7is_evenIyEEEE10hipError_tPvRmT3_T4_T5_T6_T7_T9_mT8_P12ihipStream_tbDpT10_ENKUlT_T0_E_clISt17integral_constantIbLb0EES19_EEDaS14_S15_EUlS14_E_NS1_11comp_targetILNS1_3genE4ELNS1_11target_archE910ELNS1_3gpuE8ELNS1_3repE0EEENS1_30default_config_static_selectorELNS0_4arch9wavefront6targetE1EEEvT1_,comdat
.Lfunc_end2333:
	.size	_ZN7rocprim17ROCPRIM_400000_NS6detail17trampoline_kernelINS0_14default_configENS1_25partition_config_selectorILNS1_17partition_subalgoE0EyNS0_10empty_typeEbEEZZNS1_14partition_implILS5_0ELb0ES3_jN6thrust23THRUST_200600_302600_NS6detail15normal_iteratorINSA_10device_ptrIyEEEEPS6_SG_NS0_5tupleIJSF_NSA_16discard_iteratorINSA_11use_defaultEEEEEENSH_IJSG_SG_EEES6_PlJ7is_evenIyEEEE10hipError_tPvRmT3_T4_T5_T6_T7_T9_mT8_P12ihipStream_tbDpT10_ENKUlT_T0_E_clISt17integral_constantIbLb0EES19_EEDaS14_S15_EUlS14_E_NS1_11comp_targetILNS1_3genE4ELNS1_11target_archE910ELNS1_3gpuE8ELNS1_3repE0EEENS1_30default_config_static_selectorELNS0_4arch9wavefront6targetE1EEEvT1_, .Lfunc_end2333-_ZN7rocprim17ROCPRIM_400000_NS6detail17trampoline_kernelINS0_14default_configENS1_25partition_config_selectorILNS1_17partition_subalgoE0EyNS0_10empty_typeEbEEZZNS1_14partition_implILS5_0ELb0ES3_jN6thrust23THRUST_200600_302600_NS6detail15normal_iteratorINSA_10device_ptrIyEEEEPS6_SG_NS0_5tupleIJSF_NSA_16discard_iteratorINSA_11use_defaultEEEEEENSH_IJSG_SG_EEES6_PlJ7is_evenIyEEEE10hipError_tPvRmT3_T4_T5_T6_T7_T9_mT8_P12ihipStream_tbDpT10_ENKUlT_T0_E_clISt17integral_constantIbLb0EES19_EEDaS14_S15_EUlS14_E_NS1_11comp_targetILNS1_3genE4ELNS1_11target_archE910ELNS1_3gpuE8ELNS1_3repE0EEENS1_30default_config_static_selectorELNS0_4arch9wavefront6targetE1EEEvT1_
                                        ; -- End function
	.section	.AMDGPU.csdata,"",@progbits
; Kernel info:
; codeLenInByte = 3612
; NumSgprs: 44
; NumVgprs: 43
; NumAgprs: 0
; TotalNumVgprs: 43
; ScratchSize: 0
; MemoryBound: 0
; FloatMode: 240
; IeeeMode: 1
; LDSByteSize: 6344 bytes/workgroup (compile time only)
; SGPRBlocks: 5
; VGPRBlocks: 5
; NumSGPRsForWavesPerEU: 44
; NumVGPRsForWavesPerEU: 43
; AccumOffset: 44
; Occupancy: 8
; WaveLimiterHint : 1
; COMPUTE_PGM_RSRC2:SCRATCH_EN: 0
; COMPUTE_PGM_RSRC2:USER_SGPR: 6
; COMPUTE_PGM_RSRC2:TRAP_HANDLER: 0
; COMPUTE_PGM_RSRC2:TGID_X_EN: 1
; COMPUTE_PGM_RSRC2:TGID_Y_EN: 0
; COMPUTE_PGM_RSRC2:TGID_Z_EN: 0
; COMPUTE_PGM_RSRC2:TIDIG_COMP_CNT: 0
; COMPUTE_PGM_RSRC3_GFX90A:ACCUM_OFFSET: 10
; COMPUTE_PGM_RSRC3_GFX90A:TG_SPLIT: 0
	.section	.text._ZN7rocprim17ROCPRIM_400000_NS6detail17trampoline_kernelINS0_14default_configENS1_25partition_config_selectorILNS1_17partition_subalgoE0EyNS0_10empty_typeEbEEZZNS1_14partition_implILS5_0ELb0ES3_jN6thrust23THRUST_200600_302600_NS6detail15normal_iteratorINSA_10device_ptrIyEEEEPS6_SG_NS0_5tupleIJSF_NSA_16discard_iteratorINSA_11use_defaultEEEEEENSH_IJSG_SG_EEES6_PlJ7is_evenIyEEEE10hipError_tPvRmT3_T4_T5_T6_T7_T9_mT8_P12ihipStream_tbDpT10_ENKUlT_T0_E_clISt17integral_constantIbLb0EES19_EEDaS14_S15_EUlS14_E_NS1_11comp_targetILNS1_3genE3ELNS1_11target_archE908ELNS1_3gpuE7ELNS1_3repE0EEENS1_30default_config_static_selectorELNS0_4arch9wavefront6targetE1EEEvT1_,"axG",@progbits,_ZN7rocprim17ROCPRIM_400000_NS6detail17trampoline_kernelINS0_14default_configENS1_25partition_config_selectorILNS1_17partition_subalgoE0EyNS0_10empty_typeEbEEZZNS1_14partition_implILS5_0ELb0ES3_jN6thrust23THRUST_200600_302600_NS6detail15normal_iteratorINSA_10device_ptrIyEEEEPS6_SG_NS0_5tupleIJSF_NSA_16discard_iteratorINSA_11use_defaultEEEEEENSH_IJSG_SG_EEES6_PlJ7is_evenIyEEEE10hipError_tPvRmT3_T4_T5_T6_T7_T9_mT8_P12ihipStream_tbDpT10_ENKUlT_T0_E_clISt17integral_constantIbLb0EES19_EEDaS14_S15_EUlS14_E_NS1_11comp_targetILNS1_3genE3ELNS1_11target_archE908ELNS1_3gpuE7ELNS1_3repE0EEENS1_30default_config_static_selectorELNS0_4arch9wavefront6targetE1EEEvT1_,comdat
	.protected	_ZN7rocprim17ROCPRIM_400000_NS6detail17trampoline_kernelINS0_14default_configENS1_25partition_config_selectorILNS1_17partition_subalgoE0EyNS0_10empty_typeEbEEZZNS1_14partition_implILS5_0ELb0ES3_jN6thrust23THRUST_200600_302600_NS6detail15normal_iteratorINSA_10device_ptrIyEEEEPS6_SG_NS0_5tupleIJSF_NSA_16discard_iteratorINSA_11use_defaultEEEEEENSH_IJSG_SG_EEES6_PlJ7is_evenIyEEEE10hipError_tPvRmT3_T4_T5_T6_T7_T9_mT8_P12ihipStream_tbDpT10_ENKUlT_T0_E_clISt17integral_constantIbLb0EES19_EEDaS14_S15_EUlS14_E_NS1_11comp_targetILNS1_3genE3ELNS1_11target_archE908ELNS1_3gpuE7ELNS1_3repE0EEENS1_30default_config_static_selectorELNS0_4arch9wavefront6targetE1EEEvT1_ ; -- Begin function _ZN7rocprim17ROCPRIM_400000_NS6detail17trampoline_kernelINS0_14default_configENS1_25partition_config_selectorILNS1_17partition_subalgoE0EyNS0_10empty_typeEbEEZZNS1_14partition_implILS5_0ELb0ES3_jN6thrust23THRUST_200600_302600_NS6detail15normal_iteratorINSA_10device_ptrIyEEEEPS6_SG_NS0_5tupleIJSF_NSA_16discard_iteratorINSA_11use_defaultEEEEEENSH_IJSG_SG_EEES6_PlJ7is_evenIyEEEE10hipError_tPvRmT3_T4_T5_T6_T7_T9_mT8_P12ihipStream_tbDpT10_ENKUlT_T0_E_clISt17integral_constantIbLb0EES19_EEDaS14_S15_EUlS14_E_NS1_11comp_targetILNS1_3genE3ELNS1_11target_archE908ELNS1_3gpuE7ELNS1_3repE0EEENS1_30default_config_static_selectorELNS0_4arch9wavefront6targetE1EEEvT1_
	.globl	_ZN7rocprim17ROCPRIM_400000_NS6detail17trampoline_kernelINS0_14default_configENS1_25partition_config_selectorILNS1_17partition_subalgoE0EyNS0_10empty_typeEbEEZZNS1_14partition_implILS5_0ELb0ES3_jN6thrust23THRUST_200600_302600_NS6detail15normal_iteratorINSA_10device_ptrIyEEEEPS6_SG_NS0_5tupleIJSF_NSA_16discard_iteratorINSA_11use_defaultEEEEEENSH_IJSG_SG_EEES6_PlJ7is_evenIyEEEE10hipError_tPvRmT3_T4_T5_T6_T7_T9_mT8_P12ihipStream_tbDpT10_ENKUlT_T0_E_clISt17integral_constantIbLb0EES19_EEDaS14_S15_EUlS14_E_NS1_11comp_targetILNS1_3genE3ELNS1_11target_archE908ELNS1_3gpuE7ELNS1_3repE0EEENS1_30default_config_static_selectorELNS0_4arch9wavefront6targetE1EEEvT1_
	.p2align	8
	.type	_ZN7rocprim17ROCPRIM_400000_NS6detail17trampoline_kernelINS0_14default_configENS1_25partition_config_selectorILNS1_17partition_subalgoE0EyNS0_10empty_typeEbEEZZNS1_14partition_implILS5_0ELb0ES3_jN6thrust23THRUST_200600_302600_NS6detail15normal_iteratorINSA_10device_ptrIyEEEEPS6_SG_NS0_5tupleIJSF_NSA_16discard_iteratorINSA_11use_defaultEEEEEENSH_IJSG_SG_EEES6_PlJ7is_evenIyEEEE10hipError_tPvRmT3_T4_T5_T6_T7_T9_mT8_P12ihipStream_tbDpT10_ENKUlT_T0_E_clISt17integral_constantIbLb0EES19_EEDaS14_S15_EUlS14_E_NS1_11comp_targetILNS1_3genE3ELNS1_11target_archE908ELNS1_3gpuE7ELNS1_3repE0EEENS1_30default_config_static_selectorELNS0_4arch9wavefront6targetE1EEEvT1_,@function
_ZN7rocprim17ROCPRIM_400000_NS6detail17trampoline_kernelINS0_14default_configENS1_25partition_config_selectorILNS1_17partition_subalgoE0EyNS0_10empty_typeEbEEZZNS1_14partition_implILS5_0ELb0ES3_jN6thrust23THRUST_200600_302600_NS6detail15normal_iteratorINSA_10device_ptrIyEEEEPS6_SG_NS0_5tupleIJSF_NSA_16discard_iteratorINSA_11use_defaultEEEEEENSH_IJSG_SG_EEES6_PlJ7is_evenIyEEEE10hipError_tPvRmT3_T4_T5_T6_T7_T9_mT8_P12ihipStream_tbDpT10_ENKUlT_T0_E_clISt17integral_constantIbLb0EES19_EEDaS14_S15_EUlS14_E_NS1_11comp_targetILNS1_3genE3ELNS1_11target_archE908ELNS1_3gpuE7ELNS1_3repE0EEENS1_30default_config_static_selectorELNS0_4arch9wavefront6targetE1EEEvT1_: ; @_ZN7rocprim17ROCPRIM_400000_NS6detail17trampoline_kernelINS0_14default_configENS1_25partition_config_selectorILNS1_17partition_subalgoE0EyNS0_10empty_typeEbEEZZNS1_14partition_implILS5_0ELb0ES3_jN6thrust23THRUST_200600_302600_NS6detail15normal_iteratorINSA_10device_ptrIyEEEEPS6_SG_NS0_5tupleIJSF_NSA_16discard_iteratorINSA_11use_defaultEEEEEENSH_IJSG_SG_EEES6_PlJ7is_evenIyEEEE10hipError_tPvRmT3_T4_T5_T6_T7_T9_mT8_P12ihipStream_tbDpT10_ENKUlT_T0_E_clISt17integral_constantIbLb0EES19_EEDaS14_S15_EUlS14_E_NS1_11comp_targetILNS1_3genE3ELNS1_11target_archE908ELNS1_3gpuE7ELNS1_3repE0EEENS1_30default_config_static_selectorELNS0_4arch9wavefront6targetE1EEEvT1_
; %bb.0:
	.section	.rodata,"a",@progbits
	.p2align	6, 0x0
	.amdhsa_kernel _ZN7rocprim17ROCPRIM_400000_NS6detail17trampoline_kernelINS0_14default_configENS1_25partition_config_selectorILNS1_17partition_subalgoE0EyNS0_10empty_typeEbEEZZNS1_14partition_implILS5_0ELb0ES3_jN6thrust23THRUST_200600_302600_NS6detail15normal_iteratorINSA_10device_ptrIyEEEEPS6_SG_NS0_5tupleIJSF_NSA_16discard_iteratorINSA_11use_defaultEEEEEENSH_IJSG_SG_EEES6_PlJ7is_evenIyEEEE10hipError_tPvRmT3_T4_T5_T6_T7_T9_mT8_P12ihipStream_tbDpT10_ENKUlT_T0_E_clISt17integral_constantIbLb0EES19_EEDaS14_S15_EUlS14_E_NS1_11comp_targetILNS1_3genE3ELNS1_11target_archE908ELNS1_3gpuE7ELNS1_3repE0EEENS1_30default_config_static_selectorELNS0_4arch9wavefront6targetE1EEEvT1_
		.amdhsa_group_segment_fixed_size 0
		.amdhsa_private_segment_fixed_size 0
		.amdhsa_kernarg_size 128
		.amdhsa_user_sgpr_count 6
		.amdhsa_user_sgpr_private_segment_buffer 1
		.amdhsa_user_sgpr_dispatch_ptr 0
		.amdhsa_user_sgpr_queue_ptr 0
		.amdhsa_user_sgpr_kernarg_segment_ptr 1
		.amdhsa_user_sgpr_dispatch_id 0
		.amdhsa_user_sgpr_flat_scratch_init 0
		.amdhsa_user_sgpr_kernarg_preload_length 0
		.amdhsa_user_sgpr_kernarg_preload_offset 0
		.amdhsa_user_sgpr_private_segment_size 0
		.amdhsa_uses_dynamic_stack 0
		.amdhsa_system_sgpr_private_segment_wavefront_offset 0
		.amdhsa_system_sgpr_workgroup_id_x 1
		.amdhsa_system_sgpr_workgroup_id_y 0
		.amdhsa_system_sgpr_workgroup_id_z 0
		.amdhsa_system_sgpr_workgroup_info 0
		.amdhsa_system_vgpr_workitem_id 0
		.amdhsa_next_free_vgpr 1
		.amdhsa_next_free_sgpr 0
		.amdhsa_accum_offset 4
		.amdhsa_reserve_vcc 0
		.amdhsa_reserve_flat_scratch 0
		.amdhsa_float_round_mode_32 0
		.amdhsa_float_round_mode_16_64 0
		.amdhsa_float_denorm_mode_32 3
		.amdhsa_float_denorm_mode_16_64 3
		.amdhsa_dx10_clamp 1
		.amdhsa_ieee_mode 1
		.amdhsa_fp16_overflow 0
		.amdhsa_tg_split 0
		.amdhsa_exception_fp_ieee_invalid_op 0
		.amdhsa_exception_fp_denorm_src 0
		.amdhsa_exception_fp_ieee_div_zero 0
		.amdhsa_exception_fp_ieee_overflow 0
		.amdhsa_exception_fp_ieee_underflow 0
		.amdhsa_exception_fp_ieee_inexact 0
		.amdhsa_exception_int_div_zero 0
	.end_amdhsa_kernel
	.section	.text._ZN7rocprim17ROCPRIM_400000_NS6detail17trampoline_kernelINS0_14default_configENS1_25partition_config_selectorILNS1_17partition_subalgoE0EyNS0_10empty_typeEbEEZZNS1_14partition_implILS5_0ELb0ES3_jN6thrust23THRUST_200600_302600_NS6detail15normal_iteratorINSA_10device_ptrIyEEEEPS6_SG_NS0_5tupleIJSF_NSA_16discard_iteratorINSA_11use_defaultEEEEEENSH_IJSG_SG_EEES6_PlJ7is_evenIyEEEE10hipError_tPvRmT3_T4_T5_T6_T7_T9_mT8_P12ihipStream_tbDpT10_ENKUlT_T0_E_clISt17integral_constantIbLb0EES19_EEDaS14_S15_EUlS14_E_NS1_11comp_targetILNS1_3genE3ELNS1_11target_archE908ELNS1_3gpuE7ELNS1_3repE0EEENS1_30default_config_static_selectorELNS0_4arch9wavefront6targetE1EEEvT1_,"axG",@progbits,_ZN7rocprim17ROCPRIM_400000_NS6detail17trampoline_kernelINS0_14default_configENS1_25partition_config_selectorILNS1_17partition_subalgoE0EyNS0_10empty_typeEbEEZZNS1_14partition_implILS5_0ELb0ES3_jN6thrust23THRUST_200600_302600_NS6detail15normal_iteratorINSA_10device_ptrIyEEEEPS6_SG_NS0_5tupleIJSF_NSA_16discard_iteratorINSA_11use_defaultEEEEEENSH_IJSG_SG_EEES6_PlJ7is_evenIyEEEE10hipError_tPvRmT3_T4_T5_T6_T7_T9_mT8_P12ihipStream_tbDpT10_ENKUlT_T0_E_clISt17integral_constantIbLb0EES19_EEDaS14_S15_EUlS14_E_NS1_11comp_targetILNS1_3genE3ELNS1_11target_archE908ELNS1_3gpuE7ELNS1_3repE0EEENS1_30default_config_static_selectorELNS0_4arch9wavefront6targetE1EEEvT1_,comdat
.Lfunc_end2334:
	.size	_ZN7rocprim17ROCPRIM_400000_NS6detail17trampoline_kernelINS0_14default_configENS1_25partition_config_selectorILNS1_17partition_subalgoE0EyNS0_10empty_typeEbEEZZNS1_14partition_implILS5_0ELb0ES3_jN6thrust23THRUST_200600_302600_NS6detail15normal_iteratorINSA_10device_ptrIyEEEEPS6_SG_NS0_5tupleIJSF_NSA_16discard_iteratorINSA_11use_defaultEEEEEENSH_IJSG_SG_EEES6_PlJ7is_evenIyEEEE10hipError_tPvRmT3_T4_T5_T6_T7_T9_mT8_P12ihipStream_tbDpT10_ENKUlT_T0_E_clISt17integral_constantIbLb0EES19_EEDaS14_S15_EUlS14_E_NS1_11comp_targetILNS1_3genE3ELNS1_11target_archE908ELNS1_3gpuE7ELNS1_3repE0EEENS1_30default_config_static_selectorELNS0_4arch9wavefront6targetE1EEEvT1_, .Lfunc_end2334-_ZN7rocprim17ROCPRIM_400000_NS6detail17trampoline_kernelINS0_14default_configENS1_25partition_config_selectorILNS1_17partition_subalgoE0EyNS0_10empty_typeEbEEZZNS1_14partition_implILS5_0ELb0ES3_jN6thrust23THRUST_200600_302600_NS6detail15normal_iteratorINSA_10device_ptrIyEEEEPS6_SG_NS0_5tupleIJSF_NSA_16discard_iteratorINSA_11use_defaultEEEEEENSH_IJSG_SG_EEES6_PlJ7is_evenIyEEEE10hipError_tPvRmT3_T4_T5_T6_T7_T9_mT8_P12ihipStream_tbDpT10_ENKUlT_T0_E_clISt17integral_constantIbLb0EES19_EEDaS14_S15_EUlS14_E_NS1_11comp_targetILNS1_3genE3ELNS1_11target_archE908ELNS1_3gpuE7ELNS1_3repE0EEENS1_30default_config_static_selectorELNS0_4arch9wavefront6targetE1EEEvT1_
                                        ; -- End function
	.section	.AMDGPU.csdata,"",@progbits
; Kernel info:
; codeLenInByte = 0
; NumSgprs: 4
; NumVgprs: 0
; NumAgprs: 0
; TotalNumVgprs: 0
; ScratchSize: 0
; MemoryBound: 0
; FloatMode: 240
; IeeeMode: 1
; LDSByteSize: 0 bytes/workgroup (compile time only)
; SGPRBlocks: 0
; VGPRBlocks: 0
; NumSGPRsForWavesPerEU: 4
; NumVGPRsForWavesPerEU: 1
; AccumOffset: 4
; Occupancy: 8
; WaveLimiterHint : 0
; COMPUTE_PGM_RSRC2:SCRATCH_EN: 0
; COMPUTE_PGM_RSRC2:USER_SGPR: 6
; COMPUTE_PGM_RSRC2:TRAP_HANDLER: 0
; COMPUTE_PGM_RSRC2:TGID_X_EN: 1
; COMPUTE_PGM_RSRC2:TGID_Y_EN: 0
; COMPUTE_PGM_RSRC2:TGID_Z_EN: 0
; COMPUTE_PGM_RSRC2:TIDIG_COMP_CNT: 0
; COMPUTE_PGM_RSRC3_GFX90A:ACCUM_OFFSET: 0
; COMPUTE_PGM_RSRC3_GFX90A:TG_SPLIT: 0
	.section	.text._ZN7rocprim17ROCPRIM_400000_NS6detail17trampoline_kernelINS0_14default_configENS1_25partition_config_selectorILNS1_17partition_subalgoE0EyNS0_10empty_typeEbEEZZNS1_14partition_implILS5_0ELb0ES3_jN6thrust23THRUST_200600_302600_NS6detail15normal_iteratorINSA_10device_ptrIyEEEEPS6_SG_NS0_5tupleIJSF_NSA_16discard_iteratorINSA_11use_defaultEEEEEENSH_IJSG_SG_EEES6_PlJ7is_evenIyEEEE10hipError_tPvRmT3_T4_T5_T6_T7_T9_mT8_P12ihipStream_tbDpT10_ENKUlT_T0_E_clISt17integral_constantIbLb0EES19_EEDaS14_S15_EUlS14_E_NS1_11comp_targetILNS1_3genE2ELNS1_11target_archE906ELNS1_3gpuE6ELNS1_3repE0EEENS1_30default_config_static_selectorELNS0_4arch9wavefront6targetE1EEEvT1_,"axG",@progbits,_ZN7rocprim17ROCPRIM_400000_NS6detail17trampoline_kernelINS0_14default_configENS1_25partition_config_selectorILNS1_17partition_subalgoE0EyNS0_10empty_typeEbEEZZNS1_14partition_implILS5_0ELb0ES3_jN6thrust23THRUST_200600_302600_NS6detail15normal_iteratorINSA_10device_ptrIyEEEEPS6_SG_NS0_5tupleIJSF_NSA_16discard_iteratorINSA_11use_defaultEEEEEENSH_IJSG_SG_EEES6_PlJ7is_evenIyEEEE10hipError_tPvRmT3_T4_T5_T6_T7_T9_mT8_P12ihipStream_tbDpT10_ENKUlT_T0_E_clISt17integral_constantIbLb0EES19_EEDaS14_S15_EUlS14_E_NS1_11comp_targetILNS1_3genE2ELNS1_11target_archE906ELNS1_3gpuE6ELNS1_3repE0EEENS1_30default_config_static_selectorELNS0_4arch9wavefront6targetE1EEEvT1_,comdat
	.protected	_ZN7rocprim17ROCPRIM_400000_NS6detail17trampoline_kernelINS0_14default_configENS1_25partition_config_selectorILNS1_17partition_subalgoE0EyNS0_10empty_typeEbEEZZNS1_14partition_implILS5_0ELb0ES3_jN6thrust23THRUST_200600_302600_NS6detail15normal_iteratorINSA_10device_ptrIyEEEEPS6_SG_NS0_5tupleIJSF_NSA_16discard_iteratorINSA_11use_defaultEEEEEENSH_IJSG_SG_EEES6_PlJ7is_evenIyEEEE10hipError_tPvRmT3_T4_T5_T6_T7_T9_mT8_P12ihipStream_tbDpT10_ENKUlT_T0_E_clISt17integral_constantIbLb0EES19_EEDaS14_S15_EUlS14_E_NS1_11comp_targetILNS1_3genE2ELNS1_11target_archE906ELNS1_3gpuE6ELNS1_3repE0EEENS1_30default_config_static_selectorELNS0_4arch9wavefront6targetE1EEEvT1_ ; -- Begin function _ZN7rocprim17ROCPRIM_400000_NS6detail17trampoline_kernelINS0_14default_configENS1_25partition_config_selectorILNS1_17partition_subalgoE0EyNS0_10empty_typeEbEEZZNS1_14partition_implILS5_0ELb0ES3_jN6thrust23THRUST_200600_302600_NS6detail15normal_iteratorINSA_10device_ptrIyEEEEPS6_SG_NS0_5tupleIJSF_NSA_16discard_iteratorINSA_11use_defaultEEEEEENSH_IJSG_SG_EEES6_PlJ7is_evenIyEEEE10hipError_tPvRmT3_T4_T5_T6_T7_T9_mT8_P12ihipStream_tbDpT10_ENKUlT_T0_E_clISt17integral_constantIbLb0EES19_EEDaS14_S15_EUlS14_E_NS1_11comp_targetILNS1_3genE2ELNS1_11target_archE906ELNS1_3gpuE6ELNS1_3repE0EEENS1_30default_config_static_selectorELNS0_4arch9wavefront6targetE1EEEvT1_
	.globl	_ZN7rocprim17ROCPRIM_400000_NS6detail17trampoline_kernelINS0_14default_configENS1_25partition_config_selectorILNS1_17partition_subalgoE0EyNS0_10empty_typeEbEEZZNS1_14partition_implILS5_0ELb0ES3_jN6thrust23THRUST_200600_302600_NS6detail15normal_iteratorINSA_10device_ptrIyEEEEPS6_SG_NS0_5tupleIJSF_NSA_16discard_iteratorINSA_11use_defaultEEEEEENSH_IJSG_SG_EEES6_PlJ7is_evenIyEEEE10hipError_tPvRmT3_T4_T5_T6_T7_T9_mT8_P12ihipStream_tbDpT10_ENKUlT_T0_E_clISt17integral_constantIbLb0EES19_EEDaS14_S15_EUlS14_E_NS1_11comp_targetILNS1_3genE2ELNS1_11target_archE906ELNS1_3gpuE6ELNS1_3repE0EEENS1_30default_config_static_selectorELNS0_4arch9wavefront6targetE1EEEvT1_
	.p2align	8
	.type	_ZN7rocprim17ROCPRIM_400000_NS6detail17trampoline_kernelINS0_14default_configENS1_25partition_config_selectorILNS1_17partition_subalgoE0EyNS0_10empty_typeEbEEZZNS1_14partition_implILS5_0ELb0ES3_jN6thrust23THRUST_200600_302600_NS6detail15normal_iteratorINSA_10device_ptrIyEEEEPS6_SG_NS0_5tupleIJSF_NSA_16discard_iteratorINSA_11use_defaultEEEEEENSH_IJSG_SG_EEES6_PlJ7is_evenIyEEEE10hipError_tPvRmT3_T4_T5_T6_T7_T9_mT8_P12ihipStream_tbDpT10_ENKUlT_T0_E_clISt17integral_constantIbLb0EES19_EEDaS14_S15_EUlS14_E_NS1_11comp_targetILNS1_3genE2ELNS1_11target_archE906ELNS1_3gpuE6ELNS1_3repE0EEENS1_30default_config_static_selectorELNS0_4arch9wavefront6targetE1EEEvT1_,@function
_ZN7rocprim17ROCPRIM_400000_NS6detail17trampoline_kernelINS0_14default_configENS1_25partition_config_selectorILNS1_17partition_subalgoE0EyNS0_10empty_typeEbEEZZNS1_14partition_implILS5_0ELb0ES3_jN6thrust23THRUST_200600_302600_NS6detail15normal_iteratorINSA_10device_ptrIyEEEEPS6_SG_NS0_5tupleIJSF_NSA_16discard_iteratorINSA_11use_defaultEEEEEENSH_IJSG_SG_EEES6_PlJ7is_evenIyEEEE10hipError_tPvRmT3_T4_T5_T6_T7_T9_mT8_P12ihipStream_tbDpT10_ENKUlT_T0_E_clISt17integral_constantIbLb0EES19_EEDaS14_S15_EUlS14_E_NS1_11comp_targetILNS1_3genE2ELNS1_11target_archE906ELNS1_3gpuE6ELNS1_3repE0EEENS1_30default_config_static_selectorELNS0_4arch9wavefront6targetE1EEEvT1_: ; @_ZN7rocprim17ROCPRIM_400000_NS6detail17trampoline_kernelINS0_14default_configENS1_25partition_config_selectorILNS1_17partition_subalgoE0EyNS0_10empty_typeEbEEZZNS1_14partition_implILS5_0ELb0ES3_jN6thrust23THRUST_200600_302600_NS6detail15normal_iteratorINSA_10device_ptrIyEEEEPS6_SG_NS0_5tupleIJSF_NSA_16discard_iteratorINSA_11use_defaultEEEEEENSH_IJSG_SG_EEES6_PlJ7is_evenIyEEEE10hipError_tPvRmT3_T4_T5_T6_T7_T9_mT8_P12ihipStream_tbDpT10_ENKUlT_T0_E_clISt17integral_constantIbLb0EES19_EEDaS14_S15_EUlS14_E_NS1_11comp_targetILNS1_3genE2ELNS1_11target_archE906ELNS1_3gpuE6ELNS1_3repE0EEENS1_30default_config_static_selectorELNS0_4arch9wavefront6targetE1EEEvT1_
; %bb.0:
	.section	.rodata,"a",@progbits
	.p2align	6, 0x0
	.amdhsa_kernel _ZN7rocprim17ROCPRIM_400000_NS6detail17trampoline_kernelINS0_14default_configENS1_25partition_config_selectorILNS1_17partition_subalgoE0EyNS0_10empty_typeEbEEZZNS1_14partition_implILS5_0ELb0ES3_jN6thrust23THRUST_200600_302600_NS6detail15normal_iteratorINSA_10device_ptrIyEEEEPS6_SG_NS0_5tupleIJSF_NSA_16discard_iteratorINSA_11use_defaultEEEEEENSH_IJSG_SG_EEES6_PlJ7is_evenIyEEEE10hipError_tPvRmT3_T4_T5_T6_T7_T9_mT8_P12ihipStream_tbDpT10_ENKUlT_T0_E_clISt17integral_constantIbLb0EES19_EEDaS14_S15_EUlS14_E_NS1_11comp_targetILNS1_3genE2ELNS1_11target_archE906ELNS1_3gpuE6ELNS1_3repE0EEENS1_30default_config_static_selectorELNS0_4arch9wavefront6targetE1EEEvT1_
		.amdhsa_group_segment_fixed_size 0
		.amdhsa_private_segment_fixed_size 0
		.amdhsa_kernarg_size 128
		.amdhsa_user_sgpr_count 6
		.amdhsa_user_sgpr_private_segment_buffer 1
		.amdhsa_user_sgpr_dispatch_ptr 0
		.amdhsa_user_sgpr_queue_ptr 0
		.amdhsa_user_sgpr_kernarg_segment_ptr 1
		.amdhsa_user_sgpr_dispatch_id 0
		.amdhsa_user_sgpr_flat_scratch_init 0
		.amdhsa_user_sgpr_kernarg_preload_length 0
		.amdhsa_user_sgpr_kernarg_preload_offset 0
		.amdhsa_user_sgpr_private_segment_size 0
		.amdhsa_uses_dynamic_stack 0
		.amdhsa_system_sgpr_private_segment_wavefront_offset 0
		.amdhsa_system_sgpr_workgroup_id_x 1
		.amdhsa_system_sgpr_workgroup_id_y 0
		.amdhsa_system_sgpr_workgroup_id_z 0
		.amdhsa_system_sgpr_workgroup_info 0
		.amdhsa_system_vgpr_workitem_id 0
		.amdhsa_next_free_vgpr 1
		.amdhsa_next_free_sgpr 0
		.amdhsa_accum_offset 4
		.amdhsa_reserve_vcc 0
		.amdhsa_reserve_flat_scratch 0
		.amdhsa_float_round_mode_32 0
		.amdhsa_float_round_mode_16_64 0
		.amdhsa_float_denorm_mode_32 3
		.amdhsa_float_denorm_mode_16_64 3
		.amdhsa_dx10_clamp 1
		.amdhsa_ieee_mode 1
		.amdhsa_fp16_overflow 0
		.amdhsa_tg_split 0
		.amdhsa_exception_fp_ieee_invalid_op 0
		.amdhsa_exception_fp_denorm_src 0
		.amdhsa_exception_fp_ieee_div_zero 0
		.amdhsa_exception_fp_ieee_overflow 0
		.amdhsa_exception_fp_ieee_underflow 0
		.amdhsa_exception_fp_ieee_inexact 0
		.amdhsa_exception_int_div_zero 0
	.end_amdhsa_kernel
	.section	.text._ZN7rocprim17ROCPRIM_400000_NS6detail17trampoline_kernelINS0_14default_configENS1_25partition_config_selectorILNS1_17partition_subalgoE0EyNS0_10empty_typeEbEEZZNS1_14partition_implILS5_0ELb0ES3_jN6thrust23THRUST_200600_302600_NS6detail15normal_iteratorINSA_10device_ptrIyEEEEPS6_SG_NS0_5tupleIJSF_NSA_16discard_iteratorINSA_11use_defaultEEEEEENSH_IJSG_SG_EEES6_PlJ7is_evenIyEEEE10hipError_tPvRmT3_T4_T5_T6_T7_T9_mT8_P12ihipStream_tbDpT10_ENKUlT_T0_E_clISt17integral_constantIbLb0EES19_EEDaS14_S15_EUlS14_E_NS1_11comp_targetILNS1_3genE2ELNS1_11target_archE906ELNS1_3gpuE6ELNS1_3repE0EEENS1_30default_config_static_selectorELNS0_4arch9wavefront6targetE1EEEvT1_,"axG",@progbits,_ZN7rocprim17ROCPRIM_400000_NS6detail17trampoline_kernelINS0_14default_configENS1_25partition_config_selectorILNS1_17partition_subalgoE0EyNS0_10empty_typeEbEEZZNS1_14partition_implILS5_0ELb0ES3_jN6thrust23THRUST_200600_302600_NS6detail15normal_iteratorINSA_10device_ptrIyEEEEPS6_SG_NS0_5tupleIJSF_NSA_16discard_iteratorINSA_11use_defaultEEEEEENSH_IJSG_SG_EEES6_PlJ7is_evenIyEEEE10hipError_tPvRmT3_T4_T5_T6_T7_T9_mT8_P12ihipStream_tbDpT10_ENKUlT_T0_E_clISt17integral_constantIbLb0EES19_EEDaS14_S15_EUlS14_E_NS1_11comp_targetILNS1_3genE2ELNS1_11target_archE906ELNS1_3gpuE6ELNS1_3repE0EEENS1_30default_config_static_selectorELNS0_4arch9wavefront6targetE1EEEvT1_,comdat
.Lfunc_end2335:
	.size	_ZN7rocprim17ROCPRIM_400000_NS6detail17trampoline_kernelINS0_14default_configENS1_25partition_config_selectorILNS1_17partition_subalgoE0EyNS0_10empty_typeEbEEZZNS1_14partition_implILS5_0ELb0ES3_jN6thrust23THRUST_200600_302600_NS6detail15normal_iteratorINSA_10device_ptrIyEEEEPS6_SG_NS0_5tupleIJSF_NSA_16discard_iteratorINSA_11use_defaultEEEEEENSH_IJSG_SG_EEES6_PlJ7is_evenIyEEEE10hipError_tPvRmT3_T4_T5_T6_T7_T9_mT8_P12ihipStream_tbDpT10_ENKUlT_T0_E_clISt17integral_constantIbLb0EES19_EEDaS14_S15_EUlS14_E_NS1_11comp_targetILNS1_3genE2ELNS1_11target_archE906ELNS1_3gpuE6ELNS1_3repE0EEENS1_30default_config_static_selectorELNS0_4arch9wavefront6targetE1EEEvT1_, .Lfunc_end2335-_ZN7rocprim17ROCPRIM_400000_NS6detail17trampoline_kernelINS0_14default_configENS1_25partition_config_selectorILNS1_17partition_subalgoE0EyNS0_10empty_typeEbEEZZNS1_14partition_implILS5_0ELb0ES3_jN6thrust23THRUST_200600_302600_NS6detail15normal_iteratorINSA_10device_ptrIyEEEEPS6_SG_NS0_5tupleIJSF_NSA_16discard_iteratorINSA_11use_defaultEEEEEENSH_IJSG_SG_EEES6_PlJ7is_evenIyEEEE10hipError_tPvRmT3_T4_T5_T6_T7_T9_mT8_P12ihipStream_tbDpT10_ENKUlT_T0_E_clISt17integral_constantIbLb0EES19_EEDaS14_S15_EUlS14_E_NS1_11comp_targetILNS1_3genE2ELNS1_11target_archE906ELNS1_3gpuE6ELNS1_3repE0EEENS1_30default_config_static_selectorELNS0_4arch9wavefront6targetE1EEEvT1_
                                        ; -- End function
	.section	.AMDGPU.csdata,"",@progbits
; Kernel info:
; codeLenInByte = 0
; NumSgprs: 4
; NumVgprs: 0
; NumAgprs: 0
; TotalNumVgprs: 0
; ScratchSize: 0
; MemoryBound: 0
; FloatMode: 240
; IeeeMode: 1
; LDSByteSize: 0 bytes/workgroup (compile time only)
; SGPRBlocks: 0
; VGPRBlocks: 0
; NumSGPRsForWavesPerEU: 4
; NumVGPRsForWavesPerEU: 1
; AccumOffset: 4
; Occupancy: 8
; WaveLimiterHint : 0
; COMPUTE_PGM_RSRC2:SCRATCH_EN: 0
; COMPUTE_PGM_RSRC2:USER_SGPR: 6
; COMPUTE_PGM_RSRC2:TRAP_HANDLER: 0
; COMPUTE_PGM_RSRC2:TGID_X_EN: 1
; COMPUTE_PGM_RSRC2:TGID_Y_EN: 0
; COMPUTE_PGM_RSRC2:TGID_Z_EN: 0
; COMPUTE_PGM_RSRC2:TIDIG_COMP_CNT: 0
; COMPUTE_PGM_RSRC3_GFX90A:ACCUM_OFFSET: 0
; COMPUTE_PGM_RSRC3_GFX90A:TG_SPLIT: 0
	.section	.text._ZN7rocprim17ROCPRIM_400000_NS6detail17trampoline_kernelINS0_14default_configENS1_25partition_config_selectorILNS1_17partition_subalgoE0EyNS0_10empty_typeEbEEZZNS1_14partition_implILS5_0ELb0ES3_jN6thrust23THRUST_200600_302600_NS6detail15normal_iteratorINSA_10device_ptrIyEEEEPS6_SG_NS0_5tupleIJSF_NSA_16discard_iteratorINSA_11use_defaultEEEEEENSH_IJSG_SG_EEES6_PlJ7is_evenIyEEEE10hipError_tPvRmT3_T4_T5_T6_T7_T9_mT8_P12ihipStream_tbDpT10_ENKUlT_T0_E_clISt17integral_constantIbLb0EES19_EEDaS14_S15_EUlS14_E_NS1_11comp_targetILNS1_3genE10ELNS1_11target_archE1200ELNS1_3gpuE4ELNS1_3repE0EEENS1_30default_config_static_selectorELNS0_4arch9wavefront6targetE1EEEvT1_,"axG",@progbits,_ZN7rocprim17ROCPRIM_400000_NS6detail17trampoline_kernelINS0_14default_configENS1_25partition_config_selectorILNS1_17partition_subalgoE0EyNS0_10empty_typeEbEEZZNS1_14partition_implILS5_0ELb0ES3_jN6thrust23THRUST_200600_302600_NS6detail15normal_iteratorINSA_10device_ptrIyEEEEPS6_SG_NS0_5tupleIJSF_NSA_16discard_iteratorINSA_11use_defaultEEEEEENSH_IJSG_SG_EEES6_PlJ7is_evenIyEEEE10hipError_tPvRmT3_T4_T5_T6_T7_T9_mT8_P12ihipStream_tbDpT10_ENKUlT_T0_E_clISt17integral_constantIbLb0EES19_EEDaS14_S15_EUlS14_E_NS1_11comp_targetILNS1_3genE10ELNS1_11target_archE1200ELNS1_3gpuE4ELNS1_3repE0EEENS1_30default_config_static_selectorELNS0_4arch9wavefront6targetE1EEEvT1_,comdat
	.protected	_ZN7rocprim17ROCPRIM_400000_NS6detail17trampoline_kernelINS0_14default_configENS1_25partition_config_selectorILNS1_17partition_subalgoE0EyNS0_10empty_typeEbEEZZNS1_14partition_implILS5_0ELb0ES3_jN6thrust23THRUST_200600_302600_NS6detail15normal_iteratorINSA_10device_ptrIyEEEEPS6_SG_NS0_5tupleIJSF_NSA_16discard_iteratorINSA_11use_defaultEEEEEENSH_IJSG_SG_EEES6_PlJ7is_evenIyEEEE10hipError_tPvRmT3_T4_T5_T6_T7_T9_mT8_P12ihipStream_tbDpT10_ENKUlT_T0_E_clISt17integral_constantIbLb0EES19_EEDaS14_S15_EUlS14_E_NS1_11comp_targetILNS1_3genE10ELNS1_11target_archE1200ELNS1_3gpuE4ELNS1_3repE0EEENS1_30default_config_static_selectorELNS0_4arch9wavefront6targetE1EEEvT1_ ; -- Begin function _ZN7rocprim17ROCPRIM_400000_NS6detail17trampoline_kernelINS0_14default_configENS1_25partition_config_selectorILNS1_17partition_subalgoE0EyNS0_10empty_typeEbEEZZNS1_14partition_implILS5_0ELb0ES3_jN6thrust23THRUST_200600_302600_NS6detail15normal_iteratorINSA_10device_ptrIyEEEEPS6_SG_NS0_5tupleIJSF_NSA_16discard_iteratorINSA_11use_defaultEEEEEENSH_IJSG_SG_EEES6_PlJ7is_evenIyEEEE10hipError_tPvRmT3_T4_T5_T6_T7_T9_mT8_P12ihipStream_tbDpT10_ENKUlT_T0_E_clISt17integral_constantIbLb0EES19_EEDaS14_S15_EUlS14_E_NS1_11comp_targetILNS1_3genE10ELNS1_11target_archE1200ELNS1_3gpuE4ELNS1_3repE0EEENS1_30default_config_static_selectorELNS0_4arch9wavefront6targetE1EEEvT1_
	.globl	_ZN7rocprim17ROCPRIM_400000_NS6detail17trampoline_kernelINS0_14default_configENS1_25partition_config_selectorILNS1_17partition_subalgoE0EyNS0_10empty_typeEbEEZZNS1_14partition_implILS5_0ELb0ES3_jN6thrust23THRUST_200600_302600_NS6detail15normal_iteratorINSA_10device_ptrIyEEEEPS6_SG_NS0_5tupleIJSF_NSA_16discard_iteratorINSA_11use_defaultEEEEEENSH_IJSG_SG_EEES6_PlJ7is_evenIyEEEE10hipError_tPvRmT3_T4_T5_T6_T7_T9_mT8_P12ihipStream_tbDpT10_ENKUlT_T0_E_clISt17integral_constantIbLb0EES19_EEDaS14_S15_EUlS14_E_NS1_11comp_targetILNS1_3genE10ELNS1_11target_archE1200ELNS1_3gpuE4ELNS1_3repE0EEENS1_30default_config_static_selectorELNS0_4arch9wavefront6targetE1EEEvT1_
	.p2align	8
	.type	_ZN7rocprim17ROCPRIM_400000_NS6detail17trampoline_kernelINS0_14default_configENS1_25partition_config_selectorILNS1_17partition_subalgoE0EyNS0_10empty_typeEbEEZZNS1_14partition_implILS5_0ELb0ES3_jN6thrust23THRUST_200600_302600_NS6detail15normal_iteratorINSA_10device_ptrIyEEEEPS6_SG_NS0_5tupleIJSF_NSA_16discard_iteratorINSA_11use_defaultEEEEEENSH_IJSG_SG_EEES6_PlJ7is_evenIyEEEE10hipError_tPvRmT3_T4_T5_T6_T7_T9_mT8_P12ihipStream_tbDpT10_ENKUlT_T0_E_clISt17integral_constantIbLb0EES19_EEDaS14_S15_EUlS14_E_NS1_11comp_targetILNS1_3genE10ELNS1_11target_archE1200ELNS1_3gpuE4ELNS1_3repE0EEENS1_30default_config_static_selectorELNS0_4arch9wavefront6targetE1EEEvT1_,@function
_ZN7rocprim17ROCPRIM_400000_NS6detail17trampoline_kernelINS0_14default_configENS1_25partition_config_selectorILNS1_17partition_subalgoE0EyNS0_10empty_typeEbEEZZNS1_14partition_implILS5_0ELb0ES3_jN6thrust23THRUST_200600_302600_NS6detail15normal_iteratorINSA_10device_ptrIyEEEEPS6_SG_NS0_5tupleIJSF_NSA_16discard_iteratorINSA_11use_defaultEEEEEENSH_IJSG_SG_EEES6_PlJ7is_evenIyEEEE10hipError_tPvRmT3_T4_T5_T6_T7_T9_mT8_P12ihipStream_tbDpT10_ENKUlT_T0_E_clISt17integral_constantIbLb0EES19_EEDaS14_S15_EUlS14_E_NS1_11comp_targetILNS1_3genE10ELNS1_11target_archE1200ELNS1_3gpuE4ELNS1_3repE0EEENS1_30default_config_static_selectorELNS0_4arch9wavefront6targetE1EEEvT1_: ; @_ZN7rocprim17ROCPRIM_400000_NS6detail17trampoline_kernelINS0_14default_configENS1_25partition_config_selectorILNS1_17partition_subalgoE0EyNS0_10empty_typeEbEEZZNS1_14partition_implILS5_0ELb0ES3_jN6thrust23THRUST_200600_302600_NS6detail15normal_iteratorINSA_10device_ptrIyEEEEPS6_SG_NS0_5tupleIJSF_NSA_16discard_iteratorINSA_11use_defaultEEEEEENSH_IJSG_SG_EEES6_PlJ7is_evenIyEEEE10hipError_tPvRmT3_T4_T5_T6_T7_T9_mT8_P12ihipStream_tbDpT10_ENKUlT_T0_E_clISt17integral_constantIbLb0EES19_EEDaS14_S15_EUlS14_E_NS1_11comp_targetILNS1_3genE10ELNS1_11target_archE1200ELNS1_3gpuE4ELNS1_3repE0EEENS1_30default_config_static_selectorELNS0_4arch9wavefront6targetE1EEEvT1_
; %bb.0:
	.section	.rodata,"a",@progbits
	.p2align	6, 0x0
	.amdhsa_kernel _ZN7rocprim17ROCPRIM_400000_NS6detail17trampoline_kernelINS0_14default_configENS1_25partition_config_selectorILNS1_17partition_subalgoE0EyNS0_10empty_typeEbEEZZNS1_14partition_implILS5_0ELb0ES3_jN6thrust23THRUST_200600_302600_NS6detail15normal_iteratorINSA_10device_ptrIyEEEEPS6_SG_NS0_5tupleIJSF_NSA_16discard_iteratorINSA_11use_defaultEEEEEENSH_IJSG_SG_EEES6_PlJ7is_evenIyEEEE10hipError_tPvRmT3_T4_T5_T6_T7_T9_mT8_P12ihipStream_tbDpT10_ENKUlT_T0_E_clISt17integral_constantIbLb0EES19_EEDaS14_S15_EUlS14_E_NS1_11comp_targetILNS1_3genE10ELNS1_11target_archE1200ELNS1_3gpuE4ELNS1_3repE0EEENS1_30default_config_static_selectorELNS0_4arch9wavefront6targetE1EEEvT1_
		.amdhsa_group_segment_fixed_size 0
		.amdhsa_private_segment_fixed_size 0
		.amdhsa_kernarg_size 128
		.amdhsa_user_sgpr_count 6
		.amdhsa_user_sgpr_private_segment_buffer 1
		.amdhsa_user_sgpr_dispatch_ptr 0
		.amdhsa_user_sgpr_queue_ptr 0
		.amdhsa_user_sgpr_kernarg_segment_ptr 1
		.amdhsa_user_sgpr_dispatch_id 0
		.amdhsa_user_sgpr_flat_scratch_init 0
		.amdhsa_user_sgpr_kernarg_preload_length 0
		.amdhsa_user_sgpr_kernarg_preload_offset 0
		.amdhsa_user_sgpr_private_segment_size 0
		.amdhsa_uses_dynamic_stack 0
		.amdhsa_system_sgpr_private_segment_wavefront_offset 0
		.amdhsa_system_sgpr_workgroup_id_x 1
		.amdhsa_system_sgpr_workgroup_id_y 0
		.amdhsa_system_sgpr_workgroup_id_z 0
		.amdhsa_system_sgpr_workgroup_info 0
		.amdhsa_system_vgpr_workitem_id 0
		.amdhsa_next_free_vgpr 1
		.amdhsa_next_free_sgpr 0
		.amdhsa_accum_offset 4
		.amdhsa_reserve_vcc 0
		.amdhsa_reserve_flat_scratch 0
		.amdhsa_float_round_mode_32 0
		.amdhsa_float_round_mode_16_64 0
		.amdhsa_float_denorm_mode_32 3
		.amdhsa_float_denorm_mode_16_64 3
		.amdhsa_dx10_clamp 1
		.amdhsa_ieee_mode 1
		.amdhsa_fp16_overflow 0
		.amdhsa_tg_split 0
		.amdhsa_exception_fp_ieee_invalid_op 0
		.amdhsa_exception_fp_denorm_src 0
		.amdhsa_exception_fp_ieee_div_zero 0
		.amdhsa_exception_fp_ieee_overflow 0
		.amdhsa_exception_fp_ieee_underflow 0
		.amdhsa_exception_fp_ieee_inexact 0
		.amdhsa_exception_int_div_zero 0
	.end_amdhsa_kernel
	.section	.text._ZN7rocprim17ROCPRIM_400000_NS6detail17trampoline_kernelINS0_14default_configENS1_25partition_config_selectorILNS1_17partition_subalgoE0EyNS0_10empty_typeEbEEZZNS1_14partition_implILS5_0ELb0ES3_jN6thrust23THRUST_200600_302600_NS6detail15normal_iteratorINSA_10device_ptrIyEEEEPS6_SG_NS0_5tupleIJSF_NSA_16discard_iteratorINSA_11use_defaultEEEEEENSH_IJSG_SG_EEES6_PlJ7is_evenIyEEEE10hipError_tPvRmT3_T4_T5_T6_T7_T9_mT8_P12ihipStream_tbDpT10_ENKUlT_T0_E_clISt17integral_constantIbLb0EES19_EEDaS14_S15_EUlS14_E_NS1_11comp_targetILNS1_3genE10ELNS1_11target_archE1200ELNS1_3gpuE4ELNS1_3repE0EEENS1_30default_config_static_selectorELNS0_4arch9wavefront6targetE1EEEvT1_,"axG",@progbits,_ZN7rocprim17ROCPRIM_400000_NS6detail17trampoline_kernelINS0_14default_configENS1_25partition_config_selectorILNS1_17partition_subalgoE0EyNS0_10empty_typeEbEEZZNS1_14partition_implILS5_0ELb0ES3_jN6thrust23THRUST_200600_302600_NS6detail15normal_iteratorINSA_10device_ptrIyEEEEPS6_SG_NS0_5tupleIJSF_NSA_16discard_iteratorINSA_11use_defaultEEEEEENSH_IJSG_SG_EEES6_PlJ7is_evenIyEEEE10hipError_tPvRmT3_T4_T5_T6_T7_T9_mT8_P12ihipStream_tbDpT10_ENKUlT_T0_E_clISt17integral_constantIbLb0EES19_EEDaS14_S15_EUlS14_E_NS1_11comp_targetILNS1_3genE10ELNS1_11target_archE1200ELNS1_3gpuE4ELNS1_3repE0EEENS1_30default_config_static_selectorELNS0_4arch9wavefront6targetE1EEEvT1_,comdat
.Lfunc_end2336:
	.size	_ZN7rocprim17ROCPRIM_400000_NS6detail17trampoline_kernelINS0_14default_configENS1_25partition_config_selectorILNS1_17partition_subalgoE0EyNS0_10empty_typeEbEEZZNS1_14partition_implILS5_0ELb0ES3_jN6thrust23THRUST_200600_302600_NS6detail15normal_iteratorINSA_10device_ptrIyEEEEPS6_SG_NS0_5tupleIJSF_NSA_16discard_iteratorINSA_11use_defaultEEEEEENSH_IJSG_SG_EEES6_PlJ7is_evenIyEEEE10hipError_tPvRmT3_T4_T5_T6_T7_T9_mT8_P12ihipStream_tbDpT10_ENKUlT_T0_E_clISt17integral_constantIbLb0EES19_EEDaS14_S15_EUlS14_E_NS1_11comp_targetILNS1_3genE10ELNS1_11target_archE1200ELNS1_3gpuE4ELNS1_3repE0EEENS1_30default_config_static_selectorELNS0_4arch9wavefront6targetE1EEEvT1_, .Lfunc_end2336-_ZN7rocprim17ROCPRIM_400000_NS6detail17trampoline_kernelINS0_14default_configENS1_25partition_config_selectorILNS1_17partition_subalgoE0EyNS0_10empty_typeEbEEZZNS1_14partition_implILS5_0ELb0ES3_jN6thrust23THRUST_200600_302600_NS6detail15normal_iteratorINSA_10device_ptrIyEEEEPS6_SG_NS0_5tupleIJSF_NSA_16discard_iteratorINSA_11use_defaultEEEEEENSH_IJSG_SG_EEES6_PlJ7is_evenIyEEEE10hipError_tPvRmT3_T4_T5_T6_T7_T9_mT8_P12ihipStream_tbDpT10_ENKUlT_T0_E_clISt17integral_constantIbLb0EES19_EEDaS14_S15_EUlS14_E_NS1_11comp_targetILNS1_3genE10ELNS1_11target_archE1200ELNS1_3gpuE4ELNS1_3repE0EEENS1_30default_config_static_selectorELNS0_4arch9wavefront6targetE1EEEvT1_
                                        ; -- End function
	.section	.AMDGPU.csdata,"",@progbits
; Kernel info:
; codeLenInByte = 0
; NumSgprs: 4
; NumVgprs: 0
; NumAgprs: 0
; TotalNumVgprs: 0
; ScratchSize: 0
; MemoryBound: 0
; FloatMode: 240
; IeeeMode: 1
; LDSByteSize: 0 bytes/workgroup (compile time only)
; SGPRBlocks: 0
; VGPRBlocks: 0
; NumSGPRsForWavesPerEU: 4
; NumVGPRsForWavesPerEU: 1
; AccumOffset: 4
; Occupancy: 8
; WaveLimiterHint : 0
; COMPUTE_PGM_RSRC2:SCRATCH_EN: 0
; COMPUTE_PGM_RSRC2:USER_SGPR: 6
; COMPUTE_PGM_RSRC2:TRAP_HANDLER: 0
; COMPUTE_PGM_RSRC2:TGID_X_EN: 1
; COMPUTE_PGM_RSRC2:TGID_Y_EN: 0
; COMPUTE_PGM_RSRC2:TGID_Z_EN: 0
; COMPUTE_PGM_RSRC2:TIDIG_COMP_CNT: 0
; COMPUTE_PGM_RSRC3_GFX90A:ACCUM_OFFSET: 0
; COMPUTE_PGM_RSRC3_GFX90A:TG_SPLIT: 0
	.section	.text._ZN7rocprim17ROCPRIM_400000_NS6detail17trampoline_kernelINS0_14default_configENS1_25partition_config_selectorILNS1_17partition_subalgoE0EyNS0_10empty_typeEbEEZZNS1_14partition_implILS5_0ELb0ES3_jN6thrust23THRUST_200600_302600_NS6detail15normal_iteratorINSA_10device_ptrIyEEEEPS6_SG_NS0_5tupleIJSF_NSA_16discard_iteratorINSA_11use_defaultEEEEEENSH_IJSG_SG_EEES6_PlJ7is_evenIyEEEE10hipError_tPvRmT3_T4_T5_T6_T7_T9_mT8_P12ihipStream_tbDpT10_ENKUlT_T0_E_clISt17integral_constantIbLb0EES19_EEDaS14_S15_EUlS14_E_NS1_11comp_targetILNS1_3genE9ELNS1_11target_archE1100ELNS1_3gpuE3ELNS1_3repE0EEENS1_30default_config_static_selectorELNS0_4arch9wavefront6targetE1EEEvT1_,"axG",@progbits,_ZN7rocprim17ROCPRIM_400000_NS6detail17trampoline_kernelINS0_14default_configENS1_25partition_config_selectorILNS1_17partition_subalgoE0EyNS0_10empty_typeEbEEZZNS1_14partition_implILS5_0ELb0ES3_jN6thrust23THRUST_200600_302600_NS6detail15normal_iteratorINSA_10device_ptrIyEEEEPS6_SG_NS0_5tupleIJSF_NSA_16discard_iteratorINSA_11use_defaultEEEEEENSH_IJSG_SG_EEES6_PlJ7is_evenIyEEEE10hipError_tPvRmT3_T4_T5_T6_T7_T9_mT8_P12ihipStream_tbDpT10_ENKUlT_T0_E_clISt17integral_constantIbLb0EES19_EEDaS14_S15_EUlS14_E_NS1_11comp_targetILNS1_3genE9ELNS1_11target_archE1100ELNS1_3gpuE3ELNS1_3repE0EEENS1_30default_config_static_selectorELNS0_4arch9wavefront6targetE1EEEvT1_,comdat
	.protected	_ZN7rocprim17ROCPRIM_400000_NS6detail17trampoline_kernelINS0_14default_configENS1_25partition_config_selectorILNS1_17partition_subalgoE0EyNS0_10empty_typeEbEEZZNS1_14partition_implILS5_0ELb0ES3_jN6thrust23THRUST_200600_302600_NS6detail15normal_iteratorINSA_10device_ptrIyEEEEPS6_SG_NS0_5tupleIJSF_NSA_16discard_iteratorINSA_11use_defaultEEEEEENSH_IJSG_SG_EEES6_PlJ7is_evenIyEEEE10hipError_tPvRmT3_T4_T5_T6_T7_T9_mT8_P12ihipStream_tbDpT10_ENKUlT_T0_E_clISt17integral_constantIbLb0EES19_EEDaS14_S15_EUlS14_E_NS1_11comp_targetILNS1_3genE9ELNS1_11target_archE1100ELNS1_3gpuE3ELNS1_3repE0EEENS1_30default_config_static_selectorELNS0_4arch9wavefront6targetE1EEEvT1_ ; -- Begin function _ZN7rocprim17ROCPRIM_400000_NS6detail17trampoline_kernelINS0_14default_configENS1_25partition_config_selectorILNS1_17partition_subalgoE0EyNS0_10empty_typeEbEEZZNS1_14partition_implILS5_0ELb0ES3_jN6thrust23THRUST_200600_302600_NS6detail15normal_iteratorINSA_10device_ptrIyEEEEPS6_SG_NS0_5tupleIJSF_NSA_16discard_iteratorINSA_11use_defaultEEEEEENSH_IJSG_SG_EEES6_PlJ7is_evenIyEEEE10hipError_tPvRmT3_T4_T5_T6_T7_T9_mT8_P12ihipStream_tbDpT10_ENKUlT_T0_E_clISt17integral_constantIbLb0EES19_EEDaS14_S15_EUlS14_E_NS1_11comp_targetILNS1_3genE9ELNS1_11target_archE1100ELNS1_3gpuE3ELNS1_3repE0EEENS1_30default_config_static_selectorELNS0_4arch9wavefront6targetE1EEEvT1_
	.globl	_ZN7rocprim17ROCPRIM_400000_NS6detail17trampoline_kernelINS0_14default_configENS1_25partition_config_selectorILNS1_17partition_subalgoE0EyNS0_10empty_typeEbEEZZNS1_14partition_implILS5_0ELb0ES3_jN6thrust23THRUST_200600_302600_NS6detail15normal_iteratorINSA_10device_ptrIyEEEEPS6_SG_NS0_5tupleIJSF_NSA_16discard_iteratorINSA_11use_defaultEEEEEENSH_IJSG_SG_EEES6_PlJ7is_evenIyEEEE10hipError_tPvRmT3_T4_T5_T6_T7_T9_mT8_P12ihipStream_tbDpT10_ENKUlT_T0_E_clISt17integral_constantIbLb0EES19_EEDaS14_S15_EUlS14_E_NS1_11comp_targetILNS1_3genE9ELNS1_11target_archE1100ELNS1_3gpuE3ELNS1_3repE0EEENS1_30default_config_static_selectorELNS0_4arch9wavefront6targetE1EEEvT1_
	.p2align	8
	.type	_ZN7rocprim17ROCPRIM_400000_NS6detail17trampoline_kernelINS0_14default_configENS1_25partition_config_selectorILNS1_17partition_subalgoE0EyNS0_10empty_typeEbEEZZNS1_14partition_implILS5_0ELb0ES3_jN6thrust23THRUST_200600_302600_NS6detail15normal_iteratorINSA_10device_ptrIyEEEEPS6_SG_NS0_5tupleIJSF_NSA_16discard_iteratorINSA_11use_defaultEEEEEENSH_IJSG_SG_EEES6_PlJ7is_evenIyEEEE10hipError_tPvRmT3_T4_T5_T6_T7_T9_mT8_P12ihipStream_tbDpT10_ENKUlT_T0_E_clISt17integral_constantIbLb0EES19_EEDaS14_S15_EUlS14_E_NS1_11comp_targetILNS1_3genE9ELNS1_11target_archE1100ELNS1_3gpuE3ELNS1_3repE0EEENS1_30default_config_static_selectorELNS0_4arch9wavefront6targetE1EEEvT1_,@function
_ZN7rocprim17ROCPRIM_400000_NS6detail17trampoline_kernelINS0_14default_configENS1_25partition_config_selectorILNS1_17partition_subalgoE0EyNS0_10empty_typeEbEEZZNS1_14partition_implILS5_0ELb0ES3_jN6thrust23THRUST_200600_302600_NS6detail15normal_iteratorINSA_10device_ptrIyEEEEPS6_SG_NS0_5tupleIJSF_NSA_16discard_iteratorINSA_11use_defaultEEEEEENSH_IJSG_SG_EEES6_PlJ7is_evenIyEEEE10hipError_tPvRmT3_T4_T5_T6_T7_T9_mT8_P12ihipStream_tbDpT10_ENKUlT_T0_E_clISt17integral_constantIbLb0EES19_EEDaS14_S15_EUlS14_E_NS1_11comp_targetILNS1_3genE9ELNS1_11target_archE1100ELNS1_3gpuE3ELNS1_3repE0EEENS1_30default_config_static_selectorELNS0_4arch9wavefront6targetE1EEEvT1_: ; @_ZN7rocprim17ROCPRIM_400000_NS6detail17trampoline_kernelINS0_14default_configENS1_25partition_config_selectorILNS1_17partition_subalgoE0EyNS0_10empty_typeEbEEZZNS1_14partition_implILS5_0ELb0ES3_jN6thrust23THRUST_200600_302600_NS6detail15normal_iteratorINSA_10device_ptrIyEEEEPS6_SG_NS0_5tupleIJSF_NSA_16discard_iteratorINSA_11use_defaultEEEEEENSH_IJSG_SG_EEES6_PlJ7is_evenIyEEEE10hipError_tPvRmT3_T4_T5_T6_T7_T9_mT8_P12ihipStream_tbDpT10_ENKUlT_T0_E_clISt17integral_constantIbLb0EES19_EEDaS14_S15_EUlS14_E_NS1_11comp_targetILNS1_3genE9ELNS1_11target_archE1100ELNS1_3gpuE3ELNS1_3repE0EEENS1_30default_config_static_selectorELNS0_4arch9wavefront6targetE1EEEvT1_
; %bb.0:
	.section	.rodata,"a",@progbits
	.p2align	6, 0x0
	.amdhsa_kernel _ZN7rocprim17ROCPRIM_400000_NS6detail17trampoline_kernelINS0_14default_configENS1_25partition_config_selectorILNS1_17partition_subalgoE0EyNS0_10empty_typeEbEEZZNS1_14partition_implILS5_0ELb0ES3_jN6thrust23THRUST_200600_302600_NS6detail15normal_iteratorINSA_10device_ptrIyEEEEPS6_SG_NS0_5tupleIJSF_NSA_16discard_iteratorINSA_11use_defaultEEEEEENSH_IJSG_SG_EEES6_PlJ7is_evenIyEEEE10hipError_tPvRmT3_T4_T5_T6_T7_T9_mT8_P12ihipStream_tbDpT10_ENKUlT_T0_E_clISt17integral_constantIbLb0EES19_EEDaS14_S15_EUlS14_E_NS1_11comp_targetILNS1_3genE9ELNS1_11target_archE1100ELNS1_3gpuE3ELNS1_3repE0EEENS1_30default_config_static_selectorELNS0_4arch9wavefront6targetE1EEEvT1_
		.amdhsa_group_segment_fixed_size 0
		.amdhsa_private_segment_fixed_size 0
		.amdhsa_kernarg_size 128
		.amdhsa_user_sgpr_count 6
		.amdhsa_user_sgpr_private_segment_buffer 1
		.amdhsa_user_sgpr_dispatch_ptr 0
		.amdhsa_user_sgpr_queue_ptr 0
		.amdhsa_user_sgpr_kernarg_segment_ptr 1
		.amdhsa_user_sgpr_dispatch_id 0
		.amdhsa_user_sgpr_flat_scratch_init 0
		.amdhsa_user_sgpr_kernarg_preload_length 0
		.amdhsa_user_sgpr_kernarg_preload_offset 0
		.amdhsa_user_sgpr_private_segment_size 0
		.amdhsa_uses_dynamic_stack 0
		.amdhsa_system_sgpr_private_segment_wavefront_offset 0
		.amdhsa_system_sgpr_workgroup_id_x 1
		.amdhsa_system_sgpr_workgroup_id_y 0
		.amdhsa_system_sgpr_workgroup_id_z 0
		.amdhsa_system_sgpr_workgroup_info 0
		.amdhsa_system_vgpr_workitem_id 0
		.amdhsa_next_free_vgpr 1
		.amdhsa_next_free_sgpr 0
		.amdhsa_accum_offset 4
		.amdhsa_reserve_vcc 0
		.amdhsa_reserve_flat_scratch 0
		.amdhsa_float_round_mode_32 0
		.amdhsa_float_round_mode_16_64 0
		.amdhsa_float_denorm_mode_32 3
		.amdhsa_float_denorm_mode_16_64 3
		.amdhsa_dx10_clamp 1
		.amdhsa_ieee_mode 1
		.amdhsa_fp16_overflow 0
		.amdhsa_tg_split 0
		.amdhsa_exception_fp_ieee_invalid_op 0
		.amdhsa_exception_fp_denorm_src 0
		.amdhsa_exception_fp_ieee_div_zero 0
		.amdhsa_exception_fp_ieee_overflow 0
		.amdhsa_exception_fp_ieee_underflow 0
		.amdhsa_exception_fp_ieee_inexact 0
		.amdhsa_exception_int_div_zero 0
	.end_amdhsa_kernel
	.section	.text._ZN7rocprim17ROCPRIM_400000_NS6detail17trampoline_kernelINS0_14default_configENS1_25partition_config_selectorILNS1_17partition_subalgoE0EyNS0_10empty_typeEbEEZZNS1_14partition_implILS5_0ELb0ES3_jN6thrust23THRUST_200600_302600_NS6detail15normal_iteratorINSA_10device_ptrIyEEEEPS6_SG_NS0_5tupleIJSF_NSA_16discard_iteratorINSA_11use_defaultEEEEEENSH_IJSG_SG_EEES6_PlJ7is_evenIyEEEE10hipError_tPvRmT3_T4_T5_T6_T7_T9_mT8_P12ihipStream_tbDpT10_ENKUlT_T0_E_clISt17integral_constantIbLb0EES19_EEDaS14_S15_EUlS14_E_NS1_11comp_targetILNS1_3genE9ELNS1_11target_archE1100ELNS1_3gpuE3ELNS1_3repE0EEENS1_30default_config_static_selectorELNS0_4arch9wavefront6targetE1EEEvT1_,"axG",@progbits,_ZN7rocprim17ROCPRIM_400000_NS6detail17trampoline_kernelINS0_14default_configENS1_25partition_config_selectorILNS1_17partition_subalgoE0EyNS0_10empty_typeEbEEZZNS1_14partition_implILS5_0ELb0ES3_jN6thrust23THRUST_200600_302600_NS6detail15normal_iteratorINSA_10device_ptrIyEEEEPS6_SG_NS0_5tupleIJSF_NSA_16discard_iteratorINSA_11use_defaultEEEEEENSH_IJSG_SG_EEES6_PlJ7is_evenIyEEEE10hipError_tPvRmT3_T4_T5_T6_T7_T9_mT8_P12ihipStream_tbDpT10_ENKUlT_T0_E_clISt17integral_constantIbLb0EES19_EEDaS14_S15_EUlS14_E_NS1_11comp_targetILNS1_3genE9ELNS1_11target_archE1100ELNS1_3gpuE3ELNS1_3repE0EEENS1_30default_config_static_selectorELNS0_4arch9wavefront6targetE1EEEvT1_,comdat
.Lfunc_end2337:
	.size	_ZN7rocprim17ROCPRIM_400000_NS6detail17trampoline_kernelINS0_14default_configENS1_25partition_config_selectorILNS1_17partition_subalgoE0EyNS0_10empty_typeEbEEZZNS1_14partition_implILS5_0ELb0ES3_jN6thrust23THRUST_200600_302600_NS6detail15normal_iteratorINSA_10device_ptrIyEEEEPS6_SG_NS0_5tupleIJSF_NSA_16discard_iteratorINSA_11use_defaultEEEEEENSH_IJSG_SG_EEES6_PlJ7is_evenIyEEEE10hipError_tPvRmT3_T4_T5_T6_T7_T9_mT8_P12ihipStream_tbDpT10_ENKUlT_T0_E_clISt17integral_constantIbLb0EES19_EEDaS14_S15_EUlS14_E_NS1_11comp_targetILNS1_3genE9ELNS1_11target_archE1100ELNS1_3gpuE3ELNS1_3repE0EEENS1_30default_config_static_selectorELNS0_4arch9wavefront6targetE1EEEvT1_, .Lfunc_end2337-_ZN7rocprim17ROCPRIM_400000_NS6detail17trampoline_kernelINS0_14default_configENS1_25partition_config_selectorILNS1_17partition_subalgoE0EyNS0_10empty_typeEbEEZZNS1_14partition_implILS5_0ELb0ES3_jN6thrust23THRUST_200600_302600_NS6detail15normal_iteratorINSA_10device_ptrIyEEEEPS6_SG_NS0_5tupleIJSF_NSA_16discard_iteratorINSA_11use_defaultEEEEEENSH_IJSG_SG_EEES6_PlJ7is_evenIyEEEE10hipError_tPvRmT3_T4_T5_T6_T7_T9_mT8_P12ihipStream_tbDpT10_ENKUlT_T0_E_clISt17integral_constantIbLb0EES19_EEDaS14_S15_EUlS14_E_NS1_11comp_targetILNS1_3genE9ELNS1_11target_archE1100ELNS1_3gpuE3ELNS1_3repE0EEENS1_30default_config_static_selectorELNS0_4arch9wavefront6targetE1EEEvT1_
                                        ; -- End function
	.section	.AMDGPU.csdata,"",@progbits
; Kernel info:
; codeLenInByte = 0
; NumSgprs: 4
; NumVgprs: 0
; NumAgprs: 0
; TotalNumVgprs: 0
; ScratchSize: 0
; MemoryBound: 0
; FloatMode: 240
; IeeeMode: 1
; LDSByteSize: 0 bytes/workgroup (compile time only)
; SGPRBlocks: 0
; VGPRBlocks: 0
; NumSGPRsForWavesPerEU: 4
; NumVGPRsForWavesPerEU: 1
; AccumOffset: 4
; Occupancy: 8
; WaveLimiterHint : 0
; COMPUTE_PGM_RSRC2:SCRATCH_EN: 0
; COMPUTE_PGM_RSRC2:USER_SGPR: 6
; COMPUTE_PGM_RSRC2:TRAP_HANDLER: 0
; COMPUTE_PGM_RSRC2:TGID_X_EN: 1
; COMPUTE_PGM_RSRC2:TGID_Y_EN: 0
; COMPUTE_PGM_RSRC2:TGID_Z_EN: 0
; COMPUTE_PGM_RSRC2:TIDIG_COMP_CNT: 0
; COMPUTE_PGM_RSRC3_GFX90A:ACCUM_OFFSET: 0
; COMPUTE_PGM_RSRC3_GFX90A:TG_SPLIT: 0
	.section	.text._ZN7rocprim17ROCPRIM_400000_NS6detail17trampoline_kernelINS0_14default_configENS1_25partition_config_selectorILNS1_17partition_subalgoE0EyNS0_10empty_typeEbEEZZNS1_14partition_implILS5_0ELb0ES3_jN6thrust23THRUST_200600_302600_NS6detail15normal_iteratorINSA_10device_ptrIyEEEEPS6_SG_NS0_5tupleIJSF_NSA_16discard_iteratorINSA_11use_defaultEEEEEENSH_IJSG_SG_EEES6_PlJ7is_evenIyEEEE10hipError_tPvRmT3_T4_T5_T6_T7_T9_mT8_P12ihipStream_tbDpT10_ENKUlT_T0_E_clISt17integral_constantIbLb0EES19_EEDaS14_S15_EUlS14_E_NS1_11comp_targetILNS1_3genE8ELNS1_11target_archE1030ELNS1_3gpuE2ELNS1_3repE0EEENS1_30default_config_static_selectorELNS0_4arch9wavefront6targetE1EEEvT1_,"axG",@progbits,_ZN7rocprim17ROCPRIM_400000_NS6detail17trampoline_kernelINS0_14default_configENS1_25partition_config_selectorILNS1_17partition_subalgoE0EyNS0_10empty_typeEbEEZZNS1_14partition_implILS5_0ELb0ES3_jN6thrust23THRUST_200600_302600_NS6detail15normal_iteratorINSA_10device_ptrIyEEEEPS6_SG_NS0_5tupleIJSF_NSA_16discard_iteratorINSA_11use_defaultEEEEEENSH_IJSG_SG_EEES6_PlJ7is_evenIyEEEE10hipError_tPvRmT3_T4_T5_T6_T7_T9_mT8_P12ihipStream_tbDpT10_ENKUlT_T0_E_clISt17integral_constantIbLb0EES19_EEDaS14_S15_EUlS14_E_NS1_11comp_targetILNS1_3genE8ELNS1_11target_archE1030ELNS1_3gpuE2ELNS1_3repE0EEENS1_30default_config_static_selectorELNS0_4arch9wavefront6targetE1EEEvT1_,comdat
	.protected	_ZN7rocprim17ROCPRIM_400000_NS6detail17trampoline_kernelINS0_14default_configENS1_25partition_config_selectorILNS1_17partition_subalgoE0EyNS0_10empty_typeEbEEZZNS1_14partition_implILS5_0ELb0ES3_jN6thrust23THRUST_200600_302600_NS6detail15normal_iteratorINSA_10device_ptrIyEEEEPS6_SG_NS0_5tupleIJSF_NSA_16discard_iteratorINSA_11use_defaultEEEEEENSH_IJSG_SG_EEES6_PlJ7is_evenIyEEEE10hipError_tPvRmT3_T4_T5_T6_T7_T9_mT8_P12ihipStream_tbDpT10_ENKUlT_T0_E_clISt17integral_constantIbLb0EES19_EEDaS14_S15_EUlS14_E_NS1_11comp_targetILNS1_3genE8ELNS1_11target_archE1030ELNS1_3gpuE2ELNS1_3repE0EEENS1_30default_config_static_selectorELNS0_4arch9wavefront6targetE1EEEvT1_ ; -- Begin function _ZN7rocprim17ROCPRIM_400000_NS6detail17trampoline_kernelINS0_14default_configENS1_25partition_config_selectorILNS1_17partition_subalgoE0EyNS0_10empty_typeEbEEZZNS1_14partition_implILS5_0ELb0ES3_jN6thrust23THRUST_200600_302600_NS6detail15normal_iteratorINSA_10device_ptrIyEEEEPS6_SG_NS0_5tupleIJSF_NSA_16discard_iteratorINSA_11use_defaultEEEEEENSH_IJSG_SG_EEES6_PlJ7is_evenIyEEEE10hipError_tPvRmT3_T4_T5_T6_T7_T9_mT8_P12ihipStream_tbDpT10_ENKUlT_T0_E_clISt17integral_constantIbLb0EES19_EEDaS14_S15_EUlS14_E_NS1_11comp_targetILNS1_3genE8ELNS1_11target_archE1030ELNS1_3gpuE2ELNS1_3repE0EEENS1_30default_config_static_selectorELNS0_4arch9wavefront6targetE1EEEvT1_
	.globl	_ZN7rocprim17ROCPRIM_400000_NS6detail17trampoline_kernelINS0_14default_configENS1_25partition_config_selectorILNS1_17partition_subalgoE0EyNS0_10empty_typeEbEEZZNS1_14partition_implILS5_0ELb0ES3_jN6thrust23THRUST_200600_302600_NS6detail15normal_iteratorINSA_10device_ptrIyEEEEPS6_SG_NS0_5tupleIJSF_NSA_16discard_iteratorINSA_11use_defaultEEEEEENSH_IJSG_SG_EEES6_PlJ7is_evenIyEEEE10hipError_tPvRmT3_T4_T5_T6_T7_T9_mT8_P12ihipStream_tbDpT10_ENKUlT_T0_E_clISt17integral_constantIbLb0EES19_EEDaS14_S15_EUlS14_E_NS1_11comp_targetILNS1_3genE8ELNS1_11target_archE1030ELNS1_3gpuE2ELNS1_3repE0EEENS1_30default_config_static_selectorELNS0_4arch9wavefront6targetE1EEEvT1_
	.p2align	8
	.type	_ZN7rocprim17ROCPRIM_400000_NS6detail17trampoline_kernelINS0_14default_configENS1_25partition_config_selectorILNS1_17partition_subalgoE0EyNS0_10empty_typeEbEEZZNS1_14partition_implILS5_0ELb0ES3_jN6thrust23THRUST_200600_302600_NS6detail15normal_iteratorINSA_10device_ptrIyEEEEPS6_SG_NS0_5tupleIJSF_NSA_16discard_iteratorINSA_11use_defaultEEEEEENSH_IJSG_SG_EEES6_PlJ7is_evenIyEEEE10hipError_tPvRmT3_T4_T5_T6_T7_T9_mT8_P12ihipStream_tbDpT10_ENKUlT_T0_E_clISt17integral_constantIbLb0EES19_EEDaS14_S15_EUlS14_E_NS1_11comp_targetILNS1_3genE8ELNS1_11target_archE1030ELNS1_3gpuE2ELNS1_3repE0EEENS1_30default_config_static_selectorELNS0_4arch9wavefront6targetE1EEEvT1_,@function
_ZN7rocprim17ROCPRIM_400000_NS6detail17trampoline_kernelINS0_14default_configENS1_25partition_config_selectorILNS1_17partition_subalgoE0EyNS0_10empty_typeEbEEZZNS1_14partition_implILS5_0ELb0ES3_jN6thrust23THRUST_200600_302600_NS6detail15normal_iteratorINSA_10device_ptrIyEEEEPS6_SG_NS0_5tupleIJSF_NSA_16discard_iteratorINSA_11use_defaultEEEEEENSH_IJSG_SG_EEES6_PlJ7is_evenIyEEEE10hipError_tPvRmT3_T4_T5_T6_T7_T9_mT8_P12ihipStream_tbDpT10_ENKUlT_T0_E_clISt17integral_constantIbLb0EES19_EEDaS14_S15_EUlS14_E_NS1_11comp_targetILNS1_3genE8ELNS1_11target_archE1030ELNS1_3gpuE2ELNS1_3repE0EEENS1_30default_config_static_selectorELNS0_4arch9wavefront6targetE1EEEvT1_: ; @_ZN7rocprim17ROCPRIM_400000_NS6detail17trampoline_kernelINS0_14default_configENS1_25partition_config_selectorILNS1_17partition_subalgoE0EyNS0_10empty_typeEbEEZZNS1_14partition_implILS5_0ELb0ES3_jN6thrust23THRUST_200600_302600_NS6detail15normal_iteratorINSA_10device_ptrIyEEEEPS6_SG_NS0_5tupleIJSF_NSA_16discard_iteratorINSA_11use_defaultEEEEEENSH_IJSG_SG_EEES6_PlJ7is_evenIyEEEE10hipError_tPvRmT3_T4_T5_T6_T7_T9_mT8_P12ihipStream_tbDpT10_ENKUlT_T0_E_clISt17integral_constantIbLb0EES19_EEDaS14_S15_EUlS14_E_NS1_11comp_targetILNS1_3genE8ELNS1_11target_archE1030ELNS1_3gpuE2ELNS1_3repE0EEENS1_30default_config_static_selectorELNS0_4arch9wavefront6targetE1EEEvT1_
; %bb.0:
	.section	.rodata,"a",@progbits
	.p2align	6, 0x0
	.amdhsa_kernel _ZN7rocprim17ROCPRIM_400000_NS6detail17trampoline_kernelINS0_14default_configENS1_25partition_config_selectorILNS1_17partition_subalgoE0EyNS0_10empty_typeEbEEZZNS1_14partition_implILS5_0ELb0ES3_jN6thrust23THRUST_200600_302600_NS6detail15normal_iteratorINSA_10device_ptrIyEEEEPS6_SG_NS0_5tupleIJSF_NSA_16discard_iteratorINSA_11use_defaultEEEEEENSH_IJSG_SG_EEES6_PlJ7is_evenIyEEEE10hipError_tPvRmT3_T4_T5_T6_T7_T9_mT8_P12ihipStream_tbDpT10_ENKUlT_T0_E_clISt17integral_constantIbLb0EES19_EEDaS14_S15_EUlS14_E_NS1_11comp_targetILNS1_3genE8ELNS1_11target_archE1030ELNS1_3gpuE2ELNS1_3repE0EEENS1_30default_config_static_selectorELNS0_4arch9wavefront6targetE1EEEvT1_
		.amdhsa_group_segment_fixed_size 0
		.amdhsa_private_segment_fixed_size 0
		.amdhsa_kernarg_size 128
		.amdhsa_user_sgpr_count 6
		.amdhsa_user_sgpr_private_segment_buffer 1
		.amdhsa_user_sgpr_dispatch_ptr 0
		.amdhsa_user_sgpr_queue_ptr 0
		.amdhsa_user_sgpr_kernarg_segment_ptr 1
		.amdhsa_user_sgpr_dispatch_id 0
		.amdhsa_user_sgpr_flat_scratch_init 0
		.amdhsa_user_sgpr_kernarg_preload_length 0
		.amdhsa_user_sgpr_kernarg_preload_offset 0
		.amdhsa_user_sgpr_private_segment_size 0
		.amdhsa_uses_dynamic_stack 0
		.amdhsa_system_sgpr_private_segment_wavefront_offset 0
		.amdhsa_system_sgpr_workgroup_id_x 1
		.amdhsa_system_sgpr_workgroup_id_y 0
		.amdhsa_system_sgpr_workgroup_id_z 0
		.amdhsa_system_sgpr_workgroup_info 0
		.amdhsa_system_vgpr_workitem_id 0
		.amdhsa_next_free_vgpr 1
		.amdhsa_next_free_sgpr 0
		.amdhsa_accum_offset 4
		.amdhsa_reserve_vcc 0
		.amdhsa_reserve_flat_scratch 0
		.amdhsa_float_round_mode_32 0
		.amdhsa_float_round_mode_16_64 0
		.amdhsa_float_denorm_mode_32 3
		.amdhsa_float_denorm_mode_16_64 3
		.amdhsa_dx10_clamp 1
		.amdhsa_ieee_mode 1
		.amdhsa_fp16_overflow 0
		.amdhsa_tg_split 0
		.amdhsa_exception_fp_ieee_invalid_op 0
		.amdhsa_exception_fp_denorm_src 0
		.amdhsa_exception_fp_ieee_div_zero 0
		.amdhsa_exception_fp_ieee_overflow 0
		.amdhsa_exception_fp_ieee_underflow 0
		.amdhsa_exception_fp_ieee_inexact 0
		.amdhsa_exception_int_div_zero 0
	.end_amdhsa_kernel
	.section	.text._ZN7rocprim17ROCPRIM_400000_NS6detail17trampoline_kernelINS0_14default_configENS1_25partition_config_selectorILNS1_17partition_subalgoE0EyNS0_10empty_typeEbEEZZNS1_14partition_implILS5_0ELb0ES3_jN6thrust23THRUST_200600_302600_NS6detail15normal_iteratorINSA_10device_ptrIyEEEEPS6_SG_NS0_5tupleIJSF_NSA_16discard_iteratorINSA_11use_defaultEEEEEENSH_IJSG_SG_EEES6_PlJ7is_evenIyEEEE10hipError_tPvRmT3_T4_T5_T6_T7_T9_mT8_P12ihipStream_tbDpT10_ENKUlT_T0_E_clISt17integral_constantIbLb0EES19_EEDaS14_S15_EUlS14_E_NS1_11comp_targetILNS1_3genE8ELNS1_11target_archE1030ELNS1_3gpuE2ELNS1_3repE0EEENS1_30default_config_static_selectorELNS0_4arch9wavefront6targetE1EEEvT1_,"axG",@progbits,_ZN7rocprim17ROCPRIM_400000_NS6detail17trampoline_kernelINS0_14default_configENS1_25partition_config_selectorILNS1_17partition_subalgoE0EyNS0_10empty_typeEbEEZZNS1_14partition_implILS5_0ELb0ES3_jN6thrust23THRUST_200600_302600_NS6detail15normal_iteratorINSA_10device_ptrIyEEEEPS6_SG_NS0_5tupleIJSF_NSA_16discard_iteratorINSA_11use_defaultEEEEEENSH_IJSG_SG_EEES6_PlJ7is_evenIyEEEE10hipError_tPvRmT3_T4_T5_T6_T7_T9_mT8_P12ihipStream_tbDpT10_ENKUlT_T0_E_clISt17integral_constantIbLb0EES19_EEDaS14_S15_EUlS14_E_NS1_11comp_targetILNS1_3genE8ELNS1_11target_archE1030ELNS1_3gpuE2ELNS1_3repE0EEENS1_30default_config_static_selectorELNS0_4arch9wavefront6targetE1EEEvT1_,comdat
.Lfunc_end2338:
	.size	_ZN7rocprim17ROCPRIM_400000_NS6detail17trampoline_kernelINS0_14default_configENS1_25partition_config_selectorILNS1_17partition_subalgoE0EyNS0_10empty_typeEbEEZZNS1_14partition_implILS5_0ELb0ES3_jN6thrust23THRUST_200600_302600_NS6detail15normal_iteratorINSA_10device_ptrIyEEEEPS6_SG_NS0_5tupleIJSF_NSA_16discard_iteratorINSA_11use_defaultEEEEEENSH_IJSG_SG_EEES6_PlJ7is_evenIyEEEE10hipError_tPvRmT3_T4_T5_T6_T7_T9_mT8_P12ihipStream_tbDpT10_ENKUlT_T0_E_clISt17integral_constantIbLb0EES19_EEDaS14_S15_EUlS14_E_NS1_11comp_targetILNS1_3genE8ELNS1_11target_archE1030ELNS1_3gpuE2ELNS1_3repE0EEENS1_30default_config_static_selectorELNS0_4arch9wavefront6targetE1EEEvT1_, .Lfunc_end2338-_ZN7rocprim17ROCPRIM_400000_NS6detail17trampoline_kernelINS0_14default_configENS1_25partition_config_selectorILNS1_17partition_subalgoE0EyNS0_10empty_typeEbEEZZNS1_14partition_implILS5_0ELb0ES3_jN6thrust23THRUST_200600_302600_NS6detail15normal_iteratorINSA_10device_ptrIyEEEEPS6_SG_NS0_5tupleIJSF_NSA_16discard_iteratorINSA_11use_defaultEEEEEENSH_IJSG_SG_EEES6_PlJ7is_evenIyEEEE10hipError_tPvRmT3_T4_T5_T6_T7_T9_mT8_P12ihipStream_tbDpT10_ENKUlT_T0_E_clISt17integral_constantIbLb0EES19_EEDaS14_S15_EUlS14_E_NS1_11comp_targetILNS1_3genE8ELNS1_11target_archE1030ELNS1_3gpuE2ELNS1_3repE0EEENS1_30default_config_static_selectorELNS0_4arch9wavefront6targetE1EEEvT1_
                                        ; -- End function
	.section	.AMDGPU.csdata,"",@progbits
; Kernel info:
; codeLenInByte = 0
; NumSgprs: 4
; NumVgprs: 0
; NumAgprs: 0
; TotalNumVgprs: 0
; ScratchSize: 0
; MemoryBound: 0
; FloatMode: 240
; IeeeMode: 1
; LDSByteSize: 0 bytes/workgroup (compile time only)
; SGPRBlocks: 0
; VGPRBlocks: 0
; NumSGPRsForWavesPerEU: 4
; NumVGPRsForWavesPerEU: 1
; AccumOffset: 4
; Occupancy: 8
; WaveLimiterHint : 0
; COMPUTE_PGM_RSRC2:SCRATCH_EN: 0
; COMPUTE_PGM_RSRC2:USER_SGPR: 6
; COMPUTE_PGM_RSRC2:TRAP_HANDLER: 0
; COMPUTE_PGM_RSRC2:TGID_X_EN: 1
; COMPUTE_PGM_RSRC2:TGID_Y_EN: 0
; COMPUTE_PGM_RSRC2:TGID_Z_EN: 0
; COMPUTE_PGM_RSRC2:TIDIG_COMP_CNT: 0
; COMPUTE_PGM_RSRC3_GFX90A:ACCUM_OFFSET: 0
; COMPUTE_PGM_RSRC3_GFX90A:TG_SPLIT: 0
	.section	.text._ZN7rocprim17ROCPRIM_400000_NS6detail17trampoline_kernelINS0_14default_configENS1_25partition_config_selectorILNS1_17partition_subalgoE0EyNS0_10empty_typeEbEEZZNS1_14partition_implILS5_0ELb0ES3_jN6thrust23THRUST_200600_302600_NS6detail15normal_iteratorINSA_10device_ptrIyEEEEPS6_SG_NS0_5tupleIJSF_NSA_16discard_iteratorINSA_11use_defaultEEEEEENSH_IJSG_SG_EEES6_PlJ7is_evenIyEEEE10hipError_tPvRmT3_T4_T5_T6_T7_T9_mT8_P12ihipStream_tbDpT10_ENKUlT_T0_E_clISt17integral_constantIbLb1EES19_EEDaS14_S15_EUlS14_E_NS1_11comp_targetILNS1_3genE0ELNS1_11target_archE4294967295ELNS1_3gpuE0ELNS1_3repE0EEENS1_30default_config_static_selectorELNS0_4arch9wavefront6targetE1EEEvT1_,"axG",@progbits,_ZN7rocprim17ROCPRIM_400000_NS6detail17trampoline_kernelINS0_14default_configENS1_25partition_config_selectorILNS1_17partition_subalgoE0EyNS0_10empty_typeEbEEZZNS1_14partition_implILS5_0ELb0ES3_jN6thrust23THRUST_200600_302600_NS6detail15normal_iteratorINSA_10device_ptrIyEEEEPS6_SG_NS0_5tupleIJSF_NSA_16discard_iteratorINSA_11use_defaultEEEEEENSH_IJSG_SG_EEES6_PlJ7is_evenIyEEEE10hipError_tPvRmT3_T4_T5_T6_T7_T9_mT8_P12ihipStream_tbDpT10_ENKUlT_T0_E_clISt17integral_constantIbLb1EES19_EEDaS14_S15_EUlS14_E_NS1_11comp_targetILNS1_3genE0ELNS1_11target_archE4294967295ELNS1_3gpuE0ELNS1_3repE0EEENS1_30default_config_static_selectorELNS0_4arch9wavefront6targetE1EEEvT1_,comdat
	.protected	_ZN7rocprim17ROCPRIM_400000_NS6detail17trampoline_kernelINS0_14default_configENS1_25partition_config_selectorILNS1_17partition_subalgoE0EyNS0_10empty_typeEbEEZZNS1_14partition_implILS5_0ELb0ES3_jN6thrust23THRUST_200600_302600_NS6detail15normal_iteratorINSA_10device_ptrIyEEEEPS6_SG_NS0_5tupleIJSF_NSA_16discard_iteratorINSA_11use_defaultEEEEEENSH_IJSG_SG_EEES6_PlJ7is_evenIyEEEE10hipError_tPvRmT3_T4_T5_T6_T7_T9_mT8_P12ihipStream_tbDpT10_ENKUlT_T0_E_clISt17integral_constantIbLb1EES19_EEDaS14_S15_EUlS14_E_NS1_11comp_targetILNS1_3genE0ELNS1_11target_archE4294967295ELNS1_3gpuE0ELNS1_3repE0EEENS1_30default_config_static_selectorELNS0_4arch9wavefront6targetE1EEEvT1_ ; -- Begin function _ZN7rocprim17ROCPRIM_400000_NS6detail17trampoline_kernelINS0_14default_configENS1_25partition_config_selectorILNS1_17partition_subalgoE0EyNS0_10empty_typeEbEEZZNS1_14partition_implILS5_0ELb0ES3_jN6thrust23THRUST_200600_302600_NS6detail15normal_iteratorINSA_10device_ptrIyEEEEPS6_SG_NS0_5tupleIJSF_NSA_16discard_iteratorINSA_11use_defaultEEEEEENSH_IJSG_SG_EEES6_PlJ7is_evenIyEEEE10hipError_tPvRmT3_T4_T5_T6_T7_T9_mT8_P12ihipStream_tbDpT10_ENKUlT_T0_E_clISt17integral_constantIbLb1EES19_EEDaS14_S15_EUlS14_E_NS1_11comp_targetILNS1_3genE0ELNS1_11target_archE4294967295ELNS1_3gpuE0ELNS1_3repE0EEENS1_30default_config_static_selectorELNS0_4arch9wavefront6targetE1EEEvT1_
	.globl	_ZN7rocprim17ROCPRIM_400000_NS6detail17trampoline_kernelINS0_14default_configENS1_25partition_config_selectorILNS1_17partition_subalgoE0EyNS0_10empty_typeEbEEZZNS1_14partition_implILS5_0ELb0ES3_jN6thrust23THRUST_200600_302600_NS6detail15normal_iteratorINSA_10device_ptrIyEEEEPS6_SG_NS0_5tupleIJSF_NSA_16discard_iteratorINSA_11use_defaultEEEEEENSH_IJSG_SG_EEES6_PlJ7is_evenIyEEEE10hipError_tPvRmT3_T4_T5_T6_T7_T9_mT8_P12ihipStream_tbDpT10_ENKUlT_T0_E_clISt17integral_constantIbLb1EES19_EEDaS14_S15_EUlS14_E_NS1_11comp_targetILNS1_3genE0ELNS1_11target_archE4294967295ELNS1_3gpuE0ELNS1_3repE0EEENS1_30default_config_static_selectorELNS0_4arch9wavefront6targetE1EEEvT1_
	.p2align	8
	.type	_ZN7rocprim17ROCPRIM_400000_NS6detail17trampoline_kernelINS0_14default_configENS1_25partition_config_selectorILNS1_17partition_subalgoE0EyNS0_10empty_typeEbEEZZNS1_14partition_implILS5_0ELb0ES3_jN6thrust23THRUST_200600_302600_NS6detail15normal_iteratorINSA_10device_ptrIyEEEEPS6_SG_NS0_5tupleIJSF_NSA_16discard_iteratorINSA_11use_defaultEEEEEENSH_IJSG_SG_EEES6_PlJ7is_evenIyEEEE10hipError_tPvRmT3_T4_T5_T6_T7_T9_mT8_P12ihipStream_tbDpT10_ENKUlT_T0_E_clISt17integral_constantIbLb1EES19_EEDaS14_S15_EUlS14_E_NS1_11comp_targetILNS1_3genE0ELNS1_11target_archE4294967295ELNS1_3gpuE0ELNS1_3repE0EEENS1_30default_config_static_selectorELNS0_4arch9wavefront6targetE1EEEvT1_,@function
_ZN7rocprim17ROCPRIM_400000_NS6detail17trampoline_kernelINS0_14default_configENS1_25partition_config_selectorILNS1_17partition_subalgoE0EyNS0_10empty_typeEbEEZZNS1_14partition_implILS5_0ELb0ES3_jN6thrust23THRUST_200600_302600_NS6detail15normal_iteratorINSA_10device_ptrIyEEEEPS6_SG_NS0_5tupleIJSF_NSA_16discard_iteratorINSA_11use_defaultEEEEEENSH_IJSG_SG_EEES6_PlJ7is_evenIyEEEE10hipError_tPvRmT3_T4_T5_T6_T7_T9_mT8_P12ihipStream_tbDpT10_ENKUlT_T0_E_clISt17integral_constantIbLb1EES19_EEDaS14_S15_EUlS14_E_NS1_11comp_targetILNS1_3genE0ELNS1_11target_archE4294967295ELNS1_3gpuE0ELNS1_3repE0EEENS1_30default_config_static_selectorELNS0_4arch9wavefront6targetE1EEEvT1_: ; @_ZN7rocprim17ROCPRIM_400000_NS6detail17trampoline_kernelINS0_14default_configENS1_25partition_config_selectorILNS1_17partition_subalgoE0EyNS0_10empty_typeEbEEZZNS1_14partition_implILS5_0ELb0ES3_jN6thrust23THRUST_200600_302600_NS6detail15normal_iteratorINSA_10device_ptrIyEEEEPS6_SG_NS0_5tupleIJSF_NSA_16discard_iteratorINSA_11use_defaultEEEEEENSH_IJSG_SG_EEES6_PlJ7is_evenIyEEEE10hipError_tPvRmT3_T4_T5_T6_T7_T9_mT8_P12ihipStream_tbDpT10_ENKUlT_T0_E_clISt17integral_constantIbLb1EES19_EEDaS14_S15_EUlS14_E_NS1_11comp_targetILNS1_3genE0ELNS1_11target_archE4294967295ELNS1_3gpuE0ELNS1_3repE0EEENS1_30default_config_static_selectorELNS0_4arch9wavefront6targetE1EEEvT1_
; %bb.0:
	.section	.rodata,"a",@progbits
	.p2align	6, 0x0
	.amdhsa_kernel _ZN7rocprim17ROCPRIM_400000_NS6detail17trampoline_kernelINS0_14default_configENS1_25partition_config_selectorILNS1_17partition_subalgoE0EyNS0_10empty_typeEbEEZZNS1_14partition_implILS5_0ELb0ES3_jN6thrust23THRUST_200600_302600_NS6detail15normal_iteratorINSA_10device_ptrIyEEEEPS6_SG_NS0_5tupleIJSF_NSA_16discard_iteratorINSA_11use_defaultEEEEEENSH_IJSG_SG_EEES6_PlJ7is_evenIyEEEE10hipError_tPvRmT3_T4_T5_T6_T7_T9_mT8_P12ihipStream_tbDpT10_ENKUlT_T0_E_clISt17integral_constantIbLb1EES19_EEDaS14_S15_EUlS14_E_NS1_11comp_targetILNS1_3genE0ELNS1_11target_archE4294967295ELNS1_3gpuE0ELNS1_3repE0EEENS1_30default_config_static_selectorELNS0_4arch9wavefront6targetE1EEEvT1_
		.amdhsa_group_segment_fixed_size 0
		.amdhsa_private_segment_fixed_size 0
		.amdhsa_kernarg_size 144
		.amdhsa_user_sgpr_count 6
		.amdhsa_user_sgpr_private_segment_buffer 1
		.amdhsa_user_sgpr_dispatch_ptr 0
		.amdhsa_user_sgpr_queue_ptr 0
		.amdhsa_user_sgpr_kernarg_segment_ptr 1
		.amdhsa_user_sgpr_dispatch_id 0
		.amdhsa_user_sgpr_flat_scratch_init 0
		.amdhsa_user_sgpr_kernarg_preload_length 0
		.amdhsa_user_sgpr_kernarg_preload_offset 0
		.amdhsa_user_sgpr_private_segment_size 0
		.amdhsa_uses_dynamic_stack 0
		.amdhsa_system_sgpr_private_segment_wavefront_offset 0
		.amdhsa_system_sgpr_workgroup_id_x 1
		.amdhsa_system_sgpr_workgroup_id_y 0
		.amdhsa_system_sgpr_workgroup_id_z 0
		.amdhsa_system_sgpr_workgroup_info 0
		.amdhsa_system_vgpr_workitem_id 0
		.amdhsa_next_free_vgpr 1
		.amdhsa_next_free_sgpr 0
		.amdhsa_accum_offset 4
		.amdhsa_reserve_vcc 0
		.amdhsa_reserve_flat_scratch 0
		.amdhsa_float_round_mode_32 0
		.amdhsa_float_round_mode_16_64 0
		.amdhsa_float_denorm_mode_32 3
		.amdhsa_float_denorm_mode_16_64 3
		.amdhsa_dx10_clamp 1
		.amdhsa_ieee_mode 1
		.amdhsa_fp16_overflow 0
		.amdhsa_tg_split 0
		.amdhsa_exception_fp_ieee_invalid_op 0
		.amdhsa_exception_fp_denorm_src 0
		.amdhsa_exception_fp_ieee_div_zero 0
		.amdhsa_exception_fp_ieee_overflow 0
		.amdhsa_exception_fp_ieee_underflow 0
		.amdhsa_exception_fp_ieee_inexact 0
		.amdhsa_exception_int_div_zero 0
	.end_amdhsa_kernel
	.section	.text._ZN7rocprim17ROCPRIM_400000_NS6detail17trampoline_kernelINS0_14default_configENS1_25partition_config_selectorILNS1_17partition_subalgoE0EyNS0_10empty_typeEbEEZZNS1_14partition_implILS5_0ELb0ES3_jN6thrust23THRUST_200600_302600_NS6detail15normal_iteratorINSA_10device_ptrIyEEEEPS6_SG_NS0_5tupleIJSF_NSA_16discard_iteratorINSA_11use_defaultEEEEEENSH_IJSG_SG_EEES6_PlJ7is_evenIyEEEE10hipError_tPvRmT3_T4_T5_T6_T7_T9_mT8_P12ihipStream_tbDpT10_ENKUlT_T0_E_clISt17integral_constantIbLb1EES19_EEDaS14_S15_EUlS14_E_NS1_11comp_targetILNS1_3genE0ELNS1_11target_archE4294967295ELNS1_3gpuE0ELNS1_3repE0EEENS1_30default_config_static_selectorELNS0_4arch9wavefront6targetE1EEEvT1_,"axG",@progbits,_ZN7rocprim17ROCPRIM_400000_NS6detail17trampoline_kernelINS0_14default_configENS1_25partition_config_selectorILNS1_17partition_subalgoE0EyNS0_10empty_typeEbEEZZNS1_14partition_implILS5_0ELb0ES3_jN6thrust23THRUST_200600_302600_NS6detail15normal_iteratorINSA_10device_ptrIyEEEEPS6_SG_NS0_5tupleIJSF_NSA_16discard_iteratorINSA_11use_defaultEEEEEENSH_IJSG_SG_EEES6_PlJ7is_evenIyEEEE10hipError_tPvRmT3_T4_T5_T6_T7_T9_mT8_P12ihipStream_tbDpT10_ENKUlT_T0_E_clISt17integral_constantIbLb1EES19_EEDaS14_S15_EUlS14_E_NS1_11comp_targetILNS1_3genE0ELNS1_11target_archE4294967295ELNS1_3gpuE0ELNS1_3repE0EEENS1_30default_config_static_selectorELNS0_4arch9wavefront6targetE1EEEvT1_,comdat
.Lfunc_end2339:
	.size	_ZN7rocprim17ROCPRIM_400000_NS6detail17trampoline_kernelINS0_14default_configENS1_25partition_config_selectorILNS1_17partition_subalgoE0EyNS0_10empty_typeEbEEZZNS1_14partition_implILS5_0ELb0ES3_jN6thrust23THRUST_200600_302600_NS6detail15normal_iteratorINSA_10device_ptrIyEEEEPS6_SG_NS0_5tupleIJSF_NSA_16discard_iteratorINSA_11use_defaultEEEEEENSH_IJSG_SG_EEES6_PlJ7is_evenIyEEEE10hipError_tPvRmT3_T4_T5_T6_T7_T9_mT8_P12ihipStream_tbDpT10_ENKUlT_T0_E_clISt17integral_constantIbLb1EES19_EEDaS14_S15_EUlS14_E_NS1_11comp_targetILNS1_3genE0ELNS1_11target_archE4294967295ELNS1_3gpuE0ELNS1_3repE0EEENS1_30default_config_static_selectorELNS0_4arch9wavefront6targetE1EEEvT1_, .Lfunc_end2339-_ZN7rocprim17ROCPRIM_400000_NS6detail17trampoline_kernelINS0_14default_configENS1_25partition_config_selectorILNS1_17partition_subalgoE0EyNS0_10empty_typeEbEEZZNS1_14partition_implILS5_0ELb0ES3_jN6thrust23THRUST_200600_302600_NS6detail15normal_iteratorINSA_10device_ptrIyEEEEPS6_SG_NS0_5tupleIJSF_NSA_16discard_iteratorINSA_11use_defaultEEEEEENSH_IJSG_SG_EEES6_PlJ7is_evenIyEEEE10hipError_tPvRmT3_T4_T5_T6_T7_T9_mT8_P12ihipStream_tbDpT10_ENKUlT_T0_E_clISt17integral_constantIbLb1EES19_EEDaS14_S15_EUlS14_E_NS1_11comp_targetILNS1_3genE0ELNS1_11target_archE4294967295ELNS1_3gpuE0ELNS1_3repE0EEENS1_30default_config_static_selectorELNS0_4arch9wavefront6targetE1EEEvT1_
                                        ; -- End function
	.section	.AMDGPU.csdata,"",@progbits
; Kernel info:
; codeLenInByte = 0
; NumSgprs: 4
; NumVgprs: 0
; NumAgprs: 0
; TotalNumVgprs: 0
; ScratchSize: 0
; MemoryBound: 0
; FloatMode: 240
; IeeeMode: 1
; LDSByteSize: 0 bytes/workgroup (compile time only)
; SGPRBlocks: 0
; VGPRBlocks: 0
; NumSGPRsForWavesPerEU: 4
; NumVGPRsForWavesPerEU: 1
; AccumOffset: 4
; Occupancy: 8
; WaveLimiterHint : 0
; COMPUTE_PGM_RSRC2:SCRATCH_EN: 0
; COMPUTE_PGM_RSRC2:USER_SGPR: 6
; COMPUTE_PGM_RSRC2:TRAP_HANDLER: 0
; COMPUTE_PGM_RSRC2:TGID_X_EN: 1
; COMPUTE_PGM_RSRC2:TGID_Y_EN: 0
; COMPUTE_PGM_RSRC2:TGID_Z_EN: 0
; COMPUTE_PGM_RSRC2:TIDIG_COMP_CNT: 0
; COMPUTE_PGM_RSRC3_GFX90A:ACCUM_OFFSET: 0
; COMPUTE_PGM_RSRC3_GFX90A:TG_SPLIT: 0
	.section	.text._ZN7rocprim17ROCPRIM_400000_NS6detail17trampoline_kernelINS0_14default_configENS1_25partition_config_selectorILNS1_17partition_subalgoE0EyNS0_10empty_typeEbEEZZNS1_14partition_implILS5_0ELb0ES3_jN6thrust23THRUST_200600_302600_NS6detail15normal_iteratorINSA_10device_ptrIyEEEEPS6_SG_NS0_5tupleIJSF_NSA_16discard_iteratorINSA_11use_defaultEEEEEENSH_IJSG_SG_EEES6_PlJ7is_evenIyEEEE10hipError_tPvRmT3_T4_T5_T6_T7_T9_mT8_P12ihipStream_tbDpT10_ENKUlT_T0_E_clISt17integral_constantIbLb1EES19_EEDaS14_S15_EUlS14_E_NS1_11comp_targetILNS1_3genE5ELNS1_11target_archE942ELNS1_3gpuE9ELNS1_3repE0EEENS1_30default_config_static_selectorELNS0_4arch9wavefront6targetE1EEEvT1_,"axG",@progbits,_ZN7rocprim17ROCPRIM_400000_NS6detail17trampoline_kernelINS0_14default_configENS1_25partition_config_selectorILNS1_17partition_subalgoE0EyNS0_10empty_typeEbEEZZNS1_14partition_implILS5_0ELb0ES3_jN6thrust23THRUST_200600_302600_NS6detail15normal_iteratorINSA_10device_ptrIyEEEEPS6_SG_NS0_5tupleIJSF_NSA_16discard_iteratorINSA_11use_defaultEEEEEENSH_IJSG_SG_EEES6_PlJ7is_evenIyEEEE10hipError_tPvRmT3_T4_T5_T6_T7_T9_mT8_P12ihipStream_tbDpT10_ENKUlT_T0_E_clISt17integral_constantIbLb1EES19_EEDaS14_S15_EUlS14_E_NS1_11comp_targetILNS1_3genE5ELNS1_11target_archE942ELNS1_3gpuE9ELNS1_3repE0EEENS1_30default_config_static_selectorELNS0_4arch9wavefront6targetE1EEEvT1_,comdat
	.protected	_ZN7rocprim17ROCPRIM_400000_NS6detail17trampoline_kernelINS0_14default_configENS1_25partition_config_selectorILNS1_17partition_subalgoE0EyNS0_10empty_typeEbEEZZNS1_14partition_implILS5_0ELb0ES3_jN6thrust23THRUST_200600_302600_NS6detail15normal_iteratorINSA_10device_ptrIyEEEEPS6_SG_NS0_5tupleIJSF_NSA_16discard_iteratorINSA_11use_defaultEEEEEENSH_IJSG_SG_EEES6_PlJ7is_evenIyEEEE10hipError_tPvRmT3_T4_T5_T6_T7_T9_mT8_P12ihipStream_tbDpT10_ENKUlT_T0_E_clISt17integral_constantIbLb1EES19_EEDaS14_S15_EUlS14_E_NS1_11comp_targetILNS1_3genE5ELNS1_11target_archE942ELNS1_3gpuE9ELNS1_3repE0EEENS1_30default_config_static_selectorELNS0_4arch9wavefront6targetE1EEEvT1_ ; -- Begin function _ZN7rocprim17ROCPRIM_400000_NS6detail17trampoline_kernelINS0_14default_configENS1_25partition_config_selectorILNS1_17partition_subalgoE0EyNS0_10empty_typeEbEEZZNS1_14partition_implILS5_0ELb0ES3_jN6thrust23THRUST_200600_302600_NS6detail15normal_iteratorINSA_10device_ptrIyEEEEPS6_SG_NS0_5tupleIJSF_NSA_16discard_iteratorINSA_11use_defaultEEEEEENSH_IJSG_SG_EEES6_PlJ7is_evenIyEEEE10hipError_tPvRmT3_T4_T5_T6_T7_T9_mT8_P12ihipStream_tbDpT10_ENKUlT_T0_E_clISt17integral_constantIbLb1EES19_EEDaS14_S15_EUlS14_E_NS1_11comp_targetILNS1_3genE5ELNS1_11target_archE942ELNS1_3gpuE9ELNS1_3repE0EEENS1_30default_config_static_selectorELNS0_4arch9wavefront6targetE1EEEvT1_
	.globl	_ZN7rocprim17ROCPRIM_400000_NS6detail17trampoline_kernelINS0_14default_configENS1_25partition_config_selectorILNS1_17partition_subalgoE0EyNS0_10empty_typeEbEEZZNS1_14partition_implILS5_0ELb0ES3_jN6thrust23THRUST_200600_302600_NS6detail15normal_iteratorINSA_10device_ptrIyEEEEPS6_SG_NS0_5tupleIJSF_NSA_16discard_iteratorINSA_11use_defaultEEEEEENSH_IJSG_SG_EEES6_PlJ7is_evenIyEEEE10hipError_tPvRmT3_T4_T5_T6_T7_T9_mT8_P12ihipStream_tbDpT10_ENKUlT_T0_E_clISt17integral_constantIbLb1EES19_EEDaS14_S15_EUlS14_E_NS1_11comp_targetILNS1_3genE5ELNS1_11target_archE942ELNS1_3gpuE9ELNS1_3repE0EEENS1_30default_config_static_selectorELNS0_4arch9wavefront6targetE1EEEvT1_
	.p2align	8
	.type	_ZN7rocprim17ROCPRIM_400000_NS6detail17trampoline_kernelINS0_14default_configENS1_25partition_config_selectorILNS1_17partition_subalgoE0EyNS0_10empty_typeEbEEZZNS1_14partition_implILS5_0ELb0ES3_jN6thrust23THRUST_200600_302600_NS6detail15normal_iteratorINSA_10device_ptrIyEEEEPS6_SG_NS0_5tupleIJSF_NSA_16discard_iteratorINSA_11use_defaultEEEEEENSH_IJSG_SG_EEES6_PlJ7is_evenIyEEEE10hipError_tPvRmT3_T4_T5_T6_T7_T9_mT8_P12ihipStream_tbDpT10_ENKUlT_T0_E_clISt17integral_constantIbLb1EES19_EEDaS14_S15_EUlS14_E_NS1_11comp_targetILNS1_3genE5ELNS1_11target_archE942ELNS1_3gpuE9ELNS1_3repE0EEENS1_30default_config_static_selectorELNS0_4arch9wavefront6targetE1EEEvT1_,@function
_ZN7rocprim17ROCPRIM_400000_NS6detail17trampoline_kernelINS0_14default_configENS1_25partition_config_selectorILNS1_17partition_subalgoE0EyNS0_10empty_typeEbEEZZNS1_14partition_implILS5_0ELb0ES3_jN6thrust23THRUST_200600_302600_NS6detail15normal_iteratorINSA_10device_ptrIyEEEEPS6_SG_NS0_5tupleIJSF_NSA_16discard_iteratorINSA_11use_defaultEEEEEENSH_IJSG_SG_EEES6_PlJ7is_evenIyEEEE10hipError_tPvRmT3_T4_T5_T6_T7_T9_mT8_P12ihipStream_tbDpT10_ENKUlT_T0_E_clISt17integral_constantIbLb1EES19_EEDaS14_S15_EUlS14_E_NS1_11comp_targetILNS1_3genE5ELNS1_11target_archE942ELNS1_3gpuE9ELNS1_3repE0EEENS1_30default_config_static_selectorELNS0_4arch9wavefront6targetE1EEEvT1_: ; @_ZN7rocprim17ROCPRIM_400000_NS6detail17trampoline_kernelINS0_14default_configENS1_25partition_config_selectorILNS1_17partition_subalgoE0EyNS0_10empty_typeEbEEZZNS1_14partition_implILS5_0ELb0ES3_jN6thrust23THRUST_200600_302600_NS6detail15normal_iteratorINSA_10device_ptrIyEEEEPS6_SG_NS0_5tupleIJSF_NSA_16discard_iteratorINSA_11use_defaultEEEEEENSH_IJSG_SG_EEES6_PlJ7is_evenIyEEEE10hipError_tPvRmT3_T4_T5_T6_T7_T9_mT8_P12ihipStream_tbDpT10_ENKUlT_T0_E_clISt17integral_constantIbLb1EES19_EEDaS14_S15_EUlS14_E_NS1_11comp_targetILNS1_3genE5ELNS1_11target_archE942ELNS1_3gpuE9ELNS1_3repE0EEENS1_30default_config_static_selectorELNS0_4arch9wavefront6targetE1EEEvT1_
; %bb.0:
	.section	.rodata,"a",@progbits
	.p2align	6, 0x0
	.amdhsa_kernel _ZN7rocprim17ROCPRIM_400000_NS6detail17trampoline_kernelINS0_14default_configENS1_25partition_config_selectorILNS1_17partition_subalgoE0EyNS0_10empty_typeEbEEZZNS1_14partition_implILS5_0ELb0ES3_jN6thrust23THRUST_200600_302600_NS6detail15normal_iteratorINSA_10device_ptrIyEEEEPS6_SG_NS0_5tupleIJSF_NSA_16discard_iteratorINSA_11use_defaultEEEEEENSH_IJSG_SG_EEES6_PlJ7is_evenIyEEEE10hipError_tPvRmT3_T4_T5_T6_T7_T9_mT8_P12ihipStream_tbDpT10_ENKUlT_T0_E_clISt17integral_constantIbLb1EES19_EEDaS14_S15_EUlS14_E_NS1_11comp_targetILNS1_3genE5ELNS1_11target_archE942ELNS1_3gpuE9ELNS1_3repE0EEENS1_30default_config_static_selectorELNS0_4arch9wavefront6targetE1EEEvT1_
		.amdhsa_group_segment_fixed_size 0
		.amdhsa_private_segment_fixed_size 0
		.amdhsa_kernarg_size 144
		.amdhsa_user_sgpr_count 6
		.amdhsa_user_sgpr_private_segment_buffer 1
		.amdhsa_user_sgpr_dispatch_ptr 0
		.amdhsa_user_sgpr_queue_ptr 0
		.amdhsa_user_sgpr_kernarg_segment_ptr 1
		.amdhsa_user_sgpr_dispatch_id 0
		.amdhsa_user_sgpr_flat_scratch_init 0
		.amdhsa_user_sgpr_kernarg_preload_length 0
		.amdhsa_user_sgpr_kernarg_preload_offset 0
		.amdhsa_user_sgpr_private_segment_size 0
		.amdhsa_uses_dynamic_stack 0
		.amdhsa_system_sgpr_private_segment_wavefront_offset 0
		.amdhsa_system_sgpr_workgroup_id_x 1
		.amdhsa_system_sgpr_workgroup_id_y 0
		.amdhsa_system_sgpr_workgroup_id_z 0
		.amdhsa_system_sgpr_workgroup_info 0
		.amdhsa_system_vgpr_workitem_id 0
		.amdhsa_next_free_vgpr 1
		.amdhsa_next_free_sgpr 0
		.amdhsa_accum_offset 4
		.amdhsa_reserve_vcc 0
		.amdhsa_reserve_flat_scratch 0
		.amdhsa_float_round_mode_32 0
		.amdhsa_float_round_mode_16_64 0
		.amdhsa_float_denorm_mode_32 3
		.amdhsa_float_denorm_mode_16_64 3
		.amdhsa_dx10_clamp 1
		.amdhsa_ieee_mode 1
		.amdhsa_fp16_overflow 0
		.amdhsa_tg_split 0
		.amdhsa_exception_fp_ieee_invalid_op 0
		.amdhsa_exception_fp_denorm_src 0
		.amdhsa_exception_fp_ieee_div_zero 0
		.amdhsa_exception_fp_ieee_overflow 0
		.amdhsa_exception_fp_ieee_underflow 0
		.amdhsa_exception_fp_ieee_inexact 0
		.amdhsa_exception_int_div_zero 0
	.end_amdhsa_kernel
	.section	.text._ZN7rocprim17ROCPRIM_400000_NS6detail17trampoline_kernelINS0_14default_configENS1_25partition_config_selectorILNS1_17partition_subalgoE0EyNS0_10empty_typeEbEEZZNS1_14partition_implILS5_0ELb0ES3_jN6thrust23THRUST_200600_302600_NS6detail15normal_iteratorINSA_10device_ptrIyEEEEPS6_SG_NS0_5tupleIJSF_NSA_16discard_iteratorINSA_11use_defaultEEEEEENSH_IJSG_SG_EEES6_PlJ7is_evenIyEEEE10hipError_tPvRmT3_T4_T5_T6_T7_T9_mT8_P12ihipStream_tbDpT10_ENKUlT_T0_E_clISt17integral_constantIbLb1EES19_EEDaS14_S15_EUlS14_E_NS1_11comp_targetILNS1_3genE5ELNS1_11target_archE942ELNS1_3gpuE9ELNS1_3repE0EEENS1_30default_config_static_selectorELNS0_4arch9wavefront6targetE1EEEvT1_,"axG",@progbits,_ZN7rocprim17ROCPRIM_400000_NS6detail17trampoline_kernelINS0_14default_configENS1_25partition_config_selectorILNS1_17partition_subalgoE0EyNS0_10empty_typeEbEEZZNS1_14partition_implILS5_0ELb0ES3_jN6thrust23THRUST_200600_302600_NS6detail15normal_iteratorINSA_10device_ptrIyEEEEPS6_SG_NS0_5tupleIJSF_NSA_16discard_iteratorINSA_11use_defaultEEEEEENSH_IJSG_SG_EEES6_PlJ7is_evenIyEEEE10hipError_tPvRmT3_T4_T5_T6_T7_T9_mT8_P12ihipStream_tbDpT10_ENKUlT_T0_E_clISt17integral_constantIbLb1EES19_EEDaS14_S15_EUlS14_E_NS1_11comp_targetILNS1_3genE5ELNS1_11target_archE942ELNS1_3gpuE9ELNS1_3repE0EEENS1_30default_config_static_selectorELNS0_4arch9wavefront6targetE1EEEvT1_,comdat
.Lfunc_end2340:
	.size	_ZN7rocprim17ROCPRIM_400000_NS6detail17trampoline_kernelINS0_14default_configENS1_25partition_config_selectorILNS1_17partition_subalgoE0EyNS0_10empty_typeEbEEZZNS1_14partition_implILS5_0ELb0ES3_jN6thrust23THRUST_200600_302600_NS6detail15normal_iteratorINSA_10device_ptrIyEEEEPS6_SG_NS0_5tupleIJSF_NSA_16discard_iteratorINSA_11use_defaultEEEEEENSH_IJSG_SG_EEES6_PlJ7is_evenIyEEEE10hipError_tPvRmT3_T4_T5_T6_T7_T9_mT8_P12ihipStream_tbDpT10_ENKUlT_T0_E_clISt17integral_constantIbLb1EES19_EEDaS14_S15_EUlS14_E_NS1_11comp_targetILNS1_3genE5ELNS1_11target_archE942ELNS1_3gpuE9ELNS1_3repE0EEENS1_30default_config_static_selectorELNS0_4arch9wavefront6targetE1EEEvT1_, .Lfunc_end2340-_ZN7rocprim17ROCPRIM_400000_NS6detail17trampoline_kernelINS0_14default_configENS1_25partition_config_selectorILNS1_17partition_subalgoE0EyNS0_10empty_typeEbEEZZNS1_14partition_implILS5_0ELb0ES3_jN6thrust23THRUST_200600_302600_NS6detail15normal_iteratorINSA_10device_ptrIyEEEEPS6_SG_NS0_5tupleIJSF_NSA_16discard_iteratorINSA_11use_defaultEEEEEENSH_IJSG_SG_EEES6_PlJ7is_evenIyEEEE10hipError_tPvRmT3_T4_T5_T6_T7_T9_mT8_P12ihipStream_tbDpT10_ENKUlT_T0_E_clISt17integral_constantIbLb1EES19_EEDaS14_S15_EUlS14_E_NS1_11comp_targetILNS1_3genE5ELNS1_11target_archE942ELNS1_3gpuE9ELNS1_3repE0EEENS1_30default_config_static_selectorELNS0_4arch9wavefront6targetE1EEEvT1_
                                        ; -- End function
	.section	.AMDGPU.csdata,"",@progbits
; Kernel info:
; codeLenInByte = 0
; NumSgprs: 4
; NumVgprs: 0
; NumAgprs: 0
; TotalNumVgprs: 0
; ScratchSize: 0
; MemoryBound: 0
; FloatMode: 240
; IeeeMode: 1
; LDSByteSize: 0 bytes/workgroup (compile time only)
; SGPRBlocks: 0
; VGPRBlocks: 0
; NumSGPRsForWavesPerEU: 4
; NumVGPRsForWavesPerEU: 1
; AccumOffset: 4
; Occupancy: 8
; WaveLimiterHint : 0
; COMPUTE_PGM_RSRC2:SCRATCH_EN: 0
; COMPUTE_PGM_RSRC2:USER_SGPR: 6
; COMPUTE_PGM_RSRC2:TRAP_HANDLER: 0
; COMPUTE_PGM_RSRC2:TGID_X_EN: 1
; COMPUTE_PGM_RSRC2:TGID_Y_EN: 0
; COMPUTE_PGM_RSRC2:TGID_Z_EN: 0
; COMPUTE_PGM_RSRC2:TIDIG_COMP_CNT: 0
; COMPUTE_PGM_RSRC3_GFX90A:ACCUM_OFFSET: 0
; COMPUTE_PGM_RSRC3_GFX90A:TG_SPLIT: 0
	.section	.text._ZN7rocprim17ROCPRIM_400000_NS6detail17trampoline_kernelINS0_14default_configENS1_25partition_config_selectorILNS1_17partition_subalgoE0EyNS0_10empty_typeEbEEZZNS1_14partition_implILS5_0ELb0ES3_jN6thrust23THRUST_200600_302600_NS6detail15normal_iteratorINSA_10device_ptrIyEEEEPS6_SG_NS0_5tupleIJSF_NSA_16discard_iteratorINSA_11use_defaultEEEEEENSH_IJSG_SG_EEES6_PlJ7is_evenIyEEEE10hipError_tPvRmT3_T4_T5_T6_T7_T9_mT8_P12ihipStream_tbDpT10_ENKUlT_T0_E_clISt17integral_constantIbLb1EES19_EEDaS14_S15_EUlS14_E_NS1_11comp_targetILNS1_3genE4ELNS1_11target_archE910ELNS1_3gpuE8ELNS1_3repE0EEENS1_30default_config_static_selectorELNS0_4arch9wavefront6targetE1EEEvT1_,"axG",@progbits,_ZN7rocprim17ROCPRIM_400000_NS6detail17trampoline_kernelINS0_14default_configENS1_25partition_config_selectorILNS1_17partition_subalgoE0EyNS0_10empty_typeEbEEZZNS1_14partition_implILS5_0ELb0ES3_jN6thrust23THRUST_200600_302600_NS6detail15normal_iteratorINSA_10device_ptrIyEEEEPS6_SG_NS0_5tupleIJSF_NSA_16discard_iteratorINSA_11use_defaultEEEEEENSH_IJSG_SG_EEES6_PlJ7is_evenIyEEEE10hipError_tPvRmT3_T4_T5_T6_T7_T9_mT8_P12ihipStream_tbDpT10_ENKUlT_T0_E_clISt17integral_constantIbLb1EES19_EEDaS14_S15_EUlS14_E_NS1_11comp_targetILNS1_3genE4ELNS1_11target_archE910ELNS1_3gpuE8ELNS1_3repE0EEENS1_30default_config_static_selectorELNS0_4arch9wavefront6targetE1EEEvT1_,comdat
	.protected	_ZN7rocprim17ROCPRIM_400000_NS6detail17trampoline_kernelINS0_14default_configENS1_25partition_config_selectorILNS1_17partition_subalgoE0EyNS0_10empty_typeEbEEZZNS1_14partition_implILS5_0ELb0ES3_jN6thrust23THRUST_200600_302600_NS6detail15normal_iteratorINSA_10device_ptrIyEEEEPS6_SG_NS0_5tupleIJSF_NSA_16discard_iteratorINSA_11use_defaultEEEEEENSH_IJSG_SG_EEES6_PlJ7is_evenIyEEEE10hipError_tPvRmT3_T4_T5_T6_T7_T9_mT8_P12ihipStream_tbDpT10_ENKUlT_T0_E_clISt17integral_constantIbLb1EES19_EEDaS14_S15_EUlS14_E_NS1_11comp_targetILNS1_3genE4ELNS1_11target_archE910ELNS1_3gpuE8ELNS1_3repE0EEENS1_30default_config_static_selectorELNS0_4arch9wavefront6targetE1EEEvT1_ ; -- Begin function _ZN7rocprim17ROCPRIM_400000_NS6detail17trampoline_kernelINS0_14default_configENS1_25partition_config_selectorILNS1_17partition_subalgoE0EyNS0_10empty_typeEbEEZZNS1_14partition_implILS5_0ELb0ES3_jN6thrust23THRUST_200600_302600_NS6detail15normal_iteratorINSA_10device_ptrIyEEEEPS6_SG_NS0_5tupleIJSF_NSA_16discard_iteratorINSA_11use_defaultEEEEEENSH_IJSG_SG_EEES6_PlJ7is_evenIyEEEE10hipError_tPvRmT3_T4_T5_T6_T7_T9_mT8_P12ihipStream_tbDpT10_ENKUlT_T0_E_clISt17integral_constantIbLb1EES19_EEDaS14_S15_EUlS14_E_NS1_11comp_targetILNS1_3genE4ELNS1_11target_archE910ELNS1_3gpuE8ELNS1_3repE0EEENS1_30default_config_static_selectorELNS0_4arch9wavefront6targetE1EEEvT1_
	.globl	_ZN7rocprim17ROCPRIM_400000_NS6detail17trampoline_kernelINS0_14default_configENS1_25partition_config_selectorILNS1_17partition_subalgoE0EyNS0_10empty_typeEbEEZZNS1_14partition_implILS5_0ELb0ES3_jN6thrust23THRUST_200600_302600_NS6detail15normal_iteratorINSA_10device_ptrIyEEEEPS6_SG_NS0_5tupleIJSF_NSA_16discard_iteratorINSA_11use_defaultEEEEEENSH_IJSG_SG_EEES6_PlJ7is_evenIyEEEE10hipError_tPvRmT3_T4_T5_T6_T7_T9_mT8_P12ihipStream_tbDpT10_ENKUlT_T0_E_clISt17integral_constantIbLb1EES19_EEDaS14_S15_EUlS14_E_NS1_11comp_targetILNS1_3genE4ELNS1_11target_archE910ELNS1_3gpuE8ELNS1_3repE0EEENS1_30default_config_static_selectorELNS0_4arch9wavefront6targetE1EEEvT1_
	.p2align	8
	.type	_ZN7rocprim17ROCPRIM_400000_NS6detail17trampoline_kernelINS0_14default_configENS1_25partition_config_selectorILNS1_17partition_subalgoE0EyNS0_10empty_typeEbEEZZNS1_14partition_implILS5_0ELb0ES3_jN6thrust23THRUST_200600_302600_NS6detail15normal_iteratorINSA_10device_ptrIyEEEEPS6_SG_NS0_5tupleIJSF_NSA_16discard_iteratorINSA_11use_defaultEEEEEENSH_IJSG_SG_EEES6_PlJ7is_evenIyEEEE10hipError_tPvRmT3_T4_T5_T6_T7_T9_mT8_P12ihipStream_tbDpT10_ENKUlT_T0_E_clISt17integral_constantIbLb1EES19_EEDaS14_S15_EUlS14_E_NS1_11comp_targetILNS1_3genE4ELNS1_11target_archE910ELNS1_3gpuE8ELNS1_3repE0EEENS1_30default_config_static_selectorELNS0_4arch9wavefront6targetE1EEEvT1_,@function
_ZN7rocprim17ROCPRIM_400000_NS6detail17trampoline_kernelINS0_14default_configENS1_25partition_config_selectorILNS1_17partition_subalgoE0EyNS0_10empty_typeEbEEZZNS1_14partition_implILS5_0ELb0ES3_jN6thrust23THRUST_200600_302600_NS6detail15normal_iteratorINSA_10device_ptrIyEEEEPS6_SG_NS0_5tupleIJSF_NSA_16discard_iteratorINSA_11use_defaultEEEEEENSH_IJSG_SG_EEES6_PlJ7is_evenIyEEEE10hipError_tPvRmT3_T4_T5_T6_T7_T9_mT8_P12ihipStream_tbDpT10_ENKUlT_T0_E_clISt17integral_constantIbLb1EES19_EEDaS14_S15_EUlS14_E_NS1_11comp_targetILNS1_3genE4ELNS1_11target_archE910ELNS1_3gpuE8ELNS1_3repE0EEENS1_30default_config_static_selectorELNS0_4arch9wavefront6targetE1EEEvT1_: ; @_ZN7rocprim17ROCPRIM_400000_NS6detail17trampoline_kernelINS0_14default_configENS1_25partition_config_selectorILNS1_17partition_subalgoE0EyNS0_10empty_typeEbEEZZNS1_14partition_implILS5_0ELb0ES3_jN6thrust23THRUST_200600_302600_NS6detail15normal_iteratorINSA_10device_ptrIyEEEEPS6_SG_NS0_5tupleIJSF_NSA_16discard_iteratorINSA_11use_defaultEEEEEENSH_IJSG_SG_EEES6_PlJ7is_evenIyEEEE10hipError_tPvRmT3_T4_T5_T6_T7_T9_mT8_P12ihipStream_tbDpT10_ENKUlT_T0_E_clISt17integral_constantIbLb1EES19_EEDaS14_S15_EUlS14_E_NS1_11comp_targetILNS1_3genE4ELNS1_11target_archE910ELNS1_3gpuE8ELNS1_3repE0EEENS1_30default_config_static_selectorELNS0_4arch9wavefront6targetE1EEEvT1_
; %bb.0:
	s_load_dwordx2 s[24:25], s[4:5], 0x28
	s_load_dwordx4 s[20:23], s[4:5], 0x50
	s_load_dwordx2 s[2:3], s[4:5], 0x60
	s_load_dwordx2 s[26:27], s[4:5], 0x70
	v_cmp_eq_u32_e64 s[0:1], 0, v0
	s_and_saveexec_b64 s[6:7], s[0:1]
	s_cbranch_execz .LBB2341_4
; %bb.1:
	s_mov_b64 s[10:11], exec
	v_mbcnt_lo_u32_b32 v1, s10, 0
	v_mbcnt_hi_u32_b32 v1, s11, v1
	v_cmp_eq_u32_e32 vcc, 0, v1
                                        ; implicit-def: $vgpr2
	s_and_saveexec_b64 s[8:9], vcc
	s_cbranch_execz .LBB2341_3
; %bb.2:
	s_load_dwordx2 s[12:13], s[4:5], 0x80
	s_bcnt1_i32_b64 s10, s[10:11]
	v_mov_b32_e32 v2, 0
	v_mov_b32_e32 v3, s10
	s_waitcnt lgkmcnt(0)
	global_atomic_add v2, v2, v3, s[12:13] glc
.LBB2341_3:
	s_or_b64 exec, exec, s[8:9]
	s_waitcnt vmcnt(0)
	v_readfirstlane_b32 s8, v2
	v_add_u32_e32 v1, s8, v1
	v_mov_b32_e32 v2, 0
	ds_write_b32 v2, v1
.LBB2341_4:
	s_or_b64 exec, exec, s[6:7]
	v_mov_b32_e32 v3, 0
	s_load_dwordx4 s[8:11], s[4:5], 0x8
	s_load_dword s6, s[4:5], 0x78
	s_waitcnt lgkmcnt(0)
	s_barrier
	ds_read_b32 v1, v3
	s_waitcnt lgkmcnt(0)
	s_barrier
	global_load_dwordx2 v[10:11], v3, s[22:23]
	v_mov_b32_e32 v5, s3
	s_lshl_b64 s[4:5], s[10:11], 3
	s_movk_i32 s3, 0x300
	s_add_u32 s7, s8, s4
	v_mul_lo_u32 v2, v1, s3
	s_mul_i32 s3, s6, 0x300
	s_addc_u32 s8, s9, s5
	s_add_i32 s5, s3, s10
	s_add_i32 s4, s6, -1
	s_sub_i32 s33, s2, s5
	v_mov_b32_e32 v4, s2
	s_add_u32 s2, s10, s3
	v_readfirstlane_b32 s36, v1
	s_addc_u32 s3, s11, 0
	s_cmp_eq_u32 s36, s4
	s_cselect_b64 s[22:23], -1, 0
	s_cmp_lg_u32 s36, s4
	v_cmp_lt_u64_e32 vcc, s[2:3], v[4:5]
	s_cselect_b64 s[2:3], -1, 0
	v_lshlrev_b64 v[2:3], 3, v[2:3]
	s_or_b64 s[4:5], vcc, s[2:3]
	v_mov_b32_e32 v1, s8
	v_add_co_u32_e32 v13, vcc, s7, v2
	v_addc_co_u32_e32 v14, vcc, v1, v3, vcc
	s_mov_b64 s[2:3], -1
	s_and_b64 vcc, exec, s[4:5]
	v_lshlrev_b32_e32 v1, 3, v0
	v_lshrrev_b32_e32 v12, 2, v0
	s_cbranch_vccz .LBB2341_6
; %bb.5:
	v_add_co_u32_e32 v2, vcc, v13, v1
	v_addc_co_u32_e32 v3, vcc, 0, v14, vcc
	v_add_co_u32_e32 v4, vcc, 0x1000, v2
	v_addc_co_u32_e32 v5, vcc, 0, v3, vcc
	flat_load_dwordx2 v[6:7], v[2:3]
	flat_load_dwordx2 v[8:9], v[2:3] offset:1536
	flat_load_dwordx2 v[16:17], v[2:3] offset:3072
	;; [unrolled: 1-line block ×3, first 2 shown]
	v_add_u32_e32 v3, 0xc0, v0
	v_add_u32_e32 v4, 0x180, v0
	;; [unrolled: 1-line block ×3, first 2 shown]
	v_and_b32_e32 v2, 56, v12
	v_lshrrev_b32_e32 v3, 2, v3
	v_lshrrev_b32_e32 v4, 2, v4
	;; [unrolled: 1-line block ×3, first 2 shown]
	v_add_u32_e32 v2, v2, v1
	v_and_b32_e32 v3, 0x78, v3
	v_and_b32_e32 v4, 0xf8, v4
	;; [unrolled: 1-line block ×3, first 2 shown]
	v_add_u32_e32 v3, v3, v1
	v_add_u32_e32 v4, v4, v1
	;; [unrolled: 1-line block ×3, first 2 shown]
	s_mov_b64 s[2:3], 0
	s_waitcnt vmcnt(0) lgkmcnt(0)
	ds_write_b64 v2, v[6:7]
	ds_write_b64 v3, v[8:9] offset:1536
	ds_write_b64 v4, v[16:17] offset:3072
	;; [unrolled: 1-line block ×3, first 2 shown]
	s_waitcnt lgkmcnt(0)
	s_barrier
.LBB2341_6:
	s_andn2_b64 vcc, exec, s[2:3]
	s_addk_i32 s33, 0x300
	s_cbranch_vccnz .LBB2341_16
; %bb.7:
	v_cmp_gt_u32_e32 vcc, s33, v0
                                        ; implicit-def: $vgpr2_vgpr3_vgpr4_vgpr5_vgpr6_vgpr7_vgpr8_vgpr9
	s_and_saveexec_b64 s[2:3], vcc
	s_cbranch_execz .LBB2341_9
; %bb.8:
	v_add_co_u32_e32 v2, vcc, v13, v1
	v_addc_co_u32_e32 v3, vcc, 0, v14, vcc
	flat_load_dwordx2 v[2:3], v[2:3]
.LBB2341_9:
	s_or_b64 exec, exec, s[2:3]
	v_add_u32_e32 v15, 0xc0, v0
	v_cmp_gt_u32_e32 vcc, s33, v15
	s_and_saveexec_b64 s[2:3], vcc
	s_cbranch_execz .LBB2341_11
; %bb.10:
	v_add_co_u32_e32 v4, vcc, v13, v1
	v_addc_co_u32_e32 v5, vcc, 0, v14, vcc
	flat_load_dwordx2 v[4:5], v[4:5] offset:1536
.LBB2341_11:
	s_or_b64 exec, exec, s[2:3]
	v_add_u32_e32 v16, 0x180, v0
	v_cmp_gt_u32_e32 vcc, s33, v16
	s_and_saveexec_b64 s[2:3], vcc
	s_cbranch_execz .LBB2341_13
; %bb.12:
	v_add_co_u32_e32 v6, vcc, v13, v1
	v_addc_co_u32_e32 v7, vcc, 0, v14, vcc
	flat_load_dwordx2 v[6:7], v[6:7] offset:3072
.LBB2341_13:
	s_or_b64 exec, exec, s[2:3]
	v_add_u32_e32 v17, 0x240, v0
	v_cmp_gt_u32_e32 vcc, s33, v17
	s_and_saveexec_b64 s[2:3], vcc
	s_cbranch_execz .LBB2341_15
; %bb.14:
	v_lshlrev_b32_e32 v8, 3, v17
	v_add_co_u32_e32 v8, vcc, v13, v8
	v_addc_co_u32_e32 v9, vcc, 0, v14, vcc
	flat_load_dwordx2 v[8:9], v[8:9]
.LBB2341_15:
	s_or_b64 exec, exec, s[2:3]
	v_and_b32_e32 v12, 56, v12
	v_add_u32_e32 v12, v12, v1
	s_waitcnt vmcnt(0) lgkmcnt(0)
	ds_write_b64 v12, v[2:3]
	v_lshrrev_b32_e32 v2, 2, v15
	v_and_b32_e32 v2, 0x78, v2
	v_add_u32_e32 v2, v2, v1
	ds_write_b64 v2, v[4:5] offset:1536
	v_lshrrev_b32_e32 v2, 2, v16
	v_and_b32_e32 v2, 0xf8, v2
	v_add_u32_e32 v2, v2, v1
	ds_write_b64 v2, v[6:7] offset:3072
	;; [unrolled: 4-line block ×3, first 2 shown]
	s_waitcnt lgkmcnt(0)
	s_barrier
.LBB2341_16:
	v_lshlrev_b32_e32 v22, 2, v0
	v_lshrrev_b32_e32 v2, 3, v0
	v_add_lshl_u32 v2, v2, v22, 3
	ds_read2_b64 v[6:9], v2 offset1:1
	ds_read2_b64 v[2:5], v2 offset0:2 offset1:3
	v_cndmask_b32_e64 v12, 0, 1, s[4:5]
	v_cmp_ne_u32_e64 s[2:3], 1, v12
	s_andn2_b64 vcc, exec, s[4:5]
	s_waitcnt lgkmcnt(1)
	v_xor_b32_e32 v15, -1, v6
	v_xor_b32_e32 v14, -1, v8
	s_waitcnt lgkmcnt(0)
	v_xor_b32_e32 v13, -1, v2
	v_xor_b32_e32 v12, -1, v4
	s_barrier
	s_cbranch_vccnz .LBB2341_18
; %bb.17:
	v_mov_b32_e32 v17, 1
	v_and_b32_e32 v16, 1, v15
	v_and_b32_sdwa v18, v14, v17 dst_sel:BYTE_1 dst_unused:UNUSED_PAD src0_sel:DWORD src1_sel:DWORD
	v_and_b32_e32 v19, 1, v13
	v_and_b32_sdwa v17, v12, v17 dst_sel:BYTE_1 dst_unused:UNUSED_PAD src0_sel:DWORD src1_sel:DWORD
	v_or_b32_e32 v16, v16, v18
	v_or_b32_sdwa v17, v19, v17 dst_sel:WORD_1 dst_unused:UNUSED_PAD src0_sel:DWORD src1_sel:DWORD
	v_or_b32_sdwa v23, v16, v17 dst_sel:DWORD dst_unused:UNUSED_PAD src0_sel:WORD_0 src1_sel:DWORD
	s_cbranch_execz .LBB2341_19
	s_branch .LBB2341_20
.LBB2341_18:
                                        ; implicit-def: $vgpr23
.LBB2341_19:
	v_cmp_gt_u32_e32 vcc, s33, v22
	v_cndmask_b32_e64 v16, 0, 1, vcc
	v_and_b32_e32 v15, v16, v15
	v_or_b32_e32 v16, 1, v22
	v_cmp_gt_u32_e32 vcc, s33, v16
	v_cndmask_b32_e64 v16, 0, 1, vcc
	v_and_b32_sdwa v14, v16, v14 dst_sel:BYTE_1 dst_unused:UNUSED_PAD src0_sel:DWORD src1_sel:DWORD
	v_or_b32_e32 v16, 2, v22
	v_cmp_gt_u32_e32 vcc, s33, v16
	v_cndmask_b32_e64 v16, 0, 1, vcc
	v_and_b32_e32 v13, v16, v13
	v_or_b32_e32 v16, 3, v22
	v_cmp_gt_u32_e32 vcc, s33, v16
	v_cndmask_b32_e64 v16, 0, 1, vcc
	v_and_b32_sdwa v12, v16, v12 dst_sel:BYTE_1 dst_unused:UNUSED_PAD src0_sel:DWORD src1_sel:DWORD
	v_or_b32_e32 v14, v15, v14
	v_or_b32_sdwa v12, v13, v12 dst_sel:WORD_1 dst_unused:UNUSED_PAD src0_sel:DWORD src1_sel:DWORD
	v_or_b32_sdwa v23, v14, v12 dst_sel:DWORD dst_unused:UNUSED_PAD src0_sel:WORD_0 src1_sel:DWORD
.LBB2341_20:
	v_bfe_u32 v25, v23, 16, 8
	v_lshrrev_b32_e32 v24, 24, v23
	v_add_u32_sdwa v12, v23, v23 dst_sel:DWORD dst_unused:UNUSED_PAD src0_sel:BYTE_1 src1_sel:BYTE_0
	v_add3_u32 v28, v12, v25, v24
	v_mbcnt_lo_u32_b32 v12, -1, 0
	v_mbcnt_hi_u32_b32 v26, -1, v12
	v_and_b32_e32 v12, 15, v26
	v_cmp_eq_u32_e64 s[16:17], 0, v12
	v_cmp_lt_u32_e64 s[14:15], 1, v12
	v_cmp_lt_u32_e64 s[12:13], 3, v12
	;; [unrolled: 1-line block ×3, first 2 shown]
	v_and_b32_e32 v12, 16, v26
	v_cmp_eq_u32_e64 s[6:7], 0, v12
	v_and_b32_e32 v12, 0xc0, v0
	v_min_u32_e32 v12, 0x80, v12
	v_or_b32_e32 v12, 63, v12
	s_cmp_lg_u32 s36, 0
	v_cmp_lt_u32_e64 s[4:5], 31, v26
	v_lshrrev_b32_e32 v27, 6, v0
	v_cmp_eq_u32_e64 s[8:9], v12, v0
	s_cbranch_scc0 .LBB2341_51
; %bb.21:
	v_mov_b32_dpp v12, v28 row_shr:1 row_mask:0xf bank_mask:0xf
	v_cndmask_b32_e64 v12, v12, 0, s[16:17]
	v_add_u32_e32 v12, v12, v28
	s_nop 1
	v_mov_b32_dpp v13, v12 row_shr:2 row_mask:0xf bank_mask:0xf
	v_cndmask_b32_e64 v13, 0, v13, s[14:15]
	v_add_u32_e32 v12, v12, v13
	s_nop 1
	;; [unrolled: 4-line block ×4, first 2 shown]
	v_mov_b32_dpp v13, v12 row_bcast:15 row_mask:0xf bank_mask:0xf
	v_cndmask_b32_e64 v13, v13, 0, s[6:7]
	v_add_u32_e32 v12, v12, v13
	s_nop 1
	v_mov_b32_dpp v13, v12 row_bcast:31 row_mask:0xf bank_mask:0xf
	v_cndmask_b32_e64 v13, 0, v13, s[4:5]
	v_add_u32_e32 v12, v12, v13
	s_and_saveexec_b64 s[18:19], s[8:9]
	s_cbranch_execz .LBB2341_23
; %bb.22:
	v_lshlrev_b32_e32 v13, 2, v27
	ds_write_b32 v13, v12
.LBB2341_23:
	s_or_b64 exec, exec, s[18:19]
	v_cmp_gt_u32_e32 vcc, 3, v0
	s_waitcnt lgkmcnt(0)
	s_barrier
	s_and_saveexec_b64 s[18:19], vcc
	s_cbranch_execz .LBB2341_25
; %bb.24:
	ds_read_b32 v13, v22
	v_and_b32_e32 v14, 3, v26
	v_cmp_ne_u32_e32 vcc, 0, v14
	s_waitcnt lgkmcnt(0)
	v_mov_b32_dpp v15, v13 row_shr:1 row_mask:0xf bank_mask:0xf
	v_cndmask_b32_e32 v15, 0, v15, vcc
	v_add_u32_e32 v13, v15, v13
	v_cmp_lt_u32_e32 vcc, 1, v14
	s_nop 0
	v_mov_b32_dpp v15, v13 row_shr:2 row_mask:0xf bank_mask:0xf
	v_cndmask_b32_e32 v14, 0, v15, vcc
	v_add_u32_e32 v13, v13, v14
	ds_write_b32 v22, v13
.LBB2341_25:
	s_or_b64 exec, exec, s[18:19]
	v_cmp_gt_u32_e32 vcc, 64, v0
	v_cmp_lt_u32_e64 s[18:19], 63, v0
	s_waitcnt lgkmcnt(0)
	s_barrier
	s_waitcnt lgkmcnt(0)
                                        ; implicit-def: $vgpr29
	s_and_saveexec_b64 s[28:29], s[18:19]
	s_cbranch_execz .LBB2341_27
; %bb.26:
	v_lshl_add_u32 v13, v27, 2, -4
	ds_read_b32 v29, v13
	s_waitcnt lgkmcnt(0)
	v_add_u32_e32 v12, v29, v12
.LBB2341_27:
	s_or_b64 exec, exec, s[28:29]
	v_add_u32_e32 v13, -1, v26
	v_and_b32_e32 v14, 64, v26
	v_cmp_lt_i32_e64 s[18:19], v13, v14
	v_cndmask_b32_e64 v13, v13, v26, s[18:19]
	v_lshlrev_b32_e32 v13, 2, v13
	ds_bpermute_b32 v30, v13, v12
	v_cmp_eq_u32_e64 s[18:19], 0, v26
	s_and_saveexec_b64 s[28:29], vcc
	s_cbranch_execz .LBB2341_50
; %bb.28:
	v_mov_b32_e32 v21, 0
	ds_read_b32 v12, v21 offset:8
	s_and_saveexec_b64 s[30:31], s[18:19]
	s_cbranch_execz .LBB2341_30
; %bb.29:
	s_add_i32 s34, s36, 64
	s_mov_b32 s35, 0
	s_lshl_b64 s[34:35], s[34:35], 3
	s_add_u32 s34, s26, s34
	v_mov_b32_e32 v13, 1
	s_addc_u32 s35, s27, s35
	s_waitcnt lgkmcnt(0)
	global_store_dwordx2 v21, v[12:13], s[34:35]
.LBB2341_30:
	s_or_b64 exec, exec, s[30:31]
	v_xad_u32 v14, v26, -1, s36
	v_add_u32_e32 v20, 64, v14
	v_lshlrev_b64 v[16:17], 3, v[20:21]
	v_mov_b32_e32 v13, s27
	v_add_co_u32_e32 v16, vcc, s26, v16
	v_addc_co_u32_e32 v17, vcc, v13, v17, vcc
	global_load_dwordx2 v[18:19], v[16:17], off glc
	s_waitcnt vmcnt(0)
	v_cmp_eq_u16_sdwa s[34:35], v19, v21 src0_sel:BYTE_0 src1_sel:DWORD
	s_and_saveexec_b64 s[30:31], s[34:35]
	s_cbranch_execz .LBB2341_36
; %bb.31:
	s_mov_b32 s37, 1
	s_mov_b64 s[34:35], 0
	v_mov_b32_e32 v13, 0
.LBB2341_32:                            ; =>This Loop Header: Depth=1
                                        ;     Child Loop BB2341_33 Depth 2
	s_max_u32 s38, s37, 1
.LBB2341_33:                            ;   Parent Loop BB2341_32 Depth=1
                                        ; =>  This Inner Loop Header: Depth=2
	s_add_i32 s38, s38, -1
	s_cmp_eq_u32 s38, 0
	s_sleep 1
	s_cbranch_scc0 .LBB2341_33
; %bb.34:                               ;   in Loop: Header=BB2341_32 Depth=1
	global_load_dwordx2 v[18:19], v[16:17], off glc
	s_cmp_lt_u32 s37, 32
	s_cselect_b64 s[38:39], -1, 0
	s_cmp_lg_u64 s[38:39], 0
	s_addc_u32 s37, s37, 0
	s_waitcnt vmcnt(0)
	v_cmp_ne_u16_sdwa s[38:39], v19, v13 src0_sel:BYTE_0 src1_sel:DWORD
	s_or_b64 s[34:35], s[38:39], s[34:35]
	s_andn2_b64 exec, exec, s[34:35]
	s_cbranch_execnz .LBB2341_32
; %bb.35:
	s_or_b64 exec, exec, s[34:35]
.LBB2341_36:
	s_or_b64 exec, exec, s[30:31]
	v_and_b32_e32 v32, 63, v26
	v_mov_b32_e32 v31, 2
	v_cmp_ne_u32_e32 vcc, 63, v32
	v_cmp_eq_u16_sdwa s[30:31], v19, v31 src0_sel:BYTE_0 src1_sel:DWORD
	v_lshlrev_b64 v[16:17], v26, -1
	v_addc_co_u32_e32 v20, vcc, 0, v26, vcc
	v_and_b32_e32 v13, s31, v17
	v_lshlrev_b32_e32 v33, 2, v20
	v_or_b32_e32 v13, 0x80000000, v13
	ds_bpermute_b32 v20, v33, v18
	v_and_b32_e32 v15, s30, v16
	v_ffbl_b32_e32 v13, v13
	v_add_u32_e32 v13, 32, v13
	v_ffbl_b32_e32 v15, v15
	v_min_u32_e32 v13, v15, v13
	v_cmp_lt_u32_e32 vcc, v32, v13
	s_waitcnt lgkmcnt(0)
	v_cndmask_b32_e32 v15, 0, v20, vcc
	v_cmp_gt_u32_e32 vcc, 62, v32
	v_add_u32_e32 v15, v15, v18
	v_cndmask_b32_e64 v18, 0, 1, vcc
	v_lshlrev_b32_e32 v18, 1, v18
	v_add_lshl_u32 v34, v18, v26, 2
	ds_bpermute_b32 v18, v34, v15
	v_add_u32_e32 v35, 2, v32
	v_cmp_le_u32_e32 vcc, v35, v13
	v_add_u32_e32 v37, 4, v32
	v_add_u32_e32 v39, 8, v32
	s_waitcnt lgkmcnt(0)
	v_cndmask_b32_e32 v18, 0, v18, vcc
	v_cmp_gt_u32_e32 vcc, 60, v32
	v_add_u32_e32 v15, v15, v18
	v_cndmask_b32_e64 v18, 0, 1, vcc
	v_lshlrev_b32_e32 v18, 2, v18
	v_add_lshl_u32 v36, v18, v26, 2
	ds_bpermute_b32 v18, v36, v15
	v_cmp_le_u32_e32 vcc, v37, v13
	v_add_u32_e32 v41, 16, v32
	v_add_u32_e32 v43, 32, v32
	s_waitcnt lgkmcnt(0)
	v_cndmask_b32_e32 v18, 0, v18, vcc
	v_cmp_gt_u32_e32 vcc, 56, v32
	v_add_u32_e32 v15, v15, v18
	v_cndmask_b32_e64 v18, 0, 1, vcc
	v_lshlrev_b32_e32 v18, 3, v18
	v_add_lshl_u32 v38, v18, v26, 2
	ds_bpermute_b32 v18, v38, v15
	v_cmp_le_u32_e32 vcc, v39, v13
	s_waitcnt lgkmcnt(0)
	v_cndmask_b32_e32 v18, 0, v18, vcc
	v_cmp_gt_u32_e32 vcc, 48, v32
	v_add_u32_e32 v15, v15, v18
	v_cndmask_b32_e64 v18, 0, 1, vcc
	v_lshlrev_b32_e32 v18, 4, v18
	v_add_lshl_u32 v40, v18, v26, 2
	ds_bpermute_b32 v18, v40, v15
	v_cmp_le_u32_e32 vcc, v41, v13
	;; [unrolled: 9-line block ×3, first 2 shown]
	s_waitcnt lgkmcnt(0)
	v_cndmask_b32_e32 v13, 0, v18, vcc
	v_add_u32_e32 v18, v15, v13
	v_mov_b32_e32 v15, 0
	s_branch .LBB2341_38
.LBB2341_37:                            ;   in Loop: Header=BB2341_38 Depth=1
	s_or_b64 exec, exec, s[30:31]
	v_cmp_eq_u16_sdwa s[30:31], v19, v31 src0_sel:BYTE_0 src1_sel:DWORD
	v_and_b32_e32 v20, s31, v17
	v_or_b32_e32 v20, 0x80000000, v20
	ds_bpermute_b32 v44, v33, v18
	v_and_b32_e32 v21, s30, v16
	v_ffbl_b32_e32 v20, v20
	v_add_u32_e32 v20, 32, v20
	v_ffbl_b32_e32 v21, v21
	v_min_u32_e32 v20, v21, v20
	v_cmp_lt_u32_e32 vcc, v32, v20
	s_waitcnt lgkmcnt(0)
	v_cndmask_b32_e32 v21, 0, v44, vcc
	v_add_u32_e32 v18, v21, v18
	ds_bpermute_b32 v21, v34, v18
	v_cmp_le_u32_e32 vcc, v35, v20
	v_subrev_u32_e32 v14, 64, v14
	s_waitcnt lgkmcnt(0)
	v_cndmask_b32_e32 v21, 0, v21, vcc
	v_add_u32_e32 v18, v18, v21
	ds_bpermute_b32 v21, v36, v18
	v_cmp_le_u32_e32 vcc, v37, v20
	s_waitcnt lgkmcnt(0)
	v_cndmask_b32_e32 v21, 0, v21, vcc
	v_add_u32_e32 v18, v18, v21
	ds_bpermute_b32 v21, v38, v18
	v_cmp_le_u32_e32 vcc, v39, v20
	;; [unrolled: 5-line block ×4, first 2 shown]
	s_waitcnt lgkmcnt(0)
	v_cndmask_b32_e32 v20, 0, v21, vcc
	v_add3_u32 v18, v20, v13, v18
.LBB2341_38:                            ; =>This Loop Header: Depth=1
                                        ;     Child Loop BB2341_41 Depth 2
                                        ;       Child Loop BB2341_42 Depth 3
	v_cmp_ne_u16_sdwa s[30:31], v19, v31 src0_sel:BYTE_0 src1_sel:DWORD
	v_cndmask_b32_e64 v13, 0, 1, s[30:31]
	;;#ASMSTART
	;;#ASMEND
	v_cmp_ne_u32_e32 vcc, 0, v13
	s_cmp_lg_u64 vcc, exec
	v_mov_b32_e32 v13, v18
	s_cbranch_scc1 .LBB2341_45
; %bb.39:                               ;   in Loop: Header=BB2341_38 Depth=1
	v_lshlrev_b64 v[18:19], 3, v[14:15]
	v_mov_b32_e32 v21, s27
	v_add_co_u32_e32 v20, vcc, s26, v18
	v_addc_co_u32_e32 v21, vcc, v21, v19, vcc
	global_load_dwordx2 v[18:19], v[20:21], off glc
	s_waitcnt vmcnt(0)
	v_cmp_eq_u16_sdwa s[34:35], v19, v15 src0_sel:BYTE_0 src1_sel:DWORD
	s_and_saveexec_b64 s[30:31], s[34:35]
	s_cbranch_execz .LBB2341_37
; %bb.40:                               ;   in Loop: Header=BB2341_38 Depth=1
	s_mov_b32 s37, 1
	s_mov_b64 s[34:35], 0
.LBB2341_41:                            ;   Parent Loop BB2341_38 Depth=1
                                        ; =>  This Loop Header: Depth=2
                                        ;       Child Loop BB2341_42 Depth 3
	s_max_u32 s38, s37, 1
.LBB2341_42:                            ;   Parent Loop BB2341_38 Depth=1
                                        ;     Parent Loop BB2341_41 Depth=2
                                        ; =>    This Inner Loop Header: Depth=3
	s_add_i32 s38, s38, -1
	s_cmp_eq_u32 s38, 0
	s_sleep 1
	s_cbranch_scc0 .LBB2341_42
; %bb.43:                               ;   in Loop: Header=BB2341_41 Depth=2
	global_load_dwordx2 v[18:19], v[20:21], off glc
	s_cmp_lt_u32 s37, 32
	s_cselect_b64 s[38:39], -1, 0
	s_cmp_lg_u64 s[38:39], 0
	s_addc_u32 s37, s37, 0
	s_waitcnt vmcnt(0)
	v_cmp_ne_u16_sdwa s[38:39], v19, v15 src0_sel:BYTE_0 src1_sel:DWORD
	s_or_b64 s[34:35], s[38:39], s[34:35]
	s_andn2_b64 exec, exec, s[34:35]
	s_cbranch_execnz .LBB2341_41
; %bb.44:                               ;   in Loop: Header=BB2341_38 Depth=1
	s_or_b64 exec, exec, s[34:35]
	s_branch .LBB2341_37
.LBB2341_45:                            ;   in Loop: Header=BB2341_38 Depth=1
                                        ; implicit-def: $vgpr18
                                        ; implicit-def: $vgpr19
	s_cbranch_execz .LBB2341_38
; %bb.46:
	s_and_saveexec_b64 s[30:31], s[18:19]
	s_cbranch_execz .LBB2341_48
; %bb.47:
	s_add_i32 s34, s36, 64
	s_mov_b32 s35, 0
	s_lshl_b64 s[34:35], s[34:35], 3
	s_add_u32 s34, s26, s34
	v_add_u32_e32 v14, v13, v12
	v_mov_b32_e32 v15, 2
	s_addc_u32 s35, s27, s35
	v_mov_b32_e32 v16, 0
	global_store_dwordx2 v16, v[14:15], s[34:35]
	ds_write_b64 v16, v[12:13] offset:6336
.LBB2341_48:
	s_or_b64 exec, exec, s[30:31]
	s_and_b64 exec, exec, s[0:1]
	s_cbranch_execz .LBB2341_50
; %bb.49:
	v_mov_b32_e32 v12, 0
	ds_write_b32 v12, v13 offset:8
.LBB2341_50:
	s_or_b64 exec, exec, s[28:29]
	v_mov_b32_e32 v12, 0
	s_waitcnt lgkmcnt(0)
	s_barrier
	ds_read_b32 v13, v12 offset:8
	v_cndmask_b32_e64 v14, v30, v29, s[18:19]
	v_cndmask_b32_e64 v14, v14, 0, s[0:1]
	s_waitcnt lgkmcnt(0)
	s_barrier
	v_add_u32_e32 v17, v13, v14
	ds_read_b64 v[12:13], v12 offset:6336
	v_add_u32_sdwa v18, v17, v23 dst_sel:DWORD dst_unused:UNUSED_PAD src0_sel:DWORD src1_sel:BYTE_0
	v_add_u32_sdwa v16, v18, v23 dst_sel:DWORD dst_unused:UNUSED_PAD src0_sel:DWORD src1_sel:BYTE_1
	v_add_u32_e32 v15, v16, v25
	s_waitcnt lgkmcnt(0)
	v_mov_b32_e32 v14, v13
	s_branch .LBB2341_61
.LBB2341_51:
                                        ; implicit-def: $vgpr14
                                        ; implicit-def: $vgpr12
                                        ; implicit-def: $vgpr15
                                        ; implicit-def: $vgpr16
                                        ; implicit-def: $vgpr18
                                        ; implicit-def: $vgpr17
	s_cbranch_execz .LBB2341_61
; %bb.52:
	s_nop 0
	v_mov_b32_dpp v12, v28 row_shr:1 row_mask:0xf bank_mask:0xf
	v_cndmask_b32_e64 v12, v12, 0, s[16:17]
	v_add_u32_e32 v12, v12, v28
	s_nop 1
	v_mov_b32_dpp v13, v12 row_shr:2 row_mask:0xf bank_mask:0xf
	v_cndmask_b32_e64 v13, 0, v13, s[14:15]
	v_add_u32_e32 v12, v12, v13
	;; [unrolled: 4-line block ×4, first 2 shown]
	s_nop 1
	v_mov_b32_dpp v13, v12 row_bcast:15 row_mask:0xf bank_mask:0xf
	v_cndmask_b32_e64 v13, v13, 0, s[6:7]
	v_add_u32_e32 v12, v12, v13
	s_nop 1
	v_mov_b32_dpp v13, v12 row_bcast:31 row_mask:0xf bank_mask:0xf
	v_cndmask_b32_e64 v13, 0, v13, s[4:5]
	v_add_u32_e32 v12, v12, v13
	s_and_saveexec_b64 s[4:5], s[8:9]
	s_cbranch_execz .LBB2341_54
; %bb.53:
	v_lshlrev_b32_e32 v13, 2, v27
	ds_write_b32 v13, v12
.LBB2341_54:
	s_or_b64 exec, exec, s[4:5]
	v_cmp_gt_u32_e32 vcc, 3, v0
	s_waitcnt lgkmcnt(0)
	s_barrier
	s_and_saveexec_b64 s[4:5], vcc
	s_cbranch_execz .LBB2341_56
; %bb.55:
	ds_read_b32 v13, v22
	v_and_b32_e32 v14, 3, v26
	v_cmp_ne_u32_e32 vcc, 0, v14
	s_waitcnt lgkmcnt(0)
	v_mov_b32_dpp v15, v13 row_shr:1 row_mask:0xf bank_mask:0xf
	v_cndmask_b32_e32 v15, 0, v15, vcc
	v_add_u32_e32 v13, v15, v13
	v_cmp_lt_u32_e32 vcc, 1, v14
	s_nop 0
	v_mov_b32_dpp v15, v13 row_shr:2 row_mask:0xf bank_mask:0xf
	v_cndmask_b32_e32 v14, 0, v15, vcc
	v_add_u32_e32 v13, v13, v14
	ds_write_b32 v22, v13
.LBB2341_56:
	s_or_b64 exec, exec, s[4:5]
	v_cmp_lt_u32_e32 vcc, 63, v0
	v_mov_b32_e32 v13, 0
	v_mov_b32_e32 v14, 0
	s_waitcnt lgkmcnt(0)
	s_barrier
	s_and_saveexec_b64 s[4:5], vcc
	s_cbranch_execz .LBB2341_58
; %bb.57:
	v_lshl_add_u32 v14, v27, 2, -4
	ds_read_b32 v14, v14
.LBB2341_58:
	s_or_b64 exec, exec, s[4:5]
	v_add_u32_e32 v15, -1, v26
	v_and_b32_e32 v16, 64, v26
	v_cmp_lt_i32_e32 vcc, v15, v16
	v_cndmask_b32_e32 v15, v15, v26, vcc
	s_waitcnt lgkmcnt(0)
	v_add_u32_e32 v12, v14, v12
	v_lshlrev_b32_e32 v15, 2, v15
	ds_bpermute_b32 v15, v15, v12
	ds_read_b32 v12, v13 offset:8
	s_and_saveexec_b64 s[4:5], s[0:1]
	s_cbranch_execz .LBB2341_60
; %bb.59:
	v_mov_b32_e32 v16, 0
	v_mov_b32_e32 v13, 2
	s_waitcnt lgkmcnt(0)
	global_store_dwordx2 v16, v[12:13], s[26:27] offset:512
.LBB2341_60:
	s_or_b64 exec, exec, s[4:5]
	v_cmp_eq_u32_e32 vcc, 0, v26
	s_waitcnt lgkmcnt(1)
	v_cndmask_b32_e32 v13, v15, v14, vcc
	v_cndmask_b32_e64 v17, v13, 0, s[0:1]
	v_add_u32_sdwa v18, v17, v23 dst_sel:DWORD dst_unused:UNUSED_PAD src0_sel:DWORD src1_sel:BYTE_0
	v_add_u32_sdwa v16, v18, v23 dst_sel:DWORD dst_unused:UNUSED_PAD src0_sel:DWORD src1_sel:BYTE_1
	v_mov_b32_e32 v14, 0
	v_add_u32_e32 v15, v16, v25
	s_waitcnt lgkmcnt(0)
	s_barrier
.LBB2341_61:
	v_add_u32_e32 v19, v12, v22
	v_sub_u32_e32 v17, v17, v14
	v_and_b32_e32 v21, 1, v23
	v_sub_u32_e32 v20, v19, v17
	v_cmp_eq_u32_e32 vcc, 1, v21
	v_cndmask_b32_e32 v17, v20, v17, vcc
	v_lshlrev_b32_e32 v17, 3, v17
	v_lshrrev_b32_e32 v13, 8, v23
	ds_write_b64 v17, v[6:7]
	v_sub_u32_e32 v6, v18, v14
	v_sub_u32_e32 v7, v19, v6
	v_and_b32_e32 v13, 1, v13
	v_add_u32_e32 v7, 1, v7
	v_cmp_eq_u32_e32 vcc, 1, v13
	v_cndmask_b32_e32 v6, v7, v6, vcc
	v_lshlrev_b32_e32 v6, 3, v6
	ds_write_b64 v6, v[8:9]
	v_sub_u32_e32 v6, v16, v14
	v_mov_b32_e32 v8, 1
	v_sub_u32_e32 v7, v19, v6
	v_and_b32_sdwa v8, v8, v23 dst_sel:DWORD dst_unused:UNUSED_PAD src0_sel:DWORD src1_sel:WORD_1
	v_add_u32_e32 v7, 2, v7
	v_cmp_eq_u32_e32 vcc, 1, v8
	v_cndmask_b32_e32 v6, v7, v6, vcc
	v_lshlrev_b32_e32 v6, 3, v6
	ds_write_b64 v6, v[2:3]
	v_sub_u32_e32 v2, v15, v14
	v_sub_u32_e32 v3, v19, v2
	v_and_b32_e32 v6, 1, v24
	v_add_u32_e32 v3, 3, v3
	v_cmp_eq_u32_e32 vcc, 1, v6
	v_cndmask_b32_e32 v2, v3, v2, vcc
	v_lshlrev_b32_e32 v2, 3, v2
	ds_write_b64 v2, v[4:5]
	s_waitcnt lgkmcnt(0)
	s_barrier
	ds_read2st64_b64 v[6:9], v1 offset1:3
	ds_read2st64_b64 v[2:5], v1 offset0:6 offset1:9
	v_add_u32_e32 v21, 0xc0, v0
	v_add_u32_e32 v20, 0x180, v0
	;; [unrolled: 1-line block ×3, first 2 shown]
	s_and_b64 vcc, exec, s[2:3]
	s_waitcnt vmcnt(0)
	v_lshlrev_b64 v[18:19], 3, v[10:11]
	s_cbranch_vccnz .LBB2341_67
; %bb.62:
	v_mov_b32_e32 v15, 0
	v_mov_b32_e32 v16, s25
	v_add_co_u32_e32 v22, vcc, s24, v18
	v_addc_co_u32_e32 v23, vcc, v16, v19, vcc
	v_lshlrev_b64 v[16:17], 3, v[14:15]
	v_add_co_u32_e32 v16, vcc, v22, v16
	v_addc_co_u32_e32 v17, vcc, v23, v17, vcc
	v_cmp_lt_u32_e32 vcc, v0, v12
	s_and_saveexec_b64 s[2:3], vcc
	s_cbranch_execnz .LBB2341_78
; %bb.63:
	s_or_b64 exec, exec, s[2:3]
	v_cmp_lt_u32_e32 vcc, v21, v12
	s_and_saveexec_b64 s[2:3], vcc
	s_cbranch_execnz .LBB2341_79
.LBB2341_64:
	s_or_b64 exec, exec, s[2:3]
	v_cmp_lt_u32_e32 vcc, v20, v12
	s_and_saveexec_b64 s[2:3], vcc
	s_cbranch_execz .LBB2341_66
.LBB2341_65:
	v_readfirstlane_b32 s4, v16
	v_readfirstlane_b32 s5, v17
	s_waitcnt lgkmcnt(0)
	s_nop 3
	global_store_dwordx2 v1, v[2:3], s[4:5] offset:3072
.LBB2341_66:
	s_or_b64 exec, exec, s[2:3]
	v_cmp_lt_u32_e64 s[2:3], v13, v12
	s_branch .LBB2341_73
.LBB2341_67:
	s_mov_b64 s[2:3], 0
                                        ; implicit-def: $vgpr16_vgpr17
	s_cbranch_execz .LBB2341_73
; %bb.68:
	v_mov_b32_e32 v15, 0
	v_mov_b32_e32 v16, s25
	v_add_co_u32_e32 v18, vcc, s24, v18
	v_addc_co_u32_e32 v19, vcc, v16, v19, vcc
	v_lshlrev_b64 v[16:17], 3, v[14:15]
	v_add_co_u32_e32 v16, vcc, v18, v16
	v_min_u32_e32 v22, s33, v12
	v_addc_co_u32_e32 v17, vcc, v19, v17, vcc
	v_cmp_gt_u32_e32 vcc, v22, v0
	s_and_saveexec_b64 s[2:3], vcc
	s_cbranch_execnz .LBB2341_80
; %bb.69:
	s_or_b64 exec, exec, s[2:3]
	v_cmp_lt_u32_e32 vcc, v21, v22
	s_and_saveexec_b64 s[2:3], vcc
	s_cbranch_execnz .LBB2341_81
.LBB2341_70:
	s_or_b64 exec, exec, s[2:3]
	v_cmp_lt_u32_e32 vcc, v20, v22
	s_and_saveexec_b64 s[2:3], vcc
	s_cbranch_execz .LBB2341_72
.LBB2341_71:
	v_readfirstlane_b32 s4, v16
	v_readfirstlane_b32 s5, v17
	s_waitcnt lgkmcnt(0)
	s_nop 3
	global_store_dwordx2 v1, v[2:3], s[4:5] offset:3072
.LBB2341_72:
	s_or_b64 exec, exec, s[2:3]
	v_cmp_lt_u32_e64 s[2:3], v13, v22
.LBB2341_73:
	s_and_saveexec_b64 s[4:5], s[2:3]
	s_cbranch_execnz .LBB2341_76
; %bb.74:
	s_or_b64 exec, exec, s[4:5]
	s_and_b64 s[0:1], s[0:1], s[22:23]
	s_and_saveexec_b64 s[2:3], s[0:1]
	s_cbranch_execnz .LBB2341_77
.LBB2341_75:
	s_endpgm
.LBB2341_76:
	v_lshlrev_b32_e32 v0, 3, v13
	v_readfirstlane_b32 s2, v16
	v_readfirstlane_b32 s3, v17
	s_waitcnt lgkmcnt(0)
	s_nop 3
	global_store_dwordx2 v0, v[4:5], s[2:3]
	s_or_b64 exec, exec, s[4:5]
	s_and_b64 s[0:1], s[0:1], s[22:23]
	s_and_saveexec_b64 s[2:3], s[0:1]
	s_cbranch_execz .LBB2341_75
.LBB2341_77:
	v_add_co_u32_e32 v0, vcc, v10, v12
	v_addc_co_u32_e32 v1, vcc, 0, v11, vcc
	v_add_co_u32_e32 v0, vcc, v0, v14
	s_waitcnt lgkmcnt(0)
	v_mov_b32_e32 v2, 0
	v_addc_co_u32_e32 v1, vcc, 0, v1, vcc
	global_store_dwordx2 v2, v[0:1], s[20:21]
	s_endpgm
.LBB2341_78:
	v_readfirstlane_b32 s4, v16
	v_readfirstlane_b32 s5, v17
	s_waitcnt lgkmcnt(1)
	s_nop 3
	global_store_dwordx2 v1, v[6:7], s[4:5]
	s_or_b64 exec, exec, s[2:3]
	v_cmp_lt_u32_e32 vcc, v21, v12
	s_and_saveexec_b64 s[2:3], vcc
	s_cbranch_execz .LBB2341_64
.LBB2341_79:
	v_readfirstlane_b32 s4, v16
	v_readfirstlane_b32 s5, v17
	s_waitcnt lgkmcnt(1)
	s_nop 3
	global_store_dwordx2 v1, v[8:9], s[4:5] offset:1536
	s_or_b64 exec, exec, s[2:3]
	v_cmp_lt_u32_e32 vcc, v20, v12
	s_and_saveexec_b64 s[2:3], vcc
	s_cbranch_execnz .LBB2341_65
	s_branch .LBB2341_66
.LBB2341_80:
	v_readfirstlane_b32 s4, v16
	v_readfirstlane_b32 s5, v17
	s_waitcnt lgkmcnt(1)
	s_nop 3
	global_store_dwordx2 v1, v[6:7], s[4:5]
	s_or_b64 exec, exec, s[2:3]
	v_cmp_lt_u32_e32 vcc, v21, v22
	s_and_saveexec_b64 s[2:3], vcc
	s_cbranch_execz .LBB2341_70
.LBB2341_81:
	v_readfirstlane_b32 s4, v16
	v_readfirstlane_b32 s5, v17
	s_waitcnt lgkmcnt(1)
	s_nop 3
	global_store_dwordx2 v1, v[8:9], s[4:5] offset:1536
	s_or_b64 exec, exec, s[2:3]
	v_cmp_lt_u32_e32 vcc, v20, v22
	s_and_saveexec_b64 s[2:3], vcc
	s_cbranch_execnz .LBB2341_71
	s_branch .LBB2341_72
	.section	.rodata,"a",@progbits
	.p2align	6, 0x0
	.amdhsa_kernel _ZN7rocprim17ROCPRIM_400000_NS6detail17trampoline_kernelINS0_14default_configENS1_25partition_config_selectorILNS1_17partition_subalgoE0EyNS0_10empty_typeEbEEZZNS1_14partition_implILS5_0ELb0ES3_jN6thrust23THRUST_200600_302600_NS6detail15normal_iteratorINSA_10device_ptrIyEEEEPS6_SG_NS0_5tupleIJSF_NSA_16discard_iteratorINSA_11use_defaultEEEEEENSH_IJSG_SG_EEES6_PlJ7is_evenIyEEEE10hipError_tPvRmT3_T4_T5_T6_T7_T9_mT8_P12ihipStream_tbDpT10_ENKUlT_T0_E_clISt17integral_constantIbLb1EES19_EEDaS14_S15_EUlS14_E_NS1_11comp_targetILNS1_3genE4ELNS1_11target_archE910ELNS1_3gpuE8ELNS1_3repE0EEENS1_30default_config_static_selectorELNS0_4arch9wavefront6targetE1EEEvT1_
		.amdhsa_group_segment_fixed_size 6344
		.amdhsa_private_segment_fixed_size 0
		.amdhsa_kernarg_size 144
		.amdhsa_user_sgpr_count 6
		.amdhsa_user_sgpr_private_segment_buffer 1
		.amdhsa_user_sgpr_dispatch_ptr 0
		.amdhsa_user_sgpr_queue_ptr 0
		.amdhsa_user_sgpr_kernarg_segment_ptr 1
		.amdhsa_user_sgpr_dispatch_id 0
		.amdhsa_user_sgpr_flat_scratch_init 0
		.amdhsa_user_sgpr_kernarg_preload_length 0
		.amdhsa_user_sgpr_kernarg_preload_offset 0
		.amdhsa_user_sgpr_private_segment_size 0
		.amdhsa_uses_dynamic_stack 0
		.amdhsa_system_sgpr_private_segment_wavefront_offset 0
		.amdhsa_system_sgpr_workgroup_id_x 1
		.amdhsa_system_sgpr_workgroup_id_y 0
		.amdhsa_system_sgpr_workgroup_id_z 0
		.amdhsa_system_sgpr_workgroup_info 0
		.amdhsa_system_vgpr_workitem_id 0
		.amdhsa_next_free_vgpr 45
		.amdhsa_next_free_sgpr 40
		.amdhsa_accum_offset 48
		.amdhsa_reserve_vcc 1
		.amdhsa_reserve_flat_scratch 0
		.amdhsa_float_round_mode_32 0
		.amdhsa_float_round_mode_16_64 0
		.amdhsa_float_denorm_mode_32 3
		.amdhsa_float_denorm_mode_16_64 3
		.amdhsa_dx10_clamp 1
		.amdhsa_ieee_mode 1
		.amdhsa_fp16_overflow 0
		.amdhsa_tg_split 0
		.amdhsa_exception_fp_ieee_invalid_op 0
		.amdhsa_exception_fp_denorm_src 0
		.amdhsa_exception_fp_ieee_div_zero 0
		.amdhsa_exception_fp_ieee_overflow 0
		.amdhsa_exception_fp_ieee_underflow 0
		.amdhsa_exception_fp_ieee_inexact 0
		.amdhsa_exception_int_div_zero 0
	.end_amdhsa_kernel
	.section	.text._ZN7rocprim17ROCPRIM_400000_NS6detail17trampoline_kernelINS0_14default_configENS1_25partition_config_selectorILNS1_17partition_subalgoE0EyNS0_10empty_typeEbEEZZNS1_14partition_implILS5_0ELb0ES3_jN6thrust23THRUST_200600_302600_NS6detail15normal_iteratorINSA_10device_ptrIyEEEEPS6_SG_NS0_5tupleIJSF_NSA_16discard_iteratorINSA_11use_defaultEEEEEENSH_IJSG_SG_EEES6_PlJ7is_evenIyEEEE10hipError_tPvRmT3_T4_T5_T6_T7_T9_mT8_P12ihipStream_tbDpT10_ENKUlT_T0_E_clISt17integral_constantIbLb1EES19_EEDaS14_S15_EUlS14_E_NS1_11comp_targetILNS1_3genE4ELNS1_11target_archE910ELNS1_3gpuE8ELNS1_3repE0EEENS1_30default_config_static_selectorELNS0_4arch9wavefront6targetE1EEEvT1_,"axG",@progbits,_ZN7rocprim17ROCPRIM_400000_NS6detail17trampoline_kernelINS0_14default_configENS1_25partition_config_selectorILNS1_17partition_subalgoE0EyNS0_10empty_typeEbEEZZNS1_14partition_implILS5_0ELb0ES3_jN6thrust23THRUST_200600_302600_NS6detail15normal_iteratorINSA_10device_ptrIyEEEEPS6_SG_NS0_5tupleIJSF_NSA_16discard_iteratorINSA_11use_defaultEEEEEENSH_IJSG_SG_EEES6_PlJ7is_evenIyEEEE10hipError_tPvRmT3_T4_T5_T6_T7_T9_mT8_P12ihipStream_tbDpT10_ENKUlT_T0_E_clISt17integral_constantIbLb1EES19_EEDaS14_S15_EUlS14_E_NS1_11comp_targetILNS1_3genE4ELNS1_11target_archE910ELNS1_3gpuE8ELNS1_3repE0EEENS1_30default_config_static_selectorELNS0_4arch9wavefront6targetE1EEEvT1_,comdat
.Lfunc_end2341:
	.size	_ZN7rocprim17ROCPRIM_400000_NS6detail17trampoline_kernelINS0_14default_configENS1_25partition_config_selectorILNS1_17partition_subalgoE0EyNS0_10empty_typeEbEEZZNS1_14partition_implILS5_0ELb0ES3_jN6thrust23THRUST_200600_302600_NS6detail15normal_iteratorINSA_10device_ptrIyEEEEPS6_SG_NS0_5tupleIJSF_NSA_16discard_iteratorINSA_11use_defaultEEEEEENSH_IJSG_SG_EEES6_PlJ7is_evenIyEEEE10hipError_tPvRmT3_T4_T5_T6_T7_T9_mT8_P12ihipStream_tbDpT10_ENKUlT_T0_E_clISt17integral_constantIbLb1EES19_EEDaS14_S15_EUlS14_E_NS1_11comp_targetILNS1_3genE4ELNS1_11target_archE910ELNS1_3gpuE8ELNS1_3repE0EEENS1_30default_config_static_selectorELNS0_4arch9wavefront6targetE1EEEvT1_, .Lfunc_end2341-_ZN7rocprim17ROCPRIM_400000_NS6detail17trampoline_kernelINS0_14default_configENS1_25partition_config_selectorILNS1_17partition_subalgoE0EyNS0_10empty_typeEbEEZZNS1_14partition_implILS5_0ELb0ES3_jN6thrust23THRUST_200600_302600_NS6detail15normal_iteratorINSA_10device_ptrIyEEEEPS6_SG_NS0_5tupleIJSF_NSA_16discard_iteratorINSA_11use_defaultEEEEEENSH_IJSG_SG_EEES6_PlJ7is_evenIyEEEE10hipError_tPvRmT3_T4_T5_T6_T7_T9_mT8_P12ihipStream_tbDpT10_ENKUlT_T0_E_clISt17integral_constantIbLb1EES19_EEDaS14_S15_EUlS14_E_NS1_11comp_targetILNS1_3genE4ELNS1_11target_archE910ELNS1_3gpuE8ELNS1_3repE0EEENS1_30default_config_static_selectorELNS0_4arch9wavefront6targetE1EEEvT1_
                                        ; -- End function
	.section	.AMDGPU.csdata,"",@progbits
; Kernel info:
; codeLenInByte = 3808
; NumSgprs: 44
; NumVgprs: 45
; NumAgprs: 0
; TotalNumVgprs: 45
; ScratchSize: 0
; MemoryBound: 0
; FloatMode: 240
; IeeeMode: 1
; LDSByteSize: 6344 bytes/workgroup (compile time only)
; SGPRBlocks: 5
; VGPRBlocks: 5
; NumSGPRsForWavesPerEU: 44
; NumVGPRsForWavesPerEU: 45
; AccumOffset: 48
; Occupancy: 8
; WaveLimiterHint : 1
; COMPUTE_PGM_RSRC2:SCRATCH_EN: 0
; COMPUTE_PGM_RSRC2:USER_SGPR: 6
; COMPUTE_PGM_RSRC2:TRAP_HANDLER: 0
; COMPUTE_PGM_RSRC2:TGID_X_EN: 1
; COMPUTE_PGM_RSRC2:TGID_Y_EN: 0
; COMPUTE_PGM_RSRC2:TGID_Z_EN: 0
; COMPUTE_PGM_RSRC2:TIDIG_COMP_CNT: 0
; COMPUTE_PGM_RSRC3_GFX90A:ACCUM_OFFSET: 11
; COMPUTE_PGM_RSRC3_GFX90A:TG_SPLIT: 0
	.section	.text._ZN7rocprim17ROCPRIM_400000_NS6detail17trampoline_kernelINS0_14default_configENS1_25partition_config_selectorILNS1_17partition_subalgoE0EyNS0_10empty_typeEbEEZZNS1_14partition_implILS5_0ELb0ES3_jN6thrust23THRUST_200600_302600_NS6detail15normal_iteratorINSA_10device_ptrIyEEEEPS6_SG_NS0_5tupleIJSF_NSA_16discard_iteratorINSA_11use_defaultEEEEEENSH_IJSG_SG_EEES6_PlJ7is_evenIyEEEE10hipError_tPvRmT3_T4_T5_T6_T7_T9_mT8_P12ihipStream_tbDpT10_ENKUlT_T0_E_clISt17integral_constantIbLb1EES19_EEDaS14_S15_EUlS14_E_NS1_11comp_targetILNS1_3genE3ELNS1_11target_archE908ELNS1_3gpuE7ELNS1_3repE0EEENS1_30default_config_static_selectorELNS0_4arch9wavefront6targetE1EEEvT1_,"axG",@progbits,_ZN7rocprim17ROCPRIM_400000_NS6detail17trampoline_kernelINS0_14default_configENS1_25partition_config_selectorILNS1_17partition_subalgoE0EyNS0_10empty_typeEbEEZZNS1_14partition_implILS5_0ELb0ES3_jN6thrust23THRUST_200600_302600_NS6detail15normal_iteratorINSA_10device_ptrIyEEEEPS6_SG_NS0_5tupleIJSF_NSA_16discard_iteratorINSA_11use_defaultEEEEEENSH_IJSG_SG_EEES6_PlJ7is_evenIyEEEE10hipError_tPvRmT3_T4_T5_T6_T7_T9_mT8_P12ihipStream_tbDpT10_ENKUlT_T0_E_clISt17integral_constantIbLb1EES19_EEDaS14_S15_EUlS14_E_NS1_11comp_targetILNS1_3genE3ELNS1_11target_archE908ELNS1_3gpuE7ELNS1_3repE0EEENS1_30default_config_static_selectorELNS0_4arch9wavefront6targetE1EEEvT1_,comdat
	.protected	_ZN7rocprim17ROCPRIM_400000_NS6detail17trampoline_kernelINS0_14default_configENS1_25partition_config_selectorILNS1_17partition_subalgoE0EyNS0_10empty_typeEbEEZZNS1_14partition_implILS5_0ELb0ES3_jN6thrust23THRUST_200600_302600_NS6detail15normal_iteratorINSA_10device_ptrIyEEEEPS6_SG_NS0_5tupleIJSF_NSA_16discard_iteratorINSA_11use_defaultEEEEEENSH_IJSG_SG_EEES6_PlJ7is_evenIyEEEE10hipError_tPvRmT3_T4_T5_T6_T7_T9_mT8_P12ihipStream_tbDpT10_ENKUlT_T0_E_clISt17integral_constantIbLb1EES19_EEDaS14_S15_EUlS14_E_NS1_11comp_targetILNS1_3genE3ELNS1_11target_archE908ELNS1_3gpuE7ELNS1_3repE0EEENS1_30default_config_static_selectorELNS0_4arch9wavefront6targetE1EEEvT1_ ; -- Begin function _ZN7rocprim17ROCPRIM_400000_NS6detail17trampoline_kernelINS0_14default_configENS1_25partition_config_selectorILNS1_17partition_subalgoE0EyNS0_10empty_typeEbEEZZNS1_14partition_implILS5_0ELb0ES3_jN6thrust23THRUST_200600_302600_NS6detail15normal_iteratorINSA_10device_ptrIyEEEEPS6_SG_NS0_5tupleIJSF_NSA_16discard_iteratorINSA_11use_defaultEEEEEENSH_IJSG_SG_EEES6_PlJ7is_evenIyEEEE10hipError_tPvRmT3_T4_T5_T6_T7_T9_mT8_P12ihipStream_tbDpT10_ENKUlT_T0_E_clISt17integral_constantIbLb1EES19_EEDaS14_S15_EUlS14_E_NS1_11comp_targetILNS1_3genE3ELNS1_11target_archE908ELNS1_3gpuE7ELNS1_3repE0EEENS1_30default_config_static_selectorELNS0_4arch9wavefront6targetE1EEEvT1_
	.globl	_ZN7rocprim17ROCPRIM_400000_NS6detail17trampoline_kernelINS0_14default_configENS1_25partition_config_selectorILNS1_17partition_subalgoE0EyNS0_10empty_typeEbEEZZNS1_14partition_implILS5_0ELb0ES3_jN6thrust23THRUST_200600_302600_NS6detail15normal_iteratorINSA_10device_ptrIyEEEEPS6_SG_NS0_5tupleIJSF_NSA_16discard_iteratorINSA_11use_defaultEEEEEENSH_IJSG_SG_EEES6_PlJ7is_evenIyEEEE10hipError_tPvRmT3_T4_T5_T6_T7_T9_mT8_P12ihipStream_tbDpT10_ENKUlT_T0_E_clISt17integral_constantIbLb1EES19_EEDaS14_S15_EUlS14_E_NS1_11comp_targetILNS1_3genE3ELNS1_11target_archE908ELNS1_3gpuE7ELNS1_3repE0EEENS1_30default_config_static_selectorELNS0_4arch9wavefront6targetE1EEEvT1_
	.p2align	8
	.type	_ZN7rocprim17ROCPRIM_400000_NS6detail17trampoline_kernelINS0_14default_configENS1_25partition_config_selectorILNS1_17partition_subalgoE0EyNS0_10empty_typeEbEEZZNS1_14partition_implILS5_0ELb0ES3_jN6thrust23THRUST_200600_302600_NS6detail15normal_iteratorINSA_10device_ptrIyEEEEPS6_SG_NS0_5tupleIJSF_NSA_16discard_iteratorINSA_11use_defaultEEEEEENSH_IJSG_SG_EEES6_PlJ7is_evenIyEEEE10hipError_tPvRmT3_T4_T5_T6_T7_T9_mT8_P12ihipStream_tbDpT10_ENKUlT_T0_E_clISt17integral_constantIbLb1EES19_EEDaS14_S15_EUlS14_E_NS1_11comp_targetILNS1_3genE3ELNS1_11target_archE908ELNS1_3gpuE7ELNS1_3repE0EEENS1_30default_config_static_selectorELNS0_4arch9wavefront6targetE1EEEvT1_,@function
_ZN7rocprim17ROCPRIM_400000_NS6detail17trampoline_kernelINS0_14default_configENS1_25partition_config_selectorILNS1_17partition_subalgoE0EyNS0_10empty_typeEbEEZZNS1_14partition_implILS5_0ELb0ES3_jN6thrust23THRUST_200600_302600_NS6detail15normal_iteratorINSA_10device_ptrIyEEEEPS6_SG_NS0_5tupleIJSF_NSA_16discard_iteratorINSA_11use_defaultEEEEEENSH_IJSG_SG_EEES6_PlJ7is_evenIyEEEE10hipError_tPvRmT3_T4_T5_T6_T7_T9_mT8_P12ihipStream_tbDpT10_ENKUlT_T0_E_clISt17integral_constantIbLb1EES19_EEDaS14_S15_EUlS14_E_NS1_11comp_targetILNS1_3genE3ELNS1_11target_archE908ELNS1_3gpuE7ELNS1_3repE0EEENS1_30default_config_static_selectorELNS0_4arch9wavefront6targetE1EEEvT1_: ; @_ZN7rocprim17ROCPRIM_400000_NS6detail17trampoline_kernelINS0_14default_configENS1_25partition_config_selectorILNS1_17partition_subalgoE0EyNS0_10empty_typeEbEEZZNS1_14partition_implILS5_0ELb0ES3_jN6thrust23THRUST_200600_302600_NS6detail15normal_iteratorINSA_10device_ptrIyEEEEPS6_SG_NS0_5tupleIJSF_NSA_16discard_iteratorINSA_11use_defaultEEEEEENSH_IJSG_SG_EEES6_PlJ7is_evenIyEEEE10hipError_tPvRmT3_T4_T5_T6_T7_T9_mT8_P12ihipStream_tbDpT10_ENKUlT_T0_E_clISt17integral_constantIbLb1EES19_EEDaS14_S15_EUlS14_E_NS1_11comp_targetILNS1_3genE3ELNS1_11target_archE908ELNS1_3gpuE7ELNS1_3repE0EEENS1_30default_config_static_selectorELNS0_4arch9wavefront6targetE1EEEvT1_
; %bb.0:
	.section	.rodata,"a",@progbits
	.p2align	6, 0x0
	.amdhsa_kernel _ZN7rocprim17ROCPRIM_400000_NS6detail17trampoline_kernelINS0_14default_configENS1_25partition_config_selectorILNS1_17partition_subalgoE0EyNS0_10empty_typeEbEEZZNS1_14partition_implILS5_0ELb0ES3_jN6thrust23THRUST_200600_302600_NS6detail15normal_iteratorINSA_10device_ptrIyEEEEPS6_SG_NS0_5tupleIJSF_NSA_16discard_iteratorINSA_11use_defaultEEEEEENSH_IJSG_SG_EEES6_PlJ7is_evenIyEEEE10hipError_tPvRmT3_T4_T5_T6_T7_T9_mT8_P12ihipStream_tbDpT10_ENKUlT_T0_E_clISt17integral_constantIbLb1EES19_EEDaS14_S15_EUlS14_E_NS1_11comp_targetILNS1_3genE3ELNS1_11target_archE908ELNS1_3gpuE7ELNS1_3repE0EEENS1_30default_config_static_selectorELNS0_4arch9wavefront6targetE1EEEvT1_
		.amdhsa_group_segment_fixed_size 0
		.amdhsa_private_segment_fixed_size 0
		.amdhsa_kernarg_size 144
		.amdhsa_user_sgpr_count 6
		.amdhsa_user_sgpr_private_segment_buffer 1
		.amdhsa_user_sgpr_dispatch_ptr 0
		.amdhsa_user_sgpr_queue_ptr 0
		.amdhsa_user_sgpr_kernarg_segment_ptr 1
		.amdhsa_user_sgpr_dispatch_id 0
		.amdhsa_user_sgpr_flat_scratch_init 0
		.amdhsa_user_sgpr_kernarg_preload_length 0
		.amdhsa_user_sgpr_kernarg_preload_offset 0
		.amdhsa_user_sgpr_private_segment_size 0
		.amdhsa_uses_dynamic_stack 0
		.amdhsa_system_sgpr_private_segment_wavefront_offset 0
		.amdhsa_system_sgpr_workgroup_id_x 1
		.amdhsa_system_sgpr_workgroup_id_y 0
		.amdhsa_system_sgpr_workgroup_id_z 0
		.amdhsa_system_sgpr_workgroup_info 0
		.amdhsa_system_vgpr_workitem_id 0
		.amdhsa_next_free_vgpr 1
		.amdhsa_next_free_sgpr 0
		.amdhsa_accum_offset 4
		.amdhsa_reserve_vcc 0
		.amdhsa_reserve_flat_scratch 0
		.amdhsa_float_round_mode_32 0
		.amdhsa_float_round_mode_16_64 0
		.amdhsa_float_denorm_mode_32 3
		.amdhsa_float_denorm_mode_16_64 3
		.amdhsa_dx10_clamp 1
		.amdhsa_ieee_mode 1
		.amdhsa_fp16_overflow 0
		.amdhsa_tg_split 0
		.amdhsa_exception_fp_ieee_invalid_op 0
		.amdhsa_exception_fp_denorm_src 0
		.amdhsa_exception_fp_ieee_div_zero 0
		.amdhsa_exception_fp_ieee_overflow 0
		.amdhsa_exception_fp_ieee_underflow 0
		.amdhsa_exception_fp_ieee_inexact 0
		.amdhsa_exception_int_div_zero 0
	.end_amdhsa_kernel
	.section	.text._ZN7rocprim17ROCPRIM_400000_NS6detail17trampoline_kernelINS0_14default_configENS1_25partition_config_selectorILNS1_17partition_subalgoE0EyNS0_10empty_typeEbEEZZNS1_14partition_implILS5_0ELb0ES3_jN6thrust23THRUST_200600_302600_NS6detail15normal_iteratorINSA_10device_ptrIyEEEEPS6_SG_NS0_5tupleIJSF_NSA_16discard_iteratorINSA_11use_defaultEEEEEENSH_IJSG_SG_EEES6_PlJ7is_evenIyEEEE10hipError_tPvRmT3_T4_T5_T6_T7_T9_mT8_P12ihipStream_tbDpT10_ENKUlT_T0_E_clISt17integral_constantIbLb1EES19_EEDaS14_S15_EUlS14_E_NS1_11comp_targetILNS1_3genE3ELNS1_11target_archE908ELNS1_3gpuE7ELNS1_3repE0EEENS1_30default_config_static_selectorELNS0_4arch9wavefront6targetE1EEEvT1_,"axG",@progbits,_ZN7rocprim17ROCPRIM_400000_NS6detail17trampoline_kernelINS0_14default_configENS1_25partition_config_selectorILNS1_17partition_subalgoE0EyNS0_10empty_typeEbEEZZNS1_14partition_implILS5_0ELb0ES3_jN6thrust23THRUST_200600_302600_NS6detail15normal_iteratorINSA_10device_ptrIyEEEEPS6_SG_NS0_5tupleIJSF_NSA_16discard_iteratorINSA_11use_defaultEEEEEENSH_IJSG_SG_EEES6_PlJ7is_evenIyEEEE10hipError_tPvRmT3_T4_T5_T6_T7_T9_mT8_P12ihipStream_tbDpT10_ENKUlT_T0_E_clISt17integral_constantIbLb1EES19_EEDaS14_S15_EUlS14_E_NS1_11comp_targetILNS1_3genE3ELNS1_11target_archE908ELNS1_3gpuE7ELNS1_3repE0EEENS1_30default_config_static_selectorELNS0_4arch9wavefront6targetE1EEEvT1_,comdat
.Lfunc_end2342:
	.size	_ZN7rocprim17ROCPRIM_400000_NS6detail17trampoline_kernelINS0_14default_configENS1_25partition_config_selectorILNS1_17partition_subalgoE0EyNS0_10empty_typeEbEEZZNS1_14partition_implILS5_0ELb0ES3_jN6thrust23THRUST_200600_302600_NS6detail15normal_iteratorINSA_10device_ptrIyEEEEPS6_SG_NS0_5tupleIJSF_NSA_16discard_iteratorINSA_11use_defaultEEEEEENSH_IJSG_SG_EEES6_PlJ7is_evenIyEEEE10hipError_tPvRmT3_T4_T5_T6_T7_T9_mT8_P12ihipStream_tbDpT10_ENKUlT_T0_E_clISt17integral_constantIbLb1EES19_EEDaS14_S15_EUlS14_E_NS1_11comp_targetILNS1_3genE3ELNS1_11target_archE908ELNS1_3gpuE7ELNS1_3repE0EEENS1_30default_config_static_selectorELNS0_4arch9wavefront6targetE1EEEvT1_, .Lfunc_end2342-_ZN7rocprim17ROCPRIM_400000_NS6detail17trampoline_kernelINS0_14default_configENS1_25partition_config_selectorILNS1_17partition_subalgoE0EyNS0_10empty_typeEbEEZZNS1_14partition_implILS5_0ELb0ES3_jN6thrust23THRUST_200600_302600_NS6detail15normal_iteratorINSA_10device_ptrIyEEEEPS6_SG_NS0_5tupleIJSF_NSA_16discard_iteratorINSA_11use_defaultEEEEEENSH_IJSG_SG_EEES6_PlJ7is_evenIyEEEE10hipError_tPvRmT3_T4_T5_T6_T7_T9_mT8_P12ihipStream_tbDpT10_ENKUlT_T0_E_clISt17integral_constantIbLb1EES19_EEDaS14_S15_EUlS14_E_NS1_11comp_targetILNS1_3genE3ELNS1_11target_archE908ELNS1_3gpuE7ELNS1_3repE0EEENS1_30default_config_static_selectorELNS0_4arch9wavefront6targetE1EEEvT1_
                                        ; -- End function
	.section	.AMDGPU.csdata,"",@progbits
; Kernel info:
; codeLenInByte = 0
; NumSgprs: 4
; NumVgprs: 0
; NumAgprs: 0
; TotalNumVgprs: 0
; ScratchSize: 0
; MemoryBound: 0
; FloatMode: 240
; IeeeMode: 1
; LDSByteSize: 0 bytes/workgroup (compile time only)
; SGPRBlocks: 0
; VGPRBlocks: 0
; NumSGPRsForWavesPerEU: 4
; NumVGPRsForWavesPerEU: 1
; AccumOffset: 4
; Occupancy: 8
; WaveLimiterHint : 0
; COMPUTE_PGM_RSRC2:SCRATCH_EN: 0
; COMPUTE_PGM_RSRC2:USER_SGPR: 6
; COMPUTE_PGM_RSRC2:TRAP_HANDLER: 0
; COMPUTE_PGM_RSRC2:TGID_X_EN: 1
; COMPUTE_PGM_RSRC2:TGID_Y_EN: 0
; COMPUTE_PGM_RSRC2:TGID_Z_EN: 0
; COMPUTE_PGM_RSRC2:TIDIG_COMP_CNT: 0
; COMPUTE_PGM_RSRC3_GFX90A:ACCUM_OFFSET: 0
; COMPUTE_PGM_RSRC3_GFX90A:TG_SPLIT: 0
	.section	.text._ZN7rocprim17ROCPRIM_400000_NS6detail17trampoline_kernelINS0_14default_configENS1_25partition_config_selectorILNS1_17partition_subalgoE0EyNS0_10empty_typeEbEEZZNS1_14partition_implILS5_0ELb0ES3_jN6thrust23THRUST_200600_302600_NS6detail15normal_iteratorINSA_10device_ptrIyEEEEPS6_SG_NS0_5tupleIJSF_NSA_16discard_iteratorINSA_11use_defaultEEEEEENSH_IJSG_SG_EEES6_PlJ7is_evenIyEEEE10hipError_tPvRmT3_T4_T5_T6_T7_T9_mT8_P12ihipStream_tbDpT10_ENKUlT_T0_E_clISt17integral_constantIbLb1EES19_EEDaS14_S15_EUlS14_E_NS1_11comp_targetILNS1_3genE2ELNS1_11target_archE906ELNS1_3gpuE6ELNS1_3repE0EEENS1_30default_config_static_selectorELNS0_4arch9wavefront6targetE1EEEvT1_,"axG",@progbits,_ZN7rocprim17ROCPRIM_400000_NS6detail17trampoline_kernelINS0_14default_configENS1_25partition_config_selectorILNS1_17partition_subalgoE0EyNS0_10empty_typeEbEEZZNS1_14partition_implILS5_0ELb0ES3_jN6thrust23THRUST_200600_302600_NS6detail15normal_iteratorINSA_10device_ptrIyEEEEPS6_SG_NS0_5tupleIJSF_NSA_16discard_iteratorINSA_11use_defaultEEEEEENSH_IJSG_SG_EEES6_PlJ7is_evenIyEEEE10hipError_tPvRmT3_T4_T5_T6_T7_T9_mT8_P12ihipStream_tbDpT10_ENKUlT_T0_E_clISt17integral_constantIbLb1EES19_EEDaS14_S15_EUlS14_E_NS1_11comp_targetILNS1_3genE2ELNS1_11target_archE906ELNS1_3gpuE6ELNS1_3repE0EEENS1_30default_config_static_selectorELNS0_4arch9wavefront6targetE1EEEvT1_,comdat
	.protected	_ZN7rocprim17ROCPRIM_400000_NS6detail17trampoline_kernelINS0_14default_configENS1_25partition_config_selectorILNS1_17partition_subalgoE0EyNS0_10empty_typeEbEEZZNS1_14partition_implILS5_0ELb0ES3_jN6thrust23THRUST_200600_302600_NS6detail15normal_iteratorINSA_10device_ptrIyEEEEPS6_SG_NS0_5tupleIJSF_NSA_16discard_iteratorINSA_11use_defaultEEEEEENSH_IJSG_SG_EEES6_PlJ7is_evenIyEEEE10hipError_tPvRmT3_T4_T5_T6_T7_T9_mT8_P12ihipStream_tbDpT10_ENKUlT_T0_E_clISt17integral_constantIbLb1EES19_EEDaS14_S15_EUlS14_E_NS1_11comp_targetILNS1_3genE2ELNS1_11target_archE906ELNS1_3gpuE6ELNS1_3repE0EEENS1_30default_config_static_selectorELNS0_4arch9wavefront6targetE1EEEvT1_ ; -- Begin function _ZN7rocprim17ROCPRIM_400000_NS6detail17trampoline_kernelINS0_14default_configENS1_25partition_config_selectorILNS1_17partition_subalgoE0EyNS0_10empty_typeEbEEZZNS1_14partition_implILS5_0ELb0ES3_jN6thrust23THRUST_200600_302600_NS6detail15normal_iteratorINSA_10device_ptrIyEEEEPS6_SG_NS0_5tupleIJSF_NSA_16discard_iteratorINSA_11use_defaultEEEEEENSH_IJSG_SG_EEES6_PlJ7is_evenIyEEEE10hipError_tPvRmT3_T4_T5_T6_T7_T9_mT8_P12ihipStream_tbDpT10_ENKUlT_T0_E_clISt17integral_constantIbLb1EES19_EEDaS14_S15_EUlS14_E_NS1_11comp_targetILNS1_3genE2ELNS1_11target_archE906ELNS1_3gpuE6ELNS1_3repE0EEENS1_30default_config_static_selectorELNS0_4arch9wavefront6targetE1EEEvT1_
	.globl	_ZN7rocprim17ROCPRIM_400000_NS6detail17trampoline_kernelINS0_14default_configENS1_25partition_config_selectorILNS1_17partition_subalgoE0EyNS0_10empty_typeEbEEZZNS1_14partition_implILS5_0ELb0ES3_jN6thrust23THRUST_200600_302600_NS6detail15normal_iteratorINSA_10device_ptrIyEEEEPS6_SG_NS0_5tupleIJSF_NSA_16discard_iteratorINSA_11use_defaultEEEEEENSH_IJSG_SG_EEES6_PlJ7is_evenIyEEEE10hipError_tPvRmT3_T4_T5_T6_T7_T9_mT8_P12ihipStream_tbDpT10_ENKUlT_T0_E_clISt17integral_constantIbLb1EES19_EEDaS14_S15_EUlS14_E_NS1_11comp_targetILNS1_3genE2ELNS1_11target_archE906ELNS1_3gpuE6ELNS1_3repE0EEENS1_30default_config_static_selectorELNS0_4arch9wavefront6targetE1EEEvT1_
	.p2align	8
	.type	_ZN7rocprim17ROCPRIM_400000_NS6detail17trampoline_kernelINS0_14default_configENS1_25partition_config_selectorILNS1_17partition_subalgoE0EyNS0_10empty_typeEbEEZZNS1_14partition_implILS5_0ELb0ES3_jN6thrust23THRUST_200600_302600_NS6detail15normal_iteratorINSA_10device_ptrIyEEEEPS6_SG_NS0_5tupleIJSF_NSA_16discard_iteratorINSA_11use_defaultEEEEEENSH_IJSG_SG_EEES6_PlJ7is_evenIyEEEE10hipError_tPvRmT3_T4_T5_T6_T7_T9_mT8_P12ihipStream_tbDpT10_ENKUlT_T0_E_clISt17integral_constantIbLb1EES19_EEDaS14_S15_EUlS14_E_NS1_11comp_targetILNS1_3genE2ELNS1_11target_archE906ELNS1_3gpuE6ELNS1_3repE0EEENS1_30default_config_static_selectorELNS0_4arch9wavefront6targetE1EEEvT1_,@function
_ZN7rocprim17ROCPRIM_400000_NS6detail17trampoline_kernelINS0_14default_configENS1_25partition_config_selectorILNS1_17partition_subalgoE0EyNS0_10empty_typeEbEEZZNS1_14partition_implILS5_0ELb0ES3_jN6thrust23THRUST_200600_302600_NS6detail15normal_iteratorINSA_10device_ptrIyEEEEPS6_SG_NS0_5tupleIJSF_NSA_16discard_iteratorINSA_11use_defaultEEEEEENSH_IJSG_SG_EEES6_PlJ7is_evenIyEEEE10hipError_tPvRmT3_T4_T5_T6_T7_T9_mT8_P12ihipStream_tbDpT10_ENKUlT_T0_E_clISt17integral_constantIbLb1EES19_EEDaS14_S15_EUlS14_E_NS1_11comp_targetILNS1_3genE2ELNS1_11target_archE906ELNS1_3gpuE6ELNS1_3repE0EEENS1_30default_config_static_selectorELNS0_4arch9wavefront6targetE1EEEvT1_: ; @_ZN7rocprim17ROCPRIM_400000_NS6detail17trampoline_kernelINS0_14default_configENS1_25partition_config_selectorILNS1_17partition_subalgoE0EyNS0_10empty_typeEbEEZZNS1_14partition_implILS5_0ELb0ES3_jN6thrust23THRUST_200600_302600_NS6detail15normal_iteratorINSA_10device_ptrIyEEEEPS6_SG_NS0_5tupleIJSF_NSA_16discard_iteratorINSA_11use_defaultEEEEEENSH_IJSG_SG_EEES6_PlJ7is_evenIyEEEE10hipError_tPvRmT3_T4_T5_T6_T7_T9_mT8_P12ihipStream_tbDpT10_ENKUlT_T0_E_clISt17integral_constantIbLb1EES19_EEDaS14_S15_EUlS14_E_NS1_11comp_targetILNS1_3genE2ELNS1_11target_archE906ELNS1_3gpuE6ELNS1_3repE0EEENS1_30default_config_static_selectorELNS0_4arch9wavefront6targetE1EEEvT1_
; %bb.0:
	.section	.rodata,"a",@progbits
	.p2align	6, 0x0
	.amdhsa_kernel _ZN7rocprim17ROCPRIM_400000_NS6detail17trampoline_kernelINS0_14default_configENS1_25partition_config_selectorILNS1_17partition_subalgoE0EyNS0_10empty_typeEbEEZZNS1_14partition_implILS5_0ELb0ES3_jN6thrust23THRUST_200600_302600_NS6detail15normal_iteratorINSA_10device_ptrIyEEEEPS6_SG_NS0_5tupleIJSF_NSA_16discard_iteratorINSA_11use_defaultEEEEEENSH_IJSG_SG_EEES6_PlJ7is_evenIyEEEE10hipError_tPvRmT3_T4_T5_T6_T7_T9_mT8_P12ihipStream_tbDpT10_ENKUlT_T0_E_clISt17integral_constantIbLb1EES19_EEDaS14_S15_EUlS14_E_NS1_11comp_targetILNS1_3genE2ELNS1_11target_archE906ELNS1_3gpuE6ELNS1_3repE0EEENS1_30default_config_static_selectorELNS0_4arch9wavefront6targetE1EEEvT1_
		.amdhsa_group_segment_fixed_size 0
		.amdhsa_private_segment_fixed_size 0
		.amdhsa_kernarg_size 144
		.amdhsa_user_sgpr_count 6
		.amdhsa_user_sgpr_private_segment_buffer 1
		.amdhsa_user_sgpr_dispatch_ptr 0
		.amdhsa_user_sgpr_queue_ptr 0
		.amdhsa_user_sgpr_kernarg_segment_ptr 1
		.amdhsa_user_sgpr_dispatch_id 0
		.amdhsa_user_sgpr_flat_scratch_init 0
		.amdhsa_user_sgpr_kernarg_preload_length 0
		.amdhsa_user_sgpr_kernarg_preload_offset 0
		.amdhsa_user_sgpr_private_segment_size 0
		.amdhsa_uses_dynamic_stack 0
		.amdhsa_system_sgpr_private_segment_wavefront_offset 0
		.amdhsa_system_sgpr_workgroup_id_x 1
		.amdhsa_system_sgpr_workgroup_id_y 0
		.amdhsa_system_sgpr_workgroup_id_z 0
		.amdhsa_system_sgpr_workgroup_info 0
		.amdhsa_system_vgpr_workitem_id 0
		.amdhsa_next_free_vgpr 1
		.amdhsa_next_free_sgpr 0
		.amdhsa_accum_offset 4
		.amdhsa_reserve_vcc 0
		.amdhsa_reserve_flat_scratch 0
		.amdhsa_float_round_mode_32 0
		.amdhsa_float_round_mode_16_64 0
		.amdhsa_float_denorm_mode_32 3
		.amdhsa_float_denorm_mode_16_64 3
		.amdhsa_dx10_clamp 1
		.amdhsa_ieee_mode 1
		.amdhsa_fp16_overflow 0
		.amdhsa_tg_split 0
		.amdhsa_exception_fp_ieee_invalid_op 0
		.amdhsa_exception_fp_denorm_src 0
		.amdhsa_exception_fp_ieee_div_zero 0
		.amdhsa_exception_fp_ieee_overflow 0
		.amdhsa_exception_fp_ieee_underflow 0
		.amdhsa_exception_fp_ieee_inexact 0
		.amdhsa_exception_int_div_zero 0
	.end_amdhsa_kernel
	.section	.text._ZN7rocprim17ROCPRIM_400000_NS6detail17trampoline_kernelINS0_14default_configENS1_25partition_config_selectorILNS1_17partition_subalgoE0EyNS0_10empty_typeEbEEZZNS1_14partition_implILS5_0ELb0ES3_jN6thrust23THRUST_200600_302600_NS6detail15normal_iteratorINSA_10device_ptrIyEEEEPS6_SG_NS0_5tupleIJSF_NSA_16discard_iteratorINSA_11use_defaultEEEEEENSH_IJSG_SG_EEES6_PlJ7is_evenIyEEEE10hipError_tPvRmT3_T4_T5_T6_T7_T9_mT8_P12ihipStream_tbDpT10_ENKUlT_T0_E_clISt17integral_constantIbLb1EES19_EEDaS14_S15_EUlS14_E_NS1_11comp_targetILNS1_3genE2ELNS1_11target_archE906ELNS1_3gpuE6ELNS1_3repE0EEENS1_30default_config_static_selectorELNS0_4arch9wavefront6targetE1EEEvT1_,"axG",@progbits,_ZN7rocprim17ROCPRIM_400000_NS6detail17trampoline_kernelINS0_14default_configENS1_25partition_config_selectorILNS1_17partition_subalgoE0EyNS0_10empty_typeEbEEZZNS1_14partition_implILS5_0ELb0ES3_jN6thrust23THRUST_200600_302600_NS6detail15normal_iteratorINSA_10device_ptrIyEEEEPS6_SG_NS0_5tupleIJSF_NSA_16discard_iteratorINSA_11use_defaultEEEEEENSH_IJSG_SG_EEES6_PlJ7is_evenIyEEEE10hipError_tPvRmT3_T4_T5_T6_T7_T9_mT8_P12ihipStream_tbDpT10_ENKUlT_T0_E_clISt17integral_constantIbLb1EES19_EEDaS14_S15_EUlS14_E_NS1_11comp_targetILNS1_3genE2ELNS1_11target_archE906ELNS1_3gpuE6ELNS1_3repE0EEENS1_30default_config_static_selectorELNS0_4arch9wavefront6targetE1EEEvT1_,comdat
.Lfunc_end2343:
	.size	_ZN7rocprim17ROCPRIM_400000_NS6detail17trampoline_kernelINS0_14default_configENS1_25partition_config_selectorILNS1_17partition_subalgoE0EyNS0_10empty_typeEbEEZZNS1_14partition_implILS5_0ELb0ES3_jN6thrust23THRUST_200600_302600_NS6detail15normal_iteratorINSA_10device_ptrIyEEEEPS6_SG_NS0_5tupleIJSF_NSA_16discard_iteratorINSA_11use_defaultEEEEEENSH_IJSG_SG_EEES6_PlJ7is_evenIyEEEE10hipError_tPvRmT3_T4_T5_T6_T7_T9_mT8_P12ihipStream_tbDpT10_ENKUlT_T0_E_clISt17integral_constantIbLb1EES19_EEDaS14_S15_EUlS14_E_NS1_11comp_targetILNS1_3genE2ELNS1_11target_archE906ELNS1_3gpuE6ELNS1_3repE0EEENS1_30default_config_static_selectorELNS0_4arch9wavefront6targetE1EEEvT1_, .Lfunc_end2343-_ZN7rocprim17ROCPRIM_400000_NS6detail17trampoline_kernelINS0_14default_configENS1_25partition_config_selectorILNS1_17partition_subalgoE0EyNS0_10empty_typeEbEEZZNS1_14partition_implILS5_0ELb0ES3_jN6thrust23THRUST_200600_302600_NS6detail15normal_iteratorINSA_10device_ptrIyEEEEPS6_SG_NS0_5tupleIJSF_NSA_16discard_iteratorINSA_11use_defaultEEEEEENSH_IJSG_SG_EEES6_PlJ7is_evenIyEEEE10hipError_tPvRmT3_T4_T5_T6_T7_T9_mT8_P12ihipStream_tbDpT10_ENKUlT_T0_E_clISt17integral_constantIbLb1EES19_EEDaS14_S15_EUlS14_E_NS1_11comp_targetILNS1_3genE2ELNS1_11target_archE906ELNS1_3gpuE6ELNS1_3repE0EEENS1_30default_config_static_selectorELNS0_4arch9wavefront6targetE1EEEvT1_
                                        ; -- End function
	.section	.AMDGPU.csdata,"",@progbits
; Kernel info:
; codeLenInByte = 0
; NumSgprs: 4
; NumVgprs: 0
; NumAgprs: 0
; TotalNumVgprs: 0
; ScratchSize: 0
; MemoryBound: 0
; FloatMode: 240
; IeeeMode: 1
; LDSByteSize: 0 bytes/workgroup (compile time only)
; SGPRBlocks: 0
; VGPRBlocks: 0
; NumSGPRsForWavesPerEU: 4
; NumVGPRsForWavesPerEU: 1
; AccumOffset: 4
; Occupancy: 8
; WaveLimiterHint : 0
; COMPUTE_PGM_RSRC2:SCRATCH_EN: 0
; COMPUTE_PGM_RSRC2:USER_SGPR: 6
; COMPUTE_PGM_RSRC2:TRAP_HANDLER: 0
; COMPUTE_PGM_RSRC2:TGID_X_EN: 1
; COMPUTE_PGM_RSRC2:TGID_Y_EN: 0
; COMPUTE_PGM_RSRC2:TGID_Z_EN: 0
; COMPUTE_PGM_RSRC2:TIDIG_COMP_CNT: 0
; COMPUTE_PGM_RSRC3_GFX90A:ACCUM_OFFSET: 0
; COMPUTE_PGM_RSRC3_GFX90A:TG_SPLIT: 0
	.section	.text._ZN7rocprim17ROCPRIM_400000_NS6detail17trampoline_kernelINS0_14default_configENS1_25partition_config_selectorILNS1_17partition_subalgoE0EyNS0_10empty_typeEbEEZZNS1_14partition_implILS5_0ELb0ES3_jN6thrust23THRUST_200600_302600_NS6detail15normal_iteratorINSA_10device_ptrIyEEEEPS6_SG_NS0_5tupleIJSF_NSA_16discard_iteratorINSA_11use_defaultEEEEEENSH_IJSG_SG_EEES6_PlJ7is_evenIyEEEE10hipError_tPvRmT3_T4_T5_T6_T7_T9_mT8_P12ihipStream_tbDpT10_ENKUlT_T0_E_clISt17integral_constantIbLb1EES19_EEDaS14_S15_EUlS14_E_NS1_11comp_targetILNS1_3genE10ELNS1_11target_archE1200ELNS1_3gpuE4ELNS1_3repE0EEENS1_30default_config_static_selectorELNS0_4arch9wavefront6targetE1EEEvT1_,"axG",@progbits,_ZN7rocprim17ROCPRIM_400000_NS6detail17trampoline_kernelINS0_14default_configENS1_25partition_config_selectorILNS1_17partition_subalgoE0EyNS0_10empty_typeEbEEZZNS1_14partition_implILS5_0ELb0ES3_jN6thrust23THRUST_200600_302600_NS6detail15normal_iteratorINSA_10device_ptrIyEEEEPS6_SG_NS0_5tupleIJSF_NSA_16discard_iteratorINSA_11use_defaultEEEEEENSH_IJSG_SG_EEES6_PlJ7is_evenIyEEEE10hipError_tPvRmT3_T4_T5_T6_T7_T9_mT8_P12ihipStream_tbDpT10_ENKUlT_T0_E_clISt17integral_constantIbLb1EES19_EEDaS14_S15_EUlS14_E_NS1_11comp_targetILNS1_3genE10ELNS1_11target_archE1200ELNS1_3gpuE4ELNS1_3repE0EEENS1_30default_config_static_selectorELNS0_4arch9wavefront6targetE1EEEvT1_,comdat
	.protected	_ZN7rocprim17ROCPRIM_400000_NS6detail17trampoline_kernelINS0_14default_configENS1_25partition_config_selectorILNS1_17partition_subalgoE0EyNS0_10empty_typeEbEEZZNS1_14partition_implILS5_0ELb0ES3_jN6thrust23THRUST_200600_302600_NS6detail15normal_iteratorINSA_10device_ptrIyEEEEPS6_SG_NS0_5tupleIJSF_NSA_16discard_iteratorINSA_11use_defaultEEEEEENSH_IJSG_SG_EEES6_PlJ7is_evenIyEEEE10hipError_tPvRmT3_T4_T5_T6_T7_T9_mT8_P12ihipStream_tbDpT10_ENKUlT_T0_E_clISt17integral_constantIbLb1EES19_EEDaS14_S15_EUlS14_E_NS1_11comp_targetILNS1_3genE10ELNS1_11target_archE1200ELNS1_3gpuE4ELNS1_3repE0EEENS1_30default_config_static_selectorELNS0_4arch9wavefront6targetE1EEEvT1_ ; -- Begin function _ZN7rocprim17ROCPRIM_400000_NS6detail17trampoline_kernelINS0_14default_configENS1_25partition_config_selectorILNS1_17partition_subalgoE0EyNS0_10empty_typeEbEEZZNS1_14partition_implILS5_0ELb0ES3_jN6thrust23THRUST_200600_302600_NS6detail15normal_iteratorINSA_10device_ptrIyEEEEPS6_SG_NS0_5tupleIJSF_NSA_16discard_iteratorINSA_11use_defaultEEEEEENSH_IJSG_SG_EEES6_PlJ7is_evenIyEEEE10hipError_tPvRmT3_T4_T5_T6_T7_T9_mT8_P12ihipStream_tbDpT10_ENKUlT_T0_E_clISt17integral_constantIbLb1EES19_EEDaS14_S15_EUlS14_E_NS1_11comp_targetILNS1_3genE10ELNS1_11target_archE1200ELNS1_3gpuE4ELNS1_3repE0EEENS1_30default_config_static_selectorELNS0_4arch9wavefront6targetE1EEEvT1_
	.globl	_ZN7rocprim17ROCPRIM_400000_NS6detail17trampoline_kernelINS0_14default_configENS1_25partition_config_selectorILNS1_17partition_subalgoE0EyNS0_10empty_typeEbEEZZNS1_14partition_implILS5_0ELb0ES3_jN6thrust23THRUST_200600_302600_NS6detail15normal_iteratorINSA_10device_ptrIyEEEEPS6_SG_NS0_5tupleIJSF_NSA_16discard_iteratorINSA_11use_defaultEEEEEENSH_IJSG_SG_EEES6_PlJ7is_evenIyEEEE10hipError_tPvRmT3_T4_T5_T6_T7_T9_mT8_P12ihipStream_tbDpT10_ENKUlT_T0_E_clISt17integral_constantIbLb1EES19_EEDaS14_S15_EUlS14_E_NS1_11comp_targetILNS1_3genE10ELNS1_11target_archE1200ELNS1_3gpuE4ELNS1_3repE0EEENS1_30default_config_static_selectorELNS0_4arch9wavefront6targetE1EEEvT1_
	.p2align	8
	.type	_ZN7rocprim17ROCPRIM_400000_NS6detail17trampoline_kernelINS0_14default_configENS1_25partition_config_selectorILNS1_17partition_subalgoE0EyNS0_10empty_typeEbEEZZNS1_14partition_implILS5_0ELb0ES3_jN6thrust23THRUST_200600_302600_NS6detail15normal_iteratorINSA_10device_ptrIyEEEEPS6_SG_NS0_5tupleIJSF_NSA_16discard_iteratorINSA_11use_defaultEEEEEENSH_IJSG_SG_EEES6_PlJ7is_evenIyEEEE10hipError_tPvRmT3_T4_T5_T6_T7_T9_mT8_P12ihipStream_tbDpT10_ENKUlT_T0_E_clISt17integral_constantIbLb1EES19_EEDaS14_S15_EUlS14_E_NS1_11comp_targetILNS1_3genE10ELNS1_11target_archE1200ELNS1_3gpuE4ELNS1_3repE0EEENS1_30default_config_static_selectorELNS0_4arch9wavefront6targetE1EEEvT1_,@function
_ZN7rocprim17ROCPRIM_400000_NS6detail17trampoline_kernelINS0_14default_configENS1_25partition_config_selectorILNS1_17partition_subalgoE0EyNS0_10empty_typeEbEEZZNS1_14partition_implILS5_0ELb0ES3_jN6thrust23THRUST_200600_302600_NS6detail15normal_iteratorINSA_10device_ptrIyEEEEPS6_SG_NS0_5tupleIJSF_NSA_16discard_iteratorINSA_11use_defaultEEEEEENSH_IJSG_SG_EEES6_PlJ7is_evenIyEEEE10hipError_tPvRmT3_T4_T5_T6_T7_T9_mT8_P12ihipStream_tbDpT10_ENKUlT_T0_E_clISt17integral_constantIbLb1EES19_EEDaS14_S15_EUlS14_E_NS1_11comp_targetILNS1_3genE10ELNS1_11target_archE1200ELNS1_3gpuE4ELNS1_3repE0EEENS1_30default_config_static_selectorELNS0_4arch9wavefront6targetE1EEEvT1_: ; @_ZN7rocprim17ROCPRIM_400000_NS6detail17trampoline_kernelINS0_14default_configENS1_25partition_config_selectorILNS1_17partition_subalgoE0EyNS0_10empty_typeEbEEZZNS1_14partition_implILS5_0ELb0ES3_jN6thrust23THRUST_200600_302600_NS6detail15normal_iteratorINSA_10device_ptrIyEEEEPS6_SG_NS0_5tupleIJSF_NSA_16discard_iteratorINSA_11use_defaultEEEEEENSH_IJSG_SG_EEES6_PlJ7is_evenIyEEEE10hipError_tPvRmT3_T4_T5_T6_T7_T9_mT8_P12ihipStream_tbDpT10_ENKUlT_T0_E_clISt17integral_constantIbLb1EES19_EEDaS14_S15_EUlS14_E_NS1_11comp_targetILNS1_3genE10ELNS1_11target_archE1200ELNS1_3gpuE4ELNS1_3repE0EEENS1_30default_config_static_selectorELNS0_4arch9wavefront6targetE1EEEvT1_
; %bb.0:
	.section	.rodata,"a",@progbits
	.p2align	6, 0x0
	.amdhsa_kernel _ZN7rocprim17ROCPRIM_400000_NS6detail17trampoline_kernelINS0_14default_configENS1_25partition_config_selectorILNS1_17partition_subalgoE0EyNS0_10empty_typeEbEEZZNS1_14partition_implILS5_0ELb0ES3_jN6thrust23THRUST_200600_302600_NS6detail15normal_iteratorINSA_10device_ptrIyEEEEPS6_SG_NS0_5tupleIJSF_NSA_16discard_iteratorINSA_11use_defaultEEEEEENSH_IJSG_SG_EEES6_PlJ7is_evenIyEEEE10hipError_tPvRmT3_T4_T5_T6_T7_T9_mT8_P12ihipStream_tbDpT10_ENKUlT_T0_E_clISt17integral_constantIbLb1EES19_EEDaS14_S15_EUlS14_E_NS1_11comp_targetILNS1_3genE10ELNS1_11target_archE1200ELNS1_3gpuE4ELNS1_3repE0EEENS1_30default_config_static_selectorELNS0_4arch9wavefront6targetE1EEEvT1_
		.amdhsa_group_segment_fixed_size 0
		.amdhsa_private_segment_fixed_size 0
		.amdhsa_kernarg_size 144
		.amdhsa_user_sgpr_count 6
		.amdhsa_user_sgpr_private_segment_buffer 1
		.amdhsa_user_sgpr_dispatch_ptr 0
		.amdhsa_user_sgpr_queue_ptr 0
		.amdhsa_user_sgpr_kernarg_segment_ptr 1
		.amdhsa_user_sgpr_dispatch_id 0
		.amdhsa_user_sgpr_flat_scratch_init 0
		.amdhsa_user_sgpr_kernarg_preload_length 0
		.amdhsa_user_sgpr_kernarg_preload_offset 0
		.amdhsa_user_sgpr_private_segment_size 0
		.amdhsa_uses_dynamic_stack 0
		.amdhsa_system_sgpr_private_segment_wavefront_offset 0
		.amdhsa_system_sgpr_workgroup_id_x 1
		.amdhsa_system_sgpr_workgroup_id_y 0
		.amdhsa_system_sgpr_workgroup_id_z 0
		.amdhsa_system_sgpr_workgroup_info 0
		.amdhsa_system_vgpr_workitem_id 0
		.amdhsa_next_free_vgpr 1
		.amdhsa_next_free_sgpr 0
		.amdhsa_accum_offset 4
		.amdhsa_reserve_vcc 0
		.amdhsa_reserve_flat_scratch 0
		.amdhsa_float_round_mode_32 0
		.amdhsa_float_round_mode_16_64 0
		.amdhsa_float_denorm_mode_32 3
		.amdhsa_float_denorm_mode_16_64 3
		.amdhsa_dx10_clamp 1
		.amdhsa_ieee_mode 1
		.amdhsa_fp16_overflow 0
		.amdhsa_tg_split 0
		.amdhsa_exception_fp_ieee_invalid_op 0
		.amdhsa_exception_fp_denorm_src 0
		.amdhsa_exception_fp_ieee_div_zero 0
		.amdhsa_exception_fp_ieee_overflow 0
		.amdhsa_exception_fp_ieee_underflow 0
		.amdhsa_exception_fp_ieee_inexact 0
		.amdhsa_exception_int_div_zero 0
	.end_amdhsa_kernel
	.section	.text._ZN7rocprim17ROCPRIM_400000_NS6detail17trampoline_kernelINS0_14default_configENS1_25partition_config_selectorILNS1_17partition_subalgoE0EyNS0_10empty_typeEbEEZZNS1_14partition_implILS5_0ELb0ES3_jN6thrust23THRUST_200600_302600_NS6detail15normal_iteratorINSA_10device_ptrIyEEEEPS6_SG_NS0_5tupleIJSF_NSA_16discard_iteratorINSA_11use_defaultEEEEEENSH_IJSG_SG_EEES6_PlJ7is_evenIyEEEE10hipError_tPvRmT3_T4_T5_T6_T7_T9_mT8_P12ihipStream_tbDpT10_ENKUlT_T0_E_clISt17integral_constantIbLb1EES19_EEDaS14_S15_EUlS14_E_NS1_11comp_targetILNS1_3genE10ELNS1_11target_archE1200ELNS1_3gpuE4ELNS1_3repE0EEENS1_30default_config_static_selectorELNS0_4arch9wavefront6targetE1EEEvT1_,"axG",@progbits,_ZN7rocprim17ROCPRIM_400000_NS6detail17trampoline_kernelINS0_14default_configENS1_25partition_config_selectorILNS1_17partition_subalgoE0EyNS0_10empty_typeEbEEZZNS1_14partition_implILS5_0ELb0ES3_jN6thrust23THRUST_200600_302600_NS6detail15normal_iteratorINSA_10device_ptrIyEEEEPS6_SG_NS0_5tupleIJSF_NSA_16discard_iteratorINSA_11use_defaultEEEEEENSH_IJSG_SG_EEES6_PlJ7is_evenIyEEEE10hipError_tPvRmT3_T4_T5_T6_T7_T9_mT8_P12ihipStream_tbDpT10_ENKUlT_T0_E_clISt17integral_constantIbLb1EES19_EEDaS14_S15_EUlS14_E_NS1_11comp_targetILNS1_3genE10ELNS1_11target_archE1200ELNS1_3gpuE4ELNS1_3repE0EEENS1_30default_config_static_selectorELNS0_4arch9wavefront6targetE1EEEvT1_,comdat
.Lfunc_end2344:
	.size	_ZN7rocprim17ROCPRIM_400000_NS6detail17trampoline_kernelINS0_14default_configENS1_25partition_config_selectorILNS1_17partition_subalgoE0EyNS0_10empty_typeEbEEZZNS1_14partition_implILS5_0ELb0ES3_jN6thrust23THRUST_200600_302600_NS6detail15normal_iteratorINSA_10device_ptrIyEEEEPS6_SG_NS0_5tupleIJSF_NSA_16discard_iteratorINSA_11use_defaultEEEEEENSH_IJSG_SG_EEES6_PlJ7is_evenIyEEEE10hipError_tPvRmT3_T4_T5_T6_T7_T9_mT8_P12ihipStream_tbDpT10_ENKUlT_T0_E_clISt17integral_constantIbLb1EES19_EEDaS14_S15_EUlS14_E_NS1_11comp_targetILNS1_3genE10ELNS1_11target_archE1200ELNS1_3gpuE4ELNS1_3repE0EEENS1_30default_config_static_selectorELNS0_4arch9wavefront6targetE1EEEvT1_, .Lfunc_end2344-_ZN7rocprim17ROCPRIM_400000_NS6detail17trampoline_kernelINS0_14default_configENS1_25partition_config_selectorILNS1_17partition_subalgoE0EyNS0_10empty_typeEbEEZZNS1_14partition_implILS5_0ELb0ES3_jN6thrust23THRUST_200600_302600_NS6detail15normal_iteratorINSA_10device_ptrIyEEEEPS6_SG_NS0_5tupleIJSF_NSA_16discard_iteratorINSA_11use_defaultEEEEEENSH_IJSG_SG_EEES6_PlJ7is_evenIyEEEE10hipError_tPvRmT3_T4_T5_T6_T7_T9_mT8_P12ihipStream_tbDpT10_ENKUlT_T0_E_clISt17integral_constantIbLb1EES19_EEDaS14_S15_EUlS14_E_NS1_11comp_targetILNS1_3genE10ELNS1_11target_archE1200ELNS1_3gpuE4ELNS1_3repE0EEENS1_30default_config_static_selectorELNS0_4arch9wavefront6targetE1EEEvT1_
                                        ; -- End function
	.section	.AMDGPU.csdata,"",@progbits
; Kernel info:
; codeLenInByte = 0
; NumSgprs: 4
; NumVgprs: 0
; NumAgprs: 0
; TotalNumVgprs: 0
; ScratchSize: 0
; MemoryBound: 0
; FloatMode: 240
; IeeeMode: 1
; LDSByteSize: 0 bytes/workgroup (compile time only)
; SGPRBlocks: 0
; VGPRBlocks: 0
; NumSGPRsForWavesPerEU: 4
; NumVGPRsForWavesPerEU: 1
; AccumOffset: 4
; Occupancy: 8
; WaveLimiterHint : 0
; COMPUTE_PGM_RSRC2:SCRATCH_EN: 0
; COMPUTE_PGM_RSRC2:USER_SGPR: 6
; COMPUTE_PGM_RSRC2:TRAP_HANDLER: 0
; COMPUTE_PGM_RSRC2:TGID_X_EN: 1
; COMPUTE_PGM_RSRC2:TGID_Y_EN: 0
; COMPUTE_PGM_RSRC2:TGID_Z_EN: 0
; COMPUTE_PGM_RSRC2:TIDIG_COMP_CNT: 0
; COMPUTE_PGM_RSRC3_GFX90A:ACCUM_OFFSET: 0
; COMPUTE_PGM_RSRC3_GFX90A:TG_SPLIT: 0
	.section	.text._ZN7rocprim17ROCPRIM_400000_NS6detail17trampoline_kernelINS0_14default_configENS1_25partition_config_selectorILNS1_17partition_subalgoE0EyNS0_10empty_typeEbEEZZNS1_14partition_implILS5_0ELb0ES3_jN6thrust23THRUST_200600_302600_NS6detail15normal_iteratorINSA_10device_ptrIyEEEEPS6_SG_NS0_5tupleIJSF_NSA_16discard_iteratorINSA_11use_defaultEEEEEENSH_IJSG_SG_EEES6_PlJ7is_evenIyEEEE10hipError_tPvRmT3_T4_T5_T6_T7_T9_mT8_P12ihipStream_tbDpT10_ENKUlT_T0_E_clISt17integral_constantIbLb1EES19_EEDaS14_S15_EUlS14_E_NS1_11comp_targetILNS1_3genE9ELNS1_11target_archE1100ELNS1_3gpuE3ELNS1_3repE0EEENS1_30default_config_static_selectorELNS0_4arch9wavefront6targetE1EEEvT1_,"axG",@progbits,_ZN7rocprim17ROCPRIM_400000_NS6detail17trampoline_kernelINS0_14default_configENS1_25partition_config_selectorILNS1_17partition_subalgoE0EyNS0_10empty_typeEbEEZZNS1_14partition_implILS5_0ELb0ES3_jN6thrust23THRUST_200600_302600_NS6detail15normal_iteratorINSA_10device_ptrIyEEEEPS6_SG_NS0_5tupleIJSF_NSA_16discard_iteratorINSA_11use_defaultEEEEEENSH_IJSG_SG_EEES6_PlJ7is_evenIyEEEE10hipError_tPvRmT3_T4_T5_T6_T7_T9_mT8_P12ihipStream_tbDpT10_ENKUlT_T0_E_clISt17integral_constantIbLb1EES19_EEDaS14_S15_EUlS14_E_NS1_11comp_targetILNS1_3genE9ELNS1_11target_archE1100ELNS1_3gpuE3ELNS1_3repE0EEENS1_30default_config_static_selectorELNS0_4arch9wavefront6targetE1EEEvT1_,comdat
	.protected	_ZN7rocprim17ROCPRIM_400000_NS6detail17trampoline_kernelINS0_14default_configENS1_25partition_config_selectorILNS1_17partition_subalgoE0EyNS0_10empty_typeEbEEZZNS1_14partition_implILS5_0ELb0ES3_jN6thrust23THRUST_200600_302600_NS6detail15normal_iteratorINSA_10device_ptrIyEEEEPS6_SG_NS0_5tupleIJSF_NSA_16discard_iteratorINSA_11use_defaultEEEEEENSH_IJSG_SG_EEES6_PlJ7is_evenIyEEEE10hipError_tPvRmT3_T4_T5_T6_T7_T9_mT8_P12ihipStream_tbDpT10_ENKUlT_T0_E_clISt17integral_constantIbLb1EES19_EEDaS14_S15_EUlS14_E_NS1_11comp_targetILNS1_3genE9ELNS1_11target_archE1100ELNS1_3gpuE3ELNS1_3repE0EEENS1_30default_config_static_selectorELNS0_4arch9wavefront6targetE1EEEvT1_ ; -- Begin function _ZN7rocprim17ROCPRIM_400000_NS6detail17trampoline_kernelINS0_14default_configENS1_25partition_config_selectorILNS1_17partition_subalgoE0EyNS0_10empty_typeEbEEZZNS1_14partition_implILS5_0ELb0ES3_jN6thrust23THRUST_200600_302600_NS6detail15normal_iteratorINSA_10device_ptrIyEEEEPS6_SG_NS0_5tupleIJSF_NSA_16discard_iteratorINSA_11use_defaultEEEEEENSH_IJSG_SG_EEES6_PlJ7is_evenIyEEEE10hipError_tPvRmT3_T4_T5_T6_T7_T9_mT8_P12ihipStream_tbDpT10_ENKUlT_T0_E_clISt17integral_constantIbLb1EES19_EEDaS14_S15_EUlS14_E_NS1_11comp_targetILNS1_3genE9ELNS1_11target_archE1100ELNS1_3gpuE3ELNS1_3repE0EEENS1_30default_config_static_selectorELNS0_4arch9wavefront6targetE1EEEvT1_
	.globl	_ZN7rocprim17ROCPRIM_400000_NS6detail17trampoline_kernelINS0_14default_configENS1_25partition_config_selectorILNS1_17partition_subalgoE0EyNS0_10empty_typeEbEEZZNS1_14partition_implILS5_0ELb0ES3_jN6thrust23THRUST_200600_302600_NS6detail15normal_iteratorINSA_10device_ptrIyEEEEPS6_SG_NS0_5tupleIJSF_NSA_16discard_iteratorINSA_11use_defaultEEEEEENSH_IJSG_SG_EEES6_PlJ7is_evenIyEEEE10hipError_tPvRmT3_T4_T5_T6_T7_T9_mT8_P12ihipStream_tbDpT10_ENKUlT_T0_E_clISt17integral_constantIbLb1EES19_EEDaS14_S15_EUlS14_E_NS1_11comp_targetILNS1_3genE9ELNS1_11target_archE1100ELNS1_3gpuE3ELNS1_3repE0EEENS1_30default_config_static_selectorELNS0_4arch9wavefront6targetE1EEEvT1_
	.p2align	8
	.type	_ZN7rocprim17ROCPRIM_400000_NS6detail17trampoline_kernelINS0_14default_configENS1_25partition_config_selectorILNS1_17partition_subalgoE0EyNS0_10empty_typeEbEEZZNS1_14partition_implILS5_0ELb0ES3_jN6thrust23THRUST_200600_302600_NS6detail15normal_iteratorINSA_10device_ptrIyEEEEPS6_SG_NS0_5tupleIJSF_NSA_16discard_iteratorINSA_11use_defaultEEEEEENSH_IJSG_SG_EEES6_PlJ7is_evenIyEEEE10hipError_tPvRmT3_T4_T5_T6_T7_T9_mT8_P12ihipStream_tbDpT10_ENKUlT_T0_E_clISt17integral_constantIbLb1EES19_EEDaS14_S15_EUlS14_E_NS1_11comp_targetILNS1_3genE9ELNS1_11target_archE1100ELNS1_3gpuE3ELNS1_3repE0EEENS1_30default_config_static_selectorELNS0_4arch9wavefront6targetE1EEEvT1_,@function
_ZN7rocprim17ROCPRIM_400000_NS6detail17trampoline_kernelINS0_14default_configENS1_25partition_config_selectorILNS1_17partition_subalgoE0EyNS0_10empty_typeEbEEZZNS1_14partition_implILS5_0ELb0ES3_jN6thrust23THRUST_200600_302600_NS6detail15normal_iteratorINSA_10device_ptrIyEEEEPS6_SG_NS0_5tupleIJSF_NSA_16discard_iteratorINSA_11use_defaultEEEEEENSH_IJSG_SG_EEES6_PlJ7is_evenIyEEEE10hipError_tPvRmT3_T4_T5_T6_T7_T9_mT8_P12ihipStream_tbDpT10_ENKUlT_T0_E_clISt17integral_constantIbLb1EES19_EEDaS14_S15_EUlS14_E_NS1_11comp_targetILNS1_3genE9ELNS1_11target_archE1100ELNS1_3gpuE3ELNS1_3repE0EEENS1_30default_config_static_selectorELNS0_4arch9wavefront6targetE1EEEvT1_: ; @_ZN7rocprim17ROCPRIM_400000_NS6detail17trampoline_kernelINS0_14default_configENS1_25partition_config_selectorILNS1_17partition_subalgoE0EyNS0_10empty_typeEbEEZZNS1_14partition_implILS5_0ELb0ES3_jN6thrust23THRUST_200600_302600_NS6detail15normal_iteratorINSA_10device_ptrIyEEEEPS6_SG_NS0_5tupleIJSF_NSA_16discard_iteratorINSA_11use_defaultEEEEEENSH_IJSG_SG_EEES6_PlJ7is_evenIyEEEE10hipError_tPvRmT3_T4_T5_T6_T7_T9_mT8_P12ihipStream_tbDpT10_ENKUlT_T0_E_clISt17integral_constantIbLb1EES19_EEDaS14_S15_EUlS14_E_NS1_11comp_targetILNS1_3genE9ELNS1_11target_archE1100ELNS1_3gpuE3ELNS1_3repE0EEENS1_30default_config_static_selectorELNS0_4arch9wavefront6targetE1EEEvT1_
; %bb.0:
	.section	.rodata,"a",@progbits
	.p2align	6, 0x0
	.amdhsa_kernel _ZN7rocprim17ROCPRIM_400000_NS6detail17trampoline_kernelINS0_14default_configENS1_25partition_config_selectorILNS1_17partition_subalgoE0EyNS0_10empty_typeEbEEZZNS1_14partition_implILS5_0ELb0ES3_jN6thrust23THRUST_200600_302600_NS6detail15normal_iteratorINSA_10device_ptrIyEEEEPS6_SG_NS0_5tupleIJSF_NSA_16discard_iteratorINSA_11use_defaultEEEEEENSH_IJSG_SG_EEES6_PlJ7is_evenIyEEEE10hipError_tPvRmT3_T4_T5_T6_T7_T9_mT8_P12ihipStream_tbDpT10_ENKUlT_T0_E_clISt17integral_constantIbLb1EES19_EEDaS14_S15_EUlS14_E_NS1_11comp_targetILNS1_3genE9ELNS1_11target_archE1100ELNS1_3gpuE3ELNS1_3repE0EEENS1_30default_config_static_selectorELNS0_4arch9wavefront6targetE1EEEvT1_
		.amdhsa_group_segment_fixed_size 0
		.amdhsa_private_segment_fixed_size 0
		.amdhsa_kernarg_size 144
		.amdhsa_user_sgpr_count 6
		.amdhsa_user_sgpr_private_segment_buffer 1
		.amdhsa_user_sgpr_dispatch_ptr 0
		.amdhsa_user_sgpr_queue_ptr 0
		.amdhsa_user_sgpr_kernarg_segment_ptr 1
		.amdhsa_user_sgpr_dispatch_id 0
		.amdhsa_user_sgpr_flat_scratch_init 0
		.amdhsa_user_sgpr_kernarg_preload_length 0
		.amdhsa_user_sgpr_kernarg_preload_offset 0
		.amdhsa_user_sgpr_private_segment_size 0
		.amdhsa_uses_dynamic_stack 0
		.amdhsa_system_sgpr_private_segment_wavefront_offset 0
		.amdhsa_system_sgpr_workgroup_id_x 1
		.amdhsa_system_sgpr_workgroup_id_y 0
		.amdhsa_system_sgpr_workgroup_id_z 0
		.amdhsa_system_sgpr_workgroup_info 0
		.amdhsa_system_vgpr_workitem_id 0
		.amdhsa_next_free_vgpr 1
		.amdhsa_next_free_sgpr 0
		.amdhsa_accum_offset 4
		.amdhsa_reserve_vcc 0
		.amdhsa_reserve_flat_scratch 0
		.amdhsa_float_round_mode_32 0
		.amdhsa_float_round_mode_16_64 0
		.amdhsa_float_denorm_mode_32 3
		.amdhsa_float_denorm_mode_16_64 3
		.amdhsa_dx10_clamp 1
		.amdhsa_ieee_mode 1
		.amdhsa_fp16_overflow 0
		.amdhsa_tg_split 0
		.amdhsa_exception_fp_ieee_invalid_op 0
		.amdhsa_exception_fp_denorm_src 0
		.amdhsa_exception_fp_ieee_div_zero 0
		.amdhsa_exception_fp_ieee_overflow 0
		.amdhsa_exception_fp_ieee_underflow 0
		.amdhsa_exception_fp_ieee_inexact 0
		.amdhsa_exception_int_div_zero 0
	.end_amdhsa_kernel
	.section	.text._ZN7rocprim17ROCPRIM_400000_NS6detail17trampoline_kernelINS0_14default_configENS1_25partition_config_selectorILNS1_17partition_subalgoE0EyNS0_10empty_typeEbEEZZNS1_14partition_implILS5_0ELb0ES3_jN6thrust23THRUST_200600_302600_NS6detail15normal_iteratorINSA_10device_ptrIyEEEEPS6_SG_NS0_5tupleIJSF_NSA_16discard_iteratorINSA_11use_defaultEEEEEENSH_IJSG_SG_EEES6_PlJ7is_evenIyEEEE10hipError_tPvRmT3_T4_T5_T6_T7_T9_mT8_P12ihipStream_tbDpT10_ENKUlT_T0_E_clISt17integral_constantIbLb1EES19_EEDaS14_S15_EUlS14_E_NS1_11comp_targetILNS1_3genE9ELNS1_11target_archE1100ELNS1_3gpuE3ELNS1_3repE0EEENS1_30default_config_static_selectorELNS0_4arch9wavefront6targetE1EEEvT1_,"axG",@progbits,_ZN7rocprim17ROCPRIM_400000_NS6detail17trampoline_kernelINS0_14default_configENS1_25partition_config_selectorILNS1_17partition_subalgoE0EyNS0_10empty_typeEbEEZZNS1_14partition_implILS5_0ELb0ES3_jN6thrust23THRUST_200600_302600_NS6detail15normal_iteratorINSA_10device_ptrIyEEEEPS6_SG_NS0_5tupleIJSF_NSA_16discard_iteratorINSA_11use_defaultEEEEEENSH_IJSG_SG_EEES6_PlJ7is_evenIyEEEE10hipError_tPvRmT3_T4_T5_T6_T7_T9_mT8_P12ihipStream_tbDpT10_ENKUlT_T0_E_clISt17integral_constantIbLb1EES19_EEDaS14_S15_EUlS14_E_NS1_11comp_targetILNS1_3genE9ELNS1_11target_archE1100ELNS1_3gpuE3ELNS1_3repE0EEENS1_30default_config_static_selectorELNS0_4arch9wavefront6targetE1EEEvT1_,comdat
.Lfunc_end2345:
	.size	_ZN7rocprim17ROCPRIM_400000_NS6detail17trampoline_kernelINS0_14default_configENS1_25partition_config_selectorILNS1_17partition_subalgoE0EyNS0_10empty_typeEbEEZZNS1_14partition_implILS5_0ELb0ES3_jN6thrust23THRUST_200600_302600_NS6detail15normal_iteratorINSA_10device_ptrIyEEEEPS6_SG_NS0_5tupleIJSF_NSA_16discard_iteratorINSA_11use_defaultEEEEEENSH_IJSG_SG_EEES6_PlJ7is_evenIyEEEE10hipError_tPvRmT3_T4_T5_T6_T7_T9_mT8_P12ihipStream_tbDpT10_ENKUlT_T0_E_clISt17integral_constantIbLb1EES19_EEDaS14_S15_EUlS14_E_NS1_11comp_targetILNS1_3genE9ELNS1_11target_archE1100ELNS1_3gpuE3ELNS1_3repE0EEENS1_30default_config_static_selectorELNS0_4arch9wavefront6targetE1EEEvT1_, .Lfunc_end2345-_ZN7rocprim17ROCPRIM_400000_NS6detail17trampoline_kernelINS0_14default_configENS1_25partition_config_selectorILNS1_17partition_subalgoE0EyNS0_10empty_typeEbEEZZNS1_14partition_implILS5_0ELb0ES3_jN6thrust23THRUST_200600_302600_NS6detail15normal_iteratorINSA_10device_ptrIyEEEEPS6_SG_NS0_5tupleIJSF_NSA_16discard_iteratorINSA_11use_defaultEEEEEENSH_IJSG_SG_EEES6_PlJ7is_evenIyEEEE10hipError_tPvRmT3_T4_T5_T6_T7_T9_mT8_P12ihipStream_tbDpT10_ENKUlT_T0_E_clISt17integral_constantIbLb1EES19_EEDaS14_S15_EUlS14_E_NS1_11comp_targetILNS1_3genE9ELNS1_11target_archE1100ELNS1_3gpuE3ELNS1_3repE0EEENS1_30default_config_static_selectorELNS0_4arch9wavefront6targetE1EEEvT1_
                                        ; -- End function
	.section	.AMDGPU.csdata,"",@progbits
; Kernel info:
; codeLenInByte = 0
; NumSgprs: 4
; NumVgprs: 0
; NumAgprs: 0
; TotalNumVgprs: 0
; ScratchSize: 0
; MemoryBound: 0
; FloatMode: 240
; IeeeMode: 1
; LDSByteSize: 0 bytes/workgroup (compile time only)
; SGPRBlocks: 0
; VGPRBlocks: 0
; NumSGPRsForWavesPerEU: 4
; NumVGPRsForWavesPerEU: 1
; AccumOffset: 4
; Occupancy: 8
; WaveLimiterHint : 0
; COMPUTE_PGM_RSRC2:SCRATCH_EN: 0
; COMPUTE_PGM_RSRC2:USER_SGPR: 6
; COMPUTE_PGM_RSRC2:TRAP_HANDLER: 0
; COMPUTE_PGM_RSRC2:TGID_X_EN: 1
; COMPUTE_PGM_RSRC2:TGID_Y_EN: 0
; COMPUTE_PGM_RSRC2:TGID_Z_EN: 0
; COMPUTE_PGM_RSRC2:TIDIG_COMP_CNT: 0
; COMPUTE_PGM_RSRC3_GFX90A:ACCUM_OFFSET: 0
; COMPUTE_PGM_RSRC3_GFX90A:TG_SPLIT: 0
	.section	.text._ZN7rocprim17ROCPRIM_400000_NS6detail17trampoline_kernelINS0_14default_configENS1_25partition_config_selectorILNS1_17partition_subalgoE0EyNS0_10empty_typeEbEEZZNS1_14partition_implILS5_0ELb0ES3_jN6thrust23THRUST_200600_302600_NS6detail15normal_iteratorINSA_10device_ptrIyEEEEPS6_SG_NS0_5tupleIJSF_NSA_16discard_iteratorINSA_11use_defaultEEEEEENSH_IJSG_SG_EEES6_PlJ7is_evenIyEEEE10hipError_tPvRmT3_T4_T5_T6_T7_T9_mT8_P12ihipStream_tbDpT10_ENKUlT_T0_E_clISt17integral_constantIbLb1EES19_EEDaS14_S15_EUlS14_E_NS1_11comp_targetILNS1_3genE8ELNS1_11target_archE1030ELNS1_3gpuE2ELNS1_3repE0EEENS1_30default_config_static_selectorELNS0_4arch9wavefront6targetE1EEEvT1_,"axG",@progbits,_ZN7rocprim17ROCPRIM_400000_NS6detail17trampoline_kernelINS0_14default_configENS1_25partition_config_selectorILNS1_17partition_subalgoE0EyNS0_10empty_typeEbEEZZNS1_14partition_implILS5_0ELb0ES3_jN6thrust23THRUST_200600_302600_NS6detail15normal_iteratorINSA_10device_ptrIyEEEEPS6_SG_NS0_5tupleIJSF_NSA_16discard_iteratorINSA_11use_defaultEEEEEENSH_IJSG_SG_EEES6_PlJ7is_evenIyEEEE10hipError_tPvRmT3_T4_T5_T6_T7_T9_mT8_P12ihipStream_tbDpT10_ENKUlT_T0_E_clISt17integral_constantIbLb1EES19_EEDaS14_S15_EUlS14_E_NS1_11comp_targetILNS1_3genE8ELNS1_11target_archE1030ELNS1_3gpuE2ELNS1_3repE0EEENS1_30default_config_static_selectorELNS0_4arch9wavefront6targetE1EEEvT1_,comdat
	.protected	_ZN7rocprim17ROCPRIM_400000_NS6detail17trampoline_kernelINS0_14default_configENS1_25partition_config_selectorILNS1_17partition_subalgoE0EyNS0_10empty_typeEbEEZZNS1_14partition_implILS5_0ELb0ES3_jN6thrust23THRUST_200600_302600_NS6detail15normal_iteratorINSA_10device_ptrIyEEEEPS6_SG_NS0_5tupleIJSF_NSA_16discard_iteratorINSA_11use_defaultEEEEEENSH_IJSG_SG_EEES6_PlJ7is_evenIyEEEE10hipError_tPvRmT3_T4_T5_T6_T7_T9_mT8_P12ihipStream_tbDpT10_ENKUlT_T0_E_clISt17integral_constantIbLb1EES19_EEDaS14_S15_EUlS14_E_NS1_11comp_targetILNS1_3genE8ELNS1_11target_archE1030ELNS1_3gpuE2ELNS1_3repE0EEENS1_30default_config_static_selectorELNS0_4arch9wavefront6targetE1EEEvT1_ ; -- Begin function _ZN7rocprim17ROCPRIM_400000_NS6detail17trampoline_kernelINS0_14default_configENS1_25partition_config_selectorILNS1_17partition_subalgoE0EyNS0_10empty_typeEbEEZZNS1_14partition_implILS5_0ELb0ES3_jN6thrust23THRUST_200600_302600_NS6detail15normal_iteratorINSA_10device_ptrIyEEEEPS6_SG_NS0_5tupleIJSF_NSA_16discard_iteratorINSA_11use_defaultEEEEEENSH_IJSG_SG_EEES6_PlJ7is_evenIyEEEE10hipError_tPvRmT3_T4_T5_T6_T7_T9_mT8_P12ihipStream_tbDpT10_ENKUlT_T0_E_clISt17integral_constantIbLb1EES19_EEDaS14_S15_EUlS14_E_NS1_11comp_targetILNS1_3genE8ELNS1_11target_archE1030ELNS1_3gpuE2ELNS1_3repE0EEENS1_30default_config_static_selectorELNS0_4arch9wavefront6targetE1EEEvT1_
	.globl	_ZN7rocprim17ROCPRIM_400000_NS6detail17trampoline_kernelINS0_14default_configENS1_25partition_config_selectorILNS1_17partition_subalgoE0EyNS0_10empty_typeEbEEZZNS1_14partition_implILS5_0ELb0ES3_jN6thrust23THRUST_200600_302600_NS6detail15normal_iteratorINSA_10device_ptrIyEEEEPS6_SG_NS0_5tupleIJSF_NSA_16discard_iteratorINSA_11use_defaultEEEEEENSH_IJSG_SG_EEES6_PlJ7is_evenIyEEEE10hipError_tPvRmT3_T4_T5_T6_T7_T9_mT8_P12ihipStream_tbDpT10_ENKUlT_T0_E_clISt17integral_constantIbLb1EES19_EEDaS14_S15_EUlS14_E_NS1_11comp_targetILNS1_3genE8ELNS1_11target_archE1030ELNS1_3gpuE2ELNS1_3repE0EEENS1_30default_config_static_selectorELNS0_4arch9wavefront6targetE1EEEvT1_
	.p2align	8
	.type	_ZN7rocprim17ROCPRIM_400000_NS6detail17trampoline_kernelINS0_14default_configENS1_25partition_config_selectorILNS1_17partition_subalgoE0EyNS0_10empty_typeEbEEZZNS1_14partition_implILS5_0ELb0ES3_jN6thrust23THRUST_200600_302600_NS6detail15normal_iteratorINSA_10device_ptrIyEEEEPS6_SG_NS0_5tupleIJSF_NSA_16discard_iteratorINSA_11use_defaultEEEEEENSH_IJSG_SG_EEES6_PlJ7is_evenIyEEEE10hipError_tPvRmT3_T4_T5_T6_T7_T9_mT8_P12ihipStream_tbDpT10_ENKUlT_T0_E_clISt17integral_constantIbLb1EES19_EEDaS14_S15_EUlS14_E_NS1_11comp_targetILNS1_3genE8ELNS1_11target_archE1030ELNS1_3gpuE2ELNS1_3repE0EEENS1_30default_config_static_selectorELNS0_4arch9wavefront6targetE1EEEvT1_,@function
_ZN7rocprim17ROCPRIM_400000_NS6detail17trampoline_kernelINS0_14default_configENS1_25partition_config_selectorILNS1_17partition_subalgoE0EyNS0_10empty_typeEbEEZZNS1_14partition_implILS5_0ELb0ES3_jN6thrust23THRUST_200600_302600_NS6detail15normal_iteratorINSA_10device_ptrIyEEEEPS6_SG_NS0_5tupleIJSF_NSA_16discard_iteratorINSA_11use_defaultEEEEEENSH_IJSG_SG_EEES6_PlJ7is_evenIyEEEE10hipError_tPvRmT3_T4_T5_T6_T7_T9_mT8_P12ihipStream_tbDpT10_ENKUlT_T0_E_clISt17integral_constantIbLb1EES19_EEDaS14_S15_EUlS14_E_NS1_11comp_targetILNS1_3genE8ELNS1_11target_archE1030ELNS1_3gpuE2ELNS1_3repE0EEENS1_30default_config_static_selectorELNS0_4arch9wavefront6targetE1EEEvT1_: ; @_ZN7rocprim17ROCPRIM_400000_NS6detail17trampoline_kernelINS0_14default_configENS1_25partition_config_selectorILNS1_17partition_subalgoE0EyNS0_10empty_typeEbEEZZNS1_14partition_implILS5_0ELb0ES3_jN6thrust23THRUST_200600_302600_NS6detail15normal_iteratorINSA_10device_ptrIyEEEEPS6_SG_NS0_5tupleIJSF_NSA_16discard_iteratorINSA_11use_defaultEEEEEENSH_IJSG_SG_EEES6_PlJ7is_evenIyEEEE10hipError_tPvRmT3_T4_T5_T6_T7_T9_mT8_P12ihipStream_tbDpT10_ENKUlT_T0_E_clISt17integral_constantIbLb1EES19_EEDaS14_S15_EUlS14_E_NS1_11comp_targetILNS1_3genE8ELNS1_11target_archE1030ELNS1_3gpuE2ELNS1_3repE0EEENS1_30default_config_static_selectorELNS0_4arch9wavefront6targetE1EEEvT1_
; %bb.0:
	.section	.rodata,"a",@progbits
	.p2align	6, 0x0
	.amdhsa_kernel _ZN7rocprim17ROCPRIM_400000_NS6detail17trampoline_kernelINS0_14default_configENS1_25partition_config_selectorILNS1_17partition_subalgoE0EyNS0_10empty_typeEbEEZZNS1_14partition_implILS5_0ELb0ES3_jN6thrust23THRUST_200600_302600_NS6detail15normal_iteratorINSA_10device_ptrIyEEEEPS6_SG_NS0_5tupleIJSF_NSA_16discard_iteratorINSA_11use_defaultEEEEEENSH_IJSG_SG_EEES6_PlJ7is_evenIyEEEE10hipError_tPvRmT3_T4_T5_T6_T7_T9_mT8_P12ihipStream_tbDpT10_ENKUlT_T0_E_clISt17integral_constantIbLb1EES19_EEDaS14_S15_EUlS14_E_NS1_11comp_targetILNS1_3genE8ELNS1_11target_archE1030ELNS1_3gpuE2ELNS1_3repE0EEENS1_30default_config_static_selectorELNS0_4arch9wavefront6targetE1EEEvT1_
		.amdhsa_group_segment_fixed_size 0
		.amdhsa_private_segment_fixed_size 0
		.amdhsa_kernarg_size 144
		.amdhsa_user_sgpr_count 6
		.amdhsa_user_sgpr_private_segment_buffer 1
		.amdhsa_user_sgpr_dispatch_ptr 0
		.amdhsa_user_sgpr_queue_ptr 0
		.amdhsa_user_sgpr_kernarg_segment_ptr 1
		.amdhsa_user_sgpr_dispatch_id 0
		.amdhsa_user_sgpr_flat_scratch_init 0
		.amdhsa_user_sgpr_kernarg_preload_length 0
		.amdhsa_user_sgpr_kernarg_preload_offset 0
		.amdhsa_user_sgpr_private_segment_size 0
		.amdhsa_uses_dynamic_stack 0
		.amdhsa_system_sgpr_private_segment_wavefront_offset 0
		.amdhsa_system_sgpr_workgroup_id_x 1
		.amdhsa_system_sgpr_workgroup_id_y 0
		.amdhsa_system_sgpr_workgroup_id_z 0
		.amdhsa_system_sgpr_workgroup_info 0
		.amdhsa_system_vgpr_workitem_id 0
		.amdhsa_next_free_vgpr 1
		.amdhsa_next_free_sgpr 0
		.amdhsa_accum_offset 4
		.amdhsa_reserve_vcc 0
		.amdhsa_reserve_flat_scratch 0
		.amdhsa_float_round_mode_32 0
		.amdhsa_float_round_mode_16_64 0
		.amdhsa_float_denorm_mode_32 3
		.amdhsa_float_denorm_mode_16_64 3
		.amdhsa_dx10_clamp 1
		.amdhsa_ieee_mode 1
		.amdhsa_fp16_overflow 0
		.amdhsa_tg_split 0
		.amdhsa_exception_fp_ieee_invalid_op 0
		.amdhsa_exception_fp_denorm_src 0
		.amdhsa_exception_fp_ieee_div_zero 0
		.amdhsa_exception_fp_ieee_overflow 0
		.amdhsa_exception_fp_ieee_underflow 0
		.amdhsa_exception_fp_ieee_inexact 0
		.amdhsa_exception_int_div_zero 0
	.end_amdhsa_kernel
	.section	.text._ZN7rocprim17ROCPRIM_400000_NS6detail17trampoline_kernelINS0_14default_configENS1_25partition_config_selectorILNS1_17partition_subalgoE0EyNS0_10empty_typeEbEEZZNS1_14partition_implILS5_0ELb0ES3_jN6thrust23THRUST_200600_302600_NS6detail15normal_iteratorINSA_10device_ptrIyEEEEPS6_SG_NS0_5tupleIJSF_NSA_16discard_iteratorINSA_11use_defaultEEEEEENSH_IJSG_SG_EEES6_PlJ7is_evenIyEEEE10hipError_tPvRmT3_T4_T5_T6_T7_T9_mT8_P12ihipStream_tbDpT10_ENKUlT_T0_E_clISt17integral_constantIbLb1EES19_EEDaS14_S15_EUlS14_E_NS1_11comp_targetILNS1_3genE8ELNS1_11target_archE1030ELNS1_3gpuE2ELNS1_3repE0EEENS1_30default_config_static_selectorELNS0_4arch9wavefront6targetE1EEEvT1_,"axG",@progbits,_ZN7rocprim17ROCPRIM_400000_NS6detail17trampoline_kernelINS0_14default_configENS1_25partition_config_selectorILNS1_17partition_subalgoE0EyNS0_10empty_typeEbEEZZNS1_14partition_implILS5_0ELb0ES3_jN6thrust23THRUST_200600_302600_NS6detail15normal_iteratorINSA_10device_ptrIyEEEEPS6_SG_NS0_5tupleIJSF_NSA_16discard_iteratorINSA_11use_defaultEEEEEENSH_IJSG_SG_EEES6_PlJ7is_evenIyEEEE10hipError_tPvRmT3_T4_T5_T6_T7_T9_mT8_P12ihipStream_tbDpT10_ENKUlT_T0_E_clISt17integral_constantIbLb1EES19_EEDaS14_S15_EUlS14_E_NS1_11comp_targetILNS1_3genE8ELNS1_11target_archE1030ELNS1_3gpuE2ELNS1_3repE0EEENS1_30default_config_static_selectorELNS0_4arch9wavefront6targetE1EEEvT1_,comdat
.Lfunc_end2346:
	.size	_ZN7rocprim17ROCPRIM_400000_NS6detail17trampoline_kernelINS0_14default_configENS1_25partition_config_selectorILNS1_17partition_subalgoE0EyNS0_10empty_typeEbEEZZNS1_14partition_implILS5_0ELb0ES3_jN6thrust23THRUST_200600_302600_NS6detail15normal_iteratorINSA_10device_ptrIyEEEEPS6_SG_NS0_5tupleIJSF_NSA_16discard_iteratorINSA_11use_defaultEEEEEENSH_IJSG_SG_EEES6_PlJ7is_evenIyEEEE10hipError_tPvRmT3_T4_T5_T6_T7_T9_mT8_P12ihipStream_tbDpT10_ENKUlT_T0_E_clISt17integral_constantIbLb1EES19_EEDaS14_S15_EUlS14_E_NS1_11comp_targetILNS1_3genE8ELNS1_11target_archE1030ELNS1_3gpuE2ELNS1_3repE0EEENS1_30default_config_static_selectorELNS0_4arch9wavefront6targetE1EEEvT1_, .Lfunc_end2346-_ZN7rocprim17ROCPRIM_400000_NS6detail17trampoline_kernelINS0_14default_configENS1_25partition_config_selectorILNS1_17partition_subalgoE0EyNS0_10empty_typeEbEEZZNS1_14partition_implILS5_0ELb0ES3_jN6thrust23THRUST_200600_302600_NS6detail15normal_iteratorINSA_10device_ptrIyEEEEPS6_SG_NS0_5tupleIJSF_NSA_16discard_iteratorINSA_11use_defaultEEEEEENSH_IJSG_SG_EEES6_PlJ7is_evenIyEEEE10hipError_tPvRmT3_T4_T5_T6_T7_T9_mT8_P12ihipStream_tbDpT10_ENKUlT_T0_E_clISt17integral_constantIbLb1EES19_EEDaS14_S15_EUlS14_E_NS1_11comp_targetILNS1_3genE8ELNS1_11target_archE1030ELNS1_3gpuE2ELNS1_3repE0EEENS1_30default_config_static_selectorELNS0_4arch9wavefront6targetE1EEEvT1_
                                        ; -- End function
	.section	.AMDGPU.csdata,"",@progbits
; Kernel info:
; codeLenInByte = 0
; NumSgprs: 4
; NumVgprs: 0
; NumAgprs: 0
; TotalNumVgprs: 0
; ScratchSize: 0
; MemoryBound: 0
; FloatMode: 240
; IeeeMode: 1
; LDSByteSize: 0 bytes/workgroup (compile time only)
; SGPRBlocks: 0
; VGPRBlocks: 0
; NumSGPRsForWavesPerEU: 4
; NumVGPRsForWavesPerEU: 1
; AccumOffset: 4
; Occupancy: 8
; WaveLimiterHint : 0
; COMPUTE_PGM_RSRC2:SCRATCH_EN: 0
; COMPUTE_PGM_RSRC2:USER_SGPR: 6
; COMPUTE_PGM_RSRC2:TRAP_HANDLER: 0
; COMPUTE_PGM_RSRC2:TGID_X_EN: 1
; COMPUTE_PGM_RSRC2:TGID_Y_EN: 0
; COMPUTE_PGM_RSRC2:TGID_Z_EN: 0
; COMPUTE_PGM_RSRC2:TIDIG_COMP_CNT: 0
; COMPUTE_PGM_RSRC3_GFX90A:ACCUM_OFFSET: 0
; COMPUTE_PGM_RSRC3_GFX90A:TG_SPLIT: 0
	.section	.text._ZN7rocprim17ROCPRIM_400000_NS6detail17trampoline_kernelINS0_14default_configENS1_25partition_config_selectorILNS1_17partition_subalgoE0EyNS0_10empty_typeEbEEZZNS1_14partition_implILS5_0ELb0ES3_jN6thrust23THRUST_200600_302600_NS6detail15normal_iteratorINSA_10device_ptrIyEEEEPS6_SG_NS0_5tupleIJSF_NSA_16discard_iteratorINSA_11use_defaultEEEEEENSH_IJSG_SG_EEES6_PlJ7is_evenIyEEEE10hipError_tPvRmT3_T4_T5_T6_T7_T9_mT8_P12ihipStream_tbDpT10_ENKUlT_T0_E_clISt17integral_constantIbLb1EES18_IbLb0EEEEDaS14_S15_EUlS14_E_NS1_11comp_targetILNS1_3genE0ELNS1_11target_archE4294967295ELNS1_3gpuE0ELNS1_3repE0EEENS1_30default_config_static_selectorELNS0_4arch9wavefront6targetE1EEEvT1_,"axG",@progbits,_ZN7rocprim17ROCPRIM_400000_NS6detail17trampoline_kernelINS0_14default_configENS1_25partition_config_selectorILNS1_17partition_subalgoE0EyNS0_10empty_typeEbEEZZNS1_14partition_implILS5_0ELb0ES3_jN6thrust23THRUST_200600_302600_NS6detail15normal_iteratorINSA_10device_ptrIyEEEEPS6_SG_NS0_5tupleIJSF_NSA_16discard_iteratorINSA_11use_defaultEEEEEENSH_IJSG_SG_EEES6_PlJ7is_evenIyEEEE10hipError_tPvRmT3_T4_T5_T6_T7_T9_mT8_P12ihipStream_tbDpT10_ENKUlT_T0_E_clISt17integral_constantIbLb1EES18_IbLb0EEEEDaS14_S15_EUlS14_E_NS1_11comp_targetILNS1_3genE0ELNS1_11target_archE4294967295ELNS1_3gpuE0ELNS1_3repE0EEENS1_30default_config_static_selectorELNS0_4arch9wavefront6targetE1EEEvT1_,comdat
	.protected	_ZN7rocprim17ROCPRIM_400000_NS6detail17trampoline_kernelINS0_14default_configENS1_25partition_config_selectorILNS1_17partition_subalgoE0EyNS0_10empty_typeEbEEZZNS1_14partition_implILS5_0ELb0ES3_jN6thrust23THRUST_200600_302600_NS6detail15normal_iteratorINSA_10device_ptrIyEEEEPS6_SG_NS0_5tupleIJSF_NSA_16discard_iteratorINSA_11use_defaultEEEEEENSH_IJSG_SG_EEES6_PlJ7is_evenIyEEEE10hipError_tPvRmT3_T4_T5_T6_T7_T9_mT8_P12ihipStream_tbDpT10_ENKUlT_T0_E_clISt17integral_constantIbLb1EES18_IbLb0EEEEDaS14_S15_EUlS14_E_NS1_11comp_targetILNS1_3genE0ELNS1_11target_archE4294967295ELNS1_3gpuE0ELNS1_3repE0EEENS1_30default_config_static_selectorELNS0_4arch9wavefront6targetE1EEEvT1_ ; -- Begin function _ZN7rocprim17ROCPRIM_400000_NS6detail17trampoline_kernelINS0_14default_configENS1_25partition_config_selectorILNS1_17partition_subalgoE0EyNS0_10empty_typeEbEEZZNS1_14partition_implILS5_0ELb0ES3_jN6thrust23THRUST_200600_302600_NS6detail15normal_iteratorINSA_10device_ptrIyEEEEPS6_SG_NS0_5tupleIJSF_NSA_16discard_iteratorINSA_11use_defaultEEEEEENSH_IJSG_SG_EEES6_PlJ7is_evenIyEEEE10hipError_tPvRmT3_T4_T5_T6_T7_T9_mT8_P12ihipStream_tbDpT10_ENKUlT_T0_E_clISt17integral_constantIbLb1EES18_IbLb0EEEEDaS14_S15_EUlS14_E_NS1_11comp_targetILNS1_3genE0ELNS1_11target_archE4294967295ELNS1_3gpuE0ELNS1_3repE0EEENS1_30default_config_static_selectorELNS0_4arch9wavefront6targetE1EEEvT1_
	.globl	_ZN7rocprim17ROCPRIM_400000_NS6detail17trampoline_kernelINS0_14default_configENS1_25partition_config_selectorILNS1_17partition_subalgoE0EyNS0_10empty_typeEbEEZZNS1_14partition_implILS5_0ELb0ES3_jN6thrust23THRUST_200600_302600_NS6detail15normal_iteratorINSA_10device_ptrIyEEEEPS6_SG_NS0_5tupleIJSF_NSA_16discard_iteratorINSA_11use_defaultEEEEEENSH_IJSG_SG_EEES6_PlJ7is_evenIyEEEE10hipError_tPvRmT3_T4_T5_T6_T7_T9_mT8_P12ihipStream_tbDpT10_ENKUlT_T0_E_clISt17integral_constantIbLb1EES18_IbLb0EEEEDaS14_S15_EUlS14_E_NS1_11comp_targetILNS1_3genE0ELNS1_11target_archE4294967295ELNS1_3gpuE0ELNS1_3repE0EEENS1_30default_config_static_selectorELNS0_4arch9wavefront6targetE1EEEvT1_
	.p2align	8
	.type	_ZN7rocprim17ROCPRIM_400000_NS6detail17trampoline_kernelINS0_14default_configENS1_25partition_config_selectorILNS1_17partition_subalgoE0EyNS0_10empty_typeEbEEZZNS1_14partition_implILS5_0ELb0ES3_jN6thrust23THRUST_200600_302600_NS6detail15normal_iteratorINSA_10device_ptrIyEEEEPS6_SG_NS0_5tupleIJSF_NSA_16discard_iteratorINSA_11use_defaultEEEEEENSH_IJSG_SG_EEES6_PlJ7is_evenIyEEEE10hipError_tPvRmT3_T4_T5_T6_T7_T9_mT8_P12ihipStream_tbDpT10_ENKUlT_T0_E_clISt17integral_constantIbLb1EES18_IbLb0EEEEDaS14_S15_EUlS14_E_NS1_11comp_targetILNS1_3genE0ELNS1_11target_archE4294967295ELNS1_3gpuE0ELNS1_3repE0EEENS1_30default_config_static_selectorELNS0_4arch9wavefront6targetE1EEEvT1_,@function
_ZN7rocprim17ROCPRIM_400000_NS6detail17trampoline_kernelINS0_14default_configENS1_25partition_config_selectorILNS1_17partition_subalgoE0EyNS0_10empty_typeEbEEZZNS1_14partition_implILS5_0ELb0ES3_jN6thrust23THRUST_200600_302600_NS6detail15normal_iteratorINSA_10device_ptrIyEEEEPS6_SG_NS0_5tupleIJSF_NSA_16discard_iteratorINSA_11use_defaultEEEEEENSH_IJSG_SG_EEES6_PlJ7is_evenIyEEEE10hipError_tPvRmT3_T4_T5_T6_T7_T9_mT8_P12ihipStream_tbDpT10_ENKUlT_T0_E_clISt17integral_constantIbLb1EES18_IbLb0EEEEDaS14_S15_EUlS14_E_NS1_11comp_targetILNS1_3genE0ELNS1_11target_archE4294967295ELNS1_3gpuE0ELNS1_3repE0EEENS1_30default_config_static_selectorELNS0_4arch9wavefront6targetE1EEEvT1_: ; @_ZN7rocprim17ROCPRIM_400000_NS6detail17trampoline_kernelINS0_14default_configENS1_25partition_config_selectorILNS1_17partition_subalgoE0EyNS0_10empty_typeEbEEZZNS1_14partition_implILS5_0ELb0ES3_jN6thrust23THRUST_200600_302600_NS6detail15normal_iteratorINSA_10device_ptrIyEEEEPS6_SG_NS0_5tupleIJSF_NSA_16discard_iteratorINSA_11use_defaultEEEEEENSH_IJSG_SG_EEES6_PlJ7is_evenIyEEEE10hipError_tPvRmT3_T4_T5_T6_T7_T9_mT8_P12ihipStream_tbDpT10_ENKUlT_T0_E_clISt17integral_constantIbLb1EES18_IbLb0EEEEDaS14_S15_EUlS14_E_NS1_11comp_targetILNS1_3genE0ELNS1_11target_archE4294967295ELNS1_3gpuE0ELNS1_3repE0EEENS1_30default_config_static_selectorELNS0_4arch9wavefront6targetE1EEEvT1_
; %bb.0:
	.section	.rodata,"a",@progbits
	.p2align	6, 0x0
	.amdhsa_kernel _ZN7rocprim17ROCPRIM_400000_NS6detail17trampoline_kernelINS0_14default_configENS1_25partition_config_selectorILNS1_17partition_subalgoE0EyNS0_10empty_typeEbEEZZNS1_14partition_implILS5_0ELb0ES3_jN6thrust23THRUST_200600_302600_NS6detail15normal_iteratorINSA_10device_ptrIyEEEEPS6_SG_NS0_5tupleIJSF_NSA_16discard_iteratorINSA_11use_defaultEEEEEENSH_IJSG_SG_EEES6_PlJ7is_evenIyEEEE10hipError_tPvRmT3_T4_T5_T6_T7_T9_mT8_P12ihipStream_tbDpT10_ENKUlT_T0_E_clISt17integral_constantIbLb1EES18_IbLb0EEEEDaS14_S15_EUlS14_E_NS1_11comp_targetILNS1_3genE0ELNS1_11target_archE4294967295ELNS1_3gpuE0ELNS1_3repE0EEENS1_30default_config_static_selectorELNS0_4arch9wavefront6targetE1EEEvT1_
		.amdhsa_group_segment_fixed_size 0
		.amdhsa_private_segment_fixed_size 0
		.amdhsa_kernarg_size 128
		.amdhsa_user_sgpr_count 6
		.amdhsa_user_sgpr_private_segment_buffer 1
		.amdhsa_user_sgpr_dispatch_ptr 0
		.amdhsa_user_sgpr_queue_ptr 0
		.amdhsa_user_sgpr_kernarg_segment_ptr 1
		.amdhsa_user_sgpr_dispatch_id 0
		.amdhsa_user_sgpr_flat_scratch_init 0
		.amdhsa_user_sgpr_kernarg_preload_length 0
		.amdhsa_user_sgpr_kernarg_preload_offset 0
		.amdhsa_user_sgpr_private_segment_size 0
		.amdhsa_uses_dynamic_stack 0
		.amdhsa_system_sgpr_private_segment_wavefront_offset 0
		.amdhsa_system_sgpr_workgroup_id_x 1
		.amdhsa_system_sgpr_workgroup_id_y 0
		.amdhsa_system_sgpr_workgroup_id_z 0
		.amdhsa_system_sgpr_workgroup_info 0
		.amdhsa_system_vgpr_workitem_id 0
		.amdhsa_next_free_vgpr 1
		.amdhsa_next_free_sgpr 0
		.amdhsa_accum_offset 4
		.amdhsa_reserve_vcc 0
		.amdhsa_reserve_flat_scratch 0
		.amdhsa_float_round_mode_32 0
		.amdhsa_float_round_mode_16_64 0
		.amdhsa_float_denorm_mode_32 3
		.amdhsa_float_denorm_mode_16_64 3
		.amdhsa_dx10_clamp 1
		.amdhsa_ieee_mode 1
		.amdhsa_fp16_overflow 0
		.amdhsa_tg_split 0
		.amdhsa_exception_fp_ieee_invalid_op 0
		.amdhsa_exception_fp_denorm_src 0
		.amdhsa_exception_fp_ieee_div_zero 0
		.amdhsa_exception_fp_ieee_overflow 0
		.amdhsa_exception_fp_ieee_underflow 0
		.amdhsa_exception_fp_ieee_inexact 0
		.amdhsa_exception_int_div_zero 0
	.end_amdhsa_kernel
	.section	.text._ZN7rocprim17ROCPRIM_400000_NS6detail17trampoline_kernelINS0_14default_configENS1_25partition_config_selectorILNS1_17partition_subalgoE0EyNS0_10empty_typeEbEEZZNS1_14partition_implILS5_0ELb0ES3_jN6thrust23THRUST_200600_302600_NS6detail15normal_iteratorINSA_10device_ptrIyEEEEPS6_SG_NS0_5tupleIJSF_NSA_16discard_iteratorINSA_11use_defaultEEEEEENSH_IJSG_SG_EEES6_PlJ7is_evenIyEEEE10hipError_tPvRmT3_T4_T5_T6_T7_T9_mT8_P12ihipStream_tbDpT10_ENKUlT_T0_E_clISt17integral_constantIbLb1EES18_IbLb0EEEEDaS14_S15_EUlS14_E_NS1_11comp_targetILNS1_3genE0ELNS1_11target_archE4294967295ELNS1_3gpuE0ELNS1_3repE0EEENS1_30default_config_static_selectorELNS0_4arch9wavefront6targetE1EEEvT1_,"axG",@progbits,_ZN7rocprim17ROCPRIM_400000_NS6detail17trampoline_kernelINS0_14default_configENS1_25partition_config_selectorILNS1_17partition_subalgoE0EyNS0_10empty_typeEbEEZZNS1_14partition_implILS5_0ELb0ES3_jN6thrust23THRUST_200600_302600_NS6detail15normal_iteratorINSA_10device_ptrIyEEEEPS6_SG_NS0_5tupleIJSF_NSA_16discard_iteratorINSA_11use_defaultEEEEEENSH_IJSG_SG_EEES6_PlJ7is_evenIyEEEE10hipError_tPvRmT3_T4_T5_T6_T7_T9_mT8_P12ihipStream_tbDpT10_ENKUlT_T0_E_clISt17integral_constantIbLb1EES18_IbLb0EEEEDaS14_S15_EUlS14_E_NS1_11comp_targetILNS1_3genE0ELNS1_11target_archE4294967295ELNS1_3gpuE0ELNS1_3repE0EEENS1_30default_config_static_selectorELNS0_4arch9wavefront6targetE1EEEvT1_,comdat
.Lfunc_end2347:
	.size	_ZN7rocprim17ROCPRIM_400000_NS6detail17trampoline_kernelINS0_14default_configENS1_25partition_config_selectorILNS1_17partition_subalgoE0EyNS0_10empty_typeEbEEZZNS1_14partition_implILS5_0ELb0ES3_jN6thrust23THRUST_200600_302600_NS6detail15normal_iteratorINSA_10device_ptrIyEEEEPS6_SG_NS0_5tupleIJSF_NSA_16discard_iteratorINSA_11use_defaultEEEEEENSH_IJSG_SG_EEES6_PlJ7is_evenIyEEEE10hipError_tPvRmT3_T4_T5_T6_T7_T9_mT8_P12ihipStream_tbDpT10_ENKUlT_T0_E_clISt17integral_constantIbLb1EES18_IbLb0EEEEDaS14_S15_EUlS14_E_NS1_11comp_targetILNS1_3genE0ELNS1_11target_archE4294967295ELNS1_3gpuE0ELNS1_3repE0EEENS1_30default_config_static_selectorELNS0_4arch9wavefront6targetE1EEEvT1_, .Lfunc_end2347-_ZN7rocprim17ROCPRIM_400000_NS6detail17trampoline_kernelINS0_14default_configENS1_25partition_config_selectorILNS1_17partition_subalgoE0EyNS0_10empty_typeEbEEZZNS1_14partition_implILS5_0ELb0ES3_jN6thrust23THRUST_200600_302600_NS6detail15normal_iteratorINSA_10device_ptrIyEEEEPS6_SG_NS0_5tupleIJSF_NSA_16discard_iteratorINSA_11use_defaultEEEEEENSH_IJSG_SG_EEES6_PlJ7is_evenIyEEEE10hipError_tPvRmT3_T4_T5_T6_T7_T9_mT8_P12ihipStream_tbDpT10_ENKUlT_T0_E_clISt17integral_constantIbLb1EES18_IbLb0EEEEDaS14_S15_EUlS14_E_NS1_11comp_targetILNS1_3genE0ELNS1_11target_archE4294967295ELNS1_3gpuE0ELNS1_3repE0EEENS1_30default_config_static_selectorELNS0_4arch9wavefront6targetE1EEEvT1_
                                        ; -- End function
	.section	.AMDGPU.csdata,"",@progbits
; Kernel info:
; codeLenInByte = 0
; NumSgprs: 4
; NumVgprs: 0
; NumAgprs: 0
; TotalNumVgprs: 0
; ScratchSize: 0
; MemoryBound: 0
; FloatMode: 240
; IeeeMode: 1
; LDSByteSize: 0 bytes/workgroup (compile time only)
; SGPRBlocks: 0
; VGPRBlocks: 0
; NumSGPRsForWavesPerEU: 4
; NumVGPRsForWavesPerEU: 1
; AccumOffset: 4
; Occupancy: 8
; WaveLimiterHint : 0
; COMPUTE_PGM_RSRC2:SCRATCH_EN: 0
; COMPUTE_PGM_RSRC2:USER_SGPR: 6
; COMPUTE_PGM_RSRC2:TRAP_HANDLER: 0
; COMPUTE_PGM_RSRC2:TGID_X_EN: 1
; COMPUTE_PGM_RSRC2:TGID_Y_EN: 0
; COMPUTE_PGM_RSRC2:TGID_Z_EN: 0
; COMPUTE_PGM_RSRC2:TIDIG_COMP_CNT: 0
; COMPUTE_PGM_RSRC3_GFX90A:ACCUM_OFFSET: 0
; COMPUTE_PGM_RSRC3_GFX90A:TG_SPLIT: 0
	.section	.text._ZN7rocprim17ROCPRIM_400000_NS6detail17trampoline_kernelINS0_14default_configENS1_25partition_config_selectorILNS1_17partition_subalgoE0EyNS0_10empty_typeEbEEZZNS1_14partition_implILS5_0ELb0ES3_jN6thrust23THRUST_200600_302600_NS6detail15normal_iteratorINSA_10device_ptrIyEEEEPS6_SG_NS0_5tupleIJSF_NSA_16discard_iteratorINSA_11use_defaultEEEEEENSH_IJSG_SG_EEES6_PlJ7is_evenIyEEEE10hipError_tPvRmT3_T4_T5_T6_T7_T9_mT8_P12ihipStream_tbDpT10_ENKUlT_T0_E_clISt17integral_constantIbLb1EES18_IbLb0EEEEDaS14_S15_EUlS14_E_NS1_11comp_targetILNS1_3genE5ELNS1_11target_archE942ELNS1_3gpuE9ELNS1_3repE0EEENS1_30default_config_static_selectorELNS0_4arch9wavefront6targetE1EEEvT1_,"axG",@progbits,_ZN7rocprim17ROCPRIM_400000_NS6detail17trampoline_kernelINS0_14default_configENS1_25partition_config_selectorILNS1_17partition_subalgoE0EyNS0_10empty_typeEbEEZZNS1_14partition_implILS5_0ELb0ES3_jN6thrust23THRUST_200600_302600_NS6detail15normal_iteratorINSA_10device_ptrIyEEEEPS6_SG_NS0_5tupleIJSF_NSA_16discard_iteratorINSA_11use_defaultEEEEEENSH_IJSG_SG_EEES6_PlJ7is_evenIyEEEE10hipError_tPvRmT3_T4_T5_T6_T7_T9_mT8_P12ihipStream_tbDpT10_ENKUlT_T0_E_clISt17integral_constantIbLb1EES18_IbLb0EEEEDaS14_S15_EUlS14_E_NS1_11comp_targetILNS1_3genE5ELNS1_11target_archE942ELNS1_3gpuE9ELNS1_3repE0EEENS1_30default_config_static_selectorELNS0_4arch9wavefront6targetE1EEEvT1_,comdat
	.protected	_ZN7rocprim17ROCPRIM_400000_NS6detail17trampoline_kernelINS0_14default_configENS1_25partition_config_selectorILNS1_17partition_subalgoE0EyNS0_10empty_typeEbEEZZNS1_14partition_implILS5_0ELb0ES3_jN6thrust23THRUST_200600_302600_NS6detail15normal_iteratorINSA_10device_ptrIyEEEEPS6_SG_NS0_5tupleIJSF_NSA_16discard_iteratorINSA_11use_defaultEEEEEENSH_IJSG_SG_EEES6_PlJ7is_evenIyEEEE10hipError_tPvRmT3_T4_T5_T6_T7_T9_mT8_P12ihipStream_tbDpT10_ENKUlT_T0_E_clISt17integral_constantIbLb1EES18_IbLb0EEEEDaS14_S15_EUlS14_E_NS1_11comp_targetILNS1_3genE5ELNS1_11target_archE942ELNS1_3gpuE9ELNS1_3repE0EEENS1_30default_config_static_selectorELNS0_4arch9wavefront6targetE1EEEvT1_ ; -- Begin function _ZN7rocprim17ROCPRIM_400000_NS6detail17trampoline_kernelINS0_14default_configENS1_25partition_config_selectorILNS1_17partition_subalgoE0EyNS0_10empty_typeEbEEZZNS1_14partition_implILS5_0ELb0ES3_jN6thrust23THRUST_200600_302600_NS6detail15normal_iteratorINSA_10device_ptrIyEEEEPS6_SG_NS0_5tupleIJSF_NSA_16discard_iteratorINSA_11use_defaultEEEEEENSH_IJSG_SG_EEES6_PlJ7is_evenIyEEEE10hipError_tPvRmT3_T4_T5_T6_T7_T9_mT8_P12ihipStream_tbDpT10_ENKUlT_T0_E_clISt17integral_constantIbLb1EES18_IbLb0EEEEDaS14_S15_EUlS14_E_NS1_11comp_targetILNS1_3genE5ELNS1_11target_archE942ELNS1_3gpuE9ELNS1_3repE0EEENS1_30default_config_static_selectorELNS0_4arch9wavefront6targetE1EEEvT1_
	.globl	_ZN7rocprim17ROCPRIM_400000_NS6detail17trampoline_kernelINS0_14default_configENS1_25partition_config_selectorILNS1_17partition_subalgoE0EyNS0_10empty_typeEbEEZZNS1_14partition_implILS5_0ELb0ES3_jN6thrust23THRUST_200600_302600_NS6detail15normal_iteratorINSA_10device_ptrIyEEEEPS6_SG_NS0_5tupleIJSF_NSA_16discard_iteratorINSA_11use_defaultEEEEEENSH_IJSG_SG_EEES6_PlJ7is_evenIyEEEE10hipError_tPvRmT3_T4_T5_T6_T7_T9_mT8_P12ihipStream_tbDpT10_ENKUlT_T0_E_clISt17integral_constantIbLb1EES18_IbLb0EEEEDaS14_S15_EUlS14_E_NS1_11comp_targetILNS1_3genE5ELNS1_11target_archE942ELNS1_3gpuE9ELNS1_3repE0EEENS1_30default_config_static_selectorELNS0_4arch9wavefront6targetE1EEEvT1_
	.p2align	8
	.type	_ZN7rocprim17ROCPRIM_400000_NS6detail17trampoline_kernelINS0_14default_configENS1_25partition_config_selectorILNS1_17partition_subalgoE0EyNS0_10empty_typeEbEEZZNS1_14partition_implILS5_0ELb0ES3_jN6thrust23THRUST_200600_302600_NS6detail15normal_iteratorINSA_10device_ptrIyEEEEPS6_SG_NS0_5tupleIJSF_NSA_16discard_iteratorINSA_11use_defaultEEEEEENSH_IJSG_SG_EEES6_PlJ7is_evenIyEEEE10hipError_tPvRmT3_T4_T5_T6_T7_T9_mT8_P12ihipStream_tbDpT10_ENKUlT_T0_E_clISt17integral_constantIbLb1EES18_IbLb0EEEEDaS14_S15_EUlS14_E_NS1_11comp_targetILNS1_3genE5ELNS1_11target_archE942ELNS1_3gpuE9ELNS1_3repE0EEENS1_30default_config_static_selectorELNS0_4arch9wavefront6targetE1EEEvT1_,@function
_ZN7rocprim17ROCPRIM_400000_NS6detail17trampoline_kernelINS0_14default_configENS1_25partition_config_selectorILNS1_17partition_subalgoE0EyNS0_10empty_typeEbEEZZNS1_14partition_implILS5_0ELb0ES3_jN6thrust23THRUST_200600_302600_NS6detail15normal_iteratorINSA_10device_ptrIyEEEEPS6_SG_NS0_5tupleIJSF_NSA_16discard_iteratorINSA_11use_defaultEEEEEENSH_IJSG_SG_EEES6_PlJ7is_evenIyEEEE10hipError_tPvRmT3_T4_T5_T6_T7_T9_mT8_P12ihipStream_tbDpT10_ENKUlT_T0_E_clISt17integral_constantIbLb1EES18_IbLb0EEEEDaS14_S15_EUlS14_E_NS1_11comp_targetILNS1_3genE5ELNS1_11target_archE942ELNS1_3gpuE9ELNS1_3repE0EEENS1_30default_config_static_selectorELNS0_4arch9wavefront6targetE1EEEvT1_: ; @_ZN7rocprim17ROCPRIM_400000_NS6detail17trampoline_kernelINS0_14default_configENS1_25partition_config_selectorILNS1_17partition_subalgoE0EyNS0_10empty_typeEbEEZZNS1_14partition_implILS5_0ELb0ES3_jN6thrust23THRUST_200600_302600_NS6detail15normal_iteratorINSA_10device_ptrIyEEEEPS6_SG_NS0_5tupleIJSF_NSA_16discard_iteratorINSA_11use_defaultEEEEEENSH_IJSG_SG_EEES6_PlJ7is_evenIyEEEE10hipError_tPvRmT3_T4_T5_T6_T7_T9_mT8_P12ihipStream_tbDpT10_ENKUlT_T0_E_clISt17integral_constantIbLb1EES18_IbLb0EEEEDaS14_S15_EUlS14_E_NS1_11comp_targetILNS1_3genE5ELNS1_11target_archE942ELNS1_3gpuE9ELNS1_3repE0EEENS1_30default_config_static_selectorELNS0_4arch9wavefront6targetE1EEEvT1_
; %bb.0:
	.section	.rodata,"a",@progbits
	.p2align	6, 0x0
	.amdhsa_kernel _ZN7rocprim17ROCPRIM_400000_NS6detail17trampoline_kernelINS0_14default_configENS1_25partition_config_selectorILNS1_17partition_subalgoE0EyNS0_10empty_typeEbEEZZNS1_14partition_implILS5_0ELb0ES3_jN6thrust23THRUST_200600_302600_NS6detail15normal_iteratorINSA_10device_ptrIyEEEEPS6_SG_NS0_5tupleIJSF_NSA_16discard_iteratorINSA_11use_defaultEEEEEENSH_IJSG_SG_EEES6_PlJ7is_evenIyEEEE10hipError_tPvRmT3_T4_T5_T6_T7_T9_mT8_P12ihipStream_tbDpT10_ENKUlT_T0_E_clISt17integral_constantIbLb1EES18_IbLb0EEEEDaS14_S15_EUlS14_E_NS1_11comp_targetILNS1_3genE5ELNS1_11target_archE942ELNS1_3gpuE9ELNS1_3repE0EEENS1_30default_config_static_selectorELNS0_4arch9wavefront6targetE1EEEvT1_
		.amdhsa_group_segment_fixed_size 0
		.amdhsa_private_segment_fixed_size 0
		.amdhsa_kernarg_size 128
		.amdhsa_user_sgpr_count 6
		.amdhsa_user_sgpr_private_segment_buffer 1
		.amdhsa_user_sgpr_dispatch_ptr 0
		.amdhsa_user_sgpr_queue_ptr 0
		.amdhsa_user_sgpr_kernarg_segment_ptr 1
		.amdhsa_user_sgpr_dispatch_id 0
		.amdhsa_user_sgpr_flat_scratch_init 0
		.amdhsa_user_sgpr_kernarg_preload_length 0
		.amdhsa_user_sgpr_kernarg_preload_offset 0
		.amdhsa_user_sgpr_private_segment_size 0
		.amdhsa_uses_dynamic_stack 0
		.amdhsa_system_sgpr_private_segment_wavefront_offset 0
		.amdhsa_system_sgpr_workgroup_id_x 1
		.amdhsa_system_sgpr_workgroup_id_y 0
		.amdhsa_system_sgpr_workgroup_id_z 0
		.amdhsa_system_sgpr_workgroup_info 0
		.amdhsa_system_vgpr_workitem_id 0
		.amdhsa_next_free_vgpr 1
		.amdhsa_next_free_sgpr 0
		.amdhsa_accum_offset 4
		.amdhsa_reserve_vcc 0
		.amdhsa_reserve_flat_scratch 0
		.amdhsa_float_round_mode_32 0
		.amdhsa_float_round_mode_16_64 0
		.amdhsa_float_denorm_mode_32 3
		.amdhsa_float_denorm_mode_16_64 3
		.amdhsa_dx10_clamp 1
		.amdhsa_ieee_mode 1
		.amdhsa_fp16_overflow 0
		.amdhsa_tg_split 0
		.amdhsa_exception_fp_ieee_invalid_op 0
		.amdhsa_exception_fp_denorm_src 0
		.amdhsa_exception_fp_ieee_div_zero 0
		.amdhsa_exception_fp_ieee_overflow 0
		.amdhsa_exception_fp_ieee_underflow 0
		.amdhsa_exception_fp_ieee_inexact 0
		.amdhsa_exception_int_div_zero 0
	.end_amdhsa_kernel
	.section	.text._ZN7rocprim17ROCPRIM_400000_NS6detail17trampoline_kernelINS0_14default_configENS1_25partition_config_selectorILNS1_17partition_subalgoE0EyNS0_10empty_typeEbEEZZNS1_14partition_implILS5_0ELb0ES3_jN6thrust23THRUST_200600_302600_NS6detail15normal_iteratorINSA_10device_ptrIyEEEEPS6_SG_NS0_5tupleIJSF_NSA_16discard_iteratorINSA_11use_defaultEEEEEENSH_IJSG_SG_EEES6_PlJ7is_evenIyEEEE10hipError_tPvRmT3_T4_T5_T6_T7_T9_mT8_P12ihipStream_tbDpT10_ENKUlT_T0_E_clISt17integral_constantIbLb1EES18_IbLb0EEEEDaS14_S15_EUlS14_E_NS1_11comp_targetILNS1_3genE5ELNS1_11target_archE942ELNS1_3gpuE9ELNS1_3repE0EEENS1_30default_config_static_selectorELNS0_4arch9wavefront6targetE1EEEvT1_,"axG",@progbits,_ZN7rocprim17ROCPRIM_400000_NS6detail17trampoline_kernelINS0_14default_configENS1_25partition_config_selectorILNS1_17partition_subalgoE0EyNS0_10empty_typeEbEEZZNS1_14partition_implILS5_0ELb0ES3_jN6thrust23THRUST_200600_302600_NS6detail15normal_iteratorINSA_10device_ptrIyEEEEPS6_SG_NS0_5tupleIJSF_NSA_16discard_iteratorINSA_11use_defaultEEEEEENSH_IJSG_SG_EEES6_PlJ7is_evenIyEEEE10hipError_tPvRmT3_T4_T5_T6_T7_T9_mT8_P12ihipStream_tbDpT10_ENKUlT_T0_E_clISt17integral_constantIbLb1EES18_IbLb0EEEEDaS14_S15_EUlS14_E_NS1_11comp_targetILNS1_3genE5ELNS1_11target_archE942ELNS1_3gpuE9ELNS1_3repE0EEENS1_30default_config_static_selectorELNS0_4arch9wavefront6targetE1EEEvT1_,comdat
.Lfunc_end2348:
	.size	_ZN7rocprim17ROCPRIM_400000_NS6detail17trampoline_kernelINS0_14default_configENS1_25partition_config_selectorILNS1_17partition_subalgoE0EyNS0_10empty_typeEbEEZZNS1_14partition_implILS5_0ELb0ES3_jN6thrust23THRUST_200600_302600_NS6detail15normal_iteratorINSA_10device_ptrIyEEEEPS6_SG_NS0_5tupleIJSF_NSA_16discard_iteratorINSA_11use_defaultEEEEEENSH_IJSG_SG_EEES6_PlJ7is_evenIyEEEE10hipError_tPvRmT3_T4_T5_T6_T7_T9_mT8_P12ihipStream_tbDpT10_ENKUlT_T0_E_clISt17integral_constantIbLb1EES18_IbLb0EEEEDaS14_S15_EUlS14_E_NS1_11comp_targetILNS1_3genE5ELNS1_11target_archE942ELNS1_3gpuE9ELNS1_3repE0EEENS1_30default_config_static_selectorELNS0_4arch9wavefront6targetE1EEEvT1_, .Lfunc_end2348-_ZN7rocprim17ROCPRIM_400000_NS6detail17trampoline_kernelINS0_14default_configENS1_25partition_config_selectorILNS1_17partition_subalgoE0EyNS0_10empty_typeEbEEZZNS1_14partition_implILS5_0ELb0ES3_jN6thrust23THRUST_200600_302600_NS6detail15normal_iteratorINSA_10device_ptrIyEEEEPS6_SG_NS0_5tupleIJSF_NSA_16discard_iteratorINSA_11use_defaultEEEEEENSH_IJSG_SG_EEES6_PlJ7is_evenIyEEEE10hipError_tPvRmT3_T4_T5_T6_T7_T9_mT8_P12ihipStream_tbDpT10_ENKUlT_T0_E_clISt17integral_constantIbLb1EES18_IbLb0EEEEDaS14_S15_EUlS14_E_NS1_11comp_targetILNS1_3genE5ELNS1_11target_archE942ELNS1_3gpuE9ELNS1_3repE0EEENS1_30default_config_static_selectorELNS0_4arch9wavefront6targetE1EEEvT1_
                                        ; -- End function
	.section	.AMDGPU.csdata,"",@progbits
; Kernel info:
; codeLenInByte = 0
; NumSgprs: 4
; NumVgprs: 0
; NumAgprs: 0
; TotalNumVgprs: 0
; ScratchSize: 0
; MemoryBound: 0
; FloatMode: 240
; IeeeMode: 1
; LDSByteSize: 0 bytes/workgroup (compile time only)
; SGPRBlocks: 0
; VGPRBlocks: 0
; NumSGPRsForWavesPerEU: 4
; NumVGPRsForWavesPerEU: 1
; AccumOffset: 4
; Occupancy: 8
; WaveLimiterHint : 0
; COMPUTE_PGM_RSRC2:SCRATCH_EN: 0
; COMPUTE_PGM_RSRC2:USER_SGPR: 6
; COMPUTE_PGM_RSRC2:TRAP_HANDLER: 0
; COMPUTE_PGM_RSRC2:TGID_X_EN: 1
; COMPUTE_PGM_RSRC2:TGID_Y_EN: 0
; COMPUTE_PGM_RSRC2:TGID_Z_EN: 0
; COMPUTE_PGM_RSRC2:TIDIG_COMP_CNT: 0
; COMPUTE_PGM_RSRC3_GFX90A:ACCUM_OFFSET: 0
; COMPUTE_PGM_RSRC3_GFX90A:TG_SPLIT: 0
	.section	.text._ZN7rocprim17ROCPRIM_400000_NS6detail17trampoline_kernelINS0_14default_configENS1_25partition_config_selectorILNS1_17partition_subalgoE0EyNS0_10empty_typeEbEEZZNS1_14partition_implILS5_0ELb0ES3_jN6thrust23THRUST_200600_302600_NS6detail15normal_iteratorINSA_10device_ptrIyEEEEPS6_SG_NS0_5tupleIJSF_NSA_16discard_iteratorINSA_11use_defaultEEEEEENSH_IJSG_SG_EEES6_PlJ7is_evenIyEEEE10hipError_tPvRmT3_T4_T5_T6_T7_T9_mT8_P12ihipStream_tbDpT10_ENKUlT_T0_E_clISt17integral_constantIbLb1EES18_IbLb0EEEEDaS14_S15_EUlS14_E_NS1_11comp_targetILNS1_3genE4ELNS1_11target_archE910ELNS1_3gpuE8ELNS1_3repE0EEENS1_30default_config_static_selectorELNS0_4arch9wavefront6targetE1EEEvT1_,"axG",@progbits,_ZN7rocprim17ROCPRIM_400000_NS6detail17trampoline_kernelINS0_14default_configENS1_25partition_config_selectorILNS1_17partition_subalgoE0EyNS0_10empty_typeEbEEZZNS1_14partition_implILS5_0ELb0ES3_jN6thrust23THRUST_200600_302600_NS6detail15normal_iteratorINSA_10device_ptrIyEEEEPS6_SG_NS0_5tupleIJSF_NSA_16discard_iteratorINSA_11use_defaultEEEEEENSH_IJSG_SG_EEES6_PlJ7is_evenIyEEEE10hipError_tPvRmT3_T4_T5_T6_T7_T9_mT8_P12ihipStream_tbDpT10_ENKUlT_T0_E_clISt17integral_constantIbLb1EES18_IbLb0EEEEDaS14_S15_EUlS14_E_NS1_11comp_targetILNS1_3genE4ELNS1_11target_archE910ELNS1_3gpuE8ELNS1_3repE0EEENS1_30default_config_static_selectorELNS0_4arch9wavefront6targetE1EEEvT1_,comdat
	.protected	_ZN7rocprim17ROCPRIM_400000_NS6detail17trampoline_kernelINS0_14default_configENS1_25partition_config_selectorILNS1_17partition_subalgoE0EyNS0_10empty_typeEbEEZZNS1_14partition_implILS5_0ELb0ES3_jN6thrust23THRUST_200600_302600_NS6detail15normal_iteratorINSA_10device_ptrIyEEEEPS6_SG_NS0_5tupleIJSF_NSA_16discard_iteratorINSA_11use_defaultEEEEEENSH_IJSG_SG_EEES6_PlJ7is_evenIyEEEE10hipError_tPvRmT3_T4_T5_T6_T7_T9_mT8_P12ihipStream_tbDpT10_ENKUlT_T0_E_clISt17integral_constantIbLb1EES18_IbLb0EEEEDaS14_S15_EUlS14_E_NS1_11comp_targetILNS1_3genE4ELNS1_11target_archE910ELNS1_3gpuE8ELNS1_3repE0EEENS1_30default_config_static_selectorELNS0_4arch9wavefront6targetE1EEEvT1_ ; -- Begin function _ZN7rocprim17ROCPRIM_400000_NS6detail17trampoline_kernelINS0_14default_configENS1_25partition_config_selectorILNS1_17partition_subalgoE0EyNS0_10empty_typeEbEEZZNS1_14partition_implILS5_0ELb0ES3_jN6thrust23THRUST_200600_302600_NS6detail15normal_iteratorINSA_10device_ptrIyEEEEPS6_SG_NS0_5tupleIJSF_NSA_16discard_iteratorINSA_11use_defaultEEEEEENSH_IJSG_SG_EEES6_PlJ7is_evenIyEEEE10hipError_tPvRmT3_T4_T5_T6_T7_T9_mT8_P12ihipStream_tbDpT10_ENKUlT_T0_E_clISt17integral_constantIbLb1EES18_IbLb0EEEEDaS14_S15_EUlS14_E_NS1_11comp_targetILNS1_3genE4ELNS1_11target_archE910ELNS1_3gpuE8ELNS1_3repE0EEENS1_30default_config_static_selectorELNS0_4arch9wavefront6targetE1EEEvT1_
	.globl	_ZN7rocprim17ROCPRIM_400000_NS6detail17trampoline_kernelINS0_14default_configENS1_25partition_config_selectorILNS1_17partition_subalgoE0EyNS0_10empty_typeEbEEZZNS1_14partition_implILS5_0ELb0ES3_jN6thrust23THRUST_200600_302600_NS6detail15normal_iteratorINSA_10device_ptrIyEEEEPS6_SG_NS0_5tupleIJSF_NSA_16discard_iteratorINSA_11use_defaultEEEEEENSH_IJSG_SG_EEES6_PlJ7is_evenIyEEEE10hipError_tPvRmT3_T4_T5_T6_T7_T9_mT8_P12ihipStream_tbDpT10_ENKUlT_T0_E_clISt17integral_constantIbLb1EES18_IbLb0EEEEDaS14_S15_EUlS14_E_NS1_11comp_targetILNS1_3genE4ELNS1_11target_archE910ELNS1_3gpuE8ELNS1_3repE0EEENS1_30default_config_static_selectorELNS0_4arch9wavefront6targetE1EEEvT1_
	.p2align	8
	.type	_ZN7rocprim17ROCPRIM_400000_NS6detail17trampoline_kernelINS0_14default_configENS1_25partition_config_selectorILNS1_17partition_subalgoE0EyNS0_10empty_typeEbEEZZNS1_14partition_implILS5_0ELb0ES3_jN6thrust23THRUST_200600_302600_NS6detail15normal_iteratorINSA_10device_ptrIyEEEEPS6_SG_NS0_5tupleIJSF_NSA_16discard_iteratorINSA_11use_defaultEEEEEENSH_IJSG_SG_EEES6_PlJ7is_evenIyEEEE10hipError_tPvRmT3_T4_T5_T6_T7_T9_mT8_P12ihipStream_tbDpT10_ENKUlT_T0_E_clISt17integral_constantIbLb1EES18_IbLb0EEEEDaS14_S15_EUlS14_E_NS1_11comp_targetILNS1_3genE4ELNS1_11target_archE910ELNS1_3gpuE8ELNS1_3repE0EEENS1_30default_config_static_selectorELNS0_4arch9wavefront6targetE1EEEvT1_,@function
_ZN7rocprim17ROCPRIM_400000_NS6detail17trampoline_kernelINS0_14default_configENS1_25partition_config_selectorILNS1_17partition_subalgoE0EyNS0_10empty_typeEbEEZZNS1_14partition_implILS5_0ELb0ES3_jN6thrust23THRUST_200600_302600_NS6detail15normal_iteratorINSA_10device_ptrIyEEEEPS6_SG_NS0_5tupleIJSF_NSA_16discard_iteratorINSA_11use_defaultEEEEEENSH_IJSG_SG_EEES6_PlJ7is_evenIyEEEE10hipError_tPvRmT3_T4_T5_T6_T7_T9_mT8_P12ihipStream_tbDpT10_ENKUlT_T0_E_clISt17integral_constantIbLb1EES18_IbLb0EEEEDaS14_S15_EUlS14_E_NS1_11comp_targetILNS1_3genE4ELNS1_11target_archE910ELNS1_3gpuE8ELNS1_3repE0EEENS1_30default_config_static_selectorELNS0_4arch9wavefront6targetE1EEEvT1_: ; @_ZN7rocprim17ROCPRIM_400000_NS6detail17trampoline_kernelINS0_14default_configENS1_25partition_config_selectorILNS1_17partition_subalgoE0EyNS0_10empty_typeEbEEZZNS1_14partition_implILS5_0ELb0ES3_jN6thrust23THRUST_200600_302600_NS6detail15normal_iteratorINSA_10device_ptrIyEEEEPS6_SG_NS0_5tupleIJSF_NSA_16discard_iteratorINSA_11use_defaultEEEEEENSH_IJSG_SG_EEES6_PlJ7is_evenIyEEEE10hipError_tPvRmT3_T4_T5_T6_T7_T9_mT8_P12ihipStream_tbDpT10_ENKUlT_T0_E_clISt17integral_constantIbLb1EES18_IbLb0EEEEDaS14_S15_EUlS14_E_NS1_11comp_targetILNS1_3genE4ELNS1_11target_archE910ELNS1_3gpuE8ELNS1_3repE0EEENS1_30default_config_static_selectorELNS0_4arch9wavefront6targetE1EEEvT1_
; %bb.0:
	s_load_dwordx2 s[8:9], s[4:5], 0x60
	s_load_dwordx4 s[0:3], s[4:5], 0x8
	s_load_dwordx4 s[24:27], s[4:5], 0x50
	s_load_dword s7, s[4:5], 0x78
	v_lshlrev_b32_e32 v1, 3, v0
	s_waitcnt lgkmcnt(0)
	v_mov_b32_e32 v3, s9
	s_lshl_b64 s[10:11], s[2:3], 3
	s_add_u32 s9, s0, s10
	s_addc_u32 s10, s1, s11
	s_add_i32 s11, s7, -1
	s_mulk_i32 s7, 0x300
	s_add_i32 s1, s7, s2
	s_sub_i32 s33, s8, s1
	s_add_u32 s2, s2, s7
	s_addc_u32 s3, s3, 0
	s_cmp_eq_u32 s6, s11
	v_mov_b32_e32 v2, s8
	s_load_dwordx2 s[22:23], s[26:27], 0x0
	s_cselect_b64 s[26:27], -1, 0
	s_cmp_lg_u32 s6, s11
	s_mul_i32 s0, s6, 0x300
	s_mov_b32 s1, 0
	v_cmp_lt_u64_e32 vcc, s[2:3], v[2:3]
	s_cselect_b64 s[2:3], -1, 0
	s_or_b64 s[2:3], s[2:3], vcc
	s_lshl_b64 s[0:1], s[0:1], 3
	s_add_u32 s7, s9, s0
	s_addc_u32 s8, s10, s1
	s_mov_b64 s[0:1], -1
	s_and_b64 vcc, exec, s[2:3]
	v_lshrrev_b32_e32 v10, 2, v0
	s_cbranch_vccz .LBB2349_2
; %bb.1:
	v_mov_b32_e32 v3, s8
	v_add_co_u32_e32 v2, vcc, s7, v1
	v_addc_co_u32_e32 v3, vcc, 0, v3, vcc
	v_add_co_u32_e32 v4, vcc, 0x1000, v2
	v_addc_co_u32_e32 v5, vcc, 0, v3, vcc
	flat_load_dwordx2 v[6:7], v[2:3]
	flat_load_dwordx2 v[8:9], v[2:3] offset:1536
	flat_load_dwordx2 v[12:13], v[2:3] offset:3072
	;; [unrolled: 1-line block ×3, first 2 shown]
	v_add_u32_e32 v3, 0xc0, v0
	v_add_u32_e32 v4, 0x180, v0
	;; [unrolled: 1-line block ×3, first 2 shown]
	v_and_b32_e32 v2, 56, v10
	v_lshrrev_b32_e32 v3, 2, v3
	v_lshrrev_b32_e32 v4, 2, v4
	;; [unrolled: 1-line block ×3, first 2 shown]
	v_add_u32_e32 v2, v2, v1
	v_and_b32_e32 v3, 0x78, v3
	v_and_b32_e32 v4, 0xf8, v4
	;; [unrolled: 1-line block ×3, first 2 shown]
	v_add_u32_e32 v3, v3, v1
	v_add_u32_e32 v4, v4, v1
	;; [unrolled: 1-line block ×3, first 2 shown]
	s_mov_b64 s[0:1], 0
	s_waitcnt vmcnt(0) lgkmcnt(0)
	ds_write_b64 v2, v[6:7]
	ds_write_b64 v3, v[8:9] offset:1536
	ds_write_b64 v4, v[12:13] offset:3072
	;; [unrolled: 1-line block ×3, first 2 shown]
	s_waitcnt lgkmcnt(0)
	s_barrier
.LBB2349_2:
	s_andn2_b64 vcc, exec, s[0:1]
	s_addk_i32 s33, 0x300
	s_cbranch_vccnz .LBB2349_12
; %bb.3:
	v_cmp_gt_u32_e32 vcc, s33, v0
                                        ; implicit-def: $vgpr2_vgpr3_vgpr4_vgpr5_vgpr6_vgpr7_vgpr8_vgpr9
	s_and_saveexec_b64 s[0:1], vcc
	s_cbranch_execz .LBB2349_5
; %bb.4:
	v_mov_b32_e32 v3, s8
	v_add_co_u32_e32 v2, vcc, s7, v1
	v_addc_co_u32_e32 v3, vcc, 0, v3, vcc
	flat_load_dwordx2 v[2:3], v[2:3]
.LBB2349_5:
	s_or_b64 exec, exec, s[0:1]
	v_add_u32_e32 v11, 0xc0, v0
	v_cmp_gt_u32_e32 vcc, s33, v11
	s_and_saveexec_b64 s[0:1], vcc
	s_cbranch_execz .LBB2349_7
; %bb.6:
	v_mov_b32_e32 v5, s8
	v_add_co_u32_e32 v4, vcc, s7, v1
	v_addc_co_u32_e32 v5, vcc, 0, v5, vcc
	flat_load_dwordx2 v[4:5], v[4:5] offset:1536
.LBB2349_7:
	s_or_b64 exec, exec, s[0:1]
	v_add_u32_e32 v12, 0x180, v0
	v_cmp_gt_u32_e32 vcc, s33, v12
	s_and_saveexec_b64 s[0:1], vcc
	s_cbranch_execz .LBB2349_9
; %bb.8:
	v_mov_b32_e32 v7, s8
	v_add_co_u32_e32 v6, vcc, s7, v1
	v_addc_co_u32_e32 v7, vcc, 0, v7, vcc
	flat_load_dwordx2 v[6:7], v[6:7] offset:3072
.LBB2349_9:
	s_or_b64 exec, exec, s[0:1]
	v_add_u32_e32 v13, 0x240, v0
	v_cmp_gt_u32_e32 vcc, s33, v13
	s_and_saveexec_b64 s[0:1], vcc
	s_cbranch_execz .LBB2349_11
; %bb.10:
	v_lshlrev_b32_e32 v8, 3, v13
	v_mov_b32_e32 v9, s8
	v_add_co_u32_e32 v8, vcc, s7, v8
	v_addc_co_u32_e32 v9, vcc, 0, v9, vcc
	flat_load_dwordx2 v[8:9], v[8:9]
.LBB2349_11:
	s_or_b64 exec, exec, s[0:1]
	v_and_b32_e32 v10, 56, v10
	v_add_u32_e32 v10, v10, v1
	s_waitcnt vmcnt(0) lgkmcnt(0)
	ds_write_b64 v10, v[2:3]
	v_lshrrev_b32_e32 v2, 2, v11
	v_and_b32_e32 v2, 0x78, v2
	v_add_u32_e32 v2, v2, v1
	ds_write_b64 v2, v[4:5] offset:1536
	v_lshrrev_b32_e32 v2, 2, v12
	v_and_b32_e32 v2, 0xf8, v2
	v_add_u32_e32 v2, v2, v1
	ds_write_b64 v2, v[6:7] offset:3072
	;; [unrolled: 4-line block ×3, first 2 shown]
	s_waitcnt lgkmcnt(0)
	s_barrier
.LBB2349_12:
	v_lshlrev_b32_e32 v20, 2, v0
	v_lshrrev_b32_e32 v2, 3, v0
	v_add_lshl_u32 v2, v2, v20, 3
	s_waitcnt lgkmcnt(0)
	ds_read2_b64 v[6:9], v2 offset1:1
	ds_read2_b64 v[2:5], v2 offset0:2 offset1:3
	v_cndmask_b32_e64 v10, 0, 1, s[2:3]
	v_cmp_ne_u32_e64 s[0:1], 1, v10
	s_andn2_b64 vcc, exec, s[2:3]
	s_waitcnt lgkmcnt(1)
	v_xor_b32_e32 v13, -1, v6
	v_xor_b32_e32 v12, -1, v8
	s_waitcnt lgkmcnt(0)
	v_xor_b32_e32 v11, -1, v2
	v_xor_b32_e32 v10, -1, v4
	s_barrier
	s_cbranch_vccnz .LBB2349_14
; %bb.13:
	v_mov_b32_e32 v15, 1
	v_and_b32_e32 v14, 1, v13
	v_and_b32_sdwa v16, v12, v15 dst_sel:BYTE_1 dst_unused:UNUSED_PAD src0_sel:DWORD src1_sel:DWORD
	v_and_b32_e32 v17, 1, v11
	v_and_b32_sdwa v15, v10, v15 dst_sel:BYTE_1 dst_unused:UNUSED_PAD src0_sel:DWORD src1_sel:DWORD
	v_or_b32_e32 v14, v14, v16
	v_or_b32_sdwa v15, v17, v15 dst_sel:WORD_1 dst_unused:UNUSED_PAD src0_sel:DWORD src1_sel:DWORD
	v_or_b32_sdwa v21, v14, v15 dst_sel:DWORD dst_unused:UNUSED_PAD src0_sel:WORD_0 src1_sel:DWORD
	s_load_dwordx2 s[28:29], s[4:5], 0x70
	s_cbranch_execz .LBB2349_15
	s_branch .LBB2349_16
.LBB2349_14:
                                        ; implicit-def: $vgpr21
	s_load_dwordx2 s[28:29], s[4:5], 0x70
.LBB2349_15:
	v_cmp_gt_u32_e32 vcc, s33, v20
	v_cndmask_b32_e64 v14, 0, 1, vcc
	v_and_b32_e32 v13, v14, v13
	v_or_b32_e32 v14, 1, v20
	v_cmp_gt_u32_e32 vcc, s33, v14
	v_cndmask_b32_e64 v14, 0, 1, vcc
	v_and_b32_sdwa v12, v14, v12 dst_sel:BYTE_1 dst_unused:UNUSED_PAD src0_sel:DWORD src1_sel:DWORD
	v_or_b32_e32 v14, 2, v20
	v_cmp_gt_u32_e32 vcc, s33, v14
	v_cndmask_b32_e64 v14, 0, 1, vcc
	v_and_b32_e32 v11, v14, v11
	v_or_b32_e32 v14, 3, v20
	v_cmp_gt_u32_e32 vcc, s33, v14
	v_cndmask_b32_e64 v14, 0, 1, vcc
	v_and_b32_sdwa v10, v14, v10 dst_sel:BYTE_1 dst_unused:UNUSED_PAD src0_sel:DWORD src1_sel:DWORD
	v_or_b32_e32 v12, v13, v12
	v_or_b32_sdwa v10, v11, v10 dst_sel:WORD_1 dst_unused:UNUSED_PAD src0_sel:DWORD src1_sel:DWORD
	v_or_b32_sdwa v21, v12, v10 dst_sel:DWORD dst_unused:UNUSED_PAD src0_sel:WORD_0 src1_sel:DWORD
.LBB2349_16:
	v_bfe_u32 v23, v21, 16, 8
	v_lshrrev_b32_e32 v22, 24, v21
	v_add_u32_sdwa v10, v21, v21 dst_sel:DWORD dst_unused:UNUSED_PAD src0_sel:BYTE_1 src1_sel:BYTE_0
	v_add3_u32 v26, v10, v23, v22
	v_mbcnt_lo_u32_b32 v10, -1, 0
	v_mbcnt_hi_u32_b32 v24, -1, v10
	v_and_b32_e32 v10, 15, v24
	v_cmp_eq_u32_e64 s[16:17], 0, v10
	v_cmp_lt_u32_e64 s[14:15], 1, v10
	v_cmp_lt_u32_e64 s[12:13], 3, v10
	;; [unrolled: 1-line block ×3, first 2 shown]
	v_and_b32_e32 v10, 16, v24
	v_cmp_eq_u32_e64 s[20:21], 0, v10
	v_and_b32_e32 v10, 0xc0, v0
	v_min_u32_e32 v10, 0x80, v10
	v_or_b32_e32 v10, 63, v10
	s_cmp_lg_u32 s6, 0
	v_cmp_lt_u32_e64 s[2:3], 31, v24
	v_lshrrev_b32_e32 v25, 6, v0
	v_cmp_eq_u32_e64 s[8:9], v10, v0
	s_cbranch_scc0 .LBB2349_47
; %bb.17:
	v_mov_b32_dpp v10, v26 row_shr:1 row_mask:0xf bank_mask:0xf
	v_cndmask_b32_e64 v10, v10, 0, s[16:17]
	v_add_u32_e32 v10, v10, v26
	s_nop 1
	v_mov_b32_dpp v11, v10 row_shr:2 row_mask:0xf bank_mask:0xf
	v_cndmask_b32_e64 v11, 0, v11, s[14:15]
	v_add_u32_e32 v10, v10, v11
	s_nop 1
	;; [unrolled: 4-line block ×4, first 2 shown]
	v_mov_b32_dpp v11, v10 row_bcast:15 row_mask:0xf bank_mask:0xf
	v_cndmask_b32_e64 v11, v11, 0, s[20:21]
	v_add_u32_e32 v10, v10, v11
	s_nop 1
	v_mov_b32_dpp v11, v10 row_bcast:31 row_mask:0xf bank_mask:0xf
	v_cndmask_b32_e64 v11, 0, v11, s[2:3]
	v_add_u32_e32 v10, v10, v11
	s_and_saveexec_b64 s[18:19], s[8:9]
	s_cbranch_execz .LBB2349_19
; %bb.18:
	v_lshlrev_b32_e32 v11, 2, v25
	ds_write_b32 v11, v10
.LBB2349_19:
	s_or_b64 exec, exec, s[18:19]
	v_cmp_gt_u32_e32 vcc, 3, v0
	s_waitcnt lgkmcnt(0)
	s_barrier
	s_and_saveexec_b64 s[18:19], vcc
	s_cbranch_execz .LBB2349_21
; %bb.20:
	ds_read_b32 v11, v20
	v_and_b32_e32 v12, 3, v24
	v_cmp_ne_u32_e32 vcc, 0, v12
	s_waitcnt lgkmcnt(0)
	v_mov_b32_dpp v13, v11 row_shr:1 row_mask:0xf bank_mask:0xf
	v_cndmask_b32_e32 v13, 0, v13, vcc
	v_add_u32_e32 v11, v13, v11
	v_cmp_lt_u32_e32 vcc, 1, v12
	s_nop 0
	v_mov_b32_dpp v13, v11 row_shr:2 row_mask:0xf bank_mask:0xf
	v_cndmask_b32_e32 v12, 0, v13, vcc
	v_add_u32_e32 v11, v11, v12
	ds_write_b32 v20, v11
.LBB2349_21:
	s_or_b64 exec, exec, s[18:19]
	v_cmp_gt_u32_e32 vcc, 64, v0
	v_cmp_lt_u32_e64 s[18:19], 63, v0
	s_waitcnt lgkmcnt(0)
	s_barrier
	s_waitcnt lgkmcnt(0)
                                        ; implicit-def: $vgpr27
	s_and_saveexec_b64 s[30:31], s[18:19]
	s_cbranch_execz .LBB2349_23
; %bb.22:
	v_lshl_add_u32 v11, v25, 2, -4
	ds_read_b32 v27, v11
	s_waitcnt lgkmcnt(0)
	v_add_u32_e32 v10, v27, v10
.LBB2349_23:
	s_or_b64 exec, exec, s[30:31]
	v_add_u32_e32 v11, -1, v24
	v_and_b32_e32 v12, 64, v24
	v_cmp_lt_i32_e64 s[18:19], v11, v12
	v_cndmask_b32_e64 v11, v11, v24, s[18:19]
	v_lshlrev_b32_e32 v11, 2, v11
	ds_bpermute_b32 v28, v11, v10
	v_cmp_eq_u32_e64 s[18:19], 0, v24
	s_and_saveexec_b64 s[30:31], vcc
	s_cbranch_execz .LBB2349_46
; %bb.24:
	v_mov_b32_e32 v19, 0
	ds_read_b32 v10, v19 offset:8
	s_and_saveexec_b64 s[34:35], s[18:19]
	s_cbranch_execz .LBB2349_26
; %bb.25:
	s_add_i32 s36, s6, 64
	s_mov_b32 s37, 0
	s_lshl_b64 s[36:37], s[36:37], 3
	s_add_u32 s36, s28, s36
	v_mov_b32_e32 v11, 1
	s_addc_u32 s37, s29, s37
	s_waitcnt lgkmcnt(0)
	global_store_dwordx2 v19, v[10:11], s[36:37]
.LBB2349_26:
	s_or_b64 exec, exec, s[34:35]
	v_xad_u32 v12, v24, -1, s6
	v_add_u32_e32 v18, 64, v12
	v_lshlrev_b64 v[14:15], 3, v[18:19]
	v_mov_b32_e32 v11, s29
	v_add_co_u32_e32 v14, vcc, s28, v14
	v_addc_co_u32_e32 v15, vcc, v11, v15, vcc
	global_load_dwordx2 v[16:17], v[14:15], off glc
	s_waitcnt vmcnt(0)
	v_cmp_eq_u16_sdwa s[36:37], v17, v19 src0_sel:BYTE_0 src1_sel:DWORD
	s_and_saveexec_b64 s[34:35], s[36:37]
	s_cbranch_execz .LBB2349_32
; %bb.27:
	s_mov_b32 s7, 1
	s_mov_b64 s[36:37], 0
	v_mov_b32_e32 v11, 0
.LBB2349_28:                            ; =>This Loop Header: Depth=1
                                        ;     Child Loop BB2349_29 Depth 2
	s_max_u32 s38, s7, 1
.LBB2349_29:                            ;   Parent Loop BB2349_28 Depth=1
                                        ; =>  This Inner Loop Header: Depth=2
	s_add_i32 s38, s38, -1
	s_cmp_eq_u32 s38, 0
	s_sleep 1
	s_cbranch_scc0 .LBB2349_29
; %bb.30:                               ;   in Loop: Header=BB2349_28 Depth=1
	global_load_dwordx2 v[16:17], v[14:15], off glc
	s_cmp_lt_u32 s7, 32
	s_cselect_b64 s[38:39], -1, 0
	s_cmp_lg_u64 s[38:39], 0
	s_addc_u32 s7, s7, 0
	s_waitcnt vmcnt(0)
	v_cmp_ne_u16_sdwa s[38:39], v17, v11 src0_sel:BYTE_0 src1_sel:DWORD
	s_or_b64 s[36:37], s[38:39], s[36:37]
	s_andn2_b64 exec, exec, s[36:37]
	s_cbranch_execnz .LBB2349_28
; %bb.31:
	s_or_b64 exec, exec, s[36:37]
.LBB2349_32:
	s_or_b64 exec, exec, s[34:35]
	v_and_b32_e32 v30, 63, v24
	v_mov_b32_e32 v29, 2
	v_cmp_ne_u32_e32 vcc, 63, v30
	v_cmp_eq_u16_sdwa s[34:35], v17, v29 src0_sel:BYTE_0 src1_sel:DWORD
	v_lshlrev_b64 v[14:15], v24, -1
	v_addc_co_u32_e32 v18, vcc, 0, v24, vcc
	v_and_b32_e32 v11, s35, v15
	v_lshlrev_b32_e32 v31, 2, v18
	v_or_b32_e32 v11, 0x80000000, v11
	ds_bpermute_b32 v18, v31, v16
	v_and_b32_e32 v13, s34, v14
	v_ffbl_b32_e32 v11, v11
	v_add_u32_e32 v11, 32, v11
	v_ffbl_b32_e32 v13, v13
	v_min_u32_e32 v11, v13, v11
	v_cmp_lt_u32_e32 vcc, v30, v11
	s_waitcnt lgkmcnt(0)
	v_cndmask_b32_e32 v13, 0, v18, vcc
	v_cmp_gt_u32_e32 vcc, 62, v30
	v_add_u32_e32 v13, v13, v16
	v_cndmask_b32_e64 v16, 0, 1, vcc
	v_lshlrev_b32_e32 v16, 1, v16
	v_add_lshl_u32 v32, v16, v24, 2
	ds_bpermute_b32 v16, v32, v13
	v_add_u32_e32 v33, 2, v30
	v_cmp_le_u32_e32 vcc, v33, v11
	v_add_u32_e32 v35, 4, v30
	v_add_u32_e32 v37, 8, v30
	s_waitcnt lgkmcnt(0)
	v_cndmask_b32_e32 v16, 0, v16, vcc
	v_cmp_gt_u32_e32 vcc, 60, v30
	v_add_u32_e32 v13, v13, v16
	v_cndmask_b32_e64 v16, 0, 1, vcc
	v_lshlrev_b32_e32 v16, 2, v16
	v_add_lshl_u32 v34, v16, v24, 2
	ds_bpermute_b32 v16, v34, v13
	v_cmp_le_u32_e32 vcc, v35, v11
	v_add_u32_e32 v39, 16, v30
	v_add_u32_e32 v41, 32, v30
	s_waitcnt lgkmcnt(0)
	v_cndmask_b32_e32 v16, 0, v16, vcc
	v_cmp_gt_u32_e32 vcc, 56, v30
	v_add_u32_e32 v13, v13, v16
	v_cndmask_b32_e64 v16, 0, 1, vcc
	v_lshlrev_b32_e32 v16, 3, v16
	v_add_lshl_u32 v36, v16, v24, 2
	ds_bpermute_b32 v16, v36, v13
	v_cmp_le_u32_e32 vcc, v37, v11
	s_waitcnt lgkmcnt(0)
	v_cndmask_b32_e32 v16, 0, v16, vcc
	v_cmp_gt_u32_e32 vcc, 48, v30
	v_add_u32_e32 v13, v13, v16
	v_cndmask_b32_e64 v16, 0, 1, vcc
	v_lshlrev_b32_e32 v16, 4, v16
	v_add_lshl_u32 v38, v16, v24, 2
	ds_bpermute_b32 v16, v38, v13
	v_cmp_le_u32_e32 vcc, v39, v11
	;; [unrolled: 9-line block ×3, first 2 shown]
	s_waitcnt lgkmcnt(0)
	v_cndmask_b32_e32 v11, 0, v16, vcc
	v_add_u32_e32 v16, v13, v11
	v_mov_b32_e32 v13, 0
	s_branch .LBB2349_34
.LBB2349_33:                            ;   in Loop: Header=BB2349_34 Depth=1
	s_or_b64 exec, exec, s[34:35]
	v_cmp_eq_u16_sdwa s[34:35], v17, v29 src0_sel:BYTE_0 src1_sel:DWORD
	v_and_b32_e32 v18, s35, v15
	v_or_b32_e32 v18, 0x80000000, v18
	ds_bpermute_b32 v42, v31, v16
	v_and_b32_e32 v19, s34, v14
	v_ffbl_b32_e32 v18, v18
	v_add_u32_e32 v18, 32, v18
	v_ffbl_b32_e32 v19, v19
	v_min_u32_e32 v18, v19, v18
	v_cmp_lt_u32_e32 vcc, v30, v18
	s_waitcnt lgkmcnt(0)
	v_cndmask_b32_e32 v19, 0, v42, vcc
	v_add_u32_e32 v16, v19, v16
	ds_bpermute_b32 v19, v32, v16
	v_cmp_le_u32_e32 vcc, v33, v18
	v_subrev_u32_e32 v12, 64, v12
	s_waitcnt lgkmcnt(0)
	v_cndmask_b32_e32 v19, 0, v19, vcc
	v_add_u32_e32 v16, v16, v19
	ds_bpermute_b32 v19, v34, v16
	v_cmp_le_u32_e32 vcc, v35, v18
	s_waitcnt lgkmcnt(0)
	v_cndmask_b32_e32 v19, 0, v19, vcc
	v_add_u32_e32 v16, v16, v19
	ds_bpermute_b32 v19, v36, v16
	v_cmp_le_u32_e32 vcc, v37, v18
	;; [unrolled: 5-line block ×4, first 2 shown]
	s_waitcnt lgkmcnt(0)
	v_cndmask_b32_e32 v18, 0, v19, vcc
	v_add3_u32 v16, v18, v11, v16
.LBB2349_34:                            ; =>This Loop Header: Depth=1
                                        ;     Child Loop BB2349_37 Depth 2
                                        ;       Child Loop BB2349_38 Depth 3
	v_cmp_ne_u16_sdwa s[34:35], v17, v29 src0_sel:BYTE_0 src1_sel:DWORD
	v_cndmask_b32_e64 v11, 0, 1, s[34:35]
	;;#ASMSTART
	;;#ASMEND
	v_cmp_ne_u32_e32 vcc, 0, v11
	s_cmp_lg_u64 vcc, exec
	v_mov_b32_e32 v11, v16
	s_cbranch_scc1 .LBB2349_41
; %bb.35:                               ;   in Loop: Header=BB2349_34 Depth=1
	v_lshlrev_b64 v[16:17], 3, v[12:13]
	v_mov_b32_e32 v19, s29
	v_add_co_u32_e32 v18, vcc, s28, v16
	v_addc_co_u32_e32 v19, vcc, v19, v17, vcc
	global_load_dwordx2 v[16:17], v[18:19], off glc
	s_waitcnt vmcnt(0)
	v_cmp_eq_u16_sdwa s[36:37], v17, v13 src0_sel:BYTE_0 src1_sel:DWORD
	s_and_saveexec_b64 s[34:35], s[36:37]
	s_cbranch_execz .LBB2349_33
; %bb.36:                               ;   in Loop: Header=BB2349_34 Depth=1
	s_mov_b32 s7, 1
	s_mov_b64 s[36:37], 0
.LBB2349_37:                            ;   Parent Loop BB2349_34 Depth=1
                                        ; =>  This Loop Header: Depth=2
                                        ;       Child Loop BB2349_38 Depth 3
	s_max_u32 s38, s7, 1
.LBB2349_38:                            ;   Parent Loop BB2349_34 Depth=1
                                        ;     Parent Loop BB2349_37 Depth=2
                                        ; =>    This Inner Loop Header: Depth=3
	s_add_i32 s38, s38, -1
	s_cmp_eq_u32 s38, 0
	s_sleep 1
	s_cbranch_scc0 .LBB2349_38
; %bb.39:                               ;   in Loop: Header=BB2349_37 Depth=2
	global_load_dwordx2 v[16:17], v[18:19], off glc
	s_cmp_lt_u32 s7, 32
	s_cselect_b64 s[38:39], -1, 0
	s_cmp_lg_u64 s[38:39], 0
	s_addc_u32 s7, s7, 0
	s_waitcnt vmcnt(0)
	v_cmp_ne_u16_sdwa s[38:39], v17, v13 src0_sel:BYTE_0 src1_sel:DWORD
	s_or_b64 s[36:37], s[38:39], s[36:37]
	s_andn2_b64 exec, exec, s[36:37]
	s_cbranch_execnz .LBB2349_37
; %bb.40:                               ;   in Loop: Header=BB2349_34 Depth=1
	s_or_b64 exec, exec, s[36:37]
	s_branch .LBB2349_33
.LBB2349_41:                            ;   in Loop: Header=BB2349_34 Depth=1
                                        ; implicit-def: $vgpr16
                                        ; implicit-def: $vgpr17
	s_cbranch_execz .LBB2349_34
; %bb.42:
	s_and_saveexec_b64 s[34:35], s[18:19]
	s_cbranch_execz .LBB2349_44
; %bb.43:
	s_add_i32 s6, s6, 64
	s_mov_b32 s7, 0
	s_lshl_b64 s[6:7], s[6:7], 3
	s_add_u32 s6, s28, s6
	v_add_u32_e32 v12, v11, v10
	v_mov_b32_e32 v13, 2
	s_addc_u32 s7, s29, s7
	v_mov_b32_e32 v14, 0
	global_store_dwordx2 v14, v[12:13], s[6:7]
	ds_write_b64 v14, v[10:11] offset:6336
.LBB2349_44:
	s_or_b64 exec, exec, s[34:35]
	v_cmp_eq_u32_e32 vcc, 0, v0
	s_and_b64 exec, exec, vcc
	s_cbranch_execz .LBB2349_46
; %bb.45:
	v_mov_b32_e32 v10, 0
	ds_write_b32 v10, v11 offset:8
.LBB2349_46:
	s_or_b64 exec, exec, s[30:31]
	v_mov_b32_e32 v10, 0
	s_waitcnt lgkmcnt(0)
	s_barrier
	ds_read_b32 v11, v10 offset:8
	v_cndmask_b32_e64 v12, v28, v27, s[18:19]
	v_cmp_ne_u32_e32 vcc, 0, v0
	v_cndmask_b32_e32 v12, 0, v12, vcc
	s_waitcnt lgkmcnt(0)
	v_add_u32_e32 v15, v11, v12
	s_barrier
	ds_read_b64 v[10:11], v10 offset:6336
	v_add_u32_sdwa v16, v15, v21 dst_sel:DWORD dst_unused:UNUSED_PAD src0_sel:DWORD src1_sel:BYTE_0
	v_add_u32_sdwa v14, v16, v21 dst_sel:DWORD dst_unused:UNUSED_PAD src0_sel:DWORD src1_sel:BYTE_1
	v_add_u32_e32 v13, v14, v23
	s_waitcnt lgkmcnt(0)
	v_mov_b32_e32 v12, v11
	s_load_dwordx2 s[4:5], s[4:5], 0x28
	s_branch .LBB2349_57
.LBB2349_47:
                                        ; implicit-def: $vgpr12
                                        ; implicit-def: $vgpr10
                                        ; implicit-def: $vgpr13
                                        ; implicit-def: $vgpr14
                                        ; implicit-def: $vgpr16
                                        ; implicit-def: $vgpr15
	s_load_dwordx2 s[4:5], s[4:5], 0x28
	s_cbranch_execz .LBB2349_57
; %bb.48:
	v_mov_b32_dpp v10, v26 row_shr:1 row_mask:0xf bank_mask:0xf
	v_cndmask_b32_e64 v10, v10, 0, s[16:17]
	v_add_u32_e32 v10, v10, v26
	s_nop 1
	v_mov_b32_dpp v11, v10 row_shr:2 row_mask:0xf bank_mask:0xf
	v_cndmask_b32_e64 v11, 0, v11, s[14:15]
	v_add_u32_e32 v10, v10, v11
	s_nop 1
	;; [unrolled: 4-line block ×4, first 2 shown]
	v_mov_b32_dpp v11, v10 row_bcast:15 row_mask:0xf bank_mask:0xf
	v_cndmask_b32_e64 v11, v11, 0, s[20:21]
	v_add_u32_e32 v10, v10, v11
	s_nop 1
	v_mov_b32_dpp v11, v10 row_bcast:31 row_mask:0xf bank_mask:0xf
	v_cndmask_b32_e64 v11, 0, v11, s[2:3]
	v_add_u32_e32 v10, v10, v11
	s_and_saveexec_b64 s[2:3], s[8:9]
	s_cbranch_execz .LBB2349_50
; %bb.49:
	v_lshlrev_b32_e32 v11, 2, v25
	ds_write_b32 v11, v10
.LBB2349_50:
	s_or_b64 exec, exec, s[2:3]
	v_cmp_gt_u32_e32 vcc, 3, v0
	s_waitcnt lgkmcnt(0)
	s_barrier
	s_and_saveexec_b64 s[2:3], vcc
	s_cbranch_execz .LBB2349_52
; %bb.51:
	ds_read_b32 v11, v20
	v_and_b32_e32 v12, 3, v24
	v_cmp_ne_u32_e32 vcc, 0, v12
	s_waitcnt lgkmcnt(0)
	v_mov_b32_dpp v13, v11 row_shr:1 row_mask:0xf bank_mask:0xf
	v_cndmask_b32_e32 v13, 0, v13, vcc
	v_add_u32_e32 v11, v13, v11
	v_cmp_lt_u32_e32 vcc, 1, v12
	s_nop 0
	v_mov_b32_dpp v13, v11 row_shr:2 row_mask:0xf bank_mask:0xf
	v_cndmask_b32_e32 v12, 0, v13, vcc
	v_add_u32_e32 v11, v11, v12
	ds_write_b32 v20, v11
.LBB2349_52:
	s_or_b64 exec, exec, s[2:3]
	v_cmp_lt_u32_e32 vcc, 63, v0
	v_mov_b32_e32 v11, 0
	v_mov_b32_e32 v12, 0
	s_waitcnt lgkmcnt(0)
	s_barrier
	s_and_saveexec_b64 s[2:3], vcc
	s_cbranch_execz .LBB2349_54
; %bb.53:
	v_lshl_add_u32 v12, v25, 2, -4
	ds_read_b32 v12, v12
.LBB2349_54:
	s_or_b64 exec, exec, s[2:3]
	v_add_u32_e32 v13, -1, v24
	v_and_b32_e32 v14, 64, v24
	v_cmp_lt_i32_e32 vcc, v13, v14
	v_cndmask_b32_e32 v13, v13, v24, vcc
	s_waitcnt lgkmcnt(0)
	v_add_u32_e32 v10, v12, v10
	v_lshlrev_b32_e32 v13, 2, v13
	ds_bpermute_b32 v13, v13, v10
	ds_read_b32 v10, v11 offset:8
	v_cmp_eq_u32_e32 vcc, 0, v0
	s_and_saveexec_b64 s[2:3], vcc
	s_cbranch_execz .LBB2349_56
; %bb.55:
	v_mov_b32_e32 v14, 0
	v_mov_b32_e32 v11, 2
	s_waitcnt lgkmcnt(0)
	global_store_dwordx2 v14, v[10:11], s[28:29] offset:512
.LBB2349_56:
	s_or_b64 exec, exec, s[2:3]
	v_cmp_eq_u32_e64 s[2:3], 0, v24
	s_waitcnt lgkmcnt(1)
	v_cndmask_b32_e64 v11, v13, v12, s[2:3]
	v_cndmask_b32_e64 v15, v11, 0, vcc
	v_add_u32_sdwa v16, v15, v21 dst_sel:DWORD dst_unused:UNUSED_PAD src0_sel:DWORD src1_sel:BYTE_0
	v_add_u32_sdwa v14, v16, v21 dst_sel:DWORD dst_unused:UNUSED_PAD src0_sel:DWORD src1_sel:BYTE_1
	v_mov_b32_e32 v12, 0
	v_add_u32_e32 v13, v14, v23
	s_waitcnt lgkmcnt(0)
	s_barrier
.LBB2349_57:
	v_add_u32_e32 v17, v10, v20
	v_sub_u32_e32 v15, v15, v12
	v_and_b32_e32 v19, 1, v21
	v_sub_u32_e32 v18, v17, v15
	v_cmp_eq_u32_e32 vcc, 1, v19
	v_cndmask_b32_e32 v15, v18, v15, vcc
	v_lshlrev_b32_e32 v15, 3, v15
	v_lshrrev_b32_e32 v11, 8, v21
	ds_write_b64 v15, v[6:7]
	v_sub_u32_e32 v6, v16, v12
	v_sub_u32_e32 v7, v17, v6
	v_and_b32_e32 v11, 1, v11
	v_add_u32_e32 v7, 1, v7
	v_cmp_eq_u32_e32 vcc, 1, v11
	v_cndmask_b32_e32 v6, v7, v6, vcc
	v_lshlrev_b32_e32 v6, 3, v6
	ds_write_b64 v6, v[8:9]
	v_sub_u32_e32 v6, v14, v12
	v_mov_b32_e32 v8, 1
	v_sub_u32_e32 v7, v17, v6
	v_and_b32_sdwa v8, v8, v21 dst_sel:DWORD dst_unused:UNUSED_PAD src0_sel:DWORD src1_sel:WORD_1
	v_add_u32_e32 v7, 2, v7
	v_cmp_eq_u32_e32 vcc, 1, v8
	v_cndmask_b32_e32 v6, v7, v6, vcc
	v_lshlrev_b32_e32 v6, 3, v6
	ds_write_b64 v6, v[2:3]
	v_sub_u32_e32 v2, v13, v12
	v_sub_u32_e32 v3, v17, v2
	v_and_b32_e32 v6, 1, v22
	v_add_u32_e32 v3, 3, v3
	v_cmp_eq_u32_e32 vcc, 1, v6
	v_cndmask_b32_e32 v2, v3, v2, vcc
	v_lshlrev_b32_e32 v2, 3, v2
	ds_write_b64 v2, v[4:5]
	s_waitcnt lgkmcnt(0)
	s_barrier
	ds_read2st64_b64 v[6:9], v1 offset1:3
	ds_read2st64_b64 v[2:5], v1 offset0:6 offset1:9
	v_add_u32_e32 v17, 0xc0, v0
	v_add_u32_e32 v16, 0x180, v0
	s_and_b64 vcc, exec, s[0:1]
	v_add_u32_e32 v11, 0x240, v0
	s_cbranch_vccnz .LBB2349_63
; %bb.58:
	s_lshl_b64 s[0:1], s[22:23], 3
	v_mov_b32_e32 v13, 0
	s_add_u32 s0, s4, s0
	s_addc_u32 s1, s5, s1
	v_lshlrev_b64 v[14:15], 3, v[12:13]
	v_mov_b32_e32 v13, s1
	v_add_co_u32_e32 v14, vcc, s0, v14
	v_addc_co_u32_e32 v15, vcc, v13, v15, vcc
	v_cmp_lt_u32_e32 vcc, v0, v10
	s_and_saveexec_b64 s[0:1], vcc
	s_cbranch_execnz .LBB2349_74
; %bb.59:
	s_or_b64 exec, exec, s[0:1]
	v_cmp_lt_u32_e32 vcc, v17, v10
	s_and_saveexec_b64 s[0:1], vcc
	s_cbranch_execnz .LBB2349_75
.LBB2349_60:
	s_or_b64 exec, exec, s[0:1]
	v_cmp_lt_u32_e32 vcc, v16, v10
	s_and_saveexec_b64 s[0:1], vcc
	s_cbranch_execz .LBB2349_62
.LBB2349_61:
	v_readfirstlane_b32 s2, v14
	v_readfirstlane_b32 s3, v15
	s_waitcnt lgkmcnt(0)
	s_nop 3
	global_store_dwordx2 v1, v[2:3], s[2:3] offset:3072
.LBB2349_62:
	s_or_b64 exec, exec, s[0:1]
	v_cmp_lt_u32_e64 s[0:1], v11, v10
	s_branch .LBB2349_69
.LBB2349_63:
	s_mov_b64 s[0:1], 0
                                        ; implicit-def: $vgpr14_vgpr15
	s_cbranch_execz .LBB2349_69
; %bb.64:
	s_lshl_b64 s[0:1], s[22:23], 3
	v_mov_b32_e32 v13, 0
	s_add_u32 s0, s4, s0
	s_addc_u32 s1, s5, s1
	v_lshlrev_b64 v[14:15], 3, v[12:13]
	v_mov_b32_e32 v13, s1
	v_add_co_u32_e32 v14, vcc, s0, v14
	v_min_u32_e32 v18, s33, v10
	v_addc_co_u32_e32 v15, vcc, v13, v15, vcc
	v_cmp_gt_u32_e32 vcc, v18, v0
	s_and_saveexec_b64 s[0:1], vcc
	s_cbranch_execnz .LBB2349_76
; %bb.65:
	s_or_b64 exec, exec, s[0:1]
	v_cmp_lt_u32_e32 vcc, v17, v18
	s_and_saveexec_b64 s[0:1], vcc
	s_cbranch_execnz .LBB2349_77
.LBB2349_66:
	s_or_b64 exec, exec, s[0:1]
	v_cmp_lt_u32_e32 vcc, v16, v18
	s_and_saveexec_b64 s[0:1], vcc
	s_cbranch_execz .LBB2349_68
.LBB2349_67:
	v_readfirstlane_b32 s2, v14
	v_readfirstlane_b32 s3, v15
	s_waitcnt lgkmcnt(0)
	s_nop 3
	global_store_dwordx2 v1, v[2:3], s[2:3] offset:3072
.LBB2349_68:
	s_or_b64 exec, exec, s[0:1]
	v_cmp_lt_u32_e64 s[0:1], v11, v18
.LBB2349_69:
	s_and_saveexec_b64 s[2:3], s[0:1]
	s_cbranch_execz .LBB2349_71
; %bb.70:
	v_lshlrev_b32_e32 v1, 3, v11
	v_readfirstlane_b32 s0, v14
	v_readfirstlane_b32 s1, v15
	s_waitcnt lgkmcnt(0)
	s_nop 3
	global_store_dwordx2 v1, v[4:5], s[0:1]
.LBB2349_71:
	s_or_b64 exec, exec, s[2:3]
	v_cmp_eq_u32_e32 vcc, 0, v0
	s_and_b64 s[0:1], vcc, s[26:27]
	s_and_saveexec_b64 s[2:3], s[0:1]
	s_cbranch_execz .LBB2349_73
; %bb.72:
	v_mov_b32_e32 v0, s23
	v_add_co_u32_e32 v1, vcc, s22, v10
	s_waitcnt lgkmcnt(0)
	v_addc_co_u32_e32 v3, vcc, 0, v0, vcc
	v_add_co_u32_e32 v0, vcc, v1, v12
	v_mov_b32_e32 v2, 0
	v_addc_co_u32_e32 v1, vcc, 0, v3, vcc
	global_store_dwordx2 v2, v[0:1], s[24:25]
.LBB2349_73:
	s_endpgm
.LBB2349_74:
	v_readfirstlane_b32 s2, v14
	v_readfirstlane_b32 s3, v15
	s_waitcnt lgkmcnt(1)
	s_nop 3
	global_store_dwordx2 v1, v[6:7], s[2:3]
	s_or_b64 exec, exec, s[0:1]
	v_cmp_lt_u32_e32 vcc, v17, v10
	s_and_saveexec_b64 s[0:1], vcc
	s_cbranch_execz .LBB2349_60
.LBB2349_75:
	v_readfirstlane_b32 s2, v14
	v_readfirstlane_b32 s3, v15
	s_waitcnt lgkmcnt(1)
	s_nop 3
	global_store_dwordx2 v1, v[8:9], s[2:3] offset:1536
	s_or_b64 exec, exec, s[0:1]
	v_cmp_lt_u32_e32 vcc, v16, v10
	s_and_saveexec_b64 s[0:1], vcc
	s_cbranch_execnz .LBB2349_61
	s_branch .LBB2349_62
.LBB2349_76:
	v_readfirstlane_b32 s2, v14
	v_readfirstlane_b32 s3, v15
	s_waitcnt lgkmcnt(1)
	s_nop 3
	global_store_dwordx2 v1, v[6:7], s[2:3]
	s_or_b64 exec, exec, s[0:1]
	v_cmp_lt_u32_e32 vcc, v17, v18
	s_and_saveexec_b64 s[0:1], vcc
	s_cbranch_execz .LBB2349_66
.LBB2349_77:
	v_readfirstlane_b32 s2, v14
	v_readfirstlane_b32 s3, v15
	s_waitcnt lgkmcnt(1)
	s_nop 3
	global_store_dwordx2 v1, v[8:9], s[2:3] offset:1536
	s_or_b64 exec, exec, s[0:1]
	v_cmp_lt_u32_e32 vcc, v16, v18
	s_and_saveexec_b64 s[0:1], vcc
	s_cbranch_execnz .LBB2349_67
	s_branch .LBB2349_68
	.section	.rodata,"a",@progbits
	.p2align	6, 0x0
	.amdhsa_kernel _ZN7rocprim17ROCPRIM_400000_NS6detail17trampoline_kernelINS0_14default_configENS1_25partition_config_selectorILNS1_17partition_subalgoE0EyNS0_10empty_typeEbEEZZNS1_14partition_implILS5_0ELb0ES3_jN6thrust23THRUST_200600_302600_NS6detail15normal_iteratorINSA_10device_ptrIyEEEEPS6_SG_NS0_5tupleIJSF_NSA_16discard_iteratorINSA_11use_defaultEEEEEENSH_IJSG_SG_EEES6_PlJ7is_evenIyEEEE10hipError_tPvRmT3_T4_T5_T6_T7_T9_mT8_P12ihipStream_tbDpT10_ENKUlT_T0_E_clISt17integral_constantIbLb1EES18_IbLb0EEEEDaS14_S15_EUlS14_E_NS1_11comp_targetILNS1_3genE4ELNS1_11target_archE910ELNS1_3gpuE8ELNS1_3repE0EEENS1_30default_config_static_selectorELNS0_4arch9wavefront6targetE1EEEvT1_
		.amdhsa_group_segment_fixed_size 6344
		.amdhsa_private_segment_fixed_size 0
		.amdhsa_kernarg_size 128
		.amdhsa_user_sgpr_count 6
		.amdhsa_user_sgpr_private_segment_buffer 1
		.amdhsa_user_sgpr_dispatch_ptr 0
		.amdhsa_user_sgpr_queue_ptr 0
		.amdhsa_user_sgpr_kernarg_segment_ptr 1
		.amdhsa_user_sgpr_dispatch_id 0
		.amdhsa_user_sgpr_flat_scratch_init 0
		.amdhsa_user_sgpr_kernarg_preload_length 0
		.amdhsa_user_sgpr_kernarg_preload_offset 0
		.amdhsa_user_sgpr_private_segment_size 0
		.amdhsa_uses_dynamic_stack 0
		.amdhsa_system_sgpr_private_segment_wavefront_offset 0
		.amdhsa_system_sgpr_workgroup_id_x 1
		.amdhsa_system_sgpr_workgroup_id_y 0
		.amdhsa_system_sgpr_workgroup_id_z 0
		.amdhsa_system_sgpr_workgroup_info 0
		.amdhsa_system_vgpr_workitem_id 0
		.amdhsa_next_free_vgpr 43
		.amdhsa_next_free_sgpr 40
		.amdhsa_accum_offset 44
		.amdhsa_reserve_vcc 1
		.amdhsa_reserve_flat_scratch 0
		.amdhsa_float_round_mode_32 0
		.amdhsa_float_round_mode_16_64 0
		.amdhsa_float_denorm_mode_32 3
		.amdhsa_float_denorm_mode_16_64 3
		.amdhsa_dx10_clamp 1
		.amdhsa_ieee_mode 1
		.amdhsa_fp16_overflow 0
		.amdhsa_tg_split 0
		.amdhsa_exception_fp_ieee_invalid_op 0
		.amdhsa_exception_fp_denorm_src 0
		.amdhsa_exception_fp_ieee_div_zero 0
		.amdhsa_exception_fp_ieee_overflow 0
		.amdhsa_exception_fp_ieee_underflow 0
		.amdhsa_exception_fp_ieee_inexact 0
		.amdhsa_exception_int_div_zero 0
	.end_amdhsa_kernel
	.section	.text._ZN7rocprim17ROCPRIM_400000_NS6detail17trampoline_kernelINS0_14default_configENS1_25partition_config_selectorILNS1_17partition_subalgoE0EyNS0_10empty_typeEbEEZZNS1_14partition_implILS5_0ELb0ES3_jN6thrust23THRUST_200600_302600_NS6detail15normal_iteratorINSA_10device_ptrIyEEEEPS6_SG_NS0_5tupleIJSF_NSA_16discard_iteratorINSA_11use_defaultEEEEEENSH_IJSG_SG_EEES6_PlJ7is_evenIyEEEE10hipError_tPvRmT3_T4_T5_T6_T7_T9_mT8_P12ihipStream_tbDpT10_ENKUlT_T0_E_clISt17integral_constantIbLb1EES18_IbLb0EEEEDaS14_S15_EUlS14_E_NS1_11comp_targetILNS1_3genE4ELNS1_11target_archE910ELNS1_3gpuE8ELNS1_3repE0EEENS1_30default_config_static_selectorELNS0_4arch9wavefront6targetE1EEEvT1_,"axG",@progbits,_ZN7rocprim17ROCPRIM_400000_NS6detail17trampoline_kernelINS0_14default_configENS1_25partition_config_selectorILNS1_17partition_subalgoE0EyNS0_10empty_typeEbEEZZNS1_14partition_implILS5_0ELb0ES3_jN6thrust23THRUST_200600_302600_NS6detail15normal_iteratorINSA_10device_ptrIyEEEEPS6_SG_NS0_5tupleIJSF_NSA_16discard_iteratorINSA_11use_defaultEEEEEENSH_IJSG_SG_EEES6_PlJ7is_evenIyEEEE10hipError_tPvRmT3_T4_T5_T6_T7_T9_mT8_P12ihipStream_tbDpT10_ENKUlT_T0_E_clISt17integral_constantIbLb1EES18_IbLb0EEEEDaS14_S15_EUlS14_E_NS1_11comp_targetILNS1_3genE4ELNS1_11target_archE910ELNS1_3gpuE8ELNS1_3repE0EEENS1_30default_config_static_selectorELNS0_4arch9wavefront6targetE1EEEvT1_,comdat
.Lfunc_end2349:
	.size	_ZN7rocprim17ROCPRIM_400000_NS6detail17trampoline_kernelINS0_14default_configENS1_25partition_config_selectorILNS1_17partition_subalgoE0EyNS0_10empty_typeEbEEZZNS1_14partition_implILS5_0ELb0ES3_jN6thrust23THRUST_200600_302600_NS6detail15normal_iteratorINSA_10device_ptrIyEEEEPS6_SG_NS0_5tupleIJSF_NSA_16discard_iteratorINSA_11use_defaultEEEEEENSH_IJSG_SG_EEES6_PlJ7is_evenIyEEEE10hipError_tPvRmT3_T4_T5_T6_T7_T9_mT8_P12ihipStream_tbDpT10_ENKUlT_T0_E_clISt17integral_constantIbLb1EES18_IbLb0EEEEDaS14_S15_EUlS14_E_NS1_11comp_targetILNS1_3genE4ELNS1_11target_archE910ELNS1_3gpuE8ELNS1_3repE0EEENS1_30default_config_static_selectorELNS0_4arch9wavefront6targetE1EEEvT1_, .Lfunc_end2349-_ZN7rocprim17ROCPRIM_400000_NS6detail17trampoline_kernelINS0_14default_configENS1_25partition_config_selectorILNS1_17partition_subalgoE0EyNS0_10empty_typeEbEEZZNS1_14partition_implILS5_0ELb0ES3_jN6thrust23THRUST_200600_302600_NS6detail15normal_iteratorINSA_10device_ptrIyEEEEPS6_SG_NS0_5tupleIJSF_NSA_16discard_iteratorINSA_11use_defaultEEEEEENSH_IJSG_SG_EEES6_PlJ7is_evenIyEEEE10hipError_tPvRmT3_T4_T5_T6_T7_T9_mT8_P12ihipStream_tbDpT10_ENKUlT_T0_E_clISt17integral_constantIbLb1EES18_IbLb0EEEEDaS14_S15_EUlS14_E_NS1_11comp_targetILNS1_3genE4ELNS1_11target_archE910ELNS1_3gpuE8ELNS1_3repE0EEENS1_30default_config_static_selectorELNS0_4arch9wavefront6targetE1EEEvT1_
                                        ; -- End function
	.section	.AMDGPU.csdata,"",@progbits
; Kernel info:
; codeLenInByte = 3692
; NumSgprs: 44
; NumVgprs: 43
; NumAgprs: 0
; TotalNumVgprs: 43
; ScratchSize: 0
; MemoryBound: 0
; FloatMode: 240
; IeeeMode: 1
; LDSByteSize: 6344 bytes/workgroup (compile time only)
; SGPRBlocks: 5
; VGPRBlocks: 5
; NumSGPRsForWavesPerEU: 44
; NumVGPRsForWavesPerEU: 43
; AccumOffset: 44
; Occupancy: 8
; WaveLimiterHint : 1
; COMPUTE_PGM_RSRC2:SCRATCH_EN: 0
; COMPUTE_PGM_RSRC2:USER_SGPR: 6
; COMPUTE_PGM_RSRC2:TRAP_HANDLER: 0
; COMPUTE_PGM_RSRC2:TGID_X_EN: 1
; COMPUTE_PGM_RSRC2:TGID_Y_EN: 0
; COMPUTE_PGM_RSRC2:TGID_Z_EN: 0
; COMPUTE_PGM_RSRC2:TIDIG_COMP_CNT: 0
; COMPUTE_PGM_RSRC3_GFX90A:ACCUM_OFFSET: 10
; COMPUTE_PGM_RSRC3_GFX90A:TG_SPLIT: 0
	.section	.text._ZN7rocprim17ROCPRIM_400000_NS6detail17trampoline_kernelINS0_14default_configENS1_25partition_config_selectorILNS1_17partition_subalgoE0EyNS0_10empty_typeEbEEZZNS1_14partition_implILS5_0ELb0ES3_jN6thrust23THRUST_200600_302600_NS6detail15normal_iteratorINSA_10device_ptrIyEEEEPS6_SG_NS0_5tupleIJSF_NSA_16discard_iteratorINSA_11use_defaultEEEEEENSH_IJSG_SG_EEES6_PlJ7is_evenIyEEEE10hipError_tPvRmT3_T4_T5_T6_T7_T9_mT8_P12ihipStream_tbDpT10_ENKUlT_T0_E_clISt17integral_constantIbLb1EES18_IbLb0EEEEDaS14_S15_EUlS14_E_NS1_11comp_targetILNS1_3genE3ELNS1_11target_archE908ELNS1_3gpuE7ELNS1_3repE0EEENS1_30default_config_static_selectorELNS0_4arch9wavefront6targetE1EEEvT1_,"axG",@progbits,_ZN7rocprim17ROCPRIM_400000_NS6detail17trampoline_kernelINS0_14default_configENS1_25partition_config_selectorILNS1_17partition_subalgoE0EyNS0_10empty_typeEbEEZZNS1_14partition_implILS5_0ELb0ES3_jN6thrust23THRUST_200600_302600_NS6detail15normal_iteratorINSA_10device_ptrIyEEEEPS6_SG_NS0_5tupleIJSF_NSA_16discard_iteratorINSA_11use_defaultEEEEEENSH_IJSG_SG_EEES6_PlJ7is_evenIyEEEE10hipError_tPvRmT3_T4_T5_T6_T7_T9_mT8_P12ihipStream_tbDpT10_ENKUlT_T0_E_clISt17integral_constantIbLb1EES18_IbLb0EEEEDaS14_S15_EUlS14_E_NS1_11comp_targetILNS1_3genE3ELNS1_11target_archE908ELNS1_3gpuE7ELNS1_3repE0EEENS1_30default_config_static_selectorELNS0_4arch9wavefront6targetE1EEEvT1_,comdat
	.protected	_ZN7rocprim17ROCPRIM_400000_NS6detail17trampoline_kernelINS0_14default_configENS1_25partition_config_selectorILNS1_17partition_subalgoE0EyNS0_10empty_typeEbEEZZNS1_14partition_implILS5_0ELb0ES3_jN6thrust23THRUST_200600_302600_NS6detail15normal_iteratorINSA_10device_ptrIyEEEEPS6_SG_NS0_5tupleIJSF_NSA_16discard_iteratorINSA_11use_defaultEEEEEENSH_IJSG_SG_EEES6_PlJ7is_evenIyEEEE10hipError_tPvRmT3_T4_T5_T6_T7_T9_mT8_P12ihipStream_tbDpT10_ENKUlT_T0_E_clISt17integral_constantIbLb1EES18_IbLb0EEEEDaS14_S15_EUlS14_E_NS1_11comp_targetILNS1_3genE3ELNS1_11target_archE908ELNS1_3gpuE7ELNS1_3repE0EEENS1_30default_config_static_selectorELNS0_4arch9wavefront6targetE1EEEvT1_ ; -- Begin function _ZN7rocprim17ROCPRIM_400000_NS6detail17trampoline_kernelINS0_14default_configENS1_25partition_config_selectorILNS1_17partition_subalgoE0EyNS0_10empty_typeEbEEZZNS1_14partition_implILS5_0ELb0ES3_jN6thrust23THRUST_200600_302600_NS6detail15normal_iteratorINSA_10device_ptrIyEEEEPS6_SG_NS0_5tupleIJSF_NSA_16discard_iteratorINSA_11use_defaultEEEEEENSH_IJSG_SG_EEES6_PlJ7is_evenIyEEEE10hipError_tPvRmT3_T4_T5_T6_T7_T9_mT8_P12ihipStream_tbDpT10_ENKUlT_T0_E_clISt17integral_constantIbLb1EES18_IbLb0EEEEDaS14_S15_EUlS14_E_NS1_11comp_targetILNS1_3genE3ELNS1_11target_archE908ELNS1_3gpuE7ELNS1_3repE0EEENS1_30default_config_static_selectorELNS0_4arch9wavefront6targetE1EEEvT1_
	.globl	_ZN7rocprim17ROCPRIM_400000_NS6detail17trampoline_kernelINS0_14default_configENS1_25partition_config_selectorILNS1_17partition_subalgoE0EyNS0_10empty_typeEbEEZZNS1_14partition_implILS5_0ELb0ES3_jN6thrust23THRUST_200600_302600_NS6detail15normal_iteratorINSA_10device_ptrIyEEEEPS6_SG_NS0_5tupleIJSF_NSA_16discard_iteratorINSA_11use_defaultEEEEEENSH_IJSG_SG_EEES6_PlJ7is_evenIyEEEE10hipError_tPvRmT3_T4_T5_T6_T7_T9_mT8_P12ihipStream_tbDpT10_ENKUlT_T0_E_clISt17integral_constantIbLb1EES18_IbLb0EEEEDaS14_S15_EUlS14_E_NS1_11comp_targetILNS1_3genE3ELNS1_11target_archE908ELNS1_3gpuE7ELNS1_3repE0EEENS1_30default_config_static_selectorELNS0_4arch9wavefront6targetE1EEEvT1_
	.p2align	8
	.type	_ZN7rocprim17ROCPRIM_400000_NS6detail17trampoline_kernelINS0_14default_configENS1_25partition_config_selectorILNS1_17partition_subalgoE0EyNS0_10empty_typeEbEEZZNS1_14partition_implILS5_0ELb0ES3_jN6thrust23THRUST_200600_302600_NS6detail15normal_iteratorINSA_10device_ptrIyEEEEPS6_SG_NS0_5tupleIJSF_NSA_16discard_iteratorINSA_11use_defaultEEEEEENSH_IJSG_SG_EEES6_PlJ7is_evenIyEEEE10hipError_tPvRmT3_T4_T5_T6_T7_T9_mT8_P12ihipStream_tbDpT10_ENKUlT_T0_E_clISt17integral_constantIbLb1EES18_IbLb0EEEEDaS14_S15_EUlS14_E_NS1_11comp_targetILNS1_3genE3ELNS1_11target_archE908ELNS1_3gpuE7ELNS1_3repE0EEENS1_30default_config_static_selectorELNS0_4arch9wavefront6targetE1EEEvT1_,@function
_ZN7rocprim17ROCPRIM_400000_NS6detail17trampoline_kernelINS0_14default_configENS1_25partition_config_selectorILNS1_17partition_subalgoE0EyNS0_10empty_typeEbEEZZNS1_14partition_implILS5_0ELb0ES3_jN6thrust23THRUST_200600_302600_NS6detail15normal_iteratorINSA_10device_ptrIyEEEEPS6_SG_NS0_5tupleIJSF_NSA_16discard_iteratorINSA_11use_defaultEEEEEENSH_IJSG_SG_EEES6_PlJ7is_evenIyEEEE10hipError_tPvRmT3_T4_T5_T6_T7_T9_mT8_P12ihipStream_tbDpT10_ENKUlT_T0_E_clISt17integral_constantIbLb1EES18_IbLb0EEEEDaS14_S15_EUlS14_E_NS1_11comp_targetILNS1_3genE3ELNS1_11target_archE908ELNS1_3gpuE7ELNS1_3repE0EEENS1_30default_config_static_selectorELNS0_4arch9wavefront6targetE1EEEvT1_: ; @_ZN7rocprim17ROCPRIM_400000_NS6detail17trampoline_kernelINS0_14default_configENS1_25partition_config_selectorILNS1_17partition_subalgoE0EyNS0_10empty_typeEbEEZZNS1_14partition_implILS5_0ELb0ES3_jN6thrust23THRUST_200600_302600_NS6detail15normal_iteratorINSA_10device_ptrIyEEEEPS6_SG_NS0_5tupleIJSF_NSA_16discard_iteratorINSA_11use_defaultEEEEEENSH_IJSG_SG_EEES6_PlJ7is_evenIyEEEE10hipError_tPvRmT3_T4_T5_T6_T7_T9_mT8_P12ihipStream_tbDpT10_ENKUlT_T0_E_clISt17integral_constantIbLb1EES18_IbLb0EEEEDaS14_S15_EUlS14_E_NS1_11comp_targetILNS1_3genE3ELNS1_11target_archE908ELNS1_3gpuE7ELNS1_3repE0EEENS1_30default_config_static_selectorELNS0_4arch9wavefront6targetE1EEEvT1_
; %bb.0:
	.section	.rodata,"a",@progbits
	.p2align	6, 0x0
	.amdhsa_kernel _ZN7rocprim17ROCPRIM_400000_NS6detail17trampoline_kernelINS0_14default_configENS1_25partition_config_selectorILNS1_17partition_subalgoE0EyNS0_10empty_typeEbEEZZNS1_14partition_implILS5_0ELb0ES3_jN6thrust23THRUST_200600_302600_NS6detail15normal_iteratorINSA_10device_ptrIyEEEEPS6_SG_NS0_5tupleIJSF_NSA_16discard_iteratorINSA_11use_defaultEEEEEENSH_IJSG_SG_EEES6_PlJ7is_evenIyEEEE10hipError_tPvRmT3_T4_T5_T6_T7_T9_mT8_P12ihipStream_tbDpT10_ENKUlT_T0_E_clISt17integral_constantIbLb1EES18_IbLb0EEEEDaS14_S15_EUlS14_E_NS1_11comp_targetILNS1_3genE3ELNS1_11target_archE908ELNS1_3gpuE7ELNS1_3repE0EEENS1_30default_config_static_selectorELNS0_4arch9wavefront6targetE1EEEvT1_
		.amdhsa_group_segment_fixed_size 0
		.amdhsa_private_segment_fixed_size 0
		.amdhsa_kernarg_size 128
		.amdhsa_user_sgpr_count 6
		.amdhsa_user_sgpr_private_segment_buffer 1
		.amdhsa_user_sgpr_dispatch_ptr 0
		.amdhsa_user_sgpr_queue_ptr 0
		.amdhsa_user_sgpr_kernarg_segment_ptr 1
		.amdhsa_user_sgpr_dispatch_id 0
		.amdhsa_user_sgpr_flat_scratch_init 0
		.amdhsa_user_sgpr_kernarg_preload_length 0
		.amdhsa_user_sgpr_kernarg_preload_offset 0
		.amdhsa_user_sgpr_private_segment_size 0
		.amdhsa_uses_dynamic_stack 0
		.amdhsa_system_sgpr_private_segment_wavefront_offset 0
		.amdhsa_system_sgpr_workgroup_id_x 1
		.amdhsa_system_sgpr_workgroup_id_y 0
		.amdhsa_system_sgpr_workgroup_id_z 0
		.amdhsa_system_sgpr_workgroup_info 0
		.amdhsa_system_vgpr_workitem_id 0
		.amdhsa_next_free_vgpr 1
		.amdhsa_next_free_sgpr 0
		.amdhsa_accum_offset 4
		.amdhsa_reserve_vcc 0
		.amdhsa_reserve_flat_scratch 0
		.amdhsa_float_round_mode_32 0
		.amdhsa_float_round_mode_16_64 0
		.amdhsa_float_denorm_mode_32 3
		.amdhsa_float_denorm_mode_16_64 3
		.amdhsa_dx10_clamp 1
		.amdhsa_ieee_mode 1
		.amdhsa_fp16_overflow 0
		.amdhsa_tg_split 0
		.amdhsa_exception_fp_ieee_invalid_op 0
		.amdhsa_exception_fp_denorm_src 0
		.amdhsa_exception_fp_ieee_div_zero 0
		.amdhsa_exception_fp_ieee_overflow 0
		.amdhsa_exception_fp_ieee_underflow 0
		.amdhsa_exception_fp_ieee_inexact 0
		.amdhsa_exception_int_div_zero 0
	.end_amdhsa_kernel
	.section	.text._ZN7rocprim17ROCPRIM_400000_NS6detail17trampoline_kernelINS0_14default_configENS1_25partition_config_selectorILNS1_17partition_subalgoE0EyNS0_10empty_typeEbEEZZNS1_14partition_implILS5_0ELb0ES3_jN6thrust23THRUST_200600_302600_NS6detail15normal_iteratorINSA_10device_ptrIyEEEEPS6_SG_NS0_5tupleIJSF_NSA_16discard_iteratorINSA_11use_defaultEEEEEENSH_IJSG_SG_EEES6_PlJ7is_evenIyEEEE10hipError_tPvRmT3_T4_T5_T6_T7_T9_mT8_P12ihipStream_tbDpT10_ENKUlT_T0_E_clISt17integral_constantIbLb1EES18_IbLb0EEEEDaS14_S15_EUlS14_E_NS1_11comp_targetILNS1_3genE3ELNS1_11target_archE908ELNS1_3gpuE7ELNS1_3repE0EEENS1_30default_config_static_selectorELNS0_4arch9wavefront6targetE1EEEvT1_,"axG",@progbits,_ZN7rocprim17ROCPRIM_400000_NS6detail17trampoline_kernelINS0_14default_configENS1_25partition_config_selectorILNS1_17partition_subalgoE0EyNS0_10empty_typeEbEEZZNS1_14partition_implILS5_0ELb0ES3_jN6thrust23THRUST_200600_302600_NS6detail15normal_iteratorINSA_10device_ptrIyEEEEPS6_SG_NS0_5tupleIJSF_NSA_16discard_iteratorINSA_11use_defaultEEEEEENSH_IJSG_SG_EEES6_PlJ7is_evenIyEEEE10hipError_tPvRmT3_T4_T5_T6_T7_T9_mT8_P12ihipStream_tbDpT10_ENKUlT_T0_E_clISt17integral_constantIbLb1EES18_IbLb0EEEEDaS14_S15_EUlS14_E_NS1_11comp_targetILNS1_3genE3ELNS1_11target_archE908ELNS1_3gpuE7ELNS1_3repE0EEENS1_30default_config_static_selectorELNS0_4arch9wavefront6targetE1EEEvT1_,comdat
.Lfunc_end2350:
	.size	_ZN7rocprim17ROCPRIM_400000_NS6detail17trampoline_kernelINS0_14default_configENS1_25partition_config_selectorILNS1_17partition_subalgoE0EyNS0_10empty_typeEbEEZZNS1_14partition_implILS5_0ELb0ES3_jN6thrust23THRUST_200600_302600_NS6detail15normal_iteratorINSA_10device_ptrIyEEEEPS6_SG_NS0_5tupleIJSF_NSA_16discard_iteratorINSA_11use_defaultEEEEEENSH_IJSG_SG_EEES6_PlJ7is_evenIyEEEE10hipError_tPvRmT3_T4_T5_T6_T7_T9_mT8_P12ihipStream_tbDpT10_ENKUlT_T0_E_clISt17integral_constantIbLb1EES18_IbLb0EEEEDaS14_S15_EUlS14_E_NS1_11comp_targetILNS1_3genE3ELNS1_11target_archE908ELNS1_3gpuE7ELNS1_3repE0EEENS1_30default_config_static_selectorELNS0_4arch9wavefront6targetE1EEEvT1_, .Lfunc_end2350-_ZN7rocprim17ROCPRIM_400000_NS6detail17trampoline_kernelINS0_14default_configENS1_25partition_config_selectorILNS1_17partition_subalgoE0EyNS0_10empty_typeEbEEZZNS1_14partition_implILS5_0ELb0ES3_jN6thrust23THRUST_200600_302600_NS6detail15normal_iteratorINSA_10device_ptrIyEEEEPS6_SG_NS0_5tupleIJSF_NSA_16discard_iteratorINSA_11use_defaultEEEEEENSH_IJSG_SG_EEES6_PlJ7is_evenIyEEEE10hipError_tPvRmT3_T4_T5_T6_T7_T9_mT8_P12ihipStream_tbDpT10_ENKUlT_T0_E_clISt17integral_constantIbLb1EES18_IbLb0EEEEDaS14_S15_EUlS14_E_NS1_11comp_targetILNS1_3genE3ELNS1_11target_archE908ELNS1_3gpuE7ELNS1_3repE0EEENS1_30default_config_static_selectorELNS0_4arch9wavefront6targetE1EEEvT1_
                                        ; -- End function
	.section	.AMDGPU.csdata,"",@progbits
; Kernel info:
; codeLenInByte = 0
; NumSgprs: 4
; NumVgprs: 0
; NumAgprs: 0
; TotalNumVgprs: 0
; ScratchSize: 0
; MemoryBound: 0
; FloatMode: 240
; IeeeMode: 1
; LDSByteSize: 0 bytes/workgroup (compile time only)
; SGPRBlocks: 0
; VGPRBlocks: 0
; NumSGPRsForWavesPerEU: 4
; NumVGPRsForWavesPerEU: 1
; AccumOffset: 4
; Occupancy: 8
; WaveLimiterHint : 0
; COMPUTE_PGM_RSRC2:SCRATCH_EN: 0
; COMPUTE_PGM_RSRC2:USER_SGPR: 6
; COMPUTE_PGM_RSRC2:TRAP_HANDLER: 0
; COMPUTE_PGM_RSRC2:TGID_X_EN: 1
; COMPUTE_PGM_RSRC2:TGID_Y_EN: 0
; COMPUTE_PGM_RSRC2:TGID_Z_EN: 0
; COMPUTE_PGM_RSRC2:TIDIG_COMP_CNT: 0
; COMPUTE_PGM_RSRC3_GFX90A:ACCUM_OFFSET: 0
; COMPUTE_PGM_RSRC3_GFX90A:TG_SPLIT: 0
	.section	.text._ZN7rocprim17ROCPRIM_400000_NS6detail17trampoline_kernelINS0_14default_configENS1_25partition_config_selectorILNS1_17partition_subalgoE0EyNS0_10empty_typeEbEEZZNS1_14partition_implILS5_0ELb0ES3_jN6thrust23THRUST_200600_302600_NS6detail15normal_iteratorINSA_10device_ptrIyEEEEPS6_SG_NS0_5tupleIJSF_NSA_16discard_iteratorINSA_11use_defaultEEEEEENSH_IJSG_SG_EEES6_PlJ7is_evenIyEEEE10hipError_tPvRmT3_T4_T5_T6_T7_T9_mT8_P12ihipStream_tbDpT10_ENKUlT_T0_E_clISt17integral_constantIbLb1EES18_IbLb0EEEEDaS14_S15_EUlS14_E_NS1_11comp_targetILNS1_3genE2ELNS1_11target_archE906ELNS1_3gpuE6ELNS1_3repE0EEENS1_30default_config_static_selectorELNS0_4arch9wavefront6targetE1EEEvT1_,"axG",@progbits,_ZN7rocprim17ROCPRIM_400000_NS6detail17trampoline_kernelINS0_14default_configENS1_25partition_config_selectorILNS1_17partition_subalgoE0EyNS0_10empty_typeEbEEZZNS1_14partition_implILS5_0ELb0ES3_jN6thrust23THRUST_200600_302600_NS6detail15normal_iteratorINSA_10device_ptrIyEEEEPS6_SG_NS0_5tupleIJSF_NSA_16discard_iteratorINSA_11use_defaultEEEEEENSH_IJSG_SG_EEES6_PlJ7is_evenIyEEEE10hipError_tPvRmT3_T4_T5_T6_T7_T9_mT8_P12ihipStream_tbDpT10_ENKUlT_T0_E_clISt17integral_constantIbLb1EES18_IbLb0EEEEDaS14_S15_EUlS14_E_NS1_11comp_targetILNS1_3genE2ELNS1_11target_archE906ELNS1_3gpuE6ELNS1_3repE0EEENS1_30default_config_static_selectorELNS0_4arch9wavefront6targetE1EEEvT1_,comdat
	.protected	_ZN7rocprim17ROCPRIM_400000_NS6detail17trampoline_kernelINS0_14default_configENS1_25partition_config_selectorILNS1_17partition_subalgoE0EyNS0_10empty_typeEbEEZZNS1_14partition_implILS5_0ELb0ES3_jN6thrust23THRUST_200600_302600_NS6detail15normal_iteratorINSA_10device_ptrIyEEEEPS6_SG_NS0_5tupleIJSF_NSA_16discard_iteratorINSA_11use_defaultEEEEEENSH_IJSG_SG_EEES6_PlJ7is_evenIyEEEE10hipError_tPvRmT3_T4_T5_T6_T7_T9_mT8_P12ihipStream_tbDpT10_ENKUlT_T0_E_clISt17integral_constantIbLb1EES18_IbLb0EEEEDaS14_S15_EUlS14_E_NS1_11comp_targetILNS1_3genE2ELNS1_11target_archE906ELNS1_3gpuE6ELNS1_3repE0EEENS1_30default_config_static_selectorELNS0_4arch9wavefront6targetE1EEEvT1_ ; -- Begin function _ZN7rocprim17ROCPRIM_400000_NS6detail17trampoline_kernelINS0_14default_configENS1_25partition_config_selectorILNS1_17partition_subalgoE0EyNS0_10empty_typeEbEEZZNS1_14partition_implILS5_0ELb0ES3_jN6thrust23THRUST_200600_302600_NS6detail15normal_iteratorINSA_10device_ptrIyEEEEPS6_SG_NS0_5tupleIJSF_NSA_16discard_iteratorINSA_11use_defaultEEEEEENSH_IJSG_SG_EEES6_PlJ7is_evenIyEEEE10hipError_tPvRmT3_T4_T5_T6_T7_T9_mT8_P12ihipStream_tbDpT10_ENKUlT_T0_E_clISt17integral_constantIbLb1EES18_IbLb0EEEEDaS14_S15_EUlS14_E_NS1_11comp_targetILNS1_3genE2ELNS1_11target_archE906ELNS1_3gpuE6ELNS1_3repE0EEENS1_30default_config_static_selectorELNS0_4arch9wavefront6targetE1EEEvT1_
	.globl	_ZN7rocprim17ROCPRIM_400000_NS6detail17trampoline_kernelINS0_14default_configENS1_25partition_config_selectorILNS1_17partition_subalgoE0EyNS0_10empty_typeEbEEZZNS1_14partition_implILS5_0ELb0ES3_jN6thrust23THRUST_200600_302600_NS6detail15normal_iteratorINSA_10device_ptrIyEEEEPS6_SG_NS0_5tupleIJSF_NSA_16discard_iteratorINSA_11use_defaultEEEEEENSH_IJSG_SG_EEES6_PlJ7is_evenIyEEEE10hipError_tPvRmT3_T4_T5_T6_T7_T9_mT8_P12ihipStream_tbDpT10_ENKUlT_T0_E_clISt17integral_constantIbLb1EES18_IbLb0EEEEDaS14_S15_EUlS14_E_NS1_11comp_targetILNS1_3genE2ELNS1_11target_archE906ELNS1_3gpuE6ELNS1_3repE0EEENS1_30default_config_static_selectorELNS0_4arch9wavefront6targetE1EEEvT1_
	.p2align	8
	.type	_ZN7rocprim17ROCPRIM_400000_NS6detail17trampoline_kernelINS0_14default_configENS1_25partition_config_selectorILNS1_17partition_subalgoE0EyNS0_10empty_typeEbEEZZNS1_14partition_implILS5_0ELb0ES3_jN6thrust23THRUST_200600_302600_NS6detail15normal_iteratorINSA_10device_ptrIyEEEEPS6_SG_NS0_5tupleIJSF_NSA_16discard_iteratorINSA_11use_defaultEEEEEENSH_IJSG_SG_EEES6_PlJ7is_evenIyEEEE10hipError_tPvRmT3_T4_T5_T6_T7_T9_mT8_P12ihipStream_tbDpT10_ENKUlT_T0_E_clISt17integral_constantIbLb1EES18_IbLb0EEEEDaS14_S15_EUlS14_E_NS1_11comp_targetILNS1_3genE2ELNS1_11target_archE906ELNS1_3gpuE6ELNS1_3repE0EEENS1_30default_config_static_selectorELNS0_4arch9wavefront6targetE1EEEvT1_,@function
_ZN7rocprim17ROCPRIM_400000_NS6detail17trampoline_kernelINS0_14default_configENS1_25partition_config_selectorILNS1_17partition_subalgoE0EyNS0_10empty_typeEbEEZZNS1_14partition_implILS5_0ELb0ES3_jN6thrust23THRUST_200600_302600_NS6detail15normal_iteratorINSA_10device_ptrIyEEEEPS6_SG_NS0_5tupleIJSF_NSA_16discard_iteratorINSA_11use_defaultEEEEEENSH_IJSG_SG_EEES6_PlJ7is_evenIyEEEE10hipError_tPvRmT3_T4_T5_T6_T7_T9_mT8_P12ihipStream_tbDpT10_ENKUlT_T0_E_clISt17integral_constantIbLb1EES18_IbLb0EEEEDaS14_S15_EUlS14_E_NS1_11comp_targetILNS1_3genE2ELNS1_11target_archE906ELNS1_3gpuE6ELNS1_3repE0EEENS1_30default_config_static_selectorELNS0_4arch9wavefront6targetE1EEEvT1_: ; @_ZN7rocprim17ROCPRIM_400000_NS6detail17trampoline_kernelINS0_14default_configENS1_25partition_config_selectorILNS1_17partition_subalgoE0EyNS0_10empty_typeEbEEZZNS1_14partition_implILS5_0ELb0ES3_jN6thrust23THRUST_200600_302600_NS6detail15normal_iteratorINSA_10device_ptrIyEEEEPS6_SG_NS0_5tupleIJSF_NSA_16discard_iteratorINSA_11use_defaultEEEEEENSH_IJSG_SG_EEES6_PlJ7is_evenIyEEEE10hipError_tPvRmT3_T4_T5_T6_T7_T9_mT8_P12ihipStream_tbDpT10_ENKUlT_T0_E_clISt17integral_constantIbLb1EES18_IbLb0EEEEDaS14_S15_EUlS14_E_NS1_11comp_targetILNS1_3genE2ELNS1_11target_archE906ELNS1_3gpuE6ELNS1_3repE0EEENS1_30default_config_static_selectorELNS0_4arch9wavefront6targetE1EEEvT1_
; %bb.0:
	.section	.rodata,"a",@progbits
	.p2align	6, 0x0
	.amdhsa_kernel _ZN7rocprim17ROCPRIM_400000_NS6detail17trampoline_kernelINS0_14default_configENS1_25partition_config_selectorILNS1_17partition_subalgoE0EyNS0_10empty_typeEbEEZZNS1_14partition_implILS5_0ELb0ES3_jN6thrust23THRUST_200600_302600_NS6detail15normal_iteratorINSA_10device_ptrIyEEEEPS6_SG_NS0_5tupleIJSF_NSA_16discard_iteratorINSA_11use_defaultEEEEEENSH_IJSG_SG_EEES6_PlJ7is_evenIyEEEE10hipError_tPvRmT3_T4_T5_T6_T7_T9_mT8_P12ihipStream_tbDpT10_ENKUlT_T0_E_clISt17integral_constantIbLb1EES18_IbLb0EEEEDaS14_S15_EUlS14_E_NS1_11comp_targetILNS1_3genE2ELNS1_11target_archE906ELNS1_3gpuE6ELNS1_3repE0EEENS1_30default_config_static_selectorELNS0_4arch9wavefront6targetE1EEEvT1_
		.amdhsa_group_segment_fixed_size 0
		.amdhsa_private_segment_fixed_size 0
		.amdhsa_kernarg_size 128
		.amdhsa_user_sgpr_count 6
		.amdhsa_user_sgpr_private_segment_buffer 1
		.amdhsa_user_sgpr_dispatch_ptr 0
		.amdhsa_user_sgpr_queue_ptr 0
		.amdhsa_user_sgpr_kernarg_segment_ptr 1
		.amdhsa_user_sgpr_dispatch_id 0
		.amdhsa_user_sgpr_flat_scratch_init 0
		.amdhsa_user_sgpr_kernarg_preload_length 0
		.amdhsa_user_sgpr_kernarg_preload_offset 0
		.amdhsa_user_sgpr_private_segment_size 0
		.amdhsa_uses_dynamic_stack 0
		.amdhsa_system_sgpr_private_segment_wavefront_offset 0
		.amdhsa_system_sgpr_workgroup_id_x 1
		.amdhsa_system_sgpr_workgroup_id_y 0
		.amdhsa_system_sgpr_workgroup_id_z 0
		.amdhsa_system_sgpr_workgroup_info 0
		.amdhsa_system_vgpr_workitem_id 0
		.amdhsa_next_free_vgpr 1
		.amdhsa_next_free_sgpr 0
		.amdhsa_accum_offset 4
		.amdhsa_reserve_vcc 0
		.amdhsa_reserve_flat_scratch 0
		.amdhsa_float_round_mode_32 0
		.amdhsa_float_round_mode_16_64 0
		.amdhsa_float_denorm_mode_32 3
		.amdhsa_float_denorm_mode_16_64 3
		.amdhsa_dx10_clamp 1
		.amdhsa_ieee_mode 1
		.amdhsa_fp16_overflow 0
		.amdhsa_tg_split 0
		.amdhsa_exception_fp_ieee_invalid_op 0
		.amdhsa_exception_fp_denorm_src 0
		.amdhsa_exception_fp_ieee_div_zero 0
		.amdhsa_exception_fp_ieee_overflow 0
		.amdhsa_exception_fp_ieee_underflow 0
		.amdhsa_exception_fp_ieee_inexact 0
		.amdhsa_exception_int_div_zero 0
	.end_amdhsa_kernel
	.section	.text._ZN7rocprim17ROCPRIM_400000_NS6detail17trampoline_kernelINS0_14default_configENS1_25partition_config_selectorILNS1_17partition_subalgoE0EyNS0_10empty_typeEbEEZZNS1_14partition_implILS5_0ELb0ES3_jN6thrust23THRUST_200600_302600_NS6detail15normal_iteratorINSA_10device_ptrIyEEEEPS6_SG_NS0_5tupleIJSF_NSA_16discard_iteratorINSA_11use_defaultEEEEEENSH_IJSG_SG_EEES6_PlJ7is_evenIyEEEE10hipError_tPvRmT3_T4_T5_T6_T7_T9_mT8_P12ihipStream_tbDpT10_ENKUlT_T0_E_clISt17integral_constantIbLb1EES18_IbLb0EEEEDaS14_S15_EUlS14_E_NS1_11comp_targetILNS1_3genE2ELNS1_11target_archE906ELNS1_3gpuE6ELNS1_3repE0EEENS1_30default_config_static_selectorELNS0_4arch9wavefront6targetE1EEEvT1_,"axG",@progbits,_ZN7rocprim17ROCPRIM_400000_NS6detail17trampoline_kernelINS0_14default_configENS1_25partition_config_selectorILNS1_17partition_subalgoE0EyNS0_10empty_typeEbEEZZNS1_14partition_implILS5_0ELb0ES3_jN6thrust23THRUST_200600_302600_NS6detail15normal_iteratorINSA_10device_ptrIyEEEEPS6_SG_NS0_5tupleIJSF_NSA_16discard_iteratorINSA_11use_defaultEEEEEENSH_IJSG_SG_EEES6_PlJ7is_evenIyEEEE10hipError_tPvRmT3_T4_T5_T6_T7_T9_mT8_P12ihipStream_tbDpT10_ENKUlT_T0_E_clISt17integral_constantIbLb1EES18_IbLb0EEEEDaS14_S15_EUlS14_E_NS1_11comp_targetILNS1_3genE2ELNS1_11target_archE906ELNS1_3gpuE6ELNS1_3repE0EEENS1_30default_config_static_selectorELNS0_4arch9wavefront6targetE1EEEvT1_,comdat
.Lfunc_end2351:
	.size	_ZN7rocprim17ROCPRIM_400000_NS6detail17trampoline_kernelINS0_14default_configENS1_25partition_config_selectorILNS1_17partition_subalgoE0EyNS0_10empty_typeEbEEZZNS1_14partition_implILS5_0ELb0ES3_jN6thrust23THRUST_200600_302600_NS6detail15normal_iteratorINSA_10device_ptrIyEEEEPS6_SG_NS0_5tupleIJSF_NSA_16discard_iteratorINSA_11use_defaultEEEEEENSH_IJSG_SG_EEES6_PlJ7is_evenIyEEEE10hipError_tPvRmT3_T4_T5_T6_T7_T9_mT8_P12ihipStream_tbDpT10_ENKUlT_T0_E_clISt17integral_constantIbLb1EES18_IbLb0EEEEDaS14_S15_EUlS14_E_NS1_11comp_targetILNS1_3genE2ELNS1_11target_archE906ELNS1_3gpuE6ELNS1_3repE0EEENS1_30default_config_static_selectorELNS0_4arch9wavefront6targetE1EEEvT1_, .Lfunc_end2351-_ZN7rocprim17ROCPRIM_400000_NS6detail17trampoline_kernelINS0_14default_configENS1_25partition_config_selectorILNS1_17partition_subalgoE0EyNS0_10empty_typeEbEEZZNS1_14partition_implILS5_0ELb0ES3_jN6thrust23THRUST_200600_302600_NS6detail15normal_iteratorINSA_10device_ptrIyEEEEPS6_SG_NS0_5tupleIJSF_NSA_16discard_iteratorINSA_11use_defaultEEEEEENSH_IJSG_SG_EEES6_PlJ7is_evenIyEEEE10hipError_tPvRmT3_T4_T5_T6_T7_T9_mT8_P12ihipStream_tbDpT10_ENKUlT_T0_E_clISt17integral_constantIbLb1EES18_IbLb0EEEEDaS14_S15_EUlS14_E_NS1_11comp_targetILNS1_3genE2ELNS1_11target_archE906ELNS1_3gpuE6ELNS1_3repE0EEENS1_30default_config_static_selectorELNS0_4arch9wavefront6targetE1EEEvT1_
                                        ; -- End function
	.section	.AMDGPU.csdata,"",@progbits
; Kernel info:
; codeLenInByte = 0
; NumSgprs: 4
; NumVgprs: 0
; NumAgprs: 0
; TotalNumVgprs: 0
; ScratchSize: 0
; MemoryBound: 0
; FloatMode: 240
; IeeeMode: 1
; LDSByteSize: 0 bytes/workgroup (compile time only)
; SGPRBlocks: 0
; VGPRBlocks: 0
; NumSGPRsForWavesPerEU: 4
; NumVGPRsForWavesPerEU: 1
; AccumOffset: 4
; Occupancy: 8
; WaveLimiterHint : 0
; COMPUTE_PGM_RSRC2:SCRATCH_EN: 0
; COMPUTE_PGM_RSRC2:USER_SGPR: 6
; COMPUTE_PGM_RSRC2:TRAP_HANDLER: 0
; COMPUTE_PGM_RSRC2:TGID_X_EN: 1
; COMPUTE_PGM_RSRC2:TGID_Y_EN: 0
; COMPUTE_PGM_RSRC2:TGID_Z_EN: 0
; COMPUTE_PGM_RSRC2:TIDIG_COMP_CNT: 0
; COMPUTE_PGM_RSRC3_GFX90A:ACCUM_OFFSET: 0
; COMPUTE_PGM_RSRC3_GFX90A:TG_SPLIT: 0
	.section	.text._ZN7rocprim17ROCPRIM_400000_NS6detail17trampoline_kernelINS0_14default_configENS1_25partition_config_selectorILNS1_17partition_subalgoE0EyNS0_10empty_typeEbEEZZNS1_14partition_implILS5_0ELb0ES3_jN6thrust23THRUST_200600_302600_NS6detail15normal_iteratorINSA_10device_ptrIyEEEEPS6_SG_NS0_5tupleIJSF_NSA_16discard_iteratorINSA_11use_defaultEEEEEENSH_IJSG_SG_EEES6_PlJ7is_evenIyEEEE10hipError_tPvRmT3_T4_T5_T6_T7_T9_mT8_P12ihipStream_tbDpT10_ENKUlT_T0_E_clISt17integral_constantIbLb1EES18_IbLb0EEEEDaS14_S15_EUlS14_E_NS1_11comp_targetILNS1_3genE10ELNS1_11target_archE1200ELNS1_3gpuE4ELNS1_3repE0EEENS1_30default_config_static_selectorELNS0_4arch9wavefront6targetE1EEEvT1_,"axG",@progbits,_ZN7rocprim17ROCPRIM_400000_NS6detail17trampoline_kernelINS0_14default_configENS1_25partition_config_selectorILNS1_17partition_subalgoE0EyNS0_10empty_typeEbEEZZNS1_14partition_implILS5_0ELb0ES3_jN6thrust23THRUST_200600_302600_NS6detail15normal_iteratorINSA_10device_ptrIyEEEEPS6_SG_NS0_5tupleIJSF_NSA_16discard_iteratorINSA_11use_defaultEEEEEENSH_IJSG_SG_EEES6_PlJ7is_evenIyEEEE10hipError_tPvRmT3_T4_T5_T6_T7_T9_mT8_P12ihipStream_tbDpT10_ENKUlT_T0_E_clISt17integral_constantIbLb1EES18_IbLb0EEEEDaS14_S15_EUlS14_E_NS1_11comp_targetILNS1_3genE10ELNS1_11target_archE1200ELNS1_3gpuE4ELNS1_3repE0EEENS1_30default_config_static_selectorELNS0_4arch9wavefront6targetE1EEEvT1_,comdat
	.protected	_ZN7rocprim17ROCPRIM_400000_NS6detail17trampoline_kernelINS0_14default_configENS1_25partition_config_selectorILNS1_17partition_subalgoE0EyNS0_10empty_typeEbEEZZNS1_14partition_implILS5_0ELb0ES3_jN6thrust23THRUST_200600_302600_NS6detail15normal_iteratorINSA_10device_ptrIyEEEEPS6_SG_NS0_5tupleIJSF_NSA_16discard_iteratorINSA_11use_defaultEEEEEENSH_IJSG_SG_EEES6_PlJ7is_evenIyEEEE10hipError_tPvRmT3_T4_T5_T6_T7_T9_mT8_P12ihipStream_tbDpT10_ENKUlT_T0_E_clISt17integral_constantIbLb1EES18_IbLb0EEEEDaS14_S15_EUlS14_E_NS1_11comp_targetILNS1_3genE10ELNS1_11target_archE1200ELNS1_3gpuE4ELNS1_3repE0EEENS1_30default_config_static_selectorELNS0_4arch9wavefront6targetE1EEEvT1_ ; -- Begin function _ZN7rocprim17ROCPRIM_400000_NS6detail17trampoline_kernelINS0_14default_configENS1_25partition_config_selectorILNS1_17partition_subalgoE0EyNS0_10empty_typeEbEEZZNS1_14partition_implILS5_0ELb0ES3_jN6thrust23THRUST_200600_302600_NS6detail15normal_iteratorINSA_10device_ptrIyEEEEPS6_SG_NS0_5tupleIJSF_NSA_16discard_iteratorINSA_11use_defaultEEEEEENSH_IJSG_SG_EEES6_PlJ7is_evenIyEEEE10hipError_tPvRmT3_T4_T5_T6_T7_T9_mT8_P12ihipStream_tbDpT10_ENKUlT_T0_E_clISt17integral_constantIbLb1EES18_IbLb0EEEEDaS14_S15_EUlS14_E_NS1_11comp_targetILNS1_3genE10ELNS1_11target_archE1200ELNS1_3gpuE4ELNS1_3repE0EEENS1_30default_config_static_selectorELNS0_4arch9wavefront6targetE1EEEvT1_
	.globl	_ZN7rocprim17ROCPRIM_400000_NS6detail17trampoline_kernelINS0_14default_configENS1_25partition_config_selectorILNS1_17partition_subalgoE0EyNS0_10empty_typeEbEEZZNS1_14partition_implILS5_0ELb0ES3_jN6thrust23THRUST_200600_302600_NS6detail15normal_iteratorINSA_10device_ptrIyEEEEPS6_SG_NS0_5tupleIJSF_NSA_16discard_iteratorINSA_11use_defaultEEEEEENSH_IJSG_SG_EEES6_PlJ7is_evenIyEEEE10hipError_tPvRmT3_T4_T5_T6_T7_T9_mT8_P12ihipStream_tbDpT10_ENKUlT_T0_E_clISt17integral_constantIbLb1EES18_IbLb0EEEEDaS14_S15_EUlS14_E_NS1_11comp_targetILNS1_3genE10ELNS1_11target_archE1200ELNS1_3gpuE4ELNS1_3repE0EEENS1_30default_config_static_selectorELNS0_4arch9wavefront6targetE1EEEvT1_
	.p2align	8
	.type	_ZN7rocprim17ROCPRIM_400000_NS6detail17trampoline_kernelINS0_14default_configENS1_25partition_config_selectorILNS1_17partition_subalgoE0EyNS0_10empty_typeEbEEZZNS1_14partition_implILS5_0ELb0ES3_jN6thrust23THRUST_200600_302600_NS6detail15normal_iteratorINSA_10device_ptrIyEEEEPS6_SG_NS0_5tupleIJSF_NSA_16discard_iteratorINSA_11use_defaultEEEEEENSH_IJSG_SG_EEES6_PlJ7is_evenIyEEEE10hipError_tPvRmT3_T4_T5_T6_T7_T9_mT8_P12ihipStream_tbDpT10_ENKUlT_T0_E_clISt17integral_constantIbLb1EES18_IbLb0EEEEDaS14_S15_EUlS14_E_NS1_11comp_targetILNS1_3genE10ELNS1_11target_archE1200ELNS1_3gpuE4ELNS1_3repE0EEENS1_30default_config_static_selectorELNS0_4arch9wavefront6targetE1EEEvT1_,@function
_ZN7rocprim17ROCPRIM_400000_NS6detail17trampoline_kernelINS0_14default_configENS1_25partition_config_selectorILNS1_17partition_subalgoE0EyNS0_10empty_typeEbEEZZNS1_14partition_implILS5_0ELb0ES3_jN6thrust23THRUST_200600_302600_NS6detail15normal_iteratorINSA_10device_ptrIyEEEEPS6_SG_NS0_5tupleIJSF_NSA_16discard_iteratorINSA_11use_defaultEEEEEENSH_IJSG_SG_EEES6_PlJ7is_evenIyEEEE10hipError_tPvRmT3_T4_T5_T6_T7_T9_mT8_P12ihipStream_tbDpT10_ENKUlT_T0_E_clISt17integral_constantIbLb1EES18_IbLb0EEEEDaS14_S15_EUlS14_E_NS1_11comp_targetILNS1_3genE10ELNS1_11target_archE1200ELNS1_3gpuE4ELNS1_3repE0EEENS1_30default_config_static_selectorELNS0_4arch9wavefront6targetE1EEEvT1_: ; @_ZN7rocprim17ROCPRIM_400000_NS6detail17trampoline_kernelINS0_14default_configENS1_25partition_config_selectorILNS1_17partition_subalgoE0EyNS0_10empty_typeEbEEZZNS1_14partition_implILS5_0ELb0ES3_jN6thrust23THRUST_200600_302600_NS6detail15normal_iteratorINSA_10device_ptrIyEEEEPS6_SG_NS0_5tupleIJSF_NSA_16discard_iteratorINSA_11use_defaultEEEEEENSH_IJSG_SG_EEES6_PlJ7is_evenIyEEEE10hipError_tPvRmT3_T4_T5_T6_T7_T9_mT8_P12ihipStream_tbDpT10_ENKUlT_T0_E_clISt17integral_constantIbLb1EES18_IbLb0EEEEDaS14_S15_EUlS14_E_NS1_11comp_targetILNS1_3genE10ELNS1_11target_archE1200ELNS1_3gpuE4ELNS1_3repE0EEENS1_30default_config_static_selectorELNS0_4arch9wavefront6targetE1EEEvT1_
; %bb.0:
	.section	.rodata,"a",@progbits
	.p2align	6, 0x0
	.amdhsa_kernel _ZN7rocprim17ROCPRIM_400000_NS6detail17trampoline_kernelINS0_14default_configENS1_25partition_config_selectorILNS1_17partition_subalgoE0EyNS0_10empty_typeEbEEZZNS1_14partition_implILS5_0ELb0ES3_jN6thrust23THRUST_200600_302600_NS6detail15normal_iteratorINSA_10device_ptrIyEEEEPS6_SG_NS0_5tupleIJSF_NSA_16discard_iteratorINSA_11use_defaultEEEEEENSH_IJSG_SG_EEES6_PlJ7is_evenIyEEEE10hipError_tPvRmT3_T4_T5_T6_T7_T9_mT8_P12ihipStream_tbDpT10_ENKUlT_T0_E_clISt17integral_constantIbLb1EES18_IbLb0EEEEDaS14_S15_EUlS14_E_NS1_11comp_targetILNS1_3genE10ELNS1_11target_archE1200ELNS1_3gpuE4ELNS1_3repE0EEENS1_30default_config_static_selectorELNS0_4arch9wavefront6targetE1EEEvT1_
		.amdhsa_group_segment_fixed_size 0
		.amdhsa_private_segment_fixed_size 0
		.amdhsa_kernarg_size 128
		.amdhsa_user_sgpr_count 6
		.amdhsa_user_sgpr_private_segment_buffer 1
		.amdhsa_user_sgpr_dispatch_ptr 0
		.amdhsa_user_sgpr_queue_ptr 0
		.amdhsa_user_sgpr_kernarg_segment_ptr 1
		.amdhsa_user_sgpr_dispatch_id 0
		.amdhsa_user_sgpr_flat_scratch_init 0
		.amdhsa_user_sgpr_kernarg_preload_length 0
		.amdhsa_user_sgpr_kernarg_preload_offset 0
		.amdhsa_user_sgpr_private_segment_size 0
		.amdhsa_uses_dynamic_stack 0
		.amdhsa_system_sgpr_private_segment_wavefront_offset 0
		.amdhsa_system_sgpr_workgroup_id_x 1
		.amdhsa_system_sgpr_workgroup_id_y 0
		.amdhsa_system_sgpr_workgroup_id_z 0
		.amdhsa_system_sgpr_workgroup_info 0
		.amdhsa_system_vgpr_workitem_id 0
		.amdhsa_next_free_vgpr 1
		.amdhsa_next_free_sgpr 0
		.amdhsa_accum_offset 4
		.amdhsa_reserve_vcc 0
		.amdhsa_reserve_flat_scratch 0
		.amdhsa_float_round_mode_32 0
		.amdhsa_float_round_mode_16_64 0
		.amdhsa_float_denorm_mode_32 3
		.amdhsa_float_denorm_mode_16_64 3
		.amdhsa_dx10_clamp 1
		.amdhsa_ieee_mode 1
		.amdhsa_fp16_overflow 0
		.amdhsa_tg_split 0
		.amdhsa_exception_fp_ieee_invalid_op 0
		.amdhsa_exception_fp_denorm_src 0
		.amdhsa_exception_fp_ieee_div_zero 0
		.amdhsa_exception_fp_ieee_overflow 0
		.amdhsa_exception_fp_ieee_underflow 0
		.amdhsa_exception_fp_ieee_inexact 0
		.amdhsa_exception_int_div_zero 0
	.end_amdhsa_kernel
	.section	.text._ZN7rocprim17ROCPRIM_400000_NS6detail17trampoline_kernelINS0_14default_configENS1_25partition_config_selectorILNS1_17partition_subalgoE0EyNS0_10empty_typeEbEEZZNS1_14partition_implILS5_0ELb0ES3_jN6thrust23THRUST_200600_302600_NS6detail15normal_iteratorINSA_10device_ptrIyEEEEPS6_SG_NS0_5tupleIJSF_NSA_16discard_iteratorINSA_11use_defaultEEEEEENSH_IJSG_SG_EEES6_PlJ7is_evenIyEEEE10hipError_tPvRmT3_T4_T5_T6_T7_T9_mT8_P12ihipStream_tbDpT10_ENKUlT_T0_E_clISt17integral_constantIbLb1EES18_IbLb0EEEEDaS14_S15_EUlS14_E_NS1_11comp_targetILNS1_3genE10ELNS1_11target_archE1200ELNS1_3gpuE4ELNS1_3repE0EEENS1_30default_config_static_selectorELNS0_4arch9wavefront6targetE1EEEvT1_,"axG",@progbits,_ZN7rocprim17ROCPRIM_400000_NS6detail17trampoline_kernelINS0_14default_configENS1_25partition_config_selectorILNS1_17partition_subalgoE0EyNS0_10empty_typeEbEEZZNS1_14partition_implILS5_0ELb0ES3_jN6thrust23THRUST_200600_302600_NS6detail15normal_iteratorINSA_10device_ptrIyEEEEPS6_SG_NS0_5tupleIJSF_NSA_16discard_iteratorINSA_11use_defaultEEEEEENSH_IJSG_SG_EEES6_PlJ7is_evenIyEEEE10hipError_tPvRmT3_T4_T5_T6_T7_T9_mT8_P12ihipStream_tbDpT10_ENKUlT_T0_E_clISt17integral_constantIbLb1EES18_IbLb0EEEEDaS14_S15_EUlS14_E_NS1_11comp_targetILNS1_3genE10ELNS1_11target_archE1200ELNS1_3gpuE4ELNS1_3repE0EEENS1_30default_config_static_selectorELNS0_4arch9wavefront6targetE1EEEvT1_,comdat
.Lfunc_end2352:
	.size	_ZN7rocprim17ROCPRIM_400000_NS6detail17trampoline_kernelINS0_14default_configENS1_25partition_config_selectorILNS1_17partition_subalgoE0EyNS0_10empty_typeEbEEZZNS1_14partition_implILS5_0ELb0ES3_jN6thrust23THRUST_200600_302600_NS6detail15normal_iteratorINSA_10device_ptrIyEEEEPS6_SG_NS0_5tupleIJSF_NSA_16discard_iteratorINSA_11use_defaultEEEEEENSH_IJSG_SG_EEES6_PlJ7is_evenIyEEEE10hipError_tPvRmT3_T4_T5_T6_T7_T9_mT8_P12ihipStream_tbDpT10_ENKUlT_T0_E_clISt17integral_constantIbLb1EES18_IbLb0EEEEDaS14_S15_EUlS14_E_NS1_11comp_targetILNS1_3genE10ELNS1_11target_archE1200ELNS1_3gpuE4ELNS1_3repE0EEENS1_30default_config_static_selectorELNS0_4arch9wavefront6targetE1EEEvT1_, .Lfunc_end2352-_ZN7rocprim17ROCPRIM_400000_NS6detail17trampoline_kernelINS0_14default_configENS1_25partition_config_selectorILNS1_17partition_subalgoE0EyNS0_10empty_typeEbEEZZNS1_14partition_implILS5_0ELb0ES3_jN6thrust23THRUST_200600_302600_NS6detail15normal_iteratorINSA_10device_ptrIyEEEEPS6_SG_NS0_5tupleIJSF_NSA_16discard_iteratorINSA_11use_defaultEEEEEENSH_IJSG_SG_EEES6_PlJ7is_evenIyEEEE10hipError_tPvRmT3_T4_T5_T6_T7_T9_mT8_P12ihipStream_tbDpT10_ENKUlT_T0_E_clISt17integral_constantIbLb1EES18_IbLb0EEEEDaS14_S15_EUlS14_E_NS1_11comp_targetILNS1_3genE10ELNS1_11target_archE1200ELNS1_3gpuE4ELNS1_3repE0EEENS1_30default_config_static_selectorELNS0_4arch9wavefront6targetE1EEEvT1_
                                        ; -- End function
	.section	.AMDGPU.csdata,"",@progbits
; Kernel info:
; codeLenInByte = 0
; NumSgprs: 4
; NumVgprs: 0
; NumAgprs: 0
; TotalNumVgprs: 0
; ScratchSize: 0
; MemoryBound: 0
; FloatMode: 240
; IeeeMode: 1
; LDSByteSize: 0 bytes/workgroup (compile time only)
; SGPRBlocks: 0
; VGPRBlocks: 0
; NumSGPRsForWavesPerEU: 4
; NumVGPRsForWavesPerEU: 1
; AccumOffset: 4
; Occupancy: 8
; WaveLimiterHint : 0
; COMPUTE_PGM_RSRC2:SCRATCH_EN: 0
; COMPUTE_PGM_RSRC2:USER_SGPR: 6
; COMPUTE_PGM_RSRC2:TRAP_HANDLER: 0
; COMPUTE_PGM_RSRC2:TGID_X_EN: 1
; COMPUTE_PGM_RSRC2:TGID_Y_EN: 0
; COMPUTE_PGM_RSRC2:TGID_Z_EN: 0
; COMPUTE_PGM_RSRC2:TIDIG_COMP_CNT: 0
; COMPUTE_PGM_RSRC3_GFX90A:ACCUM_OFFSET: 0
; COMPUTE_PGM_RSRC3_GFX90A:TG_SPLIT: 0
	.section	.text._ZN7rocprim17ROCPRIM_400000_NS6detail17trampoline_kernelINS0_14default_configENS1_25partition_config_selectorILNS1_17partition_subalgoE0EyNS0_10empty_typeEbEEZZNS1_14partition_implILS5_0ELb0ES3_jN6thrust23THRUST_200600_302600_NS6detail15normal_iteratorINSA_10device_ptrIyEEEEPS6_SG_NS0_5tupleIJSF_NSA_16discard_iteratorINSA_11use_defaultEEEEEENSH_IJSG_SG_EEES6_PlJ7is_evenIyEEEE10hipError_tPvRmT3_T4_T5_T6_T7_T9_mT8_P12ihipStream_tbDpT10_ENKUlT_T0_E_clISt17integral_constantIbLb1EES18_IbLb0EEEEDaS14_S15_EUlS14_E_NS1_11comp_targetILNS1_3genE9ELNS1_11target_archE1100ELNS1_3gpuE3ELNS1_3repE0EEENS1_30default_config_static_selectorELNS0_4arch9wavefront6targetE1EEEvT1_,"axG",@progbits,_ZN7rocprim17ROCPRIM_400000_NS6detail17trampoline_kernelINS0_14default_configENS1_25partition_config_selectorILNS1_17partition_subalgoE0EyNS0_10empty_typeEbEEZZNS1_14partition_implILS5_0ELb0ES3_jN6thrust23THRUST_200600_302600_NS6detail15normal_iteratorINSA_10device_ptrIyEEEEPS6_SG_NS0_5tupleIJSF_NSA_16discard_iteratorINSA_11use_defaultEEEEEENSH_IJSG_SG_EEES6_PlJ7is_evenIyEEEE10hipError_tPvRmT3_T4_T5_T6_T7_T9_mT8_P12ihipStream_tbDpT10_ENKUlT_T0_E_clISt17integral_constantIbLb1EES18_IbLb0EEEEDaS14_S15_EUlS14_E_NS1_11comp_targetILNS1_3genE9ELNS1_11target_archE1100ELNS1_3gpuE3ELNS1_3repE0EEENS1_30default_config_static_selectorELNS0_4arch9wavefront6targetE1EEEvT1_,comdat
	.protected	_ZN7rocprim17ROCPRIM_400000_NS6detail17trampoline_kernelINS0_14default_configENS1_25partition_config_selectorILNS1_17partition_subalgoE0EyNS0_10empty_typeEbEEZZNS1_14partition_implILS5_0ELb0ES3_jN6thrust23THRUST_200600_302600_NS6detail15normal_iteratorINSA_10device_ptrIyEEEEPS6_SG_NS0_5tupleIJSF_NSA_16discard_iteratorINSA_11use_defaultEEEEEENSH_IJSG_SG_EEES6_PlJ7is_evenIyEEEE10hipError_tPvRmT3_T4_T5_T6_T7_T9_mT8_P12ihipStream_tbDpT10_ENKUlT_T0_E_clISt17integral_constantIbLb1EES18_IbLb0EEEEDaS14_S15_EUlS14_E_NS1_11comp_targetILNS1_3genE9ELNS1_11target_archE1100ELNS1_3gpuE3ELNS1_3repE0EEENS1_30default_config_static_selectorELNS0_4arch9wavefront6targetE1EEEvT1_ ; -- Begin function _ZN7rocprim17ROCPRIM_400000_NS6detail17trampoline_kernelINS0_14default_configENS1_25partition_config_selectorILNS1_17partition_subalgoE0EyNS0_10empty_typeEbEEZZNS1_14partition_implILS5_0ELb0ES3_jN6thrust23THRUST_200600_302600_NS6detail15normal_iteratorINSA_10device_ptrIyEEEEPS6_SG_NS0_5tupleIJSF_NSA_16discard_iteratorINSA_11use_defaultEEEEEENSH_IJSG_SG_EEES6_PlJ7is_evenIyEEEE10hipError_tPvRmT3_T4_T5_T6_T7_T9_mT8_P12ihipStream_tbDpT10_ENKUlT_T0_E_clISt17integral_constantIbLb1EES18_IbLb0EEEEDaS14_S15_EUlS14_E_NS1_11comp_targetILNS1_3genE9ELNS1_11target_archE1100ELNS1_3gpuE3ELNS1_3repE0EEENS1_30default_config_static_selectorELNS0_4arch9wavefront6targetE1EEEvT1_
	.globl	_ZN7rocprim17ROCPRIM_400000_NS6detail17trampoline_kernelINS0_14default_configENS1_25partition_config_selectorILNS1_17partition_subalgoE0EyNS0_10empty_typeEbEEZZNS1_14partition_implILS5_0ELb0ES3_jN6thrust23THRUST_200600_302600_NS6detail15normal_iteratorINSA_10device_ptrIyEEEEPS6_SG_NS0_5tupleIJSF_NSA_16discard_iteratorINSA_11use_defaultEEEEEENSH_IJSG_SG_EEES6_PlJ7is_evenIyEEEE10hipError_tPvRmT3_T4_T5_T6_T7_T9_mT8_P12ihipStream_tbDpT10_ENKUlT_T0_E_clISt17integral_constantIbLb1EES18_IbLb0EEEEDaS14_S15_EUlS14_E_NS1_11comp_targetILNS1_3genE9ELNS1_11target_archE1100ELNS1_3gpuE3ELNS1_3repE0EEENS1_30default_config_static_selectorELNS0_4arch9wavefront6targetE1EEEvT1_
	.p2align	8
	.type	_ZN7rocprim17ROCPRIM_400000_NS6detail17trampoline_kernelINS0_14default_configENS1_25partition_config_selectorILNS1_17partition_subalgoE0EyNS0_10empty_typeEbEEZZNS1_14partition_implILS5_0ELb0ES3_jN6thrust23THRUST_200600_302600_NS6detail15normal_iteratorINSA_10device_ptrIyEEEEPS6_SG_NS0_5tupleIJSF_NSA_16discard_iteratorINSA_11use_defaultEEEEEENSH_IJSG_SG_EEES6_PlJ7is_evenIyEEEE10hipError_tPvRmT3_T4_T5_T6_T7_T9_mT8_P12ihipStream_tbDpT10_ENKUlT_T0_E_clISt17integral_constantIbLb1EES18_IbLb0EEEEDaS14_S15_EUlS14_E_NS1_11comp_targetILNS1_3genE9ELNS1_11target_archE1100ELNS1_3gpuE3ELNS1_3repE0EEENS1_30default_config_static_selectorELNS0_4arch9wavefront6targetE1EEEvT1_,@function
_ZN7rocprim17ROCPRIM_400000_NS6detail17trampoline_kernelINS0_14default_configENS1_25partition_config_selectorILNS1_17partition_subalgoE0EyNS0_10empty_typeEbEEZZNS1_14partition_implILS5_0ELb0ES3_jN6thrust23THRUST_200600_302600_NS6detail15normal_iteratorINSA_10device_ptrIyEEEEPS6_SG_NS0_5tupleIJSF_NSA_16discard_iteratorINSA_11use_defaultEEEEEENSH_IJSG_SG_EEES6_PlJ7is_evenIyEEEE10hipError_tPvRmT3_T4_T5_T6_T7_T9_mT8_P12ihipStream_tbDpT10_ENKUlT_T0_E_clISt17integral_constantIbLb1EES18_IbLb0EEEEDaS14_S15_EUlS14_E_NS1_11comp_targetILNS1_3genE9ELNS1_11target_archE1100ELNS1_3gpuE3ELNS1_3repE0EEENS1_30default_config_static_selectorELNS0_4arch9wavefront6targetE1EEEvT1_: ; @_ZN7rocprim17ROCPRIM_400000_NS6detail17trampoline_kernelINS0_14default_configENS1_25partition_config_selectorILNS1_17partition_subalgoE0EyNS0_10empty_typeEbEEZZNS1_14partition_implILS5_0ELb0ES3_jN6thrust23THRUST_200600_302600_NS6detail15normal_iteratorINSA_10device_ptrIyEEEEPS6_SG_NS0_5tupleIJSF_NSA_16discard_iteratorINSA_11use_defaultEEEEEENSH_IJSG_SG_EEES6_PlJ7is_evenIyEEEE10hipError_tPvRmT3_T4_T5_T6_T7_T9_mT8_P12ihipStream_tbDpT10_ENKUlT_T0_E_clISt17integral_constantIbLb1EES18_IbLb0EEEEDaS14_S15_EUlS14_E_NS1_11comp_targetILNS1_3genE9ELNS1_11target_archE1100ELNS1_3gpuE3ELNS1_3repE0EEENS1_30default_config_static_selectorELNS0_4arch9wavefront6targetE1EEEvT1_
; %bb.0:
	.section	.rodata,"a",@progbits
	.p2align	6, 0x0
	.amdhsa_kernel _ZN7rocprim17ROCPRIM_400000_NS6detail17trampoline_kernelINS0_14default_configENS1_25partition_config_selectorILNS1_17partition_subalgoE0EyNS0_10empty_typeEbEEZZNS1_14partition_implILS5_0ELb0ES3_jN6thrust23THRUST_200600_302600_NS6detail15normal_iteratorINSA_10device_ptrIyEEEEPS6_SG_NS0_5tupleIJSF_NSA_16discard_iteratorINSA_11use_defaultEEEEEENSH_IJSG_SG_EEES6_PlJ7is_evenIyEEEE10hipError_tPvRmT3_T4_T5_T6_T7_T9_mT8_P12ihipStream_tbDpT10_ENKUlT_T0_E_clISt17integral_constantIbLb1EES18_IbLb0EEEEDaS14_S15_EUlS14_E_NS1_11comp_targetILNS1_3genE9ELNS1_11target_archE1100ELNS1_3gpuE3ELNS1_3repE0EEENS1_30default_config_static_selectorELNS0_4arch9wavefront6targetE1EEEvT1_
		.amdhsa_group_segment_fixed_size 0
		.amdhsa_private_segment_fixed_size 0
		.amdhsa_kernarg_size 128
		.amdhsa_user_sgpr_count 6
		.amdhsa_user_sgpr_private_segment_buffer 1
		.amdhsa_user_sgpr_dispatch_ptr 0
		.amdhsa_user_sgpr_queue_ptr 0
		.amdhsa_user_sgpr_kernarg_segment_ptr 1
		.amdhsa_user_sgpr_dispatch_id 0
		.amdhsa_user_sgpr_flat_scratch_init 0
		.amdhsa_user_sgpr_kernarg_preload_length 0
		.amdhsa_user_sgpr_kernarg_preload_offset 0
		.amdhsa_user_sgpr_private_segment_size 0
		.amdhsa_uses_dynamic_stack 0
		.amdhsa_system_sgpr_private_segment_wavefront_offset 0
		.amdhsa_system_sgpr_workgroup_id_x 1
		.amdhsa_system_sgpr_workgroup_id_y 0
		.amdhsa_system_sgpr_workgroup_id_z 0
		.amdhsa_system_sgpr_workgroup_info 0
		.amdhsa_system_vgpr_workitem_id 0
		.amdhsa_next_free_vgpr 1
		.amdhsa_next_free_sgpr 0
		.amdhsa_accum_offset 4
		.amdhsa_reserve_vcc 0
		.amdhsa_reserve_flat_scratch 0
		.amdhsa_float_round_mode_32 0
		.amdhsa_float_round_mode_16_64 0
		.amdhsa_float_denorm_mode_32 3
		.amdhsa_float_denorm_mode_16_64 3
		.amdhsa_dx10_clamp 1
		.amdhsa_ieee_mode 1
		.amdhsa_fp16_overflow 0
		.amdhsa_tg_split 0
		.amdhsa_exception_fp_ieee_invalid_op 0
		.amdhsa_exception_fp_denorm_src 0
		.amdhsa_exception_fp_ieee_div_zero 0
		.amdhsa_exception_fp_ieee_overflow 0
		.amdhsa_exception_fp_ieee_underflow 0
		.amdhsa_exception_fp_ieee_inexact 0
		.amdhsa_exception_int_div_zero 0
	.end_amdhsa_kernel
	.section	.text._ZN7rocprim17ROCPRIM_400000_NS6detail17trampoline_kernelINS0_14default_configENS1_25partition_config_selectorILNS1_17partition_subalgoE0EyNS0_10empty_typeEbEEZZNS1_14partition_implILS5_0ELb0ES3_jN6thrust23THRUST_200600_302600_NS6detail15normal_iteratorINSA_10device_ptrIyEEEEPS6_SG_NS0_5tupleIJSF_NSA_16discard_iteratorINSA_11use_defaultEEEEEENSH_IJSG_SG_EEES6_PlJ7is_evenIyEEEE10hipError_tPvRmT3_T4_T5_T6_T7_T9_mT8_P12ihipStream_tbDpT10_ENKUlT_T0_E_clISt17integral_constantIbLb1EES18_IbLb0EEEEDaS14_S15_EUlS14_E_NS1_11comp_targetILNS1_3genE9ELNS1_11target_archE1100ELNS1_3gpuE3ELNS1_3repE0EEENS1_30default_config_static_selectorELNS0_4arch9wavefront6targetE1EEEvT1_,"axG",@progbits,_ZN7rocprim17ROCPRIM_400000_NS6detail17trampoline_kernelINS0_14default_configENS1_25partition_config_selectorILNS1_17partition_subalgoE0EyNS0_10empty_typeEbEEZZNS1_14partition_implILS5_0ELb0ES3_jN6thrust23THRUST_200600_302600_NS6detail15normal_iteratorINSA_10device_ptrIyEEEEPS6_SG_NS0_5tupleIJSF_NSA_16discard_iteratorINSA_11use_defaultEEEEEENSH_IJSG_SG_EEES6_PlJ7is_evenIyEEEE10hipError_tPvRmT3_T4_T5_T6_T7_T9_mT8_P12ihipStream_tbDpT10_ENKUlT_T0_E_clISt17integral_constantIbLb1EES18_IbLb0EEEEDaS14_S15_EUlS14_E_NS1_11comp_targetILNS1_3genE9ELNS1_11target_archE1100ELNS1_3gpuE3ELNS1_3repE0EEENS1_30default_config_static_selectorELNS0_4arch9wavefront6targetE1EEEvT1_,comdat
.Lfunc_end2353:
	.size	_ZN7rocprim17ROCPRIM_400000_NS6detail17trampoline_kernelINS0_14default_configENS1_25partition_config_selectorILNS1_17partition_subalgoE0EyNS0_10empty_typeEbEEZZNS1_14partition_implILS5_0ELb0ES3_jN6thrust23THRUST_200600_302600_NS6detail15normal_iteratorINSA_10device_ptrIyEEEEPS6_SG_NS0_5tupleIJSF_NSA_16discard_iteratorINSA_11use_defaultEEEEEENSH_IJSG_SG_EEES6_PlJ7is_evenIyEEEE10hipError_tPvRmT3_T4_T5_T6_T7_T9_mT8_P12ihipStream_tbDpT10_ENKUlT_T0_E_clISt17integral_constantIbLb1EES18_IbLb0EEEEDaS14_S15_EUlS14_E_NS1_11comp_targetILNS1_3genE9ELNS1_11target_archE1100ELNS1_3gpuE3ELNS1_3repE0EEENS1_30default_config_static_selectorELNS0_4arch9wavefront6targetE1EEEvT1_, .Lfunc_end2353-_ZN7rocprim17ROCPRIM_400000_NS6detail17trampoline_kernelINS0_14default_configENS1_25partition_config_selectorILNS1_17partition_subalgoE0EyNS0_10empty_typeEbEEZZNS1_14partition_implILS5_0ELb0ES3_jN6thrust23THRUST_200600_302600_NS6detail15normal_iteratorINSA_10device_ptrIyEEEEPS6_SG_NS0_5tupleIJSF_NSA_16discard_iteratorINSA_11use_defaultEEEEEENSH_IJSG_SG_EEES6_PlJ7is_evenIyEEEE10hipError_tPvRmT3_T4_T5_T6_T7_T9_mT8_P12ihipStream_tbDpT10_ENKUlT_T0_E_clISt17integral_constantIbLb1EES18_IbLb0EEEEDaS14_S15_EUlS14_E_NS1_11comp_targetILNS1_3genE9ELNS1_11target_archE1100ELNS1_3gpuE3ELNS1_3repE0EEENS1_30default_config_static_selectorELNS0_4arch9wavefront6targetE1EEEvT1_
                                        ; -- End function
	.section	.AMDGPU.csdata,"",@progbits
; Kernel info:
; codeLenInByte = 0
; NumSgprs: 4
; NumVgprs: 0
; NumAgprs: 0
; TotalNumVgprs: 0
; ScratchSize: 0
; MemoryBound: 0
; FloatMode: 240
; IeeeMode: 1
; LDSByteSize: 0 bytes/workgroup (compile time only)
; SGPRBlocks: 0
; VGPRBlocks: 0
; NumSGPRsForWavesPerEU: 4
; NumVGPRsForWavesPerEU: 1
; AccumOffset: 4
; Occupancy: 8
; WaveLimiterHint : 0
; COMPUTE_PGM_RSRC2:SCRATCH_EN: 0
; COMPUTE_PGM_RSRC2:USER_SGPR: 6
; COMPUTE_PGM_RSRC2:TRAP_HANDLER: 0
; COMPUTE_PGM_RSRC2:TGID_X_EN: 1
; COMPUTE_PGM_RSRC2:TGID_Y_EN: 0
; COMPUTE_PGM_RSRC2:TGID_Z_EN: 0
; COMPUTE_PGM_RSRC2:TIDIG_COMP_CNT: 0
; COMPUTE_PGM_RSRC3_GFX90A:ACCUM_OFFSET: 0
; COMPUTE_PGM_RSRC3_GFX90A:TG_SPLIT: 0
	.section	.text._ZN7rocprim17ROCPRIM_400000_NS6detail17trampoline_kernelINS0_14default_configENS1_25partition_config_selectorILNS1_17partition_subalgoE0EyNS0_10empty_typeEbEEZZNS1_14partition_implILS5_0ELb0ES3_jN6thrust23THRUST_200600_302600_NS6detail15normal_iteratorINSA_10device_ptrIyEEEEPS6_SG_NS0_5tupleIJSF_NSA_16discard_iteratorINSA_11use_defaultEEEEEENSH_IJSG_SG_EEES6_PlJ7is_evenIyEEEE10hipError_tPvRmT3_T4_T5_T6_T7_T9_mT8_P12ihipStream_tbDpT10_ENKUlT_T0_E_clISt17integral_constantIbLb1EES18_IbLb0EEEEDaS14_S15_EUlS14_E_NS1_11comp_targetILNS1_3genE8ELNS1_11target_archE1030ELNS1_3gpuE2ELNS1_3repE0EEENS1_30default_config_static_selectorELNS0_4arch9wavefront6targetE1EEEvT1_,"axG",@progbits,_ZN7rocprim17ROCPRIM_400000_NS6detail17trampoline_kernelINS0_14default_configENS1_25partition_config_selectorILNS1_17partition_subalgoE0EyNS0_10empty_typeEbEEZZNS1_14partition_implILS5_0ELb0ES3_jN6thrust23THRUST_200600_302600_NS6detail15normal_iteratorINSA_10device_ptrIyEEEEPS6_SG_NS0_5tupleIJSF_NSA_16discard_iteratorINSA_11use_defaultEEEEEENSH_IJSG_SG_EEES6_PlJ7is_evenIyEEEE10hipError_tPvRmT3_T4_T5_T6_T7_T9_mT8_P12ihipStream_tbDpT10_ENKUlT_T0_E_clISt17integral_constantIbLb1EES18_IbLb0EEEEDaS14_S15_EUlS14_E_NS1_11comp_targetILNS1_3genE8ELNS1_11target_archE1030ELNS1_3gpuE2ELNS1_3repE0EEENS1_30default_config_static_selectorELNS0_4arch9wavefront6targetE1EEEvT1_,comdat
	.protected	_ZN7rocprim17ROCPRIM_400000_NS6detail17trampoline_kernelINS0_14default_configENS1_25partition_config_selectorILNS1_17partition_subalgoE0EyNS0_10empty_typeEbEEZZNS1_14partition_implILS5_0ELb0ES3_jN6thrust23THRUST_200600_302600_NS6detail15normal_iteratorINSA_10device_ptrIyEEEEPS6_SG_NS0_5tupleIJSF_NSA_16discard_iteratorINSA_11use_defaultEEEEEENSH_IJSG_SG_EEES6_PlJ7is_evenIyEEEE10hipError_tPvRmT3_T4_T5_T6_T7_T9_mT8_P12ihipStream_tbDpT10_ENKUlT_T0_E_clISt17integral_constantIbLb1EES18_IbLb0EEEEDaS14_S15_EUlS14_E_NS1_11comp_targetILNS1_3genE8ELNS1_11target_archE1030ELNS1_3gpuE2ELNS1_3repE0EEENS1_30default_config_static_selectorELNS0_4arch9wavefront6targetE1EEEvT1_ ; -- Begin function _ZN7rocprim17ROCPRIM_400000_NS6detail17trampoline_kernelINS0_14default_configENS1_25partition_config_selectorILNS1_17partition_subalgoE0EyNS0_10empty_typeEbEEZZNS1_14partition_implILS5_0ELb0ES3_jN6thrust23THRUST_200600_302600_NS6detail15normal_iteratorINSA_10device_ptrIyEEEEPS6_SG_NS0_5tupleIJSF_NSA_16discard_iteratorINSA_11use_defaultEEEEEENSH_IJSG_SG_EEES6_PlJ7is_evenIyEEEE10hipError_tPvRmT3_T4_T5_T6_T7_T9_mT8_P12ihipStream_tbDpT10_ENKUlT_T0_E_clISt17integral_constantIbLb1EES18_IbLb0EEEEDaS14_S15_EUlS14_E_NS1_11comp_targetILNS1_3genE8ELNS1_11target_archE1030ELNS1_3gpuE2ELNS1_3repE0EEENS1_30default_config_static_selectorELNS0_4arch9wavefront6targetE1EEEvT1_
	.globl	_ZN7rocprim17ROCPRIM_400000_NS6detail17trampoline_kernelINS0_14default_configENS1_25partition_config_selectorILNS1_17partition_subalgoE0EyNS0_10empty_typeEbEEZZNS1_14partition_implILS5_0ELb0ES3_jN6thrust23THRUST_200600_302600_NS6detail15normal_iteratorINSA_10device_ptrIyEEEEPS6_SG_NS0_5tupleIJSF_NSA_16discard_iteratorINSA_11use_defaultEEEEEENSH_IJSG_SG_EEES6_PlJ7is_evenIyEEEE10hipError_tPvRmT3_T4_T5_T6_T7_T9_mT8_P12ihipStream_tbDpT10_ENKUlT_T0_E_clISt17integral_constantIbLb1EES18_IbLb0EEEEDaS14_S15_EUlS14_E_NS1_11comp_targetILNS1_3genE8ELNS1_11target_archE1030ELNS1_3gpuE2ELNS1_3repE0EEENS1_30default_config_static_selectorELNS0_4arch9wavefront6targetE1EEEvT1_
	.p2align	8
	.type	_ZN7rocprim17ROCPRIM_400000_NS6detail17trampoline_kernelINS0_14default_configENS1_25partition_config_selectorILNS1_17partition_subalgoE0EyNS0_10empty_typeEbEEZZNS1_14partition_implILS5_0ELb0ES3_jN6thrust23THRUST_200600_302600_NS6detail15normal_iteratorINSA_10device_ptrIyEEEEPS6_SG_NS0_5tupleIJSF_NSA_16discard_iteratorINSA_11use_defaultEEEEEENSH_IJSG_SG_EEES6_PlJ7is_evenIyEEEE10hipError_tPvRmT3_T4_T5_T6_T7_T9_mT8_P12ihipStream_tbDpT10_ENKUlT_T0_E_clISt17integral_constantIbLb1EES18_IbLb0EEEEDaS14_S15_EUlS14_E_NS1_11comp_targetILNS1_3genE8ELNS1_11target_archE1030ELNS1_3gpuE2ELNS1_3repE0EEENS1_30default_config_static_selectorELNS0_4arch9wavefront6targetE1EEEvT1_,@function
_ZN7rocprim17ROCPRIM_400000_NS6detail17trampoline_kernelINS0_14default_configENS1_25partition_config_selectorILNS1_17partition_subalgoE0EyNS0_10empty_typeEbEEZZNS1_14partition_implILS5_0ELb0ES3_jN6thrust23THRUST_200600_302600_NS6detail15normal_iteratorINSA_10device_ptrIyEEEEPS6_SG_NS0_5tupleIJSF_NSA_16discard_iteratorINSA_11use_defaultEEEEEENSH_IJSG_SG_EEES6_PlJ7is_evenIyEEEE10hipError_tPvRmT3_T4_T5_T6_T7_T9_mT8_P12ihipStream_tbDpT10_ENKUlT_T0_E_clISt17integral_constantIbLb1EES18_IbLb0EEEEDaS14_S15_EUlS14_E_NS1_11comp_targetILNS1_3genE8ELNS1_11target_archE1030ELNS1_3gpuE2ELNS1_3repE0EEENS1_30default_config_static_selectorELNS0_4arch9wavefront6targetE1EEEvT1_: ; @_ZN7rocprim17ROCPRIM_400000_NS6detail17trampoline_kernelINS0_14default_configENS1_25partition_config_selectorILNS1_17partition_subalgoE0EyNS0_10empty_typeEbEEZZNS1_14partition_implILS5_0ELb0ES3_jN6thrust23THRUST_200600_302600_NS6detail15normal_iteratorINSA_10device_ptrIyEEEEPS6_SG_NS0_5tupleIJSF_NSA_16discard_iteratorINSA_11use_defaultEEEEEENSH_IJSG_SG_EEES6_PlJ7is_evenIyEEEE10hipError_tPvRmT3_T4_T5_T6_T7_T9_mT8_P12ihipStream_tbDpT10_ENKUlT_T0_E_clISt17integral_constantIbLb1EES18_IbLb0EEEEDaS14_S15_EUlS14_E_NS1_11comp_targetILNS1_3genE8ELNS1_11target_archE1030ELNS1_3gpuE2ELNS1_3repE0EEENS1_30default_config_static_selectorELNS0_4arch9wavefront6targetE1EEEvT1_
; %bb.0:
	.section	.rodata,"a",@progbits
	.p2align	6, 0x0
	.amdhsa_kernel _ZN7rocprim17ROCPRIM_400000_NS6detail17trampoline_kernelINS0_14default_configENS1_25partition_config_selectorILNS1_17partition_subalgoE0EyNS0_10empty_typeEbEEZZNS1_14partition_implILS5_0ELb0ES3_jN6thrust23THRUST_200600_302600_NS6detail15normal_iteratorINSA_10device_ptrIyEEEEPS6_SG_NS0_5tupleIJSF_NSA_16discard_iteratorINSA_11use_defaultEEEEEENSH_IJSG_SG_EEES6_PlJ7is_evenIyEEEE10hipError_tPvRmT3_T4_T5_T6_T7_T9_mT8_P12ihipStream_tbDpT10_ENKUlT_T0_E_clISt17integral_constantIbLb1EES18_IbLb0EEEEDaS14_S15_EUlS14_E_NS1_11comp_targetILNS1_3genE8ELNS1_11target_archE1030ELNS1_3gpuE2ELNS1_3repE0EEENS1_30default_config_static_selectorELNS0_4arch9wavefront6targetE1EEEvT1_
		.amdhsa_group_segment_fixed_size 0
		.amdhsa_private_segment_fixed_size 0
		.amdhsa_kernarg_size 128
		.amdhsa_user_sgpr_count 6
		.amdhsa_user_sgpr_private_segment_buffer 1
		.amdhsa_user_sgpr_dispatch_ptr 0
		.amdhsa_user_sgpr_queue_ptr 0
		.amdhsa_user_sgpr_kernarg_segment_ptr 1
		.amdhsa_user_sgpr_dispatch_id 0
		.amdhsa_user_sgpr_flat_scratch_init 0
		.amdhsa_user_sgpr_kernarg_preload_length 0
		.amdhsa_user_sgpr_kernarg_preload_offset 0
		.amdhsa_user_sgpr_private_segment_size 0
		.amdhsa_uses_dynamic_stack 0
		.amdhsa_system_sgpr_private_segment_wavefront_offset 0
		.amdhsa_system_sgpr_workgroup_id_x 1
		.amdhsa_system_sgpr_workgroup_id_y 0
		.amdhsa_system_sgpr_workgroup_id_z 0
		.amdhsa_system_sgpr_workgroup_info 0
		.amdhsa_system_vgpr_workitem_id 0
		.amdhsa_next_free_vgpr 1
		.amdhsa_next_free_sgpr 0
		.amdhsa_accum_offset 4
		.amdhsa_reserve_vcc 0
		.amdhsa_reserve_flat_scratch 0
		.amdhsa_float_round_mode_32 0
		.amdhsa_float_round_mode_16_64 0
		.amdhsa_float_denorm_mode_32 3
		.amdhsa_float_denorm_mode_16_64 3
		.amdhsa_dx10_clamp 1
		.amdhsa_ieee_mode 1
		.amdhsa_fp16_overflow 0
		.amdhsa_tg_split 0
		.amdhsa_exception_fp_ieee_invalid_op 0
		.amdhsa_exception_fp_denorm_src 0
		.amdhsa_exception_fp_ieee_div_zero 0
		.amdhsa_exception_fp_ieee_overflow 0
		.amdhsa_exception_fp_ieee_underflow 0
		.amdhsa_exception_fp_ieee_inexact 0
		.amdhsa_exception_int_div_zero 0
	.end_amdhsa_kernel
	.section	.text._ZN7rocprim17ROCPRIM_400000_NS6detail17trampoline_kernelINS0_14default_configENS1_25partition_config_selectorILNS1_17partition_subalgoE0EyNS0_10empty_typeEbEEZZNS1_14partition_implILS5_0ELb0ES3_jN6thrust23THRUST_200600_302600_NS6detail15normal_iteratorINSA_10device_ptrIyEEEEPS6_SG_NS0_5tupleIJSF_NSA_16discard_iteratorINSA_11use_defaultEEEEEENSH_IJSG_SG_EEES6_PlJ7is_evenIyEEEE10hipError_tPvRmT3_T4_T5_T6_T7_T9_mT8_P12ihipStream_tbDpT10_ENKUlT_T0_E_clISt17integral_constantIbLb1EES18_IbLb0EEEEDaS14_S15_EUlS14_E_NS1_11comp_targetILNS1_3genE8ELNS1_11target_archE1030ELNS1_3gpuE2ELNS1_3repE0EEENS1_30default_config_static_selectorELNS0_4arch9wavefront6targetE1EEEvT1_,"axG",@progbits,_ZN7rocprim17ROCPRIM_400000_NS6detail17trampoline_kernelINS0_14default_configENS1_25partition_config_selectorILNS1_17partition_subalgoE0EyNS0_10empty_typeEbEEZZNS1_14partition_implILS5_0ELb0ES3_jN6thrust23THRUST_200600_302600_NS6detail15normal_iteratorINSA_10device_ptrIyEEEEPS6_SG_NS0_5tupleIJSF_NSA_16discard_iteratorINSA_11use_defaultEEEEEENSH_IJSG_SG_EEES6_PlJ7is_evenIyEEEE10hipError_tPvRmT3_T4_T5_T6_T7_T9_mT8_P12ihipStream_tbDpT10_ENKUlT_T0_E_clISt17integral_constantIbLb1EES18_IbLb0EEEEDaS14_S15_EUlS14_E_NS1_11comp_targetILNS1_3genE8ELNS1_11target_archE1030ELNS1_3gpuE2ELNS1_3repE0EEENS1_30default_config_static_selectorELNS0_4arch9wavefront6targetE1EEEvT1_,comdat
.Lfunc_end2354:
	.size	_ZN7rocprim17ROCPRIM_400000_NS6detail17trampoline_kernelINS0_14default_configENS1_25partition_config_selectorILNS1_17partition_subalgoE0EyNS0_10empty_typeEbEEZZNS1_14partition_implILS5_0ELb0ES3_jN6thrust23THRUST_200600_302600_NS6detail15normal_iteratorINSA_10device_ptrIyEEEEPS6_SG_NS0_5tupleIJSF_NSA_16discard_iteratorINSA_11use_defaultEEEEEENSH_IJSG_SG_EEES6_PlJ7is_evenIyEEEE10hipError_tPvRmT3_T4_T5_T6_T7_T9_mT8_P12ihipStream_tbDpT10_ENKUlT_T0_E_clISt17integral_constantIbLb1EES18_IbLb0EEEEDaS14_S15_EUlS14_E_NS1_11comp_targetILNS1_3genE8ELNS1_11target_archE1030ELNS1_3gpuE2ELNS1_3repE0EEENS1_30default_config_static_selectorELNS0_4arch9wavefront6targetE1EEEvT1_, .Lfunc_end2354-_ZN7rocprim17ROCPRIM_400000_NS6detail17trampoline_kernelINS0_14default_configENS1_25partition_config_selectorILNS1_17partition_subalgoE0EyNS0_10empty_typeEbEEZZNS1_14partition_implILS5_0ELb0ES3_jN6thrust23THRUST_200600_302600_NS6detail15normal_iteratorINSA_10device_ptrIyEEEEPS6_SG_NS0_5tupleIJSF_NSA_16discard_iteratorINSA_11use_defaultEEEEEENSH_IJSG_SG_EEES6_PlJ7is_evenIyEEEE10hipError_tPvRmT3_T4_T5_T6_T7_T9_mT8_P12ihipStream_tbDpT10_ENKUlT_T0_E_clISt17integral_constantIbLb1EES18_IbLb0EEEEDaS14_S15_EUlS14_E_NS1_11comp_targetILNS1_3genE8ELNS1_11target_archE1030ELNS1_3gpuE2ELNS1_3repE0EEENS1_30default_config_static_selectorELNS0_4arch9wavefront6targetE1EEEvT1_
                                        ; -- End function
	.section	.AMDGPU.csdata,"",@progbits
; Kernel info:
; codeLenInByte = 0
; NumSgprs: 4
; NumVgprs: 0
; NumAgprs: 0
; TotalNumVgprs: 0
; ScratchSize: 0
; MemoryBound: 0
; FloatMode: 240
; IeeeMode: 1
; LDSByteSize: 0 bytes/workgroup (compile time only)
; SGPRBlocks: 0
; VGPRBlocks: 0
; NumSGPRsForWavesPerEU: 4
; NumVGPRsForWavesPerEU: 1
; AccumOffset: 4
; Occupancy: 8
; WaveLimiterHint : 0
; COMPUTE_PGM_RSRC2:SCRATCH_EN: 0
; COMPUTE_PGM_RSRC2:USER_SGPR: 6
; COMPUTE_PGM_RSRC2:TRAP_HANDLER: 0
; COMPUTE_PGM_RSRC2:TGID_X_EN: 1
; COMPUTE_PGM_RSRC2:TGID_Y_EN: 0
; COMPUTE_PGM_RSRC2:TGID_Z_EN: 0
; COMPUTE_PGM_RSRC2:TIDIG_COMP_CNT: 0
; COMPUTE_PGM_RSRC3_GFX90A:ACCUM_OFFSET: 0
; COMPUTE_PGM_RSRC3_GFX90A:TG_SPLIT: 0
	.section	.text._ZN7rocprim17ROCPRIM_400000_NS6detail17trampoline_kernelINS0_14default_configENS1_25partition_config_selectorILNS1_17partition_subalgoE0EyNS0_10empty_typeEbEEZZNS1_14partition_implILS5_0ELb0ES3_jN6thrust23THRUST_200600_302600_NS6detail15normal_iteratorINSA_10device_ptrIyEEEEPS6_SG_NS0_5tupleIJSF_NSA_16discard_iteratorINSA_11use_defaultEEEEEENSH_IJSG_SG_EEES6_PlJ7is_evenIyEEEE10hipError_tPvRmT3_T4_T5_T6_T7_T9_mT8_P12ihipStream_tbDpT10_ENKUlT_T0_E_clISt17integral_constantIbLb0EES18_IbLb1EEEEDaS14_S15_EUlS14_E_NS1_11comp_targetILNS1_3genE0ELNS1_11target_archE4294967295ELNS1_3gpuE0ELNS1_3repE0EEENS1_30default_config_static_selectorELNS0_4arch9wavefront6targetE1EEEvT1_,"axG",@progbits,_ZN7rocprim17ROCPRIM_400000_NS6detail17trampoline_kernelINS0_14default_configENS1_25partition_config_selectorILNS1_17partition_subalgoE0EyNS0_10empty_typeEbEEZZNS1_14partition_implILS5_0ELb0ES3_jN6thrust23THRUST_200600_302600_NS6detail15normal_iteratorINSA_10device_ptrIyEEEEPS6_SG_NS0_5tupleIJSF_NSA_16discard_iteratorINSA_11use_defaultEEEEEENSH_IJSG_SG_EEES6_PlJ7is_evenIyEEEE10hipError_tPvRmT3_T4_T5_T6_T7_T9_mT8_P12ihipStream_tbDpT10_ENKUlT_T0_E_clISt17integral_constantIbLb0EES18_IbLb1EEEEDaS14_S15_EUlS14_E_NS1_11comp_targetILNS1_3genE0ELNS1_11target_archE4294967295ELNS1_3gpuE0ELNS1_3repE0EEENS1_30default_config_static_selectorELNS0_4arch9wavefront6targetE1EEEvT1_,comdat
	.protected	_ZN7rocprim17ROCPRIM_400000_NS6detail17trampoline_kernelINS0_14default_configENS1_25partition_config_selectorILNS1_17partition_subalgoE0EyNS0_10empty_typeEbEEZZNS1_14partition_implILS5_0ELb0ES3_jN6thrust23THRUST_200600_302600_NS6detail15normal_iteratorINSA_10device_ptrIyEEEEPS6_SG_NS0_5tupleIJSF_NSA_16discard_iteratorINSA_11use_defaultEEEEEENSH_IJSG_SG_EEES6_PlJ7is_evenIyEEEE10hipError_tPvRmT3_T4_T5_T6_T7_T9_mT8_P12ihipStream_tbDpT10_ENKUlT_T0_E_clISt17integral_constantIbLb0EES18_IbLb1EEEEDaS14_S15_EUlS14_E_NS1_11comp_targetILNS1_3genE0ELNS1_11target_archE4294967295ELNS1_3gpuE0ELNS1_3repE0EEENS1_30default_config_static_selectorELNS0_4arch9wavefront6targetE1EEEvT1_ ; -- Begin function _ZN7rocprim17ROCPRIM_400000_NS6detail17trampoline_kernelINS0_14default_configENS1_25partition_config_selectorILNS1_17partition_subalgoE0EyNS0_10empty_typeEbEEZZNS1_14partition_implILS5_0ELb0ES3_jN6thrust23THRUST_200600_302600_NS6detail15normal_iteratorINSA_10device_ptrIyEEEEPS6_SG_NS0_5tupleIJSF_NSA_16discard_iteratorINSA_11use_defaultEEEEEENSH_IJSG_SG_EEES6_PlJ7is_evenIyEEEE10hipError_tPvRmT3_T4_T5_T6_T7_T9_mT8_P12ihipStream_tbDpT10_ENKUlT_T0_E_clISt17integral_constantIbLb0EES18_IbLb1EEEEDaS14_S15_EUlS14_E_NS1_11comp_targetILNS1_3genE0ELNS1_11target_archE4294967295ELNS1_3gpuE0ELNS1_3repE0EEENS1_30default_config_static_selectorELNS0_4arch9wavefront6targetE1EEEvT1_
	.globl	_ZN7rocprim17ROCPRIM_400000_NS6detail17trampoline_kernelINS0_14default_configENS1_25partition_config_selectorILNS1_17partition_subalgoE0EyNS0_10empty_typeEbEEZZNS1_14partition_implILS5_0ELb0ES3_jN6thrust23THRUST_200600_302600_NS6detail15normal_iteratorINSA_10device_ptrIyEEEEPS6_SG_NS0_5tupleIJSF_NSA_16discard_iteratorINSA_11use_defaultEEEEEENSH_IJSG_SG_EEES6_PlJ7is_evenIyEEEE10hipError_tPvRmT3_T4_T5_T6_T7_T9_mT8_P12ihipStream_tbDpT10_ENKUlT_T0_E_clISt17integral_constantIbLb0EES18_IbLb1EEEEDaS14_S15_EUlS14_E_NS1_11comp_targetILNS1_3genE0ELNS1_11target_archE4294967295ELNS1_3gpuE0ELNS1_3repE0EEENS1_30default_config_static_selectorELNS0_4arch9wavefront6targetE1EEEvT1_
	.p2align	8
	.type	_ZN7rocprim17ROCPRIM_400000_NS6detail17trampoline_kernelINS0_14default_configENS1_25partition_config_selectorILNS1_17partition_subalgoE0EyNS0_10empty_typeEbEEZZNS1_14partition_implILS5_0ELb0ES3_jN6thrust23THRUST_200600_302600_NS6detail15normal_iteratorINSA_10device_ptrIyEEEEPS6_SG_NS0_5tupleIJSF_NSA_16discard_iteratorINSA_11use_defaultEEEEEENSH_IJSG_SG_EEES6_PlJ7is_evenIyEEEE10hipError_tPvRmT3_T4_T5_T6_T7_T9_mT8_P12ihipStream_tbDpT10_ENKUlT_T0_E_clISt17integral_constantIbLb0EES18_IbLb1EEEEDaS14_S15_EUlS14_E_NS1_11comp_targetILNS1_3genE0ELNS1_11target_archE4294967295ELNS1_3gpuE0ELNS1_3repE0EEENS1_30default_config_static_selectorELNS0_4arch9wavefront6targetE1EEEvT1_,@function
_ZN7rocprim17ROCPRIM_400000_NS6detail17trampoline_kernelINS0_14default_configENS1_25partition_config_selectorILNS1_17partition_subalgoE0EyNS0_10empty_typeEbEEZZNS1_14partition_implILS5_0ELb0ES3_jN6thrust23THRUST_200600_302600_NS6detail15normal_iteratorINSA_10device_ptrIyEEEEPS6_SG_NS0_5tupleIJSF_NSA_16discard_iteratorINSA_11use_defaultEEEEEENSH_IJSG_SG_EEES6_PlJ7is_evenIyEEEE10hipError_tPvRmT3_T4_T5_T6_T7_T9_mT8_P12ihipStream_tbDpT10_ENKUlT_T0_E_clISt17integral_constantIbLb0EES18_IbLb1EEEEDaS14_S15_EUlS14_E_NS1_11comp_targetILNS1_3genE0ELNS1_11target_archE4294967295ELNS1_3gpuE0ELNS1_3repE0EEENS1_30default_config_static_selectorELNS0_4arch9wavefront6targetE1EEEvT1_: ; @_ZN7rocprim17ROCPRIM_400000_NS6detail17trampoline_kernelINS0_14default_configENS1_25partition_config_selectorILNS1_17partition_subalgoE0EyNS0_10empty_typeEbEEZZNS1_14partition_implILS5_0ELb0ES3_jN6thrust23THRUST_200600_302600_NS6detail15normal_iteratorINSA_10device_ptrIyEEEEPS6_SG_NS0_5tupleIJSF_NSA_16discard_iteratorINSA_11use_defaultEEEEEENSH_IJSG_SG_EEES6_PlJ7is_evenIyEEEE10hipError_tPvRmT3_T4_T5_T6_T7_T9_mT8_P12ihipStream_tbDpT10_ENKUlT_T0_E_clISt17integral_constantIbLb0EES18_IbLb1EEEEDaS14_S15_EUlS14_E_NS1_11comp_targetILNS1_3genE0ELNS1_11target_archE4294967295ELNS1_3gpuE0ELNS1_3repE0EEENS1_30default_config_static_selectorELNS0_4arch9wavefront6targetE1EEEvT1_
; %bb.0:
	.section	.rodata,"a",@progbits
	.p2align	6, 0x0
	.amdhsa_kernel _ZN7rocprim17ROCPRIM_400000_NS6detail17trampoline_kernelINS0_14default_configENS1_25partition_config_selectorILNS1_17partition_subalgoE0EyNS0_10empty_typeEbEEZZNS1_14partition_implILS5_0ELb0ES3_jN6thrust23THRUST_200600_302600_NS6detail15normal_iteratorINSA_10device_ptrIyEEEEPS6_SG_NS0_5tupleIJSF_NSA_16discard_iteratorINSA_11use_defaultEEEEEENSH_IJSG_SG_EEES6_PlJ7is_evenIyEEEE10hipError_tPvRmT3_T4_T5_T6_T7_T9_mT8_P12ihipStream_tbDpT10_ENKUlT_T0_E_clISt17integral_constantIbLb0EES18_IbLb1EEEEDaS14_S15_EUlS14_E_NS1_11comp_targetILNS1_3genE0ELNS1_11target_archE4294967295ELNS1_3gpuE0ELNS1_3repE0EEENS1_30default_config_static_selectorELNS0_4arch9wavefront6targetE1EEEvT1_
		.amdhsa_group_segment_fixed_size 0
		.amdhsa_private_segment_fixed_size 0
		.amdhsa_kernarg_size 144
		.amdhsa_user_sgpr_count 6
		.amdhsa_user_sgpr_private_segment_buffer 1
		.amdhsa_user_sgpr_dispatch_ptr 0
		.amdhsa_user_sgpr_queue_ptr 0
		.amdhsa_user_sgpr_kernarg_segment_ptr 1
		.amdhsa_user_sgpr_dispatch_id 0
		.amdhsa_user_sgpr_flat_scratch_init 0
		.amdhsa_user_sgpr_kernarg_preload_length 0
		.amdhsa_user_sgpr_kernarg_preload_offset 0
		.amdhsa_user_sgpr_private_segment_size 0
		.amdhsa_uses_dynamic_stack 0
		.amdhsa_system_sgpr_private_segment_wavefront_offset 0
		.amdhsa_system_sgpr_workgroup_id_x 1
		.amdhsa_system_sgpr_workgroup_id_y 0
		.amdhsa_system_sgpr_workgroup_id_z 0
		.amdhsa_system_sgpr_workgroup_info 0
		.amdhsa_system_vgpr_workitem_id 0
		.amdhsa_next_free_vgpr 1
		.amdhsa_next_free_sgpr 0
		.amdhsa_accum_offset 4
		.amdhsa_reserve_vcc 0
		.amdhsa_reserve_flat_scratch 0
		.amdhsa_float_round_mode_32 0
		.amdhsa_float_round_mode_16_64 0
		.amdhsa_float_denorm_mode_32 3
		.amdhsa_float_denorm_mode_16_64 3
		.amdhsa_dx10_clamp 1
		.amdhsa_ieee_mode 1
		.amdhsa_fp16_overflow 0
		.amdhsa_tg_split 0
		.amdhsa_exception_fp_ieee_invalid_op 0
		.amdhsa_exception_fp_denorm_src 0
		.amdhsa_exception_fp_ieee_div_zero 0
		.amdhsa_exception_fp_ieee_overflow 0
		.amdhsa_exception_fp_ieee_underflow 0
		.amdhsa_exception_fp_ieee_inexact 0
		.amdhsa_exception_int_div_zero 0
	.end_amdhsa_kernel
	.section	.text._ZN7rocprim17ROCPRIM_400000_NS6detail17trampoline_kernelINS0_14default_configENS1_25partition_config_selectorILNS1_17partition_subalgoE0EyNS0_10empty_typeEbEEZZNS1_14partition_implILS5_0ELb0ES3_jN6thrust23THRUST_200600_302600_NS6detail15normal_iteratorINSA_10device_ptrIyEEEEPS6_SG_NS0_5tupleIJSF_NSA_16discard_iteratorINSA_11use_defaultEEEEEENSH_IJSG_SG_EEES6_PlJ7is_evenIyEEEE10hipError_tPvRmT3_T4_T5_T6_T7_T9_mT8_P12ihipStream_tbDpT10_ENKUlT_T0_E_clISt17integral_constantIbLb0EES18_IbLb1EEEEDaS14_S15_EUlS14_E_NS1_11comp_targetILNS1_3genE0ELNS1_11target_archE4294967295ELNS1_3gpuE0ELNS1_3repE0EEENS1_30default_config_static_selectorELNS0_4arch9wavefront6targetE1EEEvT1_,"axG",@progbits,_ZN7rocprim17ROCPRIM_400000_NS6detail17trampoline_kernelINS0_14default_configENS1_25partition_config_selectorILNS1_17partition_subalgoE0EyNS0_10empty_typeEbEEZZNS1_14partition_implILS5_0ELb0ES3_jN6thrust23THRUST_200600_302600_NS6detail15normal_iteratorINSA_10device_ptrIyEEEEPS6_SG_NS0_5tupleIJSF_NSA_16discard_iteratorINSA_11use_defaultEEEEEENSH_IJSG_SG_EEES6_PlJ7is_evenIyEEEE10hipError_tPvRmT3_T4_T5_T6_T7_T9_mT8_P12ihipStream_tbDpT10_ENKUlT_T0_E_clISt17integral_constantIbLb0EES18_IbLb1EEEEDaS14_S15_EUlS14_E_NS1_11comp_targetILNS1_3genE0ELNS1_11target_archE4294967295ELNS1_3gpuE0ELNS1_3repE0EEENS1_30default_config_static_selectorELNS0_4arch9wavefront6targetE1EEEvT1_,comdat
.Lfunc_end2355:
	.size	_ZN7rocprim17ROCPRIM_400000_NS6detail17trampoline_kernelINS0_14default_configENS1_25partition_config_selectorILNS1_17partition_subalgoE0EyNS0_10empty_typeEbEEZZNS1_14partition_implILS5_0ELb0ES3_jN6thrust23THRUST_200600_302600_NS6detail15normal_iteratorINSA_10device_ptrIyEEEEPS6_SG_NS0_5tupleIJSF_NSA_16discard_iteratorINSA_11use_defaultEEEEEENSH_IJSG_SG_EEES6_PlJ7is_evenIyEEEE10hipError_tPvRmT3_T4_T5_T6_T7_T9_mT8_P12ihipStream_tbDpT10_ENKUlT_T0_E_clISt17integral_constantIbLb0EES18_IbLb1EEEEDaS14_S15_EUlS14_E_NS1_11comp_targetILNS1_3genE0ELNS1_11target_archE4294967295ELNS1_3gpuE0ELNS1_3repE0EEENS1_30default_config_static_selectorELNS0_4arch9wavefront6targetE1EEEvT1_, .Lfunc_end2355-_ZN7rocprim17ROCPRIM_400000_NS6detail17trampoline_kernelINS0_14default_configENS1_25partition_config_selectorILNS1_17partition_subalgoE0EyNS0_10empty_typeEbEEZZNS1_14partition_implILS5_0ELb0ES3_jN6thrust23THRUST_200600_302600_NS6detail15normal_iteratorINSA_10device_ptrIyEEEEPS6_SG_NS0_5tupleIJSF_NSA_16discard_iteratorINSA_11use_defaultEEEEEENSH_IJSG_SG_EEES6_PlJ7is_evenIyEEEE10hipError_tPvRmT3_T4_T5_T6_T7_T9_mT8_P12ihipStream_tbDpT10_ENKUlT_T0_E_clISt17integral_constantIbLb0EES18_IbLb1EEEEDaS14_S15_EUlS14_E_NS1_11comp_targetILNS1_3genE0ELNS1_11target_archE4294967295ELNS1_3gpuE0ELNS1_3repE0EEENS1_30default_config_static_selectorELNS0_4arch9wavefront6targetE1EEEvT1_
                                        ; -- End function
	.section	.AMDGPU.csdata,"",@progbits
; Kernel info:
; codeLenInByte = 0
; NumSgprs: 4
; NumVgprs: 0
; NumAgprs: 0
; TotalNumVgprs: 0
; ScratchSize: 0
; MemoryBound: 0
; FloatMode: 240
; IeeeMode: 1
; LDSByteSize: 0 bytes/workgroup (compile time only)
; SGPRBlocks: 0
; VGPRBlocks: 0
; NumSGPRsForWavesPerEU: 4
; NumVGPRsForWavesPerEU: 1
; AccumOffset: 4
; Occupancy: 8
; WaveLimiterHint : 0
; COMPUTE_PGM_RSRC2:SCRATCH_EN: 0
; COMPUTE_PGM_RSRC2:USER_SGPR: 6
; COMPUTE_PGM_RSRC2:TRAP_HANDLER: 0
; COMPUTE_PGM_RSRC2:TGID_X_EN: 1
; COMPUTE_PGM_RSRC2:TGID_Y_EN: 0
; COMPUTE_PGM_RSRC2:TGID_Z_EN: 0
; COMPUTE_PGM_RSRC2:TIDIG_COMP_CNT: 0
; COMPUTE_PGM_RSRC3_GFX90A:ACCUM_OFFSET: 0
; COMPUTE_PGM_RSRC3_GFX90A:TG_SPLIT: 0
	.section	.text._ZN7rocprim17ROCPRIM_400000_NS6detail17trampoline_kernelINS0_14default_configENS1_25partition_config_selectorILNS1_17partition_subalgoE0EyNS0_10empty_typeEbEEZZNS1_14partition_implILS5_0ELb0ES3_jN6thrust23THRUST_200600_302600_NS6detail15normal_iteratorINSA_10device_ptrIyEEEEPS6_SG_NS0_5tupleIJSF_NSA_16discard_iteratorINSA_11use_defaultEEEEEENSH_IJSG_SG_EEES6_PlJ7is_evenIyEEEE10hipError_tPvRmT3_T4_T5_T6_T7_T9_mT8_P12ihipStream_tbDpT10_ENKUlT_T0_E_clISt17integral_constantIbLb0EES18_IbLb1EEEEDaS14_S15_EUlS14_E_NS1_11comp_targetILNS1_3genE5ELNS1_11target_archE942ELNS1_3gpuE9ELNS1_3repE0EEENS1_30default_config_static_selectorELNS0_4arch9wavefront6targetE1EEEvT1_,"axG",@progbits,_ZN7rocprim17ROCPRIM_400000_NS6detail17trampoline_kernelINS0_14default_configENS1_25partition_config_selectorILNS1_17partition_subalgoE0EyNS0_10empty_typeEbEEZZNS1_14partition_implILS5_0ELb0ES3_jN6thrust23THRUST_200600_302600_NS6detail15normal_iteratorINSA_10device_ptrIyEEEEPS6_SG_NS0_5tupleIJSF_NSA_16discard_iteratorINSA_11use_defaultEEEEEENSH_IJSG_SG_EEES6_PlJ7is_evenIyEEEE10hipError_tPvRmT3_T4_T5_T6_T7_T9_mT8_P12ihipStream_tbDpT10_ENKUlT_T0_E_clISt17integral_constantIbLb0EES18_IbLb1EEEEDaS14_S15_EUlS14_E_NS1_11comp_targetILNS1_3genE5ELNS1_11target_archE942ELNS1_3gpuE9ELNS1_3repE0EEENS1_30default_config_static_selectorELNS0_4arch9wavefront6targetE1EEEvT1_,comdat
	.protected	_ZN7rocprim17ROCPRIM_400000_NS6detail17trampoline_kernelINS0_14default_configENS1_25partition_config_selectorILNS1_17partition_subalgoE0EyNS0_10empty_typeEbEEZZNS1_14partition_implILS5_0ELb0ES3_jN6thrust23THRUST_200600_302600_NS6detail15normal_iteratorINSA_10device_ptrIyEEEEPS6_SG_NS0_5tupleIJSF_NSA_16discard_iteratorINSA_11use_defaultEEEEEENSH_IJSG_SG_EEES6_PlJ7is_evenIyEEEE10hipError_tPvRmT3_T4_T5_T6_T7_T9_mT8_P12ihipStream_tbDpT10_ENKUlT_T0_E_clISt17integral_constantIbLb0EES18_IbLb1EEEEDaS14_S15_EUlS14_E_NS1_11comp_targetILNS1_3genE5ELNS1_11target_archE942ELNS1_3gpuE9ELNS1_3repE0EEENS1_30default_config_static_selectorELNS0_4arch9wavefront6targetE1EEEvT1_ ; -- Begin function _ZN7rocprim17ROCPRIM_400000_NS6detail17trampoline_kernelINS0_14default_configENS1_25partition_config_selectorILNS1_17partition_subalgoE0EyNS0_10empty_typeEbEEZZNS1_14partition_implILS5_0ELb0ES3_jN6thrust23THRUST_200600_302600_NS6detail15normal_iteratorINSA_10device_ptrIyEEEEPS6_SG_NS0_5tupleIJSF_NSA_16discard_iteratorINSA_11use_defaultEEEEEENSH_IJSG_SG_EEES6_PlJ7is_evenIyEEEE10hipError_tPvRmT3_T4_T5_T6_T7_T9_mT8_P12ihipStream_tbDpT10_ENKUlT_T0_E_clISt17integral_constantIbLb0EES18_IbLb1EEEEDaS14_S15_EUlS14_E_NS1_11comp_targetILNS1_3genE5ELNS1_11target_archE942ELNS1_3gpuE9ELNS1_3repE0EEENS1_30default_config_static_selectorELNS0_4arch9wavefront6targetE1EEEvT1_
	.globl	_ZN7rocprim17ROCPRIM_400000_NS6detail17trampoline_kernelINS0_14default_configENS1_25partition_config_selectorILNS1_17partition_subalgoE0EyNS0_10empty_typeEbEEZZNS1_14partition_implILS5_0ELb0ES3_jN6thrust23THRUST_200600_302600_NS6detail15normal_iteratorINSA_10device_ptrIyEEEEPS6_SG_NS0_5tupleIJSF_NSA_16discard_iteratorINSA_11use_defaultEEEEEENSH_IJSG_SG_EEES6_PlJ7is_evenIyEEEE10hipError_tPvRmT3_T4_T5_T6_T7_T9_mT8_P12ihipStream_tbDpT10_ENKUlT_T0_E_clISt17integral_constantIbLb0EES18_IbLb1EEEEDaS14_S15_EUlS14_E_NS1_11comp_targetILNS1_3genE5ELNS1_11target_archE942ELNS1_3gpuE9ELNS1_3repE0EEENS1_30default_config_static_selectorELNS0_4arch9wavefront6targetE1EEEvT1_
	.p2align	8
	.type	_ZN7rocprim17ROCPRIM_400000_NS6detail17trampoline_kernelINS0_14default_configENS1_25partition_config_selectorILNS1_17partition_subalgoE0EyNS0_10empty_typeEbEEZZNS1_14partition_implILS5_0ELb0ES3_jN6thrust23THRUST_200600_302600_NS6detail15normal_iteratorINSA_10device_ptrIyEEEEPS6_SG_NS0_5tupleIJSF_NSA_16discard_iteratorINSA_11use_defaultEEEEEENSH_IJSG_SG_EEES6_PlJ7is_evenIyEEEE10hipError_tPvRmT3_T4_T5_T6_T7_T9_mT8_P12ihipStream_tbDpT10_ENKUlT_T0_E_clISt17integral_constantIbLb0EES18_IbLb1EEEEDaS14_S15_EUlS14_E_NS1_11comp_targetILNS1_3genE5ELNS1_11target_archE942ELNS1_3gpuE9ELNS1_3repE0EEENS1_30default_config_static_selectorELNS0_4arch9wavefront6targetE1EEEvT1_,@function
_ZN7rocprim17ROCPRIM_400000_NS6detail17trampoline_kernelINS0_14default_configENS1_25partition_config_selectorILNS1_17partition_subalgoE0EyNS0_10empty_typeEbEEZZNS1_14partition_implILS5_0ELb0ES3_jN6thrust23THRUST_200600_302600_NS6detail15normal_iteratorINSA_10device_ptrIyEEEEPS6_SG_NS0_5tupleIJSF_NSA_16discard_iteratorINSA_11use_defaultEEEEEENSH_IJSG_SG_EEES6_PlJ7is_evenIyEEEE10hipError_tPvRmT3_T4_T5_T6_T7_T9_mT8_P12ihipStream_tbDpT10_ENKUlT_T0_E_clISt17integral_constantIbLb0EES18_IbLb1EEEEDaS14_S15_EUlS14_E_NS1_11comp_targetILNS1_3genE5ELNS1_11target_archE942ELNS1_3gpuE9ELNS1_3repE0EEENS1_30default_config_static_selectorELNS0_4arch9wavefront6targetE1EEEvT1_: ; @_ZN7rocprim17ROCPRIM_400000_NS6detail17trampoline_kernelINS0_14default_configENS1_25partition_config_selectorILNS1_17partition_subalgoE0EyNS0_10empty_typeEbEEZZNS1_14partition_implILS5_0ELb0ES3_jN6thrust23THRUST_200600_302600_NS6detail15normal_iteratorINSA_10device_ptrIyEEEEPS6_SG_NS0_5tupleIJSF_NSA_16discard_iteratorINSA_11use_defaultEEEEEENSH_IJSG_SG_EEES6_PlJ7is_evenIyEEEE10hipError_tPvRmT3_T4_T5_T6_T7_T9_mT8_P12ihipStream_tbDpT10_ENKUlT_T0_E_clISt17integral_constantIbLb0EES18_IbLb1EEEEDaS14_S15_EUlS14_E_NS1_11comp_targetILNS1_3genE5ELNS1_11target_archE942ELNS1_3gpuE9ELNS1_3repE0EEENS1_30default_config_static_selectorELNS0_4arch9wavefront6targetE1EEEvT1_
; %bb.0:
	.section	.rodata,"a",@progbits
	.p2align	6, 0x0
	.amdhsa_kernel _ZN7rocprim17ROCPRIM_400000_NS6detail17trampoline_kernelINS0_14default_configENS1_25partition_config_selectorILNS1_17partition_subalgoE0EyNS0_10empty_typeEbEEZZNS1_14partition_implILS5_0ELb0ES3_jN6thrust23THRUST_200600_302600_NS6detail15normal_iteratorINSA_10device_ptrIyEEEEPS6_SG_NS0_5tupleIJSF_NSA_16discard_iteratorINSA_11use_defaultEEEEEENSH_IJSG_SG_EEES6_PlJ7is_evenIyEEEE10hipError_tPvRmT3_T4_T5_T6_T7_T9_mT8_P12ihipStream_tbDpT10_ENKUlT_T0_E_clISt17integral_constantIbLb0EES18_IbLb1EEEEDaS14_S15_EUlS14_E_NS1_11comp_targetILNS1_3genE5ELNS1_11target_archE942ELNS1_3gpuE9ELNS1_3repE0EEENS1_30default_config_static_selectorELNS0_4arch9wavefront6targetE1EEEvT1_
		.amdhsa_group_segment_fixed_size 0
		.amdhsa_private_segment_fixed_size 0
		.amdhsa_kernarg_size 144
		.amdhsa_user_sgpr_count 6
		.amdhsa_user_sgpr_private_segment_buffer 1
		.amdhsa_user_sgpr_dispatch_ptr 0
		.amdhsa_user_sgpr_queue_ptr 0
		.amdhsa_user_sgpr_kernarg_segment_ptr 1
		.amdhsa_user_sgpr_dispatch_id 0
		.amdhsa_user_sgpr_flat_scratch_init 0
		.amdhsa_user_sgpr_kernarg_preload_length 0
		.amdhsa_user_sgpr_kernarg_preload_offset 0
		.amdhsa_user_sgpr_private_segment_size 0
		.amdhsa_uses_dynamic_stack 0
		.amdhsa_system_sgpr_private_segment_wavefront_offset 0
		.amdhsa_system_sgpr_workgroup_id_x 1
		.amdhsa_system_sgpr_workgroup_id_y 0
		.amdhsa_system_sgpr_workgroup_id_z 0
		.amdhsa_system_sgpr_workgroup_info 0
		.amdhsa_system_vgpr_workitem_id 0
		.amdhsa_next_free_vgpr 1
		.amdhsa_next_free_sgpr 0
		.amdhsa_accum_offset 4
		.amdhsa_reserve_vcc 0
		.amdhsa_reserve_flat_scratch 0
		.amdhsa_float_round_mode_32 0
		.amdhsa_float_round_mode_16_64 0
		.amdhsa_float_denorm_mode_32 3
		.amdhsa_float_denorm_mode_16_64 3
		.amdhsa_dx10_clamp 1
		.amdhsa_ieee_mode 1
		.amdhsa_fp16_overflow 0
		.amdhsa_tg_split 0
		.amdhsa_exception_fp_ieee_invalid_op 0
		.amdhsa_exception_fp_denorm_src 0
		.amdhsa_exception_fp_ieee_div_zero 0
		.amdhsa_exception_fp_ieee_overflow 0
		.amdhsa_exception_fp_ieee_underflow 0
		.amdhsa_exception_fp_ieee_inexact 0
		.amdhsa_exception_int_div_zero 0
	.end_amdhsa_kernel
	.section	.text._ZN7rocprim17ROCPRIM_400000_NS6detail17trampoline_kernelINS0_14default_configENS1_25partition_config_selectorILNS1_17partition_subalgoE0EyNS0_10empty_typeEbEEZZNS1_14partition_implILS5_0ELb0ES3_jN6thrust23THRUST_200600_302600_NS6detail15normal_iteratorINSA_10device_ptrIyEEEEPS6_SG_NS0_5tupleIJSF_NSA_16discard_iteratorINSA_11use_defaultEEEEEENSH_IJSG_SG_EEES6_PlJ7is_evenIyEEEE10hipError_tPvRmT3_T4_T5_T6_T7_T9_mT8_P12ihipStream_tbDpT10_ENKUlT_T0_E_clISt17integral_constantIbLb0EES18_IbLb1EEEEDaS14_S15_EUlS14_E_NS1_11comp_targetILNS1_3genE5ELNS1_11target_archE942ELNS1_3gpuE9ELNS1_3repE0EEENS1_30default_config_static_selectorELNS0_4arch9wavefront6targetE1EEEvT1_,"axG",@progbits,_ZN7rocprim17ROCPRIM_400000_NS6detail17trampoline_kernelINS0_14default_configENS1_25partition_config_selectorILNS1_17partition_subalgoE0EyNS0_10empty_typeEbEEZZNS1_14partition_implILS5_0ELb0ES3_jN6thrust23THRUST_200600_302600_NS6detail15normal_iteratorINSA_10device_ptrIyEEEEPS6_SG_NS0_5tupleIJSF_NSA_16discard_iteratorINSA_11use_defaultEEEEEENSH_IJSG_SG_EEES6_PlJ7is_evenIyEEEE10hipError_tPvRmT3_T4_T5_T6_T7_T9_mT8_P12ihipStream_tbDpT10_ENKUlT_T0_E_clISt17integral_constantIbLb0EES18_IbLb1EEEEDaS14_S15_EUlS14_E_NS1_11comp_targetILNS1_3genE5ELNS1_11target_archE942ELNS1_3gpuE9ELNS1_3repE0EEENS1_30default_config_static_selectorELNS0_4arch9wavefront6targetE1EEEvT1_,comdat
.Lfunc_end2356:
	.size	_ZN7rocprim17ROCPRIM_400000_NS6detail17trampoline_kernelINS0_14default_configENS1_25partition_config_selectorILNS1_17partition_subalgoE0EyNS0_10empty_typeEbEEZZNS1_14partition_implILS5_0ELb0ES3_jN6thrust23THRUST_200600_302600_NS6detail15normal_iteratorINSA_10device_ptrIyEEEEPS6_SG_NS0_5tupleIJSF_NSA_16discard_iteratorINSA_11use_defaultEEEEEENSH_IJSG_SG_EEES6_PlJ7is_evenIyEEEE10hipError_tPvRmT3_T4_T5_T6_T7_T9_mT8_P12ihipStream_tbDpT10_ENKUlT_T0_E_clISt17integral_constantIbLb0EES18_IbLb1EEEEDaS14_S15_EUlS14_E_NS1_11comp_targetILNS1_3genE5ELNS1_11target_archE942ELNS1_3gpuE9ELNS1_3repE0EEENS1_30default_config_static_selectorELNS0_4arch9wavefront6targetE1EEEvT1_, .Lfunc_end2356-_ZN7rocprim17ROCPRIM_400000_NS6detail17trampoline_kernelINS0_14default_configENS1_25partition_config_selectorILNS1_17partition_subalgoE0EyNS0_10empty_typeEbEEZZNS1_14partition_implILS5_0ELb0ES3_jN6thrust23THRUST_200600_302600_NS6detail15normal_iteratorINSA_10device_ptrIyEEEEPS6_SG_NS0_5tupleIJSF_NSA_16discard_iteratorINSA_11use_defaultEEEEEENSH_IJSG_SG_EEES6_PlJ7is_evenIyEEEE10hipError_tPvRmT3_T4_T5_T6_T7_T9_mT8_P12ihipStream_tbDpT10_ENKUlT_T0_E_clISt17integral_constantIbLb0EES18_IbLb1EEEEDaS14_S15_EUlS14_E_NS1_11comp_targetILNS1_3genE5ELNS1_11target_archE942ELNS1_3gpuE9ELNS1_3repE0EEENS1_30default_config_static_selectorELNS0_4arch9wavefront6targetE1EEEvT1_
                                        ; -- End function
	.section	.AMDGPU.csdata,"",@progbits
; Kernel info:
; codeLenInByte = 0
; NumSgprs: 4
; NumVgprs: 0
; NumAgprs: 0
; TotalNumVgprs: 0
; ScratchSize: 0
; MemoryBound: 0
; FloatMode: 240
; IeeeMode: 1
; LDSByteSize: 0 bytes/workgroup (compile time only)
; SGPRBlocks: 0
; VGPRBlocks: 0
; NumSGPRsForWavesPerEU: 4
; NumVGPRsForWavesPerEU: 1
; AccumOffset: 4
; Occupancy: 8
; WaveLimiterHint : 0
; COMPUTE_PGM_RSRC2:SCRATCH_EN: 0
; COMPUTE_PGM_RSRC2:USER_SGPR: 6
; COMPUTE_PGM_RSRC2:TRAP_HANDLER: 0
; COMPUTE_PGM_RSRC2:TGID_X_EN: 1
; COMPUTE_PGM_RSRC2:TGID_Y_EN: 0
; COMPUTE_PGM_RSRC2:TGID_Z_EN: 0
; COMPUTE_PGM_RSRC2:TIDIG_COMP_CNT: 0
; COMPUTE_PGM_RSRC3_GFX90A:ACCUM_OFFSET: 0
; COMPUTE_PGM_RSRC3_GFX90A:TG_SPLIT: 0
	.section	.text._ZN7rocprim17ROCPRIM_400000_NS6detail17trampoline_kernelINS0_14default_configENS1_25partition_config_selectorILNS1_17partition_subalgoE0EyNS0_10empty_typeEbEEZZNS1_14partition_implILS5_0ELb0ES3_jN6thrust23THRUST_200600_302600_NS6detail15normal_iteratorINSA_10device_ptrIyEEEEPS6_SG_NS0_5tupleIJSF_NSA_16discard_iteratorINSA_11use_defaultEEEEEENSH_IJSG_SG_EEES6_PlJ7is_evenIyEEEE10hipError_tPvRmT3_T4_T5_T6_T7_T9_mT8_P12ihipStream_tbDpT10_ENKUlT_T0_E_clISt17integral_constantIbLb0EES18_IbLb1EEEEDaS14_S15_EUlS14_E_NS1_11comp_targetILNS1_3genE4ELNS1_11target_archE910ELNS1_3gpuE8ELNS1_3repE0EEENS1_30default_config_static_selectorELNS0_4arch9wavefront6targetE1EEEvT1_,"axG",@progbits,_ZN7rocprim17ROCPRIM_400000_NS6detail17trampoline_kernelINS0_14default_configENS1_25partition_config_selectorILNS1_17partition_subalgoE0EyNS0_10empty_typeEbEEZZNS1_14partition_implILS5_0ELb0ES3_jN6thrust23THRUST_200600_302600_NS6detail15normal_iteratorINSA_10device_ptrIyEEEEPS6_SG_NS0_5tupleIJSF_NSA_16discard_iteratorINSA_11use_defaultEEEEEENSH_IJSG_SG_EEES6_PlJ7is_evenIyEEEE10hipError_tPvRmT3_T4_T5_T6_T7_T9_mT8_P12ihipStream_tbDpT10_ENKUlT_T0_E_clISt17integral_constantIbLb0EES18_IbLb1EEEEDaS14_S15_EUlS14_E_NS1_11comp_targetILNS1_3genE4ELNS1_11target_archE910ELNS1_3gpuE8ELNS1_3repE0EEENS1_30default_config_static_selectorELNS0_4arch9wavefront6targetE1EEEvT1_,comdat
	.protected	_ZN7rocprim17ROCPRIM_400000_NS6detail17trampoline_kernelINS0_14default_configENS1_25partition_config_selectorILNS1_17partition_subalgoE0EyNS0_10empty_typeEbEEZZNS1_14partition_implILS5_0ELb0ES3_jN6thrust23THRUST_200600_302600_NS6detail15normal_iteratorINSA_10device_ptrIyEEEEPS6_SG_NS0_5tupleIJSF_NSA_16discard_iteratorINSA_11use_defaultEEEEEENSH_IJSG_SG_EEES6_PlJ7is_evenIyEEEE10hipError_tPvRmT3_T4_T5_T6_T7_T9_mT8_P12ihipStream_tbDpT10_ENKUlT_T0_E_clISt17integral_constantIbLb0EES18_IbLb1EEEEDaS14_S15_EUlS14_E_NS1_11comp_targetILNS1_3genE4ELNS1_11target_archE910ELNS1_3gpuE8ELNS1_3repE0EEENS1_30default_config_static_selectorELNS0_4arch9wavefront6targetE1EEEvT1_ ; -- Begin function _ZN7rocprim17ROCPRIM_400000_NS6detail17trampoline_kernelINS0_14default_configENS1_25partition_config_selectorILNS1_17partition_subalgoE0EyNS0_10empty_typeEbEEZZNS1_14partition_implILS5_0ELb0ES3_jN6thrust23THRUST_200600_302600_NS6detail15normal_iteratorINSA_10device_ptrIyEEEEPS6_SG_NS0_5tupleIJSF_NSA_16discard_iteratorINSA_11use_defaultEEEEEENSH_IJSG_SG_EEES6_PlJ7is_evenIyEEEE10hipError_tPvRmT3_T4_T5_T6_T7_T9_mT8_P12ihipStream_tbDpT10_ENKUlT_T0_E_clISt17integral_constantIbLb0EES18_IbLb1EEEEDaS14_S15_EUlS14_E_NS1_11comp_targetILNS1_3genE4ELNS1_11target_archE910ELNS1_3gpuE8ELNS1_3repE0EEENS1_30default_config_static_selectorELNS0_4arch9wavefront6targetE1EEEvT1_
	.globl	_ZN7rocprim17ROCPRIM_400000_NS6detail17trampoline_kernelINS0_14default_configENS1_25partition_config_selectorILNS1_17partition_subalgoE0EyNS0_10empty_typeEbEEZZNS1_14partition_implILS5_0ELb0ES3_jN6thrust23THRUST_200600_302600_NS6detail15normal_iteratorINSA_10device_ptrIyEEEEPS6_SG_NS0_5tupleIJSF_NSA_16discard_iteratorINSA_11use_defaultEEEEEENSH_IJSG_SG_EEES6_PlJ7is_evenIyEEEE10hipError_tPvRmT3_T4_T5_T6_T7_T9_mT8_P12ihipStream_tbDpT10_ENKUlT_T0_E_clISt17integral_constantIbLb0EES18_IbLb1EEEEDaS14_S15_EUlS14_E_NS1_11comp_targetILNS1_3genE4ELNS1_11target_archE910ELNS1_3gpuE8ELNS1_3repE0EEENS1_30default_config_static_selectorELNS0_4arch9wavefront6targetE1EEEvT1_
	.p2align	8
	.type	_ZN7rocprim17ROCPRIM_400000_NS6detail17trampoline_kernelINS0_14default_configENS1_25partition_config_selectorILNS1_17partition_subalgoE0EyNS0_10empty_typeEbEEZZNS1_14partition_implILS5_0ELb0ES3_jN6thrust23THRUST_200600_302600_NS6detail15normal_iteratorINSA_10device_ptrIyEEEEPS6_SG_NS0_5tupleIJSF_NSA_16discard_iteratorINSA_11use_defaultEEEEEENSH_IJSG_SG_EEES6_PlJ7is_evenIyEEEE10hipError_tPvRmT3_T4_T5_T6_T7_T9_mT8_P12ihipStream_tbDpT10_ENKUlT_T0_E_clISt17integral_constantIbLb0EES18_IbLb1EEEEDaS14_S15_EUlS14_E_NS1_11comp_targetILNS1_3genE4ELNS1_11target_archE910ELNS1_3gpuE8ELNS1_3repE0EEENS1_30default_config_static_selectorELNS0_4arch9wavefront6targetE1EEEvT1_,@function
_ZN7rocprim17ROCPRIM_400000_NS6detail17trampoline_kernelINS0_14default_configENS1_25partition_config_selectorILNS1_17partition_subalgoE0EyNS0_10empty_typeEbEEZZNS1_14partition_implILS5_0ELb0ES3_jN6thrust23THRUST_200600_302600_NS6detail15normal_iteratorINSA_10device_ptrIyEEEEPS6_SG_NS0_5tupleIJSF_NSA_16discard_iteratorINSA_11use_defaultEEEEEENSH_IJSG_SG_EEES6_PlJ7is_evenIyEEEE10hipError_tPvRmT3_T4_T5_T6_T7_T9_mT8_P12ihipStream_tbDpT10_ENKUlT_T0_E_clISt17integral_constantIbLb0EES18_IbLb1EEEEDaS14_S15_EUlS14_E_NS1_11comp_targetILNS1_3genE4ELNS1_11target_archE910ELNS1_3gpuE8ELNS1_3repE0EEENS1_30default_config_static_selectorELNS0_4arch9wavefront6targetE1EEEvT1_: ; @_ZN7rocprim17ROCPRIM_400000_NS6detail17trampoline_kernelINS0_14default_configENS1_25partition_config_selectorILNS1_17partition_subalgoE0EyNS0_10empty_typeEbEEZZNS1_14partition_implILS5_0ELb0ES3_jN6thrust23THRUST_200600_302600_NS6detail15normal_iteratorINSA_10device_ptrIyEEEEPS6_SG_NS0_5tupleIJSF_NSA_16discard_iteratorINSA_11use_defaultEEEEEENSH_IJSG_SG_EEES6_PlJ7is_evenIyEEEE10hipError_tPvRmT3_T4_T5_T6_T7_T9_mT8_P12ihipStream_tbDpT10_ENKUlT_T0_E_clISt17integral_constantIbLb0EES18_IbLb1EEEEDaS14_S15_EUlS14_E_NS1_11comp_targetILNS1_3genE4ELNS1_11target_archE910ELNS1_3gpuE8ELNS1_3repE0EEENS1_30default_config_static_selectorELNS0_4arch9wavefront6targetE1EEEvT1_
; %bb.0:
	s_load_dwordx2 s[24:25], s[4:5], 0x28
	s_load_dwordx4 s[20:23], s[4:5], 0x50
	s_load_dwordx2 s[2:3], s[4:5], 0x60
	s_load_dwordx2 s[26:27], s[4:5], 0x70
	v_cmp_eq_u32_e64 s[0:1], 0, v0
	s_and_saveexec_b64 s[6:7], s[0:1]
	s_cbranch_execz .LBB2357_4
; %bb.1:
	s_mov_b64 s[10:11], exec
	v_mbcnt_lo_u32_b32 v1, s10, 0
	v_mbcnt_hi_u32_b32 v1, s11, v1
	v_cmp_eq_u32_e32 vcc, 0, v1
                                        ; implicit-def: $vgpr2
	s_and_saveexec_b64 s[8:9], vcc
	s_cbranch_execz .LBB2357_3
; %bb.2:
	s_load_dwordx2 s[12:13], s[4:5], 0x80
	s_bcnt1_i32_b64 s10, s[10:11]
	v_mov_b32_e32 v2, 0
	v_mov_b32_e32 v3, s10
	s_waitcnt lgkmcnt(0)
	global_atomic_add v2, v2, v3, s[12:13] glc
.LBB2357_3:
	s_or_b64 exec, exec, s[8:9]
	s_waitcnt vmcnt(0)
	v_readfirstlane_b32 s8, v2
	v_add_u32_e32 v1, s8, v1
	v_mov_b32_e32 v2, 0
	ds_write_b32 v2, v1
.LBB2357_4:
	s_or_b64 exec, exec, s[6:7]
	v_mov_b32_e32 v3, 0
	s_load_dwordx4 s[8:11], s[4:5], 0x8
	s_load_dword s6, s[4:5], 0x78
	s_waitcnt lgkmcnt(0)
	s_barrier
	ds_read_b32 v1, v3
	s_waitcnt lgkmcnt(0)
	s_barrier
	global_load_dwordx2 v[10:11], v3, s[22:23]
	v_mov_b32_e32 v5, s3
	s_lshl_b64 s[4:5], s[10:11], 3
	s_movk_i32 s3, 0x300
	s_add_u32 s7, s8, s4
	v_mul_lo_u32 v2, v1, s3
	s_mul_i32 s3, s6, 0x300
	s_addc_u32 s8, s9, s5
	s_add_i32 s5, s3, s10
	s_add_i32 s4, s6, -1
	s_sub_i32 s33, s2, s5
	v_mov_b32_e32 v4, s2
	s_add_u32 s2, s10, s3
	v_readfirstlane_b32 s36, v1
	s_addc_u32 s3, s11, 0
	s_cmp_eq_u32 s36, s4
	s_cselect_b64 s[22:23], -1, 0
	s_cmp_lg_u32 s36, s4
	v_cmp_lt_u64_e32 vcc, s[2:3], v[4:5]
	s_cselect_b64 s[2:3], -1, 0
	v_lshlrev_b64 v[2:3], 3, v[2:3]
	s_or_b64 s[4:5], vcc, s[2:3]
	v_mov_b32_e32 v1, s8
	v_add_co_u32_e32 v13, vcc, s7, v2
	v_addc_co_u32_e32 v14, vcc, v1, v3, vcc
	s_mov_b64 s[2:3], -1
	s_and_b64 vcc, exec, s[4:5]
	v_lshlrev_b32_e32 v1, 3, v0
	v_lshrrev_b32_e32 v12, 2, v0
	s_cbranch_vccz .LBB2357_6
; %bb.5:
	v_add_co_u32_e32 v2, vcc, v13, v1
	v_addc_co_u32_e32 v3, vcc, 0, v14, vcc
	v_add_co_u32_e32 v4, vcc, 0x1000, v2
	v_addc_co_u32_e32 v5, vcc, 0, v3, vcc
	flat_load_dwordx2 v[6:7], v[2:3]
	flat_load_dwordx2 v[8:9], v[2:3] offset:1536
	flat_load_dwordx2 v[16:17], v[2:3] offset:3072
	;; [unrolled: 1-line block ×3, first 2 shown]
	v_add_u32_e32 v3, 0xc0, v0
	v_add_u32_e32 v4, 0x180, v0
	;; [unrolled: 1-line block ×3, first 2 shown]
	v_and_b32_e32 v2, 56, v12
	v_lshrrev_b32_e32 v3, 2, v3
	v_lshrrev_b32_e32 v4, 2, v4
	;; [unrolled: 1-line block ×3, first 2 shown]
	v_add_u32_e32 v2, v2, v1
	v_and_b32_e32 v3, 0x78, v3
	v_and_b32_e32 v4, 0xf8, v4
	v_and_b32_e32 v5, 0xf8, v5
	v_add_u32_e32 v3, v3, v1
	v_add_u32_e32 v4, v4, v1
	;; [unrolled: 1-line block ×3, first 2 shown]
	s_mov_b64 s[2:3], 0
	s_waitcnt vmcnt(0) lgkmcnt(0)
	ds_write_b64 v2, v[6:7]
	ds_write_b64 v3, v[8:9] offset:1536
	ds_write_b64 v4, v[16:17] offset:3072
	;; [unrolled: 1-line block ×3, first 2 shown]
	s_waitcnt lgkmcnt(0)
	s_barrier
.LBB2357_6:
	s_andn2_b64 vcc, exec, s[2:3]
	s_addk_i32 s33, 0x300
	s_cbranch_vccnz .LBB2357_16
; %bb.7:
	v_cmp_gt_u32_e32 vcc, s33, v0
                                        ; implicit-def: $vgpr2_vgpr3_vgpr4_vgpr5_vgpr6_vgpr7_vgpr8_vgpr9
	s_and_saveexec_b64 s[2:3], vcc
	s_cbranch_execz .LBB2357_9
; %bb.8:
	v_add_co_u32_e32 v2, vcc, v13, v1
	v_addc_co_u32_e32 v3, vcc, 0, v14, vcc
	flat_load_dwordx2 v[2:3], v[2:3]
.LBB2357_9:
	s_or_b64 exec, exec, s[2:3]
	v_add_u32_e32 v15, 0xc0, v0
	v_cmp_gt_u32_e32 vcc, s33, v15
	s_and_saveexec_b64 s[2:3], vcc
	s_cbranch_execz .LBB2357_11
; %bb.10:
	v_add_co_u32_e32 v4, vcc, v13, v1
	v_addc_co_u32_e32 v5, vcc, 0, v14, vcc
	flat_load_dwordx2 v[4:5], v[4:5] offset:1536
.LBB2357_11:
	s_or_b64 exec, exec, s[2:3]
	v_add_u32_e32 v16, 0x180, v0
	v_cmp_gt_u32_e32 vcc, s33, v16
	s_and_saveexec_b64 s[2:3], vcc
	s_cbranch_execz .LBB2357_13
; %bb.12:
	v_add_co_u32_e32 v6, vcc, v13, v1
	v_addc_co_u32_e32 v7, vcc, 0, v14, vcc
	flat_load_dwordx2 v[6:7], v[6:7] offset:3072
.LBB2357_13:
	s_or_b64 exec, exec, s[2:3]
	v_add_u32_e32 v17, 0x240, v0
	v_cmp_gt_u32_e32 vcc, s33, v17
	s_and_saveexec_b64 s[2:3], vcc
	s_cbranch_execz .LBB2357_15
; %bb.14:
	v_lshlrev_b32_e32 v8, 3, v17
	v_add_co_u32_e32 v8, vcc, v13, v8
	v_addc_co_u32_e32 v9, vcc, 0, v14, vcc
	flat_load_dwordx2 v[8:9], v[8:9]
.LBB2357_15:
	s_or_b64 exec, exec, s[2:3]
	v_and_b32_e32 v12, 56, v12
	v_add_u32_e32 v12, v12, v1
	s_waitcnt vmcnt(0) lgkmcnt(0)
	ds_write_b64 v12, v[2:3]
	v_lshrrev_b32_e32 v2, 2, v15
	v_and_b32_e32 v2, 0x78, v2
	v_add_u32_e32 v2, v2, v1
	ds_write_b64 v2, v[4:5] offset:1536
	v_lshrrev_b32_e32 v2, 2, v16
	v_and_b32_e32 v2, 0xf8, v2
	v_add_u32_e32 v2, v2, v1
	ds_write_b64 v2, v[6:7] offset:3072
	;; [unrolled: 4-line block ×3, first 2 shown]
	s_waitcnt lgkmcnt(0)
	s_barrier
.LBB2357_16:
	v_lshlrev_b32_e32 v22, 2, v0
	v_lshrrev_b32_e32 v2, 3, v0
	v_add_lshl_u32 v2, v2, v22, 3
	ds_read2_b64 v[6:9], v2 offset1:1
	ds_read2_b64 v[2:5], v2 offset0:2 offset1:3
	v_cndmask_b32_e64 v12, 0, 1, s[4:5]
	v_cmp_ne_u32_e64 s[2:3], 1, v12
	s_andn2_b64 vcc, exec, s[4:5]
	s_waitcnt lgkmcnt(1)
	v_xor_b32_e32 v15, -1, v6
	v_xor_b32_e32 v14, -1, v8
	s_waitcnt lgkmcnt(0)
	v_xor_b32_e32 v13, -1, v2
	v_xor_b32_e32 v12, -1, v4
	s_barrier
	s_cbranch_vccnz .LBB2357_18
; %bb.17:
	v_mov_b32_e32 v17, 1
	v_and_b32_e32 v16, 1, v15
	v_and_b32_sdwa v18, v14, v17 dst_sel:BYTE_1 dst_unused:UNUSED_PAD src0_sel:DWORD src1_sel:DWORD
	v_and_b32_e32 v19, 1, v13
	v_and_b32_sdwa v17, v12, v17 dst_sel:BYTE_1 dst_unused:UNUSED_PAD src0_sel:DWORD src1_sel:DWORD
	v_or_b32_e32 v16, v16, v18
	v_or_b32_sdwa v17, v19, v17 dst_sel:WORD_1 dst_unused:UNUSED_PAD src0_sel:DWORD src1_sel:DWORD
	v_or_b32_sdwa v23, v16, v17 dst_sel:DWORD dst_unused:UNUSED_PAD src0_sel:WORD_0 src1_sel:DWORD
	s_cbranch_execz .LBB2357_19
	s_branch .LBB2357_20
.LBB2357_18:
                                        ; implicit-def: $vgpr23
.LBB2357_19:
	v_cmp_gt_u32_e32 vcc, s33, v22
	v_cndmask_b32_e64 v16, 0, 1, vcc
	v_and_b32_e32 v15, v16, v15
	v_or_b32_e32 v16, 1, v22
	v_cmp_gt_u32_e32 vcc, s33, v16
	v_cndmask_b32_e64 v16, 0, 1, vcc
	v_and_b32_sdwa v14, v16, v14 dst_sel:BYTE_1 dst_unused:UNUSED_PAD src0_sel:DWORD src1_sel:DWORD
	v_or_b32_e32 v16, 2, v22
	v_cmp_gt_u32_e32 vcc, s33, v16
	v_cndmask_b32_e64 v16, 0, 1, vcc
	v_and_b32_e32 v13, v16, v13
	v_or_b32_e32 v16, 3, v22
	v_cmp_gt_u32_e32 vcc, s33, v16
	v_cndmask_b32_e64 v16, 0, 1, vcc
	v_and_b32_sdwa v12, v16, v12 dst_sel:BYTE_1 dst_unused:UNUSED_PAD src0_sel:DWORD src1_sel:DWORD
	v_or_b32_e32 v14, v15, v14
	v_or_b32_sdwa v12, v13, v12 dst_sel:WORD_1 dst_unused:UNUSED_PAD src0_sel:DWORD src1_sel:DWORD
	v_or_b32_sdwa v23, v14, v12 dst_sel:DWORD dst_unused:UNUSED_PAD src0_sel:WORD_0 src1_sel:DWORD
.LBB2357_20:
	v_bfe_u32 v25, v23, 16, 8
	v_lshrrev_b32_e32 v24, 24, v23
	v_add_u32_sdwa v12, v23, v23 dst_sel:DWORD dst_unused:UNUSED_PAD src0_sel:BYTE_1 src1_sel:BYTE_0
	v_add3_u32 v28, v12, v25, v24
	v_mbcnt_lo_u32_b32 v12, -1, 0
	v_mbcnt_hi_u32_b32 v26, -1, v12
	v_and_b32_e32 v12, 15, v26
	v_cmp_eq_u32_e64 s[16:17], 0, v12
	v_cmp_lt_u32_e64 s[14:15], 1, v12
	v_cmp_lt_u32_e64 s[12:13], 3, v12
	;; [unrolled: 1-line block ×3, first 2 shown]
	v_and_b32_e32 v12, 16, v26
	v_cmp_eq_u32_e64 s[6:7], 0, v12
	v_and_b32_e32 v12, 0xc0, v0
	v_min_u32_e32 v12, 0x80, v12
	v_or_b32_e32 v12, 63, v12
	s_cmp_lg_u32 s36, 0
	v_cmp_lt_u32_e64 s[4:5], 31, v26
	v_lshrrev_b32_e32 v27, 6, v0
	v_cmp_eq_u32_e64 s[8:9], v12, v0
	s_cbranch_scc0 .LBB2357_47
; %bb.21:
	v_mov_b32_dpp v12, v28 row_shr:1 row_mask:0xf bank_mask:0xf
	v_cndmask_b32_e64 v12, v12, 0, s[16:17]
	v_add_u32_e32 v12, v12, v28
	s_nop 1
	v_mov_b32_dpp v13, v12 row_shr:2 row_mask:0xf bank_mask:0xf
	v_cndmask_b32_e64 v13, 0, v13, s[14:15]
	v_add_u32_e32 v12, v12, v13
	s_nop 1
	;; [unrolled: 4-line block ×4, first 2 shown]
	v_mov_b32_dpp v13, v12 row_bcast:15 row_mask:0xf bank_mask:0xf
	v_cndmask_b32_e64 v13, v13, 0, s[6:7]
	v_add_u32_e32 v12, v12, v13
	s_nop 1
	v_mov_b32_dpp v13, v12 row_bcast:31 row_mask:0xf bank_mask:0xf
	v_cndmask_b32_e64 v13, 0, v13, s[4:5]
	v_add_u32_e32 v12, v12, v13
	s_and_saveexec_b64 s[18:19], s[8:9]
	s_cbranch_execz .LBB2357_23
; %bb.22:
	v_lshlrev_b32_e32 v13, 2, v27
	ds_write_b32 v13, v12
.LBB2357_23:
	s_or_b64 exec, exec, s[18:19]
	v_cmp_gt_u32_e32 vcc, 3, v0
	s_waitcnt lgkmcnt(0)
	s_barrier
	s_and_saveexec_b64 s[18:19], vcc
	s_cbranch_execz .LBB2357_25
; %bb.24:
	ds_read_b32 v13, v22
	v_and_b32_e32 v14, 3, v26
	v_cmp_ne_u32_e32 vcc, 0, v14
	s_waitcnt lgkmcnt(0)
	v_mov_b32_dpp v15, v13 row_shr:1 row_mask:0xf bank_mask:0xf
	v_cndmask_b32_e32 v15, 0, v15, vcc
	v_add_u32_e32 v13, v15, v13
	v_cmp_lt_u32_e32 vcc, 1, v14
	s_nop 0
	v_mov_b32_dpp v15, v13 row_shr:2 row_mask:0xf bank_mask:0xf
	v_cndmask_b32_e32 v14, 0, v15, vcc
	v_add_u32_e32 v13, v13, v14
	ds_write_b32 v22, v13
.LBB2357_25:
	s_or_b64 exec, exec, s[18:19]
	v_cmp_gt_u32_e32 vcc, 64, v0
	v_cmp_lt_u32_e64 s[18:19], 63, v0
	s_waitcnt lgkmcnt(0)
	s_barrier
	s_waitcnt lgkmcnt(0)
                                        ; implicit-def: $vgpr29
	s_and_saveexec_b64 s[28:29], s[18:19]
	s_cbranch_execz .LBB2357_27
; %bb.26:
	v_lshl_add_u32 v13, v27, 2, -4
	ds_read_b32 v29, v13
	s_waitcnt lgkmcnt(0)
	v_add_u32_e32 v12, v29, v12
.LBB2357_27:
	s_or_b64 exec, exec, s[28:29]
	v_add_u32_e32 v13, -1, v26
	v_and_b32_e32 v14, 64, v26
	v_cmp_lt_i32_e64 s[18:19], v13, v14
	v_cndmask_b32_e64 v13, v13, v26, s[18:19]
	v_lshlrev_b32_e32 v13, 2, v13
	ds_bpermute_b32 v30, v13, v12
	v_cmp_eq_u32_e64 s[18:19], 0, v26
	s_and_saveexec_b64 s[28:29], vcc
	s_cbranch_execz .LBB2357_46
; %bb.28:
	v_mov_b32_e32 v19, 0
	ds_read_b32 v12, v19 offset:8
	s_and_saveexec_b64 s[30:31], s[18:19]
	s_cbranch_execz .LBB2357_30
; %bb.29:
	s_add_i32 s34, s36, 64
	s_mov_b32 s35, 0
	s_lshl_b64 s[34:35], s[34:35], 3
	s_add_u32 s34, s26, s34
	v_mov_b32_e32 v13, 1
	s_addc_u32 s35, s27, s35
	s_waitcnt lgkmcnt(0)
	global_store_dwordx2 v19, v[12:13], s[34:35]
.LBB2357_30:
	s_or_b64 exec, exec, s[30:31]
	v_xad_u32 v14, v26, -1, s36
	v_add_u32_e32 v18, 64, v14
	v_lshlrev_b64 v[16:17], 3, v[18:19]
	v_mov_b32_e32 v13, s27
	v_add_co_u32_e32 v20, vcc, s26, v16
	v_addc_co_u32_e32 v21, vcc, v13, v17, vcc
	global_load_dwordx2 v[16:17], v[20:21], off glc
	s_waitcnt vmcnt(0)
	v_cmp_eq_u16_sdwa s[34:35], v17, v19 src0_sel:BYTE_0 src1_sel:DWORD
	s_and_saveexec_b64 s[30:31], s[34:35]
	s_cbranch_execz .LBB2357_34
; %bb.31:
	s_mov_b64 s[34:35], 0
	v_mov_b32_e32 v13, 0
.LBB2357_32:                            ; =>This Inner Loop Header: Depth=1
	global_load_dwordx2 v[16:17], v[20:21], off glc
	s_waitcnt vmcnt(0)
	v_cmp_ne_u16_sdwa s[38:39], v17, v13 src0_sel:BYTE_0 src1_sel:DWORD
	s_or_b64 s[34:35], s[38:39], s[34:35]
	s_andn2_b64 exec, exec, s[34:35]
	s_cbranch_execnz .LBB2357_32
; %bb.33:
	s_or_b64 exec, exec, s[34:35]
.LBB2357_34:
	s_or_b64 exec, exec, s[30:31]
	v_and_b32_e32 v32, 63, v26
	v_mov_b32_e32 v31, 2
	v_cmp_ne_u32_e32 vcc, 63, v32
	v_cmp_eq_u16_sdwa s[30:31], v17, v31 src0_sel:BYTE_0 src1_sel:DWORD
	v_lshlrev_b64 v[18:19], v26, -1
	v_addc_co_u32_e32 v20, vcc, 0, v26, vcc
	v_and_b32_e32 v13, s31, v19
	v_lshlrev_b32_e32 v33, 2, v20
	v_or_b32_e32 v13, 0x80000000, v13
	ds_bpermute_b32 v20, v33, v16
	v_and_b32_e32 v15, s30, v18
	v_ffbl_b32_e32 v13, v13
	v_add_u32_e32 v13, 32, v13
	v_ffbl_b32_e32 v15, v15
	v_min_u32_e32 v13, v15, v13
	v_cmp_lt_u32_e32 vcc, v32, v13
	s_waitcnt lgkmcnt(0)
	v_cndmask_b32_e32 v15, 0, v20, vcc
	v_cmp_gt_u32_e32 vcc, 62, v32
	v_add_u32_e32 v15, v15, v16
	v_cndmask_b32_e64 v16, 0, 1, vcc
	v_lshlrev_b32_e32 v16, 1, v16
	v_add_lshl_u32 v34, v16, v26, 2
	ds_bpermute_b32 v16, v34, v15
	v_add_u32_e32 v35, 2, v32
	v_cmp_le_u32_e32 vcc, v35, v13
	v_add_u32_e32 v37, 4, v32
	v_add_u32_e32 v39, 8, v32
	s_waitcnt lgkmcnt(0)
	v_cndmask_b32_e32 v16, 0, v16, vcc
	v_cmp_gt_u32_e32 vcc, 60, v32
	v_add_u32_e32 v15, v15, v16
	v_cndmask_b32_e64 v16, 0, 1, vcc
	v_lshlrev_b32_e32 v16, 2, v16
	v_add_lshl_u32 v36, v16, v26, 2
	ds_bpermute_b32 v16, v36, v15
	v_cmp_le_u32_e32 vcc, v37, v13
	v_add_u32_e32 v41, 16, v32
	v_add_u32_e32 v43, 32, v32
	s_waitcnt lgkmcnt(0)
	v_cndmask_b32_e32 v16, 0, v16, vcc
	v_cmp_gt_u32_e32 vcc, 56, v32
	v_add_u32_e32 v15, v15, v16
	v_cndmask_b32_e64 v16, 0, 1, vcc
	v_lshlrev_b32_e32 v16, 3, v16
	v_add_lshl_u32 v38, v16, v26, 2
	ds_bpermute_b32 v16, v38, v15
	v_cmp_le_u32_e32 vcc, v39, v13
	s_waitcnt lgkmcnt(0)
	v_cndmask_b32_e32 v16, 0, v16, vcc
	v_cmp_gt_u32_e32 vcc, 48, v32
	v_add_u32_e32 v15, v15, v16
	v_cndmask_b32_e64 v16, 0, 1, vcc
	v_lshlrev_b32_e32 v16, 4, v16
	v_add_lshl_u32 v40, v16, v26, 2
	ds_bpermute_b32 v16, v40, v15
	v_cmp_le_u32_e32 vcc, v41, v13
	;; [unrolled: 9-line block ×3, first 2 shown]
	s_waitcnt lgkmcnt(0)
	v_cndmask_b32_e32 v13, 0, v16, vcc
	v_add_u32_e32 v16, v15, v13
	v_mov_b32_e32 v15, 0
	s_branch .LBB2357_36
.LBB2357_35:                            ;   in Loop: Header=BB2357_36 Depth=1
	s_or_b64 exec, exec, s[30:31]
	v_cmp_eq_u16_sdwa s[30:31], v17, v31 src0_sel:BYTE_0 src1_sel:DWORD
	v_and_b32_e32 v20, s31, v19
	v_or_b32_e32 v20, 0x80000000, v20
	ds_bpermute_b32 v44, v33, v16
	v_and_b32_e32 v21, s30, v18
	v_ffbl_b32_e32 v20, v20
	v_add_u32_e32 v20, 32, v20
	v_ffbl_b32_e32 v21, v21
	v_min_u32_e32 v20, v21, v20
	v_cmp_lt_u32_e32 vcc, v32, v20
	s_waitcnt lgkmcnt(0)
	v_cndmask_b32_e32 v21, 0, v44, vcc
	v_add_u32_e32 v16, v21, v16
	ds_bpermute_b32 v21, v34, v16
	v_cmp_le_u32_e32 vcc, v35, v20
	v_subrev_u32_e32 v14, 64, v14
	s_waitcnt lgkmcnt(0)
	v_cndmask_b32_e32 v21, 0, v21, vcc
	v_add_u32_e32 v16, v16, v21
	ds_bpermute_b32 v21, v36, v16
	v_cmp_le_u32_e32 vcc, v37, v20
	s_waitcnt lgkmcnt(0)
	v_cndmask_b32_e32 v21, 0, v21, vcc
	v_add_u32_e32 v16, v16, v21
	ds_bpermute_b32 v21, v38, v16
	v_cmp_le_u32_e32 vcc, v39, v20
	s_waitcnt lgkmcnt(0)
	v_cndmask_b32_e32 v21, 0, v21, vcc
	v_add_u32_e32 v16, v16, v21
	ds_bpermute_b32 v21, v40, v16
	v_cmp_le_u32_e32 vcc, v41, v20
	s_waitcnt lgkmcnt(0)
	v_cndmask_b32_e32 v21, 0, v21, vcc
	v_add_u32_e32 v16, v16, v21
	ds_bpermute_b32 v21, v42, v16
	v_cmp_le_u32_e32 vcc, v43, v20
	s_waitcnt lgkmcnt(0)
	v_cndmask_b32_e32 v20, 0, v21, vcc
	v_add3_u32 v16, v20, v13, v16
.LBB2357_36:                            ; =>This Loop Header: Depth=1
                                        ;     Child Loop BB2357_39 Depth 2
	v_cmp_ne_u16_sdwa s[30:31], v17, v31 src0_sel:BYTE_0 src1_sel:DWORD
	v_cndmask_b32_e64 v13, 0, 1, s[30:31]
	;;#ASMSTART
	;;#ASMEND
	v_cmp_ne_u32_e32 vcc, 0, v13
	s_cmp_lg_u64 vcc, exec
	v_mov_b32_e32 v13, v16
	s_cbranch_scc1 .LBB2357_41
; %bb.37:                               ;   in Loop: Header=BB2357_36 Depth=1
	v_lshlrev_b64 v[16:17], 3, v[14:15]
	v_mov_b32_e32 v21, s27
	v_add_co_u32_e32 v20, vcc, s26, v16
	v_addc_co_u32_e32 v21, vcc, v21, v17, vcc
	global_load_dwordx2 v[16:17], v[20:21], off glc
	s_waitcnt vmcnt(0)
	v_cmp_eq_u16_sdwa s[34:35], v17, v15 src0_sel:BYTE_0 src1_sel:DWORD
	s_and_saveexec_b64 s[30:31], s[34:35]
	s_cbranch_execz .LBB2357_35
; %bb.38:                               ;   in Loop: Header=BB2357_36 Depth=1
	s_mov_b64 s[34:35], 0
.LBB2357_39:                            ;   Parent Loop BB2357_36 Depth=1
                                        ; =>  This Inner Loop Header: Depth=2
	global_load_dwordx2 v[16:17], v[20:21], off glc
	s_waitcnt vmcnt(0)
	v_cmp_ne_u16_sdwa s[38:39], v17, v15 src0_sel:BYTE_0 src1_sel:DWORD
	s_or_b64 s[34:35], s[38:39], s[34:35]
	s_andn2_b64 exec, exec, s[34:35]
	s_cbranch_execnz .LBB2357_39
; %bb.40:                               ;   in Loop: Header=BB2357_36 Depth=1
	s_or_b64 exec, exec, s[34:35]
	s_branch .LBB2357_35
.LBB2357_41:                            ;   in Loop: Header=BB2357_36 Depth=1
                                        ; implicit-def: $vgpr16
                                        ; implicit-def: $vgpr17
	s_cbranch_execz .LBB2357_36
; %bb.42:
	s_and_saveexec_b64 s[30:31], s[18:19]
	s_cbranch_execz .LBB2357_44
; %bb.43:
	s_add_i32 s34, s36, 64
	s_mov_b32 s35, 0
	s_lshl_b64 s[34:35], s[34:35], 3
	s_add_u32 s34, s26, s34
	v_add_u32_e32 v14, v13, v12
	v_mov_b32_e32 v15, 2
	s_addc_u32 s35, s27, s35
	v_mov_b32_e32 v16, 0
	global_store_dwordx2 v16, v[14:15], s[34:35]
	ds_write_b64 v16, v[12:13] offset:6336
.LBB2357_44:
	s_or_b64 exec, exec, s[30:31]
	s_and_b64 exec, exec, s[0:1]
	s_cbranch_execz .LBB2357_46
; %bb.45:
	v_mov_b32_e32 v12, 0
	ds_write_b32 v12, v13 offset:8
.LBB2357_46:
	s_or_b64 exec, exec, s[28:29]
	v_mov_b32_e32 v12, 0
	s_waitcnt lgkmcnt(0)
	s_barrier
	ds_read_b32 v13, v12 offset:8
	v_cndmask_b32_e64 v14, v30, v29, s[18:19]
	v_cndmask_b32_e64 v14, v14, 0, s[0:1]
	s_waitcnt lgkmcnt(0)
	s_barrier
	v_add_u32_e32 v17, v13, v14
	ds_read_b64 v[12:13], v12 offset:6336
	v_add_u32_sdwa v18, v17, v23 dst_sel:DWORD dst_unused:UNUSED_PAD src0_sel:DWORD src1_sel:BYTE_0
	v_add_u32_sdwa v16, v18, v23 dst_sel:DWORD dst_unused:UNUSED_PAD src0_sel:DWORD src1_sel:BYTE_1
	v_add_u32_e32 v15, v16, v25
	s_waitcnt lgkmcnt(0)
	v_mov_b32_e32 v14, v13
	s_branch .LBB2357_57
.LBB2357_47:
                                        ; implicit-def: $vgpr14
                                        ; implicit-def: $vgpr12
                                        ; implicit-def: $vgpr15
                                        ; implicit-def: $vgpr16
                                        ; implicit-def: $vgpr18
                                        ; implicit-def: $vgpr17
	s_cbranch_execz .LBB2357_57
; %bb.48:
	s_nop 0
	v_mov_b32_dpp v12, v28 row_shr:1 row_mask:0xf bank_mask:0xf
	v_cndmask_b32_e64 v12, v12, 0, s[16:17]
	v_add_u32_e32 v12, v12, v28
	s_nop 1
	v_mov_b32_dpp v13, v12 row_shr:2 row_mask:0xf bank_mask:0xf
	v_cndmask_b32_e64 v13, 0, v13, s[14:15]
	v_add_u32_e32 v12, v12, v13
	;; [unrolled: 4-line block ×4, first 2 shown]
	s_nop 1
	v_mov_b32_dpp v13, v12 row_bcast:15 row_mask:0xf bank_mask:0xf
	v_cndmask_b32_e64 v13, v13, 0, s[6:7]
	v_add_u32_e32 v12, v12, v13
	s_nop 1
	v_mov_b32_dpp v13, v12 row_bcast:31 row_mask:0xf bank_mask:0xf
	v_cndmask_b32_e64 v13, 0, v13, s[4:5]
	v_add_u32_e32 v12, v12, v13
	s_and_saveexec_b64 s[4:5], s[8:9]
	s_cbranch_execz .LBB2357_50
; %bb.49:
	v_lshlrev_b32_e32 v13, 2, v27
	ds_write_b32 v13, v12
.LBB2357_50:
	s_or_b64 exec, exec, s[4:5]
	v_cmp_gt_u32_e32 vcc, 3, v0
	s_waitcnt lgkmcnt(0)
	s_barrier
	s_and_saveexec_b64 s[4:5], vcc
	s_cbranch_execz .LBB2357_52
; %bb.51:
	ds_read_b32 v13, v22
	v_and_b32_e32 v14, 3, v26
	v_cmp_ne_u32_e32 vcc, 0, v14
	s_waitcnt lgkmcnt(0)
	v_mov_b32_dpp v15, v13 row_shr:1 row_mask:0xf bank_mask:0xf
	v_cndmask_b32_e32 v15, 0, v15, vcc
	v_add_u32_e32 v13, v15, v13
	v_cmp_lt_u32_e32 vcc, 1, v14
	s_nop 0
	v_mov_b32_dpp v15, v13 row_shr:2 row_mask:0xf bank_mask:0xf
	v_cndmask_b32_e32 v14, 0, v15, vcc
	v_add_u32_e32 v13, v13, v14
	ds_write_b32 v22, v13
.LBB2357_52:
	s_or_b64 exec, exec, s[4:5]
	v_cmp_lt_u32_e32 vcc, 63, v0
	v_mov_b32_e32 v13, 0
	v_mov_b32_e32 v14, 0
	s_waitcnt lgkmcnt(0)
	s_barrier
	s_and_saveexec_b64 s[4:5], vcc
	s_cbranch_execz .LBB2357_54
; %bb.53:
	v_lshl_add_u32 v14, v27, 2, -4
	ds_read_b32 v14, v14
.LBB2357_54:
	s_or_b64 exec, exec, s[4:5]
	v_add_u32_e32 v15, -1, v26
	v_and_b32_e32 v16, 64, v26
	v_cmp_lt_i32_e32 vcc, v15, v16
	v_cndmask_b32_e32 v15, v15, v26, vcc
	s_waitcnt lgkmcnt(0)
	v_add_u32_e32 v12, v14, v12
	v_lshlrev_b32_e32 v15, 2, v15
	ds_bpermute_b32 v15, v15, v12
	ds_read_b32 v12, v13 offset:8
	s_and_saveexec_b64 s[4:5], s[0:1]
	s_cbranch_execz .LBB2357_56
; %bb.55:
	v_mov_b32_e32 v16, 0
	v_mov_b32_e32 v13, 2
	s_waitcnt lgkmcnt(0)
	global_store_dwordx2 v16, v[12:13], s[26:27] offset:512
.LBB2357_56:
	s_or_b64 exec, exec, s[4:5]
	v_cmp_eq_u32_e32 vcc, 0, v26
	s_waitcnt lgkmcnt(1)
	v_cndmask_b32_e32 v13, v15, v14, vcc
	v_cndmask_b32_e64 v17, v13, 0, s[0:1]
	v_add_u32_sdwa v18, v17, v23 dst_sel:DWORD dst_unused:UNUSED_PAD src0_sel:DWORD src1_sel:BYTE_0
	v_add_u32_sdwa v16, v18, v23 dst_sel:DWORD dst_unused:UNUSED_PAD src0_sel:DWORD src1_sel:BYTE_1
	v_mov_b32_e32 v14, 0
	v_add_u32_e32 v15, v16, v25
	s_waitcnt lgkmcnt(0)
	s_barrier
.LBB2357_57:
	v_add_u32_e32 v19, v12, v22
	v_sub_u32_e32 v17, v17, v14
	v_and_b32_e32 v21, 1, v23
	v_sub_u32_e32 v20, v19, v17
	v_cmp_eq_u32_e32 vcc, 1, v21
	v_cndmask_b32_e32 v17, v20, v17, vcc
	v_lshlrev_b32_e32 v17, 3, v17
	v_lshrrev_b32_e32 v13, 8, v23
	ds_write_b64 v17, v[6:7]
	v_sub_u32_e32 v6, v18, v14
	v_sub_u32_e32 v7, v19, v6
	v_and_b32_e32 v13, 1, v13
	v_add_u32_e32 v7, 1, v7
	v_cmp_eq_u32_e32 vcc, 1, v13
	v_cndmask_b32_e32 v6, v7, v6, vcc
	v_lshlrev_b32_e32 v6, 3, v6
	ds_write_b64 v6, v[8:9]
	v_sub_u32_e32 v6, v16, v14
	v_mov_b32_e32 v8, 1
	v_sub_u32_e32 v7, v19, v6
	v_and_b32_sdwa v8, v8, v23 dst_sel:DWORD dst_unused:UNUSED_PAD src0_sel:DWORD src1_sel:WORD_1
	v_add_u32_e32 v7, 2, v7
	v_cmp_eq_u32_e32 vcc, 1, v8
	v_cndmask_b32_e32 v6, v7, v6, vcc
	v_lshlrev_b32_e32 v6, 3, v6
	ds_write_b64 v6, v[2:3]
	v_sub_u32_e32 v2, v15, v14
	v_sub_u32_e32 v3, v19, v2
	v_and_b32_e32 v6, 1, v24
	v_add_u32_e32 v3, 3, v3
	v_cmp_eq_u32_e32 vcc, 1, v6
	v_cndmask_b32_e32 v2, v3, v2, vcc
	v_lshlrev_b32_e32 v2, 3, v2
	ds_write_b64 v2, v[4:5]
	s_waitcnt lgkmcnt(0)
	s_barrier
	ds_read2st64_b64 v[6:9], v1 offset1:3
	ds_read2st64_b64 v[2:5], v1 offset0:6 offset1:9
	v_add_u32_e32 v21, 0xc0, v0
	v_add_u32_e32 v20, 0x180, v0
	;; [unrolled: 1-line block ×3, first 2 shown]
	s_and_b64 vcc, exec, s[2:3]
	s_waitcnt vmcnt(0)
	v_lshlrev_b64 v[18:19], 3, v[10:11]
	s_cbranch_vccnz .LBB2357_63
; %bb.58:
	v_mov_b32_e32 v15, 0
	v_mov_b32_e32 v16, s25
	v_add_co_u32_e32 v22, vcc, s24, v18
	v_addc_co_u32_e32 v23, vcc, v16, v19, vcc
	v_lshlrev_b64 v[16:17], 3, v[14:15]
	v_add_co_u32_e32 v16, vcc, v22, v16
	v_addc_co_u32_e32 v17, vcc, v23, v17, vcc
	v_cmp_lt_u32_e32 vcc, v0, v12
	s_and_saveexec_b64 s[2:3], vcc
	s_cbranch_execnz .LBB2357_74
; %bb.59:
	s_or_b64 exec, exec, s[2:3]
	v_cmp_lt_u32_e32 vcc, v21, v12
	s_and_saveexec_b64 s[2:3], vcc
	s_cbranch_execnz .LBB2357_75
.LBB2357_60:
	s_or_b64 exec, exec, s[2:3]
	v_cmp_lt_u32_e32 vcc, v20, v12
	s_and_saveexec_b64 s[2:3], vcc
	s_cbranch_execz .LBB2357_62
.LBB2357_61:
	v_readfirstlane_b32 s4, v16
	v_readfirstlane_b32 s5, v17
	s_waitcnt lgkmcnt(0)
	s_nop 3
	global_store_dwordx2 v1, v[2:3], s[4:5] offset:3072
.LBB2357_62:
	s_or_b64 exec, exec, s[2:3]
	v_cmp_lt_u32_e64 s[2:3], v13, v12
	s_branch .LBB2357_69
.LBB2357_63:
	s_mov_b64 s[2:3], 0
                                        ; implicit-def: $vgpr16_vgpr17
	s_cbranch_execz .LBB2357_69
; %bb.64:
	v_mov_b32_e32 v15, 0
	v_mov_b32_e32 v16, s25
	v_add_co_u32_e32 v18, vcc, s24, v18
	v_addc_co_u32_e32 v19, vcc, v16, v19, vcc
	v_lshlrev_b64 v[16:17], 3, v[14:15]
	v_add_co_u32_e32 v16, vcc, v18, v16
	v_min_u32_e32 v22, s33, v12
	v_addc_co_u32_e32 v17, vcc, v19, v17, vcc
	v_cmp_gt_u32_e32 vcc, v22, v0
	s_and_saveexec_b64 s[2:3], vcc
	s_cbranch_execnz .LBB2357_76
; %bb.65:
	s_or_b64 exec, exec, s[2:3]
	v_cmp_lt_u32_e32 vcc, v21, v22
	s_and_saveexec_b64 s[2:3], vcc
	s_cbranch_execnz .LBB2357_77
.LBB2357_66:
	s_or_b64 exec, exec, s[2:3]
	v_cmp_lt_u32_e32 vcc, v20, v22
	s_and_saveexec_b64 s[2:3], vcc
	s_cbranch_execz .LBB2357_68
.LBB2357_67:
	v_readfirstlane_b32 s4, v16
	v_readfirstlane_b32 s5, v17
	s_waitcnt lgkmcnt(0)
	s_nop 3
	global_store_dwordx2 v1, v[2:3], s[4:5] offset:3072
.LBB2357_68:
	s_or_b64 exec, exec, s[2:3]
	v_cmp_lt_u32_e64 s[2:3], v13, v22
.LBB2357_69:
	s_and_saveexec_b64 s[4:5], s[2:3]
	s_cbranch_execnz .LBB2357_72
; %bb.70:
	s_or_b64 exec, exec, s[4:5]
	s_and_b64 s[0:1], s[0:1], s[22:23]
	s_and_saveexec_b64 s[2:3], s[0:1]
	s_cbranch_execnz .LBB2357_73
.LBB2357_71:
	s_endpgm
.LBB2357_72:
	v_lshlrev_b32_e32 v0, 3, v13
	v_readfirstlane_b32 s2, v16
	v_readfirstlane_b32 s3, v17
	s_waitcnt lgkmcnt(0)
	s_nop 3
	global_store_dwordx2 v0, v[4:5], s[2:3]
	s_or_b64 exec, exec, s[4:5]
	s_and_b64 s[0:1], s[0:1], s[22:23]
	s_and_saveexec_b64 s[2:3], s[0:1]
	s_cbranch_execz .LBB2357_71
.LBB2357_73:
	v_add_co_u32_e32 v0, vcc, v10, v12
	v_addc_co_u32_e32 v1, vcc, 0, v11, vcc
	v_add_co_u32_e32 v0, vcc, v0, v14
	s_waitcnt lgkmcnt(0)
	v_mov_b32_e32 v2, 0
	v_addc_co_u32_e32 v1, vcc, 0, v1, vcc
	global_store_dwordx2 v2, v[0:1], s[20:21]
	s_endpgm
.LBB2357_74:
	v_readfirstlane_b32 s4, v16
	v_readfirstlane_b32 s5, v17
	s_waitcnt lgkmcnt(1)
	s_nop 3
	global_store_dwordx2 v1, v[6:7], s[4:5]
	s_or_b64 exec, exec, s[2:3]
	v_cmp_lt_u32_e32 vcc, v21, v12
	s_and_saveexec_b64 s[2:3], vcc
	s_cbranch_execz .LBB2357_60
.LBB2357_75:
	v_readfirstlane_b32 s4, v16
	v_readfirstlane_b32 s5, v17
	s_waitcnt lgkmcnt(1)
	s_nop 3
	global_store_dwordx2 v1, v[8:9], s[4:5] offset:1536
	s_or_b64 exec, exec, s[2:3]
	v_cmp_lt_u32_e32 vcc, v20, v12
	s_and_saveexec_b64 s[2:3], vcc
	s_cbranch_execnz .LBB2357_61
	s_branch .LBB2357_62
.LBB2357_76:
	v_readfirstlane_b32 s4, v16
	v_readfirstlane_b32 s5, v17
	s_waitcnt lgkmcnt(1)
	s_nop 3
	global_store_dwordx2 v1, v[6:7], s[4:5]
	s_or_b64 exec, exec, s[2:3]
	v_cmp_lt_u32_e32 vcc, v21, v22
	s_and_saveexec_b64 s[2:3], vcc
	s_cbranch_execz .LBB2357_66
.LBB2357_77:
	v_readfirstlane_b32 s4, v16
	v_readfirstlane_b32 s5, v17
	s_waitcnt lgkmcnt(1)
	s_nop 3
	global_store_dwordx2 v1, v[8:9], s[4:5] offset:1536
	s_or_b64 exec, exec, s[2:3]
	v_cmp_lt_u32_e32 vcc, v20, v22
	s_and_saveexec_b64 s[2:3], vcc
	s_cbranch_execnz .LBB2357_67
	s_branch .LBB2357_68
	.section	.rodata,"a",@progbits
	.p2align	6, 0x0
	.amdhsa_kernel _ZN7rocprim17ROCPRIM_400000_NS6detail17trampoline_kernelINS0_14default_configENS1_25partition_config_selectorILNS1_17partition_subalgoE0EyNS0_10empty_typeEbEEZZNS1_14partition_implILS5_0ELb0ES3_jN6thrust23THRUST_200600_302600_NS6detail15normal_iteratorINSA_10device_ptrIyEEEEPS6_SG_NS0_5tupleIJSF_NSA_16discard_iteratorINSA_11use_defaultEEEEEENSH_IJSG_SG_EEES6_PlJ7is_evenIyEEEE10hipError_tPvRmT3_T4_T5_T6_T7_T9_mT8_P12ihipStream_tbDpT10_ENKUlT_T0_E_clISt17integral_constantIbLb0EES18_IbLb1EEEEDaS14_S15_EUlS14_E_NS1_11comp_targetILNS1_3genE4ELNS1_11target_archE910ELNS1_3gpuE8ELNS1_3repE0EEENS1_30default_config_static_selectorELNS0_4arch9wavefront6targetE1EEEvT1_
		.amdhsa_group_segment_fixed_size 6344
		.amdhsa_private_segment_fixed_size 0
		.amdhsa_kernarg_size 144
		.amdhsa_user_sgpr_count 6
		.amdhsa_user_sgpr_private_segment_buffer 1
		.amdhsa_user_sgpr_dispatch_ptr 0
		.amdhsa_user_sgpr_queue_ptr 0
		.amdhsa_user_sgpr_kernarg_segment_ptr 1
		.amdhsa_user_sgpr_dispatch_id 0
		.amdhsa_user_sgpr_flat_scratch_init 0
		.amdhsa_user_sgpr_kernarg_preload_length 0
		.amdhsa_user_sgpr_kernarg_preload_offset 0
		.amdhsa_user_sgpr_private_segment_size 0
		.amdhsa_uses_dynamic_stack 0
		.amdhsa_system_sgpr_private_segment_wavefront_offset 0
		.amdhsa_system_sgpr_workgroup_id_x 1
		.amdhsa_system_sgpr_workgroup_id_y 0
		.amdhsa_system_sgpr_workgroup_id_z 0
		.amdhsa_system_sgpr_workgroup_info 0
		.amdhsa_system_vgpr_workitem_id 0
		.amdhsa_next_free_vgpr 45
		.amdhsa_next_free_sgpr 40
		.amdhsa_accum_offset 48
		.amdhsa_reserve_vcc 1
		.amdhsa_reserve_flat_scratch 0
		.amdhsa_float_round_mode_32 0
		.amdhsa_float_round_mode_16_64 0
		.amdhsa_float_denorm_mode_32 3
		.amdhsa_float_denorm_mode_16_64 3
		.amdhsa_dx10_clamp 1
		.amdhsa_ieee_mode 1
		.amdhsa_fp16_overflow 0
		.amdhsa_tg_split 0
		.amdhsa_exception_fp_ieee_invalid_op 0
		.amdhsa_exception_fp_denorm_src 0
		.amdhsa_exception_fp_ieee_div_zero 0
		.amdhsa_exception_fp_ieee_overflow 0
		.amdhsa_exception_fp_ieee_underflow 0
		.amdhsa_exception_fp_ieee_inexact 0
		.amdhsa_exception_int_div_zero 0
	.end_amdhsa_kernel
	.section	.text._ZN7rocprim17ROCPRIM_400000_NS6detail17trampoline_kernelINS0_14default_configENS1_25partition_config_selectorILNS1_17partition_subalgoE0EyNS0_10empty_typeEbEEZZNS1_14partition_implILS5_0ELb0ES3_jN6thrust23THRUST_200600_302600_NS6detail15normal_iteratorINSA_10device_ptrIyEEEEPS6_SG_NS0_5tupleIJSF_NSA_16discard_iteratorINSA_11use_defaultEEEEEENSH_IJSG_SG_EEES6_PlJ7is_evenIyEEEE10hipError_tPvRmT3_T4_T5_T6_T7_T9_mT8_P12ihipStream_tbDpT10_ENKUlT_T0_E_clISt17integral_constantIbLb0EES18_IbLb1EEEEDaS14_S15_EUlS14_E_NS1_11comp_targetILNS1_3genE4ELNS1_11target_archE910ELNS1_3gpuE8ELNS1_3repE0EEENS1_30default_config_static_selectorELNS0_4arch9wavefront6targetE1EEEvT1_,"axG",@progbits,_ZN7rocprim17ROCPRIM_400000_NS6detail17trampoline_kernelINS0_14default_configENS1_25partition_config_selectorILNS1_17partition_subalgoE0EyNS0_10empty_typeEbEEZZNS1_14partition_implILS5_0ELb0ES3_jN6thrust23THRUST_200600_302600_NS6detail15normal_iteratorINSA_10device_ptrIyEEEEPS6_SG_NS0_5tupleIJSF_NSA_16discard_iteratorINSA_11use_defaultEEEEEENSH_IJSG_SG_EEES6_PlJ7is_evenIyEEEE10hipError_tPvRmT3_T4_T5_T6_T7_T9_mT8_P12ihipStream_tbDpT10_ENKUlT_T0_E_clISt17integral_constantIbLb0EES18_IbLb1EEEEDaS14_S15_EUlS14_E_NS1_11comp_targetILNS1_3genE4ELNS1_11target_archE910ELNS1_3gpuE8ELNS1_3repE0EEENS1_30default_config_static_selectorELNS0_4arch9wavefront6targetE1EEEvT1_,comdat
.Lfunc_end2357:
	.size	_ZN7rocprim17ROCPRIM_400000_NS6detail17trampoline_kernelINS0_14default_configENS1_25partition_config_selectorILNS1_17partition_subalgoE0EyNS0_10empty_typeEbEEZZNS1_14partition_implILS5_0ELb0ES3_jN6thrust23THRUST_200600_302600_NS6detail15normal_iteratorINSA_10device_ptrIyEEEEPS6_SG_NS0_5tupleIJSF_NSA_16discard_iteratorINSA_11use_defaultEEEEEENSH_IJSG_SG_EEES6_PlJ7is_evenIyEEEE10hipError_tPvRmT3_T4_T5_T6_T7_T9_mT8_P12ihipStream_tbDpT10_ENKUlT_T0_E_clISt17integral_constantIbLb0EES18_IbLb1EEEEDaS14_S15_EUlS14_E_NS1_11comp_targetILNS1_3genE4ELNS1_11target_archE910ELNS1_3gpuE8ELNS1_3repE0EEENS1_30default_config_static_selectorELNS0_4arch9wavefront6targetE1EEEvT1_, .Lfunc_end2357-_ZN7rocprim17ROCPRIM_400000_NS6detail17trampoline_kernelINS0_14default_configENS1_25partition_config_selectorILNS1_17partition_subalgoE0EyNS0_10empty_typeEbEEZZNS1_14partition_implILS5_0ELb0ES3_jN6thrust23THRUST_200600_302600_NS6detail15normal_iteratorINSA_10device_ptrIyEEEEPS6_SG_NS0_5tupleIJSF_NSA_16discard_iteratorINSA_11use_defaultEEEEEENSH_IJSG_SG_EEES6_PlJ7is_evenIyEEEE10hipError_tPvRmT3_T4_T5_T6_T7_T9_mT8_P12ihipStream_tbDpT10_ENKUlT_T0_E_clISt17integral_constantIbLb0EES18_IbLb1EEEEDaS14_S15_EUlS14_E_NS1_11comp_targetILNS1_3genE4ELNS1_11target_archE910ELNS1_3gpuE8ELNS1_3repE0EEENS1_30default_config_static_selectorELNS0_4arch9wavefront6targetE1EEEvT1_
                                        ; -- End function
	.section	.AMDGPU.csdata,"",@progbits
; Kernel info:
; codeLenInByte = 3728
; NumSgprs: 44
; NumVgprs: 45
; NumAgprs: 0
; TotalNumVgprs: 45
; ScratchSize: 0
; MemoryBound: 0
; FloatMode: 240
; IeeeMode: 1
; LDSByteSize: 6344 bytes/workgroup (compile time only)
; SGPRBlocks: 5
; VGPRBlocks: 5
; NumSGPRsForWavesPerEU: 44
; NumVGPRsForWavesPerEU: 45
; AccumOffset: 48
; Occupancy: 8
; WaveLimiterHint : 1
; COMPUTE_PGM_RSRC2:SCRATCH_EN: 0
; COMPUTE_PGM_RSRC2:USER_SGPR: 6
; COMPUTE_PGM_RSRC2:TRAP_HANDLER: 0
; COMPUTE_PGM_RSRC2:TGID_X_EN: 1
; COMPUTE_PGM_RSRC2:TGID_Y_EN: 0
; COMPUTE_PGM_RSRC2:TGID_Z_EN: 0
; COMPUTE_PGM_RSRC2:TIDIG_COMP_CNT: 0
; COMPUTE_PGM_RSRC3_GFX90A:ACCUM_OFFSET: 11
; COMPUTE_PGM_RSRC3_GFX90A:TG_SPLIT: 0
	.section	.text._ZN7rocprim17ROCPRIM_400000_NS6detail17trampoline_kernelINS0_14default_configENS1_25partition_config_selectorILNS1_17partition_subalgoE0EyNS0_10empty_typeEbEEZZNS1_14partition_implILS5_0ELb0ES3_jN6thrust23THRUST_200600_302600_NS6detail15normal_iteratorINSA_10device_ptrIyEEEEPS6_SG_NS0_5tupleIJSF_NSA_16discard_iteratorINSA_11use_defaultEEEEEENSH_IJSG_SG_EEES6_PlJ7is_evenIyEEEE10hipError_tPvRmT3_T4_T5_T6_T7_T9_mT8_P12ihipStream_tbDpT10_ENKUlT_T0_E_clISt17integral_constantIbLb0EES18_IbLb1EEEEDaS14_S15_EUlS14_E_NS1_11comp_targetILNS1_3genE3ELNS1_11target_archE908ELNS1_3gpuE7ELNS1_3repE0EEENS1_30default_config_static_selectorELNS0_4arch9wavefront6targetE1EEEvT1_,"axG",@progbits,_ZN7rocprim17ROCPRIM_400000_NS6detail17trampoline_kernelINS0_14default_configENS1_25partition_config_selectorILNS1_17partition_subalgoE0EyNS0_10empty_typeEbEEZZNS1_14partition_implILS5_0ELb0ES3_jN6thrust23THRUST_200600_302600_NS6detail15normal_iteratorINSA_10device_ptrIyEEEEPS6_SG_NS0_5tupleIJSF_NSA_16discard_iteratorINSA_11use_defaultEEEEEENSH_IJSG_SG_EEES6_PlJ7is_evenIyEEEE10hipError_tPvRmT3_T4_T5_T6_T7_T9_mT8_P12ihipStream_tbDpT10_ENKUlT_T0_E_clISt17integral_constantIbLb0EES18_IbLb1EEEEDaS14_S15_EUlS14_E_NS1_11comp_targetILNS1_3genE3ELNS1_11target_archE908ELNS1_3gpuE7ELNS1_3repE0EEENS1_30default_config_static_selectorELNS0_4arch9wavefront6targetE1EEEvT1_,comdat
	.protected	_ZN7rocprim17ROCPRIM_400000_NS6detail17trampoline_kernelINS0_14default_configENS1_25partition_config_selectorILNS1_17partition_subalgoE0EyNS0_10empty_typeEbEEZZNS1_14partition_implILS5_0ELb0ES3_jN6thrust23THRUST_200600_302600_NS6detail15normal_iteratorINSA_10device_ptrIyEEEEPS6_SG_NS0_5tupleIJSF_NSA_16discard_iteratorINSA_11use_defaultEEEEEENSH_IJSG_SG_EEES6_PlJ7is_evenIyEEEE10hipError_tPvRmT3_T4_T5_T6_T7_T9_mT8_P12ihipStream_tbDpT10_ENKUlT_T0_E_clISt17integral_constantIbLb0EES18_IbLb1EEEEDaS14_S15_EUlS14_E_NS1_11comp_targetILNS1_3genE3ELNS1_11target_archE908ELNS1_3gpuE7ELNS1_3repE0EEENS1_30default_config_static_selectorELNS0_4arch9wavefront6targetE1EEEvT1_ ; -- Begin function _ZN7rocprim17ROCPRIM_400000_NS6detail17trampoline_kernelINS0_14default_configENS1_25partition_config_selectorILNS1_17partition_subalgoE0EyNS0_10empty_typeEbEEZZNS1_14partition_implILS5_0ELb0ES3_jN6thrust23THRUST_200600_302600_NS6detail15normal_iteratorINSA_10device_ptrIyEEEEPS6_SG_NS0_5tupleIJSF_NSA_16discard_iteratorINSA_11use_defaultEEEEEENSH_IJSG_SG_EEES6_PlJ7is_evenIyEEEE10hipError_tPvRmT3_T4_T5_T6_T7_T9_mT8_P12ihipStream_tbDpT10_ENKUlT_T0_E_clISt17integral_constantIbLb0EES18_IbLb1EEEEDaS14_S15_EUlS14_E_NS1_11comp_targetILNS1_3genE3ELNS1_11target_archE908ELNS1_3gpuE7ELNS1_3repE0EEENS1_30default_config_static_selectorELNS0_4arch9wavefront6targetE1EEEvT1_
	.globl	_ZN7rocprim17ROCPRIM_400000_NS6detail17trampoline_kernelINS0_14default_configENS1_25partition_config_selectorILNS1_17partition_subalgoE0EyNS0_10empty_typeEbEEZZNS1_14partition_implILS5_0ELb0ES3_jN6thrust23THRUST_200600_302600_NS6detail15normal_iteratorINSA_10device_ptrIyEEEEPS6_SG_NS0_5tupleIJSF_NSA_16discard_iteratorINSA_11use_defaultEEEEEENSH_IJSG_SG_EEES6_PlJ7is_evenIyEEEE10hipError_tPvRmT3_T4_T5_T6_T7_T9_mT8_P12ihipStream_tbDpT10_ENKUlT_T0_E_clISt17integral_constantIbLb0EES18_IbLb1EEEEDaS14_S15_EUlS14_E_NS1_11comp_targetILNS1_3genE3ELNS1_11target_archE908ELNS1_3gpuE7ELNS1_3repE0EEENS1_30default_config_static_selectorELNS0_4arch9wavefront6targetE1EEEvT1_
	.p2align	8
	.type	_ZN7rocprim17ROCPRIM_400000_NS6detail17trampoline_kernelINS0_14default_configENS1_25partition_config_selectorILNS1_17partition_subalgoE0EyNS0_10empty_typeEbEEZZNS1_14partition_implILS5_0ELb0ES3_jN6thrust23THRUST_200600_302600_NS6detail15normal_iteratorINSA_10device_ptrIyEEEEPS6_SG_NS0_5tupleIJSF_NSA_16discard_iteratorINSA_11use_defaultEEEEEENSH_IJSG_SG_EEES6_PlJ7is_evenIyEEEE10hipError_tPvRmT3_T4_T5_T6_T7_T9_mT8_P12ihipStream_tbDpT10_ENKUlT_T0_E_clISt17integral_constantIbLb0EES18_IbLb1EEEEDaS14_S15_EUlS14_E_NS1_11comp_targetILNS1_3genE3ELNS1_11target_archE908ELNS1_3gpuE7ELNS1_3repE0EEENS1_30default_config_static_selectorELNS0_4arch9wavefront6targetE1EEEvT1_,@function
_ZN7rocprim17ROCPRIM_400000_NS6detail17trampoline_kernelINS0_14default_configENS1_25partition_config_selectorILNS1_17partition_subalgoE0EyNS0_10empty_typeEbEEZZNS1_14partition_implILS5_0ELb0ES3_jN6thrust23THRUST_200600_302600_NS6detail15normal_iteratorINSA_10device_ptrIyEEEEPS6_SG_NS0_5tupleIJSF_NSA_16discard_iteratorINSA_11use_defaultEEEEEENSH_IJSG_SG_EEES6_PlJ7is_evenIyEEEE10hipError_tPvRmT3_T4_T5_T6_T7_T9_mT8_P12ihipStream_tbDpT10_ENKUlT_T0_E_clISt17integral_constantIbLb0EES18_IbLb1EEEEDaS14_S15_EUlS14_E_NS1_11comp_targetILNS1_3genE3ELNS1_11target_archE908ELNS1_3gpuE7ELNS1_3repE0EEENS1_30default_config_static_selectorELNS0_4arch9wavefront6targetE1EEEvT1_: ; @_ZN7rocprim17ROCPRIM_400000_NS6detail17trampoline_kernelINS0_14default_configENS1_25partition_config_selectorILNS1_17partition_subalgoE0EyNS0_10empty_typeEbEEZZNS1_14partition_implILS5_0ELb0ES3_jN6thrust23THRUST_200600_302600_NS6detail15normal_iteratorINSA_10device_ptrIyEEEEPS6_SG_NS0_5tupleIJSF_NSA_16discard_iteratorINSA_11use_defaultEEEEEENSH_IJSG_SG_EEES6_PlJ7is_evenIyEEEE10hipError_tPvRmT3_T4_T5_T6_T7_T9_mT8_P12ihipStream_tbDpT10_ENKUlT_T0_E_clISt17integral_constantIbLb0EES18_IbLb1EEEEDaS14_S15_EUlS14_E_NS1_11comp_targetILNS1_3genE3ELNS1_11target_archE908ELNS1_3gpuE7ELNS1_3repE0EEENS1_30default_config_static_selectorELNS0_4arch9wavefront6targetE1EEEvT1_
; %bb.0:
	.section	.rodata,"a",@progbits
	.p2align	6, 0x0
	.amdhsa_kernel _ZN7rocprim17ROCPRIM_400000_NS6detail17trampoline_kernelINS0_14default_configENS1_25partition_config_selectorILNS1_17partition_subalgoE0EyNS0_10empty_typeEbEEZZNS1_14partition_implILS5_0ELb0ES3_jN6thrust23THRUST_200600_302600_NS6detail15normal_iteratorINSA_10device_ptrIyEEEEPS6_SG_NS0_5tupleIJSF_NSA_16discard_iteratorINSA_11use_defaultEEEEEENSH_IJSG_SG_EEES6_PlJ7is_evenIyEEEE10hipError_tPvRmT3_T4_T5_T6_T7_T9_mT8_P12ihipStream_tbDpT10_ENKUlT_T0_E_clISt17integral_constantIbLb0EES18_IbLb1EEEEDaS14_S15_EUlS14_E_NS1_11comp_targetILNS1_3genE3ELNS1_11target_archE908ELNS1_3gpuE7ELNS1_3repE0EEENS1_30default_config_static_selectorELNS0_4arch9wavefront6targetE1EEEvT1_
		.amdhsa_group_segment_fixed_size 0
		.amdhsa_private_segment_fixed_size 0
		.amdhsa_kernarg_size 144
		.amdhsa_user_sgpr_count 6
		.amdhsa_user_sgpr_private_segment_buffer 1
		.amdhsa_user_sgpr_dispatch_ptr 0
		.amdhsa_user_sgpr_queue_ptr 0
		.amdhsa_user_sgpr_kernarg_segment_ptr 1
		.amdhsa_user_sgpr_dispatch_id 0
		.amdhsa_user_sgpr_flat_scratch_init 0
		.amdhsa_user_sgpr_kernarg_preload_length 0
		.amdhsa_user_sgpr_kernarg_preload_offset 0
		.amdhsa_user_sgpr_private_segment_size 0
		.amdhsa_uses_dynamic_stack 0
		.amdhsa_system_sgpr_private_segment_wavefront_offset 0
		.amdhsa_system_sgpr_workgroup_id_x 1
		.amdhsa_system_sgpr_workgroup_id_y 0
		.amdhsa_system_sgpr_workgroup_id_z 0
		.amdhsa_system_sgpr_workgroup_info 0
		.amdhsa_system_vgpr_workitem_id 0
		.amdhsa_next_free_vgpr 1
		.amdhsa_next_free_sgpr 0
		.amdhsa_accum_offset 4
		.amdhsa_reserve_vcc 0
		.amdhsa_reserve_flat_scratch 0
		.amdhsa_float_round_mode_32 0
		.amdhsa_float_round_mode_16_64 0
		.amdhsa_float_denorm_mode_32 3
		.amdhsa_float_denorm_mode_16_64 3
		.amdhsa_dx10_clamp 1
		.amdhsa_ieee_mode 1
		.amdhsa_fp16_overflow 0
		.amdhsa_tg_split 0
		.amdhsa_exception_fp_ieee_invalid_op 0
		.amdhsa_exception_fp_denorm_src 0
		.amdhsa_exception_fp_ieee_div_zero 0
		.amdhsa_exception_fp_ieee_overflow 0
		.amdhsa_exception_fp_ieee_underflow 0
		.amdhsa_exception_fp_ieee_inexact 0
		.amdhsa_exception_int_div_zero 0
	.end_amdhsa_kernel
	.section	.text._ZN7rocprim17ROCPRIM_400000_NS6detail17trampoline_kernelINS0_14default_configENS1_25partition_config_selectorILNS1_17partition_subalgoE0EyNS0_10empty_typeEbEEZZNS1_14partition_implILS5_0ELb0ES3_jN6thrust23THRUST_200600_302600_NS6detail15normal_iteratorINSA_10device_ptrIyEEEEPS6_SG_NS0_5tupleIJSF_NSA_16discard_iteratorINSA_11use_defaultEEEEEENSH_IJSG_SG_EEES6_PlJ7is_evenIyEEEE10hipError_tPvRmT3_T4_T5_T6_T7_T9_mT8_P12ihipStream_tbDpT10_ENKUlT_T0_E_clISt17integral_constantIbLb0EES18_IbLb1EEEEDaS14_S15_EUlS14_E_NS1_11comp_targetILNS1_3genE3ELNS1_11target_archE908ELNS1_3gpuE7ELNS1_3repE0EEENS1_30default_config_static_selectorELNS0_4arch9wavefront6targetE1EEEvT1_,"axG",@progbits,_ZN7rocprim17ROCPRIM_400000_NS6detail17trampoline_kernelINS0_14default_configENS1_25partition_config_selectorILNS1_17partition_subalgoE0EyNS0_10empty_typeEbEEZZNS1_14partition_implILS5_0ELb0ES3_jN6thrust23THRUST_200600_302600_NS6detail15normal_iteratorINSA_10device_ptrIyEEEEPS6_SG_NS0_5tupleIJSF_NSA_16discard_iteratorINSA_11use_defaultEEEEEENSH_IJSG_SG_EEES6_PlJ7is_evenIyEEEE10hipError_tPvRmT3_T4_T5_T6_T7_T9_mT8_P12ihipStream_tbDpT10_ENKUlT_T0_E_clISt17integral_constantIbLb0EES18_IbLb1EEEEDaS14_S15_EUlS14_E_NS1_11comp_targetILNS1_3genE3ELNS1_11target_archE908ELNS1_3gpuE7ELNS1_3repE0EEENS1_30default_config_static_selectorELNS0_4arch9wavefront6targetE1EEEvT1_,comdat
.Lfunc_end2358:
	.size	_ZN7rocprim17ROCPRIM_400000_NS6detail17trampoline_kernelINS0_14default_configENS1_25partition_config_selectorILNS1_17partition_subalgoE0EyNS0_10empty_typeEbEEZZNS1_14partition_implILS5_0ELb0ES3_jN6thrust23THRUST_200600_302600_NS6detail15normal_iteratorINSA_10device_ptrIyEEEEPS6_SG_NS0_5tupleIJSF_NSA_16discard_iteratorINSA_11use_defaultEEEEEENSH_IJSG_SG_EEES6_PlJ7is_evenIyEEEE10hipError_tPvRmT3_T4_T5_T6_T7_T9_mT8_P12ihipStream_tbDpT10_ENKUlT_T0_E_clISt17integral_constantIbLb0EES18_IbLb1EEEEDaS14_S15_EUlS14_E_NS1_11comp_targetILNS1_3genE3ELNS1_11target_archE908ELNS1_3gpuE7ELNS1_3repE0EEENS1_30default_config_static_selectorELNS0_4arch9wavefront6targetE1EEEvT1_, .Lfunc_end2358-_ZN7rocprim17ROCPRIM_400000_NS6detail17trampoline_kernelINS0_14default_configENS1_25partition_config_selectorILNS1_17partition_subalgoE0EyNS0_10empty_typeEbEEZZNS1_14partition_implILS5_0ELb0ES3_jN6thrust23THRUST_200600_302600_NS6detail15normal_iteratorINSA_10device_ptrIyEEEEPS6_SG_NS0_5tupleIJSF_NSA_16discard_iteratorINSA_11use_defaultEEEEEENSH_IJSG_SG_EEES6_PlJ7is_evenIyEEEE10hipError_tPvRmT3_T4_T5_T6_T7_T9_mT8_P12ihipStream_tbDpT10_ENKUlT_T0_E_clISt17integral_constantIbLb0EES18_IbLb1EEEEDaS14_S15_EUlS14_E_NS1_11comp_targetILNS1_3genE3ELNS1_11target_archE908ELNS1_3gpuE7ELNS1_3repE0EEENS1_30default_config_static_selectorELNS0_4arch9wavefront6targetE1EEEvT1_
                                        ; -- End function
	.section	.AMDGPU.csdata,"",@progbits
; Kernel info:
; codeLenInByte = 0
; NumSgprs: 4
; NumVgprs: 0
; NumAgprs: 0
; TotalNumVgprs: 0
; ScratchSize: 0
; MemoryBound: 0
; FloatMode: 240
; IeeeMode: 1
; LDSByteSize: 0 bytes/workgroup (compile time only)
; SGPRBlocks: 0
; VGPRBlocks: 0
; NumSGPRsForWavesPerEU: 4
; NumVGPRsForWavesPerEU: 1
; AccumOffset: 4
; Occupancy: 8
; WaveLimiterHint : 0
; COMPUTE_PGM_RSRC2:SCRATCH_EN: 0
; COMPUTE_PGM_RSRC2:USER_SGPR: 6
; COMPUTE_PGM_RSRC2:TRAP_HANDLER: 0
; COMPUTE_PGM_RSRC2:TGID_X_EN: 1
; COMPUTE_PGM_RSRC2:TGID_Y_EN: 0
; COMPUTE_PGM_RSRC2:TGID_Z_EN: 0
; COMPUTE_PGM_RSRC2:TIDIG_COMP_CNT: 0
; COMPUTE_PGM_RSRC3_GFX90A:ACCUM_OFFSET: 0
; COMPUTE_PGM_RSRC3_GFX90A:TG_SPLIT: 0
	.section	.text._ZN7rocprim17ROCPRIM_400000_NS6detail17trampoline_kernelINS0_14default_configENS1_25partition_config_selectorILNS1_17partition_subalgoE0EyNS0_10empty_typeEbEEZZNS1_14partition_implILS5_0ELb0ES3_jN6thrust23THRUST_200600_302600_NS6detail15normal_iteratorINSA_10device_ptrIyEEEEPS6_SG_NS0_5tupleIJSF_NSA_16discard_iteratorINSA_11use_defaultEEEEEENSH_IJSG_SG_EEES6_PlJ7is_evenIyEEEE10hipError_tPvRmT3_T4_T5_T6_T7_T9_mT8_P12ihipStream_tbDpT10_ENKUlT_T0_E_clISt17integral_constantIbLb0EES18_IbLb1EEEEDaS14_S15_EUlS14_E_NS1_11comp_targetILNS1_3genE2ELNS1_11target_archE906ELNS1_3gpuE6ELNS1_3repE0EEENS1_30default_config_static_selectorELNS0_4arch9wavefront6targetE1EEEvT1_,"axG",@progbits,_ZN7rocprim17ROCPRIM_400000_NS6detail17trampoline_kernelINS0_14default_configENS1_25partition_config_selectorILNS1_17partition_subalgoE0EyNS0_10empty_typeEbEEZZNS1_14partition_implILS5_0ELb0ES3_jN6thrust23THRUST_200600_302600_NS6detail15normal_iteratorINSA_10device_ptrIyEEEEPS6_SG_NS0_5tupleIJSF_NSA_16discard_iteratorINSA_11use_defaultEEEEEENSH_IJSG_SG_EEES6_PlJ7is_evenIyEEEE10hipError_tPvRmT3_T4_T5_T6_T7_T9_mT8_P12ihipStream_tbDpT10_ENKUlT_T0_E_clISt17integral_constantIbLb0EES18_IbLb1EEEEDaS14_S15_EUlS14_E_NS1_11comp_targetILNS1_3genE2ELNS1_11target_archE906ELNS1_3gpuE6ELNS1_3repE0EEENS1_30default_config_static_selectorELNS0_4arch9wavefront6targetE1EEEvT1_,comdat
	.protected	_ZN7rocprim17ROCPRIM_400000_NS6detail17trampoline_kernelINS0_14default_configENS1_25partition_config_selectorILNS1_17partition_subalgoE0EyNS0_10empty_typeEbEEZZNS1_14partition_implILS5_0ELb0ES3_jN6thrust23THRUST_200600_302600_NS6detail15normal_iteratorINSA_10device_ptrIyEEEEPS6_SG_NS0_5tupleIJSF_NSA_16discard_iteratorINSA_11use_defaultEEEEEENSH_IJSG_SG_EEES6_PlJ7is_evenIyEEEE10hipError_tPvRmT3_T4_T5_T6_T7_T9_mT8_P12ihipStream_tbDpT10_ENKUlT_T0_E_clISt17integral_constantIbLb0EES18_IbLb1EEEEDaS14_S15_EUlS14_E_NS1_11comp_targetILNS1_3genE2ELNS1_11target_archE906ELNS1_3gpuE6ELNS1_3repE0EEENS1_30default_config_static_selectorELNS0_4arch9wavefront6targetE1EEEvT1_ ; -- Begin function _ZN7rocprim17ROCPRIM_400000_NS6detail17trampoline_kernelINS0_14default_configENS1_25partition_config_selectorILNS1_17partition_subalgoE0EyNS0_10empty_typeEbEEZZNS1_14partition_implILS5_0ELb0ES3_jN6thrust23THRUST_200600_302600_NS6detail15normal_iteratorINSA_10device_ptrIyEEEEPS6_SG_NS0_5tupleIJSF_NSA_16discard_iteratorINSA_11use_defaultEEEEEENSH_IJSG_SG_EEES6_PlJ7is_evenIyEEEE10hipError_tPvRmT3_T4_T5_T6_T7_T9_mT8_P12ihipStream_tbDpT10_ENKUlT_T0_E_clISt17integral_constantIbLb0EES18_IbLb1EEEEDaS14_S15_EUlS14_E_NS1_11comp_targetILNS1_3genE2ELNS1_11target_archE906ELNS1_3gpuE6ELNS1_3repE0EEENS1_30default_config_static_selectorELNS0_4arch9wavefront6targetE1EEEvT1_
	.globl	_ZN7rocprim17ROCPRIM_400000_NS6detail17trampoline_kernelINS0_14default_configENS1_25partition_config_selectorILNS1_17partition_subalgoE0EyNS0_10empty_typeEbEEZZNS1_14partition_implILS5_0ELb0ES3_jN6thrust23THRUST_200600_302600_NS6detail15normal_iteratorINSA_10device_ptrIyEEEEPS6_SG_NS0_5tupleIJSF_NSA_16discard_iteratorINSA_11use_defaultEEEEEENSH_IJSG_SG_EEES6_PlJ7is_evenIyEEEE10hipError_tPvRmT3_T4_T5_T6_T7_T9_mT8_P12ihipStream_tbDpT10_ENKUlT_T0_E_clISt17integral_constantIbLb0EES18_IbLb1EEEEDaS14_S15_EUlS14_E_NS1_11comp_targetILNS1_3genE2ELNS1_11target_archE906ELNS1_3gpuE6ELNS1_3repE0EEENS1_30default_config_static_selectorELNS0_4arch9wavefront6targetE1EEEvT1_
	.p2align	8
	.type	_ZN7rocprim17ROCPRIM_400000_NS6detail17trampoline_kernelINS0_14default_configENS1_25partition_config_selectorILNS1_17partition_subalgoE0EyNS0_10empty_typeEbEEZZNS1_14partition_implILS5_0ELb0ES3_jN6thrust23THRUST_200600_302600_NS6detail15normal_iteratorINSA_10device_ptrIyEEEEPS6_SG_NS0_5tupleIJSF_NSA_16discard_iteratorINSA_11use_defaultEEEEEENSH_IJSG_SG_EEES6_PlJ7is_evenIyEEEE10hipError_tPvRmT3_T4_T5_T6_T7_T9_mT8_P12ihipStream_tbDpT10_ENKUlT_T0_E_clISt17integral_constantIbLb0EES18_IbLb1EEEEDaS14_S15_EUlS14_E_NS1_11comp_targetILNS1_3genE2ELNS1_11target_archE906ELNS1_3gpuE6ELNS1_3repE0EEENS1_30default_config_static_selectorELNS0_4arch9wavefront6targetE1EEEvT1_,@function
_ZN7rocprim17ROCPRIM_400000_NS6detail17trampoline_kernelINS0_14default_configENS1_25partition_config_selectorILNS1_17partition_subalgoE0EyNS0_10empty_typeEbEEZZNS1_14partition_implILS5_0ELb0ES3_jN6thrust23THRUST_200600_302600_NS6detail15normal_iteratorINSA_10device_ptrIyEEEEPS6_SG_NS0_5tupleIJSF_NSA_16discard_iteratorINSA_11use_defaultEEEEEENSH_IJSG_SG_EEES6_PlJ7is_evenIyEEEE10hipError_tPvRmT3_T4_T5_T6_T7_T9_mT8_P12ihipStream_tbDpT10_ENKUlT_T0_E_clISt17integral_constantIbLb0EES18_IbLb1EEEEDaS14_S15_EUlS14_E_NS1_11comp_targetILNS1_3genE2ELNS1_11target_archE906ELNS1_3gpuE6ELNS1_3repE0EEENS1_30default_config_static_selectorELNS0_4arch9wavefront6targetE1EEEvT1_: ; @_ZN7rocprim17ROCPRIM_400000_NS6detail17trampoline_kernelINS0_14default_configENS1_25partition_config_selectorILNS1_17partition_subalgoE0EyNS0_10empty_typeEbEEZZNS1_14partition_implILS5_0ELb0ES3_jN6thrust23THRUST_200600_302600_NS6detail15normal_iteratorINSA_10device_ptrIyEEEEPS6_SG_NS0_5tupleIJSF_NSA_16discard_iteratorINSA_11use_defaultEEEEEENSH_IJSG_SG_EEES6_PlJ7is_evenIyEEEE10hipError_tPvRmT3_T4_T5_T6_T7_T9_mT8_P12ihipStream_tbDpT10_ENKUlT_T0_E_clISt17integral_constantIbLb0EES18_IbLb1EEEEDaS14_S15_EUlS14_E_NS1_11comp_targetILNS1_3genE2ELNS1_11target_archE906ELNS1_3gpuE6ELNS1_3repE0EEENS1_30default_config_static_selectorELNS0_4arch9wavefront6targetE1EEEvT1_
; %bb.0:
	.section	.rodata,"a",@progbits
	.p2align	6, 0x0
	.amdhsa_kernel _ZN7rocprim17ROCPRIM_400000_NS6detail17trampoline_kernelINS0_14default_configENS1_25partition_config_selectorILNS1_17partition_subalgoE0EyNS0_10empty_typeEbEEZZNS1_14partition_implILS5_0ELb0ES3_jN6thrust23THRUST_200600_302600_NS6detail15normal_iteratorINSA_10device_ptrIyEEEEPS6_SG_NS0_5tupleIJSF_NSA_16discard_iteratorINSA_11use_defaultEEEEEENSH_IJSG_SG_EEES6_PlJ7is_evenIyEEEE10hipError_tPvRmT3_T4_T5_T6_T7_T9_mT8_P12ihipStream_tbDpT10_ENKUlT_T0_E_clISt17integral_constantIbLb0EES18_IbLb1EEEEDaS14_S15_EUlS14_E_NS1_11comp_targetILNS1_3genE2ELNS1_11target_archE906ELNS1_3gpuE6ELNS1_3repE0EEENS1_30default_config_static_selectorELNS0_4arch9wavefront6targetE1EEEvT1_
		.amdhsa_group_segment_fixed_size 0
		.amdhsa_private_segment_fixed_size 0
		.amdhsa_kernarg_size 144
		.amdhsa_user_sgpr_count 6
		.amdhsa_user_sgpr_private_segment_buffer 1
		.amdhsa_user_sgpr_dispatch_ptr 0
		.amdhsa_user_sgpr_queue_ptr 0
		.amdhsa_user_sgpr_kernarg_segment_ptr 1
		.amdhsa_user_sgpr_dispatch_id 0
		.amdhsa_user_sgpr_flat_scratch_init 0
		.amdhsa_user_sgpr_kernarg_preload_length 0
		.amdhsa_user_sgpr_kernarg_preload_offset 0
		.amdhsa_user_sgpr_private_segment_size 0
		.amdhsa_uses_dynamic_stack 0
		.amdhsa_system_sgpr_private_segment_wavefront_offset 0
		.amdhsa_system_sgpr_workgroup_id_x 1
		.amdhsa_system_sgpr_workgroup_id_y 0
		.amdhsa_system_sgpr_workgroup_id_z 0
		.amdhsa_system_sgpr_workgroup_info 0
		.amdhsa_system_vgpr_workitem_id 0
		.amdhsa_next_free_vgpr 1
		.amdhsa_next_free_sgpr 0
		.amdhsa_accum_offset 4
		.amdhsa_reserve_vcc 0
		.amdhsa_reserve_flat_scratch 0
		.amdhsa_float_round_mode_32 0
		.amdhsa_float_round_mode_16_64 0
		.amdhsa_float_denorm_mode_32 3
		.amdhsa_float_denorm_mode_16_64 3
		.amdhsa_dx10_clamp 1
		.amdhsa_ieee_mode 1
		.amdhsa_fp16_overflow 0
		.amdhsa_tg_split 0
		.amdhsa_exception_fp_ieee_invalid_op 0
		.amdhsa_exception_fp_denorm_src 0
		.amdhsa_exception_fp_ieee_div_zero 0
		.amdhsa_exception_fp_ieee_overflow 0
		.amdhsa_exception_fp_ieee_underflow 0
		.amdhsa_exception_fp_ieee_inexact 0
		.amdhsa_exception_int_div_zero 0
	.end_amdhsa_kernel
	.section	.text._ZN7rocprim17ROCPRIM_400000_NS6detail17trampoline_kernelINS0_14default_configENS1_25partition_config_selectorILNS1_17partition_subalgoE0EyNS0_10empty_typeEbEEZZNS1_14partition_implILS5_0ELb0ES3_jN6thrust23THRUST_200600_302600_NS6detail15normal_iteratorINSA_10device_ptrIyEEEEPS6_SG_NS0_5tupleIJSF_NSA_16discard_iteratorINSA_11use_defaultEEEEEENSH_IJSG_SG_EEES6_PlJ7is_evenIyEEEE10hipError_tPvRmT3_T4_T5_T6_T7_T9_mT8_P12ihipStream_tbDpT10_ENKUlT_T0_E_clISt17integral_constantIbLb0EES18_IbLb1EEEEDaS14_S15_EUlS14_E_NS1_11comp_targetILNS1_3genE2ELNS1_11target_archE906ELNS1_3gpuE6ELNS1_3repE0EEENS1_30default_config_static_selectorELNS0_4arch9wavefront6targetE1EEEvT1_,"axG",@progbits,_ZN7rocprim17ROCPRIM_400000_NS6detail17trampoline_kernelINS0_14default_configENS1_25partition_config_selectorILNS1_17partition_subalgoE0EyNS0_10empty_typeEbEEZZNS1_14partition_implILS5_0ELb0ES3_jN6thrust23THRUST_200600_302600_NS6detail15normal_iteratorINSA_10device_ptrIyEEEEPS6_SG_NS0_5tupleIJSF_NSA_16discard_iteratorINSA_11use_defaultEEEEEENSH_IJSG_SG_EEES6_PlJ7is_evenIyEEEE10hipError_tPvRmT3_T4_T5_T6_T7_T9_mT8_P12ihipStream_tbDpT10_ENKUlT_T0_E_clISt17integral_constantIbLb0EES18_IbLb1EEEEDaS14_S15_EUlS14_E_NS1_11comp_targetILNS1_3genE2ELNS1_11target_archE906ELNS1_3gpuE6ELNS1_3repE0EEENS1_30default_config_static_selectorELNS0_4arch9wavefront6targetE1EEEvT1_,comdat
.Lfunc_end2359:
	.size	_ZN7rocprim17ROCPRIM_400000_NS6detail17trampoline_kernelINS0_14default_configENS1_25partition_config_selectorILNS1_17partition_subalgoE0EyNS0_10empty_typeEbEEZZNS1_14partition_implILS5_0ELb0ES3_jN6thrust23THRUST_200600_302600_NS6detail15normal_iteratorINSA_10device_ptrIyEEEEPS6_SG_NS0_5tupleIJSF_NSA_16discard_iteratorINSA_11use_defaultEEEEEENSH_IJSG_SG_EEES6_PlJ7is_evenIyEEEE10hipError_tPvRmT3_T4_T5_T6_T7_T9_mT8_P12ihipStream_tbDpT10_ENKUlT_T0_E_clISt17integral_constantIbLb0EES18_IbLb1EEEEDaS14_S15_EUlS14_E_NS1_11comp_targetILNS1_3genE2ELNS1_11target_archE906ELNS1_3gpuE6ELNS1_3repE0EEENS1_30default_config_static_selectorELNS0_4arch9wavefront6targetE1EEEvT1_, .Lfunc_end2359-_ZN7rocprim17ROCPRIM_400000_NS6detail17trampoline_kernelINS0_14default_configENS1_25partition_config_selectorILNS1_17partition_subalgoE0EyNS0_10empty_typeEbEEZZNS1_14partition_implILS5_0ELb0ES3_jN6thrust23THRUST_200600_302600_NS6detail15normal_iteratorINSA_10device_ptrIyEEEEPS6_SG_NS0_5tupleIJSF_NSA_16discard_iteratorINSA_11use_defaultEEEEEENSH_IJSG_SG_EEES6_PlJ7is_evenIyEEEE10hipError_tPvRmT3_T4_T5_T6_T7_T9_mT8_P12ihipStream_tbDpT10_ENKUlT_T0_E_clISt17integral_constantIbLb0EES18_IbLb1EEEEDaS14_S15_EUlS14_E_NS1_11comp_targetILNS1_3genE2ELNS1_11target_archE906ELNS1_3gpuE6ELNS1_3repE0EEENS1_30default_config_static_selectorELNS0_4arch9wavefront6targetE1EEEvT1_
                                        ; -- End function
	.section	.AMDGPU.csdata,"",@progbits
; Kernel info:
; codeLenInByte = 0
; NumSgprs: 4
; NumVgprs: 0
; NumAgprs: 0
; TotalNumVgprs: 0
; ScratchSize: 0
; MemoryBound: 0
; FloatMode: 240
; IeeeMode: 1
; LDSByteSize: 0 bytes/workgroup (compile time only)
; SGPRBlocks: 0
; VGPRBlocks: 0
; NumSGPRsForWavesPerEU: 4
; NumVGPRsForWavesPerEU: 1
; AccumOffset: 4
; Occupancy: 8
; WaveLimiterHint : 0
; COMPUTE_PGM_RSRC2:SCRATCH_EN: 0
; COMPUTE_PGM_RSRC2:USER_SGPR: 6
; COMPUTE_PGM_RSRC2:TRAP_HANDLER: 0
; COMPUTE_PGM_RSRC2:TGID_X_EN: 1
; COMPUTE_PGM_RSRC2:TGID_Y_EN: 0
; COMPUTE_PGM_RSRC2:TGID_Z_EN: 0
; COMPUTE_PGM_RSRC2:TIDIG_COMP_CNT: 0
; COMPUTE_PGM_RSRC3_GFX90A:ACCUM_OFFSET: 0
; COMPUTE_PGM_RSRC3_GFX90A:TG_SPLIT: 0
	.section	.text._ZN7rocprim17ROCPRIM_400000_NS6detail17trampoline_kernelINS0_14default_configENS1_25partition_config_selectorILNS1_17partition_subalgoE0EyNS0_10empty_typeEbEEZZNS1_14partition_implILS5_0ELb0ES3_jN6thrust23THRUST_200600_302600_NS6detail15normal_iteratorINSA_10device_ptrIyEEEEPS6_SG_NS0_5tupleIJSF_NSA_16discard_iteratorINSA_11use_defaultEEEEEENSH_IJSG_SG_EEES6_PlJ7is_evenIyEEEE10hipError_tPvRmT3_T4_T5_T6_T7_T9_mT8_P12ihipStream_tbDpT10_ENKUlT_T0_E_clISt17integral_constantIbLb0EES18_IbLb1EEEEDaS14_S15_EUlS14_E_NS1_11comp_targetILNS1_3genE10ELNS1_11target_archE1200ELNS1_3gpuE4ELNS1_3repE0EEENS1_30default_config_static_selectorELNS0_4arch9wavefront6targetE1EEEvT1_,"axG",@progbits,_ZN7rocprim17ROCPRIM_400000_NS6detail17trampoline_kernelINS0_14default_configENS1_25partition_config_selectorILNS1_17partition_subalgoE0EyNS0_10empty_typeEbEEZZNS1_14partition_implILS5_0ELb0ES3_jN6thrust23THRUST_200600_302600_NS6detail15normal_iteratorINSA_10device_ptrIyEEEEPS6_SG_NS0_5tupleIJSF_NSA_16discard_iteratorINSA_11use_defaultEEEEEENSH_IJSG_SG_EEES6_PlJ7is_evenIyEEEE10hipError_tPvRmT3_T4_T5_T6_T7_T9_mT8_P12ihipStream_tbDpT10_ENKUlT_T0_E_clISt17integral_constantIbLb0EES18_IbLb1EEEEDaS14_S15_EUlS14_E_NS1_11comp_targetILNS1_3genE10ELNS1_11target_archE1200ELNS1_3gpuE4ELNS1_3repE0EEENS1_30default_config_static_selectorELNS0_4arch9wavefront6targetE1EEEvT1_,comdat
	.protected	_ZN7rocprim17ROCPRIM_400000_NS6detail17trampoline_kernelINS0_14default_configENS1_25partition_config_selectorILNS1_17partition_subalgoE0EyNS0_10empty_typeEbEEZZNS1_14partition_implILS5_0ELb0ES3_jN6thrust23THRUST_200600_302600_NS6detail15normal_iteratorINSA_10device_ptrIyEEEEPS6_SG_NS0_5tupleIJSF_NSA_16discard_iteratorINSA_11use_defaultEEEEEENSH_IJSG_SG_EEES6_PlJ7is_evenIyEEEE10hipError_tPvRmT3_T4_T5_T6_T7_T9_mT8_P12ihipStream_tbDpT10_ENKUlT_T0_E_clISt17integral_constantIbLb0EES18_IbLb1EEEEDaS14_S15_EUlS14_E_NS1_11comp_targetILNS1_3genE10ELNS1_11target_archE1200ELNS1_3gpuE4ELNS1_3repE0EEENS1_30default_config_static_selectorELNS0_4arch9wavefront6targetE1EEEvT1_ ; -- Begin function _ZN7rocprim17ROCPRIM_400000_NS6detail17trampoline_kernelINS0_14default_configENS1_25partition_config_selectorILNS1_17partition_subalgoE0EyNS0_10empty_typeEbEEZZNS1_14partition_implILS5_0ELb0ES3_jN6thrust23THRUST_200600_302600_NS6detail15normal_iteratorINSA_10device_ptrIyEEEEPS6_SG_NS0_5tupleIJSF_NSA_16discard_iteratorINSA_11use_defaultEEEEEENSH_IJSG_SG_EEES6_PlJ7is_evenIyEEEE10hipError_tPvRmT3_T4_T5_T6_T7_T9_mT8_P12ihipStream_tbDpT10_ENKUlT_T0_E_clISt17integral_constantIbLb0EES18_IbLb1EEEEDaS14_S15_EUlS14_E_NS1_11comp_targetILNS1_3genE10ELNS1_11target_archE1200ELNS1_3gpuE4ELNS1_3repE0EEENS1_30default_config_static_selectorELNS0_4arch9wavefront6targetE1EEEvT1_
	.globl	_ZN7rocprim17ROCPRIM_400000_NS6detail17trampoline_kernelINS0_14default_configENS1_25partition_config_selectorILNS1_17partition_subalgoE0EyNS0_10empty_typeEbEEZZNS1_14partition_implILS5_0ELb0ES3_jN6thrust23THRUST_200600_302600_NS6detail15normal_iteratorINSA_10device_ptrIyEEEEPS6_SG_NS0_5tupleIJSF_NSA_16discard_iteratorINSA_11use_defaultEEEEEENSH_IJSG_SG_EEES6_PlJ7is_evenIyEEEE10hipError_tPvRmT3_T4_T5_T6_T7_T9_mT8_P12ihipStream_tbDpT10_ENKUlT_T0_E_clISt17integral_constantIbLb0EES18_IbLb1EEEEDaS14_S15_EUlS14_E_NS1_11comp_targetILNS1_3genE10ELNS1_11target_archE1200ELNS1_3gpuE4ELNS1_3repE0EEENS1_30default_config_static_selectorELNS0_4arch9wavefront6targetE1EEEvT1_
	.p2align	8
	.type	_ZN7rocprim17ROCPRIM_400000_NS6detail17trampoline_kernelINS0_14default_configENS1_25partition_config_selectorILNS1_17partition_subalgoE0EyNS0_10empty_typeEbEEZZNS1_14partition_implILS5_0ELb0ES3_jN6thrust23THRUST_200600_302600_NS6detail15normal_iteratorINSA_10device_ptrIyEEEEPS6_SG_NS0_5tupleIJSF_NSA_16discard_iteratorINSA_11use_defaultEEEEEENSH_IJSG_SG_EEES6_PlJ7is_evenIyEEEE10hipError_tPvRmT3_T4_T5_T6_T7_T9_mT8_P12ihipStream_tbDpT10_ENKUlT_T0_E_clISt17integral_constantIbLb0EES18_IbLb1EEEEDaS14_S15_EUlS14_E_NS1_11comp_targetILNS1_3genE10ELNS1_11target_archE1200ELNS1_3gpuE4ELNS1_3repE0EEENS1_30default_config_static_selectorELNS0_4arch9wavefront6targetE1EEEvT1_,@function
_ZN7rocprim17ROCPRIM_400000_NS6detail17trampoline_kernelINS0_14default_configENS1_25partition_config_selectorILNS1_17partition_subalgoE0EyNS0_10empty_typeEbEEZZNS1_14partition_implILS5_0ELb0ES3_jN6thrust23THRUST_200600_302600_NS6detail15normal_iteratorINSA_10device_ptrIyEEEEPS6_SG_NS0_5tupleIJSF_NSA_16discard_iteratorINSA_11use_defaultEEEEEENSH_IJSG_SG_EEES6_PlJ7is_evenIyEEEE10hipError_tPvRmT3_T4_T5_T6_T7_T9_mT8_P12ihipStream_tbDpT10_ENKUlT_T0_E_clISt17integral_constantIbLb0EES18_IbLb1EEEEDaS14_S15_EUlS14_E_NS1_11comp_targetILNS1_3genE10ELNS1_11target_archE1200ELNS1_3gpuE4ELNS1_3repE0EEENS1_30default_config_static_selectorELNS0_4arch9wavefront6targetE1EEEvT1_: ; @_ZN7rocprim17ROCPRIM_400000_NS6detail17trampoline_kernelINS0_14default_configENS1_25partition_config_selectorILNS1_17partition_subalgoE0EyNS0_10empty_typeEbEEZZNS1_14partition_implILS5_0ELb0ES3_jN6thrust23THRUST_200600_302600_NS6detail15normal_iteratorINSA_10device_ptrIyEEEEPS6_SG_NS0_5tupleIJSF_NSA_16discard_iteratorINSA_11use_defaultEEEEEENSH_IJSG_SG_EEES6_PlJ7is_evenIyEEEE10hipError_tPvRmT3_T4_T5_T6_T7_T9_mT8_P12ihipStream_tbDpT10_ENKUlT_T0_E_clISt17integral_constantIbLb0EES18_IbLb1EEEEDaS14_S15_EUlS14_E_NS1_11comp_targetILNS1_3genE10ELNS1_11target_archE1200ELNS1_3gpuE4ELNS1_3repE0EEENS1_30default_config_static_selectorELNS0_4arch9wavefront6targetE1EEEvT1_
; %bb.0:
	.section	.rodata,"a",@progbits
	.p2align	6, 0x0
	.amdhsa_kernel _ZN7rocprim17ROCPRIM_400000_NS6detail17trampoline_kernelINS0_14default_configENS1_25partition_config_selectorILNS1_17partition_subalgoE0EyNS0_10empty_typeEbEEZZNS1_14partition_implILS5_0ELb0ES3_jN6thrust23THRUST_200600_302600_NS6detail15normal_iteratorINSA_10device_ptrIyEEEEPS6_SG_NS0_5tupleIJSF_NSA_16discard_iteratorINSA_11use_defaultEEEEEENSH_IJSG_SG_EEES6_PlJ7is_evenIyEEEE10hipError_tPvRmT3_T4_T5_T6_T7_T9_mT8_P12ihipStream_tbDpT10_ENKUlT_T0_E_clISt17integral_constantIbLb0EES18_IbLb1EEEEDaS14_S15_EUlS14_E_NS1_11comp_targetILNS1_3genE10ELNS1_11target_archE1200ELNS1_3gpuE4ELNS1_3repE0EEENS1_30default_config_static_selectorELNS0_4arch9wavefront6targetE1EEEvT1_
		.amdhsa_group_segment_fixed_size 0
		.amdhsa_private_segment_fixed_size 0
		.amdhsa_kernarg_size 144
		.amdhsa_user_sgpr_count 6
		.amdhsa_user_sgpr_private_segment_buffer 1
		.amdhsa_user_sgpr_dispatch_ptr 0
		.amdhsa_user_sgpr_queue_ptr 0
		.amdhsa_user_sgpr_kernarg_segment_ptr 1
		.amdhsa_user_sgpr_dispatch_id 0
		.amdhsa_user_sgpr_flat_scratch_init 0
		.amdhsa_user_sgpr_kernarg_preload_length 0
		.amdhsa_user_sgpr_kernarg_preload_offset 0
		.amdhsa_user_sgpr_private_segment_size 0
		.amdhsa_uses_dynamic_stack 0
		.amdhsa_system_sgpr_private_segment_wavefront_offset 0
		.amdhsa_system_sgpr_workgroup_id_x 1
		.amdhsa_system_sgpr_workgroup_id_y 0
		.amdhsa_system_sgpr_workgroup_id_z 0
		.amdhsa_system_sgpr_workgroup_info 0
		.amdhsa_system_vgpr_workitem_id 0
		.amdhsa_next_free_vgpr 1
		.amdhsa_next_free_sgpr 0
		.amdhsa_accum_offset 4
		.amdhsa_reserve_vcc 0
		.amdhsa_reserve_flat_scratch 0
		.amdhsa_float_round_mode_32 0
		.amdhsa_float_round_mode_16_64 0
		.amdhsa_float_denorm_mode_32 3
		.amdhsa_float_denorm_mode_16_64 3
		.amdhsa_dx10_clamp 1
		.amdhsa_ieee_mode 1
		.amdhsa_fp16_overflow 0
		.amdhsa_tg_split 0
		.amdhsa_exception_fp_ieee_invalid_op 0
		.amdhsa_exception_fp_denorm_src 0
		.amdhsa_exception_fp_ieee_div_zero 0
		.amdhsa_exception_fp_ieee_overflow 0
		.amdhsa_exception_fp_ieee_underflow 0
		.amdhsa_exception_fp_ieee_inexact 0
		.amdhsa_exception_int_div_zero 0
	.end_amdhsa_kernel
	.section	.text._ZN7rocprim17ROCPRIM_400000_NS6detail17trampoline_kernelINS0_14default_configENS1_25partition_config_selectorILNS1_17partition_subalgoE0EyNS0_10empty_typeEbEEZZNS1_14partition_implILS5_0ELb0ES3_jN6thrust23THRUST_200600_302600_NS6detail15normal_iteratorINSA_10device_ptrIyEEEEPS6_SG_NS0_5tupleIJSF_NSA_16discard_iteratorINSA_11use_defaultEEEEEENSH_IJSG_SG_EEES6_PlJ7is_evenIyEEEE10hipError_tPvRmT3_T4_T5_T6_T7_T9_mT8_P12ihipStream_tbDpT10_ENKUlT_T0_E_clISt17integral_constantIbLb0EES18_IbLb1EEEEDaS14_S15_EUlS14_E_NS1_11comp_targetILNS1_3genE10ELNS1_11target_archE1200ELNS1_3gpuE4ELNS1_3repE0EEENS1_30default_config_static_selectorELNS0_4arch9wavefront6targetE1EEEvT1_,"axG",@progbits,_ZN7rocprim17ROCPRIM_400000_NS6detail17trampoline_kernelINS0_14default_configENS1_25partition_config_selectorILNS1_17partition_subalgoE0EyNS0_10empty_typeEbEEZZNS1_14partition_implILS5_0ELb0ES3_jN6thrust23THRUST_200600_302600_NS6detail15normal_iteratorINSA_10device_ptrIyEEEEPS6_SG_NS0_5tupleIJSF_NSA_16discard_iteratorINSA_11use_defaultEEEEEENSH_IJSG_SG_EEES6_PlJ7is_evenIyEEEE10hipError_tPvRmT3_T4_T5_T6_T7_T9_mT8_P12ihipStream_tbDpT10_ENKUlT_T0_E_clISt17integral_constantIbLb0EES18_IbLb1EEEEDaS14_S15_EUlS14_E_NS1_11comp_targetILNS1_3genE10ELNS1_11target_archE1200ELNS1_3gpuE4ELNS1_3repE0EEENS1_30default_config_static_selectorELNS0_4arch9wavefront6targetE1EEEvT1_,comdat
.Lfunc_end2360:
	.size	_ZN7rocprim17ROCPRIM_400000_NS6detail17trampoline_kernelINS0_14default_configENS1_25partition_config_selectorILNS1_17partition_subalgoE0EyNS0_10empty_typeEbEEZZNS1_14partition_implILS5_0ELb0ES3_jN6thrust23THRUST_200600_302600_NS6detail15normal_iteratorINSA_10device_ptrIyEEEEPS6_SG_NS0_5tupleIJSF_NSA_16discard_iteratorINSA_11use_defaultEEEEEENSH_IJSG_SG_EEES6_PlJ7is_evenIyEEEE10hipError_tPvRmT3_T4_T5_T6_T7_T9_mT8_P12ihipStream_tbDpT10_ENKUlT_T0_E_clISt17integral_constantIbLb0EES18_IbLb1EEEEDaS14_S15_EUlS14_E_NS1_11comp_targetILNS1_3genE10ELNS1_11target_archE1200ELNS1_3gpuE4ELNS1_3repE0EEENS1_30default_config_static_selectorELNS0_4arch9wavefront6targetE1EEEvT1_, .Lfunc_end2360-_ZN7rocprim17ROCPRIM_400000_NS6detail17trampoline_kernelINS0_14default_configENS1_25partition_config_selectorILNS1_17partition_subalgoE0EyNS0_10empty_typeEbEEZZNS1_14partition_implILS5_0ELb0ES3_jN6thrust23THRUST_200600_302600_NS6detail15normal_iteratorINSA_10device_ptrIyEEEEPS6_SG_NS0_5tupleIJSF_NSA_16discard_iteratorINSA_11use_defaultEEEEEENSH_IJSG_SG_EEES6_PlJ7is_evenIyEEEE10hipError_tPvRmT3_T4_T5_T6_T7_T9_mT8_P12ihipStream_tbDpT10_ENKUlT_T0_E_clISt17integral_constantIbLb0EES18_IbLb1EEEEDaS14_S15_EUlS14_E_NS1_11comp_targetILNS1_3genE10ELNS1_11target_archE1200ELNS1_3gpuE4ELNS1_3repE0EEENS1_30default_config_static_selectorELNS0_4arch9wavefront6targetE1EEEvT1_
                                        ; -- End function
	.section	.AMDGPU.csdata,"",@progbits
; Kernel info:
; codeLenInByte = 0
; NumSgprs: 4
; NumVgprs: 0
; NumAgprs: 0
; TotalNumVgprs: 0
; ScratchSize: 0
; MemoryBound: 0
; FloatMode: 240
; IeeeMode: 1
; LDSByteSize: 0 bytes/workgroup (compile time only)
; SGPRBlocks: 0
; VGPRBlocks: 0
; NumSGPRsForWavesPerEU: 4
; NumVGPRsForWavesPerEU: 1
; AccumOffset: 4
; Occupancy: 8
; WaveLimiterHint : 0
; COMPUTE_PGM_RSRC2:SCRATCH_EN: 0
; COMPUTE_PGM_RSRC2:USER_SGPR: 6
; COMPUTE_PGM_RSRC2:TRAP_HANDLER: 0
; COMPUTE_PGM_RSRC2:TGID_X_EN: 1
; COMPUTE_PGM_RSRC2:TGID_Y_EN: 0
; COMPUTE_PGM_RSRC2:TGID_Z_EN: 0
; COMPUTE_PGM_RSRC2:TIDIG_COMP_CNT: 0
; COMPUTE_PGM_RSRC3_GFX90A:ACCUM_OFFSET: 0
; COMPUTE_PGM_RSRC3_GFX90A:TG_SPLIT: 0
	.section	.text._ZN7rocprim17ROCPRIM_400000_NS6detail17trampoline_kernelINS0_14default_configENS1_25partition_config_selectorILNS1_17partition_subalgoE0EyNS0_10empty_typeEbEEZZNS1_14partition_implILS5_0ELb0ES3_jN6thrust23THRUST_200600_302600_NS6detail15normal_iteratorINSA_10device_ptrIyEEEEPS6_SG_NS0_5tupleIJSF_NSA_16discard_iteratorINSA_11use_defaultEEEEEENSH_IJSG_SG_EEES6_PlJ7is_evenIyEEEE10hipError_tPvRmT3_T4_T5_T6_T7_T9_mT8_P12ihipStream_tbDpT10_ENKUlT_T0_E_clISt17integral_constantIbLb0EES18_IbLb1EEEEDaS14_S15_EUlS14_E_NS1_11comp_targetILNS1_3genE9ELNS1_11target_archE1100ELNS1_3gpuE3ELNS1_3repE0EEENS1_30default_config_static_selectorELNS0_4arch9wavefront6targetE1EEEvT1_,"axG",@progbits,_ZN7rocprim17ROCPRIM_400000_NS6detail17trampoline_kernelINS0_14default_configENS1_25partition_config_selectorILNS1_17partition_subalgoE0EyNS0_10empty_typeEbEEZZNS1_14partition_implILS5_0ELb0ES3_jN6thrust23THRUST_200600_302600_NS6detail15normal_iteratorINSA_10device_ptrIyEEEEPS6_SG_NS0_5tupleIJSF_NSA_16discard_iteratorINSA_11use_defaultEEEEEENSH_IJSG_SG_EEES6_PlJ7is_evenIyEEEE10hipError_tPvRmT3_T4_T5_T6_T7_T9_mT8_P12ihipStream_tbDpT10_ENKUlT_T0_E_clISt17integral_constantIbLb0EES18_IbLb1EEEEDaS14_S15_EUlS14_E_NS1_11comp_targetILNS1_3genE9ELNS1_11target_archE1100ELNS1_3gpuE3ELNS1_3repE0EEENS1_30default_config_static_selectorELNS0_4arch9wavefront6targetE1EEEvT1_,comdat
	.protected	_ZN7rocprim17ROCPRIM_400000_NS6detail17trampoline_kernelINS0_14default_configENS1_25partition_config_selectorILNS1_17partition_subalgoE0EyNS0_10empty_typeEbEEZZNS1_14partition_implILS5_0ELb0ES3_jN6thrust23THRUST_200600_302600_NS6detail15normal_iteratorINSA_10device_ptrIyEEEEPS6_SG_NS0_5tupleIJSF_NSA_16discard_iteratorINSA_11use_defaultEEEEEENSH_IJSG_SG_EEES6_PlJ7is_evenIyEEEE10hipError_tPvRmT3_T4_T5_T6_T7_T9_mT8_P12ihipStream_tbDpT10_ENKUlT_T0_E_clISt17integral_constantIbLb0EES18_IbLb1EEEEDaS14_S15_EUlS14_E_NS1_11comp_targetILNS1_3genE9ELNS1_11target_archE1100ELNS1_3gpuE3ELNS1_3repE0EEENS1_30default_config_static_selectorELNS0_4arch9wavefront6targetE1EEEvT1_ ; -- Begin function _ZN7rocprim17ROCPRIM_400000_NS6detail17trampoline_kernelINS0_14default_configENS1_25partition_config_selectorILNS1_17partition_subalgoE0EyNS0_10empty_typeEbEEZZNS1_14partition_implILS5_0ELb0ES3_jN6thrust23THRUST_200600_302600_NS6detail15normal_iteratorINSA_10device_ptrIyEEEEPS6_SG_NS0_5tupleIJSF_NSA_16discard_iteratorINSA_11use_defaultEEEEEENSH_IJSG_SG_EEES6_PlJ7is_evenIyEEEE10hipError_tPvRmT3_T4_T5_T6_T7_T9_mT8_P12ihipStream_tbDpT10_ENKUlT_T0_E_clISt17integral_constantIbLb0EES18_IbLb1EEEEDaS14_S15_EUlS14_E_NS1_11comp_targetILNS1_3genE9ELNS1_11target_archE1100ELNS1_3gpuE3ELNS1_3repE0EEENS1_30default_config_static_selectorELNS0_4arch9wavefront6targetE1EEEvT1_
	.globl	_ZN7rocprim17ROCPRIM_400000_NS6detail17trampoline_kernelINS0_14default_configENS1_25partition_config_selectorILNS1_17partition_subalgoE0EyNS0_10empty_typeEbEEZZNS1_14partition_implILS5_0ELb0ES3_jN6thrust23THRUST_200600_302600_NS6detail15normal_iteratorINSA_10device_ptrIyEEEEPS6_SG_NS0_5tupleIJSF_NSA_16discard_iteratorINSA_11use_defaultEEEEEENSH_IJSG_SG_EEES6_PlJ7is_evenIyEEEE10hipError_tPvRmT3_T4_T5_T6_T7_T9_mT8_P12ihipStream_tbDpT10_ENKUlT_T0_E_clISt17integral_constantIbLb0EES18_IbLb1EEEEDaS14_S15_EUlS14_E_NS1_11comp_targetILNS1_3genE9ELNS1_11target_archE1100ELNS1_3gpuE3ELNS1_3repE0EEENS1_30default_config_static_selectorELNS0_4arch9wavefront6targetE1EEEvT1_
	.p2align	8
	.type	_ZN7rocprim17ROCPRIM_400000_NS6detail17trampoline_kernelINS0_14default_configENS1_25partition_config_selectorILNS1_17partition_subalgoE0EyNS0_10empty_typeEbEEZZNS1_14partition_implILS5_0ELb0ES3_jN6thrust23THRUST_200600_302600_NS6detail15normal_iteratorINSA_10device_ptrIyEEEEPS6_SG_NS0_5tupleIJSF_NSA_16discard_iteratorINSA_11use_defaultEEEEEENSH_IJSG_SG_EEES6_PlJ7is_evenIyEEEE10hipError_tPvRmT3_T4_T5_T6_T7_T9_mT8_P12ihipStream_tbDpT10_ENKUlT_T0_E_clISt17integral_constantIbLb0EES18_IbLb1EEEEDaS14_S15_EUlS14_E_NS1_11comp_targetILNS1_3genE9ELNS1_11target_archE1100ELNS1_3gpuE3ELNS1_3repE0EEENS1_30default_config_static_selectorELNS0_4arch9wavefront6targetE1EEEvT1_,@function
_ZN7rocprim17ROCPRIM_400000_NS6detail17trampoline_kernelINS0_14default_configENS1_25partition_config_selectorILNS1_17partition_subalgoE0EyNS0_10empty_typeEbEEZZNS1_14partition_implILS5_0ELb0ES3_jN6thrust23THRUST_200600_302600_NS6detail15normal_iteratorINSA_10device_ptrIyEEEEPS6_SG_NS0_5tupleIJSF_NSA_16discard_iteratorINSA_11use_defaultEEEEEENSH_IJSG_SG_EEES6_PlJ7is_evenIyEEEE10hipError_tPvRmT3_T4_T5_T6_T7_T9_mT8_P12ihipStream_tbDpT10_ENKUlT_T0_E_clISt17integral_constantIbLb0EES18_IbLb1EEEEDaS14_S15_EUlS14_E_NS1_11comp_targetILNS1_3genE9ELNS1_11target_archE1100ELNS1_3gpuE3ELNS1_3repE0EEENS1_30default_config_static_selectorELNS0_4arch9wavefront6targetE1EEEvT1_: ; @_ZN7rocprim17ROCPRIM_400000_NS6detail17trampoline_kernelINS0_14default_configENS1_25partition_config_selectorILNS1_17partition_subalgoE0EyNS0_10empty_typeEbEEZZNS1_14partition_implILS5_0ELb0ES3_jN6thrust23THRUST_200600_302600_NS6detail15normal_iteratorINSA_10device_ptrIyEEEEPS6_SG_NS0_5tupleIJSF_NSA_16discard_iteratorINSA_11use_defaultEEEEEENSH_IJSG_SG_EEES6_PlJ7is_evenIyEEEE10hipError_tPvRmT3_T4_T5_T6_T7_T9_mT8_P12ihipStream_tbDpT10_ENKUlT_T0_E_clISt17integral_constantIbLb0EES18_IbLb1EEEEDaS14_S15_EUlS14_E_NS1_11comp_targetILNS1_3genE9ELNS1_11target_archE1100ELNS1_3gpuE3ELNS1_3repE0EEENS1_30default_config_static_selectorELNS0_4arch9wavefront6targetE1EEEvT1_
; %bb.0:
	.section	.rodata,"a",@progbits
	.p2align	6, 0x0
	.amdhsa_kernel _ZN7rocprim17ROCPRIM_400000_NS6detail17trampoline_kernelINS0_14default_configENS1_25partition_config_selectorILNS1_17partition_subalgoE0EyNS0_10empty_typeEbEEZZNS1_14partition_implILS5_0ELb0ES3_jN6thrust23THRUST_200600_302600_NS6detail15normal_iteratorINSA_10device_ptrIyEEEEPS6_SG_NS0_5tupleIJSF_NSA_16discard_iteratorINSA_11use_defaultEEEEEENSH_IJSG_SG_EEES6_PlJ7is_evenIyEEEE10hipError_tPvRmT3_T4_T5_T6_T7_T9_mT8_P12ihipStream_tbDpT10_ENKUlT_T0_E_clISt17integral_constantIbLb0EES18_IbLb1EEEEDaS14_S15_EUlS14_E_NS1_11comp_targetILNS1_3genE9ELNS1_11target_archE1100ELNS1_3gpuE3ELNS1_3repE0EEENS1_30default_config_static_selectorELNS0_4arch9wavefront6targetE1EEEvT1_
		.amdhsa_group_segment_fixed_size 0
		.amdhsa_private_segment_fixed_size 0
		.amdhsa_kernarg_size 144
		.amdhsa_user_sgpr_count 6
		.amdhsa_user_sgpr_private_segment_buffer 1
		.amdhsa_user_sgpr_dispatch_ptr 0
		.amdhsa_user_sgpr_queue_ptr 0
		.amdhsa_user_sgpr_kernarg_segment_ptr 1
		.amdhsa_user_sgpr_dispatch_id 0
		.amdhsa_user_sgpr_flat_scratch_init 0
		.amdhsa_user_sgpr_kernarg_preload_length 0
		.amdhsa_user_sgpr_kernarg_preload_offset 0
		.amdhsa_user_sgpr_private_segment_size 0
		.amdhsa_uses_dynamic_stack 0
		.amdhsa_system_sgpr_private_segment_wavefront_offset 0
		.amdhsa_system_sgpr_workgroup_id_x 1
		.amdhsa_system_sgpr_workgroup_id_y 0
		.amdhsa_system_sgpr_workgroup_id_z 0
		.amdhsa_system_sgpr_workgroup_info 0
		.amdhsa_system_vgpr_workitem_id 0
		.amdhsa_next_free_vgpr 1
		.amdhsa_next_free_sgpr 0
		.amdhsa_accum_offset 4
		.amdhsa_reserve_vcc 0
		.amdhsa_reserve_flat_scratch 0
		.amdhsa_float_round_mode_32 0
		.amdhsa_float_round_mode_16_64 0
		.amdhsa_float_denorm_mode_32 3
		.amdhsa_float_denorm_mode_16_64 3
		.amdhsa_dx10_clamp 1
		.amdhsa_ieee_mode 1
		.amdhsa_fp16_overflow 0
		.amdhsa_tg_split 0
		.amdhsa_exception_fp_ieee_invalid_op 0
		.amdhsa_exception_fp_denorm_src 0
		.amdhsa_exception_fp_ieee_div_zero 0
		.amdhsa_exception_fp_ieee_overflow 0
		.amdhsa_exception_fp_ieee_underflow 0
		.amdhsa_exception_fp_ieee_inexact 0
		.amdhsa_exception_int_div_zero 0
	.end_amdhsa_kernel
	.section	.text._ZN7rocprim17ROCPRIM_400000_NS6detail17trampoline_kernelINS0_14default_configENS1_25partition_config_selectorILNS1_17partition_subalgoE0EyNS0_10empty_typeEbEEZZNS1_14partition_implILS5_0ELb0ES3_jN6thrust23THRUST_200600_302600_NS6detail15normal_iteratorINSA_10device_ptrIyEEEEPS6_SG_NS0_5tupleIJSF_NSA_16discard_iteratorINSA_11use_defaultEEEEEENSH_IJSG_SG_EEES6_PlJ7is_evenIyEEEE10hipError_tPvRmT3_T4_T5_T6_T7_T9_mT8_P12ihipStream_tbDpT10_ENKUlT_T0_E_clISt17integral_constantIbLb0EES18_IbLb1EEEEDaS14_S15_EUlS14_E_NS1_11comp_targetILNS1_3genE9ELNS1_11target_archE1100ELNS1_3gpuE3ELNS1_3repE0EEENS1_30default_config_static_selectorELNS0_4arch9wavefront6targetE1EEEvT1_,"axG",@progbits,_ZN7rocprim17ROCPRIM_400000_NS6detail17trampoline_kernelINS0_14default_configENS1_25partition_config_selectorILNS1_17partition_subalgoE0EyNS0_10empty_typeEbEEZZNS1_14partition_implILS5_0ELb0ES3_jN6thrust23THRUST_200600_302600_NS6detail15normal_iteratorINSA_10device_ptrIyEEEEPS6_SG_NS0_5tupleIJSF_NSA_16discard_iteratorINSA_11use_defaultEEEEEENSH_IJSG_SG_EEES6_PlJ7is_evenIyEEEE10hipError_tPvRmT3_T4_T5_T6_T7_T9_mT8_P12ihipStream_tbDpT10_ENKUlT_T0_E_clISt17integral_constantIbLb0EES18_IbLb1EEEEDaS14_S15_EUlS14_E_NS1_11comp_targetILNS1_3genE9ELNS1_11target_archE1100ELNS1_3gpuE3ELNS1_3repE0EEENS1_30default_config_static_selectorELNS0_4arch9wavefront6targetE1EEEvT1_,comdat
.Lfunc_end2361:
	.size	_ZN7rocprim17ROCPRIM_400000_NS6detail17trampoline_kernelINS0_14default_configENS1_25partition_config_selectorILNS1_17partition_subalgoE0EyNS0_10empty_typeEbEEZZNS1_14partition_implILS5_0ELb0ES3_jN6thrust23THRUST_200600_302600_NS6detail15normal_iteratorINSA_10device_ptrIyEEEEPS6_SG_NS0_5tupleIJSF_NSA_16discard_iteratorINSA_11use_defaultEEEEEENSH_IJSG_SG_EEES6_PlJ7is_evenIyEEEE10hipError_tPvRmT3_T4_T5_T6_T7_T9_mT8_P12ihipStream_tbDpT10_ENKUlT_T0_E_clISt17integral_constantIbLb0EES18_IbLb1EEEEDaS14_S15_EUlS14_E_NS1_11comp_targetILNS1_3genE9ELNS1_11target_archE1100ELNS1_3gpuE3ELNS1_3repE0EEENS1_30default_config_static_selectorELNS0_4arch9wavefront6targetE1EEEvT1_, .Lfunc_end2361-_ZN7rocprim17ROCPRIM_400000_NS6detail17trampoline_kernelINS0_14default_configENS1_25partition_config_selectorILNS1_17partition_subalgoE0EyNS0_10empty_typeEbEEZZNS1_14partition_implILS5_0ELb0ES3_jN6thrust23THRUST_200600_302600_NS6detail15normal_iteratorINSA_10device_ptrIyEEEEPS6_SG_NS0_5tupleIJSF_NSA_16discard_iteratorINSA_11use_defaultEEEEEENSH_IJSG_SG_EEES6_PlJ7is_evenIyEEEE10hipError_tPvRmT3_T4_T5_T6_T7_T9_mT8_P12ihipStream_tbDpT10_ENKUlT_T0_E_clISt17integral_constantIbLb0EES18_IbLb1EEEEDaS14_S15_EUlS14_E_NS1_11comp_targetILNS1_3genE9ELNS1_11target_archE1100ELNS1_3gpuE3ELNS1_3repE0EEENS1_30default_config_static_selectorELNS0_4arch9wavefront6targetE1EEEvT1_
                                        ; -- End function
	.section	.AMDGPU.csdata,"",@progbits
; Kernel info:
; codeLenInByte = 0
; NumSgprs: 4
; NumVgprs: 0
; NumAgprs: 0
; TotalNumVgprs: 0
; ScratchSize: 0
; MemoryBound: 0
; FloatMode: 240
; IeeeMode: 1
; LDSByteSize: 0 bytes/workgroup (compile time only)
; SGPRBlocks: 0
; VGPRBlocks: 0
; NumSGPRsForWavesPerEU: 4
; NumVGPRsForWavesPerEU: 1
; AccumOffset: 4
; Occupancy: 8
; WaveLimiterHint : 0
; COMPUTE_PGM_RSRC2:SCRATCH_EN: 0
; COMPUTE_PGM_RSRC2:USER_SGPR: 6
; COMPUTE_PGM_RSRC2:TRAP_HANDLER: 0
; COMPUTE_PGM_RSRC2:TGID_X_EN: 1
; COMPUTE_PGM_RSRC2:TGID_Y_EN: 0
; COMPUTE_PGM_RSRC2:TGID_Z_EN: 0
; COMPUTE_PGM_RSRC2:TIDIG_COMP_CNT: 0
; COMPUTE_PGM_RSRC3_GFX90A:ACCUM_OFFSET: 0
; COMPUTE_PGM_RSRC3_GFX90A:TG_SPLIT: 0
	.section	.text._ZN7rocprim17ROCPRIM_400000_NS6detail17trampoline_kernelINS0_14default_configENS1_25partition_config_selectorILNS1_17partition_subalgoE0EyNS0_10empty_typeEbEEZZNS1_14partition_implILS5_0ELb0ES3_jN6thrust23THRUST_200600_302600_NS6detail15normal_iteratorINSA_10device_ptrIyEEEEPS6_SG_NS0_5tupleIJSF_NSA_16discard_iteratorINSA_11use_defaultEEEEEENSH_IJSG_SG_EEES6_PlJ7is_evenIyEEEE10hipError_tPvRmT3_T4_T5_T6_T7_T9_mT8_P12ihipStream_tbDpT10_ENKUlT_T0_E_clISt17integral_constantIbLb0EES18_IbLb1EEEEDaS14_S15_EUlS14_E_NS1_11comp_targetILNS1_3genE8ELNS1_11target_archE1030ELNS1_3gpuE2ELNS1_3repE0EEENS1_30default_config_static_selectorELNS0_4arch9wavefront6targetE1EEEvT1_,"axG",@progbits,_ZN7rocprim17ROCPRIM_400000_NS6detail17trampoline_kernelINS0_14default_configENS1_25partition_config_selectorILNS1_17partition_subalgoE0EyNS0_10empty_typeEbEEZZNS1_14partition_implILS5_0ELb0ES3_jN6thrust23THRUST_200600_302600_NS6detail15normal_iteratorINSA_10device_ptrIyEEEEPS6_SG_NS0_5tupleIJSF_NSA_16discard_iteratorINSA_11use_defaultEEEEEENSH_IJSG_SG_EEES6_PlJ7is_evenIyEEEE10hipError_tPvRmT3_T4_T5_T6_T7_T9_mT8_P12ihipStream_tbDpT10_ENKUlT_T0_E_clISt17integral_constantIbLb0EES18_IbLb1EEEEDaS14_S15_EUlS14_E_NS1_11comp_targetILNS1_3genE8ELNS1_11target_archE1030ELNS1_3gpuE2ELNS1_3repE0EEENS1_30default_config_static_selectorELNS0_4arch9wavefront6targetE1EEEvT1_,comdat
	.protected	_ZN7rocprim17ROCPRIM_400000_NS6detail17trampoline_kernelINS0_14default_configENS1_25partition_config_selectorILNS1_17partition_subalgoE0EyNS0_10empty_typeEbEEZZNS1_14partition_implILS5_0ELb0ES3_jN6thrust23THRUST_200600_302600_NS6detail15normal_iteratorINSA_10device_ptrIyEEEEPS6_SG_NS0_5tupleIJSF_NSA_16discard_iteratorINSA_11use_defaultEEEEEENSH_IJSG_SG_EEES6_PlJ7is_evenIyEEEE10hipError_tPvRmT3_T4_T5_T6_T7_T9_mT8_P12ihipStream_tbDpT10_ENKUlT_T0_E_clISt17integral_constantIbLb0EES18_IbLb1EEEEDaS14_S15_EUlS14_E_NS1_11comp_targetILNS1_3genE8ELNS1_11target_archE1030ELNS1_3gpuE2ELNS1_3repE0EEENS1_30default_config_static_selectorELNS0_4arch9wavefront6targetE1EEEvT1_ ; -- Begin function _ZN7rocprim17ROCPRIM_400000_NS6detail17trampoline_kernelINS0_14default_configENS1_25partition_config_selectorILNS1_17partition_subalgoE0EyNS0_10empty_typeEbEEZZNS1_14partition_implILS5_0ELb0ES3_jN6thrust23THRUST_200600_302600_NS6detail15normal_iteratorINSA_10device_ptrIyEEEEPS6_SG_NS0_5tupleIJSF_NSA_16discard_iteratorINSA_11use_defaultEEEEEENSH_IJSG_SG_EEES6_PlJ7is_evenIyEEEE10hipError_tPvRmT3_T4_T5_T6_T7_T9_mT8_P12ihipStream_tbDpT10_ENKUlT_T0_E_clISt17integral_constantIbLb0EES18_IbLb1EEEEDaS14_S15_EUlS14_E_NS1_11comp_targetILNS1_3genE8ELNS1_11target_archE1030ELNS1_3gpuE2ELNS1_3repE0EEENS1_30default_config_static_selectorELNS0_4arch9wavefront6targetE1EEEvT1_
	.globl	_ZN7rocprim17ROCPRIM_400000_NS6detail17trampoline_kernelINS0_14default_configENS1_25partition_config_selectorILNS1_17partition_subalgoE0EyNS0_10empty_typeEbEEZZNS1_14partition_implILS5_0ELb0ES3_jN6thrust23THRUST_200600_302600_NS6detail15normal_iteratorINSA_10device_ptrIyEEEEPS6_SG_NS0_5tupleIJSF_NSA_16discard_iteratorINSA_11use_defaultEEEEEENSH_IJSG_SG_EEES6_PlJ7is_evenIyEEEE10hipError_tPvRmT3_T4_T5_T6_T7_T9_mT8_P12ihipStream_tbDpT10_ENKUlT_T0_E_clISt17integral_constantIbLb0EES18_IbLb1EEEEDaS14_S15_EUlS14_E_NS1_11comp_targetILNS1_3genE8ELNS1_11target_archE1030ELNS1_3gpuE2ELNS1_3repE0EEENS1_30default_config_static_selectorELNS0_4arch9wavefront6targetE1EEEvT1_
	.p2align	8
	.type	_ZN7rocprim17ROCPRIM_400000_NS6detail17trampoline_kernelINS0_14default_configENS1_25partition_config_selectorILNS1_17partition_subalgoE0EyNS0_10empty_typeEbEEZZNS1_14partition_implILS5_0ELb0ES3_jN6thrust23THRUST_200600_302600_NS6detail15normal_iteratorINSA_10device_ptrIyEEEEPS6_SG_NS0_5tupleIJSF_NSA_16discard_iteratorINSA_11use_defaultEEEEEENSH_IJSG_SG_EEES6_PlJ7is_evenIyEEEE10hipError_tPvRmT3_T4_T5_T6_T7_T9_mT8_P12ihipStream_tbDpT10_ENKUlT_T0_E_clISt17integral_constantIbLb0EES18_IbLb1EEEEDaS14_S15_EUlS14_E_NS1_11comp_targetILNS1_3genE8ELNS1_11target_archE1030ELNS1_3gpuE2ELNS1_3repE0EEENS1_30default_config_static_selectorELNS0_4arch9wavefront6targetE1EEEvT1_,@function
_ZN7rocprim17ROCPRIM_400000_NS6detail17trampoline_kernelINS0_14default_configENS1_25partition_config_selectorILNS1_17partition_subalgoE0EyNS0_10empty_typeEbEEZZNS1_14partition_implILS5_0ELb0ES3_jN6thrust23THRUST_200600_302600_NS6detail15normal_iteratorINSA_10device_ptrIyEEEEPS6_SG_NS0_5tupleIJSF_NSA_16discard_iteratorINSA_11use_defaultEEEEEENSH_IJSG_SG_EEES6_PlJ7is_evenIyEEEE10hipError_tPvRmT3_T4_T5_T6_T7_T9_mT8_P12ihipStream_tbDpT10_ENKUlT_T0_E_clISt17integral_constantIbLb0EES18_IbLb1EEEEDaS14_S15_EUlS14_E_NS1_11comp_targetILNS1_3genE8ELNS1_11target_archE1030ELNS1_3gpuE2ELNS1_3repE0EEENS1_30default_config_static_selectorELNS0_4arch9wavefront6targetE1EEEvT1_: ; @_ZN7rocprim17ROCPRIM_400000_NS6detail17trampoline_kernelINS0_14default_configENS1_25partition_config_selectorILNS1_17partition_subalgoE0EyNS0_10empty_typeEbEEZZNS1_14partition_implILS5_0ELb0ES3_jN6thrust23THRUST_200600_302600_NS6detail15normal_iteratorINSA_10device_ptrIyEEEEPS6_SG_NS0_5tupleIJSF_NSA_16discard_iteratorINSA_11use_defaultEEEEEENSH_IJSG_SG_EEES6_PlJ7is_evenIyEEEE10hipError_tPvRmT3_T4_T5_T6_T7_T9_mT8_P12ihipStream_tbDpT10_ENKUlT_T0_E_clISt17integral_constantIbLb0EES18_IbLb1EEEEDaS14_S15_EUlS14_E_NS1_11comp_targetILNS1_3genE8ELNS1_11target_archE1030ELNS1_3gpuE2ELNS1_3repE0EEENS1_30default_config_static_selectorELNS0_4arch9wavefront6targetE1EEEvT1_
; %bb.0:
	.section	.rodata,"a",@progbits
	.p2align	6, 0x0
	.amdhsa_kernel _ZN7rocprim17ROCPRIM_400000_NS6detail17trampoline_kernelINS0_14default_configENS1_25partition_config_selectorILNS1_17partition_subalgoE0EyNS0_10empty_typeEbEEZZNS1_14partition_implILS5_0ELb0ES3_jN6thrust23THRUST_200600_302600_NS6detail15normal_iteratorINSA_10device_ptrIyEEEEPS6_SG_NS0_5tupleIJSF_NSA_16discard_iteratorINSA_11use_defaultEEEEEENSH_IJSG_SG_EEES6_PlJ7is_evenIyEEEE10hipError_tPvRmT3_T4_T5_T6_T7_T9_mT8_P12ihipStream_tbDpT10_ENKUlT_T0_E_clISt17integral_constantIbLb0EES18_IbLb1EEEEDaS14_S15_EUlS14_E_NS1_11comp_targetILNS1_3genE8ELNS1_11target_archE1030ELNS1_3gpuE2ELNS1_3repE0EEENS1_30default_config_static_selectorELNS0_4arch9wavefront6targetE1EEEvT1_
		.amdhsa_group_segment_fixed_size 0
		.amdhsa_private_segment_fixed_size 0
		.amdhsa_kernarg_size 144
		.amdhsa_user_sgpr_count 6
		.amdhsa_user_sgpr_private_segment_buffer 1
		.amdhsa_user_sgpr_dispatch_ptr 0
		.amdhsa_user_sgpr_queue_ptr 0
		.amdhsa_user_sgpr_kernarg_segment_ptr 1
		.amdhsa_user_sgpr_dispatch_id 0
		.amdhsa_user_sgpr_flat_scratch_init 0
		.amdhsa_user_sgpr_kernarg_preload_length 0
		.amdhsa_user_sgpr_kernarg_preload_offset 0
		.amdhsa_user_sgpr_private_segment_size 0
		.amdhsa_uses_dynamic_stack 0
		.amdhsa_system_sgpr_private_segment_wavefront_offset 0
		.amdhsa_system_sgpr_workgroup_id_x 1
		.amdhsa_system_sgpr_workgroup_id_y 0
		.amdhsa_system_sgpr_workgroup_id_z 0
		.amdhsa_system_sgpr_workgroup_info 0
		.amdhsa_system_vgpr_workitem_id 0
		.amdhsa_next_free_vgpr 1
		.amdhsa_next_free_sgpr 0
		.amdhsa_accum_offset 4
		.amdhsa_reserve_vcc 0
		.amdhsa_reserve_flat_scratch 0
		.amdhsa_float_round_mode_32 0
		.amdhsa_float_round_mode_16_64 0
		.amdhsa_float_denorm_mode_32 3
		.amdhsa_float_denorm_mode_16_64 3
		.amdhsa_dx10_clamp 1
		.amdhsa_ieee_mode 1
		.amdhsa_fp16_overflow 0
		.amdhsa_tg_split 0
		.amdhsa_exception_fp_ieee_invalid_op 0
		.amdhsa_exception_fp_denorm_src 0
		.amdhsa_exception_fp_ieee_div_zero 0
		.amdhsa_exception_fp_ieee_overflow 0
		.amdhsa_exception_fp_ieee_underflow 0
		.amdhsa_exception_fp_ieee_inexact 0
		.amdhsa_exception_int_div_zero 0
	.end_amdhsa_kernel
	.section	.text._ZN7rocprim17ROCPRIM_400000_NS6detail17trampoline_kernelINS0_14default_configENS1_25partition_config_selectorILNS1_17partition_subalgoE0EyNS0_10empty_typeEbEEZZNS1_14partition_implILS5_0ELb0ES3_jN6thrust23THRUST_200600_302600_NS6detail15normal_iteratorINSA_10device_ptrIyEEEEPS6_SG_NS0_5tupleIJSF_NSA_16discard_iteratorINSA_11use_defaultEEEEEENSH_IJSG_SG_EEES6_PlJ7is_evenIyEEEE10hipError_tPvRmT3_T4_T5_T6_T7_T9_mT8_P12ihipStream_tbDpT10_ENKUlT_T0_E_clISt17integral_constantIbLb0EES18_IbLb1EEEEDaS14_S15_EUlS14_E_NS1_11comp_targetILNS1_3genE8ELNS1_11target_archE1030ELNS1_3gpuE2ELNS1_3repE0EEENS1_30default_config_static_selectorELNS0_4arch9wavefront6targetE1EEEvT1_,"axG",@progbits,_ZN7rocprim17ROCPRIM_400000_NS6detail17trampoline_kernelINS0_14default_configENS1_25partition_config_selectorILNS1_17partition_subalgoE0EyNS0_10empty_typeEbEEZZNS1_14partition_implILS5_0ELb0ES3_jN6thrust23THRUST_200600_302600_NS6detail15normal_iteratorINSA_10device_ptrIyEEEEPS6_SG_NS0_5tupleIJSF_NSA_16discard_iteratorINSA_11use_defaultEEEEEENSH_IJSG_SG_EEES6_PlJ7is_evenIyEEEE10hipError_tPvRmT3_T4_T5_T6_T7_T9_mT8_P12ihipStream_tbDpT10_ENKUlT_T0_E_clISt17integral_constantIbLb0EES18_IbLb1EEEEDaS14_S15_EUlS14_E_NS1_11comp_targetILNS1_3genE8ELNS1_11target_archE1030ELNS1_3gpuE2ELNS1_3repE0EEENS1_30default_config_static_selectorELNS0_4arch9wavefront6targetE1EEEvT1_,comdat
.Lfunc_end2362:
	.size	_ZN7rocprim17ROCPRIM_400000_NS6detail17trampoline_kernelINS0_14default_configENS1_25partition_config_selectorILNS1_17partition_subalgoE0EyNS0_10empty_typeEbEEZZNS1_14partition_implILS5_0ELb0ES3_jN6thrust23THRUST_200600_302600_NS6detail15normal_iteratorINSA_10device_ptrIyEEEEPS6_SG_NS0_5tupleIJSF_NSA_16discard_iteratorINSA_11use_defaultEEEEEENSH_IJSG_SG_EEES6_PlJ7is_evenIyEEEE10hipError_tPvRmT3_T4_T5_T6_T7_T9_mT8_P12ihipStream_tbDpT10_ENKUlT_T0_E_clISt17integral_constantIbLb0EES18_IbLb1EEEEDaS14_S15_EUlS14_E_NS1_11comp_targetILNS1_3genE8ELNS1_11target_archE1030ELNS1_3gpuE2ELNS1_3repE0EEENS1_30default_config_static_selectorELNS0_4arch9wavefront6targetE1EEEvT1_, .Lfunc_end2362-_ZN7rocprim17ROCPRIM_400000_NS6detail17trampoline_kernelINS0_14default_configENS1_25partition_config_selectorILNS1_17partition_subalgoE0EyNS0_10empty_typeEbEEZZNS1_14partition_implILS5_0ELb0ES3_jN6thrust23THRUST_200600_302600_NS6detail15normal_iteratorINSA_10device_ptrIyEEEEPS6_SG_NS0_5tupleIJSF_NSA_16discard_iteratorINSA_11use_defaultEEEEEENSH_IJSG_SG_EEES6_PlJ7is_evenIyEEEE10hipError_tPvRmT3_T4_T5_T6_T7_T9_mT8_P12ihipStream_tbDpT10_ENKUlT_T0_E_clISt17integral_constantIbLb0EES18_IbLb1EEEEDaS14_S15_EUlS14_E_NS1_11comp_targetILNS1_3genE8ELNS1_11target_archE1030ELNS1_3gpuE2ELNS1_3repE0EEENS1_30default_config_static_selectorELNS0_4arch9wavefront6targetE1EEEvT1_
                                        ; -- End function
	.section	.AMDGPU.csdata,"",@progbits
; Kernel info:
; codeLenInByte = 0
; NumSgprs: 4
; NumVgprs: 0
; NumAgprs: 0
; TotalNumVgprs: 0
; ScratchSize: 0
; MemoryBound: 0
; FloatMode: 240
; IeeeMode: 1
; LDSByteSize: 0 bytes/workgroup (compile time only)
; SGPRBlocks: 0
; VGPRBlocks: 0
; NumSGPRsForWavesPerEU: 4
; NumVGPRsForWavesPerEU: 1
; AccumOffset: 4
; Occupancy: 8
; WaveLimiterHint : 0
; COMPUTE_PGM_RSRC2:SCRATCH_EN: 0
; COMPUTE_PGM_RSRC2:USER_SGPR: 6
; COMPUTE_PGM_RSRC2:TRAP_HANDLER: 0
; COMPUTE_PGM_RSRC2:TGID_X_EN: 1
; COMPUTE_PGM_RSRC2:TGID_Y_EN: 0
; COMPUTE_PGM_RSRC2:TGID_Z_EN: 0
; COMPUTE_PGM_RSRC2:TIDIG_COMP_CNT: 0
; COMPUTE_PGM_RSRC3_GFX90A:ACCUM_OFFSET: 0
; COMPUTE_PGM_RSRC3_GFX90A:TG_SPLIT: 0
	.section	.text._ZN7rocprim17ROCPRIM_400000_NS6detail17trampoline_kernelINS0_14default_configENS1_25partition_config_selectorILNS1_17partition_subalgoE0EyNS0_10empty_typeEbEEZZNS1_14partition_implILS5_0ELb0ES3_jN6thrust23THRUST_200600_302600_NS6detail15normal_iteratorINSA_10device_ptrIyEEEEPS6_SG_NS0_5tupleIJNSA_16discard_iteratorINSA_11use_defaultEEESF_EEENSH_IJSG_SG_EEES6_PlJ7is_evenIyEEEE10hipError_tPvRmT3_T4_T5_T6_T7_T9_mT8_P12ihipStream_tbDpT10_ENKUlT_T0_E_clISt17integral_constantIbLb0EES19_EEDaS14_S15_EUlS14_E_NS1_11comp_targetILNS1_3genE0ELNS1_11target_archE4294967295ELNS1_3gpuE0ELNS1_3repE0EEENS1_30default_config_static_selectorELNS0_4arch9wavefront6targetE1EEEvT1_,"axG",@progbits,_ZN7rocprim17ROCPRIM_400000_NS6detail17trampoline_kernelINS0_14default_configENS1_25partition_config_selectorILNS1_17partition_subalgoE0EyNS0_10empty_typeEbEEZZNS1_14partition_implILS5_0ELb0ES3_jN6thrust23THRUST_200600_302600_NS6detail15normal_iteratorINSA_10device_ptrIyEEEEPS6_SG_NS0_5tupleIJNSA_16discard_iteratorINSA_11use_defaultEEESF_EEENSH_IJSG_SG_EEES6_PlJ7is_evenIyEEEE10hipError_tPvRmT3_T4_T5_T6_T7_T9_mT8_P12ihipStream_tbDpT10_ENKUlT_T0_E_clISt17integral_constantIbLb0EES19_EEDaS14_S15_EUlS14_E_NS1_11comp_targetILNS1_3genE0ELNS1_11target_archE4294967295ELNS1_3gpuE0ELNS1_3repE0EEENS1_30default_config_static_selectorELNS0_4arch9wavefront6targetE1EEEvT1_,comdat
	.protected	_ZN7rocprim17ROCPRIM_400000_NS6detail17trampoline_kernelINS0_14default_configENS1_25partition_config_selectorILNS1_17partition_subalgoE0EyNS0_10empty_typeEbEEZZNS1_14partition_implILS5_0ELb0ES3_jN6thrust23THRUST_200600_302600_NS6detail15normal_iteratorINSA_10device_ptrIyEEEEPS6_SG_NS0_5tupleIJNSA_16discard_iteratorINSA_11use_defaultEEESF_EEENSH_IJSG_SG_EEES6_PlJ7is_evenIyEEEE10hipError_tPvRmT3_T4_T5_T6_T7_T9_mT8_P12ihipStream_tbDpT10_ENKUlT_T0_E_clISt17integral_constantIbLb0EES19_EEDaS14_S15_EUlS14_E_NS1_11comp_targetILNS1_3genE0ELNS1_11target_archE4294967295ELNS1_3gpuE0ELNS1_3repE0EEENS1_30default_config_static_selectorELNS0_4arch9wavefront6targetE1EEEvT1_ ; -- Begin function _ZN7rocprim17ROCPRIM_400000_NS6detail17trampoline_kernelINS0_14default_configENS1_25partition_config_selectorILNS1_17partition_subalgoE0EyNS0_10empty_typeEbEEZZNS1_14partition_implILS5_0ELb0ES3_jN6thrust23THRUST_200600_302600_NS6detail15normal_iteratorINSA_10device_ptrIyEEEEPS6_SG_NS0_5tupleIJNSA_16discard_iteratorINSA_11use_defaultEEESF_EEENSH_IJSG_SG_EEES6_PlJ7is_evenIyEEEE10hipError_tPvRmT3_T4_T5_T6_T7_T9_mT8_P12ihipStream_tbDpT10_ENKUlT_T0_E_clISt17integral_constantIbLb0EES19_EEDaS14_S15_EUlS14_E_NS1_11comp_targetILNS1_3genE0ELNS1_11target_archE4294967295ELNS1_3gpuE0ELNS1_3repE0EEENS1_30default_config_static_selectorELNS0_4arch9wavefront6targetE1EEEvT1_
	.globl	_ZN7rocprim17ROCPRIM_400000_NS6detail17trampoline_kernelINS0_14default_configENS1_25partition_config_selectorILNS1_17partition_subalgoE0EyNS0_10empty_typeEbEEZZNS1_14partition_implILS5_0ELb0ES3_jN6thrust23THRUST_200600_302600_NS6detail15normal_iteratorINSA_10device_ptrIyEEEEPS6_SG_NS0_5tupleIJNSA_16discard_iteratorINSA_11use_defaultEEESF_EEENSH_IJSG_SG_EEES6_PlJ7is_evenIyEEEE10hipError_tPvRmT3_T4_T5_T6_T7_T9_mT8_P12ihipStream_tbDpT10_ENKUlT_T0_E_clISt17integral_constantIbLb0EES19_EEDaS14_S15_EUlS14_E_NS1_11comp_targetILNS1_3genE0ELNS1_11target_archE4294967295ELNS1_3gpuE0ELNS1_3repE0EEENS1_30default_config_static_selectorELNS0_4arch9wavefront6targetE1EEEvT1_
	.p2align	8
	.type	_ZN7rocprim17ROCPRIM_400000_NS6detail17trampoline_kernelINS0_14default_configENS1_25partition_config_selectorILNS1_17partition_subalgoE0EyNS0_10empty_typeEbEEZZNS1_14partition_implILS5_0ELb0ES3_jN6thrust23THRUST_200600_302600_NS6detail15normal_iteratorINSA_10device_ptrIyEEEEPS6_SG_NS0_5tupleIJNSA_16discard_iteratorINSA_11use_defaultEEESF_EEENSH_IJSG_SG_EEES6_PlJ7is_evenIyEEEE10hipError_tPvRmT3_T4_T5_T6_T7_T9_mT8_P12ihipStream_tbDpT10_ENKUlT_T0_E_clISt17integral_constantIbLb0EES19_EEDaS14_S15_EUlS14_E_NS1_11comp_targetILNS1_3genE0ELNS1_11target_archE4294967295ELNS1_3gpuE0ELNS1_3repE0EEENS1_30default_config_static_selectorELNS0_4arch9wavefront6targetE1EEEvT1_,@function
_ZN7rocprim17ROCPRIM_400000_NS6detail17trampoline_kernelINS0_14default_configENS1_25partition_config_selectorILNS1_17partition_subalgoE0EyNS0_10empty_typeEbEEZZNS1_14partition_implILS5_0ELb0ES3_jN6thrust23THRUST_200600_302600_NS6detail15normal_iteratorINSA_10device_ptrIyEEEEPS6_SG_NS0_5tupleIJNSA_16discard_iteratorINSA_11use_defaultEEESF_EEENSH_IJSG_SG_EEES6_PlJ7is_evenIyEEEE10hipError_tPvRmT3_T4_T5_T6_T7_T9_mT8_P12ihipStream_tbDpT10_ENKUlT_T0_E_clISt17integral_constantIbLb0EES19_EEDaS14_S15_EUlS14_E_NS1_11comp_targetILNS1_3genE0ELNS1_11target_archE4294967295ELNS1_3gpuE0ELNS1_3repE0EEENS1_30default_config_static_selectorELNS0_4arch9wavefront6targetE1EEEvT1_: ; @_ZN7rocprim17ROCPRIM_400000_NS6detail17trampoline_kernelINS0_14default_configENS1_25partition_config_selectorILNS1_17partition_subalgoE0EyNS0_10empty_typeEbEEZZNS1_14partition_implILS5_0ELb0ES3_jN6thrust23THRUST_200600_302600_NS6detail15normal_iteratorINSA_10device_ptrIyEEEEPS6_SG_NS0_5tupleIJNSA_16discard_iteratorINSA_11use_defaultEEESF_EEENSH_IJSG_SG_EEES6_PlJ7is_evenIyEEEE10hipError_tPvRmT3_T4_T5_T6_T7_T9_mT8_P12ihipStream_tbDpT10_ENKUlT_T0_E_clISt17integral_constantIbLb0EES19_EEDaS14_S15_EUlS14_E_NS1_11comp_targetILNS1_3genE0ELNS1_11target_archE4294967295ELNS1_3gpuE0ELNS1_3repE0EEENS1_30default_config_static_selectorELNS0_4arch9wavefront6targetE1EEEvT1_
; %bb.0:
	.section	.rodata,"a",@progbits
	.p2align	6, 0x0
	.amdhsa_kernel _ZN7rocprim17ROCPRIM_400000_NS6detail17trampoline_kernelINS0_14default_configENS1_25partition_config_selectorILNS1_17partition_subalgoE0EyNS0_10empty_typeEbEEZZNS1_14partition_implILS5_0ELb0ES3_jN6thrust23THRUST_200600_302600_NS6detail15normal_iteratorINSA_10device_ptrIyEEEEPS6_SG_NS0_5tupleIJNSA_16discard_iteratorINSA_11use_defaultEEESF_EEENSH_IJSG_SG_EEES6_PlJ7is_evenIyEEEE10hipError_tPvRmT3_T4_T5_T6_T7_T9_mT8_P12ihipStream_tbDpT10_ENKUlT_T0_E_clISt17integral_constantIbLb0EES19_EEDaS14_S15_EUlS14_E_NS1_11comp_targetILNS1_3genE0ELNS1_11target_archE4294967295ELNS1_3gpuE0ELNS1_3repE0EEENS1_30default_config_static_selectorELNS0_4arch9wavefront6targetE1EEEvT1_
		.amdhsa_group_segment_fixed_size 0
		.amdhsa_private_segment_fixed_size 0
		.amdhsa_kernarg_size 128
		.amdhsa_user_sgpr_count 6
		.amdhsa_user_sgpr_private_segment_buffer 1
		.amdhsa_user_sgpr_dispatch_ptr 0
		.amdhsa_user_sgpr_queue_ptr 0
		.amdhsa_user_sgpr_kernarg_segment_ptr 1
		.amdhsa_user_sgpr_dispatch_id 0
		.amdhsa_user_sgpr_flat_scratch_init 0
		.amdhsa_user_sgpr_kernarg_preload_length 0
		.amdhsa_user_sgpr_kernarg_preload_offset 0
		.amdhsa_user_sgpr_private_segment_size 0
		.amdhsa_uses_dynamic_stack 0
		.amdhsa_system_sgpr_private_segment_wavefront_offset 0
		.amdhsa_system_sgpr_workgroup_id_x 1
		.amdhsa_system_sgpr_workgroup_id_y 0
		.amdhsa_system_sgpr_workgroup_id_z 0
		.amdhsa_system_sgpr_workgroup_info 0
		.amdhsa_system_vgpr_workitem_id 0
		.amdhsa_next_free_vgpr 1
		.amdhsa_next_free_sgpr 0
		.amdhsa_accum_offset 4
		.amdhsa_reserve_vcc 0
		.amdhsa_reserve_flat_scratch 0
		.amdhsa_float_round_mode_32 0
		.amdhsa_float_round_mode_16_64 0
		.amdhsa_float_denorm_mode_32 3
		.amdhsa_float_denorm_mode_16_64 3
		.amdhsa_dx10_clamp 1
		.amdhsa_ieee_mode 1
		.amdhsa_fp16_overflow 0
		.amdhsa_tg_split 0
		.amdhsa_exception_fp_ieee_invalid_op 0
		.amdhsa_exception_fp_denorm_src 0
		.amdhsa_exception_fp_ieee_div_zero 0
		.amdhsa_exception_fp_ieee_overflow 0
		.amdhsa_exception_fp_ieee_underflow 0
		.amdhsa_exception_fp_ieee_inexact 0
		.amdhsa_exception_int_div_zero 0
	.end_amdhsa_kernel
	.section	.text._ZN7rocprim17ROCPRIM_400000_NS6detail17trampoline_kernelINS0_14default_configENS1_25partition_config_selectorILNS1_17partition_subalgoE0EyNS0_10empty_typeEbEEZZNS1_14partition_implILS5_0ELb0ES3_jN6thrust23THRUST_200600_302600_NS6detail15normal_iteratorINSA_10device_ptrIyEEEEPS6_SG_NS0_5tupleIJNSA_16discard_iteratorINSA_11use_defaultEEESF_EEENSH_IJSG_SG_EEES6_PlJ7is_evenIyEEEE10hipError_tPvRmT3_T4_T5_T6_T7_T9_mT8_P12ihipStream_tbDpT10_ENKUlT_T0_E_clISt17integral_constantIbLb0EES19_EEDaS14_S15_EUlS14_E_NS1_11comp_targetILNS1_3genE0ELNS1_11target_archE4294967295ELNS1_3gpuE0ELNS1_3repE0EEENS1_30default_config_static_selectorELNS0_4arch9wavefront6targetE1EEEvT1_,"axG",@progbits,_ZN7rocprim17ROCPRIM_400000_NS6detail17trampoline_kernelINS0_14default_configENS1_25partition_config_selectorILNS1_17partition_subalgoE0EyNS0_10empty_typeEbEEZZNS1_14partition_implILS5_0ELb0ES3_jN6thrust23THRUST_200600_302600_NS6detail15normal_iteratorINSA_10device_ptrIyEEEEPS6_SG_NS0_5tupleIJNSA_16discard_iteratorINSA_11use_defaultEEESF_EEENSH_IJSG_SG_EEES6_PlJ7is_evenIyEEEE10hipError_tPvRmT3_T4_T5_T6_T7_T9_mT8_P12ihipStream_tbDpT10_ENKUlT_T0_E_clISt17integral_constantIbLb0EES19_EEDaS14_S15_EUlS14_E_NS1_11comp_targetILNS1_3genE0ELNS1_11target_archE4294967295ELNS1_3gpuE0ELNS1_3repE0EEENS1_30default_config_static_selectorELNS0_4arch9wavefront6targetE1EEEvT1_,comdat
.Lfunc_end2363:
	.size	_ZN7rocprim17ROCPRIM_400000_NS6detail17trampoline_kernelINS0_14default_configENS1_25partition_config_selectorILNS1_17partition_subalgoE0EyNS0_10empty_typeEbEEZZNS1_14partition_implILS5_0ELb0ES3_jN6thrust23THRUST_200600_302600_NS6detail15normal_iteratorINSA_10device_ptrIyEEEEPS6_SG_NS0_5tupleIJNSA_16discard_iteratorINSA_11use_defaultEEESF_EEENSH_IJSG_SG_EEES6_PlJ7is_evenIyEEEE10hipError_tPvRmT3_T4_T5_T6_T7_T9_mT8_P12ihipStream_tbDpT10_ENKUlT_T0_E_clISt17integral_constantIbLb0EES19_EEDaS14_S15_EUlS14_E_NS1_11comp_targetILNS1_3genE0ELNS1_11target_archE4294967295ELNS1_3gpuE0ELNS1_3repE0EEENS1_30default_config_static_selectorELNS0_4arch9wavefront6targetE1EEEvT1_, .Lfunc_end2363-_ZN7rocprim17ROCPRIM_400000_NS6detail17trampoline_kernelINS0_14default_configENS1_25partition_config_selectorILNS1_17partition_subalgoE0EyNS0_10empty_typeEbEEZZNS1_14partition_implILS5_0ELb0ES3_jN6thrust23THRUST_200600_302600_NS6detail15normal_iteratorINSA_10device_ptrIyEEEEPS6_SG_NS0_5tupleIJNSA_16discard_iteratorINSA_11use_defaultEEESF_EEENSH_IJSG_SG_EEES6_PlJ7is_evenIyEEEE10hipError_tPvRmT3_T4_T5_T6_T7_T9_mT8_P12ihipStream_tbDpT10_ENKUlT_T0_E_clISt17integral_constantIbLb0EES19_EEDaS14_S15_EUlS14_E_NS1_11comp_targetILNS1_3genE0ELNS1_11target_archE4294967295ELNS1_3gpuE0ELNS1_3repE0EEENS1_30default_config_static_selectorELNS0_4arch9wavefront6targetE1EEEvT1_
                                        ; -- End function
	.section	.AMDGPU.csdata,"",@progbits
; Kernel info:
; codeLenInByte = 0
; NumSgprs: 4
; NumVgprs: 0
; NumAgprs: 0
; TotalNumVgprs: 0
; ScratchSize: 0
; MemoryBound: 0
; FloatMode: 240
; IeeeMode: 1
; LDSByteSize: 0 bytes/workgroup (compile time only)
; SGPRBlocks: 0
; VGPRBlocks: 0
; NumSGPRsForWavesPerEU: 4
; NumVGPRsForWavesPerEU: 1
; AccumOffset: 4
; Occupancy: 8
; WaveLimiterHint : 0
; COMPUTE_PGM_RSRC2:SCRATCH_EN: 0
; COMPUTE_PGM_RSRC2:USER_SGPR: 6
; COMPUTE_PGM_RSRC2:TRAP_HANDLER: 0
; COMPUTE_PGM_RSRC2:TGID_X_EN: 1
; COMPUTE_PGM_RSRC2:TGID_Y_EN: 0
; COMPUTE_PGM_RSRC2:TGID_Z_EN: 0
; COMPUTE_PGM_RSRC2:TIDIG_COMP_CNT: 0
; COMPUTE_PGM_RSRC3_GFX90A:ACCUM_OFFSET: 0
; COMPUTE_PGM_RSRC3_GFX90A:TG_SPLIT: 0
	.section	.text._ZN7rocprim17ROCPRIM_400000_NS6detail17trampoline_kernelINS0_14default_configENS1_25partition_config_selectorILNS1_17partition_subalgoE0EyNS0_10empty_typeEbEEZZNS1_14partition_implILS5_0ELb0ES3_jN6thrust23THRUST_200600_302600_NS6detail15normal_iteratorINSA_10device_ptrIyEEEEPS6_SG_NS0_5tupleIJNSA_16discard_iteratorINSA_11use_defaultEEESF_EEENSH_IJSG_SG_EEES6_PlJ7is_evenIyEEEE10hipError_tPvRmT3_T4_T5_T6_T7_T9_mT8_P12ihipStream_tbDpT10_ENKUlT_T0_E_clISt17integral_constantIbLb0EES19_EEDaS14_S15_EUlS14_E_NS1_11comp_targetILNS1_3genE5ELNS1_11target_archE942ELNS1_3gpuE9ELNS1_3repE0EEENS1_30default_config_static_selectorELNS0_4arch9wavefront6targetE1EEEvT1_,"axG",@progbits,_ZN7rocprim17ROCPRIM_400000_NS6detail17trampoline_kernelINS0_14default_configENS1_25partition_config_selectorILNS1_17partition_subalgoE0EyNS0_10empty_typeEbEEZZNS1_14partition_implILS5_0ELb0ES3_jN6thrust23THRUST_200600_302600_NS6detail15normal_iteratorINSA_10device_ptrIyEEEEPS6_SG_NS0_5tupleIJNSA_16discard_iteratorINSA_11use_defaultEEESF_EEENSH_IJSG_SG_EEES6_PlJ7is_evenIyEEEE10hipError_tPvRmT3_T4_T5_T6_T7_T9_mT8_P12ihipStream_tbDpT10_ENKUlT_T0_E_clISt17integral_constantIbLb0EES19_EEDaS14_S15_EUlS14_E_NS1_11comp_targetILNS1_3genE5ELNS1_11target_archE942ELNS1_3gpuE9ELNS1_3repE0EEENS1_30default_config_static_selectorELNS0_4arch9wavefront6targetE1EEEvT1_,comdat
	.protected	_ZN7rocprim17ROCPRIM_400000_NS6detail17trampoline_kernelINS0_14default_configENS1_25partition_config_selectorILNS1_17partition_subalgoE0EyNS0_10empty_typeEbEEZZNS1_14partition_implILS5_0ELb0ES3_jN6thrust23THRUST_200600_302600_NS6detail15normal_iteratorINSA_10device_ptrIyEEEEPS6_SG_NS0_5tupleIJNSA_16discard_iteratorINSA_11use_defaultEEESF_EEENSH_IJSG_SG_EEES6_PlJ7is_evenIyEEEE10hipError_tPvRmT3_T4_T5_T6_T7_T9_mT8_P12ihipStream_tbDpT10_ENKUlT_T0_E_clISt17integral_constantIbLb0EES19_EEDaS14_S15_EUlS14_E_NS1_11comp_targetILNS1_3genE5ELNS1_11target_archE942ELNS1_3gpuE9ELNS1_3repE0EEENS1_30default_config_static_selectorELNS0_4arch9wavefront6targetE1EEEvT1_ ; -- Begin function _ZN7rocprim17ROCPRIM_400000_NS6detail17trampoline_kernelINS0_14default_configENS1_25partition_config_selectorILNS1_17partition_subalgoE0EyNS0_10empty_typeEbEEZZNS1_14partition_implILS5_0ELb0ES3_jN6thrust23THRUST_200600_302600_NS6detail15normal_iteratorINSA_10device_ptrIyEEEEPS6_SG_NS0_5tupleIJNSA_16discard_iteratorINSA_11use_defaultEEESF_EEENSH_IJSG_SG_EEES6_PlJ7is_evenIyEEEE10hipError_tPvRmT3_T4_T5_T6_T7_T9_mT8_P12ihipStream_tbDpT10_ENKUlT_T0_E_clISt17integral_constantIbLb0EES19_EEDaS14_S15_EUlS14_E_NS1_11comp_targetILNS1_3genE5ELNS1_11target_archE942ELNS1_3gpuE9ELNS1_3repE0EEENS1_30default_config_static_selectorELNS0_4arch9wavefront6targetE1EEEvT1_
	.globl	_ZN7rocprim17ROCPRIM_400000_NS6detail17trampoline_kernelINS0_14default_configENS1_25partition_config_selectorILNS1_17partition_subalgoE0EyNS0_10empty_typeEbEEZZNS1_14partition_implILS5_0ELb0ES3_jN6thrust23THRUST_200600_302600_NS6detail15normal_iteratorINSA_10device_ptrIyEEEEPS6_SG_NS0_5tupleIJNSA_16discard_iteratorINSA_11use_defaultEEESF_EEENSH_IJSG_SG_EEES6_PlJ7is_evenIyEEEE10hipError_tPvRmT3_T4_T5_T6_T7_T9_mT8_P12ihipStream_tbDpT10_ENKUlT_T0_E_clISt17integral_constantIbLb0EES19_EEDaS14_S15_EUlS14_E_NS1_11comp_targetILNS1_3genE5ELNS1_11target_archE942ELNS1_3gpuE9ELNS1_3repE0EEENS1_30default_config_static_selectorELNS0_4arch9wavefront6targetE1EEEvT1_
	.p2align	8
	.type	_ZN7rocprim17ROCPRIM_400000_NS6detail17trampoline_kernelINS0_14default_configENS1_25partition_config_selectorILNS1_17partition_subalgoE0EyNS0_10empty_typeEbEEZZNS1_14partition_implILS5_0ELb0ES3_jN6thrust23THRUST_200600_302600_NS6detail15normal_iteratorINSA_10device_ptrIyEEEEPS6_SG_NS0_5tupleIJNSA_16discard_iteratorINSA_11use_defaultEEESF_EEENSH_IJSG_SG_EEES6_PlJ7is_evenIyEEEE10hipError_tPvRmT3_T4_T5_T6_T7_T9_mT8_P12ihipStream_tbDpT10_ENKUlT_T0_E_clISt17integral_constantIbLb0EES19_EEDaS14_S15_EUlS14_E_NS1_11comp_targetILNS1_3genE5ELNS1_11target_archE942ELNS1_3gpuE9ELNS1_3repE0EEENS1_30default_config_static_selectorELNS0_4arch9wavefront6targetE1EEEvT1_,@function
_ZN7rocprim17ROCPRIM_400000_NS6detail17trampoline_kernelINS0_14default_configENS1_25partition_config_selectorILNS1_17partition_subalgoE0EyNS0_10empty_typeEbEEZZNS1_14partition_implILS5_0ELb0ES3_jN6thrust23THRUST_200600_302600_NS6detail15normal_iteratorINSA_10device_ptrIyEEEEPS6_SG_NS0_5tupleIJNSA_16discard_iteratorINSA_11use_defaultEEESF_EEENSH_IJSG_SG_EEES6_PlJ7is_evenIyEEEE10hipError_tPvRmT3_T4_T5_T6_T7_T9_mT8_P12ihipStream_tbDpT10_ENKUlT_T0_E_clISt17integral_constantIbLb0EES19_EEDaS14_S15_EUlS14_E_NS1_11comp_targetILNS1_3genE5ELNS1_11target_archE942ELNS1_3gpuE9ELNS1_3repE0EEENS1_30default_config_static_selectorELNS0_4arch9wavefront6targetE1EEEvT1_: ; @_ZN7rocprim17ROCPRIM_400000_NS6detail17trampoline_kernelINS0_14default_configENS1_25partition_config_selectorILNS1_17partition_subalgoE0EyNS0_10empty_typeEbEEZZNS1_14partition_implILS5_0ELb0ES3_jN6thrust23THRUST_200600_302600_NS6detail15normal_iteratorINSA_10device_ptrIyEEEEPS6_SG_NS0_5tupleIJNSA_16discard_iteratorINSA_11use_defaultEEESF_EEENSH_IJSG_SG_EEES6_PlJ7is_evenIyEEEE10hipError_tPvRmT3_T4_T5_T6_T7_T9_mT8_P12ihipStream_tbDpT10_ENKUlT_T0_E_clISt17integral_constantIbLb0EES19_EEDaS14_S15_EUlS14_E_NS1_11comp_targetILNS1_3genE5ELNS1_11target_archE942ELNS1_3gpuE9ELNS1_3repE0EEENS1_30default_config_static_selectorELNS0_4arch9wavefront6targetE1EEEvT1_
; %bb.0:
	.section	.rodata,"a",@progbits
	.p2align	6, 0x0
	.amdhsa_kernel _ZN7rocprim17ROCPRIM_400000_NS6detail17trampoline_kernelINS0_14default_configENS1_25partition_config_selectorILNS1_17partition_subalgoE0EyNS0_10empty_typeEbEEZZNS1_14partition_implILS5_0ELb0ES3_jN6thrust23THRUST_200600_302600_NS6detail15normal_iteratorINSA_10device_ptrIyEEEEPS6_SG_NS0_5tupleIJNSA_16discard_iteratorINSA_11use_defaultEEESF_EEENSH_IJSG_SG_EEES6_PlJ7is_evenIyEEEE10hipError_tPvRmT3_T4_T5_T6_T7_T9_mT8_P12ihipStream_tbDpT10_ENKUlT_T0_E_clISt17integral_constantIbLb0EES19_EEDaS14_S15_EUlS14_E_NS1_11comp_targetILNS1_3genE5ELNS1_11target_archE942ELNS1_3gpuE9ELNS1_3repE0EEENS1_30default_config_static_selectorELNS0_4arch9wavefront6targetE1EEEvT1_
		.amdhsa_group_segment_fixed_size 0
		.amdhsa_private_segment_fixed_size 0
		.amdhsa_kernarg_size 128
		.amdhsa_user_sgpr_count 6
		.amdhsa_user_sgpr_private_segment_buffer 1
		.amdhsa_user_sgpr_dispatch_ptr 0
		.amdhsa_user_sgpr_queue_ptr 0
		.amdhsa_user_sgpr_kernarg_segment_ptr 1
		.amdhsa_user_sgpr_dispatch_id 0
		.amdhsa_user_sgpr_flat_scratch_init 0
		.amdhsa_user_sgpr_kernarg_preload_length 0
		.amdhsa_user_sgpr_kernarg_preload_offset 0
		.amdhsa_user_sgpr_private_segment_size 0
		.amdhsa_uses_dynamic_stack 0
		.amdhsa_system_sgpr_private_segment_wavefront_offset 0
		.amdhsa_system_sgpr_workgroup_id_x 1
		.amdhsa_system_sgpr_workgroup_id_y 0
		.amdhsa_system_sgpr_workgroup_id_z 0
		.amdhsa_system_sgpr_workgroup_info 0
		.amdhsa_system_vgpr_workitem_id 0
		.amdhsa_next_free_vgpr 1
		.amdhsa_next_free_sgpr 0
		.amdhsa_accum_offset 4
		.amdhsa_reserve_vcc 0
		.amdhsa_reserve_flat_scratch 0
		.amdhsa_float_round_mode_32 0
		.amdhsa_float_round_mode_16_64 0
		.amdhsa_float_denorm_mode_32 3
		.amdhsa_float_denorm_mode_16_64 3
		.amdhsa_dx10_clamp 1
		.amdhsa_ieee_mode 1
		.amdhsa_fp16_overflow 0
		.amdhsa_tg_split 0
		.amdhsa_exception_fp_ieee_invalid_op 0
		.amdhsa_exception_fp_denorm_src 0
		.amdhsa_exception_fp_ieee_div_zero 0
		.amdhsa_exception_fp_ieee_overflow 0
		.amdhsa_exception_fp_ieee_underflow 0
		.amdhsa_exception_fp_ieee_inexact 0
		.amdhsa_exception_int_div_zero 0
	.end_amdhsa_kernel
	.section	.text._ZN7rocprim17ROCPRIM_400000_NS6detail17trampoline_kernelINS0_14default_configENS1_25partition_config_selectorILNS1_17partition_subalgoE0EyNS0_10empty_typeEbEEZZNS1_14partition_implILS5_0ELb0ES3_jN6thrust23THRUST_200600_302600_NS6detail15normal_iteratorINSA_10device_ptrIyEEEEPS6_SG_NS0_5tupleIJNSA_16discard_iteratorINSA_11use_defaultEEESF_EEENSH_IJSG_SG_EEES6_PlJ7is_evenIyEEEE10hipError_tPvRmT3_T4_T5_T6_T7_T9_mT8_P12ihipStream_tbDpT10_ENKUlT_T0_E_clISt17integral_constantIbLb0EES19_EEDaS14_S15_EUlS14_E_NS1_11comp_targetILNS1_3genE5ELNS1_11target_archE942ELNS1_3gpuE9ELNS1_3repE0EEENS1_30default_config_static_selectorELNS0_4arch9wavefront6targetE1EEEvT1_,"axG",@progbits,_ZN7rocprim17ROCPRIM_400000_NS6detail17trampoline_kernelINS0_14default_configENS1_25partition_config_selectorILNS1_17partition_subalgoE0EyNS0_10empty_typeEbEEZZNS1_14partition_implILS5_0ELb0ES3_jN6thrust23THRUST_200600_302600_NS6detail15normal_iteratorINSA_10device_ptrIyEEEEPS6_SG_NS0_5tupleIJNSA_16discard_iteratorINSA_11use_defaultEEESF_EEENSH_IJSG_SG_EEES6_PlJ7is_evenIyEEEE10hipError_tPvRmT3_T4_T5_T6_T7_T9_mT8_P12ihipStream_tbDpT10_ENKUlT_T0_E_clISt17integral_constantIbLb0EES19_EEDaS14_S15_EUlS14_E_NS1_11comp_targetILNS1_3genE5ELNS1_11target_archE942ELNS1_3gpuE9ELNS1_3repE0EEENS1_30default_config_static_selectorELNS0_4arch9wavefront6targetE1EEEvT1_,comdat
.Lfunc_end2364:
	.size	_ZN7rocprim17ROCPRIM_400000_NS6detail17trampoline_kernelINS0_14default_configENS1_25partition_config_selectorILNS1_17partition_subalgoE0EyNS0_10empty_typeEbEEZZNS1_14partition_implILS5_0ELb0ES3_jN6thrust23THRUST_200600_302600_NS6detail15normal_iteratorINSA_10device_ptrIyEEEEPS6_SG_NS0_5tupleIJNSA_16discard_iteratorINSA_11use_defaultEEESF_EEENSH_IJSG_SG_EEES6_PlJ7is_evenIyEEEE10hipError_tPvRmT3_T4_T5_T6_T7_T9_mT8_P12ihipStream_tbDpT10_ENKUlT_T0_E_clISt17integral_constantIbLb0EES19_EEDaS14_S15_EUlS14_E_NS1_11comp_targetILNS1_3genE5ELNS1_11target_archE942ELNS1_3gpuE9ELNS1_3repE0EEENS1_30default_config_static_selectorELNS0_4arch9wavefront6targetE1EEEvT1_, .Lfunc_end2364-_ZN7rocprim17ROCPRIM_400000_NS6detail17trampoline_kernelINS0_14default_configENS1_25partition_config_selectorILNS1_17partition_subalgoE0EyNS0_10empty_typeEbEEZZNS1_14partition_implILS5_0ELb0ES3_jN6thrust23THRUST_200600_302600_NS6detail15normal_iteratorINSA_10device_ptrIyEEEEPS6_SG_NS0_5tupleIJNSA_16discard_iteratorINSA_11use_defaultEEESF_EEENSH_IJSG_SG_EEES6_PlJ7is_evenIyEEEE10hipError_tPvRmT3_T4_T5_T6_T7_T9_mT8_P12ihipStream_tbDpT10_ENKUlT_T0_E_clISt17integral_constantIbLb0EES19_EEDaS14_S15_EUlS14_E_NS1_11comp_targetILNS1_3genE5ELNS1_11target_archE942ELNS1_3gpuE9ELNS1_3repE0EEENS1_30default_config_static_selectorELNS0_4arch9wavefront6targetE1EEEvT1_
                                        ; -- End function
	.section	.AMDGPU.csdata,"",@progbits
; Kernel info:
; codeLenInByte = 0
; NumSgprs: 4
; NumVgprs: 0
; NumAgprs: 0
; TotalNumVgprs: 0
; ScratchSize: 0
; MemoryBound: 0
; FloatMode: 240
; IeeeMode: 1
; LDSByteSize: 0 bytes/workgroup (compile time only)
; SGPRBlocks: 0
; VGPRBlocks: 0
; NumSGPRsForWavesPerEU: 4
; NumVGPRsForWavesPerEU: 1
; AccumOffset: 4
; Occupancy: 8
; WaveLimiterHint : 0
; COMPUTE_PGM_RSRC2:SCRATCH_EN: 0
; COMPUTE_PGM_RSRC2:USER_SGPR: 6
; COMPUTE_PGM_RSRC2:TRAP_HANDLER: 0
; COMPUTE_PGM_RSRC2:TGID_X_EN: 1
; COMPUTE_PGM_RSRC2:TGID_Y_EN: 0
; COMPUTE_PGM_RSRC2:TGID_Z_EN: 0
; COMPUTE_PGM_RSRC2:TIDIG_COMP_CNT: 0
; COMPUTE_PGM_RSRC3_GFX90A:ACCUM_OFFSET: 0
; COMPUTE_PGM_RSRC3_GFX90A:TG_SPLIT: 0
	.section	.text._ZN7rocprim17ROCPRIM_400000_NS6detail17trampoline_kernelINS0_14default_configENS1_25partition_config_selectorILNS1_17partition_subalgoE0EyNS0_10empty_typeEbEEZZNS1_14partition_implILS5_0ELb0ES3_jN6thrust23THRUST_200600_302600_NS6detail15normal_iteratorINSA_10device_ptrIyEEEEPS6_SG_NS0_5tupleIJNSA_16discard_iteratorINSA_11use_defaultEEESF_EEENSH_IJSG_SG_EEES6_PlJ7is_evenIyEEEE10hipError_tPvRmT3_T4_T5_T6_T7_T9_mT8_P12ihipStream_tbDpT10_ENKUlT_T0_E_clISt17integral_constantIbLb0EES19_EEDaS14_S15_EUlS14_E_NS1_11comp_targetILNS1_3genE4ELNS1_11target_archE910ELNS1_3gpuE8ELNS1_3repE0EEENS1_30default_config_static_selectorELNS0_4arch9wavefront6targetE1EEEvT1_,"axG",@progbits,_ZN7rocprim17ROCPRIM_400000_NS6detail17trampoline_kernelINS0_14default_configENS1_25partition_config_selectorILNS1_17partition_subalgoE0EyNS0_10empty_typeEbEEZZNS1_14partition_implILS5_0ELb0ES3_jN6thrust23THRUST_200600_302600_NS6detail15normal_iteratorINSA_10device_ptrIyEEEEPS6_SG_NS0_5tupleIJNSA_16discard_iteratorINSA_11use_defaultEEESF_EEENSH_IJSG_SG_EEES6_PlJ7is_evenIyEEEE10hipError_tPvRmT3_T4_T5_T6_T7_T9_mT8_P12ihipStream_tbDpT10_ENKUlT_T0_E_clISt17integral_constantIbLb0EES19_EEDaS14_S15_EUlS14_E_NS1_11comp_targetILNS1_3genE4ELNS1_11target_archE910ELNS1_3gpuE8ELNS1_3repE0EEENS1_30default_config_static_selectorELNS0_4arch9wavefront6targetE1EEEvT1_,comdat
	.protected	_ZN7rocprim17ROCPRIM_400000_NS6detail17trampoline_kernelINS0_14default_configENS1_25partition_config_selectorILNS1_17partition_subalgoE0EyNS0_10empty_typeEbEEZZNS1_14partition_implILS5_0ELb0ES3_jN6thrust23THRUST_200600_302600_NS6detail15normal_iteratorINSA_10device_ptrIyEEEEPS6_SG_NS0_5tupleIJNSA_16discard_iteratorINSA_11use_defaultEEESF_EEENSH_IJSG_SG_EEES6_PlJ7is_evenIyEEEE10hipError_tPvRmT3_T4_T5_T6_T7_T9_mT8_P12ihipStream_tbDpT10_ENKUlT_T0_E_clISt17integral_constantIbLb0EES19_EEDaS14_S15_EUlS14_E_NS1_11comp_targetILNS1_3genE4ELNS1_11target_archE910ELNS1_3gpuE8ELNS1_3repE0EEENS1_30default_config_static_selectorELNS0_4arch9wavefront6targetE1EEEvT1_ ; -- Begin function _ZN7rocprim17ROCPRIM_400000_NS6detail17trampoline_kernelINS0_14default_configENS1_25partition_config_selectorILNS1_17partition_subalgoE0EyNS0_10empty_typeEbEEZZNS1_14partition_implILS5_0ELb0ES3_jN6thrust23THRUST_200600_302600_NS6detail15normal_iteratorINSA_10device_ptrIyEEEEPS6_SG_NS0_5tupleIJNSA_16discard_iteratorINSA_11use_defaultEEESF_EEENSH_IJSG_SG_EEES6_PlJ7is_evenIyEEEE10hipError_tPvRmT3_T4_T5_T6_T7_T9_mT8_P12ihipStream_tbDpT10_ENKUlT_T0_E_clISt17integral_constantIbLb0EES19_EEDaS14_S15_EUlS14_E_NS1_11comp_targetILNS1_3genE4ELNS1_11target_archE910ELNS1_3gpuE8ELNS1_3repE0EEENS1_30default_config_static_selectorELNS0_4arch9wavefront6targetE1EEEvT1_
	.globl	_ZN7rocprim17ROCPRIM_400000_NS6detail17trampoline_kernelINS0_14default_configENS1_25partition_config_selectorILNS1_17partition_subalgoE0EyNS0_10empty_typeEbEEZZNS1_14partition_implILS5_0ELb0ES3_jN6thrust23THRUST_200600_302600_NS6detail15normal_iteratorINSA_10device_ptrIyEEEEPS6_SG_NS0_5tupleIJNSA_16discard_iteratorINSA_11use_defaultEEESF_EEENSH_IJSG_SG_EEES6_PlJ7is_evenIyEEEE10hipError_tPvRmT3_T4_T5_T6_T7_T9_mT8_P12ihipStream_tbDpT10_ENKUlT_T0_E_clISt17integral_constantIbLb0EES19_EEDaS14_S15_EUlS14_E_NS1_11comp_targetILNS1_3genE4ELNS1_11target_archE910ELNS1_3gpuE8ELNS1_3repE0EEENS1_30default_config_static_selectorELNS0_4arch9wavefront6targetE1EEEvT1_
	.p2align	8
	.type	_ZN7rocprim17ROCPRIM_400000_NS6detail17trampoline_kernelINS0_14default_configENS1_25partition_config_selectorILNS1_17partition_subalgoE0EyNS0_10empty_typeEbEEZZNS1_14partition_implILS5_0ELb0ES3_jN6thrust23THRUST_200600_302600_NS6detail15normal_iteratorINSA_10device_ptrIyEEEEPS6_SG_NS0_5tupleIJNSA_16discard_iteratorINSA_11use_defaultEEESF_EEENSH_IJSG_SG_EEES6_PlJ7is_evenIyEEEE10hipError_tPvRmT3_T4_T5_T6_T7_T9_mT8_P12ihipStream_tbDpT10_ENKUlT_T0_E_clISt17integral_constantIbLb0EES19_EEDaS14_S15_EUlS14_E_NS1_11comp_targetILNS1_3genE4ELNS1_11target_archE910ELNS1_3gpuE8ELNS1_3repE0EEENS1_30default_config_static_selectorELNS0_4arch9wavefront6targetE1EEEvT1_,@function
_ZN7rocprim17ROCPRIM_400000_NS6detail17trampoline_kernelINS0_14default_configENS1_25partition_config_selectorILNS1_17partition_subalgoE0EyNS0_10empty_typeEbEEZZNS1_14partition_implILS5_0ELb0ES3_jN6thrust23THRUST_200600_302600_NS6detail15normal_iteratorINSA_10device_ptrIyEEEEPS6_SG_NS0_5tupleIJNSA_16discard_iteratorINSA_11use_defaultEEESF_EEENSH_IJSG_SG_EEES6_PlJ7is_evenIyEEEE10hipError_tPvRmT3_T4_T5_T6_T7_T9_mT8_P12ihipStream_tbDpT10_ENKUlT_T0_E_clISt17integral_constantIbLb0EES19_EEDaS14_S15_EUlS14_E_NS1_11comp_targetILNS1_3genE4ELNS1_11target_archE910ELNS1_3gpuE8ELNS1_3repE0EEENS1_30default_config_static_selectorELNS0_4arch9wavefront6targetE1EEEvT1_: ; @_ZN7rocprim17ROCPRIM_400000_NS6detail17trampoline_kernelINS0_14default_configENS1_25partition_config_selectorILNS1_17partition_subalgoE0EyNS0_10empty_typeEbEEZZNS1_14partition_implILS5_0ELb0ES3_jN6thrust23THRUST_200600_302600_NS6detail15normal_iteratorINSA_10device_ptrIyEEEEPS6_SG_NS0_5tupleIJNSA_16discard_iteratorINSA_11use_defaultEEESF_EEENSH_IJSG_SG_EEES6_PlJ7is_evenIyEEEE10hipError_tPvRmT3_T4_T5_T6_T7_T9_mT8_P12ihipStream_tbDpT10_ENKUlT_T0_E_clISt17integral_constantIbLb0EES19_EEDaS14_S15_EUlS14_E_NS1_11comp_targetILNS1_3genE4ELNS1_11target_archE910ELNS1_3gpuE8ELNS1_3repE0EEENS1_30default_config_static_selectorELNS0_4arch9wavefront6targetE1EEEvT1_
; %bb.0:
	s_load_dwordx2 s[0:1], s[4:5], 0x60
	s_load_dwordx4 s[20:23], s[4:5], 0x8
	s_load_dwordx4 s[24:27], s[4:5], 0x50
	s_load_dword s7, s[4:5], 0x78
	s_mul_i32 s8, s6, 0x300
	s_waitcnt lgkmcnt(0)
	v_mov_b32_e32 v3, s1
	s_lshl_b64 s[2:3], s[22:23], 3
	s_add_u32 s10, s20, s2
	s_mul_i32 s1, s7, 0x300
	s_addc_u32 s11, s21, s3
	s_add_i32 s3, s1, s22
	s_sub_i32 s33, s0, s3
	s_add_i32 s2, s7, -1
	s_addk_i32 s33, 0x300
	v_mov_b32_e32 v2, s0
	s_add_u32 s0, s22, s1
	s_addc_u32 s1, s23, 0
	s_cmp_eq_u32 s6, s2
	s_load_dwordx2 s[28:29], s[26:27], 0x0
	s_cselect_b64 s[26:27], -1, 0
	s_cmp_lg_u32 s6, s2
	s_mov_b32 s9, 0
	v_cmp_lt_u64_e32 vcc, s[0:1], v[2:3]
	s_cselect_b64 s[0:1], -1, 0
	s_or_b64 s[2:3], s[0:1], vcc
	s_lshl_b64 s[30:31], s[8:9], 3
	s_add_u32 s7, s10, s30
	s_addc_u32 s10, s11, s31
	s_mov_b64 s[0:1], -1
	s_and_b64 vcc, exec, s[2:3]
	v_lshlrev_b32_e32 v20, 3, v0
	v_lshrrev_b32_e32 v1, 2, v0
	s_cbranch_vccz .LBB2365_2
; %bb.1:
	v_mov_b32_e32 v3, s10
	v_add_co_u32_e32 v2, vcc, s7, v20
	v_addc_co_u32_e32 v3, vcc, 0, v3, vcc
	v_add_co_u32_e32 v4, vcc, 0x1000, v2
	v_addc_co_u32_e32 v5, vcc, 0, v3, vcc
	flat_load_dwordx2 v[6:7], v[2:3]
	flat_load_dwordx2 v[8:9], v[2:3] offset:1536
	flat_load_dwordx2 v[10:11], v[2:3] offset:3072
	;; [unrolled: 1-line block ×3, first 2 shown]
	v_add_u32_e32 v3, 0xc0, v0
	v_add_u32_e32 v4, 0x180, v0
	;; [unrolled: 1-line block ×3, first 2 shown]
	v_and_b32_e32 v2, 56, v1
	v_lshrrev_b32_e32 v3, 2, v3
	v_lshrrev_b32_e32 v4, 2, v4
	;; [unrolled: 1-line block ×3, first 2 shown]
	v_add_u32_e32 v2, v2, v20
	v_and_b32_e32 v3, 0x78, v3
	v_and_b32_e32 v4, 0xf8, v4
	;; [unrolled: 1-line block ×3, first 2 shown]
	v_add_u32_e32 v3, v3, v20
	v_add_u32_e32 v4, v4, v20
	;; [unrolled: 1-line block ×3, first 2 shown]
	s_mov_b64 s[0:1], 0
	s_waitcnt vmcnt(0) lgkmcnt(0)
	ds_write_b64 v2, v[6:7]
	ds_write_b64 v3, v[8:9] offset:1536
	ds_write_b64 v4, v[10:11] offset:3072
	;; [unrolled: 1-line block ×3, first 2 shown]
	s_waitcnt lgkmcnt(0)
	s_barrier
.LBB2365_2:
	s_andn2_b64 vcc, exec, s[0:1]
	v_cmp_gt_u32_e64 s[0:1], s33, v0
	s_cbranch_vccnz .LBB2365_12
; %bb.3:
                                        ; implicit-def: $vgpr2_vgpr3_vgpr4_vgpr5_vgpr6_vgpr7_vgpr8_vgpr9
	s_and_saveexec_b64 s[8:9], s[0:1]
	s_cbranch_execz .LBB2365_5
; %bb.4:
	v_mov_b32_e32 v3, s10
	v_add_co_u32_e32 v2, vcc, s7, v20
	v_addc_co_u32_e32 v3, vcc, 0, v3, vcc
	flat_load_dwordx2 v[2:3], v[2:3]
.LBB2365_5:
	s_or_b64 exec, exec, s[8:9]
	v_add_u32_e32 v10, 0xc0, v0
	v_cmp_gt_u32_e32 vcc, s33, v10
	s_and_saveexec_b64 s[0:1], vcc
	s_cbranch_execz .LBB2365_7
; %bb.6:
	v_mov_b32_e32 v5, s10
	v_add_co_u32_e32 v4, vcc, s7, v20
	v_addc_co_u32_e32 v5, vcc, 0, v5, vcc
	flat_load_dwordx2 v[4:5], v[4:5] offset:1536
.LBB2365_7:
	s_or_b64 exec, exec, s[0:1]
	v_add_u32_e32 v11, 0x180, v0
	v_cmp_gt_u32_e32 vcc, s33, v11
	s_and_saveexec_b64 s[0:1], vcc
	s_cbranch_execz .LBB2365_9
; %bb.8:
	v_mov_b32_e32 v7, s10
	v_add_co_u32_e32 v6, vcc, s7, v20
	v_addc_co_u32_e32 v7, vcc, 0, v7, vcc
	flat_load_dwordx2 v[6:7], v[6:7] offset:3072
.LBB2365_9:
	s_or_b64 exec, exec, s[0:1]
	v_add_u32_e32 v12, 0x240, v0
	v_cmp_gt_u32_e32 vcc, s33, v12
	s_and_saveexec_b64 s[0:1], vcc
	s_cbranch_execz .LBB2365_11
; %bb.10:
	v_lshlrev_b32_e32 v8, 3, v12
	v_mov_b32_e32 v9, s10
	v_add_co_u32_e32 v8, vcc, s7, v8
	v_addc_co_u32_e32 v9, vcc, 0, v9, vcc
	flat_load_dwordx2 v[8:9], v[8:9]
.LBB2365_11:
	s_or_b64 exec, exec, s[0:1]
	v_and_b32_e32 v1, 56, v1
	v_add_u32_e32 v1, v1, v20
	s_waitcnt vmcnt(0) lgkmcnt(0)
	ds_write_b64 v1, v[2:3]
	v_lshrrev_b32_e32 v1, 2, v10
	v_and_b32_e32 v1, 0x78, v1
	v_add_u32_e32 v1, v1, v20
	ds_write_b64 v1, v[4:5] offset:1536
	v_lshrrev_b32_e32 v1, 2, v11
	v_and_b32_e32 v1, 0xf8, v1
	v_add_u32_e32 v1, v1, v20
	ds_write_b64 v1, v[6:7] offset:3072
	;; [unrolled: 4-line block ×3, first 2 shown]
	s_waitcnt lgkmcnt(0)
	s_barrier
.LBB2365_12:
	v_lshlrev_b32_e32 v1, 2, v0
	v_lshrrev_b32_e32 v2, 3, v0
	v_add_lshl_u32 v2, v2, v1, 3
	s_waitcnt lgkmcnt(0)
	ds_read2_b64 v[6:9], v2 offset1:1
	ds_read2_b64 v[2:5], v2 offset0:2 offset1:3
	v_cndmask_b32_e64 v10, 0, 1, s[2:3]
	v_cmp_ne_u32_e64 s[0:1], 1, v10
	s_andn2_b64 vcc, exec, s[2:3]
	s_waitcnt lgkmcnt(1)
	v_xor_b32_e32 v13, -1, v6
	v_xor_b32_e32 v12, -1, v8
	s_waitcnt lgkmcnt(0)
	v_xor_b32_e32 v11, -1, v2
	v_xor_b32_e32 v10, -1, v4
	s_barrier
	s_cbranch_vccnz .LBB2365_14
; %bb.13:
	v_mov_b32_e32 v15, 1
	v_and_b32_e32 v14, 1, v13
	v_and_b32_sdwa v16, v12, v15 dst_sel:BYTE_1 dst_unused:UNUSED_PAD src0_sel:DWORD src1_sel:DWORD
	v_and_b32_e32 v17, 1, v11
	v_and_b32_sdwa v15, v10, v15 dst_sel:BYTE_1 dst_unused:UNUSED_PAD src0_sel:DWORD src1_sel:DWORD
	v_or_b32_e32 v14, v14, v16
	v_or_b32_sdwa v15, v17, v15 dst_sel:WORD_1 dst_unused:UNUSED_PAD src0_sel:DWORD src1_sel:DWORD
	v_or_b32_sdwa v21, v14, v15 dst_sel:DWORD dst_unused:UNUSED_PAD src0_sel:WORD_0 src1_sel:DWORD
	s_load_dwordx2 s[34:35], s[4:5], 0x70
	s_cbranch_execz .LBB2365_15
	s_branch .LBB2365_16
.LBB2365_14:
                                        ; implicit-def: $vgpr21
	s_load_dwordx2 s[34:35], s[4:5], 0x70
.LBB2365_15:
	v_cmp_gt_u32_e32 vcc, s33, v1
	v_cndmask_b32_e64 v14, 0, 1, vcc
	v_and_b32_e32 v13, v14, v13
	v_or_b32_e32 v14, 1, v1
	v_cmp_gt_u32_e32 vcc, s33, v14
	v_cndmask_b32_e64 v14, 0, 1, vcc
	v_and_b32_sdwa v12, v14, v12 dst_sel:BYTE_1 dst_unused:UNUSED_PAD src0_sel:DWORD src1_sel:DWORD
	v_or_b32_e32 v14, 2, v1
	v_cmp_gt_u32_e32 vcc, s33, v14
	v_cndmask_b32_e64 v14, 0, 1, vcc
	v_and_b32_e32 v11, v14, v11
	v_or_b32_e32 v14, 3, v1
	v_cmp_gt_u32_e32 vcc, s33, v14
	v_cndmask_b32_e64 v14, 0, 1, vcc
	v_and_b32_sdwa v10, v14, v10 dst_sel:BYTE_1 dst_unused:UNUSED_PAD src0_sel:DWORD src1_sel:DWORD
	v_or_b32_e32 v12, v13, v12
	v_or_b32_sdwa v10, v11, v10 dst_sel:WORD_1 dst_unused:UNUSED_PAD src0_sel:DWORD src1_sel:DWORD
	v_or_b32_sdwa v21, v12, v10 dst_sel:DWORD dst_unused:UNUSED_PAD src0_sel:WORD_0 src1_sel:DWORD
.LBB2365_16:
	v_bfe_u32 v23, v21, 16, 8
	v_lshrrev_b32_e32 v22, 24, v21
	v_add_u32_sdwa v10, v21, v21 dst_sel:DWORD dst_unused:UNUSED_PAD src0_sel:BYTE_1 src1_sel:BYTE_0
	v_add3_u32 v26, v10, v23, v22
	v_mbcnt_lo_u32_b32 v10, -1, 0
	v_mbcnt_hi_u32_b32 v24, -1, v10
	v_and_b32_e32 v10, 15, v24
	v_cmp_eq_u32_e64 s[16:17], 0, v10
	v_cmp_lt_u32_e64 s[14:15], 1, v10
	v_cmp_lt_u32_e64 s[12:13], 3, v10
	;; [unrolled: 1-line block ×3, first 2 shown]
	v_and_b32_e32 v10, 16, v24
	v_cmp_eq_u32_e64 s[20:21], 0, v10
	v_and_b32_e32 v10, 0xc0, v0
	v_min_u32_e32 v10, 0x80, v10
	v_or_b32_e32 v10, 63, v10
	s_cmp_lg_u32 s6, 0
	v_cmp_lt_u32_e64 s[2:3], 31, v24
	v_lshrrev_b32_e32 v25, 6, v0
	v_cmp_eq_u32_e64 s[8:9], v10, v0
	s_cbranch_scc0 .LBB2365_43
; %bb.17:
	v_mov_b32_dpp v10, v26 row_shr:1 row_mask:0xf bank_mask:0xf
	v_cndmask_b32_e64 v10, v10, 0, s[16:17]
	v_add_u32_e32 v10, v10, v26
	s_nop 1
	v_mov_b32_dpp v11, v10 row_shr:2 row_mask:0xf bank_mask:0xf
	v_cndmask_b32_e64 v11, 0, v11, s[14:15]
	v_add_u32_e32 v10, v10, v11
	s_nop 1
	;; [unrolled: 4-line block ×4, first 2 shown]
	v_mov_b32_dpp v11, v10 row_bcast:15 row_mask:0xf bank_mask:0xf
	v_cndmask_b32_e64 v11, v11, 0, s[20:21]
	v_add_u32_e32 v10, v10, v11
	s_nop 1
	v_mov_b32_dpp v11, v10 row_bcast:31 row_mask:0xf bank_mask:0xf
	v_cndmask_b32_e64 v11, 0, v11, s[2:3]
	v_add_u32_e32 v10, v10, v11
	s_and_saveexec_b64 s[18:19], s[8:9]
	s_cbranch_execz .LBB2365_19
; %bb.18:
	v_lshlrev_b32_e32 v11, 2, v25
	ds_write_b32 v11, v10
.LBB2365_19:
	s_or_b64 exec, exec, s[18:19]
	v_cmp_gt_u32_e32 vcc, 3, v0
	s_waitcnt lgkmcnt(0)
	s_barrier
	s_and_saveexec_b64 s[18:19], vcc
	s_cbranch_execz .LBB2365_21
; %bb.20:
	ds_read_b32 v11, v1
	v_and_b32_e32 v12, 3, v24
	v_cmp_ne_u32_e32 vcc, 0, v12
	s_waitcnt lgkmcnt(0)
	v_mov_b32_dpp v13, v11 row_shr:1 row_mask:0xf bank_mask:0xf
	v_cndmask_b32_e32 v13, 0, v13, vcc
	v_add_u32_e32 v11, v13, v11
	v_cmp_lt_u32_e32 vcc, 1, v12
	s_nop 0
	v_mov_b32_dpp v13, v11 row_shr:2 row_mask:0xf bank_mask:0xf
	v_cndmask_b32_e32 v12, 0, v13, vcc
	v_add_u32_e32 v11, v11, v12
	ds_write_b32 v1, v11
.LBB2365_21:
	s_or_b64 exec, exec, s[18:19]
	v_cmp_gt_u32_e32 vcc, 64, v0
	v_cmp_lt_u32_e64 s[18:19], 63, v0
	s_waitcnt lgkmcnt(0)
	s_barrier
	s_waitcnt lgkmcnt(0)
                                        ; implicit-def: $vgpr27
	s_and_saveexec_b64 s[36:37], s[18:19]
	s_cbranch_execz .LBB2365_23
; %bb.22:
	v_lshl_add_u32 v11, v25, 2, -4
	ds_read_b32 v27, v11
	s_waitcnt lgkmcnt(0)
	v_add_u32_e32 v10, v27, v10
.LBB2365_23:
	s_or_b64 exec, exec, s[36:37]
	v_add_u32_e32 v11, -1, v24
	v_and_b32_e32 v12, 64, v24
	v_cmp_lt_i32_e64 s[18:19], v11, v12
	v_cndmask_b32_e64 v11, v11, v24, s[18:19]
	v_lshlrev_b32_e32 v11, 2, v11
	ds_bpermute_b32 v28, v11, v10
	v_cmp_eq_u32_e64 s[18:19], 0, v24
	s_and_saveexec_b64 s[36:37], vcc
	s_cbranch_execz .LBB2365_42
; %bb.24:
	v_mov_b32_e32 v17, 0
	ds_read_b32 v10, v17 offset:8
	s_and_saveexec_b64 s[38:39], s[18:19]
	s_cbranch_execz .LBB2365_26
; %bb.25:
	s_add_i32 s40, s6, 64
	s_mov_b32 s41, 0
	s_lshl_b64 s[40:41], s[40:41], 3
	s_add_u32 s40, s34, s40
	v_mov_b32_e32 v11, 1
	s_addc_u32 s41, s35, s41
	s_waitcnt lgkmcnt(0)
	global_store_dwordx2 v17, v[10:11], s[40:41]
.LBB2365_26:
	s_or_b64 exec, exec, s[38:39]
	v_xad_u32 v12, v24, -1, s6
	v_add_u32_e32 v16, 64, v12
	v_lshlrev_b64 v[14:15], 3, v[16:17]
	v_mov_b32_e32 v11, s35
	v_add_co_u32_e32 v18, vcc, s34, v14
	v_addc_co_u32_e32 v19, vcc, v11, v15, vcc
	global_load_dwordx2 v[14:15], v[18:19], off glc
	s_waitcnt vmcnt(0)
	v_cmp_eq_u16_sdwa s[40:41], v15, v17 src0_sel:BYTE_0 src1_sel:DWORD
	s_and_saveexec_b64 s[38:39], s[40:41]
	s_cbranch_execz .LBB2365_30
; %bb.27:
	s_mov_b64 s[40:41], 0
	v_mov_b32_e32 v11, 0
.LBB2365_28:                            ; =>This Inner Loop Header: Depth=1
	global_load_dwordx2 v[14:15], v[18:19], off glc
	s_waitcnt vmcnt(0)
	v_cmp_ne_u16_sdwa s[42:43], v15, v11 src0_sel:BYTE_0 src1_sel:DWORD
	s_or_b64 s[40:41], s[42:43], s[40:41]
	s_andn2_b64 exec, exec, s[40:41]
	s_cbranch_execnz .LBB2365_28
; %bb.29:
	s_or_b64 exec, exec, s[40:41]
.LBB2365_30:
	s_or_b64 exec, exec, s[38:39]
	v_and_b32_e32 v30, 63, v24
	v_mov_b32_e32 v29, 2
	v_cmp_ne_u32_e32 vcc, 63, v30
	v_cmp_eq_u16_sdwa s[38:39], v15, v29 src0_sel:BYTE_0 src1_sel:DWORD
	v_lshlrev_b64 v[16:17], v24, -1
	v_addc_co_u32_e32 v18, vcc, 0, v24, vcc
	v_and_b32_e32 v11, s39, v17
	v_lshlrev_b32_e32 v31, 2, v18
	v_or_b32_e32 v11, 0x80000000, v11
	ds_bpermute_b32 v18, v31, v14
	v_and_b32_e32 v13, s38, v16
	v_ffbl_b32_e32 v11, v11
	v_add_u32_e32 v11, 32, v11
	v_ffbl_b32_e32 v13, v13
	v_min_u32_e32 v11, v13, v11
	v_cmp_lt_u32_e32 vcc, v30, v11
	s_waitcnt lgkmcnt(0)
	v_cndmask_b32_e32 v13, 0, v18, vcc
	v_cmp_gt_u32_e32 vcc, 62, v30
	v_add_u32_e32 v13, v13, v14
	v_cndmask_b32_e64 v14, 0, 1, vcc
	v_lshlrev_b32_e32 v14, 1, v14
	v_add_lshl_u32 v32, v14, v24, 2
	ds_bpermute_b32 v14, v32, v13
	v_add_u32_e32 v33, 2, v30
	v_cmp_le_u32_e32 vcc, v33, v11
	v_add_u32_e32 v35, 4, v30
	v_add_u32_e32 v37, 8, v30
	s_waitcnt lgkmcnt(0)
	v_cndmask_b32_e32 v14, 0, v14, vcc
	v_cmp_gt_u32_e32 vcc, 60, v30
	v_add_u32_e32 v13, v13, v14
	v_cndmask_b32_e64 v14, 0, 1, vcc
	v_lshlrev_b32_e32 v14, 2, v14
	v_add_lshl_u32 v34, v14, v24, 2
	ds_bpermute_b32 v14, v34, v13
	v_cmp_le_u32_e32 vcc, v35, v11
	v_add_u32_e32 v39, 16, v30
	v_add_u32_e32 v41, 32, v30
	s_waitcnt lgkmcnt(0)
	v_cndmask_b32_e32 v14, 0, v14, vcc
	v_cmp_gt_u32_e32 vcc, 56, v30
	v_add_u32_e32 v13, v13, v14
	v_cndmask_b32_e64 v14, 0, 1, vcc
	v_lshlrev_b32_e32 v14, 3, v14
	v_add_lshl_u32 v36, v14, v24, 2
	ds_bpermute_b32 v14, v36, v13
	v_cmp_le_u32_e32 vcc, v37, v11
	s_waitcnt lgkmcnt(0)
	v_cndmask_b32_e32 v14, 0, v14, vcc
	v_cmp_gt_u32_e32 vcc, 48, v30
	v_add_u32_e32 v13, v13, v14
	v_cndmask_b32_e64 v14, 0, 1, vcc
	v_lshlrev_b32_e32 v14, 4, v14
	v_add_lshl_u32 v38, v14, v24, 2
	ds_bpermute_b32 v14, v38, v13
	v_cmp_le_u32_e32 vcc, v39, v11
	;; [unrolled: 9-line block ×3, first 2 shown]
	s_waitcnt lgkmcnt(0)
	v_cndmask_b32_e32 v11, 0, v14, vcc
	v_add_u32_e32 v14, v13, v11
	v_mov_b32_e32 v13, 0
	s_branch .LBB2365_32
.LBB2365_31:                            ;   in Loop: Header=BB2365_32 Depth=1
	s_or_b64 exec, exec, s[38:39]
	v_cmp_eq_u16_sdwa s[38:39], v15, v29 src0_sel:BYTE_0 src1_sel:DWORD
	v_and_b32_e32 v18, s39, v17
	v_or_b32_e32 v18, 0x80000000, v18
	ds_bpermute_b32 v42, v31, v14
	v_and_b32_e32 v19, s38, v16
	v_ffbl_b32_e32 v18, v18
	v_add_u32_e32 v18, 32, v18
	v_ffbl_b32_e32 v19, v19
	v_min_u32_e32 v18, v19, v18
	v_cmp_lt_u32_e32 vcc, v30, v18
	s_waitcnt lgkmcnt(0)
	v_cndmask_b32_e32 v19, 0, v42, vcc
	v_add_u32_e32 v14, v19, v14
	ds_bpermute_b32 v19, v32, v14
	v_cmp_le_u32_e32 vcc, v33, v18
	v_subrev_u32_e32 v12, 64, v12
	s_waitcnt lgkmcnt(0)
	v_cndmask_b32_e32 v19, 0, v19, vcc
	v_add_u32_e32 v14, v14, v19
	ds_bpermute_b32 v19, v34, v14
	v_cmp_le_u32_e32 vcc, v35, v18
	s_waitcnt lgkmcnt(0)
	v_cndmask_b32_e32 v19, 0, v19, vcc
	v_add_u32_e32 v14, v14, v19
	ds_bpermute_b32 v19, v36, v14
	v_cmp_le_u32_e32 vcc, v37, v18
	s_waitcnt lgkmcnt(0)
	v_cndmask_b32_e32 v19, 0, v19, vcc
	v_add_u32_e32 v14, v14, v19
	ds_bpermute_b32 v19, v38, v14
	v_cmp_le_u32_e32 vcc, v39, v18
	s_waitcnt lgkmcnt(0)
	v_cndmask_b32_e32 v19, 0, v19, vcc
	v_add_u32_e32 v14, v14, v19
	ds_bpermute_b32 v19, v40, v14
	v_cmp_le_u32_e32 vcc, v41, v18
	s_waitcnt lgkmcnt(0)
	v_cndmask_b32_e32 v18, 0, v19, vcc
	v_add3_u32 v14, v18, v11, v14
.LBB2365_32:                            ; =>This Loop Header: Depth=1
                                        ;     Child Loop BB2365_35 Depth 2
	v_cmp_ne_u16_sdwa s[38:39], v15, v29 src0_sel:BYTE_0 src1_sel:DWORD
	v_cndmask_b32_e64 v11, 0, 1, s[38:39]
	;;#ASMSTART
	;;#ASMEND
	v_cmp_ne_u32_e32 vcc, 0, v11
	s_cmp_lg_u64 vcc, exec
	v_mov_b32_e32 v11, v14
	s_cbranch_scc1 .LBB2365_37
; %bb.33:                               ;   in Loop: Header=BB2365_32 Depth=1
	v_lshlrev_b64 v[14:15], 3, v[12:13]
	v_mov_b32_e32 v19, s35
	v_add_co_u32_e32 v18, vcc, s34, v14
	v_addc_co_u32_e32 v19, vcc, v19, v15, vcc
	global_load_dwordx2 v[14:15], v[18:19], off glc
	s_waitcnt vmcnt(0)
	v_cmp_eq_u16_sdwa s[40:41], v15, v13 src0_sel:BYTE_0 src1_sel:DWORD
	s_and_saveexec_b64 s[38:39], s[40:41]
	s_cbranch_execz .LBB2365_31
; %bb.34:                               ;   in Loop: Header=BB2365_32 Depth=1
	s_mov_b64 s[40:41], 0
.LBB2365_35:                            ;   Parent Loop BB2365_32 Depth=1
                                        ; =>  This Inner Loop Header: Depth=2
	global_load_dwordx2 v[14:15], v[18:19], off glc
	s_waitcnt vmcnt(0)
	v_cmp_ne_u16_sdwa s[42:43], v15, v13 src0_sel:BYTE_0 src1_sel:DWORD
	s_or_b64 s[40:41], s[42:43], s[40:41]
	s_andn2_b64 exec, exec, s[40:41]
	s_cbranch_execnz .LBB2365_35
; %bb.36:                               ;   in Loop: Header=BB2365_32 Depth=1
	s_or_b64 exec, exec, s[40:41]
	s_branch .LBB2365_31
.LBB2365_37:                            ;   in Loop: Header=BB2365_32 Depth=1
                                        ; implicit-def: $vgpr14
                                        ; implicit-def: $vgpr15
	s_cbranch_execz .LBB2365_32
; %bb.38:
	s_and_saveexec_b64 s[38:39], s[18:19]
	s_cbranch_execz .LBB2365_40
; %bb.39:
	s_add_i32 s6, s6, 64
	s_mov_b32 s7, 0
	s_lshl_b64 s[6:7], s[6:7], 3
	s_add_u32 s6, s34, s6
	v_add_u32_e32 v12, v11, v10
	v_mov_b32_e32 v13, 2
	s_addc_u32 s7, s35, s7
	v_mov_b32_e32 v14, 0
	global_store_dwordx2 v14, v[12:13], s[6:7]
	ds_write_b64 v14, v[10:11] offset:6336
.LBB2365_40:
	s_or_b64 exec, exec, s[38:39]
	v_cmp_eq_u32_e32 vcc, 0, v0
	s_and_b64 exec, exec, vcc
	s_cbranch_execz .LBB2365_42
; %bb.41:
	v_mov_b32_e32 v10, 0
	ds_write_b32 v10, v11 offset:8
.LBB2365_42:
	s_or_b64 exec, exec, s[36:37]
	v_mov_b32_e32 v10, 0
	s_waitcnt lgkmcnt(0)
	s_barrier
	ds_read_b32 v11, v10 offset:8
	v_cndmask_b32_e64 v12, v28, v27, s[18:19]
	v_cmp_ne_u32_e32 vcc, 0, v0
	v_cndmask_b32_e32 v12, 0, v12, vcc
	s_waitcnt lgkmcnt(0)
	v_add_u32_e32 v14, v11, v12
	s_barrier
	ds_read_b64 v[10:11], v10 offset:6336
	v_add_u32_sdwa v15, v14, v21 dst_sel:DWORD dst_unused:UNUSED_PAD src0_sel:DWORD src1_sel:BYTE_0
	v_add_u32_sdwa v13, v15, v21 dst_sel:DWORD dst_unused:UNUSED_PAD src0_sel:DWORD src1_sel:BYTE_1
	v_add_u32_e32 v12, v13, v23
	s_load_dwordx2 s[4:5], s[4:5], 0x38
	s_branch .LBB2365_53
.LBB2365_43:
                                        ; implicit-def: $vgpr11
                                        ; implicit-def: $vgpr12
                                        ; implicit-def: $vgpr13
                                        ; implicit-def: $vgpr15
                                        ; implicit-def: $vgpr14
	s_load_dwordx2 s[4:5], s[4:5], 0x38
	s_cbranch_execz .LBB2365_53
; %bb.44:
	s_waitcnt lgkmcnt(0)
	v_mov_b32_dpp v10, v26 row_shr:1 row_mask:0xf bank_mask:0xf
	v_cndmask_b32_e64 v10, v10, 0, s[16:17]
	v_add_u32_e32 v10, v10, v26
	s_nop 1
	v_mov_b32_dpp v11, v10 row_shr:2 row_mask:0xf bank_mask:0xf
	v_cndmask_b32_e64 v11, 0, v11, s[14:15]
	v_add_u32_e32 v10, v10, v11
	s_nop 1
	;; [unrolled: 4-line block ×4, first 2 shown]
	v_mov_b32_dpp v11, v10 row_bcast:15 row_mask:0xf bank_mask:0xf
	v_cndmask_b32_e64 v11, v11, 0, s[20:21]
	v_add_u32_e32 v10, v10, v11
	s_nop 1
	v_mov_b32_dpp v11, v10 row_bcast:31 row_mask:0xf bank_mask:0xf
	v_cndmask_b32_e64 v11, 0, v11, s[2:3]
	v_add_u32_e32 v10, v10, v11
	s_and_saveexec_b64 s[2:3], s[8:9]
	s_cbranch_execz .LBB2365_46
; %bb.45:
	v_lshlrev_b32_e32 v11, 2, v25
	ds_write_b32 v11, v10
.LBB2365_46:
	s_or_b64 exec, exec, s[2:3]
	v_cmp_gt_u32_e32 vcc, 3, v0
	s_waitcnt lgkmcnt(0)
	s_barrier
	s_and_saveexec_b64 s[2:3], vcc
	s_cbranch_execz .LBB2365_48
; %bb.47:
	ds_read_b32 v11, v1
	v_and_b32_e32 v12, 3, v24
	v_cmp_ne_u32_e32 vcc, 0, v12
	s_waitcnt lgkmcnt(0)
	v_mov_b32_dpp v13, v11 row_shr:1 row_mask:0xf bank_mask:0xf
	v_cndmask_b32_e32 v13, 0, v13, vcc
	v_add_u32_e32 v11, v13, v11
	v_cmp_lt_u32_e32 vcc, 1, v12
	s_nop 0
	v_mov_b32_dpp v13, v11 row_shr:2 row_mask:0xf bank_mask:0xf
	v_cndmask_b32_e32 v12, 0, v13, vcc
	v_add_u32_e32 v11, v11, v12
	ds_write_b32 v1, v11
.LBB2365_48:
	s_or_b64 exec, exec, s[2:3]
	v_cmp_lt_u32_e32 vcc, 63, v0
	v_mov_b32_e32 v11, 0
	v_mov_b32_e32 v12, 0
	s_waitcnt lgkmcnt(0)
	s_barrier
	s_and_saveexec_b64 s[2:3], vcc
	s_cbranch_execz .LBB2365_50
; %bb.49:
	v_lshl_add_u32 v12, v25, 2, -4
	ds_read_b32 v12, v12
.LBB2365_50:
	s_or_b64 exec, exec, s[2:3]
	v_add_u32_e32 v13, -1, v24
	v_and_b32_e32 v14, 64, v24
	v_cmp_lt_i32_e32 vcc, v13, v14
	v_cndmask_b32_e32 v13, v13, v24, vcc
	s_waitcnt lgkmcnt(0)
	v_add_u32_e32 v10, v12, v10
	v_lshlrev_b32_e32 v13, 2, v13
	ds_bpermute_b32 v13, v13, v10
	ds_read_b32 v10, v11 offset:8
	v_cmp_eq_u32_e32 vcc, 0, v0
	s_and_saveexec_b64 s[2:3], vcc
	s_cbranch_execz .LBB2365_52
; %bb.51:
	v_mov_b32_e32 v14, 0
	v_mov_b32_e32 v11, 2
	s_waitcnt lgkmcnt(0)
	global_store_dwordx2 v14, v[10:11], s[34:35] offset:512
.LBB2365_52:
	s_or_b64 exec, exec, s[2:3]
	v_cmp_eq_u32_e64 s[2:3], 0, v24
	s_waitcnt lgkmcnt(1)
	v_cndmask_b32_e64 v12, v13, v12, s[2:3]
	v_cndmask_b32_e64 v14, v12, 0, vcc
	v_add_u32_sdwa v15, v14, v21 dst_sel:DWORD dst_unused:UNUSED_PAD src0_sel:DWORD src1_sel:BYTE_0
	v_add_u32_sdwa v13, v15, v21 dst_sel:DWORD dst_unused:UNUSED_PAD src0_sel:DWORD src1_sel:BYTE_1
	v_mov_b32_e32 v11, 0
	v_add_u32_e32 v12, v13, v23
	s_waitcnt lgkmcnt(0)
	s_barrier
.LBB2365_53:
	s_waitcnt lgkmcnt(0)
	v_add_u32_e32 v1, v10, v1
	v_sub_u32_e32 v14, v14, v11
	v_and_b32_e32 v18, 1, v21
	v_sub_u32_e32 v17, v1, v14
	v_cmp_eq_u32_e32 vcc, 1, v18
	v_cndmask_b32_e32 v14, v17, v14, vcc
	v_lshlrev_b32_e32 v14, 3, v14
	v_lshrrev_b32_e32 v16, 8, v21
	ds_write_b64 v14, v[6:7]
	v_sub_u32_e32 v6, v15, v11
	v_sub_u32_e32 v7, v1, v6
	v_and_b32_e32 v14, 1, v16
	v_add_u32_e32 v7, 1, v7
	v_cmp_eq_u32_e32 vcc, 1, v14
	v_cndmask_b32_e32 v6, v7, v6, vcc
	v_lshlrev_b32_e32 v6, 3, v6
	ds_write_b64 v6, v[8:9]
	v_sub_u32_e32 v6, v13, v11
	v_mov_b32_e32 v8, 1
	v_sub_u32_e32 v7, v1, v6
	v_and_b32_sdwa v8, v8, v21 dst_sel:DWORD dst_unused:UNUSED_PAD src0_sel:DWORD src1_sel:WORD_1
	v_add_u32_e32 v7, 2, v7
	v_cmp_eq_u32_e32 vcc, 1, v8
	v_cndmask_b32_e32 v6, v7, v6, vcc
	v_lshlrev_b32_e32 v6, 3, v6
	ds_write_b64 v6, v[2:3]
	v_sub_u32_e32 v2, v12, v11
	v_sub_u32_e32 v1, v1, v2
	v_and_b32_e32 v3, 1, v22
	v_add_u32_e32 v1, 3, v1
	v_cmp_eq_u32_e32 vcc, 1, v3
	v_cndmask_b32_e32 v1, v1, v2, vcc
	v_lshlrev_b32_e32 v1, 3, v1
	ds_write_b64 v1, v[4:5]
	v_mov_b32_e32 v1, s29
	v_add_co_u32_e32 v12, vcc, s28, v10
	v_addc_co_u32_e32 v1, vcc, 0, v1, vcc
	v_add_co_u32_e32 v12, vcc, v12, v11
	v_addc_co_u32_e32 v13, vcc, 0, v1, vcc
	v_mov_b32_e32 v1, s23
	v_sub_co_u32_e32 v18, vcc, s22, v12
	v_subb_co_u32_e32 v19, vcc, v1, v13, vcc
	v_lshlrev_b64 v[18:19], 3, v[18:19]
	s_waitcnt lgkmcnt(0)
	s_barrier
	ds_read2st64_b64 v[6:9], v20 offset1:3
	ds_read2st64_b64 v[2:5], v20 offset0:6 offset1:9
	v_mov_b32_e32 v1, s5
	v_add_co_u32_e32 v11, vcc, s4, v18
	v_addc_co_u32_e32 v1, vcc, v1, v19, vcc
	v_mov_b32_e32 v18, s31
	v_add_co_u32_e32 v14, vcc, s30, v11
	v_addc_co_u32_e32 v1, vcc, v1, v18, vcc
	v_add_u32_e32 v17, 0xc0, v0
	v_add_u32_e32 v16, 0x180, v0
	;; [unrolled: 1-line block ×3, first 2 shown]
	s_and_b64 vcc, exec, s[0:1]
	v_cmp_ge_u32_e64 s[0:1], v0, v10
	s_cbranch_vccnz .LBB2365_59
; %bb.54:
	s_and_saveexec_b64 s[2:3], s[0:1]
	s_cbranch_execnz .LBB2365_72
; %bb.55:
	s_or_b64 exec, exec, s[2:3]
	v_cmp_ge_u32_e32 vcc, v17, v10
	s_and_saveexec_b64 s[0:1], vcc
	s_cbranch_execnz .LBB2365_73
.LBB2365_56:
	s_or_b64 exec, exec, s[0:1]
	v_cmp_ge_u32_e32 vcc, v16, v10
	s_and_saveexec_b64 s[0:1], vcc
	s_cbranch_execz .LBB2365_58
.LBB2365_57:
	v_readfirstlane_b32 s2, v14
	v_readfirstlane_b32 s3, v1
	s_waitcnt lgkmcnt(0)
	s_nop 3
	global_store_dwordx2 v20, v[2:3], s[2:3] offset:3072
.LBB2365_58:
	s_or_b64 exec, exec, s[0:1]
	v_cmp_ge_u32_e64 s[0:1], v15, v10
	s_branch .LBB2365_67
.LBB2365_59:
	s_mov_b64 s[0:1], 0
	s_cbranch_execz .LBB2365_67
; %bb.60:
	v_cmp_gt_u32_e32 vcc, s33, v0
	v_cmp_ge_u32_e64 s[0:1], v0, v10
	s_and_b64 s[2:3], vcc, s[0:1]
	s_and_saveexec_b64 s[0:1], s[2:3]
	s_cbranch_execz .LBB2365_62
; %bb.61:
	v_readfirstlane_b32 s2, v14
	v_readfirstlane_b32 s3, v1
	s_waitcnt lgkmcnt(1)
	s_nop 3
	global_store_dwordx2 v20, v[6:7], s[2:3]
.LBB2365_62:
	s_or_b64 exec, exec, s[0:1]
	v_cmp_gt_u32_e32 vcc, s33, v17
	v_cmp_ge_u32_e64 s[0:1], v17, v10
	s_and_b64 s[2:3], vcc, s[0:1]
	s_and_saveexec_b64 s[0:1], s[2:3]
	s_cbranch_execz .LBB2365_64
; %bb.63:
	v_readfirstlane_b32 s2, v14
	v_readfirstlane_b32 s3, v1
	s_waitcnt lgkmcnt(1)
	s_nop 3
	global_store_dwordx2 v20, v[8:9], s[2:3] offset:1536
.LBB2365_64:
	s_or_b64 exec, exec, s[0:1]
	v_cmp_gt_u32_e32 vcc, s33, v16
	v_cmp_ge_u32_e64 s[0:1], v16, v10
	s_and_b64 s[2:3], vcc, s[0:1]
	s_and_saveexec_b64 s[0:1], s[2:3]
	s_cbranch_execz .LBB2365_66
; %bb.65:
	v_readfirstlane_b32 s2, v14
	v_readfirstlane_b32 s3, v1
	s_waitcnt lgkmcnt(0)
	s_nop 3
	global_store_dwordx2 v20, v[2:3], s[2:3] offset:3072
.LBB2365_66:
	s_or_b64 exec, exec, s[0:1]
	v_cmp_gt_u32_e32 vcc, s33, v15
	v_cmp_ge_u32_e64 s[0:1], v15, v10
	s_and_b64 s[0:1], vcc, s[0:1]
.LBB2365_67:
	s_and_saveexec_b64 s[2:3], s[0:1]
	s_cbranch_execz .LBB2365_69
; %bb.68:
	s_waitcnt lgkmcnt(0)
	v_lshlrev_b32_e32 v2, 3, v15
	v_readfirstlane_b32 s0, v14
	v_readfirstlane_b32 s1, v1
	s_nop 4
	global_store_dwordx2 v2, v[4:5], s[0:1]
.LBB2365_69:
	s_or_b64 exec, exec, s[2:3]
	v_cmp_eq_u32_e32 vcc, 0, v0
	s_and_b64 s[0:1], vcc, s[26:27]
	s_and_saveexec_b64 s[2:3], s[0:1]
	s_cbranch_execz .LBB2365_71
; %bb.70:
	v_mov_b32_e32 v0, 0
	global_store_dwordx2 v0, v[12:13], s[24:25]
.LBB2365_71:
	s_endpgm
.LBB2365_72:
	v_readfirstlane_b32 s0, v14
	v_readfirstlane_b32 s1, v1
	s_waitcnt lgkmcnt(1)
	s_nop 3
	global_store_dwordx2 v20, v[6:7], s[0:1]
	s_or_b64 exec, exec, s[2:3]
	v_cmp_ge_u32_e32 vcc, v17, v10
	s_and_saveexec_b64 s[0:1], vcc
	s_cbranch_execz .LBB2365_56
.LBB2365_73:
	v_readfirstlane_b32 s2, v14
	v_readfirstlane_b32 s3, v1
	s_waitcnt lgkmcnt(1)
	s_nop 3
	global_store_dwordx2 v20, v[8:9], s[2:3] offset:1536
	s_or_b64 exec, exec, s[0:1]
	v_cmp_ge_u32_e32 vcc, v16, v10
	s_and_saveexec_b64 s[0:1], vcc
	s_cbranch_execnz .LBB2365_57
	s_branch .LBB2365_58
	.section	.rodata,"a",@progbits
	.p2align	6, 0x0
	.amdhsa_kernel _ZN7rocprim17ROCPRIM_400000_NS6detail17trampoline_kernelINS0_14default_configENS1_25partition_config_selectorILNS1_17partition_subalgoE0EyNS0_10empty_typeEbEEZZNS1_14partition_implILS5_0ELb0ES3_jN6thrust23THRUST_200600_302600_NS6detail15normal_iteratorINSA_10device_ptrIyEEEEPS6_SG_NS0_5tupleIJNSA_16discard_iteratorINSA_11use_defaultEEESF_EEENSH_IJSG_SG_EEES6_PlJ7is_evenIyEEEE10hipError_tPvRmT3_T4_T5_T6_T7_T9_mT8_P12ihipStream_tbDpT10_ENKUlT_T0_E_clISt17integral_constantIbLb0EES19_EEDaS14_S15_EUlS14_E_NS1_11comp_targetILNS1_3genE4ELNS1_11target_archE910ELNS1_3gpuE8ELNS1_3repE0EEENS1_30default_config_static_selectorELNS0_4arch9wavefront6targetE1EEEvT1_
		.amdhsa_group_segment_fixed_size 6344
		.amdhsa_private_segment_fixed_size 0
		.amdhsa_kernarg_size 128
		.amdhsa_user_sgpr_count 6
		.amdhsa_user_sgpr_private_segment_buffer 1
		.amdhsa_user_sgpr_dispatch_ptr 0
		.amdhsa_user_sgpr_queue_ptr 0
		.amdhsa_user_sgpr_kernarg_segment_ptr 1
		.amdhsa_user_sgpr_dispatch_id 0
		.amdhsa_user_sgpr_flat_scratch_init 0
		.amdhsa_user_sgpr_kernarg_preload_length 0
		.amdhsa_user_sgpr_kernarg_preload_offset 0
		.amdhsa_user_sgpr_private_segment_size 0
		.amdhsa_uses_dynamic_stack 0
		.amdhsa_system_sgpr_private_segment_wavefront_offset 0
		.amdhsa_system_sgpr_workgroup_id_x 1
		.amdhsa_system_sgpr_workgroup_id_y 0
		.amdhsa_system_sgpr_workgroup_id_z 0
		.amdhsa_system_sgpr_workgroup_info 0
		.amdhsa_system_vgpr_workitem_id 0
		.amdhsa_next_free_vgpr 43
		.amdhsa_next_free_sgpr 44
		.amdhsa_accum_offset 44
		.amdhsa_reserve_vcc 1
		.amdhsa_reserve_flat_scratch 0
		.amdhsa_float_round_mode_32 0
		.amdhsa_float_round_mode_16_64 0
		.amdhsa_float_denorm_mode_32 3
		.amdhsa_float_denorm_mode_16_64 3
		.amdhsa_dx10_clamp 1
		.amdhsa_ieee_mode 1
		.amdhsa_fp16_overflow 0
		.amdhsa_tg_split 0
		.amdhsa_exception_fp_ieee_invalid_op 0
		.amdhsa_exception_fp_denorm_src 0
		.amdhsa_exception_fp_ieee_div_zero 0
		.amdhsa_exception_fp_ieee_overflow 0
		.amdhsa_exception_fp_ieee_underflow 0
		.amdhsa_exception_fp_ieee_inexact 0
		.amdhsa_exception_int_div_zero 0
	.end_amdhsa_kernel
	.section	.text._ZN7rocprim17ROCPRIM_400000_NS6detail17trampoline_kernelINS0_14default_configENS1_25partition_config_selectorILNS1_17partition_subalgoE0EyNS0_10empty_typeEbEEZZNS1_14partition_implILS5_0ELb0ES3_jN6thrust23THRUST_200600_302600_NS6detail15normal_iteratorINSA_10device_ptrIyEEEEPS6_SG_NS0_5tupleIJNSA_16discard_iteratorINSA_11use_defaultEEESF_EEENSH_IJSG_SG_EEES6_PlJ7is_evenIyEEEE10hipError_tPvRmT3_T4_T5_T6_T7_T9_mT8_P12ihipStream_tbDpT10_ENKUlT_T0_E_clISt17integral_constantIbLb0EES19_EEDaS14_S15_EUlS14_E_NS1_11comp_targetILNS1_3genE4ELNS1_11target_archE910ELNS1_3gpuE8ELNS1_3repE0EEENS1_30default_config_static_selectorELNS0_4arch9wavefront6targetE1EEEvT1_,"axG",@progbits,_ZN7rocprim17ROCPRIM_400000_NS6detail17trampoline_kernelINS0_14default_configENS1_25partition_config_selectorILNS1_17partition_subalgoE0EyNS0_10empty_typeEbEEZZNS1_14partition_implILS5_0ELb0ES3_jN6thrust23THRUST_200600_302600_NS6detail15normal_iteratorINSA_10device_ptrIyEEEEPS6_SG_NS0_5tupleIJNSA_16discard_iteratorINSA_11use_defaultEEESF_EEENSH_IJSG_SG_EEES6_PlJ7is_evenIyEEEE10hipError_tPvRmT3_T4_T5_T6_T7_T9_mT8_P12ihipStream_tbDpT10_ENKUlT_T0_E_clISt17integral_constantIbLb0EES19_EEDaS14_S15_EUlS14_E_NS1_11comp_targetILNS1_3genE4ELNS1_11target_archE910ELNS1_3gpuE8ELNS1_3repE0EEENS1_30default_config_static_selectorELNS0_4arch9wavefront6targetE1EEEvT1_,comdat
.Lfunc_end2365:
	.size	_ZN7rocprim17ROCPRIM_400000_NS6detail17trampoline_kernelINS0_14default_configENS1_25partition_config_selectorILNS1_17partition_subalgoE0EyNS0_10empty_typeEbEEZZNS1_14partition_implILS5_0ELb0ES3_jN6thrust23THRUST_200600_302600_NS6detail15normal_iteratorINSA_10device_ptrIyEEEEPS6_SG_NS0_5tupleIJNSA_16discard_iteratorINSA_11use_defaultEEESF_EEENSH_IJSG_SG_EEES6_PlJ7is_evenIyEEEE10hipError_tPvRmT3_T4_T5_T6_T7_T9_mT8_P12ihipStream_tbDpT10_ENKUlT_T0_E_clISt17integral_constantIbLb0EES19_EEDaS14_S15_EUlS14_E_NS1_11comp_targetILNS1_3genE4ELNS1_11target_archE910ELNS1_3gpuE8ELNS1_3repE0EEENS1_30default_config_static_selectorELNS0_4arch9wavefront6targetE1EEEvT1_, .Lfunc_end2365-_ZN7rocprim17ROCPRIM_400000_NS6detail17trampoline_kernelINS0_14default_configENS1_25partition_config_selectorILNS1_17partition_subalgoE0EyNS0_10empty_typeEbEEZZNS1_14partition_implILS5_0ELb0ES3_jN6thrust23THRUST_200600_302600_NS6detail15normal_iteratorINSA_10device_ptrIyEEEEPS6_SG_NS0_5tupleIJNSA_16discard_iteratorINSA_11use_defaultEEESF_EEENSH_IJSG_SG_EEES6_PlJ7is_evenIyEEEE10hipError_tPvRmT3_T4_T5_T6_T7_T9_mT8_P12ihipStream_tbDpT10_ENKUlT_T0_E_clISt17integral_constantIbLb0EES19_EEDaS14_S15_EUlS14_E_NS1_11comp_targetILNS1_3genE4ELNS1_11target_archE910ELNS1_3gpuE8ELNS1_3repE0EEENS1_30default_config_static_selectorELNS0_4arch9wavefront6targetE1EEEvT1_
                                        ; -- End function
	.section	.AMDGPU.csdata,"",@progbits
; Kernel info:
; codeLenInByte = 3596
; NumSgprs: 48
; NumVgprs: 43
; NumAgprs: 0
; TotalNumVgprs: 43
; ScratchSize: 0
; MemoryBound: 0
; FloatMode: 240
; IeeeMode: 1
; LDSByteSize: 6344 bytes/workgroup (compile time only)
; SGPRBlocks: 5
; VGPRBlocks: 5
; NumSGPRsForWavesPerEU: 48
; NumVGPRsForWavesPerEU: 43
; AccumOffset: 44
; Occupancy: 8
; WaveLimiterHint : 1
; COMPUTE_PGM_RSRC2:SCRATCH_EN: 0
; COMPUTE_PGM_RSRC2:USER_SGPR: 6
; COMPUTE_PGM_RSRC2:TRAP_HANDLER: 0
; COMPUTE_PGM_RSRC2:TGID_X_EN: 1
; COMPUTE_PGM_RSRC2:TGID_Y_EN: 0
; COMPUTE_PGM_RSRC2:TGID_Z_EN: 0
; COMPUTE_PGM_RSRC2:TIDIG_COMP_CNT: 0
; COMPUTE_PGM_RSRC3_GFX90A:ACCUM_OFFSET: 10
; COMPUTE_PGM_RSRC3_GFX90A:TG_SPLIT: 0
	.section	.text._ZN7rocprim17ROCPRIM_400000_NS6detail17trampoline_kernelINS0_14default_configENS1_25partition_config_selectorILNS1_17partition_subalgoE0EyNS0_10empty_typeEbEEZZNS1_14partition_implILS5_0ELb0ES3_jN6thrust23THRUST_200600_302600_NS6detail15normal_iteratorINSA_10device_ptrIyEEEEPS6_SG_NS0_5tupleIJNSA_16discard_iteratorINSA_11use_defaultEEESF_EEENSH_IJSG_SG_EEES6_PlJ7is_evenIyEEEE10hipError_tPvRmT3_T4_T5_T6_T7_T9_mT8_P12ihipStream_tbDpT10_ENKUlT_T0_E_clISt17integral_constantIbLb0EES19_EEDaS14_S15_EUlS14_E_NS1_11comp_targetILNS1_3genE3ELNS1_11target_archE908ELNS1_3gpuE7ELNS1_3repE0EEENS1_30default_config_static_selectorELNS0_4arch9wavefront6targetE1EEEvT1_,"axG",@progbits,_ZN7rocprim17ROCPRIM_400000_NS6detail17trampoline_kernelINS0_14default_configENS1_25partition_config_selectorILNS1_17partition_subalgoE0EyNS0_10empty_typeEbEEZZNS1_14partition_implILS5_0ELb0ES3_jN6thrust23THRUST_200600_302600_NS6detail15normal_iteratorINSA_10device_ptrIyEEEEPS6_SG_NS0_5tupleIJNSA_16discard_iteratorINSA_11use_defaultEEESF_EEENSH_IJSG_SG_EEES6_PlJ7is_evenIyEEEE10hipError_tPvRmT3_T4_T5_T6_T7_T9_mT8_P12ihipStream_tbDpT10_ENKUlT_T0_E_clISt17integral_constantIbLb0EES19_EEDaS14_S15_EUlS14_E_NS1_11comp_targetILNS1_3genE3ELNS1_11target_archE908ELNS1_3gpuE7ELNS1_3repE0EEENS1_30default_config_static_selectorELNS0_4arch9wavefront6targetE1EEEvT1_,comdat
	.protected	_ZN7rocprim17ROCPRIM_400000_NS6detail17trampoline_kernelINS0_14default_configENS1_25partition_config_selectorILNS1_17partition_subalgoE0EyNS0_10empty_typeEbEEZZNS1_14partition_implILS5_0ELb0ES3_jN6thrust23THRUST_200600_302600_NS6detail15normal_iteratorINSA_10device_ptrIyEEEEPS6_SG_NS0_5tupleIJNSA_16discard_iteratorINSA_11use_defaultEEESF_EEENSH_IJSG_SG_EEES6_PlJ7is_evenIyEEEE10hipError_tPvRmT3_T4_T5_T6_T7_T9_mT8_P12ihipStream_tbDpT10_ENKUlT_T0_E_clISt17integral_constantIbLb0EES19_EEDaS14_S15_EUlS14_E_NS1_11comp_targetILNS1_3genE3ELNS1_11target_archE908ELNS1_3gpuE7ELNS1_3repE0EEENS1_30default_config_static_selectorELNS0_4arch9wavefront6targetE1EEEvT1_ ; -- Begin function _ZN7rocprim17ROCPRIM_400000_NS6detail17trampoline_kernelINS0_14default_configENS1_25partition_config_selectorILNS1_17partition_subalgoE0EyNS0_10empty_typeEbEEZZNS1_14partition_implILS5_0ELb0ES3_jN6thrust23THRUST_200600_302600_NS6detail15normal_iteratorINSA_10device_ptrIyEEEEPS6_SG_NS0_5tupleIJNSA_16discard_iteratorINSA_11use_defaultEEESF_EEENSH_IJSG_SG_EEES6_PlJ7is_evenIyEEEE10hipError_tPvRmT3_T4_T5_T6_T7_T9_mT8_P12ihipStream_tbDpT10_ENKUlT_T0_E_clISt17integral_constantIbLb0EES19_EEDaS14_S15_EUlS14_E_NS1_11comp_targetILNS1_3genE3ELNS1_11target_archE908ELNS1_3gpuE7ELNS1_3repE0EEENS1_30default_config_static_selectorELNS0_4arch9wavefront6targetE1EEEvT1_
	.globl	_ZN7rocprim17ROCPRIM_400000_NS6detail17trampoline_kernelINS0_14default_configENS1_25partition_config_selectorILNS1_17partition_subalgoE0EyNS0_10empty_typeEbEEZZNS1_14partition_implILS5_0ELb0ES3_jN6thrust23THRUST_200600_302600_NS6detail15normal_iteratorINSA_10device_ptrIyEEEEPS6_SG_NS0_5tupleIJNSA_16discard_iteratorINSA_11use_defaultEEESF_EEENSH_IJSG_SG_EEES6_PlJ7is_evenIyEEEE10hipError_tPvRmT3_T4_T5_T6_T7_T9_mT8_P12ihipStream_tbDpT10_ENKUlT_T0_E_clISt17integral_constantIbLb0EES19_EEDaS14_S15_EUlS14_E_NS1_11comp_targetILNS1_3genE3ELNS1_11target_archE908ELNS1_3gpuE7ELNS1_3repE0EEENS1_30default_config_static_selectorELNS0_4arch9wavefront6targetE1EEEvT1_
	.p2align	8
	.type	_ZN7rocprim17ROCPRIM_400000_NS6detail17trampoline_kernelINS0_14default_configENS1_25partition_config_selectorILNS1_17partition_subalgoE0EyNS0_10empty_typeEbEEZZNS1_14partition_implILS5_0ELb0ES3_jN6thrust23THRUST_200600_302600_NS6detail15normal_iteratorINSA_10device_ptrIyEEEEPS6_SG_NS0_5tupleIJNSA_16discard_iteratorINSA_11use_defaultEEESF_EEENSH_IJSG_SG_EEES6_PlJ7is_evenIyEEEE10hipError_tPvRmT3_T4_T5_T6_T7_T9_mT8_P12ihipStream_tbDpT10_ENKUlT_T0_E_clISt17integral_constantIbLb0EES19_EEDaS14_S15_EUlS14_E_NS1_11comp_targetILNS1_3genE3ELNS1_11target_archE908ELNS1_3gpuE7ELNS1_3repE0EEENS1_30default_config_static_selectorELNS0_4arch9wavefront6targetE1EEEvT1_,@function
_ZN7rocprim17ROCPRIM_400000_NS6detail17trampoline_kernelINS0_14default_configENS1_25partition_config_selectorILNS1_17partition_subalgoE0EyNS0_10empty_typeEbEEZZNS1_14partition_implILS5_0ELb0ES3_jN6thrust23THRUST_200600_302600_NS6detail15normal_iteratorINSA_10device_ptrIyEEEEPS6_SG_NS0_5tupleIJNSA_16discard_iteratorINSA_11use_defaultEEESF_EEENSH_IJSG_SG_EEES6_PlJ7is_evenIyEEEE10hipError_tPvRmT3_T4_T5_T6_T7_T9_mT8_P12ihipStream_tbDpT10_ENKUlT_T0_E_clISt17integral_constantIbLb0EES19_EEDaS14_S15_EUlS14_E_NS1_11comp_targetILNS1_3genE3ELNS1_11target_archE908ELNS1_3gpuE7ELNS1_3repE0EEENS1_30default_config_static_selectorELNS0_4arch9wavefront6targetE1EEEvT1_: ; @_ZN7rocprim17ROCPRIM_400000_NS6detail17trampoline_kernelINS0_14default_configENS1_25partition_config_selectorILNS1_17partition_subalgoE0EyNS0_10empty_typeEbEEZZNS1_14partition_implILS5_0ELb0ES3_jN6thrust23THRUST_200600_302600_NS6detail15normal_iteratorINSA_10device_ptrIyEEEEPS6_SG_NS0_5tupleIJNSA_16discard_iteratorINSA_11use_defaultEEESF_EEENSH_IJSG_SG_EEES6_PlJ7is_evenIyEEEE10hipError_tPvRmT3_T4_T5_T6_T7_T9_mT8_P12ihipStream_tbDpT10_ENKUlT_T0_E_clISt17integral_constantIbLb0EES19_EEDaS14_S15_EUlS14_E_NS1_11comp_targetILNS1_3genE3ELNS1_11target_archE908ELNS1_3gpuE7ELNS1_3repE0EEENS1_30default_config_static_selectorELNS0_4arch9wavefront6targetE1EEEvT1_
; %bb.0:
	.section	.rodata,"a",@progbits
	.p2align	6, 0x0
	.amdhsa_kernel _ZN7rocprim17ROCPRIM_400000_NS6detail17trampoline_kernelINS0_14default_configENS1_25partition_config_selectorILNS1_17partition_subalgoE0EyNS0_10empty_typeEbEEZZNS1_14partition_implILS5_0ELb0ES3_jN6thrust23THRUST_200600_302600_NS6detail15normal_iteratorINSA_10device_ptrIyEEEEPS6_SG_NS0_5tupleIJNSA_16discard_iteratorINSA_11use_defaultEEESF_EEENSH_IJSG_SG_EEES6_PlJ7is_evenIyEEEE10hipError_tPvRmT3_T4_T5_T6_T7_T9_mT8_P12ihipStream_tbDpT10_ENKUlT_T0_E_clISt17integral_constantIbLb0EES19_EEDaS14_S15_EUlS14_E_NS1_11comp_targetILNS1_3genE3ELNS1_11target_archE908ELNS1_3gpuE7ELNS1_3repE0EEENS1_30default_config_static_selectorELNS0_4arch9wavefront6targetE1EEEvT1_
		.amdhsa_group_segment_fixed_size 0
		.amdhsa_private_segment_fixed_size 0
		.amdhsa_kernarg_size 128
		.amdhsa_user_sgpr_count 6
		.amdhsa_user_sgpr_private_segment_buffer 1
		.amdhsa_user_sgpr_dispatch_ptr 0
		.amdhsa_user_sgpr_queue_ptr 0
		.amdhsa_user_sgpr_kernarg_segment_ptr 1
		.amdhsa_user_sgpr_dispatch_id 0
		.amdhsa_user_sgpr_flat_scratch_init 0
		.amdhsa_user_sgpr_kernarg_preload_length 0
		.amdhsa_user_sgpr_kernarg_preload_offset 0
		.amdhsa_user_sgpr_private_segment_size 0
		.amdhsa_uses_dynamic_stack 0
		.amdhsa_system_sgpr_private_segment_wavefront_offset 0
		.amdhsa_system_sgpr_workgroup_id_x 1
		.amdhsa_system_sgpr_workgroup_id_y 0
		.amdhsa_system_sgpr_workgroup_id_z 0
		.amdhsa_system_sgpr_workgroup_info 0
		.amdhsa_system_vgpr_workitem_id 0
		.amdhsa_next_free_vgpr 1
		.amdhsa_next_free_sgpr 0
		.amdhsa_accum_offset 4
		.amdhsa_reserve_vcc 0
		.amdhsa_reserve_flat_scratch 0
		.amdhsa_float_round_mode_32 0
		.amdhsa_float_round_mode_16_64 0
		.amdhsa_float_denorm_mode_32 3
		.amdhsa_float_denorm_mode_16_64 3
		.amdhsa_dx10_clamp 1
		.amdhsa_ieee_mode 1
		.amdhsa_fp16_overflow 0
		.amdhsa_tg_split 0
		.amdhsa_exception_fp_ieee_invalid_op 0
		.amdhsa_exception_fp_denorm_src 0
		.amdhsa_exception_fp_ieee_div_zero 0
		.amdhsa_exception_fp_ieee_overflow 0
		.amdhsa_exception_fp_ieee_underflow 0
		.amdhsa_exception_fp_ieee_inexact 0
		.amdhsa_exception_int_div_zero 0
	.end_amdhsa_kernel
	.section	.text._ZN7rocprim17ROCPRIM_400000_NS6detail17trampoline_kernelINS0_14default_configENS1_25partition_config_selectorILNS1_17partition_subalgoE0EyNS0_10empty_typeEbEEZZNS1_14partition_implILS5_0ELb0ES3_jN6thrust23THRUST_200600_302600_NS6detail15normal_iteratorINSA_10device_ptrIyEEEEPS6_SG_NS0_5tupleIJNSA_16discard_iteratorINSA_11use_defaultEEESF_EEENSH_IJSG_SG_EEES6_PlJ7is_evenIyEEEE10hipError_tPvRmT3_T4_T5_T6_T7_T9_mT8_P12ihipStream_tbDpT10_ENKUlT_T0_E_clISt17integral_constantIbLb0EES19_EEDaS14_S15_EUlS14_E_NS1_11comp_targetILNS1_3genE3ELNS1_11target_archE908ELNS1_3gpuE7ELNS1_3repE0EEENS1_30default_config_static_selectorELNS0_4arch9wavefront6targetE1EEEvT1_,"axG",@progbits,_ZN7rocprim17ROCPRIM_400000_NS6detail17trampoline_kernelINS0_14default_configENS1_25partition_config_selectorILNS1_17partition_subalgoE0EyNS0_10empty_typeEbEEZZNS1_14partition_implILS5_0ELb0ES3_jN6thrust23THRUST_200600_302600_NS6detail15normal_iteratorINSA_10device_ptrIyEEEEPS6_SG_NS0_5tupleIJNSA_16discard_iteratorINSA_11use_defaultEEESF_EEENSH_IJSG_SG_EEES6_PlJ7is_evenIyEEEE10hipError_tPvRmT3_T4_T5_T6_T7_T9_mT8_P12ihipStream_tbDpT10_ENKUlT_T0_E_clISt17integral_constantIbLb0EES19_EEDaS14_S15_EUlS14_E_NS1_11comp_targetILNS1_3genE3ELNS1_11target_archE908ELNS1_3gpuE7ELNS1_3repE0EEENS1_30default_config_static_selectorELNS0_4arch9wavefront6targetE1EEEvT1_,comdat
.Lfunc_end2366:
	.size	_ZN7rocprim17ROCPRIM_400000_NS6detail17trampoline_kernelINS0_14default_configENS1_25partition_config_selectorILNS1_17partition_subalgoE0EyNS0_10empty_typeEbEEZZNS1_14partition_implILS5_0ELb0ES3_jN6thrust23THRUST_200600_302600_NS6detail15normal_iteratorINSA_10device_ptrIyEEEEPS6_SG_NS0_5tupleIJNSA_16discard_iteratorINSA_11use_defaultEEESF_EEENSH_IJSG_SG_EEES6_PlJ7is_evenIyEEEE10hipError_tPvRmT3_T4_T5_T6_T7_T9_mT8_P12ihipStream_tbDpT10_ENKUlT_T0_E_clISt17integral_constantIbLb0EES19_EEDaS14_S15_EUlS14_E_NS1_11comp_targetILNS1_3genE3ELNS1_11target_archE908ELNS1_3gpuE7ELNS1_3repE0EEENS1_30default_config_static_selectorELNS0_4arch9wavefront6targetE1EEEvT1_, .Lfunc_end2366-_ZN7rocprim17ROCPRIM_400000_NS6detail17trampoline_kernelINS0_14default_configENS1_25partition_config_selectorILNS1_17partition_subalgoE0EyNS0_10empty_typeEbEEZZNS1_14partition_implILS5_0ELb0ES3_jN6thrust23THRUST_200600_302600_NS6detail15normal_iteratorINSA_10device_ptrIyEEEEPS6_SG_NS0_5tupleIJNSA_16discard_iteratorINSA_11use_defaultEEESF_EEENSH_IJSG_SG_EEES6_PlJ7is_evenIyEEEE10hipError_tPvRmT3_T4_T5_T6_T7_T9_mT8_P12ihipStream_tbDpT10_ENKUlT_T0_E_clISt17integral_constantIbLb0EES19_EEDaS14_S15_EUlS14_E_NS1_11comp_targetILNS1_3genE3ELNS1_11target_archE908ELNS1_3gpuE7ELNS1_3repE0EEENS1_30default_config_static_selectorELNS0_4arch9wavefront6targetE1EEEvT1_
                                        ; -- End function
	.section	.AMDGPU.csdata,"",@progbits
; Kernel info:
; codeLenInByte = 0
; NumSgprs: 4
; NumVgprs: 0
; NumAgprs: 0
; TotalNumVgprs: 0
; ScratchSize: 0
; MemoryBound: 0
; FloatMode: 240
; IeeeMode: 1
; LDSByteSize: 0 bytes/workgroup (compile time only)
; SGPRBlocks: 0
; VGPRBlocks: 0
; NumSGPRsForWavesPerEU: 4
; NumVGPRsForWavesPerEU: 1
; AccumOffset: 4
; Occupancy: 8
; WaveLimiterHint : 0
; COMPUTE_PGM_RSRC2:SCRATCH_EN: 0
; COMPUTE_PGM_RSRC2:USER_SGPR: 6
; COMPUTE_PGM_RSRC2:TRAP_HANDLER: 0
; COMPUTE_PGM_RSRC2:TGID_X_EN: 1
; COMPUTE_PGM_RSRC2:TGID_Y_EN: 0
; COMPUTE_PGM_RSRC2:TGID_Z_EN: 0
; COMPUTE_PGM_RSRC2:TIDIG_COMP_CNT: 0
; COMPUTE_PGM_RSRC3_GFX90A:ACCUM_OFFSET: 0
; COMPUTE_PGM_RSRC3_GFX90A:TG_SPLIT: 0
	.section	.text._ZN7rocprim17ROCPRIM_400000_NS6detail17trampoline_kernelINS0_14default_configENS1_25partition_config_selectorILNS1_17partition_subalgoE0EyNS0_10empty_typeEbEEZZNS1_14partition_implILS5_0ELb0ES3_jN6thrust23THRUST_200600_302600_NS6detail15normal_iteratorINSA_10device_ptrIyEEEEPS6_SG_NS0_5tupleIJNSA_16discard_iteratorINSA_11use_defaultEEESF_EEENSH_IJSG_SG_EEES6_PlJ7is_evenIyEEEE10hipError_tPvRmT3_T4_T5_T6_T7_T9_mT8_P12ihipStream_tbDpT10_ENKUlT_T0_E_clISt17integral_constantIbLb0EES19_EEDaS14_S15_EUlS14_E_NS1_11comp_targetILNS1_3genE2ELNS1_11target_archE906ELNS1_3gpuE6ELNS1_3repE0EEENS1_30default_config_static_selectorELNS0_4arch9wavefront6targetE1EEEvT1_,"axG",@progbits,_ZN7rocprim17ROCPRIM_400000_NS6detail17trampoline_kernelINS0_14default_configENS1_25partition_config_selectorILNS1_17partition_subalgoE0EyNS0_10empty_typeEbEEZZNS1_14partition_implILS5_0ELb0ES3_jN6thrust23THRUST_200600_302600_NS6detail15normal_iteratorINSA_10device_ptrIyEEEEPS6_SG_NS0_5tupleIJNSA_16discard_iteratorINSA_11use_defaultEEESF_EEENSH_IJSG_SG_EEES6_PlJ7is_evenIyEEEE10hipError_tPvRmT3_T4_T5_T6_T7_T9_mT8_P12ihipStream_tbDpT10_ENKUlT_T0_E_clISt17integral_constantIbLb0EES19_EEDaS14_S15_EUlS14_E_NS1_11comp_targetILNS1_3genE2ELNS1_11target_archE906ELNS1_3gpuE6ELNS1_3repE0EEENS1_30default_config_static_selectorELNS0_4arch9wavefront6targetE1EEEvT1_,comdat
	.protected	_ZN7rocprim17ROCPRIM_400000_NS6detail17trampoline_kernelINS0_14default_configENS1_25partition_config_selectorILNS1_17partition_subalgoE0EyNS0_10empty_typeEbEEZZNS1_14partition_implILS5_0ELb0ES3_jN6thrust23THRUST_200600_302600_NS6detail15normal_iteratorINSA_10device_ptrIyEEEEPS6_SG_NS0_5tupleIJNSA_16discard_iteratorINSA_11use_defaultEEESF_EEENSH_IJSG_SG_EEES6_PlJ7is_evenIyEEEE10hipError_tPvRmT3_T4_T5_T6_T7_T9_mT8_P12ihipStream_tbDpT10_ENKUlT_T0_E_clISt17integral_constantIbLb0EES19_EEDaS14_S15_EUlS14_E_NS1_11comp_targetILNS1_3genE2ELNS1_11target_archE906ELNS1_3gpuE6ELNS1_3repE0EEENS1_30default_config_static_selectorELNS0_4arch9wavefront6targetE1EEEvT1_ ; -- Begin function _ZN7rocprim17ROCPRIM_400000_NS6detail17trampoline_kernelINS0_14default_configENS1_25partition_config_selectorILNS1_17partition_subalgoE0EyNS0_10empty_typeEbEEZZNS1_14partition_implILS5_0ELb0ES3_jN6thrust23THRUST_200600_302600_NS6detail15normal_iteratorINSA_10device_ptrIyEEEEPS6_SG_NS0_5tupleIJNSA_16discard_iteratorINSA_11use_defaultEEESF_EEENSH_IJSG_SG_EEES6_PlJ7is_evenIyEEEE10hipError_tPvRmT3_T4_T5_T6_T7_T9_mT8_P12ihipStream_tbDpT10_ENKUlT_T0_E_clISt17integral_constantIbLb0EES19_EEDaS14_S15_EUlS14_E_NS1_11comp_targetILNS1_3genE2ELNS1_11target_archE906ELNS1_3gpuE6ELNS1_3repE0EEENS1_30default_config_static_selectorELNS0_4arch9wavefront6targetE1EEEvT1_
	.globl	_ZN7rocprim17ROCPRIM_400000_NS6detail17trampoline_kernelINS0_14default_configENS1_25partition_config_selectorILNS1_17partition_subalgoE0EyNS0_10empty_typeEbEEZZNS1_14partition_implILS5_0ELb0ES3_jN6thrust23THRUST_200600_302600_NS6detail15normal_iteratorINSA_10device_ptrIyEEEEPS6_SG_NS0_5tupleIJNSA_16discard_iteratorINSA_11use_defaultEEESF_EEENSH_IJSG_SG_EEES6_PlJ7is_evenIyEEEE10hipError_tPvRmT3_T4_T5_T6_T7_T9_mT8_P12ihipStream_tbDpT10_ENKUlT_T0_E_clISt17integral_constantIbLb0EES19_EEDaS14_S15_EUlS14_E_NS1_11comp_targetILNS1_3genE2ELNS1_11target_archE906ELNS1_3gpuE6ELNS1_3repE0EEENS1_30default_config_static_selectorELNS0_4arch9wavefront6targetE1EEEvT1_
	.p2align	8
	.type	_ZN7rocprim17ROCPRIM_400000_NS6detail17trampoline_kernelINS0_14default_configENS1_25partition_config_selectorILNS1_17partition_subalgoE0EyNS0_10empty_typeEbEEZZNS1_14partition_implILS5_0ELb0ES3_jN6thrust23THRUST_200600_302600_NS6detail15normal_iteratorINSA_10device_ptrIyEEEEPS6_SG_NS0_5tupleIJNSA_16discard_iteratorINSA_11use_defaultEEESF_EEENSH_IJSG_SG_EEES6_PlJ7is_evenIyEEEE10hipError_tPvRmT3_T4_T5_T6_T7_T9_mT8_P12ihipStream_tbDpT10_ENKUlT_T0_E_clISt17integral_constantIbLb0EES19_EEDaS14_S15_EUlS14_E_NS1_11comp_targetILNS1_3genE2ELNS1_11target_archE906ELNS1_3gpuE6ELNS1_3repE0EEENS1_30default_config_static_selectorELNS0_4arch9wavefront6targetE1EEEvT1_,@function
_ZN7rocprim17ROCPRIM_400000_NS6detail17trampoline_kernelINS0_14default_configENS1_25partition_config_selectorILNS1_17partition_subalgoE0EyNS0_10empty_typeEbEEZZNS1_14partition_implILS5_0ELb0ES3_jN6thrust23THRUST_200600_302600_NS6detail15normal_iteratorINSA_10device_ptrIyEEEEPS6_SG_NS0_5tupleIJNSA_16discard_iteratorINSA_11use_defaultEEESF_EEENSH_IJSG_SG_EEES6_PlJ7is_evenIyEEEE10hipError_tPvRmT3_T4_T5_T6_T7_T9_mT8_P12ihipStream_tbDpT10_ENKUlT_T0_E_clISt17integral_constantIbLb0EES19_EEDaS14_S15_EUlS14_E_NS1_11comp_targetILNS1_3genE2ELNS1_11target_archE906ELNS1_3gpuE6ELNS1_3repE0EEENS1_30default_config_static_selectorELNS0_4arch9wavefront6targetE1EEEvT1_: ; @_ZN7rocprim17ROCPRIM_400000_NS6detail17trampoline_kernelINS0_14default_configENS1_25partition_config_selectorILNS1_17partition_subalgoE0EyNS0_10empty_typeEbEEZZNS1_14partition_implILS5_0ELb0ES3_jN6thrust23THRUST_200600_302600_NS6detail15normal_iteratorINSA_10device_ptrIyEEEEPS6_SG_NS0_5tupleIJNSA_16discard_iteratorINSA_11use_defaultEEESF_EEENSH_IJSG_SG_EEES6_PlJ7is_evenIyEEEE10hipError_tPvRmT3_T4_T5_T6_T7_T9_mT8_P12ihipStream_tbDpT10_ENKUlT_T0_E_clISt17integral_constantIbLb0EES19_EEDaS14_S15_EUlS14_E_NS1_11comp_targetILNS1_3genE2ELNS1_11target_archE906ELNS1_3gpuE6ELNS1_3repE0EEENS1_30default_config_static_selectorELNS0_4arch9wavefront6targetE1EEEvT1_
; %bb.0:
	.section	.rodata,"a",@progbits
	.p2align	6, 0x0
	.amdhsa_kernel _ZN7rocprim17ROCPRIM_400000_NS6detail17trampoline_kernelINS0_14default_configENS1_25partition_config_selectorILNS1_17partition_subalgoE0EyNS0_10empty_typeEbEEZZNS1_14partition_implILS5_0ELb0ES3_jN6thrust23THRUST_200600_302600_NS6detail15normal_iteratorINSA_10device_ptrIyEEEEPS6_SG_NS0_5tupleIJNSA_16discard_iteratorINSA_11use_defaultEEESF_EEENSH_IJSG_SG_EEES6_PlJ7is_evenIyEEEE10hipError_tPvRmT3_T4_T5_T6_T7_T9_mT8_P12ihipStream_tbDpT10_ENKUlT_T0_E_clISt17integral_constantIbLb0EES19_EEDaS14_S15_EUlS14_E_NS1_11comp_targetILNS1_3genE2ELNS1_11target_archE906ELNS1_3gpuE6ELNS1_3repE0EEENS1_30default_config_static_selectorELNS0_4arch9wavefront6targetE1EEEvT1_
		.amdhsa_group_segment_fixed_size 0
		.amdhsa_private_segment_fixed_size 0
		.amdhsa_kernarg_size 128
		.amdhsa_user_sgpr_count 6
		.amdhsa_user_sgpr_private_segment_buffer 1
		.amdhsa_user_sgpr_dispatch_ptr 0
		.amdhsa_user_sgpr_queue_ptr 0
		.amdhsa_user_sgpr_kernarg_segment_ptr 1
		.amdhsa_user_sgpr_dispatch_id 0
		.amdhsa_user_sgpr_flat_scratch_init 0
		.amdhsa_user_sgpr_kernarg_preload_length 0
		.amdhsa_user_sgpr_kernarg_preload_offset 0
		.amdhsa_user_sgpr_private_segment_size 0
		.amdhsa_uses_dynamic_stack 0
		.amdhsa_system_sgpr_private_segment_wavefront_offset 0
		.amdhsa_system_sgpr_workgroup_id_x 1
		.amdhsa_system_sgpr_workgroup_id_y 0
		.amdhsa_system_sgpr_workgroup_id_z 0
		.amdhsa_system_sgpr_workgroup_info 0
		.amdhsa_system_vgpr_workitem_id 0
		.amdhsa_next_free_vgpr 1
		.amdhsa_next_free_sgpr 0
		.amdhsa_accum_offset 4
		.amdhsa_reserve_vcc 0
		.amdhsa_reserve_flat_scratch 0
		.amdhsa_float_round_mode_32 0
		.amdhsa_float_round_mode_16_64 0
		.amdhsa_float_denorm_mode_32 3
		.amdhsa_float_denorm_mode_16_64 3
		.amdhsa_dx10_clamp 1
		.amdhsa_ieee_mode 1
		.amdhsa_fp16_overflow 0
		.amdhsa_tg_split 0
		.amdhsa_exception_fp_ieee_invalid_op 0
		.amdhsa_exception_fp_denorm_src 0
		.amdhsa_exception_fp_ieee_div_zero 0
		.amdhsa_exception_fp_ieee_overflow 0
		.amdhsa_exception_fp_ieee_underflow 0
		.amdhsa_exception_fp_ieee_inexact 0
		.amdhsa_exception_int_div_zero 0
	.end_amdhsa_kernel
	.section	.text._ZN7rocprim17ROCPRIM_400000_NS6detail17trampoline_kernelINS0_14default_configENS1_25partition_config_selectorILNS1_17partition_subalgoE0EyNS0_10empty_typeEbEEZZNS1_14partition_implILS5_0ELb0ES3_jN6thrust23THRUST_200600_302600_NS6detail15normal_iteratorINSA_10device_ptrIyEEEEPS6_SG_NS0_5tupleIJNSA_16discard_iteratorINSA_11use_defaultEEESF_EEENSH_IJSG_SG_EEES6_PlJ7is_evenIyEEEE10hipError_tPvRmT3_T4_T5_T6_T7_T9_mT8_P12ihipStream_tbDpT10_ENKUlT_T0_E_clISt17integral_constantIbLb0EES19_EEDaS14_S15_EUlS14_E_NS1_11comp_targetILNS1_3genE2ELNS1_11target_archE906ELNS1_3gpuE6ELNS1_3repE0EEENS1_30default_config_static_selectorELNS0_4arch9wavefront6targetE1EEEvT1_,"axG",@progbits,_ZN7rocprim17ROCPRIM_400000_NS6detail17trampoline_kernelINS0_14default_configENS1_25partition_config_selectorILNS1_17partition_subalgoE0EyNS0_10empty_typeEbEEZZNS1_14partition_implILS5_0ELb0ES3_jN6thrust23THRUST_200600_302600_NS6detail15normal_iteratorINSA_10device_ptrIyEEEEPS6_SG_NS0_5tupleIJNSA_16discard_iteratorINSA_11use_defaultEEESF_EEENSH_IJSG_SG_EEES6_PlJ7is_evenIyEEEE10hipError_tPvRmT3_T4_T5_T6_T7_T9_mT8_P12ihipStream_tbDpT10_ENKUlT_T0_E_clISt17integral_constantIbLb0EES19_EEDaS14_S15_EUlS14_E_NS1_11comp_targetILNS1_3genE2ELNS1_11target_archE906ELNS1_3gpuE6ELNS1_3repE0EEENS1_30default_config_static_selectorELNS0_4arch9wavefront6targetE1EEEvT1_,comdat
.Lfunc_end2367:
	.size	_ZN7rocprim17ROCPRIM_400000_NS6detail17trampoline_kernelINS0_14default_configENS1_25partition_config_selectorILNS1_17partition_subalgoE0EyNS0_10empty_typeEbEEZZNS1_14partition_implILS5_0ELb0ES3_jN6thrust23THRUST_200600_302600_NS6detail15normal_iteratorINSA_10device_ptrIyEEEEPS6_SG_NS0_5tupleIJNSA_16discard_iteratorINSA_11use_defaultEEESF_EEENSH_IJSG_SG_EEES6_PlJ7is_evenIyEEEE10hipError_tPvRmT3_T4_T5_T6_T7_T9_mT8_P12ihipStream_tbDpT10_ENKUlT_T0_E_clISt17integral_constantIbLb0EES19_EEDaS14_S15_EUlS14_E_NS1_11comp_targetILNS1_3genE2ELNS1_11target_archE906ELNS1_3gpuE6ELNS1_3repE0EEENS1_30default_config_static_selectorELNS0_4arch9wavefront6targetE1EEEvT1_, .Lfunc_end2367-_ZN7rocprim17ROCPRIM_400000_NS6detail17trampoline_kernelINS0_14default_configENS1_25partition_config_selectorILNS1_17partition_subalgoE0EyNS0_10empty_typeEbEEZZNS1_14partition_implILS5_0ELb0ES3_jN6thrust23THRUST_200600_302600_NS6detail15normal_iteratorINSA_10device_ptrIyEEEEPS6_SG_NS0_5tupleIJNSA_16discard_iteratorINSA_11use_defaultEEESF_EEENSH_IJSG_SG_EEES6_PlJ7is_evenIyEEEE10hipError_tPvRmT3_T4_T5_T6_T7_T9_mT8_P12ihipStream_tbDpT10_ENKUlT_T0_E_clISt17integral_constantIbLb0EES19_EEDaS14_S15_EUlS14_E_NS1_11comp_targetILNS1_3genE2ELNS1_11target_archE906ELNS1_3gpuE6ELNS1_3repE0EEENS1_30default_config_static_selectorELNS0_4arch9wavefront6targetE1EEEvT1_
                                        ; -- End function
	.section	.AMDGPU.csdata,"",@progbits
; Kernel info:
; codeLenInByte = 0
; NumSgprs: 4
; NumVgprs: 0
; NumAgprs: 0
; TotalNumVgprs: 0
; ScratchSize: 0
; MemoryBound: 0
; FloatMode: 240
; IeeeMode: 1
; LDSByteSize: 0 bytes/workgroup (compile time only)
; SGPRBlocks: 0
; VGPRBlocks: 0
; NumSGPRsForWavesPerEU: 4
; NumVGPRsForWavesPerEU: 1
; AccumOffset: 4
; Occupancy: 8
; WaveLimiterHint : 0
; COMPUTE_PGM_RSRC2:SCRATCH_EN: 0
; COMPUTE_PGM_RSRC2:USER_SGPR: 6
; COMPUTE_PGM_RSRC2:TRAP_HANDLER: 0
; COMPUTE_PGM_RSRC2:TGID_X_EN: 1
; COMPUTE_PGM_RSRC2:TGID_Y_EN: 0
; COMPUTE_PGM_RSRC2:TGID_Z_EN: 0
; COMPUTE_PGM_RSRC2:TIDIG_COMP_CNT: 0
; COMPUTE_PGM_RSRC3_GFX90A:ACCUM_OFFSET: 0
; COMPUTE_PGM_RSRC3_GFX90A:TG_SPLIT: 0
	.section	.text._ZN7rocprim17ROCPRIM_400000_NS6detail17trampoline_kernelINS0_14default_configENS1_25partition_config_selectorILNS1_17partition_subalgoE0EyNS0_10empty_typeEbEEZZNS1_14partition_implILS5_0ELb0ES3_jN6thrust23THRUST_200600_302600_NS6detail15normal_iteratorINSA_10device_ptrIyEEEEPS6_SG_NS0_5tupleIJNSA_16discard_iteratorINSA_11use_defaultEEESF_EEENSH_IJSG_SG_EEES6_PlJ7is_evenIyEEEE10hipError_tPvRmT3_T4_T5_T6_T7_T9_mT8_P12ihipStream_tbDpT10_ENKUlT_T0_E_clISt17integral_constantIbLb0EES19_EEDaS14_S15_EUlS14_E_NS1_11comp_targetILNS1_3genE10ELNS1_11target_archE1200ELNS1_3gpuE4ELNS1_3repE0EEENS1_30default_config_static_selectorELNS0_4arch9wavefront6targetE1EEEvT1_,"axG",@progbits,_ZN7rocprim17ROCPRIM_400000_NS6detail17trampoline_kernelINS0_14default_configENS1_25partition_config_selectorILNS1_17partition_subalgoE0EyNS0_10empty_typeEbEEZZNS1_14partition_implILS5_0ELb0ES3_jN6thrust23THRUST_200600_302600_NS6detail15normal_iteratorINSA_10device_ptrIyEEEEPS6_SG_NS0_5tupleIJNSA_16discard_iteratorINSA_11use_defaultEEESF_EEENSH_IJSG_SG_EEES6_PlJ7is_evenIyEEEE10hipError_tPvRmT3_T4_T5_T6_T7_T9_mT8_P12ihipStream_tbDpT10_ENKUlT_T0_E_clISt17integral_constantIbLb0EES19_EEDaS14_S15_EUlS14_E_NS1_11comp_targetILNS1_3genE10ELNS1_11target_archE1200ELNS1_3gpuE4ELNS1_3repE0EEENS1_30default_config_static_selectorELNS0_4arch9wavefront6targetE1EEEvT1_,comdat
	.protected	_ZN7rocprim17ROCPRIM_400000_NS6detail17trampoline_kernelINS0_14default_configENS1_25partition_config_selectorILNS1_17partition_subalgoE0EyNS0_10empty_typeEbEEZZNS1_14partition_implILS5_0ELb0ES3_jN6thrust23THRUST_200600_302600_NS6detail15normal_iteratorINSA_10device_ptrIyEEEEPS6_SG_NS0_5tupleIJNSA_16discard_iteratorINSA_11use_defaultEEESF_EEENSH_IJSG_SG_EEES6_PlJ7is_evenIyEEEE10hipError_tPvRmT3_T4_T5_T6_T7_T9_mT8_P12ihipStream_tbDpT10_ENKUlT_T0_E_clISt17integral_constantIbLb0EES19_EEDaS14_S15_EUlS14_E_NS1_11comp_targetILNS1_3genE10ELNS1_11target_archE1200ELNS1_3gpuE4ELNS1_3repE0EEENS1_30default_config_static_selectorELNS0_4arch9wavefront6targetE1EEEvT1_ ; -- Begin function _ZN7rocprim17ROCPRIM_400000_NS6detail17trampoline_kernelINS0_14default_configENS1_25partition_config_selectorILNS1_17partition_subalgoE0EyNS0_10empty_typeEbEEZZNS1_14partition_implILS5_0ELb0ES3_jN6thrust23THRUST_200600_302600_NS6detail15normal_iteratorINSA_10device_ptrIyEEEEPS6_SG_NS0_5tupleIJNSA_16discard_iteratorINSA_11use_defaultEEESF_EEENSH_IJSG_SG_EEES6_PlJ7is_evenIyEEEE10hipError_tPvRmT3_T4_T5_T6_T7_T9_mT8_P12ihipStream_tbDpT10_ENKUlT_T0_E_clISt17integral_constantIbLb0EES19_EEDaS14_S15_EUlS14_E_NS1_11comp_targetILNS1_3genE10ELNS1_11target_archE1200ELNS1_3gpuE4ELNS1_3repE0EEENS1_30default_config_static_selectorELNS0_4arch9wavefront6targetE1EEEvT1_
	.globl	_ZN7rocprim17ROCPRIM_400000_NS6detail17trampoline_kernelINS0_14default_configENS1_25partition_config_selectorILNS1_17partition_subalgoE0EyNS0_10empty_typeEbEEZZNS1_14partition_implILS5_0ELb0ES3_jN6thrust23THRUST_200600_302600_NS6detail15normal_iteratorINSA_10device_ptrIyEEEEPS6_SG_NS0_5tupleIJNSA_16discard_iteratorINSA_11use_defaultEEESF_EEENSH_IJSG_SG_EEES6_PlJ7is_evenIyEEEE10hipError_tPvRmT3_T4_T5_T6_T7_T9_mT8_P12ihipStream_tbDpT10_ENKUlT_T0_E_clISt17integral_constantIbLb0EES19_EEDaS14_S15_EUlS14_E_NS1_11comp_targetILNS1_3genE10ELNS1_11target_archE1200ELNS1_3gpuE4ELNS1_3repE0EEENS1_30default_config_static_selectorELNS0_4arch9wavefront6targetE1EEEvT1_
	.p2align	8
	.type	_ZN7rocprim17ROCPRIM_400000_NS6detail17trampoline_kernelINS0_14default_configENS1_25partition_config_selectorILNS1_17partition_subalgoE0EyNS0_10empty_typeEbEEZZNS1_14partition_implILS5_0ELb0ES3_jN6thrust23THRUST_200600_302600_NS6detail15normal_iteratorINSA_10device_ptrIyEEEEPS6_SG_NS0_5tupleIJNSA_16discard_iteratorINSA_11use_defaultEEESF_EEENSH_IJSG_SG_EEES6_PlJ7is_evenIyEEEE10hipError_tPvRmT3_T4_T5_T6_T7_T9_mT8_P12ihipStream_tbDpT10_ENKUlT_T0_E_clISt17integral_constantIbLb0EES19_EEDaS14_S15_EUlS14_E_NS1_11comp_targetILNS1_3genE10ELNS1_11target_archE1200ELNS1_3gpuE4ELNS1_3repE0EEENS1_30default_config_static_selectorELNS0_4arch9wavefront6targetE1EEEvT1_,@function
_ZN7rocprim17ROCPRIM_400000_NS6detail17trampoline_kernelINS0_14default_configENS1_25partition_config_selectorILNS1_17partition_subalgoE0EyNS0_10empty_typeEbEEZZNS1_14partition_implILS5_0ELb0ES3_jN6thrust23THRUST_200600_302600_NS6detail15normal_iteratorINSA_10device_ptrIyEEEEPS6_SG_NS0_5tupleIJNSA_16discard_iteratorINSA_11use_defaultEEESF_EEENSH_IJSG_SG_EEES6_PlJ7is_evenIyEEEE10hipError_tPvRmT3_T4_T5_T6_T7_T9_mT8_P12ihipStream_tbDpT10_ENKUlT_T0_E_clISt17integral_constantIbLb0EES19_EEDaS14_S15_EUlS14_E_NS1_11comp_targetILNS1_3genE10ELNS1_11target_archE1200ELNS1_3gpuE4ELNS1_3repE0EEENS1_30default_config_static_selectorELNS0_4arch9wavefront6targetE1EEEvT1_: ; @_ZN7rocprim17ROCPRIM_400000_NS6detail17trampoline_kernelINS0_14default_configENS1_25partition_config_selectorILNS1_17partition_subalgoE0EyNS0_10empty_typeEbEEZZNS1_14partition_implILS5_0ELb0ES3_jN6thrust23THRUST_200600_302600_NS6detail15normal_iteratorINSA_10device_ptrIyEEEEPS6_SG_NS0_5tupleIJNSA_16discard_iteratorINSA_11use_defaultEEESF_EEENSH_IJSG_SG_EEES6_PlJ7is_evenIyEEEE10hipError_tPvRmT3_T4_T5_T6_T7_T9_mT8_P12ihipStream_tbDpT10_ENKUlT_T0_E_clISt17integral_constantIbLb0EES19_EEDaS14_S15_EUlS14_E_NS1_11comp_targetILNS1_3genE10ELNS1_11target_archE1200ELNS1_3gpuE4ELNS1_3repE0EEENS1_30default_config_static_selectorELNS0_4arch9wavefront6targetE1EEEvT1_
; %bb.0:
	.section	.rodata,"a",@progbits
	.p2align	6, 0x0
	.amdhsa_kernel _ZN7rocprim17ROCPRIM_400000_NS6detail17trampoline_kernelINS0_14default_configENS1_25partition_config_selectorILNS1_17partition_subalgoE0EyNS0_10empty_typeEbEEZZNS1_14partition_implILS5_0ELb0ES3_jN6thrust23THRUST_200600_302600_NS6detail15normal_iteratorINSA_10device_ptrIyEEEEPS6_SG_NS0_5tupleIJNSA_16discard_iteratorINSA_11use_defaultEEESF_EEENSH_IJSG_SG_EEES6_PlJ7is_evenIyEEEE10hipError_tPvRmT3_T4_T5_T6_T7_T9_mT8_P12ihipStream_tbDpT10_ENKUlT_T0_E_clISt17integral_constantIbLb0EES19_EEDaS14_S15_EUlS14_E_NS1_11comp_targetILNS1_3genE10ELNS1_11target_archE1200ELNS1_3gpuE4ELNS1_3repE0EEENS1_30default_config_static_selectorELNS0_4arch9wavefront6targetE1EEEvT1_
		.amdhsa_group_segment_fixed_size 0
		.amdhsa_private_segment_fixed_size 0
		.amdhsa_kernarg_size 128
		.amdhsa_user_sgpr_count 6
		.amdhsa_user_sgpr_private_segment_buffer 1
		.amdhsa_user_sgpr_dispatch_ptr 0
		.amdhsa_user_sgpr_queue_ptr 0
		.amdhsa_user_sgpr_kernarg_segment_ptr 1
		.amdhsa_user_sgpr_dispatch_id 0
		.amdhsa_user_sgpr_flat_scratch_init 0
		.amdhsa_user_sgpr_kernarg_preload_length 0
		.amdhsa_user_sgpr_kernarg_preload_offset 0
		.amdhsa_user_sgpr_private_segment_size 0
		.amdhsa_uses_dynamic_stack 0
		.amdhsa_system_sgpr_private_segment_wavefront_offset 0
		.amdhsa_system_sgpr_workgroup_id_x 1
		.amdhsa_system_sgpr_workgroup_id_y 0
		.amdhsa_system_sgpr_workgroup_id_z 0
		.amdhsa_system_sgpr_workgroup_info 0
		.amdhsa_system_vgpr_workitem_id 0
		.amdhsa_next_free_vgpr 1
		.amdhsa_next_free_sgpr 0
		.amdhsa_accum_offset 4
		.amdhsa_reserve_vcc 0
		.amdhsa_reserve_flat_scratch 0
		.amdhsa_float_round_mode_32 0
		.amdhsa_float_round_mode_16_64 0
		.amdhsa_float_denorm_mode_32 3
		.amdhsa_float_denorm_mode_16_64 3
		.amdhsa_dx10_clamp 1
		.amdhsa_ieee_mode 1
		.amdhsa_fp16_overflow 0
		.amdhsa_tg_split 0
		.amdhsa_exception_fp_ieee_invalid_op 0
		.amdhsa_exception_fp_denorm_src 0
		.amdhsa_exception_fp_ieee_div_zero 0
		.amdhsa_exception_fp_ieee_overflow 0
		.amdhsa_exception_fp_ieee_underflow 0
		.amdhsa_exception_fp_ieee_inexact 0
		.amdhsa_exception_int_div_zero 0
	.end_amdhsa_kernel
	.section	.text._ZN7rocprim17ROCPRIM_400000_NS6detail17trampoline_kernelINS0_14default_configENS1_25partition_config_selectorILNS1_17partition_subalgoE0EyNS0_10empty_typeEbEEZZNS1_14partition_implILS5_0ELb0ES3_jN6thrust23THRUST_200600_302600_NS6detail15normal_iteratorINSA_10device_ptrIyEEEEPS6_SG_NS0_5tupleIJNSA_16discard_iteratorINSA_11use_defaultEEESF_EEENSH_IJSG_SG_EEES6_PlJ7is_evenIyEEEE10hipError_tPvRmT3_T4_T5_T6_T7_T9_mT8_P12ihipStream_tbDpT10_ENKUlT_T0_E_clISt17integral_constantIbLb0EES19_EEDaS14_S15_EUlS14_E_NS1_11comp_targetILNS1_3genE10ELNS1_11target_archE1200ELNS1_3gpuE4ELNS1_3repE0EEENS1_30default_config_static_selectorELNS0_4arch9wavefront6targetE1EEEvT1_,"axG",@progbits,_ZN7rocprim17ROCPRIM_400000_NS6detail17trampoline_kernelINS0_14default_configENS1_25partition_config_selectorILNS1_17partition_subalgoE0EyNS0_10empty_typeEbEEZZNS1_14partition_implILS5_0ELb0ES3_jN6thrust23THRUST_200600_302600_NS6detail15normal_iteratorINSA_10device_ptrIyEEEEPS6_SG_NS0_5tupleIJNSA_16discard_iteratorINSA_11use_defaultEEESF_EEENSH_IJSG_SG_EEES6_PlJ7is_evenIyEEEE10hipError_tPvRmT3_T4_T5_T6_T7_T9_mT8_P12ihipStream_tbDpT10_ENKUlT_T0_E_clISt17integral_constantIbLb0EES19_EEDaS14_S15_EUlS14_E_NS1_11comp_targetILNS1_3genE10ELNS1_11target_archE1200ELNS1_3gpuE4ELNS1_3repE0EEENS1_30default_config_static_selectorELNS0_4arch9wavefront6targetE1EEEvT1_,comdat
.Lfunc_end2368:
	.size	_ZN7rocprim17ROCPRIM_400000_NS6detail17trampoline_kernelINS0_14default_configENS1_25partition_config_selectorILNS1_17partition_subalgoE0EyNS0_10empty_typeEbEEZZNS1_14partition_implILS5_0ELb0ES3_jN6thrust23THRUST_200600_302600_NS6detail15normal_iteratorINSA_10device_ptrIyEEEEPS6_SG_NS0_5tupleIJNSA_16discard_iteratorINSA_11use_defaultEEESF_EEENSH_IJSG_SG_EEES6_PlJ7is_evenIyEEEE10hipError_tPvRmT3_T4_T5_T6_T7_T9_mT8_P12ihipStream_tbDpT10_ENKUlT_T0_E_clISt17integral_constantIbLb0EES19_EEDaS14_S15_EUlS14_E_NS1_11comp_targetILNS1_3genE10ELNS1_11target_archE1200ELNS1_3gpuE4ELNS1_3repE0EEENS1_30default_config_static_selectorELNS0_4arch9wavefront6targetE1EEEvT1_, .Lfunc_end2368-_ZN7rocprim17ROCPRIM_400000_NS6detail17trampoline_kernelINS0_14default_configENS1_25partition_config_selectorILNS1_17partition_subalgoE0EyNS0_10empty_typeEbEEZZNS1_14partition_implILS5_0ELb0ES3_jN6thrust23THRUST_200600_302600_NS6detail15normal_iteratorINSA_10device_ptrIyEEEEPS6_SG_NS0_5tupleIJNSA_16discard_iteratorINSA_11use_defaultEEESF_EEENSH_IJSG_SG_EEES6_PlJ7is_evenIyEEEE10hipError_tPvRmT3_T4_T5_T6_T7_T9_mT8_P12ihipStream_tbDpT10_ENKUlT_T0_E_clISt17integral_constantIbLb0EES19_EEDaS14_S15_EUlS14_E_NS1_11comp_targetILNS1_3genE10ELNS1_11target_archE1200ELNS1_3gpuE4ELNS1_3repE0EEENS1_30default_config_static_selectorELNS0_4arch9wavefront6targetE1EEEvT1_
                                        ; -- End function
	.section	.AMDGPU.csdata,"",@progbits
; Kernel info:
; codeLenInByte = 0
; NumSgprs: 4
; NumVgprs: 0
; NumAgprs: 0
; TotalNumVgprs: 0
; ScratchSize: 0
; MemoryBound: 0
; FloatMode: 240
; IeeeMode: 1
; LDSByteSize: 0 bytes/workgroup (compile time only)
; SGPRBlocks: 0
; VGPRBlocks: 0
; NumSGPRsForWavesPerEU: 4
; NumVGPRsForWavesPerEU: 1
; AccumOffset: 4
; Occupancy: 8
; WaveLimiterHint : 0
; COMPUTE_PGM_RSRC2:SCRATCH_EN: 0
; COMPUTE_PGM_RSRC2:USER_SGPR: 6
; COMPUTE_PGM_RSRC2:TRAP_HANDLER: 0
; COMPUTE_PGM_RSRC2:TGID_X_EN: 1
; COMPUTE_PGM_RSRC2:TGID_Y_EN: 0
; COMPUTE_PGM_RSRC2:TGID_Z_EN: 0
; COMPUTE_PGM_RSRC2:TIDIG_COMP_CNT: 0
; COMPUTE_PGM_RSRC3_GFX90A:ACCUM_OFFSET: 0
; COMPUTE_PGM_RSRC3_GFX90A:TG_SPLIT: 0
	.section	.text._ZN7rocprim17ROCPRIM_400000_NS6detail17trampoline_kernelINS0_14default_configENS1_25partition_config_selectorILNS1_17partition_subalgoE0EyNS0_10empty_typeEbEEZZNS1_14partition_implILS5_0ELb0ES3_jN6thrust23THRUST_200600_302600_NS6detail15normal_iteratorINSA_10device_ptrIyEEEEPS6_SG_NS0_5tupleIJNSA_16discard_iteratorINSA_11use_defaultEEESF_EEENSH_IJSG_SG_EEES6_PlJ7is_evenIyEEEE10hipError_tPvRmT3_T4_T5_T6_T7_T9_mT8_P12ihipStream_tbDpT10_ENKUlT_T0_E_clISt17integral_constantIbLb0EES19_EEDaS14_S15_EUlS14_E_NS1_11comp_targetILNS1_3genE9ELNS1_11target_archE1100ELNS1_3gpuE3ELNS1_3repE0EEENS1_30default_config_static_selectorELNS0_4arch9wavefront6targetE1EEEvT1_,"axG",@progbits,_ZN7rocprim17ROCPRIM_400000_NS6detail17trampoline_kernelINS0_14default_configENS1_25partition_config_selectorILNS1_17partition_subalgoE0EyNS0_10empty_typeEbEEZZNS1_14partition_implILS5_0ELb0ES3_jN6thrust23THRUST_200600_302600_NS6detail15normal_iteratorINSA_10device_ptrIyEEEEPS6_SG_NS0_5tupleIJNSA_16discard_iteratorINSA_11use_defaultEEESF_EEENSH_IJSG_SG_EEES6_PlJ7is_evenIyEEEE10hipError_tPvRmT3_T4_T5_T6_T7_T9_mT8_P12ihipStream_tbDpT10_ENKUlT_T0_E_clISt17integral_constantIbLb0EES19_EEDaS14_S15_EUlS14_E_NS1_11comp_targetILNS1_3genE9ELNS1_11target_archE1100ELNS1_3gpuE3ELNS1_3repE0EEENS1_30default_config_static_selectorELNS0_4arch9wavefront6targetE1EEEvT1_,comdat
	.protected	_ZN7rocprim17ROCPRIM_400000_NS6detail17trampoline_kernelINS0_14default_configENS1_25partition_config_selectorILNS1_17partition_subalgoE0EyNS0_10empty_typeEbEEZZNS1_14partition_implILS5_0ELb0ES3_jN6thrust23THRUST_200600_302600_NS6detail15normal_iteratorINSA_10device_ptrIyEEEEPS6_SG_NS0_5tupleIJNSA_16discard_iteratorINSA_11use_defaultEEESF_EEENSH_IJSG_SG_EEES6_PlJ7is_evenIyEEEE10hipError_tPvRmT3_T4_T5_T6_T7_T9_mT8_P12ihipStream_tbDpT10_ENKUlT_T0_E_clISt17integral_constantIbLb0EES19_EEDaS14_S15_EUlS14_E_NS1_11comp_targetILNS1_3genE9ELNS1_11target_archE1100ELNS1_3gpuE3ELNS1_3repE0EEENS1_30default_config_static_selectorELNS0_4arch9wavefront6targetE1EEEvT1_ ; -- Begin function _ZN7rocprim17ROCPRIM_400000_NS6detail17trampoline_kernelINS0_14default_configENS1_25partition_config_selectorILNS1_17partition_subalgoE0EyNS0_10empty_typeEbEEZZNS1_14partition_implILS5_0ELb0ES3_jN6thrust23THRUST_200600_302600_NS6detail15normal_iteratorINSA_10device_ptrIyEEEEPS6_SG_NS0_5tupleIJNSA_16discard_iteratorINSA_11use_defaultEEESF_EEENSH_IJSG_SG_EEES6_PlJ7is_evenIyEEEE10hipError_tPvRmT3_T4_T5_T6_T7_T9_mT8_P12ihipStream_tbDpT10_ENKUlT_T0_E_clISt17integral_constantIbLb0EES19_EEDaS14_S15_EUlS14_E_NS1_11comp_targetILNS1_3genE9ELNS1_11target_archE1100ELNS1_3gpuE3ELNS1_3repE0EEENS1_30default_config_static_selectorELNS0_4arch9wavefront6targetE1EEEvT1_
	.globl	_ZN7rocprim17ROCPRIM_400000_NS6detail17trampoline_kernelINS0_14default_configENS1_25partition_config_selectorILNS1_17partition_subalgoE0EyNS0_10empty_typeEbEEZZNS1_14partition_implILS5_0ELb0ES3_jN6thrust23THRUST_200600_302600_NS6detail15normal_iteratorINSA_10device_ptrIyEEEEPS6_SG_NS0_5tupleIJNSA_16discard_iteratorINSA_11use_defaultEEESF_EEENSH_IJSG_SG_EEES6_PlJ7is_evenIyEEEE10hipError_tPvRmT3_T4_T5_T6_T7_T9_mT8_P12ihipStream_tbDpT10_ENKUlT_T0_E_clISt17integral_constantIbLb0EES19_EEDaS14_S15_EUlS14_E_NS1_11comp_targetILNS1_3genE9ELNS1_11target_archE1100ELNS1_3gpuE3ELNS1_3repE0EEENS1_30default_config_static_selectorELNS0_4arch9wavefront6targetE1EEEvT1_
	.p2align	8
	.type	_ZN7rocprim17ROCPRIM_400000_NS6detail17trampoline_kernelINS0_14default_configENS1_25partition_config_selectorILNS1_17partition_subalgoE0EyNS0_10empty_typeEbEEZZNS1_14partition_implILS5_0ELb0ES3_jN6thrust23THRUST_200600_302600_NS6detail15normal_iteratorINSA_10device_ptrIyEEEEPS6_SG_NS0_5tupleIJNSA_16discard_iteratorINSA_11use_defaultEEESF_EEENSH_IJSG_SG_EEES6_PlJ7is_evenIyEEEE10hipError_tPvRmT3_T4_T5_T6_T7_T9_mT8_P12ihipStream_tbDpT10_ENKUlT_T0_E_clISt17integral_constantIbLb0EES19_EEDaS14_S15_EUlS14_E_NS1_11comp_targetILNS1_3genE9ELNS1_11target_archE1100ELNS1_3gpuE3ELNS1_3repE0EEENS1_30default_config_static_selectorELNS0_4arch9wavefront6targetE1EEEvT1_,@function
_ZN7rocprim17ROCPRIM_400000_NS6detail17trampoline_kernelINS0_14default_configENS1_25partition_config_selectorILNS1_17partition_subalgoE0EyNS0_10empty_typeEbEEZZNS1_14partition_implILS5_0ELb0ES3_jN6thrust23THRUST_200600_302600_NS6detail15normal_iteratorINSA_10device_ptrIyEEEEPS6_SG_NS0_5tupleIJNSA_16discard_iteratorINSA_11use_defaultEEESF_EEENSH_IJSG_SG_EEES6_PlJ7is_evenIyEEEE10hipError_tPvRmT3_T4_T5_T6_T7_T9_mT8_P12ihipStream_tbDpT10_ENKUlT_T0_E_clISt17integral_constantIbLb0EES19_EEDaS14_S15_EUlS14_E_NS1_11comp_targetILNS1_3genE9ELNS1_11target_archE1100ELNS1_3gpuE3ELNS1_3repE0EEENS1_30default_config_static_selectorELNS0_4arch9wavefront6targetE1EEEvT1_: ; @_ZN7rocprim17ROCPRIM_400000_NS6detail17trampoline_kernelINS0_14default_configENS1_25partition_config_selectorILNS1_17partition_subalgoE0EyNS0_10empty_typeEbEEZZNS1_14partition_implILS5_0ELb0ES3_jN6thrust23THRUST_200600_302600_NS6detail15normal_iteratorINSA_10device_ptrIyEEEEPS6_SG_NS0_5tupleIJNSA_16discard_iteratorINSA_11use_defaultEEESF_EEENSH_IJSG_SG_EEES6_PlJ7is_evenIyEEEE10hipError_tPvRmT3_T4_T5_T6_T7_T9_mT8_P12ihipStream_tbDpT10_ENKUlT_T0_E_clISt17integral_constantIbLb0EES19_EEDaS14_S15_EUlS14_E_NS1_11comp_targetILNS1_3genE9ELNS1_11target_archE1100ELNS1_3gpuE3ELNS1_3repE0EEENS1_30default_config_static_selectorELNS0_4arch9wavefront6targetE1EEEvT1_
; %bb.0:
	.section	.rodata,"a",@progbits
	.p2align	6, 0x0
	.amdhsa_kernel _ZN7rocprim17ROCPRIM_400000_NS6detail17trampoline_kernelINS0_14default_configENS1_25partition_config_selectorILNS1_17partition_subalgoE0EyNS0_10empty_typeEbEEZZNS1_14partition_implILS5_0ELb0ES3_jN6thrust23THRUST_200600_302600_NS6detail15normal_iteratorINSA_10device_ptrIyEEEEPS6_SG_NS0_5tupleIJNSA_16discard_iteratorINSA_11use_defaultEEESF_EEENSH_IJSG_SG_EEES6_PlJ7is_evenIyEEEE10hipError_tPvRmT3_T4_T5_T6_T7_T9_mT8_P12ihipStream_tbDpT10_ENKUlT_T0_E_clISt17integral_constantIbLb0EES19_EEDaS14_S15_EUlS14_E_NS1_11comp_targetILNS1_3genE9ELNS1_11target_archE1100ELNS1_3gpuE3ELNS1_3repE0EEENS1_30default_config_static_selectorELNS0_4arch9wavefront6targetE1EEEvT1_
		.amdhsa_group_segment_fixed_size 0
		.amdhsa_private_segment_fixed_size 0
		.amdhsa_kernarg_size 128
		.amdhsa_user_sgpr_count 6
		.amdhsa_user_sgpr_private_segment_buffer 1
		.amdhsa_user_sgpr_dispatch_ptr 0
		.amdhsa_user_sgpr_queue_ptr 0
		.amdhsa_user_sgpr_kernarg_segment_ptr 1
		.amdhsa_user_sgpr_dispatch_id 0
		.amdhsa_user_sgpr_flat_scratch_init 0
		.amdhsa_user_sgpr_kernarg_preload_length 0
		.amdhsa_user_sgpr_kernarg_preload_offset 0
		.amdhsa_user_sgpr_private_segment_size 0
		.amdhsa_uses_dynamic_stack 0
		.amdhsa_system_sgpr_private_segment_wavefront_offset 0
		.amdhsa_system_sgpr_workgroup_id_x 1
		.amdhsa_system_sgpr_workgroup_id_y 0
		.amdhsa_system_sgpr_workgroup_id_z 0
		.amdhsa_system_sgpr_workgroup_info 0
		.amdhsa_system_vgpr_workitem_id 0
		.amdhsa_next_free_vgpr 1
		.amdhsa_next_free_sgpr 0
		.amdhsa_accum_offset 4
		.amdhsa_reserve_vcc 0
		.amdhsa_reserve_flat_scratch 0
		.amdhsa_float_round_mode_32 0
		.amdhsa_float_round_mode_16_64 0
		.amdhsa_float_denorm_mode_32 3
		.amdhsa_float_denorm_mode_16_64 3
		.amdhsa_dx10_clamp 1
		.amdhsa_ieee_mode 1
		.amdhsa_fp16_overflow 0
		.amdhsa_tg_split 0
		.amdhsa_exception_fp_ieee_invalid_op 0
		.amdhsa_exception_fp_denorm_src 0
		.amdhsa_exception_fp_ieee_div_zero 0
		.amdhsa_exception_fp_ieee_overflow 0
		.amdhsa_exception_fp_ieee_underflow 0
		.amdhsa_exception_fp_ieee_inexact 0
		.amdhsa_exception_int_div_zero 0
	.end_amdhsa_kernel
	.section	.text._ZN7rocprim17ROCPRIM_400000_NS6detail17trampoline_kernelINS0_14default_configENS1_25partition_config_selectorILNS1_17partition_subalgoE0EyNS0_10empty_typeEbEEZZNS1_14partition_implILS5_0ELb0ES3_jN6thrust23THRUST_200600_302600_NS6detail15normal_iteratorINSA_10device_ptrIyEEEEPS6_SG_NS0_5tupleIJNSA_16discard_iteratorINSA_11use_defaultEEESF_EEENSH_IJSG_SG_EEES6_PlJ7is_evenIyEEEE10hipError_tPvRmT3_T4_T5_T6_T7_T9_mT8_P12ihipStream_tbDpT10_ENKUlT_T0_E_clISt17integral_constantIbLb0EES19_EEDaS14_S15_EUlS14_E_NS1_11comp_targetILNS1_3genE9ELNS1_11target_archE1100ELNS1_3gpuE3ELNS1_3repE0EEENS1_30default_config_static_selectorELNS0_4arch9wavefront6targetE1EEEvT1_,"axG",@progbits,_ZN7rocprim17ROCPRIM_400000_NS6detail17trampoline_kernelINS0_14default_configENS1_25partition_config_selectorILNS1_17partition_subalgoE0EyNS0_10empty_typeEbEEZZNS1_14partition_implILS5_0ELb0ES3_jN6thrust23THRUST_200600_302600_NS6detail15normal_iteratorINSA_10device_ptrIyEEEEPS6_SG_NS0_5tupleIJNSA_16discard_iteratorINSA_11use_defaultEEESF_EEENSH_IJSG_SG_EEES6_PlJ7is_evenIyEEEE10hipError_tPvRmT3_T4_T5_T6_T7_T9_mT8_P12ihipStream_tbDpT10_ENKUlT_T0_E_clISt17integral_constantIbLb0EES19_EEDaS14_S15_EUlS14_E_NS1_11comp_targetILNS1_3genE9ELNS1_11target_archE1100ELNS1_3gpuE3ELNS1_3repE0EEENS1_30default_config_static_selectorELNS0_4arch9wavefront6targetE1EEEvT1_,comdat
.Lfunc_end2369:
	.size	_ZN7rocprim17ROCPRIM_400000_NS6detail17trampoline_kernelINS0_14default_configENS1_25partition_config_selectorILNS1_17partition_subalgoE0EyNS0_10empty_typeEbEEZZNS1_14partition_implILS5_0ELb0ES3_jN6thrust23THRUST_200600_302600_NS6detail15normal_iteratorINSA_10device_ptrIyEEEEPS6_SG_NS0_5tupleIJNSA_16discard_iteratorINSA_11use_defaultEEESF_EEENSH_IJSG_SG_EEES6_PlJ7is_evenIyEEEE10hipError_tPvRmT3_T4_T5_T6_T7_T9_mT8_P12ihipStream_tbDpT10_ENKUlT_T0_E_clISt17integral_constantIbLb0EES19_EEDaS14_S15_EUlS14_E_NS1_11comp_targetILNS1_3genE9ELNS1_11target_archE1100ELNS1_3gpuE3ELNS1_3repE0EEENS1_30default_config_static_selectorELNS0_4arch9wavefront6targetE1EEEvT1_, .Lfunc_end2369-_ZN7rocprim17ROCPRIM_400000_NS6detail17trampoline_kernelINS0_14default_configENS1_25partition_config_selectorILNS1_17partition_subalgoE0EyNS0_10empty_typeEbEEZZNS1_14partition_implILS5_0ELb0ES3_jN6thrust23THRUST_200600_302600_NS6detail15normal_iteratorINSA_10device_ptrIyEEEEPS6_SG_NS0_5tupleIJNSA_16discard_iteratorINSA_11use_defaultEEESF_EEENSH_IJSG_SG_EEES6_PlJ7is_evenIyEEEE10hipError_tPvRmT3_T4_T5_T6_T7_T9_mT8_P12ihipStream_tbDpT10_ENKUlT_T0_E_clISt17integral_constantIbLb0EES19_EEDaS14_S15_EUlS14_E_NS1_11comp_targetILNS1_3genE9ELNS1_11target_archE1100ELNS1_3gpuE3ELNS1_3repE0EEENS1_30default_config_static_selectorELNS0_4arch9wavefront6targetE1EEEvT1_
                                        ; -- End function
	.section	.AMDGPU.csdata,"",@progbits
; Kernel info:
; codeLenInByte = 0
; NumSgprs: 4
; NumVgprs: 0
; NumAgprs: 0
; TotalNumVgprs: 0
; ScratchSize: 0
; MemoryBound: 0
; FloatMode: 240
; IeeeMode: 1
; LDSByteSize: 0 bytes/workgroup (compile time only)
; SGPRBlocks: 0
; VGPRBlocks: 0
; NumSGPRsForWavesPerEU: 4
; NumVGPRsForWavesPerEU: 1
; AccumOffset: 4
; Occupancy: 8
; WaveLimiterHint : 0
; COMPUTE_PGM_RSRC2:SCRATCH_EN: 0
; COMPUTE_PGM_RSRC2:USER_SGPR: 6
; COMPUTE_PGM_RSRC2:TRAP_HANDLER: 0
; COMPUTE_PGM_RSRC2:TGID_X_EN: 1
; COMPUTE_PGM_RSRC2:TGID_Y_EN: 0
; COMPUTE_PGM_RSRC2:TGID_Z_EN: 0
; COMPUTE_PGM_RSRC2:TIDIG_COMP_CNT: 0
; COMPUTE_PGM_RSRC3_GFX90A:ACCUM_OFFSET: 0
; COMPUTE_PGM_RSRC3_GFX90A:TG_SPLIT: 0
	.section	.text._ZN7rocprim17ROCPRIM_400000_NS6detail17trampoline_kernelINS0_14default_configENS1_25partition_config_selectorILNS1_17partition_subalgoE0EyNS0_10empty_typeEbEEZZNS1_14partition_implILS5_0ELb0ES3_jN6thrust23THRUST_200600_302600_NS6detail15normal_iteratorINSA_10device_ptrIyEEEEPS6_SG_NS0_5tupleIJNSA_16discard_iteratorINSA_11use_defaultEEESF_EEENSH_IJSG_SG_EEES6_PlJ7is_evenIyEEEE10hipError_tPvRmT3_T4_T5_T6_T7_T9_mT8_P12ihipStream_tbDpT10_ENKUlT_T0_E_clISt17integral_constantIbLb0EES19_EEDaS14_S15_EUlS14_E_NS1_11comp_targetILNS1_3genE8ELNS1_11target_archE1030ELNS1_3gpuE2ELNS1_3repE0EEENS1_30default_config_static_selectorELNS0_4arch9wavefront6targetE1EEEvT1_,"axG",@progbits,_ZN7rocprim17ROCPRIM_400000_NS6detail17trampoline_kernelINS0_14default_configENS1_25partition_config_selectorILNS1_17partition_subalgoE0EyNS0_10empty_typeEbEEZZNS1_14partition_implILS5_0ELb0ES3_jN6thrust23THRUST_200600_302600_NS6detail15normal_iteratorINSA_10device_ptrIyEEEEPS6_SG_NS0_5tupleIJNSA_16discard_iteratorINSA_11use_defaultEEESF_EEENSH_IJSG_SG_EEES6_PlJ7is_evenIyEEEE10hipError_tPvRmT3_T4_T5_T6_T7_T9_mT8_P12ihipStream_tbDpT10_ENKUlT_T0_E_clISt17integral_constantIbLb0EES19_EEDaS14_S15_EUlS14_E_NS1_11comp_targetILNS1_3genE8ELNS1_11target_archE1030ELNS1_3gpuE2ELNS1_3repE0EEENS1_30default_config_static_selectorELNS0_4arch9wavefront6targetE1EEEvT1_,comdat
	.protected	_ZN7rocprim17ROCPRIM_400000_NS6detail17trampoline_kernelINS0_14default_configENS1_25partition_config_selectorILNS1_17partition_subalgoE0EyNS0_10empty_typeEbEEZZNS1_14partition_implILS5_0ELb0ES3_jN6thrust23THRUST_200600_302600_NS6detail15normal_iteratorINSA_10device_ptrIyEEEEPS6_SG_NS0_5tupleIJNSA_16discard_iteratorINSA_11use_defaultEEESF_EEENSH_IJSG_SG_EEES6_PlJ7is_evenIyEEEE10hipError_tPvRmT3_T4_T5_T6_T7_T9_mT8_P12ihipStream_tbDpT10_ENKUlT_T0_E_clISt17integral_constantIbLb0EES19_EEDaS14_S15_EUlS14_E_NS1_11comp_targetILNS1_3genE8ELNS1_11target_archE1030ELNS1_3gpuE2ELNS1_3repE0EEENS1_30default_config_static_selectorELNS0_4arch9wavefront6targetE1EEEvT1_ ; -- Begin function _ZN7rocprim17ROCPRIM_400000_NS6detail17trampoline_kernelINS0_14default_configENS1_25partition_config_selectorILNS1_17partition_subalgoE0EyNS0_10empty_typeEbEEZZNS1_14partition_implILS5_0ELb0ES3_jN6thrust23THRUST_200600_302600_NS6detail15normal_iteratorINSA_10device_ptrIyEEEEPS6_SG_NS0_5tupleIJNSA_16discard_iteratorINSA_11use_defaultEEESF_EEENSH_IJSG_SG_EEES6_PlJ7is_evenIyEEEE10hipError_tPvRmT3_T4_T5_T6_T7_T9_mT8_P12ihipStream_tbDpT10_ENKUlT_T0_E_clISt17integral_constantIbLb0EES19_EEDaS14_S15_EUlS14_E_NS1_11comp_targetILNS1_3genE8ELNS1_11target_archE1030ELNS1_3gpuE2ELNS1_3repE0EEENS1_30default_config_static_selectorELNS0_4arch9wavefront6targetE1EEEvT1_
	.globl	_ZN7rocprim17ROCPRIM_400000_NS6detail17trampoline_kernelINS0_14default_configENS1_25partition_config_selectorILNS1_17partition_subalgoE0EyNS0_10empty_typeEbEEZZNS1_14partition_implILS5_0ELb0ES3_jN6thrust23THRUST_200600_302600_NS6detail15normal_iteratorINSA_10device_ptrIyEEEEPS6_SG_NS0_5tupleIJNSA_16discard_iteratorINSA_11use_defaultEEESF_EEENSH_IJSG_SG_EEES6_PlJ7is_evenIyEEEE10hipError_tPvRmT3_T4_T5_T6_T7_T9_mT8_P12ihipStream_tbDpT10_ENKUlT_T0_E_clISt17integral_constantIbLb0EES19_EEDaS14_S15_EUlS14_E_NS1_11comp_targetILNS1_3genE8ELNS1_11target_archE1030ELNS1_3gpuE2ELNS1_3repE0EEENS1_30default_config_static_selectorELNS0_4arch9wavefront6targetE1EEEvT1_
	.p2align	8
	.type	_ZN7rocprim17ROCPRIM_400000_NS6detail17trampoline_kernelINS0_14default_configENS1_25partition_config_selectorILNS1_17partition_subalgoE0EyNS0_10empty_typeEbEEZZNS1_14partition_implILS5_0ELb0ES3_jN6thrust23THRUST_200600_302600_NS6detail15normal_iteratorINSA_10device_ptrIyEEEEPS6_SG_NS0_5tupleIJNSA_16discard_iteratorINSA_11use_defaultEEESF_EEENSH_IJSG_SG_EEES6_PlJ7is_evenIyEEEE10hipError_tPvRmT3_T4_T5_T6_T7_T9_mT8_P12ihipStream_tbDpT10_ENKUlT_T0_E_clISt17integral_constantIbLb0EES19_EEDaS14_S15_EUlS14_E_NS1_11comp_targetILNS1_3genE8ELNS1_11target_archE1030ELNS1_3gpuE2ELNS1_3repE0EEENS1_30default_config_static_selectorELNS0_4arch9wavefront6targetE1EEEvT1_,@function
_ZN7rocprim17ROCPRIM_400000_NS6detail17trampoline_kernelINS0_14default_configENS1_25partition_config_selectorILNS1_17partition_subalgoE0EyNS0_10empty_typeEbEEZZNS1_14partition_implILS5_0ELb0ES3_jN6thrust23THRUST_200600_302600_NS6detail15normal_iteratorINSA_10device_ptrIyEEEEPS6_SG_NS0_5tupleIJNSA_16discard_iteratorINSA_11use_defaultEEESF_EEENSH_IJSG_SG_EEES6_PlJ7is_evenIyEEEE10hipError_tPvRmT3_T4_T5_T6_T7_T9_mT8_P12ihipStream_tbDpT10_ENKUlT_T0_E_clISt17integral_constantIbLb0EES19_EEDaS14_S15_EUlS14_E_NS1_11comp_targetILNS1_3genE8ELNS1_11target_archE1030ELNS1_3gpuE2ELNS1_3repE0EEENS1_30default_config_static_selectorELNS0_4arch9wavefront6targetE1EEEvT1_: ; @_ZN7rocprim17ROCPRIM_400000_NS6detail17trampoline_kernelINS0_14default_configENS1_25partition_config_selectorILNS1_17partition_subalgoE0EyNS0_10empty_typeEbEEZZNS1_14partition_implILS5_0ELb0ES3_jN6thrust23THRUST_200600_302600_NS6detail15normal_iteratorINSA_10device_ptrIyEEEEPS6_SG_NS0_5tupleIJNSA_16discard_iteratorINSA_11use_defaultEEESF_EEENSH_IJSG_SG_EEES6_PlJ7is_evenIyEEEE10hipError_tPvRmT3_T4_T5_T6_T7_T9_mT8_P12ihipStream_tbDpT10_ENKUlT_T0_E_clISt17integral_constantIbLb0EES19_EEDaS14_S15_EUlS14_E_NS1_11comp_targetILNS1_3genE8ELNS1_11target_archE1030ELNS1_3gpuE2ELNS1_3repE0EEENS1_30default_config_static_selectorELNS0_4arch9wavefront6targetE1EEEvT1_
; %bb.0:
	.section	.rodata,"a",@progbits
	.p2align	6, 0x0
	.amdhsa_kernel _ZN7rocprim17ROCPRIM_400000_NS6detail17trampoline_kernelINS0_14default_configENS1_25partition_config_selectorILNS1_17partition_subalgoE0EyNS0_10empty_typeEbEEZZNS1_14partition_implILS5_0ELb0ES3_jN6thrust23THRUST_200600_302600_NS6detail15normal_iteratorINSA_10device_ptrIyEEEEPS6_SG_NS0_5tupleIJNSA_16discard_iteratorINSA_11use_defaultEEESF_EEENSH_IJSG_SG_EEES6_PlJ7is_evenIyEEEE10hipError_tPvRmT3_T4_T5_T6_T7_T9_mT8_P12ihipStream_tbDpT10_ENKUlT_T0_E_clISt17integral_constantIbLb0EES19_EEDaS14_S15_EUlS14_E_NS1_11comp_targetILNS1_3genE8ELNS1_11target_archE1030ELNS1_3gpuE2ELNS1_3repE0EEENS1_30default_config_static_selectorELNS0_4arch9wavefront6targetE1EEEvT1_
		.amdhsa_group_segment_fixed_size 0
		.amdhsa_private_segment_fixed_size 0
		.amdhsa_kernarg_size 128
		.amdhsa_user_sgpr_count 6
		.amdhsa_user_sgpr_private_segment_buffer 1
		.amdhsa_user_sgpr_dispatch_ptr 0
		.amdhsa_user_sgpr_queue_ptr 0
		.amdhsa_user_sgpr_kernarg_segment_ptr 1
		.amdhsa_user_sgpr_dispatch_id 0
		.amdhsa_user_sgpr_flat_scratch_init 0
		.amdhsa_user_sgpr_kernarg_preload_length 0
		.amdhsa_user_sgpr_kernarg_preload_offset 0
		.amdhsa_user_sgpr_private_segment_size 0
		.amdhsa_uses_dynamic_stack 0
		.amdhsa_system_sgpr_private_segment_wavefront_offset 0
		.amdhsa_system_sgpr_workgroup_id_x 1
		.amdhsa_system_sgpr_workgroup_id_y 0
		.amdhsa_system_sgpr_workgroup_id_z 0
		.amdhsa_system_sgpr_workgroup_info 0
		.amdhsa_system_vgpr_workitem_id 0
		.amdhsa_next_free_vgpr 1
		.amdhsa_next_free_sgpr 0
		.amdhsa_accum_offset 4
		.amdhsa_reserve_vcc 0
		.amdhsa_reserve_flat_scratch 0
		.amdhsa_float_round_mode_32 0
		.amdhsa_float_round_mode_16_64 0
		.amdhsa_float_denorm_mode_32 3
		.amdhsa_float_denorm_mode_16_64 3
		.amdhsa_dx10_clamp 1
		.amdhsa_ieee_mode 1
		.amdhsa_fp16_overflow 0
		.amdhsa_tg_split 0
		.amdhsa_exception_fp_ieee_invalid_op 0
		.amdhsa_exception_fp_denorm_src 0
		.amdhsa_exception_fp_ieee_div_zero 0
		.amdhsa_exception_fp_ieee_overflow 0
		.amdhsa_exception_fp_ieee_underflow 0
		.amdhsa_exception_fp_ieee_inexact 0
		.amdhsa_exception_int_div_zero 0
	.end_amdhsa_kernel
	.section	.text._ZN7rocprim17ROCPRIM_400000_NS6detail17trampoline_kernelINS0_14default_configENS1_25partition_config_selectorILNS1_17partition_subalgoE0EyNS0_10empty_typeEbEEZZNS1_14partition_implILS5_0ELb0ES3_jN6thrust23THRUST_200600_302600_NS6detail15normal_iteratorINSA_10device_ptrIyEEEEPS6_SG_NS0_5tupleIJNSA_16discard_iteratorINSA_11use_defaultEEESF_EEENSH_IJSG_SG_EEES6_PlJ7is_evenIyEEEE10hipError_tPvRmT3_T4_T5_T6_T7_T9_mT8_P12ihipStream_tbDpT10_ENKUlT_T0_E_clISt17integral_constantIbLb0EES19_EEDaS14_S15_EUlS14_E_NS1_11comp_targetILNS1_3genE8ELNS1_11target_archE1030ELNS1_3gpuE2ELNS1_3repE0EEENS1_30default_config_static_selectorELNS0_4arch9wavefront6targetE1EEEvT1_,"axG",@progbits,_ZN7rocprim17ROCPRIM_400000_NS6detail17trampoline_kernelINS0_14default_configENS1_25partition_config_selectorILNS1_17partition_subalgoE0EyNS0_10empty_typeEbEEZZNS1_14partition_implILS5_0ELb0ES3_jN6thrust23THRUST_200600_302600_NS6detail15normal_iteratorINSA_10device_ptrIyEEEEPS6_SG_NS0_5tupleIJNSA_16discard_iteratorINSA_11use_defaultEEESF_EEENSH_IJSG_SG_EEES6_PlJ7is_evenIyEEEE10hipError_tPvRmT3_T4_T5_T6_T7_T9_mT8_P12ihipStream_tbDpT10_ENKUlT_T0_E_clISt17integral_constantIbLb0EES19_EEDaS14_S15_EUlS14_E_NS1_11comp_targetILNS1_3genE8ELNS1_11target_archE1030ELNS1_3gpuE2ELNS1_3repE0EEENS1_30default_config_static_selectorELNS0_4arch9wavefront6targetE1EEEvT1_,comdat
.Lfunc_end2370:
	.size	_ZN7rocprim17ROCPRIM_400000_NS6detail17trampoline_kernelINS0_14default_configENS1_25partition_config_selectorILNS1_17partition_subalgoE0EyNS0_10empty_typeEbEEZZNS1_14partition_implILS5_0ELb0ES3_jN6thrust23THRUST_200600_302600_NS6detail15normal_iteratorINSA_10device_ptrIyEEEEPS6_SG_NS0_5tupleIJNSA_16discard_iteratorINSA_11use_defaultEEESF_EEENSH_IJSG_SG_EEES6_PlJ7is_evenIyEEEE10hipError_tPvRmT3_T4_T5_T6_T7_T9_mT8_P12ihipStream_tbDpT10_ENKUlT_T0_E_clISt17integral_constantIbLb0EES19_EEDaS14_S15_EUlS14_E_NS1_11comp_targetILNS1_3genE8ELNS1_11target_archE1030ELNS1_3gpuE2ELNS1_3repE0EEENS1_30default_config_static_selectorELNS0_4arch9wavefront6targetE1EEEvT1_, .Lfunc_end2370-_ZN7rocprim17ROCPRIM_400000_NS6detail17trampoline_kernelINS0_14default_configENS1_25partition_config_selectorILNS1_17partition_subalgoE0EyNS0_10empty_typeEbEEZZNS1_14partition_implILS5_0ELb0ES3_jN6thrust23THRUST_200600_302600_NS6detail15normal_iteratorINSA_10device_ptrIyEEEEPS6_SG_NS0_5tupleIJNSA_16discard_iteratorINSA_11use_defaultEEESF_EEENSH_IJSG_SG_EEES6_PlJ7is_evenIyEEEE10hipError_tPvRmT3_T4_T5_T6_T7_T9_mT8_P12ihipStream_tbDpT10_ENKUlT_T0_E_clISt17integral_constantIbLb0EES19_EEDaS14_S15_EUlS14_E_NS1_11comp_targetILNS1_3genE8ELNS1_11target_archE1030ELNS1_3gpuE2ELNS1_3repE0EEENS1_30default_config_static_selectorELNS0_4arch9wavefront6targetE1EEEvT1_
                                        ; -- End function
	.section	.AMDGPU.csdata,"",@progbits
; Kernel info:
; codeLenInByte = 0
; NumSgprs: 4
; NumVgprs: 0
; NumAgprs: 0
; TotalNumVgprs: 0
; ScratchSize: 0
; MemoryBound: 0
; FloatMode: 240
; IeeeMode: 1
; LDSByteSize: 0 bytes/workgroup (compile time only)
; SGPRBlocks: 0
; VGPRBlocks: 0
; NumSGPRsForWavesPerEU: 4
; NumVGPRsForWavesPerEU: 1
; AccumOffset: 4
; Occupancy: 8
; WaveLimiterHint : 0
; COMPUTE_PGM_RSRC2:SCRATCH_EN: 0
; COMPUTE_PGM_RSRC2:USER_SGPR: 6
; COMPUTE_PGM_RSRC2:TRAP_HANDLER: 0
; COMPUTE_PGM_RSRC2:TGID_X_EN: 1
; COMPUTE_PGM_RSRC2:TGID_Y_EN: 0
; COMPUTE_PGM_RSRC2:TGID_Z_EN: 0
; COMPUTE_PGM_RSRC2:TIDIG_COMP_CNT: 0
; COMPUTE_PGM_RSRC3_GFX90A:ACCUM_OFFSET: 0
; COMPUTE_PGM_RSRC3_GFX90A:TG_SPLIT: 0
	.section	.text._ZN7rocprim17ROCPRIM_400000_NS6detail17trampoline_kernelINS0_14default_configENS1_25partition_config_selectorILNS1_17partition_subalgoE0EyNS0_10empty_typeEbEEZZNS1_14partition_implILS5_0ELb0ES3_jN6thrust23THRUST_200600_302600_NS6detail15normal_iteratorINSA_10device_ptrIyEEEEPS6_SG_NS0_5tupleIJNSA_16discard_iteratorINSA_11use_defaultEEESF_EEENSH_IJSG_SG_EEES6_PlJ7is_evenIyEEEE10hipError_tPvRmT3_T4_T5_T6_T7_T9_mT8_P12ihipStream_tbDpT10_ENKUlT_T0_E_clISt17integral_constantIbLb1EES19_EEDaS14_S15_EUlS14_E_NS1_11comp_targetILNS1_3genE0ELNS1_11target_archE4294967295ELNS1_3gpuE0ELNS1_3repE0EEENS1_30default_config_static_selectorELNS0_4arch9wavefront6targetE1EEEvT1_,"axG",@progbits,_ZN7rocprim17ROCPRIM_400000_NS6detail17trampoline_kernelINS0_14default_configENS1_25partition_config_selectorILNS1_17partition_subalgoE0EyNS0_10empty_typeEbEEZZNS1_14partition_implILS5_0ELb0ES3_jN6thrust23THRUST_200600_302600_NS6detail15normal_iteratorINSA_10device_ptrIyEEEEPS6_SG_NS0_5tupleIJNSA_16discard_iteratorINSA_11use_defaultEEESF_EEENSH_IJSG_SG_EEES6_PlJ7is_evenIyEEEE10hipError_tPvRmT3_T4_T5_T6_T7_T9_mT8_P12ihipStream_tbDpT10_ENKUlT_T0_E_clISt17integral_constantIbLb1EES19_EEDaS14_S15_EUlS14_E_NS1_11comp_targetILNS1_3genE0ELNS1_11target_archE4294967295ELNS1_3gpuE0ELNS1_3repE0EEENS1_30default_config_static_selectorELNS0_4arch9wavefront6targetE1EEEvT1_,comdat
	.protected	_ZN7rocprim17ROCPRIM_400000_NS6detail17trampoline_kernelINS0_14default_configENS1_25partition_config_selectorILNS1_17partition_subalgoE0EyNS0_10empty_typeEbEEZZNS1_14partition_implILS5_0ELb0ES3_jN6thrust23THRUST_200600_302600_NS6detail15normal_iteratorINSA_10device_ptrIyEEEEPS6_SG_NS0_5tupleIJNSA_16discard_iteratorINSA_11use_defaultEEESF_EEENSH_IJSG_SG_EEES6_PlJ7is_evenIyEEEE10hipError_tPvRmT3_T4_T5_T6_T7_T9_mT8_P12ihipStream_tbDpT10_ENKUlT_T0_E_clISt17integral_constantIbLb1EES19_EEDaS14_S15_EUlS14_E_NS1_11comp_targetILNS1_3genE0ELNS1_11target_archE4294967295ELNS1_3gpuE0ELNS1_3repE0EEENS1_30default_config_static_selectorELNS0_4arch9wavefront6targetE1EEEvT1_ ; -- Begin function _ZN7rocprim17ROCPRIM_400000_NS6detail17trampoline_kernelINS0_14default_configENS1_25partition_config_selectorILNS1_17partition_subalgoE0EyNS0_10empty_typeEbEEZZNS1_14partition_implILS5_0ELb0ES3_jN6thrust23THRUST_200600_302600_NS6detail15normal_iteratorINSA_10device_ptrIyEEEEPS6_SG_NS0_5tupleIJNSA_16discard_iteratorINSA_11use_defaultEEESF_EEENSH_IJSG_SG_EEES6_PlJ7is_evenIyEEEE10hipError_tPvRmT3_T4_T5_T6_T7_T9_mT8_P12ihipStream_tbDpT10_ENKUlT_T0_E_clISt17integral_constantIbLb1EES19_EEDaS14_S15_EUlS14_E_NS1_11comp_targetILNS1_3genE0ELNS1_11target_archE4294967295ELNS1_3gpuE0ELNS1_3repE0EEENS1_30default_config_static_selectorELNS0_4arch9wavefront6targetE1EEEvT1_
	.globl	_ZN7rocprim17ROCPRIM_400000_NS6detail17trampoline_kernelINS0_14default_configENS1_25partition_config_selectorILNS1_17partition_subalgoE0EyNS0_10empty_typeEbEEZZNS1_14partition_implILS5_0ELb0ES3_jN6thrust23THRUST_200600_302600_NS6detail15normal_iteratorINSA_10device_ptrIyEEEEPS6_SG_NS0_5tupleIJNSA_16discard_iteratorINSA_11use_defaultEEESF_EEENSH_IJSG_SG_EEES6_PlJ7is_evenIyEEEE10hipError_tPvRmT3_T4_T5_T6_T7_T9_mT8_P12ihipStream_tbDpT10_ENKUlT_T0_E_clISt17integral_constantIbLb1EES19_EEDaS14_S15_EUlS14_E_NS1_11comp_targetILNS1_3genE0ELNS1_11target_archE4294967295ELNS1_3gpuE0ELNS1_3repE0EEENS1_30default_config_static_selectorELNS0_4arch9wavefront6targetE1EEEvT1_
	.p2align	8
	.type	_ZN7rocprim17ROCPRIM_400000_NS6detail17trampoline_kernelINS0_14default_configENS1_25partition_config_selectorILNS1_17partition_subalgoE0EyNS0_10empty_typeEbEEZZNS1_14partition_implILS5_0ELb0ES3_jN6thrust23THRUST_200600_302600_NS6detail15normal_iteratorINSA_10device_ptrIyEEEEPS6_SG_NS0_5tupleIJNSA_16discard_iteratorINSA_11use_defaultEEESF_EEENSH_IJSG_SG_EEES6_PlJ7is_evenIyEEEE10hipError_tPvRmT3_T4_T5_T6_T7_T9_mT8_P12ihipStream_tbDpT10_ENKUlT_T0_E_clISt17integral_constantIbLb1EES19_EEDaS14_S15_EUlS14_E_NS1_11comp_targetILNS1_3genE0ELNS1_11target_archE4294967295ELNS1_3gpuE0ELNS1_3repE0EEENS1_30default_config_static_selectorELNS0_4arch9wavefront6targetE1EEEvT1_,@function
_ZN7rocprim17ROCPRIM_400000_NS6detail17trampoline_kernelINS0_14default_configENS1_25partition_config_selectorILNS1_17partition_subalgoE0EyNS0_10empty_typeEbEEZZNS1_14partition_implILS5_0ELb0ES3_jN6thrust23THRUST_200600_302600_NS6detail15normal_iteratorINSA_10device_ptrIyEEEEPS6_SG_NS0_5tupleIJNSA_16discard_iteratorINSA_11use_defaultEEESF_EEENSH_IJSG_SG_EEES6_PlJ7is_evenIyEEEE10hipError_tPvRmT3_T4_T5_T6_T7_T9_mT8_P12ihipStream_tbDpT10_ENKUlT_T0_E_clISt17integral_constantIbLb1EES19_EEDaS14_S15_EUlS14_E_NS1_11comp_targetILNS1_3genE0ELNS1_11target_archE4294967295ELNS1_3gpuE0ELNS1_3repE0EEENS1_30default_config_static_selectorELNS0_4arch9wavefront6targetE1EEEvT1_: ; @_ZN7rocprim17ROCPRIM_400000_NS6detail17trampoline_kernelINS0_14default_configENS1_25partition_config_selectorILNS1_17partition_subalgoE0EyNS0_10empty_typeEbEEZZNS1_14partition_implILS5_0ELb0ES3_jN6thrust23THRUST_200600_302600_NS6detail15normal_iteratorINSA_10device_ptrIyEEEEPS6_SG_NS0_5tupleIJNSA_16discard_iteratorINSA_11use_defaultEEESF_EEENSH_IJSG_SG_EEES6_PlJ7is_evenIyEEEE10hipError_tPvRmT3_T4_T5_T6_T7_T9_mT8_P12ihipStream_tbDpT10_ENKUlT_T0_E_clISt17integral_constantIbLb1EES19_EEDaS14_S15_EUlS14_E_NS1_11comp_targetILNS1_3genE0ELNS1_11target_archE4294967295ELNS1_3gpuE0ELNS1_3repE0EEENS1_30default_config_static_selectorELNS0_4arch9wavefront6targetE1EEEvT1_
; %bb.0:
	.section	.rodata,"a",@progbits
	.p2align	6, 0x0
	.amdhsa_kernel _ZN7rocprim17ROCPRIM_400000_NS6detail17trampoline_kernelINS0_14default_configENS1_25partition_config_selectorILNS1_17partition_subalgoE0EyNS0_10empty_typeEbEEZZNS1_14partition_implILS5_0ELb0ES3_jN6thrust23THRUST_200600_302600_NS6detail15normal_iteratorINSA_10device_ptrIyEEEEPS6_SG_NS0_5tupleIJNSA_16discard_iteratorINSA_11use_defaultEEESF_EEENSH_IJSG_SG_EEES6_PlJ7is_evenIyEEEE10hipError_tPvRmT3_T4_T5_T6_T7_T9_mT8_P12ihipStream_tbDpT10_ENKUlT_T0_E_clISt17integral_constantIbLb1EES19_EEDaS14_S15_EUlS14_E_NS1_11comp_targetILNS1_3genE0ELNS1_11target_archE4294967295ELNS1_3gpuE0ELNS1_3repE0EEENS1_30default_config_static_selectorELNS0_4arch9wavefront6targetE1EEEvT1_
		.amdhsa_group_segment_fixed_size 0
		.amdhsa_private_segment_fixed_size 0
		.amdhsa_kernarg_size 144
		.amdhsa_user_sgpr_count 6
		.amdhsa_user_sgpr_private_segment_buffer 1
		.amdhsa_user_sgpr_dispatch_ptr 0
		.amdhsa_user_sgpr_queue_ptr 0
		.amdhsa_user_sgpr_kernarg_segment_ptr 1
		.amdhsa_user_sgpr_dispatch_id 0
		.amdhsa_user_sgpr_flat_scratch_init 0
		.amdhsa_user_sgpr_kernarg_preload_length 0
		.amdhsa_user_sgpr_kernarg_preload_offset 0
		.amdhsa_user_sgpr_private_segment_size 0
		.amdhsa_uses_dynamic_stack 0
		.amdhsa_system_sgpr_private_segment_wavefront_offset 0
		.amdhsa_system_sgpr_workgroup_id_x 1
		.amdhsa_system_sgpr_workgroup_id_y 0
		.amdhsa_system_sgpr_workgroup_id_z 0
		.amdhsa_system_sgpr_workgroup_info 0
		.amdhsa_system_vgpr_workitem_id 0
		.amdhsa_next_free_vgpr 1
		.amdhsa_next_free_sgpr 0
		.amdhsa_accum_offset 4
		.amdhsa_reserve_vcc 0
		.amdhsa_reserve_flat_scratch 0
		.amdhsa_float_round_mode_32 0
		.amdhsa_float_round_mode_16_64 0
		.amdhsa_float_denorm_mode_32 3
		.amdhsa_float_denorm_mode_16_64 3
		.amdhsa_dx10_clamp 1
		.amdhsa_ieee_mode 1
		.amdhsa_fp16_overflow 0
		.amdhsa_tg_split 0
		.amdhsa_exception_fp_ieee_invalid_op 0
		.amdhsa_exception_fp_denorm_src 0
		.amdhsa_exception_fp_ieee_div_zero 0
		.amdhsa_exception_fp_ieee_overflow 0
		.amdhsa_exception_fp_ieee_underflow 0
		.amdhsa_exception_fp_ieee_inexact 0
		.amdhsa_exception_int_div_zero 0
	.end_amdhsa_kernel
	.section	.text._ZN7rocprim17ROCPRIM_400000_NS6detail17trampoline_kernelINS0_14default_configENS1_25partition_config_selectorILNS1_17partition_subalgoE0EyNS0_10empty_typeEbEEZZNS1_14partition_implILS5_0ELb0ES3_jN6thrust23THRUST_200600_302600_NS6detail15normal_iteratorINSA_10device_ptrIyEEEEPS6_SG_NS0_5tupleIJNSA_16discard_iteratorINSA_11use_defaultEEESF_EEENSH_IJSG_SG_EEES6_PlJ7is_evenIyEEEE10hipError_tPvRmT3_T4_T5_T6_T7_T9_mT8_P12ihipStream_tbDpT10_ENKUlT_T0_E_clISt17integral_constantIbLb1EES19_EEDaS14_S15_EUlS14_E_NS1_11comp_targetILNS1_3genE0ELNS1_11target_archE4294967295ELNS1_3gpuE0ELNS1_3repE0EEENS1_30default_config_static_selectorELNS0_4arch9wavefront6targetE1EEEvT1_,"axG",@progbits,_ZN7rocprim17ROCPRIM_400000_NS6detail17trampoline_kernelINS0_14default_configENS1_25partition_config_selectorILNS1_17partition_subalgoE0EyNS0_10empty_typeEbEEZZNS1_14partition_implILS5_0ELb0ES3_jN6thrust23THRUST_200600_302600_NS6detail15normal_iteratorINSA_10device_ptrIyEEEEPS6_SG_NS0_5tupleIJNSA_16discard_iteratorINSA_11use_defaultEEESF_EEENSH_IJSG_SG_EEES6_PlJ7is_evenIyEEEE10hipError_tPvRmT3_T4_T5_T6_T7_T9_mT8_P12ihipStream_tbDpT10_ENKUlT_T0_E_clISt17integral_constantIbLb1EES19_EEDaS14_S15_EUlS14_E_NS1_11comp_targetILNS1_3genE0ELNS1_11target_archE4294967295ELNS1_3gpuE0ELNS1_3repE0EEENS1_30default_config_static_selectorELNS0_4arch9wavefront6targetE1EEEvT1_,comdat
.Lfunc_end2371:
	.size	_ZN7rocprim17ROCPRIM_400000_NS6detail17trampoline_kernelINS0_14default_configENS1_25partition_config_selectorILNS1_17partition_subalgoE0EyNS0_10empty_typeEbEEZZNS1_14partition_implILS5_0ELb0ES3_jN6thrust23THRUST_200600_302600_NS6detail15normal_iteratorINSA_10device_ptrIyEEEEPS6_SG_NS0_5tupleIJNSA_16discard_iteratorINSA_11use_defaultEEESF_EEENSH_IJSG_SG_EEES6_PlJ7is_evenIyEEEE10hipError_tPvRmT3_T4_T5_T6_T7_T9_mT8_P12ihipStream_tbDpT10_ENKUlT_T0_E_clISt17integral_constantIbLb1EES19_EEDaS14_S15_EUlS14_E_NS1_11comp_targetILNS1_3genE0ELNS1_11target_archE4294967295ELNS1_3gpuE0ELNS1_3repE0EEENS1_30default_config_static_selectorELNS0_4arch9wavefront6targetE1EEEvT1_, .Lfunc_end2371-_ZN7rocprim17ROCPRIM_400000_NS6detail17trampoline_kernelINS0_14default_configENS1_25partition_config_selectorILNS1_17partition_subalgoE0EyNS0_10empty_typeEbEEZZNS1_14partition_implILS5_0ELb0ES3_jN6thrust23THRUST_200600_302600_NS6detail15normal_iteratorINSA_10device_ptrIyEEEEPS6_SG_NS0_5tupleIJNSA_16discard_iteratorINSA_11use_defaultEEESF_EEENSH_IJSG_SG_EEES6_PlJ7is_evenIyEEEE10hipError_tPvRmT3_T4_T5_T6_T7_T9_mT8_P12ihipStream_tbDpT10_ENKUlT_T0_E_clISt17integral_constantIbLb1EES19_EEDaS14_S15_EUlS14_E_NS1_11comp_targetILNS1_3genE0ELNS1_11target_archE4294967295ELNS1_3gpuE0ELNS1_3repE0EEENS1_30default_config_static_selectorELNS0_4arch9wavefront6targetE1EEEvT1_
                                        ; -- End function
	.section	.AMDGPU.csdata,"",@progbits
; Kernel info:
; codeLenInByte = 0
; NumSgprs: 4
; NumVgprs: 0
; NumAgprs: 0
; TotalNumVgprs: 0
; ScratchSize: 0
; MemoryBound: 0
; FloatMode: 240
; IeeeMode: 1
; LDSByteSize: 0 bytes/workgroup (compile time only)
; SGPRBlocks: 0
; VGPRBlocks: 0
; NumSGPRsForWavesPerEU: 4
; NumVGPRsForWavesPerEU: 1
; AccumOffset: 4
; Occupancy: 8
; WaveLimiterHint : 0
; COMPUTE_PGM_RSRC2:SCRATCH_EN: 0
; COMPUTE_PGM_RSRC2:USER_SGPR: 6
; COMPUTE_PGM_RSRC2:TRAP_HANDLER: 0
; COMPUTE_PGM_RSRC2:TGID_X_EN: 1
; COMPUTE_PGM_RSRC2:TGID_Y_EN: 0
; COMPUTE_PGM_RSRC2:TGID_Z_EN: 0
; COMPUTE_PGM_RSRC2:TIDIG_COMP_CNT: 0
; COMPUTE_PGM_RSRC3_GFX90A:ACCUM_OFFSET: 0
; COMPUTE_PGM_RSRC3_GFX90A:TG_SPLIT: 0
	.section	.text._ZN7rocprim17ROCPRIM_400000_NS6detail17trampoline_kernelINS0_14default_configENS1_25partition_config_selectorILNS1_17partition_subalgoE0EyNS0_10empty_typeEbEEZZNS1_14partition_implILS5_0ELb0ES3_jN6thrust23THRUST_200600_302600_NS6detail15normal_iteratorINSA_10device_ptrIyEEEEPS6_SG_NS0_5tupleIJNSA_16discard_iteratorINSA_11use_defaultEEESF_EEENSH_IJSG_SG_EEES6_PlJ7is_evenIyEEEE10hipError_tPvRmT3_T4_T5_T6_T7_T9_mT8_P12ihipStream_tbDpT10_ENKUlT_T0_E_clISt17integral_constantIbLb1EES19_EEDaS14_S15_EUlS14_E_NS1_11comp_targetILNS1_3genE5ELNS1_11target_archE942ELNS1_3gpuE9ELNS1_3repE0EEENS1_30default_config_static_selectorELNS0_4arch9wavefront6targetE1EEEvT1_,"axG",@progbits,_ZN7rocprim17ROCPRIM_400000_NS6detail17trampoline_kernelINS0_14default_configENS1_25partition_config_selectorILNS1_17partition_subalgoE0EyNS0_10empty_typeEbEEZZNS1_14partition_implILS5_0ELb0ES3_jN6thrust23THRUST_200600_302600_NS6detail15normal_iteratorINSA_10device_ptrIyEEEEPS6_SG_NS0_5tupleIJNSA_16discard_iteratorINSA_11use_defaultEEESF_EEENSH_IJSG_SG_EEES6_PlJ7is_evenIyEEEE10hipError_tPvRmT3_T4_T5_T6_T7_T9_mT8_P12ihipStream_tbDpT10_ENKUlT_T0_E_clISt17integral_constantIbLb1EES19_EEDaS14_S15_EUlS14_E_NS1_11comp_targetILNS1_3genE5ELNS1_11target_archE942ELNS1_3gpuE9ELNS1_3repE0EEENS1_30default_config_static_selectorELNS0_4arch9wavefront6targetE1EEEvT1_,comdat
	.protected	_ZN7rocprim17ROCPRIM_400000_NS6detail17trampoline_kernelINS0_14default_configENS1_25partition_config_selectorILNS1_17partition_subalgoE0EyNS0_10empty_typeEbEEZZNS1_14partition_implILS5_0ELb0ES3_jN6thrust23THRUST_200600_302600_NS6detail15normal_iteratorINSA_10device_ptrIyEEEEPS6_SG_NS0_5tupleIJNSA_16discard_iteratorINSA_11use_defaultEEESF_EEENSH_IJSG_SG_EEES6_PlJ7is_evenIyEEEE10hipError_tPvRmT3_T4_T5_T6_T7_T9_mT8_P12ihipStream_tbDpT10_ENKUlT_T0_E_clISt17integral_constantIbLb1EES19_EEDaS14_S15_EUlS14_E_NS1_11comp_targetILNS1_3genE5ELNS1_11target_archE942ELNS1_3gpuE9ELNS1_3repE0EEENS1_30default_config_static_selectorELNS0_4arch9wavefront6targetE1EEEvT1_ ; -- Begin function _ZN7rocprim17ROCPRIM_400000_NS6detail17trampoline_kernelINS0_14default_configENS1_25partition_config_selectorILNS1_17partition_subalgoE0EyNS0_10empty_typeEbEEZZNS1_14partition_implILS5_0ELb0ES3_jN6thrust23THRUST_200600_302600_NS6detail15normal_iteratorINSA_10device_ptrIyEEEEPS6_SG_NS0_5tupleIJNSA_16discard_iteratorINSA_11use_defaultEEESF_EEENSH_IJSG_SG_EEES6_PlJ7is_evenIyEEEE10hipError_tPvRmT3_T4_T5_T6_T7_T9_mT8_P12ihipStream_tbDpT10_ENKUlT_T0_E_clISt17integral_constantIbLb1EES19_EEDaS14_S15_EUlS14_E_NS1_11comp_targetILNS1_3genE5ELNS1_11target_archE942ELNS1_3gpuE9ELNS1_3repE0EEENS1_30default_config_static_selectorELNS0_4arch9wavefront6targetE1EEEvT1_
	.globl	_ZN7rocprim17ROCPRIM_400000_NS6detail17trampoline_kernelINS0_14default_configENS1_25partition_config_selectorILNS1_17partition_subalgoE0EyNS0_10empty_typeEbEEZZNS1_14partition_implILS5_0ELb0ES3_jN6thrust23THRUST_200600_302600_NS6detail15normal_iteratorINSA_10device_ptrIyEEEEPS6_SG_NS0_5tupleIJNSA_16discard_iteratorINSA_11use_defaultEEESF_EEENSH_IJSG_SG_EEES6_PlJ7is_evenIyEEEE10hipError_tPvRmT3_T4_T5_T6_T7_T9_mT8_P12ihipStream_tbDpT10_ENKUlT_T0_E_clISt17integral_constantIbLb1EES19_EEDaS14_S15_EUlS14_E_NS1_11comp_targetILNS1_3genE5ELNS1_11target_archE942ELNS1_3gpuE9ELNS1_3repE0EEENS1_30default_config_static_selectorELNS0_4arch9wavefront6targetE1EEEvT1_
	.p2align	8
	.type	_ZN7rocprim17ROCPRIM_400000_NS6detail17trampoline_kernelINS0_14default_configENS1_25partition_config_selectorILNS1_17partition_subalgoE0EyNS0_10empty_typeEbEEZZNS1_14partition_implILS5_0ELb0ES3_jN6thrust23THRUST_200600_302600_NS6detail15normal_iteratorINSA_10device_ptrIyEEEEPS6_SG_NS0_5tupleIJNSA_16discard_iteratorINSA_11use_defaultEEESF_EEENSH_IJSG_SG_EEES6_PlJ7is_evenIyEEEE10hipError_tPvRmT3_T4_T5_T6_T7_T9_mT8_P12ihipStream_tbDpT10_ENKUlT_T0_E_clISt17integral_constantIbLb1EES19_EEDaS14_S15_EUlS14_E_NS1_11comp_targetILNS1_3genE5ELNS1_11target_archE942ELNS1_3gpuE9ELNS1_3repE0EEENS1_30default_config_static_selectorELNS0_4arch9wavefront6targetE1EEEvT1_,@function
_ZN7rocprim17ROCPRIM_400000_NS6detail17trampoline_kernelINS0_14default_configENS1_25partition_config_selectorILNS1_17partition_subalgoE0EyNS0_10empty_typeEbEEZZNS1_14partition_implILS5_0ELb0ES3_jN6thrust23THRUST_200600_302600_NS6detail15normal_iteratorINSA_10device_ptrIyEEEEPS6_SG_NS0_5tupleIJNSA_16discard_iteratorINSA_11use_defaultEEESF_EEENSH_IJSG_SG_EEES6_PlJ7is_evenIyEEEE10hipError_tPvRmT3_T4_T5_T6_T7_T9_mT8_P12ihipStream_tbDpT10_ENKUlT_T0_E_clISt17integral_constantIbLb1EES19_EEDaS14_S15_EUlS14_E_NS1_11comp_targetILNS1_3genE5ELNS1_11target_archE942ELNS1_3gpuE9ELNS1_3repE0EEENS1_30default_config_static_selectorELNS0_4arch9wavefront6targetE1EEEvT1_: ; @_ZN7rocprim17ROCPRIM_400000_NS6detail17trampoline_kernelINS0_14default_configENS1_25partition_config_selectorILNS1_17partition_subalgoE0EyNS0_10empty_typeEbEEZZNS1_14partition_implILS5_0ELb0ES3_jN6thrust23THRUST_200600_302600_NS6detail15normal_iteratorINSA_10device_ptrIyEEEEPS6_SG_NS0_5tupleIJNSA_16discard_iteratorINSA_11use_defaultEEESF_EEENSH_IJSG_SG_EEES6_PlJ7is_evenIyEEEE10hipError_tPvRmT3_T4_T5_T6_T7_T9_mT8_P12ihipStream_tbDpT10_ENKUlT_T0_E_clISt17integral_constantIbLb1EES19_EEDaS14_S15_EUlS14_E_NS1_11comp_targetILNS1_3genE5ELNS1_11target_archE942ELNS1_3gpuE9ELNS1_3repE0EEENS1_30default_config_static_selectorELNS0_4arch9wavefront6targetE1EEEvT1_
; %bb.0:
	.section	.rodata,"a",@progbits
	.p2align	6, 0x0
	.amdhsa_kernel _ZN7rocprim17ROCPRIM_400000_NS6detail17trampoline_kernelINS0_14default_configENS1_25partition_config_selectorILNS1_17partition_subalgoE0EyNS0_10empty_typeEbEEZZNS1_14partition_implILS5_0ELb0ES3_jN6thrust23THRUST_200600_302600_NS6detail15normal_iteratorINSA_10device_ptrIyEEEEPS6_SG_NS0_5tupleIJNSA_16discard_iteratorINSA_11use_defaultEEESF_EEENSH_IJSG_SG_EEES6_PlJ7is_evenIyEEEE10hipError_tPvRmT3_T4_T5_T6_T7_T9_mT8_P12ihipStream_tbDpT10_ENKUlT_T0_E_clISt17integral_constantIbLb1EES19_EEDaS14_S15_EUlS14_E_NS1_11comp_targetILNS1_3genE5ELNS1_11target_archE942ELNS1_3gpuE9ELNS1_3repE0EEENS1_30default_config_static_selectorELNS0_4arch9wavefront6targetE1EEEvT1_
		.amdhsa_group_segment_fixed_size 0
		.amdhsa_private_segment_fixed_size 0
		.amdhsa_kernarg_size 144
		.amdhsa_user_sgpr_count 6
		.amdhsa_user_sgpr_private_segment_buffer 1
		.amdhsa_user_sgpr_dispatch_ptr 0
		.amdhsa_user_sgpr_queue_ptr 0
		.amdhsa_user_sgpr_kernarg_segment_ptr 1
		.amdhsa_user_sgpr_dispatch_id 0
		.amdhsa_user_sgpr_flat_scratch_init 0
		.amdhsa_user_sgpr_kernarg_preload_length 0
		.amdhsa_user_sgpr_kernarg_preload_offset 0
		.amdhsa_user_sgpr_private_segment_size 0
		.amdhsa_uses_dynamic_stack 0
		.amdhsa_system_sgpr_private_segment_wavefront_offset 0
		.amdhsa_system_sgpr_workgroup_id_x 1
		.amdhsa_system_sgpr_workgroup_id_y 0
		.amdhsa_system_sgpr_workgroup_id_z 0
		.amdhsa_system_sgpr_workgroup_info 0
		.amdhsa_system_vgpr_workitem_id 0
		.amdhsa_next_free_vgpr 1
		.amdhsa_next_free_sgpr 0
		.amdhsa_accum_offset 4
		.amdhsa_reserve_vcc 0
		.amdhsa_reserve_flat_scratch 0
		.amdhsa_float_round_mode_32 0
		.amdhsa_float_round_mode_16_64 0
		.amdhsa_float_denorm_mode_32 3
		.amdhsa_float_denorm_mode_16_64 3
		.amdhsa_dx10_clamp 1
		.amdhsa_ieee_mode 1
		.amdhsa_fp16_overflow 0
		.amdhsa_tg_split 0
		.amdhsa_exception_fp_ieee_invalid_op 0
		.amdhsa_exception_fp_denorm_src 0
		.amdhsa_exception_fp_ieee_div_zero 0
		.amdhsa_exception_fp_ieee_overflow 0
		.amdhsa_exception_fp_ieee_underflow 0
		.amdhsa_exception_fp_ieee_inexact 0
		.amdhsa_exception_int_div_zero 0
	.end_amdhsa_kernel
	.section	.text._ZN7rocprim17ROCPRIM_400000_NS6detail17trampoline_kernelINS0_14default_configENS1_25partition_config_selectorILNS1_17partition_subalgoE0EyNS0_10empty_typeEbEEZZNS1_14partition_implILS5_0ELb0ES3_jN6thrust23THRUST_200600_302600_NS6detail15normal_iteratorINSA_10device_ptrIyEEEEPS6_SG_NS0_5tupleIJNSA_16discard_iteratorINSA_11use_defaultEEESF_EEENSH_IJSG_SG_EEES6_PlJ7is_evenIyEEEE10hipError_tPvRmT3_T4_T5_T6_T7_T9_mT8_P12ihipStream_tbDpT10_ENKUlT_T0_E_clISt17integral_constantIbLb1EES19_EEDaS14_S15_EUlS14_E_NS1_11comp_targetILNS1_3genE5ELNS1_11target_archE942ELNS1_3gpuE9ELNS1_3repE0EEENS1_30default_config_static_selectorELNS0_4arch9wavefront6targetE1EEEvT1_,"axG",@progbits,_ZN7rocprim17ROCPRIM_400000_NS6detail17trampoline_kernelINS0_14default_configENS1_25partition_config_selectorILNS1_17partition_subalgoE0EyNS0_10empty_typeEbEEZZNS1_14partition_implILS5_0ELb0ES3_jN6thrust23THRUST_200600_302600_NS6detail15normal_iteratorINSA_10device_ptrIyEEEEPS6_SG_NS0_5tupleIJNSA_16discard_iteratorINSA_11use_defaultEEESF_EEENSH_IJSG_SG_EEES6_PlJ7is_evenIyEEEE10hipError_tPvRmT3_T4_T5_T6_T7_T9_mT8_P12ihipStream_tbDpT10_ENKUlT_T0_E_clISt17integral_constantIbLb1EES19_EEDaS14_S15_EUlS14_E_NS1_11comp_targetILNS1_3genE5ELNS1_11target_archE942ELNS1_3gpuE9ELNS1_3repE0EEENS1_30default_config_static_selectorELNS0_4arch9wavefront6targetE1EEEvT1_,comdat
.Lfunc_end2372:
	.size	_ZN7rocprim17ROCPRIM_400000_NS6detail17trampoline_kernelINS0_14default_configENS1_25partition_config_selectorILNS1_17partition_subalgoE0EyNS0_10empty_typeEbEEZZNS1_14partition_implILS5_0ELb0ES3_jN6thrust23THRUST_200600_302600_NS6detail15normal_iteratorINSA_10device_ptrIyEEEEPS6_SG_NS0_5tupleIJNSA_16discard_iteratorINSA_11use_defaultEEESF_EEENSH_IJSG_SG_EEES6_PlJ7is_evenIyEEEE10hipError_tPvRmT3_T4_T5_T6_T7_T9_mT8_P12ihipStream_tbDpT10_ENKUlT_T0_E_clISt17integral_constantIbLb1EES19_EEDaS14_S15_EUlS14_E_NS1_11comp_targetILNS1_3genE5ELNS1_11target_archE942ELNS1_3gpuE9ELNS1_3repE0EEENS1_30default_config_static_selectorELNS0_4arch9wavefront6targetE1EEEvT1_, .Lfunc_end2372-_ZN7rocprim17ROCPRIM_400000_NS6detail17trampoline_kernelINS0_14default_configENS1_25partition_config_selectorILNS1_17partition_subalgoE0EyNS0_10empty_typeEbEEZZNS1_14partition_implILS5_0ELb0ES3_jN6thrust23THRUST_200600_302600_NS6detail15normal_iteratorINSA_10device_ptrIyEEEEPS6_SG_NS0_5tupleIJNSA_16discard_iteratorINSA_11use_defaultEEESF_EEENSH_IJSG_SG_EEES6_PlJ7is_evenIyEEEE10hipError_tPvRmT3_T4_T5_T6_T7_T9_mT8_P12ihipStream_tbDpT10_ENKUlT_T0_E_clISt17integral_constantIbLb1EES19_EEDaS14_S15_EUlS14_E_NS1_11comp_targetILNS1_3genE5ELNS1_11target_archE942ELNS1_3gpuE9ELNS1_3repE0EEENS1_30default_config_static_selectorELNS0_4arch9wavefront6targetE1EEEvT1_
                                        ; -- End function
	.section	.AMDGPU.csdata,"",@progbits
; Kernel info:
; codeLenInByte = 0
; NumSgprs: 4
; NumVgprs: 0
; NumAgprs: 0
; TotalNumVgprs: 0
; ScratchSize: 0
; MemoryBound: 0
; FloatMode: 240
; IeeeMode: 1
; LDSByteSize: 0 bytes/workgroup (compile time only)
; SGPRBlocks: 0
; VGPRBlocks: 0
; NumSGPRsForWavesPerEU: 4
; NumVGPRsForWavesPerEU: 1
; AccumOffset: 4
; Occupancy: 8
; WaveLimiterHint : 0
; COMPUTE_PGM_RSRC2:SCRATCH_EN: 0
; COMPUTE_PGM_RSRC2:USER_SGPR: 6
; COMPUTE_PGM_RSRC2:TRAP_HANDLER: 0
; COMPUTE_PGM_RSRC2:TGID_X_EN: 1
; COMPUTE_PGM_RSRC2:TGID_Y_EN: 0
; COMPUTE_PGM_RSRC2:TGID_Z_EN: 0
; COMPUTE_PGM_RSRC2:TIDIG_COMP_CNT: 0
; COMPUTE_PGM_RSRC3_GFX90A:ACCUM_OFFSET: 0
; COMPUTE_PGM_RSRC3_GFX90A:TG_SPLIT: 0
	.section	.text._ZN7rocprim17ROCPRIM_400000_NS6detail17trampoline_kernelINS0_14default_configENS1_25partition_config_selectorILNS1_17partition_subalgoE0EyNS0_10empty_typeEbEEZZNS1_14partition_implILS5_0ELb0ES3_jN6thrust23THRUST_200600_302600_NS6detail15normal_iteratorINSA_10device_ptrIyEEEEPS6_SG_NS0_5tupleIJNSA_16discard_iteratorINSA_11use_defaultEEESF_EEENSH_IJSG_SG_EEES6_PlJ7is_evenIyEEEE10hipError_tPvRmT3_T4_T5_T6_T7_T9_mT8_P12ihipStream_tbDpT10_ENKUlT_T0_E_clISt17integral_constantIbLb1EES19_EEDaS14_S15_EUlS14_E_NS1_11comp_targetILNS1_3genE4ELNS1_11target_archE910ELNS1_3gpuE8ELNS1_3repE0EEENS1_30default_config_static_selectorELNS0_4arch9wavefront6targetE1EEEvT1_,"axG",@progbits,_ZN7rocprim17ROCPRIM_400000_NS6detail17trampoline_kernelINS0_14default_configENS1_25partition_config_selectorILNS1_17partition_subalgoE0EyNS0_10empty_typeEbEEZZNS1_14partition_implILS5_0ELb0ES3_jN6thrust23THRUST_200600_302600_NS6detail15normal_iteratorINSA_10device_ptrIyEEEEPS6_SG_NS0_5tupleIJNSA_16discard_iteratorINSA_11use_defaultEEESF_EEENSH_IJSG_SG_EEES6_PlJ7is_evenIyEEEE10hipError_tPvRmT3_T4_T5_T6_T7_T9_mT8_P12ihipStream_tbDpT10_ENKUlT_T0_E_clISt17integral_constantIbLb1EES19_EEDaS14_S15_EUlS14_E_NS1_11comp_targetILNS1_3genE4ELNS1_11target_archE910ELNS1_3gpuE8ELNS1_3repE0EEENS1_30default_config_static_selectorELNS0_4arch9wavefront6targetE1EEEvT1_,comdat
	.protected	_ZN7rocprim17ROCPRIM_400000_NS6detail17trampoline_kernelINS0_14default_configENS1_25partition_config_selectorILNS1_17partition_subalgoE0EyNS0_10empty_typeEbEEZZNS1_14partition_implILS5_0ELb0ES3_jN6thrust23THRUST_200600_302600_NS6detail15normal_iteratorINSA_10device_ptrIyEEEEPS6_SG_NS0_5tupleIJNSA_16discard_iteratorINSA_11use_defaultEEESF_EEENSH_IJSG_SG_EEES6_PlJ7is_evenIyEEEE10hipError_tPvRmT3_T4_T5_T6_T7_T9_mT8_P12ihipStream_tbDpT10_ENKUlT_T0_E_clISt17integral_constantIbLb1EES19_EEDaS14_S15_EUlS14_E_NS1_11comp_targetILNS1_3genE4ELNS1_11target_archE910ELNS1_3gpuE8ELNS1_3repE0EEENS1_30default_config_static_selectorELNS0_4arch9wavefront6targetE1EEEvT1_ ; -- Begin function _ZN7rocprim17ROCPRIM_400000_NS6detail17trampoline_kernelINS0_14default_configENS1_25partition_config_selectorILNS1_17partition_subalgoE0EyNS0_10empty_typeEbEEZZNS1_14partition_implILS5_0ELb0ES3_jN6thrust23THRUST_200600_302600_NS6detail15normal_iteratorINSA_10device_ptrIyEEEEPS6_SG_NS0_5tupleIJNSA_16discard_iteratorINSA_11use_defaultEEESF_EEENSH_IJSG_SG_EEES6_PlJ7is_evenIyEEEE10hipError_tPvRmT3_T4_T5_T6_T7_T9_mT8_P12ihipStream_tbDpT10_ENKUlT_T0_E_clISt17integral_constantIbLb1EES19_EEDaS14_S15_EUlS14_E_NS1_11comp_targetILNS1_3genE4ELNS1_11target_archE910ELNS1_3gpuE8ELNS1_3repE0EEENS1_30default_config_static_selectorELNS0_4arch9wavefront6targetE1EEEvT1_
	.globl	_ZN7rocprim17ROCPRIM_400000_NS6detail17trampoline_kernelINS0_14default_configENS1_25partition_config_selectorILNS1_17partition_subalgoE0EyNS0_10empty_typeEbEEZZNS1_14partition_implILS5_0ELb0ES3_jN6thrust23THRUST_200600_302600_NS6detail15normal_iteratorINSA_10device_ptrIyEEEEPS6_SG_NS0_5tupleIJNSA_16discard_iteratorINSA_11use_defaultEEESF_EEENSH_IJSG_SG_EEES6_PlJ7is_evenIyEEEE10hipError_tPvRmT3_T4_T5_T6_T7_T9_mT8_P12ihipStream_tbDpT10_ENKUlT_T0_E_clISt17integral_constantIbLb1EES19_EEDaS14_S15_EUlS14_E_NS1_11comp_targetILNS1_3genE4ELNS1_11target_archE910ELNS1_3gpuE8ELNS1_3repE0EEENS1_30default_config_static_selectorELNS0_4arch9wavefront6targetE1EEEvT1_
	.p2align	8
	.type	_ZN7rocprim17ROCPRIM_400000_NS6detail17trampoline_kernelINS0_14default_configENS1_25partition_config_selectorILNS1_17partition_subalgoE0EyNS0_10empty_typeEbEEZZNS1_14partition_implILS5_0ELb0ES3_jN6thrust23THRUST_200600_302600_NS6detail15normal_iteratorINSA_10device_ptrIyEEEEPS6_SG_NS0_5tupleIJNSA_16discard_iteratorINSA_11use_defaultEEESF_EEENSH_IJSG_SG_EEES6_PlJ7is_evenIyEEEE10hipError_tPvRmT3_T4_T5_T6_T7_T9_mT8_P12ihipStream_tbDpT10_ENKUlT_T0_E_clISt17integral_constantIbLb1EES19_EEDaS14_S15_EUlS14_E_NS1_11comp_targetILNS1_3genE4ELNS1_11target_archE910ELNS1_3gpuE8ELNS1_3repE0EEENS1_30default_config_static_selectorELNS0_4arch9wavefront6targetE1EEEvT1_,@function
_ZN7rocprim17ROCPRIM_400000_NS6detail17trampoline_kernelINS0_14default_configENS1_25partition_config_selectorILNS1_17partition_subalgoE0EyNS0_10empty_typeEbEEZZNS1_14partition_implILS5_0ELb0ES3_jN6thrust23THRUST_200600_302600_NS6detail15normal_iteratorINSA_10device_ptrIyEEEEPS6_SG_NS0_5tupleIJNSA_16discard_iteratorINSA_11use_defaultEEESF_EEENSH_IJSG_SG_EEES6_PlJ7is_evenIyEEEE10hipError_tPvRmT3_T4_T5_T6_T7_T9_mT8_P12ihipStream_tbDpT10_ENKUlT_T0_E_clISt17integral_constantIbLb1EES19_EEDaS14_S15_EUlS14_E_NS1_11comp_targetILNS1_3genE4ELNS1_11target_archE910ELNS1_3gpuE8ELNS1_3repE0EEENS1_30default_config_static_selectorELNS0_4arch9wavefront6targetE1EEEvT1_: ; @_ZN7rocprim17ROCPRIM_400000_NS6detail17trampoline_kernelINS0_14default_configENS1_25partition_config_selectorILNS1_17partition_subalgoE0EyNS0_10empty_typeEbEEZZNS1_14partition_implILS5_0ELb0ES3_jN6thrust23THRUST_200600_302600_NS6detail15normal_iteratorINSA_10device_ptrIyEEEEPS6_SG_NS0_5tupleIJNSA_16discard_iteratorINSA_11use_defaultEEESF_EEENSH_IJSG_SG_EEES6_PlJ7is_evenIyEEEE10hipError_tPvRmT3_T4_T5_T6_T7_T9_mT8_P12ihipStream_tbDpT10_ENKUlT_T0_E_clISt17integral_constantIbLb1EES19_EEDaS14_S15_EUlS14_E_NS1_11comp_targetILNS1_3genE4ELNS1_11target_archE910ELNS1_3gpuE8ELNS1_3repE0EEENS1_30default_config_static_selectorELNS0_4arch9wavefront6targetE1EEEvT1_
; %bb.0:
	s_load_dwordx2 s[28:29], s[4:5], 0x38
	s_load_dwordx4 s[20:23], s[4:5], 0x50
	s_load_dwordx2 s[2:3], s[4:5], 0x60
	s_load_dwordx2 s[30:31], s[4:5], 0x70
	v_cmp_eq_u32_e64 s[0:1], 0, v0
	s_and_saveexec_b64 s[6:7], s[0:1]
	s_cbranch_execz .LBB2373_4
; %bb.1:
	s_mov_b64 s[10:11], exec
	v_mbcnt_lo_u32_b32 v1, s10, 0
	v_mbcnt_hi_u32_b32 v1, s11, v1
	v_cmp_eq_u32_e32 vcc, 0, v1
                                        ; implicit-def: $vgpr2
	s_and_saveexec_b64 s[8:9], vcc
	s_cbranch_execz .LBB2373_3
; %bb.2:
	s_load_dwordx2 s[12:13], s[4:5], 0x80
	s_bcnt1_i32_b64 s10, s[10:11]
	v_mov_b32_e32 v2, 0
	v_mov_b32_e32 v3, s10
	s_waitcnt lgkmcnt(0)
	global_atomic_add v2, v2, v3, s[12:13] glc
.LBB2373_3:
	s_or_b64 exec, exec, s[8:9]
	s_waitcnt vmcnt(0)
	v_readfirstlane_b32 s8, v2
	v_add_u32_e32 v1, s8, v1
	v_mov_b32_e32 v2, 0
	ds_write_b32 v2, v1
.LBB2373_4:
	s_or_b64 exec, exec, s[6:7]
	v_mov_b32_e32 v3, 0
	s_load_dwordx4 s[24:27], s[4:5], 0x8
	s_load_dword s6, s[4:5], 0x78
	s_waitcnt lgkmcnt(0)
	s_barrier
	ds_read_b32 v1, v3
	s_waitcnt lgkmcnt(0)
	s_barrier
	global_load_dwordx2 v[10:11], v3, s[22:23]
	v_mov_b32_e32 v5, s3
	s_lshl_b64 s[4:5], s[26:27], 3
	s_movk_i32 s3, 0x300
	s_add_u32 s7, s24, s4
	v_mul_lo_u32 v2, v1, s3
	s_mul_i32 s3, s6, 0x300
	s_addc_u32 s8, s25, s5
	s_add_i32 s5, s3, s26
	s_sub_i32 s33, s2, s5
	s_add_i32 s4, s6, -1
	s_addk_i32 s33, 0x300
	v_mov_b32_e32 v4, s2
	s_add_u32 s2, s26, s3
	v_readfirstlane_b32 s38, v1
	s_addc_u32 s3, s27, 0
	s_cmp_eq_u32 s38, s4
	s_cselect_b64 s[22:23], -1, 0
	s_cmp_lg_u32 s38, s4
	v_cmp_lt_u64_e32 vcc, s[2:3], v[4:5]
	s_cselect_b64 s[2:3], -1, 0
	v_lshlrev_b64 v[12:13], 3, v[2:3]
	s_or_b64 s[4:5], vcc, s[2:3]
	v_mov_b32_e32 v1, s8
	v_add_co_u32_e32 v14, vcc, s7, v12
	v_addc_co_u32_e32 v15, vcc, v1, v13, vcc
	s_mov_b64 s[2:3], -1
	s_and_b64 vcc, exec, s[4:5]
	v_lshlrev_b32_e32 v24, 3, v0
	v_lshrrev_b32_e32 v1, 2, v0
	s_cbranch_vccz .LBB2373_6
; %bb.5:
	v_add_co_u32_e32 v2, vcc, v14, v24
	v_addc_co_u32_e32 v3, vcc, 0, v15, vcc
	v_add_co_u32_e32 v4, vcc, 0x1000, v2
	v_addc_co_u32_e32 v5, vcc, 0, v3, vcc
	flat_load_dwordx2 v[6:7], v[2:3]
	flat_load_dwordx2 v[8:9], v[2:3] offset:1536
	flat_load_dwordx2 v[16:17], v[2:3] offset:3072
	;; [unrolled: 1-line block ×3, first 2 shown]
	v_add_u32_e32 v3, 0xc0, v0
	v_add_u32_e32 v4, 0x180, v0
	;; [unrolled: 1-line block ×3, first 2 shown]
	v_and_b32_e32 v2, 56, v1
	v_lshrrev_b32_e32 v3, 2, v3
	v_lshrrev_b32_e32 v4, 2, v4
	v_lshrrev_b32_e32 v5, 2, v5
	v_add_u32_e32 v2, v2, v24
	v_and_b32_e32 v3, 0x78, v3
	v_and_b32_e32 v4, 0xf8, v4
	;; [unrolled: 1-line block ×3, first 2 shown]
	v_add_u32_e32 v3, v3, v24
	v_add_u32_e32 v4, v4, v24
	;; [unrolled: 1-line block ×3, first 2 shown]
	s_mov_b64 s[2:3], 0
	s_waitcnt vmcnt(0) lgkmcnt(0)
	ds_write_b64 v2, v[6:7]
	ds_write_b64 v3, v[8:9] offset:1536
	ds_write_b64 v4, v[16:17] offset:3072
	;; [unrolled: 1-line block ×3, first 2 shown]
	s_waitcnt lgkmcnt(0)
	s_barrier
.LBB2373_6:
	s_andn2_b64 vcc, exec, s[2:3]
	v_cmp_gt_u32_e64 s[2:3], s33, v0
	s_cbranch_vccnz .LBB2373_16
; %bb.7:
                                        ; implicit-def: $vgpr2_vgpr3_vgpr4_vgpr5_vgpr6_vgpr7_vgpr8_vgpr9
	s_and_saveexec_b64 s[6:7], s[2:3]
	s_cbranch_execz .LBB2373_9
; %bb.8:
	v_add_co_u32_e32 v2, vcc, v14, v24
	v_addc_co_u32_e32 v3, vcc, 0, v15, vcc
	flat_load_dwordx2 v[2:3], v[2:3]
.LBB2373_9:
	s_or_b64 exec, exec, s[6:7]
	v_add_u32_e32 v16, 0xc0, v0
	v_cmp_gt_u32_e32 vcc, s33, v16
	s_and_saveexec_b64 s[2:3], vcc
	s_cbranch_execz .LBB2373_11
; %bb.10:
	v_add_co_u32_e32 v4, vcc, v14, v24
	v_addc_co_u32_e32 v5, vcc, 0, v15, vcc
	flat_load_dwordx2 v[4:5], v[4:5] offset:1536
.LBB2373_11:
	s_or_b64 exec, exec, s[2:3]
	v_add_u32_e32 v17, 0x180, v0
	v_cmp_gt_u32_e32 vcc, s33, v17
	s_and_saveexec_b64 s[2:3], vcc
	s_cbranch_execz .LBB2373_13
; %bb.12:
	v_add_co_u32_e32 v6, vcc, v14, v24
	v_addc_co_u32_e32 v7, vcc, 0, v15, vcc
	flat_load_dwordx2 v[6:7], v[6:7] offset:3072
.LBB2373_13:
	s_or_b64 exec, exec, s[2:3]
	v_add_u32_e32 v18, 0x240, v0
	v_cmp_gt_u32_e32 vcc, s33, v18
	s_and_saveexec_b64 s[2:3], vcc
	s_cbranch_execz .LBB2373_15
; %bb.14:
	v_lshlrev_b32_e32 v8, 3, v18
	v_add_co_u32_e32 v8, vcc, v14, v8
	v_addc_co_u32_e32 v9, vcc, 0, v15, vcc
	flat_load_dwordx2 v[8:9], v[8:9]
.LBB2373_15:
	s_or_b64 exec, exec, s[2:3]
	v_and_b32_e32 v1, 56, v1
	v_add_u32_e32 v1, v1, v24
	s_waitcnt vmcnt(0) lgkmcnt(0)
	ds_write_b64 v1, v[2:3]
	v_lshrrev_b32_e32 v1, 2, v16
	v_and_b32_e32 v1, 0x78, v1
	v_add_u32_e32 v1, v1, v24
	ds_write_b64 v1, v[4:5] offset:1536
	v_lshrrev_b32_e32 v1, 2, v17
	v_and_b32_e32 v1, 0xf8, v1
	v_add_u32_e32 v1, v1, v24
	ds_write_b64 v1, v[6:7] offset:3072
	;; [unrolled: 4-line block ×3, first 2 shown]
	s_waitcnt lgkmcnt(0)
	s_barrier
.LBB2373_16:
	v_lshlrev_b32_e32 v1, 2, v0
	v_lshrrev_b32_e32 v2, 3, v0
	v_add_lshl_u32 v2, v2, v1, 3
	ds_read2_b64 v[6:9], v2 offset1:1
	ds_read2_b64 v[2:5], v2 offset0:2 offset1:3
	v_cndmask_b32_e64 v14, 0, 1, s[4:5]
	v_cmp_ne_u32_e64 s[2:3], 1, v14
	s_andn2_b64 vcc, exec, s[4:5]
	s_waitcnt lgkmcnt(1)
	v_xor_b32_e32 v17, -1, v6
	v_xor_b32_e32 v16, -1, v8
	s_waitcnt lgkmcnt(0)
	v_xor_b32_e32 v15, -1, v2
	v_xor_b32_e32 v14, -1, v4
	s_barrier
	s_cbranch_vccnz .LBB2373_18
; %bb.17:
	v_mov_b32_e32 v19, 1
	v_and_b32_e32 v18, 1, v17
	v_and_b32_sdwa v20, v16, v19 dst_sel:BYTE_1 dst_unused:UNUSED_PAD src0_sel:DWORD src1_sel:DWORD
	v_and_b32_e32 v21, 1, v15
	v_and_b32_sdwa v19, v14, v19 dst_sel:BYTE_1 dst_unused:UNUSED_PAD src0_sel:DWORD src1_sel:DWORD
	v_or_b32_e32 v18, v18, v20
	v_or_b32_sdwa v19, v21, v19 dst_sel:WORD_1 dst_unused:UNUSED_PAD src0_sel:DWORD src1_sel:DWORD
	v_or_b32_sdwa v25, v18, v19 dst_sel:DWORD dst_unused:UNUSED_PAD src0_sel:WORD_0 src1_sel:DWORD
	s_cbranch_execz .LBB2373_19
	s_branch .LBB2373_20
.LBB2373_18:
                                        ; implicit-def: $vgpr25
.LBB2373_19:
	v_cmp_gt_u32_e32 vcc, s33, v1
	v_cndmask_b32_e64 v18, 0, 1, vcc
	v_and_b32_e32 v17, v18, v17
	v_or_b32_e32 v18, 1, v1
	v_cmp_gt_u32_e32 vcc, s33, v18
	v_cndmask_b32_e64 v18, 0, 1, vcc
	v_and_b32_sdwa v16, v18, v16 dst_sel:BYTE_1 dst_unused:UNUSED_PAD src0_sel:DWORD src1_sel:DWORD
	v_or_b32_e32 v18, 2, v1
	v_cmp_gt_u32_e32 vcc, s33, v18
	v_cndmask_b32_e64 v18, 0, 1, vcc
	v_and_b32_e32 v15, v18, v15
	v_or_b32_e32 v18, 3, v1
	v_cmp_gt_u32_e32 vcc, s33, v18
	v_cndmask_b32_e64 v18, 0, 1, vcc
	v_and_b32_sdwa v14, v18, v14 dst_sel:BYTE_1 dst_unused:UNUSED_PAD src0_sel:DWORD src1_sel:DWORD
	v_or_b32_e32 v16, v17, v16
	v_or_b32_sdwa v14, v15, v14 dst_sel:WORD_1 dst_unused:UNUSED_PAD src0_sel:DWORD src1_sel:DWORD
	v_or_b32_sdwa v25, v16, v14 dst_sel:DWORD dst_unused:UNUSED_PAD src0_sel:WORD_0 src1_sel:DWORD
.LBB2373_20:
	v_bfe_u32 v27, v25, 16, 8
	v_lshrrev_b32_e32 v26, 24, v25
	v_add_u32_sdwa v14, v25, v25 dst_sel:DWORD dst_unused:UNUSED_PAD src0_sel:BYTE_1 src1_sel:BYTE_0
	v_add3_u32 v30, v14, v27, v26
	v_mbcnt_lo_u32_b32 v14, -1, 0
	v_mbcnt_hi_u32_b32 v28, -1, v14
	v_and_b32_e32 v14, 15, v28
	v_cmp_eq_u32_e64 s[16:17], 0, v14
	v_cmp_lt_u32_e64 s[14:15], 1, v14
	v_cmp_lt_u32_e64 s[12:13], 3, v14
	;; [unrolled: 1-line block ×3, first 2 shown]
	v_and_b32_e32 v14, 16, v28
	v_cmp_eq_u32_e64 s[6:7], 0, v14
	v_and_b32_e32 v14, 0xc0, v0
	v_min_u32_e32 v14, 0x80, v14
	v_or_b32_e32 v14, 63, v14
	s_cmp_lg_u32 s38, 0
	v_cmp_lt_u32_e64 s[4:5], 31, v28
	v_lshrrev_b32_e32 v29, 6, v0
	v_cmp_eq_u32_e64 s[8:9], v14, v0
	s_cbranch_scc0 .LBB2373_51
; %bb.21:
	v_mov_b32_dpp v14, v30 row_shr:1 row_mask:0xf bank_mask:0xf
	v_cndmask_b32_e64 v14, v14, 0, s[16:17]
	v_add_u32_e32 v14, v14, v30
	s_nop 1
	v_mov_b32_dpp v15, v14 row_shr:2 row_mask:0xf bank_mask:0xf
	v_cndmask_b32_e64 v15, 0, v15, s[14:15]
	v_add_u32_e32 v14, v14, v15
	s_nop 1
	;; [unrolled: 4-line block ×4, first 2 shown]
	v_mov_b32_dpp v15, v14 row_bcast:15 row_mask:0xf bank_mask:0xf
	v_cndmask_b32_e64 v15, v15, 0, s[6:7]
	v_add_u32_e32 v14, v14, v15
	s_nop 1
	v_mov_b32_dpp v15, v14 row_bcast:31 row_mask:0xf bank_mask:0xf
	v_cndmask_b32_e64 v15, 0, v15, s[4:5]
	v_add_u32_e32 v14, v14, v15
	s_and_saveexec_b64 s[18:19], s[8:9]
	s_cbranch_execz .LBB2373_23
; %bb.22:
	v_lshlrev_b32_e32 v15, 2, v29
	ds_write_b32 v15, v14
.LBB2373_23:
	s_or_b64 exec, exec, s[18:19]
	v_cmp_gt_u32_e32 vcc, 3, v0
	s_waitcnt lgkmcnt(0)
	s_barrier
	s_and_saveexec_b64 s[18:19], vcc
	s_cbranch_execz .LBB2373_25
; %bb.24:
	ds_read_b32 v15, v1
	v_and_b32_e32 v16, 3, v28
	v_cmp_ne_u32_e32 vcc, 0, v16
	s_waitcnt lgkmcnt(0)
	v_mov_b32_dpp v17, v15 row_shr:1 row_mask:0xf bank_mask:0xf
	v_cndmask_b32_e32 v17, 0, v17, vcc
	v_add_u32_e32 v15, v17, v15
	v_cmp_lt_u32_e32 vcc, 1, v16
	s_nop 0
	v_mov_b32_dpp v17, v15 row_shr:2 row_mask:0xf bank_mask:0xf
	v_cndmask_b32_e32 v16, 0, v17, vcc
	v_add_u32_e32 v15, v15, v16
	ds_write_b32 v1, v15
.LBB2373_25:
	s_or_b64 exec, exec, s[18:19]
	v_cmp_gt_u32_e32 vcc, 64, v0
	v_cmp_lt_u32_e64 s[18:19], 63, v0
	s_waitcnt lgkmcnt(0)
	s_barrier
	s_waitcnt lgkmcnt(0)
                                        ; implicit-def: $vgpr31
	s_and_saveexec_b64 s[24:25], s[18:19]
	s_cbranch_execz .LBB2373_27
; %bb.26:
	v_lshl_add_u32 v15, v29, 2, -4
	ds_read_b32 v31, v15
	s_waitcnt lgkmcnt(0)
	v_add_u32_e32 v14, v31, v14
.LBB2373_27:
	s_or_b64 exec, exec, s[24:25]
	v_add_u32_e32 v15, -1, v28
	v_and_b32_e32 v16, 64, v28
	v_cmp_lt_i32_e64 s[18:19], v15, v16
	v_cndmask_b32_e64 v15, v15, v28, s[18:19]
	v_lshlrev_b32_e32 v15, 2, v15
	ds_bpermute_b32 v32, v15, v14
	v_cmp_eq_u32_e64 s[18:19], 0, v28
	s_and_saveexec_b64 s[24:25], vcc
	s_cbranch_execz .LBB2373_50
; %bb.28:
	v_mov_b32_e32 v23, 0
	ds_read_b32 v14, v23 offset:8
	s_and_saveexec_b64 s[34:35], s[18:19]
	s_cbranch_execz .LBB2373_30
; %bb.29:
	s_add_i32 s36, s38, 64
	s_mov_b32 s37, 0
	s_lshl_b64 s[36:37], s[36:37], 3
	s_add_u32 s36, s30, s36
	v_mov_b32_e32 v15, 1
	s_addc_u32 s37, s31, s37
	s_waitcnt lgkmcnt(0)
	global_store_dwordx2 v23, v[14:15], s[36:37]
.LBB2373_30:
	s_or_b64 exec, exec, s[34:35]
	v_xad_u32 v16, v28, -1, s38
	v_add_u32_e32 v22, 64, v16
	v_lshlrev_b64 v[18:19], 3, v[22:23]
	v_mov_b32_e32 v15, s31
	v_add_co_u32_e32 v18, vcc, s30, v18
	v_addc_co_u32_e32 v19, vcc, v15, v19, vcc
	global_load_dwordx2 v[20:21], v[18:19], off glc
	s_waitcnt vmcnt(0)
	v_cmp_eq_u16_sdwa s[36:37], v21, v23 src0_sel:BYTE_0 src1_sel:DWORD
	s_and_saveexec_b64 s[34:35], s[36:37]
	s_cbranch_execz .LBB2373_36
; %bb.31:
	s_mov_b32 s39, 1
	s_mov_b64 s[36:37], 0
	v_mov_b32_e32 v15, 0
.LBB2373_32:                            ; =>This Loop Header: Depth=1
                                        ;     Child Loop BB2373_33 Depth 2
	s_max_u32 s40, s39, 1
.LBB2373_33:                            ;   Parent Loop BB2373_32 Depth=1
                                        ; =>  This Inner Loop Header: Depth=2
	s_add_i32 s40, s40, -1
	s_cmp_eq_u32 s40, 0
	s_sleep 1
	s_cbranch_scc0 .LBB2373_33
; %bb.34:                               ;   in Loop: Header=BB2373_32 Depth=1
	global_load_dwordx2 v[20:21], v[18:19], off glc
	s_cmp_lt_u32 s39, 32
	s_cselect_b64 s[40:41], -1, 0
	s_cmp_lg_u64 s[40:41], 0
	s_addc_u32 s39, s39, 0
	s_waitcnt vmcnt(0)
	v_cmp_ne_u16_sdwa s[40:41], v21, v15 src0_sel:BYTE_0 src1_sel:DWORD
	s_or_b64 s[36:37], s[40:41], s[36:37]
	s_andn2_b64 exec, exec, s[36:37]
	s_cbranch_execnz .LBB2373_32
; %bb.35:
	s_or_b64 exec, exec, s[36:37]
.LBB2373_36:
	s_or_b64 exec, exec, s[34:35]
	v_and_b32_e32 v34, 63, v28
	v_mov_b32_e32 v33, 2
	v_cmp_ne_u32_e32 vcc, 63, v34
	v_cmp_eq_u16_sdwa s[34:35], v21, v33 src0_sel:BYTE_0 src1_sel:DWORD
	v_lshlrev_b64 v[18:19], v28, -1
	v_addc_co_u32_e32 v22, vcc, 0, v28, vcc
	v_and_b32_e32 v15, s35, v19
	v_lshlrev_b32_e32 v35, 2, v22
	v_or_b32_e32 v15, 0x80000000, v15
	ds_bpermute_b32 v22, v35, v20
	v_and_b32_e32 v17, s34, v18
	v_ffbl_b32_e32 v15, v15
	v_add_u32_e32 v15, 32, v15
	v_ffbl_b32_e32 v17, v17
	v_min_u32_e32 v15, v17, v15
	v_cmp_lt_u32_e32 vcc, v34, v15
	s_waitcnt lgkmcnt(0)
	v_cndmask_b32_e32 v17, 0, v22, vcc
	v_cmp_gt_u32_e32 vcc, 62, v34
	v_add_u32_e32 v17, v17, v20
	v_cndmask_b32_e64 v20, 0, 1, vcc
	v_lshlrev_b32_e32 v20, 1, v20
	v_add_lshl_u32 v36, v20, v28, 2
	ds_bpermute_b32 v20, v36, v17
	v_add_u32_e32 v37, 2, v34
	v_cmp_le_u32_e32 vcc, v37, v15
	v_add_u32_e32 v39, 4, v34
	v_add_u32_e32 v41, 8, v34
	s_waitcnt lgkmcnt(0)
	v_cndmask_b32_e32 v20, 0, v20, vcc
	v_cmp_gt_u32_e32 vcc, 60, v34
	v_add_u32_e32 v17, v17, v20
	v_cndmask_b32_e64 v20, 0, 1, vcc
	v_lshlrev_b32_e32 v20, 2, v20
	v_add_lshl_u32 v38, v20, v28, 2
	ds_bpermute_b32 v20, v38, v17
	v_cmp_le_u32_e32 vcc, v39, v15
	v_add_u32_e32 v43, 16, v34
	v_add_u32_e32 v45, 32, v34
	s_waitcnt lgkmcnt(0)
	v_cndmask_b32_e32 v20, 0, v20, vcc
	v_cmp_gt_u32_e32 vcc, 56, v34
	v_add_u32_e32 v17, v17, v20
	v_cndmask_b32_e64 v20, 0, 1, vcc
	v_lshlrev_b32_e32 v20, 3, v20
	v_add_lshl_u32 v40, v20, v28, 2
	ds_bpermute_b32 v20, v40, v17
	v_cmp_le_u32_e32 vcc, v41, v15
	s_waitcnt lgkmcnt(0)
	v_cndmask_b32_e32 v20, 0, v20, vcc
	v_cmp_gt_u32_e32 vcc, 48, v34
	v_add_u32_e32 v17, v17, v20
	v_cndmask_b32_e64 v20, 0, 1, vcc
	v_lshlrev_b32_e32 v20, 4, v20
	v_add_lshl_u32 v42, v20, v28, 2
	ds_bpermute_b32 v20, v42, v17
	v_cmp_le_u32_e32 vcc, v43, v15
	s_waitcnt lgkmcnt(0)
	v_cndmask_b32_e32 v20, 0, v20, vcc
	v_cmp_gt_u32_e32 vcc, 32, v34
	v_add_u32_e32 v17, v17, v20
	v_cndmask_b32_e64 v20, 0, 1, vcc
	v_lshlrev_b32_e32 v20, 5, v20
	v_add_lshl_u32 v44, v20, v28, 2
	ds_bpermute_b32 v20, v44, v17
	v_cmp_le_u32_e32 vcc, v45, v15
	s_waitcnt lgkmcnt(0)
	v_cndmask_b32_e32 v15, 0, v20, vcc
	v_add_u32_e32 v20, v17, v15
	v_mov_b32_e32 v17, 0
	s_branch .LBB2373_38
.LBB2373_37:                            ;   in Loop: Header=BB2373_38 Depth=1
	s_or_b64 exec, exec, s[34:35]
	v_cmp_eq_u16_sdwa s[34:35], v21, v33 src0_sel:BYTE_0 src1_sel:DWORD
	v_and_b32_e32 v22, s35, v19
	v_or_b32_e32 v22, 0x80000000, v22
	ds_bpermute_b32 v46, v35, v20
	v_and_b32_e32 v23, s34, v18
	v_ffbl_b32_e32 v22, v22
	v_add_u32_e32 v22, 32, v22
	v_ffbl_b32_e32 v23, v23
	v_min_u32_e32 v22, v23, v22
	v_cmp_lt_u32_e32 vcc, v34, v22
	s_waitcnt lgkmcnt(0)
	v_cndmask_b32_e32 v23, 0, v46, vcc
	v_add_u32_e32 v20, v23, v20
	ds_bpermute_b32 v23, v36, v20
	v_cmp_le_u32_e32 vcc, v37, v22
	v_subrev_u32_e32 v16, 64, v16
	s_waitcnt lgkmcnt(0)
	v_cndmask_b32_e32 v23, 0, v23, vcc
	v_add_u32_e32 v20, v20, v23
	ds_bpermute_b32 v23, v38, v20
	v_cmp_le_u32_e32 vcc, v39, v22
	s_waitcnt lgkmcnt(0)
	v_cndmask_b32_e32 v23, 0, v23, vcc
	v_add_u32_e32 v20, v20, v23
	ds_bpermute_b32 v23, v40, v20
	v_cmp_le_u32_e32 vcc, v41, v22
	;; [unrolled: 5-line block ×4, first 2 shown]
	s_waitcnt lgkmcnt(0)
	v_cndmask_b32_e32 v22, 0, v23, vcc
	v_add3_u32 v20, v22, v15, v20
.LBB2373_38:                            ; =>This Loop Header: Depth=1
                                        ;     Child Loop BB2373_41 Depth 2
                                        ;       Child Loop BB2373_42 Depth 3
	v_cmp_ne_u16_sdwa s[34:35], v21, v33 src0_sel:BYTE_0 src1_sel:DWORD
	v_cndmask_b32_e64 v15, 0, 1, s[34:35]
	;;#ASMSTART
	;;#ASMEND
	v_cmp_ne_u32_e32 vcc, 0, v15
	s_cmp_lg_u64 vcc, exec
	v_mov_b32_e32 v15, v20
	s_cbranch_scc1 .LBB2373_45
; %bb.39:                               ;   in Loop: Header=BB2373_38 Depth=1
	v_lshlrev_b64 v[20:21], 3, v[16:17]
	v_mov_b32_e32 v23, s31
	v_add_co_u32_e32 v22, vcc, s30, v20
	v_addc_co_u32_e32 v23, vcc, v23, v21, vcc
	global_load_dwordx2 v[20:21], v[22:23], off glc
	s_waitcnt vmcnt(0)
	v_cmp_eq_u16_sdwa s[36:37], v21, v17 src0_sel:BYTE_0 src1_sel:DWORD
	s_and_saveexec_b64 s[34:35], s[36:37]
	s_cbranch_execz .LBB2373_37
; %bb.40:                               ;   in Loop: Header=BB2373_38 Depth=1
	s_mov_b32 s39, 1
	s_mov_b64 s[36:37], 0
.LBB2373_41:                            ;   Parent Loop BB2373_38 Depth=1
                                        ; =>  This Loop Header: Depth=2
                                        ;       Child Loop BB2373_42 Depth 3
	s_max_u32 s40, s39, 1
.LBB2373_42:                            ;   Parent Loop BB2373_38 Depth=1
                                        ;     Parent Loop BB2373_41 Depth=2
                                        ; =>    This Inner Loop Header: Depth=3
	s_add_i32 s40, s40, -1
	s_cmp_eq_u32 s40, 0
	s_sleep 1
	s_cbranch_scc0 .LBB2373_42
; %bb.43:                               ;   in Loop: Header=BB2373_41 Depth=2
	global_load_dwordx2 v[20:21], v[22:23], off glc
	s_cmp_lt_u32 s39, 32
	s_cselect_b64 s[40:41], -1, 0
	s_cmp_lg_u64 s[40:41], 0
	s_addc_u32 s39, s39, 0
	s_waitcnt vmcnt(0)
	v_cmp_ne_u16_sdwa s[40:41], v21, v17 src0_sel:BYTE_0 src1_sel:DWORD
	s_or_b64 s[36:37], s[40:41], s[36:37]
	s_andn2_b64 exec, exec, s[36:37]
	s_cbranch_execnz .LBB2373_41
; %bb.44:                               ;   in Loop: Header=BB2373_38 Depth=1
	s_or_b64 exec, exec, s[36:37]
	s_branch .LBB2373_37
.LBB2373_45:                            ;   in Loop: Header=BB2373_38 Depth=1
                                        ; implicit-def: $vgpr20
                                        ; implicit-def: $vgpr21
	s_cbranch_execz .LBB2373_38
; %bb.46:
	s_and_saveexec_b64 s[34:35], s[18:19]
	s_cbranch_execz .LBB2373_48
; %bb.47:
	s_add_i32 s36, s38, 64
	s_mov_b32 s37, 0
	s_lshl_b64 s[36:37], s[36:37], 3
	s_add_u32 s36, s30, s36
	v_add_u32_e32 v16, v15, v14
	v_mov_b32_e32 v17, 2
	s_addc_u32 s37, s31, s37
	v_mov_b32_e32 v18, 0
	global_store_dwordx2 v18, v[16:17], s[36:37]
	ds_write_b64 v18, v[14:15] offset:6336
.LBB2373_48:
	s_or_b64 exec, exec, s[34:35]
	s_and_b64 exec, exec, s[0:1]
	s_cbranch_execz .LBB2373_50
; %bb.49:
	v_mov_b32_e32 v14, 0
	ds_write_b32 v14, v15 offset:8
.LBB2373_50:
	s_or_b64 exec, exec, s[24:25]
	v_mov_b32_e32 v14, 0
	s_waitcnt lgkmcnt(0)
	s_barrier
	ds_read_b32 v15, v14 offset:8
	v_cndmask_b32_e64 v16, v32, v31, s[18:19]
	v_cndmask_b32_e64 v16, v16, 0, s[0:1]
	s_waitcnt lgkmcnt(0)
	s_barrier
	v_add_u32_e32 v18, v15, v16
	ds_read_b64 v[14:15], v14 offset:6336
	v_add_u32_sdwa v19, v18, v25 dst_sel:DWORD dst_unused:UNUSED_PAD src0_sel:DWORD src1_sel:BYTE_0
	v_add_u32_sdwa v17, v19, v25 dst_sel:DWORD dst_unused:UNUSED_PAD src0_sel:DWORD src1_sel:BYTE_1
	v_add_u32_e32 v16, v17, v27
	s_branch .LBB2373_61
.LBB2373_51:
                                        ; implicit-def: $vgpr15
                                        ; implicit-def: $vgpr16
                                        ; implicit-def: $vgpr17
                                        ; implicit-def: $vgpr19
                                        ; implicit-def: $vgpr18
	s_cbranch_execz .LBB2373_61
; %bb.52:
	s_waitcnt lgkmcnt(0)
	v_mov_b32_dpp v14, v30 row_shr:1 row_mask:0xf bank_mask:0xf
	v_cndmask_b32_e64 v14, v14, 0, s[16:17]
	v_add_u32_e32 v14, v14, v30
	s_nop 1
	v_mov_b32_dpp v15, v14 row_shr:2 row_mask:0xf bank_mask:0xf
	v_cndmask_b32_e64 v15, 0, v15, s[14:15]
	v_add_u32_e32 v14, v14, v15
	s_nop 1
	;; [unrolled: 4-line block ×4, first 2 shown]
	v_mov_b32_dpp v15, v14 row_bcast:15 row_mask:0xf bank_mask:0xf
	v_cndmask_b32_e64 v15, v15, 0, s[6:7]
	v_add_u32_e32 v14, v14, v15
	s_nop 1
	v_mov_b32_dpp v15, v14 row_bcast:31 row_mask:0xf bank_mask:0xf
	v_cndmask_b32_e64 v15, 0, v15, s[4:5]
	v_add_u32_e32 v14, v14, v15
	s_and_saveexec_b64 s[4:5], s[8:9]
	s_cbranch_execz .LBB2373_54
; %bb.53:
	v_lshlrev_b32_e32 v15, 2, v29
	ds_write_b32 v15, v14
.LBB2373_54:
	s_or_b64 exec, exec, s[4:5]
	v_cmp_gt_u32_e32 vcc, 3, v0
	s_waitcnt lgkmcnt(0)
	s_barrier
	s_and_saveexec_b64 s[4:5], vcc
	s_cbranch_execz .LBB2373_56
; %bb.55:
	ds_read_b32 v15, v1
	v_and_b32_e32 v16, 3, v28
	v_cmp_ne_u32_e32 vcc, 0, v16
	s_waitcnt lgkmcnt(0)
	v_mov_b32_dpp v17, v15 row_shr:1 row_mask:0xf bank_mask:0xf
	v_cndmask_b32_e32 v17, 0, v17, vcc
	v_add_u32_e32 v15, v17, v15
	v_cmp_lt_u32_e32 vcc, 1, v16
	s_nop 0
	v_mov_b32_dpp v17, v15 row_shr:2 row_mask:0xf bank_mask:0xf
	v_cndmask_b32_e32 v16, 0, v17, vcc
	v_add_u32_e32 v15, v15, v16
	ds_write_b32 v1, v15
.LBB2373_56:
	s_or_b64 exec, exec, s[4:5]
	v_cmp_lt_u32_e32 vcc, 63, v0
	v_mov_b32_e32 v15, 0
	v_mov_b32_e32 v16, 0
	s_waitcnt lgkmcnt(0)
	s_barrier
	s_and_saveexec_b64 s[4:5], vcc
	s_cbranch_execz .LBB2373_58
; %bb.57:
	v_lshl_add_u32 v16, v29, 2, -4
	ds_read_b32 v16, v16
.LBB2373_58:
	s_or_b64 exec, exec, s[4:5]
	v_add_u32_e32 v17, -1, v28
	v_and_b32_e32 v18, 64, v28
	v_cmp_lt_i32_e32 vcc, v17, v18
	v_cndmask_b32_e32 v17, v17, v28, vcc
	s_waitcnt lgkmcnt(0)
	v_add_u32_e32 v14, v16, v14
	v_lshlrev_b32_e32 v17, 2, v17
	ds_bpermute_b32 v17, v17, v14
	ds_read_b32 v14, v15 offset:8
	s_and_saveexec_b64 s[4:5], s[0:1]
	s_cbranch_execz .LBB2373_60
; %bb.59:
	v_mov_b32_e32 v18, 0
	v_mov_b32_e32 v15, 2
	s_waitcnt lgkmcnt(0)
	global_store_dwordx2 v18, v[14:15], s[30:31] offset:512
.LBB2373_60:
	s_or_b64 exec, exec, s[4:5]
	v_cmp_eq_u32_e32 vcc, 0, v28
	s_waitcnt lgkmcnt(1)
	v_cndmask_b32_e32 v16, v17, v16, vcc
	v_cndmask_b32_e64 v18, v16, 0, s[0:1]
	v_add_u32_sdwa v19, v18, v25 dst_sel:DWORD dst_unused:UNUSED_PAD src0_sel:DWORD src1_sel:BYTE_0
	v_add_u32_sdwa v17, v19, v25 dst_sel:DWORD dst_unused:UNUSED_PAD src0_sel:DWORD src1_sel:BYTE_1
	v_mov_b32_e32 v15, 0
	v_add_u32_e32 v16, v17, v27
	s_waitcnt lgkmcnt(0)
	s_barrier
.LBB2373_61:
	s_waitcnt lgkmcnt(0)
	v_add_u32_e32 v1, v14, v1
	v_sub_u32_e32 v18, v18, v15
	v_and_b32_e32 v22, 1, v25
	v_sub_u32_e32 v21, v1, v18
	v_cmp_eq_u32_e32 vcc, 1, v22
	v_cndmask_b32_e32 v18, v21, v18, vcc
	v_lshlrev_b32_e32 v18, 3, v18
	v_lshrrev_b32_e32 v20, 8, v25
	ds_write_b64 v18, v[6:7]
	v_sub_u32_e32 v6, v19, v15
	v_sub_u32_e32 v7, v1, v6
	v_and_b32_e32 v18, 1, v20
	v_add_u32_e32 v7, 1, v7
	v_cmp_eq_u32_e32 vcc, 1, v18
	v_cndmask_b32_e32 v6, v7, v6, vcc
	v_lshlrev_b32_e32 v6, 3, v6
	ds_write_b64 v6, v[8:9]
	v_sub_u32_e32 v6, v17, v15
	v_mov_b32_e32 v8, 1
	v_sub_u32_e32 v7, v1, v6
	v_and_b32_sdwa v8, v8, v25 dst_sel:DWORD dst_unused:UNUSED_PAD src0_sel:DWORD src1_sel:WORD_1
	v_add_u32_e32 v7, 2, v7
	v_cmp_eq_u32_e32 vcc, 1, v8
	v_cndmask_b32_e32 v6, v7, v6, vcc
	v_lshlrev_b32_e32 v6, 3, v6
	ds_write_b64 v6, v[2:3]
	v_sub_u32_e32 v2, v16, v15
	v_sub_u32_e32 v1, v1, v2
	v_and_b32_e32 v3, 1, v26
	v_add_u32_e32 v1, 3, v1
	v_cmp_eq_u32_e32 vcc, 1, v3
	v_cndmask_b32_e32 v1, v1, v2, vcc
	v_lshlrev_b32_e32 v1, 3, v1
	ds_write_b64 v1, v[4:5]
	s_waitcnt vmcnt(0)
	v_add_co_u32_e32 v1, vcc, v10, v14
	v_addc_co_u32_e32 v11, vcc, 0, v11, vcc
	v_add_co_u32_e32 v10, vcc, v1, v15
	v_addc_co_u32_e32 v11, vcc, 0, v11, vcc
	v_mov_b32_e32 v1, s27
	v_sub_co_u32_e32 v20, vcc, s26, v10
	v_subb_co_u32_e32 v21, vcc, v1, v11, vcc
	v_lshlrev_b64 v[20:21], 3, v[20:21]
	s_waitcnt lgkmcnt(0)
	s_barrier
	ds_read2st64_b64 v[6:9], v24 offset1:3
	ds_read2st64_b64 v[2:5], v24 offset0:6 offset1:9
	v_mov_b32_e32 v1, s29
	v_add_co_u32_e32 v15, vcc, s28, v20
	v_addc_co_u32_e32 v1, vcc, v1, v21, vcc
	v_add_co_u32_e32 v12, vcc, v15, v12
	v_addc_co_u32_e32 v1, vcc, v1, v13, vcc
	v_add_u32_e32 v18, 0xc0, v0
	v_add_u32_e32 v17, 0x180, v0
	;; [unrolled: 1-line block ×3, first 2 shown]
	s_and_b64 vcc, exec, s[2:3]
	v_cmp_ge_u32_e64 s[2:3], v0, v14
	s_cbranch_vccnz .LBB2373_67
; %bb.62:
	s_and_saveexec_b64 s[4:5], s[2:3]
	s_cbranch_execnz .LBB2373_80
; %bb.63:
	s_or_b64 exec, exec, s[4:5]
	v_cmp_ge_u32_e32 vcc, v18, v14
	s_and_saveexec_b64 s[2:3], vcc
	s_cbranch_execnz .LBB2373_81
.LBB2373_64:
	s_or_b64 exec, exec, s[2:3]
	v_cmp_ge_u32_e32 vcc, v17, v14
	s_and_saveexec_b64 s[2:3], vcc
	s_cbranch_execz .LBB2373_66
.LBB2373_65:
	v_readfirstlane_b32 s4, v12
	v_readfirstlane_b32 s5, v1
	s_waitcnt lgkmcnt(0)
	s_nop 3
	global_store_dwordx2 v24, v[2:3], s[4:5] offset:3072
.LBB2373_66:
	s_or_b64 exec, exec, s[2:3]
	v_cmp_ge_u32_e64 s[2:3], v16, v14
	s_branch .LBB2373_75
.LBB2373_67:
	s_mov_b64 s[2:3], 0
	s_cbranch_execz .LBB2373_75
; %bb.68:
	v_cmp_gt_u32_e32 vcc, s33, v0
	v_cmp_ge_u32_e64 s[2:3], v0, v14
	s_and_b64 s[4:5], vcc, s[2:3]
	s_and_saveexec_b64 s[2:3], s[4:5]
	s_cbranch_execz .LBB2373_70
; %bb.69:
	v_readfirstlane_b32 s4, v12
	v_readfirstlane_b32 s5, v1
	s_waitcnt lgkmcnt(1)
	s_nop 3
	global_store_dwordx2 v24, v[6:7], s[4:5]
.LBB2373_70:
	s_or_b64 exec, exec, s[2:3]
	v_cmp_gt_u32_e32 vcc, s33, v18
	v_cmp_ge_u32_e64 s[2:3], v18, v14
	s_and_b64 s[4:5], vcc, s[2:3]
	s_and_saveexec_b64 s[2:3], s[4:5]
	s_cbranch_execz .LBB2373_72
; %bb.71:
	v_readfirstlane_b32 s4, v12
	v_readfirstlane_b32 s5, v1
	s_waitcnt lgkmcnt(1)
	s_nop 3
	global_store_dwordx2 v24, v[8:9], s[4:5] offset:1536
.LBB2373_72:
	s_or_b64 exec, exec, s[2:3]
	v_cmp_gt_u32_e32 vcc, s33, v17
	v_cmp_ge_u32_e64 s[2:3], v17, v14
	s_and_b64 s[4:5], vcc, s[2:3]
	s_and_saveexec_b64 s[2:3], s[4:5]
	s_cbranch_execz .LBB2373_74
; %bb.73:
	v_readfirstlane_b32 s4, v12
	v_readfirstlane_b32 s5, v1
	s_waitcnt lgkmcnt(0)
	s_nop 3
	global_store_dwordx2 v24, v[2:3], s[4:5] offset:3072
.LBB2373_74:
	s_or_b64 exec, exec, s[2:3]
	v_cmp_gt_u32_e32 vcc, s33, v16
	v_cmp_ge_u32_e64 s[2:3], v16, v14
	s_and_b64 s[2:3], vcc, s[2:3]
.LBB2373_75:
	s_and_saveexec_b64 s[4:5], s[2:3]
	s_cbranch_execnz .LBB2373_78
; %bb.76:
	s_or_b64 exec, exec, s[4:5]
	s_and_b64 s[0:1], s[0:1], s[22:23]
	s_and_saveexec_b64 s[2:3], s[0:1]
	s_cbranch_execnz .LBB2373_79
.LBB2373_77:
	s_endpgm
.LBB2373_78:
	v_lshlrev_b32_e32 v0, 3, v16
	v_readfirstlane_b32 s2, v12
	v_readfirstlane_b32 s3, v1
	s_waitcnt lgkmcnt(0)
	s_nop 3
	global_store_dwordx2 v0, v[4:5], s[2:3]
	s_or_b64 exec, exec, s[4:5]
	s_and_b64 s[0:1], s[0:1], s[22:23]
	s_and_saveexec_b64 s[2:3], s[0:1]
	s_cbranch_execz .LBB2373_77
.LBB2373_79:
	v_mov_b32_e32 v0, 0
	global_store_dwordx2 v0, v[10:11], s[20:21]
	s_endpgm
.LBB2373_80:
	v_readfirstlane_b32 s2, v12
	v_readfirstlane_b32 s3, v1
	s_waitcnt lgkmcnt(1)
	s_nop 3
	global_store_dwordx2 v24, v[6:7], s[2:3]
	s_or_b64 exec, exec, s[4:5]
	v_cmp_ge_u32_e32 vcc, v18, v14
	s_and_saveexec_b64 s[2:3], vcc
	s_cbranch_execz .LBB2373_64
.LBB2373_81:
	v_readfirstlane_b32 s4, v12
	v_readfirstlane_b32 s5, v1
	s_waitcnt lgkmcnt(1)
	s_nop 3
	global_store_dwordx2 v24, v[8:9], s[4:5] offset:1536
	s_or_b64 exec, exec, s[2:3]
	v_cmp_ge_u32_e32 vcc, v17, v14
	s_and_saveexec_b64 s[2:3], vcc
	s_cbranch_execnz .LBB2373_65
	s_branch .LBB2373_66
	.section	.rodata,"a",@progbits
	.p2align	6, 0x0
	.amdhsa_kernel _ZN7rocprim17ROCPRIM_400000_NS6detail17trampoline_kernelINS0_14default_configENS1_25partition_config_selectorILNS1_17partition_subalgoE0EyNS0_10empty_typeEbEEZZNS1_14partition_implILS5_0ELb0ES3_jN6thrust23THRUST_200600_302600_NS6detail15normal_iteratorINSA_10device_ptrIyEEEEPS6_SG_NS0_5tupleIJNSA_16discard_iteratorINSA_11use_defaultEEESF_EEENSH_IJSG_SG_EEES6_PlJ7is_evenIyEEEE10hipError_tPvRmT3_T4_T5_T6_T7_T9_mT8_P12ihipStream_tbDpT10_ENKUlT_T0_E_clISt17integral_constantIbLb1EES19_EEDaS14_S15_EUlS14_E_NS1_11comp_targetILNS1_3genE4ELNS1_11target_archE910ELNS1_3gpuE8ELNS1_3repE0EEENS1_30default_config_static_selectorELNS0_4arch9wavefront6targetE1EEEvT1_
		.amdhsa_group_segment_fixed_size 6344
		.amdhsa_private_segment_fixed_size 0
		.amdhsa_kernarg_size 144
		.amdhsa_user_sgpr_count 6
		.amdhsa_user_sgpr_private_segment_buffer 1
		.amdhsa_user_sgpr_dispatch_ptr 0
		.amdhsa_user_sgpr_queue_ptr 0
		.amdhsa_user_sgpr_kernarg_segment_ptr 1
		.amdhsa_user_sgpr_dispatch_id 0
		.amdhsa_user_sgpr_flat_scratch_init 0
		.amdhsa_user_sgpr_kernarg_preload_length 0
		.amdhsa_user_sgpr_kernarg_preload_offset 0
		.amdhsa_user_sgpr_private_segment_size 0
		.amdhsa_uses_dynamic_stack 0
		.amdhsa_system_sgpr_private_segment_wavefront_offset 0
		.amdhsa_system_sgpr_workgroup_id_x 1
		.amdhsa_system_sgpr_workgroup_id_y 0
		.amdhsa_system_sgpr_workgroup_id_z 0
		.amdhsa_system_sgpr_workgroup_info 0
		.amdhsa_system_vgpr_workitem_id 0
		.amdhsa_next_free_vgpr 47
		.amdhsa_next_free_sgpr 42
		.amdhsa_accum_offset 48
		.amdhsa_reserve_vcc 1
		.amdhsa_reserve_flat_scratch 0
		.amdhsa_float_round_mode_32 0
		.amdhsa_float_round_mode_16_64 0
		.amdhsa_float_denorm_mode_32 3
		.amdhsa_float_denorm_mode_16_64 3
		.amdhsa_dx10_clamp 1
		.amdhsa_ieee_mode 1
		.amdhsa_fp16_overflow 0
		.amdhsa_tg_split 0
		.amdhsa_exception_fp_ieee_invalid_op 0
		.amdhsa_exception_fp_denorm_src 0
		.amdhsa_exception_fp_ieee_div_zero 0
		.amdhsa_exception_fp_ieee_overflow 0
		.amdhsa_exception_fp_ieee_underflow 0
		.amdhsa_exception_fp_ieee_inexact 0
		.amdhsa_exception_int_div_zero 0
	.end_amdhsa_kernel
	.section	.text._ZN7rocprim17ROCPRIM_400000_NS6detail17trampoline_kernelINS0_14default_configENS1_25partition_config_selectorILNS1_17partition_subalgoE0EyNS0_10empty_typeEbEEZZNS1_14partition_implILS5_0ELb0ES3_jN6thrust23THRUST_200600_302600_NS6detail15normal_iteratorINSA_10device_ptrIyEEEEPS6_SG_NS0_5tupleIJNSA_16discard_iteratorINSA_11use_defaultEEESF_EEENSH_IJSG_SG_EEES6_PlJ7is_evenIyEEEE10hipError_tPvRmT3_T4_T5_T6_T7_T9_mT8_P12ihipStream_tbDpT10_ENKUlT_T0_E_clISt17integral_constantIbLb1EES19_EEDaS14_S15_EUlS14_E_NS1_11comp_targetILNS1_3genE4ELNS1_11target_archE910ELNS1_3gpuE8ELNS1_3repE0EEENS1_30default_config_static_selectorELNS0_4arch9wavefront6targetE1EEEvT1_,"axG",@progbits,_ZN7rocprim17ROCPRIM_400000_NS6detail17trampoline_kernelINS0_14default_configENS1_25partition_config_selectorILNS1_17partition_subalgoE0EyNS0_10empty_typeEbEEZZNS1_14partition_implILS5_0ELb0ES3_jN6thrust23THRUST_200600_302600_NS6detail15normal_iteratorINSA_10device_ptrIyEEEEPS6_SG_NS0_5tupleIJNSA_16discard_iteratorINSA_11use_defaultEEESF_EEENSH_IJSG_SG_EEES6_PlJ7is_evenIyEEEE10hipError_tPvRmT3_T4_T5_T6_T7_T9_mT8_P12ihipStream_tbDpT10_ENKUlT_T0_E_clISt17integral_constantIbLb1EES19_EEDaS14_S15_EUlS14_E_NS1_11comp_targetILNS1_3genE4ELNS1_11target_archE910ELNS1_3gpuE8ELNS1_3repE0EEENS1_30default_config_static_selectorELNS0_4arch9wavefront6targetE1EEEvT1_,comdat
.Lfunc_end2373:
	.size	_ZN7rocprim17ROCPRIM_400000_NS6detail17trampoline_kernelINS0_14default_configENS1_25partition_config_selectorILNS1_17partition_subalgoE0EyNS0_10empty_typeEbEEZZNS1_14partition_implILS5_0ELb0ES3_jN6thrust23THRUST_200600_302600_NS6detail15normal_iteratorINSA_10device_ptrIyEEEEPS6_SG_NS0_5tupleIJNSA_16discard_iteratorINSA_11use_defaultEEESF_EEENSH_IJSG_SG_EEES6_PlJ7is_evenIyEEEE10hipError_tPvRmT3_T4_T5_T6_T7_T9_mT8_P12ihipStream_tbDpT10_ENKUlT_T0_E_clISt17integral_constantIbLb1EES19_EEDaS14_S15_EUlS14_E_NS1_11comp_targetILNS1_3genE4ELNS1_11target_archE910ELNS1_3gpuE8ELNS1_3repE0EEENS1_30default_config_static_selectorELNS0_4arch9wavefront6targetE1EEEvT1_, .Lfunc_end2373-_ZN7rocprim17ROCPRIM_400000_NS6detail17trampoline_kernelINS0_14default_configENS1_25partition_config_selectorILNS1_17partition_subalgoE0EyNS0_10empty_typeEbEEZZNS1_14partition_implILS5_0ELb0ES3_jN6thrust23THRUST_200600_302600_NS6detail15normal_iteratorINSA_10device_ptrIyEEEEPS6_SG_NS0_5tupleIJNSA_16discard_iteratorINSA_11use_defaultEEESF_EEENSH_IJSG_SG_EEES6_PlJ7is_evenIyEEEE10hipError_tPvRmT3_T4_T5_T6_T7_T9_mT8_P12ihipStream_tbDpT10_ENKUlT_T0_E_clISt17integral_constantIbLb1EES19_EEDaS14_S15_EUlS14_E_NS1_11comp_targetILNS1_3genE4ELNS1_11target_archE910ELNS1_3gpuE8ELNS1_3repE0EEENS1_30default_config_static_selectorELNS0_4arch9wavefront6targetE1EEEvT1_
                                        ; -- End function
	.section	.AMDGPU.csdata,"",@progbits
; Kernel info:
; codeLenInByte = 3780
; NumSgprs: 46
; NumVgprs: 47
; NumAgprs: 0
; TotalNumVgprs: 47
; ScratchSize: 0
; MemoryBound: 0
; FloatMode: 240
; IeeeMode: 1
; LDSByteSize: 6344 bytes/workgroup (compile time only)
; SGPRBlocks: 5
; VGPRBlocks: 5
; NumSGPRsForWavesPerEU: 46
; NumVGPRsForWavesPerEU: 47
; AccumOffset: 48
; Occupancy: 8
; WaveLimiterHint : 1
; COMPUTE_PGM_RSRC2:SCRATCH_EN: 0
; COMPUTE_PGM_RSRC2:USER_SGPR: 6
; COMPUTE_PGM_RSRC2:TRAP_HANDLER: 0
; COMPUTE_PGM_RSRC2:TGID_X_EN: 1
; COMPUTE_PGM_RSRC2:TGID_Y_EN: 0
; COMPUTE_PGM_RSRC2:TGID_Z_EN: 0
; COMPUTE_PGM_RSRC2:TIDIG_COMP_CNT: 0
; COMPUTE_PGM_RSRC3_GFX90A:ACCUM_OFFSET: 11
; COMPUTE_PGM_RSRC3_GFX90A:TG_SPLIT: 0
	.section	.text._ZN7rocprim17ROCPRIM_400000_NS6detail17trampoline_kernelINS0_14default_configENS1_25partition_config_selectorILNS1_17partition_subalgoE0EyNS0_10empty_typeEbEEZZNS1_14partition_implILS5_0ELb0ES3_jN6thrust23THRUST_200600_302600_NS6detail15normal_iteratorINSA_10device_ptrIyEEEEPS6_SG_NS0_5tupleIJNSA_16discard_iteratorINSA_11use_defaultEEESF_EEENSH_IJSG_SG_EEES6_PlJ7is_evenIyEEEE10hipError_tPvRmT3_T4_T5_T6_T7_T9_mT8_P12ihipStream_tbDpT10_ENKUlT_T0_E_clISt17integral_constantIbLb1EES19_EEDaS14_S15_EUlS14_E_NS1_11comp_targetILNS1_3genE3ELNS1_11target_archE908ELNS1_3gpuE7ELNS1_3repE0EEENS1_30default_config_static_selectorELNS0_4arch9wavefront6targetE1EEEvT1_,"axG",@progbits,_ZN7rocprim17ROCPRIM_400000_NS6detail17trampoline_kernelINS0_14default_configENS1_25partition_config_selectorILNS1_17partition_subalgoE0EyNS0_10empty_typeEbEEZZNS1_14partition_implILS5_0ELb0ES3_jN6thrust23THRUST_200600_302600_NS6detail15normal_iteratorINSA_10device_ptrIyEEEEPS6_SG_NS0_5tupleIJNSA_16discard_iteratorINSA_11use_defaultEEESF_EEENSH_IJSG_SG_EEES6_PlJ7is_evenIyEEEE10hipError_tPvRmT3_T4_T5_T6_T7_T9_mT8_P12ihipStream_tbDpT10_ENKUlT_T0_E_clISt17integral_constantIbLb1EES19_EEDaS14_S15_EUlS14_E_NS1_11comp_targetILNS1_3genE3ELNS1_11target_archE908ELNS1_3gpuE7ELNS1_3repE0EEENS1_30default_config_static_selectorELNS0_4arch9wavefront6targetE1EEEvT1_,comdat
	.protected	_ZN7rocprim17ROCPRIM_400000_NS6detail17trampoline_kernelINS0_14default_configENS1_25partition_config_selectorILNS1_17partition_subalgoE0EyNS0_10empty_typeEbEEZZNS1_14partition_implILS5_0ELb0ES3_jN6thrust23THRUST_200600_302600_NS6detail15normal_iteratorINSA_10device_ptrIyEEEEPS6_SG_NS0_5tupleIJNSA_16discard_iteratorINSA_11use_defaultEEESF_EEENSH_IJSG_SG_EEES6_PlJ7is_evenIyEEEE10hipError_tPvRmT3_T4_T5_T6_T7_T9_mT8_P12ihipStream_tbDpT10_ENKUlT_T0_E_clISt17integral_constantIbLb1EES19_EEDaS14_S15_EUlS14_E_NS1_11comp_targetILNS1_3genE3ELNS1_11target_archE908ELNS1_3gpuE7ELNS1_3repE0EEENS1_30default_config_static_selectorELNS0_4arch9wavefront6targetE1EEEvT1_ ; -- Begin function _ZN7rocprim17ROCPRIM_400000_NS6detail17trampoline_kernelINS0_14default_configENS1_25partition_config_selectorILNS1_17partition_subalgoE0EyNS0_10empty_typeEbEEZZNS1_14partition_implILS5_0ELb0ES3_jN6thrust23THRUST_200600_302600_NS6detail15normal_iteratorINSA_10device_ptrIyEEEEPS6_SG_NS0_5tupleIJNSA_16discard_iteratorINSA_11use_defaultEEESF_EEENSH_IJSG_SG_EEES6_PlJ7is_evenIyEEEE10hipError_tPvRmT3_T4_T5_T6_T7_T9_mT8_P12ihipStream_tbDpT10_ENKUlT_T0_E_clISt17integral_constantIbLb1EES19_EEDaS14_S15_EUlS14_E_NS1_11comp_targetILNS1_3genE3ELNS1_11target_archE908ELNS1_3gpuE7ELNS1_3repE0EEENS1_30default_config_static_selectorELNS0_4arch9wavefront6targetE1EEEvT1_
	.globl	_ZN7rocprim17ROCPRIM_400000_NS6detail17trampoline_kernelINS0_14default_configENS1_25partition_config_selectorILNS1_17partition_subalgoE0EyNS0_10empty_typeEbEEZZNS1_14partition_implILS5_0ELb0ES3_jN6thrust23THRUST_200600_302600_NS6detail15normal_iteratorINSA_10device_ptrIyEEEEPS6_SG_NS0_5tupleIJNSA_16discard_iteratorINSA_11use_defaultEEESF_EEENSH_IJSG_SG_EEES6_PlJ7is_evenIyEEEE10hipError_tPvRmT3_T4_T5_T6_T7_T9_mT8_P12ihipStream_tbDpT10_ENKUlT_T0_E_clISt17integral_constantIbLb1EES19_EEDaS14_S15_EUlS14_E_NS1_11comp_targetILNS1_3genE3ELNS1_11target_archE908ELNS1_3gpuE7ELNS1_3repE0EEENS1_30default_config_static_selectorELNS0_4arch9wavefront6targetE1EEEvT1_
	.p2align	8
	.type	_ZN7rocprim17ROCPRIM_400000_NS6detail17trampoline_kernelINS0_14default_configENS1_25partition_config_selectorILNS1_17partition_subalgoE0EyNS0_10empty_typeEbEEZZNS1_14partition_implILS5_0ELb0ES3_jN6thrust23THRUST_200600_302600_NS6detail15normal_iteratorINSA_10device_ptrIyEEEEPS6_SG_NS0_5tupleIJNSA_16discard_iteratorINSA_11use_defaultEEESF_EEENSH_IJSG_SG_EEES6_PlJ7is_evenIyEEEE10hipError_tPvRmT3_T4_T5_T6_T7_T9_mT8_P12ihipStream_tbDpT10_ENKUlT_T0_E_clISt17integral_constantIbLb1EES19_EEDaS14_S15_EUlS14_E_NS1_11comp_targetILNS1_3genE3ELNS1_11target_archE908ELNS1_3gpuE7ELNS1_3repE0EEENS1_30default_config_static_selectorELNS0_4arch9wavefront6targetE1EEEvT1_,@function
_ZN7rocprim17ROCPRIM_400000_NS6detail17trampoline_kernelINS0_14default_configENS1_25partition_config_selectorILNS1_17partition_subalgoE0EyNS0_10empty_typeEbEEZZNS1_14partition_implILS5_0ELb0ES3_jN6thrust23THRUST_200600_302600_NS6detail15normal_iteratorINSA_10device_ptrIyEEEEPS6_SG_NS0_5tupleIJNSA_16discard_iteratorINSA_11use_defaultEEESF_EEENSH_IJSG_SG_EEES6_PlJ7is_evenIyEEEE10hipError_tPvRmT3_T4_T5_T6_T7_T9_mT8_P12ihipStream_tbDpT10_ENKUlT_T0_E_clISt17integral_constantIbLb1EES19_EEDaS14_S15_EUlS14_E_NS1_11comp_targetILNS1_3genE3ELNS1_11target_archE908ELNS1_3gpuE7ELNS1_3repE0EEENS1_30default_config_static_selectorELNS0_4arch9wavefront6targetE1EEEvT1_: ; @_ZN7rocprim17ROCPRIM_400000_NS6detail17trampoline_kernelINS0_14default_configENS1_25partition_config_selectorILNS1_17partition_subalgoE0EyNS0_10empty_typeEbEEZZNS1_14partition_implILS5_0ELb0ES3_jN6thrust23THRUST_200600_302600_NS6detail15normal_iteratorINSA_10device_ptrIyEEEEPS6_SG_NS0_5tupleIJNSA_16discard_iteratorINSA_11use_defaultEEESF_EEENSH_IJSG_SG_EEES6_PlJ7is_evenIyEEEE10hipError_tPvRmT3_T4_T5_T6_T7_T9_mT8_P12ihipStream_tbDpT10_ENKUlT_T0_E_clISt17integral_constantIbLb1EES19_EEDaS14_S15_EUlS14_E_NS1_11comp_targetILNS1_3genE3ELNS1_11target_archE908ELNS1_3gpuE7ELNS1_3repE0EEENS1_30default_config_static_selectorELNS0_4arch9wavefront6targetE1EEEvT1_
; %bb.0:
	.section	.rodata,"a",@progbits
	.p2align	6, 0x0
	.amdhsa_kernel _ZN7rocprim17ROCPRIM_400000_NS6detail17trampoline_kernelINS0_14default_configENS1_25partition_config_selectorILNS1_17partition_subalgoE0EyNS0_10empty_typeEbEEZZNS1_14partition_implILS5_0ELb0ES3_jN6thrust23THRUST_200600_302600_NS6detail15normal_iteratorINSA_10device_ptrIyEEEEPS6_SG_NS0_5tupleIJNSA_16discard_iteratorINSA_11use_defaultEEESF_EEENSH_IJSG_SG_EEES6_PlJ7is_evenIyEEEE10hipError_tPvRmT3_T4_T5_T6_T7_T9_mT8_P12ihipStream_tbDpT10_ENKUlT_T0_E_clISt17integral_constantIbLb1EES19_EEDaS14_S15_EUlS14_E_NS1_11comp_targetILNS1_3genE3ELNS1_11target_archE908ELNS1_3gpuE7ELNS1_3repE0EEENS1_30default_config_static_selectorELNS0_4arch9wavefront6targetE1EEEvT1_
		.amdhsa_group_segment_fixed_size 0
		.amdhsa_private_segment_fixed_size 0
		.amdhsa_kernarg_size 144
		.amdhsa_user_sgpr_count 6
		.amdhsa_user_sgpr_private_segment_buffer 1
		.amdhsa_user_sgpr_dispatch_ptr 0
		.amdhsa_user_sgpr_queue_ptr 0
		.amdhsa_user_sgpr_kernarg_segment_ptr 1
		.amdhsa_user_sgpr_dispatch_id 0
		.amdhsa_user_sgpr_flat_scratch_init 0
		.amdhsa_user_sgpr_kernarg_preload_length 0
		.amdhsa_user_sgpr_kernarg_preload_offset 0
		.amdhsa_user_sgpr_private_segment_size 0
		.amdhsa_uses_dynamic_stack 0
		.amdhsa_system_sgpr_private_segment_wavefront_offset 0
		.amdhsa_system_sgpr_workgroup_id_x 1
		.amdhsa_system_sgpr_workgroup_id_y 0
		.amdhsa_system_sgpr_workgroup_id_z 0
		.amdhsa_system_sgpr_workgroup_info 0
		.amdhsa_system_vgpr_workitem_id 0
		.amdhsa_next_free_vgpr 1
		.amdhsa_next_free_sgpr 0
		.amdhsa_accum_offset 4
		.amdhsa_reserve_vcc 0
		.amdhsa_reserve_flat_scratch 0
		.amdhsa_float_round_mode_32 0
		.amdhsa_float_round_mode_16_64 0
		.amdhsa_float_denorm_mode_32 3
		.amdhsa_float_denorm_mode_16_64 3
		.amdhsa_dx10_clamp 1
		.amdhsa_ieee_mode 1
		.amdhsa_fp16_overflow 0
		.amdhsa_tg_split 0
		.amdhsa_exception_fp_ieee_invalid_op 0
		.amdhsa_exception_fp_denorm_src 0
		.amdhsa_exception_fp_ieee_div_zero 0
		.amdhsa_exception_fp_ieee_overflow 0
		.amdhsa_exception_fp_ieee_underflow 0
		.amdhsa_exception_fp_ieee_inexact 0
		.amdhsa_exception_int_div_zero 0
	.end_amdhsa_kernel
	.section	.text._ZN7rocprim17ROCPRIM_400000_NS6detail17trampoline_kernelINS0_14default_configENS1_25partition_config_selectorILNS1_17partition_subalgoE0EyNS0_10empty_typeEbEEZZNS1_14partition_implILS5_0ELb0ES3_jN6thrust23THRUST_200600_302600_NS6detail15normal_iteratorINSA_10device_ptrIyEEEEPS6_SG_NS0_5tupleIJNSA_16discard_iteratorINSA_11use_defaultEEESF_EEENSH_IJSG_SG_EEES6_PlJ7is_evenIyEEEE10hipError_tPvRmT3_T4_T5_T6_T7_T9_mT8_P12ihipStream_tbDpT10_ENKUlT_T0_E_clISt17integral_constantIbLb1EES19_EEDaS14_S15_EUlS14_E_NS1_11comp_targetILNS1_3genE3ELNS1_11target_archE908ELNS1_3gpuE7ELNS1_3repE0EEENS1_30default_config_static_selectorELNS0_4arch9wavefront6targetE1EEEvT1_,"axG",@progbits,_ZN7rocprim17ROCPRIM_400000_NS6detail17trampoline_kernelINS0_14default_configENS1_25partition_config_selectorILNS1_17partition_subalgoE0EyNS0_10empty_typeEbEEZZNS1_14partition_implILS5_0ELb0ES3_jN6thrust23THRUST_200600_302600_NS6detail15normal_iteratorINSA_10device_ptrIyEEEEPS6_SG_NS0_5tupleIJNSA_16discard_iteratorINSA_11use_defaultEEESF_EEENSH_IJSG_SG_EEES6_PlJ7is_evenIyEEEE10hipError_tPvRmT3_T4_T5_T6_T7_T9_mT8_P12ihipStream_tbDpT10_ENKUlT_T0_E_clISt17integral_constantIbLb1EES19_EEDaS14_S15_EUlS14_E_NS1_11comp_targetILNS1_3genE3ELNS1_11target_archE908ELNS1_3gpuE7ELNS1_3repE0EEENS1_30default_config_static_selectorELNS0_4arch9wavefront6targetE1EEEvT1_,comdat
.Lfunc_end2374:
	.size	_ZN7rocprim17ROCPRIM_400000_NS6detail17trampoline_kernelINS0_14default_configENS1_25partition_config_selectorILNS1_17partition_subalgoE0EyNS0_10empty_typeEbEEZZNS1_14partition_implILS5_0ELb0ES3_jN6thrust23THRUST_200600_302600_NS6detail15normal_iteratorINSA_10device_ptrIyEEEEPS6_SG_NS0_5tupleIJNSA_16discard_iteratorINSA_11use_defaultEEESF_EEENSH_IJSG_SG_EEES6_PlJ7is_evenIyEEEE10hipError_tPvRmT3_T4_T5_T6_T7_T9_mT8_P12ihipStream_tbDpT10_ENKUlT_T0_E_clISt17integral_constantIbLb1EES19_EEDaS14_S15_EUlS14_E_NS1_11comp_targetILNS1_3genE3ELNS1_11target_archE908ELNS1_3gpuE7ELNS1_3repE0EEENS1_30default_config_static_selectorELNS0_4arch9wavefront6targetE1EEEvT1_, .Lfunc_end2374-_ZN7rocprim17ROCPRIM_400000_NS6detail17trampoline_kernelINS0_14default_configENS1_25partition_config_selectorILNS1_17partition_subalgoE0EyNS0_10empty_typeEbEEZZNS1_14partition_implILS5_0ELb0ES3_jN6thrust23THRUST_200600_302600_NS6detail15normal_iteratorINSA_10device_ptrIyEEEEPS6_SG_NS0_5tupleIJNSA_16discard_iteratorINSA_11use_defaultEEESF_EEENSH_IJSG_SG_EEES6_PlJ7is_evenIyEEEE10hipError_tPvRmT3_T4_T5_T6_T7_T9_mT8_P12ihipStream_tbDpT10_ENKUlT_T0_E_clISt17integral_constantIbLb1EES19_EEDaS14_S15_EUlS14_E_NS1_11comp_targetILNS1_3genE3ELNS1_11target_archE908ELNS1_3gpuE7ELNS1_3repE0EEENS1_30default_config_static_selectorELNS0_4arch9wavefront6targetE1EEEvT1_
                                        ; -- End function
	.section	.AMDGPU.csdata,"",@progbits
; Kernel info:
; codeLenInByte = 0
; NumSgprs: 4
; NumVgprs: 0
; NumAgprs: 0
; TotalNumVgprs: 0
; ScratchSize: 0
; MemoryBound: 0
; FloatMode: 240
; IeeeMode: 1
; LDSByteSize: 0 bytes/workgroup (compile time only)
; SGPRBlocks: 0
; VGPRBlocks: 0
; NumSGPRsForWavesPerEU: 4
; NumVGPRsForWavesPerEU: 1
; AccumOffset: 4
; Occupancy: 8
; WaveLimiterHint : 0
; COMPUTE_PGM_RSRC2:SCRATCH_EN: 0
; COMPUTE_PGM_RSRC2:USER_SGPR: 6
; COMPUTE_PGM_RSRC2:TRAP_HANDLER: 0
; COMPUTE_PGM_RSRC2:TGID_X_EN: 1
; COMPUTE_PGM_RSRC2:TGID_Y_EN: 0
; COMPUTE_PGM_RSRC2:TGID_Z_EN: 0
; COMPUTE_PGM_RSRC2:TIDIG_COMP_CNT: 0
; COMPUTE_PGM_RSRC3_GFX90A:ACCUM_OFFSET: 0
; COMPUTE_PGM_RSRC3_GFX90A:TG_SPLIT: 0
	.section	.text._ZN7rocprim17ROCPRIM_400000_NS6detail17trampoline_kernelINS0_14default_configENS1_25partition_config_selectorILNS1_17partition_subalgoE0EyNS0_10empty_typeEbEEZZNS1_14partition_implILS5_0ELb0ES3_jN6thrust23THRUST_200600_302600_NS6detail15normal_iteratorINSA_10device_ptrIyEEEEPS6_SG_NS0_5tupleIJNSA_16discard_iteratorINSA_11use_defaultEEESF_EEENSH_IJSG_SG_EEES6_PlJ7is_evenIyEEEE10hipError_tPvRmT3_T4_T5_T6_T7_T9_mT8_P12ihipStream_tbDpT10_ENKUlT_T0_E_clISt17integral_constantIbLb1EES19_EEDaS14_S15_EUlS14_E_NS1_11comp_targetILNS1_3genE2ELNS1_11target_archE906ELNS1_3gpuE6ELNS1_3repE0EEENS1_30default_config_static_selectorELNS0_4arch9wavefront6targetE1EEEvT1_,"axG",@progbits,_ZN7rocprim17ROCPRIM_400000_NS6detail17trampoline_kernelINS0_14default_configENS1_25partition_config_selectorILNS1_17partition_subalgoE0EyNS0_10empty_typeEbEEZZNS1_14partition_implILS5_0ELb0ES3_jN6thrust23THRUST_200600_302600_NS6detail15normal_iteratorINSA_10device_ptrIyEEEEPS6_SG_NS0_5tupleIJNSA_16discard_iteratorINSA_11use_defaultEEESF_EEENSH_IJSG_SG_EEES6_PlJ7is_evenIyEEEE10hipError_tPvRmT3_T4_T5_T6_T7_T9_mT8_P12ihipStream_tbDpT10_ENKUlT_T0_E_clISt17integral_constantIbLb1EES19_EEDaS14_S15_EUlS14_E_NS1_11comp_targetILNS1_3genE2ELNS1_11target_archE906ELNS1_3gpuE6ELNS1_3repE0EEENS1_30default_config_static_selectorELNS0_4arch9wavefront6targetE1EEEvT1_,comdat
	.protected	_ZN7rocprim17ROCPRIM_400000_NS6detail17trampoline_kernelINS0_14default_configENS1_25partition_config_selectorILNS1_17partition_subalgoE0EyNS0_10empty_typeEbEEZZNS1_14partition_implILS5_0ELb0ES3_jN6thrust23THRUST_200600_302600_NS6detail15normal_iteratorINSA_10device_ptrIyEEEEPS6_SG_NS0_5tupleIJNSA_16discard_iteratorINSA_11use_defaultEEESF_EEENSH_IJSG_SG_EEES6_PlJ7is_evenIyEEEE10hipError_tPvRmT3_T4_T5_T6_T7_T9_mT8_P12ihipStream_tbDpT10_ENKUlT_T0_E_clISt17integral_constantIbLb1EES19_EEDaS14_S15_EUlS14_E_NS1_11comp_targetILNS1_3genE2ELNS1_11target_archE906ELNS1_3gpuE6ELNS1_3repE0EEENS1_30default_config_static_selectorELNS0_4arch9wavefront6targetE1EEEvT1_ ; -- Begin function _ZN7rocprim17ROCPRIM_400000_NS6detail17trampoline_kernelINS0_14default_configENS1_25partition_config_selectorILNS1_17partition_subalgoE0EyNS0_10empty_typeEbEEZZNS1_14partition_implILS5_0ELb0ES3_jN6thrust23THRUST_200600_302600_NS6detail15normal_iteratorINSA_10device_ptrIyEEEEPS6_SG_NS0_5tupleIJNSA_16discard_iteratorINSA_11use_defaultEEESF_EEENSH_IJSG_SG_EEES6_PlJ7is_evenIyEEEE10hipError_tPvRmT3_T4_T5_T6_T7_T9_mT8_P12ihipStream_tbDpT10_ENKUlT_T0_E_clISt17integral_constantIbLb1EES19_EEDaS14_S15_EUlS14_E_NS1_11comp_targetILNS1_3genE2ELNS1_11target_archE906ELNS1_3gpuE6ELNS1_3repE0EEENS1_30default_config_static_selectorELNS0_4arch9wavefront6targetE1EEEvT1_
	.globl	_ZN7rocprim17ROCPRIM_400000_NS6detail17trampoline_kernelINS0_14default_configENS1_25partition_config_selectorILNS1_17partition_subalgoE0EyNS0_10empty_typeEbEEZZNS1_14partition_implILS5_0ELb0ES3_jN6thrust23THRUST_200600_302600_NS6detail15normal_iteratorINSA_10device_ptrIyEEEEPS6_SG_NS0_5tupleIJNSA_16discard_iteratorINSA_11use_defaultEEESF_EEENSH_IJSG_SG_EEES6_PlJ7is_evenIyEEEE10hipError_tPvRmT3_T4_T5_T6_T7_T9_mT8_P12ihipStream_tbDpT10_ENKUlT_T0_E_clISt17integral_constantIbLb1EES19_EEDaS14_S15_EUlS14_E_NS1_11comp_targetILNS1_3genE2ELNS1_11target_archE906ELNS1_3gpuE6ELNS1_3repE0EEENS1_30default_config_static_selectorELNS0_4arch9wavefront6targetE1EEEvT1_
	.p2align	8
	.type	_ZN7rocprim17ROCPRIM_400000_NS6detail17trampoline_kernelINS0_14default_configENS1_25partition_config_selectorILNS1_17partition_subalgoE0EyNS0_10empty_typeEbEEZZNS1_14partition_implILS5_0ELb0ES3_jN6thrust23THRUST_200600_302600_NS6detail15normal_iteratorINSA_10device_ptrIyEEEEPS6_SG_NS0_5tupleIJNSA_16discard_iteratorINSA_11use_defaultEEESF_EEENSH_IJSG_SG_EEES6_PlJ7is_evenIyEEEE10hipError_tPvRmT3_T4_T5_T6_T7_T9_mT8_P12ihipStream_tbDpT10_ENKUlT_T0_E_clISt17integral_constantIbLb1EES19_EEDaS14_S15_EUlS14_E_NS1_11comp_targetILNS1_3genE2ELNS1_11target_archE906ELNS1_3gpuE6ELNS1_3repE0EEENS1_30default_config_static_selectorELNS0_4arch9wavefront6targetE1EEEvT1_,@function
_ZN7rocprim17ROCPRIM_400000_NS6detail17trampoline_kernelINS0_14default_configENS1_25partition_config_selectorILNS1_17partition_subalgoE0EyNS0_10empty_typeEbEEZZNS1_14partition_implILS5_0ELb0ES3_jN6thrust23THRUST_200600_302600_NS6detail15normal_iteratorINSA_10device_ptrIyEEEEPS6_SG_NS0_5tupleIJNSA_16discard_iteratorINSA_11use_defaultEEESF_EEENSH_IJSG_SG_EEES6_PlJ7is_evenIyEEEE10hipError_tPvRmT3_T4_T5_T6_T7_T9_mT8_P12ihipStream_tbDpT10_ENKUlT_T0_E_clISt17integral_constantIbLb1EES19_EEDaS14_S15_EUlS14_E_NS1_11comp_targetILNS1_3genE2ELNS1_11target_archE906ELNS1_3gpuE6ELNS1_3repE0EEENS1_30default_config_static_selectorELNS0_4arch9wavefront6targetE1EEEvT1_: ; @_ZN7rocprim17ROCPRIM_400000_NS6detail17trampoline_kernelINS0_14default_configENS1_25partition_config_selectorILNS1_17partition_subalgoE0EyNS0_10empty_typeEbEEZZNS1_14partition_implILS5_0ELb0ES3_jN6thrust23THRUST_200600_302600_NS6detail15normal_iteratorINSA_10device_ptrIyEEEEPS6_SG_NS0_5tupleIJNSA_16discard_iteratorINSA_11use_defaultEEESF_EEENSH_IJSG_SG_EEES6_PlJ7is_evenIyEEEE10hipError_tPvRmT3_T4_T5_T6_T7_T9_mT8_P12ihipStream_tbDpT10_ENKUlT_T0_E_clISt17integral_constantIbLb1EES19_EEDaS14_S15_EUlS14_E_NS1_11comp_targetILNS1_3genE2ELNS1_11target_archE906ELNS1_3gpuE6ELNS1_3repE0EEENS1_30default_config_static_selectorELNS0_4arch9wavefront6targetE1EEEvT1_
; %bb.0:
	.section	.rodata,"a",@progbits
	.p2align	6, 0x0
	.amdhsa_kernel _ZN7rocprim17ROCPRIM_400000_NS6detail17trampoline_kernelINS0_14default_configENS1_25partition_config_selectorILNS1_17partition_subalgoE0EyNS0_10empty_typeEbEEZZNS1_14partition_implILS5_0ELb0ES3_jN6thrust23THRUST_200600_302600_NS6detail15normal_iteratorINSA_10device_ptrIyEEEEPS6_SG_NS0_5tupleIJNSA_16discard_iteratorINSA_11use_defaultEEESF_EEENSH_IJSG_SG_EEES6_PlJ7is_evenIyEEEE10hipError_tPvRmT3_T4_T5_T6_T7_T9_mT8_P12ihipStream_tbDpT10_ENKUlT_T0_E_clISt17integral_constantIbLb1EES19_EEDaS14_S15_EUlS14_E_NS1_11comp_targetILNS1_3genE2ELNS1_11target_archE906ELNS1_3gpuE6ELNS1_3repE0EEENS1_30default_config_static_selectorELNS0_4arch9wavefront6targetE1EEEvT1_
		.amdhsa_group_segment_fixed_size 0
		.amdhsa_private_segment_fixed_size 0
		.amdhsa_kernarg_size 144
		.amdhsa_user_sgpr_count 6
		.amdhsa_user_sgpr_private_segment_buffer 1
		.amdhsa_user_sgpr_dispatch_ptr 0
		.amdhsa_user_sgpr_queue_ptr 0
		.amdhsa_user_sgpr_kernarg_segment_ptr 1
		.amdhsa_user_sgpr_dispatch_id 0
		.amdhsa_user_sgpr_flat_scratch_init 0
		.amdhsa_user_sgpr_kernarg_preload_length 0
		.amdhsa_user_sgpr_kernarg_preload_offset 0
		.amdhsa_user_sgpr_private_segment_size 0
		.amdhsa_uses_dynamic_stack 0
		.amdhsa_system_sgpr_private_segment_wavefront_offset 0
		.amdhsa_system_sgpr_workgroup_id_x 1
		.amdhsa_system_sgpr_workgroup_id_y 0
		.amdhsa_system_sgpr_workgroup_id_z 0
		.amdhsa_system_sgpr_workgroup_info 0
		.amdhsa_system_vgpr_workitem_id 0
		.amdhsa_next_free_vgpr 1
		.amdhsa_next_free_sgpr 0
		.amdhsa_accum_offset 4
		.amdhsa_reserve_vcc 0
		.amdhsa_reserve_flat_scratch 0
		.amdhsa_float_round_mode_32 0
		.amdhsa_float_round_mode_16_64 0
		.amdhsa_float_denorm_mode_32 3
		.amdhsa_float_denorm_mode_16_64 3
		.amdhsa_dx10_clamp 1
		.amdhsa_ieee_mode 1
		.amdhsa_fp16_overflow 0
		.amdhsa_tg_split 0
		.amdhsa_exception_fp_ieee_invalid_op 0
		.amdhsa_exception_fp_denorm_src 0
		.amdhsa_exception_fp_ieee_div_zero 0
		.amdhsa_exception_fp_ieee_overflow 0
		.amdhsa_exception_fp_ieee_underflow 0
		.amdhsa_exception_fp_ieee_inexact 0
		.amdhsa_exception_int_div_zero 0
	.end_amdhsa_kernel
	.section	.text._ZN7rocprim17ROCPRIM_400000_NS6detail17trampoline_kernelINS0_14default_configENS1_25partition_config_selectorILNS1_17partition_subalgoE0EyNS0_10empty_typeEbEEZZNS1_14partition_implILS5_0ELb0ES3_jN6thrust23THRUST_200600_302600_NS6detail15normal_iteratorINSA_10device_ptrIyEEEEPS6_SG_NS0_5tupleIJNSA_16discard_iteratorINSA_11use_defaultEEESF_EEENSH_IJSG_SG_EEES6_PlJ7is_evenIyEEEE10hipError_tPvRmT3_T4_T5_T6_T7_T9_mT8_P12ihipStream_tbDpT10_ENKUlT_T0_E_clISt17integral_constantIbLb1EES19_EEDaS14_S15_EUlS14_E_NS1_11comp_targetILNS1_3genE2ELNS1_11target_archE906ELNS1_3gpuE6ELNS1_3repE0EEENS1_30default_config_static_selectorELNS0_4arch9wavefront6targetE1EEEvT1_,"axG",@progbits,_ZN7rocprim17ROCPRIM_400000_NS6detail17trampoline_kernelINS0_14default_configENS1_25partition_config_selectorILNS1_17partition_subalgoE0EyNS0_10empty_typeEbEEZZNS1_14partition_implILS5_0ELb0ES3_jN6thrust23THRUST_200600_302600_NS6detail15normal_iteratorINSA_10device_ptrIyEEEEPS6_SG_NS0_5tupleIJNSA_16discard_iteratorINSA_11use_defaultEEESF_EEENSH_IJSG_SG_EEES6_PlJ7is_evenIyEEEE10hipError_tPvRmT3_T4_T5_T6_T7_T9_mT8_P12ihipStream_tbDpT10_ENKUlT_T0_E_clISt17integral_constantIbLb1EES19_EEDaS14_S15_EUlS14_E_NS1_11comp_targetILNS1_3genE2ELNS1_11target_archE906ELNS1_3gpuE6ELNS1_3repE0EEENS1_30default_config_static_selectorELNS0_4arch9wavefront6targetE1EEEvT1_,comdat
.Lfunc_end2375:
	.size	_ZN7rocprim17ROCPRIM_400000_NS6detail17trampoline_kernelINS0_14default_configENS1_25partition_config_selectorILNS1_17partition_subalgoE0EyNS0_10empty_typeEbEEZZNS1_14partition_implILS5_0ELb0ES3_jN6thrust23THRUST_200600_302600_NS6detail15normal_iteratorINSA_10device_ptrIyEEEEPS6_SG_NS0_5tupleIJNSA_16discard_iteratorINSA_11use_defaultEEESF_EEENSH_IJSG_SG_EEES6_PlJ7is_evenIyEEEE10hipError_tPvRmT3_T4_T5_T6_T7_T9_mT8_P12ihipStream_tbDpT10_ENKUlT_T0_E_clISt17integral_constantIbLb1EES19_EEDaS14_S15_EUlS14_E_NS1_11comp_targetILNS1_3genE2ELNS1_11target_archE906ELNS1_3gpuE6ELNS1_3repE0EEENS1_30default_config_static_selectorELNS0_4arch9wavefront6targetE1EEEvT1_, .Lfunc_end2375-_ZN7rocprim17ROCPRIM_400000_NS6detail17trampoline_kernelINS0_14default_configENS1_25partition_config_selectorILNS1_17partition_subalgoE0EyNS0_10empty_typeEbEEZZNS1_14partition_implILS5_0ELb0ES3_jN6thrust23THRUST_200600_302600_NS6detail15normal_iteratorINSA_10device_ptrIyEEEEPS6_SG_NS0_5tupleIJNSA_16discard_iteratorINSA_11use_defaultEEESF_EEENSH_IJSG_SG_EEES6_PlJ7is_evenIyEEEE10hipError_tPvRmT3_T4_T5_T6_T7_T9_mT8_P12ihipStream_tbDpT10_ENKUlT_T0_E_clISt17integral_constantIbLb1EES19_EEDaS14_S15_EUlS14_E_NS1_11comp_targetILNS1_3genE2ELNS1_11target_archE906ELNS1_3gpuE6ELNS1_3repE0EEENS1_30default_config_static_selectorELNS0_4arch9wavefront6targetE1EEEvT1_
                                        ; -- End function
	.section	.AMDGPU.csdata,"",@progbits
; Kernel info:
; codeLenInByte = 0
; NumSgprs: 4
; NumVgprs: 0
; NumAgprs: 0
; TotalNumVgprs: 0
; ScratchSize: 0
; MemoryBound: 0
; FloatMode: 240
; IeeeMode: 1
; LDSByteSize: 0 bytes/workgroup (compile time only)
; SGPRBlocks: 0
; VGPRBlocks: 0
; NumSGPRsForWavesPerEU: 4
; NumVGPRsForWavesPerEU: 1
; AccumOffset: 4
; Occupancy: 8
; WaveLimiterHint : 0
; COMPUTE_PGM_RSRC2:SCRATCH_EN: 0
; COMPUTE_PGM_RSRC2:USER_SGPR: 6
; COMPUTE_PGM_RSRC2:TRAP_HANDLER: 0
; COMPUTE_PGM_RSRC2:TGID_X_EN: 1
; COMPUTE_PGM_RSRC2:TGID_Y_EN: 0
; COMPUTE_PGM_RSRC2:TGID_Z_EN: 0
; COMPUTE_PGM_RSRC2:TIDIG_COMP_CNT: 0
; COMPUTE_PGM_RSRC3_GFX90A:ACCUM_OFFSET: 0
; COMPUTE_PGM_RSRC3_GFX90A:TG_SPLIT: 0
	.section	.text._ZN7rocprim17ROCPRIM_400000_NS6detail17trampoline_kernelINS0_14default_configENS1_25partition_config_selectorILNS1_17partition_subalgoE0EyNS0_10empty_typeEbEEZZNS1_14partition_implILS5_0ELb0ES3_jN6thrust23THRUST_200600_302600_NS6detail15normal_iteratorINSA_10device_ptrIyEEEEPS6_SG_NS0_5tupleIJNSA_16discard_iteratorINSA_11use_defaultEEESF_EEENSH_IJSG_SG_EEES6_PlJ7is_evenIyEEEE10hipError_tPvRmT3_T4_T5_T6_T7_T9_mT8_P12ihipStream_tbDpT10_ENKUlT_T0_E_clISt17integral_constantIbLb1EES19_EEDaS14_S15_EUlS14_E_NS1_11comp_targetILNS1_3genE10ELNS1_11target_archE1200ELNS1_3gpuE4ELNS1_3repE0EEENS1_30default_config_static_selectorELNS0_4arch9wavefront6targetE1EEEvT1_,"axG",@progbits,_ZN7rocprim17ROCPRIM_400000_NS6detail17trampoline_kernelINS0_14default_configENS1_25partition_config_selectorILNS1_17partition_subalgoE0EyNS0_10empty_typeEbEEZZNS1_14partition_implILS5_0ELb0ES3_jN6thrust23THRUST_200600_302600_NS6detail15normal_iteratorINSA_10device_ptrIyEEEEPS6_SG_NS0_5tupleIJNSA_16discard_iteratorINSA_11use_defaultEEESF_EEENSH_IJSG_SG_EEES6_PlJ7is_evenIyEEEE10hipError_tPvRmT3_T4_T5_T6_T7_T9_mT8_P12ihipStream_tbDpT10_ENKUlT_T0_E_clISt17integral_constantIbLb1EES19_EEDaS14_S15_EUlS14_E_NS1_11comp_targetILNS1_3genE10ELNS1_11target_archE1200ELNS1_3gpuE4ELNS1_3repE0EEENS1_30default_config_static_selectorELNS0_4arch9wavefront6targetE1EEEvT1_,comdat
	.protected	_ZN7rocprim17ROCPRIM_400000_NS6detail17trampoline_kernelINS0_14default_configENS1_25partition_config_selectorILNS1_17partition_subalgoE0EyNS0_10empty_typeEbEEZZNS1_14partition_implILS5_0ELb0ES3_jN6thrust23THRUST_200600_302600_NS6detail15normal_iteratorINSA_10device_ptrIyEEEEPS6_SG_NS0_5tupleIJNSA_16discard_iteratorINSA_11use_defaultEEESF_EEENSH_IJSG_SG_EEES6_PlJ7is_evenIyEEEE10hipError_tPvRmT3_T4_T5_T6_T7_T9_mT8_P12ihipStream_tbDpT10_ENKUlT_T0_E_clISt17integral_constantIbLb1EES19_EEDaS14_S15_EUlS14_E_NS1_11comp_targetILNS1_3genE10ELNS1_11target_archE1200ELNS1_3gpuE4ELNS1_3repE0EEENS1_30default_config_static_selectorELNS0_4arch9wavefront6targetE1EEEvT1_ ; -- Begin function _ZN7rocprim17ROCPRIM_400000_NS6detail17trampoline_kernelINS0_14default_configENS1_25partition_config_selectorILNS1_17partition_subalgoE0EyNS0_10empty_typeEbEEZZNS1_14partition_implILS5_0ELb0ES3_jN6thrust23THRUST_200600_302600_NS6detail15normal_iteratorINSA_10device_ptrIyEEEEPS6_SG_NS0_5tupleIJNSA_16discard_iteratorINSA_11use_defaultEEESF_EEENSH_IJSG_SG_EEES6_PlJ7is_evenIyEEEE10hipError_tPvRmT3_T4_T5_T6_T7_T9_mT8_P12ihipStream_tbDpT10_ENKUlT_T0_E_clISt17integral_constantIbLb1EES19_EEDaS14_S15_EUlS14_E_NS1_11comp_targetILNS1_3genE10ELNS1_11target_archE1200ELNS1_3gpuE4ELNS1_3repE0EEENS1_30default_config_static_selectorELNS0_4arch9wavefront6targetE1EEEvT1_
	.globl	_ZN7rocprim17ROCPRIM_400000_NS6detail17trampoline_kernelINS0_14default_configENS1_25partition_config_selectorILNS1_17partition_subalgoE0EyNS0_10empty_typeEbEEZZNS1_14partition_implILS5_0ELb0ES3_jN6thrust23THRUST_200600_302600_NS6detail15normal_iteratorINSA_10device_ptrIyEEEEPS6_SG_NS0_5tupleIJNSA_16discard_iteratorINSA_11use_defaultEEESF_EEENSH_IJSG_SG_EEES6_PlJ7is_evenIyEEEE10hipError_tPvRmT3_T4_T5_T6_T7_T9_mT8_P12ihipStream_tbDpT10_ENKUlT_T0_E_clISt17integral_constantIbLb1EES19_EEDaS14_S15_EUlS14_E_NS1_11comp_targetILNS1_3genE10ELNS1_11target_archE1200ELNS1_3gpuE4ELNS1_3repE0EEENS1_30default_config_static_selectorELNS0_4arch9wavefront6targetE1EEEvT1_
	.p2align	8
	.type	_ZN7rocprim17ROCPRIM_400000_NS6detail17trampoline_kernelINS0_14default_configENS1_25partition_config_selectorILNS1_17partition_subalgoE0EyNS0_10empty_typeEbEEZZNS1_14partition_implILS5_0ELb0ES3_jN6thrust23THRUST_200600_302600_NS6detail15normal_iteratorINSA_10device_ptrIyEEEEPS6_SG_NS0_5tupleIJNSA_16discard_iteratorINSA_11use_defaultEEESF_EEENSH_IJSG_SG_EEES6_PlJ7is_evenIyEEEE10hipError_tPvRmT3_T4_T5_T6_T7_T9_mT8_P12ihipStream_tbDpT10_ENKUlT_T0_E_clISt17integral_constantIbLb1EES19_EEDaS14_S15_EUlS14_E_NS1_11comp_targetILNS1_3genE10ELNS1_11target_archE1200ELNS1_3gpuE4ELNS1_3repE0EEENS1_30default_config_static_selectorELNS0_4arch9wavefront6targetE1EEEvT1_,@function
_ZN7rocprim17ROCPRIM_400000_NS6detail17trampoline_kernelINS0_14default_configENS1_25partition_config_selectorILNS1_17partition_subalgoE0EyNS0_10empty_typeEbEEZZNS1_14partition_implILS5_0ELb0ES3_jN6thrust23THRUST_200600_302600_NS6detail15normal_iteratorINSA_10device_ptrIyEEEEPS6_SG_NS0_5tupleIJNSA_16discard_iteratorINSA_11use_defaultEEESF_EEENSH_IJSG_SG_EEES6_PlJ7is_evenIyEEEE10hipError_tPvRmT3_T4_T5_T6_T7_T9_mT8_P12ihipStream_tbDpT10_ENKUlT_T0_E_clISt17integral_constantIbLb1EES19_EEDaS14_S15_EUlS14_E_NS1_11comp_targetILNS1_3genE10ELNS1_11target_archE1200ELNS1_3gpuE4ELNS1_3repE0EEENS1_30default_config_static_selectorELNS0_4arch9wavefront6targetE1EEEvT1_: ; @_ZN7rocprim17ROCPRIM_400000_NS6detail17trampoline_kernelINS0_14default_configENS1_25partition_config_selectorILNS1_17partition_subalgoE0EyNS0_10empty_typeEbEEZZNS1_14partition_implILS5_0ELb0ES3_jN6thrust23THRUST_200600_302600_NS6detail15normal_iteratorINSA_10device_ptrIyEEEEPS6_SG_NS0_5tupleIJNSA_16discard_iteratorINSA_11use_defaultEEESF_EEENSH_IJSG_SG_EEES6_PlJ7is_evenIyEEEE10hipError_tPvRmT3_T4_T5_T6_T7_T9_mT8_P12ihipStream_tbDpT10_ENKUlT_T0_E_clISt17integral_constantIbLb1EES19_EEDaS14_S15_EUlS14_E_NS1_11comp_targetILNS1_3genE10ELNS1_11target_archE1200ELNS1_3gpuE4ELNS1_3repE0EEENS1_30default_config_static_selectorELNS0_4arch9wavefront6targetE1EEEvT1_
; %bb.0:
	.section	.rodata,"a",@progbits
	.p2align	6, 0x0
	.amdhsa_kernel _ZN7rocprim17ROCPRIM_400000_NS6detail17trampoline_kernelINS0_14default_configENS1_25partition_config_selectorILNS1_17partition_subalgoE0EyNS0_10empty_typeEbEEZZNS1_14partition_implILS5_0ELb0ES3_jN6thrust23THRUST_200600_302600_NS6detail15normal_iteratorINSA_10device_ptrIyEEEEPS6_SG_NS0_5tupleIJNSA_16discard_iteratorINSA_11use_defaultEEESF_EEENSH_IJSG_SG_EEES6_PlJ7is_evenIyEEEE10hipError_tPvRmT3_T4_T5_T6_T7_T9_mT8_P12ihipStream_tbDpT10_ENKUlT_T0_E_clISt17integral_constantIbLb1EES19_EEDaS14_S15_EUlS14_E_NS1_11comp_targetILNS1_3genE10ELNS1_11target_archE1200ELNS1_3gpuE4ELNS1_3repE0EEENS1_30default_config_static_selectorELNS0_4arch9wavefront6targetE1EEEvT1_
		.amdhsa_group_segment_fixed_size 0
		.amdhsa_private_segment_fixed_size 0
		.amdhsa_kernarg_size 144
		.amdhsa_user_sgpr_count 6
		.amdhsa_user_sgpr_private_segment_buffer 1
		.amdhsa_user_sgpr_dispatch_ptr 0
		.amdhsa_user_sgpr_queue_ptr 0
		.amdhsa_user_sgpr_kernarg_segment_ptr 1
		.amdhsa_user_sgpr_dispatch_id 0
		.amdhsa_user_sgpr_flat_scratch_init 0
		.amdhsa_user_sgpr_kernarg_preload_length 0
		.amdhsa_user_sgpr_kernarg_preload_offset 0
		.amdhsa_user_sgpr_private_segment_size 0
		.amdhsa_uses_dynamic_stack 0
		.amdhsa_system_sgpr_private_segment_wavefront_offset 0
		.amdhsa_system_sgpr_workgroup_id_x 1
		.amdhsa_system_sgpr_workgroup_id_y 0
		.amdhsa_system_sgpr_workgroup_id_z 0
		.amdhsa_system_sgpr_workgroup_info 0
		.amdhsa_system_vgpr_workitem_id 0
		.amdhsa_next_free_vgpr 1
		.amdhsa_next_free_sgpr 0
		.amdhsa_accum_offset 4
		.amdhsa_reserve_vcc 0
		.amdhsa_reserve_flat_scratch 0
		.amdhsa_float_round_mode_32 0
		.amdhsa_float_round_mode_16_64 0
		.amdhsa_float_denorm_mode_32 3
		.amdhsa_float_denorm_mode_16_64 3
		.amdhsa_dx10_clamp 1
		.amdhsa_ieee_mode 1
		.amdhsa_fp16_overflow 0
		.amdhsa_tg_split 0
		.amdhsa_exception_fp_ieee_invalid_op 0
		.amdhsa_exception_fp_denorm_src 0
		.amdhsa_exception_fp_ieee_div_zero 0
		.amdhsa_exception_fp_ieee_overflow 0
		.amdhsa_exception_fp_ieee_underflow 0
		.amdhsa_exception_fp_ieee_inexact 0
		.amdhsa_exception_int_div_zero 0
	.end_amdhsa_kernel
	.section	.text._ZN7rocprim17ROCPRIM_400000_NS6detail17trampoline_kernelINS0_14default_configENS1_25partition_config_selectorILNS1_17partition_subalgoE0EyNS0_10empty_typeEbEEZZNS1_14partition_implILS5_0ELb0ES3_jN6thrust23THRUST_200600_302600_NS6detail15normal_iteratorINSA_10device_ptrIyEEEEPS6_SG_NS0_5tupleIJNSA_16discard_iteratorINSA_11use_defaultEEESF_EEENSH_IJSG_SG_EEES6_PlJ7is_evenIyEEEE10hipError_tPvRmT3_T4_T5_T6_T7_T9_mT8_P12ihipStream_tbDpT10_ENKUlT_T0_E_clISt17integral_constantIbLb1EES19_EEDaS14_S15_EUlS14_E_NS1_11comp_targetILNS1_3genE10ELNS1_11target_archE1200ELNS1_3gpuE4ELNS1_3repE0EEENS1_30default_config_static_selectorELNS0_4arch9wavefront6targetE1EEEvT1_,"axG",@progbits,_ZN7rocprim17ROCPRIM_400000_NS6detail17trampoline_kernelINS0_14default_configENS1_25partition_config_selectorILNS1_17partition_subalgoE0EyNS0_10empty_typeEbEEZZNS1_14partition_implILS5_0ELb0ES3_jN6thrust23THRUST_200600_302600_NS6detail15normal_iteratorINSA_10device_ptrIyEEEEPS6_SG_NS0_5tupleIJNSA_16discard_iteratorINSA_11use_defaultEEESF_EEENSH_IJSG_SG_EEES6_PlJ7is_evenIyEEEE10hipError_tPvRmT3_T4_T5_T6_T7_T9_mT8_P12ihipStream_tbDpT10_ENKUlT_T0_E_clISt17integral_constantIbLb1EES19_EEDaS14_S15_EUlS14_E_NS1_11comp_targetILNS1_3genE10ELNS1_11target_archE1200ELNS1_3gpuE4ELNS1_3repE0EEENS1_30default_config_static_selectorELNS0_4arch9wavefront6targetE1EEEvT1_,comdat
.Lfunc_end2376:
	.size	_ZN7rocprim17ROCPRIM_400000_NS6detail17trampoline_kernelINS0_14default_configENS1_25partition_config_selectorILNS1_17partition_subalgoE0EyNS0_10empty_typeEbEEZZNS1_14partition_implILS5_0ELb0ES3_jN6thrust23THRUST_200600_302600_NS6detail15normal_iteratorINSA_10device_ptrIyEEEEPS6_SG_NS0_5tupleIJNSA_16discard_iteratorINSA_11use_defaultEEESF_EEENSH_IJSG_SG_EEES6_PlJ7is_evenIyEEEE10hipError_tPvRmT3_T4_T5_T6_T7_T9_mT8_P12ihipStream_tbDpT10_ENKUlT_T0_E_clISt17integral_constantIbLb1EES19_EEDaS14_S15_EUlS14_E_NS1_11comp_targetILNS1_3genE10ELNS1_11target_archE1200ELNS1_3gpuE4ELNS1_3repE0EEENS1_30default_config_static_selectorELNS0_4arch9wavefront6targetE1EEEvT1_, .Lfunc_end2376-_ZN7rocprim17ROCPRIM_400000_NS6detail17trampoline_kernelINS0_14default_configENS1_25partition_config_selectorILNS1_17partition_subalgoE0EyNS0_10empty_typeEbEEZZNS1_14partition_implILS5_0ELb0ES3_jN6thrust23THRUST_200600_302600_NS6detail15normal_iteratorINSA_10device_ptrIyEEEEPS6_SG_NS0_5tupleIJNSA_16discard_iteratorINSA_11use_defaultEEESF_EEENSH_IJSG_SG_EEES6_PlJ7is_evenIyEEEE10hipError_tPvRmT3_T4_T5_T6_T7_T9_mT8_P12ihipStream_tbDpT10_ENKUlT_T0_E_clISt17integral_constantIbLb1EES19_EEDaS14_S15_EUlS14_E_NS1_11comp_targetILNS1_3genE10ELNS1_11target_archE1200ELNS1_3gpuE4ELNS1_3repE0EEENS1_30default_config_static_selectorELNS0_4arch9wavefront6targetE1EEEvT1_
                                        ; -- End function
	.section	.AMDGPU.csdata,"",@progbits
; Kernel info:
; codeLenInByte = 0
; NumSgprs: 4
; NumVgprs: 0
; NumAgprs: 0
; TotalNumVgprs: 0
; ScratchSize: 0
; MemoryBound: 0
; FloatMode: 240
; IeeeMode: 1
; LDSByteSize: 0 bytes/workgroup (compile time only)
; SGPRBlocks: 0
; VGPRBlocks: 0
; NumSGPRsForWavesPerEU: 4
; NumVGPRsForWavesPerEU: 1
; AccumOffset: 4
; Occupancy: 8
; WaveLimiterHint : 0
; COMPUTE_PGM_RSRC2:SCRATCH_EN: 0
; COMPUTE_PGM_RSRC2:USER_SGPR: 6
; COMPUTE_PGM_RSRC2:TRAP_HANDLER: 0
; COMPUTE_PGM_RSRC2:TGID_X_EN: 1
; COMPUTE_PGM_RSRC2:TGID_Y_EN: 0
; COMPUTE_PGM_RSRC2:TGID_Z_EN: 0
; COMPUTE_PGM_RSRC2:TIDIG_COMP_CNT: 0
; COMPUTE_PGM_RSRC3_GFX90A:ACCUM_OFFSET: 0
; COMPUTE_PGM_RSRC3_GFX90A:TG_SPLIT: 0
	.section	.text._ZN7rocprim17ROCPRIM_400000_NS6detail17trampoline_kernelINS0_14default_configENS1_25partition_config_selectorILNS1_17partition_subalgoE0EyNS0_10empty_typeEbEEZZNS1_14partition_implILS5_0ELb0ES3_jN6thrust23THRUST_200600_302600_NS6detail15normal_iteratorINSA_10device_ptrIyEEEEPS6_SG_NS0_5tupleIJNSA_16discard_iteratorINSA_11use_defaultEEESF_EEENSH_IJSG_SG_EEES6_PlJ7is_evenIyEEEE10hipError_tPvRmT3_T4_T5_T6_T7_T9_mT8_P12ihipStream_tbDpT10_ENKUlT_T0_E_clISt17integral_constantIbLb1EES19_EEDaS14_S15_EUlS14_E_NS1_11comp_targetILNS1_3genE9ELNS1_11target_archE1100ELNS1_3gpuE3ELNS1_3repE0EEENS1_30default_config_static_selectorELNS0_4arch9wavefront6targetE1EEEvT1_,"axG",@progbits,_ZN7rocprim17ROCPRIM_400000_NS6detail17trampoline_kernelINS0_14default_configENS1_25partition_config_selectorILNS1_17partition_subalgoE0EyNS0_10empty_typeEbEEZZNS1_14partition_implILS5_0ELb0ES3_jN6thrust23THRUST_200600_302600_NS6detail15normal_iteratorINSA_10device_ptrIyEEEEPS6_SG_NS0_5tupleIJNSA_16discard_iteratorINSA_11use_defaultEEESF_EEENSH_IJSG_SG_EEES6_PlJ7is_evenIyEEEE10hipError_tPvRmT3_T4_T5_T6_T7_T9_mT8_P12ihipStream_tbDpT10_ENKUlT_T0_E_clISt17integral_constantIbLb1EES19_EEDaS14_S15_EUlS14_E_NS1_11comp_targetILNS1_3genE9ELNS1_11target_archE1100ELNS1_3gpuE3ELNS1_3repE0EEENS1_30default_config_static_selectorELNS0_4arch9wavefront6targetE1EEEvT1_,comdat
	.protected	_ZN7rocprim17ROCPRIM_400000_NS6detail17trampoline_kernelINS0_14default_configENS1_25partition_config_selectorILNS1_17partition_subalgoE0EyNS0_10empty_typeEbEEZZNS1_14partition_implILS5_0ELb0ES3_jN6thrust23THRUST_200600_302600_NS6detail15normal_iteratorINSA_10device_ptrIyEEEEPS6_SG_NS0_5tupleIJNSA_16discard_iteratorINSA_11use_defaultEEESF_EEENSH_IJSG_SG_EEES6_PlJ7is_evenIyEEEE10hipError_tPvRmT3_T4_T5_T6_T7_T9_mT8_P12ihipStream_tbDpT10_ENKUlT_T0_E_clISt17integral_constantIbLb1EES19_EEDaS14_S15_EUlS14_E_NS1_11comp_targetILNS1_3genE9ELNS1_11target_archE1100ELNS1_3gpuE3ELNS1_3repE0EEENS1_30default_config_static_selectorELNS0_4arch9wavefront6targetE1EEEvT1_ ; -- Begin function _ZN7rocprim17ROCPRIM_400000_NS6detail17trampoline_kernelINS0_14default_configENS1_25partition_config_selectorILNS1_17partition_subalgoE0EyNS0_10empty_typeEbEEZZNS1_14partition_implILS5_0ELb0ES3_jN6thrust23THRUST_200600_302600_NS6detail15normal_iteratorINSA_10device_ptrIyEEEEPS6_SG_NS0_5tupleIJNSA_16discard_iteratorINSA_11use_defaultEEESF_EEENSH_IJSG_SG_EEES6_PlJ7is_evenIyEEEE10hipError_tPvRmT3_T4_T5_T6_T7_T9_mT8_P12ihipStream_tbDpT10_ENKUlT_T0_E_clISt17integral_constantIbLb1EES19_EEDaS14_S15_EUlS14_E_NS1_11comp_targetILNS1_3genE9ELNS1_11target_archE1100ELNS1_3gpuE3ELNS1_3repE0EEENS1_30default_config_static_selectorELNS0_4arch9wavefront6targetE1EEEvT1_
	.globl	_ZN7rocprim17ROCPRIM_400000_NS6detail17trampoline_kernelINS0_14default_configENS1_25partition_config_selectorILNS1_17partition_subalgoE0EyNS0_10empty_typeEbEEZZNS1_14partition_implILS5_0ELb0ES3_jN6thrust23THRUST_200600_302600_NS6detail15normal_iteratorINSA_10device_ptrIyEEEEPS6_SG_NS0_5tupleIJNSA_16discard_iteratorINSA_11use_defaultEEESF_EEENSH_IJSG_SG_EEES6_PlJ7is_evenIyEEEE10hipError_tPvRmT3_T4_T5_T6_T7_T9_mT8_P12ihipStream_tbDpT10_ENKUlT_T0_E_clISt17integral_constantIbLb1EES19_EEDaS14_S15_EUlS14_E_NS1_11comp_targetILNS1_3genE9ELNS1_11target_archE1100ELNS1_3gpuE3ELNS1_3repE0EEENS1_30default_config_static_selectorELNS0_4arch9wavefront6targetE1EEEvT1_
	.p2align	8
	.type	_ZN7rocprim17ROCPRIM_400000_NS6detail17trampoline_kernelINS0_14default_configENS1_25partition_config_selectorILNS1_17partition_subalgoE0EyNS0_10empty_typeEbEEZZNS1_14partition_implILS5_0ELb0ES3_jN6thrust23THRUST_200600_302600_NS6detail15normal_iteratorINSA_10device_ptrIyEEEEPS6_SG_NS0_5tupleIJNSA_16discard_iteratorINSA_11use_defaultEEESF_EEENSH_IJSG_SG_EEES6_PlJ7is_evenIyEEEE10hipError_tPvRmT3_T4_T5_T6_T7_T9_mT8_P12ihipStream_tbDpT10_ENKUlT_T0_E_clISt17integral_constantIbLb1EES19_EEDaS14_S15_EUlS14_E_NS1_11comp_targetILNS1_3genE9ELNS1_11target_archE1100ELNS1_3gpuE3ELNS1_3repE0EEENS1_30default_config_static_selectorELNS0_4arch9wavefront6targetE1EEEvT1_,@function
_ZN7rocprim17ROCPRIM_400000_NS6detail17trampoline_kernelINS0_14default_configENS1_25partition_config_selectorILNS1_17partition_subalgoE0EyNS0_10empty_typeEbEEZZNS1_14partition_implILS5_0ELb0ES3_jN6thrust23THRUST_200600_302600_NS6detail15normal_iteratorINSA_10device_ptrIyEEEEPS6_SG_NS0_5tupleIJNSA_16discard_iteratorINSA_11use_defaultEEESF_EEENSH_IJSG_SG_EEES6_PlJ7is_evenIyEEEE10hipError_tPvRmT3_T4_T5_T6_T7_T9_mT8_P12ihipStream_tbDpT10_ENKUlT_T0_E_clISt17integral_constantIbLb1EES19_EEDaS14_S15_EUlS14_E_NS1_11comp_targetILNS1_3genE9ELNS1_11target_archE1100ELNS1_3gpuE3ELNS1_3repE0EEENS1_30default_config_static_selectorELNS0_4arch9wavefront6targetE1EEEvT1_: ; @_ZN7rocprim17ROCPRIM_400000_NS6detail17trampoline_kernelINS0_14default_configENS1_25partition_config_selectorILNS1_17partition_subalgoE0EyNS0_10empty_typeEbEEZZNS1_14partition_implILS5_0ELb0ES3_jN6thrust23THRUST_200600_302600_NS6detail15normal_iteratorINSA_10device_ptrIyEEEEPS6_SG_NS0_5tupleIJNSA_16discard_iteratorINSA_11use_defaultEEESF_EEENSH_IJSG_SG_EEES6_PlJ7is_evenIyEEEE10hipError_tPvRmT3_T4_T5_T6_T7_T9_mT8_P12ihipStream_tbDpT10_ENKUlT_T0_E_clISt17integral_constantIbLb1EES19_EEDaS14_S15_EUlS14_E_NS1_11comp_targetILNS1_3genE9ELNS1_11target_archE1100ELNS1_3gpuE3ELNS1_3repE0EEENS1_30default_config_static_selectorELNS0_4arch9wavefront6targetE1EEEvT1_
; %bb.0:
	.section	.rodata,"a",@progbits
	.p2align	6, 0x0
	.amdhsa_kernel _ZN7rocprim17ROCPRIM_400000_NS6detail17trampoline_kernelINS0_14default_configENS1_25partition_config_selectorILNS1_17partition_subalgoE0EyNS0_10empty_typeEbEEZZNS1_14partition_implILS5_0ELb0ES3_jN6thrust23THRUST_200600_302600_NS6detail15normal_iteratorINSA_10device_ptrIyEEEEPS6_SG_NS0_5tupleIJNSA_16discard_iteratorINSA_11use_defaultEEESF_EEENSH_IJSG_SG_EEES6_PlJ7is_evenIyEEEE10hipError_tPvRmT3_T4_T5_T6_T7_T9_mT8_P12ihipStream_tbDpT10_ENKUlT_T0_E_clISt17integral_constantIbLb1EES19_EEDaS14_S15_EUlS14_E_NS1_11comp_targetILNS1_3genE9ELNS1_11target_archE1100ELNS1_3gpuE3ELNS1_3repE0EEENS1_30default_config_static_selectorELNS0_4arch9wavefront6targetE1EEEvT1_
		.amdhsa_group_segment_fixed_size 0
		.amdhsa_private_segment_fixed_size 0
		.amdhsa_kernarg_size 144
		.amdhsa_user_sgpr_count 6
		.amdhsa_user_sgpr_private_segment_buffer 1
		.amdhsa_user_sgpr_dispatch_ptr 0
		.amdhsa_user_sgpr_queue_ptr 0
		.amdhsa_user_sgpr_kernarg_segment_ptr 1
		.amdhsa_user_sgpr_dispatch_id 0
		.amdhsa_user_sgpr_flat_scratch_init 0
		.amdhsa_user_sgpr_kernarg_preload_length 0
		.amdhsa_user_sgpr_kernarg_preload_offset 0
		.amdhsa_user_sgpr_private_segment_size 0
		.amdhsa_uses_dynamic_stack 0
		.amdhsa_system_sgpr_private_segment_wavefront_offset 0
		.amdhsa_system_sgpr_workgroup_id_x 1
		.amdhsa_system_sgpr_workgroup_id_y 0
		.amdhsa_system_sgpr_workgroup_id_z 0
		.amdhsa_system_sgpr_workgroup_info 0
		.amdhsa_system_vgpr_workitem_id 0
		.amdhsa_next_free_vgpr 1
		.amdhsa_next_free_sgpr 0
		.amdhsa_accum_offset 4
		.amdhsa_reserve_vcc 0
		.amdhsa_reserve_flat_scratch 0
		.amdhsa_float_round_mode_32 0
		.amdhsa_float_round_mode_16_64 0
		.amdhsa_float_denorm_mode_32 3
		.amdhsa_float_denorm_mode_16_64 3
		.amdhsa_dx10_clamp 1
		.amdhsa_ieee_mode 1
		.amdhsa_fp16_overflow 0
		.amdhsa_tg_split 0
		.amdhsa_exception_fp_ieee_invalid_op 0
		.amdhsa_exception_fp_denorm_src 0
		.amdhsa_exception_fp_ieee_div_zero 0
		.amdhsa_exception_fp_ieee_overflow 0
		.amdhsa_exception_fp_ieee_underflow 0
		.amdhsa_exception_fp_ieee_inexact 0
		.amdhsa_exception_int_div_zero 0
	.end_amdhsa_kernel
	.section	.text._ZN7rocprim17ROCPRIM_400000_NS6detail17trampoline_kernelINS0_14default_configENS1_25partition_config_selectorILNS1_17partition_subalgoE0EyNS0_10empty_typeEbEEZZNS1_14partition_implILS5_0ELb0ES3_jN6thrust23THRUST_200600_302600_NS6detail15normal_iteratorINSA_10device_ptrIyEEEEPS6_SG_NS0_5tupleIJNSA_16discard_iteratorINSA_11use_defaultEEESF_EEENSH_IJSG_SG_EEES6_PlJ7is_evenIyEEEE10hipError_tPvRmT3_T4_T5_T6_T7_T9_mT8_P12ihipStream_tbDpT10_ENKUlT_T0_E_clISt17integral_constantIbLb1EES19_EEDaS14_S15_EUlS14_E_NS1_11comp_targetILNS1_3genE9ELNS1_11target_archE1100ELNS1_3gpuE3ELNS1_3repE0EEENS1_30default_config_static_selectorELNS0_4arch9wavefront6targetE1EEEvT1_,"axG",@progbits,_ZN7rocprim17ROCPRIM_400000_NS6detail17trampoline_kernelINS0_14default_configENS1_25partition_config_selectorILNS1_17partition_subalgoE0EyNS0_10empty_typeEbEEZZNS1_14partition_implILS5_0ELb0ES3_jN6thrust23THRUST_200600_302600_NS6detail15normal_iteratorINSA_10device_ptrIyEEEEPS6_SG_NS0_5tupleIJNSA_16discard_iteratorINSA_11use_defaultEEESF_EEENSH_IJSG_SG_EEES6_PlJ7is_evenIyEEEE10hipError_tPvRmT3_T4_T5_T6_T7_T9_mT8_P12ihipStream_tbDpT10_ENKUlT_T0_E_clISt17integral_constantIbLb1EES19_EEDaS14_S15_EUlS14_E_NS1_11comp_targetILNS1_3genE9ELNS1_11target_archE1100ELNS1_3gpuE3ELNS1_3repE0EEENS1_30default_config_static_selectorELNS0_4arch9wavefront6targetE1EEEvT1_,comdat
.Lfunc_end2377:
	.size	_ZN7rocprim17ROCPRIM_400000_NS6detail17trampoline_kernelINS0_14default_configENS1_25partition_config_selectorILNS1_17partition_subalgoE0EyNS0_10empty_typeEbEEZZNS1_14partition_implILS5_0ELb0ES3_jN6thrust23THRUST_200600_302600_NS6detail15normal_iteratorINSA_10device_ptrIyEEEEPS6_SG_NS0_5tupleIJNSA_16discard_iteratorINSA_11use_defaultEEESF_EEENSH_IJSG_SG_EEES6_PlJ7is_evenIyEEEE10hipError_tPvRmT3_T4_T5_T6_T7_T9_mT8_P12ihipStream_tbDpT10_ENKUlT_T0_E_clISt17integral_constantIbLb1EES19_EEDaS14_S15_EUlS14_E_NS1_11comp_targetILNS1_3genE9ELNS1_11target_archE1100ELNS1_3gpuE3ELNS1_3repE0EEENS1_30default_config_static_selectorELNS0_4arch9wavefront6targetE1EEEvT1_, .Lfunc_end2377-_ZN7rocprim17ROCPRIM_400000_NS6detail17trampoline_kernelINS0_14default_configENS1_25partition_config_selectorILNS1_17partition_subalgoE0EyNS0_10empty_typeEbEEZZNS1_14partition_implILS5_0ELb0ES3_jN6thrust23THRUST_200600_302600_NS6detail15normal_iteratorINSA_10device_ptrIyEEEEPS6_SG_NS0_5tupleIJNSA_16discard_iteratorINSA_11use_defaultEEESF_EEENSH_IJSG_SG_EEES6_PlJ7is_evenIyEEEE10hipError_tPvRmT3_T4_T5_T6_T7_T9_mT8_P12ihipStream_tbDpT10_ENKUlT_T0_E_clISt17integral_constantIbLb1EES19_EEDaS14_S15_EUlS14_E_NS1_11comp_targetILNS1_3genE9ELNS1_11target_archE1100ELNS1_3gpuE3ELNS1_3repE0EEENS1_30default_config_static_selectorELNS0_4arch9wavefront6targetE1EEEvT1_
                                        ; -- End function
	.section	.AMDGPU.csdata,"",@progbits
; Kernel info:
; codeLenInByte = 0
; NumSgprs: 4
; NumVgprs: 0
; NumAgprs: 0
; TotalNumVgprs: 0
; ScratchSize: 0
; MemoryBound: 0
; FloatMode: 240
; IeeeMode: 1
; LDSByteSize: 0 bytes/workgroup (compile time only)
; SGPRBlocks: 0
; VGPRBlocks: 0
; NumSGPRsForWavesPerEU: 4
; NumVGPRsForWavesPerEU: 1
; AccumOffset: 4
; Occupancy: 8
; WaveLimiterHint : 0
; COMPUTE_PGM_RSRC2:SCRATCH_EN: 0
; COMPUTE_PGM_RSRC2:USER_SGPR: 6
; COMPUTE_PGM_RSRC2:TRAP_HANDLER: 0
; COMPUTE_PGM_RSRC2:TGID_X_EN: 1
; COMPUTE_PGM_RSRC2:TGID_Y_EN: 0
; COMPUTE_PGM_RSRC2:TGID_Z_EN: 0
; COMPUTE_PGM_RSRC2:TIDIG_COMP_CNT: 0
; COMPUTE_PGM_RSRC3_GFX90A:ACCUM_OFFSET: 0
; COMPUTE_PGM_RSRC3_GFX90A:TG_SPLIT: 0
	.section	.text._ZN7rocprim17ROCPRIM_400000_NS6detail17trampoline_kernelINS0_14default_configENS1_25partition_config_selectorILNS1_17partition_subalgoE0EyNS0_10empty_typeEbEEZZNS1_14partition_implILS5_0ELb0ES3_jN6thrust23THRUST_200600_302600_NS6detail15normal_iteratorINSA_10device_ptrIyEEEEPS6_SG_NS0_5tupleIJNSA_16discard_iteratorINSA_11use_defaultEEESF_EEENSH_IJSG_SG_EEES6_PlJ7is_evenIyEEEE10hipError_tPvRmT3_T4_T5_T6_T7_T9_mT8_P12ihipStream_tbDpT10_ENKUlT_T0_E_clISt17integral_constantIbLb1EES19_EEDaS14_S15_EUlS14_E_NS1_11comp_targetILNS1_3genE8ELNS1_11target_archE1030ELNS1_3gpuE2ELNS1_3repE0EEENS1_30default_config_static_selectorELNS0_4arch9wavefront6targetE1EEEvT1_,"axG",@progbits,_ZN7rocprim17ROCPRIM_400000_NS6detail17trampoline_kernelINS0_14default_configENS1_25partition_config_selectorILNS1_17partition_subalgoE0EyNS0_10empty_typeEbEEZZNS1_14partition_implILS5_0ELb0ES3_jN6thrust23THRUST_200600_302600_NS6detail15normal_iteratorINSA_10device_ptrIyEEEEPS6_SG_NS0_5tupleIJNSA_16discard_iteratorINSA_11use_defaultEEESF_EEENSH_IJSG_SG_EEES6_PlJ7is_evenIyEEEE10hipError_tPvRmT3_T4_T5_T6_T7_T9_mT8_P12ihipStream_tbDpT10_ENKUlT_T0_E_clISt17integral_constantIbLb1EES19_EEDaS14_S15_EUlS14_E_NS1_11comp_targetILNS1_3genE8ELNS1_11target_archE1030ELNS1_3gpuE2ELNS1_3repE0EEENS1_30default_config_static_selectorELNS0_4arch9wavefront6targetE1EEEvT1_,comdat
	.protected	_ZN7rocprim17ROCPRIM_400000_NS6detail17trampoline_kernelINS0_14default_configENS1_25partition_config_selectorILNS1_17partition_subalgoE0EyNS0_10empty_typeEbEEZZNS1_14partition_implILS5_0ELb0ES3_jN6thrust23THRUST_200600_302600_NS6detail15normal_iteratorINSA_10device_ptrIyEEEEPS6_SG_NS0_5tupleIJNSA_16discard_iteratorINSA_11use_defaultEEESF_EEENSH_IJSG_SG_EEES6_PlJ7is_evenIyEEEE10hipError_tPvRmT3_T4_T5_T6_T7_T9_mT8_P12ihipStream_tbDpT10_ENKUlT_T0_E_clISt17integral_constantIbLb1EES19_EEDaS14_S15_EUlS14_E_NS1_11comp_targetILNS1_3genE8ELNS1_11target_archE1030ELNS1_3gpuE2ELNS1_3repE0EEENS1_30default_config_static_selectorELNS0_4arch9wavefront6targetE1EEEvT1_ ; -- Begin function _ZN7rocprim17ROCPRIM_400000_NS6detail17trampoline_kernelINS0_14default_configENS1_25partition_config_selectorILNS1_17partition_subalgoE0EyNS0_10empty_typeEbEEZZNS1_14partition_implILS5_0ELb0ES3_jN6thrust23THRUST_200600_302600_NS6detail15normal_iteratorINSA_10device_ptrIyEEEEPS6_SG_NS0_5tupleIJNSA_16discard_iteratorINSA_11use_defaultEEESF_EEENSH_IJSG_SG_EEES6_PlJ7is_evenIyEEEE10hipError_tPvRmT3_T4_T5_T6_T7_T9_mT8_P12ihipStream_tbDpT10_ENKUlT_T0_E_clISt17integral_constantIbLb1EES19_EEDaS14_S15_EUlS14_E_NS1_11comp_targetILNS1_3genE8ELNS1_11target_archE1030ELNS1_3gpuE2ELNS1_3repE0EEENS1_30default_config_static_selectorELNS0_4arch9wavefront6targetE1EEEvT1_
	.globl	_ZN7rocprim17ROCPRIM_400000_NS6detail17trampoline_kernelINS0_14default_configENS1_25partition_config_selectorILNS1_17partition_subalgoE0EyNS0_10empty_typeEbEEZZNS1_14partition_implILS5_0ELb0ES3_jN6thrust23THRUST_200600_302600_NS6detail15normal_iteratorINSA_10device_ptrIyEEEEPS6_SG_NS0_5tupleIJNSA_16discard_iteratorINSA_11use_defaultEEESF_EEENSH_IJSG_SG_EEES6_PlJ7is_evenIyEEEE10hipError_tPvRmT3_T4_T5_T6_T7_T9_mT8_P12ihipStream_tbDpT10_ENKUlT_T0_E_clISt17integral_constantIbLb1EES19_EEDaS14_S15_EUlS14_E_NS1_11comp_targetILNS1_3genE8ELNS1_11target_archE1030ELNS1_3gpuE2ELNS1_3repE0EEENS1_30default_config_static_selectorELNS0_4arch9wavefront6targetE1EEEvT1_
	.p2align	8
	.type	_ZN7rocprim17ROCPRIM_400000_NS6detail17trampoline_kernelINS0_14default_configENS1_25partition_config_selectorILNS1_17partition_subalgoE0EyNS0_10empty_typeEbEEZZNS1_14partition_implILS5_0ELb0ES3_jN6thrust23THRUST_200600_302600_NS6detail15normal_iteratorINSA_10device_ptrIyEEEEPS6_SG_NS0_5tupleIJNSA_16discard_iteratorINSA_11use_defaultEEESF_EEENSH_IJSG_SG_EEES6_PlJ7is_evenIyEEEE10hipError_tPvRmT3_T4_T5_T6_T7_T9_mT8_P12ihipStream_tbDpT10_ENKUlT_T0_E_clISt17integral_constantIbLb1EES19_EEDaS14_S15_EUlS14_E_NS1_11comp_targetILNS1_3genE8ELNS1_11target_archE1030ELNS1_3gpuE2ELNS1_3repE0EEENS1_30default_config_static_selectorELNS0_4arch9wavefront6targetE1EEEvT1_,@function
_ZN7rocprim17ROCPRIM_400000_NS6detail17trampoline_kernelINS0_14default_configENS1_25partition_config_selectorILNS1_17partition_subalgoE0EyNS0_10empty_typeEbEEZZNS1_14partition_implILS5_0ELb0ES3_jN6thrust23THRUST_200600_302600_NS6detail15normal_iteratorINSA_10device_ptrIyEEEEPS6_SG_NS0_5tupleIJNSA_16discard_iteratorINSA_11use_defaultEEESF_EEENSH_IJSG_SG_EEES6_PlJ7is_evenIyEEEE10hipError_tPvRmT3_T4_T5_T6_T7_T9_mT8_P12ihipStream_tbDpT10_ENKUlT_T0_E_clISt17integral_constantIbLb1EES19_EEDaS14_S15_EUlS14_E_NS1_11comp_targetILNS1_3genE8ELNS1_11target_archE1030ELNS1_3gpuE2ELNS1_3repE0EEENS1_30default_config_static_selectorELNS0_4arch9wavefront6targetE1EEEvT1_: ; @_ZN7rocprim17ROCPRIM_400000_NS6detail17trampoline_kernelINS0_14default_configENS1_25partition_config_selectorILNS1_17partition_subalgoE0EyNS0_10empty_typeEbEEZZNS1_14partition_implILS5_0ELb0ES3_jN6thrust23THRUST_200600_302600_NS6detail15normal_iteratorINSA_10device_ptrIyEEEEPS6_SG_NS0_5tupleIJNSA_16discard_iteratorINSA_11use_defaultEEESF_EEENSH_IJSG_SG_EEES6_PlJ7is_evenIyEEEE10hipError_tPvRmT3_T4_T5_T6_T7_T9_mT8_P12ihipStream_tbDpT10_ENKUlT_T0_E_clISt17integral_constantIbLb1EES19_EEDaS14_S15_EUlS14_E_NS1_11comp_targetILNS1_3genE8ELNS1_11target_archE1030ELNS1_3gpuE2ELNS1_3repE0EEENS1_30default_config_static_selectorELNS0_4arch9wavefront6targetE1EEEvT1_
; %bb.0:
	.section	.rodata,"a",@progbits
	.p2align	6, 0x0
	.amdhsa_kernel _ZN7rocprim17ROCPRIM_400000_NS6detail17trampoline_kernelINS0_14default_configENS1_25partition_config_selectorILNS1_17partition_subalgoE0EyNS0_10empty_typeEbEEZZNS1_14partition_implILS5_0ELb0ES3_jN6thrust23THRUST_200600_302600_NS6detail15normal_iteratorINSA_10device_ptrIyEEEEPS6_SG_NS0_5tupleIJNSA_16discard_iteratorINSA_11use_defaultEEESF_EEENSH_IJSG_SG_EEES6_PlJ7is_evenIyEEEE10hipError_tPvRmT3_T4_T5_T6_T7_T9_mT8_P12ihipStream_tbDpT10_ENKUlT_T0_E_clISt17integral_constantIbLb1EES19_EEDaS14_S15_EUlS14_E_NS1_11comp_targetILNS1_3genE8ELNS1_11target_archE1030ELNS1_3gpuE2ELNS1_3repE0EEENS1_30default_config_static_selectorELNS0_4arch9wavefront6targetE1EEEvT1_
		.amdhsa_group_segment_fixed_size 0
		.amdhsa_private_segment_fixed_size 0
		.amdhsa_kernarg_size 144
		.amdhsa_user_sgpr_count 6
		.amdhsa_user_sgpr_private_segment_buffer 1
		.amdhsa_user_sgpr_dispatch_ptr 0
		.amdhsa_user_sgpr_queue_ptr 0
		.amdhsa_user_sgpr_kernarg_segment_ptr 1
		.amdhsa_user_sgpr_dispatch_id 0
		.amdhsa_user_sgpr_flat_scratch_init 0
		.amdhsa_user_sgpr_kernarg_preload_length 0
		.amdhsa_user_sgpr_kernarg_preload_offset 0
		.amdhsa_user_sgpr_private_segment_size 0
		.amdhsa_uses_dynamic_stack 0
		.amdhsa_system_sgpr_private_segment_wavefront_offset 0
		.amdhsa_system_sgpr_workgroup_id_x 1
		.amdhsa_system_sgpr_workgroup_id_y 0
		.amdhsa_system_sgpr_workgroup_id_z 0
		.amdhsa_system_sgpr_workgroup_info 0
		.amdhsa_system_vgpr_workitem_id 0
		.amdhsa_next_free_vgpr 1
		.amdhsa_next_free_sgpr 0
		.amdhsa_accum_offset 4
		.amdhsa_reserve_vcc 0
		.amdhsa_reserve_flat_scratch 0
		.amdhsa_float_round_mode_32 0
		.amdhsa_float_round_mode_16_64 0
		.amdhsa_float_denorm_mode_32 3
		.amdhsa_float_denorm_mode_16_64 3
		.amdhsa_dx10_clamp 1
		.amdhsa_ieee_mode 1
		.amdhsa_fp16_overflow 0
		.amdhsa_tg_split 0
		.amdhsa_exception_fp_ieee_invalid_op 0
		.amdhsa_exception_fp_denorm_src 0
		.amdhsa_exception_fp_ieee_div_zero 0
		.amdhsa_exception_fp_ieee_overflow 0
		.amdhsa_exception_fp_ieee_underflow 0
		.amdhsa_exception_fp_ieee_inexact 0
		.amdhsa_exception_int_div_zero 0
	.end_amdhsa_kernel
	.section	.text._ZN7rocprim17ROCPRIM_400000_NS6detail17trampoline_kernelINS0_14default_configENS1_25partition_config_selectorILNS1_17partition_subalgoE0EyNS0_10empty_typeEbEEZZNS1_14partition_implILS5_0ELb0ES3_jN6thrust23THRUST_200600_302600_NS6detail15normal_iteratorINSA_10device_ptrIyEEEEPS6_SG_NS0_5tupleIJNSA_16discard_iteratorINSA_11use_defaultEEESF_EEENSH_IJSG_SG_EEES6_PlJ7is_evenIyEEEE10hipError_tPvRmT3_T4_T5_T6_T7_T9_mT8_P12ihipStream_tbDpT10_ENKUlT_T0_E_clISt17integral_constantIbLb1EES19_EEDaS14_S15_EUlS14_E_NS1_11comp_targetILNS1_3genE8ELNS1_11target_archE1030ELNS1_3gpuE2ELNS1_3repE0EEENS1_30default_config_static_selectorELNS0_4arch9wavefront6targetE1EEEvT1_,"axG",@progbits,_ZN7rocprim17ROCPRIM_400000_NS6detail17trampoline_kernelINS0_14default_configENS1_25partition_config_selectorILNS1_17partition_subalgoE0EyNS0_10empty_typeEbEEZZNS1_14partition_implILS5_0ELb0ES3_jN6thrust23THRUST_200600_302600_NS6detail15normal_iteratorINSA_10device_ptrIyEEEEPS6_SG_NS0_5tupleIJNSA_16discard_iteratorINSA_11use_defaultEEESF_EEENSH_IJSG_SG_EEES6_PlJ7is_evenIyEEEE10hipError_tPvRmT3_T4_T5_T6_T7_T9_mT8_P12ihipStream_tbDpT10_ENKUlT_T0_E_clISt17integral_constantIbLb1EES19_EEDaS14_S15_EUlS14_E_NS1_11comp_targetILNS1_3genE8ELNS1_11target_archE1030ELNS1_3gpuE2ELNS1_3repE0EEENS1_30default_config_static_selectorELNS0_4arch9wavefront6targetE1EEEvT1_,comdat
.Lfunc_end2378:
	.size	_ZN7rocprim17ROCPRIM_400000_NS6detail17trampoline_kernelINS0_14default_configENS1_25partition_config_selectorILNS1_17partition_subalgoE0EyNS0_10empty_typeEbEEZZNS1_14partition_implILS5_0ELb0ES3_jN6thrust23THRUST_200600_302600_NS6detail15normal_iteratorINSA_10device_ptrIyEEEEPS6_SG_NS0_5tupleIJNSA_16discard_iteratorINSA_11use_defaultEEESF_EEENSH_IJSG_SG_EEES6_PlJ7is_evenIyEEEE10hipError_tPvRmT3_T4_T5_T6_T7_T9_mT8_P12ihipStream_tbDpT10_ENKUlT_T0_E_clISt17integral_constantIbLb1EES19_EEDaS14_S15_EUlS14_E_NS1_11comp_targetILNS1_3genE8ELNS1_11target_archE1030ELNS1_3gpuE2ELNS1_3repE0EEENS1_30default_config_static_selectorELNS0_4arch9wavefront6targetE1EEEvT1_, .Lfunc_end2378-_ZN7rocprim17ROCPRIM_400000_NS6detail17trampoline_kernelINS0_14default_configENS1_25partition_config_selectorILNS1_17partition_subalgoE0EyNS0_10empty_typeEbEEZZNS1_14partition_implILS5_0ELb0ES3_jN6thrust23THRUST_200600_302600_NS6detail15normal_iteratorINSA_10device_ptrIyEEEEPS6_SG_NS0_5tupleIJNSA_16discard_iteratorINSA_11use_defaultEEESF_EEENSH_IJSG_SG_EEES6_PlJ7is_evenIyEEEE10hipError_tPvRmT3_T4_T5_T6_T7_T9_mT8_P12ihipStream_tbDpT10_ENKUlT_T0_E_clISt17integral_constantIbLb1EES19_EEDaS14_S15_EUlS14_E_NS1_11comp_targetILNS1_3genE8ELNS1_11target_archE1030ELNS1_3gpuE2ELNS1_3repE0EEENS1_30default_config_static_selectorELNS0_4arch9wavefront6targetE1EEEvT1_
                                        ; -- End function
	.section	.AMDGPU.csdata,"",@progbits
; Kernel info:
; codeLenInByte = 0
; NumSgprs: 4
; NumVgprs: 0
; NumAgprs: 0
; TotalNumVgprs: 0
; ScratchSize: 0
; MemoryBound: 0
; FloatMode: 240
; IeeeMode: 1
; LDSByteSize: 0 bytes/workgroup (compile time only)
; SGPRBlocks: 0
; VGPRBlocks: 0
; NumSGPRsForWavesPerEU: 4
; NumVGPRsForWavesPerEU: 1
; AccumOffset: 4
; Occupancy: 8
; WaveLimiterHint : 0
; COMPUTE_PGM_RSRC2:SCRATCH_EN: 0
; COMPUTE_PGM_RSRC2:USER_SGPR: 6
; COMPUTE_PGM_RSRC2:TRAP_HANDLER: 0
; COMPUTE_PGM_RSRC2:TGID_X_EN: 1
; COMPUTE_PGM_RSRC2:TGID_Y_EN: 0
; COMPUTE_PGM_RSRC2:TGID_Z_EN: 0
; COMPUTE_PGM_RSRC2:TIDIG_COMP_CNT: 0
; COMPUTE_PGM_RSRC3_GFX90A:ACCUM_OFFSET: 0
; COMPUTE_PGM_RSRC3_GFX90A:TG_SPLIT: 0
	.section	.text._ZN7rocprim17ROCPRIM_400000_NS6detail17trampoline_kernelINS0_14default_configENS1_25partition_config_selectorILNS1_17partition_subalgoE0EyNS0_10empty_typeEbEEZZNS1_14partition_implILS5_0ELb0ES3_jN6thrust23THRUST_200600_302600_NS6detail15normal_iteratorINSA_10device_ptrIyEEEEPS6_SG_NS0_5tupleIJNSA_16discard_iteratorINSA_11use_defaultEEESF_EEENSH_IJSG_SG_EEES6_PlJ7is_evenIyEEEE10hipError_tPvRmT3_T4_T5_T6_T7_T9_mT8_P12ihipStream_tbDpT10_ENKUlT_T0_E_clISt17integral_constantIbLb1EES18_IbLb0EEEEDaS14_S15_EUlS14_E_NS1_11comp_targetILNS1_3genE0ELNS1_11target_archE4294967295ELNS1_3gpuE0ELNS1_3repE0EEENS1_30default_config_static_selectorELNS0_4arch9wavefront6targetE1EEEvT1_,"axG",@progbits,_ZN7rocprim17ROCPRIM_400000_NS6detail17trampoline_kernelINS0_14default_configENS1_25partition_config_selectorILNS1_17partition_subalgoE0EyNS0_10empty_typeEbEEZZNS1_14partition_implILS5_0ELb0ES3_jN6thrust23THRUST_200600_302600_NS6detail15normal_iteratorINSA_10device_ptrIyEEEEPS6_SG_NS0_5tupleIJNSA_16discard_iteratorINSA_11use_defaultEEESF_EEENSH_IJSG_SG_EEES6_PlJ7is_evenIyEEEE10hipError_tPvRmT3_T4_T5_T6_T7_T9_mT8_P12ihipStream_tbDpT10_ENKUlT_T0_E_clISt17integral_constantIbLb1EES18_IbLb0EEEEDaS14_S15_EUlS14_E_NS1_11comp_targetILNS1_3genE0ELNS1_11target_archE4294967295ELNS1_3gpuE0ELNS1_3repE0EEENS1_30default_config_static_selectorELNS0_4arch9wavefront6targetE1EEEvT1_,comdat
	.protected	_ZN7rocprim17ROCPRIM_400000_NS6detail17trampoline_kernelINS0_14default_configENS1_25partition_config_selectorILNS1_17partition_subalgoE0EyNS0_10empty_typeEbEEZZNS1_14partition_implILS5_0ELb0ES3_jN6thrust23THRUST_200600_302600_NS6detail15normal_iteratorINSA_10device_ptrIyEEEEPS6_SG_NS0_5tupleIJNSA_16discard_iteratorINSA_11use_defaultEEESF_EEENSH_IJSG_SG_EEES6_PlJ7is_evenIyEEEE10hipError_tPvRmT3_T4_T5_T6_T7_T9_mT8_P12ihipStream_tbDpT10_ENKUlT_T0_E_clISt17integral_constantIbLb1EES18_IbLb0EEEEDaS14_S15_EUlS14_E_NS1_11comp_targetILNS1_3genE0ELNS1_11target_archE4294967295ELNS1_3gpuE0ELNS1_3repE0EEENS1_30default_config_static_selectorELNS0_4arch9wavefront6targetE1EEEvT1_ ; -- Begin function _ZN7rocprim17ROCPRIM_400000_NS6detail17trampoline_kernelINS0_14default_configENS1_25partition_config_selectorILNS1_17partition_subalgoE0EyNS0_10empty_typeEbEEZZNS1_14partition_implILS5_0ELb0ES3_jN6thrust23THRUST_200600_302600_NS6detail15normal_iteratorINSA_10device_ptrIyEEEEPS6_SG_NS0_5tupleIJNSA_16discard_iteratorINSA_11use_defaultEEESF_EEENSH_IJSG_SG_EEES6_PlJ7is_evenIyEEEE10hipError_tPvRmT3_T4_T5_T6_T7_T9_mT8_P12ihipStream_tbDpT10_ENKUlT_T0_E_clISt17integral_constantIbLb1EES18_IbLb0EEEEDaS14_S15_EUlS14_E_NS1_11comp_targetILNS1_3genE0ELNS1_11target_archE4294967295ELNS1_3gpuE0ELNS1_3repE0EEENS1_30default_config_static_selectorELNS0_4arch9wavefront6targetE1EEEvT1_
	.globl	_ZN7rocprim17ROCPRIM_400000_NS6detail17trampoline_kernelINS0_14default_configENS1_25partition_config_selectorILNS1_17partition_subalgoE0EyNS0_10empty_typeEbEEZZNS1_14partition_implILS5_0ELb0ES3_jN6thrust23THRUST_200600_302600_NS6detail15normal_iteratorINSA_10device_ptrIyEEEEPS6_SG_NS0_5tupleIJNSA_16discard_iteratorINSA_11use_defaultEEESF_EEENSH_IJSG_SG_EEES6_PlJ7is_evenIyEEEE10hipError_tPvRmT3_T4_T5_T6_T7_T9_mT8_P12ihipStream_tbDpT10_ENKUlT_T0_E_clISt17integral_constantIbLb1EES18_IbLb0EEEEDaS14_S15_EUlS14_E_NS1_11comp_targetILNS1_3genE0ELNS1_11target_archE4294967295ELNS1_3gpuE0ELNS1_3repE0EEENS1_30default_config_static_selectorELNS0_4arch9wavefront6targetE1EEEvT1_
	.p2align	8
	.type	_ZN7rocprim17ROCPRIM_400000_NS6detail17trampoline_kernelINS0_14default_configENS1_25partition_config_selectorILNS1_17partition_subalgoE0EyNS0_10empty_typeEbEEZZNS1_14partition_implILS5_0ELb0ES3_jN6thrust23THRUST_200600_302600_NS6detail15normal_iteratorINSA_10device_ptrIyEEEEPS6_SG_NS0_5tupleIJNSA_16discard_iteratorINSA_11use_defaultEEESF_EEENSH_IJSG_SG_EEES6_PlJ7is_evenIyEEEE10hipError_tPvRmT3_T4_T5_T6_T7_T9_mT8_P12ihipStream_tbDpT10_ENKUlT_T0_E_clISt17integral_constantIbLb1EES18_IbLb0EEEEDaS14_S15_EUlS14_E_NS1_11comp_targetILNS1_3genE0ELNS1_11target_archE4294967295ELNS1_3gpuE0ELNS1_3repE0EEENS1_30default_config_static_selectorELNS0_4arch9wavefront6targetE1EEEvT1_,@function
_ZN7rocprim17ROCPRIM_400000_NS6detail17trampoline_kernelINS0_14default_configENS1_25partition_config_selectorILNS1_17partition_subalgoE0EyNS0_10empty_typeEbEEZZNS1_14partition_implILS5_0ELb0ES3_jN6thrust23THRUST_200600_302600_NS6detail15normal_iteratorINSA_10device_ptrIyEEEEPS6_SG_NS0_5tupleIJNSA_16discard_iteratorINSA_11use_defaultEEESF_EEENSH_IJSG_SG_EEES6_PlJ7is_evenIyEEEE10hipError_tPvRmT3_T4_T5_T6_T7_T9_mT8_P12ihipStream_tbDpT10_ENKUlT_T0_E_clISt17integral_constantIbLb1EES18_IbLb0EEEEDaS14_S15_EUlS14_E_NS1_11comp_targetILNS1_3genE0ELNS1_11target_archE4294967295ELNS1_3gpuE0ELNS1_3repE0EEENS1_30default_config_static_selectorELNS0_4arch9wavefront6targetE1EEEvT1_: ; @_ZN7rocprim17ROCPRIM_400000_NS6detail17trampoline_kernelINS0_14default_configENS1_25partition_config_selectorILNS1_17partition_subalgoE0EyNS0_10empty_typeEbEEZZNS1_14partition_implILS5_0ELb0ES3_jN6thrust23THRUST_200600_302600_NS6detail15normal_iteratorINSA_10device_ptrIyEEEEPS6_SG_NS0_5tupleIJNSA_16discard_iteratorINSA_11use_defaultEEESF_EEENSH_IJSG_SG_EEES6_PlJ7is_evenIyEEEE10hipError_tPvRmT3_T4_T5_T6_T7_T9_mT8_P12ihipStream_tbDpT10_ENKUlT_T0_E_clISt17integral_constantIbLb1EES18_IbLb0EEEEDaS14_S15_EUlS14_E_NS1_11comp_targetILNS1_3genE0ELNS1_11target_archE4294967295ELNS1_3gpuE0ELNS1_3repE0EEENS1_30default_config_static_selectorELNS0_4arch9wavefront6targetE1EEEvT1_
; %bb.0:
	.section	.rodata,"a",@progbits
	.p2align	6, 0x0
	.amdhsa_kernel _ZN7rocprim17ROCPRIM_400000_NS6detail17trampoline_kernelINS0_14default_configENS1_25partition_config_selectorILNS1_17partition_subalgoE0EyNS0_10empty_typeEbEEZZNS1_14partition_implILS5_0ELb0ES3_jN6thrust23THRUST_200600_302600_NS6detail15normal_iteratorINSA_10device_ptrIyEEEEPS6_SG_NS0_5tupleIJNSA_16discard_iteratorINSA_11use_defaultEEESF_EEENSH_IJSG_SG_EEES6_PlJ7is_evenIyEEEE10hipError_tPvRmT3_T4_T5_T6_T7_T9_mT8_P12ihipStream_tbDpT10_ENKUlT_T0_E_clISt17integral_constantIbLb1EES18_IbLb0EEEEDaS14_S15_EUlS14_E_NS1_11comp_targetILNS1_3genE0ELNS1_11target_archE4294967295ELNS1_3gpuE0ELNS1_3repE0EEENS1_30default_config_static_selectorELNS0_4arch9wavefront6targetE1EEEvT1_
		.amdhsa_group_segment_fixed_size 0
		.amdhsa_private_segment_fixed_size 0
		.amdhsa_kernarg_size 128
		.amdhsa_user_sgpr_count 6
		.amdhsa_user_sgpr_private_segment_buffer 1
		.amdhsa_user_sgpr_dispatch_ptr 0
		.amdhsa_user_sgpr_queue_ptr 0
		.amdhsa_user_sgpr_kernarg_segment_ptr 1
		.amdhsa_user_sgpr_dispatch_id 0
		.amdhsa_user_sgpr_flat_scratch_init 0
		.amdhsa_user_sgpr_kernarg_preload_length 0
		.amdhsa_user_sgpr_kernarg_preload_offset 0
		.amdhsa_user_sgpr_private_segment_size 0
		.amdhsa_uses_dynamic_stack 0
		.amdhsa_system_sgpr_private_segment_wavefront_offset 0
		.amdhsa_system_sgpr_workgroup_id_x 1
		.amdhsa_system_sgpr_workgroup_id_y 0
		.amdhsa_system_sgpr_workgroup_id_z 0
		.amdhsa_system_sgpr_workgroup_info 0
		.amdhsa_system_vgpr_workitem_id 0
		.amdhsa_next_free_vgpr 1
		.amdhsa_next_free_sgpr 0
		.amdhsa_accum_offset 4
		.amdhsa_reserve_vcc 0
		.amdhsa_reserve_flat_scratch 0
		.amdhsa_float_round_mode_32 0
		.amdhsa_float_round_mode_16_64 0
		.amdhsa_float_denorm_mode_32 3
		.amdhsa_float_denorm_mode_16_64 3
		.amdhsa_dx10_clamp 1
		.amdhsa_ieee_mode 1
		.amdhsa_fp16_overflow 0
		.amdhsa_tg_split 0
		.amdhsa_exception_fp_ieee_invalid_op 0
		.amdhsa_exception_fp_denorm_src 0
		.amdhsa_exception_fp_ieee_div_zero 0
		.amdhsa_exception_fp_ieee_overflow 0
		.amdhsa_exception_fp_ieee_underflow 0
		.amdhsa_exception_fp_ieee_inexact 0
		.amdhsa_exception_int_div_zero 0
	.end_amdhsa_kernel
	.section	.text._ZN7rocprim17ROCPRIM_400000_NS6detail17trampoline_kernelINS0_14default_configENS1_25partition_config_selectorILNS1_17partition_subalgoE0EyNS0_10empty_typeEbEEZZNS1_14partition_implILS5_0ELb0ES3_jN6thrust23THRUST_200600_302600_NS6detail15normal_iteratorINSA_10device_ptrIyEEEEPS6_SG_NS0_5tupleIJNSA_16discard_iteratorINSA_11use_defaultEEESF_EEENSH_IJSG_SG_EEES6_PlJ7is_evenIyEEEE10hipError_tPvRmT3_T4_T5_T6_T7_T9_mT8_P12ihipStream_tbDpT10_ENKUlT_T0_E_clISt17integral_constantIbLb1EES18_IbLb0EEEEDaS14_S15_EUlS14_E_NS1_11comp_targetILNS1_3genE0ELNS1_11target_archE4294967295ELNS1_3gpuE0ELNS1_3repE0EEENS1_30default_config_static_selectorELNS0_4arch9wavefront6targetE1EEEvT1_,"axG",@progbits,_ZN7rocprim17ROCPRIM_400000_NS6detail17trampoline_kernelINS0_14default_configENS1_25partition_config_selectorILNS1_17partition_subalgoE0EyNS0_10empty_typeEbEEZZNS1_14partition_implILS5_0ELb0ES3_jN6thrust23THRUST_200600_302600_NS6detail15normal_iteratorINSA_10device_ptrIyEEEEPS6_SG_NS0_5tupleIJNSA_16discard_iteratorINSA_11use_defaultEEESF_EEENSH_IJSG_SG_EEES6_PlJ7is_evenIyEEEE10hipError_tPvRmT3_T4_T5_T6_T7_T9_mT8_P12ihipStream_tbDpT10_ENKUlT_T0_E_clISt17integral_constantIbLb1EES18_IbLb0EEEEDaS14_S15_EUlS14_E_NS1_11comp_targetILNS1_3genE0ELNS1_11target_archE4294967295ELNS1_3gpuE0ELNS1_3repE0EEENS1_30default_config_static_selectorELNS0_4arch9wavefront6targetE1EEEvT1_,comdat
.Lfunc_end2379:
	.size	_ZN7rocprim17ROCPRIM_400000_NS6detail17trampoline_kernelINS0_14default_configENS1_25partition_config_selectorILNS1_17partition_subalgoE0EyNS0_10empty_typeEbEEZZNS1_14partition_implILS5_0ELb0ES3_jN6thrust23THRUST_200600_302600_NS6detail15normal_iteratorINSA_10device_ptrIyEEEEPS6_SG_NS0_5tupleIJNSA_16discard_iteratorINSA_11use_defaultEEESF_EEENSH_IJSG_SG_EEES6_PlJ7is_evenIyEEEE10hipError_tPvRmT3_T4_T5_T6_T7_T9_mT8_P12ihipStream_tbDpT10_ENKUlT_T0_E_clISt17integral_constantIbLb1EES18_IbLb0EEEEDaS14_S15_EUlS14_E_NS1_11comp_targetILNS1_3genE0ELNS1_11target_archE4294967295ELNS1_3gpuE0ELNS1_3repE0EEENS1_30default_config_static_selectorELNS0_4arch9wavefront6targetE1EEEvT1_, .Lfunc_end2379-_ZN7rocprim17ROCPRIM_400000_NS6detail17trampoline_kernelINS0_14default_configENS1_25partition_config_selectorILNS1_17partition_subalgoE0EyNS0_10empty_typeEbEEZZNS1_14partition_implILS5_0ELb0ES3_jN6thrust23THRUST_200600_302600_NS6detail15normal_iteratorINSA_10device_ptrIyEEEEPS6_SG_NS0_5tupleIJNSA_16discard_iteratorINSA_11use_defaultEEESF_EEENSH_IJSG_SG_EEES6_PlJ7is_evenIyEEEE10hipError_tPvRmT3_T4_T5_T6_T7_T9_mT8_P12ihipStream_tbDpT10_ENKUlT_T0_E_clISt17integral_constantIbLb1EES18_IbLb0EEEEDaS14_S15_EUlS14_E_NS1_11comp_targetILNS1_3genE0ELNS1_11target_archE4294967295ELNS1_3gpuE0ELNS1_3repE0EEENS1_30default_config_static_selectorELNS0_4arch9wavefront6targetE1EEEvT1_
                                        ; -- End function
	.section	.AMDGPU.csdata,"",@progbits
; Kernel info:
; codeLenInByte = 0
; NumSgprs: 4
; NumVgprs: 0
; NumAgprs: 0
; TotalNumVgprs: 0
; ScratchSize: 0
; MemoryBound: 0
; FloatMode: 240
; IeeeMode: 1
; LDSByteSize: 0 bytes/workgroup (compile time only)
; SGPRBlocks: 0
; VGPRBlocks: 0
; NumSGPRsForWavesPerEU: 4
; NumVGPRsForWavesPerEU: 1
; AccumOffset: 4
; Occupancy: 8
; WaveLimiterHint : 0
; COMPUTE_PGM_RSRC2:SCRATCH_EN: 0
; COMPUTE_PGM_RSRC2:USER_SGPR: 6
; COMPUTE_PGM_RSRC2:TRAP_HANDLER: 0
; COMPUTE_PGM_RSRC2:TGID_X_EN: 1
; COMPUTE_PGM_RSRC2:TGID_Y_EN: 0
; COMPUTE_PGM_RSRC2:TGID_Z_EN: 0
; COMPUTE_PGM_RSRC2:TIDIG_COMP_CNT: 0
; COMPUTE_PGM_RSRC3_GFX90A:ACCUM_OFFSET: 0
; COMPUTE_PGM_RSRC3_GFX90A:TG_SPLIT: 0
	.section	.text._ZN7rocprim17ROCPRIM_400000_NS6detail17trampoline_kernelINS0_14default_configENS1_25partition_config_selectorILNS1_17partition_subalgoE0EyNS0_10empty_typeEbEEZZNS1_14partition_implILS5_0ELb0ES3_jN6thrust23THRUST_200600_302600_NS6detail15normal_iteratorINSA_10device_ptrIyEEEEPS6_SG_NS0_5tupleIJNSA_16discard_iteratorINSA_11use_defaultEEESF_EEENSH_IJSG_SG_EEES6_PlJ7is_evenIyEEEE10hipError_tPvRmT3_T4_T5_T6_T7_T9_mT8_P12ihipStream_tbDpT10_ENKUlT_T0_E_clISt17integral_constantIbLb1EES18_IbLb0EEEEDaS14_S15_EUlS14_E_NS1_11comp_targetILNS1_3genE5ELNS1_11target_archE942ELNS1_3gpuE9ELNS1_3repE0EEENS1_30default_config_static_selectorELNS0_4arch9wavefront6targetE1EEEvT1_,"axG",@progbits,_ZN7rocprim17ROCPRIM_400000_NS6detail17trampoline_kernelINS0_14default_configENS1_25partition_config_selectorILNS1_17partition_subalgoE0EyNS0_10empty_typeEbEEZZNS1_14partition_implILS5_0ELb0ES3_jN6thrust23THRUST_200600_302600_NS6detail15normal_iteratorINSA_10device_ptrIyEEEEPS6_SG_NS0_5tupleIJNSA_16discard_iteratorINSA_11use_defaultEEESF_EEENSH_IJSG_SG_EEES6_PlJ7is_evenIyEEEE10hipError_tPvRmT3_T4_T5_T6_T7_T9_mT8_P12ihipStream_tbDpT10_ENKUlT_T0_E_clISt17integral_constantIbLb1EES18_IbLb0EEEEDaS14_S15_EUlS14_E_NS1_11comp_targetILNS1_3genE5ELNS1_11target_archE942ELNS1_3gpuE9ELNS1_3repE0EEENS1_30default_config_static_selectorELNS0_4arch9wavefront6targetE1EEEvT1_,comdat
	.protected	_ZN7rocprim17ROCPRIM_400000_NS6detail17trampoline_kernelINS0_14default_configENS1_25partition_config_selectorILNS1_17partition_subalgoE0EyNS0_10empty_typeEbEEZZNS1_14partition_implILS5_0ELb0ES3_jN6thrust23THRUST_200600_302600_NS6detail15normal_iteratorINSA_10device_ptrIyEEEEPS6_SG_NS0_5tupleIJNSA_16discard_iteratorINSA_11use_defaultEEESF_EEENSH_IJSG_SG_EEES6_PlJ7is_evenIyEEEE10hipError_tPvRmT3_T4_T5_T6_T7_T9_mT8_P12ihipStream_tbDpT10_ENKUlT_T0_E_clISt17integral_constantIbLb1EES18_IbLb0EEEEDaS14_S15_EUlS14_E_NS1_11comp_targetILNS1_3genE5ELNS1_11target_archE942ELNS1_3gpuE9ELNS1_3repE0EEENS1_30default_config_static_selectorELNS0_4arch9wavefront6targetE1EEEvT1_ ; -- Begin function _ZN7rocprim17ROCPRIM_400000_NS6detail17trampoline_kernelINS0_14default_configENS1_25partition_config_selectorILNS1_17partition_subalgoE0EyNS0_10empty_typeEbEEZZNS1_14partition_implILS5_0ELb0ES3_jN6thrust23THRUST_200600_302600_NS6detail15normal_iteratorINSA_10device_ptrIyEEEEPS6_SG_NS0_5tupleIJNSA_16discard_iteratorINSA_11use_defaultEEESF_EEENSH_IJSG_SG_EEES6_PlJ7is_evenIyEEEE10hipError_tPvRmT3_T4_T5_T6_T7_T9_mT8_P12ihipStream_tbDpT10_ENKUlT_T0_E_clISt17integral_constantIbLb1EES18_IbLb0EEEEDaS14_S15_EUlS14_E_NS1_11comp_targetILNS1_3genE5ELNS1_11target_archE942ELNS1_3gpuE9ELNS1_3repE0EEENS1_30default_config_static_selectorELNS0_4arch9wavefront6targetE1EEEvT1_
	.globl	_ZN7rocprim17ROCPRIM_400000_NS6detail17trampoline_kernelINS0_14default_configENS1_25partition_config_selectorILNS1_17partition_subalgoE0EyNS0_10empty_typeEbEEZZNS1_14partition_implILS5_0ELb0ES3_jN6thrust23THRUST_200600_302600_NS6detail15normal_iteratorINSA_10device_ptrIyEEEEPS6_SG_NS0_5tupleIJNSA_16discard_iteratorINSA_11use_defaultEEESF_EEENSH_IJSG_SG_EEES6_PlJ7is_evenIyEEEE10hipError_tPvRmT3_T4_T5_T6_T7_T9_mT8_P12ihipStream_tbDpT10_ENKUlT_T0_E_clISt17integral_constantIbLb1EES18_IbLb0EEEEDaS14_S15_EUlS14_E_NS1_11comp_targetILNS1_3genE5ELNS1_11target_archE942ELNS1_3gpuE9ELNS1_3repE0EEENS1_30default_config_static_selectorELNS0_4arch9wavefront6targetE1EEEvT1_
	.p2align	8
	.type	_ZN7rocprim17ROCPRIM_400000_NS6detail17trampoline_kernelINS0_14default_configENS1_25partition_config_selectorILNS1_17partition_subalgoE0EyNS0_10empty_typeEbEEZZNS1_14partition_implILS5_0ELb0ES3_jN6thrust23THRUST_200600_302600_NS6detail15normal_iteratorINSA_10device_ptrIyEEEEPS6_SG_NS0_5tupleIJNSA_16discard_iteratorINSA_11use_defaultEEESF_EEENSH_IJSG_SG_EEES6_PlJ7is_evenIyEEEE10hipError_tPvRmT3_T4_T5_T6_T7_T9_mT8_P12ihipStream_tbDpT10_ENKUlT_T0_E_clISt17integral_constantIbLb1EES18_IbLb0EEEEDaS14_S15_EUlS14_E_NS1_11comp_targetILNS1_3genE5ELNS1_11target_archE942ELNS1_3gpuE9ELNS1_3repE0EEENS1_30default_config_static_selectorELNS0_4arch9wavefront6targetE1EEEvT1_,@function
_ZN7rocprim17ROCPRIM_400000_NS6detail17trampoline_kernelINS0_14default_configENS1_25partition_config_selectorILNS1_17partition_subalgoE0EyNS0_10empty_typeEbEEZZNS1_14partition_implILS5_0ELb0ES3_jN6thrust23THRUST_200600_302600_NS6detail15normal_iteratorINSA_10device_ptrIyEEEEPS6_SG_NS0_5tupleIJNSA_16discard_iteratorINSA_11use_defaultEEESF_EEENSH_IJSG_SG_EEES6_PlJ7is_evenIyEEEE10hipError_tPvRmT3_T4_T5_T6_T7_T9_mT8_P12ihipStream_tbDpT10_ENKUlT_T0_E_clISt17integral_constantIbLb1EES18_IbLb0EEEEDaS14_S15_EUlS14_E_NS1_11comp_targetILNS1_3genE5ELNS1_11target_archE942ELNS1_3gpuE9ELNS1_3repE0EEENS1_30default_config_static_selectorELNS0_4arch9wavefront6targetE1EEEvT1_: ; @_ZN7rocprim17ROCPRIM_400000_NS6detail17trampoline_kernelINS0_14default_configENS1_25partition_config_selectorILNS1_17partition_subalgoE0EyNS0_10empty_typeEbEEZZNS1_14partition_implILS5_0ELb0ES3_jN6thrust23THRUST_200600_302600_NS6detail15normal_iteratorINSA_10device_ptrIyEEEEPS6_SG_NS0_5tupleIJNSA_16discard_iteratorINSA_11use_defaultEEESF_EEENSH_IJSG_SG_EEES6_PlJ7is_evenIyEEEE10hipError_tPvRmT3_T4_T5_T6_T7_T9_mT8_P12ihipStream_tbDpT10_ENKUlT_T0_E_clISt17integral_constantIbLb1EES18_IbLb0EEEEDaS14_S15_EUlS14_E_NS1_11comp_targetILNS1_3genE5ELNS1_11target_archE942ELNS1_3gpuE9ELNS1_3repE0EEENS1_30default_config_static_selectorELNS0_4arch9wavefront6targetE1EEEvT1_
; %bb.0:
	.section	.rodata,"a",@progbits
	.p2align	6, 0x0
	.amdhsa_kernel _ZN7rocprim17ROCPRIM_400000_NS6detail17trampoline_kernelINS0_14default_configENS1_25partition_config_selectorILNS1_17partition_subalgoE0EyNS0_10empty_typeEbEEZZNS1_14partition_implILS5_0ELb0ES3_jN6thrust23THRUST_200600_302600_NS6detail15normal_iteratorINSA_10device_ptrIyEEEEPS6_SG_NS0_5tupleIJNSA_16discard_iteratorINSA_11use_defaultEEESF_EEENSH_IJSG_SG_EEES6_PlJ7is_evenIyEEEE10hipError_tPvRmT3_T4_T5_T6_T7_T9_mT8_P12ihipStream_tbDpT10_ENKUlT_T0_E_clISt17integral_constantIbLb1EES18_IbLb0EEEEDaS14_S15_EUlS14_E_NS1_11comp_targetILNS1_3genE5ELNS1_11target_archE942ELNS1_3gpuE9ELNS1_3repE0EEENS1_30default_config_static_selectorELNS0_4arch9wavefront6targetE1EEEvT1_
		.amdhsa_group_segment_fixed_size 0
		.amdhsa_private_segment_fixed_size 0
		.amdhsa_kernarg_size 128
		.amdhsa_user_sgpr_count 6
		.amdhsa_user_sgpr_private_segment_buffer 1
		.amdhsa_user_sgpr_dispatch_ptr 0
		.amdhsa_user_sgpr_queue_ptr 0
		.amdhsa_user_sgpr_kernarg_segment_ptr 1
		.amdhsa_user_sgpr_dispatch_id 0
		.amdhsa_user_sgpr_flat_scratch_init 0
		.amdhsa_user_sgpr_kernarg_preload_length 0
		.amdhsa_user_sgpr_kernarg_preload_offset 0
		.amdhsa_user_sgpr_private_segment_size 0
		.amdhsa_uses_dynamic_stack 0
		.amdhsa_system_sgpr_private_segment_wavefront_offset 0
		.amdhsa_system_sgpr_workgroup_id_x 1
		.amdhsa_system_sgpr_workgroup_id_y 0
		.amdhsa_system_sgpr_workgroup_id_z 0
		.amdhsa_system_sgpr_workgroup_info 0
		.amdhsa_system_vgpr_workitem_id 0
		.amdhsa_next_free_vgpr 1
		.amdhsa_next_free_sgpr 0
		.amdhsa_accum_offset 4
		.amdhsa_reserve_vcc 0
		.amdhsa_reserve_flat_scratch 0
		.amdhsa_float_round_mode_32 0
		.amdhsa_float_round_mode_16_64 0
		.amdhsa_float_denorm_mode_32 3
		.amdhsa_float_denorm_mode_16_64 3
		.amdhsa_dx10_clamp 1
		.amdhsa_ieee_mode 1
		.amdhsa_fp16_overflow 0
		.amdhsa_tg_split 0
		.amdhsa_exception_fp_ieee_invalid_op 0
		.amdhsa_exception_fp_denorm_src 0
		.amdhsa_exception_fp_ieee_div_zero 0
		.amdhsa_exception_fp_ieee_overflow 0
		.amdhsa_exception_fp_ieee_underflow 0
		.amdhsa_exception_fp_ieee_inexact 0
		.amdhsa_exception_int_div_zero 0
	.end_amdhsa_kernel
	.section	.text._ZN7rocprim17ROCPRIM_400000_NS6detail17trampoline_kernelINS0_14default_configENS1_25partition_config_selectorILNS1_17partition_subalgoE0EyNS0_10empty_typeEbEEZZNS1_14partition_implILS5_0ELb0ES3_jN6thrust23THRUST_200600_302600_NS6detail15normal_iteratorINSA_10device_ptrIyEEEEPS6_SG_NS0_5tupleIJNSA_16discard_iteratorINSA_11use_defaultEEESF_EEENSH_IJSG_SG_EEES6_PlJ7is_evenIyEEEE10hipError_tPvRmT3_T4_T5_T6_T7_T9_mT8_P12ihipStream_tbDpT10_ENKUlT_T0_E_clISt17integral_constantIbLb1EES18_IbLb0EEEEDaS14_S15_EUlS14_E_NS1_11comp_targetILNS1_3genE5ELNS1_11target_archE942ELNS1_3gpuE9ELNS1_3repE0EEENS1_30default_config_static_selectorELNS0_4arch9wavefront6targetE1EEEvT1_,"axG",@progbits,_ZN7rocprim17ROCPRIM_400000_NS6detail17trampoline_kernelINS0_14default_configENS1_25partition_config_selectorILNS1_17partition_subalgoE0EyNS0_10empty_typeEbEEZZNS1_14partition_implILS5_0ELb0ES3_jN6thrust23THRUST_200600_302600_NS6detail15normal_iteratorINSA_10device_ptrIyEEEEPS6_SG_NS0_5tupleIJNSA_16discard_iteratorINSA_11use_defaultEEESF_EEENSH_IJSG_SG_EEES6_PlJ7is_evenIyEEEE10hipError_tPvRmT3_T4_T5_T6_T7_T9_mT8_P12ihipStream_tbDpT10_ENKUlT_T0_E_clISt17integral_constantIbLb1EES18_IbLb0EEEEDaS14_S15_EUlS14_E_NS1_11comp_targetILNS1_3genE5ELNS1_11target_archE942ELNS1_3gpuE9ELNS1_3repE0EEENS1_30default_config_static_selectorELNS0_4arch9wavefront6targetE1EEEvT1_,comdat
.Lfunc_end2380:
	.size	_ZN7rocprim17ROCPRIM_400000_NS6detail17trampoline_kernelINS0_14default_configENS1_25partition_config_selectorILNS1_17partition_subalgoE0EyNS0_10empty_typeEbEEZZNS1_14partition_implILS5_0ELb0ES3_jN6thrust23THRUST_200600_302600_NS6detail15normal_iteratorINSA_10device_ptrIyEEEEPS6_SG_NS0_5tupleIJNSA_16discard_iteratorINSA_11use_defaultEEESF_EEENSH_IJSG_SG_EEES6_PlJ7is_evenIyEEEE10hipError_tPvRmT3_T4_T5_T6_T7_T9_mT8_P12ihipStream_tbDpT10_ENKUlT_T0_E_clISt17integral_constantIbLb1EES18_IbLb0EEEEDaS14_S15_EUlS14_E_NS1_11comp_targetILNS1_3genE5ELNS1_11target_archE942ELNS1_3gpuE9ELNS1_3repE0EEENS1_30default_config_static_selectorELNS0_4arch9wavefront6targetE1EEEvT1_, .Lfunc_end2380-_ZN7rocprim17ROCPRIM_400000_NS6detail17trampoline_kernelINS0_14default_configENS1_25partition_config_selectorILNS1_17partition_subalgoE0EyNS0_10empty_typeEbEEZZNS1_14partition_implILS5_0ELb0ES3_jN6thrust23THRUST_200600_302600_NS6detail15normal_iteratorINSA_10device_ptrIyEEEEPS6_SG_NS0_5tupleIJNSA_16discard_iteratorINSA_11use_defaultEEESF_EEENSH_IJSG_SG_EEES6_PlJ7is_evenIyEEEE10hipError_tPvRmT3_T4_T5_T6_T7_T9_mT8_P12ihipStream_tbDpT10_ENKUlT_T0_E_clISt17integral_constantIbLb1EES18_IbLb0EEEEDaS14_S15_EUlS14_E_NS1_11comp_targetILNS1_3genE5ELNS1_11target_archE942ELNS1_3gpuE9ELNS1_3repE0EEENS1_30default_config_static_selectorELNS0_4arch9wavefront6targetE1EEEvT1_
                                        ; -- End function
	.section	.AMDGPU.csdata,"",@progbits
; Kernel info:
; codeLenInByte = 0
; NumSgprs: 4
; NumVgprs: 0
; NumAgprs: 0
; TotalNumVgprs: 0
; ScratchSize: 0
; MemoryBound: 0
; FloatMode: 240
; IeeeMode: 1
; LDSByteSize: 0 bytes/workgroup (compile time only)
; SGPRBlocks: 0
; VGPRBlocks: 0
; NumSGPRsForWavesPerEU: 4
; NumVGPRsForWavesPerEU: 1
; AccumOffset: 4
; Occupancy: 8
; WaveLimiterHint : 0
; COMPUTE_PGM_RSRC2:SCRATCH_EN: 0
; COMPUTE_PGM_RSRC2:USER_SGPR: 6
; COMPUTE_PGM_RSRC2:TRAP_HANDLER: 0
; COMPUTE_PGM_RSRC2:TGID_X_EN: 1
; COMPUTE_PGM_RSRC2:TGID_Y_EN: 0
; COMPUTE_PGM_RSRC2:TGID_Z_EN: 0
; COMPUTE_PGM_RSRC2:TIDIG_COMP_CNT: 0
; COMPUTE_PGM_RSRC3_GFX90A:ACCUM_OFFSET: 0
; COMPUTE_PGM_RSRC3_GFX90A:TG_SPLIT: 0
	.section	.text._ZN7rocprim17ROCPRIM_400000_NS6detail17trampoline_kernelINS0_14default_configENS1_25partition_config_selectorILNS1_17partition_subalgoE0EyNS0_10empty_typeEbEEZZNS1_14partition_implILS5_0ELb0ES3_jN6thrust23THRUST_200600_302600_NS6detail15normal_iteratorINSA_10device_ptrIyEEEEPS6_SG_NS0_5tupleIJNSA_16discard_iteratorINSA_11use_defaultEEESF_EEENSH_IJSG_SG_EEES6_PlJ7is_evenIyEEEE10hipError_tPvRmT3_T4_T5_T6_T7_T9_mT8_P12ihipStream_tbDpT10_ENKUlT_T0_E_clISt17integral_constantIbLb1EES18_IbLb0EEEEDaS14_S15_EUlS14_E_NS1_11comp_targetILNS1_3genE4ELNS1_11target_archE910ELNS1_3gpuE8ELNS1_3repE0EEENS1_30default_config_static_selectorELNS0_4arch9wavefront6targetE1EEEvT1_,"axG",@progbits,_ZN7rocprim17ROCPRIM_400000_NS6detail17trampoline_kernelINS0_14default_configENS1_25partition_config_selectorILNS1_17partition_subalgoE0EyNS0_10empty_typeEbEEZZNS1_14partition_implILS5_0ELb0ES3_jN6thrust23THRUST_200600_302600_NS6detail15normal_iteratorINSA_10device_ptrIyEEEEPS6_SG_NS0_5tupleIJNSA_16discard_iteratorINSA_11use_defaultEEESF_EEENSH_IJSG_SG_EEES6_PlJ7is_evenIyEEEE10hipError_tPvRmT3_T4_T5_T6_T7_T9_mT8_P12ihipStream_tbDpT10_ENKUlT_T0_E_clISt17integral_constantIbLb1EES18_IbLb0EEEEDaS14_S15_EUlS14_E_NS1_11comp_targetILNS1_3genE4ELNS1_11target_archE910ELNS1_3gpuE8ELNS1_3repE0EEENS1_30default_config_static_selectorELNS0_4arch9wavefront6targetE1EEEvT1_,comdat
	.protected	_ZN7rocprim17ROCPRIM_400000_NS6detail17trampoline_kernelINS0_14default_configENS1_25partition_config_selectorILNS1_17partition_subalgoE0EyNS0_10empty_typeEbEEZZNS1_14partition_implILS5_0ELb0ES3_jN6thrust23THRUST_200600_302600_NS6detail15normal_iteratorINSA_10device_ptrIyEEEEPS6_SG_NS0_5tupleIJNSA_16discard_iteratorINSA_11use_defaultEEESF_EEENSH_IJSG_SG_EEES6_PlJ7is_evenIyEEEE10hipError_tPvRmT3_T4_T5_T6_T7_T9_mT8_P12ihipStream_tbDpT10_ENKUlT_T0_E_clISt17integral_constantIbLb1EES18_IbLb0EEEEDaS14_S15_EUlS14_E_NS1_11comp_targetILNS1_3genE4ELNS1_11target_archE910ELNS1_3gpuE8ELNS1_3repE0EEENS1_30default_config_static_selectorELNS0_4arch9wavefront6targetE1EEEvT1_ ; -- Begin function _ZN7rocprim17ROCPRIM_400000_NS6detail17trampoline_kernelINS0_14default_configENS1_25partition_config_selectorILNS1_17partition_subalgoE0EyNS0_10empty_typeEbEEZZNS1_14partition_implILS5_0ELb0ES3_jN6thrust23THRUST_200600_302600_NS6detail15normal_iteratorINSA_10device_ptrIyEEEEPS6_SG_NS0_5tupleIJNSA_16discard_iteratorINSA_11use_defaultEEESF_EEENSH_IJSG_SG_EEES6_PlJ7is_evenIyEEEE10hipError_tPvRmT3_T4_T5_T6_T7_T9_mT8_P12ihipStream_tbDpT10_ENKUlT_T0_E_clISt17integral_constantIbLb1EES18_IbLb0EEEEDaS14_S15_EUlS14_E_NS1_11comp_targetILNS1_3genE4ELNS1_11target_archE910ELNS1_3gpuE8ELNS1_3repE0EEENS1_30default_config_static_selectorELNS0_4arch9wavefront6targetE1EEEvT1_
	.globl	_ZN7rocprim17ROCPRIM_400000_NS6detail17trampoline_kernelINS0_14default_configENS1_25partition_config_selectorILNS1_17partition_subalgoE0EyNS0_10empty_typeEbEEZZNS1_14partition_implILS5_0ELb0ES3_jN6thrust23THRUST_200600_302600_NS6detail15normal_iteratorINSA_10device_ptrIyEEEEPS6_SG_NS0_5tupleIJNSA_16discard_iteratorINSA_11use_defaultEEESF_EEENSH_IJSG_SG_EEES6_PlJ7is_evenIyEEEE10hipError_tPvRmT3_T4_T5_T6_T7_T9_mT8_P12ihipStream_tbDpT10_ENKUlT_T0_E_clISt17integral_constantIbLb1EES18_IbLb0EEEEDaS14_S15_EUlS14_E_NS1_11comp_targetILNS1_3genE4ELNS1_11target_archE910ELNS1_3gpuE8ELNS1_3repE0EEENS1_30default_config_static_selectorELNS0_4arch9wavefront6targetE1EEEvT1_
	.p2align	8
	.type	_ZN7rocprim17ROCPRIM_400000_NS6detail17trampoline_kernelINS0_14default_configENS1_25partition_config_selectorILNS1_17partition_subalgoE0EyNS0_10empty_typeEbEEZZNS1_14partition_implILS5_0ELb0ES3_jN6thrust23THRUST_200600_302600_NS6detail15normal_iteratorINSA_10device_ptrIyEEEEPS6_SG_NS0_5tupleIJNSA_16discard_iteratorINSA_11use_defaultEEESF_EEENSH_IJSG_SG_EEES6_PlJ7is_evenIyEEEE10hipError_tPvRmT3_T4_T5_T6_T7_T9_mT8_P12ihipStream_tbDpT10_ENKUlT_T0_E_clISt17integral_constantIbLb1EES18_IbLb0EEEEDaS14_S15_EUlS14_E_NS1_11comp_targetILNS1_3genE4ELNS1_11target_archE910ELNS1_3gpuE8ELNS1_3repE0EEENS1_30default_config_static_selectorELNS0_4arch9wavefront6targetE1EEEvT1_,@function
_ZN7rocprim17ROCPRIM_400000_NS6detail17trampoline_kernelINS0_14default_configENS1_25partition_config_selectorILNS1_17partition_subalgoE0EyNS0_10empty_typeEbEEZZNS1_14partition_implILS5_0ELb0ES3_jN6thrust23THRUST_200600_302600_NS6detail15normal_iteratorINSA_10device_ptrIyEEEEPS6_SG_NS0_5tupleIJNSA_16discard_iteratorINSA_11use_defaultEEESF_EEENSH_IJSG_SG_EEES6_PlJ7is_evenIyEEEE10hipError_tPvRmT3_T4_T5_T6_T7_T9_mT8_P12ihipStream_tbDpT10_ENKUlT_T0_E_clISt17integral_constantIbLb1EES18_IbLb0EEEEDaS14_S15_EUlS14_E_NS1_11comp_targetILNS1_3genE4ELNS1_11target_archE910ELNS1_3gpuE8ELNS1_3repE0EEENS1_30default_config_static_selectorELNS0_4arch9wavefront6targetE1EEEvT1_: ; @_ZN7rocprim17ROCPRIM_400000_NS6detail17trampoline_kernelINS0_14default_configENS1_25partition_config_selectorILNS1_17partition_subalgoE0EyNS0_10empty_typeEbEEZZNS1_14partition_implILS5_0ELb0ES3_jN6thrust23THRUST_200600_302600_NS6detail15normal_iteratorINSA_10device_ptrIyEEEEPS6_SG_NS0_5tupleIJNSA_16discard_iteratorINSA_11use_defaultEEESF_EEENSH_IJSG_SG_EEES6_PlJ7is_evenIyEEEE10hipError_tPvRmT3_T4_T5_T6_T7_T9_mT8_P12ihipStream_tbDpT10_ENKUlT_T0_E_clISt17integral_constantIbLb1EES18_IbLb0EEEEDaS14_S15_EUlS14_E_NS1_11comp_targetILNS1_3genE4ELNS1_11target_archE910ELNS1_3gpuE8ELNS1_3repE0EEENS1_30default_config_static_selectorELNS0_4arch9wavefront6targetE1EEEvT1_
; %bb.0:
	s_load_dwordx2 s[0:1], s[4:5], 0x60
	s_load_dwordx4 s[20:23], s[4:5], 0x8
	s_load_dwordx4 s[24:27], s[4:5], 0x50
	s_load_dword s7, s[4:5], 0x78
	s_mul_i32 s8, s6, 0x300
	s_waitcnt lgkmcnt(0)
	v_mov_b32_e32 v3, s1
	s_lshl_b64 s[2:3], s[22:23], 3
	s_add_u32 s10, s20, s2
	s_mul_i32 s1, s7, 0x300
	s_addc_u32 s11, s21, s3
	s_add_i32 s3, s1, s22
	s_sub_i32 s33, s0, s3
	s_add_i32 s2, s7, -1
	s_addk_i32 s33, 0x300
	v_mov_b32_e32 v2, s0
	s_add_u32 s0, s22, s1
	s_addc_u32 s1, s23, 0
	s_cmp_eq_u32 s6, s2
	s_load_dwordx2 s[28:29], s[26:27], 0x0
	s_cselect_b64 s[26:27], -1, 0
	s_cmp_lg_u32 s6, s2
	s_mov_b32 s9, 0
	v_cmp_lt_u64_e32 vcc, s[0:1], v[2:3]
	s_cselect_b64 s[0:1], -1, 0
	s_or_b64 s[2:3], s[0:1], vcc
	s_lshl_b64 s[30:31], s[8:9], 3
	s_add_u32 s7, s10, s30
	s_addc_u32 s10, s11, s31
	s_mov_b64 s[0:1], -1
	s_and_b64 vcc, exec, s[2:3]
	v_lshlrev_b32_e32 v20, 3, v0
	v_lshrrev_b32_e32 v1, 2, v0
	s_cbranch_vccz .LBB2381_2
; %bb.1:
	v_mov_b32_e32 v3, s10
	v_add_co_u32_e32 v2, vcc, s7, v20
	v_addc_co_u32_e32 v3, vcc, 0, v3, vcc
	v_add_co_u32_e32 v4, vcc, 0x1000, v2
	v_addc_co_u32_e32 v5, vcc, 0, v3, vcc
	flat_load_dwordx2 v[6:7], v[2:3]
	flat_load_dwordx2 v[8:9], v[2:3] offset:1536
	flat_load_dwordx2 v[10:11], v[2:3] offset:3072
	;; [unrolled: 1-line block ×3, first 2 shown]
	v_add_u32_e32 v3, 0xc0, v0
	v_add_u32_e32 v4, 0x180, v0
	;; [unrolled: 1-line block ×3, first 2 shown]
	v_and_b32_e32 v2, 56, v1
	v_lshrrev_b32_e32 v3, 2, v3
	v_lshrrev_b32_e32 v4, 2, v4
	;; [unrolled: 1-line block ×3, first 2 shown]
	v_add_u32_e32 v2, v2, v20
	v_and_b32_e32 v3, 0x78, v3
	v_and_b32_e32 v4, 0xf8, v4
	;; [unrolled: 1-line block ×3, first 2 shown]
	v_add_u32_e32 v3, v3, v20
	v_add_u32_e32 v4, v4, v20
	;; [unrolled: 1-line block ×3, first 2 shown]
	s_mov_b64 s[0:1], 0
	s_waitcnt vmcnt(0) lgkmcnt(0)
	ds_write_b64 v2, v[6:7]
	ds_write_b64 v3, v[8:9] offset:1536
	ds_write_b64 v4, v[10:11] offset:3072
	;; [unrolled: 1-line block ×3, first 2 shown]
	s_waitcnt lgkmcnt(0)
	s_barrier
.LBB2381_2:
	s_andn2_b64 vcc, exec, s[0:1]
	v_cmp_gt_u32_e64 s[0:1], s33, v0
	s_cbranch_vccnz .LBB2381_12
; %bb.3:
                                        ; implicit-def: $vgpr2_vgpr3_vgpr4_vgpr5_vgpr6_vgpr7_vgpr8_vgpr9
	s_and_saveexec_b64 s[8:9], s[0:1]
	s_cbranch_execz .LBB2381_5
; %bb.4:
	v_mov_b32_e32 v3, s10
	v_add_co_u32_e32 v2, vcc, s7, v20
	v_addc_co_u32_e32 v3, vcc, 0, v3, vcc
	flat_load_dwordx2 v[2:3], v[2:3]
.LBB2381_5:
	s_or_b64 exec, exec, s[8:9]
	v_add_u32_e32 v10, 0xc0, v0
	v_cmp_gt_u32_e32 vcc, s33, v10
	s_and_saveexec_b64 s[0:1], vcc
	s_cbranch_execz .LBB2381_7
; %bb.6:
	v_mov_b32_e32 v5, s10
	v_add_co_u32_e32 v4, vcc, s7, v20
	v_addc_co_u32_e32 v5, vcc, 0, v5, vcc
	flat_load_dwordx2 v[4:5], v[4:5] offset:1536
.LBB2381_7:
	s_or_b64 exec, exec, s[0:1]
	v_add_u32_e32 v11, 0x180, v0
	v_cmp_gt_u32_e32 vcc, s33, v11
	s_and_saveexec_b64 s[0:1], vcc
	s_cbranch_execz .LBB2381_9
; %bb.8:
	v_mov_b32_e32 v7, s10
	v_add_co_u32_e32 v6, vcc, s7, v20
	v_addc_co_u32_e32 v7, vcc, 0, v7, vcc
	flat_load_dwordx2 v[6:7], v[6:7] offset:3072
.LBB2381_9:
	s_or_b64 exec, exec, s[0:1]
	v_add_u32_e32 v12, 0x240, v0
	v_cmp_gt_u32_e32 vcc, s33, v12
	s_and_saveexec_b64 s[0:1], vcc
	s_cbranch_execz .LBB2381_11
; %bb.10:
	v_lshlrev_b32_e32 v8, 3, v12
	v_mov_b32_e32 v9, s10
	v_add_co_u32_e32 v8, vcc, s7, v8
	v_addc_co_u32_e32 v9, vcc, 0, v9, vcc
	flat_load_dwordx2 v[8:9], v[8:9]
.LBB2381_11:
	s_or_b64 exec, exec, s[0:1]
	v_and_b32_e32 v1, 56, v1
	v_add_u32_e32 v1, v1, v20
	s_waitcnt vmcnt(0) lgkmcnt(0)
	ds_write_b64 v1, v[2:3]
	v_lshrrev_b32_e32 v1, 2, v10
	v_and_b32_e32 v1, 0x78, v1
	v_add_u32_e32 v1, v1, v20
	ds_write_b64 v1, v[4:5] offset:1536
	v_lshrrev_b32_e32 v1, 2, v11
	v_and_b32_e32 v1, 0xf8, v1
	v_add_u32_e32 v1, v1, v20
	ds_write_b64 v1, v[6:7] offset:3072
	;; [unrolled: 4-line block ×3, first 2 shown]
	s_waitcnt lgkmcnt(0)
	s_barrier
.LBB2381_12:
	v_lshlrev_b32_e32 v1, 2, v0
	v_lshrrev_b32_e32 v2, 3, v0
	v_add_lshl_u32 v2, v2, v1, 3
	s_waitcnt lgkmcnt(0)
	ds_read2_b64 v[6:9], v2 offset1:1
	ds_read2_b64 v[2:5], v2 offset0:2 offset1:3
	v_cndmask_b32_e64 v10, 0, 1, s[2:3]
	v_cmp_ne_u32_e64 s[0:1], 1, v10
	s_andn2_b64 vcc, exec, s[2:3]
	s_waitcnt lgkmcnt(1)
	v_xor_b32_e32 v13, -1, v6
	v_xor_b32_e32 v12, -1, v8
	s_waitcnt lgkmcnt(0)
	v_xor_b32_e32 v11, -1, v2
	v_xor_b32_e32 v10, -1, v4
	s_barrier
	s_cbranch_vccnz .LBB2381_14
; %bb.13:
	v_mov_b32_e32 v15, 1
	v_and_b32_e32 v14, 1, v13
	v_and_b32_sdwa v16, v12, v15 dst_sel:BYTE_1 dst_unused:UNUSED_PAD src0_sel:DWORD src1_sel:DWORD
	v_and_b32_e32 v17, 1, v11
	v_and_b32_sdwa v15, v10, v15 dst_sel:BYTE_1 dst_unused:UNUSED_PAD src0_sel:DWORD src1_sel:DWORD
	v_or_b32_e32 v14, v14, v16
	v_or_b32_sdwa v15, v17, v15 dst_sel:WORD_1 dst_unused:UNUSED_PAD src0_sel:DWORD src1_sel:DWORD
	v_or_b32_sdwa v21, v14, v15 dst_sel:DWORD dst_unused:UNUSED_PAD src0_sel:WORD_0 src1_sel:DWORD
	s_load_dwordx2 s[34:35], s[4:5], 0x70
	s_cbranch_execz .LBB2381_15
	s_branch .LBB2381_16
.LBB2381_14:
                                        ; implicit-def: $vgpr21
	s_load_dwordx2 s[34:35], s[4:5], 0x70
.LBB2381_15:
	v_cmp_gt_u32_e32 vcc, s33, v1
	v_cndmask_b32_e64 v14, 0, 1, vcc
	v_and_b32_e32 v13, v14, v13
	v_or_b32_e32 v14, 1, v1
	v_cmp_gt_u32_e32 vcc, s33, v14
	v_cndmask_b32_e64 v14, 0, 1, vcc
	v_and_b32_sdwa v12, v14, v12 dst_sel:BYTE_1 dst_unused:UNUSED_PAD src0_sel:DWORD src1_sel:DWORD
	v_or_b32_e32 v14, 2, v1
	v_cmp_gt_u32_e32 vcc, s33, v14
	v_cndmask_b32_e64 v14, 0, 1, vcc
	v_and_b32_e32 v11, v14, v11
	v_or_b32_e32 v14, 3, v1
	v_cmp_gt_u32_e32 vcc, s33, v14
	v_cndmask_b32_e64 v14, 0, 1, vcc
	v_and_b32_sdwa v10, v14, v10 dst_sel:BYTE_1 dst_unused:UNUSED_PAD src0_sel:DWORD src1_sel:DWORD
	v_or_b32_e32 v12, v13, v12
	v_or_b32_sdwa v10, v11, v10 dst_sel:WORD_1 dst_unused:UNUSED_PAD src0_sel:DWORD src1_sel:DWORD
	v_or_b32_sdwa v21, v12, v10 dst_sel:DWORD dst_unused:UNUSED_PAD src0_sel:WORD_0 src1_sel:DWORD
.LBB2381_16:
	v_bfe_u32 v23, v21, 16, 8
	v_lshrrev_b32_e32 v22, 24, v21
	v_add_u32_sdwa v10, v21, v21 dst_sel:DWORD dst_unused:UNUSED_PAD src0_sel:BYTE_1 src1_sel:BYTE_0
	v_add3_u32 v26, v10, v23, v22
	v_mbcnt_lo_u32_b32 v10, -1, 0
	v_mbcnt_hi_u32_b32 v24, -1, v10
	v_and_b32_e32 v10, 15, v24
	v_cmp_eq_u32_e64 s[16:17], 0, v10
	v_cmp_lt_u32_e64 s[14:15], 1, v10
	v_cmp_lt_u32_e64 s[12:13], 3, v10
	;; [unrolled: 1-line block ×3, first 2 shown]
	v_and_b32_e32 v10, 16, v24
	v_cmp_eq_u32_e64 s[20:21], 0, v10
	v_and_b32_e32 v10, 0xc0, v0
	v_min_u32_e32 v10, 0x80, v10
	v_or_b32_e32 v10, 63, v10
	s_cmp_lg_u32 s6, 0
	v_cmp_lt_u32_e64 s[2:3], 31, v24
	v_lshrrev_b32_e32 v25, 6, v0
	v_cmp_eq_u32_e64 s[8:9], v10, v0
	s_cbranch_scc0 .LBB2381_47
; %bb.17:
	v_mov_b32_dpp v10, v26 row_shr:1 row_mask:0xf bank_mask:0xf
	v_cndmask_b32_e64 v10, v10, 0, s[16:17]
	v_add_u32_e32 v10, v10, v26
	s_nop 1
	v_mov_b32_dpp v11, v10 row_shr:2 row_mask:0xf bank_mask:0xf
	v_cndmask_b32_e64 v11, 0, v11, s[14:15]
	v_add_u32_e32 v10, v10, v11
	s_nop 1
	;; [unrolled: 4-line block ×4, first 2 shown]
	v_mov_b32_dpp v11, v10 row_bcast:15 row_mask:0xf bank_mask:0xf
	v_cndmask_b32_e64 v11, v11, 0, s[20:21]
	v_add_u32_e32 v10, v10, v11
	s_nop 1
	v_mov_b32_dpp v11, v10 row_bcast:31 row_mask:0xf bank_mask:0xf
	v_cndmask_b32_e64 v11, 0, v11, s[2:3]
	v_add_u32_e32 v10, v10, v11
	s_and_saveexec_b64 s[18:19], s[8:9]
	s_cbranch_execz .LBB2381_19
; %bb.18:
	v_lshlrev_b32_e32 v11, 2, v25
	ds_write_b32 v11, v10
.LBB2381_19:
	s_or_b64 exec, exec, s[18:19]
	v_cmp_gt_u32_e32 vcc, 3, v0
	s_waitcnt lgkmcnt(0)
	s_barrier
	s_and_saveexec_b64 s[18:19], vcc
	s_cbranch_execz .LBB2381_21
; %bb.20:
	ds_read_b32 v11, v1
	v_and_b32_e32 v12, 3, v24
	v_cmp_ne_u32_e32 vcc, 0, v12
	s_waitcnt lgkmcnt(0)
	v_mov_b32_dpp v13, v11 row_shr:1 row_mask:0xf bank_mask:0xf
	v_cndmask_b32_e32 v13, 0, v13, vcc
	v_add_u32_e32 v11, v13, v11
	v_cmp_lt_u32_e32 vcc, 1, v12
	s_nop 0
	v_mov_b32_dpp v13, v11 row_shr:2 row_mask:0xf bank_mask:0xf
	v_cndmask_b32_e32 v12, 0, v13, vcc
	v_add_u32_e32 v11, v11, v12
	ds_write_b32 v1, v11
.LBB2381_21:
	s_or_b64 exec, exec, s[18:19]
	v_cmp_gt_u32_e32 vcc, 64, v0
	v_cmp_lt_u32_e64 s[18:19], 63, v0
	s_waitcnt lgkmcnt(0)
	s_barrier
	s_waitcnt lgkmcnt(0)
                                        ; implicit-def: $vgpr27
	s_and_saveexec_b64 s[36:37], s[18:19]
	s_cbranch_execz .LBB2381_23
; %bb.22:
	v_lshl_add_u32 v11, v25, 2, -4
	ds_read_b32 v27, v11
	s_waitcnt lgkmcnt(0)
	v_add_u32_e32 v10, v27, v10
.LBB2381_23:
	s_or_b64 exec, exec, s[36:37]
	v_add_u32_e32 v11, -1, v24
	v_and_b32_e32 v12, 64, v24
	v_cmp_lt_i32_e64 s[18:19], v11, v12
	v_cndmask_b32_e64 v11, v11, v24, s[18:19]
	v_lshlrev_b32_e32 v11, 2, v11
	ds_bpermute_b32 v28, v11, v10
	v_cmp_eq_u32_e64 s[18:19], 0, v24
	s_and_saveexec_b64 s[36:37], vcc
	s_cbranch_execz .LBB2381_46
; %bb.24:
	v_mov_b32_e32 v19, 0
	ds_read_b32 v10, v19 offset:8
	s_and_saveexec_b64 s[38:39], s[18:19]
	s_cbranch_execz .LBB2381_26
; %bb.25:
	s_add_i32 s40, s6, 64
	s_mov_b32 s41, 0
	s_lshl_b64 s[40:41], s[40:41], 3
	s_add_u32 s40, s34, s40
	v_mov_b32_e32 v11, 1
	s_addc_u32 s41, s35, s41
	s_waitcnt lgkmcnt(0)
	global_store_dwordx2 v19, v[10:11], s[40:41]
.LBB2381_26:
	s_or_b64 exec, exec, s[38:39]
	v_xad_u32 v12, v24, -1, s6
	v_add_u32_e32 v18, 64, v12
	v_lshlrev_b64 v[14:15], 3, v[18:19]
	v_mov_b32_e32 v11, s35
	v_add_co_u32_e32 v14, vcc, s34, v14
	v_addc_co_u32_e32 v15, vcc, v11, v15, vcc
	global_load_dwordx2 v[16:17], v[14:15], off glc
	s_waitcnt vmcnt(0)
	v_cmp_eq_u16_sdwa s[40:41], v17, v19 src0_sel:BYTE_0 src1_sel:DWORD
	s_and_saveexec_b64 s[38:39], s[40:41]
	s_cbranch_execz .LBB2381_32
; %bb.27:
	s_mov_b32 s7, 1
	s_mov_b64 s[40:41], 0
	v_mov_b32_e32 v11, 0
.LBB2381_28:                            ; =>This Loop Header: Depth=1
                                        ;     Child Loop BB2381_29 Depth 2
	s_max_u32 s42, s7, 1
.LBB2381_29:                            ;   Parent Loop BB2381_28 Depth=1
                                        ; =>  This Inner Loop Header: Depth=2
	s_add_i32 s42, s42, -1
	s_cmp_eq_u32 s42, 0
	s_sleep 1
	s_cbranch_scc0 .LBB2381_29
; %bb.30:                               ;   in Loop: Header=BB2381_28 Depth=1
	global_load_dwordx2 v[16:17], v[14:15], off glc
	s_cmp_lt_u32 s7, 32
	s_cselect_b64 s[42:43], -1, 0
	s_cmp_lg_u64 s[42:43], 0
	s_addc_u32 s7, s7, 0
	s_waitcnt vmcnt(0)
	v_cmp_ne_u16_sdwa s[42:43], v17, v11 src0_sel:BYTE_0 src1_sel:DWORD
	s_or_b64 s[40:41], s[42:43], s[40:41]
	s_andn2_b64 exec, exec, s[40:41]
	s_cbranch_execnz .LBB2381_28
; %bb.31:
	s_or_b64 exec, exec, s[40:41]
.LBB2381_32:
	s_or_b64 exec, exec, s[38:39]
	v_and_b32_e32 v30, 63, v24
	v_mov_b32_e32 v29, 2
	v_cmp_ne_u32_e32 vcc, 63, v30
	v_cmp_eq_u16_sdwa s[38:39], v17, v29 src0_sel:BYTE_0 src1_sel:DWORD
	v_lshlrev_b64 v[14:15], v24, -1
	v_addc_co_u32_e32 v18, vcc, 0, v24, vcc
	v_and_b32_e32 v11, s39, v15
	v_lshlrev_b32_e32 v31, 2, v18
	v_or_b32_e32 v11, 0x80000000, v11
	ds_bpermute_b32 v18, v31, v16
	v_and_b32_e32 v13, s38, v14
	v_ffbl_b32_e32 v11, v11
	v_add_u32_e32 v11, 32, v11
	v_ffbl_b32_e32 v13, v13
	v_min_u32_e32 v11, v13, v11
	v_cmp_lt_u32_e32 vcc, v30, v11
	s_waitcnt lgkmcnt(0)
	v_cndmask_b32_e32 v13, 0, v18, vcc
	v_cmp_gt_u32_e32 vcc, 62, v30
	v_add_u32_e32 v13, v13, v16
	v_cndmask_b32_e64 v16, 0, 1, vcc
	v_lshlrev_b32_e32 v16, 1, v16
	v_add_lshl_u32 v32, v16, v24, 2
	ds_bpermute_b32 v16, v32, v13
	v_add_u32_e32 v33, 2, v30
	v_cmp_le_u32_e32 vcc, v33, v11
	v_add_u32_e32 v35, 4, v30
	v_add_u32_e32 v37, 8, v30
	s_waitcnt lgkmcnt(0)
	v_cndmask_b32_e32 v16, 0, v16, vcc
	v_cmp_gt_u32_e32 vcc, 60, v30
	v_add_u32_e32 v13, v13, v16
	v_cndmask_b32_e64 v16, 0, 1, vcc
	v_lshlrev_b32_e32 v16, 2, v16
	v_add_lshl_u32 v34, v16, v24, 2
	ds_bpermute_b32 v16, v34, v13
	v_cmp_le_u32_e32 vcc, v35, v11
	v_add_u32_e32 v39, 16, v30
	v_add_u32_e32 v41, 32, v30
	s_waitcnt lgkmcnt(0)
	v_cndmask_b32_e32 v16, 0, v16, vcc
	v_cmp_gt_u32_e32 vcc, 56, v30
	v_add_u32_e32 v13, v13, v16
	v_cndmask_b32_e64 v16, 0, 1, vcc
	v_lshlrev_b32_e32 v16, 3, v16
	v_add_lshl_u32 v36, v16, v24, 2
	ds_bpermute_b32 v16, v36, v13
	v_cmp_le_u32_e32 vcc, v37, v11
	s_waitcnt lgkmcnt(0)
	v_cndmask_b32_e32 v16, 0, v16, vcc
	v_cmp_gt_u32_e32 vcc, 48, v30
	v_add_u32_e32 v13, v13, v16
	v_cndmask_b32_e64 v16, 0, 1, vcc
	v_lshlrev_b32_e32 v16, 4, v16
	v_add_lshl_u32 v38, v16, v24, 2
	ds_bpermute_b32 v16, v38, v13
	v_cmp_le_u32_e32 vcc, v39, v11
	;; [unrolled: 9-line block ×3, first 2 shown]
	s_waitcnt lgkmcnt(0)
	v_cndmask_b32_e32 v11, 0, v16, vcc
	v_add_u32_e32 v16, v13, v11
	v_mov_b32_e32 v13, 0
	s_branch .LBB2381_34
.LBB2381_33:                            ;   in Loop: Header=BB2381_34 Depth=1
	s_or_b64 exec, exec, s[38:39]
	v_cmp_eq_u16_sdwa s[38:39], v17, v29 src0_sel:BYTE_0 src1_sel:DWORD
	v_and_b32_e32 v18, s39, v15
	v_or_b32_e32 v18, 0x80000000, v18
	ds_bpermute_b32 v42, v31, v16
	v_and_b32_e32 v19, s38, v14
	v_ffbl_b32_e32 v18, v18
	v_add_u32_e32 v18, 32, v18
	v_ffbl_b32_e32 v19, v19
	v_min_u32_e32 v18, v19, v18
	v_cmp_lt_u32_e32 vcc, v30, v18
	s_waitcnt lgkmcnt(0)
	v_cndmask_b32_e32 v19, 0, v42, vcc
	v_add_u32_e32 v16, v19, v16
	ds_bpermute_b32 v19, v32, v16
	v_cmp_le_u32_e32 vcc, v33, v18
	v_subrev_u32_e32 v12, 64, v12
	s_waitcnt lgkmcnt(0)
	v_cndmask_b32_e32 v19, 0, v19, vcc
	v_add_u32_e32 v16, v16, v19
	ds_bpermute_b32 v19, v34, v16
	v_cmp_le_u32_e32 vcc, v35, v18
	s_waitcnt lgkmcnt(0)
	v_cndmask_b32_e32 v19, 0, v19, vcc
	v_add_u32_e32 v16, v16, v19
	ds_bpermute_b32 v19, v36, v16
	v_cmp_le_u32_e32 vcc, v37, v18
	;; [unrolled: 5-line block ×4, first 2 shown]
	s_waitcnt lgkmcnt(0)
	v_cndmask_b32_e32 v18, 0, v19, vcc
	v_add3_u32 v16, v18, v11, v16
.LBB2381_34:                            ; =>This Loop Header: Depth=1
                                        ;     Child Loop BB2381_37 Depth 2
                                        ;       Child Loop BB2381_38 Depth 3
	v_cmp_ne_u16_sdwa s[38:39], v17, v29 src0_sel:BYTE_0 src1_sel:DWORD
	v_cndmask_b32_e64 v11, 0, 1, s[38:39]
	;;#ASMSTART
	;;#ASMEND
	v_cmp_ne_u32_e32 vcc, 0, v11
	s_cmp_lg_u64 vcc, exec
	v_mov_b32_e32 v11, v16
	s_cbranch_scc1 .LBB2381_41
; %bb.35:                               ;   in Loop: Header=BB2381_34 Depth=1
	v_lshlrev_b64 v[16:17], 3, v[12:13]
	v_mov_b32_e32 v19, s35
	v_add_co_u32_e32 v18, vcc, s34, v16
	v_addc_co_u32_e32 v19, vcc, v19, v17, vcc
	global_load_dwordx2 v[16:17], v[18:19], off glc
	s_waitcnt vmcnt(0)
	v_cmp_eq_u16_sdwa s[40:41], v17, v13 src0_sel:BYTE_0 src1_sel:DWORD
	s_and_saveexec_b64 s[38:39], s[40:41]
	s_cbranch_execz .LBB2381_33
; %bb.36:                               ;   in Loop: Header=BB2381_34 Depth=1
	s_mov_b32 s7, 1
	s_mov_b64 s[40:41], 0
.LBB2381_37:                            ;   Parent Loop BB2381_34 Depth=1
                                        ; =>  This Loop Header: Depth=2
                                        ;       Child Loop BB2381_38 Depth 3
	s_max_u32 s42, s7, 1
.LBB2381_38:                            ;   Parent Loop BB2381_34 Depth=1
                                        ;     Parent Loop BB2381_37 Depth=2
                                        ; =>    This Inner Loop Header: Depth=3
	s_add_i32 s42, s42, -1
	s_cmp_eq_u32 s42, 0
	s_sleep 1
	s_cbranch_scc0 .LBB2381_38
; %bb.39:                               ;   in Loop: Header=BB2381_37 Depth=2
	global_load_dwordx2 v[16:17], v[18:19], off glc
	s_cmp_lt_u32 s7, 32
	s_cselect_b64 s[42:43], -1, 0
	s_cmp_lg_u64 s[42:43], 0
	s_addc_u32 s7, s7, 0
	s_waitcnt vmcnt(0)
	v_cmp_ne_u16_sdwa s[42:43], v17, v13 src0_sel:BYTE_0 src1_sel:DWORD
	s_or_b64 s[40:41], s[42:43], s[40:41]
	s_andn2_b64 exec, exec, s[40:41]
	s_cbranch_execnz .LBB2381_37
; %bb.40:                               ;   in Loop: Header=BB2381_34 Depth=1
	s_or_b64 exec, exec, s[40:41]
	s_branch .LBB2381_33
.LBB2381_41:                            ;   in Loop: Header=BB2381_34 Depth=1
                                        ; implicit-def: $vgpr16
                                        ; implicit-def: $vgpr17
	s_cbranch_execz .LBB2381_34
; %bb.42:
	s_and_saveexec_b64 s[38:39], s[18:19]
	s_cbranch_execz .LBB2381_44
; %bb.43:
	s_add_i32 s6, s6, 64
	s_mov_b32 s7, 0
	s_lshl_b64 s[6:7], s[6:7], 3
	s_add_u32 s6, s34, s6
	v_add_u32_e32 v12, v11, v10
	v_mov_b32_e32 v13, 2
	s_addc_u32 s7, s35, s7
	v_mov_b32_e32 v14, 0
	global_store_dwordx2 v14, v[12:13], s[6:7]
	ds_write_b64 v14, v[10:11] offset:6336
.LBB2381_44:
	s_or_b64 exec, exec, s[38:39]
	v_cmp_eq_u32_e32 vcc, 0, v0
	s_and_b64 exec, exec, vcc
	s_cbranch_execz .LBB2381_46
; %bb.45:
	v_mov_b32_e32 v10, 0
	ds_write_b32 v10, v11 offset:8
.LBB2381_46:
	s_or_b64 exec, exec, s[36:37]
	v_mov_b32_e32 v10, 0
	s_waitcnt lgkmcnt(0)
	s_barrier
	ds_read_b32 v11, v10 offset:8
	v_cndmask_b32_e64 v12, v28, v27, s[18:19]
	v_cmp_ne_u32_e32 vcc, 0, v0
	v_cndmask_b32_e32 v12, 0, v12, vcc
	s_waitcnt lgkmcnt(0)
	v_add_u32_e32 v14, v11, v12
	s_barrier
	ds_read_b64 v[10:11], v10 offset:6336
	v_add_u32_sdwa v15, v14, v21 dst_sel:DWORD dst_unused:UNUSED_PAD src0_sel:DWORD src1_sel:BYTE_0
	v_add_u32_sdwa v13, v15, v21 dst_sel:DWORD dst_unused:UNUSED_PAD src0_sel:DWORD src1_sel:BYTE_1
	v_add_u32_e32 v12, v13, v23
	s_load_dwordx2 s[4:5], s[4:5], 0x38
	s_branch .LBB2381_57
.LBB2381_47:
                                        ; implicit-def: $vgpr11
                                        ; implicit-def: $vgpr12
                                        ; implicit-def: $vgpr13
                                        ; implicit-def: $vgpr15
                                        ; implicit-def: $vgpr14
	s_load_dwordx2 s[4:5], s[4:5], 0x38
	s_cbranch_execz .LBB2381_57
; %bb.48:
	s_waitcnt lgkmcnt(0)
	v_mov_b32_dpp v10, v26 row_shr:1 row_mask:0xf bank_mask:0xf
	v_cndmask_b32_e64 v10, v10, 0, s[16:17]
	v_add_u32_e32 v10, v10, v26
	s_nop 1
	v_mov_b32_dpp v11, v10 row_shr:2 row_mask:0xf bank_mask:0xf
	v_cndmask_b32_e64 v11, 0, v11, s[14:15]
	v_add_u32_e32 v10, v10, v11
	s_nop 1
	;; [unrolled: 4-line block ×4, first 2 shown]
	v_mov_b32_dpp v11, v10 row_bcast:15 row_mask:0xf bank_mask:0xf
	v_cndmask_b32_e64 v11, v11, 0, s[20:21]
	v_add_u32_e32 v10, v10, v11
	s_nop 1
	v_mov_b32_dpp v11, v10 row_bcast:31 row_mask:0xf bank_mask:0xf
	v_cndmask_b32_e64 v11, 0, v11, s[2:3]
	v_add_u32_e32 v10, v10, v11
	s_and_saveexec_b64 s[2:3], s[8:9]
	s_cbranch_execz .LBB2381_50
; %bb.49:
	v_lshlrev_b32_e32 v11, 2, v25
	ds_write_b32 v11, v10
.LBB2381_50:
	s_or_b64 exec, exec, s[2:3]
	v_cmp_gt_u32_e32 vcc, 3, v0
	s_waitcnt lgkmcnt(0)
	s_barrier
	s_and_saveexec_b64 s[2:3], vcc
	s_cbranch_execz .LBB2381_52
; %bb.51:
	ds_read_b32 v11, v1
	v_and_b32_e32 v12, 3, v24
	v_cmp_ne_u32_e32 vcc, 0, v12
	s_waitcnt lgkmcnt(0)
	v_mov_b32_dpp v13, v11 row_shr:1 row_mask:0xf bank_mask:0xf
	v_cndmask_b32_e32 v13, 0, v13, vcc
	v_add_u32_e32 v11, v13, v11
	v_cmp_lt_u32_e32 vcc, 1, v12
	s_nop 0
	v_mov_b32_dpp v13, v11 row_shr:2 row_mask:0xf bank_mask:0xf
	v_cndmask_b32_e32 v12, 0, v13, vcc
	v_add_u32_e32 v11, v11, v12
	ds_write_b32 v1, v11
.LBB2381_52:
	s_or_b64 exec, exec, s[2:3]
	v_cmp_lt_u32_e32 vcc, 63, v0
	v_mov_b32_e32 v11, 0
	v_mov_b32_e32 v12, 0
	s_waitcnt lgkmcnt(0)
	s_barrier
	s_and_saveexec_b64 s[2:3], vcc
	s_cbranch_execz .LBB2381_54
; %bb.53:
	v_lshl_add_u32 v12, v25, 2, -4
	ds_read_b32 v12, v12
.LBB2381_54:
	s_or_b64 exec, exec, s[2:3]
	v_add_u32_e32 v13, -1, v24
	v_and_b32_e32 v14, 64, v24
	v_cmp_lt_i32_e32 vcc, v13, v14
	v_cndmask_b32_e32 v13, v13, v24, vcc
	s_waitcnt lgkmcnt(0)
	v_add_u32_e32 v10, v12, v10
	v_lshlrev_b32_e32 v13, 2, v13
	ds_bpermute_b32 v13, v13, v10
	ds_read_b32 v10, v11 offset:8
	v_cmp_eq_u32_e32 vcc, 0, v0
	s_and_saveexec_b64 s[2:3], vcc
	s_cbranch_execz .LBB2381_56
; %bb.55:
	v_mov_b32_e32 v14, 0
	v_mov_b32_e32 v11, 2
	s_waitcnt lgkmcnt(0)
	global_store_dwordx2 v14, v[10:11], s[34:35] offset:512
.LBB2381_56:
	s_or_b64 exec, exec, s[2:3]
	v_cmp_eq_u32_e64 s[2:3], 0, v24
	s_waitcnt lgkmcnt(1)
	v_cndmask_b32_e64 v12, v13, v12, s[2:3]
	v_cndmask_b32_e64 v14, v12, 0, vcc
	v_add_u32_sdwa v15, v14, v21 dst_sel:DWORD dst_unused:UNUSED_PAD src0_sel:DWORD src1_sel:BYTE_0
	v_add_u32_sdwa v13, v15, v21 dst_sel:DWORD dst_unused:UNUSED_PAD src0_sel:DWORD src1_sel:BYTE_1
	v_mov_b32_e32 v11, 0
	v_add_u32_e32 v12, v13, v23
	s_waitcnt lgkmcnt(0)
	s_barrier
.LBB2381_57:
	s_waitcnt lgkmcnt(0)
	v_add_u32_e32 v1, v10, v1
	v_sub_u32_e32 v14, v14, v11
	v_and_b32_e32 v18, 1, v21
	v_sub_u32_e32 v17, v1, v14
	v_cmp_eq_u32_e32 vcc, 1, v18
	v_cndmask_b32_e32 v14, v17, v14, vcc
	v_lshlrev_b32_e32 v14, 3, v14
	v_lshrrev_b32_e32 v16, 8, v21
	ds_write_b64 v14, v[6:7]
	v_sub_u32_e32 v6, v15, v11
	v_sub_u32_e32 v7, v1, v6
	v_and_b32_e32 v14, 1, v16
	v_add_u32_e32 v7, 1, v7
	v_cmp_eq_u32_e32 vcc, 1, v14
	v_cndmask_b32_e32 v6, v7, v6, vcc
	v_lshlrev_b32_e32 v6, 3, v6
	ds_write_b64 v6, v[8:9]
	v_sub_u32_e32 v6, v13, v11
	v_mov_b32_e32 v8, 1
	v_sub_u32_e32 v7, v1, v6
	v_and_b32_sdwa v8, v8, v21 dst_sel:DWORD dst_unused:UNUSED_PAD src0_sel:DWORD src1_sel:WORD_1
	v_add_u32_e32 v7, 2, v7
	v_cmp_eq_u32_e32 vcc, 1, v8
	v_cndmask_b32_e32 v6, v7, v6, vcc
	v_lshlrev_b32_e32 v6, 3, v6
	ds_write_b64 v6, v[2:3]
	v_sub_u32_e32 v2, v12, v11
	v_sub_u32_e32 v1, v1, v2
	v_and_b32_e32 v3, 1, v22
	v_add_u32_e32 v1, 3, v1
	v_cmp_eq_u32_e32 vcc, 1, v3
	v_cndmask_b32_e32 v1, v1, v2, vcc
	v_lshlrev_b32_e32 v1, 3, v1
	ds_write_b64 v1, v[4:5]
	v_mov_b32_e32 v1, s29
	v_add_co_u32_e32 v12, vcc, s28, v10
	v_addc_co_u32_e32 v1, vcc, 0, v1, vcc
	v_add_co_u32_e32 v12, vcc, v12, v11
	v_addc_co_u32_e32 v13, vcc, 0, v1, vcc
	v_mov_b32_e32 v1, s23
	v_sub_co_u32_e32 v18, vcc, s22, v12
	v_subb_co_u32_e32 v19, vcc, v1, v13, vcc
	v_lshlrev_b64 v[18:19], 3, v[18:19]
	s_waitcnt lgkmcnt(0)
	s_barrier
	ds_read2st64_b64 v[6:9], v20 offset1:3
	ds_read2st64_b64 v[2:5], v20 offset0:6 offset1:9
	v_mov_b32_e32 v1, s5
	v_add_co_u32_e32 v11, vcc, s4, v18
	v_addc_co_u32_e32 v1, vcc, v1, v19, vcc
	v_mov_b32_e32 v18, s31
	v_add_co_u32_e32 v14, vcc, s30, v11
	v_addc_co_u32_e32 v1, vcc, v1, v18, vcc
	v_add_u32_e32 v17, 0xc0, v0
	v_add_u32_e32 v16, 0x180, v0
	;; [unrolled: 1-line block ×3, first 2 shown]
	s_and_b64 vcc, exec, s[0:1]
	v_cmp_ge_u32_e64 s[0:1], v0, v10
	s_cbranch_vccnz .LBB2381_63
; %bb.58:
	s_and_saveexec_b64 s[2:3], s[0:1]
	s_cbranch_execnz .LBB2381_76
; %bb.59:
	s_or_b64 exec, exec, s[2:3]
	v_cmp_ge_u32_e32 vcc, v17, v10
	s_and_saveexec_b64 s[0:1], vcc
	s_cbranch_execnz .LBB2381_77
.LBB2381_60:
	s_or_b64 exec, exec, s[0:1]
	v_cmp_ge_u32_e32 vcc, v16, v10
	s_and_saveexec_b64 s[0:1], vcc
	s_cbranch_execz .LBB2381_62
.LBB2381_61:
	v_readfirstlane_b32 s2, v14
	v_readfirstlane_b32 s3, v1
	s_waitcnt lgkmcnt(0)
	s_nop 3
	global_store_dwordx2 v20, v[2:3], s[2:3] offset:3072
.LBB2381_62:
	s_or_b64 exec, exec, s[0:1]
	v_cmp_ge_u32_e64 s[0:1], v15, v10
	s_branch .LBB2381_71
.LBB2381_63:
	s_mov_b64 s[0:1], 0
	s_cbranch_execz .LBB2381_71
; %bb.64:
	v_cmp_gt_u32_e32 vcc, s33, v0
	v_cmp_ge_u32_e64 s[0:1], v0, v10
	s_and_b64 s[2:3], vcc, s[0:1]
	s_and_saveexec_b64 s[0:1], s[2:3]
	s_cbranch_execz .LBB2381_66
; %bb.65:
	v_readfirstlane_b32 s2, v14
	v_readfirstlane_b32 s3, v1
	s_waitcnt lgkmcnt(1)
	s_nop 3
	global_store_dwordx2 v20, v[6:7], s[2:3]
.LBB2381_66:
	s_or_b64 exec, exec, s[0:1]
	v_cmp_gt_u32_e32 vcc, s33, v17
	v_cmp_ge_u32_e64 s[0:1], v17, v10
	s_and_b64 s[2:3], vcc, s[0:1]
	s_and_saveexec_b64 s[0:1], s[2:3]
	s_cbranch_execz .LBB2381_68
; %bb.67:
	v_readfirstlane_b32 s2, v14
	v_readfirstlane_b32 s3, v1
	s_waitcnt lgkmcnt(1)
	s_nop 3
	global_store_dwordx2 v20, v[8:9], s[2:3] offset:1536
.LBB2381_68:
	s_or_b64 exec, exec, s[0:1]
	v_cmp_gt_u32_e32 vcc, s33, v16
	v_cmp_ge_u32_e64 s[0:1], v16, v10
	s_and_b64 s[2:3], vcc, s[0:1]
	s_and_saveexec_b64 s[0:1], s[2:3]
	s_cbranch_execz .LBB2381_70
; %bb.69:
	v_readfirstlane_b32 s2, v14
	v_readfirstlane_b32 s3, v1
	s_waitcnt lgkmcnt(0)
	s_nop 3
	global_store_dwordx2 v20, v[2:3], s[2:3] offset:3072
.LBB2381_70:
	s_or_b64 exec, exec, s[0:1]
	v_cmp_gt_u32_e32 vcc, s33, v15
	v_cmp_ge_u32_e64 s[0:1], v15, v10
	s_and_b64 s[0:1], vcc, s[0:1]
.LBB2381_71:
	s_and_saveexec_b64 s[2:3], s[0:1]
	s_cbranch_execz .LBB2381_73
; %bb.72:
	s_waitcnt lgkmcnt(0)
	v_lshlrev_b32_e32 v2, 3, v15
	v_readfirstlane_b32 s0, v14
	v_readfirstlane_b32 s1, v1
	s_nop 4
	global_store_dwordx2 v2, v[4:5], s[0:1]
.LBB2381_73:
	s_or_b64 exec, exec, s[2:3]
	v_cmp_eq_u32_e32 vcc, 0, v0
	s_and_b64 s[0:1], vcc, s[26:27]
	s_and_saveexec_b64 s[2:3], s[0:1]
	s_cbranch_execz .LBB2381_75
; %bb.74:
	v_mov_b32_e32 v0, 0
	global_store_dwordx2 v0, v[12:13], s[24:25]
.LBB2381_75:
	s_endpgm
.LBB2381_76:
	v_readfirstlane_b32 s0, v14
	v_readfirstlane_b32 s1, v1
	s_waitcnt lgkmcnt(1)
	s_nop 3
	global_store_dwordx2 v20, v[6:7], s[0:1]
	s_or_b64 exec, exec, s[2:3]
	v_cmp_ge_u32_e32 vcc, v17, v10
	s_and_saveexec_b64 s[0:1], vcc
	s_cbranch_execz .LBB2381_60
.LBB2381_77:
	v_readfirstlane_b32 s2, v14
	v_readfirstlane_b32 s3, v1
	s_waitcnt lgkmcnt(1)
	s_nop 3
	global_store_dwordx2 v20, v[8:9], s[2:3] offset:1536
	s_or_b64 exec, exec, s[0:1]
	v_cmp_ge_u32_e32 vcc, v16, v10
	s_and_saveexec_b64 s[0:1], vcc
	s_cbranch_execnz .LBB2381_61
	s_branch .LBB2381_62
	.section	.rodata,"a",@progbits
	.p2align	6, 0x0
	.amdhsa_kernel _ZN7rocprim17ROCPRIM_400000_NS6detail17trampoline_kernelINS0_14default_configENS1_25partition_config_selectorILNS1_17partition_subalgoE0EyNS0_10empty_typeEbEEZZNS1_14partition_implILS5_0ELb0ES3_jN6thrust23THRUST_200600_302600_NS6detail15normal_iteratorINSA_10device_ptrIyEEEEPS6_SG_NS0_5tupleIJNSA_16discard_iteratorINSA_11use_defaultEEESF_EEENSH_IJSG_SG_EEES6_PlJ7is_evenIyEEEE10hipError_tPvRmT3_T4_T5_T6_T7_T9_mT8_P12ihipStream_tbDpT10_ENKUlT_T0_E_clISt17integral_constantIbLb1EES18_IbLb0EEEEDaS14_S15_EUlS14_E_NS1_11comp_targetILNS1_3genE4ELNS1_11target_archE910ELNS1_3gpuE8ELNS1_3repE0EEENS1_30default_config_static_selectorELNS0_4arch9wavefront6targetE1EEEvT1_
		.amdhsa_group_segment_fixed_size 6344
		.amdhsa_private_segment_fixed_size 0
		.amdhsa_kernarg_size 128
		.amdhsa_user_sgpr_count 6
		.amdhsa_user_sgpr_private_segment_buffer 1
		.amdhsa_user_sgpr_dispatch_ptr 0
		.amdhsa_user_sgpr_queue_ptr 0
		.amdhsa_user_sgpr_kernarg_segment_ptr 1
		.amdhsa_user_sgpr_dispatch_id 0
		.amdhsa_user_sgpr_flat_scratch_init 0
		.amdhsa_user_sgpr_kernarg_preload_length 0
		.amdhsa_user_sgpr_kernarg_preload_offset 0
		.amdhsa_user_sgpr_private_segment_size 0
		.amdhsa_uses_dynamic_stack 0
		.amdhsa_system_sgpr_private_segment_wavefront_offset 0
		.amdhsa_system_sgpr_workgroup_id_x 1
		.amdhsa_system_sgpr_workgroup_id_y 0
		.amdhsa_system_sgpr_workgroup_id_z 0
		.amdhsa_system_sgpr_workgroup_info 0
		.amdhsa_system_vgpr_workitem_id 0
		.amdhsa_next_free_vgpr 43
		.amdhsa_next_free_sgpr 44
		.amdhsa_accum_offset 44
		.amdhsa_reserve_vcc 1
		.amdhsa_reserve_flat_scratch 0
		.amdhsa_float_round_mode_32 0
		.amdhsa_float_round_mode_16_64 0
		.amdhsa_float_denorm_mode_32 3
		.amdhsa_float_denorm_mode_16_64 3
		.amdhsa_dx10_clamp 1
		.amdhsa_ieee_mode 1
		.amdhsa_fp16_overflow 0
		.amdhsa_tg_split 0
		.amdhsa_exception_fp_ieee_invalid_op 0
		.amdhsa_exception_fp_denorm_src 0
		.amdhsa_exception_fp_ieee_div_zero 0
		.amdhsa_exception_fp_ieee_overflow 0
		.amdhsa_exception_fp_ieee_underflow 0
		.amdhsa_exception_fp_ieee_inexact 0
		.amdhsa_exception_int_div_zero 0
	.end_amdhsa_kernel
	.section	.text._ZN7rocprim17ROCPRIM_400000_NS6detail17trampoline_kernelINS0_14default_configENS1_25partition_config_selectorILNS1_17partition_subalgoE0EyNS0_10empty_typeEbEEZZNS1_14partition_implILS5_0ELb0ES3_jN6thrust23THRUST_200600_302600_NS6detail15normal_iteratorINSA_10device_ptrIyEEEEPS6_SG_NS0_5tupleIJNSA_16discard_iteratorINSA_11use_defaultEEESF_EEENSH_IJSG_SG_EEES6_PlJ7is_evenIyEEEE10hipError_tPvRmT3_T4_T5_T6_T7_T9_mT8_P12ihipStream_tbDpT10_ENKUlT_T0_E_clISt17integral_constantIbLb1EES18_IbLb0EEEEDaS14_S15_EUlS14_E_NS1_11comp_targetILNS1_3genE4ELNS1_11target_archE910ELNS1_3gpuE8ELNS1_3repE0EEENS1_30default_config_static_selectorELNS0_4arch9wavefront6targetE1EEEvT1_,"axG",@progbits,_ZN7rocprim17ROCPRIM_400000_NS6detail17trampoline_kernelINS0_14default_configENS1_25partition_config_selectorILNS1_17partition_subalgoE0EyNS0_10empty_typeEbEEZZNS1_14partition_implILS5_0ELb0ES3_jN6thrust23THRUST_200600_302600_NS6detail15normal_iteratorINSA_10device_ptrIyEEEEPS6_SG_NS0_5tupleIJNSA_16discard_iteratorINSA_11use_defaultEEESF_EEENSH_IJSG_SG_EEES6_PlJ7is_evenIyEEEE10hipError_tPvRmT3_T4_T5_T6_T7_T9_mT8_P12ihipStream_tbDpT10_ENKUlT_T0_E_clISt17integral_constantIbLb1EES18_IbLb0EEEEDaS14_S15_EUlS14_E_NS1_11comp_targetILNS1_3genE4ELNS1_11target_archE910ELNS1_3gpuE8ELNS1_3repE0EEENS1_30default_config_static_selectorELNS0_4arch9wavefront6targetE1EEEvT1_,comdat
.Lfunc_end2381:
	.size	_ZN7rocprim17ROCPRIM_400000_NS6detail17trampoline_kernelINS0_14default_configENS1_25partition_config_selectorILNS1_17partition_subalgoE0EyNS0_10empty_typeEbEEZZNS1_14partition_implILS5_0ELb0ES3_jN6thrust23THRUST_200600_302600_NS6detail15normal_iteratorINSA_10device_ptrIyEEEEPS6_SG_NS0_5tupleIJNSA_16discard_iteratorINSA_11use_defaultEEESF_EEENSH_IJSG_SG_EEES6_PlJ7is_evenIyEEEE10hipError_tPvRmT3_T4_T5_T6_T7_T9_mT8_P12ihipStream_tbDpT10_ENKUlT_T0_E_clISt17integral_constantIbLb1EES18_IbLb0EEEEDaS14_S15_EUlS14_E_NS1_11comp_targetILNS1_3genE4ELNS1_11target_archE910ELNS1_3gpuE8ELNS1_3repE0EEENS1_30default_config_static_selectorELNS0_4arch9wavefront6targetE1EEEvT1_, .Lfunc_end2381-_ZN7rocprim17ROCPRIM_400000_NS6detail17trampoline_kernelINS0_14default_configENS1_25partition_config_selectorILNS1_17partition_subalgoE0EyNS0_10empty_typeEbEEZZNS1_14partition_implILS5_0ELb0ES3_jN6thrust23THRUST_200600_302600_NS6detail15normal_iteratorINSA_10device_ptrIyEEEEPS6_SG_NS0_5tupleIJNSA_16discard_iteratorINSA_11use_defaultEEESF_EEENSH_IJSG_SG_EEES6_PlJ7is_evenIyEEEE10hipError_tPvRmT3_T4_T5_T6_T7_T9_mT8_P12ihipStream_tbDpT10_ENKUlT_T0_E_clISt17integral_constantIbLb1EES18_IbLb0EEEEDaS14_S15_EUlS14_E_NS1_11comp_targetILNS1_3genE4ELNS1_11target_archE910ELNS1_3gpuE8ELNS1_3repE0EEENS1_30default_config_static_selectorELNS0_4arch9wavefront6targetE1EEEvT1_
                                        ; -- End function
	.section	.AMDGPU.csdata,"",@progbits
; Kernel info:
; codeLenInByte = 3676
; NumSgprs: 48
; NumVgprs: 43
; NumAgprs: 0
; TotalNumVgprs: 43
; ScratchSize: 0
; MemoryBound: 0
; FloatMode: 240
; IeeeMode: 1
; LDSByteSize: 6344 bytes/workgroup (compile time only)
; SGPRBlocks: 5
; VGPRBlocks: 5
; NumSGPRsForWavesPerEU: 48
; NumVGPRsForWavesPerEU: 43
; AccumOffset: 44
; Occupancy: 8
; WaveLimiterHint : 1
; COMPUTE_PGM_RSRC2:SCRATCH_EN: 0
; COMPUTE_PGM_RSRC2:USER_SGPR: 6
; COMPUTE_PGM_RSRC2:TRAP_HANDLER: 0
; COMPUTE_PGM_RSRC2:TGID_X_EN: 1
; COMPUTE_PGM_RSRC2:TGID_Y_EN: 0
; COMPUTE_PGM_RSRC2:TGID_Z_EN: 0
; COMPUTE_PGM_RSRC2:TIDIG_COMP_CNT: 0
; COMPUTE_PGM_RSRC3_GFX90A:ACCUM_OFFSET: 10
; COMPUTE_PGM_RSRC3_GFX90A:TG_SPLIT: 0
	.section	.text._ZN7rocprim17ROCPRIM_400000_NS6detail17trampoline_kernelINS0_14default_configENS1_25partition_config_selectorILNS1_17partition_subalgoE0EyNS0_10empty_typeEbEEZZNS1_14partition_implILS5_0ELb0ES3_jN6thrust23THRUST_200600_302600_NS6detail15normal_iteratorINSA_10device_ptrIyEEEEPS6_SG_NS0_5tupleIJNSA_16discard_iteratorINSA_11use_defaultEEESF_EEENSH_IJSG_SG_EEES6_PlJ7is_evenIyEEEE10hipError_tPvRmT3_T4_T5_T6_T7_T9_mT8_P12ihipStream_tbDpT10_ENKUlT_T0_E_clISt17integral_constantIbLb1EES18_IbLb0EEEEDaS14_S15_EUlS14_E_NS1_11comp_targetILNS1_3genE3ELNS1_11target_archE908ELNS1_3gpuE7ELNS1_3repE0EEENS1_30default_config_static_selectorELNS0_4arch9wavefront6targetE1EEEvT1_,"axG",@progbits,_ZN7rocprim17ROCPRIM_400000_NS6detail17trampoline_kernelINS0_14default_configENS1_25partition_config_selectorILNS1_17partition_subalgoE0EyNS0_10empty_typeEbEEZZNS1_14partition_implILS5_0ELb0ES3_jN6thrust23THRUST_200600_302600_NS6detail15normal_iteratorINSA_10device_ptrIyEEEEPS6_SG_NS0_5tupleIJNSA_16discard_iteratorINSA_11use_defaultEEESF_EEENSH_IJSG_SG_EEES6_PlJ7is_evenIyEEEE10hipError_tPvRmT3_T4_T5_T6_T7_T9_mT8_P12ihipStream_tbDpT10_ENKUlT_T0_E_clISt17integral_constantIbLb1EES18_IbLb0EEEEDaS14_S15_EUlS14_E_NS1_11comp_targetILNS1_3genE3ELNS1_11target_archE908ELNS1_3gpuE7ELNS1_3repE0EEENS1_30default_config_static_selectorELNS0_4arch9wavefront6targetE1EEEvT1_,comdat
	.protected	_ZN7rocprim17ROCPRIM_400000_NS6detail17trampoline_kernelINS0_14default_configENS1_25partition_config_selectorILNS1_17partition_subalgoE0EyNS0_10empty_typeEbEEZZNS1_14partition_implILS5_0ELb0ES3_jN6thrust23THRUST_200600_302600_NS6detail15normal_iteratorINSA_10device_ptrIyEEEEPS6_SG_NS0_5tupleIJNSA_16discard_iteratorINSA_11use_defaultEEESF_EEENSH_IJSG_SG_EEES6_PlJ7is_evenIyEEEE10hipError_tPvRmT3_T4_T5_T6_T7_T9_mT8_P12ihipStream_tbDpT10_ENKUlT_T0_E_clISt17integral_constantIbLb1EES18_IbLb0EEEEDaS14_S15_EUlS14_E_NS1_11comp_targetILNS1_3genE3ELNS1_11target_archE908ELNS1_3gpuE7ELNS1_3repE0EEENS1_30default_config_static_selectorELNS0_4arch9wavefront6targetE1EEEvT1_ ; -- Begin function _ZN7rocprim17ROCPRIM_400000_NS6detail17trampoline_kernelINS0_14default_configENS1_25partition_config_selectorILNS1_17partition_subalgoE0EyNS0_10empty_typeEbEEZZNS1_14partition_implILS5_0ELb0ES3_jN6thrust23THRUST_200600_302600_NS6detail15normal_iteratorINSA_10device_ptrIyEEEEPS6_SG_NS0_5tupleIJNSA_16discard_iteratorINSA_11use_defaultEEESF_EEENSH_IJSG_SG_EEES6_PlJ7is_evenIyEEEE10hipError_tPvRmT3_T4_T5_T6_T7_T9_mT8_P12ihipStream_tbDpT10_ENKUlT_T0_E_clISt17integral_constantIbLb1EES18_IbLb0EEEEDaS14_S15_EUlS14_E_NS1_11comp_targetILNS1_3genE3ELNS1_11target_archE908ELNS1_3gpuE7ELNS1_3repE0EEENS1_30default_config_static_selectorELNS0_4arch9wavefront6targetE1EEEvT1_
	.globl	_ZN7rocprim17ROCPRIM_400000_NS6detail17trampoline_kernelINS0_14default_configENS1_25partition_config_selectorILNS1_17partition_subalgoE0EyNS0_10empty_typeEbEEZZNS1_14partition_implILS5_0ELb0ES3_jN6thrust23THRUST_200600_302600_NS6detail15normal_iteratorINSA_10device_ptrIyEEEEPS6_SG_NS0_5tupleIJNSA_16discard_iteratorINSA_11use_defaultEEESF_EEENSH_IJSG_SG_EEES6_PlJ7is_evenIyEEEE10hipError_tPvRmT3_T4_T5_T6_T7_T9_mT8_P12ihipStream_tbDpT10_ENKUlT_T0_E_clISt17integral_constantIbLb1EES18_IbLb0EEEEDaS14_S15_EUlS14_E_NS1_11comp_targetILNS1_3genE3ELNS1_11target_archE908ELNS1_3gpuE7ELNS1_3repE0EEENS1_30default_config_static_selectorELNS0_4arch9wavefront6targetE1EEEvT1_
	.p2align	8
	.type	_ZN7rocprim17ROCPRIM_400000_NS6detail17trampoline_kernelINS0_14default_configENS1_25partition_config_selectorILNS1_17partition_subalgoE0EyNS0_10empty_typeEbEEZZNS1_14partition_implILS5_0ELb0ES3_jN6thrust23THRUST_200600_302600_NS6detail15normal_iteratorINSA_10device_ptrIyEEEEPS6_SG_NS0_5tupleIJNSA_16discard_iteratorINSA_11use_defaultEEESF_EEENSH_IJSG_SG_EEES6_PlJ7is_evenIyEEEE10hipError_tPvRmT3_T4_T5_T6_T7_T9_mT8_P12ihipStream_tbDpT10_ENKUlT_T0_E_clISt17integral_constantIbLb1EES18_IbLb0EEEEDaS14_S15_EUlS14_E_NS1_11comp_targetILNS1_3genE3ELNS1_11target_archE908ELNS1_3gpuE7ELNS1_3repE0EEENS1_30default_config_static_selectorELNS0_4arch9wavefront6targetE1EEEvT1_,@function
_ZN7rocprim17ROCPRIM_400000_NS6detail17trampoline_kernelINS0_14default_configENS1_25partition_config_selectorILNS1_17partition_subalgoE0EyNS0_10empty_typeEbEEZZNS1_14partition_implILS5_0ELb0ES3_jN6thrust23THRUST_200600_302600_NS6detail15normal_iteratorINSA_10device_ptrIyEEEEPS6_SG_NS0_5tupleIJNSA_16discard_iteratorINSA_11use_defaultEEESF_EEENSH_IJSG_SG_EEES6_PlJ7is_evenIyEEEE10hipError_tPvRmT3_T4_T5_T6_T7_T9_mT8_P12ihipStream_tbDpT10_ENKUlT_T0_E_clISt17integral_constantIbLb1EES18_IbLb0EEEEDaS14_S15_EUlS14_E_NS1_11comp_targetILNS1_3genE3ELNS1_11target_archE908ELNS1_3gpuE7ELNS1_3repE0EEENS1_30default_config_static_selectorELNS0_4arch9wavefront6targetE1EEEvT1_: ; @_ZN7rocprim17ROCPRIM_400000_NS6detail17trampoline_kernelINS0_14default_configENS1_25partition_config_selectorILNS1_17partition_subalgoE0EyNS0_10empty_typeEbEEZZNS1_14partition_implILS5_0ELb0ES3_jN6thrust23THRUST_200600_302600_NS6detail15normal_iteratorINSA_10device_ptrIyEEEEPS6_SG_NS0_5tupleIJNSA_16discard_iteratorINSA_11use_defaultEEESF_EEENSH_IJSG_SG_EEES6_PlJ7is_evenIyEEEE10hipError_tPvRmT3_T4_T5_T6_T7_T9_mT8_P12ihipStream_tbDpT10_ENKUlT_T0_E_clISt17integral_constantIbLb1EES18_IbLb0EEEEDaS14_S15_EUlS14_E_NS1_11comp_targetILNS1_3genE3ELNS1_11target_archE908ELNS1_3gpuE7ELNS1_3repE0EEENS1_30default_config_static_selectorELNS0_4arch9wavefront6targetE1EEEvT1_
; %bb.0:
	.section	.rodata,"a",@progbits
	.p2align	6, 0x0
	.amdhsa_kernel _ZN7rocprim17ROCPRIM_400000_NS6detail17trampoline_kernelINS0_14default_configENS1_25partition_config_selectorILNS1_17partition_subalgoE0EyNS0_10empty_typeEbEEZZNS1_14partition_implILS5_0ELb0ES3_jN6thrust23THRUST_200600_302600_NS6detail15normal_iteratorINSA_10device_ptrIyEEEEPS6_SG_NS0_5tupleIJNSA_16discard_iteratorINSA_11use_defaultEEESF_EEENSH_IJSG_SG_EEES6_PlJ7is_evenIyEEEE10hipError_tPvRmT3_T4_T5_T6_T7_T9_mT8_P12ihipStream_tbDpT10_ENKUlT_T0_E_clISt17integral_constantIbLb1EES18_IbLb0EEEEDaS14_S15_EUlS14_E_NS1_11comp_targetILNS1_3genE3ELNS1_11target_archE908ELNS1_3gpuE7ELNS1_3repE0EEENS1_30default_config_static_selectorELNS0_4arch9wavefront6targetE1EEEvT1_
		.amdhsa_group_segment_fixed_size 0
		.amdhsa_private_segment_fixed_size 0
		.amdhsa_kernarg_size 128
		.amdhsa_user_sgpr_count 6
		.amdhsa_user_sgpr_private_segment_buffer 1
		.amdhsa_user_sgpr_dispatch_ptr 0
		.amdhsa_user_sgpr_queue_ptr 0
		.amdhsa_user_sgpr_kernarg_segment_ptr 1
		.amdhsa_user_sgpr_dispatch_id 0
		.amdhsa_user_sgpr_flat_scratch_init 0
		.amdhsa_user_sgpr_kernarg_preload_length 0
		.amdhsa_user_sgpr_kernarg_preload_offset 0
		.amdhsa_user_sgpr_private_segment_size 0
		.amdhsa_uses_dynamic_stack 0
		.amdhsa_system_sgpr_private_segment_wavefront_offset 0
		.amdhsa_system_sgpr_workgroup_id_x 1
		.amdhsa_system_sgpr_workgroup_id_y 0
		.amdhsa_system_sgpr_workgroup_id_z 0
		.amdhsa_system_sgpr_workgroup_info 0
		.amdhsa_system_vgpr_workitem_id 0
		.amdhsa_next_free_vgpr 1
		.amdhsa_next_free_sgpr 0
		.amdhsa_accum_offset 4
		.amdhsa_reserve_vcc 0
		.amdhsa_reserve_flat_scratch 0
		.amdhsa_float_round_mode_32 0
		.amdhsa_float_round_mode_16_64 0
		.amdhsa_float_denorm_mode_32 3
		.amdhsa_float_denorm_mode_16_64 3
		.amdhsa_dx10_clamp 1
		.amdhsa_ieee_mode 1
		.amdhsa_fp16_overflow 0
		.amdhsa_tg_split 0
		.amdhsa_exception_fp_ieee_invalid_op 0
		.amdhsa_exception_fp_denorm_src 0
		.amdhsa_exception_fp_ieee_div_zero 0
		.amdhsa_exception_fp_ieee_overflow 0
		.amdhsa_exception_fp_ieee_underflow 0
		.amdhsa_exception_fp_ieee_inexact 0
		.amdhsa_exception_int_div_zero 0
	.end_amdhsa_kernel
	.section	.text._ZN7rocprim17ROCPRIM_400000_NS6detail17trampoline_kernelINS0_14default_configENS1_25partition_config_selectorILNS1_17partition_subalgoE0EyNS0_10empty_typeEbEEZZNS1_14partition_implILS5_0ELb0ES3_jN6thrust23THRUST_200600_302600_NS6detail15normal_iteratorINSA_10device_ptrIyEEEEPS6_SG_NS0_5tupleIJNSA_16discard_iteratorINSA_11use_defaultEEESF_EEENSH_IJSG_SG_EEES6_PlJ7is_evenIyEEEE10hipError_tPvRmT3_T4_T5_T6_T7_T9_mT8_P12ihipStream_tbDpT10_ENKUlT_T0_E_clISt17integral_constantIbLb1EES18_IbLb0EEEEDaS14_S15_EUlS14_E_NS1_11comp_targetILNS1_3genE3ELNS1_11target_archE908ELNS1_3gpuE7ELNS1_3repE0EEENS1_30default_config_static_selectorELNS0_4arch9wavefront6targetE1EEEvT1_,"axG",@progbits,_ZN7rocprim17ROCPRIM_400000_NS6detail17trampoline_kernelINS0_14default_configENS1_25partition_config_selectorILNS1_17partition_subalgoE0EyNS0_10empty_typeEbEEZZNS1_14partition_implILS5_0ELb0ES3_jN6thrust23THRUST_200600_302600_NS6detail15normal_iteratorINSA_10device_ptrIyEEEEPS6_SG_NS0_5tupleIJNSA_16discard_iteratorINSA_11use_defaultEEESF_EEENSH_IJSG_SG_EEES6_PlJ7is_evenIyEEEE10hipError_tPvRmT3_T4_T5_T6_T7_T9_mT8_P12ihipStream_tbDpT10_ENKUlT_T0_E_clISt17integral_constantIbLb1EES18_IbLb0EEEEDaS14_S15_EUlS14_E_NS1_11comp_targetILNS1_3genE3ELNS1_11target_archE908ELNS1_3gpuE7ELNS1_3repE0EEENS1_30default_config_static_selectorELNS0_4arch9wavefront6targetE1EEEvT1_,comdat
.Lfunc_end2382:
	.size	_ZN7rocprim17ROCPRIM_400000_NS6detail17trampoline_kernelINS0_14default_configENS1_25partition_config_selectorILNS1_17partition_subalgoE0EyNS0_10empty_typeEbEEZZNS1_14partition_implILS5_0ELb0ES3_jN6thrust23THRUST_200600_302600_NS6detail15normal_iteratorINSA_10device_ptrIyEEEEPS6_SG_NS0_5tupleIJNSA_16discard_iteratorINSA_11use_defaultEEESF_EEENSH_IJSG_SG_EEES6_PlJ7is_evenIyEEEE10hipError_tPvRmT3_T4_T5_T6_T7_T9_mT8_P12ihipStream_tbDpT10_ENKUlT_T0_E_clISt17integral_constantIbLb1EES18_IbLb0EEEEDaS14_S15_EUlS14_E_NS1_11comp_targetILNS1_3genE3ELNS1_11target_archE908ELNS1_3gpuE7ELNS1_3repE0EEENS1_30default_config_static_selectorELNS0_4arch9wavefront6targetE1EEEvT1_, .Lfunc_end2382-_ZN7rocprim17ROCPRIM_400000_NS6detail17trampoline_kernelINS0_14default_configENS1_25partition_config_selectorILNS1_17partition_subalgoE0EyNS0_10empty_typeEbEEZZNS1_14partition_implILS5_0ELb0ES3_jN6thrust23THRUST_200600_302600_NS6detail15normal_iteratorINSA_10device_ptrIyEEEEPS6_SG_NS0_5tupleIJNSA_16discard_iteratorINSA_11use_defaultEEESF_EEENSH_IJSG_SG_EEES6_PlJ7is_evenIyEEEE10hipError_tPvRmT3_T4_T5_T6_T7_T9_mT8_P12ihipStream_tbDpT10_ENKUlT_T0_E_clISt17integral_constantIbLb1EES18_IbLb0EEEEDaS14_S15_EUlS14_E_NS1_11comp_targetILNS1_3genE3ELNS1_11target_archE908ELNS1_3gpuE7ELNS1_3repE0EEENS1_30default_config_static_selectorELNS0_4arch9wavefront6targetE1EEEvT1_
                                        ; -- End function
	.section	.AMDGPU.csdata,"",@progbits
; Kernel info:
; codeLenInByte = 0
; NumSgprs: 4
; NumVgprs: 0
; NumAgprs: 0
; TotalNumVgprs: 0
; ScratchSize: 0
; MemoryBound: 0
; FloatMode: 240
; IeeeMode: 1
; LDSByteSize: 0 bytes/workgroup (compile time only)
; SGPRBlocks: 0
; VGPRBlocks: 0
; NumSGPRsForWavesPerEU: 4
; NumVGPRsForWavesPerEU: 1
; AccumOffset: 4
; Occupancy: 8
; WaveLimiterHint : 0
; COMPUTE_PGM_RSRC2:SCRATCH_EN: 0
; COMPUTE_PGM_RSRC2:USER_SGPR: 6
; COMPUTE_PGM_RSRC2:TRAP_HANDLER: 0
; COMPUTE_PGM_RSRC2:TGID_X_EN: 1
; COMPUTE_PGM_RSRC2:TGID_Y_EN: 0
; COMPUTE_PGM_RSRC2:TGID_Z_EN: 0
; COMPUTE_PGM_RSRC2:TIDIG_COMP_CNT: 0
; COMPUTE_PGM_RSRC3_GFX90A:ACCUM_OFFSET: 0
; COMPUTE_PGM_RSRC3_GFX90A:TG_SPLIT: 0
	.section	.text._ZN7rocprim17ROCPRIM_400000_NS6detail17trampoline_kernelINS0_14default_configENS1_25partition_config_selectorILNS1_17partition_subalgoE0EyNS0_10empty_typeEbEEZZNS1_14partition_implILS5_0ELb0ES3_jN6thrust23THRUST_200600_302600_NS6detail15normal_iteratorINSA_10device_ptrIyEEEEPS6_SG_NS0_5tupleIJNSA_16discard_iteratorINSA_11use_defaultEEESF_EEENSH_IJSG_SG_EEES6_PlJ7is_evenIyEEEE10hipError_tPvRmT3_T4_T5_T6_T7_T9_mT8_P12ihipStream_tbDpT10_ENKUlT_T0_E_clISt17integral_constantIbLb1EES18_IbLb0EEEEDaS14_S15_EUlS14_E_NS1_11comp_targetILNS1_3genE2ELNS1_11target_archE906ELNS1_3gpuE6ELNS1_3repE0EEENS1_30default_config_static_selectorELNS0_4arch9wavefront6targetE1EEEvT1_,"axG",@progbits,_ZN7rocprim17ROCPRIM_400000_NS6detail17trampoline_kernelINS0_14default_configENS1_25partition_config_selectorILNS1_17partition_subalgoE0EyNS0_10empty_typeEbEEZZNS1_14partition_implILS5_0ELb0ES3_jN6thrust23THRUST_200600_302600_NS6detail15normal_iteratorINSA_10device_ptrIyEEEEPS6_SG_NS0_5tupleIJNSA_16discard_iteratorINSA_11use_defaultEEESF_EEENSH_IJSG_SG_EEES6_PlJ7is_evenIyEEEE10hipError_tPvRmT3_T4_T5_T6_T7_T9_mT8_P12ihipStream_tbDpT10_ENKUlT_T0_E_clISt17integral_constantIbLb1EES18_IbLb0EEEEDaS14_S15_EUlS14_E_NS1_11comp_targetILNS1_3genE2ELNS1_11target_archE906ELNS1_3gpuE6ELNS1_3repE0EEENS1_30default_config_static_selectorELNS0_4arch9wavefront6targetE1EEEvT1_,comdat
	.protected	_ZN7rocprim17ROCPRIM_400000_NS6detail17trampoline_kernelINS0_14default_configENS1_25partition_config_selectorILNS1_17partition_subalgoE0EyNS0_10empty_typeEbEEZZNS1_14partition_implILS5_0ELb0ES3_jN6thrust23THRUST_200600_302600_NS6detail15normal_iteratorINSA_10device_ptrIyEEEEPS6_SG_NS0_5tupleIJNSA_16discard_iteratorINSA_11use_defaultEEESF_EEENSH_IJSG_SG_EEES6_PlJ7is_evenIyEEEE10hipError_tPvRmT3_T4_T5_T6_T7_T9_mT8_P12ihipStream_tbDpT10_ENKUlT_T0_E_clISt17integral_constantIbLb1EES18_IbLb0EEEEDaS14_S15_EUlS14_E_NS1_11comp_targetILNS1_3genE2ELNS1_11target_archE906ELNS1_3gpuE6ELNS1_3repE0EEENS1_30default_config_static_selectorELNS0_4arch9wavefront6targetE1EEEvT1_ ; -- Begin function _ZN7rocprim17ROCPRIM_400000_NS6detail17trampoline_kernelINS0_14default_configENS1_25partition_config_selectorILNS1_17partition_subalgoE0EyNS0_10empty_typeEbEEZZNS1_14partition_implILS5_0ELb0ES3_jN6thrust23THRUST_200600_302600_NS6detail15normal_iteratorINSA_10device_ptrIyEEEEPS6_SG_NS0_5tupleIJNSA_16discard_iteratorINSA_11use_defaultEEESF_EEENSH_IJSG_SG_EEES6_PlJ7is_evenIyEEEE10hipError_tPvRmT3_T4_T5_T6_T7_T9_mT8_P12ihipStream_tbDpT10_ENKUlT_T0_E_clISt17integral_constantIbLb1EES18_IbLb0EEEEDaS14_S15_EUlS14_E_NS1_11comp_targetILNS1_3genE2ELNS1_11target_archE906ELNS1_3gpuE6ELNS1_3repE0EEENS1_30default_config_static_selectorELNS0_4arch9wavefront6targetE1EEEvT1_
	.globl	_ZN7rocprim17ROCPRIM_400000_NS6detail17trampoline_kernelINS0_14default_configENS1_25partition_config_selectorILNS1_17partition_subalgoE0EyNS0_10empty_typeEbEEZZNS1_14partition_implILS5_0ELb0ES3_jN6thrust23THRUST_200600_302600_NS6detail15normal_iteratorINSA_10device_ptrIyEEEEPS6_SG_NS0_5tupleIJNSA_16discard_iteratorINSA_11use_defaultEEESF_EEENSH_IJSG_SG_EEES6_PlJ7is_evenIyEEEE10hipError_tPvRmT3_T4_T5_T6_T7_T9_mT8_P12ihipStream_tbDpT10_ENKUlT_T0_E_clISt17integral_constantIbLb1EES18_IbLb0EEEEDaS14_S15_EUlS14_E_NS1_11comp_targetILNS1_3genE2ELNS1_11target_archE906ELNS1_3gpuE6ELNS1_3repE0EEENS1_30default_config_static_selectorELNS0_4arch9wavefront6targetE1EEEvT1_
	.p2align	8
	.type	_ZN7rocprim17ROCPRIM_400000_NS6detail17trampoline_kernelINS0_14default_configENS1_25partition_config_selectorILNS1_17partition_subalgoE0EyNS0_10empty_typeEbEEZZNS1_14partition_implILS5_0ELb0ES3_jN6thrust23THRUST_200600_302600_NS6detail15normal_iteratorINSA_10device_ptrIyEEEEPS6_SG_NS0_5tupleIJNSA_16discard_iteratorINSA_11use_defaultEEESF_EEENSH_IJSG_SG_EEES6_PlJ7is_evenIyEEEE10hipError_tPvRmT3_T4_T5_T6_T7_T9_mT8_P12ihipStream_tbDpT10_ENKUlT_T0_E_clISt17integral_constantIbLb1EES18_IbLb0EEEEDaS14_S15_EUlS14_E_NS1_11comp_targetILNS1_3genE2ELNS1_11target_archE906ELNS1_3gpuE6ELNS1_3repE0EEENS1_30default_config_static_selectorELNS0_4arch9wavefront6targetE1EEEvT1_,@function
_ZN7rocprim17ROCPRIM_400000_NS6detail17trampoline_kernelINS0_14default_configENS1_25partition_config_selectorILNS1_17partition_subalgoE0EyNS0_10empty_typeEbEEZZNS1_14partition_implILS5_0ELb0ES3_jN6thrust23THRUST_200600_302600_NS6detail15normal_iteratorINSA_10device_ptrIyEEEEPS6_SG_NS0_5tupleIJNSA_16discard_iteratorINSA_11use_defaultEEESF_EEENSH_IJSG_SG_EEES6_PlJ7is_evenIyEEEE10hipError_tPvRmT3_T4_T5_T6_T7_T9_mT8_P12ihipStream_tbDpT10_ENKUlT_T0_E_clISt17integral_constantIbLb1EES18_IbLb0EEEEDaS14_S15_EUlS14_E_NS1_11comp_targetILNS1_3genE2ELNS1_11target_archE906ELNS1_3gpuE6ELNS1_3repE0EEENS1_30default_config_static_selectorELNS0_4arch9wavefront6targetE1EEEvT1_: ; @_ZN7rocprim17ROCPRIM_400000_NS6detail17trampoline_kernelINS0_14default_configENS1_25partition_config_selectorILNS1_17partition_subalgoE0EyNS0_10empty_typeEbEEZZNS1_14partition_implILS5_0ELb0ES3_jN6thrust23THRUST_200600_302600_NS6detail15normal_iteratorINSA_10device_ptrIyEEEEPS6_SG_NS0_5tupleIJNSA_16discard_iteratorINSA_11use_defaultEEESF_EEENSH_IJSG_SG_EEES6_PlJ7is_evenIyEEEE10hipError_tPvRmT3_T4_T5_T6_T7_T9_mT8_P12ihipStream_tbDpT10_ENKUlT_T0_E_clISt17integral_constantIbLb1EES18_IbLb0EEEEDaS14_S15_EUlS14_E_NS1_11comp_targetILNS1_3genE2ELNS1_11target_archE906ELNS1_3gpuE6ELNS1_3repE0EEENS1_30default_config_static_selectorELNS0_4arch9wavefront6targetE1EEEvT1_
; %bb.0:
	.section	.rodata,"a",@progbits
	.p2align	6, 0x0
	.amdhsa_kernel _ZN7rocprim17ROCPRIM_400000_NS6detail17trampoline_kernelINS0_14default_configENS1_25partition_config_selectorILNS1_17partition_subalgoE0EyNS0_10empty_typeEbEEZZNS1_14partition_implILS5_0ELb0ES3_jN6thrust23THRUST_200600_302600_NS6detail15normal_iteratorINSA_10device_ptrIyEEEEPS6_SG_NS0_5tupleIJNSA_16discard_iteratorINSA_11use_defaultEEESF_EEENSH_IJSG_SG_EEES6_PlJ7is_evenIyEEEE10hipError_tPvRmT3_T4_T5_T6_T7_T9_mT8_P12ihipStream_tbDpT10_ENKUlT_T0_E_clISt17integral_constantIbLb1EES18_IbLb0EEEEDaS14_S15_EUlS14_E_NS1_11comp_targetILNS1_3genE2ELNS1_11target_archE906ELNS1_3gpuE6ELNS1_3repE0EEENS1_30default_config_static_selectorELNS0_4arch9wavefront6targetE1EEEvT1_
		.amdhsa_group_segment_fixed_size 0
		.amdhsa_private_segment_fixed_size 0
		.amdhsa_kernarg_size 128
		.amdhsa_user_sgpr_count 6
		.amdhsa_user_sgpr_private_segment_buffer 1
		.amdhsa_user_sgpr_dispatch_ptr 0
		.amdhsa_user_sgpr_queue_ptr 0
		.amdhsa_user_sgpr_kernarg_segment_ptr 1
		.amdhsa_user_sgpr_dispatch_id 0
		.amdhsa_user_sgpr_flat_scratch_init 0
		.amdhsa_user_sgpr_kernarg_preload_length 0
		.amdhsa_user_sgpr_kernarg_preload_offset 0
		.amdhsa_user_sgpr_private_segment_size 0
		.amdhsa_uses_dynamic_stack 0
		.amdhsa_system_sgpr_private_segment_wavefront_offset 0
		.amdhsa_system_sgpr_workgroup_id_x 1
		.amdhsa_system_sgpr_workgroup_id_y 0
		.amdhsa_system_sgpr_workgroup_id_z 0
		.amdhsa_system_sgpr_workgroup_info 0
		.amdhsa_system_vgpr_workitem_id 0
		.amdhsa_next_free_vgpr 1
		.amdhsa_next_free_sgpr 0
		.amdhsa_accum_offset 4
		.amdhsa_reserve_vcc 0
		.amdhsa_reserve_flat_scratch 0
		.amdhsa_float_round_mode_32 0
		.amdhsa_float_round_mode_16_64 0
		.amdhsa_float_denorm_mode_32 3
		.amdhsa_float_denorm_mode_16_64 3
		.amdhsa_dx10_clamp 1
		.amdhsa_ieee_mode 1
		.amdhsa_fp16_overflow 0
		.amdhsa_tg_split 0
		.amdhsa_exception_fp_ieee_invalid_op 0
		.amdhsa_exception_fp_denorm_src 0
		.amdhsa_exception_fp_ieee_div_zero 0
		.amdhsa_exception_fp_ieee_overflow 0
		.amdhsa_exception_fp_ieee_underflow 0
		.amdhsa_exception_fp_ieee_inexact 0
		.amdhsa_exception_int_div_zero 0
	.end_amdhsa_kernel
	.section	.text._ZN7rocprim17ROCPRIM_400000_NS6detail17trampoline_kernelINS0_14default_configENS1_25partition_config_selectorILNS1_17partition_subalgoE0EyNS0_10empty_typeEbEEZZNS1_14partition_implILS5_0ELb0ES3_jN6thrust23THRUST_200600_302600_NS6detail15normal_iteratorINSA_10device_ptrIyEEEEPS6_SG_NS0_5tupleIJNSA_16discard_iteratorINSA_11use_defaultEEESF_EEENSH_IJSG_SG_EEES6_PlJ7is_evenIyEEEE10hipError_tPvRmT3_T4_T5_T6_T7_T9_mT8_P12ihipStream_tbDpT10_ENKUlT_T0_E_clISt17integral_constantIbLb1EES18_IbLb0EEEEDaS14_S15_EUlS14_E_NS1_11comp_targetILNS1_3genE2ELNS1_11target_archE906ELNS1_3gpuE6ELNS1_3repE0EEENS1_30default_config_static_selectorELNS0_4arch9wavefront6targetE1EEEvT1_,"axG",@progbits,_ZN7rocprim17ROCPRIM_400000_NS6detail17trampoline_kernelINS0_14default_configENS1_25partition_config_selectorILNS1_17partition_subalgoE0EyNS0_10empty_typeEbEEZZNS1_14partition_implILS5_0ELb0ES3_jN6thrust23THRUST_200600_302600_NS6detail15normal_iteratorINSA_10device_ptrIyEEEEPS6_SG_NS0_5tupleIJNSA_16discard_iteratorINSA_11use_defaultEEESF_EEENSH_IJSG_SG_EEES6_PlJ7is_evenIyEEEE10hipError_tPvRmT3_T4_T5_T6_T7_T9_mT8_P12ihipStream_tbDpT10_ENKUlT_T0_E_clISt17integral_constantIbLb1EES18_IbLb0EEEEDaS14_S15_EUlS14_E_NS1_11comp_targetILNS1_3genE2ELNS1_11target_archE906ELNS1_3gpuE6ELNS1_3repE0EEENS1_30default_config_static_selectorELNS0_4arch9wavefront6targetE1EEEvT1_,comdat
.Lfunc_end2383:
	.size	_ZN7rocprim17ROCPRIM_400000_NS6detail17trampoline_kernelINS0_14default_configENS1_25partition_config_selectorILNS1_17partition_subalgoE0EyNS0_10empty_typeEbEEZZNS1_14partition_implILS5_0ELb0ES3_jN6thrust23THRUST_200600_302600_NS6detail15normal_iteratorINSA_10device_ptrIyEEEEPS6_SG_NS0_5tupleIJNSA_16discard_iteratorINSA_11use_defaultEEESF_EEENSH_IJSG_SG_EEES6_PlJ7is_evenIyEEEE10hipError_tPvRmT3_T4_T5_T6_T7_T9_mT8_P12ihipStream_tbDpT10_ENKUlT_T0_E_clISt17integral_constantIbLb1EES18_IbLb0EEEEDaS14_S15_EUlS14_E_NS1_11comp_targetILNS1_3genE2ELNS1_11target_archE906ELNS1_3gpuE6ELNS1_3repE0EEENS1_30default_config_static_selectorELNS0_4arch9wavefront6targetE1EEEvT1_, .Lfunc_end2383-_ZN7rocprim17ROCPRIM_400000_NS6detail17trampoline_kernelINS0_14default_configENS1_25partition_config_selectorILNS1_17partition_subalgoE0EyNS0_10empty_typeEbEEZZNS1_14partition_implILS5_0ELb0ES3_jN6thrust23THRUST_200600_302600_NS6detail15normal_iteratorINSA_10device_ptrIyEEEEPS6_SG_NS0_5tupleIJNSA_16discard_iteratorINSA_11use_defaultEEESF_EEENSH_IJSG_SG_EEES6_PlJ7is_evenIyEEEE10hipError_tPvRmT3_T4_T5_T6_T7_T9_mT8_P12ihipStream_tbDpT10_ENKUlT_T0_E_clISt17integral_constantIbLb1EES18_IbLb0EEEEDaS14_S15_EUlS14_E_NS1_11comp_targetILNS1_3genE2ELNS1_11target_archE906ELNS1_3gpuE6ELNS1_3repE0EEENS1_30default_config_static_selectorELNS0_4arch9wavefront6targetE1EEEvT1_
                                        ; -- End function
	.section	.AMDGPU.csdata,"",@progbits
; Kernel info:
; codeLenInByte = 0
; NumSgprs: 4
; NumVgprs: 0
; NumAgprs: 0
; TotalNumVgprs: 0
; ScratchSize: 0
; MemoryBound: 0
; FloatMode: 240
; IeeeMode: 1
; LDSByteSize: 0 bytes/workgroup (compile time only)
; SGPRBlocks: 0
; VGPRBlocks: 0
; NumSGPRsForWavesPerEU: 4
; NumVGPRsForWavesPerEU: 1
; AccumOffset: 4
; Occupancy: 8
; WaveLimiterHint : 0
; COMPUTE_PGM_RSRC2:SCRATCH_EN: 0
; COMPUTE_PGM_RSRC2:USER_SGPR: 6
; COMPUTE_PGM_RSRC2:TRAP_HANDLER: 0
; COMPUTE_PGM_RSRC2:TGID_X_EN: 1
; COMPUTE_PGM_RSRC2:TGID_Y_EN: 0
; COMPUTE_PGM_RSRC2:TGID_Z_EN: 0
; COMPUTE_PGM_RSRC2:TIDIG_COMP_CNT: 0
; COMPUTE_PGM_RSRC3_GFX90A:ACCUM_OFFSET: 0
; COMPUTE_PGM_RSRC3_GFX90A:TG_SPLIT: 0
	.section	.text._ZN7rocprim17ROCPRIM_400000_NS6detail17trampoline_kernelINS0_14default_configENS1_25partition_config_selectorILNS1_17partition_subalgoE0EyNS0_10empty_typeEbEEZZNS1_14partition_implILS5_0ELb0ES3_jN6thrust23THRUST_200600_302600_NS6detail15normal_iteratorINSA_10device_ptrIyEEEEPS6_SG_NS0_5tupleIJNSA_16discard_iteratorINSA_11use_defaultEEESF_EEENSH_IJSG_SG_EEES6_PlJ7is_evenIyEEEE10hipError_tPvRmT3_T4_T5_T6_T7_T9_mT8_P12ihipStream_tbDpT10_ENKUlT_T0_E_clISt17integral_constantIbLb1EES18_IbLb0EEEEDaS14_S15_EUlS14_E_NS1_11comp_targetILNS1_3genE10ELNS1_11target_archE1200ELNS1_3gpuE4ELNS1_3repE0EEENS1_30default_config_static_selectorELNS0_4arch9wavefront6targetE1EEEvT1_,"axG",@progbits,_ZN7rocprim17ROCPRIM_400000_NS6detail17trampoline_kernelINS0_14default_configENS1_25partition_config_selectorILNS1_17partition_subalgoE0EyNS0_10empty_typeEbEEZZNS1_14partition_implILS5_0ELb0ES3_jN6thrust23THRUST_200600_302600_NS6detail15normal_iteratorINSA_10device_ptrIyEEEEPS6_SG_NS0_5tupleIJNSA_16discard_iteratorINSA_11use_defaultEEESF_EEENSH_IJSG_SG_EEES6_PlJ7is_evenIyEEEE10hipError_tPvRmT3_T4_T5_T6_T7_T9_mT8_P12ihipStream_tbDpT10_ENKUlT_T0_E_clISt17integral_constantIbLb1EES18_IbLb0EEEEDaS14_S15_EUlS14_E_NS1_11comp_targetILNS1_3genE10ELNS1_11target_archE1200ELNS1_3gpuE4ELNS1_3repE0EEENS1_30default_config_static_selectorELNS0_4arch9wavefront6targetE1EEEvT1_,comdat
	.protected	_ZN7rocprim17ROCPRIM_400000_NS6detail17trampoline_kernelINS0_14default_configENS1_25partition_config_selectorILNS1_17partition_subalgoE0EyNS0_10empty_typeEbEEZZNS1_14partition_implILS5_0ELb0ES3_jN6thrust23THRUST_200600_302600_NS6detail15normal_iteratorINSA_10device_ptrIyEEEEPS6_SG_NS0_5tupleIJNSA_16discard_iteratorINSA_11use_defaultEEESF_EEENSH_IJSG_SG_EEES6_PlJ7is_evenIyEEEE10hipError_tPvRmT3_T4_T5_T6_T7_T9_mT8_P12ihipStream_tbDpT10_ENKUlT_T0_E_clISt17integral_constantIbLb1EES18_IbLb0EEEEDaS14_S15_EUlS14_E_NS1_11comp_targetILNS1_3genE10ELNS1_11target_archE1200ELNS1_3gpuE4ELNS1_3repE0EEENS1_30default_config_static_selectorELNS0_4arch9wavefront6targetE1EEEvT1_ ; -- Begin function _ZN7rocprim17ROCPRIM_400000_NS6detail17trampoline_kernelINS0_14default_configENS1_25partition_config_selectorILNS1_17partition_subalgoE0EyNS0_10empty_typeEbEEZZNS1_14partition_implILS5_0ELb0ES3_jN6thrust23THRUST_200600_302600_NS6detail15normal_iteratorINSA_10device_ptrIyEEEEPS6_SG_NS0_5tupleIJNSA_16discard_iteratorINSA_11use_defaultEEESF_EEENSH_IJSG_SG_EEES6_PlJ7is_evenIyEEEE10hipError_tPvRmT3_T4_T5_T6_T7_T9_mT8_P12ihipStream_tbDpT10_ENKUlT_T0_E_clISt17integral_constantIbLb1EES18_IbLb0EEEEDaS14_S15_EUlS14_E_NS1_11comp_targetILNS1_3genE10ELNS1_11target_archE1200ELNS1_3gpuE4ELNS1_3repE0EEENS1_30default_config_static_selectorELNS0_4arch9wavefront6targetE1EEEvT1_
	.globl	_ZN7rocprim17ROCPRIM_400000_NS6detail17trampoline_kernelINS0_14default_configENS1_25partition_config_selectorILNS1_17partition_subalgoE0EyNS0_10empty_typeEbEEZZNS1_14partition_implILS5_0ELb0ES3_jN6thrust23THRUST_200600_302600_NS6detail15normal_iteratorINSA_10device_ptrIyEEEEPS6_SG_NS0_5tupleIJNSA_16discard_iteratorINSA_11use_defaultEEESF_EEENSH_IJSG_SG_EEES6_PlJ7is_evenIyEEEE10hipError_tPvRmT3_T4_T5_T6_T7_T9_mT8_P12ihipStream_tbDpT10_ENKUlT_T0_E_clISt17integral_constantIbLb1EES18_IbLb0EEEEDaS14_S15_EUlS14_E_NS1_11comp_targetILNS1_3genE10ELNS1_11target_archE1200ELNS1_3gpuE4ELNS1_3repE0EEENS1_30default_config_static_selectorELNS0_4arch9wavefront6targetE1EEEvT1_
	.p2align	8
	.type	_ZN7rocprim17ROCPRIM_400000_NS6detail17trampoline_kernelINS0_14default_configENS1_25partition_config_selectorILNS1_17partition_subalgoE0EyNS0_10empty_typeEbEEZZNS1_14partition_implILS5_0ELb0ES3_jN6thrust23THRUST_200600_302600_NS6detail15normal_iteratorINSA_10device_ptrIyEEEEPS6_SG_NS0_5tupleIJNSA_16discard_iteratorINSA_11use_defaultEEESF_EEENSH_IJSG_SG_EEES6_PlJ7is_evenIyEEEE10hipError_tPvRmT3_T4_T5_T6_T7_T9_mT8_P12ihipStream_tbDpT10_ENKUlT_T0_E_clISt17integral_constantIbLb1EES18_IbLb0EEEEDaS14_S15_EUlS14_E_NS1_11comp_targetILNS1_3genE10ELNS1_11target_archE1200ELNS1_3gpuE4ELNS1_3repE0EEENS1_30default_config_static_selectorELNS0_4arch9wavefront6targetE1EEEvT1_,@function
_ZN7rocprim17ROCPRIM_400000_NS6detail17trampoline_kernelINS0_14default_configENS1_25partition_config_selectorILNS1_17partition_subalgoE0EyNS0_10empty_typeEbEEZZNS1_14partition_implILS5_0ELb0ES3_jN6thrust23THRUST_200600_302600_NS6detail15normal_iteratorINSA_10device_ptrIyEEEEPS6_SG_NS0_5tupleIJNSA_16discard_iteratorINSA_11use_defaultEEESF_EEENSH_IJSG_SG_EEES6_PlJ7is_evenIyEEEE10hipError_tPvRmT3_T4_T5_T6_T7_T9_mT8_P12ihipStream_tbDpT10_ENKUlT_T0_E_clISt17integral_constantIbLb1EES18_IbLb0EEEEDaS14_S15_EUlS14_E_NS1_11comp_targetILNS1_3genE10ELNS1_11target_archE1200ELNS1_3gpuE4ELNS1_3repE0EEENS1_30default_config_static_selectorELNS0_4arch9wavefront6targetE1EEEvT1_: ; @_ZN7rocprim17ROCPRIM_400000_NS6detail17trampoline_kernelINS0_14default_configENS1_25partition_config_selectorILNS1_17partition_subalgoE0EyNS0_10empty_typeEbEEZZNS1_14partition_implILS5_0ELb0ES3_jN6thrust23THRUST_200600_302600_NS6detail15normal_iteratorINSA_10device_ptrIyEEEEPS6_SG_NS0_5tupleIJNSA_16discard_iteratorINSA_11use_defaultEEESF_EEENSH_IJSG_SG_EEES6_PlJ7is_evenIyEEEE10hipError_tPvRmT3_T4_T5_T6_T7_T9_mT8_P12ihipStream_tbDpT10_ENKUlT_T0_E_clISt17integral_constantIbLb1EES18_IbLb0EEEEDaS14_S15_EUlS14_E_NS1_11comp_targetILNS1_3genE10ELNS1_11target_archE1200ELNS1_3gpuE4ELNS1_3repE0EEENS1_30default_config_static_selectorELNS0_4arch9wavefront6targetE1EEEvT1_
; %bb.0:
	.section	.rodata,"a",@progbits
	.p2align	6, 0x0
	.amdhsa_kernel _ZN7rocprim17ROCPRIM_400000_NS6detail17trampoline_kernelINS0_14default_configENS1_25partition_config_selectorILNS1_17partition_subalgoE0EyNS0_10empty_typeEbEEZZNS1_14partition_implILS5_0ELb0ES3_jN6thrust23THRUST_200600_302600_NS6detail15normal_iteratorINSA_10device_ptrIyEEEEPS6_SG_NS0_5tupleIJNSA_16discard_iteratorINSA_11use_defaultEEESF_EEENSH_IJSG_SG_EEES6_PlJ7is_evenIyEEEE10hipError_tPvRmT3_T4_T5_T6_T7_T9_mT8_P12ihipStream_tbDpT10_ENKUlT_T0_E_clISt17integral_constantIbLb1EES18_IbLb0EEEEDaS14_S15_EUlS14_E_NS1_11comp_targetILNS1_3genE10ELNS1_11target_archE1200ELNS1_3gpuE4ELNS1_3repE0EEENS1_30default_config_static_selectorELNS0_4arch9wavefront6targetE1EEEvT1_
		.amdhsa_group_segment_fixed_size 0
		.amdhsa_private_segment_fixed_size 0
		.amdhsa_kernarg_size 128
		.amdhsa_user_sgpr_count 6
		.amdhsa_user_sgpr_private_segment_buffer 1
		.amdhsa_user_sgpr_dispatch_ptr 0
		.amdhsa_user_sgpr_queue_ptr 0
		.amdhsa_user_sgpr_kernarg_segment_ptr 1
		.amdhsa_user_sgpr_dispatch_id 0
		.amdhsa_user_sgpr_flat_scratch_init 0
		.amdhsa_user_sgpr_kernarg_preload_length 0
		.amdhsa_user_sgpr_kernarg_preload_offset 0
		.amdhsa_user_sgpr_private_segment_size 0
		.amdhsa_uses_dynamic_stack 0
		.amdhsa_system_sgpr_private_segment_wavefront_offset 0
		.amdhsa_system_sgpr_workgroup_id_x 1
		.amdhsa_system_sgpr_workgroup_id_y 0
		.amdhsa_system_sgpr_workgroup_id_z 0
		.amdhsa_system_sgpr_workgroup_info 0
		.amdhsa_system_vgpr_workitem_id 0
		.amdhsa_next_free_vgpr 1
		.amdhsa_next_free_sgpr 0
		.amdhsa_accum_offset 4
		.amdhsa_reserve_vcc 0
		.amdhsa_reserve_flat_scratch 0
		.amdhsa_float_round_mode_32 0
		.amdhsa_float_round_mode_16_64 0
		.amdhsa_float_denorm_mode_32 3
		.amdhsa_float_denorm_mode_16_64 3
		.amdhsa_dx10_clamp 1
		.amdhsa_ieee_mode 1
		.amdhsa_fp16_overflow 0
		.amdhsa_tg_split 0
		.amdhsa_exception_fp_ieee_invalid_op 0
		.amdhsa_exception_fp_denorm_src 0
		.amdhsa_exception_fp_ieee_div_zero 0
		.amdhsa_exception_fp_ieee_overflow 0
		.amdhsa_exception_fp_ieee_underflow 0
		.amdhsa_exception_fp_ieee_inexact 0
		.amdhsa_exception_int_div_zero 0
	.end_amdhsa_kernel
	.section	.text._ZN7rocprim17ROCPRIM_400000_NS6detail17trampoline_kernelINS0_14default_configENS1_25partition_config_selectorILNS1_17partition_subalgoE0EyNS0_10empty_typeEbEEZZNS1_14partition_implILS5_0ELb0ES3_jN6thrust23THRUST_200600_302600_NS6detail15normal_iteratorINSA_10device_ptrIyEEEEPS6_SG_NS0_5tupleIJNSA_16discard_iteratorINSA_11use_defaultEEESF_EEENSH_IJSG_SG_EEES6_PlJ7is_evenIyEEEE10hipError_tPvRmT3_T4_T5_T6_T7_T9_mT8_P12ihipStream_tbDpT10_ENKUlT_T0_E_clISt17integral_constantIbLb1EES18_IbLb0EEEEDaS14_S15_EUlS14_E_NS1_11comp_targetILNS1_3genE10ELNS1_11target_archE1200ELNS1_3gpuE4ELNS1_3repE0EEENS1_30default_config_static_selectorELNS0_4arch9wavefront6targetE1EEEvT1_,"axG",@progbits,_ZN7rocprim17ROCPRIM_400000_NS6detail17trampoline_kernelINS0_14default_configENS1_25partition_config_selectorILNS1_17partition_subalgoE0EyNS0_10empty_typeEbEEZZNS1_14partition_implILS5_0ELb0ES3_jN6thrust23THRUST_200600_302600_NS6detail15normal_iteratorINSA_10device_ptrIyEEEEPS6_SG_NS0_5tupleIJNSA_16discard_iteratorINSA_11use_defaultEEESF_EEENSH_IJSG_SG_EEES6_PlJ7is_evenIyEEEE10hipError_tPvRmT3_T4_T5_T6_T7_T9_mT8_P12ihipStream_tbDpT10_ENKUlT_T0_E_clISt17integral_constantIbLb1EES18_IbLb0EEEEDaS14_S15_EUlS14_E_NS1_11comp_targetILNS1_3genE10ELNS1_11target_archE1200ELNS1_3gpuE4ELNS1_3repE0EEENS1_30default_config_static_selectorELNS0_4arch9wavefront6targetE1EEEvT1_,comdat
.Lfunc_end2384:
	.size	_ZN7rocprim17ROCPRIM_400000_NS6detail17trampoline_kernelINS0_14default_configENS1_25partition_config_selectorILNS1_17partition_subalgoE0EyNS0_10empty_typeEbEEZZNS1_14partition_implILS5_0ELb0ES3_jN6thrust23THRUST_200600_302600_NS6detail15normal_iteratorINSA_10device_ptrIyEEEEPS6_SG_NS0_5tupleIJNSA_16discard_iteratorINSA_11use_defaultEEESF_EEENSH_IJSG_SG_EEES6_PlJ7is_evenIyEEEE10hipError_tPvRmT3_T4_T5_T6_T7_T9_mT8_P12ihipStream_tbDpT10_ENKUlT_T0_E_clISt17integral_constantIbLb1EES18_IbLb0EEEEDaS14_S15_EUlS14_E_NS1_11comp_targetILNS1_3genE10ELNS1_11target_archE1200ELNS1_3gpuE4ELNS1_3repE0EEENS1_30default_config_static_selectorELNS0_4arch9wavefront6targetE1EEEvT1_, .Lfunc_end2384-_ZN7rocprim17ROCPRIM_400000_NS6detail17trampoline_kernelINS0_14default_configENS1_25partition_config_selectorILNS1_17partition_subalgoE0EyNS0_10empty_typeEbEEZZNS1_14partition_implILS5_0ELb0ES3_jN6thrust23THRUST_200600_302600_NS6detail15normal_iteratorINSA_10device_ptrIyEEEEPS6_SG_NS0_5tupleIJNSA_16discard_iteratorINSA_11use_defaultEEESF_EEENSH_IJSG_SG_EEES6_PlJ7is_evenIyEEEE10hipError_tPvRmT3_T4_T5_T6_T7_T9_mT8_P12ihipStream_tbDpT10_ENKUlT_T0_E_clISt17integral_constantIbLb1EES18_IbLb0EEEEDaS14_S15_EUlS14_E_NS1_11comp_targetILNS1_3genE10ELNS1_11target_archE1200ELNS1_3gpuE4ELNS1_3repE0EEENS1_30default_config_static_selectorELNS0_4arch9wavefront6targetE1EEEvT1_
                                        ; -- End function
	.section	.AMDGPU.csdata,"",@progbits
; Kernel info:
; codeLenInByte = 0
; NumSgprs: 4
; NumVgprs: 0
; NumAgprs: 0
; TotalNumVgprs: 0
; ScratchSize: 0
; MemoryBound: 0
; FloatMode: 240
; IeeeMode: 1
; LDSByteSize: 0 bytes/workgroup (compile time only)
; SGPRBlocks: 0
; VGPRBlocks: 0
; NumSGPRsForWavesPerEU: 4
; NumVGPRsForWavesPerEU: 1
; AccumOffset: 4
; Occupancy: 8
; WaveLimiterHint : 0
; COMPUTE_PGM_RSRC2:SCRATCH_EN: 0
; COMPUTE_PGM_RSRC2:USER_SGPR: 6
; COMPUTE_PGM_RSRC2:TRAP_HANDLER: 0
; COMPUTE_PGM_RSRC2:TGID_X_EN: 1
; COMPUTE_PGM_RSRC2:TGID_Y_EN: 0
; COMPUTE_PGM_RSRC2:TGID_Z_EN: 0
; COMPUTE_PGM_RSRC2:TIDIG_COMP_CNT: 0
; COMPUTE_PGM_RSRC3_GFX90A:ACCUM_OFFSET: 0
; COMPUTE_PGM_RSRC3_GFX90A:TG_SPLIT: 0
	.section	.text._ZN7rocprim17ROCPRIM_400000_NS6detail17trampoline_kernelINS0_14default_configENS1_25partition_config_selectorILNS1_17partition_subalgoE0EyNS0_10empty_typeEbEEZZNS1_14partition_implILS5_0ELb0ES3_jN6thrust23THRUST_200600_302600_NS6detail15normal_iteratorINSA_10device_ptrIyEEEEPS6_SG_NS0_5tupleIJNSA_16discard_iteratorINSA_11use_defaultEEESF_EEENSH_IJSG_SG_EEES6_PlJ7is_evenIyEEEE10hipError_tPvRmT3_T4_T5_T6_T7_T9_mT8_P12ihipStream_tbDpT10_ENKUlT_T0_E_clISt17integral_constantIbLb1EES18_IbLb0EEEEDaS14_S15_EUlS14_E_NS1_11comp_targetILNS1_3genE9ELNS1_11target_archE1100ELNS1_3gpuE3ELNS1_3repE0EEENS1_30default_config_static_selectorELNS0_4arch9wavefront6targetE1EEEvT1_,"axG",@progbits,_ZN7rocprim17ROCPRIM_400000_NS6detail17trampoline_kernelINS0_14default_configENS1_25partition_config_selectorILNS1_17partition_subalgoE0EyNS0_10empty_typeEbEEZZNS1_14partition_implILS5_0ELb0ES3_jN6thrust23THRUST_200600_302600_NS6detail15normal_iteratorINSA_10device_ptrIyEEEEPS6_SG_NS0_5tupleIJNSA_16discard_iteratorINSA_11use_defaultEEESF_EEENSH_IJSG_SG_EEES6_PlJ7is_evenIyEEEE10hipError_tPvRmT3_T4_T5_T6_T7_T9_mT8_P12ihipStream_tbDpT10_ENKUlT_T0_E_clISt17integral_constantIbLb1EES18_IbLb0EEEEDaS14_S15_EUlS14_E_NS1_11comp_targetILNS1_3genE9ELNS1_11target_archE1100ELNS1_3gpuE3ELNS1_3repE0EEENS1_30default_config_static_selectorELNS0_4arch9wavefront6targetE1EEEvT1_,comdat
	.protected	_ZN7rocprim17ROCPRIM_400000_NS6detail17trampoline_kernelINS0_14default_configENS1_25partition_config_selectorILNS1_17partition_subalgoE0EyNS0_10empty_typeEbEEZZNS1_14partition_implILS5_0ELb0ES3_jN6thrust23THRUST_200600_302600_NS6detail15normal_iteratorINSA_10device_ptrIyEEEEPS6_SG_NS0_5tupleIJNSA_16discard_iteratorINSA_11use_defaultEEESF_EEENSH_IJSG_SG_EEES6_PlJ7is_evenIyEEEE10hipError_tPvRmT3_T4_T5_T6_T7_T9_mT8_P12ihipStream_tbDpT10_ENKUlT_T0_E_clISt17integral_constantIbLb1EES18_IbLb0EEEEDaS14_S15_EUlS14_E_NS1_11comp_targetILNS1_3genE9ELNS1_11target_archE1100ELNS1_3gpuE3ELNS1_3repE0EEENS1_30default_config_static_selectorELNS0_4arch9wavefront6targetE1EEEvT1_ ; -- Begin function _ZN7rocprim17ROCPRIM_400000_NS6detail17trampoline_kernelINS0_14default_configENS1_25partition_config_selectorILNS1_17partition_subalgoE0EyNS0_10empty_typeEbEEZZNS1_14partition_implILS5_0ELb0ES3_jN6thrust23THRUST_200600_302600_NS6detail15normal_iteratorINSA_10device_ptrIyEEEEPS6_SG_NS0_5tupleIJNSA_16discard_iteratorINSA_11use_defaultEEESF_EEENSH_IJSG_SG_EEES6_PlJ7is_evenIyEEEE10hipError_tPvRmT3_T4_T5_T6_T7_T9_mT8_P12ihipStream_tbDpT10_ENKUlT_T0_E_clISt17integral_constantIbLb1EES18_IbLb0EEEEDaS14_S15_EUlS14_E_NS1_11comp_targetILNS1_3genE9ELNS1_11target_archE1100ELNS1_3gpuE3ELNS1_3repE0EEENS1_30default_config_static_selectorELNS0_4arch9wavefront6targetE1EEEvT1_
	.globl	_ZN7rocprim17ROCPRIM_400000_NS6detail17trampoline_kernelINS0_14default_configENS1_25partition_config_selectorILNS1_17partition_subalgoE0EyNS0_10empty_typeEbEEZZNS1_14partition_implILS5_0ELb0ES3_jN6thrust23THRUST_200600_302600_NS6detail15normal_iteratorINSA_10device_ptrIyEEEEPS6_SG_NS0_5tupleIJNSA_16discard_iteratorINSA_11use_defaultEEESF_EEENSH_IJSG_SG_EEES6_PlJ7is_evenIyEEEE10hipError_tPvRmT3_T4_T5_T6_T7_T9_mT8_P12ihipStream_tbDpT10_ENKUlT_T0_E_clISt17integral_constantIbLb1EES18_IbLb0EEEEDaS14_S15_EUlS14_E_NS1_11comp_targetILNS1_3genE9ELNS1_11target_archE1100ELNS1_3gpuE3ELNS1_3repE0EEENS1_30default_config_static_selectorELNS0_4arch9wavefront6targetE1EEEvT1_
	.p2align	8
	.type	_ZN7rocprim17ROCPRIM_400000_NS6detail17trampoline_kernelINS0_14default_configENS1_25partition_config_selectorILNS1_17partition_subalgoE0EyNS0_10empty_typeEbEEZZNS1_14partition_implILS5_0ELb0ES3_jN6thrust23THRUST_200600_302600_NS6detail15normal_iteratorINSA_10device_ptrIyEEEEPS6_SG_NS0_5tupleIJNSA_16discard_iteratorINSA_11use_defaultEEESF_EEENSH_IJSG_SG_EEES6_PlJ7is_evenIyEEEE10hipError_tPvRmT3_T4_T5_T6_T7_T9_mT8_P12ihipStream_tbDpT10_ENKUlT_T0_E_clISt17integral_constantIbLb1EES18_IbLb0EEEEDaS14_S15_EUlS14_E_NS1_11comp_targetILNS1_3genE9ELNS1_11target_archE1100ELNS1_3gpuE3ELNS1_3repE0EEENS1_30default_config_static_selectorELNS0_4arch9wavefront6targetE1EEEvT1_,@function
_ZN7rocprim17ROCPRIM_400000_NS6detail17trampoline_kernelINS0_14default_configENS1_25partition_config_selectorILNS1_17partition_subalgoE0EyNS0_10empty_typeEbEEZZNS1_14partition_implILS5_0ELb0ES3_jN6thrust23THRUST_200600_302600_NS6detail15normal_iteratorINSA_10device_ptrIyEEEEPS6_SG_NS0_5tupleIJNSA_16discard_iteratorINSA_11use_defaultEEESF_EEENSH_IJSG_SG_EEES6_PlJ7is_evenIyEEEE10hipError_tPvRmT3_T4_T5_T6_T7_T9_mT8_P12ihipStream_tbDpT10_ENKUlT_T0_E_clISt17integral_constantIbLb1EES18_IbLb0EEEEDaS14_S15_EUlS14_E_NS1_11comp_targetILNS1_3genE9ELNS1_11target_archE1100ELNS1_3gpuE3ELNS1_3repE0EEENS1_30default_config_static_selectorELNS0_4arch9wavefront6targetE1EEEvT1_: ; @_ZN7rocprim17ROCPRIM_400000_NS6detail17trampoline_kernelINS0_14default_configENS1_25partition_config_selectorILNS1_17partition_subalgoE0EyNS0_10empty_typeEbEEZZNS1_14partition_implILS5_0ELb0ES3_jN6thrust23THRUST_200600_302600_NS6detail15normal_iteratorINSA_10device_ptrIyEEEEPS6_SG_NS0_5tupleIJNSA_16discard_iteratorINSA_11use_defaultEEESF_EEENSH_IJSG_SG_EEES6_PlJ7is_evenIyEEEE10hipError_tPvRmT3_T4_T5_T6_T7_T9_mT8_P12ihipStream_tbDpT10_ENKUlT_T0_E_clISt17integral_constantIbLb1EES18_IbLb0EEEEDaS14_S15_EUlS14_E_NS1_11comp_targetILNS1_3genE9ELNS1_11target_archE1100ELNS1_3gpuE3ELNS1_3repE0EEENS1_30default_config_static_selectorELNS0_4arch9wavefront6targetE1EEEvT1_
; %bb.0:
	.section	.rodata,"a",@progbits
	.p2align	6, 0x0
	.amdhsa_kernel _ZN7rocprim17ROCPRIM_400000_NS6detail17trampoline_kernelINS0_14default_configENS1_25partition_config_selectorILNS1_17partition_subalgoE0EyNS0_10empty_typeEbEEZZNS1_14partition_implILS5_0ELb0ES3_jN6thrust23THRUST_200600_302600_NS6detail15normal_iteratorINSA_10device_ptrIyEEEEPS6_SG_NS0_5tupleIJNSA_16discard_iteratorINSA_11use_defaultEEESF_EEENSH_IJSG_SG_EEES6_PlJ7is_evenIyEEEE10hipError_tPvRmT3_T4_T5_T6_T7_T9_mT8_P12ihipStream_tbDpT10_ENKUlT_T0_E_clISt17integral_constantIbLb1EES18_IbLb0EEEEDaS14_S15_EUlS14_E_NS1_11comp_targetILNS1_3genE9ELNS1_11target_archE1100ELNS1_3gpuE3ELNS1_3repE0EEENS1_30default_config_static_selectorELNS0_4arch9wavefront6targetE1EEEvT1_
		.amdhsa_group_segment_fixed_size 0
		.amdhsa_private_segment_fixed_size 0
		.amdhsa_kernarg_size 128
		.amdhsa_user_sgpr_count 6
		.amdhsa_user_sgpr_private_segment_buffer 1
		.amdhsa_user_sgpr_dispatch_ptr 0
		.amdhsa_user_sgpr_queue_ptr 0
		.amdhsa_user_sgpr_kernarg_segment_ptr 1
		.amdhsa_user_sgpr_dispatch_id 0
		.amdhsa_user_sgpr_flat_scratch_init 0
		.amdhsa_user_sgpr_kernarg_preload_length 0
		.amdhsa_user_sgpr_kernarg_preload_offset 0
		.amdhsa_user_sgpr_private_segment_size 0
		.amdhsa_uses_dynamic_stack 0
		.amdhsa_system_sgpr_private_segment_wavefront_offset 0
		.amdhsa_system_sgpr_workgroup_id_x 1
		.amdhsa_system_sgpr_workgroup_id_y 0
		.amdhsa_system_sgpr_workgroup_id_z 0
		.amdhsa_system_sgpr_workgroup_info 0
		.amdhsa_system_vgpr_workitem_id 0
		.amdhsa_next_free_vgpr 1
		.amdhsa_next_free_sgpr 0
		.amdhsa_accum_offset 4
		.amdhsa_reserve_vcc 0
		.amdhsa_reserve_flat_scratch 0
		.amdhsa_float_round_mode_32 0
		.amdhsa_float_round_mode_16_64 0
		.amdhsa_float_denorm_mode_32 3
		.amdhsa_float_denorm_mode_16_64 3
		.amdhsa_dx10_clamp 1
		.amdhsa_ieee_mode 1
		.amdhsa_fp16_overflow 0
		.amdhsa_tg_split 0
		.amdhsa_exception_fp_ieee_invalid_op 0
		.amdhsa_exception_fp_denorm_src 0
		.amdhsa_exception_fp_ieee_div_zero 0
		.amdhsa_exception_fp_ieee_overflow 0
		.amdhsa_exception_fp_ieee_underflow 0
		.amdhsa_exception_fp_ieee_inexact 0
		.amdhsa_exception_int_div_zero 0
	.end_amdhsa_kernel
	.section	.text._ZN7rocprim17ROCPRIM_400000_NS6detail17trampoline_kernelINS0_14default_configENS1_25partition_config_selectorILNS1_17partition_subalgoE0EyNS0_10empty_typeEbEEZZNS1_14partition_implILS5_0ELb0ES3_jN6thrust23THRUST_200600_302600_NS6detail15normal_iteratorINSA_10device_ptrIyEEEEPS6_SG_NS0_5tupleIJNSA_16discard_iteratorINSA_11use_defaultEEESF_EEENSH_IJSG_SG_EEES6_PlJ7is_evenIyEEEE10hipError_tPvRmT3_T4_T5_T6_T7_T9_mT8_P12ihipStream_tbDpT10_ENKUlT_T0_E_clISt17integral_constantIbLb1EES18_IbLb0EEEEDaS14_S15_EUlS14_E_NS1_11comp_targetILNS1_3genE9ELNS1_11target_archE1100ELNS1_3gpuE3ELNS1_3repE0EEENS1_30default_config_static_selectorELNS0_4arch9wavefront6targetE1EEEvT1_,"axG",@progbits,_ZN7rocprim17ROCPRIM_400000_NS6detail17trampoline_kernelINS0_14default_configENS1_25partition_config_selectorILNS1_17partition_subalgoE0EyNS0_10empty_typeEbEEZZNS1_14partition_implILS5_0ELb0ES3_jN6thrust23THRUST_200600_302600_NS6detail15normal_iteratorINSA_10device_ptrIyEEEEPS6_SG_NS0_5tupleIJNSA_16discard_iteratorINSA_11use_defaultEEESF_EEENSH_IJSG_SG_EEES6_PlJ7is_evenIyEEEE10hipError_tPvRmT3_T4_T5_T6_T7_T9_mT8_P12ihipStream_tbDpT10_ENKUlT_T0_E_clISt17integral_constantIbLb1EES18_IbLb0EEEEDaS14_S15_EUlS14_E_NS1_11comp_targetILNS1_3genE9ELNS1_11target_archE1100ELNS1_3gpuE3ELNS1_3repE0EEENS1_30default_config_static_selectorELNS0_4arch9wavefront6targetE1EEEvT1_,comdat
.Lfunc_end2385:
	.size	_ZN7rocprim17ROCPRIM_400000_NS6detail17trampoline_kernelINS0_14default_configENS1_25partition_config_selectorILNS1_17partition_subalgoE0EyNS0_10empty_typeEbEEZZNS1_14partition_implILS5_0ELb0ES3_jN6thrust23THRUST_200600_302600_NS6detail15normal_iteratorINSA_10device_ptrIyEEEEPS6_SG_NS0_5tupleIJNSA_16discard_iteratorINSA_11use_defaultEEESF_EEENSH_IJSG_SG_EEES6_PlJ7is_evenIyEEEE10hipError_tPvRmT3_T4_T5_T6_T7_T9_mT8_P12ihipStream_tbDpT10_ENKUlT_T0_E_clISt17integral_constantIbLb1EES18_IbLb0EEEEDaS14_S15_EUlS14_E_NS1_11comp_targetILNS1_3genE9ELNS1_11target_archE1100ELNS1_3gpuE3ELNS1_3repE0EEENS1_30default_config_static_selectorELNS0_4arch9wavefront6targetE1EEEvT1_, .Lfunc_end2385-_ZN7rocprim17ROCPRIM_400000_NS6detail17trampoline_kernelINS0_14default_configENS1_25partition_config_selectorILNS1_17partition_subalgoE0EyNS0_10empty_typeEbEEZZNS1_14partition_implILS5_0ELb0ES3_jN6thrust23THRUST_200600_302600_NS6detail15normal_iteratorINSA_10device_ptrIyEEEEPS6_SG_NS0_5tupleIJNSA_16discard_iteratorINSA_11use_defaultEEESF_EEENSH_IJSG_SG_EEES6_PlJ7is_evenIyEEEE10hipError_tPvRmT3_T4_T5_T6_T7_T9_mT8_P12ihipStream_tbDpT10_ENKUlT_T0_E_clISt17integral_constantIbLb1EES18_IbLb0EEEEDaS14_S15_EUlS14_E_NS1_11comp_targetILNS1_3genE9ELNS1_11target_archE1100ELNS1_3gpuE3ELNS1_3repE0EEENS1_30default_config_static_selectorELNS0_4arch9wavefront6targetE1EEEvT1_
                                        ; -- End function
	.section	.AMDGPU.csdata,"",@progbits
; Kernel info:
; codeLenInByte = 0
; NumSgprs: 4
; NumVgprs: 0
; NumAgprs: 0
; TotalNumVgprs: 0
; ScratchSize: 0
; MemoryBound: 0
; FloatMode: 240
; IeeeMode: 1
; LDSByteSize: 0 bytes/workgroup (compile time only)
; SGPRBlocks: 0
; VGPRBlocks: 0
; NumSGPRsForWavesPerEU: 4
; NumVGPRsForWavesPerEU: 1
; AccumOffset: 4
; Occupancy: 8
; WaveLimiterHint : 0
; COMPUTE_PGM_RSRC2:SCRATCH_EN: 0
; COMPUTE_PGM_RSRC2:USER_SGPR: 6
; COMPUTE_PGM_RSRC2:TRAP_HANDLER: 0
; COMPUTE_PGM_RSRC2:TGID_X_EN: 1
; COMPUTE_PGM_RSRC2:TGID_Y_EN: 0
; COMPUTE_PGM_RSRC2:TGID_Z_EN: 0
; COMPUTE_PGM_RSRC2:TIDIG_COMP_CNT: 0
; COMPUTE_PGM_RSRC3_GFX90A:ACCUM_OFFSET: 0
; COMPUTE_PGM_RSRC3_GFX90A:TG_SPLIT: 0
	.section	.text._ZN7rocprim17ROCPRIM_400000_NS6detail17trampoline_kernelINS0_14default_configENS1_25partition_config_selectorILNS1_17partition_subalgoE0EyNS0_10empty_typeEbEEZZNS1_14partition_implILS5_0ELb0ES3_jN6thrust23THRUST_200600_302600_NS6detail15normal_iteratorINSA_10device_ptrIyEEEEPS6_SG_NS0_5tupleIJNSA_16discard_iteratorINSA_11use_defaultEEESF_EEENSH_IJSG_SG_EEES6_PlJ7is_evenIyEEEE10hipError_tPvRmT3_T4_T5_T6_T7_T9_mT8_P12ihipStream_tbDpT10_ENKUlT_T0_E_clISt17integral_constantIbLb1EES18_IbLb0EEEEDaS14_S15_EUlS14_E_NS1_11comp_targetILNS1_3genE8ELNS1_11target_archE1030ELNS1_3gpuE2ELNS1_3repE0EEENS1_30default_config_static_selectorELNS0_4arch9wavefront6targetE1EEEvT1_,"axG",@progbits,_ZN7rocprim17ROCPRIM_400000_NS6detail17trampoline_kernelINS0_14default_configENS1_25partition_config_selectorILNS1_17partition_subalgoE0EyNS0_10empty_typeEbEEZZNS1_14partition_implILS5_0ELb0ES3_jN6thrust23THRUST_200600_302600_NS6detail15normal_iteratorINSA_10device_ptrIyEEEEPS6_SG_NS0_5tupleIJNSA_16discard_iteratorINSA_11use_defaultEEESF_EEENSH_IJSG_SG_EEES6_PlJ7is_evenIyEEEE10hipError_tPvRmT3_T4_T5_T6_T7_T9_mT8_P12ihipStream_tbDpT10_ENKUlT_T0_E_clISt17integral_constantIbLb1EES18_IbLb0EEEEDaS14_S15_EUlS14_E_NS1_11comp_targetILNS1_3genE8ELNS1_11target_archE1030ELNS1_3gpuE2ELNS1_3repE0EEENS1_30default_config_static_selectorELNS0_4arch9wavefront6targetE1EEEvT1_,comdat
	.protected	_ZN7rocprim17ROCPRIM_400000_NS6detail17trampoline_kernelINS0_14default_configENS1_25partition_config_selectorILNS1_17partition_subalgoE0EyNS0_10empty_typeEbEEZZNS1_14partition_implILS5_0ELb0ES3_jN6thrust23THRUST_200600_302600_NS6detail15normal_iteratorINSA_10device_ptrIyEEEEPS6_SG_NS0_5tupleIJNSA_16discard_iteratorINSA_11use_defaultEEESF_EEENSH_IJSG_SG_EEES6_PlJ7is_evenIyEEEE10hipError_tPvRmT3_T4_T5_T6_T7_T9_mT8_P12ihipStream_tbDpT10_ENKUlT_T0_E_clISt17integral_constantIbLb1EES18_IbLb0EEEEDaS14_S15_EUlS14_E_NS1_11comp_targetILNS1_3genE8ELNS1_11target_archE1030ELNS1_3gpuE2ELNS1_3repE0EEENS1_30default_config_static_selectorELNS0_4arch9wavefront6targetE1EEEvT1_ ; -- Begin function _ZN7rocprim17ROCPRIM_400000_NS6detail17trampoline_kernelINS0_14default_configENS1_25partition_config_selectorILNS1_17partition_subalgoE0EyNS0_10empty_typeEbEEZZNS1_14partition_implILS5_0ELb0ES3_jN6thrust23THRUST_200600_302600_NS6detail15normal_iteratorINSA_10device_ptrIyEEEEPS6_SG_NS0_5tupleIJNSA_16discard_iteratorINSA_11use_defaultEEESF_EEENSH_IJSG_SG_EEES6_PlJ7is_evenIyEEEE10hipError_tPvRmT3_T4_T5_T6_T7_T9_mT8_P12ihipStream_tbDpT10_ENKUlT_T0_E_clISt17integral_constantIbLb1EES18_IbLb0EEEEDaS14_S15_EUlS14_E_NS1_11comp_targetILNS1_3genE8ELNS1_11target_archE1030ELNS1_3gpuE2ELNS1_3repE0EEENS1_30default_config_static_selectorELNS0_4arch9wavefront6targetE1EEEvT1_
	.globl	_ZN7rocprim17ROCPRIM_400000_NS6detail17trampoline_kernelINS0_14default_configENS1_25partition_config_selectorILNS1_17partition_subalgoE0EyNS0_10empty_typeEbEEZZNS1_14partition_implILS5_0ELb0ES3_jN6thrust23THRUST_200600_302600_NS6detail15normal_iteratorINSA_10device_ptrIyEEEEPS6_SG_NS0_5tupleIJNSA_16discard_iteratorINSA_11use_defaultEEESF_EEENSH_IJSG_SG_EEES6_PlJ7is_evenIyEEEE10hipError_tPvRmT3_T4_T5_T6_T7_T9_mT8_P12ihipStream_tbDpT10_ENKUlT_T0_E_clISt17integral_constantIbLb1EES18_IbLb0EEEEDaS14_S15_EUlS14_E_NS1_11comp_targetILNS1_3genE8ELNS1_11target_archE1030ELNS1_3gpuE2ELNS1_3repE0EEENS1_30default_config_static_selectorELNS0_4arch9wavefront6targetE1EEEvT1_
	.p2align	8
	.type	_ZN7rocprim17ROCPRIM_400000_NS6detail17trampoline_kernelINS0_14default_configENS1_25partition_config_selectorILNS1_17partition_subalgoE0EyNS0_10empty_typeEbEEZZNS1_14partition_implILS5_0ELb0ES3_jN6thrust23THRUST_200600_302600_NS6detail15normal_iteratorINSA_10device_ptrIyEEEEPS6_SG_NS0_5tupleIJNSA_16discard_iteratorINSA_11use_defaultEEESF_EEENSH_IJSG_SG_EEES6_PlJ7is_evenIyEEEE10hipError_tPvRmT3_T4_T5_T6_T7_T9_mT8_P12ihipStream_tbDpT10_ENKUlT_T0_E_clISt17integral_constantIbLb1EES18_IbLb0EEEEDaS14_S15_EUlS14_E_NS1_11comp_targetILNS1_3genE8ELNS1_11target_archE1030ELNS1_3gpuE2ELNS1_3repE0EEENS1_30default_config_static_selectorELNS0_4arch9wavefront6targetE1EEEvT1_,@function
_ZN7rocprim17ROCPRIM_400000_NS6detail17trampoline_kernelINS0_14default_configENS1_25partition_config_selectorILNS1_17partition_subalgoE0EyNS0_10empty_typeEbEEZZNS1_14partition_implILS5_0ELb0ES3_jN6thrust23THRUST_200600_302600_NS6detail15normal_iteratorINSA_10device_ptrIyEEEEPS6_SG_NS0_5tupleIJNSA_16discard_iteratorINSA_11use_defaultEEESF_EEENSH_IJSG_SG_EEES6_PlJ7is_evenIyEEEE10hipError_tPvRmT3_T4_T5_T6_T7_T9_mT8_P12ihipStream_tbDpT10_ENKUlT_T0_E_clISt17integral_constantIbLb1EES18_IbLb0EEEEDaS14_S15_EUlS14_E_NS1_11comp_targetILNS1_3genE8ELNS1_11target_archE1030ELNS1_3gpuE2ELNS1_3repE0EEENS1_30default_config_static_selectorELNS0_4arch9wavefront6targetE1EEEvT1_: ; @_ZN7rocprim17ROCPRIM_400000_NS6detail17trampoline_kernelINS0_14default_configENS1_25partition_config_selectorILNS1_17partition_subalgoE0EyNS0_10empty_typeEbEEZZNS1_14partition_implILS5_0ELb0ES3_jN6thrust23THRUST_200600_302600_NS6detail15normal_iteratorINSA_10device_ptrIyEEEEPS6_SG_NS0_5tupleIJNSA_16discard_iteratorINSA_11use_defaultEEESF_EEENSH_IJSG_SG_EEES6_PlJ7is_evenIyEEEE10hipError_tPvRmT3_T4_T5_T6_T7_T9_mT8_P12ihipStream_tbDpT10_ENKUlT_T0_E_clISt17integral_constantIbLb1EES18_IbLb0EEEEDaS14_S15_EUlS14_E_NS1_11comp_targetILNS1_3genE8ELNS1_11target_archE1030ELNS1_3gpuE2ELNS1_3repE0EEENS1_30default_config_static_selectorELNS0_4arch9wavefront6targetE1EEEvT1_
; %bb.0:
	.section	.rodata,"a",@progbits
	.p2align	6, 0x0
	.amdhsa_kernel _ZN7rocprim17ROCPRIM_400000_NS6detail17trampoline_kernelINS0_14default_configENS1_25partition_config_selectorILNS1_17partition_subalgoE0EyNS0_10empty_typeEbEEZZNS1_14partition_implILS5_0ELb0ES3_jN6thrust23THRUST_200600_302600_NS6detail15normal_iteratorINSA_10device_ptrIyEEEEPS6_SG_NS0_5tupleIJNSA_16discard_iteratorINSA_11use_defaultEEESF_EEENSH_IJSG_SG_EEES6_PlJ7is_evenIyEEEE10hipError_tPvRmT3_T4_T5_T6_T7_T9_mT8_P12ihipStream_tbDpT10_ENKUlT_T0_E_clISt17integral_constantIbLb1EES18_IbLb0EEEEDaS14_S15_EUlS14_E_NS1_11comp_targetILNS1_3genE8ELNS1_11target_archE1030ELNS1_3gpuE2ELNS1_3repE0EEENS1_30default_config_static_selectorELNS0_4arch9wavefront6targetE1EEEvT1_
		.amdhsa_group_segment_fixed_size 0
		.amdhsa_private_segment_fixed_size 0
		.amdhsa_kernarg_size 128
		.amdhsa_user_sgpr_count 6
		.amdhsa_user_sgpr_private_segment_buffer 1
		.amdhsa_user_sgpr_dispatch_ptr 0
		.amdhsa_user_sgpr_queue_ptr 0
		.amdhsa_user_sgpr_kernarg_segment_ptr 1
		.amdhsa_user_sgpr_dispatch_id 0
		.amdhsa_user_sgpr_flat_scratch_init 0
		.amdhsa_user_sgpr_kernarg_preload_length 0
		.amdhsa_user_sgpr_kernarg_preload_offset 0
		.amdhsa_user_sgpr_private_segment_size 0
		.amdhsa_uses_dynamic_stack 0
		.amdhsa_system_sgpr_private_segment_wavefront_offset 0
		.amdhsa_system_sgpr_workgroup_id_x 1
		.amdhsa_system_sgpr_workgroup_id_y 0
		.amdhsa_system_sgpr_workgroup_id_z 0
		.amdhsa_system_sgpr_workgroup_info 0
		.amdhsa_system_vgpr_workitem_id 0
		.amdhsa_next_free_vgpr 1
		.amdhsa_next_free_sgpr 0
		.amdhsa_accum_offset 4
		.amdhsa_reserve_vcc 0
		.amdhsa_reserve_flat_scratch 0
		.amdhsa_float_round_mode_32 0
		.amdhsa_float_round_mode_16_64 0
		.amdhsa_float_denorm_mode_32 3
		.amdhsa_float_denorm_mode_16_64 3
		.amdhsa_dx10_clamp 1
		.amdhsa_ieee_mode 1
		.amdhsa_fp16_overflow 0
		.amdhsa_tg_split 0
		.amdhsa_exception_fp_ieee_invalid_op 0
		.amdhsa_exception_fp_denorm_src 0
		.amdhsa_exception_fp_ieee_div_zero 0
		.amdhsa_exception_fp_ieee_overflow 0
		.amdhsa_exception_fp_ieee_underflow 0
		.amdhsa_exception_fp_ieee_inexact 0
		.amdhsa_exception_int_div_zero 0
	.end_amdhsa_kernel
	.section	.text._ZN7rocprim17ROCPRIM_400000_NS6detail17trampoline_kernelINS0_14default_configENS1_25partition_config_selectorILNS1_17partition_subalgoE0EyNS0_10empty_typeEbEEZZNS1_14partition_implILS5_0ELb0ES3_jN6thrust23THRUST_200600_302600_NS6detail15normal_iteratorINSA_10device_ptrIyEEEEPS6_SG_NS0_5tupleIJNSA_16discard_iteratorINSA_11use_defaultEEESF_EEENSH_IJSG_SG_EEES6_PlJ7is_evenIyEEEE10hipError_tPvRmT3_T4_T5_T6_T7_T9_mT8_P12ihipStream_tbDpT10_ENKUlT_T0_E_clISt17integral_constantIbLb1EES18_IbLb0EEEEDaS14_S15_EUlS14_E_NS1_11comp_targetILNS1_3genE8ELNS1_11target_archE1030ELNS1_3gpuE2ELNS1_3repE0EEENS1_30default_config_static_selectorELNS0_4arch9wavefront6targetE1EEEvT1_,"axG",@progbits,_ZN7rocprim17ROCPRIM_400000_NS6detail17trampoline_kernelINS0_14default_configENS1_25partition_config_selectorILNS1_17partition_subalgoE0EyNS0_10empty_typeEbEEZZNS1_14partition_implILS5_0ELb0ES3_jN6thrust23THRUST_200600_302600_NS6detail15normal_iteratorINSA_10device_ptrIyEEEEPS6_SG_NS0_5tupleIJNSA_16discard_iteratorINSA_11use_defaultEEESF_EEENSH_IJSG_SG_EEES6_PlJ7is_evenIyEEEE10hipError_tPvRmT3_T4_T5_T6_T7_T9_mT8_P12ihipStream_tbDpT10_ENKUlT_T0_E_clISt17integral_constantIbLb1EES18_IbLb0EEEEDaS14_S15_EUlS14_E_NS1_11comp_targetILNS1_3genE8ELNS1_11target_archE1030ELNS1_3gpuE2ELNS1_3repE0EEENS1_30default_config_static_selectorELNS0_4arch9wavefront6targetE1EEEvT1_,comdat
.Lfunc_end2386:
	.size	_ZN7rocprim17ROCPRIM_400000_NS6detail17trampoline_kernelINS0_14default_configENS1_25partition_config_selectorILNS1_17partition_subalgoE0EyNS0_10empty_typeEbEEZZNS1_14partition_implILS5_0ELb0ES3_jN6thrust23THRUST_200600_302600_NS6detail15normal_iteratorINSA_10device_ptrIyEEEEPS6_SG_NS0_5tupleIJNSA_16discard_iteratorINSA_11use_defaultEEESF_EEENSH_IJSG_SG_EEES6_PlJ7is_evenIyEEEE10hipError_tPvRmT3_T4_T5_T6_T7_T9_mT8_P12ihipStream_tbDpT10_ENKUlT_T0_E_clISt17integral_constantIbLb1EES18_IbLb0EEEEDaS14_S15_EUlS14_E_NS1_11comp_targetILNS1_3genE8ELNS1_11target_archE1030ELNS1_3gpuE2ELNS1_3repE0EEENS1_30default_config_static_selectorELNS0_4arch9wavefront6targetE1EEEvT1_, .Lfunc_end2386-_ZN7rocprim17ROCPRIM_400000_NS6detail17trampoline_kernelINS0_14default_configENS1_25partition_config_selectorILNS1_17partition_subalgoE0EyNS0_10empty_typeEbEEZZNS1_14partition_implILS5_0ELb0ES3_jN6thrust23THRUST_200600_302600_NS6detail15normal_iteratorINSA_10device_ptrIyEEEEPS6_SG_NS0_5tupleIJNSA_16discard_iteratorINSA_11use_defaultEEESF_EEENSH_IJSG_SG_EEES6_PlJ7is_evenIyEEEE10hipError_tPvRmT3_T4_T5_T6_T7_T9_mT8_P12ihipStream_tbDpT10_ENKUlT_T0_E_clISt17integral_constantIbLb1EES18_IbLb0EEEEDaS14_S15_EUlS14_E_NS1_11comp_targetILNS1_3genE8ELNS1_11target_archE1030ELNS1_3gpuE2ELNS1_3repE0EEENS1_30default_config_static_selectorELNS0_4arch9wavefront6targetE1EEEvT1_
                                        ; -- End function
	.section	.AMDGPU.csdata,"",@progbits
; Kernel info:
; codeLenInByte = 0
; NumSgprs: 4
; NumVgprs: 0
; NumAgprs: 0
; TotalNumVgprs: 0
; ScratchSize: 0
; MemoryBound: 0
; FloatMode: 240
; IeeeMode: 1
; LDSByteSize: 0 bytes/workgroup (compile time only)
; SGPRBlocks: 0
; VGPRBlocks: 0
; NumSGPRsForWavesPerEU: 4
; NumVGPRsForWavesPerEU: 1
; AccumOffset: 4
; Occupancy: 8
; WaveLimiterHint : 0
; COMPUTE_PGM_RSRC2:SCRATCH_EN: 0
; COMPUTE_PGM_RSRC2:USER_SGPR: 6
; COMPUTE_PGM_RSRC2:TRAP_HANDLER: 0
; COMPUTE_PGM_RSRC2:TGID_X_EN: 1
; COMPUTE_PGM_RSRC2:TGID_Y_EN: 0
; COMPUTE_PGM_RSRC2:TGID_Z_EN: 0
; COMPUTE_PGM_RSRC2:TIDIG_COMP_CNT: 0
; COMPUTE_PGM_RSRC3_GFX90A:ACCUM_OFFSET: 0
; COMPUTE_PGM_RSRC3_GFX90A:TG_SPLIT: 0
	.section	.text._ZN7rocprim17ROCPRIM_400000_NS6detail17trampoline_kernelINS0_14default_configENS1_25partition_config_selectorILNS1_17partition_subalgoE0EyNS0_10empty_typeEbEEZZNS1_14partition_implILS5_0ELb0ES3_jN6thrust23THRUST_200600_302600_NS6detail15normal_iteratorINSA_10device_ptrIyEEEEPS6_SG_NS0_5tupleIJNSA_16discard_iteratorINSA_11use_defaultEEESF_EEENSH_IJSG_SG_EEES6_PlJ7is_evenIyEEEE10hipError_tPvRmT3_T4_T5_T6_T7_T9_mT8_P12ihipStream_tbDpT10_ENKUlT_T0_E_clISt17integral_constantIbLb0EES18_IbLb1EEEEDaS14_S15_EUlS14_E_NS1_11comp_targetILNS1_3genE0ELNS1_11target_archE4294967295ELNS1_3gpuE0ELNS1_3repE0EEENS1_30default_config_static_selectorELNS0_4arch9wavefront6targetE1EEEvT1_,"axG",@progbits,_ZN7rocprim17ROCPRIM_400000_NS6detail17trampoline_kernelINS0_14default_configENS1_25partition_config_selectorILNS1_17partition_subalgoE0EyNS0_10empty_typeEbEEZZNS1_14partition_implILS5_0ELb0ES3_jN6thrust23THRUST_200600_302600_NS6detail15normal_iteratorINSA_10device_ptrIyEEEEPS6_SG_NS0_5tupleIJNSA_16discard_iteratorINSA_11use_defaultEEESF_EEENSH_IJSG_SG_EEES6_PlJ7is_evenIyEEEE10hipError_tPvRmT3_T4_T5_T6_T7_T9_mT8_P12ihipStream_tbDpT10_ENKUlT_T0_E_clISt17integral_constantIbLb0EES18_IbLb1EEEEDaS14_S15_EUlS14_E_NS1_11comp_targetILNS1_3genE0ELNS1_11target_archE4294967295ELNS1_3gpuE0ELNS1_3repE0EEENS1_30default_config_static_selectorELNS0_4arch9wavefront6targetE1EEEvT1_,comdat
	.protected	_ZN7rocprim17ROCPRIM_400000_NS6detail17trampoline_kernelINS0_14default_configENS1_25partition_config_selectorILNS1_17partition_subalgoE0EyNS0_10empty_typeEbEEZZNS1_14partition_implILS5_0ELb0ES3_jN6thrust23THRUST_200600_302600_NS6detail15normal_iteratorINSA_10device_ptrIyEEEEPS6_SG_NS0_5tupleIJNSA_16discard_iteratorINSA_11use_defaultEEESF_EEENSH_IJSG_SG_EEES6_PlJ7is_evenIyEEEE10hipError_tPvRmT3_T4_T5_T6_T7_T9_mT8_P12ihipStream_tbDpT10_ENKUlT_T0_E_clISt17integral_constantIbLb0EES18_IbLb1EEEEDaS14_S15_EUlS14_E_NS1_11comp_targetILNS1_3genE0ELNS1_11target_archE4294967295ELNS1_3gpuE0ELNS1_3repE0EEENS1_30default_config_static_selectorELNS0_4arch9wavefront6targetE1EEEvT1_ ; -- Begin function _ZN7rocprim17ROCPRIM_400000_NS6detail17trampoline_kernelINS0_14default_configENS1_25partition_config_selectorILNS1_17partition_subalgoE0EyNS0_10empty_typeEbEEZZNS1_14partition_implILS5_0ELb0ES3_jN6thrust23THRUST_200600_302600_NS6detail15normal_iteratorINSA_10device_ptrIyEEEEPS6_SG_NS0_5tupleIJNSA_16discard_iteratorINSA_11use_defaultEEESF_EEENSH_IJSG_SG_EEES6_PlJ7is_evenIyEEEE10hipError_tPvRmT3_T4_T5_T6_T7_T9_mT8_P12ihipStream_tbDpT10_ENKUlT_T0_E_clISt17integral_constantIbLb0EES18_IbLb1EEEEDaS14_S15_EUlS14_E_NS1_11comp_targetILNS1_3genE0ELNS1_11target_archE4294967295ELNS1_3gpuE0ELNS1_3repE0EEENS1_30default_config_static_selectorELNS0_4arch9wavefront6targetE1EEEvT1_
	.globl	_ZN7rocprim17ROCPRIM_400000_NS6detail17trampoline_kernelINS0_14default_configENS1_25partition_config_selectorILNS1_17partition_subalgoE0EyNS0_10empty_typeEbEEZZNS1_14partition_implILS5_0ELb0ES3_jN6thrust23THRUST_200600_302600_NS6detail15normal_iteratorINSA_10device_ptrIyEEEEPS6_SG_NS0_5tupleIJNSA_16discard_iteratorINSA_11use_defaultEEESF_EEENSH_IJSG_SG_EEES6_PlJ7is_evenIyEEEE10hipError_tPvRmT3_T4_T5_T6_T7_T9_mT8_P12ihipStream_tbDpT10_ENKUlT_T0_E_clISt17integral_constantIbLb0EES18_IbLb1EEEEDaS14_S15_EUlS14_E_NS1_11comp_targetILNS1_3genE0ELNS1_11target_archE4294967295ELNS1_3gpuE0ELNS1_3repE0EEENS1_30default_config_static_selectorELNS0_4arch9wavefront6targetE1EEEvT1_
	.p2align	8
	.type	_ZN7rocprim17ROCPRIM_400000_NS6detail17trampoline_kernelINS0_14default_configENS1_25partition_config_selectorILNS1_17partition_subalgoE0EyNS0_10empty_typeEbEEZZNS1_14partition_implILS5_0ELb0ES3_jN6thrust23THRUST_200600_302600_NS6detail15normal_iteratorINSA_10device_ptrIyEEEEPS6_SG_NS0_5tupleIJNSA_16discard_iteratorINSA_11use_defaultEEESF_EEENSH_IJSG_SG_EEES6_PlJ7is_evenIyEEEE10hipError_tPvRmT3_T4_T5_T6_T7_T9_mT8_P12ihipStream_tbDpT10_ENKUlT_T0_E_clISt17integral_constantIbLb0EES18_IbLb1EEEEDaS14_S15_EUlS14_E_NS1_11comp_targetILNS1_3genE0ELNS1_11target_archE4294967295ELNS1_3gpuE0ELNS1_3repE0EEENS1_30default_config_static_selectorELNS0_4arch9wavefront6targetE1EEEvT1_,@function
_ZN7rocprim17ROCPRIM_400000_NS6detail17trampoline_kernelINS0_14default_configENS1_25partition_config_selectorILNS1_17partition_subalgoE0EyNS0_10empty_typeEbEEZZNS1_14partition_implILS5_0ELb0ES3_jN6thrust23THRUST_200600_302600_NS6detail15normal_iteratorINSA_10device_ptrIyEEEEPS6_SG_NS0_5tupleIJNSA_16discard_iteratorINSA_11use_defaultEEESF_EEENSH_IJSG_SG_EEES6_PlJ7is_evenIyEEEE10hipError_tPvRmT3_T4_T5_T6_T7_T9_mT8_P12ihipStream_tbDpT10_ENKUlT_T0_E_clISt17integral_constantIbLb0EES18_IbLb1EEEEDaS14_S15_EUlS14_E_NS1_11comp_targetILNS1_3genE0ELNS1_11target_archE4294967295ELNS1_3gpuE0ELNS1_3repE0EEENS1_30default_config_static_selectorELNS0_4arch9wavefront6targetE1EEEvT1_: ; @_ZN7rocprim17ROCPRIM_400000_NS6detail17trampoline_kernelINS0_14default_configENS1_25partition_config_selectorILNS1_17partition_subalgoE0EyNS0_10empty_typeEbEEZZNS1_14partition_implILS5_0ELb0ES3_jN6thrust23THRUST_200600_302600_NS6detail15normal_iteratorINSA_10device_ptrIyEEEEPS6_SG_NS0_5tupleIJNSA_16discard_iteratorINSA_11use_defaultEEESF_EEENSH_IJSG_SG_EEES6_PlJ7is_evenIyEEEE10hipError_tPvRmT3_T4_T5_T6_T7_T9_mT8_P12ihipStream_tbDpT10_ENKUlT_T0_E_clISt17integral_constantIbLb0EES18_IbLb1EEEEDaS14_S15_EUlS14_E_NS1_11comp_targetILNS1_3genE0ELNS1_11target_archE4294967295ELNS1_3gpuE0ELNS1_3repE0EEENS1_30default_config_static_selectorELNS0_4arch9wavefront6targetE1EEEvT1_
; %bb.0:
	.section	.rodata,"a",@progbits
	.p2align	6, 0x0
	.amdhsa_kernel _ZN7rocprim17ROCPRIM_400000_NS6detail17trampoline_kernelINS0_14default_configENS1_25partition_config_selectorILNS1_17partition_subalgoE0EyNS0_10empty_typeEbEEZZNS1_14partition_implILS5_0ELb0ES3_jN6thrust23THRUST_200600_302600_NS6detail15normal_iteratorINSA_10device_ptrIyEEEEPS6_SG_NS0_5tupleIJNSA_16discard_iteratorINSA_11use_defaultEEESF_EEENSH_IJSG_SG_EEES6_PlJ7is_evenIyEEEE10hipError_tPvRmT3_T4_T5_T6_T7_T9_mT8_P12ihipStream_tbDpT10_ENKUlT_T0_E_clISt17integral_constantIbLb0EES18_IbLb1EEEEDaS14_S15_EUlS14_E_NS1_11comp_targetILNS1_3genE0ELNS1_11target_archE4294967295ELNS1_3gpuE0ELNS1_3repE0EEENS1_30default_config_static_selectorELNS0_4arch9wavefront6targetE1EEEvT1_
		.amdhsa_group_segment_fixed_size 0
		.amdhsa_private_segment_fixed_size 0
		.amdhsa_kernarg_size 144
		.amdhsa_user_sgpr_count 6
		.amdhsa_user_sgpr_private_segment_buffer 1
		.amdhsa_user_sgpr_dispatch_ptr 0
		.amdhsa_user_sgpr_queue_ptr 0
		.amdhsa_user_sgpr_kernarg_segment_ptr 1
		.amdhsa_user_sgpr_dispatch_id 0
		.amdhsa_user_sgpr_flat_scratch_init 0
		.amdhsa_user_sgpr_kernarg_preload_length 0
		.amdhsa_user_sgpr_kernarg_preload_offset 0
		.amdhsa_user_sgpr_private_segment_size 0
		.amdhsa_uses_dynamic_stack 0
		.amdhsa_system_sgpr_private_segment_wavefront_offset 0
		.amdhsa_system_sgpr_workgroup_id_x 1
		.amdhsa_system_sgpr_workgroup_id_y 0
		.amdhsa_system_sgpr_workgroup_id_z 0
		.amdhsa_system_sgpr_workgroup_info 0
		.amdhsa_system_vgpr_workitem_id 0
		.amdhsa_next_free_vgpr 1
		.amdhsa_next_free_sgpr 0
		.amdhsa_accum_offset 4
		.amdhsa_reserve_vcc 0
		.amdhsa_reserve_flat_scratch 0
		.amdhsa_float_round_mode_32 0
		.amdhsa_float_round_mode_16_64 0
		.amdhsa_float_denorm_mode_32 3
		.amdhsa_float_denorm_mode_16_64 3
		.amdhsa_dx10_clamp 1
		.amdhsa_ieee_mode 1
		.amdhsa_fp16_overflow 0
		.amdhsa_tg_split 0
		.amdhsa_exception_fp_ieee_invalid_op 0
		.amdhsa_exception_fp_denorm_src 0
		.amdhsa_exception_fp_ieee_div_zero 0
		.amdhsa_exception_fp_ieee_overflow 0
		.amdhsa_exception_fp_ieee_underflow 0
		.amdhsa_exception_fp_ieee_inexact 0
		.amdhsa_exception_int_div_zero 0
	.end_amdhsa_kernel
	.section	.text._ZN7rocprim17ROCPRIM_400000_NS6detail17trampoline_kernelINS0_14default_configENS1_25partition_config_selectorILNS1_17partition_subalgoE0EyNS0_10empty_typeEbEEZZNS1_14partition_implILS5_0ELb0ES3_jN6thrust23THRUST_200600_302600_NS6detail15normal_iteratorINSA_10device_ptrIyEEEEPS6_SG_NS0_5tupleIJNSA_16discard_iteratorINSA_11use_defaultEEESF_EEENSH_IJSG_SG_EEES6_PlJ7is_evenIyEEEE10hipError_tPvRmT3_T4_T5_T6_T7_T9_mT8_P12ihipStream_tbDpT10_ENKUlT_T0_E_clISt17integral_constantIbLb0EES18_IbLb1EEEEDaS14_S15_EUlS14_E_NS1_11comp_targetILNS1_3genE0ELNS1_11target_archE4294967295ELNS1_3gpuE0ELNS1_3repE0EEENS1_30default_config_static_selectorELNS0_4arch9wavefront6targetE1EEEvT1_,"axG",@progbits,_ZN7rocprim17ROCPRIM_400000_NS6detail17trampoline_kernelINS0_14default_configENS1_25partition_config_selectorILNS1_17partition_subalgoE0EyNS0_10empty_typeEbEEZZNS1_14partition_implILS5_0ELb0ES3_jN6thrust23THRUST_200600_302600_NS6detail15normal_iteratorINSA_10device_ptrIyEEEEPS6_SG_NS0_5tupleIJNSA_16discard_iteratorINSA_11use_defaultEEESF_EEENSH_IJSG_SG_EEES6_PlJ7is_evenIyEEEE10hipError_tPvRmT3_T4_T5_T6_T7_T9_mT8_P12ihipStream_tbDpT10_ENKUlT_T0_E_clISt17integral_constantIbLb0EES18_IbLb1EEEEDaS14_S15_EUlS14_E_NS1_11comp_targetILNS1_3genE0ELNS1_11target_archE4294967295ELNS1_3gpuE0ELNS1_3repE0EEENS1_30default_config_static_selectorELNS0_4arch9wavefront6targetE1EEEvT1_,comdat
.Lfunc_end2387:
	.size	_ZN7rocprim17ROCPRIM_400000_NS6detail17trampoline_kernelINS0_14default_configENS1_25partition_config_selectorILNS1_17partition_subalgoE0EyNS0_10empty_typeEbEEZZNS1_14partition_implILS5_0ELb0ES3_jN6thrust23THRUST_200600_302600_NS6detail15normal_iteratorINSA_10device_ptrIyEEEEPS6_SG_NS0_5tupleIJNSA_16discard_iteratorINSA_11use_defaultEEESF_EEENSH_IJSG_SG_EEES6_PlJ7is_evenIyEEEE10hipError_tPvRmT3_T4_T5_T6_T7_T9_mT8_P12ihipStream_tbDpT10_ENKUlT_T0_E_clISt17integral_constantIbLb0EES18_IbLb1EEEEDaS14_S15_EUlS14_E_NS1_11comp_targetILNS1_3genE0ELNS1_11target_archE4294967295ELNS1_3gpuE0ELNS1_3repE0EEENS1_30default_config_static_selectorELNS0_4arch9wavefront6targetE1EEEvT1_, .Lfunc_end2387-_ZN7rocprim17ROCPRIM_400000_NS6detail17trampoline_kernelINS0_14default_configENS1_25partition_config_selectorILNS1_17partition_subalgoE0EyNS0_10empty_typeEbEEZZNS1_14partition_implILS5_0ELb0ES3_jN6thrust23THRUST_200600_302600_NS6detail15normal_iteratorINSA_10device_ptrIyEEEEPS6_SG_NS0_5tupleIJNSA_16discard_iteratorINSA_11use_defaultEEESF_EEENSH_IJSG_SG_EEES6_PlJ7is_evenIyEEEE10hipError_tPvRmT3_T4_T5_T6_T7_T9_mT8_P12ihipStream_tbDpT10_ENKUlT_T0_E_clISt17integral_constantIbLb0EES18_IbLb1EEEEDaS14_S15_EUlS14_E_NS1_11comp_targetILNS1_3genE0ELNS1_11target_archE4294967295ELNS1_3gpuE0ELNS1_3repE0EEENS1_30default_config_static_selectorELNS0_4arch9wavefront6targetE1EEEvT1_
                                        ; -- End function
	.section	.AMDGPU.csdata,"",@progbits
; Kernel info:
; codeLenInByte = 0
; NumSgprs: 4
; NumVgprs: 0
; NumAgprs: 0
; TotalNumVgprs: 0
; ScratchSize: 0
; MemoryBound: 0
; FloatMode: 240
; IeeeMode: 1
; LDSByteSize: 0 bytes/workgroup (compile time only)
; SGPRBlocks: 0
; VGPRBlocks: 0
; NumSGPRsForWavesPerEU: 4
; NumVGPRsForWavesPerEU: 1
; AccumOffset: 4
; Occupancy: 8
; WaveLimiterHint : 0
; COMPUTE_PGM_RSRC2:SCRATCH_EN: 0
; COMPUTE_PGM_RSRC2:USER_SGPR: 6
; COMPUTE_PGM_RSRC2:TRAP_HANDLER: 0
; COMPUTE_PGM_RSRC2:TGID_X_EN: 1
; COMPUTE_PGM_RSRC2:TGID_Y_EN: 0
; COMPUTE_PGM_RSRC2:TGID_Z_EN: 0
; COMPUTE_PGM_RSRC2:TIDIG_COMP_CNT: 0
; COMPUTE_PGM_RSRC3_GFX90A:ACCUM_OFFSET: 0
; COMPUTE_PGM_RSRC3_GFX90A:TG_SPLIT: 0
	.section	.text._ZN7rocprim17ROCPRIM_400000_NS6detail17trampoline_kernelINS0_14default_configENS1_25partition_config_selectorILNS1_17partition_subalgoE0EyNS0_10empty_typeEbEEZZNS1_14partition_implILS5_0ELb0ES3_jN6thrust23THRUST_200600_302600_NS6detail15normal_iteratorINSA_10device_ptrIyEEEEPS6_SG_NS0_5tupleIJNSA_16discard_iteratorINSA_11use_defaultEEESF_EEENSH_IJSG_SG_EEES6_PlJ7is_evenIyEEEE10hipError_tPvRmT3_T4_T5_T6_T7_T9_mT8_P12ihipStream_tbDpT10_ENKUlT_T0_E_clISt17integral_constantIbLb0EES18_IbLb1EEEEDaS14_S15_EUlS14_E_NS1_11comp_targetILNS1_3genE5ELNS1_11target_archE942ELNS1_3gpuE9ELNS1_3repE0EEENS1_30default_config_static_selectorELNS0_4arch9wavefront6targetE1EEEvT1_,"axG",@progbits,_ZN7rocprim17ROCPRIM_400000_NS6detail17trampoline_kernelINS0_14default_configENS1_25partition_config_selectorILNS1_17partition_subalgoE0EyNS0_10empty_typeEbEEZZNS1_14partition_implILS5_0ELb0ES3_jN6thrust23THRUST_200600_302600_NS6detail15normal_iteratorINSA_10device_ptrIyEEEEPS6_SG_NS0_5tupleIJNSA_16discard_iteratorINSA_11use_defaultEEESF_EEENSH_IJSG_SG_EEES6_PlJ7is_evenIyEEEE10hipError_tPvRmT3_T4_T5_T6_T7_T9_mT8_P12ihipStream_tbDpT10_ENKUlT_T0_E_clISt17integral_constantIbLb0EES18_IbLb1EEEEDaS14_S15_EUlS14_E_NS1_11comp_targetILNS1_3genE5ELNS1_11target_archE942ELNS1_3gpuE9ELNS1_3repE0EEENS1_30default_config_static_selectorELNS0_4arch9wavefront6targetE1EEEvT1_,comdat
	.protected	_ZN7rocprim17ROCPRIM_400000_NS6detail17trampoline_kernelINS0_14default_configENS1_25partition_config_selectorILNS1_17partition_subalgoE0EyNS0_10empty_typeEbEEZZNS1_14partition_implILS5_0ELb0ES3_jN6thrust23THRUST_200600_302600_NS6detail15normal_iteratorINSA_10device_ptrIyEEEEPS6_SG_NS0_5tupleIJNSA_16discard_iteratorINSA_11use_defaultEEESF_EEENSH_IJSG_SG_EEES6_PlJ7is_evenIyEEEE10hipError_tPvRmT3_T4_T5_T6_T7_T9_mT8_P12ihipStream_tbDpT10_ENKUlT_T0_E_clISt17integral_constantIbLb0EES18_IbLb1EEEEDaS14_S15_EUlS14_E_NS1_11comp_targetILNS1_3genE5ELNS1_11target_archE942ELNS1_3gpuE9ELNS1_3repE0EEENS1_30default_config_static_selectorELNS0_4arch9wavefront6targetE1EEEvT1_ ; -- Begin function _ZN7rocprim17ROCPRIM_400000_NS6detail17trampoline_kernelINS0_14default_configENS1_25partition_config_selectorILNS1_17partition_subalgoE0EyNS0_10empty_typeEbEEZZNS1_14partition_implILS5_0ELb0ES3_jN6thrust23THRUST_200600_302600_NS6detail15normal_iteratorINSA_10device_ptrIyEEEEPS6_SG_NS0_5tupleIJNSA_16discard_iteratorINSA_11use_defaultEEESF_EEENSH_IJSG_SG_EEES6_PlJ7is_evenIyEEEE10hipError_tPvRmT3_T4_T5_T6_T7_T9_mT8_P12ihipStream_tbDpT10_ENKUlT_T0_E_clISt17integral_constantIbLb0EES18_IbLb1EEEEDaS14_S15_EUlS14_E_NS1_11comp_targetILNS1_3genE5ELNS1_11target_archE942ELNS1_3gpuE9ELNS1_3repE0EEENS1_30default_config_static_selectorELNS0_4arch9wavefront6targetE1EEEvT1_
	.globl	_ZN7rocprim17ROCPRIM_400000_NS6detail17trampoline_kernelINS0_14default_configENS1_25partition_config_selectorILNS1_17partition_subalgoE0EyNS0_10empty_typeEbEEZZNS1_14partition_implILS5_0ELb0ES3_jN6thrust23THRUST_200600_302600_NS6detail15normal_iteratorINSA_10device_ptrIyEEEEPS6_SG_NS0_5tupleIJNSA_16discard_iteratorINSA_11use_defaultEEESF_EEENSH_IJSG_SG_EEES6_PlJ7is_evenIyEEEE10hipError_tPvRmT3_T4_T5_T6_T7_T9_mT8_P12ihipStream_tbDpT10_ENKUlT_T0_E_clISt17integral_constantIbLb0EES18_IbLb1EEEEDaS14_S15_EUlS14_E_NS1_11comp_targetILNS1_3genE5ELNS1_11target_archE942ELNS1_3gpuE9ELNS1_3repE0EEENS1_30default_config_static_selectorELNS0_4arch9wavefront6targetE1EEEvT1_
	.p2align	8
	.type	_ZN7rocprim17ROCPRIM_400000_NS6detail17trampoline_kernelINS0_14default_configENS1_25partition_config_selectorILNS1_17partition_subalgoE0EyNS0_10empty_typeEbEEZZNS1_14partition_implILS5_0ELb0ES3_jN6thrust23THRUST_200600_302600_NS6detail15normal_iteratorINSA_10device_ptrIyEEEEPS6_SG_NS0_5tupleIJNSA_16discard_iteratorINSA_11use_defaultEEESF_EEENSH_IJSG_SG_EEES6_PlJ7is_evenIyEEEE10hipError_tPvRmT3_T4_T5_T6_T7_T9_mT8_P12ihipStream_tbDpT10_ENKUlT_T0_E_clISt17integral_constantIbLb0EES18_IbLb1EEEEDaS14_S15_EUlS14_E_NS1_11comp_targetILNS1_3genE5ELNS1_11target_archE942ELNS1_3gpuE9ELNS1_3repE0EEENS1_30default_config_static_selectorELNS0_4arch9wavefront6targetE1EEEvT1_,@function
_ZN7rocprim17ROCPRIM_400000_NS6detail17trampoline_kernelINS0_14default_configENS1_25partition_config_selectorILNS1_17partition_subalgoE0EyNS0_10empty_typeEbEEZZNS1_14partition_implILS5_0ELb0ES3_jN6thrust23THRUST_200600_302600_NS6detail15normal_iteratorINSA_10device_ptrIyEEEEPS6_SG_NS0_5tupleIJNSA_16discard_iteratorINSA_11use_defaultEEESF_EEENSH_IJSG_SG_EEES6_PlJ7is_evenIyEEEE10hipError_tPvRmT3_T4_T5_T6_T7_T9_mT8_P12ihipStream_tbDpT10_ENKUlT_T0_E_clISt17integral_constantIbLb0EES18_IbLb1EEEEDaS14_S15_EUlS14_E_NS1_11comp_targetILNS1_3genE5ELNS1_11target_archE942ELNS1_3gpuE9ELNS1_3repE0EEENS1_30default_config_static_selectorELNS0_4arch9wavefront6targetE1EEEvT1_: ; @_ZN7rocprim17ROCPRIM_400000_NS6detail17trampoline_kernelINS0_14default_configENS1_25partition_config_selectorILNS1_17partition_subalgoE0EyNS0_10empty_typeEbEEZZNS1_14partition_implILS5_0ELb0ES3_jN6thrust23THRUST_200600_302600_NS6detail15normal_iteratorINSA_10device_ptrIyEEEEPS6_SG_NS0_5tupleIJNSA_16discard_iteratorINSA_11use_defaultEEESF_EEENSH_IJSG_SG_EEES6_PlJ7is_evenIyEEEE10hipError_tPvRmT3_T4_T5_T6_T7_T9_mT8_P12ihipStream_tbDpT10_ENKUlT_T0_E_clISt17integral_constantIbLb0EES18_IbLb1EEEEDaS14_S15_EUlS14_E_NS1_11comp_targetILNS1_3genE5ELNS1_11target_archE942ELNS1_3gpuE9ELNS1_3repE0EEENS1_30default_config_static_selectorELNS0_4arch9wavefront6targetE1EEEvT1_
; %bb.0:
	.section	.rodata,"a",@progbits
	.p2align	6, 0x0
	.amdhsa_kernel _ZN7rocprim17ROCPRIM_400000_NS6detail17trampoline_kernelINS0_14default_configENS1_25partition_config_selectorILNS1_17partition_subalgoE0EyNS0_10empty_typeEbEEZZNS1_14partition_implILS5_0ELb0ES3_jN6thrust23THRUST_200600_302600_NS6detail15normal_iteratorINSA_10device_ptrIyEEEEPS6_SG_NS0_5tupleIJNSA_16discard_iteratorINSA_11use_defaultEEESF_EEENSH_IJSG_SG_EEES6_PlJ7is_evenIyEEEE10hipError_tPvRmT3_T4_T5_T6_T7_T9_mT8_P12ihipStream_tbDpT10_ENKUlT_T0_E_clISt17integral_constantIbLb0EES18_IbLb1EEEEDaS14_S15_EUlS14_E_NS1_11comp_targetILNS1_3genE5ELNS1_11target_archE942ELNS1_3gpuE9ELNS1_3repE0EEENS1_30default_config_static_selectorELNS0_4arch9wavefront6targetE1EEEvT1_
		.amdhsa_group_segment_fixed_size 0
		.amdhsa_private_segment_fixed_size 0
		.amdhsa_kernarg_size 144
		.amdhsa_user_sgpr_count 6
		.amdhsa_user_sgpr_private_segment_buffer 1
		.amdhsa_user_sgpr_dispatch_ptr 0
		.amdhsa_user_sgpr_queue_ptr 0
		.amdhsa_user_sgpr_kernarg_segment_ptr 1
		.amdhsa_user_sgpr_dispatch_id 0
		.amdhsa_user_sgpr_flat_scratch_init 0
		.amdhsa_user_sgpr_kernarg_preload_length 0
		.amdhsa_user_sgpr_kernarg_preload_offset 0
		.amdhsa_user_sgpr_private_segment_size 0
		.amdhsa_uses_dynamic_stack 0
		.amdhsa_system_sgpr_private_segment_wavefront_offset 0
		.amdhsa_system_sgpr_workgroup_id_x 1
		.amdhsa_system_sgpr_workgroup_id_y 0
		.amdhsa_system_sgpr_workgroup_id_z 0
		.amdhsa_system_sgpr_workgroup_info 0
		.amdhsa_system_vgpr_workitem_id 0
		.amdhsa_next_free_vgpr 1
		.amdhsa_next_free_sgpr 0
		.amdhsa_accum_offset 4
		.amdhsa_reserve_vcc 0
		.amdhsa_reserve_flat_scratch 0
		.amdhsa_float_round_mode_32 0
		.amdhsa_float_round_mode_16_64 0
		.amdhsa_float_denorm_mode_32 3
		.amdhsa_float_denorm_mode_16_64 3
		.amdhsa_dx10_clamp 1
		.amdhsa_ieee_mode 1
		.amdhsa_fp16_overflow 0
		.amdhsa_tg_split 0
		.amdhsa_exception_fp_ieee_invalid_op 0
		.amdhsa_exception_fp_denorm_src 0
		.amdhsa_exception_fp_ieee_div_zero 0
		.amdhsa_exception_fp_ieee_overflow 0
		.amdhsa_exception_fp_ieee_underflow 0
		.amdhsa_exception_fp_ieee_inexact 0
		.amdhsa_exception_int_div_zero 0
	.end_amdhsa_kernel
	.section	.text._ZN7rocprim17ROCPRIM_400000_NS6detail17trampoline_kernelINS0_14default_configENS1_25partition_config_selectorILNS1_17partition_subalgoE0EyNS0_10empty_typeEbEEZZNS1_14partition_implILS5_0ELb0ES3_jN6thrust23THRUST_200600_302600_NS6detail15normal_iteratorINSA_10device_ptrIyEEEEPS6_SG_NS0_5tupleIJNSA_16discard_iteratorINSA_11use_defaultEEESF_EEENSH_IJSG_SG_EEES6_PlJ7is_evenIyEEEE10hipError_tPvRmT3_T4_T5_T6_T7_T9_mT8_P12ihipStream_tbDpT10_ENKUlT_T0_E_clISt17integral_constantIbLb0EES18_IbLb1EEEEDaS14_S15_EUlS14_E_NS1_11comp_targetILNS1_3genE5ELNS1_11target_archE942ELNS1_3gpuE9ELNS1_3repE0EEENS1_30default_config_static_selectorELNS0_4arch9wavefront6targetE1EEEvT1_,"axG",@progbits,_ZN7rocprim17ROCPRIM_400000_NS6detail17trampoline_kernelINS0_14default_configENS1_25partition_config_selectorILNS1_17partition_subalgoE0EyNS0_10empty_typeEbEEZZNS1_14partition_implILS5_0ELb0ES3_jN6thrust23THRUST_200600_302600_NS6detail15normal_iteratorINSA_10device_ptrIyEEEEPS6_SG_NS0_5tupleIJNSA_16discard_iteratorINSA_11use_defaultEEESF_EEENSH_IJSG_SG_EEES6_PlJ7is_evenIyEEEE10hipError_tPvRmT3_T4_T5_T6_T7_T9_mT8_P12ihipStream_tbDpT10_ENKUlT_T0_E_clISt17integral_constantIbLb0EES18_IbLb1EEEEDaS14_S15_EUlS14_E_NS1_11comp_targetILNS1_3genE5ELNS1_11target_archE942ELNS1_3gpuE9ELNS1_3repE0EEENS1_30default_config_static_selectorELNS0_4arch9wavefront6targetE1EEEvT1_,comdat
.Lfunc_end2388:
	.size	_ZN7rocprim17ROCPRIM_400000_NS6detail17trampoline_kernelINS0_14default_configENS1_25partition_config_selectorILNS1_17partition_subalgoE0EyNS0_10empty_typeEbEEZZNS1_14partition_implILS5_0ELb0ES3_jN6thrust23THRUST_200600_302600_NS6detail15normal_iteratorINSA_10device_ptrIyEEEEPS6_SG_NS0_5tupleIJNSA_16discard_iteratorINSA_11use_defaultEEESF_EEENSH_IJSG_SG_EEES6_PlJ7is_evenIyEEEE10hipError_tPvRmT3_T4_T5_T6_T7_T9_mT8_P12ihipStream_tbDpT10_ENKUlT_T0_E_clISt17integral_constantIbLb0EES18_IbLb1EEEEDaS14_S15_EUlS14_E_NS1_11comp_targetILNS1_3genE5ELNS1_11target_archE942ELNS1_3gpuE9ELNS1_3repE0EEENS1_30default_config_static_selectorELNS0_4arch9wavefront6targetE1EEEvT1_, .Lfunc_end2388-_ZN7rocprim17ROCPRIM_400000_NS6detail17trampoline_kernelINS0_14default_configENS1_25partition_config_selectorILNS1_17partition_subalgoE0EyNS0_10empty_typeEbEEZZNS1_14partition_implILS5_0ELb0ES3_jN6thrust23THRUST_200600_302600_NS6detail15normal_iteratorINSA_10device_ptrIyEEEEPS6_SG_NS0_5tupleIJNSA_16discard_iteratorINSA_11use_defaultEEESF_EEENSH_IJSG_SG_EEES6_PlJ7is_evenIyEEEE10hipError_tPvRmT3_T4_T5_T6_T7_T9_mT8_P12ihipStream_tbDpT10_ENKUlT_T0_E_clISt17integral_constantIbLb0EES18_IbLb1EEEEDaS14_S15_EUlS14_E_NS1_11comp_targetILNS1_3genE5ELNS1_11target_archE942ELNS1_3gpuE9ELNS1_3repE0EEENS1_30default_config_static_selectorELNS0_4arch9wavefront6targetE1EEEvT1_
                                        ; -- End function
	.section	.AMDGPU.csdata,"",@progbits
; Kernel info:
; codeLenInByte = 0
; NumSgprs: 4
; NumVgprs: 0
; NumAgprs: 0
; TotalNumVgprs: 0
; ScratchSize: 0
; MemoryBound: 0
; FloatMode: 240
; IeeeMode: 1
; LDSByteSize: 0 bytes/workgroup (compile time only)
; SGPRBlocks: 0
; VGPRBlocks: 0
; NumSGPRsForWavesPerEU: 4
; NumVGPRsForWavesPerEU: 1
; AccumOffset: 4
; Occupancy: 8
; WaveLimiterHint : 0
; COMPUTE_PGM_RSRC2:SCRATCH_EN: 0
; COMPUTE_PGM_RSRC2:USER_SGPR: 6
; COMPUTE_PGM_RSRC2:TRAP_HANDLER: 0
; COMPUTE_PGM_RSRC2:TGID_X_EN: 1
; COMPUTE_PGM_RSRC2:TGID_Y_EN: 0
; COMPUTE_PGM_RSRC2:TGID_Z_EN: 0
; COMPUTE_PGM_RSRC2:TIDIG_COMP_CNT: 0
; COMPUTE_PGM_RSRC3_GFX90A:ACCUM_OFFSET: 0
; COMPUTE_PGM_RSRC3_GFX90A:TG_SPLIT: 0
	.section	.text._ZN7rocprim17ROCPRIM_400000_NS6detail17trampoline_kernelINS0_14default_configENS1_25partition_config_selectorILNS1_17partition_subalgoE0EyNS0_10empty_typeEbEEZZNS1_14partition_implILS5_0ELb0ES3_jN6thrust23THRUST_200600_302600_NS6detail15normal_iteratorINSA_10device_ptrIyEEEEPS6_SG_NS0_5tupleIJNSA_16discard_iteratorINSA_11use_defaultEEESF_EEENSH_IJSG_SG_EEES6_PlJ7is_evenIyEEEE10hipError_tPvRmT3_T4_T5_T6_T7_T9_mT8_P12ihipStream_tbDpT10_ENKUlT_T0_E_clISt17integral_constantIbLb0EES18_IbLb1EEEEDaS14_S15_EUlS14_E_NS1_11comp_targetILNS1_3genE4ELNS1_11target_archE910ELNS1_3gpuE8ELNS1_3repE0EEENS1_30default_config_static_selectorELNS0_4arch9wavefront6targetE1EEEvT1_,"axG",@progbits,_ZN7rocprim17ROCPRIM_400000_NS6detail17trampoline_kernelINS0_14default_configENS1_25partition_config_selectorILNS1_17partition_subalgoE0EyNS0_10empty_typeEbEEZZNS1_14partition_implILS5_0ELb0ES3_jN6thrust23THRUST_200600_302600_NS6detail15normal_iteratorINSA_10device_ptrIyEEEEPS6_SG_NS0_5tupleIJNSA_16discard_iteratorINSA_11use_defaultEEESF_EEENSH_IJSG_SG_EEES6_PlJ7is_evenIyEEEE10hipError_tPvRmT3_T4_T5_T6_T7_T9_mT8_P12ihipStream_tbDpT10_ENKUlT_T0_E_clISt17integral_constantIbLb0EES18_IbLb1EEEEDaS14_S15_EUlS14_E_NS1_11comp_targetILNS1_3genE4ELNS1_11target_archE910ELNS1_3gpuE8ELNS1_3repE0EEENS1_30default_config_static_selectorELNS0_4arch9wavefront6targetE1EEEvT1_,comdat
	.protected	_ZN7rocprim17ROCPRIM_400000_NS6detail17trampoline_kernelINS0_14default_configENS1_25partition_config_selectorILNS1_17partition_subalgoE0EyNS0_10empty_typeEbEEZZNS1_14partition_implILS5_0ELb0ES3_jN6thrust23THRUST_200600_302600_NS6detail15normal_iteratorINSA_10device_ptrIyEEEEPS6_SG_NS0_5tupleIJNSA_16discard_iteratorINSA_11use_defaultEEESF_EEENSH_IJSG_SG_EEES6_PlJ7is_evenIyEEEE10hipError_tPvRmT3_T4_T5_T6_T7_T9_mT8_P12ihipStream_tbDpT10_ENKUlT_T0_E_clISt17integral_constantIbLb0EES18_IbLb1EEEEDaS14_S15_EUlS14_E_NS1_11comp_targetILNS1_3genE4ELNS1_11target_archE910ELNS1_3gpuE8ELNS1_3repE0EEENS1_30default_config_static_selectorELNS0_4arch9wavefront6targetE1EEEvT1_ ; -- Begin function _ZN7rocprim17ROCPRIM_400000_NS6detail17trampoline_kernelINS0_14default_configENS1_25partition_config_selectorILNS1_17partition_subalgoE0EyNS0_10empty_typeEbEEZZNS1_14partition_implILS5_0ELb0ES3_jN6thrust23THRUST_200600_302600_NS6detail15normal_iteratorINSA_10device_ptrIyEEEEPS6_SG_NS0_5tupleIJNSA_16discard_iteratorINSA_11use_defaultEEESF_EEENSH_IJSG_SG_EEES6_PlJ7is_evenIyEEEE10hipError_tPvRmT3_T4_T5_T6_T7_T9_mT8_P12ihipStream_tbDpT10_ENKUlT_T0_E_clISt17integral_constantIbLb0EES18_IbLb1EEEEDaS14_S15_EUlS14_E_NS1_11comp_targetILNS1_3genE4ELNS1_11target_archE910ELNS1_3gpuE8ELNS1_3repE0EEENS1_30default_config_static_selectorELNS0_4arch9wavefront6targetE1EEEvT1_
	.globl	_ZN7rocprim17ROCPRIM_400000_NS6detail17trampoline_kernelINS0_14default_configENS1_25partition_config_selectorILNS1_17partition_subalgoE0EyNS0_10empty_typeEbEEZZNS1_14partition_implILS5_0ELb0ES3_jN6thrust23THRUST_200600_302600_NS6detail15normal_iteratorINSA_10device_ptrIyEEEEPS6_SG_NS0_5tupleIJNSA_16discard_iteratorINSA_11use_defaultEEESF_EEENSH_IJSG_SG_EEES6_PlJ7is_evenIyEEEE10hipError_tPvRmT3_T4_T5_T6_T7_T9_mT8_P12ihipStream_tbDpT10_ENKUlT_T0_E_clISt17integral_constantIbLb0EES18_IbLb1EEEEDaS14_S15_EUlS14_E_NS1_11comp_targetILNS1_3genE4ELNS1_11target_archE910ELNS1_3gpuE8ELNS1_3repE0EEENS1_30default_config_static_selectorELNS0_4arch9wavefront6targetE1EEEvT1_
	.p2align	8
	.type	_ZN7rocprim17ROCPRIM_400000_NS6detail17trampoline_kernelINS0_14default_configENS1_25partition_config_selectorILNS1_17partition_subalgoE0EyNS0_10empty_typeEbEEZZNS1_14partition_implILS5_0ELb0ES3_jN6thrust23THRUST_200600_302600_NS6detail15normal_iteratorINSA_10device_ptrIyEEEEPS6_SG_NS0_5tupleIJNSA_16discard_iteratorINSA_11use_defaultEEESF_EEENSH_IJSG_SG_EEES6_PlJ7is_evenIyEEEE10hipError_tPvRmT3_T4_T5_T6_T7_T9_mT8_P12ihipStream_tbDpT10_ENKUlT_T0_E_clISt17integral_constantIbLb0EES18_IbLb1EEEEDaS14_S15_EUlS14_E_NS1_11comp_targetILNS1_3genE4ELNS1_11target_archE910ELNS1_3gpuE8ELNS1_3repE0EEENS1_30default_config_static_selectorELNS0_4arch9wavefront6targetE1EEEvT1_,@function
_ZN7rocprim17ROCPRIM_400000_NS6detail17trampoline_kernelINS0_14default_configENS1_25partition_config_selectorILNS1_17partition_subalgoE0EyNS0_10empty_typeEbEEZZNS1_14partition_implILS5_0ELb0ES3_jN6thrust23THRUST_200600_302600_NS6detail15normal_iteratorINSA_10device_ptrIyEEEEPS6_SG_NS0_5tupleIJNSA_16discard_iteratorINSA_11use_defaultEEESF_EEENSH_IJSG_SG_EEES6_PlJ7is_evenIyEEEE10hipError_tPvRmT3_T4_T5_T6_T7_T9_mT8_P12ihipStream_tbDpT10_ENKUlT_T0_E_clISt17integral_constantIbLb0EES18_IbLb1EEEEDaS14_S15_EUlS14_E_NS1_11comp_targetILNS1_3genE4ELNS1_11target_archE910ELNS1_3gpuE8ELNS1_3repE0EEENS1_30default_config_static_selectorELNS0_4arch9wavefront6targetE1EEEvT1_: ; @_ZN7rocprim17ROCPRIM_400000_NS6detail17trampoline_kernelINS0_14default_configENS1_25partition_config_selectorILNS1_17partition_subalgoE0EyNS0_10empty_typeEbEEZZNS1_14partition_implILS5_0ELb0ES3_jN6thrust23THRUST_200600_302600_NS6detail15normal_iteratorINSA_10device_ptrIyEEEEPS6_SG_NS0_5tupleIJNSA_16discard_iteratorINSA_11use_defaultEEESF_EEENSH_IJSG_SG_EEES6_PlJ7is_evenIyEEEE10hipError_tPvRmT3_T4_T5_T6_T7_T9_mT8_P12ihipStream_tbDpT10_ENKUlT_T0_E_clISt17integral_constantIbLb0EES18_IbLb1EEEEDaS14_S15_EUlS14_E_NS1_11comp_targetILNS1_3genE4ELNS1_11target_archE910ELNS1_3gpuE8ELNS1_3repE0EEENS1_30default_config_static_selectorELNS0_4arch9wavefront6targetE1EEEvT1_
; %bb.0:
	s_load_dwordx2 s[28:29], s[4:5], 0x38
	s_load_dwordx4 s[20:23], s[4:5], 0x50
	s_load_dwordx2 s[2:3], s[4:5], 0x60
	s_load_dwordx2 s[30:31], s[4:5], 0x70
	v_cmp_eq_u32_e64 s[0:1], 0, v0
	s_and_saveexec_b64 s[6:7], s[0:1]
	s_cbranch_execz .LBB2389_4
; %bb.1:
	s_mov_b64 s[10:11], exec
	v_mbcnt_lo_u32_b32 v1, s10, 0
	v_mbcnt_hi_u32_b32 v1, s11, v1
	v_cmp_eq_u32_e32 vcc, 0, v1
                                        ; implicit-def: $vgpr2
	s_and_saveexec_b64 s[8:9], vcc
	s_cbranch_execz .LBB2389_3
; %bb.2:
	s_load_dwordx2 s[12:13], s[4:5], 0x80
	s_bcnt1_i32_b64 s10, s[10:11]
	v_mov_b32_e32 v2, 0
	v_mov_b32_e32 v3, s10
	s_waitcnt lgkmcnt(0)
	global_atomic_add v2, v2, v3, s[12:13] glc
.LBB2389_3:
	s_or_b64 exec, exec, s[8:9]
	s_waitcnt vmcnt(0)
	v_readfirstlane_b32 s8, v2
	v_add_u32_e32 v1, s8, v1
	v_mov_b32_e32 v2, 0
	ds_write_b32 v2, v1
.LBB2389_4:
	s_or_b64 exec, exec, s[6:7]
	v_mov_b32_e32 v3, 0
	s_load_dwordx4 s[24:27], s[4:5], 0x8
	s_load_dword s6, s[4:5], 0x78
	s_waitcnt lgkmcnt(0)
	s_barrier
	ds_read_b32 v1, v3
	s_waitcnt lgkmcnt(0)
	s_barrier
	global_load_dwordx2 v[10:11], v3, s[22:23]
	v_mov_b32_e32 v5, s3
	s_lshl_b64 s[4:5], s[26:27], 3
	s_movk_i32 s3, 0x300
	s_add_u32 s7, s24, s4
	v_mul_lo_u32 v2, v1, s3
	s_mul_i32 s3, s6, 0x300
	s_addc_u32 s8, s25, s5
	s_add_i32 s5, s3, s26
	s_sub_i32 s33, s2, s5
	s_add_i32 s4, s6, -1
	s_addk_i32 s33, 0x300
	v_mov_b32_e32 v4, s2
	s_add_u32 s2, s26, s3
	v_readfirstlane_b32 s38, v1
	s_addc_u32 s3, s27, 0
	s_cmp_eq_u32 s38, s4
	s_cselect_b64 s[22:23], -1, 0
	s_cmp_lg_u32 s38, s4
	v_cmp_lt_u64_e32 vcc, s[2:3], v[4:5]
	s_cselect_b64 s[2:3], -1, 0
	v_lshlrev_b64 v[12:13], 3, v[2:3]
	s_or_b64 s[4:5], vcc, s[2:3]
	v_mov_b32_e32 v1, s8
	v_add_co_u32_e32 v14, vcc, s7, v12
	v_addc_co_u32_e32 v15, vcc, v1, v13, vcc
	s_mov_b64 s[2:3], -1
	s_and_b64 vcc, exec, s[4:5]
	v_lshlrev_b32_e32 v24, 3, v0
	v_lshrrev_b32_e32 v1, 2, v0
	s_cbranch_vccz .LBB2389_6
; %bb.5:
	v_add_co_u32_e32 v2, vcc, v14, v24
	v_addc_co_u32_e32 v3, vcc, 0, v15, vcc
	v_add_co_u32_e32 v4, vcc, 0x1000, v2
	v_addc_co_u32_e32 v5, vcc, 0, v3, vcc
	flat_load_dwordx2 v[6:7], v[2:3]
	flat_load_dwordx2 v[8:9], v[2:3] offset:1536
	flat_load_dwordx2 v[16:17], v[2:3] offset:3072
	;; [unrolled: 1-line block ×3, first 2 shown]
	v_add_u32_e32 v3, 0xc0, v0
	v_add_u32_e32 v4, 0x180, v0
	;; [unrolled: 1-line block ×3, first 2 shown]
	v_and_b32_e32 v2, 56, v1
	v_lshrrev_b32_e32 v3, 2, v3
	v_lshrrev_b32_e32 v4, 2, v4
	;; [unrolled: 1-line block ×3, first 2 shown]
	v_add_u32_e32 v2, v2, v24
	v_and_b32_e32 v3, 0x78, v3
	v_and_b32_e32 v4, 0xf8, v4
	;; [unrolled: 1-line block ×3, first 2 shown]
	v_add_u32_e32 v3, v3, v24
	v_add_u32_e32 v4, v4, v24
	v_add_u32_e32 v5, v5, v24
	s_mov_b64 s[2:3], 0
	s_waitcnt vmcnt(0) lgkmcnt(0)
	ds_write_b64 v2, v[6:7]
	ds_write_b64 v3, v[8:9] offset:1536
	ds_write_b64 v4, v[16:17] offset:3072
	;; [unrolled: 1-line block ×3, first 2 shown]
	s_waitcnt lgkmcnt(0)
	s_barrier
.LBB2389_6:
	s_andn2_b64 vcc, exec, s[2:3]
	v_cmp_gt_u32_e64 s[2:3], s33, v0
	s_cbranch_vccnz .LBB2389_16
; %bb.7:
                                        ; implicit-def: $vgpr2_vgpr3_vgpr4_vgpr5_vgpr6_vgpr7_vgpr8_vgpr9
	s_and_saveexec_b64 s[6:7], s[2:3]
	s_cbranch_execz .LBB2389_9
; %bb.8:
	v_add_co_u32_e32 v2, vcc, v14, v24
	v_addc_co_u32_e32 v3, vcc, 0, v15, vcc
	flat_load_dwordx2 v[2:3], v[2:3]
.LBB2389_9:
	s_or_b64 exec, exec, s[6:7]
	v_add_u32_e32 v16, 0xc0, v0
	v_cmp_gt_u32_e32 vcc, s33, v16
	s_and_saveexec_b64 s[2:3], vcc
	s_cbranch_execz .LBB2389_11
; %bb.10:
	v_add_co_u32_e32 v4, vcc, v14, v24
	v_addc_co_u32_e32 v5, vcc, 0, v15, vcc
	flat_load_dwordx2 v[4:5], v[4:5] offset:1536
.LBB2389_11:
	s_or_b64 exec, exec, s[2:3]
	v_add_u32_e32 v17, 0x180, v0
	v_cmp_gt_u32_e32 vcc, s33, v17
	s_and_saveexec_b64 s[2:3], vcc
	s_cbranch_execz .LBB2389_13
; %bb.12:
	v_add_co_u32_e32 v6, vcc, v14, v24
	v_addc_co_u32_e32 v7, vcc, 0, v15, vcc
	flat_load_dwordx2 v[6:7], v[6:7] offset:3072
.LBB2389_13:
	s_or_b64 exec, exec, s[2:3]
	v_add_u32_e32 v18, 0x240, v0
	v_cmp_gt_u32_e32 vcc, s33, v18
	s_and_saveexec_b64 s[2:3], vcc
	s_cbranch_execz .LBB2389_15
; %bb.14:
	v_lshlrev_b32_e32 v8, 3, v18
	v_add_co_u32_e32 v8, vcc, v14, v8
	v_addc_co_u32_e32 v9, vcc, 0, v15, vcc
	flat_load_dwordx2 v[8:9], v[8:9]
.LBB2389_15:
	s_or_b64 exec, exec, s[2:3]
	v_and_b32_e32 v1, 56, v1
	v_add_u32_e32 v1, v1, v24
	s_waitcnt vmcnt(0) lgkmcnt(0)
	ds_write_b64 v1, v[2:3]
	v_lshrrev_b32_e32 v1, 2, v16
	v_and_b32_e32 v1, 0x78, v1
	v_add_u32_e32 v1, v1, v24
	ds_write_b64 v1, v[4:5] offset:1536
	v_lshrrev_b32_e32 v1, 2, v17
	v_and_b32_e32 v1, 0xf8, v1
	v_add_u32_e32 v1, v1, v24
	ds_write_b64 v1, v[6:7] offset:3072
	;; [unrolled: 4-line block ×3, first 2 shown]
	s_waitcnt lgkmcnt(0)
	s_barrier
.LBB2389_16:
	v_lshlrev_b32_e32 v1, 2, v0
	v_lshrrev_b32_e32 v2, 3, v0
	v_add_lshl_u32 v2, v2, v1, 3
	ds_read2_b64 v[6:9], v2 offset1:1
	ds_read2_b64 v[2:5], v2 offset0:2 offset1:3
	v_cndmask_b32_e64 v14, 0, 1, s[4:5]
	v_cmp_ne_u32_e64 s[2:3], 1, v14
	s_andn2_b64 vcc, exec, s[4:5]
	s_waitcnt lgkmcnt(1)
	v_xor_b32_e32 v17, -1, v6
	v_xor_b32_e32 v16, -1, v8
	s_waitcnt lgkmcnt(0)
	v_xor_b32_e32 v15, -1, v2
	v_xor_b32_e32 v14, -1, v4
	s_barrier
	s_cbranch_vccnz .LBB2389_18
; %bb.17:
	v_mov_b32_e32 v19, 1
	v_and_b32_e32 v18, 1, v17
	v_and_b32_sdwa v20, v16, v19 dst_sel:BYTE_1 dst_unused:UNUSED_PAD src0_sel:DWORD src1_sel:DWORD
	v_and_b32_e32 v21, 1, v15
	v_and_b32_sdwa v19, v14, v19 dst_sel:BYTE_1 dst_unused:UNUSED_PAD src0_sel:DWORD src1_sel:DWORD
	v_or_b32_e32 v18, v18, v20
	v_or_b32_sdwa v19, v21, v19 dst_sel:WORD_1 dst_unused:UNUSED_PAD src0_sel:DWORD src1_sel:DWORD
	v_or_b32_sdwa v25, v18, v19 dst_sel:DWORD dst_unused:UNUSED_PAD src0_sel:WORD_0 src1_sel:DWORD
	s_cbranch_execz .LBB2389_19
	s_branch .LBB2389_20
.LBB2389_18:
                                        ; implicit-def: $vgpr25
.LBB2389_19:
	v_cmp_gt_u32_e32 vcc, s33, v1
	v_cndmask_b32_e64 v18, 0, 1, vcc
	v_and_b32_e32 v17, v18, v17
	v_or_b32_e32 v18, 1, v1
	v_cmp_gt_u32_e32 vcc, s33, v18
	v_cndmask_b32_e64 v18, 0, 1, vcc
	v_and_b32_sdwa v16, v18, v16 dst_sel:BYTE_1 dst_unused:UNUSED_PAD src0_sel:DWORD src1_sel:DWORD
	v_or_b32_e32 v18, 2, v1
	v_cmp_gt_u32_e32 vcc, s33, v18
	v_cndmask_b32_e64 v18, 0, 1, vcc
	v_and_b32_e32 v15, v18, v15
	v_or_b32_e32 v18, 3, v1
	v_cmp_gt_u32_e32 vcc, s33, v18
	v_cndmask_b32_e64 v18, 0, 1, vcc
	v_and_b32_sdwa v14, v18, v14 dst_sel:BYTE_1 dst_unused:UNUSED_PAD src0_sel:DWORD src1_sel:DWORD
	v_or_b32_e32 v16, v17, v16
	v_or_b32_sdwa v14, v15, v14 dst_sel:WORD_1 dst_unused:UNUSED_PAD src0_sel:DWORD src1_sel:DWORD
	v_or_b32_sdwa v25, v16, v14 dst_sel:DWORD dst_unused:UNUSED_PAD src0_sel:WORD_0 src1_sel:DWORD
.LBB2389_20:
	v_bfe_u32 v27, v25, 16, 8
	v_lshrrev_b32_e32 v26, 24, v25
	v_add_u32_sdwa v14, v25, v25 dst_sel:DWORD dst_unused:UNUSED_PAD src0_sel:BYTE_1 src1_sel:BYTE_0
	v_add3_u32 v30, v14, v27, v26
	v_mbcnt_lo_u32_b32 v14, -1, 0
	v_mbcnt_hi_u32_b32 v28, -1, v14
	v_and_b32_e32 v14, 15, v28
	v_cmp_eq_u32_e64 s[16:17], 0, v14
	v_cmp_lt_u32_e64 s[14:15], 1, v14
	v_cmp_lt_u32_e64 s[12:13], 3, v14
	;; [unrolled: 1-line block ×3, first 2 shown]
	v_and_b32_e32 v14, 16, v28
	v_cmp_eq_u32_e64 s[6:7], 0, v14
	v_and_b32_e32 v14, 0xc0, v0
	v_min_u32_e32 v14, 0x80, v14
	v_or_b32_e32 v14, 63, v14
	s_cmp_lg_u32 s38, 0
	v_cmp_lt_u32_e64 s[4:5], 31, v28
	v_lshrrev_b32_e32 v29, 6, v0
	v_cmp_eq_u32_e64 s[8:9], v14, v0
	s_cbranch_scc0 .LBB2389_47
; %bb.21:
	v_mov_b32_dpp v14, v30 row_shr:1 row_mask:0xf bank_mask:0xf
	v_cndmask_b32_e64 v14, v14, 0, s[16:17]
	v_add_u32_e32 v14, v14, v30
	s_nop 1
	v_mov_b32_dpp v15, v14 row_shr:2 row_mask:0xf bank_mask:0xf
	v_cndmask_b32_e64 v15, 0, v15, s[14:15]
	v_add_u32_e32 v14, v14, v15
	s_nop 1
	v_mov_b32_dpp v15, v14 row_shr:4 row_mask:0xf bank_mask:0xf
	v_cndmask_b32_e64 v15, 0, v15, s[12:13]
	v_add_u32_e32 v14, v14, v15
	s_nop 1
	v_mov_b32_dpp v15, v14 row_shr:8 row_mask:0xf bank_mask:0xf
	v_cndmask_b32_e64 v15, 0, v15, s[10:11]
	v_add_u32_e32 v14, v14, v15
	s_nop 1
	v_mov_b32_dpp v15, v14 row_bcast:15 row_mask:0xf bank_mask:0xf
	v_cndmask_b32_e64 v15, v15, 0, s[6:7]
	v_add_u32_e32 v14, v14, v15
	s_nop 1
	v_mov_b32_dpp v15, v14 row_bcast:31 row_mask:0xf bank_mask:0xf
	v_cndmask_b32_e64 v15, 0, v15, s[4:5]
	v_add_u32_e32 v14, v14, v15
	s_and_saveexec_b64 s[18:19], s[8:9]
	s_cbranch_execz .LBB2389_23
; %bb.22:
	v_lshlrev_b32_e32 v15, 2, v29
	ds_write_b32 v15, v14
.LBB2389_23:
	s_or_b64 exec, exec, s[18:19]
	v_cmp_gt_u32_e32 vcc, 3, v0
	s_waitcnt lgkmcnt(0)
	s_barrier
	s_and_saveexec_b64 s[18:19], vcc
	s_cbranch_execz .LBB2389_25
; %bb.24:
	ds_read_b32 v15, v1
	v_and_b32_e32 v16, 3, v28
	v_cmp_ne_u32_e32 vcc, 0, v16
	s_waitcnt lgkmcnt(0)
	v_mov_b32_dpp v17, v15 row_shr:1 row_mask:0xf bank_mask:0xf
	v_cndmask_b32_e32 v17, 0, v17, vcc
	v_add_u32_e32 v15, v17, v15
	v_cmp_lt_u32_e32 vcc, 1, v16
	s_nop 0
	v_mov_b32_dpp v17, v15 row_shr:2 row_mask:0xf bank_mask:0xf
	v_cndmask_b32_e32 v16, 0, v17, vcc
	v_add_u32_e32 v15, v15, v16
	ds_write_b32 v1, v15
.LBB2389_25:
	s_or_b64 exec, exec, s[18:19]
	v_cmp_gt_u32_e32 vcc, 64, v0
	v_cmp_lt_u32_e64 s[18:19], 63, v0
	s_waitcnt lgkmcnt(0)
	s_barrier
	s_waitcnt lgkmcnt(0)
                                        ; implicit-def: $vgpr31
	s_and_saveexec_b64 s[24:25], s[18:19]
	s_cbranch_execz .LBB2389_27
; %bb.26:
	v_lshl_add_u32 v15, v29, 2, -4
	ds_read_b32 v31, v15
	s_waitcnt lgkmcnt(0)
	v_add_u32_e32 v14, v31, v14
.LBB2389_27:
	s_or_b64 exec, exec, s[24:25]
	v_add_u32_e32 v15, -1, v28
	v_and_b32_e32 v16, 64, v28
	v_cmp_lt_i32_e64 s[18:19], v15, v16
	v_cndmask_b32_e64 v15, v15, v28, s[18:19]
	v_lshlrev_b32_e32 v15, 2, v15
	ds_bpermute_b32 v32, v15, v14
	v_cmp_eq_u32_e64 s[18:19], 0, v28
	s_and_saveexec_b64 s[24:25], vcc
	s_cbranch_execz .LBB2389_46
; %bb.28:
	v_mov_b32_e32 v21, 0
	ds_read_b32 v14, v21 offset:8
	s_and_saveexec_b64 s[34:35], s[18:19]
	s_cbranch_execz .LBB2389_30
; %bb.29:
	s_add_i32 s36, s38, 64
	s_mov_b32 s37, 0
	s_lshl_b64 s[36:37], s[36:37], 3
	s_add_u32 s36, s30, s36
	v_mov_b32_e32 v15, 1
	s_addc_u32 s37, s31, s37
	s_waitcnt lgkmcnt(0)
	global_store_dwordx2 v21, v[14:15], s[36:37]
.LBB2389_30:
	s_or_b64 exec, exec, s[34:35]
	v_xad_u32 v16, v28, -1, s38
	v_add_u32_e32 v20, 64, v16
	v_lshlrev_b64 v[18:19], 3, v[20:21]
	v_mov_b32_e32 v15, s31
	v_add_co_u32_e32 v22, vcc, s30, v18
	v_addc_co_u32_e32 v23, vcc, v15, v19, vcc
	global_load_dwordx2 v[18:19], v[22:23], off glc
	s_waitcnt vmcnt(0)
	v_cmp_eq_u16_sdwa s[36:37], v19, v21 src0_sel:BYTE_0 src1_sel:DWORD
	s_and_saveexec_b64 s[34:35], s[36:37]
	s_cbranch_execz .LBB2389_34
; %bb.31:
	s_mov_b64 s[36:37], 0
	v_mov_b32_e32 v15, 0
.LBB2389_32:                            ; =>This Inner Loop Header: Depth=1
	global_load_dwordx2 v[18:19], v[22:23], off glc
	s_waitcnt vmcnt(0)
	v_cmp_ne_u16_sdwa s[40:41], v19, v15 src0_sel:BYTE_0 src1_sel:DWORD
	s_or_b64 s[36:37], s[40:41], s[36:37]
	s_andn2_b64 exec, exec, s[36:37]
	s_cbranch_execnz .LBB2389_32
; %bb.33:
	s_or_b64 exec, exec, s[36:37]
.LBB2389_34:
	s_or_b64 exec, exec, s[34:35]
	v_and_b32_e32 v34, 63, v28
	v_mov_b32_e32 v33, 2
	v_cmp_ne_u32_e32 vcc, 63, v34
	v_cmp_eq_u16_sdwa s[34:35], v19, v33 src0_sel:BYTE_0 src1_sel:DWORD
	v_lshlrev_b64 v[20:21], v28, -1
	v_addc_co_u32_e32 v22, vcc, 0, v28, vcc
	v_and_b32_e32 v15, s35, v21
	v_lshlrev_b32_e32 v35, 2, v22
	v_or_b32_e32 v15, 0x80000000, v15
	ds_bpermute_b32 v22, v35, v18
	v_and_b32_e32 v17, s34, v20
	v_ffbl_b32_e32 v15, v15
	v_add_u32_e32 v15, 32, v15
	v_ffbl_b32_e32 v17, v17
	v_min_u32_e32 v15, v17, v15
	v_cmp_lt_u32_e32 vcc, v34, v15
	s_waitcnt lgkmcnt(0)
	v_cndmask_b32_e32 v17, 0, v22, vcc
	v_cmp_gt_u32_e32 vcc, 62, v34
	v_add_u32_e32 v17, v17, v18
	v_cndmask_b32_e64 v18, 0, 1, vcc
	v_lshlrev_b32_e32 v18, 1, v18
	v_add_lshl_u32 v36, v18, v28, 2
	ds_bpermute_b32 v18, v36, v17
	v_add_u32_e32 v37, 2, v34
	v_cmp_le_u32_e32 vcc, v37, v15
	v_add_u32_e32 v39, 4, v34
	v_add_u32_e32 v41, 8, v34
	s_waitcnt lgkmcnt(0)
	v_cndmask_b32_e32 v18, 0, v18, vcc
	v_cmp_gt_u32_e32 vcc, 60, v34
	v_add_u32_e32 v17, v17, v18
	v_cndmask_b32_e64 v18, 0, 1, vcc
	v_lshlrev_b32_e32 v18, 2, v18
	v_add_lshl_u32 v38, v18, v28, 2
	ds_bpermute_b32 v18, v38, v17
	v_cmp_le_u32_e32 vcc, v39, v15
	v_add_u32_e32 v43, 16, v34
	v_add_u32_e32 v45, 32, v34
	s_waitcnt lgkmcnt(0)
	v_cndmask_b32_e32 v18, 0, v18, vcc
	v_cmp_gt_u32_e32 vcc, 56, v34
	v_add_u32_e32 v17, v17, v18
	v_cndmask_b32_e64 v18, 0, 1, vcc
	v_lshlrev_b32_e32 v18, 3, v18
	v_add_lshl_u32 v40, v18, v28, 2
	ds_bpermute_b32 v18, v40, v17
	v_cmp_le_u32_e32 vcc, v41, v15
	s_waitcnt lgkmcnt(0)
	v_cndmask_b32_e32 v18, 0, v18, vcc
	v_cmp_gt_u32_e32 vcc, 48, v34
	v_add_u32_e32 v17, v17, v18
	v_cndmask_b32_e64 v18, 0, 1, vcc
	v_lshlrev_b32_e32 v18, 4, v18
	v_add_lshl_u32 v42, v18, v28, 2
	ds_bpermute_b32 v18, v42, v17
	v_cmp_le_u32_e32 vcc, v43, v15
	;; [unrolled: 9-line block ×3, first 2 shown]
	s_waitcnt lgkmcnt(0)
	v_cndmask_b32_e32 v15, 0, v18, vcc
	v_add_u32_e32 v18, v17, v15
	v_mov_b32_e32 v17, 0
	s_branch .LBB2389_36
.LBB2389_35:                            ;   in Loop: Header=BB2389_36 Depth=1
	s_or_b64 exec, exec, s[34:35]
	v_cmp_eq_u16_sdwa s[34:35], v19, v33 src0_sel:BYTE_0 src1_sel:DWORD
	v_and_b32_e32 v22, s35, v21
	v_or_b32_e32 v22, 0x80000000, v22
	ds_bpermute_b32 v46, v35, v18
	v_and_b32_e32 v23, s34, v20
	v_ffbl_b32_e32 v22, v22
	v_add_u32_e32 v22, 32, v22
	v_ffbl_b32_e32 v23, v23
	v_min_u32_e32 v22, v23, v22
	v_cmp_lt_u32_e32 vcc, v34, v22
	s_waitcnt lgkmcnt(0)
	v_cndmask_b32_e32 v23, 0, v46, vcc
	v_add_u32_e32 v18, v23, v18
	ds_bpermute_b32 v23, v36, v18
	v_cmp_le_u32_e32 vcc, v37, v22
	v_subrev_u32_e32 v16, 64, v16
	s_waitcnt lgkmcnt(0)
	v_cndmask_b32_e32 v23, 0, v23, vcc
	v_add_u32_e32 v18, v18, v23
	ds_bpermute_b32 v23, v38, v18
	v_cmp_le_u32_e32 vcc, v39, v22
	s_waitcnt lgkmcnt(0)
	v_cndmask_b32_e32 v23, 0, v23, vcc
	v_add_u32_e32 v18, v18, v23
	ds_bpermute_b32 v23, v40, v18
	v_cmp_le_u32_e32 vcc, v41, v22
	;; [unrolled: 5-line block ×4, first 2 shown]
	s_waitcnt lgkmcnt(0)
	v_cndmask_b32_e32 v22, 0, v23, vcc
	v_add3_u32 v18, v22, v15, v18
.LBB2389_36:                            ; =>This Loop Header: Depth=1
                                        ;     Child Loop BB2389_39 Depth 2
	v_cmp_ne_u16_sdwa s[34:35], v19, v33 src0_sel:BYTE_0 src1_sel:DWORD
	v_cndmask_b32_e64 v15, 0, 1, s[34:35]
	;;#ASMSTART
	;;#ASMEND
	v_cmp_ne_u32_e32 vcc, 0, v15
	s_cmp_lg_u64 vcc, exec
	v_mov_b32_e32 v15, v18
	s_cbranch_scc1 .LBB2389_41
; %bb.37:                               ;   in Loop: Header=BB2389_36 Depth=1
	v_lshlrev_b64 v[18:19], 3, v[16:17]
	v_mov_b32_e32 v23, s31
	v_add_co_u32_e32 v22, vcc, s30, v18
	v_addc_co_u32_e32 v23, vcc, v23, v19, vcc
	global_load_dwordx2 v[18:19], v[22:23], off glc
	s_waitcnt vmcnt(0)
	v_cmp_eq_u16_sdwa s[36:37], v19, v17 src0_sel:BYTE_0 src1_sel:DWORD
	s_and_saveexec_b64 s[34:35], s[36:37]
	s_cbranch_execz .LBB2389_35
; %bb.38:                               ;   in Loop: Header=BB2389_36 Depth=1
	s_mov_b64 s[36:37], 0
.LBB2389_39:                            ;   Parent Loop BB2389_36 Depth=1
                                        ; =>  This Inner Loop Header: Depth=2
	global_load_dwordx2 v[18:19], v[22:23], off glc
	s_waitcnt vmcnt(0)
	v_cmp_ne_u16_sdwa s[40:41], v19, v17 src0_sel:BYTE_0 src1_sel:DWORD
	s_or_b64 s[36:37], s[40:41], s[36:37]
	s_andn2_b64 exec, exec, s[36:37]
	s_cbranch_execnz .LBB2389_39
; %bb.40:                               ;   in Loop: Header=BB2389_36 Depth=1
	s_or_b64 exec, exec, s[36:37]
	s_branch .LBB2389_35
.LBB2389_41:                            ;   in Loop: Header=BB2389_36 Depth=1
                                        ; implicit-def: $vgpr18
                                        ; implicit-def: $vgpr19
	s_cbranch_execz .LBB2389_36
; %bb.42:
	s_and_saveexec_b64 s[34:35], s[18:19]
	s_cbranch_execz .LBB2389_44
; %bb.43:
	s_add_i32 s36, s38, 64
	s_mov_b32 s37, 0
	s_lshl_b64 s[36:37], s[36:37], 3
	s_add_u32 s36, s30, s36
	v_add_u32_e32 v16, v15, v14
	v_mov_b32_e32 v17, 2
	s_addc_u32 s37, s31, s37
	v_mov_b32_e32 v18, 0
	global_store_dwordx2 v18, v[16:17], s[36:37]
	ds_write_b64 v18, v[14:15] offset:6336
.LBB2389_44:
	s_or_b64 exec, exec, s[34:35]
	s_and_b64 exec, exec, s[0:1]
	s_cbranch_execz .LBB2389_46
; %bb.45:
	v_mov_b32_e32 v14, 0
	ds_write_b32 v14, v15 offset:8
.LBB2389_46:
	s_or_b64 exec, exec, s[24:25]
	v_mov_b32_e32 v14, 0
	s_waitcnt lgkmcnt(0)
	s_barrier
	ds_read_b32 v15, v14 offset:8
	v_cndmask_b32_e64 v16, v32, v31, s[18:19]
	v_cndmask_b32_e64 v16, v16, 0, s[0:1]
	s_waitcnt lgkmcnt(0)
	s_barrier
	v_add_u32_e32 v18, v15, v16
	ds_read_b64 v[14:15], v14 offset:6336
	v_add_u32_sdwa v19, v18, v25 dst_sel:DWORD dst_unused:UNUSED_PAD src0_sel:DWORD src1_sel:BYTE_0
	v_add_u32_sdwa v17, v19, v25 dst_sel:DWORD dst_unused:UNUSED_PAD src0_sel:DWORD src1_sel:BYTE_1
	v_add_u32_e32 v16, v17, v27
	s_branch .LBB2389_57
.LBB2389_47:
                                        ; implicit-def: $vgpr15
                                        ; implicit-def: $vgpr16
                                        ; implicit-def: $vgpr17
                                        ; implicit-def: $vgpr19
                                        ; implicit-def: $vgpr18
	s_cbranch_execz .LBB2389_57
; %bb.48:
	s_waitcnt lgkmcnt(0)
	v_mov_b32_dpp v14, v30 row_shr:1 row_mask:0xf bank_mask:0xf
	v_cndmask_b32_e64 v14, v14, 0, s[16:17]
	v_add_u32_e32 v14, v14, v30
	s_nop 1
	v_mov_b32_dpp v15, v14 row_shr:2 row_mask:0xf bank_mask:0xf
	v_cndmask_b32_e64 v15, 0, v15, s[14:15]
	v_add_u32_e32 v14, v14, v15
	s_nop 1
	;; [unrolled: 4-line block ×4, first 2 shown]
	v_mov_b32_dpp v15, v14 row_bcast:15 row_mask:0xf bank_mask:0xf
	v_cndmask_b32_e64 v15, v15, 0, s[6:7]
	v_add_u32_e32 v14, v14, v15
	s_nop 1
	v_mov_b32_dpp v15, v14 row_bcast:31 row_mask:0xf bank_mask:0xf
	v_cndmask_b32_e64 v15, 0, v15, s[4:5]
	v_add_u32_e32 v14, v14, v15
	s_and_saveexec_b64 s[4:5], s[8:9]
	s_cbranch_execz .LBB2389_50
; %bb.49:
	v_lshlrev_b32_e32 v15, 2, v29
	ds_write_b32 v15, v14
.LBB2389_50:
	s_or_b64 exec, exec, s[4:5]
	v_cmp_gt_u32_e32 vcc, 3, v0
	s_waitcnt lgkmcnt(0)
	s_barrier
	s_and_saveexec_b64 s[4:5], vcc
	s_cbranch_execz .LBB2389_52
; %bb.51:
	ds_read_b32 v15, v1
	v_and_b32_e32 v16, 3, v28
	v_cmp_ne_u32_e32 vcc, 0, v16
	s_waitcnt lgkmcnt(0)
	v_mov_b32_dpp v17, v15 row_shr:1 row_mask:0xf bank_mask:0xf
	v_cndmask_b32_e32 v17, 0, v17, vcc
	v_add_u32_e32 v15, v17, v15
	v_cmp_lt_u32_e32 vcc, 1, v16
	s_nop 0
	v_mov_b32_dpp v17, v15 row_shr:2 row_mask:0xf bank_mask:0xf
	v_cndmask_b32_e32 v16, 0, v17, vcc
	v_add_u32_e32 v15, v15, v16
	ds_write_b32 v1, v15
.LBB2389_52:
	s_or_b64 exec, exec, s[4:5]
	v_cmp_lt_u32_e32 vcc, 63, v0
	v_mov_b32_e32 v15, 0
	v_mov_b32_e32 v16, 0
	s_waitcnt lgkmcnt(0)
	s_barrier
	s_and_saveexec_b64 s[4:5], vcc
	s_cbranch_execz .LBB2389_54
; %bb.53:
	v_lshl_add_u32 v16, v29, 2, -4
	ds_read_b32 v16, v16
.LBB2389_54:
	s_or_b64 exec, exec, s[4:5]
	v_add_u32_e32 v17, -1, v28
	v_and_b32_e32 v18, 64, v28
	v_cmp_lt_i32_e32 vcc, v17, v18
	v_cndmask_b32_e32 v17, v17, v28, vcc
	s_waitcnt lgkmcnt(0)
	v_add_u32_e32 v14, v16, v14
	v_lshlrev_b32_e32 v17, 2, v17
	ds_bpermute_b32 v17, v17, v14
	ds_read_b32 v14, v15 offset:8
	s_and_saveexec_b64 s[4:5], s[0:1]
	s_cbranch_execz .LBB2389_56
; %bb.55:
	v_mov_b32_e32 v18, 0
	v_mov_b32_e32 v15, 2
	s_waitcnt lgkmcnt(0)
	global_store_dwordx2 v18, v[14:15], s[30:31] offset:512
.LBB2389_56:
	s_or_b64 exec, exec, s[4:5]
	v_cmp_eq_u32_e32 vcc, 0, v28
	s_waitcnt lgkmcnt(1)
	v_cndmask_b32_e32 v16, v17, v16, vcc
	v_cndmask_b32_e64 v18, v16, 0, s[0:1]
	v_add_u32_sdwa v19, v18, v25 dst_sel:DWORD dst_unused:UNUSED_PAD src0_sel:DWORD src1_sel:BYTE_0
	v_add_u32_sdwa v17, v19, v25 dst_sel:DWORD dst_unused:UNUSED_PAD src0_sel:DWORD src1_sel:BYTE_1
	v_mov_b32_e32 v15, 0
	v_add_u32_e32 v16, v17, v27
	s_waitcnt lgkmcnt(0)
	s_barrier
.LBB2389_57:
	s_waitcnt lgkmcnt(0)
	v_add_u32_e32 v1, v14, v1
	v_sub_u32_e32 v18, v18, v15
	v_and_b32_e32 v22, 1, v25
	v_sub_u32_e32 v21, v1, v18
	v_cmp_eq_u32_e32 vcc, 1, v22
	v_cndmask_b32_e32 v18, v21, v18, vcc
	v_lshlrev_b32_e32 v18, 3, v18
	v_lshrrev_b32_e32 v20, 8, v25
	ds_write_b64 v18, v[6:7]
	v_sub_u32_e32 v6, v19, v15
	v_sub_u32_e32 v7, v1, v6
	v_and_b32_e32 v18, 1, v20
	v_add_u32_e32 v7, 1, v7
	v_cmp_eq_u32_e32 vcc, 1, v18
	v_cndmask_b32_e32 v6, v7, v6, vcc
	v_lshlrev_b32_e32 v6, 3, v6
	ds_write_b64 v6, v[8:9]
	v_sub_u32_e32 v6, v17, v15
	v_mov_b32_e32 v8, 1
	v_sub_u32_e32 v7, v1, v6
	v_and_b32_sdwa v8, v8, v25 dst_sel:DWORD dst_unused:UNUSED_PAD src0_sel:DWORD src1_sel:WORD_1
	v_add_u32_e32 v7, 2, v7
	v_cmp_eq_u32_e32 vcc, 1, v8
	v_cndmask_b32_e32 v6, v7, v6, vcc
	v_lshlrev_b32_e32 v6, 3, v6
	ds_write_b64 v6, v[2:3]
	v_sub_u32_e32 v2, v16, v15
	v_sub_u32_e32 v1, v1, v2
	v_and_b32_e32 v3, 1, v26
	v_add_u32_e32 v1, 3, v1
	v_cmp_eq_u32_e32 vcc, 1, v3
	v_cndmask_b32_e32 v1, v1, v2, vcc
	v_lshlrev_b32_e32 v1, 3, v1
	ds_write_b64 v1, v[4:5]
	s_waitcnt vmcnt(0)
	v_add_co_u32_e32 v1, vcc, v10, v14
	v_addc_co_u32_e32 v11, vcc, 0, v11, vcc
	v_add_co_u32_e32 v10, vcc, v1, v15
	v_addc_co_u32_e32 v11, vcc, 0, v11, vcc
	v_mov_b32_e32 v1, s27
	v_sub_co_u32_e32 v20, vcc, s26, v10
	v_subb_co_u32_e32 v21, vcc, v1, v11, vcc
	v_lshlrev_b64 v[20:21], 3, v[20:21]
	s_waitcnt lgkmcnt(0)
	s_barrier
	ds_read2st64_b64 v[6:9], v24 offset1:3
	ds_read2st64_b64 v[2:5], v24 offset0:6 offset1:9
	v_mov_b32_e32 v1, s29
	v_add_co_u32_e32 v15, vcc, s28, v20
	v_addc_co_u32_e32 v1, vcc, v1, v21, vcc
	v_add_co_u32_e32 v12, vcc, v15, v12
	v_addc_co_u32_e32 v1, vcc, v1, v13, vcc
	v_add_u32_e32 v18, 0xc0, v0
	v_add_u32_e32 v17, 0x180, v0
	;; [unrolled: 1-line block ×3, first 2 shown]
	s_and_b64 vcc, exec, s[2:3]
	v_cmp_ge_u32_e64 s[2:3], v0, v14
	s_cbranch_vccnz .LBB2389_63
; %bb.58:
	s_and_saveexec_b64 s[4:5], s[2:3]
	s_cbranch_execnz .LBB2389_76
; %bb.59:
	s_or_b64 exec, exec, s[4:5]
	v_cmp_ge_u32_e32 vcc, v18, v14
	s_and_saveexec_b64 s[2:3], vcc
	s_cbranch_execnz .LBB2389_77
.LBB2389_60:
	s_or_b64 exec, exec, s[2:3]
	v_cmp_ge_u32_e32 vcc, v17, v14
	s_and_saveexec_b64 s[2:3], vcc
	s_cbranch_execz .LBB2389_62
.LBB2389_61:
	v_readfirstlane_b32 s4, v12
	v_readfirstlane_b32 s5, v1
	s_waitcnt lgkmcnt(0)
	s_nop 3
	global_store_dwordx2 v24, v[2:3], s[4:5] offset:3072
.LBB2389_62:
	s_or_b64 exec, exec, s[2:3]
	v_cmp_ge_u32_e64 s[2:3], v16, v14
	s_branch .LBB2389_71
.LBB2389_63:
	s_mov_b64 s[2:3], 0
	s_cbranch_execz .LBB2389_71
; %bb.64:
	v_cmp_gt_u32_e32 vcc, s33, v0
	v_cmp_ge_u32_e64 s[2:3], v0, v14
	s_and_b64 s[4:5], vcc, s[2:3]
	s_and_saveexec_b64 s[2:3], s[4:5]
	s_cbranch_execz .LBB2389_66
; %bb.65:
	v_readfirstlane_b32 s4, v12
	v_readfirstlane_b32 s5, v1
	s_waitcnt lgkmcnt(1)
	s_nop 3
	global_store_dwordx2 v24, v[6:7], s[4:5]
.LBB2389_66:
	s_or_b64 exec, exec, s[2:3]
	v_cmp_gt_u32_e32 vcc, s33, v18
	v_cmp_ge_u32_e64 s[2:3], v18, v14
	s_and_b64 s[4:5], vcc, s[2:3]
	s_and_saveexec_b64 s[2:3], s[4:5]
	s_cbranch_execz .LBB2389_68
; %bb.67:
	v_readfirstlane_b32 s4, v12
	v_readfirstlane_b32 s5, v1
	s_waitcnt lgkmcnt(1)
	s_nop 3
	global_store_dwordx2 v24, v[8:9], s[4:5] offset:1536
.LBB2389_68:
	s_or_b64 exec, exec, s[2:3]
	v_cmp_gt_u32_e32 vcc, s33, v17
	v_cmp_ge_u32_e64 s[2:3], v17, v14
	s_and_b64 s[4:5], vcc, s[2:3]
	s_and_saveexec_b64 s[2:3], s[4:5]
	s_cbranch_execz .LBB2389_70
; %bb.69:
	v_readfirstlane_b32 s4, v12
	v_readfirstlane_b32 s5, v1
	s_waitcnt lgkmcnt(0)
	s_nop 3
	global_store_dwordx2 v24, v[2:3], s[4:5] offset:3072
.LBB2389_70:
	s_or_b64 exec, exec, s[2:3]
	v_cmp_gt_u32_e32 vcc, s33, v16
	v_cmp_ge_u32_e64 s[2:3], v16, v14
	s_and_b64 s[2:3], vcc, s[2:3]
.LBB2389_71:
	s_and_saveexec_b64 s[4:5], s[2:3]
	s_cbranch_execnz .LBB2389_74
; %bb.72:
	s_or_b64 exec, exec, s[4:5]
	s_and_b64 s[0:1], s[0:1], s[22:23]
	s_and_saveexec_b64 s[2:3], s[0:1]
	s_cbranch_execnz .LBB2389_75
.LBB2389_73:
	s_endpgm
.LBB2389_74:
	v_lshlrev_b32_e32 v0, 3, v16
	v_readfirstlane_b32 s2, v12
	v_readfirstlane_b32 s3, v1
	s_waitcnt lgkmcnt(0)
	s_nop 3
	global_store_dwordx2 v0, v[4:5], s[2:3]
	s_or_b64 exec, exec, s[4:5]
	s_and_b64 s[0:1], s[0:1], s[22:23]
	s_and_saveexec_b64 s[2:3], s[0:1]
	s_cbranch_execz .LBB2389_73
.LBB2389_75:
	v_mov_b32_e32 v0, 0
	global_store_dwordx2 v0, v[10:11], s[20:21]
	s_endpgm
.LBB2389_76:
	v_readfirstlane_b32 s2, v12
	v_readfirstlane_b32 s3, v1
	s_waitcnt lgkmcnt(1)
	s_nop 3
	global_store_dwordx2 v24, v[6:7], s[2:3]
	s_or_b64 exec, exec, s[4:5]
	v_cmp_ge_u32_e32 vcc, v18, v14
	s_and_saveexec_b64 s[2:3], vcc
	s_cbranch_execz .LBB2389_60
.LBB2389_77:
	v_readfirstlane_b32 s4, v12
	v_readfirstlane_b32 s5, v1
	s_waitcnt lgkmcnt(1)
	s_nop 3
	global_store_dwordx2 v24, v[8:9], s[4:5] offset:1536
	s_or_b64 exec, exec, s[2:3]
	v_cmp_ge_u32_e32 vcc, v17, v14
	s_and_saveexec_b64 s[2:3], vcc
	s_cbranch_execnz .LBB2389_61
	s_branch .LBB2389_62
	.section	.rodata,"a",@progbits
	.p2align	6, 0x0
	.amdhsa_kernel _ZN7rocprim17ROCPRIM_400000_NS6detail17trampoline_kernelINS0_14default_configENS1_25partition_config_selectorILNS1_17partition_subalgoE0EyNS0_10empty_typeEbEEZZNS1_14partition_implILS5_0ELb0ES3_jN6thrust23THRUST_200600_302600_NS6detail15normal_iteratorINSA_10device_ptrIyEEEEPS6_SG_NS0_5tupleIJNSA_16discard_iteratorINSA_11use_defaultEEESF_EEENSH_IJSG_SG_EEES6_PlJ7is_evenIyEEEE10hipError_tPvRmT3_T4_T5_T6_T7_T9_mT8_P12ihipStream_tbDpT10_ENKUlT_T0_E_clISt17integral_constantIbLb0EES18_IbLb1EEEEDaS14_S15_EUlS14_E_NS1_11comp_targetILNS1_3genE4ELNS1_11target_archE910ELNS1_3gpuE8ELNS1_3repE0EEENS1_30default_config_static_selectorELNS0_4arch9wavefront6targetE1EEEvT1_
		.amdhsa_group_segment_fixed_size 6344
		.amdhsa_private_segment_fixed_size 0
		.amdhsa_kernarg_size 144
		.amdhsa_user_sgpr_count 6
		.amdhsa_user_sgpr_private_segment_buffer 1
		.amdhsa_user_sgpr_dispatch_ptr 0
		.amdhsa_user_sgpr_queue_ptr 0
		.amdhsa_user_sgpr_kernarg_segment_ptr 1
		.amdhsa_user_sgpr_dispatch_id 0
		.amdhsa_user_sgpr_flat_scratch_init 0
		.amdhsa_user_sgpr_kernarg_preload_length 0
		.amdhsa_user_sgpr_kernarg_preload_offset 0
		.amdhsa_user_sgpr_private_segment_size 0
		.amdhsa_uses_dynamic_stack 0
		.amdhsa_system_sgpr_private_segment_wavefront_offset 0
		.amdhsa_system_sgpr_workgroup_id_x 1
		.amdhsa_system_sgpr_workgroup_id_y 0
		.amdhsa_system_sgpr_workgroup_id_z 0
		.amdhsa_system_sgpr_workgroup_info 0
		.amdhsa_system_vgpr_workitem_id 0
		.amdhsa_next_free_vgpr 47
		.amdhsa_next_free_sgpr 42
		.amdhsa_accum_offset 48
		.amdhsa_reserve_vcc 1
		.amdhsa_reserve_flat_scratch 0
		.amdhsa_float_round_mode_32 0
		.amdhsa_float_round_mode_16_64 0
		.amdhsa_float_denorm_mode_32 3
		.amdhsa_float_denorm_mode_16_64 3
		.amdhsa_dx10_clamp 1
		.amdhsa_ieee_mode 1
		.amdhsa_fp16_overflow 0
		.amdhsa_tg_split 0
		.amdhsa_exception_fp_ieee_invalid_op 0
		.amdhsa_exception_fp_denorm_src 0
		.amdhsa_exception_fp_ieee_div_zero 0
		.amdhsa_exception_fp_ieee_overflow 0
		.amdhsa_exception_fp_ieee_underflow 0
		.amdhsa_exception_fp_ieee_inexact 0
		.amdhsa_exception_int_div_zero 0
	.end_amdhsa_kernel
	.section	.text._ZN7rocprim17ROCPRIM_400000_NS6detail17trampoline_kernelINS0_14default_configENS1_25partition_config_selectorILNS1_17partition_subalgoE0EyNS0_10empty_typeEbEEZZNS1_14partition_implILS5_0ELb0ES3_jN6thrust23THRUST_200600_302600_NS6detail15normal_iteratorINSA_10device_ptrIyEEEEPS6_SG_NS0_5tupleIJNSA_16discard_iteratorINSA_11use_defaultEEESF_EEENSH_IJSG_SG_EEES6_PlJ7is_evenIyEEEE10hipError_tPvRmT3_T4_T5_T6_T7_T9_mT8_P12ihipStream_tbDpT10_ENKUlT_T0_E_clISt17integral_constantIbLb0EES18_IbLb1EEEEDaS14_S15_EUlS14_E_NS1_11comp_targetILNS1_3genE4ELNS1_11target_archE910ELNS1_3gpuE8ELNS1_3repE0EEENS1_30default_config_static_selectorELNS0_4arch9wavefront6targetE1EEEvT1_,"axG",@progbits,_ZN7rocprim17ROCPRIM_400000_NS6detail17trampoline_kernelINS0_14default_configENS1_25partition_config_selectorILNS1_17partition_subalgoE0EyNS0_10empty_typeEbEEZZNS1_14partition_implILS5_0ELb0ES3_jN6thrust23THRUST_200600_302600_NS6detail15normal_iteratorINSA_10device_ptrIyEEEEPS6_SG_NS0_5tupleIJNSA_16discard_iteratorINSA_11use_defaultEEESF_EEENSH_IJSG_SG_EEES6_PlJ7is_evenIyEEEE10hipError_tPvRmT3_T4_T5_T6_T7_T9_mT8_P12ihipStream_tbDpT10_ENKUlT_T0_E_clISt17integral_constantIbLb0EES18_IbLb1EEEEDaS14_S15_EUlS14_E_NS1_11comp_targetILNS1_3genE4ELNS1_11target_archE910ELNS1_3gpuE8ELNS1_3repE0EEENS1_30default_config_static_selectorELNS0_4arch9wavefront6targetE1EEEvT1_,comdat
.Lfunc_end2389:
	.size	_ZN7rocprim17ROCPRIM_400000_NS6detail17trampoline_kernelINS0_14default_configENS1_25partition_config_selectorILNS1_17partition_subalgoE0EyNS0_10empty_typeEbEEZZNS1_14partition_implILS5_0ELb0ES3_jN6thrust23THRUST_200600_302600_NS6detail15normal_iteratorINSA_10device_ptrIyEEEEPS6_SG_NS0_5tupleIJNSA_16discard_iteratorINSA_11use_defaultEEESF_EEENSH_IJSG_SG_EEES6_PlJ7is_evenIyEEEE10hipError_tPvRmT3_T4_T5_T6_T7_T9_mT8_P12ihipStream_tbDpT10_ENKUlT_T0_E_clISt17integral_constantIbLb0EES18_IbLb1EEEEDaS14_S15_EUlS14_E_NS1_11comp_targetILNS1_3genE4ELNS1_11target_archE910ELNS1_3gpuE8ELNS1_3repE0EEENS1_30default_config_static_selectorELNS0_4arch9wavefront6targetE1EEEvT1_, .Lfunc_end2389-_ZN7rocprim17ROCPRIM_400000_NS6detail17trampoline_kernelINS0_14default_configENS1_25partition_config_selectorILNS1_17partition_subalgoE0EyNS0_10empty_typeEbEEZZNS1_14partition_implILS5_0ELb0ES3_jN6thrust23THRUST_200600_302600_NS6detail15normal_iteratorINSA_10device_ptrIyEEEEPS6_SG_NS0_5tupleIJNSA_16discard_iteratorINSA_11use_defaultEEESF_EEENSH_IJSG_SG_EEES6_PlJ7is_evenIyEEEE10hipError_tPvRmT3_T4_T5_T6_T7_T9_mT8_P12ihipStream_tbDpT10_ENKUlT_T0_E_clISt17integral_constantIbLb0EES18_IbLb1EEEEDaS14_S15_EUlS14_E_NS1_11comp_targetILNS1_3genE4ELNS1_11target_archE910ELNS1_3gpuE8ELNS1_3repE0EEENS1_30default_config_static_selectorELNS0_4arch9wavefront6targetE1EEEvT1_
                                        ; -- End function
	.section	.AMDGPU.csdata,"",@progbits
; Kernel info:
; codeLenInByte = 3700
; NumSgprs: 46
; NumVgprs: 47
; NumAgprs: 0
; TotalNumVgprs: 47
; ScratchSize: 0
; MemoryBound: 0
; FloatMode: 240
; IeeeMode: 1
; LDSByteSize: 6344 bytes/workgroup (compile time only)
; SGPRBlocks: 5
; VGPRBlocks: 5
; NumSGPRsForWavesPerEU: 46
; NumVGPRsForWavesPerEU: 47
; AccumOffset: 48
; Occupancy: 8
; WaveLimiterHint : 1
; COMPUTE_PGM_RSRC2:SCRATCH_EN: 0
; COMPUTE_PGM_RSRC2:USER_SGPR: 6
; COMPUTE_PGM_RSRC2:TRAP_HANDLER: 0
; COMPUTE_PGM_RSRC2:TGID_X_EN: 1
; COMPUTE_PGM_RSRC2:TGID_Y_EN: 0
; COMPUTE_PGM_RSRC2:TGID_Z_EN: 0
; COMPUTE_PGM_RSRC2:TIDIG_COMP_CNT: 0
; COMPUTE_PGM_RSRC3_GFX90A:ACCUM_OFFSET: 11
; COMPUTE_PGM_RSRC3_GFX90A:TG_SPLIT: 0
	.section	.text._ZN7rocprim17ROCPRIM_400000_NS6detail17trampoline_kernelINS0_14default_configENS1_25partition_config_selectorILNS1_17partition_subalgoE0EyNS0_10empty_typeEbEEZZNS1_14partition_implILS5_0ELb0ES3_jN6thrust23THRUST_200600_302600_NS6detail15normal_iteratorINSA_10device_ptrIyEEEEPS6_SG_NS0_5tupleIJNSA_16discard_iteratorINSA_11use_defaultEEESF_EEENSH_IJSG_SG_EEES6_PlJ7is_evenIyEEEE10hipError_tPvRmT3_T4_T5_T6_T7_T9_mT8_P12ihipStream_tbDpT10_ENKUlT_T0_E_clISt17integral_constantIbLb0EES18_IbLb1EEEEDaS14_S15_EUlS14_E_NS1_11comp_targetILNS1_3genE3ELNS1_11target_archE908ELNS1_3gpuE7ELNS1_3repE0EEENS1_30default_config_static_selectorELNS0_4arch9wavefront6targetE1EEEvT1_,"axG",@progbits,_ZN7rocprim17ROCPRIM_400000_NS6detail17trampoline_kernelINS0_14default_configENS1_25partition_config_selectorILNS1_17partition_subalgoE0EyNS0_10empty_typeEbEEZZNS1_14partition_implILS5_0ELb0ES3_jN6thrust23THRUST_200600_302600_NS6detail15normal_iteratorINSA_10device_ptrIyEEEEPS6_SG_NS0_5tupleIJNSA_16discard_iteratorINSA_11use_defaultEEESF_EEENSH_IJSG_SG_EEES6_PlJ7is_evenIyEEEE10hipError_tPvRmT3_T4_T5_T6_T7_T9_mT8_P12ihipStream_tbDpT10_ENKUlT_T0_E_clISt17integral_constantIbLb0EES18_IbLb1EEEEDaS14_S15_EUlS14_E_NS1_11comp_targetILNS1_3genE3ELNS1_11target_archE908ELNS1_3gpuE7ELNS1_3repE0EEENS1_30default_config_static_selectorELNS0_4arch9wavefront6targetE1EEEvT1_,comdat
	.protected	_ZN7rocprim17ROCPRIM_400000_NS6detail17trampoline_kernelINS0_14default_configENS1_25partition_config_selectorILNS1_17partition_subalgoE0EyNS0_10empty_typeEbEEZZNS1_14partition_implILS5_0ELb0ES3_jN6thrust23THRUST_200600_302600_NS6detail15normal_iteratorINSA_10device_ptrIyEEEEPS6_SG_NS0_5tupleIJNSA_16discard_iteratorINSA_11use_defaultEEESF_EEENSH_IJSG_SG_EEES6_PlJ7is_evenIyEEEE10hipError_tPvRmT3_T4_T5_T6_T7_T9_mT8_P12ihipStream_tbDpT10_ENKUlT_T0_E_clISt17integral_constantIbLb0EES18_IbLb1EEEEDaS14_S15_EUlS14_E_NS1_11comp_targetILNS1_3genE3ELNS1_11target_archE908ELNS1_3gpuE7ELNS1_3repE0EEENS1_30default_config_static_selectorELNS0_4arch9wavefront6targetE1EEEvT1_ ; -- Begin function _ZN7rocprim17ROCPRIM_400000_NS6detail17trampoline_kernelINS0_14default_configENS1_25partition_config_selectorILNS1_17partition_subalgoE0EyNS0_10empty_typeEbEEZZNS1_14partition_implILS5_0ELb0ES3_jN6thrust23THRUST_200600_302600_NS6detail15normal_iteratorINSA_10device_ptrIyEEEEPS6_SG_NS0_5tupleIJNSA_16discard_iteratorINSA_11use_defaultEEESF_EEENSH_IJSG_SG_EEES6_PlJ7is_evenIyEEEE10hipError_tPvRmT3_T4_T5_T6_T7_T9_mT8_P12ihipStream_tbDpT10_ENKUlT_T0_E_clISt17integral_constantIbLb0EES18_IbLb1EEEEDaS14_S15_EUlS14_E_NS1_11comp_targetILNS1_3genE3ELNS1_11target_archE908ELNS1_3gpuE7ELNS1_3repE0EEENS1_30default_config_static_selectorELNS0_4arch9wavefront6targetE1EEEvT1_
	.globl	_ZN7rocprim17ROCPRIM_400000_NS6detail17trampoline_kernelINS0_14default_configENS1_25partition_config_selectorILNS1_17partition_subalgoE0EyNS0_10empty_typeEbEEZZNS1_14partition_implILS5_0ELb0ES3_jN6thrust23THRUST_200600_302600_NS6detail15normal_iteratorINSA_10device_ptrIyEEEEPS6_SG_NS0_5tupleIJNSA_16discard_iteratorINSA_11use_defaultEEESF_EEENSH_IJSG_SG_EEES6_PlJ7is_evenIyEEEE10hipError_tPvRmT3_T4_T5_T6_T7_T9_mT8_P12ihipStream_tbDpT10_ENKUlT_T0_E_clISt17integral_constantIbLb0EES18_IbLb1EEEEDaS14_S15_EUlS14_E_NS1_11comp_targetILNS1_3genE3ELNS1_11target_archE908ELNS1_3gpuE7ELNS1_3repE0EEENS1_30default_config_static_selectorELNS0_4arch9wavefront6targetE1EEEvT1_
	.p2align	8
	.type	_ZN7rocprim17ROCPRIM_400000_NS6detail17trampoline_kernelINS0_14default_configENS1_25partition_config_selectorILNS1_17partition_subalgoE0EyNS0_10empty_typeEbEEZZNS1_14partition_implILS5_0ELb0ES3_jN6thrust23THRUST_200600_302600_NS6detail15normal_iteratorINSA_10device_ptrIyEEEEPS6_SG_NS0_5tupleIJNSA_16discard_iteratorINSA_11use_defaultEEESF_EEENSH_IJSG_SG_EEES6_PlJ7is_evenIyEEEE10hipError_tPvRmT3_T4_T5_T6_T7_T9_mT8_P12ihipStream_tbDpT10_ENKUlT_T0_E_clISt17integral_constantIbLb0EES18_IbLb1EEEEDaS14_S15_EUlS14_E_NS1_11comp_targetILNS1_3genE3ELNS1_11target_archE908ELNS1_3gpuE7ELNS1_3repE0EEENS1_30default_config_static_selectorELNS0_4arch9wavefront6targetE1EEEvT1_,@function
_ZN7rocprim17ROCPRIM_400000_NS6detail17trampoline_kernelINS0_14default_configENS1_25partition_config_selectorILNS1_17partition_subalgoE0EyNS0_10empty_typeEbEEZZNS1_14partition_implILS5_0ELb0ES3_jN6thrust23THRUST_200600_302600_NS6detail15normal_iteratorINSA_10device_ptrIyEEEEPS6_SG_NS0_5tupleIJNSA_16discard_iteratorINSA_11use_defaultEEESF_EEENSH_IJSG_SG_EEES6_PlJ7is_evenIyEEEE10hipError_tPvRmT3_T4_T5_T6_T7_T9_mT8_P12ihipStream_tbDpT10_ENKUlT_T0_E_clISt17integral_constantIbLb0EES18_IbLb1EEEEDaS14_S15_EUlS14_E_NS1_11comp_targetILNS1_3genE3ELNS1_11target_archE908ELNS1_3gpuE7ELNS1_3repE0EEENS1_30default_config_static_selectorELNS0_4arch9wavefront6targetE1EEEvT1_: ; @_ZN7rocprim17ROCPRIM_400000_NS6detail17trampoline_kernelINS0_14default_configENS1_25partition_config_selectorILNS1_17partition_subalgoE0EyNS0_10empty_typeEbEEZZNS1_14partition_implILS5_0ELb0ES3_jN6thrust23THRUST_200600_302600_NS6detail15normal_iteratorINSA_10device_ptrIyEEEEPS6_SG_NS0_5tupleIJNSA_16discard_iteratorINSA_11use_defaultEEESF_EEENSH_IJSG_SG_EEES6_PlJ7is_evenIyEEEE10hipError_tPvRmT3_T4_T5_T6_T7_T9_mT8_P12ihipStream_tbDpT10_ENKUlT_T0_E_clISt17integral_constantIbLb0EES18_IbLb1EEEEDaS14_S15_EUlS14_E_NS1_11comp_targetILNS1_3genE3ELNS1_11target_archE908ELNS1_3gpuE7ELNS1_3repE0EEENS1_30default_config_static_selectorELNS0_4arch9wavefront6targetE1EEEvT1_
; %bb.0:
	.section	.rodata,"a",@progbits
	.p2align	6, 0x0
	.amdhsa_kernel _ZN7rocprim17ROCPRIM_400000_NS6detail17trampoline_kernelINS0_14default_configENS1_25partition_config_selectorILNS1_17partition_subalgoE0EyNS0_10empty_typeEbEEZZNS1_14partition_implILS5_0ELb0ES3_jN6thrust23THRUST_200600_302600_NS6detail15normal_iteratorINSA_10device_ptrIyEEEEPS6_SG_NS0_5tupleIJNSA_16discard_iteratorINSA_11use_defaultEEESF_EEENSH_IJSG_SG_EEES6_PlJ7is_evenIyEEEE10hipError_tPvRmT3_T4_T5_T6_T7_T9_mT8_P12ihipStream_tbDpT10_ENKUlT_T0_E_clISt17integral_constantIbLb0EES18_IbLb1EEEEDaS14_S15_EUlS14_E_NS1_11comp_targetILNS1_3genE3ELNS1_11target_archE908ELNS1_3gpuE7ELNS1_3repE0EEENS1_30default_config_static_selectorELNS0_4arch9wavefront6targetE1EEEvT1_
		.amdhsa_group_segment_fixed_size 0
		.amdhsa_private_segment_fixed_size 0
		.amdhsa_kernarg_size 144
		.amdhsa_user_sgpr_count 6
		.amdhsa_user_sgpr_private_segment_buffer 1
		.amdhsa_user_sgpr_dispatch_ptr 0
		.amdhsa_user_sgpr_queue_ptr 0
		.amdhsa_user_sgpr_kernarg_segment_ptr 1
		.amdhsa_user_sgpr_dispatch_id 0
		.amdhsa_user_sgpr_flat_scratch_init 0
		.amdhsa_user_sgpr_kernarg_preload_length 0
		.amdhsa_user_sgpr_kernarg_preload_offset 0
		.amdhsa_user_sgpr_private_segment_size 0
		.amdhsa_uses_dynamic_stack 0
		.amdhsa_system_sgpr_private_segment_wavefront_offset 0
		.amdhsa_system_sgpr_workgroup_id_x 1
		.amdhsa_system_sgpr_workgroup_id_y 0
		.amdhsa_system_sgpr_workgroup_id_z 0
		.amdhsa_system_sgpr_workgroup_info 0
		.amdhsa_system_vgpr_workitem_id 0
		.amdhsa_next_free_vgpr 1
		.amdhsa_next_free_sgpr 0
		.amdhsa_accum_offset 4
		.amdhsa_reserve_vcc 0
		.amdhsa_reserve_flat_scratch 0
		.amdhsa_float_round_mode_32 0
		.amdhsa_float_round_mode_16_64 0
		.amdhsa_float_denorm_mode_32 3
		.amdhsa_float_denorm_mode_16_64 3
		.amdhsa_dx10_clamp 1
		.amdhsa_ieee_mode 1
		.amdhsa_fp16_overflow 0
		.amdhsa_tg_split 0
		.amdhsa_exception_fp_ieee_invalid_op 0
		.amdhsa_exception_fp_denorm_src 0
		.amdhsa_exception_fp_ieee_div_zero 0
		.amdhsa_exception_fp_ieee_overflow 0
		.amdhsa_exception_fp_ieee_underflow 0
		.amdhsa_exception_fp_ieee_inexact 0
		.amdhsa_exception_int_div_zero 0
	.end_amdhsa_kernel
	.section	.text._ZN7rocprim17ROCPRIM_400000_NS6detail17trampoline_kernelINS0_14default_configENS1_25partition_config_selectorILNS1_17partition_subalgoE0EyNS0_10empty_typeEbEEZZNS1_14partition_implILS5_0ELb0ES3_jN6thrust23THRUST_200600_302600_NS6detail15normal_iteratorINSA_10device_ptrIyEEEEPS6_SG_NS0_5tupleIJNSA_16discard_iteratorINSA_11use_defaultEEESF_EEENSH_IJSG_SG_EEES6_PlJ7is_evenIyEEEE10hipError_tPvRmT3_T4_T5_T6_T7_T9_mT8_P12ihipStream_tbDpT10_ENKUlT_T0_E_clISt17integral_constantIbLb0EES18_IbLb1EEEEDaS14_S15_EUlS14_E_NS1_11comp_targetILNS1_3genE3ELNS1_11target_archE908ELNS1_3gpuE7ELNS1_3repE0EEENS1_30default_config_static_selectorELNS0_4arch9wavefront6targetE1EEEvT1_,"axG",@progbits,_ZN7rocprim17ROCPRIM_400000_NS6detail17trampoline_kernelINS0_14default_configENS1_25partition_config_selectorILNS1_17partition_subalgoE0EyNS0_10empty_typeEbEEZZNS1_14partition_implILS5_0ELb0ES3_jN6thrust23THRUST_200600_302600_NS6detail15normal_iteratorINSA_10device_ptrIyEEEEPS6_SG_NS0_5tupleIJNSA_16discard_iteratorINSA_11use_defaultEEESF_EEENSH_IJSG_SG_EEES6_PlJ7is_evenIyEEEE10hipError_tPvRmT3_T4_T5_T6_T7_T9_mT8_P12ihipStream_tbDpT10_ENKUlT_T0_E_clISt17integral_constantIbLb0EES18_IbLb1EEEEDaS14_S15_EUlS14_E_NS1_11comp_targetILNS1_3genE3ELNS1_11target_archE908ELNS1_3gpuE7ELNS1_3repE0EEENS1_30default_config_static_selectorELNS0_4arch9wavefront6targetE1EEEvT1_,comdat
.Lfunc_end2390:
	.size	_ZN7rocprim17ROCPRIM_400000_NS6detail17trampoline_kernelINS0_14default_configENS1_25partition_config_selectorILNS1_17partition_subalgoE0EyNS0_10empty_typeEbEEZZNS1_14partition_implILS5_0ELb0ES3_jN6thrust23THRUST_200600_302600_NS6detail15normal_iteratorINSA_10device_ptrIyEEEEPS6_SG_NS0_5tupleIJNSA_16discard_iteratorINSA_11use_defaultEEESF_EEENSH_IJSG_SG_EEES6_PlJ7is_evenIyEEEE10hipError_tPvRmT3_T4_T5_T6_T7_T9_mT8_P12ihipStream_tbDpT10_ENKUlT_T0_E_clISt17integral_constantIbLb0EES18_IbLb1EEEEDaS14_S15_EUlS14_E_NS1_11comp_targetILNS1_3genE3ELNS1_11target_archE908ELNS1_3gpuE7ELNS1_3repE0EEENS1_30default_config_static_selectorELNS0_4arch9wavefront6targetE1EEEvT1_, .Lfunc_end2390-_ZN7rocprim17ROCPRIM_400000_NS6detail17trampoline_kernelINS0_14default_configENS1_25partition_config_selectorILNS1_17partition_subalgoE0EyNS0_10empty_typeEbEEZZNS1_14partition_implILS5_0ELb0ES3_jN6thrust23THRUST_200600_302600_NS6detail15normal_iteratorINSA_10device_ptrIyEEEEPS6_SG_NS0_5tupleIJNSA_16discard_iteratorINSA_11use_defaultEEESF_EEENSH_IJSG_SG_EEES6_PlJ7is_evenIyEEEE10hipError_tPvRmT3_T4_T5_T6_T7_T9_mT8_P12ihipStream_tbDpT10_ENKUlT_T0_E_clISt17integral_constantIbLb0EES18_IbLb1EEEEDaS14_S15_EUlS14_E_NS1_11comp_targetILNS1_3genE3ELNS1_11target_archE908ELNS1_3gpuE7ELNS1_3repE0EEENS1_30default_config_static_selectorELNS0_4arch9wavefront6targetE1EEEvT1_
                                        ; -- End function
	.section	.AMDGPU.csdata,"",@progbits
; Kernel info:
; codeLenInByte = 0
; NumSgprs: 4
; NumVgprs: 0
; NumAgprs: 0
; TotalNumVgprs: 0
; ScratchSize: 0
; MemoryBound: 0
; FloatMode: 240
; IeeeMode: 1
; LDSByteSize: 0 bytes/workgroup (compile time only)
; SGPRBlocks: 0
; VGPRBlocks: 0
; NumSGPRsForWavesPerEU: 4
; NumVGPRsForWavesPerEU: 1
; AccumOffset: 4
; Occupancy: 8
; WaveLimiterHint : 0
; COMPUTE_PGM_RSRC2:SCRATCH_EN: 0
; COMPUTE_PGM_RSRC2:USER_SGPR: 6
; COMPUTE_PGM_RSRC2:TRAP_HANDLER: 0
; COMPUTE_PGM_RSRC2:TGID_X_EN: 1
; COMPUTE_PGM_RSRC2:TGID_Y_EN: 0
; COMPUTE_PGM_RSRC2:TGID_Z_EN: 0
; COMPUTE_PGM_RSRC2:TIDIG_COMP_CNT: 0
; COMPUTE_PGM_RSRC3_GFX90A:ACCUM_OFFSET: 0
; COMPUTE_PGM_RSRC3_GFX90A:TG_SPLIT: 0
	.section	.text._ZN7rocprim17ROCPRIM_400000_NS6detail17trampoline_kernelINS0_14default_configENS1_25partition_config_selectorILNS1_17partition_subalgoE0EyNS0_10empty_typeEbEEZZNS1_14partition_implILS5_0ELb0ES3_jN6thrust23THRUST_200600_302600_NS6detail15normal_iteratorINSA_10device_ptrIyEEEEPS6_SG_NS0_5tupleIJNSA_16discard_iteratorINSA_11use_defaultEEESF_EEENSH_IJSG_SG_EEES6_PlJ7is_evenIyEEEE10hipError_tPvRmT3_T4_T5_T6_T7_T9_mT8_P12ihipStream_tbDpT10_ENKUlT_T0_E_clISt17integral_constantIbLb0EES18_IbLb1EEEEDaS14_S15_EUlS14_E_NS1_11comp_targetILNS1_3genE2ELNS1_11target_archE906ELNS1_3gpuE6ELNS1_3repE0EEENS1_30default_config_static_selectorELNS0_4arch9wavefront6targetE1EEEvT1_,"axG",@progbits,_ZN7rocprim17ROCPRIM_400000_NS6detail17trampoline_kernelINS0_14default_configENS1_25partition_config_selectorILNS1_17partition_subalgoE0EyNS0_10empty_typeEbEEZZNS1_14partition_implILS5_0ELb0ES3_jN6thrust23THRUST_200600_302600_NS6detail15normal_iteratorINSA_10device_ptrIyEEEEPS6_SG_NS0_5tupleIJNSA_16discard_iteratorINSA_11use_defaultEEESF_EEENSH_IJSG_SG_EEES6_PlJ7is_evenIyEEEE10hipError_tPvRmT3_T4_T5_T6_T7_T9_mT8_P12ihipStream_tbDpT10_ENKUlT_T0_E_clISt17integral_constantIbLb0EES18_IbLb1EEEEDaS14_S15_EUlS14_E_NS1_11comp_targetILNS1_3genE2ELNS1_11target_archE906ELNS1_3gpuE6ELNS1_3repE0EEENS1_30default_config_static_selectorELNS0_4arch9wavefront6targetE1EEEvT1_,comdat
	.protected	_ZN7rocprim17ROCPRIM_400000_NS6detail17trampoline_kernelINS0_14default_configENS1_25partition_config_selectorILNS1_17partition_subalgoE0EyNS0_10empty_typeEbEEZZNS1_14partition_implILS5_0ELb0ES3_jN6thrust23THRUST_200600_302600_NS6detail15normal_iteratorINSA_10device_ptrIyEEEEPS6_SG_NS0_5tupleIJNSA_16discard_iteratorINSA_11use_defaultEEESF_EEENSH_IJSG_SG_EEES6_PlJ7is_evenIyEEEE10hipError_tPvRmT3_T4_T5_T6_T7_T9_mT8_P12ihipStream_tbDpT10_ENKUlT_T0_E_clISt17integral_constantIbLb0EES18_IbLb1EEEEDaS14_S15_EUlS14_E_NS1_11comp_targetILNS1_3genE2ELNS1_11target_archE906ELNS1_3gpuE6ELNS1_3repE0EEENS1_30default_config_static_selectorELNS0_4arch9wavefront6targetE1EEEvT1_ ; -- Begin function _ZN7rocprim17ROCPRIM_400000_NS6detail17trampoline_kernelINS0_14default_configENS1_25partition_config_selectorILNS1_17partition_subalgoE0EyNS0_10empty_typeEbEEZZNS1_14partition_implILS5_0ELb0ES3_jN6thrust23THRUST_200600_302600_NS6detail15normal_iteratorINSA_10device_ptrIyEEEEPS6_SG_NS0_5tupleIJNSA_16discard_iteratorINSA_11use_defaultEEESF_EEENSH_IJSG_SG_EEES6_PlJ7is_evenIyEEEE10hipError_tPvRmT3_T4_T5_T6_T7_T9_mT8_P12ihipStream_tbDpT10_ENKUlT_T0_E_clISt17integral_constantIbLb0EES18_IbLb1EEEEDaS14_S15_EUlS14_E_NS1_11comp_targetILNS1_3genE2ELNS1_11target_archE906ELNS1_3gpuE6ELNS1_3repE0EEENS1_30default_config_static_selectorELNS0_4arch9wavefront6targetE1EEEvT1_
	.globl	_ZN7rocprim17ROCPRIM_400000_NS6detail17trampoline_kernelINS0_14default_configENS1_25partition_config_selectorILNS1_17partition_subalgoE0EyNS0_10empty_typeEbEEZZNS1_14partition_implILS5_0ELb0ES3_jN6thrust23THRUST_200600_302600_NS6detail15normal_iteratorINSA_10device_ptrIyEEEEPS6_SG_NS0_5tupleIJNSA_16discard_iteratorINSA_11use_defaultEEESF_EEENSH_IJSG_SG_EEES6_PlJ7is_evenIyEEEE10hipError_tPvRmT3_T4_T5_T6_T7_T9_mT8_P12ihipStream_tbDpT10_ENKUlT_T0_E_clISt17integral_constantIbLb0EES18_IbLb1EEEEDaS14_S15_EUlS14_E_NS1_11comp_targetILNS1_3genE2ELNS1_11target_archE906ELNS1_3gpuE6ELNS1_3repE0EEENS1_30default_config_static_selectorELNS0_4arch9wavefront6targetE1EEEvT1_
	.p2align	8
	.type	_ZN7rocprim17ROCPRIM_400000_NS6detail17trampoline_kernelINS0_14default_configENS1_25partition_config_selectorILNS1_17partition_subalgoE0EyNS0_10empty_typeEbEEZZNS1_14partition_implILS5_0ELb0ES3_jN6thrust23THRUST_200600_302600_NS6detail15normal_iteratorINSA_10device_ptrIyEEEEPS6_SG_NS0_5tupleIJNSA_16discard_iteratorINSA_11use_defaultEEESF_EEENSH_IJSG_SG_EEES6_PlJ7is_evenIyEEEE10hipError_tPvRmT3_T4_T5_T6_T7_T9_mT8_P12ihipStream_tbDpT10_ENKUlT_T0_E_clISt17integral_constantIbLb0EES18_IbLb1EEEEDaS14_S15_EUlS14_E_NS1_11comp_targetILNS1_3genE2ELNS1_11target_archE906ELNS1_3gpuE6ELNS1_3repE0EEENS1_30default_config_static_selectorELNS0_4arch9wavefront6targetE1EEEvT1_,@function
_ZN7rocprim17ROCPRIM_400000_NS6detail17trampoline_kernelINS0_14default_configENS1_25partition_config_selectorILNS1_17partition_subalgoE0EyNS0_10empty_typeEbEEZZNS1_14partition_implILS5_0ELb0ES3_jN6thrust23THRUST_200600_302600_NS6detail15normal_iteratorINSA_10device_ptrIyEEEEPS6_SG_NS0_5tupleIJNSA_16discard_iteratorINSA_11use_defaultEEESF_EEENSH_IJSG_SG_EEES6_PlJ7is_evenIyEEEE10hipError_tPvRmT3_T4_T5_T6_T7_T9_mT8_P12ihipStream_tbDpT10_ENKUlT_T0_E_clISt17integral_constantIbLb0EES18_IbLb1EEEEDaS14_S15_EUlS14_E_NS1_11comp_targetILNS1_3genE2ELNS1_11target_archE906ELNS1_3gpuE6ELNS1_3repE0EEENS1_30default_config_static_selectorELNS0_4arch9wavefront6targetE1EEEvT1_: ; @_ZN7rocprim17ROCPRIM_400000_NS6detail17trampoline_kernelINS0_14default_configENS1_25partition_config_selectorILNS1_17partition_subalgoE0EyNS0_10empty_typeEbEEZZNS1_14partition_implILS5_0ELb0ES3_jN6thrust23THRUST_200600_302600_NS6detail15normal_iteratorINSA_10device_ptrIyEEEEPS6_SG_NS0_5tupleIJNSA_16discard_iteratorINSA_11use_defaultEEESF_EEENSH_IJSG_SG_EEES6_PlJ7is_evenIyEEEE10hipError_tPvRmT3_T4_T5_T6_T7_T9_mT8_P12ihipStream_tbDpT10_ENKUlT_T0_E_clISt17integral_constantIbLb0EES18_IbLb1EEEEDaS14_S15_EUlS14_E_NS1_11comp_targetILNS1_3genE2ELNS1_11target_archE906ELNS1_3gpuE6ELNS1_3repE0EEENS1_30default_config_static_selectorELNS0_4arch9wavefront6targetE1EEEvT1_
; %bb.0:
	.section	.rodata,"a",@progbits
	.p2align	6, 0x0
	.amdhsa_kernel _ZN7rocprim17ROCPRIM_400000_NS6detail17trampoline_kernelINS0_14default_configENS1_25partition_config_selectorILNS1_17partition_subalgoE0EyNS0_10empty_typeEbEEZZNS1_14partition_implILS5_0ELb0ES3_jN6thrust23THRUST_200600_302600_NS6detail15normal_iteratorINSA_10device_ptrIyEEEEPS6_SG_NS0_5tupleIJNSA_16discard_iteratorINSA_11use_defaultEEESF_EEENSH_IJSG_SG_EEES6_PlJ7is_evenIyEEEE10hipError_tPvRmT3_T4_T5_T6_T7_T9_mT8_P12ihipStream_tbDpT10_ENKUlT_T0_E_clISt17integral_constantIbLb0EES18_IbLb1EEEEDaS14_S15_EUlS14_E_NS1_11comp_targetILNS1_3genE2ELNS1_11target_archE906ELNS1_3gpuE6ELNS1_3repE0EEENS1_30default_config_static_selectorELNS0_4arch9wavefront6targetE1EEEvT1_
		.amdhsa_group_segment_fixed_size 0
		.amdhsa_private_segment_fixed_size 0
		.amdhsa_kernarg_size 144
		.amdhsa_user_sgpr_count 6
		.amdhsa_user_sgpr_private_segment_buffer 1
		.amdhsa_user_sgpr_dispatch_ptr 0
		.amdhsa_user_sgpr_queue_ptr 0
		.amdhsa_user_sgpr_kernarg_segment_ptr 1
		.amdhsa_user_sgpr_dispatch_id 0
		.amdhsa_user_sgpr_flat_scratch_init 0
		.amdhsa_user_sgpr_kernarg_preload_length 0
		.amdhsa_user_sgpr_kernarg_preload_offset 0
		.amdhsa_user_sgpr_private_segment_size 0
		.amdhsa_uses_dynamic_stack 0
		.amdhsa_system_sgpr_private_segment_wavefront_offset 0
		.amdhsa_system_sgpr_workgroup_id_x 1
		.amdhsa_system_sgpr_workgroup_id_y 0
		.amdhsa_system_sgpr_workgroup_id_z 0
		.amdhsa_system_sgpr_workgroup_info 0
		.amdhsa_system_vgpr_workitem_id 0
		.amdhsa_next_free_vgpr 1
		.amdhsa_next_free_sgpr 0
		.amdhsa_accum_offset 4
		.amdhsa_reserve_vcc 0
		.amdhsa_reserve_flat_scratch 0
		.amdhsa_float_round_mode_32 0
		.amdhsa_float_round_mode_16_64 0
		.amdhsa_float_denorm_mode_32 3
		.amdhsa_float_denorm_mode_16_64 3
		.amdhsa_dx10_clamp 1
		.amdhsa_ieee_mode 1
		.amdhsa_fp16_overflow 0
		.amdhsa_tg_split 0
		.amdhsa_exception_fp_ieee_invalid_op 0
		.amdhsa_exception_fp_denorm_src 0
		.amdhsa_exception_fp_ieee_div_zero 0
		.amdhsa_exception_fp_ieee_overflow 0
		.amdhsa_exception_fp_ieee_underflow 0
		.amdhsa_exception_fp_ieee_inexact 0
		.amdhsa_exception_int_div_zero 0
	.end_amdhsa_kernel
	.section	.text._ZN7rocprim17ROCPRIM_400000_NS6detail17trampoline_kernelINS0_14default_configENS1_25partition_config_selectorILNS1_17partition_subalgoE0EyNS0_10empty_typeEbEEZZNS1_14partition_implILS5_0ELb0ES3_jN6thrust23THRUST_200600_302600_NS6detail15normal_iteratorINSA_10device_ptrIyEEEEPS6_SG_NS0_5tupleIJNSA_16discard_iteratorINSA_11use_defaultEEESF_EEENSH_IJSG_SG_EEES6_PlJ7is_evenIyEEEE10hipError_tPvRmT3_T4_T5_T6_T7_T9_mT8_P12ihipStream_tbDpT10_ENKUlT_T0_E_clISt17integral_constantIbLb0EES18_IbLb1EEEEDaS14_S15_EUlS14_E_NS1_11comp_targetILNS1_3genE2ELNS1_11target_archE906ELNS1_3gpuE6ELNS1_3repE0EEENS1_30default_config_static_selectorELNS0_4arch9wavefront6targetE1EEEvT1_,"axG",@progbits,_ZN7rocprim17ROCPRIM_400000_NS6detail17trampoline_kernelINS0_14default_configENS1_25partition_config_selectorILNS1_17partition_subalgoE0EyNS0_10empty_typeEbEEZZNS1_14partition_implILS5_0ELb0ES3_jN6thrust23THRUST_200600_302600_NS6detail15normal_iteratorINSA_10device_ptrIyEEEEPS6_SG_NS0_5tupleIJNSA_16discard_iteratorINSA_11use_defaultEEESF_EEENSH_IJSG_SG_EEES6_PlJ7is_evenIyEEEE10hipError_tPvRmT3_T4_T5_T6_T7_T9_mT8_P12ihipStream_tbDpT10_ENKUlT_T0_E_clISt17integral_constantIbLb0EES18_IbLb1EEEEDaS14_S15_EUlS14_E_NS1_11comp_targetILNS1_3genE2ELNS1_11target_archE906ELNS1_3gpuE6ELNS1_3repE0EEENS1_30default_config_static_selectorELNS0_4arch9wavefront6targetE1EEEvT1_,comdat
.Lfunc_end2391:
	.size	_ZN7rocprim17ROCPRIM_400000_NS6detail17trampoline_kernelINS0_14default_configENS1_25partition_config_selectorILNS1_17partition_subalgoE0EyNS0_10empty_typeEbEEZZNS1_14partition_implILS5_0ELb0ES3_jN6thrust23THRUST_200600_302600_NS6detail15normal_iteratorINSA_10device_ptrIyEEEEPS6_SG_NS0_5tupleIJNSA_16discard_iteratorINSA_11use_defaultEEESF_EEENSH_IJSG_SG_EEES6_PlJ7is_evenIyEEEE10hipError_tPvRmT3_T4_T5_T6_T7_T9_mT8_P12ihipStream_tbDpT10_ENKUlT_T0_E_clISt17integral_constantIbLb0EES18_IbLb1EEEEDaS14_S15_EUlS14_E_NS1_11comp_targetILNS1_3genE2ELNS1_11target_archE906ELNS1_3gpuE6ELNS1_3repE0EEENS1_30default_config_static_selectorELNS0_4arch9wavefront6targetE1EEEvT1_, .Lfunc_end2391-_ZN7rocprim17ROCPRIM_400000_NS6detail17trampoline_kernelINS0_14default_configENS1_25partition_config_selectorILNS1_17partition_subalgoE0EyNS0_10empty_typeEbEEZZNS1_14partition_implILS5_0ELb0ES3_jN6thrust23THRUST_200600_302600_NS6detail15normal_iteratorINSA_10device_ptrIyEEEEPS6_SG_NS0_5tupleIJNSA_16discard_iteratorINSA_11use_defaultEEESF_EEENSH_IJSG_SG_EEES6_PlJ7is_evenIyEEEE10hipError_tPvRmT3_T4_T5_T6_T7_T9_mT8_P12ihipStream_tbDpT10_ENKUlT_T0_E_clISt17integral_constantIbLb0EES18_IbLb1EEEEDaS14_S15_EUlS14_E_NS1_11comp_targetILNS1_3genE2ELNS1_11target_archE906ELNS1_3gpuE6ELNS1_3repE0EEENS1_30default_config_static_selectorELNS0_4arch9wavefront6targetE1EEEvT1_
                                        ; -- End function
	.section	.AMDGPU.csdata,"",@progbits
; Kernel info:
; codeLenInByte = 0
; NumSgprs: 4
; NumVgprs: 0
; NumAgprs: 0
; TotalNumVgprs: 0
; ScratchSize: 0
; MemoryBound: 0
; FloatMode: 240
; IeeeMode: 1
; LDSByteSize: 0 bytes/workgroup (compile time only)
; SGPRBlocks: 0
; VGPRBlocks: 0
; NumSGPRsForWavesPerEU: 4
; NumVGPRsForWavesPerEU: 1
; AccumOffset: 4
; Occupancy: 8
; WaveLimiterHint : 0
; COMPUTE_PGM_RSRC2:SCRATCH_EN: 0
; COMPUTE_PGM_RSRC2:USER_SGPR: 6
; COMPUTE_PGM_RSRC2:TRAP_HANDLER: 0
; COMPUTE_PGM_RSRC2:TGID_X_EN: 1
; COMPUTE_PGM_RSRC2:TGID_Y_EN: 0
; COMPUTE_PGM_RSRC2:TGID_Z_EN: 0
; COMPUTE_PGM_RSRC2:TIDIG_COMP_CNT: 0
; COMPUTE_PGM_RSRC3_GFX90A:ACCUM_OFFSET: 0
; COMPUTE_PGM_RSRC3_GFX90A:TG_SPLIT: 0
	.section	.text._ZN7rocprim17ROCPRIM_400000_NS6detail17trampoline_kernelINS0_14default_configENS1_25partition_config_selectorILNS1_17partition_subalgoE0EyNS0_10empty_typeEbEEZZNS1_14partition_implILS5_0ELb0ES3_jN6thrust23THRUST_200600_302600_NS6detail15normal_iteratorINSA_10device_ptrIyEEEEPS6_SG_NS0_5tupleIJNSA_16discard_iteratorINSA_11use_defaultEEESF_EEENSH_IJSG_SG_EEES6_PlJ7is_evenIyEEEE10hipError_tPvRmT3_T4_T5_T6_T7_T9_mT8_P12ihipStream_tbDpT10_ENKUlT_T0_E_clISt17integral_constantIbLb0EES18_IbLb1EEEEDaS14_S15_EUlS14_E_NS1_11comp_targetILNS1_3genE10ELNS1_11target_archE1200ELNS1_3gpuE4ELNS1_3repE0EEENS1_30default_config_static_selectorELNS0_4arch9wavefront6targetE1EEEvT1_,"axG",@progbits,_ZN7rocprim17ROCPRIM_400000_NS6detail17trampoline_kernelINS0_14default_configENS1_25partition_config_selectorILNS1_17partition_subalgoE0EyNS0_10empty_typeEbEEZZNS1_14partition_implILS5_0ELb0ES3_jN6thrust23THRUST_200600_302600_NS6detail15normal_iteratorINSA_10device_ptrIyEEEEPS6_SG_NS0_5tupleIJNSA_16discard_iteratorINSA_11use_defaultEEESF_EEENSH_IJSG_SG_EEES6_PlJ7is_evenIyEEEE10hipError_tPvRmT3_T4_T5_T6_T7_T9_mT8_P12ihipStream_tbDpT10_ENKUlT_T0_E_clISt17integral_constantIbLb0EES18_IbLb1EEEEDaS14_S15_EUlS14_E_NS1_11comp_targetILNS1_3genE10ELNS1_11target_archE1200ELNS1_3gpuE4ELNS1_3repE0EEENS1_30default_config_static_selectorELNS0_4arch9wavefront6targetE1EEEvT1_,comdat
	.protected	_ZN7rocprim17ROCPRIM_400000_NS6detail17trampoline_kernelINS0_14default_configENS1_25partition_config_selectorILNS1_17partition_subalgoE0EyNS0_10empty_typeEbEEZZNS1_14partition_implILS5_0ELb0ES3_jN6thrust23THRUST_200600_302600_NS6detail15normal_iteratorINSA_10device_ptrIyEEEEPS6_SG_NS0_5tupleIJNSA_16discard_iteratorINSA_11use_defaultEEESF_EEENSH_IJSG_SG_EEES6_PlJ7is_evenIyEEEE10hipError_tPvRmT3_T4_T5_T6_T7_T9_mT8_P12ihipStream_tbDpT10_ENKUlT_T0_E_clISt17integral_constantIbLb0EES18_IbLb1EEEEDaS14_S15_EUlS14_E_NS1_11comp_targetILNS1_3genE10ELNS1_11target_archE1200ELNS1_3gpuE4ELNS1_3repE0EEENS1_30default_config_static_selectorELNS0_4arch9wavefront6targetE1EEEvT1_ ; -- Begin function _ZN7rocprim17ROCPRIM_400000_NS6detail17trampoline_kernelINS0_14default_configENS1_25partition_config_selectorILNS1_17partition_subalgoE0EyNS0_10empty_typeEbEEZZNS1_14partition_implILS5_0ELb0ES3_jN6thrust23THRUST_200600_302600_NS6detail15normal_iteratorINSA_10device_ptrIyEEEEPS6_SG_NS0_5tupleIJNSA_16discard_iteratorINSA_11use_defaultEEESF_EEENSH_IJSG_SG_EEES6_PlJ7is_evenIyEEEE10hipError_tPvRmT3_T4_T5_T6_T7_T9_mT8_P12ihipStream_tbDpT10_ENKUlT_T0_E_clISt17integral_constantIbLb0EES18_IbLb1EEEEDaS14_S15_EUlS14_E_NS1_11comp_targetILNS1_3genE10ELNS1_11target_archE1200ELNS1_3gpuE4ELNS1_3repE0EEENS1_30default_config_static_selectorELNS0_4arch9wavefront6targetE1EEEvT1_
	.globl	_ZN7rocprim17ROCPRIM_400000_NS6detail17trampoline_kernelINS0_14default_configENS1_25partition_config_selectorILNS1_17partition_subalgoE0EyNS0_10empty_typeEbEEZZNS1_14partition_implILS5_0ELb0ES3_jN6thrust23THRUST_200600_302600_NS6detail15normal_iteratorINSA_10device_ptrIyEEEEPS6_SG_NS0_5tupleIJNSA_16discard_iteratorINSA_11use_defaultEEESF_EEENSH_IJSG_SG_EEES6_PlJ7is_evenIyEEEE10hipError_tPvRmT3_T4_T5_T6_T7_T9_mT8_P12ihipStream_tbDpT10_ENKUlT_T0_E_clISt17integral_constantIbLb0EES18_IbLb1EEEEDaS14_S15_EUlS14_E_NS1_11comp_targetILNS1_3genE10ELNS1_11target_archE1200ELNS1_3gpuE4ELNS1_3repE0EEENS1_30default_config_static_selectorELNS0_4arch9wavefront6targetE1EEEvT1_
	.p2align	8
	.type	_ZN7rocprim17ROCPRIM_400000_NS6detail17trampoline_kernelINS0_14default_configENS1_25partition_config_selectorILNS1_17partition_subalgoE0EyNS0_10empty_typeEbEEZZNS1_14partition_implILS5_0ELb0ES3_jN6thrust23THRUST_200600_302600_NS6detail15normal_iteratorINSA_10device_ptrIyEEEEPS6_SG_NS0_5tupleIJNSA_16discard_iteratorINSA_11use_defaultEEESF_EEENSH_IJSG_SG_EEES6_PlJ7is_evenIyEEEE10hipError_tPvRmT3_T4_T5_T6_T7_T9_mT8_P12ihipStream_tbDpT10_ENKUlT_T0_E_clISt17integral_constantIbLb0EES18_IbLb1EEEEDaS14_S15_EUlS14_E_NS1_11comp_targetILNS1_3genE10ELNS1_11target_archE1200ELNS1_3gpuE4ELNS1_3repE0EEENS1_30default_config_static_selectorELNS0_4arch9wavefront6targetE1EEEvT1_,@function
_ZN7rocprim17ROCPRIM_400000_NS6detail17trampoline_kernelINS0_14default_configENS1_25partition_config_selectorILNS1_17partition_subalgoE0EyNS0_10empty_typeEbEEZZNS1_14partition_implILS5_0ELb0ES3_jN6thrust23THRUST_200600_302600_NS6detail15normal_iteratorINSA_10device_ptrIyEEEEPS6_SG_NS0_5tupleIJNSA_16discard_iteratorINSA_11use_defaultEEESF_EEENSH_IJSG_SG_EEES6_PlJ7is_evenIyEEEE10hipError_tPvRmT3_T4_T5_T6_T7_T9_mT8_P12ihipStream_tbDpT10_ENKUlT_T0_E_clISt17integral_constantIbLb0EES18_IbLb1EEEEDaS14_S15_EUlS14_E_NS1_11comp_targetILNS1_3genE10ELNS1_11target_archE1200ELNS1_3gpuE4ELNS1_3repE0EEENS1_30default_config_static_selectorELNS0_4arch9wavefront6targetE1EEEvT1_: ; @_ZN7rocprim17ROCPRIM_400000_NS6detail17trampoline_kernelINS0_14default_configENS1_25partition_config_selectorILNS1_17partition_subalgoE0EyNS0_10empty_typeEbEEZZNS1_14partition_implILS5_0ELb0ES3_jN6thrust23THRUST_200600_302600_NS6detail15normal_iteratorINSA_10device_ptrIyEEEEPS6_SG_NS0_5tupleIJNSA_16discard_iteratorINSA_11use_defaultEEESF_EEENSH_IJSG_SG_EEES6_PlJ7is_evenIyEEEE10hipError_tPvRmT3_T4_T5_T6_T7_T9_mT8_P12ihipStream_tbDpT10_ENKUlT_T0_E_clISt17integral_constantIbLb0EES18_IbLb1EEEEDaS14_S15_EUlS14_E_NS1_11comp_targetILNS1_3genE10ELNS1_11target_archE1200ELNS1_3gpuE4ELNS1_3repE0EEENS1_30default_config_static_selectorELNS0_4arch9wavefront6targetE1EEEvT1_
; %bb.0:
	.section	.rodata,"a",@progbits
	.p2align	6, 0x0
	.amdhsa_kernel _ZN7rocprim17ROCPRIM_400000_NS6detail17trampoline_kernelINS0_14default_configENS1_25partition_config_selectorILNS1_17partition_subalgoE0EyNS0_10empty_typeEbEEZZNS1_14partition_implILS5_0ELb0ES3_jN6thrust23THRUST_200600_302600_NS6detail15normal_iteratorINSA_10device_ptrIyEEEEPS6_SG_NS0_5tupleIJNSA_16discard_iteratorINSA_11use_defaultEEESF_EEENSH_IJSG_SG_EEES6_PlJ7is_evenIyEEEE10hipError_tPvRmT3_T4_T5_T6_T7_T9_mT8_P12ihipStream_tbDpT10_ENKUlT_T0_E_clISt17integral_constantIbLb0EES18_IbLb1EEEEDaS14_S15_EUlS14_E_NS1_11comp_targetILNS1_3genE10ELNS1_11target_archE1200ELNS1_3gpuE4ELNS1_3repE0EEENS1_30default_config_static_selectorELNS0_4arch9wavefront6targetE1EEEvT1_
		.amdhsa_group_segment_fixed_size 0
		.amdhsa_private_segment_fixed_size 0
		.amdhsa_kernarg_size 144
		.amdhsa_user_sgpr_count 6
		.amdhsa_user_sgpr_private_segment_buffer 1
		.amdhsa_user_sgpr_dispatch_ptr 0
		.amdhsa_user_sgpr_queue_ptr 0
		.amdhsa_user_sgpr_kernarg_segment_ptr 1
		.amdhsa_user_sgpr_dispatch_id 0
		.amdhsa_user_sgpr_flat_scratch_init 0
		.amdhsa_user_sgpr_kernarg_preload_length 0
		.amdhsa_user_sgpr_kernarg_preload_offset 0
		.amdhsa_user_sgpr_private_segment_size 0
		.amdhsa_uses_dynamic_stack 0
		.amdhsa_system_sgpr_private_segment_wavefront_offset 0
		.amdhsa_system_sgpr_workgroup_id_x 1
		.amdhsa_system_sgpr_workgroup_id_y 0
		.amdhsa_system_sgpr_workgroup_id_z 0
		.amdhsa_system_sgpr_workgroup_info 0
		.amdhsa_system_vgpr_workitem_id 0
		.amdhsa_next_free_vgpr 1
		.amdhsa_next_free_sgpr 0
		.amdhsa_accum_offset 4
		.amdhsa_reserve_vcc 0
		.amdhsa_reserve_flat_scratch 0
		.amdhsa_float_round_mode_32 0
		.amdhsa_float_round_mode_16_64 0
		.amdhsa_float_denorm_mode_32 3
		.amdhsa_float_denorm_mode_16_64 3
		.amdhsa_dx10_clamp 1
		.amdhsa_ieee_mode 1
		.amdhsa_fp16_overflow 0
		.amdhsa_tg_split 0
		.amdhsa_exception_fp_ieee_invalid_op 0
		.amdhsa_exception_fp_denorm_src 0
		.amdhsa_exception_fp_ieee_div_zero 0
		.amdhsa_exception_fp_ieee_overflow 0
		.amdhsa_exception_fp_ieee_underflow 0
		.amdhsa_exception_fp_ieee_inexact 0
		.amdhsa_exception_int_div_zero 0
	.end_amdhsa_kernel
	.section	.text._ZN7rocprim17ROCPRIM_400000_NS6detail17trampoline_kernelINS0_14default_configENS1_25partition_config_selectorILNS1_17partition_subalgoE0EyNS0_10empty_typeEbEEZZNS1_14partition_implILS5_0ELb0ES3_jN6thrust23THRUST_200600_302600_NS6detail15normal_iteratorINSA_10device_ptrIyEEEEPS6_SG_NS0_5tupleIJNSA_16discard_iteratorINSA_11use_defaultEEESF_EEENSH_IJSG_SG_EEES6_PlJ7is_evenIyEEEE10hipError_tPvRmT3_T4_T5_T6_T7_T9_mT8_P12ihipStream_tbDpT10_ENKUlT_T0_E_clISt17integral_constantIbLb0EES18_IbLb1EEEEDaS14_S15_EUlS14_E_NS1_11comp_targetILNS1_3genE10ELNS1_11target_archE1200ELNS1_3gpuE4ELNS1_3repE0EEENS1_30default_config_static_selectorELNS0_4arch9wavefront6targetE1EEEvT1_,"axG",@progbits,_ZN7rocprim17ROCPRIM_400000_NS6detail17trampoline_kernelINS0_14default_configENS1_25partition_config_selectorILNS1_17partition_subalgoE0EyNS0_10empty_typeEbEEZZNS1_14partition_implILS5_0ELb0ES3_jN6thrust23THRUST_200600_302600_NS6detail15normal_iteratorINSA_10device_ptrIyEEEEPS6_SG_NS0_5tupleIJNSA_16discard_iteratorINSA_11use_defaultEEESF_EEENSH_IJSG_SG_EEES6_PlJ7is_evenIyEEEE10hipError_tPvRmT3_T4_T5_T6_T7_T9_mT8_P12ihipStream_tbDpT10_ENKUlT_T0_E_clISt17integral_constantIbLb0EES18_IbLb1EEEEDaS14_S15_EUlS14_E_NS1_11comp_targetILNS1_3genE10ELNS1_11target_archE1200ELNS1_3gpuE4ELNS1_3repE0EEENS1_30default_config_static_selectorELNS0_4arch9wavefront6targetE1EEEvT1_,comdat
.Lfunc_end2392:
	.size	_ZN7rocprim17ROCPRIM_400000_NS6detail17trampoline_kernelINS0_14default_configENS1_25partition_config_selectorILNS1_17partition_subalgoE0EyNS0_10empty_typeEbEEZZNS1_14partition_implILS5_0ELb0ES3_jN6thrust23THRUST_200600_302600_NS6detail15normal_iteratorINSA_10device_ptrIyEEEEPS6_SG_NS0_5tupleIJNSA_16discard_iteratorINSA_11use_defaultEEESF_EEENSH_IJSG_SG_EEES6_PlJ7is_evenIyEEEE10hipError_tPvRmT3_T4_T5_T6_T7_T9_mT8_P12ihipStream_tbDpT10_ENKUlT_T0_E_clISt17integral_constantIbLb0EES18_IbLb1EEEEDaS14_S15_EUlS14_E_NS1_11comp_targetILNS1_3genE10ELNS1_11target_archE1200ELNS1_3gpuE4ELNS1_3repE0EEENS1_30default_config_static_selectorELNS0_4arch9wavefront6targetE1EEEvT1_, .Lfunc_end2392-_ZN7rocprim17ROCPRIM_400000_NS6detail17trampoline_kernelINS0_14default_configENS1_25partition_config_selectorILNS1_17partition_subalgoE0EyNS0_10empty_typeEbEEZZNS1_14partition_implILS5_0ELb0ES3_jN6thrust23THRUST_200600_302600_NS6detail15normal_iteratorINSA_10device_ptrIyEEEEPS6_SG_NS0_5tupleIJNSA_16discard_iteratorINSA_11use_defaultEEESF_EEENSH_IJSG_SG_EEES6_PlJ7is_evenIyEEEE10hipError_tPvRmT3_T4_T5_T6_T7_T9_mT8_P12ihipStream_tbDpT10_ENKUlT_T0_E_clISt17integral_constantIbLb0EES18_IbLb1EEEEDaS14_S15_EUlS14_E_NS1_11comp_targetILNS1_3genE10ELNS1_11target_archE1200ELNS1_3gpuE4ELNS1_3repE0EEENS1_30default_config_static_selectorELNS0_4arch9wavefront6targetE1EEEvT1_
                                        ; -- End function
	.section	.AMDGPU.csdata,"",@progbits
; Kernel info:
; codeLenInByte = 0
; NumSgprs: 4
; NumVgprs: 0
; NumAgprs: 0
; TotalNumVgprs: 0
; ScratchSize: 0
; MemoryBound: 0
; FloatMode: 240
; IeeeMode: 1
; LDSByteSize: 0 bytes/workgroup (compile time only)
; SGPRBlocks: 0
; VGPRBlocks: 0
; NumSGPRsForWavesPerEU: 4
; NumVGPRsForWavesPerEU: 1
; AccumOffset: 4
; Occupancy: 8
; WaveLimiterHint : 0
; COMPUTE_PGM_RSRC2:SCRATCH_EN: 0
; COMPUTE_PGM_RSRC2:USER_SGPR: 6
; COMPUTE_PGM_RSRC2:TRAP_HANDLER: 0
; COMPUTE_PGM_RSRC2:TGID_X_EN: 1
; COMPUTE_PGM_RSRC2:TGID_Y_EN: 0
; COMPUTE_PGM_RSRC2:TGID_Z_EN: 0
; COMPUTE_PGM_RSRC2:TIDIG_COMP_CNT: 0
; COMPUTE_PGM_RSRC3_GFX90A:ACCUM_OFFSET: 0
; COMPUTE_PGM_RSRC3_GFX90A:TG_SPLIT: 0
	.section	.text._ZN7rocprim17ROCPRIM_400000_NS6detail17trampoline_kernelINS0_14default_configENS1_25partition_config_selectorILNS1_17partition_subalgoE0EyNS0_10empty_typeEbEEZZNS1_14partition_implILS5_0ELb0ES3_jN6thrust23THRUST_200600_302600_NS6detail15normal_iteratorINSA_10device_ptrIyEEEEPS6_SG_NS0_5tupleIJNSA_16discard_iteratorINSA_11use_defaultEEESF_EEENSH_IJSG_SG_EEES6_PlJ7is_evenIyEEEE10hipError_tPvRmT3_T4_T5_T6_T7_T9_mT8_P12ihipStream_tbDpT10_ENKUlT_T0_E_clISt17integral_constantIbLb0EES18_IbLb1EEEEDaS14_S15_EUlS14_E_NS1_11comp_targetILNS1_3genE9ELNS1_11target_archE1100ELNS1_3gpuE3ELNS1_3repE0EEENS1_30default_config_static_selectorELNS0_4arch9wavefront6targetE1EEEvT1_,"axG",@progbits,_ZN7rocprim17ROCPRIM_400000_NS6detail17trampoline_kernelINS0_14default_configENS1_25partition_config_selectorILNS1_17partition_subalgoE0EyNS0_10empty_typeEbEEZZNS1_14partition_implILS5_0ELb0ES3_jN6thrust23THRUST_200600_302600_NS6detail15normal_iteratorINSA_10device_ptrIyEEEEPS6_SG_NS0_5tupleIJNSA_16discard_iteratorINSA_11use_defaultEEESF_EEENSH_IJSG_SG_EEES6_PlJ7is_evenIyEEEE10hipError_tPvRmT3_T4_T5_T6_T7_T9_mT8_P12ihipStream_tbDpT10_ENKUlT_T0_E_clISt17integral_constantIbLb0EES18_IbLb1EEEEDaS14_S15_EUlS14_E_NS1_11comp_targetILNS1_3genE9ELNS1_11target_archE1100ELNS1_3gpuE3ELNS1_3repE0EEENS1_30default_config_static_selectorELNS0_4arch9wavefront6targetE1EEEvT1_,comdat
	.protected	_ZN7rocprim17ROCPRIM_400000_NS6detail17trampoline_kernelINS0_14default_configENS1_25partition_config_selectorILNS1_17partition_subalgoE0EyNS0_10empty_typeEbEEZZNS1_14partition_implILS5_0ELb0ES3_jN6thrust23THRUST_200600_302600_NS6detail15normal_iteratorINSA_10device_ptrIyEEEEPS6_SG_NS0_5tupleIJNSA_16discard_iteratorINSA_11use_defaultEEESF_EEENSH_IJSG_SG_EEES6_PlJ7is_evenIyEEEE10hipError_tPvRmT3_T4_T5_T6_T7_T9_mT8_P12ihipStream_tbDpT10_ENKUlT_T0_E_clISt17integral_constantIbLb0EES18_IbLb1EEEEDaS14_S15_EUlS14_E_NS1_11comp_targetILNS1_3genE9ELNS1_11target_archE1100ELNS1_3gpuE3ELNS1_3repE0EEENS1_30default_config_static_selectorELNS0_4arch9wavefront6targetE1EEEvT1_ ; -- Begin function _ZN7rocprim17ROCPRIM_400000_NS6detail17trampoline_kernelINS0_14default_configENS1_25partition_config_selectorILNS1_17partition_subalgoE0EyNS0_10empty_typeEbEEZZNS1_14partition_implILS5_0ELb0ES3_jN6thrust23THRUST_200600_302600_NS6detail15normal_iteratorINSA_10device_ptrIyEEEEPS6_SG_NS0_5tupleIJNSA_16discard_iteratorINSA_11use_defaultEEESF_EEENSH_IJSG_SG_EEES6_PlJ7is_evenIyEEEE10hipError_tPvRmT3_T4_T5_T6_T7_T9_mT8_P12ihipStream_tbDpT10_ENKUlT_T0_E_clISt17integral_constantIbLb0EES18_IbLb1EEEEDaS14_S15_EUlS14_E_NS1_11comp_targetILNS1_3genE9ELNS1_11target_archE1100ELNS1_3gpuE3ELNS1_3repE0EEENS1_30default_config_static_selectorELNS0_4arch9wavefront6targetE1EEEvT1_
	.globl	_ZN7rocprim17ROCPRIM_400000_NS6detail17trampoline_kernelINS0_14default_configENS1_25partition_config_selectorILNS1_17partition_subalgoE0EyNS0_10empty_typeEbEEZZNS1_14partition_implILS5_0ELb0ES3_jN6thrust23THRUST_200600_302600_NS6detail15normal_iteratorINSA_10device_ptrIyEEEEPS6_SG_NS0_5tupleIJNSA_16discard_iteratorINSA_11use_defaultEEESF_EEENSH_IJSG_SG_EEES6_PlJ7is_evenIyEEEE10hipError_tPvRmT3_T4_T5_T6_T7_T9_mT8_P12ihipStream_tbDpT10_ENKUlT_T0_E_clISt17integral_constantIbLb0EES18_IbLb1EEEEDaS14_S15_EUlS14_E_NS1_11comp_targetILNS1_3genE9ELNS1_11target_archE1100ELNS1_3gpuE3ELNS1_3repE0EEENS1_30default_config_static_selectorELNS0_4arch9wavefront6targetE1EEEvT1_
	.p2align	8
	.type	_ZN7rocprim17ROCPRIM_400000_NS6detail17trampoline_kernelINS0_14default_configENS1_25partition_config_selectorILNS1_17partition_subalgoE0EyNS0_10empty_typeEbEEZZNS1_14partition_implILS5_0ELb0ES3_jN6thrust23THRUST_200600_302600_NS6detail15normal_iteratorINSA_10device_ptrIyEEEEPS6_SG_NS0_5tupleIJNSA_16discard_iteratorINSA_11use_defaultEEESF_EEENSH_IJSG_SG_EEES6_PlJ7is_evenIyEEEE10hipError_tPvRmT3_T4_T5_T6_T7_T9_mT8_P12ihipStream_tbDpT10_ENKUlT_T0_E_clISt17integral_constantIbLb0EES18_IbLb1EEEEDaS14_S15_EUlS14_E_NS1_11comp_targetILNS1_3genE9ELNS1_11target_archE1100ELNS1_3gpuE3ELNS1_3repE0EEENS1_30default_config_static_selectorELNS0_4arch9wavefront6targetE1EEEvT1_,@function
_ZN7rocprim17ROCPRIM_400000_NS6detail17trampoline_kernelINS0_14default_configENS1_25partition_config_selectorILNS1_17partition_subalgoE0EyNS0_10empty_typeEbEEZZNS1_14partition_implILS5_0ELb0ES3_jN6thrust23THRUST_200600_302600_NS6detail15normal_iteratorINSA_10device_ptrIyEEEEPS6_SG_NS0_5tupleIJNSA_16discard_iteratorINSA_11use_defaultEEESF_EEENSH_IJSG_SG_EEES6_PlJ7is_evenIyEEEE10hipError_tPvRmT3_T4_T5_T6_T7_T9_mT8_P12ihipStream_tbDpT10_ENKUlT_T0_E_clISt17integral_constantIbLb0EES18_IbLb1EEEEDaS14_S15_EUlS14_E_NS1_11comp_targetILNS1_3genE9ELNS1_11target_archE1100ELNS1_3gpuE3ELNS1_3repE0EEENS1_30default_config_static_selectorELNS0_4arch9wavefront6targetE1EEEvT1_: ; @_ZN7rocprim17ROCPRIM_400000_NS6detail17trampoline_kernelINS0_14default_configENS1_25partition_config_selectorILNS1_17partition_subalgoE0EyNS0_10empty_typeEbEEZZNS1_14partition_implILS5_0ELb0ES3_jN6thrust23THRUST_200600_302600_NS6detail15normal_iteratorINSA_10device_ptrIyEEEEPS6_SG_NS0_5tupleIJNSA_16discard_iteratorINSA_11use_defaultEEESF_EEENSH_IJSG_SG_EEES6_PlJ7is_evenIyEEEE10hipError_tPvRmT3_T4_T5_T6_T7_T9_mT8_P12ihipStream_tbDpT10_ENKUlT_T0_E_clISt17integral_constantIbLb0EES18_IbLb1EEEEDaS14_S15_EUlS14_E_NS1_11comp_targetILNS1_3genE9ELNS1_11target_archE1100ELNS1_3gpuE3ELNS1_3repE0EEENS1_30default_config_static_selectorELNS0_4arch9wavefront6targetE1EEEvT1_
; %bb.0:
	.section	.rodata,"a",@progbits
	.p2align	6, 0x0
	.amdhsa_kernel _ZN7rocprim17ROCPRIM_400000_NS6detail17trampoline_kernelINS0_14default_configENS1_25partition_config_selectorILNS1_17partition_subalgoE0EyNS0_10empty_typeEbEEZZNS1_14partition_implILS5_0ELb0ES3_jN6thrust23THRUST_200600_302600_NS6detail15normal_iteratorINSA_10device_ptrIyEEEEPS6_SG_NS0_5tupleIJNSA_16discard_iteratorINSA_11use_defaultEEESF_EEENSH_IJSG_SG_EEES6_PlJ7is_evenIyEEEE10hipError_tPvRmT3_T4_T5_T6_T7_T9_mT8_P12ihipStream_tbDpT10_ENKUlT_T0_E_clISt17integral_constantIbLb0EES18_IbLb1EEEEDaS14_S15_EUlS14_E_NS1_11comp_targetILNS1_3genE9ELNS1_11target_archE1100ELNS1_3gpuE3ELNS1_3repE0EEENS1_30default_config_static_selectorELNS0_4arch9wavefront6targetE1EEEvT1_
		.amdhsa_group_segment_fixed_size 0
		.amdhsa_private_segment_fixed_size 0
		.amdhsa_kernarg_size 144
		.amdhsa_user_sgpr_count 6
		.amdhsa_user_sgpr_private_segment_buffer 1
		.amdhsa_user_sgpr_dispatch_ptr 0
		.amdhsa_user_sgpr_queue_ptr 0
		.amdhsa_user_sgpr_kernarg_segment_ptr 1
		.amdhsa_user_sgpr_dispatch_id 0
		.amdhsa_user_sgpr_flat_scratch_init 0
		.amdhsa_user_sgpr_kernarg_preload_length 0
		.amdhsa_user_sgpr_kernarg_preload_offset 0
		.amdhsa_user_sgpr_private_segment_size 0
		.amdhsa_uses_dynamic_stack 0
		.amdhsa_system_sgpr_private_segment_wavefront_offset 0
		.amdhsa_system_sgpr_workgroup_id_x 1
		.amdhsa_system_sgpr_workgroup_id_y 0
		.amdhsa_system_sgpr_workgroup_id_z 0
		.amdhsa_system_sgpr_workgroup_info 0
		.amdhsa_system_vgpr_workitem_id 0
		.amdhsa_next_free_vgpr 1
		.amdhsa_next_free_sgpr 0
		.amdhsa_accum_offset 4
		.amdhsa_reserve_vcc 0
		.amdhsa_reserve_flat_scratch 0
		.amdhsa_float_round_mode_32 0
		.amdhsa_float_round_mode_16_64 0
		.amdhsa_float_denorm_mode_32 3
		.amdhsa_float_denorm_mode_16_64 3
		.amdhsa_dx10_clamp 1
		.amdhsa_ieee_mode 1
		.amdhsa_fp16_overflow 0
		.amdhsa_tg_split 0
		.amdhsa_exception_fp_ieee_invalid_op 0
		.amdhsa_exception_fp_denorm_src 0
		.amdhsa_exception_fp_ieee_div_zero 0
		.amdhsa_exception_fp_ieee_overflow 0
		.amdhsa_exception_fp_ieee_underflow 0
		.amdhsa_exception_fp_ieee_inexact 0
		.amdhsa_exception_int_div_zero 0
	.end_amdhsa_kernel
	.section	.text._ZN7rocprim17ROCPRIM_400000_NS6detail17trampoline_kernelINS0_14default_configENS1_25partition_config_selectorILNS1_17partition_subalgoE0EyNS0_10empty_typeEbEEZZNS1_14partition_implILS5_0ELb0ES3_jN6thrust23THRUST_200600_302600_NS6detail15normal_iteratorINSA_10device_ptrIyEEEEPS6_SG_NS0_5tupleIJNSA_16discard_iteratorINSA_11use_defaultEEESF_EEENSH_IJSG_SG_EEES6_PlJ7is_evenIyEEEE10hipError_tPvRmT3_T4_T5_T6_T7_T9_mT8_P12ihipStream_tbDpT10_ENKUlT_T0_E_clISt17integral_constantIbLb0EES18_IbLb1EEEEDaS14_S15_EUlS14_E_NS1_11comp_targetILNS1_3genE9ELNS1_11target_archE1100ELNS1_3gpuE3ELNS1_3repE0EEENS1_30default_config_static_selectorELNS0_4arch9wavefront6targetE1EEEvT1_,"axG",@progbits,_ZN7rocprim17ROCPRIM_400000_NS6detail17trampoline_kernelINS0_14default_configENS1_25partition_config_selectorILNS1_17partition_subalgoE0EyNS0_10empty_typeEbEEZZNS1_14partition_implILS5_0ELb0ES3_jN6thrust23THRUST_200600_302600_NS6detail15normal_iteratorINSA_10device_ptrIyEEEEPS6_SG_NS0_5tupleIJNSA_16discard_iteratorINSA_11use_defaultEEESF_EEENSH_IJSG_SG_EEES6_PlJ7is_evenIyEEEE10hipError_tPvRmT3_T4_T5_T6_T7_T9_mT8_P12ihipStream_tbDpT10_ENKUlT_T0_E_clISt17integral_constantIbLb0EES18_IbLb1EEEEDaS14_S15_EUlS14_E_NS1_11comp_targetILNS1_3genE9ELNS1_11target_archE1100ELNS1_3gpuE3ELNS1_3repE0EEENS1_30default_config_static_selectorELNS0_4arch9wavefront6targetE1EEEvT1_,comdat
.Lfunc_end2393:
	.size	_ZN7rocprim17ROCPRIM_400000_NS6detail17trampoline_kernelINS0_14default_configENS1_25partition_config_selectorILNS1_17partition_subalgoE0EyNS0_10empty_typeEbEEZZNS1_14partition_implILS5_0ELb0ES3_jN6thrust23THRUST_200600_302600_NS6detail15normal_iteratorINSA_10device_ptrIyEEEEPS6_SG_NS0_5tupleIJNSA_16discard_iteratorINSA_11use_defaultEEESF_EEENSH_IJSG_SG_EEES6_PlJ7is_evenIyEEEE10hipError_tPvRmT3_T4_T5_T6_T7_T9_mT8_P12ihipStream_tbDpT10_ENKUlT_T0_E_clISt17integral_constantIbLb0EES18_IbLb1EEEEDaS14_S15_EUlS14_E_NS1_11comp_targetILNS1_3genE9ELNS1_11target_archE1100ELNS1_3gpuE3ELNS1_3repE0EEENS1_30default_config_static_selectorELNS0_4arch9wavefront6targetE1EEEvT1_, .Lfunc_end2393-_ZN7rocprim17ROCPRIM_400000_NS6detail17trampoline_kernelINS0_14default_configENS1_25partition_config_selectorILNS1_17partition_subalgoE0EyNS0_10empty_typeEbEEZZNS1_14partition_implILS5_0ELb0ES3_jN6thrust23THRUST_200600_302600_NS6detail15normal_iteratorINSA_10device_ptrIyEEEEPS6_SG_NS0_5tupleIJNSA_16discard_iteratorINSA_11use_defaultEEESF_EEENSH_IJSG_SG_EEES6_PlJ7is_evenIyEEEE10hipError_tPvRmT3_T4_T5_T6_T7_T9_mT8_P12ihipStream_tbDpT10_ENKUlT_T0_E_clISt17integral_constantIbLb0EES18_IbLb1EEEEDaS14_S15_EUlS14_E_NS1_11comp_targetILNS1_3genE9ELNS1_11target_archE1100ELNS1_3gpuE3ELNS1_3repE0EEENS1_30default_config_static_selectorELNS0_4arch9wavefront6targetE1EEEvT1_
                                        ; -- End function
	.section	.AMDGPU.csdata,"",@progbits
; Kernel info:
; codeLenInByte = 0
; NumSgprs: 4
; NumVgprs: 0
; NumAgprs: 0
; TotalNumVgprs: 0
; ScratchSize: 0
; MemoryBound: 0
; FloatMode: 240
; IeeeMode: 1
; LDSByteSize: 0 bytes/workgroup (compile time only)
; SGPRBlocks: 0
; VGPRBlocks: 0
; NumSGPRsForWavesPerEU: 4
; NumVGPRsForWavesPerEU: 1
; AccumOffset: 4
; Occupancy: 8
; WaveLimiterHint : 0
; COMPUTE_PGM_RSRC2:SCRATCH_EN: 0
; COMPUTE_PGM_RSRC2:USER_SGPR: 6
; COMPUTE_PGM_RSRC2:TRAP_HANDLER: 0
; COMPUTE_PGM_RSRC2:TGID_X_EN: 1
; COMPUTE_PGM_RSRC2:TGID_Y_EN: 0
; COMPUTE_PGM_RSRC2:TGID_Z_EN: 0
; COMPUTE_PGM_RSRC2:TIDIG_COMP_CNT: 0
; COMPUTE_PGM_RSRC3_GFX90A:ACCUM_OFFSET: 0
; COMPUTE_PGM_RSRC3_GFX90A:TG_SPLIT: 0
	.section	.text._ZN7rocprim17ROCPRIM_400000_NS6detail17trampoline_kernelINS0_14default_configENS1_25partition_config_selectorILNS1_17partition_subalgoE0EyNS0_10empty_typeEbEEZZNS1_14partition_implILS5_0ELb0ES3_jN6thrust23THRUST_200600_302600_NS6detail15normal_iteratorINSA_10device_ptrIyEEEEPS6_SG_NS0_5tupleIJNSA_16discard_iteratorINSA_11use_defaultEEESF_EEENSH_IJSG_SG_EEES6_PlJ7is_evenIyEEEE10hipError_tPvRmT3_T4_T5_T6_T7_T9_mT8_P12ihipStream_tbDpT10_ENKUlT_T0_E_clISt17integral_constantIbLb0EES18_IbLb1EEEEDaS14_S15_EUlS14_E_NS1_11comp_targetILNS1_3genE8ELNS1_11target_archE1030ELNS1_3gpuE2ELNS1_3repE0EEENS1_30default_config_static_selectorELNS0_4arch9wavefront6targetE1EEEvT1_,"axG",@progbits,_ZN7rocprim17ROCPRIM_400000_NS6detail17trampoline_kernelINS0_14default_configENS1_25partition_config_selectorILNS1_17partition_subalgoE0EyNS0_10empty_typeEbEEZZNS1_14partition_implILS5_0ELb0ES3_jN6thrust23THRUST_200600_302600_NS6detail15normal_iteratorINSA_10device_ptrIyEEEEPS6_SG_NS0_5tupleIJNSA_16discard_iteratorINSA_11use_defaultEEESF_EEENSH_IJSG_SG_EEES6_PlJ7is_evenIyEEEE10hipError_tPvRmT3_T4_T5_T6_T7_T9_mT8_P12ihipStream_tbDpT10_ENKUlT_T0_E_clISt17integral_constantIbLb0EES18_IbLb1EEEEDaS14_S15_EUlS14_E_NS1_11comp_targetILNS1_3genE8ELNS1_11target_archE1030ELNS1_3gpuE2ELNS1_3repE0EEENS1_30default_config_static_selectorELNS0_4arch9wavefront6targetE1EEEvT1_,comdat
	.protected	_ZN7rocprim17ROCPRIM_400000_NS6detail17trampoline_kernelINS0_14default_configENS1_25partition_config_selectorILNS1_17partition_subalgoE0EyNS0_10empty_typeEbEEZZNS1_14partition_implILS5_0ELb0ES3_jN6thrust23THRUST_200600_302600_NS6detail15normal_iteratorINSA_10device_ptrIyEEEEPS6_SG_NS0_5tupleIJNSA_16discard_iteratorINSA_11use_defaultEEESF_EEENSH_IJSG_SG_EEES6_PlJ7is_evenIyEEEE10hipError_tPvRmT3_T4_T5_T6_T7_T9_mT8_P12ihipStream_tbDpT10_ENKUlT_T0_E_clISt17integral_constantIbLb0EES18_IbLb1EEEEDaS14_S15_EUlS14_E_NS1_11comp_targetILNS1_3genE8ELNS1_11target_archE1030ELNS1_3gpuE2ELNS1_3repE0EEENS1_30default_config_static_selectorELNS0_4arch9wavefront6targetE1EEEvT1_ ; -- Begin function _ZN7rocprim17ROCPRIM_400000_NS6detail17trampoline_kernelINS0_14default_configENS1_25partition_config_selectorILNS1_17partition_subalgoE0EyNS0_10empty_typeEbEEZZNS1_14partition_implILS5_0ELb0ES3_jN6thrust23THRUST_200600_302600_NS6detail15normal_iteratorINSA_10device_ptrIyEEEEPS6_SG_NS0_5tupleIJNSA_16discard_iteratorINSA_11use_defaultEEESF_EEENSH_IJSG_SG_EEES6_PlJ7is_evenIyEEEE10hipError_tPvRmT3_T4_T5_T6_T7_T9_mT8_P12ihipStream_tbDpT10_ENKUlT_T0_E_clISt17integral_constantIbLb0EES18_IbLb1EEEEDaS14_S15_EUlS14_E_NS1_11comp_targetILNS1_3genE8ELNS1_11target_archE1030ELNS1_3gpuE2ELNS1_3repE0EEENS1_30default_config_static_selectorELNS0_4arch9wavefront6targetE1EEEvT1_
	.globl	_ZN7rocprim17ROCPRIM_400000_NS6detail17trampoline_kernelINS0_14default_configENS1_25partition_config_selectorILNS1_17partition_subalgoE0EyNS0_10empty_typeEbEEZZNS1_14partition_implILS5_0ELb0ES3_jN6thrust23THRUST_200600_302600_NS6detail15normal_iteratorINSA_10device_ptrIyEEEEPS6_SG_NS0_5tupleIJNSA_16discard_iteratorINSA_11use_defaultEEESF_EEENSH_IJSG_SG_EEES6_PlJ7is_evenIyEEEE10hipError_tPvRmT3_T4_T5_T6_T7_T9_mT8_P12ihipStream_tbDpT10_ENKUlT_T0_E_clISt17integral_constantIbLb0EES18_IbLb1EEEEDaS14_S15_EUlS14_E_NS1_11comp_targetILNS1_3genE8ELNS1_11target_archE1030ELNS1_3gpuE2ELNS1_3repE0EEENS1_30default_config_static_selectorELNS0_4arch9wavefront6targetE1EEEvT1_
	.p2align	8
	.type	_ZN7rocprim17ROCPRIM_400000_NS6detail17trampoline_kernelINS0_14default_configENS1_25partition_config_selectorILNS1_17partition_subalgoE0EyNS0_10empty_typeEbEEZZNS1_14partition_implILS5_0ELb0ES3_jN6thrust23THRUST_200600_302600_NS6detail15normal_iteratorINSA_10device_ptrIyEEEEPS6_SG_NS0_5tupleIJNSA_16discard_iteratorINSA_11use_defaultEEESF_EEENSH_IJSG_SG_EEES6_PlJ7is_evenIyEEEE10hipError_tPvRmT3_T4_T5_T6_T7_T9_mT8_P12ihipStream_tbDpT10_ENKUlT_T0_E_clISt17integral_constantIbLb0EES18_IbLb1EEEEDaS14_S15_EUlS14_E_NS1_11comp_targetILNS1_3genE8ELNS1_11target_archE1030ELNS1_3gpuE2ELNS1_3repE0EEENS1_30default_config_static_selectorELNS0_4arch9wavefront6targetE1EEEvT1_,@function
_ZN7rocprim17ROCPRIM_400000_NS6detail17trampoline_kernelINS0_14default_configENS1_25partition_config_selectorILNS1_17partition_subalgoE0EyNS0_10empty_typeEbEEZZNS1_14partition_implILS5_0ELb0ES3_jN6thrust23THRUST_200600_302600_NS6detail15normal_iteratorINSA_10device_ptrIyEEEEPS6_SG_NS0_5tupleIJNSA_16discard_iteratorINSA_11use_defaultEEESF_EEENSH_IJSG_SG_EEES6_PlJ7is_evenIyEEEE10hipError_tPvRmT3_T4_T5_T6_T7_T9_mT8_P12ihipStream_tbDpT10_ENKUlT_T0_E_clISt17integral_constantIbLb0EES18_IbLb1EEEEDaS14_S15_EUlS14_E_NS1_11comp_targetILNS1_3genE8ELNS1_11target_archE1030ELNS1_3gpuE2ELNS1_3repE0EEENS1_30default_config_static_selectorELNS0_4arch9wavefront6targetE1EEEvT1_: ; @_ZN7rocprim17ROCPRIM_400000_NS6detail17trampoline_kernelINS0_14default_configENS1_25partition_config_selectorILNS1_17partition_subalgoE0EyNS0_10empty_typeEbEEZZNS1_14partition_implILS5_0ELb0ES3_jN6thrust23THRUST_200600_302600_NS6detail15normal_iteratorINSA_10device_ptrIyEEEEPS6_SG_NS0_5tupleIJNSA_16discard_iteratorINSA_11use_defaultEEESF_EEENSH_IJSG_SG_EEES6_PlJ7is_evenIyEEEE10hipError_tPvRmT3_T4_T5_T6_T7_T9_mT8_P12ihipStream_tbDpT10_ENKUlT_T0_E_clISt17integral_constantIbLb0EES18_IbLb1EEEEDaS14_S15_EUlS14_E_NS1_11comp_targetILNS1_3genE8ELNS1_11target_archE1030ELNS1_3gpuE2ELNS1_3repE0EEENS1_30default_config_static_selectorELNS0_4arch9wavefront6targetE1EEEvT1_
; %bb.0:
	.section	.rodata,"a",@progbits
	.p2align	6, 0x0
	.amdhsa_kernel _ZN7rocprim17ROCPRIM_400000_NS6detail17trampoline_kernelINS0_14default_configENS1_25partition_config_selectorILNS1_17partition_subalgoE0EyNS0_10empty_typeEbEEZZNS1_14partition_implILS5_0ELb0ES3_jN6thrust23THRUST_200600_302600_NS6detail15normal_iteratorINSA_10device_ptrIyEEEEPS6_SG_NS0_5tupleIJNSA_16discard_iteratorINSA_11use_defaultEEESF_EEENSH_IJSG_SG_EEES6_PlJ7is_evenIyEEEE10hipError_tPvRmT3_T4_T5_T6_T7_T9_mT8_P12ihipStream_tbDpT10_ENKUlT_T0_E_clISt17integral_constantIbLb0EES18_IbLb1EEEEDaS14_S15_EUlS14_E_NS1_11comp_targetILNS1_3genE8ELNS1_11target_archE1030ELNS1_3gpuE2ELNS1_3repE0EEENS1_30default_config_static_selectorELNS0_4arch9wavefront6targetE1EEEvT1_
		.amdhsa_group_segment_fixed_size 0
		.amdhsa_private_segment_fixed_size 0
		.amdhsa_kernarg_size 144
		.amdhsa_user_sgpr_count 6
		.amdhsa_user_sgpr_private_segment_buffer 1
		.amdhsa_user_sgpr_dispatch_ptr 0
		.amdhsa_user_sgpr_queue_ptr 0
		.amdhsa_user_sgpr_kernarg_segment_ptr 1
		.amdhsa_user_sgpr_dispatch_id 0
		.amdhsa_user_sgpr_flat_scratch_init 0
		.amdhsa_user_sgpr_kernarg_preload_length 0
		.amdhsa_user_sgpr_kernarg_preload_offset 0
		.amdhsa_user_sgpr_private_segment_size 0
		.amdhsa_uses_dynamic_stack 0
		.amdhsa_system_sgpr_private_segment_wavefront_offset 0
		.amdhsa_system_sgpr_workgroup_id_x 1
		.amdhsa_system_sgpr_workgroup_id_y 0
		.amdhsa_system_sgpr_workgroup_id_z 0
		.amdhsa_system_sgpr_workgroup_info 0
		.amdhsa_system_vgpr_workitem_id 0
		.amdhsa_next_free_vgpr 1
		.amdhsa_next_free_sgpr 0
		.amdhsa_accum_offset 4
		.amdhsa_reserve_vcc 0
		.amdhsa_reserve_flat_scratch 0
		.amdhsa_float_round_mode_32 0
		.amdhsa_float_round_mode_16_64 0
		.amdhsa_float_denorm_mode_32 3
		.amdhsa_float_denorm_mode_16_64 3
		.amdhsa_dx10_clamp 1
		.amdhsa_ieee_mode 1
		.amdhsa_fp16_overflow 0
		.amdhsa_tg_split 0
		.amdhsa_exception_fp_ieee_invalid_op 0
		.amdhsa_exception_fp_denorm_src 0
		.amdhsa_exception_fp_ieee_div_zero 0
		.amdhsa_exception_fp_ieee_overflow 0
		.amdhsa_exception_fp_ieee_underflow 0
		.amdhsa_exception_fp_ieee_inexact 0
		.amdhsa_exception_int_div_zero 0
	.end_amdhsa_kernel
	.section	.text._ZN7rocprim17ROCPRIM_400000_NS6detail17trampoline_kernelINS0_14default_configENS1_25partition_config_selectorILNS1_17partition_subalgoE0EyNS0_10empty_typeEbEEZZNS1_14partition_implILS5_0ELb0ES3_jN6thrust23THRUST_200600_302600_NS6detail15normal_iteratorINSA_10device_ptrIyEEEEPS6_SG_NS0_5tupleIJNSA_16discard_iteratorINSA_11use_defaultEEESF_EEENSH_IJSG_SG_EEES6_PlJ7is_evenIyEEEE10hipError_tPvRmT3_T4_T5_T6_T7_T9_mT8_P12ihipStream_tbDpT10_ENKUlT_T0_E_clISt17integral_constantIbLb0EES18_IbLb1EEEEDaS14_S15_EUlS14_E_NS1_11comp_targetILNS1_3genE8ELNS1_11target_archE1030ELNS1_3gpuE2ELNS1_3repE0EEENS1_30default_config_static_selectorELNS0_4arch9wavefront6targetE1EEEvT1_,"axG",@progbits,_ZN7rocprim17ROCPRIM_400000_NS6detail17trampoline_kernelINS0_14default_configENS1_25partition_config_selectorILNS1_17partition_subalgoE0EyNS0_10empty_typeEbEEZZNS1_14partition_implILS5_0ELb0ES3_jN6thrust23THRUST_200600_302600_NS6detail15normal_iteratorINSA_10device_ptrIyEEEEPS6_SG_NS0_5tupleIJNSA_16discard_iteratorINSA_11use_defaultEEESF_EEENSH_IJSG_SG_EEES6_PlJ7is_evenIyEEEE10hipError_tPvRmT3_T4_T5_T6_T7_T9_mT8_P12ihipStream_tbDpT10_ENKUlT_T0_E_clISt17integral_constantIbLb0EES18_IbLb1EEEEDaS14_S15_EUlS14_E_NS1_11comp_targetILNS1_3genE8ELNS1_11target_archE1030ELNS1_3gpuE2ELNS1_3repE0EEENS1_30default_config_static_selectorELNS0_4arch9wavefront6targetE1EEEvT1_,comdat
.Lfunc_end2394:
	.size	_ZN7rocprim17ROCPRIM_400000_NS6detail17trampoline_kernelINS0_14default_configENS1_25partition_config_selectorILNS1_17partition_subalgoE0EyNS0_10empty_typeEbEEZZNS1_14partition_implILS5_0ELb0ES3_jN6thrust23THRUST_200600_302600_NS6detail15normal_iteratorINSA_10device_ptrIyEEEEPS6_SG_NS0_5tupleIJNSA_16discard_iteratorINSA_11use_defaultEEESF_EEENSH_IJSG_SG_EEES6_PlJ7is_evenIyEEEE10hipError_tPvRmT3_T4_T5_T6_T7_T9_mT8_P12ihipStream_tbDpT10_ENKUlT_T0_E_clISt17integral_constantIbLb0EES18_IbLb1EEEEDaS14_S15_EUlS14_E_NS1_11comp_targetILNS1_3genE8ELNS1_11target_archE1030ELNS1_3gpuE2ELNS1_3repE0EEENS1_30default_config_static_selectorELNS0_4arch9wavefront6targetE1EEEvT1_, .Lfunc_end2394-_ZN7rocprim17ROCPRIM_400000_NS6detail17trampoline_kernelINS0_14default_configENS1_25partition_config_selectorILNS1_17partition_subalgoE0EyNS0_10empty_typeEbEEZZNS1_14partition_implILS5_0ELb0ES3_jN6thrust23THRUST_200600_302600_NS6detail15normal_iteratorINSA_10device_ptrIyEEEEPS6_SG_NS0_5tupleIJNSA_16discard_iteratorINSA_11use_defaultEEESF_EEENSH_IJSG_SG_EEES6_PlJ7is_evenIyEEEE10hipError_tPvRmT3_T4_T5_T6_T7_T9_mT8_P12ihipStream_tbDpT10_ENKUlT_T0_E_clISt17integral_constantIbLb0EES18_IbLb1EEEEDaS14_S15_EUlS14_E_NS1_11comp_targetILNS1_3genE8ELNS1_11target_archE1030ELNS1_3gpuE2ELNS1_3repE0EEENS1_30default_config_static_selectorELNS0_4arch9wavefront6targetE1EEEvT1_
                                        ; -- End function
	.section	.AMDGPU.csdata,"",@progbits
; Kernel info:
; codeLenInByte = 0
; NumSgprs: 4
; NumVgprs: 0
; NumAgprs: 0
; TotalNumVgprs: 0
; ScratchSize: 0
; MemoryBound: 0
; FloatMode: 240
; IeeeMode: 1
; LDSByteSize: 0 bytes/workgroup (compile time only)
; SGPRBlocks: 0
; VGPRBlocks: 0
; NumSGPRsForWavesPerEU: 4
; NumVGPRsForWavesPerEU: 1
; AccumOffset: 4
; Occupancy: 8
; WaveLimiterHint : 0
; COMPUTE_PGM_RSRC2:SCRATCH_EN: 0
; COMPUTE_PGM_RSRC2:USER_SGPR: 6
; COMPUTE_PGM_RSRC2:TRAP_HANDLER: 0
; COMPUTE_PGM_RSRC2:TGID_X_EN: 1
; COMPUTE_PGM_RSRC2:TGID_Y_EN: 0
; COMPUTE_PGM_RSRC2:TGID_Z_EN: 0
; COMPUTE_PGM_RSRC2:TIDIG_COMP_CNT: 0
; COMPUTE_PGM_RSRC3_GFX90A:ACCUM_OFFSET: 0
; COMPUTE_PGM_RSRC3_GFX90A:TG_SPLIT: 0
	.section	.text._ZN7rocprim17ROCPRIM_400000_NS6detail17trampoline_kernelINS0_14default_configENS1_25partition_config_selectorILNS1_17partition_subalgoE0EjNS0_10empty_typeEbEEZZNS1_14partition_implILS5_0ELb0ES3_jN6thrust23THRUST_200600_302600_NS6detail15normal_iteratorINSA_10device_ptrIjEEEEPS6_SG_NS0_5tupleIJNSA_16discard_iteratorINSA_11use_defaultEEESK_EEENSH_IJSG_SG_EEES6_PlJ7is_evenIjEEEE10hipError_tPvRmT3_T4_T5_T6_T7_T9_mT8_P12ihipStream_tbDpT10_ENKUlT_T0_E_clISt17integral_constantIbLb0EES19_EEDaS14_S15_EUlS14_E_NS1_11comp_targetILNS1_3genE0ELNS1_11target_archE4294967295ELNS1_3gpuE0ELNS1_3repE0EEENS1_30default_config_static_selectorELNS0_4arch9wavefront6targetE1EEEvT1_,"axG",@progbits,_ZN7rocprim17ROCPRIM_400000_NS6detail17trampoline_kernelINS0_14default_configENS1_25partition_config_selectorILNS1_17partition_subalgoE0EjNS0_10empty_typeEbEEZZNS1_14partition_implILS5_0ELb0ES3_jN6thrust23THRUST_200600_302600_NS6detail15normal_iteratorINSA_10device_ptrIjEEEEPS6_SG_NS0_5tupleIJNSA_16discard_iteratorINSA_11use_defaultEEESK_EEENSH_IJSG_SG_EEES6_PlJ7is_evenIjEEEE10hipError_tPvRmT3_T4_T5_T6_T7_T9_mT8_P12ihipStream_tbDpT10_ENKUlT_T0_E_clISt17integral_constantIbLb0EES19_EEDaS14_S15_EUlS14_E_NS1_11comp_targetILNS1_3genE0ELNS1_11target_archE4294967295ELNS1_3gpuE0ELNS1_3repE0EEENS1_30default_config_static_selectorELNS0_4arch9wavefront6targetE1EEEvT1_,comdat
	.protected	_ZN7rocprim17ROCPRIM_400000_NS6detail17trampoline_kernelINS0_14default_configENS1_25partition_config_selectorILNS1_17partition_subalgoE0EjNS0_10empty_typeEbEEZZNS1_14partition_implILS5_0ELb0ES3_jN6thrust23THRUST_200600_302600_NS6detail15normal_iteratorINSA_10device_ptrIjEEEEPS6_SG_NS0_5tupleIJNSA_16discard_iteratorINSA_11use_defaultEEESK_EEENSH_IJSG_SG_EEES6_PlJ7is_evenIjEEEE10hipError_tPvRmT3_T4_T5_T6_T7_T9_mT8_P12ihipStream_tbDpT10_ENKUlT_T0_E_clISt17integral_constantIbLb0EES19_EEDaS14_S15_EUlS14_E_NS1_11comp_targetILNS1_3genE0ELNS1_11target_archE4294967295ELNS1_3gpuE0ELNS1_3repE0EEENS1_30default_config_static_selectorELNS0_4arch9wavefront6targetE1EEEvT1_ ; -- Begin function _ZN7rocprim17ROCPRIM_400000_NS6detail17trampoline_kernelINS0_14default_configENS1_25partition_config_selectorILNS1_17partition_subalgoE0EjNS0_10empty_typeEbEEZZNS1_14partition_implILS5_0ELb0ES3_jN6thrust23THRUST_200600_302600_NS6detail15normal_iteratorINSA_10device_ptrIjEEEEPS6_SG_NS0_5tupleIJNSA_16discard_iteratorINSA_11use_defaultEEESK_EEENSH_IJSG_SG_EEES6_PlJ7is_evenIjEEEE10hipError_tPvRmT3_T4_T5_T6_T7_T9_mT8_P12ihipStream_tbDpT10_ENKUlT_T0_E_clISt17integral_constantIbLb0EES19_EEDaS14_S15_EUlS14_E_NS1_11comp_targetILNS1_3genE0ELNS1_11target_archE4294967295ELNS1_3gpuE0ELNS1_3repE0EEENS1_30default_config_static_selectorELNS0_4arch9wavefront6targetE1EEEvT1_
	.globl	_ZN7rocprim17ROCPRIM_400000_NS6detail17trampoline_kernelINS0_14default_configENS1_25partition_config_selectorILNS1_17partition_subalgoE0EjNS0_10empty_typeEbEEZZNS1_14partition_implILS5_0ELb0ES3_jN6thrust23THRUST_200600_302600_NS6detail15normal_iteratorINSA_10device_ptrIjEEEEPS6_SG_NS0_5tupleIJNSA_16discard_iteratorINSA_11use_defaultEEESK_EEENSH_IJSG_SG_EEES6_PlJ7is_evenIjEEEE10hipError_tPvRmT3_T4_T5_T6_T7_T9_mT8_P12ihipStream_tbDpT10_ENKUlT_T0_E_clISt17integral_constantIbLb0EES19_EEDaS14_S15_EUlS14_E_NS1_11comp_targetILNS1_3genE0ELNS1_11target_archE4294967295ELNS1_3gpuE0ELNS1_3repE0EEENS1_30default_config_static_selectorELNS0_4arch9wavefront6targetE1EEEvT1_
	.p2align	8
	.type	_ZN7rocprim17ROCPRIM_400000_NS6detail17trampoline_kernelINS0_14default_configENS1_25partition_config_selectorILNS1_17partition_subalgoE0EjNS0_10empty_typeEbEEZZNS1_14partition_implILS5_0ELb0ES3_jN6thrust23THRUST_200600_302600_NS6detail15normal_iteratorINSA_10device_ptrIjEEEEPS6_SG_NS0_5tupleIJNSA_16discard_iteratorINSA_11use_defaultEEESK_EEENSH_IJSG_SG_EEES6_PlJ7is_evenIjEEEE10hipError_tPvRmT3_T4_T5_T6_T7_T9_mT8_P12ihipStream_tbDpT10_ENKUlT_T0_E_clISt17integral_constantIbLb0EES19_EEDaS14_S15_EUlS14_E_NS1_11comp_targetILNS1_3genE0ELNS1_11target_archE4294967295ELNS1_3gpuE0ELNS1_3repE0EEENS1_30default_config_static_selectorELNS0_4arch9wavefront6targetE1EEEvT1_,@function
_ZN7rocprim17ROCPRIM_400000_NS6detail17trampoline_kernelINS0_14default_configENS1_25partition_config_selectorILNS1_17partition_subalgoE0EjNS0_10empty_typeEbEEZZNS1_14partition_implILS5_0ELb0ES3_jN6thrust23THRUST_200600_302600_NS6detail15normal_iteratorINSA_10device_ptrIjEEEEPS6_SG_NS0_5tupleIJNSA_16discard_iteratorINSA_11use_defaultEEESK_EEENSH_IJSG_SG_EEES6_PlJ7is_evenIjEEEE10hipError_tPvRmT3_T4_T5_T6_T7_T9_mT8_P12ihipStream_tbDpT10_ENKUlT_T0_E_clISt17integral_constantIbLb0EES19_EEDaS14_S15_EUlS14_E_NS1_11comp_targetILNS1_3genE0ELNS1_11target_archE4294967295ELNS1_3gpuE0ELNS1_3repE0EEENS1_30default_config_static_selectorELNS0_4arch9wavefront6targetE1EEEvT1_: ; @_ZN7rocprim17ROCPRIM_400000_NS6detail17trampoline_kernelINS0_14default_configENS1_25partition_config_selectorILNS1_17partition_subalgoE0EjNS0_10empty_typeEbEEZZNS1_14partition_implILS5_0ELb0ES3_jN6thrust23THRUST_200600_302600_NS6detail15normal_iteratorINSA_10device_ptrIjEEEEPS6_SG_NS0_5tupleIJNSA_16discard_iteratorINSA_11use_defaultEEESK_EEENSH_IJSG_SG_EEES6_PlJ7is_evenIjEEEE10hipError_tPvRmT3_T4_T5_T6_T7_T9_mT8_P12ihipStream_tbDpT10_ENKUlT_T0_E_clISt17integral_constantIbLb0EES19_EEDaS14_S15_EUlS14_E_NS1_11comp_targetILNS1_3genE0ELNS1_11target_archE4294967295ELNS1_3gpuE0ELNS1_3repE0EEENS1_30default_config_static_selectorELNS0_4arch9wavefront6targetE1EEEvT1_
; %bb.0:
	.section	.rodata,"a",@progbits
	.p2align	6, 0x0
	.amdhsa_kernel _ZN7rocprim17ROCPRIM_400000_NS6detail17trampoline_kernelINS0_14default_configENS1_25partition_config_selectorILNS1_17partition_subalgoE0EjNS0_10empty_typeEbEEZZNS1_14partition_implILS5_0ELb0ES3_jN6thrust23THRUST_200600_302600_NS6detail15normal_iteratorINSA_10device_ptrIjEEEEPS6_SG_NS0_5tupleIJNSA_16discard_iteratorINSA_11use_defaultEEESK_EEENSH_IJSG_SG_EEES6_PlJ7is_evenIjEEEE10hipError_tPvRmT3_T4_T5_T6_T7_T9_mT8_P12ihipStream_tbDpT10_ENKUlT_T0_E_clISt17integral_constantIbLb0EES19_EEDaS14_S15_EUlS14_E_NS1_11comp_targetILNS1_3genE0ELNS1_11target_archE4294967295ELNS1_3gpuE0ELNS1_3repE0EEENS1_30default_config_static_selectorELNS0_4arch9wavefront6targetE1EEEvT1_
		.amdhsa_group_segment_fixed_size 0
		.amdhsa_private_segment_fixed_size 0
		.amdhsa_kernarg_size 136
		.amdhsa_user_sgpr_count 6
		.amdhsa_user_sgpr_private_segment_buffer 1
		.amdhsa_user_sgpr_dispatch_ptr 0
		.amdhsa_user_sgpr_queue_ptr 0
		.amdhsa_user_sgpr_kernarg_segment_ptr 1
		.amdhsa_user_sgpr_dispatch_id 0
		.amdhsa_user_sgpr_flat_scratch_init 0
		.amdhsa_user_sgpr_kernarg_preload_length 0
		.amdhsa_user_sgpr_kernarg_preload_offset 0
		.amdhsa_user_sgpr_private_segment_size 0
		.amdhsa_uses_dynamic_stack 0
		.amdhsa_system_sgpr_private_segment_wavefront_offset 0
		.amdhsa_system_sgpr_workgroup_id_x 1
		.amdhsa_system_sgpr_workgroup_id_y 0
		.amdhsa_system_sgpr_workgroup_id_z 0
		.amdhsa_system_sgpr_workgroup_info 0
		.amdhsa_system_vgpr_workitem_id 0
		.amdhsa_next_free_vgpr 1
		.amdhsa_next_free_sgpr 0
		.amdhsa_accum_offset 4
		.amdhsa_reserve_vcc 0
		.amdhsa_reserve_flat_scratch 0
		.amdhsa_float_round_mode_32 0
		.amdhsa_float_round_mode_16_64 0
		.amdhsa_float_denorm_mode_32 3
		.amdhsa_float_denorm_mode_16_64 3
		.amdhsa_dx10_clamp 1
		.amdhsa_ieee_mode 1
		.amdhsa_fp16_overflow 0
		.amdhsa_tg_split 0
		.amdhsa_exception_fp_ieee_invalid_op 0
		.amdhsa_exception_fp_denorm_src 0
		.amdhsa_exception_fp_ieee_div_zero 0
		.amdhsa_exception_fp_ieee_overflow 0
		.amdhsa_exception_fp_ieee_underflow 0
		.amdhsa_exception_fp_ieee_inexact 0
		.amdhsa_exception_int_div_zero 0
	.end_amdhsa_kernel
	.section	.text._ZN7rocprim17ROCPRIM_400000_NS6detail17trampoline_kernelINS0_14default_configENS1_25partition_config_selectorILNS1_17partition_subalgoE0EjNS0_10empty_typeEbEEZZNS1_14partition_implILS5_0ELb0ES3_jN6thrust23THRUST_200600_302600_NS6detail15normal_iteratorINSA_10device_ptrIjEEEEPS6_SG_NS0_5tupleIJNSA_16discard_iteratorINSA_11use_defaultEEESK_EEENSH_IJSG_SG_EEES6_PlJ7is_evenIjEEEE10hipError_tPvRmT3_T4_T5_T6_T7_T9_mT8_P12ihipStream_tbDpT10_ENKUlT_T0_E_clISt17integral_constantIbLb0EES19_EEDaS14_S15_EUlS14_E_NS1_11comp_targetILNS1_3genE0ELNS1_11target_archE4294967295ELNS1_3gpuE0ELNS1_3repE0EEENS1_30default_config_static_selectorELNS0_4arch9wavefront6targetE1EEEvT1_,"axG",@progbits,_ZN7rocprim17ROCPRIM_400000_NS6detail17trampoline_kernelINS0_14default_configENS1_25partition_config_selectorILNS1_17partition_subalgoE0EjNS0_10empty_typeEbEEZZNS1_14partition_implILS5_0ELb0ES3_jN6thrust23THRUST_200600_302600_NS6detail15normal_iteratorINSA_10device_ptrIjEEEEPS6_SG_NS0_5tupleIJNSA_16discard_iteratorINSA_11use_defaultEEESK_EEENSH_IJSG_SG_EEES6_PlJ7is_evenIjEEEE10hipError_tPvRmT3_T4_T5_T6_T7_T9_mT8_P12ihipStream_tbDpT10_ENKUlT_T0_E_clISt17integral_constantIbLb0EES19_EEDaS14_S15_EUlS14_E_NS1_11comp_targetILNS1_3genE0ELNS1_11target_archE4294967295ELNS1_3gpuE0ELNS1_3repE0EEENS1_30default_config_static_selectorELNS0_4arch9wavefront6targetE1EEEvT1_,comdat
.Lfunc_end2395:
	.size	_ZN7rocprim17ROCPRIM_400000_NS6detail17trampoline_kernelINS0_14default_configENS1_25partition_config_selectorILNS1_17partition_subalgoE0EjNS0_10empty_typeEbEEZZNS1_14partition_implILS5_0ELb0ES3_jN6thrust23THRUST_200600_302600_NS6detail15normal_iteratorINSA_10device_ptrIjEEEEPS6_SG_NS0_5tupleIJNSA_16discard_iteratorINSA_11use_defaultEEESK_EEENSH_IJSG_SG_EEES6_PlJ7is_evenIjEEEE10hipError_tPvRmT3_T4_T5_T6_T7_T9_mT8_P12ihipStream_tbDpT10_ENKUlT_T0_E_clISt17integral_constantIbLb0EES19_EEDaS14_S15_EUlS14_E_NS1_11comp_targetILNS1_3genE0ELNS1_11target_archE4294967295ELNS1_3gpuE0ELNS1_3repE0EEENS1_30default_config_static_selectorELNS0_4arch9wavefront6targetE1EEEvT1_, .Lfunc_end2395-_ZN7rocprim17ROCPRIM_400000_NS6detail17trampoline_kernelINS0_14default_configENS1_25partition_config_selectorILNS1_17partition_subalgoE0EjNS0_10empty_typeEbEEZZNS1_14partition_implILS5_0ELb0ES3_jN6thrust23THRUST_200600_302600_NS6detail15normal_iteratorINSA_10device_ptrIjEEEEPS6_SG_NS0_5tupleIJNSA_16discard_iteratorINSA_11use_defaultEEESK_EEENSH_IJSG_SG_EEES6_PlJ7is_evenIjEEEE10hipError_tPvRmT3_T4_T5_T6_T7_T9_mT8_P12ihipStream_tbDpT10_ENKUlT_T0_E_clISt17integral_constantIbLb0EES19_EEDaS14_S15_EUlS14_E_NS1_11comp_targetILNS1_3genE0ELNS1_11target_archE4294967295ELNS1_3gpuE0ELNS1_3repE0EEENS1_30default_config_static_selectorELNS0_4arch9wavefront6targetE1EEEvT1_
                                        ; -- End function
	.section	.AMDGPU.csdata,"",@progbits
; Kernel info:
; codeLenInByte = 0
; NumSgprs: 4
; NumVgprs: 0
; NumAgprs: 0
; TotalNumVgprs: 0
; ScratchSize: 0
; MemoryBound: 0
; FloatMode: 240
; IeeeMode: 1
; LDSByteSize: 0 bytes/workgroup (compile time only)
; SGPRBlocks: 0
; VGPRBlocks: 0
; NumSGPRsForWavesPerEU: 4
; NumVGPRsForWavesPerEU: 1
; AccumOffset: 4
; Occupancy: 8
; WaveLimiterHint : 0
; COMPUTE_PGM_RSRC2:SCRATCH_EN: 0
; COMPUTE_PGM_RSRC2:USER_SGPR: 6
; COMPUTE_PGM_RSRC2:TRAP_HANDLER: 0
; COMPUTE_PGM_RSRC2:TGID_X_EN: 1
; COMPUTE_PGM_RSRC2:TGID_Y_EN: 0
; COMPUTE_PGM_RSRC2:TGID_Z_EN: 0
; COMPUTE_PGM_RSRC2:TIDIG_COMP_CNT: 0
; COMPUTE_PGM_RSRC3_GFX90A:ACCUM_OFFSET: 0
; COMPUTE_PGM_RSRC3_GFX90A:TG_SPLIT: 0
	.section	.text._ZN7rocprim17ROCPRIM_400000_NS6detail17trampoline_kernelINS0_14default_configENS1_25partition_config_selectorILNS1_17partition_subalgoE0EjNS0_10empty_typeEbEEZZNS1_14partition_implILS5_0ELb0ES3_jN6thrust23THRUST_200600_302600_NS6detail15normal_iteratorINSA_10device_ptrIjEEEEPS6_SG_NS0_5tupleIJNSA_16discard_iteratorINSA_11use_defaultEEESK_EEENSH_IJSG_SG_EEES6_PlJ7is_evenIjEEEE10hipError_tPvRmT3_T4_T5_T6_T7_T9_mT8_P12ihipStream_tbDpT10_ENKUlT_T0_E_clISt17integral_constantIbLb0EES19_EEDaS14_S15_EUlS14_E_NS1_11comp_targetILNS1_3genE5ELNS1_11target_archE942ELNS1_3gpuE9ELNS1_3repE0EEENS1_30default_config_static_selectorELNS0_4arch9wavefront6targetE1EEEvT1_,"axG",@progbits,_ZN7rocprim17ROCPRIM_400000_NS6detail17trampoline_kernelINS0_14default_configENS1_25partition_config_selectorILNS1_17partition_subalgoE0EjNS0_10empty_typeEbEEZZNS1_14partition_implILS5_0ELb0ES3_jN6thrust23THRUST_200600_302600_NS6detail15normal_iteratorINSA_10device_ptrIjEEEEPS6_SG_NS0_5tupleIJNSA_16discard_iteratorINSA_11use_defaultEEESK_EEENSH_IJSG_SG_EEES6_PlJ7is_evenIjEEEE10hipError_tPvRmT3_T4_T5_T6_T7_T9_mT8_P12ihipStream_tbDpT10_ENKUlT_T0_E_clISt17integral_constantIbLb0EES19_EEDaS14_S15_EUlS14_E_NS1_11comp_targetILNS1_3genE5ELNS1_11target_archE942ELNS1_3gpuE9ELNS1_3repE0EEENS1_30default_config_static_selectorELNS0_4arch9wavefront6targetE1EEEvT1_,comdat
	.protected	_ZN7rocprim17ROCPRIM_400000_NS6detail17trampoline_kernelINS0_14default_configENS1_25partition_config_selectorILNS1_17partition_subalgoE0EjNS0_10empty_typeEbEEZZNS1_14partition_implILS5_0ELb0ES3_jN6thrust23THRUST_200600_302600_NS6detail15normal_iteratorINSA_10device_ptrIjEEEEPS6_SG_NS0_5tupleIJNSA_16discard_iteratorINSA_11use_defaultEEESK_EEENSH_IJSG_SG_EEES6_PlJ7is_evenIjEEEE10hipError_tPvRmT3_T4_T5_T6_T7_T9_mT8_P12ihipStream_tbDpT10_ENKUlT_T0_E_clISt17integral_constantIbLb0EES19_EEDaS14_S15_EUlS14_E_NS1_11comp_targetILNS1_3genE5ELNS1_11target_archE942ELNS1_3gpuE9ELNS1_3repE0EEENS1_30default_config_static_selectorELNS0_4arch9wavefront6targetE1EEEvT1_ ; -- Begin function _ZN7rocprim17ROCPRIM_400000_NS6detail17trampoline_kernelINS0_14default_configENS1_25partition_config_selectorILNS1_17partition_subalgoE0EjNS0_10empty_typeEbEEZZNS1_14partition_implILS5_0ELb0ES3_jN6thrust23THRUST_200600_302600_NS6detail15normal_iteratorINSA_10device_ptrIjEEEEPS6_SG_NS0_5tupleIJNSA_16discard_iteratorINSA_11use_defaultEEESK_EEENSH_IJSG_SG_EEES6_PlJ7is_evenIjEEEE10hipError_tPvRmT3_T4_T5_T6_T7_T9_mT8_P12ihipStream_tbDpT10_ENKUlT_T0_E_clISt17integral_constantIbLb0EES19_EEDaS14_S15_EUlS14_E_NS1_11comp_targetILNS1_3genE5ELNS1_11target_archE942ELNS1_3gpuE9ELNS1_3repE0EEENS1_30default_config_static_selectorELNS0_4arch9wavefront6targetE1EEEvT1_
	.globl	_ZN7rocprim17ROCPRIM_400000_NS6detail17trampoline_kernelINS0_14default_configENS1_25partition_config_selectorILNS1_17partition_subalgoE0EjNS0_10empty_typeEbEEZZNS1_14partition_implILS5_0ELb0ES3_jN6thrust23THRUST_200600_302600_NS6detail15normal_iteratorINSA_10device_ptrIjEEEEPS6_SG_NS0_5tupleIJNSA_16discard_iteratorINSA_11use_defaultEEESK_EEENSH_IJSG_SG_EEES6_PlJ7is_evenIjEEEE10hipError_tPvRmT3_T4_T5_T6_T7_T9_mT8_P12ihipStream_tbDpT10_ENKUlT_T0_E_clISt17integral_constantIbLb0EES19_EEDaS14_S15_EUlS14_E_NS1_11comp_targetILNS1_3genE5ELNS1_11target_archE942ELNS1_3gpuE9ELNS1_3repE0EEENS1_30default_config_static_selectorELNS0_4arch9wavefront6targetE1EEEvT1_
	.p2align	8
	.type	_ZN7rocprim17ROCPRIM_400000_NS6detail17trampoline_kernelINS0_14default_configENS1_25partition_config_selectorILNS1_17partition_subalgoE0EjNS0_10empty_typeEbEEZZNS1_14partition_implILS5_0ELb0ES3_jN6thrust23THRUST_200600_302600_NS6detail15normal_iteratorINSA_10device_ptrIjEEEEPS6_SG_NS0_5tupleIJNSA_16discard_iteratorINSA_11use_defaultEEESK_EEENSH_IJSG_SG_EEES6_PlJ7is_evenIjEEEE10hipError_tPvRmT3_T4_T5_T6_T7_T9_mT8_P12ihipStream_tbDpT10_ENKUlT_T0_E_clISt17integral_constantIbLb0EES19_EEDaS14_S15_EUlS14_E_NS1_11comp_targetILNS1_3genE5ELNS1_11target_archE942ELNS1_3gpuE9ELNS1_3repE0EEENS1_30default_config_static_selectorELNS0_4arch9wavefront6targetE1EEEvT1_,@function
_ZN7rocprim17ROCPRIM_400000_NS6detail17trampoline_kernelINS0_14default_configENS1_25partition_config_selectorILNS1_17partition_subalgoE0EjNS0_10empty_typeEbEEZZNS1_14partition_implILS5_0ELb0ES3_jN6thrust23THRUST_200600_302600_NS6detail15normal_iteratorINSA_10device_ptrIjEEEEPS6_SG_NS0_5tupleIJNSA_16discard_iteratorINSA_11use_defaultEEESK_EEENSH_IJSG_SG_EEES6_PlJ7is_evenIjEEEE10hipError_tPvRmT3_T4_T5_T6_T7_T9_mT8_P12ihipStream_tbDpT10_ENKUlT_T0_E_clISt17integral_constantIbLb0EES19_EEDaS14_S15_EUlS14_E_NS1_11comp_targetILNS1_3genE5ELNS1_11target_archE942ELNS1_3gpuE9ELNS1_3repE0EEENS1_30default_config_static_selectorELNS0_4arch9wavefront6targetE1EEEvT1_: ; @_ZN7rocprim17ROCPRIM_400000_NS6detail17trampoline_kernelINS0_14default_configENS1_25partition_config_selectorILNS1_17partition_subalgoE0EjNS0_10empty_typeEbEEZZNS1_14partition_implILS5_0ELb0ES3_jN6thrust23THRUST_200600_302600_NS6detail15normal_iteratorINSA_10device_ptrIjEEEEPS6_SG_NS0_5tupleIJNSA_16discard_iteratorINSA_11use_defaultEEESK_EEENSH_IJSG_SG_EEES6_PlJ7is_evenIjEEEE10hipError_tPvRmT3_T4_T5_T6_T7_T9_mT8_P12ihipStream_tbDpT10_ENKUlT_T0_E_clISt17integral_constantIbLb0EES19_EEDaS14_S15_EUlS14_E_NS1_11comp_targetILNS1_3genE5ELNS1_11target_archE942ELNS1_3gpuE9ELNS1_3repE0EEENS1_30default_config_static_selectorELNS0_4arch9wavefront6targetE1EEEvT1_
; %bb.0:
	.section	.rodata,"a",@progbits
	.p2align	6, 0x0
	.amdhsa_kernel _ZN7rocprim17ROCPRIM_400000_NS6detail17trampoline_kernelINS0_14default_configENS1_25partition_config_selectorILNS1_17partition_subalgoE0EjNS0_10empty_typeEbEEZZNS1_14partition_implILS5_0ELb0ES3_jN6thrust23THRUST_200600_302600_NS6detail15normal_iteratorINSA_10device_ptrIjEEEEPS6_SG_NS0_5tupleIJNSA_16discard_iteratorINSA_11use_defaultEEESK_EEENSH_IJSG_SG_EEES6_PlJ7is_evenIjEEEE10hipError_tPvRmT3_T4_T5_T6_T7_T9_mT8_P12ihipStream_tbDpT10_ENKUlT_T0_E_clISt17integral_constantIbLb0EES19_EEDaS14_S15_EUlS14_E_NS1_11comp_targetILNS1_3genE5ELNS1_11target_archE942ELNS1_3gpuE9ELNS1_3repE0EEENS1_30default_config_static_selectorELNS0_4arch9wavefront6targetE1EEEvT1_
		.amdhsa_group_segment_fixed_size 0
		.amdhsa_private_segment_fixed_size 0
		.amdhsa_kernarg_size 136
		.amdhsa_user_sgpr_count 6
		.amdhsa_user_sgpr_private_segment_buffer 1
		.amdhsa_user_sgpr_dispatch_ptr 0
		.amdhsa_user_sgpr_queue_ptr 0
		.amdhsa_user_sgpr_kernarg_segment_ptr 1
		.amdhsa_user_sgpr_dispatch_id 0
		.amdhsa_user_sgpr_flat_scratch_init 0
		.amdhsa_user_sgpr_kernarg_preload_length 0
		.amdhsa_user_sgpr_kernarg_preload_offset 0
		.amdhsa_user_sgpr_private_segment_size 0
		.amdhsa_uses_dynamic_stack 0
		.amdhsa_system_sgpr_private_segment_wavefront_offset 0
		.amdhsa_system_sgpr_workgroup_id_x 1
		.amdhsa_system_sgpr_workgroup_id_y 0
		.amdhsa_system_sgpr_workgroup_id_z 0
		.amdhsa_system_sgpr_workgroup_info 0
		.amdhsa_system_vgpr_workitem_id 0
		.amdhsa_next_free_vgpr 1
		.amdhsa_next_free_sgpr 0
		.amdhsa_accum_offset 4
		.amdhsa_reserve_vcc 0
		.amdhsa_reserve_flat_scratch 0
		.amdhsa_float_round_mode_32 0
		.amdhsa_float_round_mode_16_64 0
		.amdhsa_float_denorm_mode_32 3
		.amdhsa_float_denorm_mode_16_64 3
		.amdhsa_dx10_clamp 1
		.amdhsa_ieee_mode 1
		.amdhsa_fp16_overflow 0
		.amdhsa_tg_split 0
		.amdhsa_exception_fp_ieee_invalid_op 0
		.amdhsa_exception_fp_denorm_src 0
		.amdhsa_exception_fp_ieee_div_zero 0
		.amdhsa_exception_fp_ieee_overflow 0
		.amdhsa_exception_fp_ieee_underflow 0
		.amdhsa_exception_fp_ieee_inexact 0
		.amdhsa_exception_int_div_zero 0
	.end_amdhsa_kernel
	.section	.text._ZN7rocprim17ROCPRIM_400000_NS6detail17trampoline_kernelINS0_14default_configENS1_25partition_config_selectorILNS1_17partition_subalgoE0EjNS0_10empty_typeEbEEZZNS1_14partition_implILS5_0ELb0ES3_jN6thrust23THRUST_200600_302600_NS6detail15normal_iteratorINSA_10device_ptrIjEEEEPS6_SG_NS0_5tupleIJNSA_16discard_iteratorINSA_11use_defaultEEESK_EEENSH_IJSG_SG_EEES6_PlJ7is_evenIjEEEE10hipError_tPvRmT3_T4_T5_T6_T7_T9_mT8_P12ihipStream_tbDpT10_ENKUlT_T0_E_clISt17integral_constantIbLb0EES19_EEDaS14_S15_EUlS14_E_NS1_11comp_targetILNS1_3genE5ELNS1_11target_archE942ELNS1_3gpuE9ELNS1_3repE0EEENS1_30default_config_static_selectorELNS0_4arch9wavefront6targetE1EEEvT1_,"axG",@progbits,_ZN7rocprim17ROCPRIM_400000_NS6detail17trampoline_kernelINS0_14default_configENS1_25partition_config_selectorILNS1_17partition_subalgoE0EjNS0_10empty_typeEbEEZZNS1_14partition_implILS5_0ELb0ES3_jN6thrust23THRUST_200600_302600_NS6detail15normal_iteratorINSA_10device_ptrIjEEEEPS6_SG_NS0_5tupleIJNSA_16discard_iteratorINSA_11use_defaultEEESK_EEENSH_IJSG_SG_EEES6_PlJ7is_evenIjEEEE10hipError_tPvRmT3_T4_T5_T6_T7_T9_mT8_P12ihipStream_tbDpT10_ENKUlT_T0_E_clISt17integral_constantIbLb0EES19_EEDaS14_S15_EUlS14_E_NS1_11comp_targetILNS1_3genE5ELNS1_11target_archE942ELNS1_3gpuE9ELNS1_3repE0EEENS1_30default_config_static_selectorELNS0_4arch9wavefront6targetE1EEEvT1_,comdat
.Lfunc_end2396:
	.size	_ZN7rocprim17ROCPRIM_400000_NS6detail17trampoline_kernelINS0_14default_configENS1_25partition_config_selectorILNS1_17partition_subalgoE0EjNS0_10empty_typeEbEEZZNS1_14partition_implILS5_0ELb0ES3_jN6thrust23THRUST_200600_302600_NS6detail15normal_iteratorINSA_10device_ptrIjEEEEPS6_SG_NS0_5tupleIJNSA_16discard_iteratorINSA_11use_defaultEEESK_EEENSH_IJSG_SG_EEES6_PlJ7is_evenIjEEEE10hipError_tPvRmT3_T4_T5_T6_T7_T9_mT8_P12ihipStream_tbDpT10_ENKUlT_T0_E_clISt17integral_constantIbLb0EES19_EEDaS14_S15_EUlS14_E_NS1_11comp_targetILNS1_3genE5ELNS1_11target_archE942ELNS1_3gpuE9ELNS1_3repE0EEENS1_30default_config_static_selectorELNS0_4arch9wavefront6targetE1EEEvT1_, .Lfunc_end2396-_ZN7rocprim17ROCPRIM_400000_NS6detail17trampoline_kernelINS0_14default_configENS1_25partition_config_selectorILNS1_17partition_subalgoE0EjNS0_10empty_typeEbEEZZNS1_14partition_implILS5_0ELb0ES3_jN6thrust23THRUST_200600_302600_NS6detail15normal_iteratorINSA_10device_ptrIjEEEEPS6_SG_NS0_5tupleIJNSA_16discard_iteratorINSA_11use_defaultEEESK_EEENSH_IJSG_SG_EEES6_PlJ7is_evenIjEEEE10hipError_tPvRmT3_T4_T5_T6_T7_T9_mT8_P12ihipStream_tbDpT10_ENKUlT_T0_E_clISt17integral_constantIbLb0EES19_EEDaS14_S15_EUlS14_E_NS1_11comp_targetILNS1_3genE5ELNS1_11target_archE942ELNS1_3gpuE9ELNS1_3repE0EEENS1_30default_config_static_selectorELNS0_4arch9wavefront6targetE1EEEvT1_
                                        ; -- End function
	.section	.AMDGPU.csdata,"",@progbits
; Kernel info:
; codeLenInByte = 0
; NumSgprs: 4
; NumVgprs: 0
; NumAgprs: 0
; TotalNumVgprs: 0
; ScratchSize: 0
; MemoryBound: 0
; FloatMode: 240
; IeeeMode: 1
; LDSByteSize: 0 bytes/workgroup (compile time only)
; SGPRBlocks: 0
; VGPRBlocks: 0
; NumSGPRsForWavesPerEU: 4
; NumVGPRsForWavesPerEU: 1
; AccumOffset: 4
; Occupancy: 8
; WaveLimiterHint : 0
; COMPUTE_PGM_RSRC2:SCRATCH_EN: 0
; COMPUTE_PGM_RSRC2:USER_SGPR: 6
; COMPUTE_PGM_RSRC2:TRAP_HANDLER: 0
; COMPUTE_PGM_RSRC2:TGID_X_EN: 1
; COMPUTE_PGM_RSRC2:TGID_Y_EN: 0
; COMPUTE_PGM_RSRC2:TGID_Z_EN: 0
; COMPUTE_PGM_RSRC2:TIDIG_COMP_CNT: 0
; COMPUTE_PGM_RSRC3_GFX90A:ACCUM_OFFSET: 0
; COMPUTE_PGM_RSRC3_GFX90A:TG_SPLIT: 0
	.section	.text._ZN7rocprim17ROCPRIM_400000_NS6detail17trampoline_kernelINS0_14default_configENS1_25partition_config_selectorILNS1_17partition_subalgoE0EjNS0_10empty_typeEbEEZZNS1_14partition_implILS5_0ELb0ES3_jN6thrust23THRUST_200600_302600_NS6detail15normal_iteratorINSA_10device_ptrIjEEEEPS6_SG_NS0_5tupleIJNSA_16discard_iteratorINSA_11use_defaultEEESK_EEENSH_IJSG_SG_EEES6_PlJ7is_evenIjEEEE10hipError_tPvRmT3_T4_T5_T6_T7_T9_mT8_P12ihipStream_tbDpT10_ENKUlT_T0_E_clISt17integral_constantIbLb0EES19_EEDaS14_S15_EUlS14_E_NS1_11comp_targetILNS1_3genE4ELNS1_11target_archE910ELNS1_3gpuE8ELNS1_3repE0EEENS1_30default_config_static_selectorELNS0_4arch9wavefront6targetE1EEEvT1_,"axG",@progbits,_ZN7rocprim17ROCPRIM_400000_NS6detail17trampoline_kernelINS0_14default_configENS1_25partition_config_selectorILNS1_17partition_subalgoE0EjNS0_10empty_typeEbEEZZNS1_14partition_implILS5_0ELb0ES3_jN6thrust23THRUST_200600_302600_NS6detail15normal_iteratorINSA_10device_ptrIjEEEEPS6_SG_NS0_5tupleIJNSA_16discard_iteratorINSA_11use_defaultEEESK_EEENSH_IJSG_SG_EEES6_PlJ7is_evenIjEEEE10hipError_tPvRmT3_T4_T5_T6_T7_T9_mT8_P12ihipStream_tbDpT10_ENKUlT_T0_E_clISt17integral_constantIbLb0EES19_EEDaS14_S15_EUlS14_E_NS1_11comp_targetILNS1_3genE4ELNS1_11target_archE910ELNS1_3gpuE8ELNS1_3repE0EEENS1_30default_config_static_selectorELNS0_4arch9wavefront6targetE1EEEvT1_,comdat
	.protected	_ZN7rocprim17ROCPRIM_400000_NS6detail17trampoline_kernelINS0_14default_configENS1_25partition_config_selectorILNS1_17partition_subalgoE0EjNS0_10empty_typeEbEEZZNS1_14partition_implILS5_0ELb0ES3_jN6thrust23THRUST_200600_302600_NS6detail15normal_iteratorINSA_10device_ptrIjEEEEPS6_SG_NS0_5tupleIJNSA_16discard_iteratorINSA_11use_defaultEEESK_EEENSH_IJSG_SG_EEES6_PlJ7is_evenIjEEEE10hipError_tPvRmT3_T4_T5_T6_T7_T9_mT8_P12ihipStream_tbDpT10_ENKUlT_T0_E_clISt17integral_constantIbLb0EES19_EEDaS14_S15_EUlS14_E_NS1_11comp_targetILNS1_3genE4ELNS1_11target_archE910ELNS1_3gpuE8ELNS1_3repE0EEENS1_30default_config_static_selectorELNS0_4arch9wavefront6targetE1EEEvT1_ ; -- Begin function _ZN7rocprim17ROCPRIM_400000_NS6detail17trampoline_kernelINS0_14default_configENS1_25partition_config_selectorILNS1_17partition_subalgoE0EjNS0_10empty_typeEbEEZZNS1_14partition_implILS5_0ELb0ES3_jN6thrust23THRUST_200600_302600_NS6detail15normal_iteratorINSA_10device_ptrIjEEEEPS6_SG_NS0_5tupleIJNSA_16discard_iteratorINSA_11use_defaultEEESK_EEENSH_IJSG_SG_EEES6_PlJ7is_evenIjEEEE10hipError_tPvRmT3_T4_T5_T6_T7_T9_mT8_P12ihipStream_tbDpT10_ENKUlT_T0_E_clISt17integral_constantIbLb0EES19_EEDaS14_S15_EUlS14_E_NS1_11comp_targetILNS1_3genE4ELNS1_11target_archE910ELNS1_3gpuE8ELNS1_3repE0EEENS1_30default_config_static_selectorELNS0_4arch9wavefront6targetE1EEEvT1_
	.globl	_ZN7rocprim17ROCPRIM_400000_NS6detail17trampoline_kernelINS0_14default_configENS1_25partition_config_selectorILNS1_17partition_subalgoE0EjNS0_10empty_typeEbEEZZNS1_14partition_implILS5_0ELb0ES3_jN6thrust23THRUST_200600_302600_NS6detail15normal_iteratorINSA_10device_ptrIjEEEEPS6_SG_NS0_5tupleIJNSA_16discard_iteratorINSA_11use_defaultEEESK_EEENSH_IJSG_SG_EEES6_PlJ7is_evenIjEEEE10hipError_tPvRmT3_T4_T5_T6_T7_T9_mT8_P12ihipStream_tbDpT10_ENKUlT_T0_E_clISt17integral_constantIbLb0EES19_EEDaS14_S15_EUlS14_E_NS1_11comp_targetILNS1_3genE4ELNS1_11target_archE910ELNS1_3gpuE8ELNS1_3repE0EEENS1_30default_config_static_selectorELNS0_4arch9wavefront6targetE1EEEvT1_
	.p2align	8
	.type	_ZN7rocprim17ROCPRIM_400000_NS6detail17trampoline_kernelINS0_14default_configENS1_25partition_config_selectorILNS1_17partition_subalgoE0EjNS0_10empty_typeEbEEZZNS1_14partition_implILS5_0ELb0ES3_jN6thrust23THRUST_200600_302600_NS6detail15normal_iteratorINSA_10device_ptrIjEEEEPS6_SG_NS0_5tupleIJNSA_16discard_iteratorINSA_11use_defaultEEESK_EEENSH_IJSG_SG_EEES6_PlJ7is_evenIjEEEE10hipError_tPvRmT3_T4_T5_T6_T7_T9_mT8_P12ihipStream_tbDpT10_ENKUlT_T0_E_clISt17integral_constantIbLb0EES19_EEDaS14_S15_EUlS14_E_NS1_11comp_targetILNS1_3genE4ELNS1_11target_archE910ELNS1_3gpuE8ELNS1_3repE0EEENS1_30default_config_static_selectorELNS0_4arch9wavefront6targetE1EEEvT1_,@function
_ZN7rocprim17ROCPRIM_400000_NS6detail17trampoline_kernelINS0_14default_configENS1_25partition_config_selectorILNS1_17partition_subalgoE0EjNS0_10empty_typeEbEEZZNS1_14partition_implILS5_0ELb0ES3_jN6thrust23THRUST_200600_302600_NS6detail15normal_iteratorINSA_10device_ptrIjEEEEPS6_SG_NS0_5tupleIJNSA_16discard_iteratorINSA_11use_defaultEEESK_EEENSH_IJSG_SG_EEES6_PlJ7is_evenIjEEEE10hipError_tPvRmT3_T4_T5_T6_T7_T9_mT8_P12ihipStream_tbDpT10_ENKUlT_T0_E_clISt17integral_constantIbLb0EES19_EEDaS14_S15_EUlS14_E_NS1_11comp_targetILNS1_3genE4ELNS1_11target_archE910ELNS1_3gpuE8ELNS1_3repE0EEENS1_30default_config_static_selectorELNS0_4arch9wavefront6targetE1EEEvT1_: ; @_ZN7rocprim17ROCPRIM_400000_NS6detail17trampoline_kernelINS0_14default_configENS1_25partition_config_selectorILNS1_17partition_subalgoE0EjNS0_10empty_typeEbEEZZNS1_14partition_implILS5_0ELb0ES3_jN6thrust23THRUST_200600_302600_NS6detail15normal_iteratorINSA_10device_ptrIjEEEEPS6_SG_NS0_5tupleIJNSA_16discard_iteratorINSA_11use_defaultEEESK_EEENSH_IJSG_SG_EEES6_PlJ7is_evenIjEEEE10hipError_tPvRmT3_T4_T5_T6_T7_T9_mT8_P12ihipStream_tbDpT10_ENKUlT_T0_E_clISt17integral_constantIbLb0EES19_EEDaS14_S15_EUlS14_E_NS1_11comp_targetILNS1_3genE4ELNS1_11target_archE910ELNS1_3gpuE8ELNS1_3repE0EEENS1_30default_config_static_selectorELNS0_4arch9wavefront6targetE1EEEvT1_
; %bb.0:
	s_load_dwordx2 s[8:9], s[4:5], 0x68
	s_load_dwordx4 s[0:3], s[4:5], 0x8
	s_load_dwordx4 s[20:23], s[4:5], 0x58
	s_load_dword s7, s[4:5], 0x80
	s_waitcnt lgkmcnt(0)
	v_mov_b32_e32 v3, s9
	s_lshl_b64 s[10:11], s[2:3], 2
	s_add_u32 s9, s0, s10
	s_mul_i32 s0, s7, 0xa00
	s_addc_u32 s12, s1, s11
	s_add_i32 s1, s0, s2
	s_add_i32 s13, s7, -1
	s_sub_i32 s7, s8, s1
	s_add_u32 s0, s2, s0
	s_addc_u32 s1, s3, 0
	s_cmp_eq_u32 s6, s13
	v_mov_b32_e32 v2, s8
	s_load_dwordx2 s[18:19], s[22:23], 0x0
	s_cselect_b64 s[22:23], -1, 0
	s_cmp_lg_u32 s6, s13
	s_mul_i32 s10, s6, 0xa00
	s_mov_b32 s11, 0
	v_cmp_lt_u64_e32 vcc, s[0:1], v[2:3]
	s_cselect_b64 s[0:1], -1, 0
	s_or_b64 s[0:1], s[0:1], vcc
	s_lshl_b64 s[2:3], s[10:11], 2
	s_add_u32 s8, s9, s2
	s_addc_u32 s9, s12, s3
	s_mov_b64 s[2:3], -1
	s_and_b64 vcc, exec, s[0:1]
	s_cbranch_vccz .LBB2397_2
; %bb.1:
	v_lshlrev_b32_e32 v1, 2, v0
	v_mov_b32_e32 v3, s9
	v_add_co_u32_e32 v2, vcc, s8, v1
	v_addc_co_u32_e32 v3, vcc, 0, v3, vcc
	v_add_co_u32_e32 v4, vcc, 0x1000, v2
	v_addc_co_u32_e32 v5, vcc, 0, v3, vcc
	flat_load_dword v6, v[2:3]
	flat_load_dword v7, v[2:3] offset:1024
	flat_load_dword v8, v[2:3] offset:2048
	;; [unrolled: 1-line block ×3, first 2 shown]
	flat_load_dword v10, v[4:5]
	flat_load_dword v11, v[4:5] offset:1024
	flat_load_dword v12, v[4:5] offset:2048
	;; [unrolled: 1-line block ×3, first 2 shown]
	v_add_co_u32_e32 v2, vcc, 0x2000, v2
	v_addc_co_u32_e32 v3, vcc, 0, v3, vcc
	flat_load_dword v4, v[2:3]
	flat_load_dword v5, v[2:3] offset:1024
	s_mov_b64 s[2:3], 0
	s_waitcnt vmcnt(0) lgkmcnt(0)
	ds_write2st64_b32 v1, v6, v7 offset1:4
	ds_write2st64_b32 v1, v8, v9 offset0:8 offset1:12
	ds_write2st64_b32 v1, v10, v11 offset0:16 offset1:20
	;; [unrolled: 1-line block ×4, first 2 shown]
	s_waitcnt lgkmcnt(0)
	s_barrier
.LBB2397_2:
	s_andn2_b64 vcc, exec, s[2:3]
	s_addk_i32 s7, 0xa00
	s_cbranch_vccnz .LBB2397_24
; %bb.3:
	v_cmp_gt_u32_e32 vcc, s7, v0
                                        ; implicit-def: $vgpr2_vgpr3_vgpr4_vgpr5_vgpr6_vgpr7_vgpr8_vgpr9_vgpr10_vgpr11
	s_and_saveexec_b64 s[2:3], vcc
	s_cbranch_execz .LBB2397_5
; %bb.4:
	v_lshlrev_b32_e32 v1, 2, v0
	v_mov_b32_e32 v3, s9
	v_add_co_u32_e32 v2, vcc, s8, v1
	v_addc_co_u32_e32 v3, vcc, 0, v3, vcc
	flat_load_dword v2, v[2:3]
.LBB2397_5:
	s_or_b64 exec, exec, s[2:3]
	v_or_b32_e32 v1, 0x100, v0
	v_cmp_gt_u32_e32 vcc, s7, v1
	s_and_saveexec_b64 s[2:3], vcc
	s_cbranch_execz .LBB2397_7
; %bb.6:
	v_lshlrev_b32_e32 v1, 2, v0
	v_mov_b32_e32 v3, s9
	v_add_co_u32_e32 v12, vcc, s8, v1
	v_addc_co_u32_e32 v13, vcc, 0, v3, vcc
	flat_load_dword v3, v[12:13] offset:1024
.LBB2397_7:
	s_or_b64 exec, exec, s[2:3]
	v_or_b32_e32 v1, 0x200, v0
	v_cmp_gt_u32_e32 vcc, s7, v1
	s_and_saveexec_b64 s[2:3], vcc
	s_cbranch_execz .LBB2397_9
; %bb.8:
	v_lshlrev_b32_e32 v1, 2, v0
	v_mov_b32_e32 v4, s9
	v_add_co_u32_e32 v12, vcc, s8, v1
	v_addc_co_u32_e32 v13, vcc, 0, v4, vcc
	flat_load_dword v4, v[12:13] offset:2048
.LBB2397_9:
	;; [unrolled: 12-line block ×3, first 2 shown]
	s_or_b64 exec, exec, s[2:3]
	v_or_b32_e32 v1, 0x400, v0
	v_cmp_gt_u32_e32 vcc, s7, v1
	s_and_saveexec_b64 s[2:3], vcc
	s_cbranch_execz .LBB2397_13
; %bb.12:
	v_lshlrev_b32_e32 v1, 2, v1
	v_mov_b32_e32 v6, s9
	v_add_co_u32_e32 v12, vcc, s8, v1
	v_addc_co_u32_e32 v13, vcc, 0, v6, vcc
	flat_load_dword v6, v[12:13]
.LBB2397_13:
	s_or_b64 exec, exec, s[2:3]
	v_or_b32_e32 v1, 0x500, v0
	v_cmp_gt_u32_e32 vcc, s7, v1
	s_and_saveexec_b64 s[2:3], vcc
	s_cbranch_execz .LBB2397_15
; %bb.14:
	v_lshlrev_b32_e32 v1, 2, v1
	v_mov_b32_e32 v7, s9
	v_add_co_u32_e32 v12, vcc, s8, v1
	v_addc_co_u32_e32 v13, vcc, 0, v7, vcc
	flat_load_dword v7, v[12:13]
.LBB2397_15:
	;; [unrolled: 12-line block ×6, first 2 shown]
	s_or_b64 exec, exec, s[2:3]
	v_lshlrev_b32_e32 v1, 2, v0
	s_waitcnt vmcnt(0) lgkmcnt(0)
	ds_write2st64_b32 v1, v2, v3 offset1:4
	ds_write2st64_b32 v1, v4, v5 offset0:8 offset1:12
	ds_write2st64_b32 v1, v6, v7 offset0:16 offset1:20
	;; [unrolled: 1-line block ×4, first 2 shown]
	s_waitcnt lgkmcnt(0)
	s_barrier
.LBB2397_24:
	v_mul_u32_u24_e32 v22, 10, v0
	v_lshlrev_b32_e32 v28, 2, v22
	s_waitcnt lgkmcnt(0)
	ds_read2_b64 v[6:9], v28 offset1:1
	ds_read2_b64 v[2:5], v28 offset0:2 offset1:3
	ds_read_b64 v[10:11], v28 offset:32
	s_andn2_b64 vcc, exec, s[0:1]
	s_waitcnt lgkmcnt(0)
	v_xor_b32_e32 v21, -1, v6
	v_xor_b32_e32 v20, -1, v7
	;; [unrolled: 1-line block ×10, first 2 shown]
	s_barrier
	s_cbranch_vccnz .LBB2397_26
; %bb.25:
	v_mov_b32_e32 v1, 1
	v_and_b32_e32 v24, 1, v21
	v_and_b32_sdwa v25, v20, v1 dst_sel:BYTE_1 dst_unused:UNUSED_PAD src0_sel:DWORD src1_sel:DWORD
	v_and_b32_e32 v26, 1, v19
	v_and_b32_sdwa v27, v18, v1 dst_sel:BYTE_1 dst_unused:UNUSED_PAD src0_sel:DWORD src1_sel:DWORD
	;; [unrolled: 2-line block ×4, first 2 shown]
	v_or_b32_e32 v24, v24, v25
	v_or_b32_sdwa v25, v26, v27 dst_sel:WORD_1 dst_unused:UNUSED_PAD src0_sel:DWORD src1_sel:DWORD
	v_or_b32_sdwa v25, v24, v25 dst_sel:DWORD dst_unused:UNUSED_PAD src0_sel:WORD_0 src1_sel:DWORD
	v_or_b32_e32 v24, v29, v30
	v_or_b32_sdwa v26, v31, v32 dst_sel:WORD_1 dst_unused:UNUSED_PAD src0_sel:DWORD src1_sel:DWORD
	v_and_b32_e32 v23, 1, v13
	v_and_b32_e32 v1, 1, v12
	v_or_b32_sdwa v24, v24, v26 dst_sel:DWORD dst_unused:UNUSED_PAD src0_sel:WORD_0 src1_sel:DWORD
	s_load_dwordx2 s[24:25], s[4:5], 0x78
	s_cbranch_execz .LBB2397_27
	s_branch .LBB2397_28
.LBB2397_26:
                                        ; implicit-def: $vgpr1
                                        ; implicit-def: $vgpr23
                                        ; implicit-def: $vgpr24
                                        ; implicit-def: $vgpr25
	s_load_dwordx2 s[24:25], s[4:5], 0x78
.LBB2397_27:
	v_or_b32_e32 v31, 1, v22
	v_cmp_gt_u32_e32 vcc, s7, v22
	v_add_u32_e32 v1, 2, v22
	v_cndmask_b32_e64 v32, 0, 1, vcc
	v_cmp_gt_u32_e32 vcc, s7, v31
	v_add_u32_e32 v30, 3, v22
	v_cndmask_b32_e64 v31, 0, 1, vcc
	;; [unrolled: 3-line block ×3, first 2 shown]
	v_cmp_gt_u32_e32 vcc, s7, v30
	v_add_u32_e32 v29, 5, v22
	v_and_b32_e32 v19, v1, v19
	v_cndmask_b32_e64 v1, 0, 1, vcc
	v_cmp_gt_u32_e32 vcc, s7, v23
	v_add_u32_e32 v24, 6, v22
	v_and_b32_sdwa v18, v1, v18 dst_sel:BYTE_1 dst_unused:UNUSED_PAD src0_sel:DWORD src1_sel:DWORD
	v_cndmask_b32_e64 v1, 0, 1, vcc
	v_cmp_gt_u32_e32 vcc, s7, v29
	v_add_u32_e32 v27, 7, v22
	v_and_b32_e32 v17, v1, v17
	v_cndmask_b32_e64 v1, 0, 1, vcc
	v_cmp_gt_u32_e32 vcc, s7, v24
	v_add_u32_e32 v25, 8, v22
	v_and_b32_sdwa v16, v1, v16 dst_sel:BYTE_1 dst_unused:UNUSED_PAD src0_sel:DWORD src1_sel:DWORD
	v_cndmask_b32_e64 v1, 0, 1, vcc
	v_cmp_gt_u32_e32 vcc, s7, v27
	v_add_u32_e32 v26, 9, v22
	v_and_b32_e32 v15, v1, v15
	v_cndmask_b32_e64 v1, 0, 1, vcc
	v_cmp_gt_u32_e32 vcc, s7, v25
	v_and_b32_sdwa v14, v1, v14 dst_sel:BYTE_1 dst_unused:UNUSED_PAD src0_sel:DWORD src1_sel:DWORD
	v_cndmask_b32_e64 v1, 0, 1, vcc
	v_cmp_gt_u32_e32 vcc, s7, v26
	v_and_b32_e32 v21, v32, v21
	v_and_b32_sdwa v20, v31, v20 dst_sel:BYTE_1 dst_unused:UNUSED_PAD src0_sel:DWORD src1_sel:DWORD
	v_and_b32_e32 v23, v1, v13
	v_cndmask_b32_e64 v1, 0, 1, vcc
	v_and_b32_e32 v1, v1, v12
	v_or_b32_e32 v12, v21, v20
	v_or_b32_sdwa v13, v19, v18 dst_sel:WORD_1 dst_unused:UNUSED_PAD src0_sel:DWORD src1_sel:DWORD
	v_or_b32_sdwa v25, v12, v13 dst_sel:DWORD dst_unused:UNUSED_PAD src0_sel:WORD_0 src1_sel:DWORD
	v_or_b32_e32 v12, v17, v16
	v_or_b32_sdwa v13, v15, v14 dst_sel:WORD_1 dst_unused:UNUSED_PAD src0_sel:DWORD src1_sel:DWORD
	v_or_b32_sdwa v24, v12, v13 dst_sel:DWORD dst_unused:UNUSED_PAD src0_sel:WORD_0 src1_sel:DWORD
.LBB2397_28:
	v_bfe_u32 v29, v25, 16, 8
	v_lshrrev_b32_e32 v27, 24, v25
	v_add_u32_sdwa v13, v25, v25 dst_sel:DWORD dst_unused:UNUSED_PAD src0_sel:BYTE_1 src1_sel:BYTE_0
	v_and_b32_e32 v30, 0xff, v24
	v_bfe_u32 v31, v24, 8, 8
	v_add3_u32 v13, v13, v29, v27
	v_bfe_u32 v32, v24, 16, 8
	v_lshrrev_b32_e32 v26, 24, v24
	v_add3_u32 v13, v13, v30, v31
	v_and_b32_e32 v33, 0xff, v23
	v_and_b32_e32 v12, 0xff, v1
	v_add3_u32 v13, v13, v32, v26
	v_add3_u32 v36, v13, v33, v12
	v_mbcnt_lo_u32_b32 v12, -1, 0
	v_mbcnt_hi_u32_b32 v34, -1, v12
	v_and_b32_e32 v12, 15, v34
	v_cmp_eq_u32_e64 s[12:13], 0, v12
	v_cmp_lt_u32_e64 s[10:11], 1, v12
	v_cmp_lt_u32_e64 s[8:9], 3, v12
	v_cmp_lt_u32_e64 s[16:17], 7, v12
	v_and_b32_e32 v12, 16, v34
	v_cmp_eq_u32_e64 s[4:5], 0, v12
	v_or_b32_e32 v12, 63, v0
	s_cmp_lg_u32 s6, 0
	v_cmp_lt_u32_e64 s[0:1], 31, v34
	v_lshrrev_b32_e32 v35, 6, v0
	v_cmp_eq_u32_e64 s[2:3], v12, v0
	s_cbranch_scc0 .LBB2397_55
; %bb.29:
	v_mov_b32_dpp v12, v36 row_shr:1 row_mask:0xf bank_mask:0xf
	v_cndmask_b32_e64 v12, v12, 0, s[12:13]
	v_add_u32_e32 v12, v12, v36
	s_nop 1
	v_mov_b32_dpp v13, v12 row_shr:2 row_mask:0xf bank_mask:0xf
	v_cndmask_b32_e64 v13, 0, v13, s[10:11]
	v_add_u32_e32 v12, v12, v13
	s_nop 1
	;; [unrolled: 4-line block ×4, first 2 shown]
	v_mov_b32_dpp v13, v12 row_bcast:15 row_mask:0xf bank_mask:0xf
	v_cndmask_b32_e64 v13, v13, 0, s[4:5]
	v_add_u32_e32 v12, v12, v13
	s_nop 1
	v_mov_b32_dpp v13, v12 row_bcast:31 row_mask:0xf bank_mask:0xf
	v_cndmask_b32_e64 v13, 0, v13, s[0:1]
	v_add_u32_e32 v12, v12, v13
	s_and_saveexec_b64 s[14:15], s[2:3]
	s_cbranch_execz .LBB2397_31
; %bb.30:
	v_lshlrev_b32_e32 v13, 2, v35
	ds_write_b32 v13, v12
.LBB2397_31:
	s_or_b64 exec, exec, s[14:15]
	v_cmp_gt_u32_e32 vcc, 4, v0
	s_waitcnt lgkmcnt(0)
	s_barrier
	s_and_saveexec_b64 s[14:15], vcc
	s_cbranch_execz .LBB2397_33
; %bb.32:
	v_lshlrev_b32_e32 v13, 2, v0
	ds_read_b32 v14, v13
	v_and_b32_e32 v15, 3, v34
	v_cmp_ne_u32_e32 vcc, 0, v15
	s_waitcnt lgkmcnt(0)
	v_mov_b32_dpp v16, v14 row_shr:1 row_mask:0xf bank_mask:0xf
	v_cndmask_b32_e32 v16, 0, v16, vcc
	v_add_u32_e32 v14, v16, v14
	v_cmp_lt_u32_e32 vcc, 1, v15
	s_nop 0
	v_mov_b32_dpp v16, v14 row_shr:2 row_mask:0xf bank_mask:0xf
	v_cndmask_b32_e32 v15, 0, v16, vcc
	v_add_u32_e32 v14, v14, v15
	ds_write_b32 v13, v14
.LBB2397_33:
	s_or_b64 exec, exec, s[14:15]
	v_cmp_gt_u32_e32 vcc, 64, v0
	v_cmp_lt_u32_e64 s[14:15], 63, v0
	s_waitcnt lgkmcnt(0)
	s_barrier
	s_waitcnt lgkmcnt(0)
                                        ; implicit-def: $vgpr37
	s_and_saveexec_b64 s[26:27], s[14:15]
	s_cbranch_execz .LBB2397_35
; %bb.34:
	v_lshl_add_u32 v13, v35, 2, -4
	ds_read_b32 v37, v13
	s_waitcnt lgkmcnt(0)
	v_add_u32_e32 v12, v37, v12
.LBB2397_35:
	s_or_b64 exec, exec, s[26:27]
	v_add_u32_e32 v13, -1, v34
	v_and_b32_e32 v14, 64, v34
	v_cmp_lt_i32_e64 s[14:15], v13, v14
	v_cndmask_b32_e64 v13, v13, v34, s[14:15]
	v_lshlrev_b32_e32 v13, 2, v13
	ds_bpermute_b32 v38, v13, v12
	v_cmp_eq_u32_e64 s[14:15], 0, v34
	s_and_saveexec_b64 s[26:27], vcc
	s_cbranch_execz .LBB2397_54
; %bb.36:
	v_mov_b32_e32 v19, 0
	ds_read_b32 v12, v19 offset:12
	s_and_saveexec_b64 s[28:29], s[14:15]
	s_cbranch_execz .LBB2397_38
; %bb.37:
	s_add_i32 s30, s6, 64
	s_mov_b32 s31, 0
	s_lshl_b64 s[30:31], s[30:31], 3
	s_add_u32 s30, s24, s30
	v_mov_b32_e32 v13, 1
	s_addc_u32 s31, s25, s31
	s_waitcnt lgkmcnt(0)
	global_store_dwordx2 v19, v[12:13], s[30:31]
.LBB2397_38:
	s_or_b64 exec, exec, s[28:29]
	v_xad_u32 v14, v34, -1, s6
	v_add_u32_e32 v18, 64, v14
	v_lshlrev_b64 v[16:17], 3, v[18:19]
	v_mov_b32_e32 v13, s25
	v_add_co_u32_e32 v20, vcc, s24, v16
	v_addc_co_u32_e32 v21, vcc, v13, v17, vcc
	global_load_dwordx2 v[16:17], v[20:21], off glc
	s_waitcnt vmcnt(0)
	v_cmp_eq_u16_sdwa s[30:31], v17, v19 src0_sel:BYTE_0 src1_sel:DWORD
	s_and_saveexec_b64 s[28:29], s[30:31]
	s_cbranch_execz .LBB2397_42
; %bb.39:
	s_mov_b64 s[30:31], 0
	v_mov_b32_e32 v13, 0
.LBB2397_40:                            ; =>This Inner Loop Header: Depth=1
	global_load_dwordx2 v[16:17], v[20:21], off glc
	s_waitcnt vmcnt(0)
	v_cmp_ne_u16_sdwa s[34:35], v17, v13 src0_sel:BYTE_0 src1_sel:DWORD
	s_or_b64 s[30:31], s[34:35], s[30:31]
	s_andn2_b64 exec, exec, s[30:31]
	s_cbranch_execnz .LBB2397_40
; %bb.41:
	s_or_b64 exec, exec, s[30:31]
.LBB2397_42:
	s_or_b64 exec, exec, s[28:29]
	v_and_b32_e32 v40, 63, v34
	v_mov_b32_e32 v39, 2
	v_cmp_ne_u32_e32 vcc, 63, v40
	v_cmp_eq_u16_sdwa s[28:29], v17, v39 src0_sel:BYTE_0 src1_sel:DWORD
	v_lshlrev_b64 v[18:19], v34, -1
	v_addc_co_u32_e32 v20, vcc, 0, v34, vcc
	v_and_b32_e32 v13, s29, v19
	v_lshlrev_b32_e32 v41, 2, v20
	v_or_b32_e32 v13, 0x80000000, v13
	ds_bpermute_b32 v20, v41, v16
	v_and_b32_e32 v15, s28, v18
	v_ffbl_b32_e32 v13, v13
	v_add_u32_e32 v13, 32, v13
	v_ffbl_b32_e32 v15, v15
	v_min_u32_e32 v13, v15, v13
	v_cmp_lt_u32_e32 vcc, v40, v13
	s_waitcnt lgkmcnt(0)
	v_cndmask_b32_e32 v15, 0, v20, vcc
	v_cmp_gt_u32_e32 vcc, 62, v40
	v_add_u32_e32 v15, v15, v16
	v_cndmask_b32_e64 v16, 0, 1, vcc
	v_lshlrev_b32_e32 v16, 1, v16
	v_add_lshl_u32 v42, v16, v34, 2
	ds_bpermute_b32 v16, v42, v15
	v_add_u32_e32 v43, 2, v40
	v_cmp_le_u32_e32 vcc, v43, v13
	v_add_u32_e32 v45, 4, v40
	v_add_u32_e32 v47, 8, v40
	s_waitcnt lgkmcnt(0)
	v_cndmask_b32_e32 v16, 0, v16, vcc
	v_cmp_gt_u32_e32 vcc, 60, v40
	v_add_u32_e32 v15, v15, v16
	v_cndmask_b32_e64 v16, 0, 1, vcc
	v_lshlrev_b32_e32 v16, 2, v16
	v_add_lshl_u32 v44, v16, v34, 2
	ds_bpermute_b32 v16, v44, v15
	v_cmp_le_u32_e32 vcc, v45, v13
	v_add_u32_e32 v49, 16, v40
	v_add_u32_e32 v51, 32, v40
	s_waitcnt lgkmcnt(0)
	v_cndmask_b32_e32 v16, 0, v16, vcc
	v_cmp_gt_u32_e32 vcc, 56, v40
	v_add_u32_e32 v15, v15, v16
	v_cndmask_b32_e64 v16, 0, 1, vcc
	v_lshlrev_b32_e32 v16, 3, v16
	v_add_lshl_u32 v46, v16, v34, 2
	ds_bpermute_b32 v16, v46, v15
	v_cmp_le_u32_e32 vcc, v47, v13
	s_waitcnt lgkmcnt(0)
	v_cndmask_b32_e32 v16, 0, v16, vcc
	v_cmp_gt_u32_e32 vcc, 48, v40
	v_add_u32_e32 v15, v15, v16
	v_cndmask_b32_e64 v16, 0, 1, vcc
	v_lshlrev_b32_e32 v16, 4, v16
	v_add_lshl_u32 v48, v16, v34, 2
	ds_bpermute_b32 v16, v48, v15
	v_cmp_le_u32_e32 vcc, v49, v13
	;; [unrolled: 9-line block ×3, first 2 shown]
	s_waitcnt lgkmcnt(0)
	v_cndmask_b32_e32 v13, 0, v16, vcc
	v_add_u32_e32 v16, v15, v13
	v_mov_b32_e32 v15, 0
	s_branch .LBB2397_44
.LBB2397_43:                            ;   in Loop: Header=BB2397_44 Depth=1
	s_or_b64 exec, exec, s[28:29]
	v_cmp_eq_u16_sdwa s[28:29], v17, v39 src0_sel:BYTE_0 src1_sel:DWORD
	v_and_b32_e32 v20, s29, v19
	v_or_b32_e32 v20, 0x80000000, v20
	ds_bpermute_b32 v52, v41, v16
	v_and_b32_e32 v21, s28, v18
	v_ffbl_b32_e32 v20, v20
	v_add_u32_e32 v20, 32, v20
	v_ffbl_b32_e32 v21, v21
	v_min_u32_e32 v20, v21, v20
	v_cmp_lt_u32_e32 vcc, v40, v20
	s_waitcnt lgkmcnt(0)
	v_cndmask_b32_e32 v21, 0, v52, vcc
	v_add_u32_e32 v16, v21, v16
	ds_bpermute_b32 v21, v42, v16
	v_cmp_le_u32_e32 vcc, v43, v20
	v_subrev_u32_e32 v14, 64, v14
	s_waitcnt lgkmcnt(0)
	v_cndmask_b32_e32 v21, 0, v21, vcc
	v_add_u32_e32 v16, v16, v21
	ds_bpermute_b32 v21, v44, v16
	v_cmp_le_u32_e32 vcc, v45, v20
	s_waitcnt lgkmcnt(0)
	v_cndmask_b32_e32 v21, 0, v21, vcc
	v_add_u32_e32 v16, v16, v21
	ds_bpermute_b32 v21, v46, v16
	v_cmp_le_u32_e32 vcc, v47, v20
	;; [unrolled: 5-line block ×4, first 2 shown]
	s_waitcnt lgkmcnt(0)
	v_cndmask_b32_e32 v20, 0, v21, vcc
	v_add3_u32 v16, v20, v13, v16
.LBB2397_44:                            ; =>This Loop Header: Depth=1
                                        ;     Child Loop BB2397_47 Depth 2
	v_cmp_ne_u16_sdwa s[28:29], v17, v39 src0_sel:BYTE_0 src1_sel:DWORD
	v_cndmask_b32_e64 v13, 0, 1, s[28:29]
	;;#ASMSTART
	;;#ASMEND
	v_cmp_ne_u32_e32 vcc, 0, v13
	s_cmp_lg_u64 vcc, exec
	v_mov_b32_e32 v13, v16
	s_cbranch_scc1 .LBB2397_49
; %bb.45:                               ;   in Loop: Header=BB2397_44 Depth=1
	v_lshlrev_b64 v[16:17], 3, v[14:15]
	v_mov_b32_e32 v21, s25
	v_add_co_u32_e32 v20, vcc, s24, v16
	v_addc_co_u32_e32 v21, vcc, v21, v17, vcc
	global_load_dwordx2 v[16:17], v[20:21], off glc
	s_waitcnt vmcnt(0)
	v_cmp_eq_u16_sdwa s[30:31], v17, v15 src0_sel:BYTE_0 src1_sel:DWORD
	s_and_saveexec_b64 s[28:29], s[30:31]
	s_cbranch_execz .LBB2397_43
; %bb.46:                               ;   in Loop: Header=BB2397_44 Depth=1
	s_mov_b64 s[30:31], 0
.LBB2397_47:                            ;   Parent Loop BB2397_44 Depth=1
                                        ; =>  This Inner Loop Header: Depth=2
	global_load_dwordx2 v[16:17], v[20:21], off glc
	s_waitcnt vmcnt(0)
	v_cmp_ne_u16_sdwa s[34:35], v17, v15 src0_sel:BYTE_0 src1_sel:DWORD
	s_or_b64 s[30:31], s[34:35], s[30:31]
	s_andn2_b64 exec, exec, s[30:31]
	s_cbranch_execnz .LBB2397_47
; %bb.48:                               ;   in Loop: Header=BB2397_44 Depth=1
	s_or_b64 exec, exec, s[30:31]
	s_branch .LBB2397_43
.LBB2397_49:                            ;   in Loop: Header=BB2397_44 Depth=1
                                        ; implicit-def: $vgpr16
                                        ; implicit-def: $vgpr17
	s_cbranch_execz .LBB2397_44
; %bb.50:
	s_and_saveexec_b64 s[28:29], s[14:15]
	s_cbranch_execz .LBB2397_52
; %bb.51:
	s_add_i32 s6, s6, 64
	s_mov_b32 s7, 0
	s_lshl_b64 s[6:7], s[6:7], 3
	s_add_u32 s6, s24, s6
	v_add_u32_e32 v14, v13, v12
	v_mov_b32_e32 v15, 2
	s_addc_u32 s7, s25, s7
	v_mov_b32_e32 v16, 0
	global_store_dwordx2 v16, v[14:15], s[6:7]
	ds_write_b64 v16, v[12:13] offset:10240
.LBB2397_52:
	s_or_b64 exec, exec, s[28:29]
	v_cmp_eq_u32_e32 vcc, 0, v0
	s_and_b64 exec, exec, vcc
	s_cbranch_execz .LBB2397_54
; %bb.53:
	v_mov_b32_e32 v12, 0
	ds_write_b32 v12, v13 offset:12
.LBB2397_54:
	s_or_b64 exec, exec, s[26:27]
	v_mov_b32_e32 v12, 0
	s_waitcnt lgkmcnt(0)
	s_barrier
	ds_read_b32 v13, v12 offset:12
	v_cndmask_b32_e64 v14, v38, v37, s[14:15]
	v_cmp_ne_u32_e32 vcc, 0, v0
	v_cndmask_b32_e32 v14, 0, v14, vcc
	s_waitcnt lgkmcnt(0)
	v_add_u32_e32 v38, v13, v14
	v_add_u32_sdwa v37, v38, v25 dst_sel:DWORD dst_unused:UNUSED_PAD src0_sel:DWORD src1_sel:BYTE_0
	v_add_u32_sdwa v21, v37, v25 dst_sel:DWORD dst_unused:UNUSED_PAD src0_sel:DWORD src1_sel:BYTE_1
	v_add_u32_e32 v20, v21, v29
	v_add_u32_e32 v19, v20, v27
	v_add_u32_e32 v18, v19, v30
	s_barrier
	ds_read_b64 v[12:13], v12 offset:10240
	v_add_u32_e32 v17, v18, v31
	v_add_u32_e32 v16, v17, v32
	;; [unrolled: 1-line block ×4, first 2 shown]
	s_branch .LBB2397_65
.LBB2397_55:
                                        ; implicit-def: $vgpr13
                                        ; implicit-def: $vgpr14
                                        ; implicit-def: $vgpr15
                                        ; implicit-def: $vgpr16
                                        ; implicit-def: $vgpr17
                                        ; implicit-def: $vgpr18
                                        ; implicit-def: $vgpr19
                                        ; implicit-def: $vgpr20
                                        ; implicit-def: $vgpr21
                                        ; implicit-def: $vgpr37
                                        ; implicit-def: $vgpr38
	s_cbranch_execz .LBB2397_65
; %bb.56:
	s_waitcnt lgkmcnt(0)
	v_mov_b32_dpp v12, v36 row_shr:1 row_mask:0xf bank_mask:0xf
	v_cndmask_b32_e64 v12, v12, 0, s[12:13]
	v_add_u32_e32 v12, v12, v36
	s_nop 1
	v_mov_b32_dpp v13, v12 row_shr:2 row_mask:0xf bank_mask:0xf
	v_cndmask_b32_e64 v13, 0, v13, s[10:11]
	v_add_u32_e32 v12, v12, v13
	s_nop 1
	;; [unrolled: 4-line block ×4, first 2 shown]
	v_mov_b32_dpp v13, v12 row_bcast:15 row_mask:0xf bank_mask:0xf
	v_cndmask_b32_e64 v13, v13, 0, s[4:5]
	v_add_u32_e32 v12, v12, v13
	s_nop 1
	v_mov_b32_dpp v13, v12 row_bcast:31 row_mask:0xf bank_mask:0xf
	v_cndmask_b32_e64 v13, 0, v13, s[0:1]
	v_add_u32_e32 v12, v12, v13
	s_and_saveexec_b64 s[0:1], s[2:3]
	s_cbranch_execz .LBB2397_58
; %bb.57:
	v_lshlrev_b32_e32 v13, 2, v35
	ds_write_b32 v13, v12
.LBB2397_58:
	s_or_b64 exec, exec, s[0:1]
	v_cmp_gt_u32_e32 vcc, 4, v0
	s_waitcnt lgkmcnt(0)
	s_barrier
	s_and_saveexec_b64 s[0:1], vcc
	s_cbranch_execz .LBB2397_60
; %bb.59:
	s_movk_i32 s2, 0xffdc
	v_mad_i32_i24 v13, v0, s2, v28
	ds_read_b32 v14, v13
	v_and_b32_e32 v15, 3, v34
	v_cmp_ne_u32_e32 vcc, 0, v15
	s_waitcnt lgkmcnt(0)
	v_mov_b32_dpp v16, v14 row_shr:1 row_mask:0xf bank_mask:0xf
	v_cndmask_b32_e32 v16, 0, v16, vcc
	v_add_u32_e32 v14, v16, v14
	v_cmp_lt_u32_e32 vcc, 1, v15
	s_nop 0
	v_mov_b32_dpp v16, v14 row_shr:2 row_mask:0xf bank_mask:0xf
	v_cndmask_b32_e32 v15, 0, v16, vcc
	v_add_u32_e32 v14, v14, v15
	ds_write_b32 v13, v14
.LBB2397_60:
	s_or_b64 exec, exec, s[0:1]
	v_cmp_lt_u32_e32 vcc, 63, v0
	v_mov_b32_e32 v13, 0
	v_mov_b32_e32 v14, 0
	s_waitcnt lgkmcnt(0)
	s_barrier
	s_and_saveexec_b64 s[0:1], vcc
	s_cbranch_execz .LBB2397_62
; %bb.61:
	v_lshl_add_u32 v14, v35, 2, -4
	ds_read_b32 v14, v14
.LBB2397_62:
	s_or_b64 exec, exec, s[0:1]
	v_add_u32_e32 v15, -1, v34
	v_and_b32_e32 v16, 64, v34
	v_cmp_lt_i32_e32 vcc, v15, v16
	v_cndmask_b32_e32 v15, v15, v34, vcc
	s_waitcnt lgkmcnt(0)
	v_add_u32_e32 v12, v14, v12
	v_lshlrev_b32_e32 v15, 2, v15
	ds_bpermute_b32 v15, v15, v12
	ds_read_b32 v12, v13 offset:12
	v_cmp_eq_u32_e32 vcc, 0, v0
	s_and_saveexec_b64 s[0:1], vcc
	s_cbranch_execz .LBB2397_64
; %bb.63:
	v_mov_b32_e32 v16, 0
	v_mov_b32_e32 v13, 2
	s_waitcnt lgkmcnt(0)
	global_store_dwordx2 v16, v[12:13], s[24:25] offset:512
.LBB2397_64:
	s_or_b64 exec, exec, s[0:1]
	v_cmp_eq_u32_e64 s[0:1], 0, v34
	s_waitcnt lgkmcnt(1)
	v_cndmask_b32_e64 v14, v15, v14, s[0:1]
	v_cndmask_b32_e64 v38, v14, 0, vcc
	v_add_u32_sdwa v37, v38, v25 dst_sel:DWORD dst_unused:UNUSED_PAD src0_sel:DWORD src1_sel:BYTE_0
	v_add_u32_sdwa v21, v37, v25 dst_sel:DWORD dst_unused:UNUSED_PAD src0_sel:DWORD src1_sel:BYTE_1
	v_add_u32_e32 v20, v21, v29
	v_add_u32_e32 v19, v20, v27
	;; [unrolled: 1-line block ×6, first 2 shown]
	v_mov_b32_e32 v13, 0
	v_add_u32_e32 v14, v15, v33
	s_waitcnt lgkmcnt(0)
	s_barrier
.LBB2397_65:
	s_waitcnt lgkmcnt(0)
	v_add_u32_e32 v22, v12, v22
	v_sub_u32_e32 v30, v38, v13
	v_and_b32_e32 v32, 1, v25
	v_sub_u32_e32 v31, v22, v30
	v_cmp_eq_u32_e32 vcc, 1, v32
	v_cndmask_b32_e32 v30, v31, v30, vcc
	v_lshlrev_b32_e32 v30, 2, v30
	v_lshrrev_b32_e32 v29, 8, v25
	ds_write_b32 v30, v6
	v_sub_u32_e32 v6, v37, v13
	v_sub_u32_e32 v30, v22, v6
	v_and_b32_e32 v29, 1, v29
	v_add_u32_e32 v30, 1, v30
	v_cmp_eq_u32_e32 vcc, 1, v29
	v_cndmask_b32_e32 v6, v30, v6, vcc
	v_lshlrev_b32_e32 v6, 2, v6
	ds_write_b32 v6, v7
	v_sub_u32_e32 v6, v21, v13
	v_mov_b32_e32 v21, 1
	v_sub_u32_e32 v7, v22, v6
	v_and_b32_sdwa v25, v21, v25 dst_sel:DWORD dst_unused:UNUSED_PAD src0_sel:DWORD src1_sel:WORD_1
	v_add_u32_e32 v7, 2, v7
	v_cmp_eq_u32_e32 vcc, 1, v25
	v_cndmask_b32_e32 v6, v7, v6, vcc
	v_lshlrev_b32_e32 v6, 2, v6
	ds_write_b32 v6, v8
	v_sub_u32_e32 v6, v20, v13
	v_sub_u32_e32 v7, v22, v6
	v_and_b32_e32 v8, 1, v27
	v_add_u32_e32 v7, 3, v7
	v_cmp_eq_u32_e32 vcc, 1, v8
	v_cndmask_b32_e32 v6, v7, v6, vcc
	v_lshlrev_b32_e32 v6, 2, v6
	ds_write_b32 v6, v9
	v_sub_u32_e32 v6, v19, v13
	v_sub_u32_e32 v7, v22, v6
	v_and_b32_e32 v8, 1, v24
	v_add_u32_e32 v7, 4, v7
	v_cmp_eq_u32_e32 vcc, 1, v8
	v_cndmask_b32_e32 v6, v7, v6, vcc
	v_lshlrev_b32_e32 v6, 2, v6
	v_lshrrev_b32_e32 v28, 8, v24
	ds_write_b32 v6, v2
	v_sub_u32_e32 v2, v18, v13
	v_sub_u32_e32 v6, v22, v2
	v_and_b32_e32 v7, 1, v28
	v_add_u32_e32 v6, 5, v6
	v_cmp_eq_u32_e32 vcc, 1, v7
	v_cndmask_b32_e32 v2, v6, v2, vcc
	v_lshlrev_b32_e32 v2, 2, v2
	ds_write_b32 v2, v3
	v_sub_u32_e32 v2, v17, v13
	v_sub_u32_e32 v3, v22, v2
	v_and_b32_sdwa v6, v21, v24 dst_sel:DWORD dst_unused:UNUSED_PAD src0_sel:DWORD src1_sel:WORD_1
	v_add_u32_e32 v3, 6, v3
	v_cmp_eq_u32_e32 vcc, 1, v6
	v_cndmask_b32_e32 v2, v3, v2, vcc
	v_lshlrev_b32_e32 v2, 2, v2
	ds_write_b32 v2, v4
	v_sub_u32_e32 v2, v16, v13
	v_sub_u32_e32 v3, v22, v2
	v_and_b32_e32 v4, 1, v26
	v_add_u32_e32 v3, 7, v3
	v_cmp_eq_u32_e32 vcc, 1, v4
	v_cndmask_b32_e32 v2, v3, v2, vcc
	v_lshlrev_b32_e32 v2, 2, v2
	ds_write_b32 v2, v5
	v_sub_u32_e32 v2, v15, v13
	v_sub_u32_e32 v3, v22, v2
	v_and_b32_e32 v4, 1, v23
	;; [unrolled: 8-line block ×3, first 2 shown]
	v_add_u32_e32 v3, 9, v3
	v_cmp_eq_u32_e32 vcc, 1, v1
	v_cndmask_b32_e32 v1, v3, v2, vcc
	v_cmp_eq_u32_e32 vcc, 0, v0
	v_lshlrev_b32_e32 v1, 2, v1
	s_and_b64 s[0:1], vcc, s[22:23]
	ds_write_b32 v1, v11
	s_waitcnt lgkmcnt(0)
	s_barrier
	s_and_saveexec_b64 s[2:3], s[0:1]
	s_cbranch_execz .LBB2397_67
; %bb.66:
	v_mov_b32_e32 v0, s19
	v_add_co_u32_e32 v1, vcc, s18, v12
	v_addc_co_u32_e32 v3, vcc, 0, v0, vcc
	v_add_co_u32_e32 v0, vcc, v1, v13
	v_mov_b32_e32 v2, 0
	v_addc_co_u32_e32 v1, vcc, 0, v3, vcc
	global_store_dwordx2 v2, v[0:1], s[20:21]
.LBB2397_67:
	s_endpgm
	.section	.rodata,"a",@progbits
	.p2align	6, 0x0
	.amdhsa_kernel _ZN7rocprim17ROCPRIM_400000_NS6detail17trampoline_kernelINS0_14default_configENS1_25partition_config_selectorILNS1_17partition_subalgoE0EjNS0_10empty_typeEbEEZZNS1_14partition_implILS5_0ELb0ES3_jN6thrust23THRUST_200600_302600_NS6detail15normal_iteratorINSA_10device_ptrIjEEEEPS6_SG_NS0_5tupleIJNSA_16discard_iteratorINSA_11use_defaultEEESK_EEENSH_IJSG_SG_EEES6_PlJ7is_evenIjEEEE10hipError_tPvRmT3_T4_T5_T6_T7_T9_mT8_P12ihipStream_tbDpT10_ENKUlT_T0_E_clISt17integral_constantIbLb0EES19_EEDaS14_S15_EUlS14_E_NS1_11comp_targetILNS1_3genE4ELNS1_11target_archE910ELNS1_3gpuE8ELNS1_3repE0EEENS1_30default_config_static_selectorELNS0_4arch9wavefront6targetE1EEEvT1_
		.amdhsa_group_segment_fixed_size 10248
		.amdhsa_private_segment_fixed_size 0
		.amdhsa_kernarg_size 136
		.amdhsa_user_sgpr_count 6
		.amdhsa_user_sgpr_private_segment_buffer 1
		.amdhsa_user_sgpr_dispatch_ptr 0
		.amdhsa_user_sgpr_queue_ptr 0
		.amdhsa_user_sgpr_kernarg_segment_ptr 1
		.amdhsa_user_sgpr_dispatch_id 0
		.amdhsa_user_sgpr_flat_scratch_init 0
		.amdhsa_user_sgpr_kernarg_preload_length 0
		.amdhsa_user_sgpr_kernarg_preload_offset 0
		.amdhsa_user_sgpr_private_segment_size 0
		.amdhsa_uses_dynamic_stack 0
		.amdhsa_system_sgpr_private_segment_wavefront_offset 0
		.amdhsa_system_sgpr_workgroup_id_x 1
		.amdhsa_system_sgpr_workgroup_id_y 0
		.amdhsa_system_sgpr_workgroup_id_z 0
		.amdhsa_system_sgpr_workgroup_info 0
		.amdhsa_system_vgpr_workitem_id 0
		.amdhsa_next_free_vgpr 53
		.amdhsa_next_free_sgpr 36
		.amdhsa_accum_offset 56
		.amdhsa_reserve_vcc 1
		.amdhsa_reserve_flat_scratch 0
		.amdhsa_float_round_mode_32 0
		.amdhsa_float_round_mode_16_64 0
		.amdhsa_float_denorm_mode_32 3
		.amdhsa_float_denorm_mode_16_64 3
		.amdhsa_dx10_clamp 1
		.amdhsa_ieee_mode 1
		.amdhsa_fp16_overflow 0
		.amdhsa_tg_split 0
		.amdhsa_exception_fp_ieee_invalid_op 0
		.amdhsa_exception_fp_denorm_src 0
		.amdhsa_exception_fp_ieee_div_zero 0
		.amdhsa_exception_fp_ieee_overflow 0
		.amdhsa_exception_fp_ieee_underflow 0
		.amdhsa_exception_fp_ieee_inexact 0
		.amdhsa_exception_int_div_zero 0
	.end_amdhsa_kernel
	.section	.text._ZN7rocprim17ROCPRIM_400000_NS6detail17trampoline_kernelINS0_14default_configENS1_25partition_config_selectorILNS1_17partition_subalgoE0EjNS0_10empty_typeEbEEZZNS1_14partition_implILS5_0ELb0ES3_jN6thrust23THRUST_200600_302600_NS6detail15normal_iteratorINSA_10device_ptrIjEEEEPS6_SG_NS0_5tupleIJNSA_16discard_iteratorINSA_11use_defaultEEESK_EEENSH_IJSG_SG_EEES6_PlJ7is_evenIjEEEE10hipError_tPvRmT3_T4_T5_T6_T7_T9_mT8_P12ihipStream_tbDpT10_ENKUlT_T0_E_clISt17integral_constantIbLb0EES19_EEDaS14_S15_EUlS14_E_NS1_11comp_targetILNS1_3genE4ELNS1_11target_archE910ELNS1_3gpuE8ELNS1_3repE0EEENS1_30default_config_static_selectorELNS0_4arch9wavefront6targetE1EEEvT1_,"axG",@progbits,_ZN7rocprim17ROCPRIM_400000_NS6detail17trampoline_kernelINS0_14default_configENS1_25partition_config_selectorILNS1_17partition_subalgoE0EjNS0_10empty_typeEbEEZZNS1_14partition_implILS5_0ELb0ES3_jN6thrust23THRUST_200600_302600_NS6detail15normal_iteratorINSA_10device_ptrIjEEEEPS6_SG_NS0_5tupleIJNSA_16discard_iteratorINSA_11use_defaultEEESK_EEENSH_IJSG_SG_EEES6_PlJ7is_evenIjEEEE10hipError_tPvRmT3_T4_T5_T6_T7_T9_mT8_P12ihipStream_tbDpT10_ENKUlT_T0_E_clISt17integral_constantIbLb0EES19_EEDaS14_S15_EUlS14_E_NS1_11comp_targetILNS1_3genE4ELNS1_11target_archE910ELNS1_3gpuE8ELNS1_3repE0EEENS1_30default_config_static_selectorELNS0_4arch9wavefront6targetE1EEEvT1_,comdat
.Lfunc_end2397:
	.size	_ZN7rocprim17ROCPRIM_400000_NS6detail17trampoline_kernelINS0_14default_configENS1_25partition_config_selectorILNS1_17partition_subalgoE0EjNS0_10empty_typeEbEEZZNS1_14partition_implILS5_0ELb0ES3_jN6thrust23THRUST_200600_302600_NS6detail15normal_iteratorINSA_10device_ptrIjEEEEPS6_SG_NS0_5tupleIJNSA_16discard_iteratorINSA_11use_defaultEEESK_EEENSH_IJSG_SG_EEES6_PlJ7is_evenIjEEEE10hipError_tPvRmT3_T4_T5_T6_T7_T9_mT8_P12ihipStream_tbDpT10_ENKUlT_T0_E_clISt17integral_constantIbLb0EES19_EEDaS14_S15_EUlS14_E_NS1_11comp_targetILNS1_3genE4ELNS1_11target_archE910ELNS1_3gpuE8ELNS1_3repE0EEENS1_30default_config_static_selectorELNS0_4arch9wavefront6targetE1EEEvT1_, .Lfunc_end2397-_ZN7rocprim17ROCPRIM_400000_NS6detail17trampoline_kernelINS0_14default_configENS1_25partition_config_selectorILNS1_17partition_subalgoE0EjNS0_10empty_typeEbEEZZNS1_14partition_implILS5_0ELb0ES3_jN6thrust23THRUST_200600_302600_NS6detail15normal_iteratorINSA_10device_ptrIjEEEEPS6_SG_NS0_5tupleIJNSA_16discard_iteratorINSA_11use_defaultEEESK_EEENSH_IJSG_SG_EEES6_PlJ7is_evenIjEEEE10hipError_tPvRmT3_T4_T5_T6_T7_T9_mT8_P12ihipStream_tbDpT10_ENKUlT_T0_E_clISt17integral_constantIbLb0EES19_EEDaS14_S15_EUlS14_E_NS1_11comp_targetILNS1_3genE4ELNS1_11target_archE910ELNS1_3gpuE8ELNS1_3repE0EEENS1_30default_config_static_selectorELNS0_4arch9wavefront6targetE1EEEvT1_
                                        ; -- End function
	.section	.AMDGPU.csdata,"",@progbits
; Kernel info:
; codeLenInByte = 3876
; NumSgprs: 40
; NumVgprs: 53
; NumAgprs: 0
; TotalNumVgprs: 53
; ScratchSize: 0
; MemoryBound: 0
; FloatMode: 240
; IeeeMode: 1
; LDSByteSize: 10248 bytes/workgroup (compile time only)
; SGPRBlocks: 4
; VGPRBlocks: 6
; NumSGPRsForWavesPerEU: 40
; NumVGPRsForWavesPerEU: 53
; AccumOffset: 56
; Occupancy: 6
; WaveLimiterHint : 1
; COMPUTE_PGM_RSRC2:SCRATCH_EN: 0
; COMPUTE_PGM_RSRC2:USER_SGPR: 6
; COMPUTE_PGM_RSRC2:TRAP_HANDLER: 0
; COMPUTE_PGM_RSRC2:TGID_X_EN: 1
; COMPUTE_PGM_RSRC2:TGID_Y_EN: 0
; COMPUTE_PGM_RSRC2:TGID_Z_EN: 0
; COMPUTE_PGM_RSRC2:TIDIG_COMP_CNT: 0
; COMPUTE_PGM_RSRC3_GFX90A:ACCUM_OFFSET: 13
; COMPUTE_PGM_RSRC3_GFX90A:TG_SPLIT: 0
	.section	.text._ZN7rocprim17ROCPRIM_400000_NS6detail17trampoline_kernelINS0_14default_configENS1_25partition_config_selectorILNS1_17partition_subalgoE0EjNS0_10empty_typeEbEEZZNS1_14partition_implILS5_0ELb0ES3_jN6thrust23THRUST_200600_302600_NS6detail15normal_iteratorINSA_10device_ptrIjEEEEPS6_SG_NS0_5tupleIJNSA_16discard_iteratorINSA_11use_defaultEEESK_EEENSH_IJSG_SG_EEES6_PlJ7is_evenIjEEEE10hipError_tPvRmT3_T4_T5_T6_T7_T9_mT8_P12ihipStream_tbDpT10_ENKUlT_T0_E_clISt17integral_constantIbLb0EES19_EEDaS14_S15_EUlS14_E_NS1_11comp_targetILNS1_3genE3ELNS1_11target_archE908ELNS1_3gpuE7ELNS1_3repE0EEENS1_30default_config_static_selectorELNS0_4arch9wavefront6targetE1EEEvT1_,"axG",@progbits,_ZN7rocprim17ROCPRIM_400000_NS6detail17trampoline_kernelINS0_14default_configENS1_25partition_config_selectorILNS1_17partition_subalgoE0EjNS0_10empty_typeEbEEZZNS1_14partition_implILS5_0ELb0ES3_jN6thrust23THRUST_200600_302600_NS6detail15normal_iteratorINSA_10device_ptrIjEEEEPS6_SG_NS0_5tupleIJNSA_16discard_iteratorINSA_11use_defaultEEESK_EEENSH_IJSG_SG_EEES6_PlJ7is_evenIjEEEE10hipError_tPvRmT3_T4_T5_T6_T7_T9_mT8_P12ihipStream_tbDpT10_ENKUlT_T0_E_clISt17integral_constantIbLb0EES19_EEDaS14_S15_EUlS14_E_NS1_11comp_targetILNS1_3genE3ELNS1_11target_archE908ELNS1_3gpuE7ELNS1_3repE0EEENS1_30default_config_static_selectorELNS0_4arch9wavefront6targetE1EEEvT1_,comdat
	.protected	_ZN7rocprim17ROCPRIM_400000_NS6detail17trampoline_kernelINS0_14default_configENS1_25partition_config_selectorILNS1_17partition_subalgoE0EjNS0_10empty_typeEbEEZZNS1_14partition_implILS5_0ELb0ES3_jN6thrust23THRUST_200600_302600_NS6detail15normal_iteratorINSA_10device_ptrIjEEEEPS6_SG_NS0_5tupleIJNSA_16discard_iteratorINSA_11use_defaultEEESK_EEENSH_IJSG_SG_EEES6_PlJ7is_evenIjEEEE10hipError_tPvRmT3_T4_T5_T6_T7_T9_mT8_P12ihipStream_tbDpT10_ENKUlT_T0_E_clISt17integral_constantIbLb0EES19_EEDaS14_S15_EUlS14_E_NS1_11comp_targetILNS1_3genE3ELNS1_11target_archE908ELNS1_3gpuE7ELNS1_3repE0EEENS1_30default_config_static_selectorELNS0_4arch9wavefront6targetE1EEEvT1_ ; -- Begin function _ZN7rocprim17ROCPRIM_400000_NS6detail17trampoline_kernelINS0_14default_configENS1_25partition_config_selectorILNS1_17partition_subalgoE0EjNS0_10empty_typeEbEEZZNS1_14partition_implILS5_0ELb0ES3_jN6thrust23THRUST_200600_302600_NS6detail15normal_iteratorINSA_10device_ptrIjEEEEPS6_SG_NS0_5tupleIJNSA_16discard_iteratorINSA_11use_defaultEEESK_EEENSH_IJSG_SG_EEES6_PlJ7is_evenIjEEEE10hipError_tPvRmT3_T4_T5_T6_T7_T9_mT8_P12ihipStream_tbDpT10_ENKUlT_T0_E_clISt17integral_constantIbLb0EES19_EEDaS14_S15_EUlS14_E_NS1_11comp_targetILNS1_3genE3ELNS1_11target_archE908ELNS1_3gpuE7ELNS1_3repE0EEENS1_30default_config_static_selectorELNS0_4arch9wavefront6targetE1EEEvT1_
	.globl	_ZN7rocprim17ROCPRIM_400000_NS6detail17trampoline_kernelINS0_14default_configENS1_25partition_config_selectorILNS1_17partition_subalgoE0EjNS0_10empty_typeEbEEZZNS1_14partition_implILS5_0ELb0ES3_jN6thrust23THRUST_200600_302600_NS6detail15normal_iteratorINSA_10device_ptrIjEEEEPS6_SG_NS0_5tupleIJNSA_16discard_iteratorINSA_11use_defaultEEESK_EEENSH_IJSG_SG_EEES6_PlJ7is_evenIjEEEE10hipError_tPvRmT3_T4_T5_T6_T7_T9_mT8_P12ihipStream_tbDpT10_ENKUlT_T0_E_clISt17integral_constantIbLb0EES19_EEDaS14_S15_EUlS14_E_NS1_11comp_targetILNS1_3genE3ELNS1_11target_archE908ELNS1_3gpuE7ELNS1_3repE0EEENS1_30default_config_static_selectorELNS0_4arch9wavefront6targetE1EEEvT1_
	.p2align	8
	.type	_ZN7rocprim17ROCPRIM_400000_NS6detail17trampoline_kernelINS0_14default_configENS1_25partition_config_selectorILNS1_17partition_subalgoE0EjNS0_10empty_typeEbEEZZNS1_14partition_implILS5_0ELb0ES3_jN6thrust23THRUST_200600_302600_NS6detail15normal_iteratorINSA_10device_ptrIjEEEEPS6_SG_NS0_5tupleIJNSA_16discard_iteratorINSA_11use_defaultEEESK_EEENSH_IJSG_SG_EEES6_PlJ7is_evenIjEEEE10hipError_tPvRmT3_T4_T5_T6_T7_T9_mT8_P12ihipStream_tbDpT10_ENKUlT_T0_E_clISt17integral_constantIbLb0EES19_EEDaS14_S15_EUlS14_E_NS1_11comp_targetILNS1_3genE3ELNS1_11target_archE908ELNS1_3gpuE7ELNS1_3repE0EEENS1_30default_config_static_selectorELNS0_4arch9wavefront6targetE1EEEvT1_,@function
_ZN7rocprim17ROCPRIM_400000_NS6detail17trampoline_kernelINS0_14default_configENS1_25partition_config_selectorILNS1_17partition_subalgoE0EjNS0_10empty_typeEbEEZZNS1_14partition_implILS5_0ELb0ES3_jN6thrust23THRUST_200600_302600_NS6detail15normal_iteratorINSA_10device_ptrIjEEEEPS6_SG_NS0_5tupleIJNSA_16discard_iteratorINSA_11use_defaultEEESK_EEENSH_IJSG_SG_EEES6_PlJ7is_evenIjEEEE10hipError_tPvRmT3_T4_T5_T6_T7_T9_mT8_P12ihipStream_tbDpT10_ENKUlT_T0_E_clISt17integral_constantIbLb0EES19_EEDaS14_S15_EUlS14_E_NS1_11comp_targetILNS1_3genE3ELNS1_11target_archE908ELNS1_3gpuE7ELNS1_3repE0EEENS1_30default_config_static_selectorELNS0_4arch9wavefront6targetE1EEEvT1_: ; @_ZN7rocprim17ROCPRIM_400000_NS6detail17trampoline_kernelINS0_14default_configENS1_25partition_config_selectorILNS1_17partition_subalgoE0EjNS0_10empty_typeEbEEZZNS1_14partition_implILS5_0ELb0ES3_jN6thrust23THRUST_200600_302600_NS6detail15normal_iteratorINSA_10device_ptrIjEEEEPS6_SG_NS0_5tupleIJNSA_16discard_iteratorINSA_11use_defaultEEESK_EEENSH_IJSG_SG_EEES6_PlJ7is_evenIjEEEE10hipError_tPvRmT3_T4_T5_T6_T7_T9_mT8_P12ihipStream_tbDpT10_ENKUlT_T0_E_clISt17integral_constantIbLb0EES19_EEDaS14_S15_EUlS14_E_NS1_11comp_targetILNS1_3genE3ELNS1_11target_archE908ELNS1_3gpuE7ELNS1_3repE0EEENS1_30default_config_static_selectorELNS0_4arch9wavefront6targetE1EEEvT1_
; %bb.0:
	.section	.rodata,"a",@progbits
	.p2align	6, 0x0
	.amdhsa_kernel _ZN7rocprim17ROCPRIM_400000_NS6detail17trampoline_kernelINS0_14default_configENS1_25partition_config_selectorILNS1_17partition_subalgoE0EjNS0_10empty_typeEbEEZZNS1_14partition_implILS5_0ELb0ES3_jN6thrust23THRUST_200600_302600_NS6detail15normal_iteratorINSA_10device_ptrIjEEEEPS6_SG_NS0_5tupleIJNSA_16discard_iteratorINSA_11use_defaultEEESK_EEENSH_IJSG_SG_EEES6_PlJ7is_evenIjEEEE10hipError_tPvRmT3_T4_T5_T6_T7_T9_mT8_P12ihipStream_tbDpT10_ENKUlT_T0_E_clISt17integral_constantIbLb0EES19_EEDaS14_S15_EUlS14_E_NS1_11comp_targetILNS1_3genE3ELNS1_11target_archE908ELNS1_3gpuE7ELNS1_3repE0EEENS1_30default_config_static_selectorELNS0_4arch9wavefront6targetE1EEEvT1_
		.amdhsa_group_segment_fixed_size 0
		.amdhsa_private_segment_fixed_size 0
		.amdhsa_kernarg_size 136
		.amdhsa_user_sgpr_count 6
		.amdhsa_user_sgpr_private_segment_buffer 1
		.amdhsa_user_sgpr_dispatch_ptr 0
		.amdhsa_user_sgpr_queue_ptr 0
		.amdhsa_user_sgpr_kernarg_segment_ptr 1
		.amdhsa_user_sgpr_dispatch_id 0
		.amdhsa_user_sgpr_flat_scratch_init 0
		.amdhsa_user_sgpr_kernarg_preload_length 0
		.amdhsa_user_sgpr_kernarg_preload_offset 0
		.amdhsa_user_sgpr_private_segment_size 0
		.amdhsa_uses_dynamic_stack 0
		.amdhsa_system_sgpr_private_segment_wavefront_offset 0
		.amdhsa_system_sgpr_workgroup_id_x 1
		.amdhsa_system_sgpr_workgroup_id_y 0
		.amdhsa_system_sgpr_workgroup_id_z 0
		.amdhsa_system_sgpr_workgroup_info 0
		.amdhsa_system_vgpr_workitem_id 0
		.amdhsa_next_free_vgpr 1
		.amdhsa_next_free_sgpr 0
		.amdhsa_accum_offset 4
		.amdhsa_reserve_vcc 0
		.amdhsa_reserve_flat_scratch 0
		.amdhsa_float_round_mode_32 0
		.amdhsa_float_round_mode_16_64 0
		.amdhsa_float_denorm_mode_32 3
		.amdhsa_float_denorm_mode_16_64 3
		.amdhsa_dx10_clamp 1
		.amdhsa_ieee_mode 1
		.amdhsa_fp16_overflow 0
		.amdhsa_tg_split 0
		.amdhsa_exception_fp_ieee_invalid_op 0
		.amdhsa_exception_fp_denorm_src 0
		.amdhsa_exception_fp_ieee_div_zero 0
		.amdhsa_exception_fp_ieee_overflow 0
		.amdhsa_exception_fp_ieee_underflow 0
		.amdhsa_exception_fp_ieee_inexact 0
		.amdhsa_exception_int_div_zero 0
	.end_amdhsa_kernel
	.section	.text._ZN7rocprim17ROCPRIM_400000_NS6detail17trampoline_kernelINS0_14default_configENS1_25partition_config_selectorILNS1_17partition_subalgoE0EjNS0_10empty_typeEbEEZZNS1_14partition_implILS5_0ELb0ES3_jN6thrust23THRUST_200600_302600_NS6detail15normal_iteratorINSA_10device_ptrIjEEEEPS6_SG_NS0_5tupleIJNSA_16discard_iteratorINSA_11use_defaultEEESK_EEENSH_IJSG_SG_EEES6_PlJ7is_evenIjEEEE10hipError_tPvRmT3_T4_T5_T6_T7_T9_mT8_P12ihipStream_tbDpT10_ENKUlT_T0_E_clISt17integral_constantIbLb0EES19_EEDaS14_S15_EUlS14_E_NS1_11comp_targetILNS1_3genE3ELNS1_11target_archE908ELNS1_3gpuE7ELNS1_3repE0EEENS1_30default_config_static_selectorELNS0_4arch9wavefront6targetE1EEEvT1_,"axG",@progbits,_ZN7rocprim17ROCPRIM_400000_NS6detail17trampoline_kernelINS0_14default_configENS1_25partition_config_selectorILNS1_17partition_subalgoE0EjNS0_10empty_typeEbEEZZNS1_14partition_implILS5_0ELb0ES3_jN6thrust23THRUST_200600_302600_NS6detail15normal_iteratorINSA_10device_ptrIjEEEEPS6_SG_NS0_5tupleIJNSA_16discard_iteratorINSA_11use_defaultEEESK_EEENSH_IJSG_SG_EEES6_PlJ7is_evenIjEEEE10hipError_tPvRmT3_T4_T5_T6_T7_T9_mT8_P12ihipStream_tbDpT10_ENKUlT_T0_E_clISt17integral_constantIbLb0EES19_EEDaS14_S15_EUlS14_E_NS1_11comp_targetILNS1_3genE3ELNS1_11target_archE908ELNS1_3gpuE7ELNS1_3repE0EEENS1_30default_config_static_selectorELNS0_4arch9wavefront6targetE1EEEvT1_,comdat
.Lfunc_end2398:
	.size	_ZN7rocprim17ROCPRIM_400000_NS6detail17trampoline_kernelINS0_14default_configENS1_25partition_config_selectorILNS1_17partition_subalgoE0EjNS0_10empty_typeEbEEZZNS1_14partition_implILS5_0ELb0ES3_jN6thrust23THRUST_200600_302600_NS6detail15normal_iteratorINSA_10device_ptrIjEEEEPS6_SG_NS0_5tupleIJNSA_16discard_iteratorINSA_11use_defaultEEESK_EEENSH_IJSG_SG_EEES6_PlJ7is_evenIjEEEE10hipError_tPvRmT3_T4_T5_T6_T7_T9_mT8_P12ihipStream_tbDpT10_ENKUlT_T0_E_clISt17integral_constantIbLb0EES19_EEDaS14_S15_EUlS14_E_NS1_11comp_targetILNS1_3genE3ELNS1_11target_archE908ELNS1_3gpuE7ELNS1_3repE0EEENS1_30default_config_static_selectorELNS0_4arch9wavefront6targetE1EEEvT1_, .Lfunc_end2398-_ZN7rocprim17ROCPRIM_400000_NS6detail17trampoline_kernelINS0_14default_configENS1_25partition_config_selectorILNS1_17partition_subalgoE0EjNS0_10empty_typeEbEEZZNS1_14partition_implILS5_0ELb0ES3_jN6thrust23THRUST_200600_302600_NS6detail15normal_iteratorINSA_10device_ptrIjEEEEPS6_SG_NS0_5tupleIJNSA_16discard_iteratorINSA_11use_defaultEEESK_EEENSH_IJSG_SG_EEES6_PlJ7is_evenIjEEEE10hipError_tPvRmT3_T4_T5_T6_T7_T9_mT8_P12ihipStream_tbDpT10_ENKUlT_T0_E_clISt17integral_constantIbLb0EES19_EEDaS14_S15_EUlS14_E_NS1_11comp_targetILNS1_3genE3ELNS1_11target_archE908ELNS1_3gpuE7ELNS1_3repE0EEENS1_30default_config_static_selectorELNS0_4arch9wavefront6targetE1EEEvT1_
                                        ; -- End function
	.section	.AMDGPU.csdata,"",@progbits
; Kernel info:
; codeLenInByte = 0
; NumSgprs: 4
; NumVgprs: 0
; NumAgprs: 0
; TotalNumVgprs: 0
; ScratchSize: 0
; MemoryBound: 0
; FloatMode: 240
; IeeeMode: 1
; LDSByteSize: 0 bytes/workgroup (compile time only)
; SGPRBlocks: 0
; VGPRBlocks: 0
; NumSGPRsForWavesPerEU: 4
; NumVGPRsForWavesPerEU: 1
; AccumOffset: 4
; Occupancy: 8
; WaveLimiterHint : 0
; COMPUTE_PGM_RSRC2:SCRATCH_EN: 0
; COMPUTE_PGM_RSRC2:USER_SGPR: 6
; COMPUTE_PGM_RSRC2:TRAP_HANDLER: 0
; COMPUTE_PGM_RSRC2:TGID_X_EN: 1
; COMPUTE_PGM_RSRC2:TGID_Y_EN: 0
; COMPUTE_PGM_RSRC2:TGID_Z_EN: 0
; COMPUTE_PGM_RSRC2:TIDIG_COMP_CNT: 0
; COMPUTE_PGM_RSRC3_GFX90A:ACCUM_OFFSET: 0
; COMPUTE_PGM_RSRC3_GFX90A:TG_SPLIT: 0
	.section	.text._ZN7rocprim17ROCPRIM_400000_NS6detail17trampoline_kernelINS0_14default_configENS1_25partition_config_selectorILNS1_17partition_subalgoE0EjNS0_10empty_typeEbEEZZNS1_14partition_implILS5_0ELb0ES3_jN6thrust23THRUST_200600_302600_NS6detail15normal_iteratorINSA_10device_ptrIjEEEEPS6_SG_NS0_5tupleIJNSA_16discard_iteratorINSA_11use_defaultEEESK_EEENSH_IJSG_SG_EEES6_PlJ7is_evenIjEEEE10hipError_tPvRmT3_T4_T5_T6_T7_T9_mT8_P12ihipStream_tbDpT10_ENKUlT_T0_E_clISt17integral_constantIbLb0EES19_EEDaS14_S15_EUlS14_E_NS1_11comp_targetILNS1_3genE2ELNS1_11target_archE906ELNS1_3gpuE6ELNS1_3repE0EEENS1_30default_config_static_selectorELNS0_4arch9wavefront6targetE1EEEvT1_,"axG",@progbits,_ZN7rocprim17ROCPRIM_400000_NS6detail17trampoline_kernelINS0_14default_configENS1_25partition_config_selectorILNS1_17partition_subalgoE0EjNS0_10empty_typeEbEEZZNS1_14partition_implILS5_0ELb0ES3_jN6thrust23THRUST_200600_302600_NS6detail15normal_iteratorINSA_10device_ptrIjEEEEPS6_SG_NS0_5tupleIJNSA_16discard_iteratorINSA_11use_defaultEEESK_EEENSH_IJSG_SG_EEES6_PlJ7is_evenIjEEEE10hipError_tPvRmT3_T4_T5_T6_T7_T9_mT8_P12ihipStream_tbDpT10_ENKUlT_T0_E_clISt17integral_constantIbLb0EES19_EEDaS14_S15_EUlS14_E_NS1_11comp_targetILNS1_3genE2ELNS1_11target_archE906ELNS1_3gpuE6ELNS1_3repE0EEENS1_30default_config_static_selectorELNS0_4arch9wavefront6targetE1EEEvT1_,comdat
	.protected	_ZN7rocprim17ROCPRIM_400000_NS6detail17trampoline_kernelINS0_14default_configENS1_25partition_config_selectorILNS1_17partition_subalgoE0EjNS0_10empty_typeEbEEZZNS1_14partition_implILS5_0ELb0ES3_jN6thrust23THRUST_200600_302600_NS6detail15normal_iteratorINSA_10device_ptrIjEEEEPS6_SG_NS0_5tupleIJNSA_16discard_iteratorINSA_11use_defaultEEESK_EEENSH_IJSG_SG_EEES6_PlJ7is_evenIjEEEE10hipError_tPvRmT3_T4_T5_T6_T7_T9_mT8_P12ihipStream_tbDpT10_ENKUlT_T0_E_clISt17integral_constantIbLb0EES19_EEDaS14_S15_EUlS14_E_NS1_11comp_targetILNS1_3genE2ELNS1_11target_archE906ELNS1_3gpuE6ELNS1_3repE0EEENS1_30default_config_static_selectorELNS0_4arch9wavefront6targetE1EEEvT1_ ; -- Begin function _ZN7rocprim17ROCPRIM_400000_NS6detail17trampoline_kernelINS0_14default_configENS1_25partition_config_selectorILNS1_17partition_subalgoE0EjNS0_10empty_typeEbEEZZNS1_14partition_implILS5_0ELb0ES3_jN6thrust23THRUST_200600_302600_NS6detail15normal_iteratorINSA_10device_ptrIjEEEEPS6_SG_NS0_5tupleIJNSA_16discard_iteratorINSA_11use_defaultEEESK_EEENSH_IJSG_SG_EEES6_PlJ7is_evenIjEEEE10hipError_tPvRmT3_T4_T5_T6_T7_T9_mT8_P12ihipStream_tbDpT10_ENKUlT_T0_E_clISt17integral_constantIbLb0EES19_EEDaS14_S15_EUlS14_E_NS1_11comp_targetILNS1_3genE2ELNS1_11target_archE906ELNS1_3gpuE6ELNS1_3repE0EEENS1_30default_config_static_selectorELNS0_4arch9wavefront6targetE1EEEvT1_
	.globl	_ZN7rocprim17ROCPRIM_400000_NS6detail17trampoline_kernelINS0_14default_configENS1_25partition_config_selectorILNS1_17partition_subalgoE0EjNS0_10empty_typeEbEEZZNS1_14partition_implILS5_0ELb0ES3_jN6thrust23THRUST_200600_302600_NS6detail15normal_iteratorINSA_10device_ptrIjEEEEPS6_SG_NS0_5tupleIJNSA_16discard_iteratorINSA_11use_defaultEEESK_EEENSH_IJSG_SG_EEES6_PlJ7is_evenIjEEEE10hipError_tPvRmT3_T4_T5_T6_T7_T9_mT8_P12ihipStream_tbDpT10_ENKUlT_T0_E_clISt17integral_constantIbLb0EES19_EEDaS14_S15_EUlS14_E_NS1_11comp_targetILNS1_3genE2ELNS1_11target_archE906ELNS1_3gpuE6ELNS1_3repE0EEENS1_30default_config_static_selectorELNS0_4arch9wavefront6targetE1EEEvT1_
	.p2align	8
	.type	_ZN7rocprim17ROCPRIM_400000_NS6detail17trampoline_kernelINS0_14default_configENS1_25partition_config_selectorILNS1_17partition_subalgoE0EjNS0_10empty_typeEbEEZZNS1_14partition_implILS5_0ELb0ES3_jN6thrust23THRUST_200600_302600_NS6detail15normal_iteratorINSA_10device_ptrIjEEEEPS6_SG_NS0_5tupleIJNSA_16discard_iteratorINSA_11use_defaultEEESK_EEENSH_IJSG_SG_EEES6_PlJ7is_evenIjEEEE10hipError_tPvRmT3_T4_T5_T6_T7_T9_mT8_P12ihipStream_tbDpT10_ENKUlT_T0_E_clISt17integral_constantIbLb0EES19_EEDaS14_S15_EUlS14_E_NS1_11comp_targetILNS1_3genE2ELNS1_11target_archE906ELNS1_3gpuE6ELNS1_3repE0EEENS1_30default_config_static_selectorELNS0_4arch9wavefront6targetE1EEEvT1_,@function
_ZN7rocprim17ROCPRIM_400000_NS6detail17trampoline_kernelINS0_14default_configENS1_25partition_config_selectorILNS1_17partition_subalgoE0EjNS0_10empty_typeEbEEZZNS1_14partition_implILS5_0ELb0ES3_jN6thrust23THRUST_200600_302600_NS6detail15normal_iteratorINSA_10device_ptrIjEEEEPS6_SG_NS0_5tupleIJNSA_16discard_iteratorINSA_11use_defaultEEESK_EEENSH_IJSG_SG_EEES6_PlJ7is_evenIjEEEE10hipError_tPvRmT3_T4_T5_T6_T7_T9_mT8_P12ihipStream_tbDpT10_ENKUlT_T0_E_clISt17integral_constantIbLb0EES19_EEDaS14_S15_EUlS14_E_NS1_11comp_targetILNS1_3genE2ELNS1_11target_archE906ELNS1_3gpuE6ELNS1_3repE0EEENS1_30default_config_static_selectorELNS0_4arch9wavefront6targetE1EEEvT1_: ; @_ZN7rocprim17ROCPRIM_400000_NS6detail17trampoline_kernelINS0_14default_configENS1_25partition_config_selectorILNS1_17partition_subalgoE0EjNS0_10empty_typeEbEEZZNS1_14partition_implILS5_0ELb0ES3_jN6thrust23THRUST_200600_302600_NS6detail15normal_iteratorINSA_10device_ptrIjEEEEPS6_SG_NS0_5tupleIJNSA_16discard_iteratorINSA_11use_defaultEEESK_EEENSH_IJSG_SG_EEES6_PlJ7is_evenIjEEEE10hipError_tPvRmT3_T4_T5_T6_T7_T9_mT8_P12ihipStream_tbDpT10_ENKUlT_T0_E_clISt17integral_constantIbLb0EES19_EEDaS14_S15_EUlS14_E_NS1_11comp_targetILNS1_3genE2ELNS1_11target_archE906ELNS1_3gpuE6ELNS1_3repE0EEENS1_30default_config_static_selectorELNS0_4arch9wavefront6targetE1EEEvT1_
; %bb.0:
	.section	.rodata,"a",@progbits
	.p2align	6, 0x0
	.amdhsa_kernel _ZN7rocprim17ROCPRIM_400000_NS6detail17trampoline_kernelINS0_14default_configENS1_25partition_config_selectorILNS1_17partition_subalgoE0EjNS0_10empty_typeEbEEZZNS1_14partition_implILS5_0ELb0ES3_jN6thrust23THRUST_200600_302600_NS6detail15normal_iteratorINSA_10device_ptrIjEEEEPS6_SG_NS0_5tupleIJNSA_16discard_iteratorINSA_11use_defaultEEESK_EEENSH_IJSG_SG_EEES6_PlJ7is_evenIjEEEE10hipError_tPvRmT3_T4_T5_T6_T7_T9_mT8_P12ihipStream_tbDpT10_ENKUlT_T0_E_clISt17integral_constantIbLb0EES19_EEDaS14_S15_EUlS14_E_NS1_11comp_targetILNS1_3genE2ELNS1_11target_archE906ELNS1_3gpuE6ELNS1_3repE0EEENS1_30default_config_static_selectorELNS0_4arch9wavefront6targetE1EEEvT1_
		.amdhsa_group_segment_fixed_size 0
		.amdhsa_private_segment_fixed_size 0
		.amdhsa_kernarg_size 136
		.amdhsa_user_sgpr_count 6
		.amdhsa_user_sgpr_private_segment_buffer 1
		.amdhsa_user_sgpr_dispatch_ptr 0
		.amdhsa_user_sgpr_queue_ptr 0
		.amdhsa_user_sgpr_kernarg_segment_ptr 1
		.amdhsa_user_sgpr_dispatch_id 0
		.amdhsa_user_sgpr_flat_scratch_init 0
		.amdhsa_user_sgpr_kernarg_preload_length 0
		.amdhsa_user_sgpr_kernarg_preload_offset 0
		.amdhsa_user_sgpr_private_segment_size 0
		.amdhsa_uses_dynamic_stack 0
		.amdhsa_system_sgpr_private_segment_wavefront_offset 0
		.amdhsa_system_sgpr_workgroup_id_x 1
		.amdhsa_system_sgpr_workgroup_id_y 0
		.amdhsa_system_sgpr_workgroup_id_z 0
		.amdhsa_system_sgpr_workgroup_info 0
		.amdhsa_system_vgpr_workitem_id 0
		.amdhsa_next_free_vgpr 1
		.amdhsa_next_free_sgpr 0
		.amdhsa_accum_offset 4
		.amdhsa_reserve_vcc 0
		.amdhsa_reserve_flat_scratch 0
		.amdhsa_float_round_mode_32 0
		.amdhsa_float_round_mode_16_64 0
		.amdhsa_float_denorm_mode_32 3
		.amdhsa_float_denorm_mode_16_64 3
		.amdhsa_dx10_clamp 1
		.amdhsa_ieee_mode 1
		.amdhsa_fp16_overflow 0
		.amdhsa_tg_split 0
		.amdhsa_exception_fp_ieee_invalid_op 0
		.amdhsa_exception_fp_denorm_src 0
		.amdhsa_exception_fp_ieee_div_zero 0
		.amdhsa_exception_fp_ieee_overflow 0
		.amdhsa_exception_fp_ieee_underflow 0
		.amdhsa_exception_fp_ieee_inexact 0
		.amdhsa_exception_int_div_zero 0
	.end_amdhsa_kernel
	.section	.text._ZN7rocprim17ROCPRIM_400000_NS6detail17trampoline_kernelINS0_14default_configENS1_25partition_config_selectorILNS1_17partition_subalgoE0EjNS0_10empty_typeEbEEZZNS1_14partition_implILS5_0ELb0ES3_jN6thrust23THRUST_200600_302600_NS6detail15normal_iteratorINSA_10device_ptrIjEEEEPS6_SG_NS0_5tupleIJNSA_16discard_iteratorINSA_11use_defaultEEESK_EEENSH_IJSG_SG_EEES6_PlJ7is_evenIjEEEE10hipError_tPvRmT3_T4_T5_T6_T7_T9_mT8_P12ihipStream_tbDpT10_ENKUlT_T0_E_clISt17integral_constantIbLb0EES19_EEDaS14_S15_EUlS14_E_NS1_11comp_targetILNS1_3genE2ELNS1_11target_archE906ELNS1_3gpuE6ELNS1_3repE0EEENS1_30default_config_static_selectorELNS0_4arch9wavefront6targetE1EEEvT1_,"axG",@progbits,_ZN7rocprim17ROCPRIM_400000_NS6detail17trampoline_kernelINS0_14default_configENS1_25partition_config_selectorILNS1_17partition_subalgoE0EjNS0_10empty_typeEbEEZZNS1_14partition_implILS5_0ELb0ES3_jN6thrust23THRUST_200600_302600_NS6detail15normal_iteratorINSA_10device_ptrIjEEEEPS6_SG_NS0_5tupleIJNSA_16discard_iteratorINSA_11use_defaultEEESK_EEENSH_IJSG_SG_EEES6_PlJ7is_evenIjEEEE10hipError_tPvRmT3_T4_T5_T6_T7_T9_mT8_P12ihipStream_tbDpT10_ENKUlT_T0_E_clISt17integral_constantIbLb0EES19_EEDaS14_S15_EUlS14_E_NS1_11comp_targetILNS1_3genE2ELNS1_11target_archE906ELNS1_3gpuE6ELNS1_3repE0EEENS1_30default_config_static_selectorELNS0_4arch9wavefront6targetE1EEEvT1_,comdat
.Lfunc_end2399:
	.size	_ZN7rocprim17ROCPRIM_400000_NS6detail17trampoline_kernelINS0_14default_configENS1_25partition_config_selectorILNS1_17partition_subalgoE0EjNS0_10empty_typeEbEEZZNS1_14partition_implILS5_0ELb0ES3_jN6thrust23THRUST_200600_302600_NS6detail15normal_iteratorINSA_10device_ptrIjEEEEPS6_SG_NS0_5tupleIJNSA_16discard_iteratorINSA_11use_defaultEEESK_EEENSH_IJSG_SG_EEES6_PlJ7is_evenIjEEEE10hipError_tPvRmT3_T4_T5_T6_T7_T9_mT8_P12ihipStream_tbDpT10_ENKUlT_T0_E_clISt17integral_constantIbLb0EES19_EEDaS14_S15_EUlS14_E_NS1_11comp_targetILNS1_3genE2ELNS1_11target_archE906ELNS1_3gpuE6ELNS1_3repE0EEENS1_30default_config_static_selectorELNS0_4arch9wavefront6targetE1EEEvT1_, .Lfunc_end2399-_ZN7rocprim17ROCPRIM_400000_NS6detail17trampoline_kernelINS0_14default_configENS1_25partition_config_selectorILNS1_17partition_subalgoE0EjNS0_10empty_typeEbEEZZNS1_14partition_implILS5_0ELb0ES3_jN6thrust23THRUST_200600_302600_NS6detail15normal_iteratorINSA_10device_ptrIjEEEEPS6_SG_NS0_5tupleIJNSA_16discard_iteratorINSA_11use_defaultEEESK_EEENSH_IJSG_SG_EEES6_PlJ7is_evenIjEEEE10hipError_tPvRmT3_T4_T5_T6_T7_T9_mT8_P12ihipStream_tbDpT10_ENKUlT_T0_E_clISt17integral_constantIbLb0EES19_EEDaS14_S15_EUlS14_E_NS1_11comp_targetILNS1_3genE2ELNS1_11target_archE906ELNS1_3gpuE6ELNS1_3repE0EEENS1_30default_config_static_selectorELNS0_4arch9wavefront6targetE1EEEvT1_
                                        ; -- End function
	.section	.AMDGPU.csdata,"",@progbits
; Kernel info:
; codeLenInByte = 0
; NumSgprs: 4
; NumVgprs: 0
; NumAgprs: 0
; TotalNumVgprs: 0
; ScratchSize: 0
; MemoryBound: 0
; FloatMode: 240
; IeeeMode: 1
; LDSByteSize: 0 bytes/workgroup (compile time only)
; SGPRBlocks: 0
; VGPRBlocks: 0
; NumSGPRsForWavesPerEU: 4
; NumVGPRsForWavesPerEU: 1
; AccumOffset: 4
; Occupancy: 8
; WaveLimiterHint : 0
; COMPUTE_PGM_RSRC2:SCRATCH_EN: 0
; COMPUTE_PGM_RSRC2:USER_SGPR: 6
; COMPUTE_PGM_RSRC2:TRAP_HANDLER: 0
; COMPUTE_PGM_RSRC2:TGID_X_EN: 1
; COMPUTE_PGM_RSRC2:TGID_Y_EN: 0
; COMPUTE_PGM_RSRC2:TGID_Z_EN: 0
; COMPUTE_PGM_RSRC2:TIDIG_COMP_CNT: 0
; COMPUTE_PGM_RSRC3_GFX90A:ACCUM_OFFSET: 0
; COMPUTE_PGM_RSRC3_GFX90A:TG_SPLIT: 0
	.section	.text._ZN7rocprim17ROCPRIM_400000_NS6detail17trampoline_kernelINS0_14default_configENS1_25partition_config_selectorILNS1_17partition_subalgoE0EjNS0_10empty_typeEbEEZZNS1_14partition_implILS5_0ELb0ES3_jN6thrust23THRUST_200600_302600_NS6detail15normal_iteratorINSA_10device_ptrIjEEEEPS6_SG_NS0_5tupleIJNSA_16discard_iteratorINSA_11use_defaultEEESK_EEENSH_IJSG_SG_EEES6_PlJ7is_evenIjEEEE10hipError_tPvRmT3_T4_T5_T6_T7_T9_mT8_P12ihipStream_tbDpT10_ENKUlT_T0_E_clISt17integral_constantIbLb0EES19_EEDaS14_S15_EUlS14_E_NS1_11comp_targetILNS1_3genE10ELNS1_11target_archE1200ELNS1_3gpuE4ELNS1_3repE0EEENS1_30default_config_static_selectorELNS0_4arch9wavefront6targetE1EEEvT1_,"axG",@progbits,_ZN7rocprim17ROCPRIM_400000_NS6detail17trampoline_kernelINS0_14default_configENS1_25partition_config_selectorILNS1_17partition_subalgoE0EjNS0_10empty_typeEbEEZZNS1_14partition_implILS5_0ELb0ES3_jN6thrust23THRUST_200600_302600_NS6detail15normal_iteratorINSA_10device_ptrIjEEEEPS6_SG_NS0_5tupleIJNSA_16discard_iteratorINSA_11use_defaultEEESK_EEENSH_IJSG_SG_EEES6_PlJ7is_evenIjEEEE10hipError_tPvRmT3_T4_T5_T6_T7_T9_mT8_P12ihipStream_tbDpT10_ENKUlT_T0_E_clISt17integral_constantIbLb0EES19_EEDaS14_S15_EUlS14_E_NS1_11comp_targetILNS1_3genE10ELNS1_11target_archE1200ELNS1_3gpuE4ELNS1_3repE0EEENS1_30default_config_static_selectorELNS0_4arch9wavefront6targetE1EEEvT1_,comdat
	.protected	_ZN7rocprim17ROCPRIM_400000_NS6detail17trampoline_kernelINS0_14default_configENS1_25partition_config_selectorILNS1_17partition_subalgoE0EjNS0_10empty_typeEbEEZZNS1_14partition_implILS5_0ELb0ES3_jN6thrust23THRUST_200600_302600_NS6detail15normal_iteratorINSA_10device_ptrIjEEEEPS6_SG_NS0_5tupleIJNSA_16discard_iteratorINSA_11use_defaultEEESK_EEENSH_IJSG_SG_EEES6_PlJ7is_evenIjEEEE10hipError_tPvRmT3_T4_T5_T6_T7_T9_mT8_P12ihipStream_tbDpT10_ENKUlT_T0_E_clISt17integral_constantIbLb0EES19_EEDaS14_S15_EUlS14_E_NS1_11comp_targetILNS1_3genE10ELNS1_11target_archE1200ELNS1_3gpuE4ELNS1_3repE0EEENS1_30default_config_static_selectorELNS0_4arch9wavefront6targetE1EEEvT1_ ; -- Begin function _ZN7rocprim17ROCPRIM_400000_NS6detail17trampoline_kernelINS0_14default_configENS1_25partition_config_selectorILNS1_17partition_subalgoE0EjNS0_10empty_typeEbEEZZNS1_14partition_implILS5_0ELb0ES3_jN6thrust23THRUST_200600_302600_NS6detail15normal_iteratorINSA_10device_ptrIjEEEEPS6_SG_NS0_5tupleIJNSA_16discard_iteratorINSA_11use_defaultEEESK_EEENSH_IJSG_SG_EEES6_PlJ7is_evenIjEEEE10hipError_tPvRmT3_T4_T5_T6_T7_T9_mT8_P12ihipStream_tbDpT10_ENKUlT_T0_E_clISt17integral_constantIbLb0EES19_EEDaS14_S15_EUlS14_E_NS1_11comp_targetILNS1_3genE10ELNS1_11target_archE1200ELNS1_3gpuE4ELNS1_3repE0EEENS1_30default_config_static_selectorELNS0_4arch9wavefront6targetE1EEEvT1_
	.globl	_ZN7rocprim17ROCPRIM_400000_NS6detail17trampoline_kernelINS0_14default_configENS1_25partition_config_selectorILNS1_17partition_subalgoE0EjNS0_10empty_typeEbEEZZNS1_14partition_implILS5_0ELb0ES3_jN6thrust23THRUST_200600_302600_NS6detail15normal_iteratorINSA_10device_ptrIjEEEEPS6_SG_NS0_5tupleIJNSA_16discard_iteratorINSA_11use_defaultEEESK_EEENSH_IJSG_SG_EEES6_PlJ7is_evenIjEEEE10hipError_tPvRmT3_T4_T5_T6_T7_T9_mT8_P12ihipStream_tbDpT10_ENKUlT_T0_E_clISt17integral_constantIbLb0EES19_EEDaS14_S15_EUlS14_E_NS1_11comp_targetILNS1_3genE10ELNS1_11target_archE1200ELNS1_3gpuE4ELNS1_3repE0EEENS1_30default_config_static_selectorELNS0_4arch9wavefront6targetE1EEEvT1_
	.p2align	8
	.type	_ZN7rocprim17ROCPRIM_400000_NS6detail17trampoline_kernelINS0_14default_configENS1_25partition_config_selectorILNS1_17partition_subalgoE0EjNS0_10empty_typeEbEEZZNS1_14partition_implILS5_0ELb0ES3_jN6thrust23THRUST_200600_302600_NS6detail15normal_iteratorINSA_10device_ptrIjEEEEPS6_SG_NS0_5tupleIJNSA_16discard_iteratorINSA_11use_defaultEEESK_EEENSH_IJSG_SG_EEES6_PlJ7is_evenIjEEEE10hipError_tPvRmT3_T4_T5_T6_T7_T9_mT8_P12ihipStream_tbDpT10_ENKUlT_T0_E_clISt17integral_constantIbLb0EES19_EEDaS14_S15_EUlS14_E_NS1_11comp_targetILNS1_3genE10ELNS1_11target_archE1200ELNS1_3gpuE4ELNS1_3repE0EEENS1_30default_config_static_selectorELNS0_4arch9wavefront6targetE1EEEvT1_,@function
_ZN7rocprim17ROCPRIM_400000_NS6detail17trampoline_kernelINS0_14default_configENS1_25partition_config_selectorILNS1_17partition_subalgoE0EjNS0_10empty_typeEbEEZZNS1_14partition_implILS5_0ELb0ES3_jN6thrust23THRUST_200600_302600_NS6detail15normal_iteratorINSA_10device_ptrIjEEEEPS6_SG_NS0_5tupleIJNSA_16discard_iteratorINSA_11use_defaultEEESK_EEENSH_IJSG_SG_EEES6_PlJ7is_evenIjEEEE10hipError_tPvRmT3_T4_T5_T6_T7_T9_mT8_P12ihipStream_tbDpT10_ENKUlT_T0_E_clISt17integral_constantIbLb0EES19_EEDaS14_S15_EUlS14_E_NS1_11comp_targetILNS1_3genE10ELNS1_11target_archE1200ELNS1_3gpuE4ELNS1_3repE0EEENS1_30default_config_static_selectorELNS0_4arch9wavefront6targetE1EEEvT1_: ; @_ZN7rocprim17ROCPRIM_400000_NS6detail17trampoline_kernelINS0_14default_configENS1_25partition_config_selectorILNS1_17partition_subalgoE0EjNS0_10empty_typeEbEEZZNS1_14partition_implILS5_0ELb0ES3_jN6thrust23THRUST_200600_302600_NS6detail15normal_iteratorINSA_10device_ptrIjEEEEPS6_SG_NS0_5tupleIJNSA_16discard_iteratorINSA_11use_defaultEEESK_EEENSH_IJSG_SG_EEES6_PlJ7is_evenIjEEEE10hipError_tPvRmT3_T4_T5_T6_T7_T9_mT8_P12ihipStream_tbDpT10_ENKUlT_T0_E_clISt17integral_constantIbLb0EES19_EEDaS14_S15_EUlS14_E_NS1_11comp_targetILNS1_3genE10ELNS1_11target_archE1200ELNS1_3gpuE4ELNS1_3repE0EEENS1_30default_config_static_selectorELNS0_4arch9wavefront6targetE1EEEvT1_
; %bb.0:
	.section	.rodata,"a",@progbits
	.p2align	6, 0x0
	.amdhsa_kernel _ZN7rocprim17ROCPRIM_400000_NS6detail17trampoline_kernelINS0_14default_configENS1_25partition_config_selectorILNS1_17partition_subalgoE0EjNS0_10empty_typeEbEEZZNS1_14partition_implILS5_0ELb0ES3_jN6thrust23THRUST_200600_302600_NS6detail15normal_iteratorINSA_10device_ptrIjEEEEPS6_SG_NS0_5tupleIJNSA_16discard_iteratorINSA_11use_defaultEEESK_EEENSH_IJSG_SG_EEES6_PlJ7is_evenIjEEEE10hipError_tPvRmT3_T4_T5_T6_T7_T9_mT8_P12ihipStream_tbDpT10_ENKUlT_T0_E_clISt17integral_constantIbLb0EES19_EEDaS14_S15_EUlS14_E_NS1_11comp_targetILNS1_3genE10ELNS1_11target_archE1200ELNS1_3gpuE4ELNS1_3repE0EEENS1_30default_config_static_selectorELNS0_4arch9wavefront6targetE1EEEvT1_
		.amdhsa_group_segment_fixed_size 0
		.amdhsa_private_segment_fixed_size 0
		.amdhsa_kernarg_size 136
		.amdhsa_user_sgpr_count 6
		.amdhsa_user_sgpr_private_segment_buffer 1
		.amdhsa_user_sgpr_dispatch_ptr 0
		.amdhsa_user_sgpr_queue_ptr 0
		.amdhsa_user_sgpr_kernarg_segment_ptr 1
		.amdhsa_user_sgpr_dispatch_id 0
		.amdhsa_user_sgpr_flat_scratch_init 0
		.amdhsa_user_sgpr_kernarg_preload_length 0
		.amdhsa_user_sgpr_kernarg_preload_offset 0
		.amdhsa_user_sgpr_private_segment_size 0
		.amdhsa_uses_dynamic_stack 0
		.amdhsa_system_sgpr_private_segment_wavefront_offset 0
		.amdhsa_system_sgpr_workgroup_id_x 1
		.amdhsa_system_sgpr_workgroup_id_y 0
		.amdhsa_system_sgpr_workgroup_id_z 0
		.amdhsa_system_sgpr_workgroup_info 0
		.amdhsa_system_vgpr_workitem_id 0
		.amdhsa_next_free_vgpr 1
		.amdhsa_next_free_sgpr 0
		.amdhsa_accum_offset 4
		.amdhsa_reserve_vcc 0
		.amdhsa_reserve_flat_scratch 0
		.amdhsa_float_round_mode_32 0
		.amdhsa_float_round_mode_16_64 0
		.amdhsa_float_denorm_mode_32 3
		.amdhsa_float_denorm_mode_16_64 3
		.amdhsa_dx10_clamp 1
		.amdhsa_ieee_mode 1
		.amdhsa_fp16_overflow 0
		.amdhsa_tg_split 0
		.amdhsa_exception_fp_ieee_invalid_op 0
		.amdhsa_exception_fp_denorm_src 0
		.amdhsa_exception_fp_ieee_div_zero 0
		.amdhsa_exception_fp_ieee_overflow 0
		.amdhsa_exception_fp_ieee_underflow 0
		.amdhsa_exception_fp_ieee_inexact 0
		.amdhsa_exception_int_div_zero 0
	.end_amdhsa_kernel
	.section	.text._ZN7rocprim17ROCPRIM_400000_NS6detail17trampoline_kernelINS0_14default_configENS1_25partition_config_selectorILNS1_17partition_subalgoE0EjNS0_10empty_typeEbEEZZNS1_14partition_implILS5_0ELb0ES3_jN6thrust23THRUST_200600_302600_NS6detail15normal_iteratorINSA_10device_ptrIjEEEEPS6_SG_NS0_5tupleIJNSA_16discard_iteratorINSA_11use_defaultEEESK_EEENSH_IJSG_SG_EEES6_PlJ7is_evenIjEEEE10hipError_tPvRmT3_T4_T5_T6_T7_T9_mT8_P12ihipStream_tbDpT10_ENKUlT_T0_E_clISt17integral_constantIbLb0EES19_EEDaS14_S15_EUlS14_E_NS1_11comp_targetILNS1_3genE10ELNS1_11target_archE1200ELNS1_3gpuE4ELNS1_3repE0EEENS1_30default_config_static_selectorELNS0_4arch9wavefront6targetE1EEEvT1_,"axG",@progbits,_ZN7rocprim17ROCPRIM_400000_NS6detail17trampoline_kernelINS0_14default_configENS1_25partition_config_selectorILNS1_17partition_subalgoE0EjNS0_10empty_typeEbEEZZNS1_14partition_implILS5_0ELb0ES3_jN6thrust23THRUST_200600_302600_NS6detail15normal_iteratorINSA_10device_ptrIjEEEEPS6_SG_NS0_5tupleIJNSA_16discard_iteratorINSA_11use_defaultEEESK_EEENSH_IJSG_SG_EEES6_PlJ7is_evenIjEEEE10hipError_tPvRmT3_T4_T5_T6_T7_T9_mT8_P12ihipStream_tbDpT10_ENKUlT_T0_E_clISt17integral_constantIbLb0EES19_EEDaS14_S15_EUlS14_E_NS1_11comp_targetILNS1_3genE10ELNS1_11target_archE1200ELNS1_3gpuE4ELNS1_3repE0EEENS1_30default_config_static_selectorELNS0_4arch9wavefront6targetE1EEEvT1_,comdat
.Lfunc_end2400:
	.size	_ZN7rocprim17ROCPRIM_400000_NS6detail17trampoline_kernelINS0_14default_configENS1_25partition_config_selectorILNS1_17partition_subalgoE0EjNS0_10empty_typeEbEEZZNS1_14partition_implILS5_0ELb0ES3_jN6thrust23THRUST_200600_302600_NS6detail15normal_iteratorINSA_10device_ptrIjEEEEPS6_SG_NS0_5tupleIJNSA_16discard_iteratorINSA_11use_defaultEEESK_EEENSH_IJSG_SG_EEES6_PlJ7is_evenIjEEEE10hipError_tPvRmT3_T4_T5_T6_T7_T9_mT8_P12ihipStream_tbDpT10_ENKUlT_T0_E_clISt17integral_constantIbLb0EES19_EEDaS14_S15_EUlS14_E_NS1_11comp_targetILNS1_3genE10ELNS1_11target_archE1200ELNS1_3gpuE4ELNS1_3repE0EEENS1_30default_config_static_selectorELNS0_4arch9wavefront6targetE1EEEvT1_, .Lfunc_end2400-_ZN7rocprim17ROCPRIM_400000_NS6detail17trampoline_kernelINS0_14default_configENS1_25partition_config_selectorILNS1_17partition_subalgoE0EjNS0_10empty_typeEbEEZZNS1_14partition_implILS5_0ELb0ES3_jN6thrust23THRUST_200600_302600_NS6detail15normal_iteratorINSA_10device_ptrIjEEEEPS6_SG_NS0_5tupleIJNSA_16discard_iteratorINSA_11use_defaultEEESK_EEENSH_IJSG_SG_EEES6_PlJ7is_evenIjEEEE10hipError_tPvRmT3_T4_T5_T6_T7_T9_mT8_P12ihipStream_tbDpT10_ENKUlT_T0_E_clISt17integral_constantIbLb0EES19_EEDaS14_S15_EUlS14_E_NS1_11comp_targetILNS1_3genE10ELNS1_11target_archE1200ELNS1_3gpuE4ELNS1_3repE0EEENS1_30default_config_static_selectorELNS0_4arch9wavefront6targetE1EEEvT1_
                                        ; -- End function
	.section	.AMDGPU.csdata,"",@progbits
; Kernel info:
; codeLenInByte = 0
; NumSgprs: 4
; NumVgprs: 0
; NumAgprs: 0
; TotalNumVgprs: 0
; ScratchSize: 0
; MemoryBound: 0
; FloatMode: 240
; IeeeMode: 1
; LDSByteSize: 0 bytes/workgroup (compile time only)
; SGPRBlocks: 0
; VGPRBlocks: 0
; NumSGPRsForWavesPerEU: 4
; NumVGPRsForWavesPerEU: 1
; AccumOffset: 4
; Occupancy: 8
; WaveLimiterHint : 0
; COMPUTE_PGM_RSRC2:SCRATCH_EN: 0
; COMPUTE_PGM_RSRC2:USER_SGPR: 6
; COMPUTE_PGM_RSRC2:TRAP_HANDLER: 0
; COMPUTE_PGM_RSRC2:TGID_X_EN: 1
; COMPUTE_PGM_RSRC2:TGID_Y_EN: 0
; COMPUTE_PGM_RSRC2:TGID_Z_EN: 0
; COMPUTE_PGM_RSRC2:TIDIG_COMP_CNT: 0
; COMPUTE_PGM_RSRC3_GFX90A:ACCUM_OFFSET: 0
; COMPUTE_PGM_RSRC3_GFX90A:TG_SPLIT: 0
	.section	.text._ZN7rocprim17ROCPRIM_400000_NS6detail17trampoline_kernelINS0_14default_configENS1_25partition_config_selectorILNS1_17partition_subalgoE0EjNS0_10empty_typeEbEEZZNS1_14partition_implILS5_0ELb0ES3_jN6thrust23THRUST_200600_302600_NS6detail15normal_iteratorINSA_10device_ptrIjEEEEPS6_SG_NS0_5tupleIJNSA_16discard_iteratorINSA_11use_defaultEEESK_EEENSH_IJSG_SG_EEES6_PlJ7is_evenIjEEEE10hipError_tPvRmT3_T4_T5_T6_T7_T9_mT8_P12ihipStream_tbDpT10_ENKUlT_T0_E_clISt17integral_constantIbLb0EES19_EEDaS14_S15_EUlS14_E_NS1_11comp_targetILNS1_3genE9ELNS1_11target_archE1100ELNS1_3gpuE3ELNS1_3repE0EEENS1_30default_config_static_selectorELNS0_4arch9wavefront6targetE1EEEvT1_,"axG",@progbits,_ZN7rocprim17ROCPRIM_400000_NS6detail17trampoline_kernelINS0_14default_configENS1_25partition_config_selectorILNS1_17partition_subalgoE0EjNS0_10empty_typeEbEEZZNS1_14partition_implILS5_0ELb0ES3_jN6thrust23THRUST_200600_302600_NS6detail15normal_iteratorINSA_10device_ptrIjEEEEPS6_SG_NS0_5tupleIJNSA_16discard_iteratorINSA_11use_defaultEEESK_EEENSH_IJSG_SG_EEES6_PlJ7is_evenIjEEEE10hipError_tPvRmT3_T4_T5_T6_T7_T9_mT8_P12ihipStream_tbDpT10_ENKUlT_T0_E_clISt17integral_constantIbLb0EES19_EEDaS14_S15_EUlS14_E_NS1_11comp_targetILNS1_3genE9ELNS1_11target_archE1100ELNS1_3gpuE3ELNS1_3repE0EEENS1_30default_config_static_selectorELNS0_4arch9wavefront6targetE1EEEvT1_,comdat
	.protected	_ZN7rocprim17ROCPRIM_400000_NS6detail17trampoline_kernelINS0_14default_configENS1_25partition_config_selectorILNS1_17partition_subalgoE0EjNS0_10empty_typeEbEEZZNS1_14partition_implILS5_0ELb0ES3_jN6thrust23THRUST_200600_302600_NS6detail15normal_iteratorINSA_10device_ptrIjEEEEPS6_SG_NS0_5tupleIJNSA_16discard_iteratorINSA_11use_defaultEEESK_EEENSH_IJSG_SG_EEES6_PlJ7is_evenIjEEEE10hipError_tPvRmT3_T4_T5_T6_T7_T9_mT8_P12ihipStream_tbDpT10_ENKUlT_T0_E_clISt17integral_constantIbLb0EES19_EEDaS14_S15_EUlS14_E_NS1_11comp_targetILNS1_3genE9ELNS1_11target_archE1100ELNS1_3gpuE3ELNS1_3repE0EEENS1_30default_config_static_selectorELNS0_4arch9wavefront6targetE1EEEvT1_ ; -- Begin function _ZN7rocprim17ROCPRIM_400000_NS6detail17trampoline_kernelINS0_14default_configENS1_25partition_config_selectorILNS1_17partition_subalgoE0EjNS0_10empty_typeEbEEZZNS1_14partition_implILS5_0ELb0ES3_jN6thrust23THRUST_200600_302600_NS6detail15normal_iteratorINSA_10device_ptrIjEEEEPS6_SG_NS0_5tupleIJNSA_16discard_iteratorINSA_11use_defaultEEESK_EEENSH_IJSG_SG_EEES6_PlJ7is_evenIjEEEE10hipError_tPvRmT3_T4_T5_T6_T7_T9_mT8_P12ihipStream_tbDpT10_ENKUlT_T0_E_clISt17integral_constantIbLb0EES19_EEDaS14_S15_EUlS14_E_NS1_11comp_targetILNS1_3genE9ELNS1_11target_archE1100ELNS1_3gpuE3ELNS1_3repE0EEENS1_30default_config_static_selectorELNS0_4arch9wavefront6targetE1EEEvT1_
	.globl	_ZN7rocprim17ROCPRIM_400000_NS6detail17trampoline_kernelINS0_14default_configENS1_25partition_config_selectorILNS1_17partition_subalgoE0EjNS0_10empty_typeEbEEZZNS1_14partition_implILS5_0ELb0ES3_jN6thrust23THRUST_200600_302600_NS6detail15normal_iteratorINSA_10device_ptrIjEEEEPS6_SG_NS0_5tupleIJNSA_16discard_iteratorINSA_11use_defaultEEESK_EEENSH_IJSG_SG_EEES6_PlJ7is_evenIjEEEE10hipError_tPvRmT3_T4_T5_T6_T7_T9_mT8_P12ihipStream_tbDpT10_ENKUlT_T0_E_clISt17integral_constantIbLb0EES19_EEDaS14_S15_EUlS14_E_NS1_11comp_targetILNS1_3genE9ELNS1_11target_archE1100ELNS1_3gpuE3ELNS1_3repE0EEENS1_30default_config_static_selectorELNS0_4arch9wavefront6targetE1EEEvT1_
	.p2align	8
	.type	_ZN7rocprim17ROCPRIM_400000_NS6detail17trampoline_kernelINS0_14default_configENS1_25partition_config_selectorILNS1_17partition_subalgoE0EjNS0_10empty_typeEbEEZZNS1_14partition_implILS5_0ELb0ES3_jN6thrust23THRUST_200600_302600_NS6detail15normal_iteratorINSA_10device_ptrIjEEEEPS6_SG_NS0_5tupleIJNSA_16discard_iteratorINSA_11use_defaultEEESK_EEENSH_IJSG_SG_EEES6_PlJ7is_evenIjEEEE10hipError_tPvRmT3_T4_T5_T6_T7_T9_mT8_P12ihipStream_tbDpT10_ENKUlT_T0_E_clISt17integral_constantIbLb0EES19_EEDaS14_S15_EUlS14_E_NS1_11comp_targetILNS1_3genE9ELNS1_11target_archE1100ELNS1_3gpuE3ELNS1_3repE0EEENS1_30default_config_static_selectorELNS0_4arch9wavefront6targetE1EEEvT1_,@function
_ZN7rocprim17ROCPRIM_400000_NS6detail17trampoline_kernelINS0_14default_configENS1_25partition_config_selectorILNS1_17partition_subalgoE0EjNS0_10empty_typeEbEEZZNS1_14partition_implILS5_0ELb0ES3_jN6thrust23THRUST_200600_302600_NS6detail15normal_iteratorINSA_10device_ptrIjEEEEPS6_SG_NS0_5tupleIJNSA_16discard_iteratorINSA_11use_defaultEEESK_EEENSH_IJSG_SG_EEES6_PlJ7is_evenIjEEEE10hipError_tPvRmT3_T4_T5_T6_T7_T9_mT8_P12ihipStream_tbDpT10_ENKUlT_T0_E_clISt17integral_constantIbLb0EES19_EEDaS14_S15_EUlS14_E_NS1_11comp_targetILNS1_3genE9ELNS1_11target_archE1100ELNS1_3gpuE3ELNS1_3repE0EEENS1_30default_config_static_selectorELNS0_4arch9wavefront6targetE1EEEvT1_: ; @_ZN7rocprim17ROCPRIM_400000_NS6detail17trampoline_kernelINS0_14default_configENS1_25partition_config_selectorILNS1_17partition_subalgoE0EjNS0_10empty_typeEbEEZZNS1_14partition_implILS5_0ELb0ES3_jN6thrust23THRUST_200600_302600_NS6detail15normal_iteratorINSA_10device_ptrIjEEEEPS6_SG_NS0_5tupleIJNSA_16discard_iteratorINSA_11use_defaultEEESK_EEENSH_IJSG_SG_EEES6_PlJ7is_evenIjEEEE10hipError_tPvRmT3_T4_T5_T6_T7_T9_mT8_P12ihipStream_tbDpT10_ENKUlT_T0_E_clISt17integral_constantIbLb0EES19_EEDaS14_S15_EUlS14_E_NS1_11comp_targetILNS1_3genE9ELNS1_11target_archE1100ELNS1_3gpuE3ELNS1_3repE0EEENS1_30default_config_static_selectorELNS0_4arch9wavefront6targetE1EEEvT1_
; %bb.0:
	.section	.rodata,"a",@progbits
	.p2align	6, 0x0
	.amdhsa_kernel _ZN7rocprim17ROCPRIM_400000_NS6detail17trampoline_kernelINS0_14default_configENS1_25partition_config_selectorILNS1_17partition_subalgoE0EjNS0_10empty_typeEbEEZZNS1_14partition_implILS5_0ELb0ES3_jN6thrust23THRUST_200600_302600_NS6detail15normal_iteratorINSA_10device_ptrIjEEEEPS6_SG_NS0_5tupleIJNSA_16discard_iteratorINSA_11use_defaultEEESK_EEENSH_IJSG_SG_EEES6_PlJ7is_evenIjEEEE10hipError_tPvRmT3_T4_T5_T6_T7_T9_mT8_P12ihipStream_tbDpT10_ENKUlT_T0_E_clISt17integral_constantIbLb0EES19_EEDaS14_S15_EUlS14_E_NS1_11comp_targetILNS1_3genE9ELNS1_11target_archE1100ELNS1_3gpuE3ELNS1_3repE0EEENS1_30default_config_static_selectorELNS0_4arch9wavefront6targetE1EEEvT1_
		.amdhsa_group_segment_fixed_size 0
		.amdhsa_private_segment_fixed_size 0
		.amdhsa_kernarg_size 136
		.amdhsa_user_sgpr_count 6
		.amdhsa_user_sgpr_private_segment_buffer 1
		.amdhsa_user_sgpr_dispatch_ptr 0
		.amdhsa_user_sgpr_queue_ptr 0
		.amdhsa_user_sgpr_kernarg_segment_ptr 1
		.amdhsa_user_sgpr_dispatch_id 0
		.amdhsa_user_sgpr_flat_scratch_init 0
		.amdhsa_user_sgpr_kernarg_preload_length 0
		.amdhsa_user_sgpr_kernarg_preload_offset 0
		.amdhsa_user_sgpr_private_segment_size 0
		.amdhsa_uses_dynamic_stack 0
		.amdhsa_system_sgpr_private_segment_wavefront_offset 0
		.amdhsa_system_sgpr_workgroup_id_x 1
		.amdhsa_system_sgpr_workgroup_id_y 0
		.amdhsa_system_sgpr_workgroup_id_z 0
		.amdhsa_system_sgpr_workgroup_info 0
		.amdhsa_system_vgpr_workitem_id 0
		.amdhsa_next_free_vgpr 1
		.amdhsa_next_free_sgpr 0
		.amdhsa_accum_offset 4
		.amdhsa_reserve_vcc 0
		.amdhsa_reserve_flat_scratch 0
		.amdhsa_float_round_mode_32 0
		.amdhsa_float_round_mode_16_64 0
		.amdhsa_float_denorm_mode_32 3
		.amdhsa_float_denorm_mode_16_64 3
		.amdhsa_dx10_clamp 1
		.amdhsa_ieee_mode 1
		.amdhsa_fp16_overflow 0
		.amdhsa_tg_split 0
		.amdhsa_exception_fp_ieee_invalid_op 0
		.amdhsa_exception_fp_denorm_src 0
		.amdhsa_exception_fp_ieee_div_zero 0
		.amdhsa_exception_fp_ieee_overflow 0
		.amdhsa_exception_fp_ieee_underflow 0
		.amdhsa_exception_fp_ieee_inexact 0
		.amdhsa_exception_int_div_zero 0
	.end_amdhsa_kernel
	.section	.text._ZN7rocprim17ROCPRIM_400000_NS6detail17trampoline_kernelINS0_14default_configENS1_25partition_config_selectorILNS1_17partition_subalgoE0EjNS0_10empty_typeEbEEZZNS1_14partition_implILS5_0ELb0ES3_jN6thrust23THRUST_200600_302600_NS6detail15normal_iteratorINSA_10device_ptrIjEEEEPS6_SG_NS0_5tupleIJNSA_16discard_iteratorINSA_11use_defaultEEESK_EEENSH_IJSG_SG_EEES6_PlJ7is_evenIjEEEE10hipError_tPvRmT3_T4_T5_T6_T7_T9_mT8_P12ihipStream_tbDpT10_ENKUlT_T0_E_clISt17integral_constantIbLb0EES19_EEDaS14_S15_EUlS14_E_NS1_11comp_targetILNS1_3genE9ELNS1_11target_archE1100ELNS1_3gpuE3ELNS1_3repE0EEENS1_30default_config_static_selectorELNS0_4arch9wavefront6targetE1EEEvT1_,"axG",@progbits,_ZN7rocprim17ROCPRIM_400000_NS6detail17trampoline_kernelINS0_14default_configENS1_25partition_config_selectorILNS1_17partition_subalgoE0EjNS0_10empty_typeEbEEZZNS1_14partition_implILS5_0ELb0ES3_jN6thrust23THRUST_200600_302600_NS6detail15normal_iteratorINSA_10device_ptrIjEEEEPS6_SG_NS0_5tupleIJNSA_16discard_iteratorINSA_11use_defaultEEESK_EEENSH_IJSG_SG_EEES6_PlJ7is_evenIjEEEE10hipError_tPvRmT3_T4_T5_T6_T7_T9_mT8_P12ihipStream_tbDpT10_ENKUlT_T0_E_clISt17integral_constantIbLb0EES19_EEDaS14_S15_EUlS14_E_NS1_11comp_targetILNS1_3genE9ELNS1_11target_archE1100ELNS1_3gpuE3ELNS1_3repE0EEENS1_30default_config_static_selectorELNS0_4arch9wavefront6targetE1EEEvT1_,comdat
.Lfunc_end2401:
	.size	_ZN7rocprim17ROCPRIM_400000_NS6detail17trampoline_kernelINS0_14default_configENS1_25partition_config_selectorILNS1_17partition_subalgoE0EjNS0_10empty_typeEbEEZZNS1_14partition_implILS5_0ELb0ES3_jN6thrust23THRUST_200600_302600_NS6detail15normal_iteratorINSA_10device_ptrIjEEEEPS6_SG_NS0_5tupleIJNSA_16discard_iteratorINSA_11use_defaultEEESK_EEENSH_IJSG_SG_EEES6_PlJ7is_evenIjEEEE10hipError_tPvRmT3_T4_T5_T6_T7_T9_mT8_P12ihipStream_tbDpT10_ENKUlT_T0_E_clISt17integral_constantIbLb0EES19_EEDaS14_S15_EUlS14_E_NS1_11comp_targetILNS1_3genE9ELNS1_11target_archE1100ELNS1_3gpuE3ELNS1_3repE0EEENS1_30default_config_static_selectorELNS0_4arch9wavefront6targetE1EEEvT1_, .Lfunc_end2401-_ZN7rocprim17ROCPRIM_400000_NS6detail17trampoline_kernelINS0_14default_configENS1_25partition_config_selectorILNS1_17partition_subalgoE0EjNS0_10empty_typeEbEEZZNS1_14partition_implILS5_0ELb0ES3_jN6thrust23THRUST_200600_302600_NS6detail15normal_iteratorINSA_10device_ptrIjEEEEPS6_SG_NS0_5tupleIJNSA_16discard_iteratorINSA_11use_defaultEEESK_EEENSH_IJSG_SG_EEES6_PlJ7is_evenIjEEEE10hipError_tPvRmT3_T4_T5_T6_T7_T9_mT8_P12ihipStream_tbDpT10_ENKUlT_T0_E_clISt17integral_constantIbLb0EES19_EEDaS14_S15_EUlS14_E_NS1_11comp_targetILNS1_3genE9ELNS1_11target_archE1100ELNS1_3gpuE3ELNS1_3repE0EEENS1_30default_config_static_selectorELNS0_4arch9wavefront6targetE1EEEvT1_
                                        ; -- End function
	.section	.AMDGPU.csdata,"",@progbits
; Kernel info:
; codeLenInByte = 0
; NumSgprs: 4
; NumVgprs: 0
; NumAgprs: 0
; TotalNumVgprs: 0
; ScratchSize: 0
; MemoryBound: 0
; FloatMode: 240
; IeeeMode: 1
; LDSByteSize: 0 bytes/workgroup (compile time only)
; SGPRBlocks: 0
; VGPRBlocks: 0
; NumSGPRsForWavesPerEU: 4
; NumVGPRsForWavesPerEU: 1
; AccumOffset: 4
; Occupancy: 8
; WaveLimiterHint : 0
; COMPUTE_PGM_RSRC2:SCRATCH_EN: 0
; COMPUTE_PGM_RSRC2:USER_SGPR: 6
; COMPUTE_PGM_RSRC2:TRAP_HANDLER: 0
; COMPUTE_PGM_RSRC2:TGID_X_EN: 1
; COMPUTE_PGM_RSRC2:TGID_Y_EN: 0
; COMPUTE_PGM_RSRC2:TGID_Z_EN: 0
; COMPUTE_PGM_RSRC2:TIDIG_COMP_CNT: 0
; COMPUTE_PGM_RSRC3_GFX90A:ACCUM_OFFSET: 0
; COMPUTE_PGM_RSRC3_GFX90A:TG_SPLIT: 0
	.section	.text._ZN7rocprim17ROCPRIM_400000_NS6detail17trampoline_kernelINS0_14default_configENS1_25partition_config_selectorILNS1_17partition_subalgoE0EjNS0_10empty_typeEbEEZZNS1_14partition_implILS5_0ELb0ES3_jN6thrust23THRUST_200600_302600_NS6detail15normal_iteratorINSA_10device_ptrIjEEEEPS6_SG_NS0_5tupleIJNSA_16discard_iteratorINSA_11use_defaultEEESK_EEENSH_IJSG_SG_EEES6_PlJ7is_evenIjEEEE10hipError_tPvRmT3_T4_T5_T6_T7_T9_mT8_P12ihipStream_tbDpT10_ENKUlT_T0_E_clISt17integral_constantIbLb0EES19_EEDaS14_S15_EUlS14_E_NS1_11comp_targetILNS1_3genE8ELNS1_11target_archE1030ELNS1_3gpuE2ELNS1_3repE0EEENS1_30default_config_static_selectorELNS0_4arch9wavefront6targetE1EEEvT1_,"axG",@progbits,_ZN7rocprim17ROCPRIM_400000_NS6detail17trampoline_kernelINS0_14default_configENS1_25partition_config_selectorILNS1_17partition_subalgoE0EjNS0_10empty_typeEbEEZZNS1_14partition_implILS5_0ELb0ES3_jN6thrust23THRUST_200600_302600_NS6detail15normal_iteratorINSA_10device_ptrIjEEEEPS6_SG_NS0_5tupleIJNSA_16discard_iteratorINSA_11use_defaultEEESK_EEENSH_IJSG_SG_EEES6_PlJ7is_evenIjEEEE10hipError_tPvRmT3_T4_T5_T6_T7_T9_mT8_P12ihipStream_tbDpT10_ENKUlT_T0_E_clISt17integral_constantIbLb0EES19_EEDaS14_S15_EUlS14_E_NS1_11comp_targetILNS1_3genE8ELNS1_11target_archE1030ELNS1_3gpuE2ELNS1_3repE0EEENS1_30default_config_static_selectorELNS0_4arch9wavefront6targetE1EEEvT1_,comdat
	.protected	_ZN7rocprim17ROCPRIM_400000_NS6detail17trampoline_kernelINS0_14default_configENS1_25partition_config_selectorILNS1_17partition_subalgoE0EjNS0_10empty_typeEbEEZZNS1_14partition_implILS5_0ELb0ES3_jN6thrust23THRUST_200600_302600_NS6detail15normal_iteratorINSA_10device_ptrIjEEEEPS6_SG_NS0_5tupleIJNSA_16discard_iteratorINSA_11use_defaultEEESK_EEENSH_IJSG_SG_EEES6_PlJ7is_evenIjEEEE10hipError_tPvRmT3_T4_T5_T6_T7_T9_mT8_P12ihipStream_tbDpT10_ENKUlT_T0_E_clISt17integral_constantIbLb0EES19_EEDaS14_S15_EUlS14_E_NS1_11comp_targetILNS1_3genE8ELNS1_11target_archE1030ELNS1_3gpuE2ELNS1_3repE0EEENS1_30default_config_static_selectorELNS0_4arch9wavefront6targetE1EEEvT1_ ; -- Begin function _ZN7rocprim17ROCPRIM_400000_NS6detail17trampoline_kernelINS0_14default_configENS1_25partition_config_selectorILNS1_17partition_subalgoE0EjNS0_10empty_typeEbEEZZNS1_14partition_implILS5_0ELb0ES3_jN6thrust23THRUST_200600_302600_NS6detail15normal_iteratorINSA_10device_ptrIjEEEEPS6_SG_NS0_5tupleIJNSA_16discard_iteratorINSA_11use_defaultEEESK_EEENSH_IJSG_SG_EEES6_PlJ7is_evenIjEEEE10hipError_tPvRmT3_T4_T5_T6_T7_T9_mT8_P12ihipStream_tbDpT10_ENKUlT_T0_E_clISt17integral_constantIbLb0EES19_EEDaS14_S15_EUlS14_E_NS1_11comp_targetILNS1_3genE8ELNS1_11target_archE1030ELNS1_3gpuE2ELNS1_3repE0EEENS1_30default_config_static_selectorELNS0_4arch9wavefront6targetE1EEEvT1_
	.globl	_ZN7rocprim17ROCPRIM_400000_NS6detail17trampoline_kernelINS0_14default_configENS1_25partition_config_selectorILNS1_17partition_subalgoE0EjNS0_10empty_typeEbEEZZNS1_14partition_implILS5_0ELb0ES3_jN6thrust23THRUST_200600_302600_NS6detail15normal_iteratorINSA_10device_ptrIjEEEEPS6_SG_NS0_5tupleIJNSA_16discard_iteratorINSA_11use_defaultEEESK_EEENSH_IJSG_SG_EEES6_PlJ7is_evenIjEEEE10hipError_tPvRmT3_T4_T5_T6_T7_T9_mT8_P12ihipStream_tbDpT10_ENKUlT_T0_E_clISt17integral_constantIbLb0EES19_EEDaS14_S15_EUlS14_E_NS1_11comp_targetILNS1_3genE8ELNS1_11target_archE1030ELNS1_3gpuE2ELNS1_3repE0EEENS1_30default_config_static_selectorELNS0_4arch9wavefront6targetE1EEEvT1_
	.p2align	8
	.type	_ZN7rocprim17ROCPRIM_400000_NS6detail17trampoline_kernelINS0_14default_configENS1_25partition_config_selectorILNS1_17partition_subalgoE0EjNS0_10empty_typeEbEEZZNS1_14partition_implILS5_0ELb0ES3_jN6thrust23THRUST_200600_302600_NS6detail15normal_iteratorINSA_10device_ptrIjEEEEPS6_SG_NS0_5tupleIJNSA_16discard_iteratorINSA_11use_defaultEEESK_EEENSH_IJSG_SG_EEES6_PlJ7is_evenIjEEEE10hipError_tPvRmT3_T4_T5_T6_T7_T9_mT8_P12ihipStream_tbDpT10_ENKUlT_T0_E_clISt17integral_constantIbLb0EES19_EEDaS14_S15_EUlS14_E_NS1_11comp_targetILNS1_3genE8ELNS1_11target_archE1030ELNS1_3gpuE2ELNS1_3repE0EEENS1_30default_config_static_selectorELNS0_4arch9wavefront6targetE1EEEvT1_,@function
_ZN7rocprim17ROCPRIM_400000_NS6detail17trampoline_kernelINS0_14default_configENS1_25partition_config_selectorILNS1_17partition_subalgoE0EjNS0_10empty_typeEbEEZZNS1_14partition_implILS5_0ELb0ES3_jN6thrust23THRUST_200600_302600_NS6detail15normal_iteratorINSA_10device_ptrIjEEEEPS6_SG_NS0_5tupleIJNSA_16discard_iteratorINSA_11use_defaultEEESK_EEENSH_IJSG_SG_EEES6_PlJ7is_evenIjEEEE10hipError_tPvRmT3_T4_T5_T6_T7_T9_mT8_P12ihipStream_tbDpT10_ENKUlT_T0_E_clISt17integral_constantIbLb0EES19_EEDaS14_S15_EUlS14_E_NS1_11comp_targetILNS1_3genE8ELNS1_11target_archE1030ELNS1_3gpuE2ELNS1_3repE0EEENS1_30default_config_static_selectorELNS0_4arch9wavefront6targetE1EEEvT1_: ; @_ZN7rocprim17ROCPRIM_400000_NS6detail17trampoline_kernelINS0_14default_configENS1_25partition_config_selectorILNS1_17partition_subalgoE0EjNS0_10empty_typeEbEEZZNS1_14partition_implILS5_0ELb0ES3_jN6thrust23THRUST_200600_302600_NS6detail15normal_iteratorINSA_10device_ptrIjEEEEPS6_SG_NS0_5tupleIJNSA_16discard_iteratorINSA_11use_defaultEEESK_EEENSH_IJSG_SG_EEES6_PlJ7is_evenIjEEEE10hipError_tPvRmT3_T4_T5_T6_T7_T9_mT8_P12ihipStream_tbDpT10_ENKUlT_T0_E_clISt17integral_constantIbLb0EES19_EEDaS14_S15_EUlS14_E_NS1_11comp_targetILNS1_3genE8ELNS1_11target_archE1030ELNS1_3gpuE2ELNS1_3repE0EEENS1_30default_config_static_selectorELNS0_4arch9wavefront6targetE1EEEvT1_
; %bb.0:
	.section	.rodata,"a",@progbits
	.p2align	6, 0x0
	.amdhsa_kernel _ZN7rocprim17ROCPRIM_400000_NS6detail17trampoline_kernelINS0_14default_configENS1_25partition_config_selectorILNS1_17partition_subalgoE0EjNS0_10empty_typeEbEEZZNS1_14partition_implILS5_0ELb0ES3_jN6thrust23THRUST_200600_302600_NS6detail15normal_iteratorINSA_10device_ptrIjEEEEPS6_SG_NS0_5tupleIJNSA_16discard_iteratorINSA_11use_defaultEEESK_EEENSH_IJSG_SG_EEES6_PlJ7is_evenIjEEEE10hipError_tPvRmT3_T4_T5_T6_T7_T9_mT8_P12ihipStream_tbDpT10_ENKUlT_T0_E_clISt17integral_constantIbLb0EES19_EEDaS14_S15_EUlS14_E_NS1_11comp_targetILNS1_3genE8ELNS1_11target_archE1030ELNS1_3gpuE2ELNS1_3repE0EEENS1_30default_config_static_selectorELNS0_4arch9wavefront6targetE1EEEvT1_
		.amdhsa_group_segment_fixed_size 0
		.amdhsa_private_segment_fixed_size 0
		.amdhsa_kernarg_size 136
		.amdhsa_user_sgpr_count 6
		.amdhsa_user_sgpr_private_segment_buffer 1
		.amdhsa_user_sgpr_dispatch_ptr 0
		.amdhsa_user_sgpr_queue_ptr 0
		.amdhsa_user_sgpr_kernarg_segment_ptr 1
		.amdhsa_user_sgpr_dispatch_id 0
		.amdhsa_user_sgpr_flat_scratch_init 0
		.amdhsa_user_sgpr_kernarg_preload_length 0
		.amdhsa_user_sgpr_kernarg_preload_offset 0
		.amdhsa_user_sgpr_private_segment_size 0
		.amdhsa_uses_dynamic_stack 0
		.amdhsa_system_sgpr_private_segment_wavefront_offset 0
		.amdhsa_system_sgpr_workgroup_id_x 1
		.amdhsa_system_sgpr_workgroup_id_y 0
		.amdhsa_system_sgpr_workgroup_id_z 0
		.amdhsa_system_sgpr_workgroup_info 0
		.amdhsa_system_vgpr_workitem_id 0
		.amdhsa_next_free_vgpr 1
		.amdhsa_next_free_sgpr 0
		.amdhsa_accum_offset 4
		.amdhsa_reserve_vcc 0
		.amdhsa_reserve_flat_scratch 0
		.amdhsa_float_round_mode_32 0
		.amdhsa_float_round_mode_16_64 0
		.amdhsa_float_denorm_mode_32 3
		.amdhsa_float_denorm_mode_16_64 3
		.amdhsa_dx10_clamp 1
		.amdhsa_ieee_mode 1
		.amdhsa_fp16_overflow 0
		.amdhsa_tg_split 0
		.amdhsa_exception_fp_ieee_invalid_op 0
		.amdhsa_exception_fp_denorm_src 0
		.amdhsa_exception_fp_ieee_div_zero 0
		.amdhsa_exception_fp_ieee_overflow 0
		.amdhsa_exception_fp_ieee_underflow 0
		.amdhsa_exception_fp_ieee_inexact 0
		.amdhsa_exception_int_div_zero 0
	.end_amdhsa_kernel
	.section	.text._ZN7rocprim17ROCPRIM_400000_NS6detail17trampoline_kernelINS0_14default_configENS1_25partition_config_selectorILNS1_17partition_subalgoE0EjNS0_10empty_typeEbEEZZNS1_14partition_implILS5_0ELb0ES3_jN6thrust23THRUST_200600_302600_NS6detail15normal_iteratorINSA_10device_ptrIjEEEEPS6_SG_NS0_5tupleIJNSA_16discard_iteratorINSA_11use_defaultEEESK_EEENSH_IJSG_SG_EEES6_PlJ7is_evenIjEEEE10hipError_tPvRmT3_T4_T5_T6_T7_T9_mT8_P12ihipStream_tbDpT10_ENKUlT_T0_E_clISt17integral_constantIbLb0EES19_EEDaS14_S15_EUlS14_E_NS1_11comp_targetILNS1_3genE8ELNS1_11target_archE1030ELNS1_3gpuE2ELNS1_3repE0EEENS1_30default_config_static_selectorELNS0_4arch9wavefront6targetE1EEEvT1_,"axG",@progbits,_ZN7rocprim17ROCPRIM_400000_NS6detail17trampoline_kernelINS0_14default_configENS1_25partition_config_selectorILNS1_17partition_subalgoE0EjNS0_10empty_typeEbEEZZNS1_14partition_implILS5_0ELb0ES3_jN6thrust23THRUST_200600_302600_NS6detail15normal_iteratorINSA_10device_ptrIjEEEEPS6_SG_NS0_5tupleIJNSA_16discard_iteratorINSA_11use_defaultEEESK_EEENSH_IJSG_SG_EEES6_PlJ7is_evenIjEEEE10hipError_tPvRmT3_T4_T5_T6_T7_T9_mT8_P12ihipStream_tbDpT10_ENKUlT_T0_E_clISt17integral_constantIbLb0EES19_EEDaS14_S15_EUlS14_E_NS1_11comp_targetILNS1_3genE8ELNS1_11target_archE1030ELNS1_3gpuE2ELNS1_3repE0EEENS1_30default_config_static_selectorELNS0_4arch9wavefront6targetE1EEEvT1_,comdat
.Lfunc_end2402:
	.size	_ZN7rocprim17ROCPRIM_400000_NS6detail17trampoline_kernelINS0_14default_configENS1_25partition_config_selectorILNS1_17partition_subalgoE0EjNS0_10empty_typeEbEEZZNS1_14partition_implILS5_0ELb0ES3_jN6thrust23THRUST_200600_302600_NS6detail15normal_iteratorINSA_10device_ptrIjEEEEPS6_SG_NS0_5tupleIJNSA_16discard_iteratorINSA_11use_defaultEEESK_EEENSH_IJSG_SG_EEES6_PlJ7is_evenIjEEEE10hipError_tPvRmT3_T4_T5_T6_T7_T9_mT8_P12ihipStream_tbDpT10_ENKUlT_T0_E_clISt17integral_constantIbLb0EES19_EEDaS14_S15_EUlS14_E_NS1_11comp_targetILNS1_3genE8ELNS1_11target_archE1030ELNS1_3gpuE2ELNS1_3repE0EEENS1_30default_config_static_selectorELNS0_4arch9wavefront6targetE1EEEvT1_, .Lfunc_end2402-_ZN7rocprim17ROCPRIM_400000_NS6detail17trampoline_kernelINS0_14default_configENS1_25partition_config_selectorILNS1_17partition_subalgoE0EjNS0_10empty_typeEbEEZZNS1_14partition_implILS5_0ELb0ES3_jN6thrust23THRUST_200600_302600_NS6detail15normal_iteratorINSA_10device_ptrIjEEEEPS6_SG_NS0_5tupleIJNSA_16discard_iteratorINSA_11use_defaultEEESK_EEENSH_IJSG_SG_EEES6_PlJ7is_evenIjEEEE10hipError_tPvRmT3_T4_T5_T6_T7_T9_mT8_P12ihipStream_tbDpT10_ENKUlT_T0_E_clISt17integral_constantIbLb0EES19_EEDaS14_S15_EUlS14_E_NS1_11comp_targetILNS1_3genE8ELNS1_11target_archE1030ELNS1_3gpuE2ELNS1_3repE0EEENS1_30default_config_static_selectorELNS0_4arch9wavefront6targetE1EEEvT1_
                                        ; -- End function
	.section	.AMDGPU.csdata,"",@progbits
; Kernel info:
; codeLenInByte = 0
; NumSgprs: 4
; NumVgprs: 0
; NumAgprs: 0
; TotalNumVgprs: 0
; ScratchSize: 0
; MemoryBound: 0
; FloatMode: 240
; IeeeMode: 1
; LDSByteSize: 0 bytes/workgroup (compile time only)
; SGPRBlocks: 0
; VGPRBlocks: 0
; NumSGPRsForWavesPerEU: 4
; NumVGPRsForWavesPerEU: 1
; AccumOffset: 4
; Occupancy: 8
; WaveLimiterHint : 0
; COMPUTE_PGM_RSRC2:SCRATCH_EN: 0
; COMPUTE_PGM_RSRC2:USER_SGPR: 6
; COMPUTE_PGM_RSRC2:TRAP_HANDLER: 0
; COMPUTE_PGM_RSRC2:TGID_X_EN: 1
; COMPUTE_PGM_RSRC2:TGID_Y_EN: 0
; COMPUTE_PGM_RSRC2:TGID_Z_EN: 0
; COMPUTE_PGM_RSRC2:TIDIG_COMP_CNT: 0
; COMPUTE_PGM_RSRC3_GFX90A:ACCUM_OFFSET: 0
; COMPUTE_PGM_RSRC3_GFX90A:TG_SPLIT: 0
	.section	.text._ZN7rocprim17ROCPRIM_400000_NS6detail17trampoline_kernelINS0_14default_configENS1_25partition_config_selectorILNS1_17partition_subalgoE0EjNS0_10empty_typeEbEEZZNS1_14partition_implILS5_0ELb0ES3_jN6thrust23THRUST_200600_302600_NS6detail15normal_iteratorINSA_10device_ptrIjEEEEPS6_SG_NS0_5tupleIJNSA_16discard_iteratorINSA_11use_defaultEEESK_EEENSH_IJSG_SG_EEES6_PlJ7is_evenIjEEEE10hipError_tPvRmT3_T4_T5_T6_T7_T9_mT8_P12ihipStream_tbDpT10_ENKUlT_T0_E_clISt17integral_constantIbLb1EES19_EEDaS14_S15_EUlS14_E_NS1_11comp_targetILNS1_3genE0ELNS1_11target_archE4294967295ELNS1_3gpuE0ELNS1_3repE0EEENS1_30default_config_static_selectorELNS0_4arch9wavefront6targetE1EEEvT1_,"axG",@progbits,_ZN7rocprim17ROCPRIM_400000_NS6detail17trampoline_kernelINS0_14default_configENS1_25partition_config_selectorILNS1_17partition_subalgoE0EjNS0_10empty_typeEbEEZZNS1_14partition_implILS5_0ELb0ES3_jN6thrust23THRUST_200600_302600_NS6detail15normal_iteratorINSA_10device_ptrIjEEEEPS6_SG_NS0_5tupleIJNSA_16discard_iteratorINSA_11use_defaultEEESK_EEENSH_IJSG_SG_EEES6_PlJ7is_evenIjEEEE10hipError_tPvRmT3_T4_T5_T6_T7_T9_mT8_P12ihipStream_tbDpT10_ENKUlT_T0_E_clISt17integral_constantIbLb1EES19_EEDaS14_S15_EUlS14_E_NS1_11comp_targetILNS1_3genE0ELNS1_11target_archE4294967295ELNS1_3gpuE0ELNS1_3repE0EEENS1_30default_config_static_selectorELNS0_4arch9wavefront6targetE1EEEvT1_,comdat
	.protected	_ZN7rocprim17ROCPRIM_400000_NS6detail17trampoline_kernelINS0_14default_configENS1_25partition_config_selectorILNS1_17partition_subalgoE0EjNS0_10empty_typeEbEEZZNS1_14partition_implILS5_0ELb0ES3_jN6thrust23THRUST_200600_302600_NS6detail15normal_iteratorINSA_10device_ptrIjEEEEPS6_SG_NS0_5tupleIJNSA_16discard_iteratorINSA_11use_defaultEEESK_EEENSH_IJSG_SG_EEES6_PlJ7is_evenIjEEEE10hipError_tPvRmT3_T4_T5_T6_T7_T9_mT8_P12ihipStream_tbDpT10_ENKUlT_T0_E_clISt17integral_constantIbLb1EES19_EEDaS14_S15_EUlS14_E_NS1_11comp_targetILNS1_3genE0ELNS1_11target_archE4294967295ELNS1_3gpuE0ELNS1_3repE0EEENS1_30default_config_static_selectorELNS0_4arch9wavefront6targetE1EEEvT1_ ; -- Begin function _ZN7rocprim17ROCPRIM_400000_NS6detail17trampoline_kernelINS0_14default_configENS1_25partition_config_selectorILNS1_17partition_subalgoE0EjNS0_10empty_typeEbEEZZNS1_14partition_implILS5_0ELb0ES3_jN6thrust23THRUST_200600_302600_NS6detail15normal_iteratorINSA_10device_ptrIjEEEEPS6_SG_NS0_5tupleIJNSA_16discard_iteratorINSA_11use_defaultEEESK_EEENSH_IJSG_SG_EEES6_PlJ7is_evenIjEEEE10hipError_tPvRmT3_T4_T5_T6_T7_T9_mT8_P12ihipStream_tbDpT10_ENKUlT_T0_E_clISt17integral_constantIbLb1EES19_EEDaS14_S15_EUlS14_E_NS1_11comp_targetILNS1_3genE0ELNS1_11target_archE4294967295ELNS1_3gpuE0ELNS1_3repE0EEENS1_30default_config_static_selectorELNS0_4arch9wavefront6targetE1EEEvT1_
	.globl	_ZN7rocprim17ROCPRIM_400000_NS6detail17trampoline_kernelINS0_14default_configENS1_25partition_config_selectorILNS1_17partition_subalgoE0EjNS0_10empty_typeEbEEZZNS1_14partition_implILS5_0ELb0ES3_jN6thrust23THRUST_200600_302600_NS6detail15normal_iteratorINSA_10device_ptrIjEEEEPS6_SG_NS0_5tupleIJNSA_16discard_iteratorINSA_11use_defaultEEESK_EEENSH_IJSG_SG_EEES6_PlJ7is_evenIjEEEE10hipError_tPvRmT3_T4_T5_T6_T7_T9_mT8_P12ihipStream_tbDpT10_ENKUlT_T0_E_clISt17integral_constantIbLb1EES19_EEDaS14_S15_EUlS14_E_NS1_11comp_targetILNS1_3genE0ELNS1_11target_archE4294967295ELNS1_3gpuE0ELNS1_3repE0EEENS1_30default_config_static_selectorELNS0_4arch9wavefront6targetE1EEEvT1_
	.p2align	8
	.type	_ZN7rocprim17ROCPRIM_400000_NS6detail17trampoline_kernelINS0_14default_configENS1_25partition_config_selectorILNS1_17partition_subalgoE0EjNS0_10empty_typeEbEEZZNS1_14partition_implILS5_0ELb0ES3_jN6thrust23THRUST_200600_302600_NS6detail15normal_iteratorINSA_10device_ptrIjEEEEPS6_SG_NS0_5tupleIJNSA_16discard_iteratorINSA_11use_defaultEEESK_EEENSH_IJSG_SG_EEES6_PlJ7is_evenIjEEEE10hipError_tPvRmT3_T4_T5_T6_T7_T9_mT8_P12ihipStream_tbDpT10_ENKUlT_T0_E_clISt17integral_constantIbLb1EES19_EEDaS14_S15_EUlS14_E_NS1_11comp_targetILNS1_3genE0ELNS1_11target_archE4294967295ELNS1_3gpuE0ELNS1_3repE0EEENS1_30default_config_static_selectorELNS0_4arch9wavefront6targetE1EEEvT1_,@function
_ZN7rocprim17ROCPRIM_400000_NS6detail17trampoline_kernelINS0_14default_configENS1_25partition_config_selectorILNS1_17partition_subalgoE0EjNS0_10empty_typeEbEEZZNS1_14partition_implILS5_0ELb0ES3_jN6thrust23THRUST_200600_302600_NS6detail15normal_iteratorINSA_10device_ptrIjEEEEPS6_SG_NS0_5tupleIJNSA_16discard_iteratorINSA_11use_defaultEEESK_EEENSH_IJSG_SG_EEES6_PlJ7is_evenIjEEEE10hipError_tPvRmT3_T4_T5_T6_T7_T9_mT8_P12ihipStream_tbDpT10_ENKUlT_T0_E_clISt17integral_constantIbLb1EES19_EEDaS14_S15_EUlS14_E_NS1_11comp_targetILNS1_3genE0ELNS1_11target_archE4294967295ELNS1_3gpuE0ELNS1_3repE0EEENS1_30default_config_static_selectorELNS0_4arch9wavefront6targetE1EEEvT1_: ; @_ZN7rocprim17ROCPRIM_400000_NS6detail17trampoline_kernelINS0_14default_configENS1_25partition_config_selectorILNS1_17partition_subalgoE0EjNS0_10empty_typeEbEEZZNS1_14partition_implILS5_0ELb0ES3_jN6thrust23THRUST_200600_302600_NS6detail15normal_iteratorINSA_10device_ptrIjEEEEPS6_SG_NS0_5tupleIJNSA_16discard_iteratorINSA_11use_defaultEEESK_EEENSH_IJSG_SG_EEES6_PlJ7is_evenIjEEEE10hipError_tPvRmT3_T4_T5_T6_T7_T9_mT8_P12ihipStream_tbDpT10_ENKUlT_T0_E_clISt17integral_constantIbLb1EES19_EEDaS14_S15_EUlS14_E_NS1_11comp_targetILNS1_3genE0ELNS1_11target_archE4294967295ELNS1_3gpuE0ELNS1_3repE0EEENS1_30default_config_static_selectorELNS0_4arch9wavefront6targetE1EEEvT1_
; %bb.0:
	.section	.rodata,"a",@progbits
	.p2align	6, 0x0
	.amdhsa_kernel _ZN7rocprim17ROCPRIM_400000_NS6detail17trampoline_kernelINS0_14default_configENS1_25partition_config_selectorILNS1_17partition_subalgoE0EjNS0_10empty_typeEbEEZZNS1_14partition_implILS5_0ELb0ES3_jN6thrust23THRUST_200600_302600_NS6detail15normal_iteratorINSA_10device_ptrIjEEEEPS6_SG_NS0_5tupleIJNSA_16discard_iteratorINSA_11use_defaultEEESK_EEENSH_IJSG_SG_EEES6_PlJ7is_evenIjEEEE10hipError_tPvRmT3_T4_T5_T6_T7_T9_mT8_P12ihipStream_tbDpT10_ENKUlT_T0_E_clISt17integral_constantIbLb1EES19_EEDaS14_S15_EUlS14_E_NS1_11comp_targetILNS1_3genE0ELNS1_11target_archE4294967295ELNS1_3gpuE0ELNS1_3repE0EEENS1_30default_config_static_selectorELNS0_4arch9wavefront6targetE1EEEvT1_
		.amdhsa_group_segment_fixed_size 0
		.amdhsa_private_segment_fixed_size 0
		.amdhsa_kernarg_size 152
		.amdhsa_user_sgpr_count 6
		.amdhsa_user_sgpr_private_segment_buffer 1
		.amdhsa_user_sgpr_dispatch_ptr 0
		.amdhsa_user_sgpr_queue_ptr 0
		.amdhsa_user_sgpr_kernarg_segment_ptr 1
		.amdhsa_user_sgpr_dispatch_id 0
		.amdhsa_user_sgpr_flat_scratch_init 0
		.amdhsa_user_sgpr_kernarg_preload_length 0
		.amdhsa_user_sgpr_kernarg_preload_offset 0
		.amdhsa_user_sgpr_private_segment_size 0
		.amdhsa_uses_dynamic_stack 0
		.amdhsa_system_sgpr_private_segment_wavefront_offset 0
		.amdhsa_system_sgpr_workgroup_id_x 1
		.amdhsa_system_sgpr_workgroup_id_y 0
		.amdhsa_system_sgpr_workgroup_id_z 0
		.amdhsa_system_sgpr_workgroup_info 0
		.amdhsa_system_vgpr_workitem_id 0
		.amdhsa_next_free_vgpr 1
		.amdhsa_next_free_sgpr 0
		.amdhsa_accum_offset 4
		.amdhsa_reserve_vcc 0
		.amdhsa_reserve_flat_scratch 0
		.amdhsa_float_round_mode_32 0
		.amdhsa_float_round_mode_16_64 0
		.amdhsa_float_denorm_mode_32 3
		.amdhsa_float_denorm_mode_16_64 3
		.amdhsa_dx10_clamp 1
		.amdhsa_ieee_mode 1
		.amdhsa_fp16_overflow 0
		.amdhsa_tg_split 0
		.amdhsa_exception_fp_ieee_invalid_op 0
		.amdhsa_exception_fp_denorm_src 0
		.amdhsa_exception_fp_ieee_div_zero 0
		.amdhsa_exception_fp_ieee_overflow 0
		.amdhsa_exception_fp_ieee_underflow 0
		.amdhsa_exception_fp_ieee_inexact 0
		.amdhsa_exception_int_div_zero 0
	.end_amdhsa_kernel
	.section	.text._ZN7rocprim17ROCPRIM_400000_NS6detail17trampoline_kernelINS0_14default_configENS1_25partition_config_selectorILNS1_17partition_subalgoE0EjNS0_10empty_typeEbEEZZNS1_14partition_implILS5_0ELb0ES3_jN6thrust23THRUST_200600_302600_NS6detail15normal_iteratorINSA_10device_ptrIjEEEEPS6_SG_NS0_5tupleIJNSA_16discard_iteratorINSA_11use_defaultEEESK_EEENSH_IJSG_SG_EEES6_PlJ7is_evenIjEEEE10hipError_tPvRmT3_T4_T5_T6_T7_T9_mT8_P12ihipStream_tbDpT10_ENKUlT_T0_E_clISt17integral_constantIbLb1EES19_EEDaS14_S15_EUlS14_E_NS1_11comp_targetILNS1_3genE0ELNS1_11target_archE4294967295ELNS1_3gpuE0ELNS1_3repE0EEENS1_30default_config_static_selectorELNS0_4arch9wavefront6targetE1EEEvT1_,"axG",@progbits,_ZN7rocprim17ROCPRIM_400000_NS6detail17trampoline_kernelINS0_14default_configENS1_25partition_config_selectorILNS1_17partition_subalgoE0EjNS0_10empty_typeEbEEZZNS1_14partition_implILS5_0ELb0ES3_jN6thrust23THRUST_200600_302600_NS6detail15normal_iteratorINSA_10device_ptrIjEEEEPS6_SG_NS0_5tupleIJNSA_16discard_iteratorINSA_11use_defaultEEESK_EEENSH_IJSG_SG_EEES6_PlJ7is_evenIjEEEE10hipError_tPvRmT3_T4_T5_T6_T7_T9_mT8_P12ihipStream_tbDpT10_ENKUlT_T0_E_clISt17integral_constantIbLb1EES19_EEDaS14_S15_EUlS14_E_NS1_11comp_targetILNS1_3genE0ELNS1_11target_archE4294967295ELNS1_3gpuE0ELNS1_3repE0EEENS1_30default_config_static_selectorELNS0_4arch9wavefront6targetE1EEEvT1_,comdat
.Lfunc_end2403:
	.size	_ZN7rocprim17ROCPRIM_400000_NS6detail17trampoline_kernelINS0_14default_configENS1_25partition_config_selectorILNS1_17partition_subalgoE0EjNS0_10empty_typeEbEEZZNS1_14partition_implILS5_0ELb0ES3_jN6thrust23THRUST_200600_302600_NS6detail15normal_iteratorINSA_10device_ptrIjEEEEPS6_SG_NS0_5tupleIJNSA_16discard_iteratorINSA_11use_defaultEEESK_EEENSH_IJSG_SG_EEES6_PlJ7is_evenIjEEEE10hipError_tPvRmT3_T4_T5_T6_T7_T9_mT8_P12ihipStream_tbDpT10_ENKUlT_T0_E_clISt17integral_constantIbLb1EES19_EEDaS14_S15_EUlS14_E_NS1_11comp_targetILNS1_3genE0ELNS1_11target_archE4294967295ELNS1_3gpuE0ELNS1_3repE0EEENS1_30default_config_static_selectorELNS0_4arch9wavefront6targetE1EEEvT1_, .Lfunc_end2403-_ZN7rocprim17ROCPRIM_400000_NS6detail17trampoline_kernelINS0_14default_configENS1_25partition_config_selectorILNS1_17partition_subalgoE0EjNS0_10empty_typeEbEEZZNS1_14partition_implILS5_0ELb0ES3_jN6thrust23THRUST_200600_302600_NS6detail15normal_iteratorINSA_10device_ptrIjEEEEPS6_SG_NS0_5tupleIJNSA_16discard_iteratorINSA_11use_defaultEEESK_EEENSH_IJSG_SG_EEES6_PlJ7is_evenIjEEEE10hipError_tPvRmT3_T4_T5_T6_T7_T9_mT8_P12ihipStream_tbDpT10_ENKUlT_T0_E_clISt17integral_constantIbLb1EES19_EEDaS14_S15_EUlS14_E_NS1_11comp_targetILNS1_3genE0ELNS1_11target_archE4294967295ELNS1_3gpuE0ELNS1_3repE0EEENS1_30default_config_static_selectorELNS0_4arch9wavefront6targetE1EEEvT1_
                                        ; -- End function
	.section	.AMDGPU.csdata,"",@progbits
; Kernel info:
; codeLenInByte = 0
; NumSgprs: 4
; NumVgprs: 0
; NumAgprs: 0
; TotalNumVgprs: 0
; ScratchSize: 0
; MemoryBound: 0
; FloatMode: 240
; IeeeMode: 1
; LDSByteSize: 0 bytes/workgroup (compile time only)
; SGPRBlocks: 0
; VGPRBlocks: 0
; NumSGPRsForWavesPerEU: 4
; NumVGPRsForWavesPerEU: 1
; AccumOffset: 4
; Occupancy: 8
; WaveLimiterHint : 0
; COMPUTE_PGM_RSRC2:SCRATCH_EN: 0
; COMPUTE_PGM_RSRC2:USER_SGPR: 6
; COMPUTE_PGM_RSRC2:TRAP_HANDLER: 0
; COMPUTE_PGM_RSRC2:TGID_X_EN: 1
; COMPUTE_PGM_RSRC2:TGID_Y_EN: 0
; COMPUTE_PGM_RSRC2:TGID_Z_EN: 0
; COMPUTE_PGM_RSRC2:TIDIG_COMP_CNT: 0
; COMPUTE_PGM_RSRC3_GFX90A:ACCUM_OFFSET: 0
; COMPUTE_PGM_RSRC3_GFX90A:TG_SPLIT: 0
	.section	.text._ZN7rocprim17ROCPRIM_400000_NS6detail17trampoline_kernelINS0_14default_configENS1_25partition_config_selectorILNS1_17partition_subalgoE0EjNS0_10empty_typeEbEEZZNS1_14partition_implILS5_0ELb0ES3_jN6thrust23THRUST_200600_302600_NS6detail15normal_iteratorINSA_10device_ptrIjEEEEPS6_SG_NS0_5tupleIJNSA_16discard_iteratorINSA_11use_defaultEEESK_EEENSH_IJSG_SG_EEES6_PlJ7is_evenIjEEEE10hipError_tPvRmT3_T4_T5_T6_T7_T9_mT8_P12ihipStream_tbDpT10_ENKUlT_T0_E_clISt17integral_constantIbLb1EES19_EEDaS14_S15_EUlS14_E_NS1_11comp_targetILNS1_3genE5ELNS1_11target_archE942ELNS1_3gpuE9ELNS1_3repE0EEENS1_30default_config_static_selectorELNS0_4arch9wavefront6targetE1EEEvT1_,"axG",@progbits,_ZN7rocprim17ROCPRIM_400000_NS6detail17trampoline_kernelINS0_14default_configENS1_25partition_config_selectorILNS1_17partition_subalgoE0EjNS0_10empty_typeEbEEZZNS1_14partition_implILS5_0ELb0ES3_jN6thrust23THRUST_200600_302600_NS6detail15normal_iteratorINSA_10device_ptrIjEEEEPS6_SG_NS0_5tupleIJNSA_16discard_iteratorINSA_11use_defaultEEESK_EEENSH_IJSG_SG_EEES6_PlJ7is_evenIjEEEE10hipError_tPvRmT3_T4_T5_T6_T7_T9_mT8_P12ihipStream_tbDpT10_ENKUlT_T0_E_clISt17integral_constantIbLb1EES19_EEDaS14_S15_EUlS14_E_NS1_11comp_targetILNS1_3genE5ELNS1_11target_archE942ELNS1_3gpuE9ELNS1_3repE0EEENS1_30default_config_static_selectorELNS0_4arch9wavefront6targetE1EEEvT1_,comdat
	.protected	_ZN7rocprim17ROCPRIM_400000_NS6detail17trampoline_kernelINS0_14default_configENS1_25partition_config_selectorILNS1_17partition_subalgoE0EjNS0_10empty_typeEbEEZZNS1_14partition_implILS5_0ELb0ES3_jN6thrust23THRUST_200600_302600_NS6detail15normal_iteratorINSA_10device_ptrIjEEEEPS6_SG_NS0_5tupleIJNSA_16discard_iteratorINSA_11use_defaultEEESK_EEENSH_IJSG_SG_EEES6_PlJ7is_evenIjEEEE10hipError_tPvRmT3_T4_T5_T6_T7_T9_mT8_P12ihipStream_tbDpT10_ENKUlT_T0_E_clISt17integral_constantIbLb1EES19_EEDaS14_S15_EUlS14_E_NS1_11comp_targetILNS1_3genE5ELNS1_11target_archE942ELNS1_3gpuE9ELNS1_3repE0EEENS1_30default_config_static_selectorELNS0_4arch9wavefront6targetE1EEEvT1_ ; -- Begin function _ZN7rocprim17ROCPRIM_400000_NS6detail17trampoline_kernelINS0_14default_configENS1_25partition_config_selectorILNS1_17partition_subalgoE0EjNS0_10empty_typeEbEEZZNS1_14partition_implILS5_0ELb0ES3_jN6thrust23THRUST_200600_302600_NS6detail15normal_iteratorINSA_10device_ptrIjEEEEPS6_SG_NS0_5tupleIJNSA_16discard_iteratorINSA_11use_defaultEEESK_EEENSH_IJSG_SG_EEES6_PlJ7is_evenIjEEEE10hipError_tPvRmT3_T4_T5_T6_T7_T9_mT8_P12ihipStream_tbDpT10_ENKUlT_T0_E_clISt17integral_constantIbLb1EES19_EEDaS14_S15_EUlS14_E_NS1_11comp_targetILNS1_3genE5ELNS1_11target_archE942ELNS1_3gpuE9ELNS1_3repE0EEENS1_30default_config_static_selectorELNS0_4arch9wavefront6targetE1EEEvT1_
	.globl	_ZN7rocprim17ROCPRIM_400000_NS6detail17trampoline_kernelINS0_14default_configENS1_25partition_config_selectorILNS1_17partition_subalgoE0EjNS0_10empty_typeEbEEZZNS1_14partition_implILS5_0ELb0ES3_jN6thrust23THRUST_200600_302600_NS6detail15normal_iteratorINSA_10device_ptrIjEEEEPS6_SG_NS0_5tupleIJNSA_16discard_iteratorINSA_11use_defaultEEESK_EEENSH_IJSG_SG_EEES6_PlJ7is_evenIjEEEE10hipError_tPvRmT3_T4_T5_T6_T7_T9_mT8_P12ihipStream_tbDpT10_ENKUlT_T0_E_clISt17integral_constantIbLb1EES19_EEDaS14_S15_EUlS14_E_NS1_11comp_targetILNS1_3genE5ELNS1_11target_archE942ELNS1_3gpuE9ELNS1_3repE0EEENS1_30default_config_static_selectorELNS0_4arch9wavefront6targetE1EEEvT1_
	.p2align	8
	.type	_ZN7rocprim17ROCPRIM_400000_NS6detail17trampoline_kernelINS0_14default_configENS1_25partition_config_selectorILNS1_17partition_subalgoE0EjNS0_10empty_typeEbEEZZNS1_14partition_implILS5_0ELb0ES3_jN6thrust23THRUST_200600_302600_NS6detail15normal_iteratorINSA_10device_ptrIjEEEEPS6_SG_NS0_5tupleIJNSA_16discard_iteratorINSA_11use_defaultEEESK_EEENSH_IJSG_SG_EEES6_PlJ7is_evenIjEEEE10hipError_tPvRmT3_T4_T5_T6_T7_T9_mT8_P12ihipStream_tbDpT10_ENKUlT_T0_E_clISt17integral_constantIbLb1EES19_EEDaS14_S15_EUlS14_E_NS1_11comp_targetILNS1_3genE5ELNS1_11target_archE942ELNS1_3gpuE9ELNS1_3repE0EEENS1_30default_config_static_selectorELNS0_4arch9wavefront6targetE1EEEvT1_,@function
_ZN7rocprim17ROCPRIM_400000_NS6detail17trampoline_kernelINS0_14default_configENS1_25partition_config_selectorILNS1_17partition_subalgoE0EjNS0_10empty_typeEbEEZZNS1_14partition_implILS5_0ELb0ES3_jN6thrust23THRUST_200600_302600_NS6detail15normal_iteratorINSA_10device_ptrIjEEEEPS6_SG_NS0_5tupleIJNSA_16discard_iteratorINSA_11use_defaultEEESK_EEENSH_IJSG_SG_EEES6_PlJ7is_evenIjEEEE10hipError_tPvRmT3_T4_T5_T6_T7_T9_mT8_P12ihipStream_tbDpT10_ENKUlT_T0_E_clISt17integral_constantIbLb1EES19_EEDaS14_S15_EUlS14_E_NS1_11comp_targetILNS1_3genE5ELNS1_11target_archE942ELNS1_3gpuE9ELNS1_3repE0EEENS1_30default_config_static_selectorELNS0_4arch9wavefront6targetE1EEEvT1_: ; @_ZN7rocprim17ROCPRIM_400000_NS6detail17trampoline_kernelINS0_14default_configENS1_25partition_config_selectorILNS1_17partition_subalgoE0EjNS0_10empty_typeEbEEZZNS1_14partition_implILS5_0ELb0ES3_jN6thrust23THRUST_200600_302600_NS6detail15normal_iteratorINSA_10device_ptrIjEEEEPS6_SG_NS0_5tupleIJNSA_16discard_iteratorINSA_11use_defaultEEESK_EEENSH_IJSG_SG_EEES6_PlJ7is_evenIjEEEE10hipError_tPvRmT3_T4_T5_T6_T7_T9_mT8_P12ihipStream_tbDpT10_ENKUlT_T0_E_clISt17integral_constantIbLb1EES19_EEDaS14_S15_EUlS14_E_NS1_11comp_targetILNS1_3genE5ELNS1_11target_archE942ELNS1_3gpuE9ELNS1_3repE0EEENS1_30default_config_static_selectorELNS0_4arch9wavefront6targetE1EEEvT1_
; %bb.0:
	.section	.rodata,"a",@progbits
	.p2align	6, 0x0
	.amdhsa_kernel _ZN7rocprim17ROCPRIM_400000_NS6detail17trampoline_kernelINS0_14default_configENS1_25partition_config_selectorILNS1_17partition_subalgoE0EjNS0_10empty_typeEbEEZZNS1_14partition_implILS5_0ELb0ES3_jN6thrust23THRUST_200600_302600_NS6detail15normal_iteratorINSA_10device_ptrIjEEEEPS6_SG_NS0_5tupleIJNSA_16discard_iteratorINSA_11use_defaultEEESK_EEENSH_IJSG_SG_EEES6_PlJ7is_evenIjEEEE10hipError_tPvRmT3_T4_T5_T6_T7_T9_mT8_P12ihipStream_tbDpT10_ENKUlT_T0_E_clISt17integral_constantIbLb1EES19_EEDaS14_S15_EUlS14_E_NS1_11comp_targetILNS1_3genE5ELNS1_11target_archE942ELNS1_3gpuE9ELNS1_3repE0EEENS1_30default_config_static_selectorELNS0_4arch9wavefront6targetE1EEEvT1_
		.amdhsa_group_segment_fixed_size 0
		.amdhsa_private_segment_fixed_size 0
		.amdhsa_kernarg_size 152
		.amdhsa_user_sgpr_count 6
		.amdhsa_user_sgpr_private_segment_buffer 1
		.amdhsa_user_sgpr_dispatch_ptr 0
		.amdhsa_user_sgpr_queue_ptr 0
		.amdhsa_user_sgpr_kernarg_segment_ptr 1
		.amdhsa_user_sgpr_dispatch_id 0
		.amdhsa_user_sgpr_flat_scratch_init 0
		.amdhsa_user_sgpr_kernarg_preload_length 0
		.amdhsa_user_sgpr_kernarg_preload_offset 0
		.amdhsa_user_sgpr_private_segment_size 0
		.amdhsa_uses_dynamic_stack 0
		.amdhsa_system_sgpr_private_segment_wavefront_offset 0
		.amdhsa_system_sgpr_workgroup_id_x 1
		.amdhsa_system_sgpr_workgroup_id_y 0
		.amdhsa_system_sgpr_workgroup_id_z 0
		.amdhsa_system_sgpr_workgroup_info 0
		.amdhsa_system_vgpr_workitem_id 0
		.amdhsa_next_free_vgpr 1
		.amdhsa_next_free_sgpr 0
		.amdhsa_accum_offset 4
		.amdhsa_reserve_vcc 0
		.amdhsa_reserve_flat_scratch 0
		.amdhsa_float_round_mode_32 0
		.amdhsa_float_round_mode_16_64 0
		.amdhsa_float_denorm_mode_32 3
		.amdhsa_float_denorm_mode_16_64 3
		.amdhsa_dx10_clamp 1
		.amdhsa_ieee_mode 1
		.amdhsa_fp16_overflow 0
		.amdhsa_tg_split 0
		.amdhsa_exception_fp_ieee_invalid_op 0
		.amdhsa_exception_fp_denorm_src 0
		.amdhsa_exception_fp_ieee_div_zero 0
		.amdhsa_exception_fp_ieee_overflow 0
		.amdhsa_exception_fp_ieee_underflow 0
		.amdhsa_exception_fp_ieee_inexact 0
		.amdhsa_exception_int_div_zero 0
	.end_amdhsa_kernel
	.section	.text._ZN7rocprim17ROCPRIM_400000_NS6detail17trampoline_kernelINS0_14default_configENS1_25partition_config_selectorILNS1_17partition_subalgoE0EjNS0_10empty_typeEbEEZZNS1_14partition_implILS5_0ELb0ES3_jN6thrust23THRUST_200600_302600_NS6detail15normal_iteratorINSA_10device_ptrIjEEEEPS6_SG_NS0_5tupleIJNSA_16discard_iteratorINSA_11use_defaultEEESK_EEENSH_IJSG_SG_EEES6_PlJ7is_evenIjEEEE10hipError_tPvRmT3_T4_T5_T6_T7_T9_mT8_P12ihipStream_tbDpT10_ENKUlT_T0_E_clISt17integral_constantIbLb1EES19_EEDaS14_S15_EUlS14_E_NS1_11comp_targetILNS1_3genE5ELNS1_11target_archE942ELNS1_3gpuE9ELNS1_3repE0EEENS1_30default_config_static_selectorELNS0_4arch9wavefront6targetE1EEEvT1_,"axG",@progbits,_ZN7rocprim17ROCPRIM_400000_NS6detail17trampoline_kernelINS0_14default_configENS1_25partition_config_selectorILNS1_17partition_subalgoE0EjNS0_10empty_typeEbEEZZNS1_14partition_implILS5_0ELb0ES3_jN6thrust23THRUST_200600_302600_NS6detail15normal_iteratorINSA_10device_ptrIjEEEEPS6_SG_NS0_5tupleIJNSA_16discard_iteratorINSA_11use_defaultEEESK_EEENSH_IJSG_SG_EEES6_PlJ7is_evenIjEEEE10hipError_tPvRmT3_T4_T5_T6_T7_T9_mT8_P12ihipStream_tbDpT10_ENKUlT_T0_E_clISt17integral_constantIbLb1EES19_EEDaS14_S15_EUlS14_E_NS1_11comp_targetILNS1_3genE5ELNS1_11target_archE942ELNS1_3gpuE9ELNS1_3repE0EEENS1_30default_config_static_selectorELNS0_4arch9wavefront6targetE1EEEvT1_,comdat
.Lfunc_end2404:
	.size	_ZN7rocprim17ROCPRIM_400000_NS6detail17trampoline_kernelINS0_14default_configENS1_25partition_config_selectorILNS1_17partition_subalgoE0EjNS0_10empty_typeEbEEZZNS1_14partition_implILS5_0ELb0ES3_jN6thrust23THRUST_200600_302600_NS6detail15normal_iteratorINSA_10device_ptrIjEEEEPS6_SG_NS0_5tupleIJNSA_16discard_iteratorINSA_11use_defaultEEESK_EEENSH_IJSG_SG_EEES6_PlJ7is_evenIjEEEE10hipError_tPvRmT3_T4_T5_T6_T7_T9_mT8_P12ihipStream_tbDpT10_ENKUlT_T0_E_clISt17integral_constantIbLb1EES19_EEDaS14_S15_EUlS14_E_NS1_11comp_targetILNS1_3genE5ELNS1_11target_archE942ELNS1_3gpuE9ELNS1_3repE0EEENS1_30default_config_static_selectorELNS0_4arch9wavefront6targetE1EEEvT1_, .Lfunc_end2404-_ZN7rocprim17ROCPRIM_400000_NS6detail17trampoline_kernelINS0_14default_configENS1_25partition_config_selectorILNS1_17partition_subalgoE0EjNS0_10empty_typeEbEEZZNS1_14partition_implILS5_0ELb0ES3_jN6thrust23THRUST_200600_302600_NS6detail15normal_iteratorINSA_10device_ptrIjEEEEPS6_SG_NS0_5tupleIJNSA_16discard_iteratorINSA_11use_defaultEEESK_EEENSH_IJSG_SG_EEES6_PlJ7is_evenIjEEEE10hipError_tPvRmT3_T4_T5_T6_T7_T9_mT8_P12ihipStream_tbDpT10_ENKUlT_T0_E_clISt17integral_constantIbLb1EES19_EEDaS14_S15_EUlS14_E_NS1_11comp_targetILNS1_3genE5ELNS1_11target_archE942ELNS1_3gpuE9ELNS1_3repE0EEENS1_30default_config_static_selectorELNS0_4arch9wavefront6targetE1EEEvT1_
                                        ; -- End function
	.section	.AMDGPU.csdata,"",@progbits
; Kernel info:
; codeLenInByte = 0
; NumSgprs: 4
; NumVgprs: 0
; NumAgprs: 0
; TotalNumVgprs: 0
; ScratchSize: 0
; MemoryBound: 0
; FloatMode: 240
; IeeeMode: 1
; LDSByteSize: 0 bytes/workgroup (compile time only)
; SGPRBlocks: 0
; VGPRBlocks: 0
; NumSGPRsForWavesPerEU: 4
; NumVGPRsForWavesPerEU: 1
; AccumOffset: 4
; Occupancy: 8
; WaveLimiterHint : 0
; COMPUTE_PGM_RSRC2:SCRATCH_EN: 0
; COMPUTE_PGM_RSRC2:USER_SGPR: 6
; COMPUTE_PGM_RSRC2:TRAP_HANDLER: 0
; COMPUTE_PGM_RSRC2:TGID_X_EN: 1
; COMPUTE_PGM_RSRC2:TGID_Y_EN: 0
; COMPUTE_PGM_RSRC2:TGID_Z_EN: 0
; COMPUTE_PGM_RSRC2:TIDIG_COMP_CNT: 0
; COMPUTE_PGM_RSRC3_GFX90A:ACCUM_OFFSET: 0
; COMPUTE_PGM_RSRC3_GFX90A:TG_SPLIT: 0
	.section	.text._ZN7rocprim17ROCPRIM_400000_NS6detail17trampoline_kernelINS0_14default_configENS1_25partition_config_selectorILNS1_17partition_subalgoE0EjNS0_10empty_typeEbEEZZNS1_14partition_implILS5_0ELb0ES3_jN6thrust23THRUST_200600_302600_NS6detail15normal_iteratorINSA_10device_ptrIjEEEEPS6_SG_NS0_5tupleIJNSA_16discard_iteratorINSA_11use_defaultEEESK_EEENSH_IJSG_SG_EEES6_PlJ7is_evenIjEEEE10hipError_tPvRmT3_T4_T5_T6_T7_T9_mT8_P12ihipStream_tbDpT10_ENKUlT_T0_E_clISt17integral_constantIbLb1EES19_EEDaS14_S15_EUlS14_E_NS1_11comp_targetILNS1_3genE4ELNS1_11target_archE910ELNS1_3gpuE8ELNS1_3repE0EEENS1_30default_config_static_selectorELNS0_4arch9wavefront6targetE1EEEvT1_,"axG",@progbits,_ZN7rocprim17ROCPRIM_400000_NS6detail17trampoline_kernelINS0_14default_configENS1_25partition_config_selectorILNS1_17partition_subalgoE0EjNS0_10empty_typeEbEEZZNS1_14partition_implILS5_0ELb0ES3_jN6thrust23THRUST_200600_302600_NS6detail15normal_iteratorINSA_10device_ptrIjEEEEPS6_SG_NS0_5tupleIJNSA_16discard_iteratorINSA_11use_defaultEEESK_EEENSH_IJSG_SG_EEES6_PlJ7is_evenIjEEEE10hipError_tPvRmT3_T4_T5_T6_T7_T9_mT8_P12ihipStream_tbDpT10_ENKUlT_T0_E_clISt17integral_constantIbLb1EES19_EEDaS14_S15_EUlS14_E_NS1_11comp_targetILNS1_3genE4ELNS1_11target_archE910ELNS1_3gpuE8ELNS1_3repE0EEENS1_30default_config_static_selectorELNS0_4arch9wavefront6targetE1EEEvT1_,comdat
	.protected	_ZN7rocprim17ROCPRIM_400000_NS6detail17trampoline_kernelINS0_14default_configENS1_25partition_config_selectorILNS1_17partition_subalgoE0EjNS0_10empty_typeEbEEZZNS1_14partition_implILS5_0ELb0ES3_jN6thrust23THRUST_200600_302600_NS6detail15normal_iteratorINSA_10device_ptrIjEEEEPS6_SG_NS0_5tupleIJNSA_16discard_iteratorINSA_11use_defaultEEESK_EEENSH_IJSG_SG_EEES6_PlJ7is_evenIjEEEE10hipError_tPvRmT3_T4_T5_T6_T7_T9_mT8_P12ihipStream_tbDpT10_ENKUlT_T0_E_clISt17integral_constantIbLb1EES19_EEDaS14_S15_EUlS14_E_NS1_11comp_targetILNS1_3genE4ELNS1_11target_archE910ELNS1_3gpuE8ELNS1_3repE0EEENS1_30default_config_static_selectorELNS0_4arch9wavefront6targetE1EEEvT1_ ; -- Begin function _ZN7rocprim17ROCPRIM_400000_NS6detail17trampoline_kernelINS0_14default_configENS1_25partition_config_selectorILNS1_17partition_subalgoE0EjNS0_10empty_typeEbEEZZNS1_14partition_implILS5_0ELb0ES3_jN6thrust23THRUST_200600_302600_NS6detail15normal_iteratorINSA_10device_ptrIjEEEEPS6_SG_NS0_5tupleIJNSA_16discard_iteratorINSA_11use_defaultEEESK_EEENSH_IJSG_SG_EEES6_PlJ7is_evenIjEEEE10hipError_tPvRmT3_T4_T5_T6_T7_T9_mT8_P12ihipStream_tbDpT10_ENKUlT_T0_E_clISt17integral_constantIbLb1EES19_EEDaS14_S15_EUlS14_E_NS1_11comp_targetILNS1_3genE4ELNS1_11target_archE910ELNS1_3gpuE8ELNS1_3repE0EEENS1_30default_config_static_selectorELNS0_4arch9wavefront6targetE1EEEvT1_
	.globl	_ZN7rocprim17ROCPRIM_400000_NS6detail17trampoline_kernelINS0_14default_configENS1_25partition_config_selectorILNS1_17partition_subalgoE0EjNS0_10empty_typeEbEEZZNS1_14partition_implILS5_0ELb0ES3_jN6thrust23THRUST_200600_302600_NS6detail15normal_iteratorINSA_10device_ptrIjEEEEPS6_SG_NS0_5tupleIJNSA_16discard_iteratorINSA_11use_defaultEEESK_EEENSH_IJSG_SG_EEES6_PlJ7is_evenIjEEEE10hipError_tPvRmT3_T4_T5_T6_T7_T9_mT8_P12ihipStream_tbDpT10_ENKUlT_T0_E_clISt17integral_constantIbLb1EES19_EEDaS14_S15_EUlS14_E_NS1_11comp_targetILNS1_3genE4ELNS1_11target_archE910ELNS1_3gpuE8ELNS1_3repE0EEENS1_30default_config_static_selectorELNS0_4arch9wavefront6targetE1EEEvT1_
	.p2align	8
	.type	_ZN7rocprim17ROCPRIM_400000_NS6detail17trampoline_kernelINS0_14default_configENS1_25partition_config_selectorILNS1_17partition_subalgoE0EjNS0_10empty_typeEbEEZZNS1_14partition_implILS5_0ELb0ES3_jN6thrust23THRUST_200600_302600_NS6detail15normal_iteratorINSA_10device_ptrIjEEEEPS6_SG_NS0_5tupleIJNSA_16discard_iteratorINSA_11use_defaultEEESK_EEENSH_IJSG_SG_EEES6_PlJ7is_evenIjEEEE10hipError_tPvRmT3_T4_T5_T6_T7_T9_mT8_P12ihipStream_tbDpT10_ENKUlT_T0_E_clISt17integral_constantIbLb1EES19_EEDaS14_S15_EUlS14_E_NS1_11comp_targetILNS1_3genE4ELNS1_11target_archE910ELNS1_3gpuE8ELNS1_3repE0EEENS1_30default_config_static_selectorELNS0_4arch9wavefront6targetE1EEEvT1_,@function
_ZN7rocprim17ROCPRIM_400000_NS6detail17trampoline_kernelINS0_14default_configENS1_25partition_config_selectorILNS1_17partition_subalgoE0EjNS0_10empty_typeEbEEZZNS1_14partition_implILS5_0ELb0ES3_jN6thrust23THRUST_200600_302600_NS6detail15normal_iteratorINSA_10device_ptrIjEEEEPS6_SG_NS0_5tupleIJNSA_16discard_iteratorINSA_11use_defaultEEESK_EEENSH_IJSG_SG_EEES6_PlJ7is_evenIjEEEE10hipError_tPvRmT3_T4_T5_T6_T7_T9_mT8_P12ihipStream_tbDpT10_ENKUlT_T0_E_clISt17integral_constantIbLb1EES19_EEDaS14_S15_EUlS14_E_NS1_11comp_targetILNS1_3genE4ELNS1_11target_archE910ELNS1_3gpuE8ELNS1_3repE0EEENS1_30default_config_static_selectorELNS0_4arch9wavefront6targetE1EEEvT1_: ; @_ZN7rocprim17ROCPRIM_400000_NS6detail17trampoline_kernelINS0_14default_configENS1_25partition_config_selectorILNS1_17partition_subalgoE0EjNS0_10empty_typeEbEEZZNS1_14partition_implILS5_0ELb0ES3_jN6thrust23THRUST_200600_302600_NS6detail15normal_iteratorINSA_10device_ptrIjEEEEPS6_SG_NS0_5tupleIJNSA_16discard_iteratorINSA_11use_defaultEEESK_EEENSH_IJSG_SG_EEES6_PlJ7is_evenIjEEEE10hipError_tPvRmT3_T4_T5_T6_T7_T9_mT8_P12ihipStream_tbDpT10_ENKUlT_T0_E_clISt17integral_constantIbLb1EES19_EEDaS14_S15_EUlS14_E_NS1_11comp_targetILNS1_3genE4ELNS1_11target_archE910ELNS1_3gpuE8ELNS1_3repE0EEENS1_30default_config_static_selectorELNS0_4arch9wavefront6targetE1EEEvT1_
; %bb.0:
	s_load_dwordx2 s[2:3], s[4:5], 0x68
	s_load_dwordx4 s[20:23], s[4:5], 0x58
	s_load_dwordx2 s[24:25], s[4:5], 0x78
	v_cmp_eq_u32_e64 s[0:1], 0, v0
	s_and_saveexec_b64 s[6:7], s[0:1]
	s_cbranch_execz .LBB2405_4
; %bb.1:
	s_mov_b64 s[10:11], exec
	v_mbcnt_lo_u32_b32 v1, s10, 0
	v_mbcnt_hi_u32_b32 v1, s11, v1
	v_cmp_eq_u32_e32 vcc, 0, v1
                                        ; implicit-def: $vgpr2
	s_and_saveexec_b64 s[8:9], vcc
	s_cbranch_execz .LBB2405_3
; %bb.2:
	s_load_dwordx2 s[12:13], s[4:5], 0x88
	s_bcnt1_i32_b64 s10, s[10:11]
	v_mov_b32_e32 v2, 0
	v_mov_b32_e32 v3, s10
	s_waitcnt lgkmcnt(0)
	global_atomic_add v2, v2, v3, s[12:13] glc
.LBB2405_3:
	s_or_b64 exec, exec, s[8:9]
	s_waitcnt vmcnt(0)
	v_readfirstlane_b32 s8, v2
	v_add_u32_e32 v1, s8, v1
	v_mov_b32_e32 v2, 0
	ds_write_b32 v2, v1
.LBB2405_4:
	s_or_b64 exec, exec, s[6:7]
	v_mov_b32_e32 v3, 0
	s_load_dwordx4 s[8:11], s[4:5], 0x8
	s_load_dword s6, s[4:5], 0x80
	s_waitcnt lgkmcnt(0)
	s_barrier
	ds_read_b32 v1, v3
	s_waitcnt lgkmcnt(0)
	s_barrier
	global_load_dwordx2 v[12:13], v3, s[22:23]
	v_mov_b32_e32 v5, s3
	s_lshl_b64 s[4:5], s[10:11], 2
	s_movk_i32 s3, 0xa00
	s_add_u32 s4, s8, s4
	v_mul_lo_u32 v2, v1, s3
	s_mul_i32 s3, s6, 0xa00
	s_addc_u32 s5, s9, s5
	s_add_i32 s7, s6, -1
	s_add_i32 s6, s3, s10
	s_sub_i32 s6, s2, s6
	v_mov_b32_e32 v4, s2
	s_add_u32 s2, s10, s3
	v_readfirstlane_b32 s30, v1
	s_addc_u32 s3, s11, 0
	s_cmp_eq_u32 s30, s7
	s_cselect_b64 s[18:19], -1, 0
	s_cmp_lg_u32 s30, s7
	v_cmp_lt_u64_e32 vcc, s[2:3], v[4:5]
	s_cselect_b64 s[2:3], -1, 0
	v_lshlrev_b64 v[2:3], 2, v[2:3]
	s_or_b64 s[2:3], vcc, s[2:3]
	v_mov_b32_e32 v4, s5
	v_add_co_u32_e32 v1, vcc, s4, v2
	v_addc_co_u32_e32 v14, vcc, v4, v3, vcc
	s_mov_b64 s[4:5], -1
	s_and_b64 vcc, exec, s[2:3]
	s_cbranch_vccz .LBB2405_6
; %bb.5:
	v_lshlrev_b32_e32 v6, 2, v0
	v_add_co_u32_e32 v2, vcc, v1, v6
	v_addc_co_u32_e32 v3, vcc, 0, v14, vcc
	v_add_co_u32_e32 v4, vcc, 0x1000, v2
	v_addc_co_u32_e32 v5, vcc, 0, v3, vcc
	flat_load_dword v7, v[2:3]
	flat_load_dword v8, v[2:3] offset:1024
	flat_load_dword v9, v[2:3] offset:2048
	;; [unrolled: 1-line block ×3, first 2 shown]
	flat_load_dword v11, v[4:5]
	flat_load_dword v15, v[4:5] offset:1024
	flat_load_dword v16, v[4:5] offset:2048
	;; [unrolled: 1-line block ×3, first 2 shown]
	v_add_co_u32_e32 v2, vcc, 0x2000, v2
	v_addc_co_u32_e32 v3, vcc, 0, v3, vcc
	flat_load_dword v4, v[2:3]
	flat_load_dword v5, v[2:3] offset:1024
	s_mov_b64 s[4:5], 0
	s_waitcnt vmcnt(0) lgkmcnt(0)
	ds_write2st64_b32 v6, v7, v8 offset1:4
	ds_write2st64_b32 v6, v9, v10 offset0:8 offset1:12
	ds_write2st64_b32 v6, v11, v15 offset0:16 offset1:20
	;; [unrolled: 1-line block ×4, first 2 shown]
	s_waitcnt lgkmcnt(0)
	s_barrier
.LBB2405_6:
	s_andn2_b64 vcc, exec, s[4:5]
	s_addk_i32 s6, 0xa00
	s_cbranch_vccnz .LBB2405_28
; %bb.7:
	v_cmp_gt_u32_e32 vcc, s6, v0
                                        ; implicit-def: $vgpr2_vgpr3_vgpr4_vgpr5_vgpr6_vgpr7_vgpr8_vgpr9_vgpr10_vgpr11
	s_and_saveexec_b64 s[4:5], vcc
	s_cbranch_execz .LBB2405_9
; %bb.8:
	v_lshlrev_b32_e32 v2, 2, v0
	v_add_co_u32_e32 v2, vcc, v1, v2
	v_addc_co_u32_e32 v3, vcc, 0, v14, vcc
	flat_load_dword v2, v[2:3]
.LBB2405_9:
	s_or_b64 exec, exec, s[4:5]
	v_or_b32_e32 v15, 0x100, v0
	v_cmp_gt_u32_e32 vcc, s6, v15
	s_and_saveexec_b64 s[4:5], vcc
	s_cbranch_execz .LBB2405_11
; %bb.10:
	v_lshlrev_b32_e32 v3, 2, v0
	v_add_co_u32_e32 v16, vcc, v1, v3
	v_addc_co_u32_e32 v17, vcc, 0, v14, vcc
	flat_load_dword v3, v[16:17] offset:1024
.LBB2405_11:
	s_or_b64 exec, exec, s[4:5]
	v_or_b32_e32 v15, 0x200, v0
	v_cmp_gt_u32_e32 vcc, s6, v15
	s_and_saveexec_b64 s[4:5], vcc
	s_cbranch_execz .LBB2405_13
; %bb.12:
	v_lshlrev_b32_e32 v4, 2, v0
	v_add_co_u32_e32 v16, vcc, v1, v4
	v_addc_co_u32_e32 v17, vcc, 0, v14, vcc
	flat_load_dword v4, v[16:17] offset:2048
.LBB2405_13:
	;; [unrolled: 11-line block ×3, first 2 shown]
	s_or_b64 exec, exec, s[4:5]
	v_or_b32_e32 v15, 0x400, v0
	v_cmp_gt_u32_e32 vcc, s6, v15
	s_and_saveexec_b64 s[4:5], vcc
	s_cbranch_execz .LBB2405_17
; %bb.16:
	v_lshlrev_b32_e32 v6, 2, v15
	v_add_co_u32_e32 v16, vcc, v1, v6
	v_addc_co_u32_e32 v17, vcc, 0, v14, vcc
	flat_load_dword v6, v[16:17]
.LBB2405_17:
	s_or_b64 exec, exec, s[4:5]
	v_or_b32_e32 v15, 0x500, v0
	v_cmp_gt_u32_e32 vcc, s6, v15
	s_and_saveexec_b64 s[4:5], vcc
	s_cbranch_execz .LBB2405_19
; %bb.18:
	v_lshlrev_b32_e32 v7, 2, v15
	v_add_co_u32_e32 v16, vcc, v1, v7
	v_addc_co_u32_e32 v17, vcc, 0, v14, vcc
	flat_load_dword v7, v[16:17]
.LBB2405_19:
	;; [unrolled: 11-line block ×6, first 2 shown]
	s_or_b64 exec, exec, s[4:5]
	v_lshlrev_b32_e32 v1, 2, v0
	s_waitcnt vmcnt(0) lgkmcnt(0)
	ds_write2st64_b32 v1, v2, v3 offset1:4
	ds_write2st64_b32 v1, v4, v5 offset0:8 offset1:12
	ds_write2st64_b32 v1, v6, v7 offset0:16 offset1:20
	;; [unrolled: 1-line block ×4, first 2 shown]
	s_waitcnt lgkmcnt(0)
	s_barrier
.LBB2405_28:
	v_mul_u32_u24_e32 v24, 10, v0
	v_lshlrev_b32_e32 v30, 2, v24
	ds_read2_b64 v[6:9], v30 offset1:1
	ds_read2_b64 v[2:5], v30 offset0:2 offset1:3
	ds_read_b64 v[10:11], v30 offset:32
	s_andn2_b64 vcc, exec, s[2:3]
	s_waitcnt lgkmcnt(0)
	v_xor_b32_e32 v23, -1, v6
	v_xor_b32_e32 v22, -1, v7
	;; [unrolled: 1-line block ×10, first 2 shown]
	s_barrier
	s_cbranch_vccnz .LBB2405_30
; %bb.29:
	v_mov_b32_e32 v1, 1
	v_and_b32_e32 v26, 1, v23
	v_and_b32_sdwa v27, v22, v1 dst_sel:BYTE_1 dst_unused:UNUSED_PAD src0_sel:DWORD src1_sel:DWORD
	v_and_b32_e32 v28, 1, v21
	v_and_b32_sdwa v29, v20, v1 dst_sel:BYTE_1 dst_unused:UNUSED_PAD src0_sel:DWORD src1_sel:DWORD
	;; [unrolled: 2-line block ×4, first 2 shown]
	v_or_b32_e32 v26, v26, v27
	v_or_b32_sdwa v27, v28, v29 dst_sel:WORD_1 dst_unused:UNUSED_PAD src0_sel:DWORD src1_sel:DWORD
	v_or_b32_sdwa v27, v26, v27 dst_sel:DWORD dst_unused:UNUSED_PAD src0_sel:WORD_0 src1_sel:DWORD
	v_or_b32_e32 v26, v31, v32
	v_or_b32_sdwa v28, v33, v34 dst_sel:WORD_1 dst_unused:UNUSED_PAD src0_sel:DWORD src1_sel:DWORD
	v_and_b32_e32 v25, 1, v15
	v_and_b32_e32 v1, 1, v14
	v_or_b32_sdwa v26, v26, v28 dst_sel:DWORD dst_unused:UNUSED_PAD src0_sel:WORD_0 src1_sel:DWORD
	s_cbranch_execz .LBB2405_31
	s_branch .LBB2405_32
.LBB2405_30:
                                        ; implicit-def: $vgpr1
                                        ; implicit-def: $vgpr25
                                        ; implicit-def: $vgpr26
                                        ; implicit-def: $vgpr27
.LBB2405_31:
	v_or_b32_e32 v33, 1, v24
	v_cmp_gt_u32_e32 vcc, s6, v24
	v_add_u32_e32 v1, 2, v24
	v_cndmask_b32_e64 v34, 0, 1, vcc
	v_cmp_gt_u32_e32 vcc, s6, v33
	v_add_u32_e32 v32, 3, v24
	v_cndmask_b32_e64 v33, 0, 1, vcc
	v_cmp_gt_u32_e32 vcc, s6, v1
	v_add_u32_e32 v25, 4, v24
	v_cndmask_b32_e64 v1, 0, 1, vcc
	v_cmp_gt_u32_e32 vcc, s6, v32
	v_add_u32_e32 v31, 5, v24
	v_and_b32_e32 v21, v1, v21
	v_cndmask_b32_e64 v1, 0, 1, vcc
	v_cmp_gt_u32_e32 vcc, s6, v25
	v_add_u32_e32 v26, 6, v24
	v_and_b32_sdwa v20, v1, v20 dst_sel:BYTE_1 dst_unused:UNUSED_PAD src0_sel:DWORD src1_sel:DWORD
	v_cndmask_b32_e64 v1, 0, 1, vcc
	v_cmp_gt_u32_e32 vcc, s6, v31
	v_add_u32_e32 v29, 7, v24
	v_and_b32_e32 v19, v1, v19
	v_cndmask_b32_e64 v1, 0, 1, vcc
	v_cmp_gt_u32_e32 vcc, s6, v26
	v_add_u32_e32 v27, 8, v24
	v_and_b32_sdwa v18, v1, v18 dst_sel:BYTE_1 dst_unused:UNUSED_PAD src0_sel:DWORD src1_sel:DWORD
	v_cndmask_b32_e64 v1, 0, 1, vcc
	v_cmp_gt_u32_e32 vcc, s6, v29
	v_add_u32_e32 v28, 9, v24
	v_and_b32_e32 v17, v1, v17
	v_cndmask_b32_e64 v1, 0, 1, vcc
	v_cmp_gt_u32_e32 vcc, s6, v27
	v_and_b32_sdwa v16, v1, v16 dst_sel:BYTE_1 dst_unused:UNUSED_PAD src0_sel:DWORD src1_sel:DWORD
	v_cndmask_b32_e64 v1, 0, 1, vcc
	v_cmp_gt_u32_e32 vcc, s6, v28
	v_and_b32_e32 v23, v34, v23
	v_and_b32_sdwa v22, v33, v22 dst_sel:BYTE_1 dst_unused:UNUSED_PAD src0_sel:DWORD src1_sel:DWORD
	v_and_b32_e32 v25, v1, v15
	v_cndmask_b32_e64 v1, 0, 1, vcc
	v_and_b32_e32 v1, v1, v14
	v_or_b32_e32 v14, v23, v22
	v_or_b32_sdwa v15, v21, v20 dst_sel:WORD_1 dst_unused:UNUSED_PAD src0_sel:DWORD src1_sel:DWORD
	v_or_b32_sdwa v27, v14, v15 dst_sel:DWORD dst_unused:UNUSED_PAD src0_sel:WORD_0 src1_sel:DWORD
	v_or_b32_e32 v14, v19, v18
	v_or_b32_sdwa v15, v17, v16 dst_sel:WORD_1 dst_unused:UNUSED_PAD src0_sel:DWORD src1_sel:DWORD
	v_or_b32_sdwa v26, v14, v15 dst_sel:DWORD dst_unused:UNUSED_PAD src0_sel:WORD_0 src1_sel:DWORD
.LBB2405_32:
	v_bfe_u32 v31, v27, 16, 8
	v_lshrrev_b32_e32 v29, 24, v27
	v_add_u32_sdwa v15, v27, v27 dst_sel:DWORD dst_unused:UNUSED_PAD src0_sel:BYTE_1 src1_sel:BYTE_0
	v_and_b32_e32 v32, 0xff, v26
	v_bfe_u32 v33, v26, 8, 8
	v_add3_u32 v15, v15, v31, v29
	v_bfe_u32 v34, v26, 16, 8
	v_lshrrev_b32_e32 v28, 24, v26
	v_add3_u32 v15, v15, v32, v33
	v_and_b32_e32 v35, 0xff, v25
	v_and_b32_e32 v14, 0xff, v1
	v_add3_u32 v15, v15, v34, v28
	v_add3_u32 v38, v15, v35, v14
	v_mbcnt_lo_u32_b32 v14, -1, 0
	v_mbcnt_hi_u32_b32 v36, -1, v14
	v_and_b32_e32 v14, 15, v36
	v_cmp_eq_u32_e64 s[14:15], 0, v14
	v_cmp_lt_u32_e64 s[12:13], 1, v14
	v_cmp_lt_u32_e64 s[10:11], 3, v14
	v_cmp_lt_u32_e64 s[8:9], 7, v14
	v_and_b32_e32 v14, 16, v36
	v_cmp_eq_u32_e64 s[6:7], 0, v14
	v_or_b32_e32 v14, 63, v0
	s_cmp_lg_u32 s30, 0
	v_cmp_lt_u32_e64 s[2:3], 31, v36
	v_lshrrev_b32_e32 v37, 6, v0
	v_cmp_eq_u32_e64 s[4:5], v14, v0
	s_cbranch_scc0 .LBB2405_63
; %bb.33:
	v_mov_b32_dpp v14, v38 row_shr:1 row_mask:0xf bank_mask:0xf
	v_cndmask_b32_e64 v14, v14, 0, s[14:15]
	v_add_u32_e32 v14, v14, v38
	s_nop 1
	v_mov_b32_dpp v15, v14 row_shr:2 row_mask:0xf bank_mask:0xf
	v_cndmask_b32_e64 v15, 0, v15, s[12:13]
	v_add_u32_e32 v14, v14, v15
	s_nop 1
	;; [unrolled: 4-line block ×4, first 2 shown]
	v_mov_b32_dpp v15, v14 row_bcast:15 row_mask:0xf bank_mask:0xf
	v_cndmask_b32_e64 v15, v15, 0, s[6:7]
	v_add_u32_e32 v14, v14, v15
	s_nop 1
	v_mov_b32_dpp v15, v14 row_bcast:31 row_mask:0xf bank_mask:0xf
	v_cndmask_b32_e64 v15, 0, v15, s[2:3]
	v_add_u32_e32 v14, v14, v15
	s_and_saveexec_b64 s[16:17], s[4:5]
	s_cbranch_execz .LBB2405_35
; %bb.34:
	v_lshlrev_b32_e32 v15, 2, v37
	ds_write_b32 v15, v14
.LBB2405_35:
	s_or_b64 exec, exec, s[16:17]
	v_cmp_gt_u32_e32 vcc, 4, v0
	s_waitcnt lgkmcnt(0)
	s_barrier
	s_and_saveexec_b64 s[16:17], vcc
	s_cbranch_execz .LBB2405_37
; %bb.36:
	v_lshlrev_b32_e32 v15, 2, v0
	ds_read_b32 v16, v15
	v_and_b32_e32 v17, 3, v36
	v_cmp_ne_u32_e32 vcc, 0, v17
	s_waitcnt lgkmcnt(0)
	v_mov_b32_dpp v18, v16 row_shr:1 row_mask:0xf bank_mask:0xf
	v_cndmask_b32_e32 v18, 0, v18, vcc
	v_add_u32_e32 v16, v18, v16
	v_cmp_lt_u32_e32 vcc, 1, v17
	s_nop 0
	v_mov_b32_dpp v18, v16 row_shr:2 row_mask:0xf bank_mask:0xf
	v_cndmask_b32_e32 v17, 0, v18, vcc
	v_add_u32_e32 v16, v16, v17
	ds_write_b32 v15, v16
.LBB2405_37:
	s_or_b64 exec, exec, s[16:17]
	v_cmp_gt_u32_e32 vcc, 64, v0
	v_cmp_lt_u32_e64 s[16:17], 63, v0
	s_waitcnt lgkmcnt(0)
	s_barrier
	s_waitcnt lgkmcnt(0)
                                        ; implicit-def: $vgpr39
	s_and_saveexec_b64 s[22:23], s[16:17]
	s_cbranch_execz .LBB2405_39
; %bb.38:
	v_lshl_add_u32 v15, v37, 2, -4
	ds_read_b32 v39, v15
	s_waitcnt lgkmcnt(0)
	v_add_u32_e32 v14, v39, v14
.LBB2405_39:
	s_or_b64 exec, exec, s[22:23]
	v_add_u32_e32 v15, -1, v36
	v_and_b32_e32 v16, 64, v36
	v_cmp_lt_i32_e64 s[16:17], v15, v16
	v_cndmask_b32_e64 v15, v15, v36, s[16:17]
	v_lshlrev_b32_e32 v15, 2, v15
	ds_bpermute_b32 v40, v15, v14
	v_cmp_eq_u32_e64 s[16:17], 0, v36
	s_and_saveexec_b64 s[22:23], vcc
	s_cbranch_execz .LBB2405_62
; %bb.40:
	v_mov_b32_e32 v23, 0
	ds_read_b32 v14, v23 offset:12
	s_and_saveexec_b64 s[26:27], s[16:17]
	s_cbranch_execz .LBB2405_42
; %bb.41:
	s_add_i32 s28, s30, 64
	s_mov_b32 s29, 0
	s_lshl_b64 s[28:29], s[28:29], 3
	s_add_u32 s28, s24, s28
	v_mov_b32_e32 v15, 1
	s_addc_u32 s29, s25, s29
	s_waitcnt lgkmcnt(0)
	global_store_dwordx2 v23, v[14:15], s[28:29]
.LBB2405_42:
	s_or_b64 exec, exec, s[26:27]
	v_xad_u32 v16, v36, -1, s30
	v_add_u32_e32 v22, 64, v16
	v_lshlrev_b64 v[18:19], 3, v[22:23]
	v_mov_b32_e32 v15, s25
	v_add_co_u32_e32 v18, vcc, s24, v18
	v_addc_co_u32_e32 v19, vcc, v15, v19, vcc
	global_load_dwordx2 v[20:21], v[18:19], off glc
	s_waitcnt vmcnt(0)
	v_cmp_eq_u16_sdwa s[28:29], v21, v23 src0_sel:BYTE_0 src1_sel:DWORD
	s_and_saveexec_b64 s[26:27], s[28:29]
	s_cbranch_execz .LBB2405_48
; %bb.43:
	s_mov_b32 s31, 1
	s_mov_b64 s[28:29], 0
	v_mov_b32_e32 v15, 0
.LBB2405_44:                            ; =>This Loop Header: Depth=1
                                        ;     Child Loop BB2405_45 Depth 2
	s_max_u32 s33, s31, 1
.LBB2405_45:                            ;   Parent Loop BB2405_44 Depth=1
                                        ; =>  This Inner Loop Header: Depth=2
	s_add_i32 s33, s33, -1
	s_cmp_eq_u32 s33, 0
	s_sleep 1
	s_cbranch_scc0 .LBB2405_45
; %bb.46:                               ;   in Loop: Header=BB2405_44 Depth=1
	global_load_dwordx2 v[20:21], v[18:19], off glc
	s_cmp_lt_u32 s31, 32
	s_cselect_b64 s[34:35], -1, 0
	s_cmp_lg_u64 s[34:35], 0
	s_addc_u32 s31, s31, 0
	s_waitcnt vmcnt(0)
	v_cmp_ne_u16_sdwa s[34:35], v21, v15 src0_sel:BYTE_0 src1_sel:DWORD
	s_or_b64 s[28:29], s[34:35], s[28:29]
	s_andn2_b64 exec, exec, s[28:29]
	s_cbranch_execnz .LBB2405_44
; %bb.47:
	s_or_b64 exec, exec, s[28:29]
.LBB2405_48:
	s_or_b64 exec, exec, s[26:27]
	v_and_b32_e32 v42, 63, v36
	v_mov_b32_e32 v41, 2
	v_cmp_ne_u32_e32 vcc, 63, v42
	v_cmp_eq_u16_sdwa s[26:27], v21, v41 src0_sel:BYTE_0 src1_sel:DWORD
	v_lshlrev_b64 v[18:19], v36, -1
	v_addc_co_u32_e32 v22, vcc, 0, v36, vcc
	v_and_b32_e32 v15, s27, v19
	v_lshlrev_b32_e32 v43, 2, v22
	v_or_b32_e32 v15, 0x80000000, v15
	ds_bpermute_b32 v22, v43, v20
	v_and_b32_e32 v17, s26, v18
	v_ffbl_b32_e32 v15, v15
	v_add_u32_e32 v15, 32, v15
	v_ffbl_b32_e32 v17, v17
	v_min_u32_e32 v15, v17, v15
	v_cmp_lt_u32_e32 vcc, v42, v15
	s_waitcnt lgkmcnt(0)
	v_cndmask_b32_e32 v17, 0, v22, vcc
	v_cmp_gt_u32_e32 vcc, 62, v42
	v_add_u32_e32 v17, v17, v20
	v_cndmask_b32_e64 v20, 0, 1, vcc
	v_lshlrev_b32_e32 v20, 1, v20
	v_add_lshl_u32 v44, v20, v36, 2
	ds_bpermute_b32 v20, v44, v17
	v_add_u32_e32 v45, 2, v42
	v_cmp_le_u32_e32 vcc, v45, v15
	v_add_u32_e32 v47, 4, v42
	v_add_u32_e32 v49, 8, v42
	s_waitcnt lgkmcnt(0)
	v_cndmask_b32_e32 v20, 0, v20, vcc
	v_cmp_gt_u32_e32 vcc, 60, v42
	v_add_u32_e32 v17, v17, v20
	v_cndmask_b32_e64 v20, 0, 1, vcc
	v_lshlrev_b32_e32 v20, 2, v20
	v_add_lshl_u32 v46, v20, v36, 2
	ds_bpermute_b32 v20, v46, v17
	v_cmp_le_u32_e32 vcc, v47, v15
	v_add_u32_e32 v51, 16, v42
	v_add_u32_e32 v53, 32, v42
	s_waitcnt lgkmcnt(0)
	v_cndmask_b32_e32 v20, 0, v20, vcc
	v_cmp_gt_u32_e32 vcc, 56, v42
	v_add_u32_e32 v17, v17, v20
	v_cndmask_b32_e64 v20, 0, 1, vcc
	v_lshlrev_b32_e32 v20, 3, v20
	v_add_lshl_u32 v48, v20, v36, 2
	ds_bpermute_b32 v20, v48, v17
	v_cmp_le_u32_e32 vcc, v49, v15
	s_waitcnt lgkmcnt(0)
	v_cndmask_b32_e32 v20, 0, v20, vcc
	v_cmp_gt_u32_e32 vcc, 48, v42
	v_add_u32_e32 v17, v17, v20
	v_cndmask_b32_e64 v20, 0, 1, vcc
	v_lshlrev_b32_e32 v20, 4, v20
	v_add_lshl_u32 v50, v20, v36, 2
	ds_bpermute_b32 v20, v50, v17
	v_cmp_le_u32_e32 vcc, v51, v15
	;; [unrolled: 9-line block ×3, first 2 shown]
	s_waitcnt lgkmcnt(0)
	v_cndmask_b32_e32 v15, 0, v20, vcc
	v_add_u32_e32 v20, v17, v15
	v_mov_b32_e32 v17, 0
	s_branch .LBB2405_50
.LBB2405_49:                            ;   in Loop: Header=BB2405_50 Depth=1
	s_or_b64 exec, exec, s[26:27]
	v_cmp_eq_u16_sdwa s[26:27], v21, v41 src0_sel:BYTE_0 src1_sel:DWORD
	v_and_b32_e32 v22, s27, v19
	v_or_b32_e32 v22, 0x80000000, v22
	ds_bpermute_b32 v54, v43, v20
	v_and_b32_e32 v23, s26, v18
	v_ffbl_b32_e32 v22, v22
	v_add_u32_e32 v22, 32, v22
	v_ffbl_b32_e32 v23, v23
	v_min_u32_e32 v22, v23, v22
	v_cmp_lt_u32_e32 vcc, v42, v22
	s_waitcnt lgkmcnt(0)
	v_cndmask_b32_e32 v23, 0, v54, vcc
	v_add_u32_e32 v20, v23, v20
	ds_bpermute_b32 v23, v44, v20
	v_cmp_le_u32_e32 vcc, v45, v22
	v_subrev_u32_e32 v16, 64, v16
	s_waitcnt lgkmcnt(0)
	v_cndmask_b32_e32 v23, 0, v23, vcc
	v_add_u32_e32 v20, v20, v23
	ds_bpermute_b32 v23, v46, v20
	v_cmp_le_u32_e32 vcc, v47, v22
	s_waitcnt lgkmcnt(0)
	v_cndmask_b32_e32 v23, 0, v23, vcc
	v_add_u32_e32 v20, v20, v23
	ds_bpermute_b32 v23, v48, v20
	v_cmp_le_u32_e32 vcc, v49, v22
	;; [unrolled: 5-line block ×4, first 2 shown]
	s_waitcnt lgkmcnt(0)
	v_cndmask_b32_e32 v22, 0, v23, vcc
	v_add3_u32 v20, v22, v15, v20
.LBB2405_50:                            ; =>This Loop Header: Depth=1
                                        ;     Child Loop BB2405_53 Depth 2
                                        ;       Child Loop BB2405_54 Depth 3
	v_cmp_ne_u16_sdwa s[26:27], v21, v41 src0_sel:BYTE_0 src1_sel:DWORD
	v_cndmask_b32_e64 v15, 0, 1, s[26:27]
	;;#ASMSTART
	;;#ASMEND
	v_cmp_ne_u32_e32 vcc, 0, v15
	s_cmp_lg_u64 vcc, exec
	v_mov_b32_e32 v15, v20
	s_cbranch_scc1 .LBB2405_57
; %bb.51:                               ;   in Loop: Header=BB2405_50 Depth=1
	v_lshlrev_b64 v[20:21], 3, v[16:17]
	v_mov_b32_e32 v23, s25
	v_add_co_u32_e32 v22, vcc, s24, v20
	v_addc_co_u32_e32 v23, vcc, v23, v21, vcc
	global_load_dwordx2 v[20:21], v[22:23], off glc
	s_waitcnt vmcnt(0)
	v_cmp_eq_u16_sdwa s[28:29], v21, v17 src0_sel:BYTE_0 src1_sel:DWORD
	s_and_saveexec_b64 s[26:27], s[28:29]
	s_cbranch_execz .LBB2405_49
; %bb.52:                               ;   in Loop: Header=BB2405_50 Depth=1
	s_mov_b32 s31, 1
	s_mov_b64 s[28:29], 0
.LBB2405_53:                            ;   Parent Loop BB2405_50 Depth=1
                                        ; =>  This Loop Header: Depth=2
                                        ;       Child Loop BB2405_54 Depth 3
	s_max_u32 s33, s31, 1
.LBB2405_54:                            ;   Parent Loop BB2405_50 Depth=1
                                        ;     Parent Loop BB2405_53 Depth=2
                                        ; =>    This Inner Loop Header: Depth=3
	s_add_i32 s33, s33, -1
	s_cmp_eq_u32 s33, 0
	s_sleep 1
	s_cbranch_scc0 .LBB2405_54
; %bb.55:                               ;   in Loop: Header=BB2405_53 Depth=2
	global_load_dwordx2 v[20:21], v[22:23], off glc
	s_cmp_lt_u32 s31, 32
	s_cselect_b64 s[34:35], -1, 0
	s_cmp_lg_u64 s[34:35], 0
	s_addc_u32 s31, s31, 0
	s_waitcnt vmcnt(0)
	v_cmp_ne_u16_sdwa s[34:35], v21, v17 src0_sel:BYTE_0 src1_sel:DWORD
	s_or_b64 s[28:29], s[34:35], s[28:29]
	s_andn2_b64 exec, exec, s[28:29]
	s_cbranch_execnz .LBB2405_53
; %bb.56:                               ;   in Loop: Header=BB2405_50 Depth=1
	s_or_b64 exec, exec, s[28:29]
	s_branch .LBB2405_49
.LBB2405_57:                            ;   in Loop: Header=BB2405_50 Depth=1
                                        ; implicit-def: $vgpr20
                                        ; implicit-def: $vgpr21
	s_cbranch_execz .LBB2405_50
; %bb.58:
	s_and_saveexec_b64 s[26:27], s[16:17]
	s_cbranch_execz .LBB2405_60
; %bb.59:
	s_add_i32 s28, s30, 64
	s_mov_b32 s29, 0
	s_lshl_b64 s[28:29], s[28:29], 3
	s_add_u32 s28, s24, s28
	v_add_u32_e32 v16, v15, v14
	v_mov_b32_e32 v17, 2
	s_addc_u32 s29, s25, s29
	v_mov_b32_e32 v18, 0
	global_store_dwordx2 v18, v[16:17], s[28:29]
	ds_write_b64 v18, v[14:15] offset:10240
.LBB2405_60:
	s_or_b64 exec, exec, s[26:27]
	s_and_b64 exec, exec, s[0:1]
	s_cbranch_execz .LBB2405_62
; %bb.61:
	v_mov_b32_e32 v14, 0
	ds_write_b32 v14, v15 offset:12
.LBB2405_62:
	s_or_b64 exec, exec, s[22:23]
	v_mov_b32_e32 v14, 0
	s_waitcnt lgkmcnt(0)
	s_barrier
	ds_read_b32 v15, v14 offset:12
	v_cndmask_b32_e64 v16, v40, v39, s[16:17]
	v_cndmask_b32_e64 v16, v16, 0, s[0:1]
	s_waitcnt lgkmcnt(0)
	s_barrier
	v_add_u32_e32 v40, v15, v16
	v_add_u32_sdwa v39, v40, v27 dst_sel:DWORD dst_unused:UNUSED_PAD src0_sel:DWORD src1_sel:BYTE_0
	v_add_u32_sdwa v23, v39, v27 dst_sel:DWORD dst_unused:UNUSED_PAD src0_sel:DWORD src1_sel:BYTE_1
	v_add_u32_e32 v22, v23, v31
	v_add_u32_e32 v21, v22, v29
	;; [unrolled: 1-line block ×3, first 2 shown]
	ds_read_b64 v[14:15], v14 offset:10240
	v_add_u32_e32 v19, v20, v33
	v_add_u32_e32 v18, v19, v34
	;; [unrolled: 1-line block ×4, first 2 shown]
	s_branch .LBB2405_73
.LBB2405_63:
                                        ; implicit-def: $vgpr15
                                        ; implicit-def: $vgpr16
                                        ; implicit-def: $vgpr17
                                        ; implicit-def: $vgpr18
                                        ; implicit-def: $vgpr19
                                        ; implicit-def: $vgpr20
                                        ; implicit-def: $vgpr21
                                        ; implicit-def: $vgpr22
                                        ; implicit-def: $vgpr23
                                        ; implicit-def: $vgpr39
                                        ; implicit-def: $vgpr40
	s_cbranch_execz .LBB2405_73
; %bb.64:
	s_waitcnt lgkmcnt(0)
	v_mov_b32_dpp v14, v38 row_shr:1 row_mask:0xf bank_mask:0xf
	v_cndmask_b32_e64 v14, v14, 0, s[14:15]
	v_add_u32_e32 v14, v14, v38
	s_nop 1
	v_mov_b32_dpp v15, v14 row_shr:2 row_mask:0xf bank_mask:0xf
	v_cndmask_b32_e64 v15, 0, v15, s[12:13]
	v_add_u32_e32 v14, v14, v15
	s_nop 1
	;; [unrolled: 4-line block ×4, first 2 shown]
	v_mov_b32_dpp v15, v14 row_bcast:15 row_mask:0xf bank_mask:0xf
	v_cndmask_b32_e64 v15, v15, 0, s[6:7]
	v_add_u32_e32 v14, v14, v15
	s_nop 1
	v_mov_b32_dpp v15, v14 row_bcast:31 row_mask:0xf bank_mask:0xf
	v_cndmask_b32_e64 v15, 0, v15, s[2:3]
	v_add_u32_e32 v14, v14, v15
	s_and_saveexec_b64 s[2:3], s[4:5]
	s_cbranch_execz .LBB2405_66
; %bb.65:
	v_lshlrev_b32_e32 v15, 2, v37
	ds_write_b32 v15, v14
.LBB2405_66:
	s_or_b64 exec, exec, s[2:3]
	v_cmp_gt_u32_e32 vcc, 4, v0
	s_waitcnt lgkmcnt(0)
	s_barrier
	s_and_saveexec_b64 s[2:3], vcc
	s_cbranch_execz .LBB2405_68
; %bb.67:
	s_movk_i32 s4, 0xffdc
	v_mad_i32_i24 v15, v0, s4, v30
	ds_read_b32 v16, v15
	v_and_b32_e32 v17, 3, v36
	v_cmp_ne_u32_e32 vcc, 0, v17
	s_waitcnt lgkmcnt(0)
	v_mov_b32_dpp v18, v16 row_shr:1 row_mask:0xf bank_mask:0xf
	v_cndmask_b32_e32 v18, 0, v18, vcc
	v_add_u32_e32 v16, v18, v16
	v_cmp_lt_u32_e32 vcc, 1, v17
	s_nop 0
	v_mov_b32_dpp v18, v16 row_shr:2 row_mask:0xf bank_mask:0xf
	v_cndmask_b32_e32 v17, 0, v18, vcc
	v_add_u32_e32 v16, v16, v17
	ds_write_b32 v15, v16
.LBB2405_68:
	s_or_b64 exec, exec, s[2:3]
	v_cmp_lt_u32_e32 vcc, 63, v0
	v_mov_b32_e32 v15, 0
	v_mov_b32_e32 v0, 0
	s_waitcnt lgkmcnt(0)
	s_barrier
	s_and_saveexec_b64 s[2:3], vcc
	s_cbranch_execz .LBB2405_70
; %bb.69:
	v_lshl_add_u32 v0, v37, 2, -4
	ds_read_b32 v0, v0
.LBB2405_70:
	s_or_b64 exec, exec, s[2:3]
	v_add_u32_e32 v16, -1, v36
	v_and_b32_e32 v17, 64, v36
	v_cmp_lt_i32_e32 vcc, v16, v17
	v_cndmask_b32_e32 v16, v16, v36, vcc
	s_waitcnt lgkmcnt(0)
	v_add_u32_e32 v14, v0, v14
	v_lshlrev_b32_e32 v16, 2, v16
	ds_bpermute_b32 v16, v16, v14
	ds_read_b32 v14, v15 offset:12
	s_and_saveexec_b64 s[2:3], s[0:1]
	s_cbranch_execz .LBB2405_72
; %bb.71:
	v_mov_b32_e32 v17, 0
	v_mov_b32_e32 v15, 2
	s_waitcnt lgkmcnt(0)
	global_store_dwordx2 v17, v[14:15], s[24:25] offset:512
.LBB2405_72:
	s_or_b64 exec, exec, s[2:3]
	v_cmp_eq_u32_e32 vcc, 0, v36
	s_waitcnt lgkmcnt(1)
	v_cndmask_b32_e32 v0, v16, v0, vcc
	v_cndmask_b32_e64 v40, v0, 0, s[0:1]
	v_add_u32_sdwa v39, v40, v27 dst_sel:DWORD dst_unused:UNUSED_PAD src0_sel:DWORD src1_sel:BYTE_0
	v_add_u32_sdwa v23, v39, v27 dst_sel:DWORD dst_unused:UNUSED_PAD src0_sel:DWORD src1_sel:BYTE_1
	v_add_u32_e32 v22, v23, v31
	v_add_u32_e32 v21, v22, v29
	;; [unrolled: 1-line block ×6, first 2 shown]
	v_mov_b32_e32 v15, 0
	v_add_u32_e32 v16, v17, v35
	s_waitcnt lgkmcnt(0)
	s_barrier
.LBB2405_73:
	s_waitcnt lgkmcnt(0)
	v_add_u32_e32 v24, v14, v24
	v_sub_u32_e32 v31, v40, v15
	v_and_b32_e32 v33, 1, v27
	v_sub_u32_e32 v32, v24, v31
	v_cmp_eq_u32_e32 vcc, 1, v33
	v_cndmask_b32_e32 v31, v32, v31, vcc
	v_lshlrev_b32_e32 v31, 2, v31
	v_lshrrev_b32_e32 v30, 8, v27
	ds_write_b32 v31, v6
	v_sub_u32_e32 v6, v39, v15
	v_sub_u32_e32 v31, v24, v6
	v_and_b32_e32 v30, 1, v30
	v_add_u32_e32 v31, 1, v31
	v_cmp_eq_u32_e32 vcc, 1, v30
	v_cndmask_b32_e32 v6, v31, v6, vcc
	v_lshlrev_b32_e32 v6, 2, v6
	ds_write_b32 v6, v7
	v_sub_u32_e32 v6, v23, v15
	v_mov_b32_e32 v23, 1
	v_sub_u32_e32 v7, v24, v6
	v_and_b32_sdwa v27, v23, v27 dst_sel:DWORD dst_unused:UNUSED_PAD src0_sel:DWORD src1_sel:WORD_1
	v_add_u32_e32 v7, 2, v7
	v_cmp_eq_u32_e32 vcc, 1, v27
	v_cndmask_b32_e32 v6, v7, v6, vcc
	v_lshlrev_b32_e32 v6, 2, v6
	ds_write_b32 v6, v8
	v_sub_u32_e32 v6, v22, v15
	v_sub_u32_e32 v7, v24, v6
	v_and_b32_e32 v8, 1, v29
	v_add_u32_e32 v7, 3, v7
	v_cmp_eq_u32_e32 vcc, 1, v8
	v_cndmask_b32_e32 v6, v7, v6, vcc
	v_lshlrev_b32_e32 v6, 2, v6
	ds_write_b32 v6, v9
	v_sub_u32_e32 v6, v21, v15
	v_sub_u32_e32 v7, v24, v6
	v_and_b32_e32 v8, 1, v26
	v_add_u32_e32 v7, 4, v7
	v_cmp_eq_u32_e32 vcc, 1, v8
	v_cndmask_b32_e32 v6, v7, v6, vcc
	v_lshlrev_b32_e32 v6, 2, v6
	v_lshrrev_b32_e32 v0, 8, v26
	ds_write_b32 v6, v2
	v_sub_u32_e32 v2, v20, v15
	v_sub_u32_e32 v6, v24, v2
	v_and_b32_e32 v0, 1, v0
	v_add_u32_e32 v6, 5, v6
	v_cmp_eq_u32_e32 vcc, 1, v0
	v_cndmask_b32_e32 v0, v6, v2, vcc
	v_lshlrev_b32_e32 v0, 2, v0
	ds_write_b32 v0, v3
	v_sub_u32_e32 v0, v19, v15
	v_sub_u32_e32 v2, v24, v0
	v_and_b32_sdwa v3, v23, v26 dst_sel:DWORD dst_unused:UNUSED_PAD src0_sel:DWORD src1_sel:WORD_1
	v_add_u32_e32 v2, 6, v2
	v_cmp_eq_u32_e32 vcc, 1, v3
	v_cndmask_b32_e32 v0, v2, v0, vcc
	v_lshlrev_b32_e32 v0, 2, v0
	ds_write_b32 v0, v4
	v_sub_u32_e32 v0, v18, v15
	v_sub_u32_e32 v2, v24, v0
	v_and_b32_e32 v3, 1, v28
	v_add_u32_e32 v2, 7, v2
	v_cmp_eq_u32_e32 vcc, 1, v3
	v_cndmask_b32_e32 v0, v2, v0, vcc
	v_lshlrev_b32_e32 v0, 2, v0
	ds_write_b32 v0, v5
	v_sub_u32_e32 v0, v17, v15
	v_sub_u32_e32 v2, v24, v0
	v_and_b32_e32 v3, 1, v25
	v_add_u32_e32 v2, 8, v2
	v_cmp_eq_u32_e32 vcc, 1, v3
	v_cndmask_b32_e32 v0, v2, v0, vcc
	v_lshlrev_b32_e32 v0, 2, v0
	ds_write_b32 v0, v10
	v_sub_u32_e32 v0, v16, v15
	v_sub_u32_e32 v2, v24, v0
	v_and_b32_e32 v1, 1, v1
	v_add_u32_e32 v2, 9, v2
	v_cmp_eq_u32_e32 vcc, 1, v1
	v_cndmask_b32_e32 v0, v2, v0, vcc
	v_lshlrev_b32_e32 v0, 2, v0
	s_and_b64 s[0:1], s[0:1], s[18:19]
	ds_write_b32 v0, v11
	s_waitcnt lgkmcnt(0)
	s_barrier
	s_and_saveexec_b64 s[2:3], s[0:1]
	s_cbranch_execz .LBB2405_75
; %bb.74:
	s_waitcnt vmcnt(0)
	v_add_co_u32_e32 v0, vcc, v12, v14
	v_addc_co_u32_e32 v1, vcc, 0, v13, vcc
	v_add_co_u32_e32 v0, vcc, v0, v15
	v_mov_b32_e32 v2, 0
	v_addc_co_u32_e32 v1, vcc, 0, v1, vcc
	global_store_dwordx2 v2, v[0:1], s[20:21]
.LBB2405_75:
	s_endpgm
	.section	.rodata,"a",@progbits
	.p2align	6, 0x0
	.amdhsa_kernel _ZN7rocprim17ROCPRIM_400000_NS6detail17trampoline_kernelINS0_14default_configENS1_25partition_config_selectorILNS1_17partition_subalgoE0EjNS0_10empty_typeEbEEZZNS1_14partition_implILS5_0ELb0ES3_jN6thrust23THRUST_200600_302600_NS6detail15normal_iteratorINSA_10device_ptrIjEEEEPS6_SG_NS0_5tupleIJNSA_16discard_iteratorINSA_11use_defaultEEESK_EEENSH_IJSG_SG_EEES6_PlJ7is_evenIjEEEE10hipError_tPvRmT3_T4_T5_T6_T7_T9_mT8_P12ihipStream_tbDpT10_ENKUlT_T0_E_clISt17integral_constantIbLb1EES19_EEDaS14_S15_EUlS14_E_NS1_11comp_targetILNS1_3genE4ELNS1_11target_archE910ELNS1_3gpuE8ELNS1_3repE0EEENS1_30default_config_static_selectorELNS0_4arch9wavefront6targetE1EEEvT1_
		.amdhsa_group_segment_fixed_size 10248
		.amdhsa_private_segment_fixed_size 0
		.amdhsa_kernarg_size 152
		.amdhsa_user_sgpr_count 6
		.amdhsa_user_sgpr_private_segment_buffer 1
		.amdhsa_user_sgpr_dispatch_ptr 0
		.amdhsa_user_sgpr_queue_ptr 0
		.amdhsa_user_sgpr_kernarg_segment_ptr 1
		.amdhsa_user_sgpr_dispatch_id 0
		.amdhsa_user_sgpr_flat_scratch_init 0
		.amdhsa_user_sgpr_kernarg_preload_length 0
		.amdhsa_user_sgpr_kernarg_preload_offset 0
		.amdhsa_user_sgpr_private_segment_size 0
		.amdhsa_uses_dynamic_stack 0
		.amdhsa_system_sgpr_private_segment_wavefront_offset 0
		.amdhsa_system_sgpr_workgroup_id_x 1
		.amdhsa_system_sgpr_workgroup_id_y 0
		.amdhsa_system_sgpr_workgroup_id_z 0
		.amdhsa_system_sgpr_workgroup_info 0
		.amdhsa_system_vgpr_workitem_id 0
		.amdhsa_next_free_vgpr 55
		.amdhsa_next_free_sgpr 36
		.amdhsa_accum_offset 56
		.amdhsa_reserve_vcc 1
		.amdhsa_reserve_flat_scratch 0
		.amdhsa_float_round_mode_32 0
		.amdhsa_float_round_mode_16_64 0
		.amdhsa_float_denorm_mode_32 3
		.amdhsa_float_denorm_mode_16_64 3
		.amdhsa_dx10_clamp 1
		.amdhsa_ieee_mode 1
		.amdhsa_fp16_overflow 0
		.amdhsa_tg_split 0
		.amdhsa_exception_fp_ieee_invalid_op 0
		.amdhsa_exception_fp_denorm_src 0
		.amdhsa_exception_fp_ieee_div_zero 0
		.amdhsa_exception_fp_ieee_overflow 0
		.amdhsa_exception_fp_ieee_underflow 0
		.amdhsa_exception_fp_ieee_inexact 0
		.amdhsa_exception_int_div_zero 0
	.end_amdhsa_kernel
	.section	.text._ZN7rocprim17ROCPRIM_400000_NS6detail17trampoline_kernelINS0_14default_configENS1_25partition_config_selectorILNS1_17partition_subalgoE0EjNS0_10empty_typeEbEEZZNS1_14partition_implILS5_0ELb0ES3_jN6thrust23THRUST_200600_302600_NS6detail15normal_iteratorINSA_10device_ptrIjEEEEPS6_SG_NS0_5tupleIJNSA_16discard_iteratorINSA_11use_defaultEEESK_EEENSH_IJSG_SG_EEES6_PlJ7is_evenIjEEEE10hipError_tPvRmT3_T4_T5_T6_T7_T9_mT8_P12ihipStream_tbDpT10_ENKUlT_T0_E_clISt17integral_constantIbLb1EES19_EEDaS14_S15_EUlS14_E_NS1_11comp_targetILNS1_3genE4ELNS1_11target_archE910ELNS1_3gpuE8ELNS1_3repE0EEENS1_30default_config_static_selectorELNS0_4arch9wavefront6targetE1EEEvT1_,"axG",@progbits,_ZN7rocprim17ROCPRIM_400000_NS6detail17trampoline_kernelINS0_14default_configENS1_25partition_config_selectorILNS1_17partition_subalgoE0EjNS0_10empty_typeEbEEZZNS1_14partition_implILS5_0ELb0ES3_jN6thrust23THRUST_200600_302600_NS6detail15normal_iteratorINSA_10device_ptrIjEEEEPS6_SG_NS0_5tupleIJNSA_16discard_iteratorINSA_11use_defaultEEESK_EEENSH_IJSG_SG_EEES6_PlJ7is_evenIjEEEE10hipError_tPvRmT3_T4_T5_T6_T7_T9_mT8_P12ihipStream_tbDpT10_ENKUlT_T0_E_clISt17integral_constantIbLb1EES19_EEDaS14_S15_EUlS14_E_NS1_11comp_targetILNS1_3genE4ELNS1_11target_archE910ELNS1_3gpuE8ELNS1_3repE0EEENS1_30default_config_static_selectorELNS0_4arch9wavefront6targetE1EEEvT1_,comdat
.Lfunc_end2405:
	.size	_ZN7rocprim17ROCPRIM_400000_NS6detail17trampoline_kernelINS0_14default_configENS1_25partition_config_selectorILNS1_17partition_subalgoE0EjNS0_10empty_typeEbEEZZNS1_14partition_implILS5_0ELb0ES3_jN6thrust23THRUST_200600_302600_NS6detail15normal_iteratorINSA_10device_ptrIjEEEEPS6_SG_NS0_5tupleIJNSA_16discard_iteratorINSA_11use_defaultEEESK_EEENSH_IJSG_SG_EEES6_PlJ7is_evenIjEEEE10hipError_tPvRmT3_T4_T5_T6_T7_T9_mT8_P12ihipStream_tbDpT10_ENKUlT_T0_E_clISt17integral_constantIbLb1EES19_EEDaS14_S15_EUlS14_E_NS1_11comp_targetILNS1_3genE4ELNS1_11target_archE910ELNS1_3gpuE8ELNS1_3repE0EEENS1_30default_config_static_selectorELNS0_4arch9wavefront6targetE1EEEvT1_, .Lfunc_end2405-_ZN7rocprim17ROCPRIM_400000_NS6detail17trampoline_kernelINS0_14default_configENS1_25partition_config_selectorILNS1_17partition_subalgoE0EjNS0_10empty_typeEbEEZZNS1_14partition_implILS5_0ELb0ES3_jN6thrust23THRUST_200600_302600_NS6detail15normal_iteratorINSA_10device_ptrIjEEEEPS6_SG_NS0_5tupleIJNSA_16discard_iteratorINSA_11use_defaultEEESK_EEENSH_IJSG_SG_EEES6_PlJ7is_evenIjEEEE10hipError_tPvRmT3_T4_T5_T6_T7_T9_mT8_P12ihipStream_tbDpT10_ENKUlT_T0_E_clISt17integral_constantIbLb1EES19_EEDaS14_S15_EUlS14_E_NS1_11comp_targetILNS1_3genE4ELNS1_11target_archE910ELNS1_3gpuE8ELNS1_3repE0EEENS1_30default_config_static_selectorELNS0_4arch9wavefront6targetE1EEEvT1_
                                        ; -- End function
	.section	.AMDGPU.csdata,"",@progbits
; Kernel info:
; codeLenInByte = 4028
; NumSgprs: 40
; NumVgprs: 55
; NumAgprs: 0
; TotalNumVgprs: 55
; ScratchSize: 0
; MemoryBound: 0
; FloatMode: 240
; IeeeMode: 1
; LDSByteSize: 10248 bytes/workgroup (compile time only)
; SGPRBlocks: 4
; VGPRBlocks: 6
; NumSGPRsForWavesPerEU: 40
; NumVGPRsForWavesPerEU: 55
; AccumOffset: 56
; Occupancy: 6
; WaveLimiterHint : 1
; COMPUTE_PGM_RSRC2:SCRATCH_EN: 0
; COMPUTE_PGM_RSRC2:USER_SGPR: 6
; COMPUTE_PGM_RSRC2:TRAP_HANDLER: 0
; COMPUTE_PGM_RSRC2:TGID_X_EN: 1
; COMPUTE_PGM_RSRC2:TGID_Y_EN: 0
; COMPUTE_PGM_RSRC2:TGID_Z_EN: 0
; COMPUTE_PGM_RSRC2:TIDIG_COMP_CNT: 0
; COMPUTE_PGM_RSRC3_GFX90A:ACCUM_OFFSET: 13
; COMPUTE_PGM_RSRC3_GFX90A:TG_SPLIT: 0
	.section	.text._ZN7rocprim17ROCPRIM_400000_NS6detail17trampoline_kernelINS0_14default_configENS1_25partition_config_selectorILNS1_17partition_subalgoE0EjNS0_10empty_typeEbEEZZNS1_14partition_implILS5_0ELb0ES3_jN6thrust23THRUST_200600_302600_NS6detail15normal_iteratorINSA_10device_ptrIjEEEEPS6_SG_NS0_5tupleIJNSA_16discard_iteratorINSA_11use_defaultEEESK_EEENSH_IJSG_SG_EEES6_PlJ7is_evenIjEEEE10hipError_tPvRmT3_T4_T5_T6_T7_T9_mT8_P12ihipStream_tbDpT10_ENKUlT_T0_E_clISt17integral_constantIbLb1EES19_EEDaS14_S15_EUlS14_E_NS1_11comp_targetILNS1_3genE3ELNS1_11target_archE908ELNS1_3gpuE7ELNS1_3repE0EEENS1_30default_config_static_selectorELNS0_4arch9wavefront6targetE1EEEvT1_,"axG",@progbits,_ZN7rocprim17ROCPRIM_400000_NS6detail17trampoline_kernelINS0_14default_configENS1_25partition_config_selectorILNS1_17partition_subalgoE0EjNS0_10empty_typeEbEEZZNS1_14partition_implILS5_0ELb0ES3_jN6thrust23THRUST_200600_302600_NS6detail15normal_iteratorINSA_10device_ptrIjEEEEPS6_SG_NS0_5tupleIJNSA_16discard_iteratorINSA_11use_defaultEEESK_EEENSH_IJSG_SG_EEES6_PlJ7is_evenIjEEEE10hipError_tPvRmT3_T4_T5_T6_T7_T9_mT8_P12ihipStream_tbDpT10_ENKUlT_T0_E_clISt17integral_constantIbLb1EES19_EEDaS14_S15_EUlS14_E_NS1_11comp_targetILNS1_3genE3ELNS1_11target_archE908ELNS1_3gpuE7ELNS1_3repE0EEENS1_30default_config_static_selectorELNS0_4arch9wavefront6targetE1EEEvT1_,comdat
	.protected	_ZN7rocprim17ROCPRIM_400000_NS6detail17trampoline_kernelINS0_14default_configENS1_25partition_config_selectorILNS1_17partition_subalgoE0EjNS0_10empty_typeEbEEZZNS1_14partition_implILS5_0ELb0ES3_jN6thrust23THRUST_200600_302600_NS6detail15normal_iteratorINSA_10device_ptrIjEEEEPS6_SG_NS0_5tupleIJNSA_16discard_iteratorINSA_11use_defaultEEESK_EEENSH_IJSG_SG_EEES6_PlJ7is_evenIjEEEE10hipError_tPvRmT3_T4_T5_T6_T7_T9_mT8_P12ihipStream_tbDpT10_ENKUlT_T0_E_clISt17integral_constantIbLb1EES19_EEDaS14_S15_EUlS14_E_NS1_11comp_targetILNS1_3genE3ELNS1_11target_archE908ELNS1_3gpuE7ELNS1_3repE0EEENS1_30default_config_static_selectorELNS0_4arch9wavefront6targetE1EEEvT1_ ; -- Begin function _ZN7rocprim17ROCPRIM_400000_NS6detail17trampoline_kernelINS0_14default_configENS1_25partition_config_selectorILNS1_17partition_subalgoE0EjNS0_10empty_typeEbEEZZNS1_14partition_implILS5_0ELb0ES3_jN6thrust23THRUST_200600_302600_NS6detail15normal_iteratorINSA_10device_ptrIjEEEEPS6_SG_NS0_5tupleIJNSA_16discard_iteratorINSA_11use_defaultEEESK_EEENSH_IJSG_SG_EEES6_PlJ7is_evenIjEEEE10hipError_tPvRmT3_T4_T5_T6_T7_T9_mT8_P12ihipStream_tbDpT10_ENKUlT_T0_E_clISt17integral_constantIbLb1EES19_EEDaS14_S15_EUlS14_E_NS1_11comp_targetILNS1_3genE3ELNS1_11target_archE908ELNS1_3gpuE7ELNS1_3repE0EEENS1_30default_config_static_selectorELNS0_4arch9wavefront6targetE1EEEvT1_
	.globl	_ZN7rocprim17ROCPRIM_400000_NS6detail17trampoline_kernelINS0_14default_configENS1_25partition_config_selectorILNS1_17partition_subalgoE0EjNS0_10empty_typeEbEEZZNS1_14partition_implILS5_0ELb0ES3_jN6thrust23THRUST_200600_302600_NS6detail15normal_iteratorINSA_10device_ptrIjEEEEPS6_SG_NS0_5tupleIJNSA_16discard_iteratorINSA_11use_defaultEEESK_EEENSH_IJSG_SG_EEES6_PlJ7is_evenIjEEEE10hipError_tPvRmT3_T4_T5_T6_T7_T9_mT8_P12ihipStream_tbDpT10_ENKUlT_T0_E_clISt17integral_constantIbLb1EES19_EEDaS14_S15_EUlS14_E_NS1_11comp_targetILNS1_3genE3ELNS1_11target_archE908ELNS1_3gpuE7ELNS1_3repE0EEENS1_30default_config_static_selectorELNS0_4arch9wavefront6targetE1EEEvT1_
	.p2align	8
	.type	_ZN7rocprim17ROCPRIM_400000_NS6detail17trampoline_kernelINS0_14default_configENS1_25partition_config_selectorILNS1_17partition_subalgoE0EjNS0_10empty_typeEbEEZZNS1_14partition_implILS5_0ELb0ES3_jN6thrust23THRUST_200600_302600_NS6detail15normal_iteratorINSA_10device_ptrIjEEEEPS6_SG_NS0_5tupleIJNSA_16discard_iteratorINSA_11use_defaultEEESK_EEENSH_IJSG_SG_EEES6_PlJ7is_evenIjEEEE10hipError_tPvRmT3_T4_T5_T6_T7_T9_mT8_P12ihipStream_tbDpT10_ENKUlT_T0_E_clISt17integral_constantIbLb1EES19_EEDaS14_S15_EUlS14_E_NS1_11comp_targetILNS1_3genE3ELNS1_11target_archE908ELNS1_3gpuE7ELNS1_3repE0EEENS1_30default_config_static_selectorELNS0_4arch9wavefront6targetE1EEEvT1_,@function
_ZN7rocprim17ROCPRIM_400000_NS6detail17trampoline_kernelINS0_14default_configENS1_25partition_config_selectorILNS1_17partition_subalgoE0EjNS0_10empty_typeEbEEZZNS1_14partition_implILS5_0ELb0ES3_jN6thrust23THRUST_200600_302600_NS6detail15normal_iteratorINSA_10device_ptrIjEEEEPS6_SG_NS0_5tupleIJNSA_16discard_iteratorINSA_11use_defaultEEESK_EEENSH_IJSG_SG_EEES6_PlJ7is_evenIjEEEE10hipError_tPvRmT3_T4_T5_T6_T7_T9_mT8_P12ihipStream_tbDpT10_ENKUlT_T0_E_clISt17integral_constantIbLb1EES19_EEDaS14_S15_EUlS14_E_NS1_11comp_targetILNS1_3genE3ELNS1_11target_archE908ELNS1_3gpuE7ELNS1_3repE0EEENS1_30default_config_static_selectorELNS0_4arch9wavefront6targetE1EEEvT1_: ; @_ZN7rocprim17ROCPRIM_400000_NS6detail17trampoline_kernelINS0_14default_configENS1_25partition_config_selectorILNS1_17partition_subalgoE0EjNS0_10empty_typeEbEEZZNS1_14partition_implILS5_0ELb0ES3_jN6thrust23THRUST_200600_302600_NS6detail15normal_iteratorINSA_10device_ptrIjEEEEPS6_SG_NS0_5tupleIJNSA_16discard_iteratorINSA_11use_defaultEEESK_EEENSH_IJSG_SG_EEES6_PlJ7is_evenIjEEEE10hipError_tPvRmT3_T4_T5_T6_T7_T9_mT8_P12ihipStream_tbDpT10_ENKUlT_T0_E_clISt17integral_constantIbLb1EES19_EEDaS14_S15_EUlS14_E_NS1_11comp_targetILNS1_3genE3ELNS1_11target_archE908ELNS1_3gpuE7ELNS1_3repE0EEENS1_30default_config_static_selectorELNS0_4arch9wavefront6targetE1EEEvT1_
; %bb.0:
	.section	.rodata,"a",@progbits
	.p2align	6, 0x0
	.amdhsa_kernel _ZN7rocprim17ROCPRIM_400000_NS6detail17trampoline_kernelINS0_14default_configENS1_25partition_config_selectorILNS1_17partition_subalgoE0EjNS0_10empty_typeEbEEZZNS1_14partition_implILS5_0ELb0ES3_jN6thrust23THRUST_200600_302600_NS6detail15normal_iteratorINSA_10device_ptrIjEEEEPS6_SG_NS0_5tupleIJNSA_16discard_iteratorINSA_11use_defaultEEESK_EEENSH_IJSG_SG_EEES6_PlJ7is_evenIjEEEE10hipError_tPvRmT3_T4_T5_T6_T7_T9_mT8_P12ihipStream_tbDpT10_ENKUlT_T0_E_clISt17integral_constantIbLb1EES19_EEDaS14_S15_EUlS14_E_NS1_11comp_targetILNS1_3genE3ELNS1_11target_archE908ELNS1_3gpuE7ELNS1_3repE0EEENS1_30default_config_static_selectorELNS0_4arch9wavefront6targetE1EEEvT1_
		.amdhsa_group_segment_fixed_size 0
		.amdhsa_private_segment_fixed_size 0
		.amdhsa_kernarg_size 152
		.amdhsa_user_sgpr_count 6
		.amdhsa_user_sgpr_private_segment_buffer 1
		.amdhsa_user_sgpr_dispatch_ptr 0
		.amdhsa_user_sgpr_queue_ptr 0
		.amdhsa_user_sgpr_kernarg_segment_ptr 1
		.amdhsa_user_sgpr_dispatch_id 0
		.amdhsa_user_sgpr_flat_scratch_init 0
		.amdhsa_user_sgpr_kernarg_preload_length 0
		.amdhsa_user_sgpr_kernarg_preload_offset 0
		.amdhsa_user_sgpr_private_segment_size 0
		.amdhsa_uses_dynamic_stack 0
		.amdhsa_system_sgpr_private_segment_wavefront_offset 0
		.amdhsa_system_sgpr_workgroup_id_x 1
		.amdhsa_system_sgpr_workgroup_id_y 0
		.amdhsa_system_sgpr_workgroup_id_z 0
		.amdhsa_system_sgpr_workgroup_info 0
		.amdhsa_system_vgpr_workitem_id 0
		.amdhsa_next_free_vgpr 1
		.amdhsa_next_free_sgpr 0
		.amdhsa_accum_offset 4
		.amdhsa_reserve_vcc 0
		.amdhsa_reserve_flat_scratch 0
		.amdhsa_float_round_mode_32 0
		.amdhsa_float_round_mode_16_64 0
		.amdhsa_float_denorm_mode_32 3
		.amdhsa_float_denorm_mode_16_64 3
		.amdhsa_dx10_clamp 1
		.amdhsa_ieee_mode 1
		.amdhsa_fp16_overflow 0
		.amdhsa_tg_split 0
		.amdhsa_exception_fp_ieee_invalid_op 0
		.amdhsa_exception_fp_denorm_src 0
		.amdhsa_exception_fp_ieee_div_zero 0
		.amdhsa_exception_fp_ieee_overflow 0
		.amdhsa_exception_fp_ieee_underflow 0
		.amdhsa_exception_fp_ieee_inexact 0
		.amdhsa_exception_int_div_zero 0
	.end_amdhsa_kernel
	.section	.text._ZN7rocprim17ROCPRIM_400000_NS6detail17trampoline_kernelINS0_14default_configENS1_25partition_config_selectorILNS1_17partition_subalgoE0EjNS0_10empty_typeEbEEZZNS1_14partition_implILS5_0ELb0ES3_jN6thrust23THRUST_200600_302600_NS6detail15normal_iteratorINSA_10device_ptrIjEEEEPS6_SG_NS0_5tupleIJNSA_16discard_iteratorINSA_11use_defaultEEESK_EEENSH_IJSG_SG_EEES6_PlJ7is_evenIjEEEE10hipError_tPvRmT3_T4_T5_T6_T7_T9_mT8_P12ihipStream_tbDpT10_ENKUlT_T0_E_clISt17integral_constantIbLb1EES19_EEDaS14_S15_EUlS14_E_NS1_11comp_targetILNS1_3genE3ELNS1_11target_archE908ELNS1_3gpuE7ELNS1_3repE0EEENS1_30default_config_static_selectorELNS0_4arch9wavefront6targetE1EEEvT1_,"axG",@progbits,_ZN7rocprim17ROCPRIM_400000_NS6detail17trampoline_kernelINS0_14default_configENS1_25partition_config_selectorILNS1_17partition_subalgoE0EjNS0_10empty_typeEbEEZZNS1_14partition_implILS5_0ELb0ES3_jN6thrust23THRUST_200600_302600_NS6detail15normal_iteratorINSA_10device_ptrIjEEEEPS6_SG_NS0_5tupleIJNSA_16discard_iteratorINSA_11use_defaultEEESK_EEENSH_IJSG_SG_EEES6_PlJ7is_evenIjEEEE10hipError_tPvRmT3_T4_T5_T6_T7_T9_mT8_P12ihipStream_tbDpT10_ENKUlT_T0_E_clISt17integral_constantIbLb1EES19_EEDaS14_S15_EUlS14_E_NS1_11comp_targetILNS1_3genE3ELNS1_11target_archE908ELNS1_3gpuE7ELNS1_3repE0EEENS1_30default_config_static_selectorELNS0_4arch9wavefront6targetE1EEEvT1_,comdat
.Lfunc_end2406:
	.size	_ZN7rocprim17ROCPRIM_400000_NS6detail17trampoline_kernelINS0_14default_configENS1_25partition_config_selectorILNS1_17partition_subalgoE0EjNS0_10empty_typeEbEEZZNS1_14partition_implILS5_0ELb0ES3_jN6thrust23THRUST_200600_302600_NS6detail15normal_iteratorINSA_10device_ptrIjEEEEPS6_SG_NS0_5tupleIJNSA_16discard_iteratorINSA_11use_defaultEEESK_EEENSH_IJSG_SG_EEES6_PlJ7is_evenIjEEEE10hipError_tPvRmT3_T4_T5_T6_T7_T9_mT8_P12ihipStream_tbDpT10_ENKUlT_T0_E_clISt17integral_constantIbLb1EES19_EEDaS14_S15_EUlS14_E_NS1_11comp_targetILNS1_3genE3ELNS1_11target_archE908ELNS1_3gpuE7ELNS1_3repE0EEENS1_30default_config_static_selectorELNS0_4arch9wavefront6targetE1EEEvT1_, .Lfunc_end2406-_ZN7rocprim17ROCPRIM_400000_NS6detail17trampoline_kernelINS0_14default_configENS1_25partition_config_selectorILNS1_17partition_subalgoE0EjNS0_10empty_typeEbEEZZNS1_14partition_implILS5_0ELb0ES3_jN6thrust23THRUST_200600_302600_NS6detail15normal_iteratorINSA_10device_ptrIjEEEEPS6_SG_NS0_5tupleIJNSA_16discard_iteratorINSA_11use_defaultEEESK_EEENSH_IJSG_SG_EEES6_PlJ7is_evenIjEEEE10hipError_tPvRmT3_T4_T5_T6_T7_T9_mT8_P12ihipStream_tbDpT10_ENKUlT_T0_E_clISt17integral_constantIbLb1EES19_EEDaS14_S15_EUlS14_E_NS1_11comp_targetILNS1_3genE3ELNS1_11target_archE908ELNS1_3gpuE7ELNS1_3repE0EEENS1_30default_config_static_selectorELNS0_4arch9wavefront6targetE1EEEvT1_
                                        ; -- End function
	.section	.AMDGPU.csdata,"",@progbits
; Kernel info:
; codeLenInByte = 0
; NumSgprs: 4
; NumVgprs: 0
; NumAgprs: 0
; TotalNumVgprs: 0
; ScratchSize: 0
; MemoryBound: 0
; FloatMode: 240
; IeeeMode: 1
; LDSByteSize: 0 bytes/workgroup (compile time only)
; SGPRBlocks: 0
; VGPRBlocks: 0
; NumSGPRsForWavesPerEU: 4
; NumVGPRsForWavesPerEU: 1
; AccumOffset: 4
; Occupancy: 8
; WaveLimiterHint : 0
; COMPUTE_PGM_RSRC2:SCRATCH_EN: 0
; COMPUTE_PGM_RSRC2:USER_SGPR: 6
; COMPUTE_PGM_RSRC2:TRAP_HANDLER: 0
; COMPUTE_PGM_RSRC2:TGID_X_EN: 1
; COMPUTE_PGM_RSRC2:TGID_Y_EN: 0
; COMPUTE_PGM_RSRC2:TGID_Z_EN: 0
; COMPUTE_PGM_RSRC2:TIDIG_COMP_CNT: 0
; COMPUTE_PGM_RSRC3_GFX90A:ACCUM_OFFSET: 0
; COMPUTE_PGM_RSRC3_GFX90A:TG_SPLIT: 0
	.section	.text._ZN7rocprim17ROCPRIM_400000_NS6detail17trampoline_kernelINS0_14default_configENS1_25partition_config_selectorILNS1_17partition_subalgoE0EjNS0_10empty_typeEbEEZZNS1_14partition_implILS5_0ELb0ES3_jN6thrust23THRUST_200600_302600_NS6detail15normal_iteratorINSA_10device_ptrIjEEEEPS6_SG_NS0_5tupleIJNSA_16discard_iteratorINSA_11use_defaultEEESK_EEENSH_IJSG_SG_EEES6_PlJ7is_evenIjEEEE10hipError_tPvRmT3_T4_T5_T6_T7_T9_mT8_P12ihipStream_tbDpT10_ENKUlT_T0_E_clISt17integral_constantIbLb1EES19_EEDaS14_S15_EUlS14_E_NS1_11comp_targetILNS1_3genE2ELNS1_11target_archE906ELNS1_3gpuE6ELNS1_3repE0EEENS1_30default_config_static_selectorELNS0_4arch9wavefront6targetE1EEEvT1_,"axG",@progbits,_ZN7rocprim17ROCPRIM_400000_NS6detail17trampoline_kernelINS0_14default_configENS1_25partition_config_selectorILNS1_17partition_subalgoE0EjNS0_10empty_typeEbEEZZNS1_14partition_implILS5_0ELb0ES3_jN6thrust23THRUST_200600_302600_NS6detail15normal_iteratorINSA_10device_ptrIjEEEEPS6_SG_NS0_5tupleIJNSA_16discard_iteratorINSA_11use_defaultEEESK_EEENSH_IJSG_SG_EEES6_PlJ7is_evenIjEEEE10hipError_tPvRmT3_T4_T5_T6_T7_T9_mT8_P12ihipStream_tbDpT10_ENKUlT_T0_E_clISt17integral_constantIbLb1EES19_EEDaS14_S15_EUlS14_E_NS1_11comp_targetILNS1_3genE2ELNS1_11target_archE906ELNS1_3gpuE6ELNS1_3repE0EEENS1_30default_config_static_selectorELNS0_4arch9wavefront6targetE1EEEvT1_,comdat
	.protected	_ZN7rocprim17ROCPRIM_400000_NS6detail17trampoline_kernelINS0_14default_configENS1_25partition_config_selectorILNS1_17partition_subalgoE0EjNS0_10empty_typeEbEEZZNS1_14partition_implILS5_0ELb0ES3_jN6thrust23THRUST_200600_302600_NS6detail15normal_iteratorINSA_10device_ptrIjEEEEPS6_SG_NS0_5tupleIJNSA_16discard_iteratorINSA_11use_defaultEEESK_EEENSH_IJSG_SG_EEES6_PlJ7is_evenIjEEEE10hipError_tPvRmT3_T4_T5_T6_T7_T9_mT8_P12ihipStream_tbDpT10_ENKUlT_T0_E_clISt17integral_constantIbLb1EES19_EEDaS14_S15_EUlS14_E_NS1_11comp_targetILNS1_3genE2ELNS1_11target_archE906ELNS1_3gpuE6ELNS1_3repE0EEENS1_30default_config_static_selectorELNS0_4arch9wavefront6targetE1EEEvT1_ ; -- Begin function _ZN7rocprim17ROCPRIM_400000_NS6detail17trampoline_kernelINS0_14default_configENS1_25partition_config_selectorILNS1_17partition_subalgoE0EjNS0_10empty_typeEbEEZZNS1_14partition_implILS5_0ELb0ES3_jN6thrust23THRUST_200600_302600_NS6detail15normal_iteratorINSA_10device_ptrIjEEEEPS6_SG_NS0_5tupleIJNSA_16discard_iteratorINSA_11use_defaultEEESK_EEENSH_IJSG_SG_EEES6_PlJ7is_evenIjEEEE10hipError_tPvRmT3_T4_T5_T6_T7_T9_mT8_P12ihipStream_tbDpT10_ENKUlT_T0_E_clISt17integral_constantIbLb1EES19_EEDaS14_S15_EUlS14_E_NS1_11comp_targetILNS1_3genE2ELNS1_11target_archE906ELNS1_3gpuE6ELNS1_3repE0EEENS1_30default_config_static_selectorELNS0_4arch9wavefront6targetE1EEEvT1_
	.globl	_ZN7rocprim17ROCPRIM_400000_NS6detail17trampoline_kernelINS0_14default_configENS1_25partition_config_selectorILNS1_17partition_subalgoE0EjNS0_10empty_typeEbEEZZNS1_14partition_implILS5_0ELb0ES3_jN6thrust23THRUST_200600_302600_NS6detail15normal_iteratorINSA_10device_ptrIjEEEEPS6_SG_NS0_5tupleIJNSA_16discard_iteratorINSA_11use_defaultEEESK_EEENSH_IJSG_SG_EEES6_PlJ7is_evenIjEEEE10hipError_tPvRmT3_T4_T5_T6_T7_T9_mT8_P12ihipStream_tbDpT10_ENKUlT_T0_E_clISt17integral_constantIbLb1EES19_EEDaS14_S15_EUlS14_E_NS1_11comp_targetILNS1_3genE2ELNS1_11target_archE906ELNS1_3gpuE6ELNS1_3repE0EEENS1_30default_config_static_selectorELNS0_4arch9wavefront6targetE1EEEvT1_
	.p2align	8
	.type	_ZN7rocprim17ROCPRIM_400000_NS6detail17trampoline_kernelINS0_14default_configENS1_25partition_config_selectorILNS1_17partition_subalgoE0EjNS0_10empty_typeEbEEZZNS1_14partition_implILS5_0ELb0ES3_jN6thrust23THRUST_200600_302600_NS6detail15normal_iteratorINSA_10device_ptrIjEEEEPS6_SG_NS0_5tupleIJNSA_16discard_iteratorINSA_11use_defaultEEESK_EEENSH_IJSG_SG_EEES6_PlJ7is_evenIjEEEE10hipError_tPvRmT3_T4_T5_T6_T7_T9_mT8_P12ihipStream_tbDpT10_ENKUlT_T0_E_clISt17integral_constantIbLb1EES19_EEDaS14_S15_EUlS14_E_NS1_11comp_targetILNS1_3genE2ELNS1_11target_archE906ELNS1_3gpuE6ELNS1_3repE0EEENS1_30default_config_static_selectorELNS0_4arch9wavefront6targetE1EEEvT1_,@function
_ZN7rocprim17ROCPRIM_400000_NS6detail17trampoline_kernelINS0_14default_configENS1_25partition_config_selectorILNS1_17partition_subalgoE0EjNS0_10empty_typeEbEEZZNS1_14partition_implILS5_0ELb0ES3_jN6thrust23THRUST_200600_302600_NS6detail15normal_iteratorINSA_10device_ptrIjEEEEPS6_SG_NS0_5tupleIJNSA_16discard_iteratorINSA_11use_defaultEEESK_EEENSH_IJSG_SG_EEES6_PlJ7is_evenIjEEEE10hipError_tPvRmT3_T4_T5_T6_T7_T9_mT8_P12ihipStream_tbDpT10_ENKUlT_T0_E_clISt17integral_constantIbLb1EES19_EEDaS14_S15_EUlS14_E_NS1_11comp_targetILNS1_3genE2ELNS1_11target_archE906ELNS1_3gpuE6ELNS1_3repE0EEENS1_30default_config_static_selectorELNS0_4arch9wavefront6targetE1EEEvT1_: ; @_ZN7rocprim17ROCPRIM_400000_NS6detail17trampoline_kernelINS0_14default_configENS1_25partition_config_selectorILNS1_17partition_subalgoE0EjNS0_10empty_typeEbEEZZNS1_14partition_implILS5_0ELb0ES3_jN6thrust23THRUST_200600_302600_NS6detail15normal_iteratorINSA_10device_ptrIjEEEEPS6_SG_NS0_5tupleIJNSA_16discard_iteratorINSA_11use_defaultEEESK_EEENSH_IJSG_SG_EEES6_PlJ7is_evenIjEEEE10hipError_tPvRmT3_T4_T5_T6_T7_T9_mT8_P12ihipStream_tbDpT10_ENKUlT_T0_E_clISt17integral_constantIbLb1EES19_EEDaS14_S15_EUlS14_E_NS1_11comp_targetILNS1_3genE2ELNS1_11target_archE906ELNS1_3gpuE6ELNS1_3repE0EEENS1_30default_config_static_selectorELNS0_4arch9wavefront6targetE1EEEvT1_
; %bb.0:
	.section	.rodata,"a",@progbits
	.p2align	6, 0x0
	.amdhsa_kernel _ZN7rocprim17ROCPRIM_400000_NS6detail17trampoline_kernelINS0_14default_configENS1_25partition_config_selectorILNS1_17partition_subalgoE0EjNS0_10empty_typeEbEEZZNS1_14partition_implILS5_0ELb0ES3_jN6thrust23THRUST_200600_302600_NS6detail15normal_iteratorINSA_10device_ptrIjEEEEPS6_SG_NS0_5tupleIJNSA_16discard_iteratorINSA_11use_defaultEEESK_EEENSH_IJSG_SG_EEES6_PlJ7is_evenIjEEEE10hipError_tPvRmT3_T4_T5_T6_T7_T9_mT8_P12ihipStream_tbDpT10_ENKUlT_T0_E_clISt17integral_constantIbLb1EES19_EEDaS14_S15_EUlS14_E_NS1_11comp_targetILNS1_3genE2ELNS1_11target_archE906ELNS1_3gpuE6ELNS1_3repE0EEENS1_30default_config_static_selectorELNS0_4arch9wavefront6targetE1EEEvT1_
		.amdhsa_group_segment_fixed_size 0
		.amdhsa_private_segment_fixed_size 0
		.amdhsa_kernarg_size 152
		.amdhsa_user_sgpr_count 6
		.amdhsa_user_sgpr_private_segment_buffer 1
		.amdhsa_user_sgpr_dispatch_ptr 0
		.amdhsa_user_sgpr_queue_ptr 0
		.amdhsa_user_sgpr_kernarg_segment_ptr 1
		.amdhsa_user_sgpr_dispatch_id 0
		.amdhsa_user_sgpr_flat_scratch_init 0
		.amdhsa_user_sgpr_kernarg_preload_length 0
		.amdhsa_user_sgpr_kernarg_preload_offset 0
		.amdhsa_user_sgpr_private_segment_size 0
		.amdhsa_uses_dynamic_stack 0
		.amdhsa_system_sgpr_private_segment_wavefront_offset 0
		.amdhsa_system_sgpr_workgroup_id_x 1
		.amdhsa_system_sgpr_workgroup_id_y 0
		.amdhsa_system_sgpr_workgroup_id_z 0
		.amdhsa_system_sgpr_workgroup_info 0
		.amdhsa_system_vgpr_workitem_id 0
		.amdhsa_next_free_vgpr 1
		.amdhsa_next_free_sgpr 0
		.amdhsa_accum_offset 4
		.amdhsa_reserve_vcc 0
		.amdhsa_reserve_flat_scratch 0
		.amdhsa_float_round_mode_32 0
		.amdhsa_float_round_mode_16_64 0
		.amdhsa_float_denorm_mode_32 3
		.amdhsa_float_denorm_mode_16_64 3
		.amdhsa_dx10_clamp 1
		.amdhsa_ieee_mode 1
		.amdhsa_fp16_overflow 0
		.amdhsa_tg_split 0
		.amdhsa_exception_fp_ieee_invalid_op 0
		.amdhsa_exception_fp_denorm_src 0
		.amdhsa_exception_fp_ieee_div_zero 0
		.amdhsa_exception_fp_ieee_overflow 0
		.amdhsa_exception_fp_ieee_underflow 0
		.amdhsa_exception_fp_ieee_inexact 0
		.amdhsa_exception_int_div_zero 0
	.end_amdhsa_kernel
	.section	.text._ZN7rocprim17ROCPRIM_400000_NS6detail17trampoline_kernelINS0_14default_configENS1_25partition_config_selectorILNS1_17partition_subalgoE0EjNS0_10empty_typeEbEEZZNS1_14partition_implILS5_0ELb0ES3_jN6thrust23THRUST_200600_302600_NS6detail15normal_iteratorINSA_10device_ptrIjEEEEPS6_SG_NS0_5tupleIJNSA_16discard_iteratorINSA_11use_defaultEEESK_EEENSH_IJSG_SG_EEES6_PlJ7is_evenIjEEEE10hipError_tPvRmT3_T4_T5_T6_T7_T9_mT8_P12ihipStream_tbDpT10_ENKUlT_T0_E_clISt17integral_constantIbLb1EES19_EEDaS14_S15_EUlS14_E_NS1_11comp_targetILNS1_3genE2ELNS1_11target_archE906ELNS1_3gpuE6ELNS1_3repE0EEENS1_30default_config_static_selectorELNS0_4arch9wavefront6targetE1EEEvT1_,"axG",@progbits,_ZN7rocprim17ROCPRIM_400000_NS6detail17trampoline_kernelINS0_14default_configENS1_25partition_config_selectorILNS1_17partition_subalgoE0EjNS0_10empty_typeEbEEZZNS1_14partition_implILS5_0ELb0ES3_jN6thrust23THRUST_200600_302600_NS6detail15normal_iteratorINSA_10device_ptrIjEEEEPS6_SG_NS0_5tupleIJNSA_16discard_iteratorINSA_11use_defaultEEESK_EEENSH_IJSG_SG_EEES6_PlJ7is_evenIjEEEE10hipError_tPvRmT3_T4_T5_T6_T7_T9_mT8_P12ihipStream_tbDpT10_ENKUlT_T0_E_clISt17integral_constantIbLb1EES19_EEDaS14_S15_EUlS14_E_NS1_11comp_targetILNS1_3genE2ELNS1_11target_archE906ELNS1_3gpuE6ELNS1_3repE0EEENS1_30default_config_static_selectorELNS0_4arch9wavefront6targetE1EEEvT1_,comdat
.Lfunc_end2407:
	.size	_ZN7rocprim17ROCPRIM_400000_NS6detail17trampoline_kernelINS0_14default_configENS1_25partition_config_selectorILNS1_17partition_subalgoE0EjNS0_10empty_typeEbEEZZNS1_14partition_implILS5_0ELb0ES3_jN6thrust23THRUST_200600_302600_NS6detail15normal_iteratorINSA_10device_ptrIjEEEEPS6_SG_NS0_5tupleIJNSA_16discard_iteratorINSA_11use_defaultEEESK_EEENSH_IJSG_SG_EEES6_PlJ7is_evenIjEEEE10hipError_tPvRmT3_T4_T5_T6_T7_T9_mT8_P12ihipStream_tbDpT10_ENKUlT_T0_E_clISt17integral_constantIbLb1EES19_EEDaS14_S15_EUlS14_E_NS1_11comp_targetILNS1_3genE2ELNS1_11target_archE906ELNS1_3gpuE6ELNS1_3repE0EEENS1_30default_config_static_selectorELNS0_4arch9wavefront6targetE1EEEvT1_, .Lfunc_end2407-_ZN7rocprim17ROCPRIM_400000_NS6detail17trampoline_kernelINS0_14default_configENS1_25partition_config_selectorILNS1_17partition_subalgoE0EjNS0_10empty_typeEbEEZZNS1_14partition_implILS5_0ELb0ES3_jN6thrust23THRUST_200600_302600_NS6detail15normal_iteratorINSA_10device_ptrIjEEEEPS6_SG_NS0_5tupleIJNSA_16discard_iteratorINSA_11use_defaultEEESK_EEENSH_IJSG_SG_EEES6_PlJ7is_evenIjEEEE10hipError_tPvRmT3_T4_T5_T6_T7_T9_mT8_P12ihipStream_tbDpT10_ENKUlT_T0_E_clISt17integral_constantIbLb1EES19_EEDaS14_S15_EUlS14_E_NS1_11comp_targetILNS1_3genE2ELNS1_11target_archE906ELNS1_3gpuE6ELNS1_3repE0EEENS1_30default_config_static_selectorELNS0_4arch9wavefront6targetE1EEEvT1_
                                        ; -- End function
	.section	.AMDGPU.csdata,"",@progbits
; Kernel info:
; codeLenInByte = 0
; NumSgprs: 4
; NumVgprs: 0
; NumAgprs: 0
; TotalNumVgprs: 0
; ScratchSize: 0
; MemoryBound: 0
; FloatMode: 240
; IeeeMode: 1
; LDSByteSize: 0 bytes/workgroup (compile time only)
; SGPRBlocks: 0
; VGPRBlocks: 0
; NumSGPRsForWavesPerEU: 4
; NumVGPRsForWavesPerEU: 1
; AccumOffset: 4
; Occupancy: 8
; WaveLimiterHint : 0
; COMPUTE_PGM_RSRC2:SCRATCH_EN: 0
; COMPUTE_PGM_RSRC2:USER_SGPR: 6
; COMPUTE_PGM_RSRC2:TRAP_HANDLER: 0
; COMPUTE_PGM_RSRC2:TGID_X_EN: 1
; COMPUTE_PGM_RSRC2:TGID_Y_EN: 0
; COMPUTE_PGM_RSRC2:TGID_Z_EN: 0
; COMPUTE_PGM_RSRC2:TIDIG_COMP_CNT: 0
; COMPUTE_PGM_RSRC3_GFX90A:ACCUM_OFFSET: 0
; COMPUTE_PGM_RSRC3_GFX90A:TG_SPLIT: 0
	.section	.text._ZN7rocprim17ROCPRIM_400000_NS6detail17trampoline_kernelINS0_14default_configENS1_25partition_config_selectorILNS1_17partition_subalgoE0EjNS0_10empty_typeEbEEZZNS1_14partition_implILS5_0ELb0ES3_jN6thrust23THRUST_200600_302600_NS6detail15normal_iteratorINSA_10device_ptrIjEEEEPS6_SG_NS0_5tupleIJNSA_16discard_iteratorINSA_11use_defaultEEESK_EEENSH_IJSG_SG_EEES6_PlJ7is_evenIjEEEE10hipError_tPvRmT3_T4_T5_T6_T7_T9_mT8_P12ihipStream_tbDpT10_ENKUlT_T0_E_clISt17integral_constantIbLb1EES19_EEDaS14_S15_EUlS14_E_NS1_11comp_targetILNS1_3genE10ELNS1_11target_archE1200ELNS1_3gpuE4ELNS1_3repE0EEENS1_30default_config_static_selectorELNS0_4arch9wavefront6targetE1EEEvT1_,"axG",@progbits,_ZN7rocprim17ROCPRIM_400000_NS6detail17trampoline_kernelINS0_14default_configENS1_25partition_config_selectorILNS1_17partition_subalgoE0EjNS0_10empty_typeEbEEZZNS1_14partition_implILS5_0ELb0ES3_jN6thrust23THRUST_200600_302600_NS6detail15normal_iteratorINSA_10device_ptrIjEEEEPS6_SG_NS0_5tupleIJNSA_16discard_iteratorINSA_11use_defaultEEESK_EEENSH_IJSG_SG_EEES6_PlJ7is_evenIjEEEE10hipError_tPvRmT3_T4_T5_T6_T7_T9_mT8_P12ihipStream_tbDpT10_ENKUlT_T0_E_clISt17integral_constantIbLb1EES19_EEDaS14_S15_EUlS14_E_NS1_11comp_targetILNS1_3genE10ELNS1_11target_archE1200ELNS1_3gpuE4ELNS1_3repE0EEENS1_30default_config_static_selectorELNS0_4arch9wavefront6targetE1EEEvT1_,comdat
	.protected	_ZN7rocprim17ROCPRIM_400000_NS6detail17trampoline_kernelINS0_14default_configENS1_25partition_config_selectorILNS1_17partition_subalgoE0EjNS0_10empty_typeEbEEZZNS1_14partition_implILS5_0ELb0ES3_jN6thrust23THRUST_200600_302600_NS6detail15normal_iteratorINSA_10device_ptrIjEEEEPS6_SG_NS0_5tupleIJNSA_16discard_iteratorINSA_11use_defaultEEESK_EEENSH_IJSG_SG_EEES6_PlJ7is_evenIjEEEE10hipError_tPvRmT3_T4_T5_T6_T7_T9_mT8_P12ihipStream_tbDpT10_ENKUlT_T0_E_clISt17integral_constantIbLb1EES19_EEDaS14_S15_EUlS14_E_NS1_11comp_targetILNS1_3genE10ELNS1_11target_archE1200ELNS1_3gpuE4ELNS1_3repE0EEENS1_30default_config_static_selectorELNS0_4arch9wavefront6targetE1EEEvT1_ ; -- Begin function _ZN7rocprim17ROCPRIM_400000_NS6detail17trampoline_kernelINS0_14default_configENS1_25partition_config_selectorILNS1_17partition_subalgoE0EjNS0_10empty_typeEbEEZZNS1_14partition_implILS5_0ELb0ES3_jN6thrust23THRUST_200600_302600_NS6detail15normal_iteratorINSA_10device_ptrIjEEEEPS6_SG_NS0_5tupleIJNSA_16discard_iteratorINSA_11use_defaultEEESK_EEENSH_IJSG_SG_EEES6_PlJ7is_evenIjEEEE10hipError_tPvRmT3_T4_T5_T6_T7_T9_mT8_P12ihipStream_tbDpT10_ENKUlT_T0_E_clISt17integral_constantIbLb1EES19_EEDaS14_S15_EUlS14_E_NS1_11comp_targetILNS1_3genE10ELNS1_11target_archE1200ELNS1_3gpuE4ELNS1_3repE0EEENS1_30default_config_static_selectorELNS0_4arch9wavefront6targetE1EEEvT1_
	.globl	_ZN7rocprim17ROCPRIM_400000_NS6detail17trampoline_kernelINS0_14default_configENS1_25partition_config_selectorILNS1_17partition_subalgoE0EjNS0_10empty_typeEbEEZZNS1_14partition_implILS5_0ELb0ES3_jN6thrust23THRUST_200600_302600_NS6detail15normal_iteratorINSA_10device_ptrIjEEEEPS6_SG_NS0_5tupleIJNSA_16discard_iteratorINSA_11use_defaultEEESK_EEENSH_IJSG_SG_EEES6_PlJ7is_evenIjEEEE10hipError_tPvRmT3_T4_T5_T6_T7_T9_mT8_P12ihipStream_tbDpT10_ENKUlT_T0_E_clISt17integral_constantIbLb1EES19_EEDaS14_S15_EUlS14_E_NS1_11comp_targetILNS1_3genE10ELNS1_11target_archE1200ELNS1_3gpuE4ELNS1_3repE0EEENS1_30default_config_static_selectorELNS0_4arch9wavefront6targetE1EEEvT1_
	.p2align	8
	.type	_ZN7rocprim17ROCPRIM_400000_NS6detail17trampoline_kernelINS0_14default_configENS1_25partition_config_selectorILNS1_17partition_subalgoE0EjNS0_10empty_typeEbEEZZNS1_14partition_implILS5_0ELb0ES3_jN6thrust23THRUST_200600_302600_NS6detail15normal_iteratorINSA_10device_ptrIjEEEEPS6_SG_NS0_5tupleIJNSA_16discard_iteratorINSA_11use_defaultEEESK_EEENSH_IJSG_SG_EEES6_PlJ7is_evenIjEEEE10hipError_tPvRmT3_T4_T5_T6_T7_T9_mT8_P12ihipStream_tbDpT10_ENKUlT_T0_E_clISt17integral_constantIbLb1EES19_EEDaS14_S15_EUlS14_E_NS1_11comp_targetILNS1_3genE10ELNS1_11target_archE1200ELNS1_3gpuE4ELNS1_3repE0EEENS1_30default_config_static_selectorELNS0_4arch9wavefront6targetE1EEEvT1_,@function
_ZN7rocprim17ROCPRIM_400000_NS6detail17trampoline_kernelINS0_14default_configENS1_25partition_config_selectorILNS1_17partition_subalgoE0EjNS0_10empty_typeEbEEZZNS1_14partition_implILS5_0ELb0ES3_jN6thrust23THRUST_200600_302600_NS6detail15normal_iteratorINSA_10device_ptrIjEEEEPS6_SG_NS0_5tupleIJNSA_16discard_iteratorINSA_11use_defaultEEESK_EEENSH_IJSG_SG_EEES6_PlJ7is_evenIjEEEE10hipError_tPvRmT3_T4_T5_T6_T7_T9_mT8_P12ihipStream_tbDpT10_ENKUlT_T0_E_clISt17integral_constantIbLb1EES19_EEDaS14_S15_EUlS14_E_NS1_11comp_targetILNS1_3genE10ELNS1_11target_archE1200ELNS1_3gpuE4ELNS1_3repE0EEENS1_30default_config_static_selectorELNS0_4arch9wavefront6targetE1EEEvT1_: ; @_ZN7rocprim17ROCPRIM_400000_NS6detail17trampoline_kernelINS0_14default_configENS1_25partition_config_selectorILNS1_17partition_subalgoE0EjNS0_10empty_typeEbEEZZNS1_14partition_implILS5_0ELb0ES3_jN6thrust23THRUST_200600_302600_NS6detail15normal_iteratorINSA_10device_ptrIjEEEEPS6_SG_NS0_5tupleIJNSA_16discard_iteratorINSA_11use_defaultEEESK_EEENSH_IJSG_SG_EEES6_PlJ7is_evenIjEEEE10hipError_tPvRmT3_T4_T5_T6_T7_T9_mT8_P12ihipStream_tbDpT10_ENKUlT_T0_E_clISt17integral_constantIbLb1EES19_EEDaS14_S15_EUlS14_E_NS1_11comp_targetILNS1_3genE10ELNS1_11target_archE1200ELNS1_3gpuE4ELNS1_3repE0EEENS1_30default_config_static_selectorELNS0_4arch9wavefront6targetE1EEEvT1_
; %bb.0:
	.section	.rodata,"a",@progbits
	.p2align	6, 0x0
	.amdhsa_kernel _ZN7rocprim17ROCPRIM_400000_NS6detail17trampoline_kernelINS0_14default_configENS1_25partition_config_selectorILNS1_17partition_subalgoE0EjNS0_10empty_typeEbEEZZNS1_14partition_implILS5_0ELb0ES3_jN6thrust23THRUST_200600_302600_NS6detail15normal_iteratorINSA_10device_ptrIjEEEEPS6_SG_NS0_5tupleIJNSA_16discard_iteratorINSA_11use_defaultEEESK_EEENSH_IJSG_SG_EEES6_PlJ7is_evenIjEEEE10hipError_tPvRmT3_T4_T5_T6_T7_T9_mT8_P12ihipStream_tbDpT10_ENKUlT_T0_E_clISt17integral_constantIbLb1EES19_EEDaS14_S15_EUlS14_E_NS1_11comp_targetILNS1_3genE10ELNS1_11target_archE1200ELNS1_3gpuE4ELNS1_3repE0EEENS1_30default_config_static_selectorELNS0_4arch9wavefront6targetE1EEEvT1_
		.amdhsa_group_segment_fixed_size 0
		.amdhsa_private_segment_fixed_size 0
		.amdhsa_kernarg_size 152
		.amdhsa_user_sgpr_count 6
		.amdhsa_user_sgpr_private_segment_buffer 1
		.amdhsa_user_sgpr_dispatch_ptr 0
		.amdhsa_user_sgpr_queue_ptr 0
		.amdhsa_user_sgpr_kernarg_segment_ptr 1
		.amdhsa_user_sgpr_dispatch_id 0
		.amdhsa_user_sgpr_flat_scratch_init 0
		.amdhsa_user_sgpr_kernarg_preload_length 0
		.amdhsa_user_sgpr_kernarg_preload_offset 0
		.amdhsa_user_sgpr_private_segment_size 0
		.amdhsa_uses_dynamic_stack 0
		.amdhsa_system_sgpr_private_segment_wavefront_offset 0
		.amdhsa_system_sgpr_workgroup_id_x 1
		.amdhsa_system_sgpr_workgroup_id_y 0
		.amdhsa_system_sgpr_workgroup_id_z 0
		.amdhsa_system_sgpr_workgroup_info 0
		.amdhsa_system_vgpr_workitem_id 0
		.amdhsa_next_free_vgpr 1
		.amdhsa_next_free_sgpr 0
		.amdhsa_accum_offset 4
		.amdhsa_reserve_vcc 0
		.amdhsa_reserve_flat_scratch 0
		.amdhsa_float_round_mode_32 0
		.amdhsa_float_round_mode_16_64 0
		.amdhsa_float_denorm_mode_32 3
		.amdhsa_float_denorm_mode_16_64 3
		.amdhsa_dx10_clamp 1
		.amdhsa_ieee_mode 1
		.amdhsa_fp16_overflow 0
		.amdhsa_tg_split 0
		.amdhsa_exception_fp_ieee_invalid_op 0
		.amdhsa_exception_fp_denorm_src 0
		.amdhsa_exception_fp_ieee_div_zero 0
		.amdhsa_exception_fp_ieee_overflow 0
		.amdhsa_exception_fp_ieee_underflow 0
		.amdhsa_exception_fp_ieee_inexact 0
		.amdhsa_exception_int_div_zero 0
	.end_amdhsa_kernel
	.section	.text._ZN7rocprim17ROCPRIM_400000_NS6detail17trampoline_kernelINS0_14default_configENS1_25partition_config_selectorILNS1_17partition_subalgoE0EjNS0_10empty_typeEbEEZZNS1_14partition_implILS5_0ELb0ES3_jN6thrust23THRUST_200600_302600_NS6detail15normal_iteratorINSA_10device_ptrIjEEEEPS6_SG_NS0_5tupleIJNSA_16discard_iteratorINSA_11use_defaultEEESK_EEENSH_IJSG_SG_EEES6_PlJ7is_evenIjEEEE10hipError_tPvRmT3_T4_T5_T6_T7_T9_mT8_P12ihipStream_tbDpT10_ENKUlT_T0_E_clISt17integral_constantIbLb1EES19_EEDaS14_S15_EUlS14_E_NS1_11comp_targetILNS1_3genE10ELNS1_11target_archE1200ELNS1_3gpuE4ELNS1_3repE0EEENS1_30default_config_static_selectorELNS0_4arch9wavefront6targetE1EEEvT1_,"axG",@progbits,_ZN7rocprim17ROCPRIM_400000_NS6detail17trampoline_kernelINS0_14default_configENS1_25partition_config_selectorILNS1_17partition_subalgoE0EjNS0_10empty_typeEbEEZZNS1_14partition_implILS5_0ELb0ES3_jN6thrust23THRUST_200600_302600_NS6detail15normal_iteratorINSA_10device_ptrIjEEEEPS6_SG_NS0_5tupleIJNSA_16discard_iteratorINSA_11use_defaultEEESK_EEENSH_IJSG_SG_EEES6_PlJ7is_evenIjEEEE10hipError_tPvRmT3_T4_T5_T6_T7_T9_mT8_P12ihipStream_tbDpT10_ENKUlT_T0_E_clISt17integral_constantIbLb1EES19_EEDaS14_S15_EUlS14_E_NS1_11comp_targetILNS1_3genE10ELNS1_11target_archE1200ELNS1_3gpuE4ELNS1_3repE0EEENS1_30default_config_static_selectorELNS0_4arch9wavefront6targetE1EEEvT1_,comdat
.Lfunc_end2408:
	.size	_ZN7rocprim17ROCPRIM_400000_NS6detail17trampoline_kernelINS0_14default_configENS1_25partition_config_selectorILNS1_17partition_subalgoE0EjNS0_10empty_typeEbEEZZNS1_14partition_implILS5_0ELb0ES3_jN6thrust23THRUST_200600_302600_NS6detail15normal_iteratorINSA_10device_ptrIjEEEEPS6_SG_NS0_5tupleIJNSA_16discard_iteratorINSA_11use_defaultEEESK_EEENSH_IJSG_SG_EEES6_PlJ7is_evenIjEEEE10hipError_tPvRmT3_T4_T5_T6_T7_T9_mT8_P12ihipStream_tbDpT10_ENKUlT_T0_E_clISt17integral_constantIbLb1EES19_EEDaS14_S15_EUlS14_E_NS1_11comp_targetILNS1_3genE10ELNS1_11target_archE1200ELNS1_3gpuE4ELNS1_3repE0EEENS1_30default_config_static_selectorELNS0_4arch9wavefront6targetE1EEEvT1_, .Lfunc_end2408-_ZN7rocprim17ROCPRIM_400000_NS6detail17trampoline_kernelINS0_14default_configENS1_25partition_config_selectorILNS1_17partition_subalgoE0EjNS0_10empty_typeEbEEZZNS1_14partition_implILS5_0ELb0ES3_jN6thrust23THRUST_200600_302600_NS6detail15normal_iteratorINSA_10device_ptrIjEEEEPS6_SG_NS0_5tupleIJNSA_16discard_iteratorINSA_11use_defaultEEESK_EEENSH_IJSG_SG_EEES6_PlJ7is_evenIjEEEE10hipError_tPvRmT3_T4_T5_T6_T7_T9_mT8_P12ihipStream_tbDpT10_ENKUlT_T0_E_clISt17integral_constantIbLb1EES19_EEDaS14_S15_EUlS14_E_NS1_11comp_targetILNS1_3genE10ELNS1_11target_archE1200ELNS1_3gpuE4ELNS1_3repE0EEENS1_30default_config_static_selectorELNS0_4arch9wavefront6targetE1EEEvT1_
                                        ; -- End function
	.section	.AMDGPU.csdata,"",@progbits
; Kernel info:
; codeLenInByte = 0
; NumSgprs: 4
; NumVgprs: 0
; NumAgprs: 0
; TotalNumVgprs: 0
; ScratchSize: 0
; MemoryBound: 0
; FloatMode: 240
; IeeeMode: 1
; LDSByteSize: 0 bytes/workgroup (compile time only)
; SGPRBlocks: 0
; VGPRBlocks: 0
; NumSGPRsForWavesPerEU: 4
; NumVGPRsForWavesPerEU: 1
; AccumOffset: 4
; Occupancy: 8
; WaveLimiterHint : 0
; COMPUTE_PGM_RSRC2:SCRATCH_EN: 0
; COMPUTE_PGM_RSRC2:USER_SGPR: 6
; COMPUTE_PGM_RSRC2:TRAP_HANDLER: 0
; COMPUTE_PGM_RSRC2:TGID_X_EN: 1
; COMPUTE_PGM_RSRC2:TGID_Y_EN: 0
; COMPUTE_PGM_RSRC2:TGID_Z_EN: 0
; COMPUTE_PGM_RSRC2:TIDIG_COMP_CNT: 0
; COMPUTE_PGM_RSRC3_GFX90A:ACCUM_OFFSET: 0
; COMPUTE_PGM_RSRC3_GFX90A:TG_SPLIT: 0
	.section	.text._ZN7rocprim17ROCPRIM_400000_NS6detail17trampoline_kernelINS0_14default_configENS1_25partition_config_selectorILNS1_17partition_subalgoE0EjNS0_10empty_typeEbEEZZNS1_14partition_implILS5_0ELb0ES3_jN6thrust23THRUST_200600_302600_NS6detail15normal_iteratorINSA_10device_ptrIjEEEEPS6_SG_NS0_5tupleIJNSA_16discard_iteratorINSA_11use_defaultEEESK_EEENSH_IJSG_SG_EEES6_PlJ7is_evenIjEEEE10hipError_tPvRmT3_T4_T5_T6_T7_T9_mT8_P12ihipStream_tbDpT10_ENKUlT_T0_E_clISt17integral_constantIbLb1EES19_EEDaS14_S15_EUlS14_E_NS1_11comp_targetILNS1_3genE9ELNS1_11target_archE1100ELNS1_3gpuE3ELNS1_3repE0EEENS1_30default_config_static_selectorELNS0_4arch9wavefront6targetE1EEEvT1_,"axG",@progbits,_ZN7rocprim17ROCPRIM_400000_NS6detail17trampoline_kernelINS0_14default_configENS1_25partition_config_selectorILNS1_17partition_subalgoE0EjNS0_10empty_typeEbEEZZNS1_14partition_implILS5_0ELb0ES3_jN6thrust23THRUST_200600_302600_NS6detail15normal_iteratorINSA_10device_ptrIjEEEEPS6_SG_NS0_5tupleIJNSA_16discard_iteratorINSA_11use_defaultEEESK_EEENSH_IJSG_SG_EEES6_PlJ7is_evenIjEEEE10hipError_tPvRmT3_T4_T5_T6_T7_T9_mT8_P12ihipStream_tbDpT10_ENKUlT_T0_E_clISt17integral_constantIbLb1EES19_EEDaS14_S15_EUlS14_E_NS1_11comp_targetILNS1_3genE9ELNS1_11target_archE1100ELNS1_3gpuE3ELNS1_3repE0EEENS1_30default_config_static_selectorELNS0_4arch9wavefront6targetE1EEEvT1_,comdat
	.protected	_ZN7rocprim17ROCPRIM_400000_NS6detail17trampoline_kernelINS0_14default_configENS1_25partition_config_selectorILNS1_17partition_subalgoE0EjNS0_10empty_typeEbEEZZNS1_14partition_implILS5_0ELb0ES3_jN6thrust23THRUST_200600_302600_NS6detail15normal_iteratorINSA_10device_ptrIjEEEEPS6_SG_NS0_5tupleIJNSA_16discard_iteratorINSA_11use_defaultEEESK_EEENSH_IJSG_SG_EEES6_PlJ7is_evenIjEEEE10hipError_tPvRmT3_T4_T5_T6_T7_T9_mT8_P12ihipStream_tbDpT10_ENKUlT_T0_E_clISt17integral_constantIbLb1EES19_EEDaS14_S15_EUlS14_E_NS1_11comp_targetILNS1_3genE9ELNS1_11target_archE1100ELNS1_3gpuE3ELNS1_3repE0EEENS1_30default_config_static_selectorELNS0_4arch9wavefront6targetE1EEEvT1_ ; -- Begin function _ZN7rocprim17ROCPRIM_400000_NS6detail17trampoline_kernelINS0_14default_configENS1_25partition_config_selectorILNS1_17partition_subalgoE0EjNS0_10empty_typeEbEEZZNS1_14partition_implILS5_0ELb0ES3_jN6thrust23THRUST_200600_302600_NS6detail15normal_iteratorINSA_10device_ptrIjEEEEPS6_SG_NS0_5tupleIJNSA_16discard_iteratorINSA_11use_defaultEEESK_EEENSH_IJSG_SG_EEES6_PlJ7is_evenIjEEEE10hipError_tPvRmT3_T4_T5_T6_T7_T9_mT8_P12ihipStream_tbDpT10_ENKUlT_T0_E_clISt17integral_constantIbLb1EES19_EEDaS14_S15_EUlS14_E_NS1_11comp_targetILNS1_3genE9ELNS1_11target_archE1100ELNS1_3gpuE3ELNS1_3repE0EEENS1_30default_config_static_selectorELNS0_4arch9wavefront6targetE1EEEvT1_
	.globl	_ZN7rocprim17ROCPRIM_400000_NS6detail17trampoline_kernelINS0_14default_configENS1_25partition_config_selectorILNS1_17partition_subalgoE0EjNS0_10empty_typeEbEEZZNS1_14partition_implILS5_0ELb0ES3_jN6thrust23THRUST_200600_302600_NS6detail15normal_iteratorINSA_10device_ptrIjEEEEPS6_SG_NS0_5tupleIJNSA_16discard_iteratorINSA_11use_defaultEEESK_EEENSH_IJSG_SG_EEES6_PlJ7is_evenIjEEEE10hipError_tPvRmT3_T4_T5_T6_T7_T9_mT8_P12ihipStream_tbDpT10_ENKUlT_T0_E_clISt17integral_constantIbLb1EES19_EEDaS14_S15_EUlS14_E_NS1_11comp_targetILNS1_3genE9ELNS1_11target_archE1100ELNS1_3gpuE3ELNS1_3repE0EEENS1_30default_config_static_selectorELNS0_4arch9wavefront6targetE1EEEvT1_
	.p2align	8
	.type	_ZN7rocprim17ROCPRIM_400000_NS6detail17trampoline_kernelINS0_14default_configENS1_25partition_config_selectorILNS1_17partition_subalgoE0EjNS0_10empty_typeEbEEZZNS1_14partition_implILS5_0ELb0ES3_jN6thrust23THRUST_200600_302600_NS6detail15normal_iteratorINSA_10device_ptrIjEEEEPS6_SG_NS0_5tupleIJNSA_16discard_iteratorINSA_11use_defaultEEESK_EEENSH_IJSG_SG_EEES6_PlJ7is_evenIjEEEE10hipError_tPvRmT3_T4_T5_T6_T7_T9_mT8_P12ihipStream_tbDpT10_ENKUlT_T0_E_clISt17integral_constantIbLb1EES19_EEDaS14_S15_EUlS14_E_NS1_11comp_targetILNS1_3genE9ELNS1_11target_archE1100ELNS1_3gpuE3ELNS1_3repE0EEENS1_30default_config_static_selectorELNS0_4arch9wavefront6targetE1EEEvT1_,@function
_ZN7rocprim17ROCPRIM_400000_NS6detail17trampoline_kernelINS0_14default_configENS1_25partition_config_selectorILNS1_17partition_subalgoE0EjNS0_10empty_typeEbEEZZNS1_14partition_implILS5_0ELb0ES3_jN6thrust23THRUST_200600_302600_NS6detail15normal_iteratorINSA_10device_ptrIjEEEEPS6_SG_NS0_5tupleIJNSA_16discard_iteratorINSA_11use_defaultEEESK_EEENSH_IJSG_SG_EEES6_PlJ7is_evenIjEEEE10hipError_tPvRmT3_T4_T5_T6_T7_T9_mT8_P12ihipStream_tbDpT10_ENKUlT_T0_E_clISt17integral_constantIbLb1EES19_EEDaS14_S15_EUlS14_E_NS1_11comp_targetILNS1_3genE9ELNS1_11target_archE1100ELNS1_3gpuE3ELNS1_3repE0EEENS1_30default_config_static_selectorELNS0_4arch9wavefront6targetE1EEEvT1_: ; @_ZN7rocprim17ROCPRIM_400000_NS6detail17trampoline_kernelINS0_14default_configENS1_25partition_config_selectorILNS1_17partition_subalgoE0EjNS0_10empty_typeEbEEZZNS1_14partition_implILS5_0ELb0ES3_jN6thrust23THRUST_200600_302600_NS6detail15normal_iteratorINSA_10device_ptrIjEEEEPS6_SG_NS0_5tupleIJNSA_16discard_iteratorINSA_11use_defaultEEESK_EEENSH_IJSG_SG_EEES6_PlJ7is_evenIjEEEE10hipError_tPvRmT3_T4_T5_T6_T7_T9_mT8_P12ihipStream_tbDpT10_ENKUlT_T0_E_clISt17integral_constantIbLb1EES19_EEDaS14_S15_EUlS14_E_NS1_11comp_targetILNS1_3genE9ELNS1_11target_archE1100ELNS1_3gpuE3ELNS1_3repE0EEENS1_30default_config_static_selectorELNS0_4arch9wavefront6targetE1EEEvT1_
; %bb.0:
	.section	.rodata,"a",@progbits
	.p2align	6, 0x0
	.amdhsa_kernel _ZN7rocprim17ROCPRIM_400000_NS6detail17trampoline_kernelINS0_14default_configENS1_25partition_config_selectorILNS1_17partition_subalgoE0EjNS0_10empty_typeEbEEZZNS1_14partition_implILS5_0ELb0ES3_jN6thrust23THRUST_200600_302600_NS6detail15normal_iteratorINSA_10device_ptrIjEEEEPS6_SG_NS0_5tupleIJNSA_16discard_iteratorINSA_11use_defaultEEESK_EEENSH_IJSG_SG_EEES6_PlJ7is_evenIjEEEE10hipError_tPvRmT3_T4_T5_T6_T7_T9_mT8_P12ihipStream_tbDpT10_ENKUlT_T0_E_clISt17integral_constantIbLb1EES19_EEDaS14_S15_EUlS14_E_NS1_11comp_targetILNS1_3genE9ELNS1_11target_archE1100ELNS1_3gpuE3ELNS1_3repE0EEENS1_30default_config_static_selectorELNS0_4arch9wavefront6targetE1EEEvT1_
		.amdhsa_group_segment_fixed_size 0
		.amdhsa_private_segment_fixed_size 0
		.amdhsa_kernarg_size 152
		.amdhsa_user_sgpr_count 6
		.amdhsa_user_sgpr_private_segment_buffer 1
		.amdhsa_user_sgpr_dispatch_ptr 0
		.amdhsa_user_sgpr_queue_ptr 0
		.amdhsa_user_sgpr_kernarg_segment_ptr 1
		.amdhsa_user_sgpr_dispatch_id 0
		.amdhsa_user_sgpr_flat_scratch_init 0
		.amdhsa_user_sgpr_kernarg_preload_length 0
		.amdhsa_user_sgpr_kernarg_preload_offset 0
		.amdhsa_user_sgpr_private_segment_size 0
		.amdhsa_uses_dynamic_stack 0
		.amdhsa_system_sgpr_private_segment_wavefront_offset 0
		.amdhsa_system_sgpr_workgroup_id_x 1
		.amdhsa_system_sgpr_workgroup_id_y 0
		.amdhsa_system_sgpr_workgroup_id_z 0
		.amdhsa_system_sgpr_workgroup_info 0
		.amdhsa_system_vgpr_workitem_id 0
		.amdhsa_next_free_vgpr 1
		.amdhsa_next_free_sgpr 0
		.amdhsa_accum_offset 4
		.amdhsa_reserve_vcc 0
		.amdhsa_reserve_flat_scratch 0
		.amdhsa_float_round_mode_32 0
		.amdhsa_float_round_mode_16_64 0
		.amdhsa_float_denorm_mode_32 3
		.amdhsa_float_denorm_mode_16_64 3
		.amdhsa_dx10_clamp 1
		.amdhsa_ieee_mode 1
		.amdhsa_fp16_overflow 0
		.amdhsa_tg_split 0
		.amdhsa_exception_fp_ieee_invalid_op 0
		.amdhsa_exception_fp_denorm_src 0
		.amdhsa_exception_fp_ieee_div_zero 0
		.amdhsa_exception_fp_ieee_overflow 0
		.amdhsa_exception_fp_ieee_underflow 0
		.amdhsa_exception_fp_ieee_inexact 0
		.amdhsa_exception_int_div_zero 0
	.end_amdhsa_kernel
	.section	.text._ZN7rocprim17ROCPRIM_400000_NS6detail17trampoline_kernelINS0_14default_configENS1_25partition_config_selectorILNS1_17partition_subalgoE0EjNS0_10empty_typeEbEEZZNS1_14partition_implILS5_0ELb0ES3_jN6thrust23THRUST_200600_302600_NS6detail15normal_iteratorINSA_10device_ptrIjEEEEPS6_SG_NS0_5tupleIJNSA_16discard_iteratorINSA_11use_defaultEEESK_EEENSH_IJSG_SG_EEES6_PlJ7is_evenIjEEEE10hipError_tPvRmT3_T4_T5_T6_T7_T9_mT8_P12ihipStream_tbDpT10_ENKUlT_T0_E_clISt17integral_constantIbLb1EES19_EEDaS14_S15_EUlS14_E_NS1_11comp_targetILNS1_3genE9ELNS1_11target_archE1100ELNS1_3gpuE3ELNS1_3repE0EEENS1_30default_config_static_selectorELNS0_4arch9wavefront6targetE1EEEvT1_,"axG",@progbits,_ZN7rocprim17ROCPRIM_400000_NS6detail17trampoline_kernelINS0_14default_configENS1_25partition_config_selectorILNS1_17partition_subalgoE0EjNS0_10empty_typeEbEEZZNS1_14partition_implILS5_0ELb0ES3_jN6thrust23THRUST_200600_302600_NS6detail15normal_iteratorINSA_10device_ptrIjEEEEPS6_SG_NS0_5tupleIJNSA_16discard_iteratorINSA_11use_defaultEEESK_EEENSH_IJSG_SG_EEES6_PlJ7is_evenIjEEEE10hipError_tPvRmT3_T4_T5_T6_T7_T9_mT8_P12ihipStream_tbDpT10_ENKUlT_T0_E_clISt17integral_constantIbLb1EES19_EEDaS14_S15_EUlS14_E_NS1_11comp_targetILNS1_3genE9ELNS1_11target_archE1100ELNS1_3gpuE3ELNS1_3repE0EEENS1_30default_config_static_selectorELNS0_4arch9wavefront6targetE1EEEvT1_,comdat
.Lfunc_end2409:
	.size	_ZN7rocprim17ROCPRIM_400000_NS6detail17trampoline_kernelINS0_14default_configENS1_25partition_config_selectorILNS1_17partition_subalgoE0EjNS0_10empty_typeEbEEZZNS1_14partition_implILS5_0ELb0ES3_jN6thrust23THRUST_200600_302600_NS6detail15normal_iteratorINSA_10device_ptrIjEEEEPS6_SG_NS0_5tupleIJNSA_16discard_iteratorINSA_11use_defaultEEESK_EEENSH_IJSG_SG_EEES6_PlJ7is_evenIjEEEE10hipError_tPvRmT3_T4_T5_T6_T7_T9_mT8_P12ihipStream_tbDpT10_ENKUlT_T0_E_clISt17integral_constantIbLb1EES19_EEDaS14_S15_EUlS14_E_NS1_11comp_targetILNS1_3genE9ELNS1_11target_archE1100ELNS1_3gpuE3ELNS1_3repE0EEENS1_30default_config_static_selectorELNS0_4arch9wavefront6targetE1EEEvT1_, .Lfunc_end2409-_ZN7rocprim17ROCPRIM_400000_NS6detail17trampoline_kernelINS0_14default_configENS1_25partition_config_selectorILNS1_17partition_subalgoE0EjNS0_10empty_typeEbEEZZNS1_14partition_implILS5_0ELb0ES3_jN6thrust23THRUST_200600_302600_NS6detail15normal_iteratorINSA_10device_ptrIjEEEEPS6_SG_NS0_5tupleIJNSA_16discard_iteratorINSA_11use_defaultEEESK_EEENSH_IJSG_SG_EEES6_PlJ7is_evenIjEEEE10hipError_tPvRmT3_T4_T5_T6_T7_T9_mT8_P12ihipStream_tbDpT10_ENKUlT_T0_E_clISt17integral_constantIbLb1EES19_EEDaS14_S15_EUlS14_E_NS1_11comp_targetILNS1_3genE9ELNS1_11target_archE1100ELNS1_3gpuE3ELNS1_3repE0EEENS1_30default_config_static_selectorELNS0_4arch9wavefront6targetE1EEEvT1_
                                        ; -- End function
	.section	.AMDGPU.csdata,"",@progbits
; Kernel info:
; codeLenInByte = 0
; NumSgprs: 4
; NumVgprs: 0
; NumAgprs: 0
; TotalNumVgprs: 0
; ScratchSize: 0
; MemoryBound: 0
; FloatMode: 240
; IeeeMode: 1
; LDSByteSize: 0 bytes/workgroup (compile time only)
; SGPRBlocks: 0
; VGPRBlocks: 0
; NumSGPRsForWavesPerEU: 4
; NumVGPRsForWavesPerEU: 1
; AccumOffset: 4
; Occupancy: 8
; WaveLimiterHint : 0
; COMPUTE_PGM_RSRC2:SCRATCH_EN: 0
; COMPUTE_PGM_RSRC2:USER_SGPR: 6
; COMPUTE_PGM_RSRC2:TRAP_HANDLER: 0
; COMPUTE_PGM_RSRC2:TGID_X_EN: 1
; COMPUTE_PGM_RSRC2:TGID_Y_EN: 0
; COMPUTE_PGM_RSRC2:TGID_Z_EN: 0
; COMPUTE_PGM_RSRC2:TIDIG_COMP_CNT: 0
; COMPUTE_PGM_RSRC3_GFX90A:ACCUM_OFFSET: 0
; COMPUTE_PGM_RSRC3_GFX90A:TG_SPLIT: 0
	.section	.text._ZN7rocprim17ROCPRIM_400000_NS6detail17trampoline_kernelINS0_14default_configENS1_25partition_config_selectorILNS1_17partition_subalgoE0EjNS0_10empty_typeEbEEZZNS1_14partition_implILS5_0ELb0ES3_jN6thrust23THRUST_200600_302600_NS6detail15normal_iteratorINSA_10device_ptrIjEEEEPS6_SG_NS0_5tupleIJNSA_16discard_iteratorINSA_11use_defaultEEESK_EEENSH_IJSG_SG_EEES6_PlJ7is_evenIjEEEE10hipError_tPvRmT3_T4_T5_T6_T7_T9_mT8_P12ihipStream_tbDpT10_ENKUlT_T0_E_clISt17integral_constantIbLb1EES19_EEDaS14_S15_EUlS14_E_NS1_11comp_targetILNS1_3genE8ELNS1_11target_archE1030ELNS1_3gpuE2ELNS1_3repE0EEENS1_30default_config_static_selectorELNS0_4arch9wavefront6targetE1EEEvT1_,"axG",@progbits,_ZN7rocprim17ROCPRIM_400000_NS6detail17trampoline_kernelINS0_14default_configENS1_25partition_config_selectorILNS1_17partition_subalgoE0EjNS0_10empty_typeEbEEZZNS1_14partition_implILS5_0ELb0ES3_jN6thrust23THRUST_200600_302600_NS6detail15normal_iteratorINSA_10device_ptrIjEEEEPS6_SG_NS0_5tupleIJNSA_16discard_iteratorINSA_11use_defaultEEESK_EEENSH_IJSG_SG_EEES6_PlJ7is_evenIjEEEE10hipError_tPvRmT3_T4_T5_T6_T7_T9_mT8_P12ihipStream_tbDpT10_ENKUlT_T0_E_clISt17integral_constantIbLb1EES19_EEDaS14_S15_EUlS14_E_NS1_11comp_targetILNS1_3genE8ELNS1_11target_archE1030ELNS1_3gpuE2ELNS1_3repE0EEENS1_30default_config_static_selectorELNS0_4arch9wavefront6targetE1EEEvT1_,comdat
	.protected	_ZN7rocprim17ROCPRIM_400000_NS6detail17trampoline_kernelINS0_14default_configENS1_25partition_config_selectorILNS1_17partition_subalgoE0EjNS0_10empty_typeEbEEZZNS1_14partition_implILS5_0ELb0ES3_jN6thrust23THRUST_200600_302600_NS6detail15normal_iteratorINSA_10device_ptrIjEEEEPS6_SG_NS0_5tupleIJNSA_16discard_iteratorINSA_11use_defaultEEESK_EEENSH_IJSG_SG_EEES6_PlJ7is_evenIjEEEE10hipError_tPvRmT3_T4_T5_T6_T7_T9_mT8_P12ihipStream_tbDpT10_ENKUlT_T0_E_clISt17integral_constantIbLb1EES19_EEDaS14_S15_EUlS14_E_NS1_11comp_targetILNS1_3genE8ELNS1_11target_archE1030ELNS1_3gpuE2ELNS1_3repE0EEENS1_30default_config_static_selectorELNS0_4arch9wavefront6targetE1EEEvT1_ ; -- Begin function _ZN7rocprim17ROCPRIM_400000_NS6detail17trampoline_kernelINS0_14default_configENS1_25partition_config_selectorILNS1_17partition_subalgoE0EjNS0_10empty_typeEbEEZZNS1_14partition_implILS5_0ELb0ES3_jN6thrust23THRUST_200600_302600_NS6detail15normal_iteratorINSA_10device_ptrIjEEEEPS6_SG_NS0_5tupleIJNSA_16discard_iteratorINSA_11use_defaultEEESK_EEENSH_IJSG_SG_EEES6_PlJ7is_evenIjEEEE10hipError_tPvRmT3_T4_T5_T6_T7_T9_mT8_P12ihipStream_tbDpT10_ENKUlT_T0_E_clISt17integral_constantIbLb1EES19_EEDaS14_S15_EUlS14_E_NS1_11comp_targetILNS1_3genE8ELNS1_11target_archE1030ELNS1_3gpuE2ELNS1_3repE0EEENS1_30default_config_static_selectorELNS0_4arch9wavefront6targetE1EEEvT1_
	.globl	_ZN7rocprim17ROCPRIM_400000_NS6detail17trampoline_kernelINS0_14default_configENS1_25partition_config_selectorILNS1_17partition_subalgoE0EjNS0_10empty_typeEbEEZZNS1_14partition_implILS5_0ELb0ES3_jN6thrust23THRUST_200600_302600_NS6detail15normal_iteratorINSA_10device_ptrIjEEEEPS6_SG_NS0_5tupleIJNSA_16discard_iteratorINSA_11use_defaultEEESK_EEENSH_IJSG_SG_EEES6_PlJ7is_evenIjEEEE10hipError_tPvRmT3_T4_T5_T6_T7_T9_mT8_P12ihipStream_tbDpT10_ENKUlT_T0_E_clISt17integral_constantIbLb1EES19_EEDaS14_S15_EUlS14_E_NS1_11comp_targetILNS1_3genE8ELNS1_11target_archE1030ELNS1_3gpuE2ELNS1_3repE0EEENS1_30default_config_static_selectorELNS0_4arch9wavefront6targetE1EEEvT1_
	.p2align	8
	.type	_ZN7rocprim17ROCPRIM_400000_NS6detail17trampoline_kernelINS0_14default_configENS1_25partition_config_selectorILNS1_17partition_subalgoE0EjNS0_10empty_typeEbEEZZNS1_14partition_implILS5_0ELb0ES3_jN6thrust23THRUST_200600_302600_NS6detail15normal_iteratorINSA_10device_ptrIjEEEEPS6_SG_NS0_5tupleIJNSA_16discard_iteratorINSA_11use_defaultEEESK_EEENSH_IJSG_SG_EEES6_PlJ7is_evenIjEEEE10hipError_tPvRmT3_T4_T5_T6_T7_T9_mT8_P12ihipStream_tbDpT10_ENKUlT_T0_E_clISt17integral_constantIbLb1EES19_EEDaS14_S15_EUlS14_E_NS1_11comp_targetILNS1_3genE8ELNS1_11target_archE1030ELNS1_3gpuE2ELNS1_3repE0EEENS1_30default_config_static_selectorELNS0_4arch9wavefront6targetE1EEEvT1_,@function
_ZN7rocprim17ROCPRIM_400000_NS6detail17trampoline_kernelINS0_14default_configENS1_25partition_config_selectorILNS1_17partition_subalgoE0EjNS0_10empty_typeEbEEZZNS1_14partition_implILS5_0ELb0ES3_jN6thrust23THRUST_200600_302600_NS6detail15normal_iteratorINSA_10device_ptrIjEEEEPS6_SG_NS0_5tupleIJNSA_16discard_iteratorINSA_11use_defaultEEESK_EEENSH_IJSG_SG_EEES6_PlJ7is_evenIjEEEE10hipError_tPvRmT3_T4_T5_T6_T7_T9_mT8_P12ihipStream_tbDpT10_ENKUlT_T0_E_clISt17integral_constantIbLb1EES19_EEDaS14_S15_EUlS14_E_NS1_11comp_targetILNS1_3genE8ELNS1_11target_archE1030ELNS1_3gpuE2ELNS1_3repE0EEENS1_30default_config_static_selectorELNS0_4arch9wavefront6targetE1EEEvT1_: ; @_ZN7rocprim17ROCPRIM_400000_NS6detail17trampoline_kernelINS0_14default_configENS1_25partition_config_selectorILNS1_17partition_subalgoE0EjNS0_10empty_typeEbEEZZNS1_14partition_implILS5_0ELb0ES3_jN6thrust23THRUST_200600_302600_NS6detail15normal_iteratorINSA_10device_ptrIjEEEEPS6_SG_NS0_5tupleIJNSA_16discard_iteratorINSA_11use_defaultEEESK_EEENSH_IJSG_SG_EEES6_PlJ7is_evenIjEEEE10hipError_tPvRmT3_T4_T5_T6_T7_T9_mT8_P12ihipStream_tbDpT10_ENKUlT_T0_E_clISt17integral_constantIbLb1EES19_EEDaS14_S15_EUlS14_E_NS1_11comp_targetILNS1_3genE8ELNS1_11target_archE1030ELNS1_3gpuE2ELNS1_3repE0EEENS1_30default_config_static_selectorELNS0_4arch9wavefront6targetE1EEEvT1_
; %bb.0:
	.section	.rodata,"a",@progbits
	.p2align	6, 0x0
	.amdhsa_kernel _ZN7rocprim17ROCPRIM_400000_NS6detail17trampoline_kernelINS0_14default_configENS1_25partition_config_selectorILNS1_17partition_subalgoE0EjNS0_10empty_typeEbEEZZNS1_14partition_implILS5_0ELb0ES3_jN6thrust23THRUST_200600_302600_NS6detail15normal_iteratorINSA_10device_ptrIjEEEEPS6_SG_NS0_5tupleIJNSA_16discard_iteratorINSA_11use_defaultEEESK_EEENSH_IJSG_SG_EEES6_PlJ7is_evenIjEEEE10hipError_tPvRmT3_T4_T5_T6_T7_T9_mT8_P12ihipStream_tbDpT10_ENKUlT_T0_E_clISt17integral_constantIbLb1EES19_EEDaS14_S15_EUlS14_E_NS1_11comp_targetILNS1_3genE8ELNS1_11target_archE1030ELNS1_3gpuE2ELNS1_3repE0EEENS1_30default_config_static_selectorELNS0_4arch9wavefront6targetE1EEEvT1_
		.amdhsa_group_segment_fixed_size 0
		.amdhsa_private_segment_fixed_size 0
		.amdhsa_kernarg_size 152
		.amdhsa_user_sgpr_count 6
		.amdhsa_user_sgpr_private_segment_buffer 1
		.amdhsa_user_sgpr_dispatch_ptr 0
		.amdhsa_user_sgpr_queue_ptr 0
		.amdhsa_user_sgpr_kernarg_segment_ptr 1
		.amdhsa_user_sgpr_dispatch_id 0
		.amdhsa_user_sgpr_flat_scratch_init 0
		.amdhsa_user_sgpr_kernarg_preload_length 0
		.amdhsa_user_sgpr_kernarg_preload_offset 0
		.amdhsa_user_sgpr_private_segment_size 0
		.amdhsa_uses_dynamic_stack 0
		.amdhsa_system_sgpr_private_segment_wavefront_offset 0
		.amdhsa_system_sgpr_workgroup_id_x 1
		.amdhsa_system_sgpr_workgroup_id_y 0
		.amdhsa_system_sgpr_workgroup_id_z 0
		.amdhsa_system_sgpr_workgroup_info 0
		.amdhsa_system_vgpr_workitem_id 0
		.amdhsa_next_free_vgpr 1
		.amdhsa_next_free_sgpr 0
		.amdhsa_accum_offset 4
		.amdhsa_reserve_vcc 0
		.amdhsa_reserve_flat_scratch 0
		.amdhsa_float_round_mode_32 0
		.amdhsa_float_round_mode_16_64 0
		.amdhsa_float_denorm_mode_32 3
		.amdhsa_float_denorm_mode_16_64 3
		.amdhsa_dx10_clamp 1
		.amdhsa_ieee_mode 1
		.amdhsa_fp16_overflow 0
		.amdhsa_tg_split 0
		.amdhsa_exception_fp_ieee_invalid_op 0
		.amdhsa_exception_fp_denorm_src 0
		.amdhsa_exception_fp_ieee_div_zero 0
		.amdhsa_exception_fp_ieee_overflow 0
		.amdhsa_exception_fp_ieee_underflow 0
		.amdhsa_exception_fp_ieee_inexact 0
		.amdhsa_exception_int_div_zero 0
	.end_amdhsa_kernel
	.section	.text._ZN7rocprim17ROCPRIM_400000_NS6detail17trampoline_kernelINS0_14default_configENS1_25partition_config_selectorILNS1_17partition_subalgoE0EjNS0_10empty_typeEbEEZZNS1_14partition_implILS5_0ELb0ES3_jN6thrust23THRUST_200600_302600_NS6detail15normal_iteratorINSA_10device_ptrIjEEEEPS6_SG_NS0_5tupleIJNSA_16discard_iteratorINSA_11use_defaultEEESK_EEENSH_IJSG_SG_EEES6_PlJ7is_evenIjEEEE10hipError_tPvRmT3_T4_T5_T6_T7_T9_mT8_P12ihipStream_tbDpT10_ENKUlT_T0_E_clISt17integral_constantIbLb1EES19_EEDaS14_S15_EUlS14_E_NS1_11comp_targetILNS1_3genE8ELNS1_11target_archE1030ELNS1_3gpuE2ELNS1_3repE0EEENS1_30default_config_static_selectorELNS0_4arch9wavefront6targetE1EEEvT1_,"axG",@progbits,_ZN7rocprim17ROCPRIM_400000_NS6detail17trampoline_kernelINS0_14default_configENS1_25partition_config_selectorILNS1_17partition_subalgoE0EjNS0_10empty_typeEbEEZZNS1_14partition_implILS5_0ELb0ES3_jN6thrust23THRUST_200600_302600_NS6detail15normal_iteratorINSA_10device_ptrIjEEEEPS6_SG_NS0_5tupleIJNSA_16discard_iteratorINSA_11use_defaultEEESK_EEENSH_IJSG_SG_EEES6_PlJ7is_evenIjEEEE10hipError_tPvRmT3_T4_T5_T6_T7_T9_mT8_P12ihipStream_tbDpT10_ENKUlT_T0_E_clISt17integral_constantIbLb1EES19_EEDaS14_S15_EUlS14_E_NS1_11comp_targetILNS1_3genE8ELNS1_11target_archE1030ELNS1_3gpuE2ELNS1_3repE0EEENS1_30default_config_static_selectorELNS0_4arch9wavefront6targetE1EEEvT1_,comdat
.Lfunc_end2410:
	.size	_ZN7rocprim17ROCPRIM_400000_NS6detail17trampoline_kernelINS0_14default_configENS1_25partition_config_selectorILNS1_17partition_subalgoE0EjNS0_10empty_typeEbEEZZNS1_14partition_implILS5_0ELb0ES3_jN6thrust23THRUST_200600_302600_NS6detail15normal_iteratorINSA_10device_ptrIjEEEEPS6_SG_NS0_5tupleIJNSA_16discard_iteratorINSA_11use_defaultEEESK_EEENSH_IJSG_SG_EEES6_PlJ7is_evenIjEEEE10hipError_tPvRmT3_T4_T5_T6_T7_T9_mT8_P12ihipStream_tbDpT10_ENKUlT_T0_E_clISt17integral_constantIbLb1EES19_EEDaS14_S15_EUlS14_E_NS1_11comp_targetILNS1_3genE8ELNS1_11target_archE1030ELNS1_3gpuE2ELNS1_3repE0EEENS1_30default_config_static_selectorELNS0_4arch9wavefront6targetE1EEEvT1_, .Lfunc_end2410-_ZN7rocprim17ROCPRIM_400000_NS6detail17trampoline_kernelINS0_14default_configENS1_25partition_config_selectorILNS1_17partition_subalgoE0EjNS0_10empty_typeEbEEZZNS1_14partition_implILS5_0ELb0ES3_jN6thrust23THRUST_200600_302600_NS6detail15normal_iteratorINSA_10device_ptrIjEEEEPS6_SG_NS0_5tupleIJNSA_16discard_iteratorINSA_11use_defaultEEESK_EEENSH_IJSG_SG_EEES6_PlJ7is_evenIjEEEE10hipError_tPvRmT3_T4_T5_T6_T7_T9_mT8_P12ihipStream_tbDpT10_ENKUlT_T0_E_clISt17integral_constantIbLb1EES19_EEDaS14_S15_EUlS14_E_NS1_11comp_targetILNS1_3genE8ELNS1_11target_archE1030ELNS1_3gpuE2ELNS1_3repE0EEENS1_30default_config_static_selectorELNS0_4arch9wavefront6targetE1EEEvT1_
                                        ; -- End function
	.section	.AMDGPU.csdata,"",@progbits
; Kernel info:
; codeLenInByte = 0
; NumSgprs: 4
; NumVgprs: 0
; NumAgprs: 0
; TotalNumVgprs: 0
; ScratchSize: 0
; MemoryBound: 0
; FloatMode: 240
; IeeeMode: 1
; LDSByteSize: 0 bytes/workgroup (compile time only)
; SGPRBlocks: 0
; VGPRBlocks: 0
; NumSGPRsForWavesPerEU: 4
; NumVGPRsForWavesPerEU: 1
; AccumOffset: 4
; Occupancy: 8
; WaveLimiterHint : 0
; COMPUTE_PGM_RSRC2:SCRATCH_EN: 0
; COMPUTE_PGM_RSRC2:USER_SGPR: 6
; COMPUTE_PGM_RSRC2:TRAP_HANDLER: 0
; COMPUTE_PGM_RSRC2:TGID_X_EN: 1
; COMPUTE_PGM_RSRC2:TGID_Y_EN: 0
; COMPUTE_PGM_RSRC2:TGID_Z_EN: 0
; COMPUTE_PGM_RSRC2:TIDIG_COMP_CNT: 0
; COMPUTE_PGM_RSRC3_GFX90A:ACCUM_OFFSET: 0
; COMPUTE_PGM_RSRC3_GFX90A:TG_SPLIT: 0
	.section	.text._ZN7rocprim17ROCPRIM_400000_NS6detail17trampoline_kernelINS0_14default_configENS1_25partition_config_selectorILNS1_17partition_subalgoE0EjNS0_10empty_typeEbEEZZNS1_14partition_implILS5_0ELb0ES3_jN6thrust23THRUST_200600_302600_NS6detail15normal_iteratorINSA_10device_ptrIjEEEEPS6_SG_NS0_5tupleIJNSA_16discard_iteratorINSA_11use_defaultEEESK_EEENSH_IJSG_SG_EEES6_PlJ7is_evenIjEEEE10hipError_tPvRmT3_T4_T5_T6_T7_T9_mT8_P12ihipStream_tbDpT10_ENKUlT_T0_E_clISt17integral_constantIbLb1EES18_IbLb0EEEEDaS14_S15_EUlS14_E_NS1_11comp_targetILNS1_3genE0ELNS1_11target_archE4294967295ELNS1_3gpuE0ELNS1_3repE0EEENS1_30default_config_static_selectorELNS0_4arch9wavefront6targetE1EEEvT1_,"axG",@progbits,_ZN7rocprim17ROCPRIM_400000_NS6detail17trampoline_kernelINS0_14default_configENS1_25partition_config_selectorILNS1_17partition_subalgoE0EjNS0_10empty_typeEbEEZZNS1_14partition_implILS5_0ELb0ES3_jN6thrust23THRUST_200600_302600_NS6detail15normal_iteratorINSA_10device_ptrIjEEEEPS6_SG_NS0_5tupleIJNSA_16discard_iteratorINSA_11use_defaultEEESK_EEENSH_IJSG_SG_EEES6_PlJ7is_evenIjEEEE10hipError_tPvRmT3_T4_T5_T6_T7_T9_mT8_P12ihipStream_tbDpT10_ENKUlT_T0_E_clISt17integral_constantIbLb1EES18_IbLb0EEEEDaS14_S15_EUlS14_E_NS1_11comp_targetILNS1_3genE0ELNS1_11target_archE4294967295ELNS1_3gpuE0ELNS1_3repE0EEENS1_30default_config_static_selectorELNS0_4arch9wavefront6targetE1EEEvT1_,comdat
	.protected	_ZN7rocprim17ROCPRIM_400000_NS6detail17trampoline_kernelINS0_14default_configENS1_25partition_config_selectorILNS1_17partition_subalgoE0EjNS0_10empty_typeEbEEZZNS1_14partition_implILS5_0ELb0ES3_jN6thrust23THRUST_200600_302600_NS6detail15normal_iteratorINSA_10device_ptrIjEEEEPS6_SG_NS0_5tupleIJNSA_16discard_iteratorINSA_11use_defaultEEESK_EEENSH_IJSG_SG_EEES6_PlJ7is_evenIjEEEE10hipError_tPvRmT3_T4_T5_T6_T7_T9_mT8_P12ihipStream_tbDpT10_ENKUlT_T0_E_clISt17integral_constantIbLb1EES18_IbLb0EEEEDaS14_S15_EUlS14_E_NS1_11comp_targetILNS1_3genE0ELNS1_11target_archE4294967295ELNS1_3gpuE0ELNS1_3repE0EEENS1_30default_config_static_selectorELNS0_4arch9wavefront6targetE1EEEvT1_ ; -- Begin function _ZN7rocprim17ROCPRIM_400000_NS6detail17trampoline_kernelINS0_14default_configENS1_25partition_config_selectorILNS1_17partition_subalgoE0EjNS0_10empty_typeEbEEZZNS1_14partition_implILS5_0ELb0ES3_jN6thrust23THRUST_200600_302600_NS6detail15normal_iteratorINSA_10device_ptrIjEEEEPS6_SG_NS0_5tupleIJNSA_16discard_iteratorINSA_11use_defaultEEESK_EEENSH_IJSG_SG_EEES6_PlJ7is_evenIjEEEE10hipError_tPvRmT3_T4_T5_T6_T7_T9_mT8_P12ihipStream_tbDpT10_ENKUlT_T0_E_clISt17integral_constantIbLb1EES18_IbLb0EEEEDaS14_S15_EUlS14_E_NS1_11comp_targetILNS1_3genE0ELNS1_11target_archE4294967295ELNS1_3gpuE0ELNS1_3repE0EEENS1_30default_config_static_selectorELNS0_4arch9wavefront6targetE1EEEvT1_
	.globl	_ZN7rocprim17ROCPRIM_400000_NS6detail17trampoline_kernelINS0_14default_configENS1_25partition_config_selectorILNS1_17partition_subalgoE0EjNS0_10empty_typeEbEEZZNS1_14partition_implILS5_0ELb0ES3_jN6thrust23THRUST_200600_302600_NS6detail15normal_iteratorINSA_10device_ptrIjEEEEPS6_SG_NS0_5tupleIJNSA_16discard_iteratorINSA_11use_defaultEEESK_EEENSH_IJSG_SG_EEES6_PlJ7is_evenIjEEEE10hipError_tPvRmT3_T4_T5_T6_T7_T9_mT8_P12ihipStream_tbDpT10_ENKUlT_T0_E_clISt17integral_constantIbLb1EES18_IbLb0EEEEDaS14_S15_EUlS14_E_NS1_11comp_targetILNS1_3genE0ELNS1_11target_archE4294967295ELNS1_3gpuE0ELNS1_3repE0EEENS1_30default_config_static_selectorELNS0_4arch9wavefront6targetE1EEEvT1_
	.p2align	8
	.type	_ZN7rocprim17ROCPRIM_400000_NS6detail17trampoline_kernelINS0_14default_configENS1_25partition_config_selectorILNS1_17partition_subalgoE0EjNS0_10empty_typeEbEEZZNS1_14partition_implILS5_0ELb0ES3_jN6thrust23THRUST_200600_302600_NS6detail15normal_iteratorINSA_10device_ptrIjEEEEPS6_SG_NS0_5tupleIJNSA_16discard_iteratorINSA_11use_defaultEEESK_EEENSH_IJSG_SG_EEES6_PlJ7is_evenIjEEEE10hipError_tPvRmT3_T4_T5_T6_T7_T9_mT8_P12ihipStream_tbDpT10_ENKUlT_T0_E_clISt17integral_constantIbLb1EES18_IbLb0EEEEDaS14_S15_EUlS14_E_NS1_11comp_targetILNS1_3genE0ELNS1_11target_archE4294967295ELNS1_3gpuE0ELNS1_3repE0EEENS1_30default_config_static_selectorELNS0_4arch9wavefront6targetE1EEEvT1_,@function
_ZN7rocprim17ROCPRIM_400000_NS6detail17trampoline_kernelINS0_14default_configENS1_25partition_config_selectorILNS1_17partition_subalgoE0EjNS0_10empty_typeEbEEZZNS1_14partition_implILS5_0ELb0ES3_jN6thrust23THRUST_200600_302600_NS6detail15normal_iteratorINSA_10device_ptrIjEEEEPS6_SG_NS0_5tupleIJNSA_16discard_iteratorINSA_11use_defaultEEESK_EEENSH_IJSG_SG_EEES6_PlJ7is_evenIjEEEE10hipError_tPvRmT3_T4_T5_T6_T7_T9_mT8_P12ihipStream_tbDpT10_ENKUlT_T0_E_clISt17integral_constantIbLb1EES18_IbLb0EEEEDaS14_S15_EUlS14_E_NS1_11comp_targetILNS1_3genE0ELNS1_11target_archE4294967295ELNS1_3gpuE0ELNS1_3repE0EEENS1_30default_config_static_selectorELNS0_4arch9wavefront6targetE1EEEvT1_: ; @_ZN7rocprim17ROCPRIM_400000_NS6detail17trampoline_kernelINS0_14default_configENS1_25partition_config_selectorILNS1_17partition_subalgoE0EjNS0_10empty_typeEbEEZZNS1_14partition_implILS5_0ELb0ES3_jN6thrust23THRUST_200600_302600_NS6detail15normal_iteratorINSA_10device_ptrIjEEEEPS6_SG_NS0_5tupleIJNSA_16discard_iteratorINSA_11use_defaultEEESK_EEENSH_IJSG_SG_EEES6_PlJ7is_evenIjEEEE10hipError_tPvRmT3_T4_T5_T6_T7_T9_mT8_P12ihipStream_tbDpT10_ENKUlT_T0_E_clISt17integral_constantIbLb1EES18_IbLb0EEEEDaS14_S15_EUlS14_E_NS1_11comp_targetILNS1_3genE0ELNS1_11target_archE4294967295ELNS1_3gpuE0ELNS1_3repE0EEENS1_30default_config_static_selectorELNS0_4arch9wavefront6targetE1EEEvT1_
; %bb.0:
	.section	.rodata,"a",@progbits
	.p2align	6, 0x0
	.amdhsa_kernel _ZN7rocprim17ROCPRIM_400000_NS6detail17trampoline_kernelINS0_14default_configENS1_25partition_config_selectorILNS1_17partition_subalgoE0EjNS0_10empty_typeEbEEZZNS1_14partition_implILS5_0ELb0ES3_jN6thrust23THRUST_200600_302600_NS6detail15normal_iteratorINSA_10device_ptrIjEEEEPS6_SG_NS0_5tupleIJNSA_16discard_iteratorINSA_11use_defaultEEESK_EEENSH_IJSG_SG_EEES6_PlJ7is_evenIjEEEE10hipError_tPvRmT3_T4_T5_T6_T7_T9_mT8_P12ihipStream_tbDpT10_ENKUlT_T0_E_clISt17integral_constantIbLb1EES18_IbLb0EEEEDaS14_S15_EUlS14_E_NS1_11comp_targetILNS1_3genE0ELNS1_11target_archE4294967295ELNS1_3gpuE0ELNS1_3repE0EEENS1_30default_config_static_selectorELNS0_4arch9wavefront6targetE1EEEvT1_
		.amdhsa_group_segment_fixed_size 0
		.amdhsa_private_segment_fixed_size 0
		.amdhsa_kernarg_size 136
		.amdhsa_user_sgpr_count 6
		.amdhsa_user_sgpr_private_segment_buffer 1
		.amdhsa_user_sgpr_dispatch_ptr 0
		.amdhsa_user_sgpr_queue_ptr 0
		.amdhsa_user_sgpr_kernarg_segment_ptr 1
		.amdhsa_user_sgpr_dispatch_id 0
		.amdhsa_user_sgpr_flat_scratch_init 0
		.amdhsa_user_sgpr_kernarg_preload_length 0
		.amdhsa_user_sgpr_kernarg_preload_offset 0
		.amdhsa_user_sgpr_private_segment_size 0
		.amdhsa_uses_dynamic_stack 0
		.amdhsa_system_sgpr_private_segment_wavefront_offset 0
		.amdhsa_system_sgpr_workgroup_id_x 1
		.amdhsa_system_sgpr_workgroup_id_y 0
		.amdhsa_system_sgpr_workgroup_id_z 0
		.amdhsa_system_sgpr_workgroup_info 0
		.amdhsa_system_vgpr_workitem_id 0
		.amdhsa_next_free_vgpr 1
		.amdhsa_next_free_sgpr 0
		.amdhsa_accum_offset 4
		.amdhsa_reserve_vcc 0
		.amdhsa_reserve_flat_scratch 0
		.amdhsa_float_round_mode_32 0
		.amdhsa_float_round_mode_16_64 0
		.amdhsa_float_denorm_mode_32 3
		.amdhsa_float_denorm_mode_16_64 3
		.amdhsa_dx10_clamp 1
		.amdhsa_ieee_mode 1
		.amdhsa_fp16_overflow 0
		.amdhsa_tg_split 0
		.amdhsa_exception_fp_ieee_invalid_op 0
		.amdhsa_exception_fp_denorm_src 0
		.amdhsa_exception_fp_ieee_div_zero 0
		.amdhsa_exception_fp_ieee_overflow 0
		.amdhsa_exception_fp_ieee_underflow 0
		.amdhsa_exception_fp_ieee_inexact 0
		.amdhsa_exception_int_div_zero 0
	.end_amdhsa_kernel
	.section	.text._ZN7rocprim17ROCPRIM_400000_NS6detail17trampoline_kernelINS0_14default_configENS1_25partition_config_selectorILNS1_17partition_subalgoE0EjNS0_10empty_typeEbEEZZNS1_14partition_implILS5_0ELb0ES3_jN6thrust23THRUST_200600_302600_NS6detail15normal_iteratorINSA_10device_ptrIjEEEEPS6_SG_NS0_5tupleIJNSA_16discard_iteratorINSA_11use_defaultEEESK_EEENSH_IJSG_SG_EEES6_PlJ7is_evenIjEEEE10hipError_tPvRmT3_T4_T5_T6_T7_T9_mT8_P12ihipStream_tbDpT10_ENKUlT_T0_E_clISt17integral_constantIbLb1EES18_IbLb0EEEEDaS14_S15_EUlS14_E_NS1_11comp_targetILNS1_3genE0ELNS1_11target_archE4294967295ELNS1_3gpuE0ELNS1_3repE0EEENS1_30default_config_static_selectorELNS0_4arch9wavefront6targetE1EEEvT1_,"axG",@progbits,_ZN7rocprim17ROCPRIM_400000_NS6detail17trampoline_kernelINS0_14default_configENS1_25partition_config_selectorILNS1_17partition_subalgoE0EjNS0_10empty_typeEbEEZZNS1_14partition_implILS5_0ELb0ES3_jN6thrust23THRUST_200600_302600_NS6detail15normal_iteratorINSA_10device_ptrIjEEEEPS6_SG_NS0_5tupleIJNSA_16discard_iteratorINSA_11use_defaultEEESK_EEENSH_IJSG_SG_EEES6_PlJ7is_evenIjEEEE10hipError_tPvRmT3_T4_T5_T6_T7_T9_mT8_P12ihipStream_tbDpT10_ENKUlT_T0_E_clISt17integral_constantIbLb1EES18_IbLb0EEEEDaS14_S15_EUlS14_E_NS1_11comp_targetILNS1_3genE0ELNS1_11target_archE4294967295ELNS1_3gpuE0ELNS1_3repE0EEENS1_30default_config_static_selectorELNS0_4arch9wavefront6targetE1EEEvT1_,comdat
.Lfunc_end2411:
	.size	_ZN7rocprim17ROCPRIM_400000_NS6detail17trampoline_kernelINS0_14default_configENS1_25partition_config_selectorILNS1_17partition_subalgoE0EjNS0_10empty_typeEbEEZZNS1_14partition_implILS5_0ELb0ES3_jN6thrust23THRUST_200600_302600_NS6detail15normal_iteratorINSA_10device_ptrIjEEEEPS6_SG_NS0_5tupleIJNSA_16discard_iteratorINSA_11use_defaultEEESK_EEENSH_IJSG_SG_EEES6_PlJ7is_evenIjEEEE10hipError_tPvRmT3_T4_T5_T6_T7_T9_mT8_P12ihipStream_tbDpT10_ENKUlT_T0_E_clISt17integral_constantIbLb1EES18_IbLb0EEEEDaS14_S15_EUlS14_E_NS1_11comp_targetILNS1_3genE0ELNS1_11target_archE4294967295ELNS1_3gpuE0ELNS1_3repE0EEENS1_30default_config_static_selectorELNS0_4arch9wavefront6targetE1EEEvT1_, .Lfunc_end2411-_ZN7rocprim17ROCPRIM_400000_NS6detail17trampoline_kernelINS0_14default_configENS1_25partition_config_selectorILNS1_17partition_subalgoE0EjNS0_10empty_typeEbEEZZNS1_14partition_implILS5_0ELb0ES3_jN6thrust23THRUST_200600_302600_NS6detail15normal_iteratorINSA_10device_ptrIjEEEEPS6_SG_NS0_5tupleIJNSA_16discard_iteratorINSA_11use_defaultEEESK_EEENSH_IJSG_SG_EEES6_PlJ7is_evenIjEEEE10hipError_tPvRmT3_T4_T5_T6_T7_T9_mT8_P12ihipStream_tbDpT10_ENKUlT_T0_E_clISt17integral_constantIbLb1EES18_IbLb0EEEEDaS14_S15_EUlS14_E_NS1_11comp_targetILNS1_3genE0ELNS1_11target_archE4294967295ELNS1_3gpuE0ELNS1_3repE0EEENS1_30default_config_static_selectorELNS0_4arch9wavefront6targetE1EEEvT1_
                                        ; -- End function
	.section	.AMDGPU.csdata,"",@progbits
; Kernel info:
; codeLenInByte = 0
; NumSgprs: 4
; NumVgprs: 0
; NumAgprs: 0
; TotalNumVgprs: 0
; ScratchSize: 0
; MemoryBound: 0
; FloatMode: 240
; IeeeMode: 1
; LDSByteSize: 0 bytes/workgroup (compile time only)
; SGPRBlocks: 0
; VGPRBlocks: 0
; NumSGPRsForWavesPerEU: 4
; NumVGPRsForWavesPerEU: 1
; AccumOffset: 4
; Occupancy: 8
; WaveLimiterHint : 0
; COMPUTE_PGM_RSRC2:SCRATCH_EN: 0
; COMPUTE_PGM_RSRC2:USER_SGPR: 6
; COMPUTE_PGM_RSRC2:TRAP_HANDLER: 0
; COMPUTE_PGM_RSRC2:TGID_X_EN: 1
; COMPUTE_PGM_RSRC2:TGID_Y_EN: 0
; COMPUTE_PGM_RSRC2:TGID_Z_EN: 0
; COMPUTE_PGM_RSRC2:TIDIG_COMP_CNT: 0
; COMPUTE_PGM_RSRC3_GFX90A:ACCUM_OFFSET: 0
; COMPUTE_PGM_RSRC3_GFX90A:TG_SPLIT: 0
	.section	.text._ZN7rocprim17ROCPRIM_400000_NS6detail17trampoline_kernelINS0_14default_configENS1_25partition_config_selectorILNS1_17partition_subalgoE0EjNS0_10empty_typeEbEEZZNS1_14partition_implILS5_0ELb0ES3_jN6thrust23THRUST_200600_302600_NS6detail15normal_iteratorINSA_10device_ptrIjEEEEPS6_SG_NS0_5tupleIJNSA_16discard_iteratorINSA_11use_defaultEEESK_EEENSH_IJSG_SG_EEES6_PlJ7is_evenIjEEEE10hipError_tPvRmT3_T4_T5_T6_T7_T9_mT8_P12ihipStream_tbDpT10_ENKUlT_T0_E_clISt17integral_constantIbLb1EES18_IbLb0EEEEDaS14_S15_EUlS14_E_NS1_11comp_targetILNS1_3genE5ELNS1_11target_archE942ELNS1_3gpuE9ELNS1_3repE0EEENS1_30default_config_static_selectorELNS0_4arch9wavefront6targetE1EEEvT1_,"axG",@progbits,_ZN7rocprim17ROCPRIM_400000_NS6detail17trampoline_kernelINS0_14default_configENS1_25partition_config_selectorILNS1_17partition_subalgoE0EjNS0_10empty_typeEbEEZZNS1_14partition_implILS5_0ELb0ES3_jN6thrust23THRUST_200600_302600_NS6detail15normal_iteratorINSA_10device_ptrIjEEEEPS6_SG_NS0_5tupleIJNSA_16discard_iteratorINSA_11use_defaultEEESK_EEENSH_IJSG_SG_EEES6_PlJ7is_evenIjEEEE10hipError_tPvRmT3_T4_T5_T6_T7_T9_mT8_P12ihipStream_tbDpT10_ENKUlT_T0_E_clISt17integral_constantIbLb1EES18_IbLb0EEEEDaS14_S15_EUlS14_E_NS1_11comp_targetILNS1_3genE5ELNS1_11target_archE942ELNS1_3gpuE9ELNS1_3repE0EEENS1_30default_config_static_selectorELNS0_4arch9wavefront6targetE1EEEvT1_,comdat
	.protected	_ZN7rocprim17ROCPRIM_400000_NS6detail17trampoline_kernelINS0_14default_configENS1_25partition_config_selectorILNS1_17partition_subalgoE0EjNS0_10empty_typeEbEEZZNS1_14partition_implILS5_0ELb0ES3_jN6thrust23THRUST_200600_302600_NS6detail15normal_iteratorINSA_10device_ptrIjEEEEPS6_SG_NS0_5tupleIJNSA_16discard_iteratorINSA_11use_defaultEEESK_EEENSH_IJSG_SG_EEES6_PlJ7is_evenIjEEEE10hipError_tPvRmT3_T4_T5_T6_T7_T9_mT8_P12ihipStream_tbDpT10_ENKUlT_T0_E_clISt17integral_constantIbLb1EES18_IbLb0EEEEDaS14_S15_EUlS14_E_NS1_11comp_targetILNS1_3genE5ELNS1_11target_archE942ELNS1_3gpuE9ELNS1_3repE0EEENS1_30default_config_static_selectorELNS0_4arch9wavefront6targetE1EEEvT1_ ; -- Begin function _ZN7rocprim17ROCPRIM_400000_NS6detail17trampoline_kernelINS0_14default_configENS1_25partition_config_selectorILNS1_17partition_subalgoE0EjNS0_10empty_typeEbEEZZNS1_14partition_implILS5_0ELb0ES3_jN6thrust23THRUST_200600_302600_NS6detail15normal_iteratorINSA_10device_ptrIjEEEEPS6_SG_NS0_5tupleIJNSA_16discard_iteratorINSA_11use_defaultEEESK_EEENSH_IJSG_SG_EEES6_PlJ7is_evenIjEEEE10hipError_tPvRmT3_T4_T5_T6_T7_T9_mT8_P12ihipStream_tbDpT10_ENKUlT_T0_E_clISt17integral_constantIbLb1EES18_IbLb0EEEEDaS14_S15_EUlS14_E_NS1_11comp_targetILNS1_3genE5ELNS1_11target_archE942ELNS1_3gpuE9ELNS1_3repE0EEENS1_30default_config_static_selectorELNS0_4arch9wavefront6targetE1EEEvT1_
	.globl	_ZN7rocprim17ROCPRIM_400000_NS6detail17trampoline_kernelINS0_14default_configENS1_25partition_config_selectorILNS1_17partition_subalgoE0EjNS0_10empty_typeEbEEZZNS1_14partition_implILS5_0ELb0ES3_jN6thrust23THRUST_200600_302600_NS6detail15normal_iteratorINSA_10device_ptrIjEEEEPS6_SG_NS0_5tupleIJNSA_16discard_iteratorINSA_11use_defaultEEESK_EEENSH_IJSG_SG_EEES6_PlJ7is_evenIjEEEE10hipError_tPvRmT3_T4_T5_T6_T7_T9_mT8_P12ihipStream_tbDpT10_ENKUlT_T0_E_clISt17integral_constantIbLb1EES18_IbLb0EEEEDaS14_S15_EUlS14_E_NS1_11comp_targetILNS1_3genE5ELNS1_11target_archE942ELNS1_3gpuE9ELNS1_3repE0EEENS1_30default_config_static_selectorELNS0_4arch9wavefront6targetE1EEEvT1_
	.p2align	8
	.type	_ZN7rocprim17ROCPRIM_400000_NS6detail17trampoline_kernelINS0_14default_configENS1_25partition_config_selectorILNS1_17partition_subalgoE0EjNS0_10empty_typeEbEEZZNS1_14partition_implILS5_0ELb0ES3_jN6thrust23THRUST_200600_302600_NS6detail15normal_iteratorINSA_10device_ptrIjEEEEPS6_SG_NS0_5tupleIJNSA_16discard_iteratorINSA_11use_defaultEEESK_EEENSH_IJSG_SG_EEES6_PlJ7is_evenIjEEEE10hipError_tPvRmT3_T4_T5_T6_T7_T9_mT8_P12ihipStream_tbDpT10_ENKUlT_T0_E_clISt17integral_constantIbLb1EES18_IbLb0EEEEDaS14_S15_EUlS14_E_NS1_11comp_targetILNS1_3genE5ELNS1_11target_archE942ELNS1_3gpuE9ELNS1_3repE0EEENS1_30default_config_static_selectorELNS0_4arch9wavefront6targetE1EEEvT1_,@function
_ZN7rocprim17ROCPRIM_400000_NS6detail17trampoline_kernelINS0_14default_configENS1_25partition_config_selectorILNS1_17partition_subalgoE0EjNS0_10empty_typeEbEEZZNS1_14partition_implILS5_0ELb0ES3_jN6thrust23THRUST_200600_302600_NS6detail15normal_iteratorINSA_10device_ptrIjEEEEPS6_SG_NS0_5tupleIJNSA_16discard_iteratorINSA_11use_defaultEEESK_EEENSH_IJSG_SG_EEES6_PlJ7is_evenIjEEEE10hipError_tPvRmT3_T4_T5_T6_T7_T9_mT8_P12ihipStream_tbDpT10_ENKUlT_T0_E_clISt17integral_constantIbLb1EES18_IbLb0EEEEDaS14_S15_EUlS14_E_NS1_11comp_targetILNS1_3genE5ELNS1_11target_archE942ELNS1_3gpuE9ELNS1_3repE0EEENS1_30default_config_static_selectorELNS0_4arch9wavefront6targetE1EEEvT1_: ; @_ZN7rocprim17ROCPRIM_400000_NS6detail17trampoline_kernelINS0_14default_configENS1_25partition_config_selectorILNS1_17partition_subalgoE0EjNS0_10empty_typeEbEEZZNS1_14partition_implILS5_0ELb0ES3_jN6thrust23THRUST_200600_302600_NS6detail15normal_iteratorINSA_10device_ptrIjEEEEPS6_SG_NS0_5tupleIJNSA_16discard_iteratorINSA_11use_defaultEEESK_EEENSH_IJSG_SG_EEES6_PlJ7is_evenIjEEEE10hipError_tPvRmT3_T4_T5_T6_T7_T9_mT8_P12ihipStream_tbDpT10_ENKUlT_T0_E_clISt17integral_constantIbLb1EES18_IbLb0EEEEDaS14_S15_EUlS14_E_NS1_11comp_targetILNS1_3genE5ELNS1_11target_archE942ELNS1_3gpuE9ELNS1_3repE0EEENS1_30default_config_static_selectorELNS0_4arch9wavefront6targetE1EEEvT1_
; %bb.0:
	.section	.rodata,"a",@progbits
	.p2align	6, 0x0
	.amdhsa_kernel _ZN7rocprim17ROCPRIM_400000_NS6detail17trampoline_kernelINS0_14default_configENS1_25partition_config_selectorILNS1_17partition_subalgoE0EjNS0_10empty_typeEbEEZZNS1_14partition_implILS5_0ELb0ES3_jN6thrust23THRUST_200600_302600_NS6detail15normal_iteratorINSA_10device_ptrIjEEEEPS6_SG_NS0_5tupleIJNSA_16discard_iteratorINSA_11use_defaultEEESK_EEENSH_IJSG_SG_EEES6_PlJ7is_evenIjEEEE10hipError_tPvRmT3_T4_T5_T6_T7_T9_mT8_P12ihipStream_tbDpT10_ENKUlT_T0_E_clISt17integral_constantIbLb1EES18_IbLb0EEEEDaS14_S15_EUlS14_E_NS1_11comp_targetILNS1_3genE5ELNS1_11target_archE942ELNS1_3gpuE9ELNS1_3repE0EEENS1_30default_config_static_selectorELNS0_4arch9wavefront6targetE1EEEvT1_
		.amdhsa_group_segment_fixed_size 0
		.amdhsa_private_segment_fixed_size 0
		.amdhsa_kernarg_size 136
		.amdhsa_user_sgpr_count 6
		.amdhsa_user_sgpr_private_segment_buffer 1
		.amdhsa_user_sgpr_dispatch_ptr 0
		.amdhsa_user_sgpr_queue_ptr 0
		.amdhsa_user_sgpr_kernarg_segment_ptr 1
		.amdhsa_user_sgpr_dispatch_id 0
		.amdhsa_user_sgpr_flat_scratch_init 0
		.amdhsa_user_sgpr_kernarg_preload_length 0
		.amdhsa_user_sgpr_kernarg_preload_offset 0
		.amdhsa_user_sgpr_private_segment_size 0
		.amdhsa_uses_dynamic_stack 0
		.amdhsa_system_sgpr_private_segment_wavefront_offset 0
		.amdhsa_system_sgpr_workgroup_id_x 1
		.amdhsa_system_sgpr_workgroup_id_y 0
		.amdhsa_system_sgpr_workgroup_id_z 0
		.amdhsa_system_sgpr_workgroup_info 0
		.amdhsa_system_vgpr_workitem_id 0
		.amdhsa_next_free_vgpr 1
		.amdhsa_next_free_sgpr 0
		.amdhsa_accum_offset 4
		.amdhsa_reserve_vcc 0
		.amdhsa_reserve_flat_scratch 0
		.amdhsa_float_round_mode_32 0
		.amdhsa_float_round_mode_16_64 0
		.amdhsa_float_denorm_mode_32 3
		.amdhsa_float_denorm_mode_16_64 3
		.amdhsa_dx10_clamp 1
		.amdhsa_ieee_mode 1
		.amdhsa_fp16_overflow 0
		.amdhsa_tg_split 0
		.amdhsa_exception_fp_ieee_invalid_op 0
		.amdhsa_exception_fp_denorm_src 0
		.amdhsa_exception_fp_ieee_div_zero 0
		.amdhsa_exception_fp_ieee_overflow 0
		.amdhsa_exception_fp_ieee_underflow 0
		.amdhsa_exception_fp_ieee_inexact 0
		.amdhsa_exception_int_div_zero 0
	.end_amdhsa_kernel
	.section	.text._ZN7rocprim17ROCPRIM_400000_NS6detail17trampoline_kernelINS0_14default_configENS1_25partition_config_selectorILNS1_17partition_subalgoE0EjNS0_10empty_typeEbEEZZNS1_14partition_implILS5_0ELb0ES3_jN6thrust23THRUST_200600_302600_NS6detail15normal_iteratorINSA_10device_ptrIjEEEEPS6_SG_NS0_5tupleIJNSA_16discard_iteratorINSA_11use_defaultEEESK_EEENSH_IJSG_SG_EEES6_PlJ7is_evenIjEEEE10hipError_tPvRmT3_T4_T5_T6_T7_T9_mT8_P12ihipStream_tbDpT10_ENKUlT_T0_E_clISt17integral_constantIbLb1EES18_IbLb0EEEEDaS14_S15_EUlS14_E_NS1_11comp_targetILNS1_3genE5ELNS1_11target_archE942ELNS1_3gpuE9ELNS1_3repE0EEENS1_30default_config_static_selectorELNS0_4arch9wavefront6targetE1EEEvT1_,"axG",@progbits,_ZN7rocprim17ROCPRIM_400000_NS6detail17trampoline_kernelINS0_14default_configENS1_25partition_config_selectorILNS1_17partition_subalgoE0EjNS0_10empty_typeEbEEZZNS1_14partition_implILS5_0ELb0ES3_jN6thrust23THRUST_200600_302600_NS6detail15normal_iteratorINSA_10device_ptrIjEEEEPS6_SG_NS0_5tupleIJNSA_16discard_iteratorINSA_11use_defaultEEESK_EEENSH_IJSG_SG_EEES6_PlJ7is_evenIjEEEE10hipError_tPvRmT3_T4_T5_T6_T7_T9_mT8_P12ihipStream_tbDpT10_ENKUlT_T0_E_clISt17integral_constantIbLb1EES18_IbLb0EEEEDaS14_S15_EUlS14_E_NS1_11comp_targetILNS1_3genE5ELNS1_11target_archE942ELNS1_3gpuE9ELNS1_3repE0EEENS1_30default_config_static_selectorELNS0_4arch9wavefront6targetE1EEEvT1_,comdat
.Lfunc_end2412:
	.size	_ZN7rocprim17ROCPRIM_400000_NS6detail17trampoline_kernelINS0_14default_configENS1_25partition_config_selectorILNS1_17partition_subalgoE0EjNS0_10empty_typeEbEEZZNS1_14partition_implILS5_0ELb0ES3_jN6thrust23THRUST_200600_302600_NS6detail15normal_iteratorINSA_10device_ptrIjEEEEPS6_SG_NS0_5tupleIJNSA_16discard_iteratorINSA_11use_defaultEEESK_EEENSH_IJSG_SG_EEES6_PlJ7is_evenIjEEEE10hipError_tPvRmT3_T4_T5_T6_T7_T9_mT8_P12ihipStream_tbDpT10_ENKUlT_T0_E_clISt17integral_constantIbLb1EES18_IbLb0EEEEDaS14_S15_EUlS14_E_NS1_11comp_targetILNS1_3genE5ELNS1_11target_archE942ELNS1_3gpuE9ELNS1_3repE0EEENS1_30default_config_static_selectorELNS0_4arch9wavefront6targetE1EEEvT1_, .Lfunc_end2412-_ZN7rocprim17ROCPRIM_400000_NS6detail17trampoline_kernelINS0_14default_configENS1_25partition_config_selectorILNS1_17partition_subalgoE0EjNS0_10empty_typeEbEEZZNS1_14partition_implILS5_0ELb0ES3_jN6thrust23THRUST_200600_302600_NS6detail15normal_iteratorINSA_10device_ptrIjEEEEPS6_SG_NS0_5tupleIJNSA_16discard_iteratorINSA_11use_defaultEEESK_EEENSH_IJSG_SG_EEES6_PlJ7is_evenIjEEEE10hipError_tPvRmT3_T4_T5_T6_T7_T9_mT8_P12ihipStream_tbDpT10_ENKUlT_T0_E_clISt17integral_constantIbLb1EES18_IbLb0EEEEDaS14_S15_EUlS14_E_NS1_11comp_targetILNS1_3genE5ELNS1_11target_archE942ELNS1_3gpuE9ELNS1_3repE0EEENS1_30default_config_static_selectorELNS0_4arch9wavefront6targetE1EEEvT1_
                                        ; -- End function
	.section	.AMDGPU.csdata,"",@progbits
; Kernel info:
; codeLenInByte = 0
; NumSgprs: 4
; NumVgprs: 0
; NumAgprs: 0
; TotalNumVgprs: 0
; ScratchSize: 0
; MemoryBound: 0
; FloatMode: 240
; IeeeMode: 1
; LDSByteSize: 0 bytes/workgroup (compile time only)
; SGPRBlocks: 0
; VGPRBlocks: 0
; NumSGPRsForWavesPerEU: 4
; NumVGPRsForWavesPerEU: 1
; AccumOffset: 4
; Occupancy: 8
; WaveLimiterHint : 0
; COMPUTE_PGM_RSRC2:SCRATCH_EN: 0
; COMPUTE_PGM_RSRC2:USER_SGPR: 6
; COMPUTE_PGM_RSRC2:TRAP_HANDLER: 0
; COMPUTE_PGM_RSRC2:TGID_X_EN: 1
; COMPUTE_PGM_RSRC2:TGID_Y_EN: 0
; COMPUTE_PGM_RSRC2:TGID_Z_EN: 0
; COMPUTE_PGM_RSRC2:TIDIG_COMP_CNT: 0
; COMPUTE_PGM_RSRC3_GFX90A:ACCUM_OFFSET: 0
; COMPUTE_PGM_RSRC3_GFX90A:TG_SPLIT: 0
	.section	.text._ZN7rocprim17ROCPRIM_400000_NS6detail17trampoline_kernelINS0_14default_configENS1_25partition_config_selectorILNS1_17partition_subalgoE0EjNS0_10empty_typeEbEEZZNS1_14partition_implILS5_0ELb0ES3_jN6thrust23THRUST_200600_302600_NS6detail15normal_iteratorINSA_10device_ptrIjEEEEPS6_SG_NS0_5tupleIJNSA_16discard_iteratorINSA_11use_defaultEEESK_EEENSH_IJSG_SG_EEES6_PlJ7is_evenIjEEEE10hipError_tPvRmT3_T4_T5_T6_T7_T9_mT8_P12ihipStream_tbDpT10_ENKUlT_T0_E_clISt17integral_constantIbLb1EES18_IbLb0EEEEDaS14_S15_EUlS14_E_NS1_11comp_targetILNS1_3genE4ELNS1_11target_archE910ELNS1_3gpuE8ELNS1_3repE0EEENS1_30default_config_static_selectorELNS0_4arch9wavefront6targetE1EEEvT1_,"axG",@progbits,_ZN7rocprim17ROCPRIM_400000_NS6detail17trampoline_kernelINS0_14default_configENS1_25partition_config_selectorILNS1_17partition_subalgoE0EjNS0_10empty_typeEbEEZZNS1_14partition_implILS5_0ELb0ES3_jN6thrust23THRUST_200600_302600_NS6detail15normal_iteratorINSA_10device_ptrIjEEEEPS6_SG_NS0_5tupleIJNSA_16discard_iteratorINSA_11use_defaultEEESK_EEENSH_IJSG_SG_EEES6_PlJ7is_evenIjEEEE10hipError_tPvRmT3_T4_T5_T6_T7_T9_mT8_P12ihipStream_tbDpT10_ENKUlT_T0_E_clISt17integral_constantIbLb1EES18_IbLb0EEEEDaS14_S15_EUlS14_E_NS1_11comp_targetILNS1_3genE4ELNS1_11target_archE910ELNS1_3gpuE8ELNS1_3repE0EEENS1_30default_config_static_selectorELNS0_4arch9wavefront6targetE1EEEvT1_,comdat
	.protected	_ZN7rocprim17ROCPRIM_400000_NS6detail17trampoline_kernelINS0_14default_configENS1_25partition_config_selectorILNS1_17partition_subalgoE0EjNS0_10empty_typeEbEEZZNS1_14partition_implILS5_0ELb0ES3_jN6thrust23THRUST_200600_302600_NS6detail15normal_iteratorINSA_10device_ptrIjEEEEPS6_SG_NS0_5tupleIJNSA_16discard_iteratorINSA_11use_defaultEEESK_EEENSH_IJSG_SG_EEES6_PlJ7is_evenIjEEEE10hipError_tPvRmT3_T4_T5_T6_T7_T9_mT8_P12ihipStream_tbDpT10_ENKUlT_T0_E_clISt17integral_constantIbLb1EES18_IbLb0EEEEDaS14_S15_EUlS14_E_NS1_11comp_targetILNS1_3genE4ELNS1_11target_archE910ELNS1_3gpuE8ELNS1_3repE0EEENS1_30default_config_static_selectorELNS0_4arch9wavefront6targetE1EEEvT1_ ; -- Begin function _ZN7rocprim17ROCPRIM_400000_NS6detail17trampoline_kernelINS0_14default_configENS1_25partition_config_selectorILNS1_17partition_subalgoE0EjNS0_10empty_typeEbEEZZNS1_14partition_implILS5_0ELb0ES3_jN6thrust23THRUST_200600_302600_NS6detail15normal_iteratorINSA_10device_ptrIjEEEEPS6_SG_NS0_5tupleIJNSA_16discard_iteratorINSA_11use_defaultEEESK_EEENSH_IJSG_SG_EEES6_PlJ7is_evenIjEEEE10hipError_tPvRmT3_T4_T5_T6_T7_T9_mT8_P12ihipStream_tbDpT10_ENKUlT_T0_E_clISt17integral_constantIbLb1EES18_IbLb0EEEEDaS14_S15_EUlS14_E_NS1_11comp_targetILNS1_3genE4ELNS1_11target_archE910ELNS1_3gpuE8ELNS1_3repE0EEENS1_30default_config_static_selectorELNS0_4arch9wavefront6targetE1EEEvT1_
	.globl	_ZN7rocprim17ROCPRIM_400000_NS6detail17trampoline_kernelINS0_14default_configENS1_25partition_config_selectorILNS1_17partition_subalgoE0EjNS0_10empty_typeEbEEZZNS1_14partition_implILS5_0ELb0ES3_jN6thrust23THRUST_200600_302600_NS6detail15normal_iteratorINSA_10device_ptrIjEEEEPS6_SG_NS0_5tupleIJNSA_16discard_iteratorINSA_11use_defaultEEESK_EEENSH_IJSG_SG_EEES6_PlJ7is_evenIjEEEE10hipError_tPvRmT3_T4_T5_T6_T7_T9_mT8_P12ihipStream_tbDpT10_ENKUlT_T0_E_clISt17integral_constantIbLb1EES18_IbLb0EEEEDaS14_S15_EUlS14_E_NS1_11comp_targetILNS1_3genE4ELNS1_11target_archE910ELNS1_3gpuE8ELNS1_3repE0EEENS1_30default_config_static_selectorELNS0_4arch9wavefront6targetE1EEEvT1_
	.p2align	8
	.type	_ZN7rocprim17ROCPRIM_400000_NS6detail17trampoline_kernelINS0_14default_configENS1_25partition_config_selectorILNS1_17partition_subalgoE0EjNS0_10empty_typeEbEEZZNS1_14partition_implILS5_0ELb0ES3_jN6thrust23THRUST_200600_302600_NS6detail15normal_iteratorINSA_10device_ptrIjEEEEPS6_SG_NS0_5tupleIJNSA_16discard_iteratorINSA_11use_defaultEEESK_EEENSH_IJSG_SG_EEES6_PlJ7is_evenIjEEEE10hipError_tPvRmT3_T4_T5_T6_T7_T9_mT8_P12ihipStream_tbDpT10_ENKUlT_T0_E_clISt17integral_constantIbLb1EES18_IbLb0EEEEDaS14_S15_EUlS14_E_NS1_11comp_targetILNS1_3genE4ELNS1_11target_archE910ELNS1_3gpuE8ELNS1_3repE0EEENS1_30default_config_static_selectorELNS0_4arch9wavefront6targetE1EEEvT1_,@function
_ZN7rocprim17ROCPRIM_400000_NS6detail17trampoline_kernelINS0_14default_configENS1_25partition_config_selectorILNS1_17partition_subalgoE0EjNS0_10empty_typeEbEEZZNS1_14partition_implILS5_0ELb0ES3_jN6thrust23THRUST_200600_302600_NS6detail15normal_iteratorINSA_10device_ptrIjEEEEPS6_SG_NS0_5tupleIJNSA_16discard_iteratorINSA_11use_defaultEEESK_EEENSH_IJSG_SG_EEES6_PlJ7is_evenIjEEEE10hipError_tPvRmT3_T4_T5_T6_T7_T9_mT8_P12ihipStream_tbDpT10_ENKUlT_T0_E_clISt17integral_constantIbLb1EES18_IbLb0EEEEDaS14_S15_EUlS14_E_NS1_11comp_targetILNS1_3genE4ELNS1_11target_archE910ELNS1_3gpuE8ELNS1_3repE0EEENS1_30default_config_static_selectorELNS0_4arch9wavefront6targetE1EEEvT1_: ; @_ZN7rocprim17ROCPRIM_400000_NS6detail17trampoline_kernelINS0_14default_configENS1_25partition_config_selectorILNS1_17partition_subalgoE0EjNS0_10empty_typeEbEEZZNS1_14partition_implILS5_0ELb0ES3_jN6thrust23THRUST_200600_302600_NS6detail15normal_iteratorINSA_10device_ptrIjEEEEPS6_SG_NS0_5tupleIJNSA_16discard_iteratorINSA_11use_defaultEEESK_EEENSH_IJSG_SG_EEES6_PlJ7is_evenIjEEEE10hipError_tPvRmT3_T4_T5_T6_T7_T9_mT8_P12ihipStream_tbDpT10_ENKUlT_T0_E_clISt17integral_constantIbLb1EES18_IbLb0EEEEDaS14_S15_EUlS14_E_NS1_11comp_targetILNS1_3genE4ELNS1_11target_archE910ELNS1_3gpuE8ELNS1_3repE0EEENS1_30default_config_static_selectorELNS0_4arch9wavefront6targetE1EEEvT1_
; %bb.0:
	s_load_dwordx2 s[8:9], s[4:5], 0x68
	s_load_dwordx4 s[0:3], s[4:5], 0x8
	s_load_dwordx4 s[20:23], s[4:5], 0x58
	s_load_dword s7, s[4:5], 0x80
	s_waitcnt lgkmcnt(0)
	v_mov_b32_e32 v3, s9
	s_lshl_b64 s[10:11], s[2:3], 2
	s_add_u32 s9, s0, s10
	s_mul_i32 s0, s7, 0xa00
	s_addc_u32 s12, s1, s11
	s_add_i32 s1, s0, s2
	s_add_i32 s13, s7, -1
	s_sub_i32 s7, s8, s1
	s_add_u32 s0, s2, s0
	s_addc_u32 s1, s3, 0
	s_cmp_eq_u32 s6, s13
	v_mov_b32_e32 v2, s8
	s_load_dwordx2 s[18:19], s[22:23], 0x0
	s_cselect_b64 s[22:23], -1, 0
	s_cmp_lg_u32 s6, s13
	s_mul_i32 s10, s6, 0xa00
	s_mov_b32 s11, 0
	v_cmp_lt_u64_e32 vcc, s[0:1], v[2:3]
	s_cselect_b64 s[0:1], -1, 0
	s_or_b64 s[0:1], s[0:1], vcc
	s_lshl_b64 s[2:3], s[10:11], 2
	s_add_u32 s8, s9, s2
	s_addc_u32 s9, s12, s3
	s_mov_b64 s[2:3], -1
	s_and_b64 vcc, exec, s[0:1]
	s_cbranch_vccz .LBB2413_2
; %bb.1:
	v_lshlrev_b32_e32 v1, 2, v0
	v_mov_b32_e32 v3, s9
	v_add_co_u32_e32 v2, vcc, s8, v1
	v_addc_co_u32_e32 v3, vcc, 0, v3, vcc
	v_add_co_u32_e32 v4, vcc, 0x1000, v2
	v_addc_co_u32_e32 v5, vcc, 0, v3, vcc
	flat_load_dword v6, v[2:3]
	flat_load_dword v7, v[2:3] offset:1024
	flat_load_dword v8, v[2:3] offset:2048
	;; [unrolled: 1-line block ×3, first 2 shown]
	flat_load_dword v10, v[4:5]
	flat_load_dword v11, v[4:5] offset:1024
	flat_load_dword v12, v[4:5] offset:2048
	;; [unrolled: 1-line block ×3, first 2 shown]
	v_add_co_u32_e32 v2, vcc, 0x2000, v2
	v_addc_co_u32_e32 v3, vcc, 0, v3, vcc
	flat_load_dword v4, v[2:3]
	flat_load_dword v5, v[2:3] offset:1024
	s_mov_b64 s[2:3], 0
	s_waitcnt vmcnt(0) lgkmcnt(0)
	ds_write2st64_b32 v1, v6, v7 offset1:4
	ds_write2st64_b32 v1, v8, v9 offset0:8 offset1:12
	ds_write2st64_b32 v1, v10, v11 offset0:16 offset1:20
	ds_write2st64_b32 v1, v12, v13 offset0:24 offset1:28
	ds_write2st64_b32 v1, v4, v5 offset0:32 offset1:36
	s_waitcnt lgkmcnt(0)
	s_barrier
.LBB2413_2:
	s_andn2_b64 vcc, exec, s[2:3]
	s_addk_i32 s7, 0xa00
	s_cbranch_vccnz .LBB2413_24
; %bb.3:
	v_cmp_gt_u32_e32 vcc, s7, v0
                                        ; implicit-def: $vgpr2_vgpr3_vgpr4_vgpr5_vgpr6_vgpr7_vgpr8_vgpr9_vgpr10_vgpr11
	s_and_saveexec_b64 s[2:3], vcc
	s_cbranch_execz .LBB2413_5
; %bb.4:
	v_lshlrev_b32_e32 v1, 2, v0
	v_mov_b32_e32 v3, s9
	v_add_co_u32_e32 v2, vcc, s8, v1
	v_addc_co_u32_e32 v3, vcc, 0, v3, vcc
	flat_load_dword v2, v[2:3]
.LBB2413_5:
	s_or_b64 exec, exec, s[2:3]
	v_or_b32_e32 v1, 0x100, v0
	v_cmp_gt_u32_e32 vcc, s7, v1
	s_and_saveexec_b64 s[2:3], vcc
	s_cbranch_execz .LBB2413_7
; %bb.6:
	v_lshlrev_b32_e32 v1, 2, v0
	v_mov_b32_e32 v3, s9
	v_add_co_u32_e32 v12, vcc, s8, v1
	v_addc_co_u32_e32 v13, vcc, 0, v3, vcc
	flat_load_dword v3, v[12:13] offset:1024
.LBB2413_7:
	s_or_b64 exec, exec, s[2:3]
	v_or_b32_e32 v1, 0x200, v0
	v_cmp_gt_u32_e32 vcc, s7, v1
	s_and_saveexec_b64 s[2:3], vcc
	s_cbranch_execz .LBB2413_9
; %bb.8:
	v_lshlrev_b32_e32 v1, 2, v0
	v_mov_b32_e32 v4, s9
	v_add_co_u32_e32 v12, vcc, s8, v1
	v_addc_co_u32_e32 v13, vcc, 0, v4, vcc
	flat_load_dword v4, v[12:13] offset:2048
.LBB2413_9:
	;; [unrolled: 12-line block ×3, first 2 shown]
	s_or_b64 exec, exec, s[2:3]
	v_or_b32_e32 v1, 0x400, v0
	v_cmp_gt_u32_e32 vcc, s7, v1
	s_and_saveexec_b64 s[2:3], vcc
	s_cbranch_execz .LBB2413_13
; %bb.12:
	v_lshlrev_b32_e32 v1, 2, v1
	v_mov_b32_e32 v6, s9
	v_add_co_u32_e32 v12, vcc, s8, v1
	v_addc_co_u32_e32 v13, vcc, 0, v6, vcc
	flat_load_dword v6, v[12:13]
.LBB2413_13:
	s_or_b64 exec, exec, s[2:3]
	v_or_b32_e32 v1, 0x500, v0
	v_cmp_gt_u32_e32 vcc, s7, v1
	s_and_saveexec_b64 s[2:3], vcc
	s_cbranch_execz .LBB2413_15
; %bb.14:
	v_lshlrev_b32_e32 v1, 2, v1
	v_mov_b32_e32 v7, s9
	v_add_co_u32_e32 v12, vcc, s8, v1
	v_addc_co_u32_e32 v13, vcc, 0, v7, vcc
	flat_load_dword v7, v[12:13]
.LBB2413_15:
	;; [unrolled: 12-line block ×6, first 2 shown]
	s_or_b64 exec, exec, s[2:3]
	v_lshlrev_b32_e32 v1, 2, v0
	s_waitcnt vmcnt(0) lgkmcnt(0)
	ds_write2st64_b32 v1, v2, v3 offset1:4
	ds_write2st64_b32 v1, v4, v5 offset0:8 offset1:12
	ds_write2st64_b32 v1, v6, v7 offset0:16 offset1:20
	;; [unrolled: 1-line block ×4, first 2 shown]
	s_waitcnt lgkmcnt(0)
	s_barrier
.LBB2413_24:
	v_mul_u32_u24_e32 v22, 10, v0
	v_lshlrev_b32_e32 v28, 2, v22
	s_waitcnt lgkmcnt(0)
	ds_read2_b64 v[6:9], v28 offset1:1
	ds_read2_b64 v[2:5], v28 offset0:2 offset1:3
	ds_read_b64 v[10:11], v28 offset:32
	s_andn2_b64 vcc, exec, s[0:1]
	s_waitcnt lgkmcnt(0)
	v_xor_b32_e32 v21, -1, v6
	v_xor_b32_e32 v20, -1, v7
	;; [unrolled: 1-line block ×10, first 2 shown]
	s_barrier
	s_cbranch_vccnz .LBB2413_26
; %bb.25:
	v_mov_b32_e32 v1, 1
	v_and_b32_e32 v24, 1, v21
	v_and_b32_sdwa v25, v20, v1 dst_sel:BYTE_1 dst_unused:UNUSED_PAD src0_sel:DWORD src1_sel:DWORD
	v_and_b32_e32 v26, 1, v19
	v_and_b32_sdwa v27, v18, v1 dst_sel:BYTE_1 dst_unused:UNUSED_PAD src0_sel:DWORD src1_sel:DWORD
	;; [unrolled: 2-line block ×4, first 2 shown]
	v_or_b32_e32 v24, v24, v25
	v_or_b32_sdwa v25, v26, v27 dst_sel:WORD_1 dst_unused:UNUSED_PAD src0_sel:DWORD src1_sel:DWORD
	v_or_b32_sdwa v25, v24, v25 dst_sel:DWORD dst_unused:UNUSED_PAD src0_sel:WORD_0 src1_sel:DWORD
	v_or_b32_e32 v24, v29, v30
	v_or_b32_sdwa v26, v31, v32 dst_sel:WORD_1 dst_unused:UNUSED_PAD src0_sel:DWORD src1_sel:DWORD
	v_and_b32_e32 v23, 1, v13
	v_and_b32_e32 v1, 1, v12
	v_or_b32_sdwa v24, v24, v26 dst_sel:DWORD dst_unused:UNUSED_PAD src0_sel:WORD_0 src1_sel:DWORD
	s_load_dwordx2 s[24:25], s[4:5], 0x78
	s_cbranch_execz .LBB2413_27
	s_branch .LBB2413_28
.LBB2413_26:
                                        ; implicit-def: $vgpr1
                                        ; implicit-def: $vgpr23
                                        ; implicit-def: $vgpr24
                                        ; implicit-def: $vgpr25
	s_load_dwordx2 s[24:25], s[4:5], 0x78
.LBB2413_27:
	v_or_b32_e32 v31, 1, v22
	v_cmp_gt_u32_e32 vcc, s7, v22
	v_add_u32_e32 v1, 2, v22
	v_cndmask_b32_e64 v32, 0, 1, vcc
	v_cmp_gt_u32_e32 vcc, s7, v31
	v_add_u32_e32 v30, 3, v22
	v_cndmask_b32_e64 v31, 0, 1, vcc
	;; [unrolled: 3-line block ×3, first 2 shown]
	v_cmp_gt_u32_e32 vcc, s7, v30
	v_add_u32_e32 v29, 5, v22
	v_and_b32_e32 v19, v1, v19
	v_cndmask_b32_e64 v1, 0, 1, vcc
	v_cmp_gt_u32_e32 vcc, s7, v23
	v_add_u32_e32 v24, 6, v22
	v_and_b32_sdwa v18, v1, v18 dst_sel:BYTE_1 dst_unused:UNUSED_PAD src0_sel:DWORD src1_sel:DWORD
	v_cndmask_b32_e64 v1, 0, 1, vcc
	v_cmp_gt_u32_e32 vcc, s7, v29
	v_add_u32_e32 v27, 7, v22
	v_and_b32_e32 v17, v1, v17
	v_cndmask_b32_e64 v1, 0, 1, vcc
	v_cmp_gt_u32_e32 vcc, s7, v24
	v_add_u32_e32 v25, 8, v22
	v_and_b32_sdwa v16, v1, v16 dst_sel:BYTE_1 dst_unused:UNUSED_PAD src0_sel:DWORD src1_sel:DWORD
	v_cndmask_b32_e64 v1, 0, 1, vcc
	v_cmp_gt_u32_e32 vcc, s7, v27
	v_add_u32_e32 v26, 9, v22
	v_and_b32_e32 v15, v1, v15
	v_cndmask_b32_e64 v1, 0, 1, vcc
	v_cmp_gt_u32_e32 vcc, s7, v25
	v_and_b32_sdwa v14, v1, v14 dst_sel:BYTE_1 dst_unused:UNUSED_PAD src0_sel:DWORD src1_sel:DWORD
	v_cndmask_b32_e64 v1, 0, 1, vcc
	v_cmp_gt_u32_e32 vcc, s7, v26
	v_and_b32_e32 v21, v32, v21
	v_and_b32_sdwa v20, v31, v20 dst_sel:BYTE_1 dst_unused:UNUSED_PAD src0_sel:DWORD src1_sel:DWORD
	v_and_b32_e32 v23, v1, v13
	v_cndmask_b32_e64 v1, 0, 1, vcc
	v_and_b32_e32 v1, v1, v12
	v_or_b32_e32 v12, v21, v20
	v_or_b32_sdwa v13, v19, v18 dst_sel:WORD_1 dst_unused:UNUSED_PAD src0_sel:DWORD src1_sel:DWORD
	v_or_b32_sdwa v25, v12, v13 dst_sel:DWORD dst_unused:UNUSED_PAD src0_sel:WORD_0 src1_sel:DWORD
	v_or_b32_e32 v12, v17, v16
	v_or_b32_sdwa v13, v15, v14 dst_sel:WORD_1 dst_unused:UNUSED_PAD src0_sel:DWORD src1_sel:DWORD
	v_or_b32_sdwa v24, v12, v13 dst_sel:DWORD dst_unused:UNUSED_PAD src0_sel:WORD_0 src1_sel:DWORD
.LBB2413_28:
	v_bfe_u32 v29, v25, 16, 8
	v_lshrrev_b32_e32 v27, 24, v25
	v_add_u32_sdwa v13, v25, v25 dst_sel:DWORD dst_unused:UNUSED_PAD src0_sel:BYTE_1 src1_sel:BYTE_0
	v_and_b32_e32 v30, 0xff, v24
	v_bfe_u32 v31, v24, 8, 8
	v_add3_u32 v13, v13, v29, v27
	v_bfe_u32 v32, v24, 16, 8
	v_lshrrev_b32_e32 v26, 24, v24
	v_add3_u32 v13, v13, v30, v31
	v_and_b32_e32 v33, 0xff, v23
	v_and_b32_e32 v12, 0xff, v1
	v_add3_u32 v13, v13, v32, v26
	v_add3_u32 v36, v13, v33, v12
	v_mbcnt_lo_u32_b32 v12, -1, 0
	v_mbcnt_hi_u32_b32 v34, -1, v12
	v_and_b32_e32 v12, 15, v34
	v_cmp_eq_u32_e64 s[12:13], 0, v12
	v_cmp_lt_u32_e64 s[10:11], 1, v12
	v_cmp_lt_u32_e64 s[8:9], 3, v12
	;; [unrolled: 1-line block ×3, first 2 shown]
	v_and_b32_e32 v12, 16, v34
	v_cmp_eq_u32_e64 s[4:5], 0, v12
	v_or_b32_e32 v12, 63, v0
	s_cmp_lg_u32 s6, 0
	v_cmp_lt_u32_e64 s[0:1], 31, v34
	v_lshrrev_b32_e32 v35, 6, v0
	v_cmp_eq_u32_e64 s[2:3], v12, v0
	s_cbranch_scc0 .LBB2413_59
; %bb.29:
	v_mov_b32_dpp v12, v36 row_shr:1 row_mask:0xf bank_mask:0xf
	v_cndmask_b32_e64 v12, v12, 0, s[12:13]
	v_add_u32_e32 v12, v12, v36
	s_nop 1
	v_mov_b32_dpp v13, v12 row_shr:2 row_mask:0xf bank_mask:0xf
	v_cndmask_b32_e64 v13, 0, v13, s[10:11]
	v_add_u32_e32 v12, v12, v13
	s_nop 1
	v_mov_b32_dpp v13, v12 row_shr:4 row_mask:0xf bank_mask:0xf
	v_cndmask_b32_e64 v13, 0, v13, s[8:9]
	v_add_u32_e32 v12, v12, v13
	s_nop 1
	v_mov_b32_dpp v13, v12 row_shr:8 row_mask:0xf bank_mask:0xf
	v_cndmask_b32_e64 v13, 0, v13, s[16:17]
	v_add_u32_e32 v12, v12, v13
	s_nop 1
	v_mov_b32_dpp v13, v12 row_bcast:15 row_mask:0xf bank_mask:0xf
	v_cndmask_b32_e64 v13, v13, 0, s[4:5]
	v_add_u32_e32 v12, v12, v13
	s_nop 1
	v_mov_b32_dpp v13, v12 row_bcast:31 row_mask:0xf bank_mask:0xf
	v_cndmask_b32_e64 v13, 0, v13, s[0:1]
	v_add_u32_e32 v12, v12, v13
	s_and_saveexec_b64 s[14:15], s[2:3]
	s_cbranch_execz .LBB2413_31
; %bb.30:
	v_lshlrev_b32_e32 v13, 2, v35
	ds_write_b32 v13, v12
.LBB2413_31:
	s_or_b64 exec, exec, s[14:15]
	v_cmp_gt_u32_e32 vcc, 4, v0
	s_waitcnt lgkmcnt(0)
	s_barrier
	s_and_saveexec_b64 s[14:15], vcc
	s_cbranch_execz .LBB2413_33
; %bb.32:
	v_lshlrev_b32_e32 v13, 2, v0
	ds_read_b32 v14, v13
	v_and_b32_e32 v15, 3, v34
	v_cmp_ne_u32_e32 vcc, 0, v15
	s_waitcnt lgkmcnt(0)
	v_mov_b32_dpp v16, v14 row_shr:1 row_mask:0xf bank_mask:0xf
	v_cndmask_b32_e32 v16, 0, v16, vcc
	v_add_u32_e32 v14, v16, v14
	v_cmp_lt_u32_e32 vcc, 1, v15
	s_nop 0
	v_mov_b32_dpp v16, v14 row_shr:2 row_mask:0xf bank_mask:0xf
	v_cndmask_b32_e32 v15, 0, v16, vcc
	v_add_u32_e32 v14, v14, v15
	ds_write_b32 v13, v14
.LBB2413_33:
	s_or_b64 exec, exec, s[14:15]
	v_cmp_gt_u32_e32 vcc, 64, v0
	v_cmp_lt_u32_e64 s[14:15], 63, v0
	s_waitcnt lgkmcnt(0)
	s_barrier
	s_waitcnt lgkmcnt(0)
                                        ; implicit-def: $vgpr37
	s_and_saveexec_b64 s[26:27], s[14:15]
	s_cbranch_execz .LBB2413_35
; %bb.34:
	v_lshl_add_u32 v13, v35, 2, -4
	ds_read_b32 v37, v13
	s_waitcnt lgkmcnt(0)
	v_add_u32_e32 v12, v37, v12
.LBB2413_35:
	s_or_b64 exec, exec, s[26:27]
	v_add_u32_e32 v13, -1, v34
	v_and_b32_e32 v14, 64, v34
	v_cmp_lt_i32_e64 s[14:15], v13, v14
	v_cndmask_b32_e64 v13, v13, v34, s[14:15]
	v_lshlrev_b32_e32 v13, 2, v13
	ds_bpermute_b32 v38, v13, v12
	v_cmp_eq_u32_e64 s[14:15], 0, v34
	s_and_saveexec_b64 s[26:27], vcc
	s_cbranch_execz .LBB2413_58
; %bb.36:
	v_mov_b32_e32 v21, 0
	ds_read_b32 v12, v21 offset:12
	s_and_saveexec_b64 s[28:29], s[14:15]
	s_cbranch_execz .LBB2413_38
; %bb.37:
	s_add_i32 s30, s6, 64
	s_mov_b32 s31, 0
	s_lshl_b64 s[30:31], s[30:31], 3
	s_add_u32 s30, s24, s30
	v_mov_b32_e32 v13, 1
	s_addc_u32 s31, s25, s31
	s_waitcnt lgkmcnt(0)
	global_store_dwordx2 v21, v[12:13], s[30:31]
.LBB2413_38:
	s_or_b64 exec, exec, s[28:29]
	v_xad_u32 v14, v34, -1, s6
	v_add_u32_e32 v20, 64, v14
	v_lshlrev_b64 v[16:17], 3, v[20:21]
	v_mov_b32_e32 v13, s25
	v_add_co_u32_e32 v16, vcc, s24, v16
	v_addc_co_u32_e32 v17, vcc, v13, v17, vcc
	global_load_dwordx2 v[18:19], v[16:17], off glc
	s_waitcnt vmcnt(0)
	v_cmp_eq_u16_sdwa s[30:31], v19, v21 src0_sel:BYTE_0 src1_sel:DWORD
	s_and_saveexec_b64 s[28:29], s[30:31]
	s_cbranch_execz .LBB2413_44
; %bb.39:
	s_mov_b32 s7, 1
	s_mov_b64 s[30:31], 0
	v_mov_b32_e32 v13, 0
.LBB2413_40:                            ; =>This Loop Header: Depth=1
                                        ;     Child Loop BB2413_41 Depth 2
	s_max_u32 s33, s7, 1
.LBB2413_41:                            ;   Parent Loop BB2413_40 Depth=1
                                        ; =>  This Inner Loop Header: Depth=2
	s_add_i32 s33, s33, -1
	s_cmp_eq_u32 s33, 0
	s_sleep 1
	s_cbranch_scc0 .LBB2413_41
; %bb.42:                               ;   in Loop: Header=BB2413_40 Depth=1
	global_load_dwordx2 v[18:19], v[16:17], off glc
	s_cmp_lt_u32 s7, 32
	s_cselect_b64 s[34:35], -1, 0
	s_cmp_lg_u64 s[34:35], 0
	s_addc_u32 s7, s7, 0
	s_waitcnt vmcnt(0)
	v_cmp_ne_u16_sdwa s[34:35], v19, v13 src0_sel:BYTE_0 src1_sel:DWORD
	s_or_b64 s[30:31], s[34:35], s[30:31]
	s_andn2_b64 exec, exec, s[30:31]
	s_cbranch_execnz .LBB2413_40
; %bb.43:
	s_or_b64 exec, exec, s[30:31]
.LBB2413_44:
	s_or_b64 exec, exec, s[28:29]
	v_and_b32_e32 v40, 63, v34
	v_mov_b32_e32 v39, 2
	v_cmp_ne_u32_e32 vcc, 63, v40
	v_cmp_eq_u16_sdwa s[28:29], v19, v39 src0_sel:BYTE_0 src1_sel:DWORD
	v_lshlrev_b64 v[16:17], v34, -1
	v_addc_co_u32_e32 v20, vcc, 0, v34, vcc
	v_and_b32_e32 v13, s29, v17
	v_lshlrev_b32_e32 v41, 2, v20
	v_or_b32_e32 v13, 0x80000000, v13
	ds_bpermute_b32 v20, v41, v18
	v_and_b32_e32 v15, s28, v16
	v_ffbl_b32_e32 v13, v13
	v_add_u32_e32 v13, 32, v13
	v_ffbl_b32_e32 v15, v15
	v_min_u32_e32 v13, v15, v13
	v_cmp_lt_u32_e32 vcc, v40, v13
	s_waitcnt lgkmcnt(0)
	v_cndmask_b32_e32 v15, 0, v20, vcc
	v_cmp_gt_u32_e32 vcc, 62, v40
	v_add_u32_e32 v15, v15, v18
	v_cndmask_b32_e64 v18, 0, 1, vcc
	v_lshlrev_b32_e32 v18, 1, v18
	v_add_lshl_u32 v42, v18, v34, 2
	ds_bpermute_b32 v18, v42, v15
	v_add_u32_e32 v43, 2, v40
	v_cmp_le_u32_e32 vcc, v43, v13
	v_add_u32_e32 v45, 4, v40
	v_add_u32_e32 v47, 8, v40
	s_waitcnt lgkmcnt(0)
	v_cndmask_b32_e32 v18, 0, v18, vcc
	v_cmp_gt_u32_e32 vcc, 60, v40
	v_add_u32_e32 v15, v15, v18
	v_cndmask_b32_e64 v18, 0, 1, vcc
	v_lshlrev_b32_e32 v18, 2, v18
	v_add_lshl_u32 v44, v18, v34, 2
	ds_bpermute_b32 v18, v44, v15
	v_cmp_le_u32_e32 vcc, v45, v13
	v_add_u32_e32 v49, 16, v40
	v_add_u32_e32 v51, 32, v40
	s_waitcnt lgkmcnt(0)
	v_cndmask_b32_e32 v18, 0, v18, vcc
	v_cmp_gt_u32_e32 vcc, 56, v40
	v_add_u32_e32 v15, v15, v18
	v_cndmask_b32_e64 v18, 0, 1, vcc
	v_lshlrev_b32_e32 v18, 3, v18
	v_add_lshl_u32 v46, v18, v34, 2
	ds_bpermute_b32 v18, v46, v15
	v_cmp_le_u32_e32 vcc, v47, v13
	s_waitcnt lgkmcnt(0)
	v_cndmask_b32_e32 v18, 0, v18, vcc
	v_cmp_gt_u32_e32 vcc, 48, v40
	v_add_u32_e32 v15, v15, v18
	v_cndmask_b32_e64 v18, 0, 1, vcc
	v_lshlrev_b32_e32 v18, 4, v18
	v_add_lshl_u32 v48, v18, v34, 2
	ds_bpermute_b32 v18, v48, v15
	v_cmp_le_u32_e32 vcc, v49, v13
	;; [unrolled: 9-line block ×3, first 2 shown]
	s_waitcnt lgkmcnt(0)
	v_cndmask_b32_e32 v13, 0, v18, vcc
	v_add_u32_e32 v18, v15, v13
	v_mov_b32_e32 v15, 0
	s_branch .LBB2413_46
.LBB2413_45:                            ;   in Loop: Header=BB2413_46 Depth=1
	s_or_b64 exec, exec, s[28:29]
	v_cmp_eq_u16_sdwa s[28:29], v19, v39 src0_sel:BYTE_0 src1_sel:DWORD
	v_and_b32_e32 v20, s29, v17
	v_or_b32_e32 v20, 0x80000000, v20
	ds_bpermute_b32 v52, v41, v18
	v_and_b32_e32 v21, s28, v16
	v_ffbl_b32_e32 v20, v20
	v_add_u32_e32 v20, 32, v20
	v_ffbl_b32_e32 v21, v21
	v_min_u32_e32 v20, v21, v20
	v_cmp_lt_u32_e32 vcc, v40, v20
	s_waitcnt lgkmcnt(0)
	v_cndmask_b32_e32 v21, 0, v52, vcc
	v_add_u32_e32 v18, v21, v18
	ds_bpermute_b32 v21, v42, v18
	v_cmp_le_u32_e32 vcc, v43, v20
	v_subrev_u32_e32 v14, 64, v14
	s_waitcnt lgkmcnt(0)
	v_cndmask_b32_e32 v21, 0, v21, vcc
	v_add_u32_e32 v18, v18, v21
	ds_bpermute_b32 v21, v44, v18
	v_cmp_le_u32_e32 vcc, v45, v20
	s_waitcnt lgkmcnt(0)
	v_cndmask_b32_e32 v21, 0, v21, vcc
	v_add_u32_e32 v18, v18, v21
	ds_bpermute_b32 v21, v46, v18
	v_cmp_le_u32_e32 vcc, v47, v20
	;; [unrolled: 5-line block ×4, first 2 shown]
	s_waitcnt lgkmcnt(0)
	v_cndmask_b32_e32 v20, 0, v21, vcc
	v_add3_u32 v18, v20, v13, v18
.LBB2413_46:                            ; =>This Loop Header: Depth=1
                                        ;     Child Loop BB2413_49 Depth 2
                                        ;       Child Loop BB2413_50 Depth 3
	v_cmp_ne_u16_sdwa s[28:29], v19, v39 src0_sel:BYTE_0 src1_sel:DWORD
	v_cndmask_b32_e64 v13, 0, 1, s[28:29]
	;;#ASMSTART
	;;#ASMEND
	v_cmp_ne_u32_e32 vcc, 0, v13
	s_cmp_lg_u64 vcc, exec
	v_mov_b32_e32 v13, v18
	s_cbranch_scc1 .LBB2413_53
; %bb.47:                               ;   in Loop: Header=BB2413_46 Depth=1
	v_lshlrev_b64 v[18:19], 3, v[14:15]
	v_mov_b32_e32 v21, s25
	v_add_co_u32_e32 v20, vcc, s24, v18
	v_addc_co_u32_e32 v21, vcc, v21, v19, vcc
	global_load_dwordx2 v[18:19], v[20:21], off glc
	s_waitcnt vmcnt(0)
	v_cmp_eq_u16_sdwa s[30:31], v19, v15 src0_sel:BYTE_0 src1_sel:DWORD
	s_and_saveexec_b64 s[28:29], s[30:31]
	s_cbranch_execz .LBB2413_45
; %bb.48:                               ;   in Loop: Header=BB2413_46 Depth=1
	s_mov_b32 s7, 1
	s_mov_b64 s[30:31], 0
.LBB2413_49:                            ;   Parent Loop BB2413_46 Depth=1
                                        ; =>  This Loop Header: Depth=2
                                        ;       Child Loop BB2413_50 Depth 3
	s_max_u32 s33, s7, 1
.LBB2413_50:                            ;   Parent Loop BB2413_46 Depth=1
                                        ;     Parent Loop BB2413_49 Depth=2
                                        ; =>    This Inner Loop Header: Depth=3
	s_add_i32 s33, s33, -1
	s_cmp_eq_u32 s33, 0
	s_sleep 1
	s_cbranch_scc0 .LBB2413_50
; %bb.51:                               ;   in Loop: Header=BB2413_49 Depth=2
	global_load_dwordx2 v[18:19], v[20:21], off glc
	s_cmp_lt_u32 s7, 32
	s_cselect_b64 s[34:35], -1, 0
	s_cmp_lg_u64 s[34:35], 0
	s_addc_u32 s7, s7, 0
	s_waitcnt vmcnt(0)
	v_cmp_ne_u16_sdwa s[34:35], v19, v15 src0_sel:BYTE_0 src1_sel:DWORD
	s_or_b64 s[30:31], s[34:35], s[30:31]
	s_andn2_b64 exec, exec, s[30:31]
	s_cbranch_execnz .LBB2413_49
; %bb.52:                               ;   in Loop: Header=BB2413_46 Depth=1
	s_or_b64 exec, exec, s[30:31]
	s_branch .LBB2413_45
.LBB2413_53:                            ;   in Loop: Header=BB2413_46 Depth=1
                                        ; implicit-def: $vgpr18
                                        ; implicit-def: $vgpr19
	s_cbranch_execz .LBB2413_46
; %bb.54:
	s_and_saveexec_b64 s[28:29], s[14:15]
	s_cbranch_execz .LBB2413_56
; %bb.55:
	s_add_i32 s6, s6, 64
	s_mov_b32 s7, 0
	s_lshl_b64 s[6:7], s[6:7], 3
	s_add_u32 s6, s24, s6
	v_add_u32_e32 v14, v13, v12
	v_mov_b32_e32 v15, 2
	s_addc_u32 s7, s25, s7
	v_mov_b32_e32 v16, 0
	global_store_dwordx2 v16, v[14:15], s[6:7]
	ds_write_b64 v16, v[12:13] offset:10240
.LBB2413_56:
	s_or_b64 exec, exec, s[28:29]
	v_cmp_eq_u32_e32 vcc, 0, v0
	s_and_b64 exec, exec, vcc
	s_cbranch_execz .LBB2413_58
; %bb.57:
	v_mov_b32_e32 v12, 0
	ds_write_b32 v12, v13 offset:12
.LBB2413_58:
	s_or_b64 exec, exec, s[26:27]
	v_mov_b32_e32 v12, 0
	s_waitcnt lgkmcnt(0)
	s_barrier
	ds_read_b32 v13, v12 offset:12
	v_cndmask_b32_e64 v14, v38, v37, s[14:15]
	v_cmp_ne_u32_e32 vcc, 0, v0
	v_cndmask_b32_e32 v14, 0, v14, vcc
	s_waitcnt lgkmcnt(0)
	v_add_u32_e32 v38, v13, v14
	v_add_u32_sdwa v37, v38, v25 dst_sel:DWORD dst_unused:UNUSED_PAD src0_sel:DWORD src1_sel:BYTE_0
	v_add_u32_sdwa v21, v37, v25 dst_sel:DWORD dst_unused:UNUSED_PAD src0_sel:DWORD src1_sel:BYTE_1
	v_add_u32_e32 v20, v21, v29
	v_add_u32_e32 v19, v20, v27
	;; [unrolled: 1-line block ×3, first 2 shown]
	s_barrier
	ds_read_b64 v[12:13], v12 offset:10240
	v_add_u32_e32 v17, v18, v31
	v_add_u32_e32 v16, v17, v32
	v_add_u32_e32 v15, v16, v26
	v_add_u32_e32 v14, v15, v33
	s_branch .LBB2413_69
.LBB2413_59:
                                        ; implicit-def: $vgpr13
                                        ; implicit-def: $vgpr14
                                        ; implicit-def: $vgpr15
                                        ; implicit-def: $vgpr16
                                        ; implicit-def: $vgpr17
                                        ; implicit-def: $vgpr18
                                        ; implicit-def: $vgpr19
                                        ; implicit-def: $vgpr20
                                        ; implicit-def: $vgpr21
                                        ; implicit-def: $vgpr37
                                        ; implicit-def: $vgpr38
	s_cbranch_execz .LBB2413_69
; %bb.60:
	s_waitcnt lgkmcnt(0)
	v_mov_b32_dpp v12, v36 row_shr:1 row_mask:0xf bank_mask:0xf
	v_cndmask_b32_e64 v12, v12, 0, s[12:13]
	v_add_u32_e32 v12, v12, v36
	s_nop 1
	v_mov_b32_dpp v13, v12 row_shr:2 row_mask:0xf bank_mask:0xf
	v_cndmask_b32_e64 v13, 0, v13, s[10:11]
	v_add_u32_e32 v12, v12, v13
	s_nop 1
	;; [unrolled: 4-line block ×4, first 2 shown]
	v_mov_b32_dpp v13, v12 row_bcast:15 row_mask:0xf bank_mask:0xf
	v_cndmask_b32_e64 v13, v13, 0, s[4:5]
	v_add_u32_e32 v12, v12, v13
	s_nop 1
	v_mov_b32_dpp v13, v12 row_bcast:31 row_mask:0xf bank_mask:0xf
	v_cndmask_b32_e64 v13, 0, v13, s[0:1]
	v_add_u32_e32 v12, v12, v13
	s_and_saveexec_b64 s[0:1], s[2:3]
	s_cbranch_execz .LBB2413_62
; %bb.61:
	v_lshlrev_b32_e32 v13, 2, v35
	ds_write_b32 v13, v12
.LBB2413_62:
	s_or_b64 exec, exec, s[0:1]
	v_cmp_gt_u32_e32 vcc, 4, v0
	s_waitcnt lgkmcnt(0)
	s_barrier
	s_and_saveexec_b64 s[0:1], vcc
	s_cbranch_execz .LBB2413_64
; %bb.63:
	s_movk_i32 s2, 0xffdc
	v_mad_i32_i24 v13, v0, s2, v28
	ds_read_b32 v14, v13
	v_and_b32_e32 v15, 3, v34
	v_cmp_ne_u32_e32 vcc, 0, v15
	s_waitcnt lgkmcnt(0)
	v_mov_b32_dpp v16, v14 row_shr:1 row_mask:0xf bank_mask:0xf
	v_cndmask_b32_e32 v16, 0, v16, vcc
	v_add_u32_e32 v14, v16, v14
	v_cmp_lt_u32_e32 vcc, 1, v15
	s_nop 0
	v_mov_b32_dpp v16, v14 row_shr:2 row_mask:0xf bank_mask:0xf
	v_cndmask_b32_e32 v15, 0, v16, vcc
	v_add_u32_e32 v14, v14, v15
	ds_write_b32 v13, v14
.LBB2413_64:
	s_or_b64 exec, exec, s[0:1]
	v_cmp_lt_u32_e32 vcc, 63, v0
	v_mov_b32_e32 v13, 0
	v_mov_b32_e32 v14, 0
	s_waitcnt lgkmcnt(0)
	s_barrier
	s_and_saveexec_b64 s[0:1], vcc
	s_cbranch_execz .LBB2413_66
; %bb.65:
	v_lshl_add_u32 v14, v35, 2, -4
	ds_read_b32 v14, v14
.LBB2413_66:
	s_or_b64 exec, exec, s[0:1]
	v_add_u32_e32 v15, -1, v34
	v_and_b32_e32 v16, 64, v34
	v_cmp_lt_i32_e32 vcc, v15, v16
	v_cndmask_b32_e32 v15, v15, v34, vcc
	s_waitcnt lgkmcnt(0)
	v_add_u32_e32 v12, v14, v12
	v_lshlrev_b32_e32 v15, 2, v15
	ds_bpermute_b32 v15, v15, v12
	ds_read_b32 v12, v13 offset:12
	v_cmp_eq_u32_e32 vcc, 0, v0
	s_and_saveexec_b64 s[0:1], vcc
	s_cbranch_execz .LBB2413_68
; %bb.67:
	v_mov_b32_e32 v16, 0
	v_mov_b32_e32 v13, 2
	s_waitcnt lgkmcnt(0)
	global_store_dwordx2 v16, v[12:13], s[24:25] offset:512
.LBB2413_68:
	s_or_b64 exec, exec, s[0:1]
	v_cmp_eq_u32_e64 s[0:1], 0, v34
	s_waitcnt lgkmcnt(1)
	v_cndmask_b32_e64 v14, v15, v14, s[0:1]
	v_cndmask_b32_e64 v38, v14, 0, vcc
	v_add_u32_sdwa v37, v38, v25 dst_sel:DWORD dst_unused:UNUSED_PAD src0_sel:DWORD src1_sel:BYTE_0
	v_add_u32_sdwa v21, v37, v25 dst_sel:DWORD dst_unused:UNUSED_PAD src0_sel:DWORD src1_sel:BYTE_1
	v_add_u32_e32 v20, v21, v29
	v_add_u32_e32 v19, v20, v27
	;; [unrolled: 1-line block ×6, first 2 shown]
	v_mov_b32_e32 v13, 0
	v_add_u32_e32 v14, v15, v33
	s_waitcnt lgkmcnt(0)
	s_barrier
.LBB2413_69:
	s_waitcnt lgkmcnt(0)
	v_add_u32_e32 v22, v12, v22
	v_sub_u32_e32 v30, v38, v13
	v_and_b32_e32 v32, 1, v25
	v_sub_u32_e32 v31, v22, v30
	v_cmp_eq_u32_e32 vcc, 1, v32
	v_cndmask_b32_e32 v30, v31, v30, vcc
	v_lshlrev_b32_e32 v30, 2, v30
	v_lshrrev_b32_e32 v29, 8, v25
	ds_write_b32 v30, v6
	v_sub_u32_e32 v6, v37, v13
	v_sub_u32_e32 v30, v22, v6
	v_and_b32_e32 v29, 1, v29
	v_add_u32_e32 v30, 1, v30
	v_cmp_eq_u32_e32 vcc, 1, v29
	v_cndmask_b32_e32 v6, v30, v6, vcc
	v_lshlrev_b32_e32 v6, 2, v6
	ds_write_b32 v6, v7
	v_sub_u32_e32 v6, v21, v13
	v_mov_b32_e32 v21, 1
	v_sub_u32_e32 v7, v22, v6
	v_and_b32_sdwa v25, v21, v25 dst_sel:DWORD dst_unused:UNUSED_PAD src0_sel:DWORD src1_sel:WORD_1
	v_add_u32_e32 v7, 2, v7
	v_cmp_eq_u32_e32 vcc, 1, v25
	v_cndmask_b32_e32 v6, v7, v6, vcc
	v_lshlrev_b32_e32 v6, 2, v6
	ds_write_b32 v6, v8
	v_sub_u32_e32 v6, v20, v13
	v_sub_u32_e32 v7, v22, v6
	v_and_b32_e32 v8, 1, v27
	v_add_u32_e32 v7, 3, v7
	v_cmp_eq_u32_e32 vcc, 1, v8
	v_cndmask_b32_e32 v6, v7, v6, vcc
	v_lshlrev_b32_e32 v6, 2, v6
	ds_write_b32 v6, v9
	v_sub_u32_e32 v6, v19, v13
	v_sub_u32_e32 v7, v22, v6
	v_and_b32_e32 v8, 1, v24
	v_add_u32_e32 v7, 4, v7
	v_cmp_eq_u32_e32 vcc, 1, v8
	v_cndmask_b32_e32 v6, v7, v6, vcc
	v_lshlrev_b32_e32 v6, 2, v6
	v_lshrrev_b32_e32 v28, 8, v24
	ds_write_b32 v6, v2
	v_sub_u32_e32 v2, v18, v13
	v_sub_u32_e32 v6, v22, v2
	v_and_b32_e32 v7, 1, v28
	v_add_u32_e32 v6, 5, v6
	v_cmp_eq_u32_e32 vcc, 1, v7
	v_cndmask_b32_e32 v2, v6, v2, vcc
	v_lshlrev_b32_e32 v2, 2, v2
	ds_write_b32 v2, v3
	v_sub_u32_e32 v2, v17, v13
	v_sub_u32_e32 v3, v22, v2
	v_and_b32_sdwa v6, v21, v24 dst_sel:DWORD dst_unused:UNUSED_PAD src0_sel:DWORD src1_sel:WORD_1
	v_add_u32_e32 v3, 6, v3
	v_cmp_eq_u32_e32 vcc, 1, v6
	v_cndmask_b32_e32 v2, v3, v2, vcc
	v_lshlrev_b32_e32 v2, 2, v2
	ds_write_b32 v2, v4
	v_sub_u32_e32 v2, v16, v13
	v_sub_u32_e32 v3, v22, v2
	v_and_b32_e32 v4, 1, v26
	v_add_u32_e32 v3, 7, v3
	v_cmp_eq_u32_e32 vcc, 1, v4
	v_cndmask_b32_e32 v2, v3, v2, vcc
	v_lshlrev_b32_e32 v2, 2, v2
	ds_write_b32 v2, v5
	v_sub_u32_e32 v2, v15, v13
	v_sub_u32_e32 v3, v22, v2
	v_and_b32_e32 v4, 1, v23
	;; [unrolled: 8-line block ×3, first 2 shown]
	v_add_u32_e32 v3, 9, v3
	v_cmp_eq_u32_e32 vcc, 1, v1
	v_cndmask_b32_e32 v1, v3, v2, vcc
	v_cmp_eq_u32_e32 vcc, 0, v0
	v_lshlrev_b32_e32 v1, 2, v1
	s_and_b64 s[0:1], vcc, s[22:23]
	ds_write_b32 v1, v11
	s_waitcnt lgkmcnt(0)
	s_barrier
	s_and_saveexec_b64 s[2:3], s[0:1]
	s_cbranch_execz .LBB2413_71
; %bb.70:
	v_mov_b32_e32 v0, s19
	v_add_co_u32_e32 v1, vcc, s18, v12
	v_addc_co_u32_e32 v3, vcc, 0, v0, vcc
	v_add_co_u32_e32 v0, vcc, v1, v13
	v_mov_b32_e32 v2, 0
	v_addc_co_u32_e32 v1, vcc, 0, v3, vcc
	global_store_dwordx2 v2, v[0:1], s[20:21]
.LBB2413_71:
	s_endpgm
	.section	.rodata,"a",@progbits
	.p2align	6, 0x0
	.amdhsa_kernel _ZN7rocprim17ROCPRIM_400000_NS6detail17trampoline_kernelINS0_14default_configENS1_25partition_config_selectorILNS1_17partition_subalgoE0EjNS0_10empty_typeEbEEZZNS1_14partition_implILS5_0ELb0ES3_jN6thrust23THRUST_200600_302600_NS6detail15normal_iteratorINSA_10device_ptrIjEEEEPS6_SG_NS0_5tupleIJNSA_16discard_iteratorINSA_11use_defaultEEESK_EEENSH_IJSG_SG_EEES6_PlJ7is_evenIjEEEE10hipError_tPvRmT3_T4_T5_T6_T7_T9_mT8_P12ihipStream_tbDpT10_ENKUlT_T0_E_clISt17integral_constantIbLb1EES18_IbLb0EEEEDaS14_S15_EUlS14_E_NS1_11comp_targetILNS1_3genE4ELNS1_11target_archE910ELNS1_3gpuE8ELNS1_3repE0EEENS1_30default_config_static_selectorELNS0_4arch9wavefront6targetE1EEEvT1_
		.amdhsa_group_segment_fixed_size 10248
		.amdhsa_private_segment_fixed_size 0
		.amdhsa_kernarg_size 136
		.amdhsa_user_sgpr_count 6
		.amdhsa_user_sgpr_private_segment_buffer 1
		.amdhsa_user_sgpr_dispatch_ptr 0
		.amdhsa_user_sgpr_queue_ptr 0
		.amdhsa_user_sgpr_kernarg_segment_ptr 1
		.amdhsa_user_sgpr_dispatch_id 0
		.amdhsa_user_sgpr_flat_scratch_init 0
		.amdhsa_user_sgpr_kernarg_preload_length 0
		.amdhsa_user_sgpr_kernarg_preload_offset 0
		.amdhsa_user_sgpr_private_segment_size 0
		.amdhsa_uses_dynamic_stack 0
		.amdhsa_system_sgpr_private_segment_wavefront_offset 0
		.amdhsa_system_sgpr_workgroup_id_x 1
		.amdhsa_system_sgpr_workgroup_id_y 0
		.amdhsa_system_sgpr_workgroup_id_z 0
		.amdhsa_system_sgpr_workgroup_info 0
		.amdhsa_system_vgpr_workitem_id 0
		.amdhsa_next_free_vgpr 53
		.amdhsa_next_free_sgpr 36
		.amdhsa_accum_offset 56
		.amdhsa_reserve_vcc 1
		.amdhsa_reserve_flat_scratch 0
		.amdhsa_float_round_mode_32 0
		.amdhsa_float_round_mode_16_64 0
		.amdhsa_float_denorm_mode_32 3
		.amdhsa_float_denorm_mode_16_64 3
		.amdhsa_dx10_clamp 1
		.amdhsa_ieee_mode 1
		.amdhsa_fp16_overflow 0
		.amdhsa_tg_split 0
		.amdhsa_exception_fp_ieee_invalid_op 0
		.amdhsa_exception_fp_denorm_src 0
		.amdhsa_exception_fp_ieee_div_zero 0
		.amdhsa_exception_fp_ieee_overflow 0
		.amdhsa_exception_fp_ieee_underflow 0
		.amdhsa_exception_fp_ieee_inexact 0
		.amdhsa_exception_int_div_zero 0
	.end_amdhsa_kernel
	.section	.text._ZN7rocprim17ROCPRIM_400000_NS6detail17trampoline_kernelINS0_14default_configENS1_25partition_config_selectorILNS1_17partition_subalgoE0EjNS0_10empty_typeEbEEZZNS1_14partition_implILS5_0ELb0ES3_jN6thrust23THRUST_200600_302600_NS6detail15normal_iteratorINSA_10device_ptrIjEEEEPS6_SG_NS0_5tupleIJNSA_16discard_iteratorINSA_11use_defaultEEESK_EEENSH_IJSG_SG_EEES6_PlJ7is_evenIjEEEE10hipError_tPvRmT3_T4_T5_T6_T7_T9_mT8_P12ihipStream_tbDpT10_ENKUlT_T0_E_clISt17integral_constantIbLb1EES18_IbLb0EEEEDaS14_S15_EUlS14_E_NS1_11comp_targetILNS1_3genE4ELNS1_11target_archE910ELNS1_3gpuE8ELNS1_3repE0EEENS1_30default_config_static_selectorELNS0_4arch9wavefront6targetE1EEEvT1_,"axG",@progbits,_ZN7rocprim17ROCPRIM_400000_NS6detail17trampoline_kernelINS0_14default_configENS1_25partition_config_selectorILNS1_17partition_subalgoE0EjNS0_10empty_typeEbEEZZNS1_14partition_implILS5_0ELb0ES3_jN6thrust23THRUST_200600_302600_NS6detail15normal_iteratorINSA_10device_ptrIjEEEEPS6_SG_NS0_5tupleIJNSA_16discard_iteratorINSA_11use_defaultEEESK_EEENSH_IJSG_SG_EEES6_PlJ7is_evenIjEEEE10hipError_tPvRmT3_T4_T5_T6_T7_T9_mT8_P12ihipStream_tbDpT10_ENKUlT_T0_E_clISt17integral_constantIbLb1EES18_IbLb0EEEEDaS14_S15_EUlS14_E_NS1_11comp_targetILNS1_3genE4ELNS1_11target_archE910ELNS1_3gpuE8ELNS1_3repE0EEENS1_30default_config_static_selectorELNS0_4arch9wavefront6targetE1EEEvT1_,comdat
.Lfunc_end2413:
	.size	_ZN7rocprim17ROCPRIM_400000_NS6detail17trampoline_kernelINS0_14default_configENS1_25partition_config_selectorILNS1_17partition_subalgoE0EjNS0_10empty_typeEbEEZZNS1_14partition_implILS5_0ELb0ES3_jN6thrust23THRUST_200600_302600_NS6detail15normal_iteratorINSA_10device_ptrIjEEEEPS6_SG_NS0_5tupleIJNSA_16discard_iteratorINSA_11use_defaultEEESK_EEENSH_IJSG_SG_EEES6_PlJ7is_evenIjEEEE10hipError_tPvRmT3_T4_T5_T6_T7_T9_mT8_P12ihipStream_tbDpT10_ENKUlT_T0_E_clISt17integral_constantIbLb1EES18_IbLb0EEEEDaS14_S15_EUlS14_E_NS1_11comp_targetILNS1_3genE4ELNS1_11target_archE910ELNS1_3gpuE8ELNS1_3repE0EEENS1_30default_config_static_selectorELNS0_4arch9wavefront6targetE1EEEvT1_, .Lfunc_end2413-_ZN7rocprim17ROCPRIM_400000_NS6detail17trampoline_kernelINS0_14default_configENS1_25partition_config_selectorILNS1_17partition_subalgoE0EjNS0_10empty_typeEbEEZZNS1_14partition_implILS5_0ELb0ES3_jN6thrust23THRUST_200600_302600_NS6detail15normal_iteratorINSA_10device_ptrIjEEEEPS6_SG_NS0_5tupleIJNSA_16discard_iteratorINSA_11use_defaultEEESK_EEENSH_IJSG_SG_EEES6_PlJ7is_evenIjEEEE10hipError_tPvRmT3_T4_T5_T6_T7_T9_mT8_P12ihipStream_tbDpT10_ENKUlT_T0_E_clISt17integral_constantIbLb1EES18_IbLb0EEEEDaS14_S15_EUlS14_E_NS1_11comp_targetILNS1_3genE4ELNS1_11target_archE910ELNS1_3gpuE8ELNS1_3repE0EEENS1_30default_config_static_selectorELNS0_4arch9wavefront6targetE1EEEvT1_
                                        ; -- End function
	.section	.AMDGPU.csdata,"",@progbits
; Kernel info:
; codeLenInByte = 3956
; NumSgprs: 40
; NumVgprs: 53
; NumAgprs: 0
; TotalNumVgprs: 53
; ScratchSize: 0
; MemoryBound: 0
; FloatMode: 240
; IeeeMode: 1
; LDSByteSize: 10248 bytes/workgroup (compile time only)
; SGPRBlocks: 4
; VGPRBlocks: 6
; NumSGPRsForWavesPerEU: 40
; NumVGPRsForWavesPerEU: 53
; AccumOffset: 56
; Occupancy: 6
; WaveLimiterHint : 1
; COMPUTE_PGM_RSRC2:SCRATCH_EN: 0
; COMPUTE_PGM_RSRC2:USER_SGPR: 6
; COMPUTE_PGM_RSRC2:TRAP_HANDLER: 0
; COMPUTE_PGM_RSRC2:TGID_X_EN: 1
; COMPUTE_PGM_RSRC2:TGID_Y_EN: 0
; COMPUTE_PGM_RSRC2:TGID_Z_EN: 0
; COMPUTE_PGM_RSRC2:TIDIG_COMP_CNT: 0
; COMPUTE_PGM_RSRC3_GFX90A:ACCUM_OFFSET: 13
; COMPUTE_PGM_RSRC3_GFX90A:TG_SPLIT: 0
	.section	.text._ZN7rocprim17ROCPRIM_400000_NS6detail17trampoline_kernelINS0_14default_configENS1_25partition_config_selectorILNS1_17partition_subalgoE0EjNS0_10empty_typeEbEEZZNS1_14partition_implILS5_0ELb0ES3_jN6thrust23THRUST_200600_302600_NS6detail15normal_iteratorINSA_10device_ptrIjEEEEPS6_SG_NS0_5tupleIJNSA_16discard_iteratorINSA_11use_defaultEEESK_EEENSH_IJSG_SG_EEES6_PlJ7is_evenIjEEEE10hipError_tPvRmT3_T4_T5_T6_T7_T9_mT8_P12ihipStream_tbDpT10_ENKUlT_T0_E_clISt17integral_constantIbLb1EES18_IbLb0EEEEDaS14_S15_EUlS14_E_NS1_11comp_targetILNS1_3genE3ELNS1_11target_archE908ELNS1_3gpuE7ELNS1_3repE0EEENS1_30default_config_static_selectorELNS0_4arch9wavefront6targetE1EEEvT1_,"axG",@progbits,_ZN7rocprim17ROCPRIM_400000_NS6detail17trampoline_kernelINS0_14default_configENS1_25partition_config_selectorILNS1_17partition_subalgoE0EjNS0_10empty_typeEbEEZZNS1_14partition_implILS5_0ELb0ES3_jN6thrust23THRUST_200600_302600_NS6detail15normal_iteratorINSA_10device_ptrIjEEEEPS6_SG_NS0_5tupleIJNSA_16discard_iteratorINSA_11use_defaultEEESK_EEENSH_IJSG_SG_EEES6_PlJ7is_evenIjEEEE10hipError_tPvRmT3_T4_T5_T6_T7_T9_mT8_P12ihipStream_tbDpT10_ENKUlT_T0_E_clISt17integral_constantIbLb1EES18_IbLb0EEEEDaS14_S15_EUlS14_E_NS1_11comp_targetILNS1_3genE3ELNS1_11target_archE908ELNS1_3gpuE7ELNS1_3repE0EEENS1_30default_config_static_selectorELNS0_4arch9wavefront6targetE1EEEvT1_,comdat
	.protected	_ZN7rocprim17ROCPRIM_400000_NS6detail17trampoline_kernelINS0_14default_configENS1_25partition_config_selectorILNS1_17partition_subalgoE0EjNS0_10empty_typeEbEEZZNS1_14partition_implILS5_0ELb0ES3_jN6thrust23THRUST_200600_302600_NS6detail15normal_iteratorINSA_10device_ptrIjEEEEPS6_SG_NS0_5tupleIJNSA_16discard_iteratorINSA_11use_defaultEEESK_EEENSH_IJSG_SG_EEES6_PlJ7is_evenIjEEEE10hipError_tPvRmT3_T4_T5_T6_T7_T9_mT8_P12ihipStream_tbDpT10_ENKUlT_T0_E_clISt17integral_constantIbLb1EES18_IbLb0EEEEDaS14_S15_EUlS14_E_NS1_11comp_targetILNS1_3genE3ELNS1_11target_archE908ELNS1_3gpuE7ELNS1_3repE0EEENS1_30default_config_static_selectorELNS0_4arch9wavefront6targetE1EEEvT1_ ; -- Begin function _ZN7rocprim17ROCPRIM_400000_NS6detail17trampoline_kernelINS0_14default_configENS1_25partition_config_selectorILNS1_17partition_subalgoE0EjNS0_10empty_typeEbEEZZNS1_14partition_implILS5_0ELb0ES3_jN6thrust23THRUST_200600_302600_NS6detail15normal_iteratorINSA_10device_ptrIjEEEEPS6_SG_NS0_5tupleIJNSA_16discard_iteratorINSA_11use_defaultEEESK_EEENSH_IJSG_SG_EEES6_PlJ7is_evenIjEEEE10hipError_tPvRmT3_T4_T5_T6_T7_T9_mT8_P12ihipStream_tbDpT10_ENKUlT_T0_E_clISt17integral_constantIbLb1EES18_IbLb0EEEEDaS14_S15_EUlS14_E_NS1_11comp_targetILNS1_3genE3ELNS1_11target_archE908ELNS1_3gpuE7ELNS1_3repE0EEENS1_30default_config_static_selectorELNS0_4arch9wavefront6targetE1EEEvT1_
	.globl	_ZN7rocprim17ROCPRIM_400000_NS6detail17trampoline_kernelINS0_14default_configENS1_25partition_config_selectorILNS1_17partition_subalgoE0EjNS0_10empty_typeEbEEZZNS1_14partition_implILS5_0ELb0ES3_jN6thrust23THRUST_200600_302600_NS6detail15normal_iteratorINSA_10device_ptrIjEEEEPS6_SG_NS0_5tupleIJNSA_16discard_iteratorINSA_11use_defaultEEESK_EEENSH_IJSG_SG_EEES6_PlJ7is_evenIjEEEE10hipError_tPvRmT3_T4_T5_T6_T7_T9_mT8_P12ihipStream_tbDpT10_ENKUlT_T0_E_clISt17integral_constantIbLb1EES18_IbLb0EEEEDaS14_S15_EUlS14_E_NS1_11comp_targetILNS1_3genE3ELNS1_11target_archE908ELNS1_3gpuE7ELNS1_3repE0EEENS1_30default_config_static_selectorELNS0_4arch9wavefront6targetE1EEEvT1_
	.p2align	8
	.type	_ZN7rocprim17ROCPRIM_400000_NS6detail17trampoline_kernelINS0_14default_configENS1_25partition_config_selectorILNS1_17partition_subalgoE0EjNS0_10empty_typeEbEEZZNS1_14partition_implILS5_0ELb0ES3_jN6thrust23THRUST_200600_302600_NS6detail15normal_iteratorINSA_10device_ptrIjEEEEPS6_SG_NS0_5tupleIJNSA_16discard_iteratorINSA_11use_defaultEEESK_EEENSH_IJSG_SG_EEES6_PlJ7is_evenIjEEEE10hipError_tPvRmT3_T4_T5_T6_T7_T9_mT8_P12ihipStream_tbDpT10_ENKUlT_T0_E_clISt17integral_constantIbLb1EES18_IbLb0EEEEDaS14_S15_EUlS14_E_NS1_11comp_targetILNS1_3genE3ELNS1_11target_archE908ELNS1_3gpuE7ELNS1_3repE0EEENS1_30default_config_static_selectorELNS0_4arch9wavefront6targetE1EEEvT1_,@function
_ZN7rocprim17ROCPRIM_400000_NS6detail17trampoline_kernelINS0_14default_configENS1_25partition_config_selectorILNS1_17partition_subalgoE0EjNS0_10empty_typeEbEEZZNS1_14partition_implILS5_0ELb0ES3_jN6thrust23THRUST_200600_302600_NS6detail15normal_iteratorINSA_10device_ptrIjEEEEPS6_SG_NS0_5tupleIJNSA_16discard_iteratorINSA_11use_defaultEEESK_EEENSH_IJSG_SG_EEES6_PlJ7is_evenIjEEEE10hipError_tPvRmT3_T4_T5_T6_T7_T9_mT8_P12ihipStream_tbDpT10_ENKUlT_T0_E_clISt17integral_constantIbLb1EES18_IbLb0EEEEDaS14_S15_EUlS14_E_NS1_11comp_targetILNS1_3genE3ELNS1_11target_archE908ELNS1_3gpuE7ELNS1_3repE0EEENS1_30default_config_static_selectorELNS0_4arch9wavefront6targetE1EEEvT1_: ; @_ZN7rocprim17ROCPRIM_400000_NS6detail17trampoline_kernelINS0_14default_configENS1_25partition_config_selectorILNS1_17partition_subalgoE0EjNS0_10empty_typeEbEEZZNS1_14partition_implILS5_0ELb0ES3_jN6thrust23THRUST_200600_302600_NS6detail15normal_iteratorINSA_10device_ptrIjEEEEPS6_SG_NS0_5tupleIJNSA_16discard_iteratorINSA_11use_defaultEEESK_EEENSH_IJSG_SG_EEES6_PlJ7is_evenIjEEEE10hipError_tPvRmT3_T4_T5_T6_T7_T9_mT8_P12ihipStream_tbDpT10_ENKUlT_T0_E_clISt17integral_constantIbLb1EES18_IbLb0EEEEDaS14_S15_EUlS14_E_NS1_11comp_targetILNS1_3genE3ELNS1_11target_archE908ELNS1_3gpuE7ELNS1_3repE0EEENS1_30default_config_static_selectorELNS0_4arch9wavefront6targetE1EEEvT1_
; %bb.0:
	.section	.rodata,"a",@progbits
	.p2align	6, 0x0
	.amdhsa_kernel _ZN7rocprim17ROCPRIM_400000_NS6detail17trampoline_kernelINS0_14default_configENS1_25partition_config_selectorILNS1_17partition_subalgoE0EjNS0_10empty_typeEbEEZZNS1_14partition_implILS5_0ELb0ES3_jN6thrust23THRUST_200600_302600_NS6detail15normal_iteratorINSA_10device_ptrIjEEEEPS6_SG_NS0_5tupleIJNSA_16discard_iteratorINSA_11use_defaultEEESK_EEENSH_IJSG_SG_EEES6_PlJ7is_evenIjEEEE10hipError_tPvRmT3_T4_T5_T6_T7_T9_mT8_P12ihipStream_tbDpT10_ENKUlT_T0_E_clISt17integral_constantIbLb1EES18_IbLb0EEEEDaS14_S15_EUlS14_E_NS1_11comp_targetILNS1_3genE3ELNS1_11target_archE908ELNS1_3gpuE7ELNS1_3repE0EEENS1_30default_config_static_selectorELNS0_4arch9wavefront6targetE1EEEvT1_
		.amdhsa_group_segment_fixed_size 0
		.amdhsa_private_segment_fixed_size 0
		.amdhsa_kernarg_size 136
		.amdhsa_user_sgpr_count 6
		.amdhsa_user_sgpr_private_segment_buffer 1
		.amdhsa_user_sgpr_dispatch_ptr 0
		.amdhsa_user_sgpr_queue_ptr 0
		.amdhsa_user_sgpr_kernarg_segment_ptr 1
		.amdhsa_user_sgpr_dispatch_id 0
		.amdhsa_user_sgpr_flat_scratch_init 0
		.amdhsa_user_sgpr_kernarg_preload_length 0
		.amdhsa_user_sgpr_kernarg_preload_offset 0
		.amdhsa_user_sgpr_private_segment_size 0
		.amdhsa_uses_dynamic_stack 0
		.amdhsa_system_sgpr_private_segment_wavefront_offset 0
		.amdhsa_system_sgpr_workgroup_id_x 1
		.amdhsa_system_sgpr_workgroup_id_y 0
		.amdhsa_system_sgpr_workgroup_id_z 0
		.amdhsa_system_sgpr_workgroup_info 0
		.amdhsa_system_vgpr_workitem_id 0
		.amdhsa_next_free_vgpr 1
		.amdhsa_next_free_sgpr 0
		.amdhsa_accum_offset 4
		.amdhsa_reserve_vcc 0
		.amdhsa_reserve_flat_scratch 0
		.amdhsa_float_round_mode_32 0
		.amdhsa_float_round_mode_16_64 0
		.amdhsa_float_denorm_mode_32 3
		.amdhsa_float_denorm_mode_16_64 3
		.amdhsa_dx10_clamp 1
		.amdhsa_ieee_mode 1
		.amdhsa_fp16_overflow 0
		.amdhsa_tg_split 0
		.amdhsa_exception_fp_ieee_invalid_op 0
		.amdhsa_exception_fp_denorm_src 0
		.amdhsa_exception_fp_ieee_div_zero 0
		.amdhsa_exception_fp_ieee_overflow 0
		.amdhsa_exception_fp_ieee_underflow 0
		.amdhsa_exception_fp_ieee_inexact 0
		.amdhsa_exception_int_div_zero 0
	.end_amdhsa_kernel
	.section	.text._ZN7rocprim17ROCPRIM_400000_NS6detail17trampoline_kernelINS0_14default_configENS1_25partition_config_selectorILNS1_17partition_subalgoE0EjNS0_10empty_typeEbEEZZNS1_14partition_implILS5_0ELb0ES3_jN6thrust23THRUST_200600_302600_NS6detail15normal_iteratorINSA_10device_ptrIjEEEEPS6_SG_NS0_5tupleIJNSA_16discard_iteratorINSA_11use_defaultEEESK_EEENSH_IJSG_SG_EEES6_PlJ7is_evenIjEEEE10hipError_tPvRmT3_T4_T5_T6_T7_T9_mT8_P12ihipStream_tbDpT10_ENKUlT_T0_E_clISt17integral_constantIbLb1EES18_IbLb0EEEEDaS14_S15_EUlS14_E_NS1_11comp_targetILNS1_3genE3ELNS1_11target_archE908ELNS1_3gpuE7ELNS1_3repE0EEENS1_30default_config_static_selectorELNS0_4arch9wavefront6targetE1EEEvT1_,"axG",@progbits,_ZN7rocprim17ROCPRIM_400000_NS6detail17trampoline_kernelINS0_14default_configENS1_25partition_config_selectorILNS1_17partition_subalgoE0EjNS0_10empty_typeEbEEZZNS1_14partition_implILS5_0ELb0ES3_jN6thrust23THRUST_200600_302600_NS6detail15normal_iteratorINSA_10device_ptrIjEEEEPS6_SG_NS0_5tupleIJNSA_16discard_iteratorINSA_11use_defaultEEESK_EEENSH_IJSG_SG_EEES6_PlJ7is_evenIjEEEE10hipError_tPvRmT3_T4_T5_T6_T7_T9_mT8_P12ihipStream_tbDpT10_ENKUlT_T0_E_clISt17integral_constantIbLb1EES18_IbLb0EEEEDaS14_S15_EUlS14_E_NS1_11comp_targetILNS1_3genE3ELNS1_11target_archE908ELNS1_3gpuE7ELNS1_3repE0EEENS1_30default_config_static_selectorELNS0_4arch9wavefront6targetE1EEEvT1_,comdat
.Lfunc_end2414:
	.size	_ZN7rocprim17ROCPRIM_400000_NS6detail17trampoline_kernelINS0_14default_configENS1_25partition_config_selectorILNS1_17partition_subalgoE0EjNS0_10empty_typeEbEEZZNS1_14partition_implILS5_0ELb0ES3_jN6thrust23THRUST_200600_302600_NS6detail15normal_iteratorINSA_10device_ptrIjEEEEPS6_SG_NS0_5tupleIJNSA_16discard_iteratorINSA_11use_defaultEEESK_EEENSH_IJSG_SG_EEES6_PlJ7is_evenIjEEEE10hipError_tPvRmT3_T4_T5_T6_T7_T9_mT8_P12ihipStream_tbDpT10_ENKUlT_T0_E_clISt17integral_constantIbLb1EES18_IbLb0EEEEDaS14_S15_EUlS14_E_NS1_11comp_targetILNS1_3genE3ELNS1_11target_archE908ELNS1_3gpuE7ELNS1_3repE0EEENS1_30default_config_static_selectorELNS0_4arch9wavefront6targetE1EEEvT1_, .Lfunc_end2414-_ZN7rocprim17ROCPRIM_400000_NS6detail17trampoline_kernelINS0_14default_configENS1_25partition_config_selectorILNS1_17partition_subalgoE0EjNS0_10empty_typeEbEEZZNS1_14partition_implILS5_0ELb0ES3_jN6thrust23THRUST_200600_302600_NS6detail15normal_iteratorINSA_10device_ptrIjEEEEPS6_SG_NS0_5tupleIJNSA_16discard_iteratorINSA_11use_defaultEEESK_EEENSH_IJSG_SG_EEES6_PlJ7is_evenIjEEEE10hipError_tPvRmT3_T4_T5_T6_T7_T9_mT8_P12ihipStream_tbDpT10_ENKUlT_T0_E_clISt17integral_constantIbLb1EES18_IbLb0EEEEDaS14_S15_EUlS14_E_NS1_11comp_targetILNS1_3genE3ELNS1_11target_archE908ELNS1_3gpuE7ELNS1_3repE0EEENS1_30default_config_static_selectorELNS0_4arch9wavefront6targetE1EEEvT1_
                                        ; -- End function
	.section	.AMDGPU.csdata,"",@progbits
; Kernel info:
; codeLenInByte = 0
; NumSgprs: 4
; NumVgprs: 0
; NumAgprs: 0
; TotalNumVgprs: 0
; ScratchSize: 0
; MemoryBound: 0
; FloatMode: 240
; IeeeMode: 1
; LDSByteSize: 0 bytes/workgroup (compile time only)
; SGPRBlocks: 0
; VGPRBlocks: 0
; NumSGPRsForWavesPerEU: 4
; NumVGPRsForWavesPerEU: 1
; AccumOffset: 4
; Occupancy: 8
; WaveLimiterHint : 0
; COMPUTE_PGM_RSRC2:SCRATCH_EN: 0
; COMPUTE_PGM_RSRC2:USER_SGPR: 6
; COMPUTE_PGM_RSRC2:TRAP_HANDLER: 0
; COMPUTE_PGM_RSRC2:TGID_X_EN: 1
; COMPUTE_PGM_RSRC2:TGID_Y_EN: 0
; COMPUTE_PGM_RSRC2:TGID_Z_EN: 0
; COMPUTE_PGM_RSRC2:TIDIG_COMP_CNT: 0
; COMPUTE_PGM_RSRC3_GFX90A:ACCUM_OFFSET: 0
; COMPUTE_PGM_RSRC3_GFX90A:TG_SPLIT: 0
	.section	.text._ZN7rocprim17ROCPRIM_400000_NS6detail17trampoline_kernelINS0_14default_configENS1_25partition_config_selectorILNS1_17partition_subalgoE0EjNS0_10empty_typeEbEEZZNS1_14partition_implILS5_0ELb0ES3_jN6thrust23THRUST_200600_302600_NS6detail15normal_iteratorINSA_10device_ptrIjEEEEPS6_SG_NS0_5tupleIJNSA_16discard_iteratorINSA_11use_defaultEEESK_EEENSH_IJSG_SG_EEES6_PlJ7is_evenIjEEEE10hipError_tPvRmT3_T4_T5_T6_T7_T9_mT8_P12ihipStream_tbDpT10_ENKUlT_T0_E_clISt17integral_constantIbLb1EES18_IbLb0EEEEDaS14_S15_EUlS14_E_NS1_11comp_targetILNS1_3genE2ELNS1_11target_archE906ELNS1_3gpuE6ELNS1_3repE0EEENS1_30default_config_static_selectorELNS0_4arch9wavefront6targetE1EEEvT1_,"axG",@progbits,_ZN7rocprim17ROCPRIM_400000_NS6detail17trampoline_kernelINS0_14default_configENS1_25partition_config_selectorILNS1_17partition_subalgoE0EjNS0_10empty_typeEbEEZZNS1_14partition_implILS5_0ELb0ES3_jN6thrust23THRUST_200600_302600_NS6detail15normal_iteratorINSA_10device_ptrIjEEEEPS6_SG_NS0_5tupleIJNSA_16discard_iteratorINSA_11use_defaultEEESK_EEENSH_IJSG_SG_EEES6_PlJ7is_evenIjEEEE10hipError_tPvRmT3_T4_T5_T6_T7_T9_mT8_P12ihipStream_tbDpT10_ENKUlT_T0_E_clISt17integral_constantIbLb1EES18_IbLb0EEEEDaS14_S15_EUlS14_E_NS1_11comp_targetILNS1_3genE2ELNS1_11target_archE906ELNS1_3gpuE6ELNS1_3repE0EEENS1_30default_config_static_selectorELNS0_4arch9wavefront6targetE1EEEvT1_,comdat
	.protected	_ZN7rocprim17ROCPRIM_400000_NS6detail17trampoline_kernelINS0_14default_configENS1_25partition_config_selectorILNS1_17partition_subalgoE0EjNS0_10empty_typeEbEEZZNS1_14partition_implILS5_0ELb0ES3_jN6thrust23THRUST_200600_302600_NS6detail15normal_iteratorINSA_10device_ptrIjEEEEPS6_SG_NS0_5tupleIJNSA_16discard_iteratorINSA_11use_defaultEEESK_EEENSH_IJSG_SG_EEES6_PlJ7is_evenIjEEEE10hipError_tPvRmT3_T4_T5_T6_T7_T9_mT8_P12ihipStream_tbDpT10_ENKUlT_T0_E_clISt17integral_constantIbLb1EES18_IbLb0EEEEDaS14_S15_EUlS14_E_NS1_11comp_targetILNS1_3genE2ELNS1_11target_archE906ELNS1_3gpuE6ELNS1_3repE0EEENS1_30default_config_static_selectorELNS0_4arch9wavefront6targetE1EEEvT1_ ; -- Begin function _ZN7rocprim17ROCPRIM_400000_NS6detail17trampoline_kernelINS0_14default_configENS1_25partition_config_selectorILNS1_17partition_subalgoE0EjNS0_10empty_typeEbEEZZNS1_14partition_implILS5_0ELb0ES3_jN6thrust23THRUST_200600_302600_NS6detail15normal_iteratorINSA_10device_ptrIjEEEEPS6_SG_NS0_5tupleIJNSA_16discard_iteratorINSA_11use_defaultEEESK_EEENSH_IJSG_SG_EEES6_PlJ7is_evenIjEEEE10hipError_tPvRmT3_T4_T5_T6_T7_T9_mT8_P12ihipStream_tbDpT10_ENKUlT_T0_E_clISt17integral_constantIbLb1EES18_IbLb0EEEEDaS14_S15_EUlS14_E_NS1_11comp_targetILNS1_3genE2ELNS1_11target_archE906ELNS1_3gpuE6ELNS1_3repE0EEENS1_30default_config_static_selectorELNS0_4arch9wavefront6targetE1EEEvT1_
	.globl	_ZN7rocprim17ROCPRIM_400000_NS6detail17trampoline_kernelINS0_14default_configENS1_25partition_config_selectorILNS1_17partition_subalgoE0EjNS0_10empty_typeEbEEZZNS1_14partition_implILS5_0ELb0ES3_jN6thrust23THRUST_200600_302600_NS6detail15normal_iteratorINSA_10device_ptrIjEEEEPS6_SG_NS0_5tupleIJNSA_16discard_iteratorINSA_11use_defaultEEESK_EEENSH_IJSG_SG_EEES6_PlJ7is_evenIjEEEE10hipError_tPvRmT3_T4_T5_T6_T7_T9_mT8_P12ihipStream_tbDpT10_ENKUlT_T0_E_clISt17integral_constantIbLb1EES18_IbLb0EEEEDaS14_S15_EUlS14_E_NS1_11comp_targetILNS1_3genE2ELNS1_11target_archE906ELNS1_3gpuE6ELNS1_3repE0EEENS1_30default_config_static_selectorELNS0_4arch9wavefront6targetE1EEEvT1_
	.p2align	8
	.type	_ZN7rocprim17ROCPRIM_400000_NS6detail17trampoline_kernelINS0_14default_configENS1_25partition_config_selectorILNS1_17partition_subalgoE0EjNS0_10empty_typeEbEEZZNS1_14partition_implILS5_0ELb0ES3_jN6thrust23THRUST_200600_302600_NS6detail15normal_iteratorINSA_10device_ptrIjEEEEPS6_SG_NS0_5tupleIJNSA_16discard_iteratorINSA_11use_defaultEEESK_EEENSH_IJSG_SG_EEES6_PlJ7is_evenIjEEEE10hipError_tPvRmT3_T4_T5_T6_T7_T9_mT8_P12ihipStream_tbDpT10_ENKUlT_T0_E_clISt17integral_constantIbLb1EES18_IbLb0EEEEDaS14_S15_EUlS14_E_NS1_11comp_targetILNS1_3genE2ELNS1_11target_archE906ELNS1_3gpuE6ELNS1_3repE0EEENS1_30default_config_static_selectorELNS0_4arch9wavefront6targetE1EEEvT1_,@function
_ZN7rocprim17ROCPRIM_400000_NS6detail17trampoline_kernelINS0_14default_configENS1_25partition_config_selectorILNS1_17partition_subalgoE0EjNS0_10empty_typeEbEEZZNS1_14partition_implILS5_0ELb0ES3_jN6thrust23THRUST_200600_302600_NS6detail15normal_iteratorINSA_10device_ptrIjEEEEPS6_SG_NS0_5tupleIJNSA_16discard_iteratorINSA_11use_defaultEEESK_EEENSH_IJSG_SG_EEES6_PlJ7is_evenIjEEEE10hipError_tPvRmT3_T4_T5_T6_T7_T9_mT8_P12ihipStream_tbDpT10_ENKUlT_T0_E_clISt17integral_constantIbLb1EES18_IbLb0EEEEDaS14_S15_EUlS14_E_NS1_11comp_targetILNS1_3genE2ELNS1_11target_archE906ELNS1_3gpuE6ELNS1_3repE0EEENS1_30default_config_static_selectorELNS0_4arch9wavefront6targetE1EEEvT1_: ; @_ZN7rocprim17ROCPRIM_400000_NS6detail17trampoline_kernelINS0_14default_configENS1_25partition_config_selectorILNS1_17partition_subalgoE0EjNS0_10empty_typeEbEEZZNS1_14partition_implILS5_0ELb0ES3_jN6thrust23THRUST_200600_302600_NS6detail15normal_iteratorINSA_10device_ptrIjEEEEPS6_SG_NS0_5tupleIJNSA_16discard_iteratorINSA_11use_defaultEEESK_EEENSH_IJSG_SG_EEES6_PlJ7is_evenIjEEEE10hipError_tPvRmT3_T4_T5_T6_T7_T9_mT8_P12ihipStream_tbDpT10_ENKUlT_T0_E_clISt17integral_constantIbLb1EES18_IbLb0EEEEDaS14_S15_EUlS14_E_NS1_11comp_targetILNS1_3genE2ELNS1_11target_archE906ELNS1_3gpuE6ELNS1_3repE0EEENS1_30default_config_static_selectorELNS0_4arch9wavefront6targetE1EEEvT1_
; %bb.0:
	.section	.rodata,"a",@progbits
	.p2align	6, 0x0
	.amdhsa_kernel _ZN7rocprim17ROCPRIM_400000_NS6detail17trampoline_kernelINS0_14default_configENS1_25partition_config_selectorILNS1_17partition_subalgoE0EjNS0_10empty_typeEbEEZZNS1_14partition_implILS5_0ELb0ES3_jN6thrust23THRUST_200600_302600_NS6detail15normal_iteratorINSA_10device_ptrIjEEEEPS6_SG_NS0_5tupleIJNSA_16discard_iteratorINSA_11use_defaultEEESK_EEENSH_IJSG_SG_EEES6_PlJ7is_evenIjEEEE10hipError_tPvRmT3_T4_T5_T6_T7_T9_mT8_P12ihipStream_tbDpT10_ENKUlT_T0_E_clISt17integral_constantIbLb1EES18_IbLb0EEEEDaS14_S15_EUlS14_E_NS1_11comp_targetILNS1_3genE2ELNS1_11target_archE906ELNS1_3gpuE6ELNS1_3repE0EEENS1_30default_config_static_selectorELNS0_4arch9wavefront6targetE1EEEvT1_
		.amdhsa_group_segment_fixed_size 0
		.amdhsa_private_segment_fixed_size 0
		.amdhsa_kernarg_size 136
		.amdhsa_user_sgpr_count 6
		.amdhsa_user_sgpr_private_segment_buffer 1
		.amdhsa_user_sgpr_dispatch_ptr 0
		.amdhsa_user_sgpr_queue_ptr 0
		.amdhsa_user_sgpr_kernarg_segment_ptr 1
		.amdhsa_user_sgpr_dispatch_id 0
		.amdhsa_user_sgpr_flat_scratch_init 0
		.amdhsa_user_sgpr_kernarg_preload_length 0
		.amdhsa_user_sgpr_kernarg_preload_offset 0
		.amdhsa_user_sgpr_private_segment_size 0
		.amdhsa_uses_dynamic_stack 0
		.amdhsa_system_sgpr_private_segment_wavefront_offset 0
		.amdhsa_system_sgpr_workgroup_id_x 1
		.amdhsa_system_sgpr_workgroup_id_y 0
		.amdhsa_system_sgpr_workgroup_id_z 0
		.amdhsa_system_sgpr_workgroup_info 0
		.amdhsa_system_vgpr_workitem_id 0
		.amdhsa_next_free_vgpr 1
		.amdhsa_next_free_sgpr 0
		.amdhsa_accum_offset 4
		.amdhsa_reserve_vcc 0
		.amdhsa_reserve_flat_scratch 0
		.amdhsa_float_round_mode_32 0
		.amdhsa_float_round_mode_16_64 0
		.amdhsa_float_denorm_mode_32 3
		.amdhsa_float_denorm_mode_16_64 3
		.amdhsa_dx10_clamp 1
		.amdhsa_ieee_mode 1
		.amdhsa_fp16_overflow 0
		.amdhsa_tg_split 0
		.amdhsa_exception_fp_ieee_invalid_op 0
		.amdhsa_exception_fp_denorm_src 0
		.amdhsa_exception_fp_ieee_div_zero 0
		.amdhsa_exception_fp_ieee_overflow 0
		.amdhsa_exception_fp_ieee_underflow 0
		.amdhsa_exception_fp_ieee_inexact 0
		.amdhsa_exception_int_div_zero 0
	.end_amdhsa_kernel
	.section	.text._ZN7rocprim17ROCPRIM_400000_NS6detail17trampoline_kernelINS0_14default_configENS1_25partition_config_selectorILNS1_17partition_subalgoE0EjNS0_10empty_typeEbEEZZNS1_14partition_implILS5_0ELb0ES3_jN6thrust23THRUST_200600_302600_NS6detail15normal_iteratorINSA_10device_ptrIjEEEEPS6_SG_NS0_5tupleIJNSA_16discard_iteratorINSA_11use_defaultEEESK_EEENSH_IJSG_SG_EEES6_PlJ7is_evenIjEEEE10hipError_tPvRmT3_T4_T5_T6_T7_T9_mT8_P12ihipStream_tbDpT10_ENKUlT_T0_E_clISt17integral_constantIbLb1EES18_IbLb0EEEEDaS14_S15_EUlS14_E_NS1_11comp_targetILNS1_3genE2ELNS1_11target_archE906ELNS1_3gpuE6ELNS1_3repE0EEENS1_30default_config_static_selectorELNS0_4arch9wavefront6targetE1EEEvT1_,"axG",@progbits,_ZN7rocprim17ROCPRIM_400000_NS6detail17trampoline_kernelINS0_14default_configENS1_25partition_config_selectorILNS1_17partition_subalgoE0EjNS0_10empty_typeEbEEZZNS1_14partition_implILS5_0ELb0ES3_jN6thrust23THRUST_200600_302600_NS6detail15normal_iteratorINSA_10device_ptrIjEEEEPS6_SG_NS0_5tupleIJNSA_16discard_iteratorINSA_11use_defaultEEESK_EEENSH_IJSG_SG_EEES6_PlJ7is_evenIjEEEE10hipError_tPvRmT3_T4_T5_T6_T7_T9_mT8_P12ihipStream_tbDpT10_ENKUlT_T0_E_clISt17integral_constantIbLb1EES18_IbLb0EEEEDaS14_S15_EUlS14_E_NS1_11comp_targetILNS1_3genE2ELNS1_11target_archE906ELNS1_3gpuE6ELNS1_3repE0EEENS1_30default_config_static_selectorELNS0_4arch9wavefront6targetE1EEEvT1_,comdat
.Lfunc_end2415:
	.size	_ZN7rocprim17ROCPRIM_400000_NS6detail17trampoline_kernelINS0_14default_configENS1_25partition_config_selectorILNS1_17partition_subalgoE0EjNS0_10empty_typeEbEEZZNS1_14partition_implILS5_0ELb0ES3_jN6thrust23THRUST_200600_302600_NS6detail15normal_iteratorINSA_10device_ptrIjEEEEPS6_SG_NS0_5tupleIJNSA_16discard_iteratorINSA_11use_defaultEEESK_EEENSH_IJSG_SG_EEES6_PlJ7is_evenIjEEEE10hipError_tPvRmT3_T4_T5_T6_T7_T9_mT8_P12ihipStream_tbDpT10_ENKUlT_T0_E_clISt17integral_constantIbLb1EES18_IbLb0EEEEDaS14_S15_EUlS14_E_NS1_11comp_targetILNS1_3genE2ELNS1_11target_archE906ELNS1_3gpuE6ELNS1_3repE0EEENS1_30default_config_static_selectorELNS0_4arch9wavefront6targetE1EEEvT1_, .Lfunc_end2415-_ZN7rocprim17ROCPRIM_400000_NS6detail17trampoline_kernelINS0_14default_configENS1_25partition_config_selectorILNS1_17partition_subalgoE0EjNS0_10empty_typeEbEEZZNS1_14partition_implILS5_0ELb0ES3_jN6thrust23THRUST_200600_302600_NS6detail15normal_iteratorINSA_10device_ptrIjEEEEPS6_SG_NS0_5tupleIJNSA_16discard_iteratorINSA_11use_defaultEEESK_EEENSH_IJSG_SG_EEES6_PlJ7is_evenIjEEEE10hipError_tPvRmT3_T4_T5_T6_T7_T9_mT8_P12ihipStream_tbDpT10_ENKUlT_T0_E_clISt17integral_constantIbLb1EES18_IbLb0EEEEDaS14_S15_EUlS14_E_NS1_11comp_targetILNS1_3genE2ELNS1_11target_archE906ELNS1_3gpuE6ELNS1_3repE0EEENS1_30default_config_static_selectorELNS0_4arch9wavefront6targetE1EEEvT1_
                                        ; -- End function
	.section	.AMDGPU.csdata,"",@progbits
; Kernel info:
; codeLenInByte = 0
; NumSgprs: 4
; NumVgprs: 0
; NumAgprs: 0
; TotalNumVgprs: 0
; ScratchSize: 0
; MemoryBound: 0
; FloatMode: 240
; IeeeMode: 1
; LDSByteSize: 0 bytes/workgroup (compile time only)
; SGPRBlocks: 0
; VGPRBlocks: 0
; NumSGPRsForWavesPerEU: 4
; NumVGPRsForWavesPerEU: 1
; AccumOffset: 4
; Occupancy: 8
; WaveLimiterHint : 0
; COMPUTE_PGM_RSRC2:SCRATCH_EN: 0
; COMPUTE_PGM_RSRC2:USER_SGPR: 6
; COMPUTE_PGM_RSRC2:TRAP_HANDLER: 0
; COMPUTE_PGM_RSRC2:TGID_X_EN: 1
; COMPUTE_PGM_RSRC2:TGID_Y_EN: 0
; COMPUTE_PGM_RSRC2:TGID_Z_EN: 0
; COMPUTE_PGM_RSRC2:TIDIG_COMP_CNT: 0
; COMPUTE_PGM_RSRC3_GFX90A:ACCUM_OFFSET: 0
; COMPUTE_PGM_RSRC3_GFX90A:TG_SPLIT: 0
	.section	.text._ZN7rocprim17ROCPRIM_400000_NS6detail17trampoline_kernelINS0_14default_configENS1_25partition_config_selectorILNS1_17partition_subalgoE0EjNS0_10empty_typeEbEEZZNS1_14partition_implILS5_0ELb0ES3_jN6thrust23THRUST_200600_302600_NS6detail15normal_iteratorINSA_10device_ptrIjEEEEPS6_SG_NS0_5tupleIJNSA_16discard_iteratorINSA_11use_defaultEEESK_EEENSH_IJSG_SG_EEES6_PlJ7is_evenIjEEEE10hipError_tPvRmT3_T4_T5_T6_T7_T9_mT8_P12ihipStream_tbDpT10_ENKUlT_T0_E_clISt17integral_constantIbLb1EES18_IbLb0EEEEDaS14_S15_EUlS14_E_NS1_11comp_targetILNS1_3genE10ELNS1_11target_archE1200ELNS1_3gpuE4ELNS1_3repE0EEENS1_30default_config_static_selectorELNS0_4arch9wavefront6targetE1EEEvT1_,"axG",@progbits,_ZN7rocprim17ROCPRIM_400000_NS6detail17trampoline_kernelINS0_14default_configENS1_25partition_config_selectorILNS1_17partition_subalgoE0EjNS0_10empty_typeEbEEZZNS1_14partition_implILS5_0ELb0ES3_jN6thrust23THRUST_200600_302600_NS6detail15normal_iteratorINSA_10device_ptrIjEEEEPS6_SG_NS0_5tupleIJNSA_16discard_iteratorINSA_11use_defaultEEESK_EEENSH_IJSG_SG_EEES6_PlJ7is_evenIjEEEE10hipError_tPvRmT3_T4_T5_T6_T7_T9_mT8_P12ihipStream_tbDpT10_ENKUlT_T0_E_clISt17integral_constantIbLb1EES18_IbLb0EEEEDaS14_S15_EUlS14_E_NS1_11comp_targetILNS1_3genE10ELNS1_11target_archE1200ELNS1_3gpuE4ELNS1_3repE0EEENS1_30default_config_static_selectorELNS0_4arch9wavefront6targetE1EEEvT1_,comdat
	.protected	_ZN7rocprim17ROCPRIM_400000_NS6detail17trampoline_kernelINS0_14default_configENS1_25partition_config_selectorILNS1_17partition_subalgoE0EjNS0_10empty_typeEbEEZZNS1_14partition_implILS5_0ELb0ES3_jN6thrust23THRUST_200600_302600_NS6detail15normal_iteratorINSA_10device_ptrIjEEEEPS6_SG_NS0_5tupleIJNSA_16discard_iteratorINSA_11use_defaultEEESK_EEENSH_IJSG_SG_EEES6_PlJ7is_evenIjEEEE10hipError_tPvRmT3_T4_T5_T6_T7_T9_mT8_P12ihipStream_tbDpT10_ENKUlT_T0_E_clISt17integral_constantIbLb1EES18_IbLb0EEEEDaS14_S15_EUlS14_E_NS1_11comp_targetILNS1_3genE10ELNS1_11target_archE1200ELNS1_3gpuE4ELNS1_3repE0EEENS1_30default_config_static_selectorELNS0_4arch9wavefront6targetE1EEEvT1_ ; -- Begin function _ZN7rocprim17ROCPRIM_400000_NS6detail17trampoline_kernelINS0_14default_configENS1_25partition_config_selectorILNS1_17partition_subalgoE0EjNS0_10empty_typeEbEEZZNS1_14partition_implILS5_0ELb0ES3_jN6thrust23THRUST_200600_302600_NS6detail15normal_iteratorINSA_10device_ptrIjEEEEPS6_SG_NS0_5tupleIJNSA_16discard_iteratorINSA_11use_defaultEEESK_EEENSH_IJSG_SG_EEES6_PlJ7is_evenIjEEEE10hipError_tPvRmT3_T4_T5_T6_T7_T9_mT8_P12ihipStream_tbDpT10_ENKUlT_T0_E_clISt17integral_constantIbLb1EES18_IbLb0EEEEDaS14_S15_EUlS14_E_NS1_11comp_targetILNS1_3genE10ELNS1_11target_archE1200ELNS1_3gpuE4ELNS1_3repE0EEENS1_30default_config_static_selectorELNS0_4arch9wavefront6targetE1EEEvT1_
	.globl	_ZN7rocprim17ROCPRIM_400000_NS6detail17trampoline_kernelINS0_14default_configENS1_25partition_config_selectorILNS1_17partition_subalgoE0EjNS0_10empty_typeEbEEZZNS1_14partition_implILS5_0ELb0ES3_jN6thrust23THRUST_200600_302600_NS6detail15normal_iteratorINSA_10device_ptrIjEEEEPS6_SG_NS0_5tupleIJNSA_16discard_iteratorINSA_11use_defaultEEESK_EEENSH_IJSG_SG_EEES6_PlJ7is_evenIjEEEE10hipError_tPvRmT3_T4_T5_T6_T7_T9_mT8_P12ihipStream_tbDpT10_ENKUlT_T0_E_clISt17integral_constantIbLb1EES18_IbLb0EEEEDaS14_S15_EUlS14_E_NS1_11comp_targetILNS1_3genE10ELNS1_11target_archE1200ELNS1_3gpuE4ELNS1_3repE0EEENS1_30default_config_static_selectorELNS0_4arch9wavefront6targetE1EEEvT1_
	.p2align	8
	.type	_ZN7rocprim17ROCPRIM_400000_NS6detail17trampoline_kernelINS0_14default_configENS1_25partition_config_selectorILNS1_17partition_subalgoE0EjNS0_10empty_typeEbEEZZNS1_14partition_implILS5_0ELb0ES3_jN6thrust23THRUST_200600_302600_NS6detail15normal_iteratorINSA_10device_ptrIjEEEEPS6_SG_NS0_5tupleIJNSA_16discard_iteratorINSA_11use_defaultEEESK_EEENSH_IJSG_SG_EEES6_PlJ7is_evenIjEEEE10hipError_tPvRmT3_T4_T5_T6_T7_T9_mT8_P12ihipStream_tbDpT10_ENKUlT_T0_E_clISt17integral_constantIbLb1EES18_IbLb0EEEEDaS14_S15_EUlS14_E_NS1_11comp_targetILNS1_3genE10ELNS1_11target_archE1200ELNS1_3gpuE4ELNS1_3repE0EEENS1_30default_config_static_selectorELNS0_4arch9wavefront6targetE1EEEvT1_,@function
_ZN7rocprim17ROCPRIM_400000_NS6detail17trampoline_kernelINS0_14default_configENS1_25partition_config_selectorILNS1_17partition_subalgoE0EjNS0_10empty_typeEbEEZZNS1_14partition_implILS5_0ELb0ES3_jN6thrust23THRUST_200600_302600_NS6detail15normal_iteratorINSA_10device_ptrIjEEEEPS6_SG_NS0_5tupleIJNSA_16discard_iteratorINSA_11use_defaultEEESK_EEENSH_IJSG_SG_EEES6_PlJ7is_evenIjEEEE10hipError_tPvRmT3_T4_T5_T6_T7_T9_mT8_P12ihipStream_tbDpT10_ENKUlT_T0_E_clISt17integral_constantIbLb1EES18_IbLb0EEEEDaS14_S15_EUlS14_E_NS1_11comp_targetILNS1_3genE10ELNS1_11target_archE1200ELNS1_3gpuE4ELNS1_3repE0EEENS1_30default_config_static_selectorELNS0_4arch9wavefront6targetE1EEEvT1_: ; @_ZN7rocprim17ROCPRIM_400000_NS6detail17trampoline_kernelINS0_14default_configENS1_25partition_config_selectorILNS1_17partition_subalgoE0EjNS0_10empty_typeEbEEZZNS1_14partition_implILS5_0ELb0ES3_jN6thrust23THRUST_200600_302600_NS6detail15normal_iteratorINSA_10device_ptrIjEEEEPS6_SG_NS0_5tupleIJNSA_16discard_iteratorINSA_11use_defaultEEESK_EEENSH_IJSG_SG_EEES6_PlJ7is_evenIjEEEE10hipError_tPvRmT3_T4_T5_T6_T7_T9_mT8_P12ihipStream_tbDpT10_ENKUlT_T0_E_clISt17integral_constantIbLb1EES18_IbLb0EEEEDaS14_S15_EUlS14_E_NS1_11comp_targetILNS1_3genE10ELNS1_11target_archE1200ELNS1_3gpuE4ELNS1_3repE0EEENS1_30default_config_static_selectorELNS0_4arch9wavefront6targetE1EEEvT1_
; %bb.0:
	.section	.rodata,"a",@progbits
	.p2align	6, 0x0
	.amdhsa_kernel _ZN7rocprim17ROCPRIM_400000_NS6detail17trampoline_kernelINS0_14default_configENS1_25partition_config_selectorILNS1_17partition_subalgoE0EjNS0_10empty_typeEbEEZZNS1_14partition_implILS5_0ELb0ES3_jN6thrust23THRUST_200600_302600_NS6detail15normal_iteratorINSA_10device_ptrIjEEEEPS6_SG_NS0_5tupleIJNSA_16discard_iteratorINSA_11use_defaultEEESK_EEENSH_IJSG_SG_EEES6_PlJ7is_evenIjEEEE10hipError_tPvRmT3_T4_T5_T6_T7_T9_mT8_P12ihipStream_tbDpT10_ENKUlT_T0_E_clISt17integral_constantIbLb1EES18_IbLb0EEEEDaS14_S15_EUlS14_E_NS1_11comp_targetILNS1_3genE10ELNS1_11target_archE1200ELNS1_3gpuE4ELNS1_3repE0EEENS1_30default_config_static_selectorELNS0_4arch9wavefront6targetE1EEEvT1_
		.amdhsa_group_segment_fixed_size 0
		.amdhsa_private_segment_fixed_size 0
		.amdhsa_kernarg_size 136
		.amdhsa_user_sgpr_count 6
		.amdhsa_user_sgpr_private_segment_buffer 1
		.amdhsa_user_sgpr_dispatch_ptr 0
		.amdhsa_user_sgpr_queue_ptr 0
		.amdhsa_user_sgpr_kernarg_segment_ptr 1
		.amdhsa_user_sgpr_dispatch_id 0
		.amdhsa_user_sgpr_flat_scratch_init 0
		.amdhsa_user_sgpr_kernarg_preload_length 0
		.amdhsa_user_sgpr_kernarg_preload_offset 0
		.amdhsa_user_sgpr_private_segment_size 0
		.amdhsa_uses_dynamic_stack 0
		.amdhsa_system_sgpr_private_segment_wavefront_offset 0
		.amdhsa_system_sgpr_workgroup_id_x 1
		.amdhsa_system_sgpr_workgroup_id_y 0
		.amdhsa_system_sgpr_workgroup_id_z 0
		.amdhsa_system_sgpr_workgroup_info 0
		.amdhsa_system_vgpr_workitem_id 0
		.amdhsa_next_free_vgpr 1
		.amdhsa_next_free_sgpr 0
		.amdhsa_accum_offset 4
		.amdhsa_reserve_vcc 0
		.amdhsa_reserve_flat_scratch 0
		.amdhsa_float_round_mode_32 0
		.amdhsa_float_round_mode_16_64 0
		.amdhsa_float_denorm_mode_32 3
		.amdhsa_float_denorm_mode_16_64 3
		.amdhsa_dx10_clamp 1
		.amdhsa_ieee_mode 1
		.amdhsa_fp16_overflow 0
		.amdhsa_tg_split 0
		.amdhsa_exception_fp_ieee_invalid_op 0
		.amdhsa_exception_fp_denorm_src 0
		.amdhsa_exception_fp_ieee_div_zero 0
		.amdhsa_exception_fp_ieee_overflow 0
		.amdhsa_exception_fp_ieee_underflow 0
		.amdhsa_exception_fp_ieee_inexact 0
		.amdhsa_exception_int_div_zero 0
	.end_amdhsa_kernel
	.section	.text._ZN7rocprim17ROCPRIM_400000_NS6detail17trampoline_kernelINS0_14default_configENS1_25partition_config_selectorILNS1_17partition_subalgoE0EjNS0_10empty_typeEbEEZZNS1_14partition_implILS5_0ELb0ES3_jN6thrust23THRUST_200600_302600_NS6detail15normal_iteratorINSA_10device_ptrIjEEEEPS6_SG_NS0_5tupleIJNSA_16discard_iteratorINSA_11use_defaultEEESK_EEENSH_IJSG_SG_EEES6_PlJ7is_evenIjEEEE10hipError_tPvRmT3_T4_T5_T6_T7_T9_mT8_P12ihipStream_tbDpT10_ENKUlT_T0_E_clISt17integral_constantIbLb1EES18_IbLb0EEEEDaS14_S15_EUlS14_E_NS1_11comp_targetILNS1_3genE10ELNS1_11target_archE1200ELNS1_3gpuE4ELNS1_3repE0EEENS1_30default_config_static_selectorELNS0_4arch9wavefront6targetE1EEEvT1_,"axG",@progbits,_ZN7rocprim17ROCPRIM_400000_NS6detail17trampoline_kernelINS0_14default_configENS1_25partition_config_selectorILNS1_17partition_subalgoE0EjNS0_10empty_typeEbEEZZNS1_14partition_implILS5_0ELb0ES3_jN6thrust23THRUST_200600_302600_NS6detail15normal_iteratorINSA_10device_ptrIjEEEEPS6_SG_NS0_5tupleIJNSA_16discard_iteratorINSA_11use_defaultEEESK_EEENSH_IJSG_SG_EEES6_PlJ7is_evenIjEEEE10hipError_tPvRmT3_T4_T5_T6_T7_T9_mT8_P12ihipStream_tbDpT10_ENKUlT_T0_E_clISt17integral_constantIbLb1EES18_IbLb0EEEEDaS14_S15_EUlS14_E_NS1_11comp_targetILNS1_3genE10ELNS1_11target_archE1200ELNS1_3gpuE4ELNS1_3repE0EEENS1_30default_config_static_selectorELNS0_4arch9wavefront6targetE1EEEvT1_,comdat
.Lfunc_end2416:
	.size	_ZN7rocprim17ROCPRIM_400000_NS6detail17trampoline_kernelINS0_14default_configENS1_25partition_config_selectorILNS1_17partition_subalgoE0EjNS0_10empty_typeEbEEZZNS1_14partition_implILS5_0ELb0ES3_jN6thrust23THRUST_200600_302600_NS6detail15normal_iteratorINSA_10device_ptrIjEEEEPS6_SG_NS0_5tupleIJNSA_16discard_iteratorINSA_11use_defaultEEESK_EEENSH_IJSG_SG_EEES6_PlJ7is_evenIjEEEE10hipError_tPvRmT3_T4_T5_T6_T7_T9_mT8_P12ihipStream_tbDpT10_ENKUlT_T0_E_clISt17integral_constantIbLb1EES18_IbLb0EEEEDaS14_S15_EUlS14_E_NS1_11comp_targetILNS1_3genE10ELNS1_11target_archE1200ELNS1_3gpuE4ELNS1_3repE0EEENS1_30default_config_static_selectorELNS0_4arch9wavefront6targetE1EEEvT1_, .Lfunc_end2416-_ZN7rocprim17ROCPRIM_400000_NS6detail17trampoline_kernelINS0_14default_configENS1_25partition_config_selectorILNS1_17partition_subalgoE0EjNS0_10empty_typeEbEEZZNS1_14partition_implILS5_0ELb0ES3_jN6thrust23THRUST_200600_302600_NS6detail15normal_iteratorINSA_10device_ptrIjEEEEPS6_SG_NS0_5tupleIJNSA_16discard_iteratorINSA_11use_defaultEEESK_EEENSH_IJSG_SG_EEES6_PlJ7is_evenIjEEEE10hipError_tPvRmT3_T4_T5_T6_T7_T9_mT8_P12ihipStream_tbDpT10_ENKUlT_T0_E_clISt17integral_constantIbLb1EES18_IbLb0EEEEDaS14_S15_EUlS14_E_NS1_11comp_targetILNS1_3genE10ELNS1_11target_archE1200ELNS1_3gpuE4ELNS1_3repE0EEENS1_30default_config_static_selectorELNS0_4arch9wavefront6targetE1EEEvT1_
                                        ; -- End function
	.section	.AMDGPU.csdata,"",@progbits
; Kernel info:
; codeLenInByte = 0
; NumSgprs: 4
; NumVgprs: 0
; NumAgprs: 0
; TotalNumVgprs: 0
; ScratchSize: 0
; MemoryBound: 0
; FloatMode: 240
; IeeeMode: 1
; LDSByteSize: 0 bytes/workgroup (compile time only)
; SGPRBlocks: 0
; VGPRBlocks: 0
; NumSGPRsForWavesPerEU: 4
; NumVGPRsForWavesPerEU: 1
; AccumOffset: 4
; Occupancy: 8
; WaveLimiterHint : 0
; COMPUTE_PGM_RSRC2:SCRATCH_EN: 0
; COMPUTE_PGM_RSRC2:USER_SGPR: 6
; COMPUTE_PGM_RSRC2:TRAP_HANDLER: 0
; COMPUTE_PGM_RSRC2:TGID_X_EN: 1
; COMPUTE_PGM_RSRC2:TGID_Y_EN: 0
; COMPUTE_PGM_RSRC2:TGID_Z_EN: 0
; COMPUTE_PGM_RSRC2:TIDIG_COMP_CNT: 0
; COMPUTE_PGM_RSRC3_GFX90A:ACCUM_OFFSET: 0
; COMPUTE_PGM_RSRC3_GFX90A:TG_SPLIT: 0
	.section	.text._ZN7rocprim17ROCPRIM_400000_NS6detail17trampoline_kernelINS0_14default_configENS1_25partition_config_selectorILNS1_17partition_subalgoE0EjNS0_10empty_typeEbEEZZNS1_14partition_implILS5_0ELb0ES3_jN6thrust23THRUST_200600_302600_NS6detail15normal_iteratorINSA_10device_ptrIjEEEEPS6_SG_NS0_5tupleIJNSA_16discard_iteratorINSA_11use_defaultEEESK_EEENSH_IJSG_SG_EEES6_PlJ7is_evenIjEEEE10hipError_tPvRmT3_T4_T5_T6_T7_T9_mT8_P12ihipStream_tbDpT10_ENKUlT_T0_E_clISt17integral_constantIbLb1EES18_IbLb0EEEEDaS14_S15_EUlS14_E_NS1_11comp_targetILNS1_3genE9ELNS1_11target_archE1100ELNS1_3gpuE3ELNS1_3repE0EEENS1_30default_config_static_selectorELNS0_4arch9wavefront6targetE1EEEvT1_,"axG",@progbits,_ZN7rocprim17ROCPRIM_400000_NS6detail17trampoline_kernelINS0_14default_configENS1_25partition_config_selectorILNS1_17partition_subalgoE0EjNS0_10empty_typeEbEEZZNS1_14partition_implILS5_0ELb0ES3_jN6thrust23THRUST_200600_302600_NS6detail15normal_iteratorINSA_10device_ptrIjEEEEPS6_SG_NS0_5tupleIJNSA_16discard_iteratorINSA_11use_defaultEEESK_EEENSH_IJSG_SG_EEES6_PlJ7is_evenIjEEEE10hipError_tPvRmT3_T4_T5_T6_T7_T9_mT8_P12ihipStream_tbDpT10_ENKUlT_T0_E_clISt17integral_constantIbLb1EES18_IbLb0EEEEDaS14_S15_EUlS14_E_NS1_11comp_targetILNS1_3genE9ELNS1_11target_archE1100ELNS1_3gpuE3ELNS1_3repE0EEENS1_30default_config_static_selectorELNS0_4arch9wavefront6targetE1EEEvT1_,comdat
	.protected	_ZN7rocprim17ROCPRIM_400000_NS6detail17trampoline_kernelINS0_14default_configENS1_25partition_config_selectorILNS1_17partition_subalgoE0EjNS0_10empty_typeEbEEZZNS1_14partition_implILS5_0ELb0ES3_jN6thrust23THRUST_200600_302600_NS6detail15normal_iteratorINSA_10device_ptrIjEEEEPS6_SG_NS0_5tupleIJNSA_16discard_iteratorINSA_11use_defaultEEESK_EEENSH_IJSG_SG_EEES6_PlJ7is_evenIjEEEE10hipError_tPvRmT3_T4_T5_T6_T7_T9_mT8_P12ihipStream_tbDpT10_ENKUlT_T0_E_clISt17integral_constantIbLb1EES18_IbLb0EEEEDaS14_S15_EUlS14_E_NS1_11comp_targetILNS1_3genE9ELNS1_11target_archE1100ELNS1_3gpuE3ELNS1_3repE0EEENS1_30default_config_static_selectorELNS0_4arch9wavefront6targetE1EEEvT1_ ; -- Begin function _ZN7rocprim17ROCPRIM_400000_NS6detail17trampoline_kernelINS0_14default_configENS1_25partition_config_selectorILNS1_17partition_subalgoE0EjNS0_10empty_typeEbEEZZNS1_14partition_implILS5_0ELb0ES3_jN6thrust23THRUST_200600_302600_NS6detail15normal_iteratorINSA_10device_ptrIjEEEEPS6_SG_NS0_5tupleIJNSA_16discard_iteratorINSA_11use_defaultEEESK_EEENSH_IJSG_SG_EEES6_PlJ7is_evenIjEEEE10hipError_tPvRmT3_T4_T5_T6_T7_T9_mT8_P12ihipStream_tbDpT10_ENKUlT_T0_E_clISt17integral_constantIbLb1EES18_IbLb0EEEEDaS14_S15_EUlS14_E_NS1_11comp_targetILNS1_3genE9ELNS1_11target_archE1100ELNS1_3gpuE3ELNS1_3repE0EEENS1_30default_config_static_selectorELNS0_4arch9wavefront6targetE1EEEvT1_
	.globl	_ZN7rocprim17ROCPRIM_400000_NS6detail17trampoline_kernelINS0_14default_configENS1_25partition_config_selectorILNS1_17partition_subalgoE0EjNS0_10empty_typeEbEEZZNS1_14partition_implILS5_0ELb0ES3_jN6thrust23THRUST_200600_302600_NS6detail15normal_iteratorINSA_10device_ptrIjEEEEPS6_SG_NS0_5tupleIJNSA_16discard_iteratorINSA_11use_defaultEEESK_EEENSH_IJSG_SG_EEES6_PlJ7is_evenIjEEEE10hipError_tPvRmT3_T4_T5_T6_T7_T9_mT8_P12ihipStream_tbDpT10_ENKUlT_T0_E_clISt17integral_constantIbLb1EES18_IbLb0EEEEDaS14_S15_EUlS14_E_NS1_11comp_targetILNS1_3genE9ELNS1_11target_archE1100ELNS1_3gpuE3ELNS1_3repE0EEENS1_30default_config_static_selectorELNS0_4arch9wavefront6targetE1EEEvT1_
	.p2align	8
	.type	_ZN7rocprim17ROCPRIM_400000_NS6detail17trampoline_kernelINS0_14default_configENS1_25partition_config_selectorILNS1_17partition_subalgoE0EjNS0_10empty_typeEbEEZZNS1_14partition_implILS5_0ELb0ES3_jN6thrust23THRUST_200600_302600_NS6detail15normal_iteratorINSA_10device_ptrIjEEEEPS6_SG_NS0_5tupleIJNSA_16discard_iteratorINSA_11use_defaultEEESK_EEENSH_IJSG_SG_EEES6_PlJ7is_evenIjEEEE10hipError_tPvRmT3_T4_T5_T6_T7_T9_mT8_P12ihipStream_tbDpT10_ENKUlT_T0_E_clISt17integral_constantIbLb1EES18_IbLb0EEEEDaS14_S15_EUlS14_E_NS1_11comp_targetILNS1_3genE9ELNS1_11target_archE1100ELNS1_3gpuE3ELNS1_3repE0EEENS1_30default_config_static_selectorELNS0_4arch9wavefront6targetE1EEEvT1_,@function
_ZN7rocprim17ROCPRIM_400000_NS6detail17trampoline_kernelINS0_14default_configENS1_25partition_config_selectorILNS1_17partition_subalgoE0EjNS0_10empty_typeEbEEZZNS1_14partition_implILS5_0ELb0ES3_jN6thrust23THRUST_200600_302600_NS6detail15normal_iteratorINSA_10device_ptrIjEEEEPS6_SG_NS0_5tupleIJNSA_16discard_iteratorINSA_11use_defaultEEESK_EEENSH_IJSG_SG_EEES6_PlJ7is_evenIjEEEE10hipError_tPvRmT3_T4_T5_T6_T7_T9_mT8_P12ihipStream_tbDpT10_ENKUlT_T0_E_clISt17integral_constantIbLb1EES18_IbLb0EEEEDaS14_S15_EUlS14_E_NS1_11comp_targetILNS1_3genE9ELNS1_11target_archE1100ELNS1_3gpuE3ELNS1_3repE0EEENS1_30default_config_static_selectorELNS0_4arch9wavefront6targetE1EEEvT1_: ; @_ZN7rocprim17ROCPRIM_400000_NS6detail17trampoline_kernelINS0_14default_configENS1_25partition_config_selectorILNS1_17partition_subalgoE0EjNS0_10empty_typeEbEEZZNS1_14partition_implILS5_0ELb0ES3_jN6thrust23THRUST_200600_302600_NS6detail15normal_iteratorINSA_10device_ptrIjEEEEPS6_SG_NS0_5tupleIJNSA_16discard_iteratorINSA_11use_defaultEEESK_EEENSH_IJSG_SG_EEES6_PlJ7is_evenIjEEEE10hipError_tPvRmT3_T4_T5_T6_T7_T9_mT8_P12ihipStream_tbDpT10_ENKUlT_T0_E_clISt17integral_constantIbLb1EES18_IbLb0EEEEDaS14_S15_EUlS14_E_NS1_11comp_targetILNS1_3genE9ELNS1_11target_archE1100ELNS1_3gpuE3ELNS1_3repE0EEENS1_30default_config_static_selectorELNS0_4arch9wavefront6targetE1EEEvT1_
; %bb.0:
	.section	.rodata,"a",@progbits
	.p2align	6, 0x0
	.amdhsa_kernel _ZN7rocprim17ROCPRIM_400000_NS6detail17trampoline_kernelINS0_14default_configENS1_25partition_config_selectorILNS1_17partition_subalgoE0EjNS0_10empty_typeEbEEZZNS1_14partition_implILS5_0ELb0ES3_jN6thrust23THRUST_200600_302600_NS6detail15normal_iteratorINSA_10device_ptrIjEEEEPS6_SG_NS0_5tupleIJNSA_16discard_iteratorINSA_11use_defaultEEESK_EEENSH_IJSG_SG_EEES6_PlJ7is_evenIjEEEE10hipError_tPvRmT3_T4_T5_T6_T7_T9_mT8_P12ihipStream_tbDpT10_ENKUlT_T0_E_clISt17integral_constantIbLb1EES18_IbLb0EEEEDaS14_S15_EUlS14_E_NS1_11comp_targetILNS1_3genE9ELNS1_11target_archE1100ELNS1_3gpuE3ELNS1_3repE0EEENS1_30default_config_static_selectorELNS0_4arch9wavefront6targetE1EEEvT1_
		.amdhsa_group_segment_fixed_size 0
		.amdhsa_private_segment_fixed_size 0
		.amdhsa_kernarg_size 136
		.amdhsa_user_sgpr_count 6
		.amdhsa_user_sgpr_private_segment_buffer 1
		.amdhsa_user_sgpr_dispatch_ptr 0
		.amdhsa_user_sgpr_queue_ptr 0
		.amdhsa_user_sgpr_kernarg_segment_ptr 1
		.amdhsa_user_sgpr_dispatch_id 0
		.amdhsa_user_sgpr_flat_scratch_init 0
		.amdhsa_user_sgpr_kernarg_preload_length 0
		.amdhsa_user_sgpr_kernarg_preload_offset 0
		.amdhsa_user_sgpr_private_segment_size 0
		.amdhsa_uses_dynamic_stack 0
		.amdhsa_system_sgpr_private_segment_wavefront_offset 0
		.amdhsa_system_sgpr_workgroup_id_x 1
		.amdhsa_system_sgpr_workgroup_id_y 0
		.amdhsa_system_sgpr_workgroup_id_z 0
		.amdhsa_system_sgpr_workgroup_info 0
		.amdhsa_system_vgpr_workitem_id 0
		.amdhsa_next_free_vgpr 1
		.amdhsa_next_free_sgpr 0
		.amdhsa_accum_offset 4
		.amdhsa_reserve_vcc 0
		.amdhsa_reserve_flat_scratch 0
		.amdhsa_float_round_mode_32 0
		.amdhsa_float_round_mode_16_64 0
		.amdhsa_float_denorm_mode_32 3
		.amdhsa_float_denorm_mode_16_64 3
		.amdhsa_dx10_clamp 1
		.amdhsa_ieee_mode 1
		.amdhsa_fp16_overflow 0
		.amdhsa_tg_split 0
		.amdhsa_exception_fp_ieee_invalid_op 0
		.amdhsa_exception_fp_denorm_src 0
		.amdhsa_exception_fp_ieee_div_zero 0
		.amdhsa_exception_fp_ieee_overflow 0
		.amdhsa_exception_fp_ieee_underflow 0
		.amdhsa_exception_fp_ieee_inexact 0
		.amdhsa_exception_int_div_zero 0
	.end_amdhsa_kernel
	.section	.text._ZN7rocprim17ROCPRIM_400000_NS6detail17trampoline_kernelINS0_14default_configENS1_25partition_config_selectorILNS1_17partition_subalgoE0EjNS0_10empty_typeEbEEZZNS1_14partition_implILS5_0ELb0ES3_jN6thrust23THRUST_200600_302600_NS6detail15normal_iteratorINSA_10device_ptrIjEEEEPS6_SG_NS0_5tupleIJNSA_16discard_iteratorINSA_11use_defaultEEESK_EEENSH_IJSG_SG_EEES6_PlJ7is_evenIjEEEE10hipError_tPvRmT3_T4_T5_T6_T7_T9_mT8_P12ihipStream_tbDpT10_ENKUlT_T0_E_clISt17integral_constantIbLb1EES18_IbLb0EEEEDaS14_S15_EUlS14_E_NS1_11comp_targetILNS1_3genE9ELNS1_11target_archE1100ELNS1_3gpuE3ELNS1_3repE0EEENS1_30default_config_static_selectorELNS0_4arch9wavefront6targetE1EEEvT1_,"axG",@progbits,_ZN7rocprim17ROCPRIM_400000_NS6detail17trampoline_kernelINS0_14default_configENS1_25partition_config_selectorILNS1_17partition_subalgoE0EjNS0_10empty_typeEbEEZZNS1_14partition_implILS5_0ELb0ES3_jN6thrust23THRUST_200600_302600_NS6detail15normal_iteratorINSA_10device_ptrIjEEEEPS6_SG_NS0_5tupleIJNSA_16discard_iteratorINSA_11use_defaultEEESK_EEENSH_IJSG_SG_EEES6_PlJ7is_evenIjEEEE10hipError_tPvRmT3_T4_T5_T6_T7_T9_mT8_P12ihipStream_tbDpT10_ENKUlT_T0_E_clISt17integral_constantIbLb1EES18_IbLb0EEEEDaS14_S15_EUlS14_E_NS1_11comp_targetILNS1_3genE9ELNS1_11target_archE1100ELNS1_3gpuE3ELNS1_3repE0EEENS1_30default_config_static_selectorELNS0_4arch9wavefront6targetE1EEEvT1_,comdat
.Lfunc_end2417:
	.size	_ZN7rocprim17ROCPRIM_400000_NS6detail17trampoline_kernelINS0_14default_configENS1_25partition_config_selectorILNS1_17partition_subalgoE0EjNS0_10empty_typeEbEEZZNS1_14partition_implILS5_0ELb0ES3_jN6thrust23THRUST_200600_302600_NS6detail15normal_iteratorINSA_10device_ptrIjEEEEPS6_SG_NS0_5tupleIJNSA_16discard_iteratorINSA_11use_defaultEEESK_EEENSH_IJSG_SG_EEES6_PlJ7is_evenIjEEEE10hipError_tPvRmT3_T4_T5_T6_T7_T9_mT8_P12ihipStream_tbDpT10_ENKUlT_T0_E_clISt17integral_constantIbLb1EES18_IbLb0EEEEDaS14_S15_EUlS14_E_NS1_11comp_targetILNS1_3genE9ELNS1_11target_archE1100ELNS1_3gpuE3ELNS1_3repE0EEENS1_30default_config_static_selectorELNS0_4arch9wavefront6targetE1EEEvT1_, .Lfunc_end2417-_ZN7rocprim17ROCPRIM_400000_NS6detail17trampoline_kernelINS0_14default_configENS1_25partition_config_selectorILNS1_17partition_subalgoE0EjNS0_10empty_typeEbEEZZNS1_14partition_implILS5_0ELb0ES3_jN6thrust23THRUST_200600_302600_NS6detail15normal_iteratorINSA_10device_ptrIjEEEEPS6_SG_NS0_5tupleIJNSA_16discard_iteratorINSA_11use_defaultEEESK_EEENSH_IJSG_SG_EEES6_PlJ7is_evenIjEEEE10hipError_tPvRmT3_T4_T5_T6_T7_T9_mT8_P12ihipStream_tbDpT10_ENKUlT_T0_E_clISt17integral_constantIbLb1EES18_IbLb0EEEEDaS14_S15_EUlS14_E_NS1_11comp_targetILNS1_3genE9ELNS1_11target_archE1100ELNS1_3gpuE3ELNS1_3repE0EEENS1_30default_config_static_selectorELNS0_4arch9wavefront6targetE1EEEvT1_
                                        ; -- End function
	.section	.AMDGPU.csdata,"",@progbits
; Kernel info:
; codeLenInByte = 0
; NumSgprs: 4
; NumVgprs: 0
; NumAgprs: 0
; TotalNumVgprs: 0
; ScratchSize: 0
; MemoryBound: 0
; FloatMode: 240
; IeeeMode: 1
; LDSByteSize: 0 bytes/workgroup (compile time only)
; SGPRBlocks: 0
; VGPRBlocks: 0
; NumSGPRsForWavesPerEU: 4
; NumVGPRsForWavesPerEU: 1
; AccumOffset: 4
; Occupancy: 8
; WaveLimiterHint : 0
; COMPUTE_PGM_RSRC2:SCRATCH_EN: 0
; COMPUTE_PGM_RSRC2:USER_SGPR: 6
; COMPUTE_PGM_RSRC2:TRAP_HANDLER: 0
; COMPUTE_PGM_RSRC2:TGID_X_EN: 1
; COMPUTE_PGM_RSRC2:TGID_Y_EN: 0
; COMPUTE_PGM_RSRC2:TGID_Z_EN: 0
; COMPUTE_PGM_RSRC2:TIDIG_COMP_CNT: 0
; COMPUTE_PGM_RSRC3_GFX90A:ACCUM_OFFSET: 0
; COMPUTE_PGM_RSRC3_GFX90A:TG_SPLIT: 0
	.section	.text._ZN7rocprim17ROCPRIM_400000_NS6detail17trampoline_kernelINS0_14default_configENS1_25partition_config_selectorILNS1_17partition_subalgoE0EjNS0_10empty_typeEbEEZZNS1_14partition_implILS5_0ELb0ES3_jN6thrust23THRUST_200600_302600_NS6detail15normal_iteratorINSA_10device_ptrIjEEEEPS6_SG_NS0_5tupleIJNSA_16discard_iteratorINSA_11use_defaultEEESK_EEENSH_IJSG_SG_EEES6_PlJ7is_evenIjEEEE10hipError_tPvRmT3_T4_T5_T6_T7_T9_mT8_P12ihipStream_tbDpT10_ENKUlT_T0_E_clISt17integral_constantIbLb1EES18_IbLb0EEEEDaS14_S15_EUlS14_E_NS1_11comp_targetILNS1_3genE8ELNS1_11target_archE1030ELNS1_3gpuE2ELNS1_3repE0EEENS1_30default_config_static_selectorELNS0_4arch9wavefront6targetE1EEEvT1_,"axG",@progbits,_ZN7rocprim17ROCPRIM_400000_NS6detail17trampoline_kernelINS0_14default_configENS1_25partition_config_selectorILNS1_17partition_subalgoE0EjNS0_10empty_typeEbEEZZNS1_14partition_implILS5_0ELb0ES3_jN6thrust23THRUST_200600_302600_NS6detail15normal_iteratorINSA_10device_ptrIjEEEEPS6_SG_NS0_5tupleIJNSA_16discard_iteratorINSA_11use_defaultEEESK_EEENSH_IJSG_SG_EEES6_PlJ7is_evenIjEEEE10hipError_tPvRmT3_T4_T5_T6_T7_T9_mT8_P12ihipStream_tbDpT10_ENKUlT_T0_E_clISt17integral_constantIbLb1EES18_IbLb0EEEEDaS14_S15_EUlS14_E_NS1_11comp_targetILNS1_3genE8ELNS1_11target_archE1030ELNS1_3gpuE2ELNS1_3repE0EEENS1_30default_config_static_selectorELNS0_4arch9wavefront6targetE1EEEvT1_,comdat
	.protected	_ZN7rocprim17ROCPRIM_400000_NS6detail17trampoline_kernelINS0_14default_configENS1_25partition_config_selectorILNS1_17partition_subalgoE0EjNS0_10empty_typeEbEEZZNS1_14partition_implILS5_0ELb0ES3_jN6thrust23THRUST_200600_302600_NS6detail15normal_iteratorINSA_10device_ptrIjEEEEPS6_SG_NS0_5tupleIJNSA_16discard_iteratorINSA_11use_defaultEEESK_EEENSH_IJSG_SG_EEES6_PlJ7is_evenIjEEEE10hipError_tPvRmT3_T4_T5_T6_T7_T9_mT8_P12ihipStream_tbDpT10_ENKUlT_T0_E_clISt17integral_constantIbLb1EES18_IbLb0EEEEDaS14_S15_EUlS14_E_NS1_11comp_targetILNS1_3genE8ELNS1_11target_archE1030ELNS1_3gpuE2ELNS1_3repE0EEENS1_30default_config_static_selectorELNS0_4arch9wavefront6targetE1EEEvT1_ ; -- Begin function _ZN7rocprim17ROCPRIM_400000_NS6detail17trampoline_kernelINS0_14default_configENS1_25partition_config_selectorILNS1_17partition_subalgoE0EjNS0_10empty_typeEbEEZZNS1_14partition_implILS5_0ELb0ES3_jN6thrust23THRUST_200600_302600_NS6detail15normal_iteratorINSA_10device_ptrIjEEEEPS6_SG_NS0_5tupleIJNSA_16discard_iteratorINSA_11use_defaultEEESK_EEENSH_IJSG_SG_EEES6_PlJ7is_evenIjEEEE10hipError_tPvRmT3_T4_T5_T6_T7_T9_mT8_P12ihipStream_tbDpT10_ENKUlT_T0_E_clISt17integral_constantIbLb1EES18_IbLb0EEEEDaS14_S15_EUlS14_E_NS1_11comp_targetILNS1_3genE8ELNS1_11target_archE1030ELNS1_3gpuE2ELNS1_3repE0EEENS1_30default_config_static_selectorELNS0_4arch9wavefront6targetE1EEEvT1_
	.globl	_ZN7rocprim17ROCPRIM_400000_NS6detail17trampoline_kernelINS0_14default_configENS1_25partition_config_selectorILNS1_17partition_subalgoE0EjNS0_10empty_typeEbEEZZNS1_14partition_implILS5_0ELb0ES3_jN6thrust23THRUST_200600_302600_NS6detail15normal_iteratorINSA_10device_ptrIjEEEEPS6_SG_NS0_5tupleIJNSA_16discard_iteratorINSA_11use_defaultEEESK_EEENSH_IJSG_SG_EEES6_PlJ7is_evenIjEEEE10hipError_tPvRmT3_T4_T5_T6_T7_T9_mT8_P12ihipStream_tbDpT10_ENKUlT_T0_E_clISt17integral_constantIbLb1EES18_IbLb0EEEEDaS14_S15_EUlS14_E_NS1_11comp_targetILNS1_3genE8ELNS1_11target_archE1030ELNS1_3gpuE2ELNS1_3repE0EEENS1_30default_config_static_selectorELNS0_4arch9wavefront6targetE1EEEvT1_
	.p2align	8
	.type	_ZN7rocprim17ROCPRIM_400000_NS6detail17trampoline_kernelINS0_14default_configENS1_25partition_config_selectorILNS1_17partition_subalgoE0EjNS0_10empty_typeEbEEZZNS1_14partition_implILS5_0ELb0ES3_jN6thrust23THRUST_200600_302600_NS6detail15normal_iteratorINSA_10device_ptrIjEEEEPS6_SG_NS0_5tupleIJNSA_16discard_iteratorINSA_11use_defaultEEESK_EEENSH_IJSG_SG_EEES6_PlJ7is_evenIjEEEE10hipError_tPvRmT3_T4_T5_T6_T7_T9_mT8_P12ihipStream_tbDpT10_ENKUlT_T0_E_clISt17integral_constantIbLb1EES18_IbLb0EEEEDaS14_S15_EUlS14_E_NS1_11comp_targetILNS1_3genE8ELNS1_11target_archE1030ELNS1_3gpuE2ELNS1_3repE0EEENS1_30default_config_static_selectorELNS0_4arch9wavefront6targetE1EEEvT1_,@function
_ZN7rocprim17ROCPRIM_400000_NS6detail17trampoline_kernelINS0_14default_configENS1_25partition_config_selectorILNS1_17partition_subalgoE0EjNS0_10empty_typeEbEEZZNS1_14partition_implILS5_0ELb0ES3_jN6thrust23THRUST_200600_302600_NS6detail15normal_iteratorINSA_10device_ptrIjEEEEPS6_SG_NS0_5tupleIJNSA_16discard_iteratorINSA_11use_defaultEEESK_EEENSH_IJSG_SG_EEES6_PlJ7is_evenIjEEEE10hipError_tPvRmT3_T4_T5_T6_T7_T9_mT8_P12ihipStream_tbDpT10_ENKUlT_T0_E_clISt17integral_constantIbLb1EES18_IbLb0EEEEDaS14_S15_EUlS14_E_NS1_11comp_targetILNS1_3genE8ELNS1_11target_archE1030ELNS1_3gpuE2ELNS1_3repE0EEENS1_30default_config_static_selectorELNS0_4arch9wavefront6targetE1EEEvT1_: ; @_ZN7rocprim17ROCPRIM_400000_NS6detail17trampoline_kernelINS0_14default_configENS1_25partition_config_selectorILNS1_17partition_subalgoE0EjNS0_10empty_typeEbEEZZNS1_14partition_implILS5_0ELb0ES3_jN6thrust23THRUST_200600_302600_NS6detail15normal_iteratorINSA_10device_ptrIjEEEEPS6_SG_NS0_5tupleIJNSA_16discard_iteratorINSA_11use_defaultEEESK_EEENSH_IJSG_SG_EEES6_PlJ7is_evenIjEEEE10hipError_tPvRmT3_T4_T5_T6_T7_T9_mT8_P12ihipStream_tbDpT10_ENKUlT_T0_E_clISt17integral_constantIbLb1EES18_IbLb0EEEEDaS14_S15_EUlS14_E_NS1_11comp_targetILNS1_3genE8ELNS1_11target_archE1030ELNS1_3gpuE2ELNS1_3repE0EEENS1_30default_config_static_selectorELNS0_4arch9wavefront6targetE1EEEvT1_
; %bb.0:
	.section	.rodata,"a",@progbits
	.p2align	6, 0x0
	.amdhsa_kernel _ZN7rocprim17ROCPRIM_400000_NS6detail17trampoline_kernelINS0_14default_configENS1_25partition_config_selectorILNS1_17partition_subalgoE0EjNS0_10empty_typeEbEEZZNS1_14partition_implILS5_0ELb0ES3_jN6thrust23THRUST_200600_302600_NS6detail15normal_iteratorINSA_10device_ptrIjEEEEPS6_SG_NS0_5tupleIJNSA_16discard_iteratorINSA_11use_defaultEEESK_EEENSH_IJSG_SG_EEES6_PlJ7is_evenIjEEEE10hipError_tPvRmT3_T4_T5_T6_T7_T9_mT8_P12ihipStream_tbDpT10_ENKUlT_T0_E_clISt17integral_constantIbLb1EES18_IbLb0EEEEDaS14_S15_EUlS14_E_NS1_11comp_targetILNS1_3genE8ELNS1_11target_archE1030ELNS1_3gpuE2ELNS1_3repE0EEENS1_30default_config_static_selectorELNS0_4arch9wavefront6targetE1EEEvT1_
		.amdhsa_group_segment_fixed_size 0
		.amdhsa_private_segment_fixed_size 0
		.amdhsa_kernarg_size 136
		.amdhsa_user_sgpr_count 6
		.amdhsa_user_sgpr_private_segment_buffer 1
		.amdhsa_user_sgpr_dispatch_ptr 0
		.amdhsa_user_sgpr_queue_ptr 0
		.amdhsa_user_sgpr_kernarg_segment_ptr 1
		.amdhsa_user_sgpr_dispatch_id 0
		.amdhsa_user_sgpr_flat_scratch_init 0
		.amdhsa_user_sgpr_kernarg_preload_length 0
		.amdhsa_user_sgpr_kernarg_preload_offset 0
		.amdhsa_user_sgpr_private_segment_size 0
		.amdhsa_uses_dynamic_stack 0
		.amdhsa_system_sgpr_private_segment_wavefront_offset 0
		.amdhsa_system_sgpr_workgroup_id_x 1
		.amdhsa_system_sgpr_workgroup_id_y 0
		.amdhsa_system_sgpr_workgroup_id_z 0
		.amdhsa_system_sgpr_workgroup_info 0
		.amdhsa_system_vgpr_workitem_id 0
		.amdhsa_next_free_vgpr 1
		.amdhsa_next_free_sgpr 0
		.amdhsa_accum_offset 4
		.amdhsa_reserve_vcc 0
		.amdhsa_reserve_flat_scratch 0
		.amdhsa_float_round_mode_32 0
		.amdhsa_float_round_mode_16_64 0
		.amdhsa_float_denorm_mode_32 3
		.amdhsa_float_denorm_mode_16_64 3
		.amdhsa_dx10_clamp 1
		.amdhsa_ieee_mode 1
		.amdhsa_fp16_overflow 0
		.amdhsa_tg_split 0
		.amdhsa_exception_fp_ieee_invalid_op 0
		.amdhsa_exception_fp_denorm_src 0
		.amdhsa_exception_fp_ieee_div_zero 0
		.amdhsa_exception_fp_ieee_overflow 0
		.amdhsa_exception_fp_ieee_underflow 0
		.amdhsa_exception_fp_ieee_inexact 0
		.amdhsa_exception_int_div_zero 0
	.end_amdhsa_kernel
	.section	.text._ZN7rocprim17ROCPRIM_400000_NS6detail17trampoline_kernelINS0_14default_configENS1_25partition_config_selectorILNS1_17partition_subalgoE0EjNS0_10empty_typeEbEEZZNS1_14partition_implILS5_0ELb0ES3_jN6thrust23THRUST_200600_302600_NS6detail15normal_iteratorINSA_10device_ptrIjEEEEPS6_SG_NS0_5tupleIJNSA_16discard_iteratorINSA_11use_defaultEEESK_EEENSH_IJSG_SG_EEES6_PlJ7is_evenIjEEEE10hipError_tPvRmT3_T4_T5_T6_T7_T9_mT8_P12ihipStream_tbDpT10_ENKUlT_T0_E_clISt17integral_constantIbLb1EES18_IbLb0EEEEDaS14_S15_EUlS14_E_NS1_11comp_targetILNS1_3genE8ELNS1_11target_archE1030ELNS1_3gpuE2ELNS1_3repE0EEENS1_30default_config_static_selectorELNS0_4arch9wavefront6targetE1EEEvT1_,"axG",@progbits,_ZN7rocprim17ROCPRIM_400000_NS6detail17trampoline_kernelINS0_14default_configENS1_25partition_config_selectorILNS1_17partition_subalgoE0EjNS0_10empty_typeEbEEZZNS1_14partition_implILS5_0ELb0ES3_jN6thrust23THRUST_200600_302600_NS6detail15normal_iteratorINSA_10device_ptrIjEEEEPS6_SG_NS0_5tupleIJNSA_16discard_iteratorINSA_11use_defaultEEESK_EEENSH_IJSG_SG_EEES6_PlJ7is_evenIjEEEE10hipError_tPvRmT3_T4_T5_T6_T7_T9_mT8_P12ihipStream_tbDpT10_ENKUlT_T0_E_clISt17integral_constantIbLb1EES18_IbLb0EEEEDaS14_S15_EUlS14_E_NS1_11comp_targetILNS1_3genE8ELNS1_11target_archE1030ELNS1_3gpuE2ELNS1_3repE0EEENS1_30default_config_static_selectorELNS0_4arch9wavefront6targetE1EEEvT1_,comdat
.Lfunc_end2418:
	.size	_ZN7rocprim17ROCPRIM_400000_NS6detail17trampoline_kernelINS0_14default_configENS1_25partition_config_selectorILNS1_17partition_subalgoE0EjNS0_10empty_typeEbEEZZNS1_14partition_implILS5_0ELb0ES3_jN6thrust23THRUST_200600_302600_NS6detail15normal_iteratorINSA_10device_ptrIjEEEEPS6_SG_NS0_5tupleIJNSA_16discard_iteratorINSA_11use_defaultEEESK_EEENSH_IJSG_SG_EEES6_PlJ7is_evenIjEEEE10hipError_tPvRmT3_T4_T5_T6_T7_T9_mT8_P12ihipStream_tbDpT10_ENKUlT_T0_E_clISt17integral_constantIbLb1EES18_IbLb0EEEEDaS14_S15_EUlS14_E_NS1_11comp_targetILNS1_3genE8ELNS1_11target_archE1030ELNS1_3gpuE2ELNS1_3repE0EEENS1_30default_config_static_selectorELNS0_4arch9wavefront6targetE1EEEvT1_, .Lfunc_end2418-_ZN7rocprim17ROCPRIM_400000_NS6detail17trampoline_kernelINS0_14default_configENS1_25partition_config_selectorILNS1_17partition_subalgoE0EjNS0_10empty_typeEbEEZZNS1_14partition_implILS5_0ELb0ES3_jN6thrust23THRUST_200600_302600_NS6detail15normal_iteratorINSA_10device_ptrIjEEEEPS6_SG_NS0_5tupleIJNSA_16discard_iteratorINSA_11use_defaultEEESK_EEENSH_IJSG_SG_EEES6_PlJ7is_evenIjEEEE10hipError_tPvRmT3_T4_T5_T6_T7_T9_mT8_P12ihipStream_tbDpT10_ENKUlT_T0_E_clISt17integral_constantIbLb1EES18_IbLb0EEEEDaS14_S15_EUlS14_E_NS1_11comp_targetILNS1_3genE8ELNS1_11target_archE1030ELNS1_3gpuE2ELNS1_3repE0EEENS1_30default_config_static_selectorELNS0_4arch9wavefront6targetE1EEEvT1_
                                        ; -- End function
	.section	.AMDGPU.csdata,"",@progbits
; Kernel info:
; codeLenInByte = 0
; NumSgprs: 4
; NumVgprs: 0
; NumAgprs: 0
; TotalNumVgprs: 0
; ScratchSize: 0
; MemoryBound: 0
; FloatMode: 240
; IeeeMode: 1
; LDSByteSize: 0 bytes/workgroup (compile time only)
; SGPRBlocks: 0
; VGPRBlocks: 0
; NumSGPRsForWavesPerEU: 4
; NumVGPRsForWavesPerEU: 1
; AccumOffset: 4
; Occupancy: 8
; WaveLimiterHint : 0
; COMPUTE_PGM_RSRC2:SCRATCH_EN: 0
; COMPUTE_PGM_RSRC2:USER_SGPR: 6
; COMPUTE_PGM_RSRC2:TRAP_HANDLER: 0
; COMPUTE_PGM_RSRC2:TGID_X_EN: 1
; COMPUTE_PGM_RSRC2:TGID_Y_EN: 0
; COMPUTE_PGM_RSRC2:TGID_Z_EN: 0
; COMPUTE_PGM_RSRC2:TIDIG_COMP_CNT: 0
; COMPUTE_PGM_RSRC3_GFX90A:ACCUM_OFFSET: 0
; COMPUTE_PGM_RSRC3_GFX90A:TG_SPLIT: 0
	.section	.text._ZN7rocprim17ROCPRIM_400000_NS6detail17trampoline_kernelINS0_14default_configENS1_25partition_config_selectorILNS1_17partition_subalgoE0EjNS0_10empty_typeEbEEZZNS1_14partition_implILS5_0ELb0ES3_jN6thrust23THRUST_200600_302600_NS6detail15normal_iteratorINSA_10device_ptrIjEEEEPS6_SG_NS0_5tupleIJNSA_16discard_iteratorINSA_11use_defaultEEESK_EEENSH_IJSG_SG_EEES6_PlJ7is_evenIjEEEE10hipError_tPvRmT3_T4_T5_T6_T7_T9_mT8_P12ihipStream_tbDpT10_ENKUlT_T0_E_clISt17integral_constantIbLb0EES18_IbLb1EEEEDaS14_S15_EUlS14_E_NS1_11comp_targetILNS1_3genE0ELNS1_11target_archE4294967295ELNS1_3gpuE0ELNS1_3repE0EEENS1_30default_config_static_selectorELNS0_4arch9wavefront6targetE1EEEvT1_,"axG",@progbits,_ZN7rocprim17ROCPRIM_400000_NS6detail17trampoline_kernelINS0_14default_configENS1_25partition_config_selectorILNS1_17partition_subalgoE0EjNS0_10empty_typeEbEEZZNS1_14partition_implILS5_0ELb0ES3_jN6thrust23THRUST_200600_302600_NS6detail15normal_iteratorINSA_10device_ptrIjEEEEPS6_SG_NS0_5tupleIJNSA_16discard_iteratorINSA_11use_defaultEEESK_EEENSH_IJSG_SG_EEES6_PlJ7is_evenIjEEEE10hipError_tPvRmT3_T4_T5_T6_T7_T9_mT8_P12ihipStream_tbDpT10_ENKUlT_T0_E_clISt17integral_constantIbLb0EES18_IbLb1EEEEDaS14_S15_EUlS14_E_NS1_11comp_targetILNS1_3genE0ELNS1_11target_archE4294967295ELNS1_3gpuE0ELNS1_3repE0EEENS1_30default_config_static_selectorELNS0_4arch9wavefront6targetE1EEEvT1_,comdat
	.protected	_ZN7rocprim17ROCPRIM_400000_NS6detail17trampoline_kernelINS0_14default_configENS1_25partition_config_selectorILNS1_17partition_subalgoE0EjNS0_10empty_typeEbEEZZNS1_14partition_implILS5_0ELb0ES3_jN6thrust23THRUST_200600_302600_NS6detail15normal_iteratorINSA_10device_ptrIjEEEEPS6_SG_NS0_5tupleIJNSA_16discard_iteratorINSA_11use_defaultEEESK_EEENSH_IJSG_SG_EEES6_PlJ7is_evenIjEEEE10hipError_tPvRmT3_T4_T5_T6_T7_T9_mT8_P12ihipStream_tbDpT10_ENKUlT_T0_E_clISt17integral_constantIbLb0EES18_IbLb1EEEEDaS14_S15_EUlS14_E_NS1_11comp_targetILNS1_3genE0ELNS1_11target_archE4294967295ELNS1_3gpuE0ELNS1_3repE0EEENS1_30default_config_static_selectorELNS0_4arch9wavefront6targetE1EEEvT1_ ; -- Begin function _ZN7rocprim17ROCPRIM_400000_NS6detail17trampoline_kernelINS0_14default_configENS1_25partition_config_selectorILNS1_17partition_subalgoE0EjNS0_10empty_typeEbEEZZNS1_14partition_implILS5_0ELb0ES3_jN6thrust23THRUST_200600_302600_NS6detail15normal_iteratorINSA_10device_ptrIjEEEEPS6_SG_NS0_5tupleIJNSA_16discard_iteratorINSA_11use_defaultEEESK_EEENSH_IJSG_SG_EEES6_PlJ7is_evenIjEEEE10hipError_tPvRmT3_T4_T5_T6_T7_T9_mT8_P12ihipStream_tbDpT10_ENKUlT_T0_E_clISt17integral_constantIbLb0EES18_IbLb1EEEEDaS14_S15_EUlS14_E_NS1_11comp_targetILNS1_3genE0ELNS1_11target_archE4294967295ELNS1_3gpuE0ELNS1_3repE0EEENS1_30default_config_static_selectorELNS0_4arch9wavefront6targetE1EEEvT1_
	.globl	_ZN7rocprim17ROCPRIM_400000_NS6detail17trampoline_kernelINS0_14default_configENS1_25partition_config_selectorILNS1_17partition_subalgoE0EjNS0_10empty_typeEbEEZZNS1_14partition_implILS5_0ELb0ES3_jN6thrust23THRUST_200600_302600_NS6detail15normal_iteratorINSA_10device_ptrIjEEEEPS6_SG_NS0_5tupleIJNSA_16discard_iteratorINSA_11use_defaultEEESK_EEENSH_IJSG_SG_EEES6_PlJ7is_evenIjEEEE10hipError_tPvRmT3_T4_T5_T6_T7_T9_mT8_P12ihipStream_tbDpT10_ENKUlT_T0_E_clISt17integral_constantIbLb0EES18_IbLb1EEEEDaS14_S15_EUlS14_E_NS1_11comp_targetILNS1_3genE0ELNS1_11target_archE4294967295ELNS1_3gpuE0ELNS1_3repE0EEENS1_30default_config_static_selectorELNS0_4arch9wavefront6targetE1EEEvT1_
	.p2align	8
	.type	_ZN7rocprim17ROCPRIM_400000_NS6detail17trampoline_kernelINS0_14default_configENS1_25partition_config_selectorILNS1_17partition_subalgoE0EjNS0_10empty_typeEbEEZZNS1_14partition_implILS5_0ELb0ES3_jN6thrust23THRUST_200600_302600_NS6detail15normal_iteratorINSA_10device_ptrIjEEEEPS6_SG_NS0_5tupleIJNSA_16discard_iteratorINSA_11use_defaultEEESK_EEENSH_IJSG_SG_EEES6_PlJ7is_evenIjEEEE10hipError_tPvRmT3_T4_T5_T6_T7_T9_mT8_P12ihipStream_tbDpT10_ENKUlT_T0_E_clISt17integral_constantIbLb0EES18_IbLb1EEEEDaS14_S15_EUlS14_E_NS1_11comp_targetILNS1_3genE0ELNS1_11target_archE4294967295ELNS1_3gpuE0ELNS1_3repE0EEENS1_30default_config_static_selectorELNS0_4arch9wavefront6targetE1EEEvT1_,@function
_ZN7rocprim17ROCPRIM_400000_NS6detail17trampoline_kernelINS0_14default_configENS1_25partition_config_selectorILNS1_17partition_subalgoE0EjNS0_10empty_typeEbEEZZNS1_14partition_implILS5_0ELb0ES3_jN6thrust23THRUST_200600_302600_NS6detail15normal_iteratorINSA_10device_ptrIjEEEEPS6_SG_NS0_5tupleIJNSA_16discard_iteratorINSA_11use_defaultEEESK_EEENSH_IJSG_SG_EEES6_PlJ7is_evenIjEEEE10hipError_tPvRmT3_T4_T5_T6_T7_T9_mT8_P12ihipStream_tbDpT10_ENKUlT_T0_E_clISt17integral_constantIbLb0EES18_IbLb1EEEEDaS14_S15_EUlS14_E_NS1_11comp_targetILNS1_3genE0ELNS1_11target_archE4294967295ELNS1_3gpuE0ELNS1_3repE0EEENS1_30default_config_static_selectorELNS0_4arch9wavefront6targetE1EEEvT1_: ; @_ZN7rocprim17ROCPRIM_400000_NS6detail17trampoline_kernelINS0_14default_configENS1_25partition_config_selectorILNS1_17partition_subalgoE0EjNS0_10empty_typeEbEEZZNS1_14partition_implILS5_0ELb0ES3_jN6thrust23THRUST_200600_302600_NS6detail15normal_iteratorINSA_10device_ptrIjEEEEPS6_SG_NS0_5tupleIJNSA_16discard_iteratorINSA_11use_defaultEEESK_EEENSH_IJSG_SG_EEES6_PlJ7is_evenIjEEEE10hipError_tPvRmT3_T4_T5_T6_T7_T9_mT8_P12ihipStream_tbDpT10_ENKUlT_T0_E_clISt17integral_constantIbLb0EES18_IbLb1EEEEDaS14_S15_EUlS14_E_NS1_11comp_targetILNS1_3genE0ELNS1_11target_archE4294967295ELNS1_3gpuE0ELNS1_3repE0EEENS1_30default_config_static_selectorELNS0_4arch9wavefront6targetE1EEEvT1_
; %bb.0:
	.section	.rodata,"a",@progbits
	.p2align	6, 0x0
	.amdhsa_kernel _ZN7rocprim17ROCPRIM_400000_NS6detail17trampoline_kernelINS0_14default_configENS1_25partition_config_selectorILNS1_17partition_subalgoE0EjNS0_10empty_typeEbEEZZNS1_14partition_implILS5_0ELb0ES3_jN6thrust23THRUST_200600_302600_NS6detail15normal_iteratorINSA_10device_ptrIjEEEEPS6_SG_NS0_5tupleIJNSA_16discard_iteratorINSA_11use_defaultEEESK_EEENSH_IJSG_SG_EEES6_PlJ7is_evenIjEEEE10hipError_tPvRmT3_T4_T5_T6_T7_T9_mT8_P12ihipStream_tbDpT10_ENKUlT_T0_E_clISt17integral_constantIbLb0EES18_IbLb1EEEEDaS14_S15_EUlS14_E_NS1_11comp_targetILNS1_3genE0ELNS1_11target_archE4294967295ELNS1_3gpuE0ELNS1_3repE0EEENS1_30default_config_static_selectorELNS0_4arch9wavefront6targetE1EEEvT1_
		.amdhsa_group_segment_fixed_size 0
		.amdhsa_private_segment_fixed_size 0
		.amdhsa_kernarg_size 152
		.amdhsa_user_sgpr_count 6
		.amdhsa_user_sgpr_private_segment_buffer 1
		.amdhsa_user_sgpr_dispatch_ptr 0
		.amdhsa_user_sgpr_queue_ptr 0
		.amdhsa_user_sgpr_kernarg_segment_ptr 1
		.amdhsa_user_sgpr_dispatch_id 0
		.amdhsa_user_sgpr_flat_scratch_init 0
		.amdhsa_user_sgpr_kernarg_preload_length 0
		.amdhsa_user_sgpr_kernarg_preload_offset 0
		.amdhsa_user_sgpr_private_segment_size 0
		.amdhsa_uses_dynamic_stack 0
		.amdhsa_system_sgpr_private_segment_wavefront_offset 0
		.amdhsa_system_sgpr_workgroup_id_x 1
		.amdhsa_system_sgpr_workgroup_id_y 0
		.amdhsa_system_sgpr_workgroup_id_z 0
		.amdhsa_system_sgpr_workgroup_info 0
		.amdhsa_system_vgpr_workitem_id 0
		.amdhsa_next_free_vgpr 1
		.amdhsa_next_free_sgpr 0
		.amdhsa_accum_offset 4
		.amdhsa_reserve_vcc 0
		.amdhsa_reserve_flat_scratch 0
		.amdhsa_float_round_mode_32 0
		.amdhsa_float_round_mode_16_64 0
		.amdhsa_float_denorm_mode_32 3
		.amdhsa_float_denorm_mode_16_64 3
		.amdhsa_dx10_clamp 1
		.amdhsa_ieee_mode 1
		.amdhsa_fp16_overflow 0
		.amdhsa_tg_split 0
		.amdhsa_exception_fp_ieee_invalid_op 0
		.amdhsa_exception_fp_denorm_src 0
		.amdhsa_exception_fp_ieee_div_zero 0
		.amdhsa_exception_fp_ieee_overflow 0
		.amdhsa_exception_fp_ieee_underflow 0
		.amdhsa_exception_fp_ieee_inexact 0
		.amdhsa_exception_int_div_zero 0
	.end_amdhsa_kernel
	.section	.text._ZN7rocprim17ROCPRIM_400000_NS6detail17trampoline_kernelINS0_14default_configENS1_25partition_config_selectorILNS1_17partition_subalgoE0EjNS0_10empty_typeEbEEZZNS1_14partition_implILS5_0ELb0ES3_jN6thrust23THRUST_200600_302600_NS6detail15normal_iteratorINSA_10device_ptrIjEEEEPS6_SG_NS0_5tupleIJNSA_16discard_iteratorINSA_11use_defaultEEESK_EEENSH_IJSG_SG_EEES6_PlJ7is_evenIjEEEE10hipError_tPvRmT3_T4_T5_T6_T7_T9_mT8_P12ihipStream_tbDpT10_ENKUlT_T0_E_clISt17integral_constantIbLb0EES18_IbLb1EEEEDaS14_S15_EUlS14_E_NS1_11comp_targetILNS1_3genE0ELNS1_11target_archE4294967295ELNS1_3gpuE0ELNS1_3repE0EEENS1_30default_config_static_selectorELNS0_4arch9wavefront6targetE1EEEvT1_,"axG",@progbits,_ZN7rocprim17ROCPRIM_400000_NS6detail17trampoline_kernelINS0_14default_configENS1_25partition_config_selectorILNS1_17partition_subalgoE0EjNS0_10empty_typeEbEEZZNS1_14partition_implILS5_0ELb0ES3_jN6thrust23THRUST_200600_302600_NS6detail15normal_iteratorINSA_10device_ptrIjEEEEPS6_SG_NS0_5tupleIJNSA_16discard_iteratorINSA_11use_defaultEEESK_EEENSH_IJSG_SG_EEES6_PlJ7is_evenIjEEEE10hipError_tPvRmT3_T4_T5_T6_T7_T9_mT8_P12ihipStream_tbDpT10_ENKUlT_T0_E_clISt17integral_constantIbLb0EES18_IbLb1EEEEDaS14_S15_EUlS14_E_NS1_11comp_targetILNS1_3genE0ELNS1_11target_archE4294967295ELNS1_3gpuE0ELNS1_3repE0EEENS1_30default_config_static_selectorELNS0_4arch9wavefront6targetE1EEEvT1_,comdat
.Lfunc_end2419:
	.size	_ZN7rocprim17ROCPRIM_400000_NS6detail17trampoline_kernelINS0_14default_configENS1_25partition_config_selectorILNS1_17partition_subalgoE0EjNS0_10empty_typeEbEEZZNS1_14partition_implILS5_0ELb0ES3_jN6thrust23THRUST_200600_302600_NS6detail15normal_iteratorINSA_10device_ptrIjEEEEPS6_SG_NS0_5tupleIJNSA_16discard_iteratorINSA_11use_defaultEEESK_EEENSH_IJSG_SG_EEES6_PlJ7is_evenIjEEEE10hipError_tPvRmT3_T4_T5_T6_T7_T9_mT8_P12ihipStream_tbDpT10_ENKUlT_T0_E_clISt17integral_constantIbLb0EES18_IbLb1EEEEDaS14_S15_EUlS14_E_NS1_11comp_targetILNS1_3genE0ELNS1_11target_archE4294967295ELNS1_3gpuE0ELNS1_3repE0EEENS1_30default_config_static_selectorELNS0_4arch9wavefront6targetE1EEEvT1_, .Lfunc_end2419-_ZN7rocprim17ROCPRIM_400000_NS6detail17trampoline_kernelINS0_14default_configENS1_25partition_config_selectorILNS1_17partition_subalgoE0EjNS0_10empty_typeEbEEZZNS1_14partition_implILS5_0ELb0ES3_jN6thrust23THRUST_200600_302600_NS6detail15normal_iteratorINSA_10device_ptrIjEEEEPS6_SG_NS0_5tupleIJNSA_16discard_iteratorINSA_11use_defaultEEESK_EEENSH_IJSG_SG_EEES6_PlJ7is_evenIjEEEE10hipError_tPvRmT3_T4_T5_T6_T7_T9_mT8_P12ihipStream_tbDpT10_ENKUlT_T0_E_clISt17integral_constantIbLb0EES18_IbLb1EEEEDaS14_S15_EUlS14_E_NS1_11comp_targetILNS1_3genE0ELNS1_11target_archE4294967295ELNS1_3gpuE0ELNS1_3repE0EEENS1_30default_config_static_selectorELNS0_4arch9wavefront6targetE1EEEvT1_
                                        ; -- End function
	.section	.AMDGPU.csdata,"",@progbits
; Kernel info:
; codeLenInByte = 0
; NumSgprs: 4
; NumVgprs: 0
; NumAgprs: 0
; TotalNumVgprs: 0
; ScratchSize: 0
; MemoryBound: 0
; FloatMode: 240
; IeeeMode: 1
; LDSByteSize: 0 bytes/workgroup (compile time only)
; SGPRBlocks: 0
; VGPRBlocks: 0
; NumSGPRsForWavesPerEU: 4
; NumVGPRsForWavesPerEU: 1
; AccumOffset: 4
; Occupancy: 8
; WaveLimiterHint : 0
; COMPUTE_PGM_RSRC2:SCRATCH_EN: 0
; COMPUTE_PGM_RSRC2:USER_SGPR: 6
; COMPUTE_PGM_RSRC2:TRAP_HANDLER: 0
; COMPUTE_PGM_RSRC2:TGID_X_EN: 1
; COMPUTE_PGM_RSRC2:TGID_Y_EN: 0
; COMPUTE_PGM_RSRC2:TGID_Z_EN: 0
; COMPUTE_PGM_RSRC2:TIDIG_COMP_CNT: 0
; COMPUTE_PGM_RSRC3_GFX90A:ACCUM_OFFSET: 0
; COMPUTE_PGM_RSRC3_GFX90A:TG_SPLIT: 0
	.section	.text._ZN7rocprim17ROCPRIM_400000_NS6detail17trampoline_kernelINS0_14default_configENS1_25partition_config_selectorILNS1_17partition_subalgoE0EjNS0_10empty_typeEbEEZZNS1_14partition_implILS5_0ELb0ES3_jN6thrust23THRUST_200600_302600_NS6detail15normal_iteratorINSA_10device_ptrIjEEEEPS6_SG_NS0_5tupleIJNSA_16discard_iteratorINSA_11use_defaultEEESK_EEENSH_IJSG_SG_EEES6_PlJ7is_evenIjEEEE10hipError_tPvRmT3_T4_T5_T6_T7_T9_mT8_P12ihipStream_tbDpT10_ENKUlT_T0_E_clISt17integral_constantIbLb0EES18_IbLb1EEEEDaS14_S15_EUlS14_E_NS1_11comp_targetILNS1_3genE5ELNS1_11target_archE942ELNS1_3gpuE9ELNS1_3repE0EEENS1_30default_config_static_selectorELNS0_4arch9wavefront6targetE1EEEvT1_,"axG",@progbits,_ZN7rocprim17ROCPRIM_400000_NS6detail17trampoline_kernelINS0_14default_configENS1_25partition_config_selectorILNS1_17partition_subalgoE0EjNS0_10empty_typeEbEEZZNS1_14partition_implILS5_0ELb0ES3_jN6thrust23THRUST_200600_302600_NS6detail15normal_iteratorINSA_10device_ptrIjEEEEPS6_SG_NS0_5tupleIJNSA_16discard_iteratorINSA_11use_defaultEEESK_EEENSH_IJSG_SG_EEES6_PlJ7is_evenIjEEEE10hipError_tPvRmT3_T4_T5_T6_T7_T9_mT8_P12ihipStream_tbDpT10_ENKUlT_T0_E_clISt17integral_constantIbLb0EES18_IbLb1EEEEDaS14_S15_EUlS14_E_NS1_11comp_targetILNS1_3genE5ELNS1_11target_archE942ELNS1_3gpuE9ELNS1_3repE0EEENS1_30default_config_static_selectorELNS0_4arch9wavefront6targetE1EEEvT1_,comdat
	.protected	_ZN7rocprim17ROCPRIM_400000_NS6detail17trampoline_kernelINS0_14default_configENS1_25partition_config_selectorILNS1_17partition_subalgoE0EjNS0_10empty_typeEbEEZZNS1_14partition_implILS5_0ELb0ES3_jN6thrust23THRUST_200600_302600_NS6detail15normal_iteratorINSA_10device_ptrIjEEEEPS6_SG_NS0_5tupleIJNSA_16discard_iteratorINSA_11use_defaultEEESK_EEENSH_IJSG_SG_EEES6_PlJ7is_evenIjEEEE10hipError_tPvRmT3_T4_T5_T6_T7_T9_mT8_P12ihipStream_tbDpT10_ENKUlT_T0_E_clISt17integral_constantIbLb0EES18_IbLb1EEEEDaS14_S15_EUlS14_E_NS1_11comp_targetILNS1_3genE5ELNS1_11target_archE942ELNS1_3gpuE9ELNS1_3repE0EEENS1_30default_config_static_selectorELNS0_4arch9wavefront6targetE1EEEvT1_ ; -- Begin function _ZN7rocprim17ROCPRIM_400000_NS6detail17trampoline_kernelINS0_14default_configENS1_25partition_config_selectorILNS1_17partition_subalgoE0EjNS0_10empty_typeEbEEZZNS1_14partition_implILS5_0ELb0ES3_jN6thrust23THRUST_200600_302600_NS6detail15normal_iteratorINSA_10device_ptrIjEEEEPS6_SG_NS0_5tupleIJNSA_16discard_iteratorINSA_11use_defaultEEESK_EEENSH_IJSG_SG_EEES6_PlJ7is_evenIjEEEE10hipError_tPvRmT3_T4_T5_T6_T7_T9_mT8_P12ihipStream_tbDpT10_ENKUlT_T0_E_clISt17integral_constantIbLb0EES18_IbLb1EEEEDaS14_S15_EUlS14_E_NS1_11comp_targetILNS1_3genE5ELNS1_11target_archE942ELNS1_3gpuE9ELNS1_3repE0EEENS1_30default_config_static_selectorELNS0_4arch9wavefront6targetE1EEEvT1_
	.globl	_ZN7rocprim17ROCPRIM_400000_NS6detail17trampoline_kernelINS0_14default_configENS1_25partition_config_selectorILNS1_17partition_subalgoE0EjNS0_10empty_typeEbEEZZNS1_14partition_implILS5_0ELb0ES3_jN6thrust23THRUST_200600_302600_NS6detail15normal_iteratorINSA_10device_ptrIjEEEEPS6_SG_NS0_5tupleIJNSA_16discard_iteratorINSA_11use_defaultEEESK_EEENSH_IJSG_SG_EEES6_PlJ7is_evenIjEEEE10hipError_tPvRmT3_T4_T5_T6_T7_T9_mT8_P12ihipStream_tbDpT10_ENKUlT_T0_E_clISt17integral_constantIbLb0EES18_IbLb1EEEEDaS14_S15_EUlS14_E_NS1_11comp_targetILNS1_3genE5ELNS1_11target_archE942ELNS1_3gpuE9ELNS1_3repE0EEENS1_30default_config_static_selectorELNS0_4arch9wavefront6targetE1EEEvT1_
	.p2align	8
	.type	_ZN7rocprim17ROCPRIM_400000_NS6detail17trampoline_kernelINS0_14default_configENS1_25partition_config_selectorILNS1_17partition_subalgoE0EjNS0_10empty_typeEbEEZZNS1_14partition_implILS5_0ELb0ES3_jN6thrust23THRUST_200600_302600_NS6detail15normal_iteratorINSA_10device_ptrIjEEEEPS6_SG_NS0_5tupleIJNSA_16discard_iteratorINSA_11use_defaultEEESK_EEENSH_IJSG_SG_EEES6_PlJ7is_evenIjEEEE10hipError_tPvRmT3_T4_T5_T6_T7_T9_mT8_P12ihipStream_tbDpT10_ENKUlT_T0_E_clISt17integral_constantIbLb0EES18_IbLb1EEEEDaS14_S15_EUlS14_E_NS1_11comp_targetILNS1_3genE5ELNS1_11target_archE942ELNS1_3gpuE9ELNS1_3repE0EEENS1_30default_config_static_selectorELNS0_4arch9wavefront6targetE1EEEvT1_,@function
_ZN7rocprim17ROCPRIM_400000_NS6detail17trampoline_kernelINS0_14default_configENS1_25partition_config_selectorILNS1_17partition_subalgoE0EjNS0_10empty_typeEbEEZZNS1_14partition_implILS5_0ELb0ES3_jN6thrust23THRUST_200600_302600_NS6detail15normal_iteratorINSA_10device_ptrIjEEEEPS6_SG_NS0_5tupleIJNSA_16discard_iteratorINSA_11use_defaultEEESK_EEENSH_IJSG_SG_EEES6_PlJ7is_evenIjEEEE10hipError_tPvRmT3_T4_T5_T6_T7_T9_mT8_P12ihipStream_tbDpT10_ENKUlT_T0_E_clISt17integral_constantIbLb0EES18_IbLb1EEEEDaS14_S15_EUlS14_E_NS1_11comp_targetILNS1_3genE5ELNS1_11target_archE942ELNS1_3gpuE9ELNS1_3repE0EEENS1_30default_config_static_selectorELNS0_4arch9wavefront6targetE1EEEvT1_: ; @_ZN7rocprim17ROCPRIM_400000_NS6detail17trampoline_kernelINS0_14default_configENS1_25partition_config_selectorILNS1_17partition_subalgoE0EjNS0_10empty_typeEbEEZZNS1_14partition_implILS5_0ELb0ES3_jN6thrust23THRUST_200600_302600_NS6detail15normal_iteratorINSA_10device_ptrIjEEEEPS6_SG_NS0_5tupleIJNSA_16discard_iteratorINSA_11use_defaultEEESK_EEENSH_IJSG_SG_EEES6_PlJ7is_evenIjEEEE10hipError_tPvRmT3_T4_T5_T6_T7_T9_mT8_P12ihipStream_tbDpT10_ENKUlT_T0_E_clISt17integral_constantIbLb0EES18_IbLb1EEEEDaS14_S15_EUlS14_E_NS1_11comp_targetILNS1_3genE5ELNS1_11target_archE942ELNS1_3gpuE9ELNS1_3repE0EEENS1_30default_config_static_selectorELNS0_4arch9wavefront6targetE1EEEvT1_
; %bb.0:
	.section	.rodata,"a",@progbits
	.p2align	6, 0x0
	.amdhsa_kernel _ZN7rocprim17ROCPRIM_400000_NS6detail17trampoline_kernelINS0_14default_configENS1_25partition_config_selectorILNS1_17partition_subalgoE0EjNS0_10empty_typeEbEEZZNS1_14partition_implILS5_0ELb0ES3_jN6thrust23THRUST_200600_302600_NS6detail15normal_iteratorINSA_10device_ptrIjEEEEPS6_SG_NS0_5tupleIJNSA_16discard_iteratorINSA_11use_defaultEEESK_EEENSH_IJSG_SG_EEES6_PlJ7is_evenIjEEEE10hipError_tPvRmT3_T4_T5_T6_T7_T9_mT8_P12ihipStream_tbDpT10_ENKUlT_T0_E_clISt17integral_constantIbLb0EES18_IbLb1EEEEDaS14_S15_EUlS14_E_NS1_11comp_targetILNS1_3genE5ELNS1_11target_archE942ELNS1_3gpuE9ELNS1_3repE0EEENS1_30default_config_static_selectorELNS0_4arch9wavefront6targetE1EEEvT1_
		.amdhsa_group_segment_fixed_size 0
		.amdhsa_private_segment_fixed_size 0
		.amdhsa_kernarg_size 152
		.amdhsa_user_sgpr_count 6
		.amdhsa_user_sgpr_private_segment_buffer 1
		.amdhsa_user_sgpr_dispatch_ptr 0
		.amdhsa_user_sgpr_queue_ptr 0
		.amdhsa_user_sgpr_kernarg_segment_ptr 1
		.amdhsa_user_sgpr_dispatch_id 0
		.amdhsa_user_sgpr_flat_scratch_init 0
		.amdhsa_user_sgpr_kernarg_preload_length 0
		.amdhsa_user_sgpr_kernarg_preload_offset 0
		.amdhsa_user_sgpr_private_segment_size 0
		.amdhsa_uses_dynamic_stack 0
		.amdhsa_system_sgpr_private_segment_wavefront_offset 0
		.amdhsa_system_sgpr_workgroup_id_x 1
		.amdhsa_system_sgpr_workgroup_id_y 0
		.amdhsa_system_sgpr_workgroup_id_z 0
		.amdhsa_system_sgpr_workgroup_info 0
		.amdhsa_system_vgpr_workitem_id 0
		.amdhsa_next_free_vgpr 1
		.amdhsa_next_free_sgpr 0
		.amdhsa_accum_offset 4
		.amdhsa_reserve_vcc 0
		.amdhsa_reserve_flat_scratch 0
		.amdhsa_float_round_mode_32 0
		.amdhsa_float_round_mode_16_64 0
		.amdhsa_float_denorm_mode_32 3
		.amdhsa_float_denorm_mode_16_64 3
		.amdhsa_dx10_clamp 1
		.amdhsa_ieee_mode 1
		.amdhsa_fp16_overflow 0
		.amdhsa_tg_split 0
		.amdhsa_exception_fp_ieee_invalid_op 0
		.amdhsa_exception_fp_denorm_src 0
		.amdhsa_exception_fp_ieee_div_zero 0
		.amdhsa_exception_fp_ieee_overflow 0
		.amdhsa_exception_fp_ieee_underflow 0
		.amdhsa_exception_fp_ieee_inexact 0
		.amdhsa_exception_int_div_zero 0
	.end_amdhsa_kernel
	.section	.text._ZN7rocprim17ROCPRIM_400000_NS6detail17trampoline_kernelINS0_14default_configENS1_25partition_config_selectorILNS1_17partition_subalgoE0EjNS0_10empty_typeEbEEZZNS1_14partition_implILS5_0ELb0ES3_jN6thrust23THRUST_200600_302600_NS6detail15normal_iteratorINSA_10device_ptrIjEEEEPS6_SG_NS0_5tupleIJNSA_16discard_iteratorINSA_11use_defaultEEESK_EEENSH_IJSG_SG_EEES6_PlJ7is_evenIjEEEE10hipError_tPvRmT3_T4_T5_T6_T7_T9_mT8_P12ihipStream_tbDpT10_ENKUlT_T0_E_clISt17integral_constantIbLb0EES18_IbLb1EEEEDaS14_S15_EUlS14_E_NS1_11comp_targetILNS1_3genE5ELNS1_11target_archE942ELNS1_3gpuE9ELNS1_3repE0EEENS1_30default_config_static_selectorELNS0_4arch9wavefront6targetE1EEEvT1_,"axG",@progbits,_ZN7rocprim17ROCPRIM_400000_NS6detail17trampoline_kernelINS0_14default_configENS1_25partition_config_selectorILNS1_17partition_subalgoE0EjNS0_10empty_typeEbEEZZNS1_14partition_implILS5_0ELb0ES3_jN6thrust23THRUST_200600_302600_NS6detail15normal_iteratorINSA_10device_ptrIjEEEEPS6_SG_NS0_5tupleIJNSA_16discard_iteratorINSA_11use_defaultEEESK_EEENSH_IJSG_SG_EEES6_PlJ7is_evenIjEEEE10hipError_tPvRmT3_T4_T5_T6_T7_T9_mT8_P12ihipStream_tbDpT10_ENKUlT_T0_E_clISt17integral_constantIbLb0EES18_IbLb1EEEEDaS14_S15_EUlS14_E_NS1_11comp_targetILNS1_3genE5ELNS1_11target_archE942ELNS1_3gpuE9ELNS1_3repE0EEENS1_30default_config_static_selectorELNS0_4arch9wavefront6targetE1EEEvT1_,comdat
.Lfunc_end2420:
	.size	_ZN7rocprim17ROCPRIM_400000_NS6detail17trampoline_kernelINS0_14default_configENS1_25partition_config_selectorILNS1_17partition_subalgoE0EjNS0_10empty_typeEbEEZZNS1_14partition_implILS5_0ELb0ES3_jN6thrust23THRUST_200600_302600_NS6detail15normal_iteratorINSA_10device_ptrIjEEEEPS6_SG_NS0_5tupleIJNSA_16discard_iteratorINSA_11use_defaultEEESK_EEENSH_IJSG_SG_EEES6_PlJ7is_evenIjEEEE10hipError_tPvRmT3_T4_T5_T6_T7_T9_mT8_P12ihipStream_tbDpT10_ENKUlT_T0_E_clISt17integral_constantIbLb0EES18_IbLb1EEEEDaS14_S15_EUlS14_E_NS1_11comp_targetILNS1_3genE5ELNS1_11target_archE942ELNS1_3gpuE9ELNS1_3repE0EEENS1_30default_config_static_selectorELNS0_4arch9wavefront6targetE1EEEvT1_, .Lfunc_end2420-_ZN7rocprim17ROCPRIM_400000_NS6detail17trampoline_kernelINS0_14default_configENS1_25partition_config_selectorILNS1_17partition_subalgoE0EjNS0_10empty_typeEbEEZZNS1_14partition_implILS5_0ELb0ES3_jN6thrust23THRUST_200600_302600_NS6detail15normal_iteratorINSA_10device_ptrIjEEEEPS6_SG_NS0_5tupleIJNSA_16discard_iteratorINSA_11use_defaultEEESK_EEENSH_IJSG_SG_EEES6_PlJ7is_evenIjEEEE10hipError_tPvRmT3_T4_T5_T6_T7_T9_mT8_P12ihipStream_tbDpT10_ENKUlT_T0_E_clISt17integral_constantIbLb0EES18_IbLb1EEEEDaS14_S15_EUlS14_E_NS1_11comp_targetILNS1_3genE5ELNS1_11target_archE942ELNS1_3gpuE9ELNS1_3repE0EEENS1_30default_config_static_selectorELNS0_4arch9wavefront6targetE1EEEvT1_
                                        ; -- End function
	.section	.AMDGPU.csdata,"",@progbits
; Kernel info:
; codeLenInByte = 0
; NumSgprs: 4
; NumVgprs: 0
; NumAgprs: 0
; TotalNumVgprs: 0
; ScratchSize: 0
; MemoryBound: 0
; FloatMode: 240
; IeeeMode: 1
; LDSByteSize: 0 bytes/workgroup (compile time only)
; SGPRBlocks: 0
; VGPRBlocks: 0
; NumSGPRsForWavesPerEU: 4
; NumVGPRsForWavesPerEU: 1
; AccumOffset: 4
; Occupancy: 8
; WaveLimiterHint : 0
; COMPUTE_PGM_RSRC2:SCRATCH_EN: 0
; COMPUTE_PGM_RSRC2:USER_SGPR: 6
; COMPUTE_PGM_RSRC2:TRAP_HANDLER: 0
; COMPUTE_PGM_RSRC2:TGID_X_EN: 1
; COMPUTE_PGM_RSRC2:TGID_Y_EN: 0
; COMPUTE_PGM_RSRC2:TGID_Z_EN: 0
; COMPUTE_PGM_RSRC2:TIDIG_COMP_CNT: 0
; COMPUTE_PGM_RSRC3_GFX90A:ACCUM_OFFSET: 0
; COMPUTE_PGM_RSRC3_GFX90A:TG_SPLIT: 0
	.section	.text._ZN7rocprim17ROCPRIM_400000_NS6detail17trampoline_kernelINS0_14default_configENS1_25partition_config_selectorILNS1_17partition_subalgoE0EjNS0_10empty_typeEbEEZZNS1_14partition_implILS5_0ELb0ES3_jN6thrust23THRUST_200600_302600_NS6detail15normal_iteratorINSA_10device_ptrIjEEEEPS6_SG_NS0_5tupleIJNSA_16discard_iteratorINSA_11use_defaultEEESK_EEENSH_IJSG_SG_EEES6_PlJ7is_evenIjEEEE10hipError_tPvRmT3_T4_T5_T6_T7_T9_mT8_P12ihipStream_tbDpT10_ENKUlT_T0_E_clISt17integral_constantIbLb0EES18_IbLb1EEEEDaS14_S15_EUlS14_E_NS1_11comp_targetILNS1_3genE4ELNS1_11target_archE910ELNS1_3gpuE8ELNS1_3repE0EEENS1_30default_config_static_selectorELNS0_4arch9wavefront6targetE1EEEvT1_,"axG",@progbits,_ZN7rocprim17ROCPRIM_400000_NS6detail17trampoline_kernelINS0_14default_configENS1_25partition_config_selectorILNS1_17partition_subalgoE0EjNS0_10empty_typeEbEEZZNS1_14partition_implILS5_0ELb0ES3_jN6thrust23THRUST_200600_302600_NS6detail15normal_iteratorINSA_10device_ptrIjEEEEPS6_SG_NS0_5tupleIJNSA_16discard_iteratorINSA_11use_defaultEEESK_EEENSH_IJSG_SG_EEES6_PlJ7is_evenIjEEEE10hipError_tPvRmT3_T4_T5_T6_T7_T9_mT8_P12ihipStream_tbDpT10_ENKUlT_T0_E_clISt17integral_constantIbLb0EES18_IbLb1EEEEDaS14_S15_EUlS14_E_NS1_11comp_targetILNS1_3genE4ELNS1_11target_archE910ELNS1_3gpuE8ELNS1_3repE0EEENS1_30default_config_static_selectorELNS0_4arch9wavefront6targetE1EEEvT1_,comdat
	.protected	_ZN7rocprim17ROCPRIM_400000_NS6detail17trampoline_kernelINS0_14default_configENS1_25partition_config_selectorILNS1_17partition_subalgoE0EjNS0_10empty_typeEbEEZZNS1_14partition_implILS5_0ELb0ES3_jN6thrust23THRUST_200600_302600_NS6detail15normal_iteratorINSA_10device_ptrIjEEEEPS6_SG_NS0_5tupleIJNSA_16discard_iteratorINSA_11use_defaultEEESK_EEENSH_IJSG_SG_EEES6_PlJ7is_evenIjEEEE10hipError_tPvRmT3_T4_T5_T6_T7_T9_mT8_P12ihipStream_tbDpT10_ENKUlT_T0_E_clISt17integral_constantIbLb0EES18_IbLb1EEEEDaS14_S15_EUlS14_E_NS1_11comp_targetILNS1_3genE4ELNS1_11target_archE910ELNS1_3gpuE8ELNS1_3repE0EEENS1_30default_config_static_selectorELNS0_4arch9wavefront6targetE1EEEvT1_ ; -- Begin function _ZN7rocprim17ROCPRIM_400000_NS6detail17trampoline_kernelINS0_14default_configENS1_25partition_config_selectorILNS1_17partition_subalgoE0EjNS0_10empty_typeEbEEZZNS1_14partition_implILS5_0ELb0ES3_jN6thrust23THRUST_200600_302600_NS6detail15normal_iteratorINSA_10device_ptrIjEEEEPS6_SG_NS0_5tupleIJNSA_16discard_iteratorINSA_11use_defaultEEESK_EEENSH_IJSG_SG_EEES6_PlJ7is_evenIjEEEE10hipError_tPvRmT3_T4_T5_T6_T7_T9_mT8_P12ihipStream_tbDpT10_ENKUlT_T0_E_clISt17integral_constantIbLb0EES18_IbLb1EEEEDaS14_S15_EUlS14_E_NS1_11comp_targetILNS1_3genE4ELNS1_11target_archE910ELNS1_3gpuE8ELNS1_3repE0EEENS1_30default_config_static_selectorELNS0_4arch9wavefront6targetE1EEEvT1_
	.globl	_ZN7rocprim17ROCPRIM_400000_NS6detail17trampoline_kernelINS0_14default_configENS1_25partition_config_selectorILNS1_17partition_subalgoE0EjNS0_10empty_typeEbEEZZNS1_14partition_implILS5_0ELb0ES3_jN6thrust23THRUST_200600_302600_NS6detail15normal_iteratorINSA_10device_ptrIjEEEEPS6_SG_NS0_5tupleIJNSA_16discard_iteratorINSA_11use_defaultEEESK_EEENSH_IJSG_SG_EEES6_PlJ7is_evenIjEEEE10hipError_tPvRmT3_T4_T5_T6_T7_T9_mT8_P12ihipStream_tbDpT10_ENKUlT_T0_E_clISt17integral_constantIbLb0EES18_IbLb1EEEEDaS14_S15_EUlS14_E_NS1_11comp_targetILNS1_3genE4ELNS1_11target_archE910ELNS1_3gpuE8ELNS1_3repE0EEENS1_30default_config_static_selectorELNS0_4arch9wavefront6targetE1EEEvT1_
	.p2align	8
	.type	_ZN7rocprim17ROCPRIM_400000_NS6detail17trampoline_kernelINS0_14default_configENS1_25partition_config_selectorILNS1_17partition_subalgoE0EjNS0_10empty_typeEbEEZZNS1_14partition_implILS5_0ELb0ES3_jN6thrust23THRUST_200600_302600_NS6detail15normal_iteratorINSA_10device_ptrIjEEEEPS6_SG_NS0_5tupleIJNSA_16discard_iteratorINSA_11use_defaultEEESK_EEENSH_IJSG_SG_EEES6_PlJ7is_evenIjEEEE10hipError_tPvRmT3_T4_T5_T6_T7_T9_mT8_P12ihipStream_tbDpT10_ENKUlT_T0_E_clISt17integral_constantIbLb0EES18_IbLb1EEEEDaS14_S15_EUlS14_E_NS1_11comp_targetILNS1_3genE4ELNS1_11target_archE910ELNS1_3gpuE8ELNS1_3repE0EEENS1_30default_config_static_selectorELNS0_4arch9wavefront6targetE1EEEvT1_,@function
_ZN7rocprim17ROCPRIM_400000_NS6detail17trampoline_kernelINS0_14default_configENS1_25partition_config_selectorILNS1_17partition_subalgoE0EjNS0_10empty_typeEbEEZZNS1_14partition_implILS5_0ELb0ES3_jN6thrust23THRUST_200600_302600_NS6detail15normal_iteratorINSA_10device_ptrIjEEEEPS6_SG_NS0_5tupleIJNSA_16discard_iteratorINSA_11use_defaultEEESK_EEENSH_IJSG_SG_EEES6_PlJ7is_evenIjEEEE10hipError_tPvRmT3_T4_T5_T6_T7_T9_mT8_P12ihipStream_tbDpT10_ENKUlT_T0_E_clISt17integral_constantIbLb0EES18_IbLb1EEEEDaS14_S15_EUlS14_E_NS1_11comp_targetILNS1_3genE4ELNS1_11target_archE910ELNS1_3gpuE8ELNS1_3repE0EEENS1_30default_config_static_selectorELNS0_4arch9wavefront6targetE1EEEvT1_: ; @_ZN7rocprim17ROCPRIM_400000_NS6detail17trampoline_kernelINS0_14default_configENS1_25partition_config_selectorILNS1_17partition_subalgoE0EjNS0_10empty_typeEbEEZZNS1_14partition_implILS5_0ELb0ES3_jN6thrust23THRUST_200600_302600_NS6detail15normal_iteratorINSA_10device_ptrIjEEEEPS6_SG_NS0_5tupleIJNSA_16discard_iteratorINSA_11use_defaultEEESK_EEENSH_IJSG_SG_EEES6_PlJ7is_evenIjEEEE10hipError_tPvRmT3_T4_T5_T6_T7_T9_mT8_P12ihipStream_tbDpT10_ENKUlT_T0_E_clISt17integral_constantIbLb0EES18_IbLb1EEEEDaS14_S15_EUlS14_E_NS1_11comp_targetILNS1_3genE4ELNS1_11target_archE910ELNS1_3gpuE8ELNS1_3repE0EEENS1_30default_config_static_selectorELNS0_4arch9wavefront6targetE1EEEvT1_
; %bb.0:
	s_load_dwordx2 s[2:3], s[4:5], 0x68
	s_load_dwordx4 s[20:23], s[4:5], 0x58
	s_load_dwordx2 s[24:25], s[4:5], 0x78
	v_cmp_eq_u32_e64 s[0:1], 0, v0
	s_and_saveexec_b64 s[6:7], s[0:1]
	s_cbranch_execz .LBB2421_4
; %bb.1:
	s_mov_b64 s[10:11], exec
	v_mbcnt_lo_u32_b32 v1, s10, 0
	v_mbcnt_hi_u32_b32 v1, s11, v1
	v_cmp_eq_u32_e32 vcc, 0, v1
                                        ; implicit-def: $vgpr2
	s_and_saveexec_b64 s[8:9], vcc
	s_cbranch_execz .LBB2421_3
; %bb.2:
	s_load_dwordx2 s[12:13], s[4:5], 0x88
	s_bcnt1_i32_b64 s10, s[10:11]
	v_mov_b32_e32 v2, 0
	v_mov_b32_e32 v3, s10
	s_waitcnt lgkmcnt(0)
	global_atomic_add v2, v2, v3, s[12:13] glc
.LBB2421_3:
	s_or_b64 exec, exec, s[8:9]
	s_waitcnt vmcnt(0)
	v_readfirstlane_b32 s8, v2
	v_add_u32_e32 v1, s8, v1
	v_mov_b32_e32 v2, 0
	ds_write_b32 v2, v1
.LBB2421_4:
	s_or_b64 exec, exec, s[6:7]
	v_mov_b32_e32 v3, 0
	s_load_dwordx4 s[8:11], s[4:5], 0x8
	s_load_dword s6, s[4:5], 0x80
	s_waitcnt lgkmcnt(0)
	s_barrier
	ds_read_b32 v1, v3
	s_waitcnt lgkmcnt(0)
	s_barrier
	global_load_dwordx2 v[12:13], v3, s[22:23]
	v_mov_b32_e32 v5, s3
	s_lshl_b64 s[4:5], s[10:11], 2
	s_movk_i32 s3, 0xa00
	s_add_u32 s4, s8, s4
	v_mul_lo_u32 v2, v1, s3
	s_mul_i32 s3, s6, 0xa00
	s_addc_u32 s5, s9, s5
	s_add_i32 s7, s6, -1
	s_add_i32 s6, s3, s10
	s_sub_i32 s6, s2, s6
	v_mov_b32_e32 v4, s2
	s_add_u32 s2, s10, s3
	v_readfirstlane_b32 s30, v1
	s_addc_u32 s3, s11, 0
	s_cmp_eq_u32 s30, s7
	s_cselect_b64 s[18:19], -1, 0
	s_cmp_lg_u32 s30, s7
	v_cmp_lt_u64_e32 vcc, s[2:3], v[4:5]
	s_cselect_b64 s[2:3], -1, 0
	v_lshlrev_b64 v[2:3], 2, v[2:3]
	s_or_b64 s[2:3], vcc, s[2:3]
	v_mov_b32_e32 v4, s5
	v_add_co_u32_e32 v1, vcc, s4, v2
	v_addc_co_u32_e32 v14, vcc, v4, v3, vcc
	s_mov_b64 s[4:5], -1
	s_and_b64 vcc, exec, s[2:3]
	s_cbranch_vccz .LBB2421_6
; %bb.5:
	v_lshlrev_b32_e32 v6, 2, v0
	v_add_co_u32_e32 v2, vcc, v1, v6
	v_addc_co_u32_e32 v3, vcc, 0, v14, vcc
	v_add_co_u32_e32 v4, vcc, 0x1000, v2
	v_addc_co_u32_e32 v5, vcc, 0, v3, vcc
	flat_load_dword v7, v[2:3]
	flat_load_dword v8, v[2:3] offset:1024
	flat_load_dword v9, v[2:3] offset:2048
	;; [unrolled: 1-line block ×3, first 2 shown]
	flat_load_dword v11, v[4:5]
	flat_load_dword v15, v[4:5] offset:1024
	flat_load_dword v16, v[4:5] offset:2048
	;; [unrolled: 1-line block ×3, first 2 shown]
	v_add_co_u32_e32 v2, vcc, 0x2000, v2
	v_addc_co_u32_e32 v3, vcc, 0, v3, vcc
	flat_load_dword v4, v[2:3]
	flat_load_dword v5, v[2:3] offset:1024
	s_mov_b64 s[4:5], 0
	s_waitcnt vmcnt(0) lgkmcnt(0)
	ds_write2st64_b32 v6, v7, v8 offset1:4
	ds_write2st64_b32 v6, v9, v10 offset0:8 offset1:12
	ds_write2st64_b32 v6, v11, v15 offset0:16 offset1:20
	;; [unrolled: 1-line block ×4, first 2 shown]
	s_waitcnt lgkmcnt(0)
	s_barrier
.LBB2421_6:
	s_andn2_b64 vcc, exec, s[4:5]
	s_addk_i32 s6, 0xa00
	s_cbranch_vccnz .LBB2421_28
; %bb.7:
	v_cmp_gt_u32_e32 vcc, s6, v0
                                        ; implicit-def: $vgpr2_vgpr3_vgpr4_vgpr5_vgpr6_vgpr7_vgpr8_vgpr9_vgpr10_vgpr11
	s_and_saveexec_b64 s[4:5], vcc
	s_cbranch_execz .LBB2421_9
; %bb.8:
	v_lshlrev_b32_e32 v2, 2, v0
	v_add_co_u32_e32 v2, vcc, v1, v2
	v_addc_co_u32_e32 v3, vcc, 0, v14, vcc
	flat_load_dword v2, v[2:3]
.LBB2421_9:
	s_or_b64 exec, exec, s[4:5]
	v_or_b32_e32 v15, 0x100, v0
	v_cmp_gt_u32_e32 vcc, s6, v15
	s_and_saveexec_b64 s[4:5], vcc
	s_cbranch_execz .LBB2421_11
; %bb.10:
	v_lshlrev_b32_e32 v3, 2, v0
	v_add_co_u32_e32 v16, vcc, v1, v3
	v_addc_co_u32_e32 v17, vcc, 0, v14, vcc
	flat_load_dword v3, v[16:17] offset:1024
.LBB2421_11:
	s_or_b64 exec, exec, s[4:5]
	v_or_b32_e32 v15, 0x200, v0
	v_cmp_gt_u32_e32 vcc, s6, v15
	s_and_saveexec_b64 s[4:5], vcc
	s_cbranch_execz .LBB2421_13
; %bb.12:
	v_lshlrev_b32_e32 v4, 2, v0
	v_add_co_u32_e32 v16, vcc, v1, v4
	v_addc_co_u32_e32 v17, vcc, 0, v14, vcc
	flat_load_dword v4, v[16:17] offset:2048
.LBB2421_13:
	;; [unrolled: 11-line block ×3, first 2 shown]
	s_or_b64 exec, exec, s[4:5]
	v_or_b32_e32 v15, 0x400, v0
	v_cmp_gt_u32_e32 vcc, s6, v15
	s_and_saveexec_b64 s[4:5], vcc
	s_cbranch_execz .LBB2421_17
; %bb.16:
	v_lshlrev_b32_e32 v6, 2, v15
	v_add_co_u32_e32 v16, vcc, v1, v6
	v_addc_co_u32_e32 v17, vcc, 0, v14, vcc
	flat_load_dword v6, v[16:17]
.LBB2421_17:
	s_or_b64 exec, exec, s[4:5]
	v_or_b32_e32 v15, 0x500, v0
	v_cmp_gt_u32_e32 vcc, s6, v15
	s_and_saveexec_b64 s[4:5], vcc
	s_cbranch_execz .LBB2421_19
; %bb.18:
	v_lshlrev_b32_e32 v7, 2, v15
	v_add_co_u32_e32 v16, vcc, v1, v7
	v_addc_co_u32_e32 v17, vcc, 0, v14, vcc
	flat_load_dword v7, v[16:17]
.LBB2421_19:
	;; [unrolled: 11-line block ×6, first 2 shown]
	s_or_b64 exec, exec, s[4:5]
	v_lshlrev_b32_e32 v1, 2, v0
	s_waitcnt vmcnt(0) lgkmcnt(0)
	ds_write2st64_b32 v1, v2, v3 offset1:4
	ds_write2st64_b32 v1, v4, v5 offset0:8 offset1:12
	ds_write2st64_b32 v1, v6, v7 offset0:16 offset1:20
	ds_write2st64_b32 v1, v8, v9 offset0:24 offset1:28
	ds_write2st64_b32 v1, v10, v11 offset0:32 offset1:36
	s_waitcnt lgkmcnt(0)
	s_barrier
.LBB2421_28:
	v_mul_u32_u24_e32 v24, 10, v0
	v_lshlrev_b32_e32 v30, 2, v24
	ds_read2_b64 v[6:9], v30 offset1:1
	ds_read2_b64 v[2:5], v30 offset0:2 offset1:3
	ds_read_b64 v[10:11], v30 offset:32
	s_andn2_b64 vcc, exec, s[2:3]
	s_waitcnt lgkmcnt(0)
	v_xor_b32_e32 v23, -1, v6
	v_xor_b32_e32 v22, -1, v7
	;; [unrolled: 1-line block ×10, first 2 shown]
	s_barrier
	s_cbranch_vccnz .LBB2421_30
; %bb.29:
	v_mov_b32_e32 v1, 1
	v_and_b32_e32 v26, 1, v23
	v_and_b32_sdwa v27, v22, v1 dst_sel:BYTE_1 dst_unused:UNUSED_PAD src0_sel:DWORD src1_sel:DWORD
	v_and_b32_e32 v28, 1, v21
	v_and_b32_sdwa v29, v20, v1 dst_sel:BYTE_1 dst_unused:UNUSED_PAD src0_sel:DWORD src1_sel:DWORD
	;; [unrolled: 2-line block ×4, first 2 shown]
	v_or_b32_e32 v26, v26, v27
	v_or_b32_sdwa v27, v28, v29 dst_sel:WORD_1 dst_unused:UNUSED_PAD src0_sel:DWORD src1_sel:DWORD
	v_or_b32_sdwa v27, v26, v27 dst_sel:DWORD dst_unused:UNUSED_PAD src0_sel:WORD_0 src1_sel:DWORD
	v_or_b32_e32 v26, v31, v32
	v_or_b32_sdwa v28, v33, v34 dst_sel:WORD_1 dst_unused:UNUSED_PAD src0_sel:DWORD src1_sel:DWORD
	v_and_b32_e32 v25, 1, v15
	v_and_b32_e32 v1, 1, v14
	v_or_b32_sdwa v26, v26, v28 dst_sel:DWORD dst_unused:UNUSED_PAD src0_sel:WORD_0 src1_sel:DWORD
	s_cbranch_execz .LBB2421_31
	s_branch .LBB2421_32
.LBB2421_30:
                                        ; implicit-def: $vgpr1
                                        ; implicit-def: $vgpr25
                                        ; implicit-def: $vgpr26
                                        ; implicit-def: $vgpr27
.LBB2421_31:
	v_or_b32_e32 v33, 1, v24
	v_cmp_gt_u32_e32 vcc, s6, v24
	v_add_u32_e32 v1, 2, v24
	v_cndmask_b32_e64 v34, 0, 1, vcc
	v_cmp_gt_u32_e32 vcc, s6, v33
	v_add_u32_e32 v32, 3, v24
	v_cndmask_b32_e64 v33, 0, 1, vcc
	;; [unrolled: 3-line block ×3, first 2 shown]
	v_cmp_gt_u32_e32 vcc, s6, v32
	v_add_u32_e32 v31, 5, v24
	v_and_b32_e32 v21, v1, v21
	v_cndmask_b32_e64 v1, 0, 1, vcc
	v_cmp_gt_u32_e32 vcc, s6, v25
	v_add_u32_e32 v26, 6, v24
	v_and_b32_sdwa v20, v1, v20 dst_sel:BYTE_1 dst_unused:UNUSED_PAD src0_sel:DWORD src1_sel:DWORD
	v_cndmask_b32_e64 v1, 0, 1, vcc
	v_cmp_gt_u32_e32 vcc, s6, v31
	v_add_u32_e32 v29, 7, v24
	v_and_b32_e32 v19, v1, v19
	v_cndmask_b32_e64 v1, 0, 1, vcc
	v_cmp_gt_u32_e32 vcc, s6, v26
	v_add_u32_e32 v27, 8, v24
	v_and_b32_sdwa v18, v1, v18 dst_sel:BYTE_1 dst_unused:UNUSED_PAD src0_sel:DWORD src1_sel:DWORD
	v_cndmask_b32_e64 v1, 0, 1, vcc
	v_cmp_gt_u32_e32 vcc, s6, v29
	v_add_u32_e32 v28, 9, v24
	v_and_b32_e32 v17, v1, v17
	v_cndmask_b32_e64 v1, 0, 1, vcc
	v_cmp_gt_u32_e32 vcc, s6, v27
	v_and_b32_sdwa v16, v1, v16 dst_sel:BYTE_1 dst_unused:UNUSED_PAD src0_sel:DWORD src1_sel:DWORD
	v_cndmask_b32_e64 v1, 0, 1, vcc
	v_cmp_gt_u32_e32 vcc, s6, v28
	v_and_b32_e32 v23, v34, v23
	v_and_b32_sdwa v22, v33, v22 dst_sel:BYTE_1 dst_unused:UNUSED_PAD src0_sel:DWORD src1_sel:DWORD
	v_and_b32_e32 v25, v1, v15
	v_cndmask_b32_e64 v1, 0, 1, vcc
	v_and_b32_e32 v1, v1, v14
	v_or_b32_e32 v14, v23, v22
	v_or_b32_sdwa v15, v21, v20 dst_sel:WORD_1 dst_unused:UNUSED_PAD src0_sel:DWORD src1_sel:DWORD
	v_or_b32_sdwa v27, v14, v15 dst_sel:DWORD dst_unused:UNUSED_PAD src0_sel:WORD_0 src1_sel:DWORD
	v_or_b32_e32 v14, v19, v18
	v_or_b32_sdwa v15, v17, v16 dst_sel:WORD_1 dst_unused:UNUSED_PAD src0_sel:DWORD src1_sel:DWORD
	v_or_b32_sdwa v26, v14, v15 dst_sel:DWORD dst_unused:UNUSED_PAD src0_sel:WORD_0 src1_sel:DWORD
.LBB2421_32:
	v_bfe_u32 v31, v27, 16, 8
	v_lshrrev_b32_e32 v29, 24, v27
	v_add_u32_sdwa v15, v27, v27 dst_sel:DWORD dst_unused:UNUSED_PAD src0_sel:BYTE_1 src1_sel:BYTE_0
	v_and_b32_e32 v32, 0xff, v26
	v_bfe_u32 v33, v26, 8, 8
	v_add3_u32 v15, v15, v31, v29
	v_bfe_u32 v34, v26, 16, 8
	v_lshrrev_b32_e32 v28, 24, v26
	v_add3_u32 v15, v15, v32, v33
	v_and_b32_e32 v35, 0xff, v25
	v_and_b32_e32 v14, 0xff, v1
	v_add3_u32 v15, v15, v34, v28
	v_add3_u32 v38, v15, v35, v14
	v_mbcnt_lo_u32_b32 v14, -1, 0
	v_mbcnt_hi_u32_b32 v36, -1, v14
	v_and_b32_e32 v14, 15, v36
	v_cmp_eq_u32_e64 s[14:15], 0, v14
	v_cmp_lt_u32_e64 s[12:13], 1, v14
	v_cmp_lt_u32_e64 s[10:11], 3, v14
	;; [unrolled: 1-line block ×3, first 2 shown]
	v_and_b32_e32 v14, 16, v36
	v_cmp_eq_u32_e64 s[6:7], 0, v14
	v_or_b32_e32 v14, 63, v0
	s_cmp_lg_u32 s30, 0
	v_cmp_lt_u32_e64 s[2:3], 31, v36
	v_lshrrev_b32_e32 v37, 6, v0
	v_cmp_eq_u32_e64 s[4:5], v14, v0
	s_cbranch_scc0 .LBB2421_59
; %bb.33:
	v_mov_b32_dpp v14, v38 row_shr:1 row_mask:0xf bank_mask:0xf
	v_cndmask_b32_e64 v14, v14, 0, s[14:15]
	v_add_u32_e32 v14, v14, v38
	s_nop 1
	v_mov_b32_dpp v15, v14 row_shr:2 row_mask:0xf bank_mask:0xf
	v_cndmask_b32_e64 v15, 0, v15, s[12:13]
	v_add_u32_e32 v14, v14, v15
	s_nop 1
	;; [unrolled: 4-line block ×4, first 2 shown]
	v_mov_b32_dpp v15, v14 row_bcast:15 row_mask:0xf bank_mask:0xf
	v_cndmask_b32_e64 v15, v15, 0, s[6:7]
	v_add_u32_e32 v14, v14, v15
	s_nop 1
	v_mov_b32_dpp v15, v14 row_bcast:31 row_mask:0xf bank_mask:0xf
	v_cndmask_b32_e64 v15, 0, v15, s[2:3]
	v_add_u32_e32 v14, v14, v15
	s_and_saveexec_b64 s[16:17], s[4:5]
	s_cbranch_execz .LBB2421_35
; %bb.34:
	v_lshlrev_b32_e32 v15, 2, v37
	ds_write_b32 v15, v14
.LBB2421_35:
	s_or_b64 exec, exec, s[16:17]
	v_cmp_gt_u32_e32 vcc, 4, v0
	s_waitcnt lgkmcnt(0)
	s_barrier
	s_and_saveexec_b64 s[16:17], vcc
	s_cbranch_execz .LBB2421_37
; %bb.36:
	v_lshlrev_b32_e32 v15, 2, v0
	ds_read_b32 v16, v15
	v_and_b32_e32 v17, 3, v36
	v_cmp_ne_u32_e32 vcc, 0, v17
	s_waitcnt lgkmcnt(0)
	v_mov_b32_dpp v18, v16 row_shr:1 row_mask:0xf bank_mask:0xf
	v_cndmask_b32_e32 v18, 0, v18, vcc
	v_add_u32_e32 v16, v18, v16
	v_cmp_lt_u32_e32 vcc, 1, v17
	s_nop 0
	v_mov_b32_dpp v18, v16 row_shr:2 row_mask:0xf bank_mask:0xf
	v_cndmask_b32_e32 v17, 0, v18, vcc
	v_add_u32_e32 v16, v16, v17
	ds_write_b32 v15, v16
.LBB2421_37:
	s_or_b64 exec, exec, s[16:17]
	v_cmp_gt_u32_e32 vcc, 64, v0
	v_cmp_lt_u32_e64 s[16:17], 63, v0
	s_waitcnt lgkmcnt(0)
	s_barrier
	s_waitcnt lgkmcnt(0)
                                        ; implicit-def: $vgpr39
	s_and_saveexec_b64 s[22:23], s[16:17]
	s_cbranch_execz .LBB2421_39
; %bb.38:
	v_lshl_add_u32 v15, v37, 2, -4
	ds_read_b32 v39, v15
	s_waitcnt lgkmcnt(0)
	v_add_u32_e32 v14, v39, v14
.LBB2421_39:
	s_or_b64 exec, exec, s[22:23]
	v_add_u32_e32 v15, -1, v36
	v_and_b32_e32 v16, 64, v36
	v_cmp_lt_i32_e64 s[16:17], v15, v16
	v_cndmask_b32_e64 v15, v15, v36, s[16:17]
	v_lshlrev_b32_e32 v15, 2, v15
	ds_bpermute_b32 v40, v15, v14
	v_cmp_eq_u32_e64 s[16:17], 0, v36
	s_and_saveexec_b64 s[22:23], vcc
	s_cbranch_execz .LBB2421_58
; %bb.40:
	v_mov_b32_e32 v21, 0
	ds_read_b32 v14, v21 offset:12
	s_and_saveexec_b64 s[26:27], s[16:17]
	s_cbranch_execz .LBB2421_42
; %bb.41:
	s_add_i32 s28, s30, 64
	s_mov_b32 s29, 0
	s_lshl_b64 s[28:29], s[28:29], 3
	s_add_u32 s28, s24, s28
	v_mov_b32_e32 v15, 1
	s_addc_u32 s29, s25, s29
	s_waitcnt lgkmcnt(0)
	global_store_dwordx2 v21, v[14:15], s[28:29]
.LBB2421_42:
	s_or_b64 exec, exec, s[26:27]
	v_xad_u32 v16, v36, -1, s30
	v_add_u32_e32 v20, 64, v16
	v_lshlrev_b64 v[18:19], 3, v[20:21]
	v_mov_b32_e32 v15, s25
	v_add_co_u32_e32 v22, vcc, s24, v18
	v_addc_co_u32_e32 v23, vcc, v15, v19, vcc
	global_load_dwordx2 v[18:19], v[22:23], off glc
	s_waitcnt vmcnt(0)
	v_cmp_eq_u16_sdwa s[28:29], v19, v21 src0_sel:BYTE_0 src1_sel:DWORD
	s_and_saveexec_b64 s[26:27], s[28:29]
	s_cbranch_execz .LBB2421_46
; %bb.43:
	s_mov_b64 s[28:29], 0
	v_mov_b32_e32 v15, 0
.LBB2421_44:                            ; =>This Inner Loop Header: Depth=1
	global_load_dwordx2 v[18:19], v[22:23], off glc
	s_waitcnt vmcnt(0)
	v_cmp_ne_u16_sdwa s[34:35], v19, v15 src0_sel:BYTE_0 src1_sel:DWORD
	s_or_b64 s[28:29], s[34:35], s[28:29]
	s_andn2_b64 exec, exec, s[28:29]
	s_cbranch_execnz .LBB2421_44
; %bb.45:
	s_or_b64 exec, exec, s[28:29]
.LBB2421_46:
	s_or_b64 exec, exec, s[26:27]
	v_and_b32_e32 v42, 63, v36
	v_mov_b32_e32 v41, 2
	v_cmp_ne_u32_e32 vcc, 63, v42
	v_cmp_eq_u16_sdwa s[26:27], v19, v41 src0_sel:BYTE_0 src1_sel:DWORD
	v_lshlrev_b64 v[20:21], v36, -1
	v_addc_co_u32_e32 v22, vcc, 0, v36, vcc
	v_and_b32_e32 v15, s27, v21
	v_lshlrev_b32_e32 v43, 2, v22
	v_or_b32_e32 v15, 0x80000000, v15
	ds_bpermute_b32 v22, v43, v18
	v_and_b32_e32 v17, s26, v20
	v_ffbl_b32_e32 v15, v15
	v_add_u32_e32 v15, 32, v15
	v_ffbl_b32_e32 v17, v17
	v_min_u32_e32 v15, v17, v15
	v_cmp_lt_u32_e32 vcc, v42, v15
	s_waitcnt lgkmcnt(0)
	v_cndmask_b32_e32 v17, 0, v22, vcc
	v_cmp_gt_u32_e32 vcc, 62, v42
	v_add_u32_e32 v17, v17, v18
	v_cndmask_b32_e64 v18, 0, 1, vcc
	v_lshlrev_b32_e32 v18, 1, v18
	v_add_lshl_u32 v44, v18, v36, 2
	ds_bpermute_b32 v18, v44, v17
	v_add_u32_e32 v45, 2, v42
	v_cmp_le_u32_e32 vcc, v45, v15
	v_add_u32_e32 v47, 4, v42
	v_add_u32_e32 v49, 8, v42
	s_waitcnt lgkmcnt(0)
	v_cndmask_b32_e32 v18, 0, v18, vcc
	v_cmp_gt_u32_e32 vcc, 60, v42
	v_add_u32_e32 v17, v17, v18
	v_cndmask_b32_e64 v18, 0, 1, vcc
	v_lshlrev_b32_e32 v18, 2, v18
	v_add_lshl_u32 v46, v18, v36, 2
	ds_bpermute_b32 v18, v46, v17
	v_cmp_le_u32_e32 vcc, v47, v15
	v_add_u32_e32 v51, 16, v42
	v_add_u32_e32 v53, 32, v42
	s_waitcnt lgkmcnt(0)
	v_cndmask_b32_e32 v18, 0, v18, vcc
	v_cmp_gt_u32_e32 vcc, 56, v42
	v_add_u32_e32 v17, v17, v18
	v_cndmask_b32_e64 v18, 0, 1, vcc
	v_lshlrev_b32_e32 v18, 3, v18
	v_add_lshl_u32 v48, v18, v36, 2
	ds_bpermute_b32 v18, v48, v17
	v_cmp_le_u32_e32 vcc, v49, v15
	s_waitcnt lgkmcnt(0)
	v_cndmask_b32_e32 v18, 0, v18, vcc
	v_cmp_gt_u32_e32 vcc, 48, v42
	v_add_u32_e32 v17, v17, v18
	v_cndmask_b32_e64 v18, 0, 1, vcc
	v_lshlrev_b32_e32 v18, 4, v18
	v_add_lshl_u32 v50, v18, v36, 2
	ds_bpermute_b32 v18, v50, v17
	v_cmp_le_u32_e32 vcc, v51, v15
	;; [unrolled: 9-line block ×3, first 2 shown]
	s_waitcnt lgkmcnt(0)
	v_cndmask_b32_e32 v15, 0, v18, vcc
	v_add_u32_e32 v18, v17, v15
	v_mov_b32_e32 v17, 0
	s_branch .LBB2421_48
.LBB2421_47:                            ;   in Loop: Header=BB2421_48 Depth=1
	s_or_b64 exec, exec, s[26:27]
	v_cmp_eq_u16_sdwa s[26:27], v19, v41 src0_sel:BYTE_0 src1_sel:DWORD
	v_and_b32_e32 v22, s27, v21
	v_or_b32_e32 v22, 0x80000000, v22
	ds_bpermute_b32 v54, v43, v18
	v_and_b32_e32 v23, s26, v20
	v_ffbl_b32_e32 v22, v22
	v_add_u32_e32 v22, 32, v22
	v_ffbl_b32_e32 v23, v23
	v_min_u32_e32 v22, v23, v22
	v_cmp_lt_u32_e32 vcc, v42, v22
	s_waitcnt lgkmcnt(0)
	v_cndmask_b32_e32 v23, 0, v54, vcc
	v_add_u32_e32 v18, v23, v18
	ds_bpermute_b32 v23, v44, v18
	v_cmp_le_u32_e32 vcc, v45, v22
	v_subrev_u32_e32 v16, 64, v16
	s_waitcnt lgkmcnt(0)
	v_cndmask_b32_e32 v23, 0, v23, vcc
	v_add_u32_e32 v18, v18, v23
	ds_bpermute_b32 v23, v46, v18
	v_cmp_le_u32_e32 vcc, v47, v22
	s_waitcnt lgkmcnt(0)
	v_cndmask_b32_e32 v23, 0, v23, vcc
	v_add_u32_e32 v18, v18, v23
	ds_bpermute_b32 v23, v48, v18
	v_cmp_le_u32_e32 vcc, v49, v22
	;; [unrolled: 5-line block ×4, first 2 shown]
	s_waitcnt lgkmcnt(0)
	v_cndmask_b32_e32 v22, 0, v23, vcc
	v_add3_u32 v18, v22, v15, v18
.LBB2421_48:                            ; =>This Loop Header: Depth=1
                                        ;     Child Loop BB2421_51 Depth 2
	v_cmp_ne_u16_sdwa s[26:27], v19, v41 src0_sel:BYTE_0 src1_sel:DWORD
	v_cndmask_b32_e64 v15, 0, 1, s[26:27]
	;;#ASMSTART
	;;#ASMEND
	v_cmp_ne_u32_e32 vcc, 0, v15
	s_cmp_lg_u64 vcc, exec
	v_mov_b32_e32 v15, v18
	s_cbranch_scc1 .LBB2421_53
; %bb.49:                               ;   in Loop: Header=BB2421_48 Depth=1
	v_lshlrev_b64 v[18:19], 3, v[16:17]
	v_mov_b32_e32 v23, s25
	v_add_co_u32_e32 v22, vcc, s24, v18
	v_addc_co_u32_e32 v23, vcc, v23, v19, vcc
	global_load_dwordx2 v[18:19], v[22:23], off glc
	s_waitcnt vmcnt(0)
	v_cmp_eq_u16_sdwa s[28:29], v19, v17 src0_sel:BYTE_0 src1_sel:DWORD
	s_and_saveexec_b64 s[26:27], s[28:29]
	s_cbranch_execz .LBB2421_47
; %bb.50:                               ;   in Loop: Header=BB2421_48 Depth=1
	s_mov_b64 s[28:29], 0
.LBB2421_51:                            ;   Parent Loop BB2421_48 Depth=1
                                        ; =>  This Inner Loop Header: Depth=2
	global_load_dwordx2 v[18:19], v[22:23], off glc
	s_waitcnt vmcnt(0)
	v_cmp_ne_u16_sdwa s[34:35], v19, v17 src0_sel:BYTE_0 src1_sel:DWORD
	s_or_b64 s[28:29], s[34:35], s[28:29]
	s_andn2_b64 exec, exec, s[28:29]
	s_cbranch_execnz .LBB2421_51
; %bb.52:                               ;   in Loop: Header=BB2421_48 Depth=1
	s_or_b64 exec, exec, s[28:29]
	s_branch .LBB2421_47
.LBB2421_53:                            ;   in Loop: Header=BB2421_48 Depth=1
                                        ; implicit-def: $vgpr18
                                        ; implicit-def: $vgpr19
	s_cbranch_execz .LBB2421_48
; %bb.54:
	s_and_saveexec_b64 s[26:27], s[16:17]
	s_cbranch_execz .LBB2421_56
; %bb.55:
	s_add_i32 s28, s30, 64
	s_mov_b32 s29, 0
	s_lshl_b64 s[28:29], s[28:29], 3
	s_add_u32 s28, s24, s28
	v_add_u32_e32 v16, v15, v14
	v_mov_b32_e32 v17, 2
	s_addc_u32 s29, s25, s29
	v_mov_b32_e32 v18, 0
	global_store_dwordx2 v18, v[16:17], s[28:29]
	ds_write_b64 v18, v[14:15] offset:10240
.LBB2421_56:
	s_or_b64 exec, exec, s[26:27]
	s_and_b64 exec, exec, s[0:1]
	s_cbranch_execz .LBB2421_58
; %bb.57:
	v_mov_b32_e32 v14, 0
	ds_write_b32 v14, v15 offset:12
.LBB2421_58:
	s_or_b64 exec, exec, s[22:23]
	v_mov_b32_e32 v14, 0
	s_waitcnt lgkmcnt(0)
	s_barrier
	ds_read_b32 v15, v14 offset:12
	v_cndmask_b32_e64 v16, v40, v39, s[16:17]
	v_cndmask_b32_e64 v16, v16, 0, s[0:1]
	s_waitcnt lgkmcnt(0)
	s_barrier
	v_add_u32_e32 v40, v15, v16
	v_add_u32_sdwa v39, v40, v27 dst_sel:DWORD dst_unused:UNUSED_PAD src0_sel:DWORD src1_sel:BYTE_0
	v_add_u32_sdwa v23, v39, v27 dst_sel:DWORD dst_unused:UNUSED_PAD src0_sel:DWORD src1_sel:BYTE_1
	v_add_u32_e32 v22, v23, v31
	v_add_u32_e32 v21, v22, v29
	;; [unrolled: 1-line block ×3, first 2 shown]
	ds_read_b64 v[14:15], v14 offset:10240
	v_add_u32_e32 v19, v20, v33
	v_add_u32_e32 v18, v19, v34
	;; [unrolled: 1-line block ×4, first 2 shown]
	s_branch .LBB2421_69
.LBB2421_59:
                                        ; implicit-def: $vgpr15
                                        ; implicit-def: $vgpr16
                                        ; implicit-def: $vgpr17
                                        ; implicit-def: $vgpr18
                                        ; implicit-def: $vgpr19
                                        ; implicit-def: $vgpr20
                                        ; implicit-def: $vgpr21
                                        ; implicit-def: $vgpr22
                                        ; implicit-def: $vgpr23
                                        ; implicit-def: $vgpr39
                                        ; implicit-def: $vgpr40
	s_cbranch_execz .LBB2421_69
; %bb.60:
	s_waitcnt lgkmcnt(0)
	v_mov_b32_dpp v14, v38 row_shr:1 row_mask:0xf bank_mask:0xf
	v_cndmask_b32_e64 v14, v14, 0, s[14:15]
	v_add_u32_e32 v14, v14, v38
	s_nop 1
	v_mov_b32_dpp v15, v14 row_shr:2 row_mask:0xf bank_mask:0xf
	v_cndmask_b32_e64 v15, 0, v15, s[12:13]
	v_add_u32_e32 v14, v14, v15
	s_nop 1
	v_mov_b32_dpp v15, v14 row_shr:4 row_mask:0xf bank_mask:0xf
	v_cndmask_b32_e64 v15, 0, v15, s[10:11]
	v_add_u32_e32 v14, v14, v15
	s_nop 1
	v_mov_b32_dpp v15, v14 row_shr:8 row_mask:0xf bank_mask:0xf
	v_cndmask_b32_e64 v15, 0, v15, s[8:9]
	v_add_u32_e32 v14, v14, v15
	s_nop 1
	v_mov_b32_dpp v15, v14 row_bcast:15 row_mask:0xf bank_mask:0xf
	v_cndmask_b32_e64 v15, v15, 0, s[6:7]
	v_add_u32_e32 v14, v14, v15
	s_nop 1
	v_mov_b32_dpp v15, v14 row_bcast:31 row_mask:0xf bank_mask:0xf
	v_cndmask_b32_e64 v15, 0, v15, s[2:3]
	v_add_u32_e32 v14, v14, v15
	s_and_saveexec_b64 s[2:3], s[4:5]
	s_cbranch_execz .LBB2421_62
; %bb.61:
	v_lshlrev_b32_e32 v15, 2, v37
	ds_write_b32 v15, v14
.LBB2421_62:
	s_or_b64 exec, exec, s[2:3]
	v_cmp_gt_u32_e32 vcc, 4, v0
	s_waitcnt lgkmcnt(0)
	s_barrier
	s_and_saveexec_b64 s[2:3], vcc
	s_cbranch_execz .LBB2421_64
; %bb.63:
	s_movk_i32 s4, 0xffdc
	v_mad_i32_i24 v15, v0, s4, v30
	ds_read_b32 v16, v15
	v_and_b32_e32 v17, 3, v36
	v_cmp_ne_u32_e32 vcc, 0, v17
	s_waitcnt lgkmcnt(0)
	v_mov_b32_dpp v18, v16 row_shr:1 row_mask:0xf bank_mask:0xf
	v_cndmask_b32_e32 v18, 0, v18, vcc
	v_add_u32_e32 v16, v18, v16
	v_cmp_lt_u32_e32 vcc, 1, v17
	s_nop 0
	v_mov_b32_dpp v18, v16 row_shr:2 row_mask:0xf bank_mask:0xf
	v_cndmask_b32_e32 v17, 0, v18, vcc
	v_add_u32_e32 v16, v16, v17
	ds_write_b32 v15, v16
.LBB2421_64:
	s_or_b64 exec, exec, s[2:3]
	v_cmp_lt_u32_e32 vcc, 63, v0
	v_mov_b32_e32 v15, 0
	v_mov_b32_e32 v0, 0
	s_waitcnt lgkmcnt(0)
	s_barrier
	s_and_saveexec_b64 s[2:3], vcc
	s_cbranch_execz .LBB2421_66
; %bb.65:
	v_lshl_add_u32 v0, v37, 2, -4
	ds_read_b32 v0, v0
.LBB2421_66:
	s_or_b64 exec, exec, s[2:3]
	v_add_u32_e32 v16, -1, v36
	v_and_b32_e32 v17, 64, v36
	v_cmp_lt_i32_e32 vcc, v16, v17
	v_cndmask_b32_e32 v16, v16, v36, vcc
	s_waitcnt lgkmcnt(0)
	v_add_u32_e32 v14, v0, v14
	v_lshlrev_b32_e32 v16, 2, v16
	ds_bpermute_b32 v16, v16, v14
	ds_read_b32 v14, v15 offset:12
	s_and_saveexec_b64 s[2:3], s[0:1]
	s_cbranch_execz .LBB2421_68
; %bb.67:
	v_mov_b32_e32 v17, 0
	v_mov_b32_e32 v15, 2
	s_waitcnt lgkmcnt(0)
	global_store_dwordx2 v17, v[14:15], s[24:25] offset:512
.LBB2421_68:
	s_or_b64 exec, exec, s[2:3]
	v_cmp_eq_u32_e32 vcc, 0, v36
	s_waitcnt lgkmcnt(1)
	v_cndmask_b32_e32 v0, v16, v0, vcc
	v_cndmask_b32_e64 v40, v0, 0, s[0:1]
	v_add_u32_sdwa v39, v40, v27 dst_sel:DWORD dst_unused:UNUSED_PAD src0_sel:DWORD src1_sel:BYTE_0
	v_add_u32_sdwa v23, v39, v27 dst_sel:DWORD dst_unused:UNUSED_PAD src0_sel:DWORD src1_sel:BYTE_1
	v_add_u32_e32 v22, v23, v31
	v_add_u32_e32 v21, v22, v29
	;; [unrolled: 1-line block ×6, first 2 shown]
	v_mov_b32_e32 v15, 0
	v_add_u32_e32 v16, v17, v35
	s_waitcnt lgkmcnt(0)
	s_barrier
.LBB2421_69:
	s_waitcnt lgkmcnt(0)
	v_add_u32_e32 v24, v14, v24
	v_sub_u32_e32 v31, v40, v15
	v_and_b32_e32 v33, 1, v27
	v_sub_u32_e32 v32, v24, v31
	v_cmp_eq_u32_e32 vcc, 1, v33
	v_cndmask_b32_e32 v31, v32, v31, vcc
	v_lshlrev_b32_e32 v31, 2, v31
	v_lshrrev_b32_e32 v30, 8, v27
	ds_write_b32 v31, v6
	v_sub_u32_e32 v6, v39, v15
	v_sub_u32_e32 v31, v24, v6
	v_and_b32_e32 v30, 1, v30
	v_add_u32_e32 v31, 1, v31
	v_cmp_eq_u32_e32 vcc, 1, v30
	v_cndmask_b32_e32 v6, v31, v6, vcc
	v_lshlrev_b32_e32 v6, 2, v6
	ds_write_b32 v6, v7
	v_sub_u32_e32 v6, v23, v15
	v_mov_b32_e32 v23, 1
	v_sub_u32_e32 v7, v24, v6
	v_and_b32_sdwa v27, v23, v27 dst_sel:DWORD dst_unused:UNUSED_PAD src0_sel:DWORD src1_sel:WORD_1
	v_add_u32_e32 v7, 2, v7
	v_cmp_eq_u32_e32 vcc, 1, v27
	v_cndmask_b32_e32 v6, v7, v6, vcc
	v_lshlrev_b32_e32 v6, 2, v6
	ds_write_b32 v6, v8
	v_sub_u32_e32 v6, v22, v15
	v_sub_u32_e32 v7, v24, v6
	v_and_b32_e32 v8, 1, v29
	v_add_u32_e32 v7, 3, v7
	v_cmp_eq_u32_e32 vcc, 1, v8
	v_cndmask_b32_e32 v6, v7, v6, vcc
	v_lshlrev_b32_e32 v6, 2, v6
	ds_write_b32 v6, v9
	v_sub_u32_e32 v6, v21, v15
	v_sub_u32_e32 v7, v24, v6
	v_and_b32_e32 v8, 1, v26
	v_add_u32_e32 v7, 4, v7
	v_cmp_eq_u32_e32 vcc, 1, v8
	v_cndmask_b32_e32 v6, v7, v6, vcc
	v_lshlrev_b32_e32 v6, 2, v6
	v_lshrrev_b32_e32 v0, 8, v26
	ds_write_b32 v6, v2
	v_sub_u32_e32 v2, v20, v15
	v_sub_u32_e32 v6, v24, v2
	v_and_b32_e32 v0, 1, v0
	v_add_u32_e32 v6, 5, v6
	v_cmp_eq_u32_e32 vcc, 1, v0
	v_cndmask_b32_e32 v0, v6, v2, vcc
	v_lshlrev_b32_e32 v0, 2, v0
	ds_write_b32 v0, v3
	v_sub_u32_e32 v0, v19, v15
	v_sub_u32_e32 v2, v24, v0
	v_and_b32_sdwa v3, v23, v26 dst_sel:DWORD dst_unused:UNUSED_PAD src0_sel:DWORD src1_sel:WORD_1
	v_add_u32_e32 v2, 6, v2
	v_cmp_eq_u32_e32 vcc, 1, v3
	v_cndmask_b32_e32 v0, v2, v0, vcc
	v_lshlrev_b32_e32 v0, 2, v0
	ds_write_b32 v0, v4
	v_sub_u32_e32 v0, v18, v15
	v_sub_u32_e32 v2, v24, v0
	v_and_b32_e32 v3, 1, v28
	v_add_u32_e32 v2, 7, v2
	v_cmp_eq_u32_e32 vcc, 1, v3
	v_cndmask_b32_e32 v0, v2, v0, vcc
	v_lshlrev_b32_e32 v0, 2, v0
	ds_write_b32 v0, v5
	v_sub_u32_e32 v0, v17, v15
	v_sub_u32_e32 v2, v24, v0
	v_and_b32_e32 v3, 1, v25
	;; [unrolled: 8-line block ×3, first 2 shown]
	v_add_u32_e32 v2, 9, v2
	v_cmp_eq_u32_e32 vcc, 1, v1
	v_cndmask_b32_e32 v0, v2, v0, vcc
	v_lshlrev_b32_e32 v0, 2, v0
	s_and_b64 s[0:1], s[0:1], s[18:19]
	ds_write_b32 v0, v11
	s_waitcnt lgkmcnt(0)
	s_barrier
	s_and_saveexec_b64 s[2:3], s[0:1]
	s_cbranch_execz .LBB2421_71
; %bb.70:
	s_waitcnt vmcnt(0)
	v_add_co_u32_e32 v0, vcc, v12, v14
	v_addc_co_u32_e32 v1, vcc, 0, v13, vcc
	v_add_co_u32_e32 v0, vcc, v0, v15
	v_mov_b32_e32 v2, 0
	v_addc_co_u32_e32 v1, vcc, 0, v1, vcc
	global_store_dwordx2 v2, v[0:1], s[20:21]
.LBB2421_71:
	s_endpgm
	.section	.rodata,"a",@progbits
	.p2align	6, 0x0
	.amdhsa_kernel _ZN7rocprim17ROCPRIM_400000_NS6detail17trampoline_kernelINS0_14default_configENS1_25partition_config_selectorILNS1_17partition_subalgoE0EjNS0_10empty_typeEbEEZZNS1_14partition_implILS5_0ELb0ES3_jN6thrust23THRUST_200600_302600_NS6detail15normal_iteratorINSA_10device_ptrIjEEEEPS6_SG_NS0_5tupleIJNSA_16discard_iteratorINSA_11use_defaultEEESK_EEENSH_IJSG_SG_EEES6_PlJ7is_evenIjEEEE10hipError_tPvRmT3_T4_T5_T6_T7_T9_mT8_P12ihipStream_tbDpT10_ENKUlT_T0_E_clISt17integral_constantIbLb0EES18_IbLb1EEEEDaS14_S15_EUlS14_E_NS1_11comp_targetILNS1_3genE4ELNS1_11target_archE910ELNS1_3gpuE8ELNS1_3repE0EEENS1_30default_config_static_selectorELNS0_4arch9wavefront6targetE1EEEvT1_
		.amdhsa_group_segment_fixed_size 10248
		.amdhsa_private_segment_fixed_size 0
		.amdhsa_kernarg_size 152
		.amdhsa_user_sgpr_count 6
		.amdhsa_user_sgpr_private_segment_buffer 1
		.amdhsa_user_sgpr_dispatch_ptr 0
		.amdhsa_user_sgpr_queue_ptr 0
		.amdhsa_user_sgpr_kernarg_segment_ptr 1
		.amdhsa_user_sgpr_dispatch_id 0
		.amdhsa_user_sgpr_flat_scratch_init 0
		.amdhsa_user_sgpr_kernarg_preload_length 0
		.amdhsa_user_sgpr_kernarg_preload_offset 0
		.amdhsa_user_sgpr_private_segment_size 0
		.amdhsa_uses_dynamic_stack 0
		.amdhsa_system_sgpr_private_segment_wavefront_offset 0
		.amdhsa_system_sgpr_workgroup_id_x 1
		.amdhsa_system_sgpr_workgroup_id_y 0
		.amdhsa_system_sgpr_workgroup_id_z 0
		.amdhsa_system_sgpr_workgroup_info 0
		.amdhsa_system_vgpr_workitem_id 0
		.amdhsa_next_free_vgpr 55
		.amdhsa_next_free_sgpr 36
		.amdhsa_accum_offset 56
		.amdhsa_reserve_vcc 1
		.amdhsa_reserve_flat_scratch 0
		.amdhsa_float_round_mode_32 0
		.amdhsa_float_round_mode_16_64 0
		.amdhsa_float_denorm_mode_32 3
		.amdhsa_float_denorm_mode_16_64 3
		.amdhsa_dx10_clamp 1
		.amdhsa_ieee_mode 1
		.amdhsa_fp16_overflow 0
		.amdhsa_tg_split 0
		.amdhsa_exception_fp_ieee_invalid_op 0
		.amdhsa_exception_fp_denorm_src 0
		.amdhsa_exception_fp_ieee_div_zero 0
		.amdhsa_exception_fp_ieee_overflow 0
		.amdhsa_exception_fp_ieee_underflow 0
		.amdhsa_exception_fp_ieee_inexact 0
		.amdhsa_exception_int_div_zero 0
	.end_amdhsa_kernel
	.section	.text._ZN7rocprim17ROCPRIM_400000_NS6detail17trampoline_kernelINS0_14default_configENS1_25partition_config_selectorILNS1_17partition_subalgoE0EjNS0_10empty_typeEbEEZZNS1_14partition_implILS5_0ELb0ES3_jN6thrust23THRUST_200600_302600_NS6detail15normal_iteratorINSA_10device_ptrIjEEEEPS6_SG_NS0_5tupleIJNSA_16discard_iteratorINSA_11use_defaultEEESK_EEENSH_IJSG_SG_EEES6_PlJ7is_evenIjEEEE10hipError_tPvRmT3_T4_T5_T6_T7_T9_mT8_P12ihipStream_tbDpT10_ENKUlT_T0_E_clISt17integral_constantIbLb0EES18_IbLb1EEEEDaS14_S15_EUlS14_E_NS1_11comp_targetILNS1_3genE4ELNS1_11target_archE910ELNS1_3gpuE8ELNS1_3repE0EEENS1_30default_config_static_selectorELNS0_4arch9wavefront6targetE1EEEvT1_,"axG",@progbits,_ZN7rocprim17ROCPRIM_400000_NS6detail17trampoline_kernelINS0_14default_configENS1_25partition_config_selectorILNS1_17partition_subalgoE0EjNS0_10empty_typeEbEEZZNS1_14partition_implILS5_0ELb0ES3_jN6thrust23THRUST_200600_302600_NS6detail15normal_iteratorINSA_10device_ptrIjEEEEPS6_SG_NS0_5tupleIJNSA_16discard_iteratorINSA_11use_defaultEEESK_EEENSH_IJSG_SG_EEES6_PlJ7is_evenIjEEEE10hipError_tPvRmT3_T4_T5_T6_T7_T9_mT8_P12ihipStream_tbDpT10_ENKUlT_T0_E_clISt17integral_constantIbLb0EES18_IbLb1EEEEDaS14_S15_EUlS14_E_NS1_11comp_targetILNS1_3genE4ELNS1_11target_archE910ELNS1_3gpuE8ELNS1_3repE0EEENS1_30default_config_static_selectorELNS0_4arch9wavefront6targetE1EEEvT1_,comdat
.Lfunc_end2421:
	.size	_ZN7rocprim17ROCPRIM_400000_NS6detail17trampoline_kernelINS0_14default_configENS1_25partition_config_selectorILNS1_17partition_subalgoE0EjNS0_10empty_typeEbEEZZNS1_14partition_implILS5_0ELb0ES3_jN6thrust23THRUST_200600_302600_NS6detail15normal_iteratorINSA_10device_ptrIjEEEEPS6_SG_NS0_5tupleIJNSA_16discard_iteratorINSA_11use_defaultEEESK_EEENSH_IJSG_SG_EEES6_PlJ7is_evenIjEEEE10hipError_tPvRmT3_T4_T5_T6_T7_T9_mT8_P12ihipStream_tbDpT10_ENKUlT_T0_E_clISt17integral_constantIbLb0EES18_IbLb1EEEEDaS14_S15_EUlS14_E_NS1_11comp_targetILNS1_3genE4ELNS1_11target_archE910ELNS1_3gpuE8ELNS1_3repE0EEENS1_30default_config_static_selectorELNS0_4arch9wavefront6targetE1EEEvT1_, .Lfunc_end2421-_ZN7rocprim17ROCPRIM_400000_NS6detail17trampoline_kernelINS0_14default_configENS1_25partition_config_selectorILNS1_17partition_subalgoE0EjNS0_10empty_typeEbEEZZNS1_14partition_implILS5_0ELb0ES3_jN6thrust23THRUST_200600_302600_NS6detail15normal_iteratorINSA_10device_ptrIjEEEEPS6_SG_NS0_5tupleIJNSA_16discard_iteratorINSA_11use_defaultEEESK_EEENSH_IJSG_SG_EEES6_PlJ7is_evenIjEEEE10hipError_tPvRmT3_T4_T5_T6_T7_T9_mT8_P12ihipStream_tbDpT10_ENKUlT_T0_E_clISt17integral_constantIbLb0EES18_IbLb1EEEEDaS14_S15_EUlS14_E_NS1_11comp_targetILNS1_3genE4ELNS1_11target_archE910ELNS1_3gpuE8ELNS1_3repE0EEENS1_30default_config_static_selectorELNS0_4arch9wavefront6targetE1EEEvT1_
                                        ; -- End function
	.section	.AMDGPU.csdata,"",@progbits
; Kernel info:
; codeLenInByte = 3948
; NumSgprs: 40
; NumVgprs: 55
; NumAgprs: 0
; TotalNumVgprs: 55
; ScratchSize: 0
; MemoryBound: 0
; FloatMode: 240
; IeeeMode: 1
; LDSByteSize: 10248 bytes/workgroup (compile time only)
; SGPRBlocks: 4
; VGPRBlocks: 6
; NumSGPRsForWavesPerEU: 40
; NumVGPRsForWavesPerEU: 55
; AccumOffset: 56
; Occupancy: 6
; WaveLimiterHint : 1
; COMPUTE_PGM_RSRC2:SCRATCH_EN: 0
; COMPUTE_PGM_RSRC2:USER_SGPR: 6
; COMPUTE_PGM_RSRC2:TRAP_HANDLER: 0
; COMPUTE_PGM_RSRC2:TGID_X_EN: 1
; COMPUTE_PGM_RSRC2:TGID_Y_EN: 0
; COMPUTE_PGM_RSRC2:TGID_Z_EN: 0
; COMPUTE_PGM_RSRC2:TIDIG_COMP_CNT: 0
; COMPUTE_PGM_RSRC3_GFX90A:ACCUM_OFFSET: 13
; COMPUTE_PGM_RSRC3_GFX90A:TG_SPLIT: 0
	.section	.text._ZN7rocprim17ROCPRIM_400000_NS6detail17trampoline_kernelINS0_14default_configENS1_25partition_config_selectorILNS1_17partition_subalgoE0EjNS0_10empty_typeEbEEZZNS1_14partition_implILS5_0ELb0ES3_jN6thrust23THRUST_200600_302600_NS6detail15normal_iteratorINSA_10device_ptrIjEEEEPS6_SG_NS0_5tupleIJNSA_16discard_iteratorINSA_11use_defaultEEESK_EEENSH_IJSG_SG_EEES6_PlJ7is_evenIjEEEE10hipError_tPvRmT3_T4_T5_T6_T7_T9_mT8_P12ihipStream_tbDpT10_ENKUlT_T0_E_clISt17integral_constantIbLb0EES18_IbLb1EEEEDaS14_S15_EUlS14_E_NS1_11comp_targetILNS1_3genE3ELNS1_11target_archE908ELNS1_3gpuE7ELNS1_3repE0EEENS1_30default_config_static_selectorELNS0_4arch9wavefront6targetE1EEEvT1_,"axG",@progbits,_ZN7rocprim17ROCPRIM_400000_NS6detail17trampoline_kernelINS0_14default_configENS1_25partition_config_selectorILNS1_17partition_subalgoE0EjNS0_10empty_typeEbEEZZNS1_14partition_implILS5_0ELb0ES3_jN6thrust23THRUST_200600_302600_NS6detail15normal_iteratorINSA_10device_ptrIjEEEEPS6_SG_NS0_5tupleIJNSA_16discard_iteratorINSA_11use_defaultEEESK_EEENSH_IJSG_SG_EEES6_PlJ7is_evenIjEEEE10hipError_tPvRmT3_T4_T5_T6_T7_T9_mT8_P12ihipStream_tbDpT10_ENKUlT_T0_E_clISt17integral_constantIbLb0EES18_IbLb1EEEEDaS14_S15_EUlS14_E_NS1_11comp_targetILNS1_3genE3ELNS1_11target_archE908ELNS1_3gpuE7ELNS1_3repE0EEENS1_30default_config_static_selectorELNS0_4arch9wavefront6targetE1EEEvT1_,comdat
	.protected	_ZN7rocprim17ROCPRIM_400000_NS6detail17trampoline_kernelINS0_14default_configENS1_25partition_config_selectorILNS1_17partition_subalgoE0EjNS0_10empty_typeEbEEZZNS1_14partition_implILS5_0ELb0ES3_jN6thrust23THRUST_200600_302600_NS6detail15normal_iteratorINSA_10device_ptrIjEEEEPS6_SG_NS0_5tupleIJNSA_16discard_iteratorINSA_11use_defaultEEESK_EEENSH_IJSG_SG_EEES6_PlJ7is_evenIjEEEE10hipError_tPvRmT3_T4_T5_T6_T7_T9_mT8_P12ihipStream_tbDpT10_ENKUlT_T0_E_clISt17integral_constantIbLb0EES18_IbLb1EEEEDaS14_S15_EUlS14_E_NS1_11comp_targetILNS1_3genE3ELNS1_11target_archE908ELNS1_3gpuE7ELNS1_3repE0EEENS1_30default_config_static_selectorELNS0_4arch9wavefront6targetE1EEEvT1_ ; -- Begin function _ZN7rocprim17ROCPRIM_400000_NS6detail17trampoline_kernelINS0_14default_configENS1_25partition_config_selectorILNS1_17partition_subalgoE0EjNS0_10empty_typeEbEEZZNS1_14partition_implILS5_0ELb0ES3_jN6thrust23THRUST_200600_302600_NS6detail15normal_iteratorINSA_10device_ptrIjEEEEPS6_SG_NS0_5tupleIJNSA_16discard_iteratorINSA_11use_defaultEEESK_EEENSH_IJSG_SG_EEES6_PlJ7is_evenIjEEEE10hipError_tPvRmT3_T4_T5_T6_T7_T9_mT8_P12ihipStream_tbDpT10_ENKUlT_T0_E_clISt17integral_constantIbLb0EES18_IbLb1EEEEDaS14_S15_EUlS14_E_NS1_11comp_targetILNS1_3genE3ELNS1_11target_archE908ELNS1_3gpuE7ELNS1_3repE0EEENS1_30default_config_static_selectorELNS0_4arch9wavefront6targetE1EEEvT1_
	.globl	_ZN7rocprim17ROCPRIM_400000_NS6detail17trampoline_kernelINS0_14default_configENS1_25partition_config_selectorILNS1_17partition_subalgoE0EjNS0_10empty_typeEbEEZZNS1_14partition_implILS5_0ELb0ES3_jN6thrust23THRUST_200600_302600_NS6detail15normal_iteratorINSA_10device_ptrIjEEEEPS6_SG_NS0_5tupleIJNSA_16discard_iteratorINSA_11use_defaultEEESK_EEENSH_IJSG_SG_EEES6_PlJ7is_evenIjEEEE10hipError_tPvRmT3_T4_T5_T6_T7_T9_mT8_P12ihipStream_tbDpT10_ENKUlT_T0_E_clISt17integral_constantIbLb0EES18_IbLb1EEEEDaS14_S15_EUlS14_E_NS1_11comp_targetILNS1_3genE3ELNS1_11target_archE908ELNS1_3gpuE7ELNS1_3repE0EEENS1_30default_config_static_selectorELNS0_4arch9wavefront6targetE1EEEvT1_
	.p2align	8
	.type	_ZN7rocprim17ROCPRIM_400000_NS6detail17trampoline_kernelINS0_14default_configENS1_25partition_config_selectorILNS1_17partition_subalgoE0EjNS0_10empty_typeEbEEZZNS1_14partition_implILS5_0ELb0ES3_jN6thrust23THRUST_200600_302600_NS6detail15normal_iteratorINSA_10device_ptrIjEEEEPS6_SG_NS0_5tupleIJNSA_16discard_iteratorINSA_11use_defaultEEESK_EEENSH_IJSG_SG_EEES6_PlJ7is_evenIjEEEE10hipError_tPvRmT3_T4_T5_T6_T7_T9_mT8_P12ihipStream_tbDpT10_ENKUlT_T0_E_clISt17integral_constantIbLb0EES18_IbLb1EEEEDaS14_S15_EUlS14_E_NS1_11comp_targetILNS1_3genE3ELNS1_11target_archE908ELNS1_3gpuE7ELNS1_3repE0EEENS1_30default_config_static_selectorELNS0_4arch9wavefront6targetE1EEEvT1_,@function
_ZN7rocprim17ROCPRIM_400000_NS6detail17trampoline_kernelINS0_14default_configENS1_25partition_config_selectorILNS1_17partition_subalgoE0EjNS0_10empty_typeEbEEZZNS1_14partition_implILS5_0ELb0ES3_jN6thrust23THRUST_200600_302600_NS6detail15normal_iteratorINSA_10device_ptrIjEEEEPS6_SG_NS0_5tupleIJNSA_16discard_iteratorINSA_11use_defaultEEESK_EEENSH_IJSG_SG_EEES6_PlJ7is_evenIjEEEE10hipError_tPvRmT3_T4_T5_T6_T7_T9_mT8_P12ihipStream_tbDpT10_ENKUlT_T0_E_clISt17integral_constantIbLb0EES18_IbLb1EEEEDaS14_S15_EUlS14_E_NS1_11comp_targetILNS1_3genE3ELNS1_11target_archE908ELNS1_3gpuE7ELNS1_3repE0EEENS1_30default_config_static_selectorELNS0_4arch9wavefront6targetE1EEEvT1_: ; @_ZN7rocprim17ROCPRIM_400000_NS6detail17trampoline_kernelINS0_14default_configENS1_25partition_config_selectorILNS1_17partition_subalgoE0EjNS0_10empty_typeEbEEZZNS1_14partition_implILS5_0ELb0ES3_jN6thrust23THRUST_200600_302600_NS6detail15normal_iteratorINSA_10device_ptrIjEEEEPS6_SG_NS0_5tupleIJNSA_16discard_iteratorINSA_11use_defaultEEESK_EEENSH_IJSG_SG_EEES6_PlJ7is_evenIjEEEE10hipError_tPvRmT3_T4_T5_T6_T7_T9_mT8_P12ihipStream_tbDpT10_ENKUlT_T0_E_clISt17integral_constantIbLb0EES18_IbLb1EEEEDaS14_S15_EUlS14_E_NS1_11comp_targetILNS1_3genE3ELNS1_11target_archE908ELNS1_3gpuE7ELNS1_3repE0EEENS1_30default_config_static_selectorELNS0_4arch9wavefront6targetE1EEEvT1_
; %bb.0:
	.section	.rodata,"a",@progbits
	.p2align	6, 0x0
	.amdhsa_kernel _ZN7rocprim17ROCPRIM_400000_NS6detail17trampoline_kernelINS0_14default_configENS1_25partition_config_selectorILNS1_17partition_subalgoE0EjNS0_10empty_typeEbEEZZNS1_14partition_implILS5_0ELb0ES3_jN6thrust23THRUST_200600_302600_NS6detail15normal_iteratorINSA_10device_ptrIjEEEEPS6_SG_NS0_5tupleIJNSA_16discard_iteratorINSA_11use_defaultEEESK_EEENSH_IJSG_SG_EEES6_PlJ7is_evenIjEEEE10hipError_tPvRmT3_T4_T5_T6_T7_T9_mT8_P12ihipStream_tbDpT10_ENKUlT_T0_E_clISt17integral_constantIbLb0EES18_IbLb1EEEEDaS14_S15_EUlS14_E_NS1_11comp_targetILNS1_3genE3ELNS1_11target_archE908ELNS1_3gpuE7ELNS1_3repE0EEENS1_30default_config_static_selectorELNS0_4arch9wavefront6targetE1EEEvT1_
		.amdhsa_group_segment_fixed_size 0
		.amdhsa_private_segment_fixed_size 0
		.amdhsa_kernarg_size 152
		.amdhsa_user_sgpr_count 6
		.amdhsa_user_sgpr_private_segment_buffer 1
		.amdhsa_user_sgpr_dispatch_ptr 0
		.amdhsa_user_sgpr_queue_ptr 0
		.amdhsa_user_sgpr_kernarg_segment_ptr 1
		.amdhsa_user_sgpr_dispatch_id 0
		.amdhsa_user_sgpr_flat_scratch_init 0
		.amdhsa_user_sgpr_kernarg_preload_length 0
		.amdhsa_user_sgpr_kernarg_preload_offset 0
		.amdhsa_user_sgpr_private_segment_size 0
		.amdhsa_uses_dynamic_stack 0
		.amdhsa_system_sgpr_private_segment_wavefront_offset 0
		.amdhsa_system_sgpr_workgroup_id_x 1
		.amdhsa_system_sgpr_workgroup_id_y 0
		.amdhsa_system_sgpr_workgroup_id_z 0
		.amdhsa_system_sgpr_workgroup_info 0
		.amdhsa_system_vgpr_workitem_id 0
		.amdhsa_next_free_vgpr 1
		.amdhsa_next_free_sgpr 0
		.amdhsa_accum_offset 4
		.amdhsa_reserve_vcc 0
		.amdhsa_reserve_flat_scratch 0
		.amdhsa_float_round_mode_32 0
		.amdhsa_float_round_mode_16_64 0
		.amdhsa_float_denorm_mode_32 3
		.amdhsa_float_denorm_mode_16_64 3
		.amdhsa_dx10_clamp 1
		.amdhsa_ieee_mode 1
		.amdhsa_fp16_overflow 0
		.amdhsa_tg_split 0
		.amdhsa_exception_fp_ieee_invalid_op 0
		.amdhsa_exception_fp_denorm_src 0
		.amdhsa_exception_fp_ieee_div_zero 0
		.amdhsa_exception_fp_ieee_overflow 0
		.amdhsa_exception_fp_ieee_underflow 0
		.amdhsa_exception_fp_ieee_inexact 0
		.amdhsa_exception_int_div_zero 0
	.end_amdhsa_kernel
	.section	.text._ZN7rocprim17ROCPRIM_400000_NS6detail17trampoline_kernelINS0_14default_configENS1_25partition_config_selectorILNS1_17partition_subalgoE0EjNS0_10empty_typeEbEEZZNS1_14partition_implILS5_0ELb0ES3_jN6thrust23THRUST_200600_302600_NS6detail15normal_iteratorINSA_10device_ptrIjEEEEPS6_SG_NS0_5tupleIJNSA_16discard_iteratorINSA_11use_defaultEEESK_EEENSH_IJSG_SG_EEES6_PlJ7is_evenIjEEEE10hipError_tPvRmT3_T4_T5_T6_T7_T9_mT8_P12ihipStream_tbDpT10_ENKUlT_T0_E_clISt17integral_constantIbLb0EES18_IbLb1EEEEDaS14_S15_EUlS14_E_NS1_11comp_targetILNS1_3genE3ELNS1_11target_archE908ELNS1_3gpuE7ELNS1_3repE0EEENS1_30default_config_static_selectorELNS0_4arch9wavefront6targetE1EEEvT1_,"axG",@progbits,_ZN7rocprim17ROCPRIM_400000_NS6detail17trampoline_kernelINS0_14default_configENS1_25partition_config_selectorILNS1_17partition_subalgoE0EjNS0_10empty_typeEbEEZZNS1_14partition_implILS5_0ELb0ES3_jN6thrust23THRUST_200600_302600_NS6detail15normal_iteratorINSA_10device_ptrIjEEEEPS6_SG_NS0_5tupleIJNSA_16discard_iteratorINSA_11use_defaultEEESK_EEENSH_IJSG_SG_EEES6_PlJ7is_evenIjEEEE10hipError_tPvRmT3_T4_T5_T6_T7_T9_mT8_P12ihipStream_tbDpT10_ENKUlT_T0_E_clISt17integral_constantIbLb0EES18_IbLb1EEEEDaS14_S15_EUlS14_E_NS1_11comp_targetILNS1_3genE3ELNS1_11target_archE908ELNS1_3gpuE7ELNS1_3repE0EEENS1_30default_config_static_selectorELNS0_4arch9wavefront6targetE1EEEvT1_,comdat
.Lfunc_end2422:
	.size	_ZN7rocprim17ROCPRIM_400000_NS6detail17trampoline_kernelINS0_14default_configENS1_25partition_config_selectorILNS1_17partition_subalgoE0EjNS0_10empty_typeEbEEZZNS1_14partition_implILS5_0ELb0ES3_jN6thrust23THRUST_200600_302600_NS6detail15normal_iteratorINSA_10device_ptrIjEEEEPS6_SG_NS0_5tupleIJNSA_16discard_iteratorINSA_11use_defaultEEESK_EEENSH_IJSG_SG_EEES6_PlJ7is_evenIjEEEE10hipError_tPvRmT3_T4_T5_T6_T7_T9_mT8_P12ihipStream_tbDpT10_ENKUlT_T0_E_clISt17integral_constantIbLb0EES18_IbLb1EEEEDaS14_S15_EUlS14_E_NS1_11comp_targetILNS1_3genE3ELNS1_11target_archE908ELNS1_3gpuE7ELNS1_3repE0EEENS1_30default_config_static_selectorELNS0_4arch9wavefront6targetE1EEEvT1_, .Lfunc_end2422-_ZN7rocprim17ROCPRIM_400000_NS6detail17trampoline_kernelINS0_14default_configENS1_25partition_config_selectorILNS1_17partition_subalgoE0EjNS0_10empty_typeEbEEZZNS1_14partition_implILS5_0ELb0ES3_jN6thrust23THRUST_200600_302600_NS6detail15normal_iteratorINSA_10device_ptrIjEEEEPS6_SG_NS0_5tupleIJNSA_16discard_iteratorINSA_11use_defaultEEESK_EEENSH_IJSG_SG_EEES6_PlJ7is_evenIjEEEE10hipError_tPvRmT3_T4_T5_T6_T7_T9_mT8_P12ihipStream_tbDpT10_ENKUlT_T0_E_clISt17integral_constantIbLb0EES18_IbLb1EEEEDaS14_S15_EUlS14_E_NS1_11comp_targetILNS1_3genE3ELNS1_11target_archE908ELNS1_3gpuE7ELNS1_3repE0EEENS1_30default_config_static_selectorELNS0_4arch9wavefront6targetE1EEEvT1_
                                        ; -- End function
	.section	.AMDGPU.csdata,"",@progbits
; Kernel info:
; codeLenInByte = 0
; NumSgprs: 4
; NumVgprs: 0
; NumAgprs: 0
; TotalNumVgprs: 0
; ScratchSize: 0
; MemoryBound: 0
; FloatMode: 240
; IeeeMode: 1
; LDSByteSize: 0 bytes/workgroup (compile time only)
; SGPRBlocks: 0
; VGPRBlocks: 0
; NumSGPRsForWavesPerEU: 4
; NumVGPRsForWavesPerEU: 1
; AccumOffset: 4
; Occupancy: 8
; WaveLimiterHint : 0
; COMPUTE_PGM_RSRC2:SCRATCH_EN: 0
; COMPUTE_PGM_RSRC2:USER_SGPR: 6
; COMPUTE_PGM_RSRC2:TRAP_HANDLER: 0
; COMPUTE_PGM_RSRC2:TGID_X_EN: 1
; COMPUTE_PGM_RSRC2:TGID_Y_EN: 0
; COMPUTE_PGM_RSRC2:TGID_Z_EN: 0
; COMPUTE_PGM_RSRC2:TIDIG_COMP_CNT: 0
; COMPUTE_PGM_RSRC3_GFX90A:ACCUM_OFFSET: 0
; COMPUTE_PGM_RSRC3_GFX90A:TG_SPLIT: 0
	.section	.text._ZN7rocprim17ROCPRIM_400000_NS6detail17trampoline_kernelINS0_14default_configENS1_25partition_config_selectorILNS1_17partition_subalgoE0EjNS0_10empty_typeEbEEZZNS1_14partition_implILS5_0ELb0ES3_jN6thrust23THRUST_200600_302600_NS6detail15normal_iteratorINSA_10device_ptrIjEEEEPS6_SG_NS0_5tupleIJNSA_16discard_iteratorINSA_11use_defaultEEESK_EEENSH_IJSG_SG_EEES6_PlJ7is_evenIjEEEE10hipError_tPvRmT3_T4_T5_T6_T7_T9_mT8_P12ihipStream_tbDpT10_ENKUlT_T0_E_clISt17integral_constantIbLb0EES18_IbLb1EEEEDaS14_S15_EUlS14_E_NS1_11comp_targetILNS1_3genE2ELNS1_11target_archE906ELNS1_3gpuE6ELNS1_3repE0EEENS1_30default_config_static_selectorELNS0_4arch9wavefront6targetE1EEEvT1_,"axG",@progbits,_ZN7rocprim17ROCPRIM_400000_NS6detail17trampoline_kernelINS0_14default_configENS1_25partition_config_selectorILNS1_17partition_subalgoE0EjNS0_10empty_typeEbEEZZNS1_14partition_implILS5_0ELb0ES3_jN6thrust23THRUST_200600_302600_NS6detail15normal_iteratorINSA_10device_ptrIjEEEEPS6_SG_NS0_5tupleIJNSA_16discard_iteratorINSA_11use_defaultEEESK_EEENSH_IJSG_SG_EEES6_PlJ7is_evenIjEEEE10hipError_tPvRmT3_T4_T5_T6_T7_T9_mT8_P12ihipStream_tbDpT10_ENKUlT_T0_E_clISt17integral_constantIbLb0EES18_IbLb1EEEEDaS14_S15_EUlS14_E_NS1_11comp_targetILNS1_3genE2ELNS1_11target_archE906ELNS1_3gpuE6ELNS1_3repE0EEENS1_30default_config_static_selectorELNS0_4arch9wavefront6targetE1EEEvT1_,comdat
	.protected	_ZN7rocprim17ROCPRIM_400000_NS6detail17trampoline_kernelINS0_14default_configENS1_25partition_config_selectorILNS1_17partition_subalgoE0EjNS0_10empty_typeEbEEZZNS1_14partition_implILS5_0ELb0ES3_jN6thrust23THRUST_200600_302600_NS6detail15normal_iteratorINSA_10device_ptrIjEEEEPS6_SG_NS0_5tupleIJNSA_16discard_iteratorINSA_11use_defaultEEESK_EEENSH_IJSG_SG_EEES6_PlJ7is_evenIjEEEE10hipError_tPvRmT3_T4_T5_T6_T7_T9_mT8_P12ihipStream_tbDpT10_ENKUlT_T0_E_clISt17integral_constantIbLb0EES18_IbLb1EEEEDaS14_S15_EUlS14_E_NS1_11comp_targetILNS1_3genE2ELNS1_11target_archE906ELNS1_3gpuE6ELNS1_3repE0EEENS1_30default_config_static_selectorELNS0_4arch9wavefront6targetE1EEEvT1_ ; -- Begin function _ZN7rocprim17ROCPRIM_400000_NS6detail17trampoline_kernelINS0_14default_configENS1_25partition_config_selectorILNS1_17partition_subalgoE0EjNS0_10empty_typeEbEEZZNS1_14partition_implILS5_0ELb0ES3_jN6thrust23THRUST_200600_302600_NS6detail15normal_iteratorINSA_10device_ptrIjEEEEPS6_SG_NS0_5tupleIJNSA_16discard_iteratorINSA_11use_defaultEEESK_EEENSH_IJSG_SG_EEES6_PlJ7is_evenIjEEEE10hipError_tPvRmT3_T4_T5_T6_T7_T9_mT8_P12ihipStream_tbDpT10_ENKUlT_T0_E_clISt17integral_constantIbLb0EES18_IbLb1EEEEDaS14_S15_EUlS14_E_NS1_11comp_targetILNS1_3genE2ELNS1_11target_archE906ELNS1_3gpuE6ELNS1_3repE0EEENS1_30default_config_static_selectorELNS0_4arch9wavefront6targetE1EEEvT1_
	.globl	_ZN7rocprim17ROCPRIM_400000_NS6detail17trampoline_kernelINS0_14default_configENS1_25partition_config_selectorILNS1_17partition_subalgoE0EjNS0_10empty_typeEbEEZZNS1_14partition_implILS5_0ELb0ES3_jN6thrust23THRUST_200600_302600_NS6detail15normal_iteratorINSA_10device_ptrIjEEEEPS6_SG_NS0_5tupleIJNSA_16discard_iteratorINSA_11use_defaultEEESK_EEENSH_IJSG_SG_EEES6_PlJ7is_evenIjEEEE10hipError_tPvRmT3_T4_T5_T6_T7_T9_mT8_P12ihipStream_tbDpT10_ENKUlT_T0_E_clISt17integral_constantIbLb0EES18_IbLb1EEEEDaS14_S15_EUlS14_E_NS1_11comp_targetILNS1_3genE2ELNS1_11target_archE906ELNS1_3gpuE6ELNS1_3repE0EEENS1_30default_config_static_selectorELNS0_4arch9wavefront6targetE1EEEvT1_
	.p2align	8
	.type	_ZN7rocprim17ROCPRIM_400000_NS6detail17trampoline_kernelINS0_14default_configENS1_25partition_config_selectorILNS1_17partition_subalgoE0EjNS0_10empty_typeEbEEZZNS1_14partition_implILS5_0ELb0ES3_jN6thrust23THRUST_200600_302600_NS6detail15normal_iteratorINSA_10device_ptrIjEEEEPS6_SG_NS0_5tupleIJNSA_16discard_iteratorINSA_11use_defaultEEESK_EEENSH_IJSG_SG_EEES6_PlJ7is_evenIjEEEE10hipError_tPvRmT3_T4_T5_T6_T7_T9_mT8_P12ihipStream_tbDpT10_ENKUlT_T0_E_clISt17integral_constantIbLb0EES18_IbLb1EEEEDaS14_S15_EUlS14_E_NS1_11comp_targetILNS1_3genE2ELNS1_11target_archE906ELNS1_3gpuE6ELNS1_3repE0EEENS1_30default_config_static_selectorELNS0_4arch9wavefront6targetE1EEEvT1_,@function
_ZN7rocprim17ROCPRIM_400000_NS6detail17trampoline_kernelINS0_14default_configENS1_25partition_config_selectorILNS1_17partition_subalgoE0EjNS0_10empty_typeEbEEZZNS1_14partition_implILS5_0ELb0ES3_jN6thrust23THRUST_200600_302600_NS6detail15normal_iteratorINSA_10device_ptrIjEEEEPS6_SG_NS0_5tupleIJNSA_16discard_iteratorINSA_11use_defaultEEESK_EEENSH_IJSG_SG_EEES6_PlJ7is_evenIjEEEE10hipError_tPvRmT3_T4_T5_T6_T7_T9_mT8_P12ihipStream_tbDpT10_ENKUlT_T0_E_clISt17integral_constantIbLb0EES18_IbLb1EEEEDaS14_S15_EUlS14_E_NS1_11comp_targetILNS1_3genE2ELNS1_11target_archE906ELNS1_3gpuE6ELNS1_3repE0EEENS1_30default_config_static_selectorELNS0_4arch9wavefront6targetE1EEEvT1_: ; @_ZN7rocprim17ROCPRIM_400000_NS6detail17trampoline_kernelINS0_14default_configENS1_25partition_config_selectorILNS1_17partition_subalgoE0EjNS0_10empty_typeEbEEZZNS1_14partition_implILS5_0ELb0ES3_jN6thrust23THRUST_200600_302600_NS6detail15normal_iteratorINSA_10device_ptrIjEEEEPS6_SG_NS0_5tupleIJNSA_16discard_iteratorINSA_11use_defaultEEESK_EEENSH_IJSG_SG_EEES6_PlJ7is_evenIjEEEE10hipError_tPvRmT3_T4_T5_T6_T7_T9_mT8_P12ihipStream_tbDpT10_ENKUlT_T0_E_clISt17integral_constantIbLb0EES18_IbLb1EEEEDaS14_S15_EUlS14_E_NS1_11comp_targetILNS1_3genE2ELNS1_11target_archE906ELNS1_3gpuE6ELNS1_3repE0EEENS1_30default_config_static_selectorELNS0_4arch9wavefront6targetE1EEEvT1_
; %bb.0:
	.section	.rodata,"a",@progbits
	.p2align	6, 0x0
	.amdhsa_kernel _ZN7rocprim17ROCPRIM_400000_NS6detail17trampoline_kernelINS0_14default_configENS1_25partition_config_selectorILNS1_17partition_subalgoE0EjNS0_10empty_typeEbEEZZNS1_14partition_implILS5_0ELb0ES3_jN6thrust23THRUST_200600_302600_NS6detail15normal_iteratorINSA_10device_ptrIjEEEEPS6_SG_NS0_5tupleIJNSA_16discard_iteratorINSA_11use_defaultEEESK_EEENSH_IJSG_SG_EEES6_PlJ7is_evenIjEEEE10hipError_tPvRmT3_T4_T5_T6_T7_T9_mT8_P12ihipStream_tbDpT10_ENKUlT_T0_E_clISt17integral_constantIbLb0EES18_IbLb1EEEEDaS14_S15_EUlS14_E_NS1_11comp_targetILNS1_3genE2ELNS1_11target_archE906ELNS1_3gpuE6ELNS1_3repE0EEENS1_30default_config_static_selectorELNS0_4arch9wavefront6targetE1EEEvT1_
		.amdhsa_group_segment_fixed_size 0
		.amdhsa_private_segment_fixed_size 0
		.amdhsa_kernarg_size 152
		.amdhsa_user_sgpr_count 6
		.amdhsa_user_sgpr_private_segment_buffer 1
		.amdhsa_user_sgpr_dispatch_ptr 0
		.amdhsa_user_sgpr_queue_ptr 0
		.amdhsa_user_sgpr_kernarg_segment_ptr 1
		.amdhsa_user_sgpr_dispatch_id 0
		.amdhsa_user_sgpr_flat_scratch_init 0
		.amdhsa_user_sgpr_kernarg_preload_length 0
		.amdhsa_user_sgpr_kernarg_preload_offset 0
		.amdhsa_user_sgpr_private_segment_size 0
		.amdhsa_uses_dynamic_stack 0
		.amdhsa_system_sgpr_private_segment_wavefront_offset 0
		.amdhsa_system_sgpr_workgroup_id_x 1
		.amdhsa_system_sgpr_workgroup_id_y 0
		.amdhsa_system_sgpr_workgroup_id_z 0
		.amdhsa_system_sgpr_workgroup_info 0
		.amdhsa_system_vgpr_workitem_id 0
		.amdhsa_next_free_vgpr 1
		.amdhsa_next_free_sgpr 0
		.amdhsa_accum_offset 4
		.amdhsa_reserve_vcc 0
		.amdhsa_reserve_flat_scratch 0
		.amdhsa_float_round_mode_32 0
		.amdhsa_float_round_mode_16_64 0
		.amdhsa_float_denorm_mode_32 3
		.amdhsa_float_denorm_mode_16_64 3
		.amdhsa_dx10_clamp 1
		.amdhsa_ieee_mode 1
		.amdhsa_fp16_overflow 0
		.amdhsa_tg_split 0
		.amdhsa_exception_fp_ieee_invalid_op 0
		.amdhsa_exception_fp_denorm_src 0
		.amdhsa_exception_fp_ieee_div_zero 0
		.amdhsa_exception_fp_ieee_overflow 0
		.amdhsa_exception_fp_ieee_underflow 0
		.amdhsa_exception_fp_ieee_inexact 0
		.amdhsa_exception_int_div_zero 0
	.end_amdhsa_kernel
	.section	.text._ZN7rocprim17ROCPRIM_400000_NS6detail17trampoline_kernelINS0_14default_configENS1_25partition_config_selectorILNS1_17partition_subalgoE0EjNS0_10empty_typeEbEEZZNS1_14partition_implILS5_0ELb0ES3_jN6thrust23THRUST_200600_302600_NS6detail15normal_iteratorINSA_10device_ptrIjEEEEPS6_SG_NS0_5tupleIJNSA_16discard_iteratorINSA_11use_defaultEEESK_EEENSH_IJSG_SG_EEES6_PlJ7is_evenIjEEEE10hipError_tPvRmT3_T4_T5_T6_T7_T9_mT8_P12ihipStream_tbDpT10_ENKUlT_T0_E_clISt17integral_constantIbLb0EES18_IbLb1EEEEDaS14_S15_EUlS14_E_NS1_11comp_targetILNS1_3genE2ELNS1_11target_archE906ELNS1_3gpuE6ELNS1_3repE0EEENS1_30default_config_static_selectorELNS0_4arch9wavefront6targetE1EEEvT1_,"axG",@progbits,_ZN7rocprim17ROCPRIM_400000_NS6detail17trampoline_kernelINS0_14default_configENS1_25partition_config_selectorILNS1_17partition_subalgoE0EjNS0_10empty_typeEbEEZZNS1_14partition_implILS5_0ELb0ES3_jN6thrust23THRUST_200600_302600_NS6detail15normal_iteratorINSA_10device_ptrIjEEEEPS6_SG_NS0_5tupleIJNSA_16discard_iteratorINSA_11use_defaultEEESK_EEENSH_IJSG_SG_EEES6_PlJ7is_evenIjEEEE10hipError_tPvRmT3_T4_T5_T6_T7_T9_mT8_P12ihipStream_tbDpT10_ENKUlT_T0_E_clISt17integral_constantIbLb0EES18_IbLb1EEEEDaS14_S15_EUlS14_E_NS1_11comp_targetILNS1_3genE2ELNS1_11target_archE906ELNS1_3gpuE6ELNS1_3repE0EEENS1_30default_config_static_selectorELNS0_4arch9wavefront6targetE1EEEvT1_,comdat
.Lfunc_end2423:
	.size	_ZN7rocprim17ROCPRIM_400000_NS6detail17trampoline_kernelINS0_14default_configENS1_25partition_config_selectorILNS1_17partition_subalgoE0EjNS0_10empty_typeEbEEZZNS1_14partition_implILS5_0ELb0ES3_jN6thrust23THRUST_200600_302600_NS6detail15normal_iteratorINSA_10device_ptrIjEEEEPS6_SG_NS0_5tupleIJNSA_16discard_iteratorINSA_11use_defaultEEESK_EEENSH_IJSG_SG_EEES6_PlJ7is_evenIjEEEE10hipError_tPvRmT3_T4_T5_T6_T7_T9_mT8_P12ihipStream_tbDpT10_ENKUlT_T0_E_clISt17integral_constantIbLb0EES18_IbLb1EEEEDaS14_S15_EUlS14_E_NS1_11comp_targetILNS1_3genE2ELNS1_11target_archE906ELNS1_3gpuE6ELNS1_3repE0EEENS1_30default_config_static_selectorELNS0_4arch9wavefront6targetE1EEEvT1_, .Lfunc_end2423-_ZN7rocprim17ROCPRIM_400000_NS6detail17trampoline_kernelINS0_14default_configENS1_25partition_config_selectorILNS1_17partition_subalgoE0EjNS0_10empty_typeEbEEZZNS1_14partition_implILS5_0ELb0ES3_jN6thrust23THRUST_200600_302600_NS6detail15normal_iteratorINSA_10device_ptrIjEEEEPS6_SG_NS0_5tupleIJNSA_16discard_iteratorINSA_11use_defaultEEESK_EEENSH_IJSG_SG_EEES6_PlJ7is_evenIjEEEE10hipError_tPvRmT3_T4_T5_T6_T7_T9_mT8_P12ihipStream_tbDpT10_ENKUlT_T0_E_clISt17integral_constantIbLb0EES18_IbLb1EEEEDaS14_S15_EUlS14_E_NS1_11comp_targetILNS1_3genE2ELNS1_11target_archE906ELNS1_3gpuE6ELNS1_3repE0EEENS1_30default_config_static_selectorELNS0_4arch9wavefront6targetE1EEEvT1_
                                        ; -- End function
	.section	.AMDGPU.csdata,"",@progbits
; Kernel info:
; codeLenInByte = 0
; NumSgprs: 4
; NumVgprs: 0
; NumAgprs: 0
; TotalNumVgprs: 0
; ScratchSize: 0
; MemoryBound: 0
; FloatMode: 240
; IeeeMode: 1
; LDSByteSize: 0 bytes/workgroup (compile time only)
; SGPRBlocks: 0
; VGPRBlocks: 0
; NumSGPRsForWavesPerEU: 4
; NumVGPRsForWavesPerEU: 1
; AccumOffset: 4
; Occupancy: 8
; WaveLimiterHint : 0
; COMPUTE_PGM_RSRC2:SCRATCH_EN: 0
; COMPUTE_PGM_RSRC2:USER_SGPR: 6
; COMPUTE_PGM_RSRC2:TRAP_HANDLER: 0
; COMPUTE_PGM_RSRC2:TGID_X_EN: 1
; COMPUTE_PGM_RSRC2:TGID_Y_EN: 0
; COMPUTE_PGM_RSRC2:TGID_Z_EN: 0
; COMPUTE_PGM_RSRC2:TIDIG_COMP_CNT: 0
; COMPUTE_PGM_RSRC3_GFX90A:ACCUM_OFFSET: 0
; COMPUTE_PGM_RSRC3_GFX90A:TG_SPLIT: 0
	.section	.text._ZN7rocprim17ROCPRIM_400000_NS6detail17trampoline_kernelINS0_14default_configENS1_25partition_config_selectorILNS1_17partition_subalgoE0EjNS0_10empty_typeEbEEZZNS1_14partition_implILS5_0ELb0ES3_jN6thrust23THRUST_200600_302600_NS6detail15normal_iteratorINSA_10device_ptrIjEEEEPS6_SG_NS0_5tupleIJNSA_16discard_iteratorINSA_11use_defaultEEESK_EEENSH_IJSG_SG_EEES6_PlJ7is_evenIjEEEE10hipError_tPvRmT3_T4_T5_T6_T7_T9_mT8_P12ihipStream_tbDpT10_ENKUlT_T0_E_clISt17integral_constantIbLb0EES18_IbLb1EEEEDaS14_S15_EUlS14_E_NS1_11comp_targetILNS1_3genE10ELNS1_11target_archE1200ELNS1_3gpuE4ELNS1_3repE0EEENS1_30default_config_static_selectorELNS0_4arch9wavefront6targetE1EEEvT1_,"axG",@progbits,_ZN7rocprim17ROCPRIM_400000_NS6detail17trampoline_kernelINS0_14default_configENS1_25partition_config_selectorILNS1_17partition_subalgoE0EjNS0_10empty_typeEbEEZZNS1_14partition_implILS5_0ELb0ES3_jN6thrust23THRUST_200600_302600_NS6detail15normal_iteratorINSA_10device_ptrIjEEEEPS6_SG_NS0_5tupleIJNSA_16discard_iteratorINSA_11use_defaultEEESK_EEENSH_IJSG_SG_EEES6_PlJ7is_evenIjEEEE10hipError_tPvRmT3_T4_T5_T6_T7_T9_mT8_P12ihipStream_tbDpT10_ENKUlT_T0_E_clISt17integral_constantIbLb0EES18_IbLb1EEEEDaS14_S15_EUlS14_E_NS1_11comp_targetILNS1_3genE10ELNS1_11target_archE1200ELNS1_3gpuE4ELNS1_3repE0EEENS1_30default_config_static_selectorELNS0_4arch9wavefront6targetE1EEEvT1_,comdat
	.protected	_ZN7rocprim17ROCPRIM_400000_NS6detail17trampoline_kernelINS0_14default_configENS1_25partition_config_selectorILNS1_17partition_subalgoE0EjNS0_10empty_typeEbEEZZNS1_14partition_implILS5_0ELb0ES3_jN6thrust23THRUST_200600_302600_NS6detail15normal_iteratorINSA_10device_ptrIjEEEEPS6_SG_NS0_5tupleIJNSA_16discard_iteratorINSA_11use_defaultEEESK_EEENSH_IJSG_SG_EEES6_PlJ7is_evenIjEEEE10hipError_tPvRmT3_T4_T5_T6_T7_T9_mT8_P12ihipStream_tbDpT10_ENKUlT_T0_E_clISt17integral_constantIbLb0EES18_IbLb1EEEEDaS14_S15_EUlS14_E_NS1_11comp_targetILNS1_3genE10ELNS1_11target_archE1200ELNS1_3gpuE4ELNS1_3repE0EEENS1_30default_config_static_selectorELNS0_4arch9wavefront6targetE1EEEvT1_ ; -- Begin function _ZN7rocprim17ROCPRIM_400000_NS6detail17trampoline_kernelINS0_14default_configENS1_25partition_config_selectorILNS1_17partition_subalgoE0EjNS0_10empty_typeEbEEZZNS1_14partition_implILS5_0ELb0ES3_jN6thrust23THRUST_200600_302600_NS6detail15normal_iteratorINSA_10device_ptrIjEEEEPS6_SG_NS0_5tupleIJNSA_16discard_iteratorINSA_11use_defaultEEESK_EEENSH_IJSG_SG_EEES6_PlJ7is_evenIjEEEE10hipError_tPvRmT3_T4_T5_T6_T7_T9_mT8_P12ihipStream_tbDpT10_ENKUlT_T0_E_clISt17integral_constantIbLb0EES18_IbLb1EEEEDaS14_S15_EUlS14_E_NS1_11comp_targetILNS1_3genE10ELNS1_11target_archE1200ELNS1_3gpuE4ELNS1_3repE0EEENS1_30default_config_static_selectorELNS0_4arch9wavefront6targetE1EEEvT1_
	.globl	_ZN7rocprim17ROCPRIM_400000_NS6detail17trampoline_kernelINS0_14default_configENS1_25partition_config_selectorILNS1_17partition_subalgoE0EjNS0_10empty_typeEbEEZZNS1_14partition_implILS5_0ELb0ES3_jN6thrust23THRUST_200600_302600_NS6detail15normal_iteratorINSA_10device_ptrIjEEEEPS6_SG_NS0_5tupleIJNSA_16discard_iteratorINSA_11use_defaultEEESK_EEENSH_IJSG_SG_EEES6_PlJ7is_evenIjEEEE10hipError_tPvRmT3_T4_T5_T6_T7_T9_mT8_P12ihipStream_tbDpT10_ENKUlT_T0_E_clISt17integral_constantIbLb0EES18_IbLb1EEEEDaS14_S15_EUlS14_E_NS1_11comp_targetILNS1_3genE10ELNS1_11target_archE1200ELNS1_3gpuE4ELNS1_3repE0EEENS1_30default_config_static_selectorELNS0_4arch9wavefront6targetE1EEEvT1_
	.p2align	8
	.type	_ZN7rocprim17ROCPRIM_400000_NS6detail17trampoline_kernelINS0_14default_configENS1_25partition_config_selectorILNS1_17partition_subalgoE0EjNS0_10empty_typeEbEEZZNS1_14partition_implILS5_0ELb0ES3_jN6thrust23THRUST_200600_302600_NS6detail15normal_iteratorINSA_10device_ptrIjEEEEPS6_SG_NS0_5tupleIJNSA_16discard_iteratorINSA_11use_defaultEEESK_EEENSH_IJSG_SG_EEES6_PlJ7is_evenIjEEEE10hipError_tPvRmT3_T4_T5_T6_T7_T9_mT8_P12ihipStream_tbDpT10_ENKUlT_T0_E_clISt17integral_constantIbLb0EES18_IbLb1EEEEDaS14_S15_EUlS14_E_NS1_11comp_targetILNS1_3genE10ELNS1_11target_archE1200ELNS1_3gpuE4ELNS1_3repE0EEENS1_30default_config_static_selectorELNS0_4arch9wavefront6targetE1EEEvT1_,@function
_ZN7rocprim17ROCPRIM_400000_NS6detail17trampoline_kernelINS0_14default_configENS1_25partition_config_selectorILNS1_17partition_subalgoE0EjNS0_10empty_typeEbEEZZNS1_14partition_implILS5_0ELb0ES3_jN6thrust23THRUST_200600_302600_NS6detail15normal_iteratorINSA_10device_ptrIjEEEEPS6_SG_NS0_5tupleIJNSA_16discard_iteratorINSA_11use_defaultEEESK_EEENSH_IJSG_SG_EEES6_PlJ7is_evenIjEEEE10hipError_tPvRmT3_T4_T5_T6_T7_T9_mT8_P12ihipStream_tbDpT10_ENKUlT_T0_E_clISt17integral_constantIbLb0EES18_IbLb1EEEEDaS14_S15_EUlS14_E_NS1_11comp_targetILNS1_3genE10ELNS1_11target_archE1200ELNS1_3gpuE4ELNS1_3repE0EEENS1_30default_config_static_selectorELNS0_4arch9wavefront6targetE1EEEvT1_: ; @_ZN7rocprim17ROCPRIM_400000_NS6detail17trampoline_kernelINS0_14default_configENS1_25partition_config_selectorILNS1_17partition_subalgoE0EjNS0_10empty_typeEbEEZZNS1_14partition_implILS5_0ELb0ES3_jN6thrust23THRUST_200600_302600_NS6detail15normal_iteratorINSA_10device_ptrIjEEEEPS6_SG_NS0_5tupleIJNSA_16discard_iteratorINSA_11use_defaultEEESK_EEENSH_IJSG_SG_EEES6_PlJ7is_evenIjEEEE10hipError_tPvRmT3_T4_T5_T6_T7_T9_mT8_P12ihipStream_tbDpT10_ENKUlT_T0_E_clISt17integral_constantIbLb0EES18_IbLb1EEEEDaS14_S15_EUlS14_E_NS1_11comp_targetILNS1_3genE10ELNS1_11target_archE1200ELNS1_3gpuE4ELNS1_3repE0EEENS1_30default_config_static_selectorELNS0_4arch9wavefront6targetE1EEEvT1_
; %bb.0:
	.section	.rodata,"a",@progbits
	.p2align	6, 0x0
	.amdhsa_kernel _ZN7rocprim17ROCPRIM_400000_NS6detail17trampoline_kernelINS0_14default_configENS1_25partition_config_selectorILNS1_17partition_subalgoE0EjNS0_10empty_typeEbEEZZNS1_14partition_implILS5_0ELb0ES3_jN6thrust23THRUST_200600_302600_NS6detail15normal_iteratorINSA_10device_ptrIjEEEEPS6_SG_NS0_5tupleIJNSA_16discard_iteratorINSA_11use_defaultEEESK_EEENSH_IJSG_SG_EEES6_PlJ7is_evenIjEEEE10hipError_tPvRmT3_T4_T5_T6_T7_T9_mT8_P12ihipStream_tbDpT10_ENKUlT_T0_E_clISt17integral_constantIbLb0EES18_IbLb1EEEEDaS14_S15_EUlS14_E_NS1_11comp_targetILNS1_3genE10ELNS1_11target_archE1200ELNS1_3gpuE4ELNS1_3repE0EEENS1_30default_config_static_selectorELNS0_4arch9wavefront6targetE1EEEvT1_
		.amdhsa_group_segment_fixed_size 0
		.amdhsa_private_segment_fixed_size 0
		.amdhsa_kernarg_size 152
		.amdhsa_user_sgpr_count 6
		.amdhsa_user_sgpr_private_segment_buffer 1
		.amdhsa_user_sgpr_dispatch_ptr 0
		.amdhsa_user_sgpr_queue_ptr 0
		.amdhsa_user_sgpr_kernarg_segment_ptr 1
		.amdhsa_user_sgpr_dispatch_id 0
		.amdhsa_user_sgpr_flat_scratch_init 0
		.amdhsa_user_sgpr_kernarg_preload_length 0
		.amdhsa_user_sgpr_kernarg_preload_offset 0
		.amdhsa_user_sgpr_private_segment_size 0
		.amdhsa_uses_dynamic_stack 0
		.amdhsa_system_sgpr_private_segment_wavefront_offset 0
		.amdhsa_system_sgpr_workgroup_id_x 1
		.amdhsa_system_sgpr_workgroup_id_y 0
		.amdhsa_system_sgpr_workgroup_id_z 0
		.amdhsa_system_sgpr_workgroup_info 0
		.amdhsa_system_vgpr_workitem_id 0
		.amdhsa_next_free_vgpr 1
		.amdhsa_next_free_sgpr 0
		.amdhsa_accum_offset 4
		.amdhsa_reserve_vcc 0
		.amdhsa_reserve_flat_scratch 0
		.amdhsa_float_round_mode_32 0
		.amdhsa_float_round_mode_16_64 0
		.amdhsa_float_denorm_mode_32 3
		.amdhsa_float_denorm_mode_16_64 3
		.amdhsa_dx10_clamp 1
		.amdhsa_ieee_mode 1
		.amdhsa_fp16_overflow 0
		.amdhsa_tg_split 0
		.amdhsa_exception_fp_ieee_invalid_op 0
		.amdhsa_exception_fp_denorm_src 0
		.amdhsa_exception_fp_ieee_div_zero 0
		.amdhsa_exception_fp_ieee_overflow 0
		.amdhsa_exception_fp_ieee_underflow 0
		.amdhsa_exception_fp_ieee_inexact 0
		.amdhsa_exception_int_div_zero 0
	.end_amdhsa_kernel
	.section	.text._ZN7rocprim17ROCPRIM_400000_NS6detail17trampoline_kernelINS0_14default_configENS1_25partition_config_selectorILNS1_17partition_subalgoE0EjNS0_10empty_typeEbEEZZNS1_14partition_implILS5_0ELb0ES3_jN6thrust23THRUST_200600_302600_NS6detail15normal_iteratorINSA_10device_ptrIjEEEEPS6_SG_NS0_5tupleIJNSA_16discard_iteratorINSA_11use_defaultEEESK_EEENSH_IJSG_SG_EEES6_PlJ7is_evenIjEEEE10hipError_tPvRmT3_T4_T5_T6_T7_T9_mT8_P12ihipStream_tbDpT10_ENKUlT_T0_E_clISt17integral_constantIbLb0EES18_IbLb1EEEEDaS14_S15_EUlS14_E_NS1_11comp_targetILNS1_3genE10ELNS1_11target_archE1200ELNS1_3gpuE4ELNS1_3repE0EEENS1_30default_config_static_selectorELNS0_4arch9wavefront6targetE1EEEvT1_,"axG",@progbits,_ZN7rocprim17ROCPRIM_400000_NS6detail17trampoline_kernelINS0_14default_configENS1_25partition_config_selectorILNS1_17partition_subalgoE0EjNS0_10empty_typeEbEEZZNS1_14partition_implILS5_0ELb0ES3_jN6thrust23THRUST_200600_302600_NS6detail15normal_iteratorINSA_10device_ptrIjEEEEPS6_SG_NS0_5tupleIJNSA_16discard_iteratorINSA_11use_defaultEEESK_EEENSH_IJSG_SG_EEES6_PlJ7is_evenIjEEEE10hipError_tPvRmT3_T4_T5_T6_T7_T9_mT8_P12ihipStream_tbDpT10_ENKUlT_T0_E_clISt17integral_constantIbLb0EES18_IbLb1EEEEDaS14_S15_EUlS14_E_NS1_11comp_targetILNS1_3genE10ELNS1_11target_archE1200ELNS1_3gpuE4ELNS1_3repE0EEENS1_30default_config_static_selectorELNS0_4arch9wavefront6targetE1EEEvT1_,comdat
.Lfunc_end2424:
	.size	_ZN7rocprim17ROCPRIM_400000_NS6detail17trampoline_kernelINS0_14default_configENS1_25partition_config_selectorILNS1_17partition_subalgoE0EjNS0_10empty_typeEbEEZZNS1_14partition_implILS5_0ELb0ES3_jN6thrust23THRUST_200600_302600_NS6detail15normal_iteratorINSA_10device_ptrIjEEEEPS6_SG_NS0_5tupleIJNSA_16discard_iteratorINSA_11use_defaultEEESK_EEENSH_IJSG_SG_EEES6_PlJ7is_evenIjEEEE10hipError_tPvRmT3_T4_T5_T6_T7_T9_mT8_P12ihipStream_tbDpT10_ENKUlT_T0_E_clISt17integral_constantIbLb0EES18_IbLb1EEEEDaS14_S15_EUlS14_E_NS1_11comp_targetILNS1_3genE10ELNS1_11target_archE1200ELNS1_3gpuE4ELNS1_3repE0EEENS1_30default_config_static_selectorELNS0_4arch9wavefront6targetE1EEEvT1_, .Lfunc_end2424-_ZN7rocprim17ROCPRIM_400000_NS6detail17trampoline_kernelINS0_14default_configENS1_25partition_config_selectorILNS1_17partition_subalgoE0EjNS0_10empty_typeEbEEZZNS1_14partition_implILS5_0ELb0ES3_jN6thrust23THRUST_200600_302600_NS6detail15normal_iteratorINSA_10device_ptrIjEEEEPS6_SG_NS0_5tupleIJNSA_16discard_iteratorINSA_11use_defaultEEESK_EEENSH_IJSG_SG_EEES6_PlJ7is_evenIjEEEE10hipError_tPvRmT3_T4_T5_T6_T7_T9_mT8_P12ihipStream_tbDpT10_ENKUlT_T0_E_clISt17integral_constantIbLb0EES18_IbLb1EEEEDaS14_S15_EUlS14_E_NS1_11comp_targetILNS1_3genE10ELNS1_11target_archE1200ELNS1_3gpuE4ELNS1_3repE0EEENS1_30default_config_static_selectorELNS0_4arch9wavefront6targetE1EEEvT1_
                                        ; -- End function
	.section	.AMDGPU.csdata,"",@progbits
; Kernel info:
; codeLenInByte = 0
; NumSgprs: 4
; NumVgprs: 0
; NumAgprs: 0
; TotalNumVgprs: 0
; ScratchSize: 0
; MemoryBound: 0
; FloatMode: 240
; IeeeMode: 1
; LDSByteSize: 0 bytes/workgroup (compile time only)
; SGPRBlocks: 0
; VGPRBlocks: 0
; NumSGPRsForWavesPerEU: 4
; NumVGPRsForWavesPerEU: 1
; AccumOffset: 4
; Occupancy: 8
; WaveLimiterHint : 0
; COMPUTE_PGM_RSRC2:SCRATCH_EN: 0
; COMPUTE_PGM_RSRC2:USER_SGPR: 6
; COMPUTE_PGM_RSRC2:TRAP_HANDLER: 0
; COMPUTE_PGM_RSRC2:TGID_X_EN: 1
; COMPUTE_PGM_RSRC2:TGID_Y_EN: 0
; COMPUTE_PGM_RSRC2:TGID_Z_EN: 0
; COMPUTE_PGM_RSRC2:TIDIG_COMP_CNT: 0
; COMPUTE_PGM_RSRC3_GFX90A:ACCUM_OFFSET: 0
; COMPUTE_PGM_RSRC3_GFX90A:TG_SPLIT: 0
	.section	.text._ZN7rocprim17ROCPRIM_400000_NS6detail17trampoline_kernelINS0_14default_configENS1_25partition_config_selectorILNS1_17partition_subalgoE0EjNS0_10empty_typeEbEEZZNS1_14partition_implILS5_0ELb0ES3_jN6thrust23THRUST_200600_302600_NS6detail15normal_iteratorINSA_10device_ptrIjEEEEPS6_SG_NS0_5tupleIJNSA_16discard_iteratorINSA_11use_defaultEEESK_EEENSH_IJSG_SG_EEES6_PlJ7is_evenIjEEEE10hipError_tPvRmT3_T4_T5_T6_T7_T9_mT8_P12ihipStream_tbDpT10_ENKUlT_T0_E_clISt17integral_constantIbLb0EES18_IbLb1EEEEDaS14_S15_EUlS14_E_NS1_11comp_targetILNS1_3genE9ELNS1_11target_archE1100ELNS1_3gpuE3ELNS1_3repE0EEENS1_30default_config_static_selectorELNS0_4arch9wavefront6targetE1EEEvT1_,"axG",@progbits,_ZN7rocprim17ROCPRIM_400000_NS6detail17trampoline_kernelINS0_14default_configENS1_25partition_config_selectorILNS1_17partition_subalgoE0EjNS0_10empty_typeEbEEZZNS1_14partition_implILS5_0ELb0ES3_jN6thrust23THRUST_200600_302600_NS6detail15normal_iteratorINSA_10device_ptrIjEEEEPS6_SG_NS0_5tupleIJNSA_16discard_iteratorINSA_11use_defaultEEESK_EEENSH_IJSG_SG_EEES6_PlJ7is_evenIjEEEE10hipError_tPvRmT3_T4_T5_T6_T7_T9_mT8_P12ihipStream_tbDpT10_ENKUlT_T0_E_clISt17integral_constantIbLb0EES18_IbLb1EEEEDaS14_S15_EUlS14_E_NS1_11comp_targetILNS1_3genE9ELNS1_11target_archE1100ELNS1_3gpuE3ELNS1_3repE0EEENS1_30default_config_static_selectorELNS0_4arch9wavefront6targetE1EEEvT1_,comdat
	.protected	_ZN7rocprim17ROCPRIM_400000_NS6detail17trampoline_kernelINS0_14default_configENS1_25partition_config_selectorILNS1_17partition_subalgoE0EjNS0_10empty_typeEbEEZZNS1_14partition_implILS5_0ELb0ES3_jN6thrust23THRUST_200600_302600_NS6detail15normal_iteratorINSA_10device_ptrIjEEEEPS6_SG_NS0_5tupleIJNSA_16discard_iteratorINSA_11use_defaultEEESK_EEENSH_IJSG_SG_EEES6_PlJ7is_evenIjEEEE10hipError_tPvRmT3_T4_T5_T6_T7_T9_mT8_P12ihipStream_tbDpT10_ENKUlT_T0_E_clISt17integral_constantIbLb0EES18_IbLb1EEEEDaS14_S15_EUlS14_E_NS1_11comp_targetILNS1_3genE9ELNS1_11target_archE1100ELNS1_3gpuE3ELNS1_3repE0EEENS1_30default_config_static_selectorELNS0_4arch9wavefront6targetE1EEEvT1_ ; -- Begin function _ZN7rocprim17ROCPRIM_400000_NS6detail17trampoline_kernelINS0_14default_configENS1_25partition_config_selectorILNS1_17partition_subalgoE0EjNS0_10empty_typeEbEEZZNS1_14partition_implILS5_0ELb0ES3_jN6thrust23THRUST_200600_302600_NS6detail15normal_iteratorINSA_10device_ptrIjEEEEPS6_SG_NS0_5tupleIJNSA_16discard_iteratorINSA_11use_defaultEEESK_EEENSH_IJSG_SG_EEES6_PlJ7is_evenIjEEEE10hipError_tPvRmT3_T4_T5_T6_T7_T9_mT8_P12ihipStream_tbDpT10_ENKUlT_T0_E_clISt17integral_constantIbLb0EES18_IbLb1EEEEDaS14_S15_EUlS14_E_NS1_11comp_targetILNS1_3genE9ELNS1_11target_archE1100ELNS1_3gpuE3ELNS1_3repE0EEENS1_30default_config_static_selectorELNS0_4arch9wavefront6targetE1EEEvT1_
	.globl	_ZN7rocprim17ROCPRIM_400000_NS6detail17trampoline_kernelINS0_14default_configENS1_25partition_config_selectorILNS1_17partition_subalgoE0EjNS0_10empty_typeEbEEZZNS1_14partition_implILS5_0ELb0ES3_jN6thrust23THRUST_200600_302600_NS6detail15normal_iteratorINSA_10device_ptrIjEEEEPS6_SG_NS0_5tupleIJNSA_16discard_iteratorINSA_11use_defaultEEESK_EEENSH_IJSG_SG_EEES6_PlJ7is_evenIjEEEE10hipError_tPvRmT3_T4_T5_T6_T7_T9_mT8_P12ihipStream_tbDpT10_ENKUlT_T0_E_clISt17integral_constantIbLb0EES18_IbLb1EEEEDaS14_S15_EUlS14_E_NS1_11comp_targetILNS1_3genE9ELNS1_11target_archE1100ELNS1_3gpuE3ELNS1_3repE0EEENS1_30default_config_static_selectorELNS0_4arch9wavefront6targetE1EEEvT1_
	.p2align	8
	.type	_ZN7rocprim17ROCPRIM_400000_NS6detail17trampoline_kernelINS0_14default_configENS1_25partition_config_selectorILNS1_17partition_subalgoE0EjNS0_10empty_typeEbEEZZNS1_14partition_implILS5_0ELb0ES3_jN6thrust23THRUST_200600_302600_NS6detail15normal_iteratorINSA_10device_ptrIjEEEEPS6_SG_NS0_5tupleIJNSA_16discard_iteratorINSA_11use_defaultEEESK_EEENSH_IJSG_SG_EEES6_PlJ7is_evenIjEEEE10hipError_tPvRmT3_T4_T5_T6_T7_T9_mT8_P12ihipStream_tbDpT10_ENKUlT_T0_E_clISt17integral_constantIbLb0EES18_IbLb1EEEEDaS14_S15_EUlS14_E_NS1_11comp_targetILNS1_3genE9ELNS1_11target_archE1100ELNS1_3gpuE3ELNS1_3repE0EEENS1_30default_config_static_selectorELNS0_4arch9wavefront6targetE1EEEvT1_,@function
_ZN7rocprim17ROCPRIM_400000_NS6detail17trampoline_kernelINS0_14default_configENS1_25partition_config_selectorILNS1_17partition_subalgoE0EjNS0_10empty_typeEbEEZZNS1_14partition_implILS5_0ELb0ES3_jN6thrust23THRUST_200600_302600_NS6detail15normal_iteratorINSA_10device_ptrIjEEEEPS6_SG_NS0_5tupleIJNSA_16discard_iteratorINSA_11use_defaultEEESK_EEENSH_IJSG_SG_EEES6_PlJ7is_evenIjEEEE10hipError_tPvRmT3_T4_T5_T6_T7_T9_mT8_P12ihipStream_tbDpT10_ENKUlT_T0_E_clISt17integral_constantIbLb0EES18_IbLb1EEEEDaS14_S15_EUlS14_E_NS1_11comp_targetILNS1_3genE9ELNS1_11target_archE1100ELNS1_3gpuE3ELNS1_3repE0EEENS1_30default_config_static_selectorELNS0_4arch9wavefront6targetE1EEEvT1_: ; @_ZN7rocprim17ROCPRIM_400000_NS6detail17trampoline_kernelINS0_14default_configENS1_25partition_config_selectorILNS1_17partition_subalgoE0EjNS0_10empty_typeEbEEZZNS1_14partition_implILS5_0ELb0ES3_jN6thrust23THRUST_200600_302600_NS6detail15normal_iteratorINSA_10device_ptrIjEEEEPS6_SG_NS0_5tupleIJNSA_16discard_iteratorINSA_11use_defaultEEESK_EEENSH_IJSG_SG_EEES6_PlJ7is_evenIjEEEE10hipError_tPvRmT3_T4_T5_T6_T7_T9_mT8_P12ihipStream_tbDpT10_ENKUlT_T0_E_clISt17integral_constantIbLb0EES18_IbLb1EEEEDaS14_S15_EUlS14_E_NS1_11comp_targetILNS1_3genE9ELNS1_11target_archE1100ELNS1_3gpuE3ELNS1_3repE0EEENS1_30default_config_static_selectorELNS0_4arch9wavefront6targetE1EEEvT1_
; %bb.0:
	.section	.rodata,"a",@progbits
	.p2align	6, 0x0
	.amdhsa_kernel _ZN7rocprim17ROCPRIM_400000_NS6detail17trampoline_kernelINS0_14default_configENS1_25partition_config_selectorILNS1_17partition_subalgoE0EjNS0_10empty_typeEbEEZZNS1_14partition_implILS5_0ELb0ES3_jN6thrust23THRUST_200600_302600_NS6detail15normal_iteratorINSA_10device_ptrIjEEEEPS6_SG_NS0_5tupleIJNSA_16discard_iteratorINSA_11use_defaultEEESK_EEENSH_IJSG_SG_EEES6_PlJ7is_evenIjEEEE10hipError_tPvRmT3_T4_T5_T6_T7_T9_mT8_P12ihipStream_tbDpT10_ENKUlT_T0_E_clISt17integral_constantIbLb0EES18_IbLb1EEEEDaS14_S15_EUlS14_E_NS1_11comp_targetILNS1_3genE9ELNS1_11target_archE1100ELNS1_3gpuE3ELNS1_3repE0EEENS1_30default_config_static_selectorELNS0_4arch9wavefront6targetE1EEEvT1_
		.amdhsa_group_segment_fixed_size 0
		.amdhsa_private_segment_fixed_size 0
		.amdhsa_kernarg_size 152
		.amdhsa_user_sgpr_count 6
		.amdhsa_user_sgpr_private_segment_buffer 1
		.amdhsa_user_sgpr_dispatch_ptr 0
		.amdhsa_user_sgpr_queue_ptr 0
		.amdhsa_user_sgpr_kernarg_segment_ptr 1
		.amdhsa_user_sgpr_dispatch_id 0
		.amdhsa_user_sgpr_flat_scratch_init 0
		.amdhsa_user_sgpr_kernarg_preload_length 0
		.amdhsa_user_sgpr_kernarg_preload_offset 0
		.amdhsa_user_sgpr_private_segment_size 0
		.amdhsa_uses_dynamic_stack 0
		.amdhsa_system_sgpr_private_segment_wavefront_offset 0
		.amdhsa_system_sgpr_workgroup_id_x 1
		.amdhsa_system_sgpr_workgroup_id_y 0
		.amdhsa_system_sgpr_workgroup_id_z 0
		.amdhsa_system_sgpr_workgroup_info 0
		.amdhsa_system_vgpr_workitem_id 0
		.amdhsa_next_free_vgpr 1
		.amdhsa_next_free_sgpr 0
		.amdhsa_accum_offset 4
		.amdhsa_reserve_vcc 0
		.amdhsa_reserve_flat_scratch 0
		.amdhsa_float_round_mode_32 0
		.amdhsa_float_round_mode_16_64 0
		.amdhsa_float_denorm_mode_32 3
		.amdhsa_float_denorm_mode_16_64 3
		.amdhsa_dx10_clamp 1
		.amdhsa_ieee_mode 1
		.amdhsa_fp16_overflow 0
		.amdhsa_tg_split 0
		.amdhsa_exception_fp_ieee_invalid_op 0
		.amdhsa_exception_fp_denorm_src 0
		.amdhsa_exception_fp_ieee_div_zero 0
		.amdhsa_exception_fp_ieee_overflow 0
		.amdhsa_exception_fp_ieee_underflow 0
		.amdhsa_exception_fp_ieee_inexact 0
		.amdhsa_exception_int_div_zero 0
	.end_amdhsa_kernel
	.section	.text._ZN7rocprim17ROCPRIM_400000_NS6detail17trampoline_kernelINS0_14default_configENS1_25partition_config_selectorILNS1_17partition_subalgoE0EjNS0_10empty_typeEbEEZZNS1_14partition_implILS5_0ELb0ES3_jN6thrust23THRUST_200600_302600_NS6detail15normal_iteratorINSA_10device_ptrIjEEEEPS6_SG_NS0_5tupleIJNSA_16discard_iteratorINSA_11use_defaultEEESK_EEENSH_IJSG_SG_EEES6_PlJ7is_evenIjEEEE10hipError_tPvRmT3_T4_T5_T6_T7_T9_mT8_P12ihipStream_tbDpT10_ENKUlT_T0_E_clISt17integral_constantIbLb0EES18_IbLb1EEEEDaS14_S15_EUlS14_E_NS1_11comp_targetILNS1_3genE9ELNS1_11target_archE1100ELNS1_3gpuE3ELNS1_3repE0EEENS1_30default_config_static_selectorELNS0_4arch9wavefront6targetE1EEEvT1_,"axG",@progbits,_ZN7rocprim17ROCPRIM_400000_NS6detail17trampoline_kernelINS0_14default_configENS1_25partition_config_selectorILNS1_17partition_subalgoE0EjNS0_10empty_typeEbEEZZNS1_14partition_implILS5_0ELb0ES3_jN6thrust23THRUST_200600_302600_NS6detail15normal_iteratorINSA_10device_ptrIjEEEEPS6_SG_NS0_5tupleIJNSA_16discard_iteratorINSA_11use_defaultEEESK_EEENSH_IJSG_SG_EEES6_PlJ7is_evenIjEEEE10hipError_tPvRmT3_T4_T5_T6_T7_T9_mT8_P12ihipStream_tbDpT10_ENKUlT_T0_E_clISt17integral_constantIbLb0EES18_IbLb1EEEEDaS14_S15_EUlS14_E_NS1_11comp_targetILNS1_3genE9ELNS1_11target_archE1100ELNS1_3gpuE3ELNS1_3repE0EEENS1_30default_config_static_selectorELNS0_4arch9wavefront6targetE1EEEvT1_,comdat
.Lfunc_end2425:
	.size	_ZN7rocprim17ROCPRIM_400000_NS6detail17trampoline_kernelINS0_14default_configENS1_25partition_config_selectorILNS1_17partition_subalgoE0EjNS0_10empty_typeEbEEZZNS1_14partition_implILS5_0ELb0ES3_jN6thrust23THRUST_200600_302600_NS6detail15normal_iteratorINSA_10device_ptrIjEEEEPS6_SG_NS0_5tupleIJNSA_16discard_iteratorINSA_11use_defaultEEESK_EEENSH_IJSG_SG_EEES6_PlJ7is_evenIjEEEE10hipError_tPvRmT3_T4_T5_T6_T7_T9_mT8_P12ihipStream_tbDpT10_ENKUlT_T0_E_clISt17integral_constantIbLb0EES18_IbLb1EEEEDaS14_S15_EUlS14_E_NS1_11comp_targetILNS1_3genE9ELNS1_11target_archE1100ELNS1_3gpuE3ELNS1_3repE0EEENS1_30default_config_static_selectorELNS0_4arch9wavefront6targetE1EEEvT1_, .Lfunc_end2425-_ZN7rocprim17ROCPRIM_400000_NS6detail17trampoline_kernelINS0_14default_configENS1_25partition_config_selectorILNS1_17partition_subalgoE0EjNS0_10empty_typeEbEEZZNS1_14partition_implILS5_0ELb0ES3_jN6thrust23THRUST_200600_302600_NS6detail15normal_iteratorINSA_10device_ptrIjEEEEPS6_SG_NS0_5tupleIJNSA_16discard_iteratorINSA_11use_defaultEEESK_EEENSH_IJSG_SG_EEES6_PlJ7is_evenIjEEEE10hipError_tPvRmT3_T4_T5_T6_T7_T9_mT8_P12ihipStream_tbDpT10_ENKUlT_T0_E_clISt17integral_constantIbLb0EES18_IbLb1EEEEDaS14_S15_EUlS14_E_NS1_11comp_targetILNS1_3genE9ELNS1_11target_archE1100ELNS1_3gpuE3ELNS1_3repE0EEENS1_30default_config_static_selectorELNS0_4arch9wavefront6targetE1EEEvT1_
                                        ; -- End function
	.section	.AMDGPU.csdata,"",@progbits
; Kernel info:
; codeLenInByte = 0
; NumSgprs: 4
; NumVgprs: 0
; NumAgprs: 0
; TotalNumVgprs: 0
; ScratchSize: 0
; MemoryBound: 0
; FloatMode: 240
; IeeeMode: 1
; LDSByteSize: 0 bytes/workgroup (compile time only)
; SGPRBlocks: 0
; VGPRBlocks: 0
; NumSGPRsForWavesPerEU: 4
; NumVGPRsForWavesPerEU: 1
; AccumOffset: 4
; Occupancy: 8
; WaveLimiterHint : 0
; COMPUTE_PGM_RSRC2:SCRATCH_EN: 0
; COMPUTE_PGM_RSRC2:USER_SGPR: 6
; COMPUTE_PGM_RSRC2:TRAP_HANDLER: 0
; COMPUTE_PGM_RSRC2:TGID_X_EN: 1
; COMPUTE_PGM_RSRC2:TGID_Y_EN: 0
; COMPUTE_PGM_RSRC2:TGID_Z_EN: 0
; COMPUTE_PGM_RSRC2:TIDIG_COMP_CNT: 0
; COMPUTE_PGM_RSRC3_GFX90A:ACCUM_OFFSET: 0
; COMPUTE_PGM_RSRC3_GFX90A:TG_SPLIT: 0
	.section	.text._ZN7rocprim17ROCPRIM_400000_NS6detail17trampoline_kernelINS0_14default_configENS1_25partition_config_selectorILNS1_17partition_subalgoE0EjNS0_10empty_typeEbEEZZNS1_14partition_implILS5_0ELb0ES3_jN6thrust23THRUST_200600_302600_NS6detail15normal_iteratorINSA_10device_ptrIjEEEEPS6_SG_NS0_5tupleIJNSA_16discard_iteratorINSA_11use_defaultEEESK_EEENSH_IJSG_SG_EEES6_PlJ7is_evenIjEEEE10hipError_tPvRmT3_T4_T5_T6_T7_T9_mT8_P12ihipStream_tbDpT10_ENKUlT_T0_E_clISt17integral_constantIbLb0EES18_IbLb1EEEEDaS14_S15_EUlS14_E_NS1_11comp_targetILNS1_3genE8ELNS1_11target_archE1030ELNS1_3gpuE2ELNS1_3repE0EEENS1_30default_config_static_selectorELNS0_4arch9wavefront6targetE1EEEvT1_,"axG",@progbits,_ZN7rocprim17ROCPRIM_400000_NS6detail17trampoline_kernelINS0_14default_configENS1_25partition_config_selectorILNS1_17partition_subalgoE0EjNS0_10empty_typeEbEEZZNS1_14partition_implILS5_0ELb0ES3_jN6thrust23THRUST_200600_302600_NS6detail15normal_iteratorINSA_10device_ptrIjEEEEPS6_SG_NS0_5tupleIJNSA_16discard_iteratorINSA_11use_defaultEEESK_EEENSH_IJSG_SG_EEES6_PlJ7is_evenIjEEEE10hipError_tPvRmT3_T4_T5_T6_T7_T9_mT8_P12ihipStream_tbDpT10_ENKUlT_T0_E_clISt17integral_constantIbLb0EES18_IbLb1EEEEDaS14_S15_EUlS14_E_NS1_11comp_targetILNS1_3genE8ELNS1_11target_archE1030ELNS1_3gpuE2ELNS1_3repE0EEENS1_30default_config_static_selectorELNS0_4arch9wavefront6targetE1EEEvT1_,comdat
	.protected	_ZN7rocprim17ROCPRIM_400000_NS6detail17trampoline_kernelINS0_14default_configENS1_25partition_config_selectorILNS1_17partition_subalgoE0EjNS0_10empty_typeEbEEZZNS1_14partition_implILS5_0ELb0ES3_jN6thrust23THRUST_200600_302600_NS6detail15normal_iteratorINSA_10device_ptrIjEEEEPS6_SG_NS0_5tupleIJNSA_16discard_iteratorINSA_11use_defaultEEESK_EEENSH_IJSG_SG_EEES6_PlJ7is_evenIjEEEE10hipError_tPvRmT3_T4_T5_T6_T7_T9_mT8_P12ihipStream_tbDpT10_ENKUlT_T0_E_clISt17integral_constantIbLb0EES18_IbLb1EEEEDaS14_S15_EUlS14_E_NS1_11comp_targetILNS1_3genE8ELNS1_11target_archE1030ELNS1_3gpuE2ELNS1_3repE0EEENS1_30default_config_static_selectorELNS0_4arch9wavefront6targetE1EEEvT1_ ; -- Begin function _ZN7rocprim17ROCPRIM_400000_NS6detail17trampoline_kernelINS0_14default_configENS1_25partition_config_selectorILNS1_17partition_subalgoE0EjNS0_10empty_typeEbEEZZNS1_14partition_implILS5_0ELb0ES3_jN6thrust23THRUST_200600_302600_NS6detail15normal_iteratorINSA_10device_ptrIjEEEEPS6_SG_NS0_5tupleIJNSA_16discard_iteratorINSA_11use_defaultEEESK_EEENSH_IJSG_SG_EEES6_PlJ7is_evenIjEEEE10hipError_tPvRmT3_T4_T5_T6_T7_T9_mT8_P12ihipStream_tbDpT10_ENKUlT_T0_E_clISt17integral_constantIbLb0EES18_IbLb1EEEEDaS14_S15_EUlS14_E_NS1_11comp_targetILNS1_3genE8ELNS1_11target_archE1030ELNS1_3gpuE2ELNS1_3repE0EEENS1_30default_config_static_selectorELNS0_4arch9wavefront6targetE1EEEvT1_
	.globl	_ZN7rocprim17ROCPRIM_400000_NS6detail17trampoline_kernelINS0_14default_configENS1_25partition_config_selectorILNS1_17partition_subalgoE0EjNS0_10empty_typeEbEEZZNS1_14partition_implILS5_0ELb0ES3_jN6thrust23THRUST_200600_302600_NS6detail15normal_iteratorINSA_10device_ptrIjEEEEPS6_SG_NS0_5tupleIJNSA_16discard_iteratorINSA_11use_defaultEEESK_EEENSH_IJSG_SG_EEES6_PlJ7is_evenIjEEEE10hipError_tPvRmT3_T4_T5_T6_T7_T9_mT8_P12ihipStream_tbDpT10_ENKUlT_T0_E_clISt17integral_constantIbLb0EES18_IbLb1EEEEDaS14_S15_EUlS14_E_NS1_11comp_targetILNS1_3genE8ELNS1_11target_archE1030ELNS1_3gpuE2ELNS1_3repE0EEENS1_30default_config_static_selectorELNS0_4arch9wavefront6targetE1EEEvT1_
	.p2align	8
	.type	_ZN7rocprim17ROCPRIM_400000_NS6detail17trampoline_kernelINS0_14default_configENS1_25partition_config_selectorILNS1_17partition_subalgoE0EjNS0_10empty_typeEbEEZZNS1_14partition_implILS5_0ELb0ES3_jN6thrust23THRUST_200600_302600_NS6detail15normal_iteratorINSA_10device_ptrIjEEEEPS6_SG_NS0_5tupleIJNSA_16discard_iteratorINSA_11use_defaultEEESK_EEENSH_IJSG_SG_EEES6_PlJ7is_evenIjEEEE10hipError_tPvRmT3_T4_T5_T6_T7_T9_mT8_P12ihipStream_tbDpT10_ENKUlT_T0_E_clISt17integral_constantIbLb0EES18_IbLb1EEEEDaS14_S15_EUlS14_E_NS1_11comp_targetILNS1_3genE8ELNS1_11target_archE1030ELNS1_3gpuE2ELNS1_3repE0EEENS1_30default_config_static_selectorELNS0_4arch9wavefront6targetE1EEEvT1_,@function
_ZN7rocprim17ROCPRIM_400000_NS6detail17trampoline_kernelINS0_14default_configENS1_25partition_config_selectorILNS1_17partition_subalgoE0EjNS0_10empty_typeEbEEZZNS1_14partition_implILS5_0ELb0ES3_jN6thrust23THRUST_200600_302600_NS6detail15normal_iteratorINSA_10device_ptrIjEEEEPS6_SG_NS0_5tupleIJNSA_16discard_iteratorINSA_11use_defaultEEESK_EEENSH_IJSG_SG_EEES6_PlJ7is_evenIjEEEE10hipError_tPvRmT3_T4_T5_T6_T7_T9_mT8_P12ihipStream_tbDpT10_ENKUlT_T0_E_clISt17integral_constantIbLb0EES18_IbLb1EEEEDaS14_S15_EUlS14_E_NS1_11comp_targetILNS1_3genE8ELNS1_11target_archE1030ELNS1_3gpuE2ELNS1_3repE0EEENS1_30default_config_static_selectorELNS0_4arch9wavefront6targetE1EEEvT1_: ; @_ZN7rocprim17ROCPRIM_400000_NS6detail17trampoline_kernelINS0_14default_configENS1_25partition_config_selectorILNS1_17partition_subalgoE0EjNS0_10empty_typeEbEEZZNS1_14partition_implILS5_0ELb0ES3_jN6thrust23THRUST_200600_302600_NS6detail15normal_iteratorINSA_10device_ptrIjEEEEPS6_SG_NS0_5tupleIJNSA_16discard_iteratorINSA_11use_defaultEEESK_EEENSH_IJSG_SG_EEES6_PlJ7is_evenIjEEEE10hipError_tPvRmT3_T4_T5_T6_T7_T9_mT8_P12ihipStream_tbDpT10_ENKUlT_T0_E_clISt17integral_constantIbLb0EES18_IbLb1EEEEDaS14_S15_EUlS14_E_NS1_11comp_targetILNS1_3genE8ELNS1_11target_archE1030ELNS1_3gpuE2ELNS1_3repE0EEENS1_30default_config_static_selectorELNS0_4arch9wavefront6targetE1EEEvT1_
; %bb.0:
	.section	.rodata,"a",@progbits
	.p2align	6, 0x0
	.amdhsa_kernel _ZN7rocprim17ROCPRIM_400000_NS6detail17trampoline_kernelINS0_14default_configENS1_25partition_config_selectorILNS1_17partition_subalgoE0EjNS0_10empty_typeEbEEZZNS1_14partition_implILS5_0ELb0ES3_jN6thrust23THRUST_200600_302600_NS6detail15normal_iteratorINSA_10device_ptrIjEEEEPS6_SG_NS0_5tupleIJNSA_16discard_iteratorINSA_11use_defaultEEESK_EEENSH_IJSG_SG_EEES6_PlJ7is_evenIjEEEE10hipError_tPvRmT3_T4_T5_T6_T7_T9_mT8_P12ihipStream_tbDpT10_ENKUlT_T0_E_clISt17integral_constantIbLb0EES18_IbLb1EEEEDaS14_S15_EUlS14_E_NS1_11comp_targetILNS1_3genE8ELNS1_11target_archE1030ELNS1_3gpuE2ELNS1_3repE0EEENS1_30default_config_static_selectorELNS0_4arch9wavefront6targetE1EEEvT1_
		.amdhsa_group_segment_fixed_size 0
		.amdhsa_private_segment_fixed_size 0
		.amdhsa_kernarg_size 152
		.amdhsa_user_sgpr_count 6
		.amdhsa_user_sgpr_private_segment_buffer 1
		.amdhsa_user_sgpr_dispatch_ptr 0
		.amdhsa_user_sgpr_queue_ptr 0
		.amdhsa_user_sgpr_kernarg_segment_ptr 1
		.amdhsa_user_sgpr_dispatch_id 0
		.amdhsa_user_sgpr_flat_scratch_init 0
		.amdhsa_user_sgpr_kernarg_preload_length 0
		.amdhsa_user_sgpr_kernarg_preload_offset 0
		.amdhsa_user_sgpr_private_segment_size 0
		.amdhsa_uses_dynamic_stack 0
		.amdhsa_system_sgpr_private_segment_wavefront_offset 0
		.amdhsa_system_sgpr_workgroup_id_x 1
		.amdhsa_system_sgpr_workgroup_id_y 0
		.amdhsa_system_sgpr_workgroup_id_z 0
		.amdhsa_system_sgpr_workgroup_info 0
		.amdhsa_system_vgpr_workitem_id 0
		.amdhsa_next_free_vgpr 1
		.amdhsa_next_free_sgpr 0
		.amdhsa_accum_offset 4
		.amdhsa_reserve_vcc 0
		.amdhsa_reserve_flat_scratch 0
		.amdhsa_float_round_mode_32 0
		.amdhsa_float_round_mode_16_64 0
		.amdhsa_float_denorm_mode_32 3
		.amdhsa_float_denorm_mode_16_64 3
		.amdhsa_dx10_clamp 1
		.amdhsa_ieee_mode 1
		.amdhsa_fp16_overflow 0
		.amdhsa_tg_split 0
		.amdhsa_exception_fp_ieee_invalid_op 0
		.amdhsa_exception_fp_denorm_src 0
		.amdhsa_exception_fp_ieee_div_zero 0
		.amdhsa_exception_fp_ieee_overflow 0
		.amdhsa_exception_fp_ieee_underflow 0
		.amdhsa_exception_fp_ieee_inexact 0
		.amdhsa_exception_int_div_zero 0
	.end_amdhsa_kernel
	.section	.text._ZN7rocprim17ROCPRIM_400000_NS6detail17trampoline_kernelINS0_14default_configENS1_25partition_config_selectorILNS1_17partition_subalgoE0EjNS0_10empty_typeEbEEZZNS1_14partition_implILS5_0ELb0ES3_jN6thrust23THRUST_200600_302600_NS6detail15normal_iteratorINSA_10device_ptrIjEEEEPS6_SG_NS0_5tupleIJNSA_16discard_iteratorINSA_11use_defaultEEESK_EEENSH_IJSG_SG_EEES6_PlJ7is_evenIjEEEE10hipError_tPvRmT3_T4_T5_T6_T7_T9_mT8_P12ihipStream_tbDpT10_ENKUlT_T0_E_clISt17integral_constantIbLb0EES18_IbLb1EEEEDaS14_S15_EUlS14_E_NS1_11comp_targetILNS1_3genE8ELNS1_11target_archE1030ELNS1_3gpuE2ELNS1_3repE0EEENS1_30default_config_static_selectorELNS0_4arch9wavefront6targetE1EEEvT1_,"axG",@progbits,_ZN7rocprim17ROCPRIM_400000_NS6detail17trampoline_kernelINS0_14default_configENS1_25partition_config_selectorILNS1_17partition_subalgoE0EjNS0_10empty_typeEbEEZZNS1_14partition_implILS5_0ELb0ES3_jN6thrust23THRUST_200600_302600_NS6detail15normal_iteratorINSA_10device_ptrIjEEEEPS6_SG_NS0_5tupleIJNSA_16discard_iteratorINSA_11use_defaultEEESK_EEENSH_IJSG_SG_EEES6_PlJ7is_evenIjEEEE10hipError_tPvRmT3_T4_T5_T6_T7_T9_mT8_P12ihipStream_tbDpT10_ENKUlT_T0_E_clISt17integral_constantIbLb0EES18_IbLb1EEEEDaS14_S15_EUlS14_E_NS1_11comp_targetILNS1_3genE8ELNS1_11target_archE1030ELNS1_3gpuE2ELNS1_3repE0EEENS1_30default_config_static_selectorELNS0_4arch9wavefront6targetE1EEEvT1_,comdat
.Lfunc_end2426:
	.size	_ZN7rocprim17ROCPRIM_400000_NS6detail17trampoline_kernelINS0_14default_configENS1_25partition_config_selectorILNS1_17partition_subalgoE0EjNS0_10empty_typeEbEEZZNS1_14partition_implILS5_0ELb0ES3_jN6thrust23THRUST_200600_302600_NS6detail15normal_iteratorINSA_10device_ptrIjEEEEPS6_SG_NS0_5tupleIJNSA_16discard_iteratorINSA_11use_defaultEEESK_EEENSH_IJSG_SG_EEES6_PlJ7is_evenIjEEEE10hipError_tPvRmT3_T4_T5_T6_T7_T9_mT8_P12ihipStream_tbDpT10_ENKUlT_T0_E_clISt17integral_constantIbLb0EES18_IbLb1EEEEDaS14_S15_EUlS14_E_NS1_11comp_targetILNS1_3genE8ELNS1_11target_archE1030ELNS1_3gpuE2ELNS1_3repE0EEENS1_30default_config_static_selectorELNS0_4arch9wavefront6targetE1EEEvT1_, .Lfunc_end2426-_ZN7rocprim17ROCPRIM_400000_NS6detail17trampoline_kernelINS0_14default_configENS1_25partition_config_selectorILNS1_17partition_subalgoE0EjNS0_10empty_typeEbEEZZNS1_14partition_implILS5_0ELb0ES3_jN6thrust23THRUST_200600_302600_NS6detail15normal_iteratorINSA_10device_ptrIjEEEEPS6_SG_NS0_5tupleIJNSA_16discard_iteratorINSA_11use_defaultEEESK_EEENSH_IJSG_SG_EEES6_PlJ7is_evenIjEEEE10hipError_tPvRmT3_T4_T5_T6_T7_T9_mT8_P12ihipStream_tbDpT10_ENKUlT_T0_E_clISt17integral_constantIbLb0EES18_IbLb1EEEEDaS14_S15_EUlS14_E_NS1_11comp_targetILNS1_3genE8ELNS1_11target_archE1030ELNS1_3gpuE2ELNS1_3repE0EEENS1_30default_config_static_selectorELNS0_4arch9wavefront6targetE1EEEvT1_
                                        ; -- End function
	.section	.AMDGPU.csdata,"",@progbits
; Kernel info:
; codeLenInByte = 0
; NumSgprs: 4
; NumVgprs: 0
; NumAgprs: 0
; TotalNumVgprs: 0
; ScratchSize: 0
; MemoryBound: 0
; FloatMode: 240
; IeeeMode: 1
; LDSByteSize: 0 bytes/workgroup (compile time only)
; SGPRBlocks: 0
; VGPRBlocks: 0
; NumSGPRsForWavesPerEU: 4
; NumVGPRsForWavesPerEU: 1
; AccumOffset: 4
; Occupancy: 8
; WaveLimiterHint : 0
; COMPUTE_PGM_RSRC2:SCRATCH_EN: 0
; COMPUTE_PGM_RSRC2:USER_SGPR: 6
; COMPUTE_PGM_RSRC2:TRAP_HANDLER: 0
; COMPUTE_PGM_RSRC2:TGID_X_EN: 1
; COMPUTE_PGM_RSRC2:TGID_Y_EN: 0
; COMPUTE_PGM_RSRC2:TGID_Z_EN: 0
; COMPUTE_PGM_RSRC2:TIDIG_COMP_CNT: 0
; COMPUTE_PGM_RSRC3_GFX90A:ACCUM_OFFSET: 0
; COMPUTE_PGM_RSRC3_GFX90A:TG_SPLIT: 0
	.section	.text._ZN7rocprim17ROCPRIM_400000_NS6detail17trampoline_kernelINS0_14default_configENS1_25partition_config_selectorILNS1_17partition_subalgoE0EjNS0_10empty_typeEbEEZZNS1_14partition_implILS5_0ELb0ES3_jN6thrust23THRUST_200600_302600_NS6detail15normal_iteratorINSA_10device_ptrIjEEEEPS6_SG_NS0_5tupleIJSF_NSA_16discard_iteratorINSA_11use_defaultEEEEEENSH_IJSG_SG_EEES6_PlJ7is_evenIjEEEE10hipError_tPvRmT3_T4_T5_T6_T7_T9_mT8_P12ihipStream_tbDpT10_ENKUlT_T0_E_clISt17integral_constantIbLb0EES19_EEDaS14_S15_EUlS14_E_NS1_11comp_targetILNS1_3genE0ELNS1_11target_archE4294967295ELNS1_3gpuE0ELNS1_3repE0EEENS1_30default_config_static_selectorELNS0_4arch9wavefront6targetE1EEEvT1_,"axG",@progbits,_ZN7rocprim17ROCPRIM_400000_NS6detail17trampoline_kernelINS0_14default_configENS1_25partition_config_selectorILNS1_17partition_subalgoE0EjNS0_10empty_typeEbEEZZNS1_14partition_implILS5_0ELb0ES3_jN6thrust23THRUST_200600_302600_NS6detail15normal_iteratorINSA_10device_ptrIjEEEEPS6_SG_NS0_5tupleIJSF_NSA_16discard_iteratorINSA_11use_defaultEEEEEENSH_IJSG_SG_EEES6_PlJ7is_evenIjEEEE10hipError_tPvRmT3_T4_T5_T6_T7_T9_mT8_P12ihipStream_tbDpT10_ENKUlT_T0_E_clISt17integral_constantIbLb0EES19_EEDaS14_S15_EUlS14_E_NS1_11comp_targetILNS1_3genE0ELNS1_11target_archE4294967295ELNS1_3gpuE0ELNS1_3repE0EEENS1_30default_config_static_selectorELNS0_4arch9wavefront6targetE1EEEvT1_,comdat
	.protected	_ZN7rocprim17ROCPRIM_400000_NS6detail17trampoline_kernelINS0_14default_configENS1_25partition_config_selectorILNS1_17partition_subalgoE0EjNS0_10empty_typeEbEEZZNS1_14partition_implILS5_0ELb0ES3_jN6thrust23THRUST_200600_302600_NS6detail15normal_iteratorINSA_10device_ptrIjEEEEPS6_SG_NS0_5tupleIJSF_NSA_16discard_iteratorINSA_11use_defaultEEEEEENSH_IJSG_SG_EEES6_PlJ7is_evenIjEEEE10hipError_tPvRmT3_T4_T5_T6_T7_T9_mT8_P12ihipStream_tbDpT10_ENKUlT_T0_E_clISt17integral_constantIbLb0EES19_EEDaS14_S15_EUlS14_E_NS1_11comp_targetILNS1_3genE0ELNS1_11target_archE4294967295ELNS1_3gpuE0ELNS1_3repE0EEENS1_30default_config_static_selectorELNS0_4arch9wavefront6targetE1EEEvT1_ ; -- Begin function _ZN7rocprim17ROCPRIM_400000_NS6detail17trampoline_kernelINS0_14default_configENS1_25partition_config_selectorILNS1_17partition_subalgoE0EjNS0_10empty_typeEbEEZZNS1_14partition_implILS5_0ELb0ES3_jN6thrust23THRUST_200600_302600_NS6detail15normal_iteratorINSA_10device_ptrIjEEEEPS6_SG_NS0_5tupleIJSF_NSA_16discard_iteratorINSA_11use_defaultEEEEEENSH_IJSG_SG_EEES6_PlJ7is_evenIjEEEE10hipError_tPvRmT3_T4_T5_T6_T7_T9_mT8_P12ihipStream_tbDpT10_ENKUlT_T0_E_clISt17integral_constantIbLb0EES19_EEDaS14_S15_EUlS14_E_NS1_11comp_targetILNS1_3genE0ELNS1_11target_archE4294967295ELNS1_3gpuE0ELNS1_3repE0EEENS1_30default_config_static_selectorELNS0_4arch9wavefront6targetE1EEEvT1_
	.globl	_ZN7rocprim17ROCPRIM_400000_NS6detail17trampoline_kernelINS0_14default_configENS1_25partition_config_selectorILNS1_17partition_subalgoE0EjNS0_10empty_typeEbEEZZNS1_14partition_implILS5_0ELb0ES3_jN6thrust23THRUST_200600_302600_NS6detail15normal_iteratorINSA_10device_ptrIjEEEEPS6_SG_NS0_5tupleIJSF_NSA_16discard_iteratorINSA_11use_defaultEEEEEENSH_IJSG_SG_EEES6_PlJ7is_evenIjEEEE10hipError_tPvRmT3_T4_T5_T6_T7_T9_mT8_P12ihipStream_tbDpT10_ENKUlT_T0_E_clISt17integral_constantIbLb0EES19_EEDaS14_S15_EUlS14_E_NS1_11comp_targetILNS1_3genE0ELNS1_11target_archE4294967295ELNS1_3gpuE0ELNS1_3repE0EEENS1_30default_config_static_selectorELNS0_4arch9wavefront6targetE1EEEvT1_
	.p2align	8
	.type	_ZN7rocprim17ROCPRIM_400000_NS6detail17trampoline_kernelINS0_14default_configENS1_25partition_config_selectorILNS1_17partition_subalgoE0EjNS0_10empty_typeEbEEZZNS1_14partition_implILS5_0ELb0ES3_jN6thrust23THRUST_200600_302600_NS6detail15normal_iteratorINSA_10device_ptrIjEEEEPS6_SG_NS0_5tupleIJSF_NSA_16discard_iteratorINSA_11use_defaultEEEEEENSH_IJSG_SG_EEES6_PlJ7is_evenIjEEEE10hipError_tPvRmT3_T4_T5_T6_T7_T9_mT8_P12ihipStream_tbDpT10_ENKUlT_T0_E_clISt17integral_constantIbLb0EES19_EEDaS14_S15_EUlS14_E_NS1_11comp_targetILNS1_3genE0ELNS1_11target_archE4294967295ELNS1_3gpuE0ELNS1_3repE0EEENS1_30default_config_static_selectorELNS0_4arch9wavefront6targetE1EEEvT1_,@function
_ZN7rocprim17ROCPRIM_400000_NS6detail17trampoline_kernelINS0_14default_configENS1_25partition_config_selectorILNS1_17partition_subalgoE0EjNS0_10empty_typeEbEEZZNS1_14partition_implILS5_0ELb0ES3_jN6thrust23THRUST_200600_302600_NS6detail15normal_iteratorINSA_10device_ptrIjEEEEPS6_SG_NS0_5tupleIJSF_NSA_16discard_iteratorINSA_11use_defaultEEEEEENSH_IJSG_SG_EEES6_PlJ7is_evenIjEEEE10hipError_tPvRmT3_T4_T5_T6_T7_T9_mT8_P12ihipStream_tbDpT10_ENKUlT_T0_E_clISt17integral_constantIbLb0EES19_EEDaS14_S15_EUlS14_E_NS1_11comp_targetILNS1_3genE0ELNS1_11target_archE4294967295ELNS1_3gpuE0ELNS1_3repE0EEENS1_30default_config_static_selectorELNS0_4arch9wavefront6targetE1EEEvT1_: ; @_ZN7rocprim17ROCPRIM_400000_NS6detail17trampoline_kernelINS0_14default_configENS1_25partition_config_selectorILNS1_17partition_subalgoE0EjNS0_10empty_typeEbEEZZNS1_14partition_implILS5_0ELb0ES3_jN6thrust23THRUST_200600_302600_NS6detail15normal_iteratorINSA_10device_ptrIjEEEEPS6_SG_NS0_5tupleIJSF_NSA_16discard_iteratorINSA_11use_defaultEEEEEENSH_IJSG_SG_EEES6_PlJ7is_evenIjEEEE10hipError_tPvRmT3_T4_T5_T6_T7_T9_mT8_P12ihipStream_tbDpT10_ENKUlT_T0_E_clISt17integral_constantIbLb0EES19_EEDaS14_S15_EUlS14_E_NS1_11comp_targetILNS1_3genE0ELNS1_11target_archE4294967295ELNS1_3gpuE0ELNS1_3repE0EEENS1_30default_config_static_selectorELNS0_4arch9wavefront6targetE1EEEvT1_
; %bb.0:
	.section	.rodata,"a",@progbits
	.p2align	6, 0x0
	.amdhsa_kernel _ZN7rocprim17ROCPRIM_400000_NS6detail17trampoline_kernelINS0_14default_configENS1_25partition_config_selectorILNS1_17partition_subalgoE0EjNS0_10empty_typeEbEEZZNS1_14partition_implILS5_0ELb0ES3_jN6thrust23THRUST_200600_302600_NS6detail15normal_iteratorINSA_10device_ptrIjEEEEPS6_SG_NS0_5tupleIJSF_NSA_16discard_iteratorINSA_11use_defaultEEEEEENSH_IJSG_SG_EEES6_PlJ7is_evenIjEEEE10hipError_tPvRmT3_T4_T5_T6_T7_T9_mT8_P12ihipStream_tbDpT10_ENKUlT_T0_E_clISt17integral_constantIbLb0EES19_EEDaS14_S15_EUlS14_E_NS1_11comp_targetILNS1_3genE0ELNS1_11target_archE4294967295ELNS1_3gpuE0ELNS1_3repE0EEENS1_30default_config_static_selectorELNS0_4arch9wavefront6targetE1EEEvT1_
		.amdhsa_group_segment_fixed_size 0
		.amdhsa_private_segment_fixed_size 0
		.amdhsa_kernarg_size 128
		.amdhsa_user_sgpr_count 6
		.amdhsa_user_sgpr_private_segment_buffer 1
		.amdhsa_user_sgpr_dispatch_ptr 0
		.amdhsa_user_sgpr_queue_ptr 0
		.amdhsa_user_sgpr_kernarg_segment_ptr 1
		.amdhsa_user_sgpr_dispatch_id 0
		.amdhsa_user_sgpr_flat_scratch_init 0
		.amdhsa_user_sgpr_kernarg_preload_length 0
		.amdhsa_user_sgpr_kernarg_preload_offset 0
		.amdhsa_user_sgpr_private_segment_size 0
		.amdhsa_uses_dynamic_stack 0
		.amdhsa_system_sgpr_private_segment_wavefront_offset 0
		.amdhsa_system_sgpr_workgroup_id_x 1
		.amdhsa_system_sgpr_workgroup_id_y 0
		.amdhsa_system_sgpr_workgroup_id_z 0
		.amdhsa_system_sgpr_workgroup_info 0
		.amdhsa_system_vgpr_workitem_id 0
		.amdhsa_next_free_vgpr 1
		.amdhsa_next_free_sgpr 0
		.amdhsa_accum_offset 4
		.amdhsa_reserve_vcc 0
		.amdhsa_reserve_flat_scratch 0
		.amdhsa_float_round_mode_32 0
		.amdhsa_float_round_mode_16_64 0
		.amdhsa_float_denorm_mode_32 3
		.amdhsa_float_denorm_mode_16_64 3
		.amdhsa_dx10_clamp 1
		.amdhsa_ieee_mode 1
		.amdhsa_fp16_overflow 0
		.amdhsa_tg_split 0
		.amdhsa_exception_fp_ieee_invalid_op 0
		.amdhsa_exception_fp_denorm_src 0
		.amdhsa_exception_fp_ieee_div_zero 0
		.amdhsa_exception_fp_ieee_overflow 0
		.amdhsa_exception_fp_ieee_underflow 0
		.amdhsa_exception_fp_ieee_inexact 0
		.amdhsa_exception_int_div_zero 0
	.end_amdhsa_kernel
	.section	.text._ZN7rocprim17ROCPRIM_400000_NS6detail17trampoline_kernelINS0_14default_configENS1_25partition_config_selectorILNS1_17partition_subalgoE0EjNS0_10empty_typeEbEEZZNS1_14partition_implILS5_0ELb0ES3_jN6thrust23THRUST_200600_302600_NS6detail15normal_iteratorINSA_10device_ptrIjEEEEPS6_SG_NS0_5tupleIJSF_NSA_16discard_iteratorINSA_11use_defaultEEEEEENSH_IJSG_SG_EEES6_PlJ7is_evenIjEEEE10hipError_tPvRmT3_T4_T5_T6_T7_T9_mT8_P12ihipStream_tbDpT10_ENKUlT_T0_E_clISt17integral_constantIbLb0EES19_EEDaS14_S15_EUlS14_E_NS1_11comp_targetILNS1_3genE0ELNS1_11target_archE4294967295ELNS1_3gpuE0ELNS1_3repE0EEENS1_30default_config_static_selectorELNS0_4arch9wavefront6targetE1EEEvT1_,"axG",@progbits,_ZN7rocprim17ROCPRIM_400000_NS6detail17trampoline_kernelINS0_14default_configENS1_25partition_config_selectorILNS1_17partition_subalgoE0EjNS0_10empty_typeEbEEZZNS1_14partition_implILS5_0ELb0ES3_jN6thrust23THRUST_200600_302600_NS6detail15normal_iteratorINSA_10device_ptrIjEEEEPS6_SG_NS0_5tupleIJSF_NSA_16discard_iteratorINSA_11use_defaultEEEEEENSH_IJSG_SG_EEES6_PlJ7is_evenIjEEEE10hipError_tPvRmT3_T4_T5_T6_T7_T9_mT8_P12ihipStream_tbDpT10_ENKUlT_T0_E_clISt17integral_constantIbLb0EES19_EEDaS14_S15_EUlS14_E_NS1_11comp_targetILNS1_3genE0ELNS1_11target_archE4294967295ELNS1_3gpuE0ELNS1_3repE0EEENS1_30default_config_static_selectorELNS0_4arch9wavefront6targetE1EEEvT1_,comdat
.Lfunc_end2427:
	.size	_ZN7rocprim17ROCPRIM_400000_NS6detail17trampoline_kernelINS0_14default_configENS1_25partition_config_selectorILNS1_17partition_subalgoE0EjNS0_10empty_typeEbEEZZNS1_14partition_implILS5_0ELb0ES3_jN6thrust23THRUST_200600_302600_NS6detail15normal_iteratorINSA_10device_ptrIjEEEEPS6_SG_NS0_5tupleIJSF_NSA_16discard_iteratorINSA_11use_defaultEEEEEENSH_IJSG_SG_EEES6_PlJ7is_evenIjEEEE10hipError_tPvRmT3_T4_T5_T6_T7_T9_mT8_P12ihipStream_tbDpT10_ENKUlT_T0_E_clISt17integral_constantIbLb0EES19_EEDaS14_S15_EUlS14_E_NS1_11comp_targetILNS1_3genE0ELNS1_11target_archE4294967295ELNS1_3gpuE0ELNS1_3repE0EEENS1_30default_config_static_selectorELNS0_4arch9wavefront6targetE1EEEvT1_, .Lfunc_end2427-_ZN7rocprim17ROCPRIM_400000_NS6detail17trampoline_kernelINS0_14default_configENS1_25partition_config_selectorILNS1_17partition_subalgoE0EjNS0_10empty_typeEbEEZZNS1_14partition_implILS5_0ELb0ES3_jN6thrust23THRUST_200600_302600_NS6detail15normal_iteratorINSA_10device_ptrIjEEEEPS6_SG_NS0_5tupleIJSF_NSA_16discard_iteratorINSA_11use_defaultEEEEEENSH_IJSG_SG_EEES6_PlJ7is_evenIjEEEE10hipError_tPvRmT3_T4_T5_T6_T7_T9_mT8_P12ihipStream_tbDpT10_ENKUlT_T0_E_clISt17integral_constantIbLb0EES19_EEDaS14_S15_EUlS14_E_NS1_11comp_targetILNS1_3genE0ELNS1_11target_archE4294967295ELNS1_3gpuE0ELNS1_3repE0EEENS1_30default_config_static_selectorELNS0_4arch9wavefront6targetE1EEEvT1_
                                        ; -- End function
	.section	.AMDGPU.csdata,"",@progbits
; Kernel info:
; codeLenInByte = 0
; NumSgprs: 4
; NumVgprs: 0
; NumAgprs: 0
; TotalNumVgprs: 0
; ScratchSize: 0
; MemoryBound: 0
; FloatMode: 240
; IeeeMode: 1
; LDSByteSize: 0 bytes/workgroup (compile time only)
; SGPRBlocks: 0
; VGPRBlocks: 0
; NumSGPRsForWavesPerEU: 4
; NumVGPRsForWavesPerEU: 1
; AccumOffset: 4
; Occupancy: 8
; WaveLimiterHint : 0
; COMPUTE_PGM_RSRC2:SCRATCH_EN: 0
; COMPUTE_PGM_RSRC2:USER_SGPR: 6
; COMPUTE_PGM_RSRC2:TRAP_HANDLER: 0
; COMPUTE_PGM_RSRC2:TGID_X_EN: 1
; COMPUTE_PGM_RSRC2:TGID_Y_EN: 0
; COMPUTE_PGM_RSRC2:TGID_Z_EN: 0
; COMPUTE_PGM_RSRC2:TIDIG_COMP_CNT: 0
; COMPUTE_PGM_RSRC3_GFX90A:ACCUM_OFFSET: 0
; COMPUTE_PGM_RSRC3_GFX90A:TG_SPLIT: 0
	.section	.text._ZN7rocprim17ROCPRIM_400000_NS6detail17trampoline_kernelINS0_14default_configENS1_25partition_config_selectorILNS1_17partition_subalgoE0EjNS0_10empty_typeEbEEZZNS1_14partition_implILS5_0ELb0ES3_jN6thrust23THRUST_200600_302600_NS6detail15normal_iteratorINSA_10device_ptrIjEEEEPS6_SG_NS0_5tupleIJSF_NSA_16discard_iteratorINSA_11use_defaultEEEEEENSH_IJSG_SG_EEES6_PlJ7is_evenIjEEEE10hipError_tPvRmT3_T4_T5_T6_T7_T9_mT8_P12ihipStream_tbDpT10_ENKUlT_T0_E_clISt17integral_constantIbLb0EES19_EEDaS14_S15_EUlS14_E_NS1_11comp_targetILNS1_3genE5ELNS1_11target_archE942ELNS1_3gpuE9ELNS1_3repE0EEENS1_30default_config_static_selectorELNS0_4arch9wavefront6targetE1EEEvT1_,"axG",@progbits,_ZN7rocprim17ROCPRIM_400000_NS6detail17trampoline_kernelINS0_14default_configENS1_25partition_config_selectorILNS1_17partition_subalgoE0EjNS0_10empty_typeEbEEZZNS1_14partition_implILS5_0ELb0ES3_jN6thrust23THRUST_200600_302600_NS6detail15normal_iteratorINSA_10device_ptrIjEEEEPS6_SG_NS0_5tupleIJSF_NSA_16discard_iteratorINSA_11use_defaultEEEEEENSH_IJSG_SG_EEES6_PlJ7is_evenIjEEEE10hipError_tPvRmT3_T4_T5_T6_T7_T9_mT8_P12ihipStream_tbDpT10_ENKUlT_T0_E_clISt17integral_constantIbLb0EES19_EEDaS14_S15_EUlS14_E_NS1_11comp_targetILNS1_3genE5ELNS1_11target_archE942ELNS1_3gpuE9ELNS1_3repE0EEENS1_30default_config_static_selectorELNS0_4arch9wavefront6targetE1EEEvT1_,comdat
	.protected	_ZN7rocprim17ROCPRIM_400000_NS6detail17trampoline_kernelINS0_14default_configENS1_25partition_config_selectorILNS1_17partition_subalgoE0EjNS0_10empty_typeEbEEZZNS1_14partition_implILS5_0ELb0ES3_jN6thrust23THRUST_200600_302600_NS6detail15normal_iteratorINSA_10device_ptrIjEEEEPS6_SG_NS0_5tupleIJSF_NSA_16discard_iteratorINSA_11use_defaultEEEEEENSH_IJSG_SG_EEES6_PlJ7is_evenIjEEEE10hipError_tPvRmT3_T4_T5_T6_T7_T9_mT8_P12ihipStream_tbDpT10_ENKUlT_T0_E_clISt17integral_constantIbLb0EES19_EEDaS14_S15_EUlS14_E_NS1_11comp_targetILNS1_3genE5ELNS1_11target_archE942ELNS1_3gpuE9ELNS1_3repE0EEENS1_30default_config_static_selectorELNS0_4arch9wavefront6targetE1EEEvT1_ ; -- Begin function _ZN7rocprim17ROCPRIM_400000_NS6detail17trampoline_kernelINS0_14default_configENS1_25partition_config_selectorILNS1_17partition_subalgoE0EjNS0_10empty_typeEbEEZZNS1_14partition_implILS5_0ELb0ES3_jN6thrust23THRUST_200600_302600_NS6detail15normal_iteratorINSA_10device_ptrIjEEEEPS6_SG_NS0_5tupleIJSF_NSA_16discard_iteratorINSA_11use_defaultEEEEEENSH_IJSG_SG_EEES6_PlJ7is_evenIjEEEE10hipError_tPvRmT3_T4_T5_T6_T7_T9_mT8_P12ihipStream_tbDpT10_ENKUlT_T0_E_clISt17integral_constantIbLb0EES19_EEDaS14_S15_EUlS14_E_NS1_11comp_targetILNS1_3genE5ELNS1_11target_archE942ELNS1_3gpuE9ELNS1_3repE0EEENS1_30default_config_static_selectorELNS0_4arch9wavefront6targetE1EEEvT1_
	.globl	_ZN7rocprim17ROCPRIM_400000_NS6detail17trampoline_kernelINS0_14default_configENS1_25partition_config_selectorILNS1_17partition_subalgoE0EjNS0_10empty_typeEbEEZZNS1_14partition_implILS5_0ELb0ES3_jN6thrust23THRUST_200600_302600_NS6detail15normal_iteratorINSA_10device_ptrIjEEEEPS6_SG_NS0_5tupleIJSF_NSA_16discard_iteratorINSA_11use_defaultEEEEEENSH_IJSG_SG_EEES6_PlJ7is_evenIjEEEE10hipError_tPvRmT3_T4_T5_T6_T7_T9_mT8_P12ihipStream_tbDpT10_ENKUlT_T0_E_clISt17integral_constantIbLb0EES19_EEDaS14_S15_EUlS14_E_NS1_11comp_targetILNS1_3genE5ELNS1_11target_archE942ELNS1_3gpuE9ELNS1_3repE0EEENS1_30default_config_static_selectorELNS0_4arch9wavefront6targetE1EEEvT1_
	.p2align	8
	.type	_ZN7rocprim17ROCPRIM_400000_NS6detail17trampoline_kernelINS0_14default_configENS1_25partition_config_selectorILNS1_17partition_subalgoE0EjNS0_10empty_typeEbEEZZNS1_14partition_implILS5_0ELb0ES3_jN6thrust23THRUST_200600_302600_NS6detail15normal_iteratorINSA_10device_ptrIjEEEEPS6_SG_NS0_5tupleIJSF_NSA_16discard_iteratorINSA_11use_defaultEEEEEENSH_IJSG_SG_EEES6_PlJ7is_evenIjEEEE10hipError_tPvRmT3_T4_T5_T6_T7_T9_mT8_P12ihipStream_tbDpT10_ENKUlT_T0_E_clISt17integral_constantIbLb0EES19_EEDaS14_S15_EUlS14_E_NS1_11comp_targetILNS1_3genE5ELNS1_11target_archE942ELNS1_3gpuE9ELNS1_3repE0EEENS1_30default_config_static_selectorELNS0_4arch9wavefront6targetE1EEEvT1_,@function
_ZN7rocprim17ROCPRIM_400000_NS6detail17trampoline_kernelINS0_14default_configENS1_25partition_config_selectorILNS1_17partition_subalgoE0EjNS0_10empty_typeEbEEZZNS1_14partition_implILS5_0ELb0ES3_jN6thrust23THRUST_200600_302600_NS6detail15normal_iteratorINSA_10device_ptrIjEEEEPS6_SG_NS0_5tupleIJSF_NSA_16discard_iteratorINSA_11use_defaultEEEEEENSH_IJSG_SG_EEES6_PlJ7is_evenIjEEEE10hipError_tPvRmT3_T4_T5_T6_T7_T9_mT8_P12ihipStream_tbDpT10_ENKUlT_T0_E_clISt17integral_constantIbLb0EES19_EEDaS14_S15_EUlS14_E_NS1_11comp_targetILNS1_3genE5ELNS1_11target_archE942ELNS1_3gpuE9ELNS1_3repE0EEENS1_30default_config_static_selectorELNS0_4arch9wavefront6targetE1EEEvT1_: ; @_ZN7rocprim17ROCPRIM_400000_NS6detail17trampoline_kernelINS0_14default_configENS1_25partition_config_selectorILNS1_17partition_subalgoE0EjNS0_10empty_typeEbEEZZNS1_14partition_implILS5_0ELb0ES3_jN6thrust23THRUST_200600_302600_NS6detail15normal_iteratorINSA_10device_ptrIjEEEEPS6_SG_NS0_5tupleIJSF_NSA_16discard_iteratorINSA_11use_defaultEEEEEENSH_IJSG_SG_EEES6_PlJ7is_evenIjEEEE10hipError_tPvRmT3_T4_T5_T6_T7_T9_mT8_P12ihipStream_tbDpT10_ENKUlT_T0_E_clISt17integral_constantIbLb0EES19_EEDaS14_S15_EUlS14_E_NS1_11comp_targetILNS1_3genE5ELNS1_11target_archE942ELNS1_3gpuE9ELNS1_3repE0EEENS1_30default_config_static_selectorELNS0_4arch9wavefront6targetE1EEEvT1_
; %bb.0:
	.section	.rodata,"a",@progbits
	.p2align	6, 0x0
	.amdhsa_kernel _ZN7rocprim17ROCPRIM_400000_NS6detail17trampoline_kernelINS0_14default_configENS1_25partition_config_selectorILNS1_17partition_subalgoE0EjNS0_10empty_typeEbEEZZNS1_14partition_implILS5_0ELb0ES3_jN6thrust23THRUST_200600_302600_NS6detail15normal_iteratorINSA_10device_ptrIjEEEEPS6_SG_NS0_5tupleIJSF_NSA_16discard_iteratorINSA_11use_defaultEEEEEENSH_IJSG_SG_EEES6_PlJ7is_evenIjEEEE10hipError_tPvRmT3_T4_T5_T6_T7_T9_mT8_P12ihipStream_tbDpT10_ENKUlT_T0_E_clISt17integral_constantIbLb0EES19_EEDaS14_S15_EUlS14_E_NS1_11comp_targetILNS1_3genE5ELNS1_11target_archE942ELNS1_3gpuE9ELNS1_3repE0EEENS1_30default_config_static_selectorELNS0_4arch9wavefront6targetE1EEEvT1_
		.amdhsa_group_segment_fixed_size 0
		.amdhsa_private_segment_fixed_size 0
		.amdhsa_kernarg_size 128
		.amdhsa_user_sgpr_count 6
		.amdhsa_user_sgpr_private_segment_buffer 1
		.amdhsa_user_sgpr_dispatch_ptr 0
		.amdhsa_user_sgpr_queue_ptr 0
		.amdhsa_user_sgpr_kernarg_segment_ptr 1
		.amdhsa_user_sgpr_dispatch_id 0
		.amdhsa_user_sgpr_flat_scratch_init 0
		.amdhsa_user_sgpr_kernarg_preload_length 0
		.amdhsa_user_sgpr_kernarg_preload_offset 0
		.amdhsa_user_sgpr_private_segment_size 0
		.amdhsa_uses_dynamic_stack 0
		.amdhsa_system_sgpr_private_segment_wavefront_offset 0
		.amdhsa_system_sgpr_workgroup_id_x 1
		.amdhsa_system_sgpr_workgroup_id_y 0
		.amdhsa_system_sgpr_workgroup_id_z 0
		.amdhsa_system_sgpr_workgroup_info 0
		.amdhsa_system_vgpr_workitem_id 0
		.amdhsa_next_free_vgpr 1
		.amdhsa_next_free_sgpr 0
		.amdhsa_accum_offset 4
		.amdhsa_reserve_vcc 0
		.amdhsa_reserve_flat_scratch 0
		.amdhsa_float_round_mode_32 0
		.amdhsa_float_round_mode_16_64 0
		.amdhsa_float_denorm_mode_32 3
		.amdhsa_float_denorm_mode_16_64 3
		.amdhsa_dx10_clamp 1
		.amdhsa_ieee_mode 1
		.amdhsa_fp16_overflow 0
		.amdhsa_tg_split 0
		.amdhsa_exception_fp_ieee_invalid_op 0
		.amdhsa_exception_fp_denorm_src 0
		.amdhsa_exception_fp_ieee_div_zero 0
		.amdhsa_exception_fp_ieee_overflow 0
		.amdhsa_exception_fp_ieee_underflow 0
		.amdhsa_exception_fp_ieee_inexact 0
		.amdhsa_exception_int_div_zero 0
	.end_amdhsa_kernel
	.section	.text._ZN7rocprim17ROCPRIM_400000_NS6detail17trampoline_kernelINS0_14default_configENS1_25partition_config_selectorILNS1_17partition_subalgoE0EjNS0_10empty_typeEbEEZZNS1_14partition_implILS5_0ELb0ES3_jN6thrust23THRUST_200600_302600_NS6detail15normal_iteratorINSA_10device_ptrIjEEEEPS6_SG_NS0_5tupleIJSF_NSA_16discard_iteratorINSA_11use_defaultEEEEEENSH_IJSG_SG_EEES6_PlJ7is_evenIjEEEE10hipError_tPvRmT3_T4_T5_T6_T7_T9_mT8_P12ihipStream_tbDpT10_ENKUlT_T0_E_clISt17integral_constantIbLb0EES19_EEDaS14_S15_EUlS14_E_NS1_11comp_targetILNS1_3genE5ELNS1_11target_archE942ELNS1_3gpuE9ELNS1_3repE0EEENS1_30default_config_static_selectorELNS0_4arch9wavefront6targetE1EEEvT1_,"axG",@progbits,_ZN7rocprim17ROCPRIM_400000_NS6detail17trampoline_kernelINS0_14default_configENS1_25partition_config_selectorILNS1_17partition_subalgoE0EjNS0_10empty_typeEbEEZZNS1_14partition_implILS5_0ELb0ES3_jN6thrust23THRUST_200600_302600_NS6detail15normal_iteratorINSA_10device_ptrIjEEEEPS6_SG_NS0_5tupleIJSF_NSA_16discard_iteratorINSA_11use_defaultEEEEEENSH_IJSG_SG_EEES6_PlJ7is_evenIjEEEE10hipError_tPvRmT3_T4_T5_T6_T7_T9_mT8_P12ihipStream_tbDpT10_ENKUlT_T0_E_clISt17integral_constantIbLb0EES19_EEDaS14_S15_EUlS14_E_NS1_11comp_targetILNS1_3genE5ELNS1_11target_archE942ELNS1_3gpuE9ELNS1_3repE0EEENS1_30default_config_static_selectorELNS0_4arch9wavefront6targetE1EEEvT1_,comdat
.Lfunc_end2428:
	.size	_ZN7rocprim17ROCPRIM_400000_NS6detail17trampoline_kernelINS0_14default_configENS1_25partition_config_selectorILNS1_17partition_subalgoE0EjNS0_10empty_typeEbEEZZNS1_14partition_implILS5_0ELb0ES3_jN6thrust23THRUST_200600_302600_NS6detail15normal_iteratorINSA_10device_ptrIjEEEEPS6_SG_NS0_5tupleIJSF_NSA_16discard_iteratorINSA_11use_defaultEEEEEENSH_IJSG_SG_EEES6_PlJ7is_evenIjEEEE10hipError_tPvRmT3_T4_T5_T6_T7_T9_mT8_P12ihipStream_tbDpT10_ENKUlT_T0_E_clISt17integral_constantIbLb0EES19_EEDaS14_S15_EUlS14_E_NS1_11comp_targetILNS1_3genE5ELNS1_11target_archE942ELNS1_3gpuE9ELNS1_3repE0EEENS1_30default_config_static_selectorELNS0_4arch9wavefront6targetE1EEEvT1_, .Lfunc_end2428-_ZN7rocprim17ROCPRIM_400000_NS6detail17trampoline_kernelINS0_14default_configENS1_25partition_config_selectorILNS1_17partition_subalgoE0EjNS0_10empty_typeEbEEZZNS1_14partition_implILS5_0ELb0ES3_jN6thrust23THRUST_200600_302600_NS6detail15normal_iteratorINSA_10device_ptrIjEEEEPS6_SG_NS0_5tupleIJSF_NSA_16discard_iteratorINSA_11use_defaultEEEEEENSH_IJSG_SG_EEES6_PlJ7is_evenIjEEEE10hipError_tPvRmT3_T4_T5_T6_T7_T9_mT8_P12ihipStream_tbDpT10_ENKUlT_T0_E_clISt17integral_constantIbLb0EES19_EEDaS14_S15_EUlS14_E_NS1_11comp_targetILNS1_3genE5ELNS1_11target_archE942ELNS1_3gpuE9ELNS1_3repE0EEENS1_30default_config_static_selectorELNS0_4arch9wavefront6targetE1EEEvT1_
                                        ; -- End function
	.section	.AMDGPU.csdata,"",@progbits
; Kernel info:
; codeLenInByte = 0
; NumSgprs: 4
; NumVgprs: 0
; NumAgprs: 0
; TotalNumVgprs: 0
; ScratchSize: 0
; MemoryBound: 0
; FloatMode: 240
; IeeeMode: 1
; LDSByteSize: 0 bytes/workgroup (compile time only)
; SGPRBlocks: 0
; VGPRBlocks: 0
; NumSGPRsForWavesPerEU: 4
; NumVGPRsForWavesPerEU: 1
; AccumOffset: 4
; Occupancy: 8
; WaveLimiterHint : 0
; COMPUTE_PGM_RSRC2:SCRATCH_EN: 0
; COMPUTE_PGM_RSRC2:USER_SGPR: 6
; COMPUTE_PGM_RSRC2:TRAP_HANDLER: 0
; COMPUTE_PGM_RSRC2:TGID_X_EN: 1
; COMPUTE_PGM_RSRC2:TGID_Y_EN: 0
; COMPUTE_PGM_RSRC2:TGID_Z_EN: 0
; COMPUTE_PGM_RSRC2:TIDIG_COMP_CNT: 0
; COMPUTE_PGM_RSRC3_GFX90A:ACCUM_OFFSET: 0
; COMPUTE_PGM_RSRC3_GFX90A:TG_SPLIT: 0
	.section	.text._ZN7rocprim17ROCPRIM_400000_NS6detail17trampoline_kernelINS0_14default_configENS1_25partition_config_selectorILNS1_17partition_subalgoE0EjNS0_10empty_typeEbEEZZNS1_14partition_implILS5_0ELb0ES3_jN6thrust23THRUST_200600_302600_NS6detail15normal_iteratorINSA_10device_ptrIjEEEEPS6_SG_NS0_5tupleIJSF_NSA_16discard_iteratorINSA_11use_defaultEEEEEENSH_IJSG_SG_EEES6_PlJ7is_evenIjEEEE10hipError_tPvRmT3_T4_T5_T6_T7_T9_mT8_P12ihipStream_tbDpT10_ENKUlT_T0_E_clISt17integral_constantIbLb0EES19_EEDaS14_S15_EUlS14_E_NS1_11comp_targetILNS1_3genE4ELNS1_11target_archE910ELNS1_3gpuE8ELNS1_3repE0EEENS1_30default_config_static_selectorELNS0_4arch9wavefront6targetE1EEEvT1_,"axG",@progbits,_ZN7rocprim17ROCPRIM_400000_NS6detail17trampoline_kernelINS0_14default_configENS1_25partition_config_selectorILNS1_17partition_subalgoE0EjNS0_10empty_typeEbEEZZNS1_14partition_implILS5_0ELb0ES3_jN6thrust23THRUST_200600_302600_NS6detail15normal_iteratorINSA_10device_ptrIjEEEEPS6_SG_NS0_5tupleIJSF_NSA_16discard_iteratorINSA_11use_defaultEEEEEENSH_IJSG_SG_EEES6_PlJ7is_evenIjEEEE10hipError_tPvRmT3_T4_T5_T6_T7_T9_mT8_P12ihipStream_tbDpT10_ENKUlT_T0_E_clISt17integral_constantIbLb0EES19_EEDaS14_S15_EUlS14_E_NS1_11comp_targetILNS1_3genE4ELNS1_11target_archE910ELNS1_3gpuE8ELNS1_3repE0EEENS1_30default_config_static_selectorELNS0_4arch9wavefront6targetE1EEEvT1_,comdat
	.protected	_ZN7rocprim17ROCPRIM_400000_NS6detail17trampoline_kernelINS0_14default_configENS1_25partition_config_selectorILNS1_17partition_subalgoE0EjNS0_10empty_typeEbEEZZNS1_14partition_implILS5_0ELb0ES3_jN6thrust23THRUST_200600_302600_NS6detail15normal_iteratorINSA_10device_ptrIjEEEEPS6_SG_NS0_5tupleIJSF_NSA_16discard_iteratorINSA_11use_defaultEEEEEENSH_IJSG_SG_EEES6_PlJ7is_evenIjEEEE10hipError_tPvRmT3_T4_T5_T6_T7_T9_mT8_P12ihipStream_tbDpT10_ENKUlT_T0_E_clISt17integral_constantIbLb0EES19_EEDaS14_S15_EUlS14_E_NS1_11comp_targetILNS1_3genE4ELNS1_11target_archE910ELNS1_3gpuE8ELNS1_3repE0EEENS1_30default_config_static_selectorELNS0_4arch9wavefront6targetE1EEEvT1_ ; -- Begin function _ZN7rocprim17ROCPRIM_400000_NS6detail17trampoline_kernelINS0_14default_configENS1_25partition_config_selectorILNS1_17partition_subalgoE0EjNS0_10empty_typeEbEEZZNS1_14partition_implILS5_0ELb0ES3_jN6thrust23THRUST_200600_302600_NS6detail15normal_iteratorINSA_10device_ptrIjEEEEPS6_SG_NS0_5tupleIJSF_NSA_16discard_iteratorINSA_11use_defaultEEEEEENSH_IJSG_SG_EEES6_PlJ7is_evenIjEEEE10hipError_tPvRmT3_T4_T5_T6_T7_T9_mT8_P12ihipStream_tbDpT10_ENKUlT_T0_E_clISt17integral_constantIbLb0EES19_EEDaS14_S15_EUlS14_E_NS1_11comp_targetILNS1_3genE4ELNS1_11target_archE910ELNS1_3gpuE8ELNS1_3repE0EEENS1_30default_config_static_selectorELNS0_4arch9wavefront6targetE1EEEvT1_
	.globl	_ZN7rocprim17ROCPRIM_400000_NS6detail17trampoline_kernelINS0_14default_configENS1_25partition_config_selectorILNS1_17partition_subalgoE0EjNS0_10empty_typeEbEEZZNS1_14partition_implILS5_0ELb0ES3_jN6thrust23THRUST_200600_302600_NS6detail15normal_iteratorINSA_10device_ptrIjEEEEPS6_SG_NS0_5tupleIJSF_NSA_16discard_iteratorINSA_11use_defaultEEEEEENSH_IJSG_SG_EEES6_PlJ7is_evenIjEEEE10hipError_tPvRmT3_T4_T5_T6_T7_T9_mT8_P12ihipStream_tbDpT10_ENKUlT_T0_E_clISt17integral_constantIbLb0EES19_EEDaS14_S15_EUlS14_E_NS1_11comp_targetILNS1_3genE4ELNS1_11target_archE910ELNS1_3gpuE8ELNS1_3repE0EEENS1_30default_config_static_selectorELNS0_4arch9wavefront6targetE1EEEvT1_
	.p2align	8
	.type	_ZN7rocprim17ROCPRIM_400000_NS6detail17trampoline_kernelINS0_14default_configENS1_25partition_config_selectorILNS1_17partition_subalgoE0EjNS0_10empty_typeEbEEZZNS1_14partition_implILS5_0ELb0ES3_jN6thrust23THRUST_200600_302600_NS6detail15normal_iteratorINSA_10device_ptrIjEEEEPS6_SG_NS0_5tupleIJSF_NSA_16discard_iteratorINSA_11use_defaultEEEEEENSH_IJSG_SG_EEES6_PlJ7is_evenIjEEEE10hipError_tPvRmT3_T4_T5_T6_T7_T9_mT8_P12ihipStream_tbDpT10_ENKUlT_T0_E_clISt17integral_constantIbLb0EES19_EEDaS14_S15_EUlS14_E_NS1_11comp_targetILNS1_3genE4ELNS1_11target_archE910ELNS1_3gpuE8ELNS1_3repE0EEENS1_30default_config_static_selectorELNS0_4arch9wavefront6targetE1EEEvT1_,@function
_ZN7rocprim17ROCPRIM_400000_NS6detail17trampoline_kernelINS0_14default_configENS1_25partition_config_selectorILNS1_17partition_subalgoE0EjNS0_10empty_typeEbEEZZNS1_14partition_implILS5_0ELb0ES3_jN6thrust23THRUST_200600_302600_NS6detail15normal_iteratorINSA_10device_ptrIjEEEEPS6_SG_NS0_5tupleIJSF_NSA_16discard_iteratorINSA_11use_defaultEEEEEENSH_IJSG_SG_EEES6_PlJ7is_evenIjEEEE10hipError_tPvRmT3_T4_T5_T6_T7_T9_mT8_P12ihipStream_tbDpT10_ENKUlT_T0_E_clISt17integral_constantIbLb0EES19_EEDaS14_S15_EUlS14_E_NS1_11comp_targetILNS1_3genE4ELNS1_11target_archE910ELNS1_3gpuE8ELNS1_3repE0EEENS1_30default_config_static_selectorELNS0_4arch9wavefront6targetE1EEEvT1_: ; @_ZN7rocprim17ROCPRIM_400000_NS6detail17trampoline_kernelINS0_14default_configENS1_25partition_config_selectorILNS1_17partition_subalgoE0EjNS0_10empty_typeEbEEZZNS1_14partition_implILS5_0ELb0ES3_jN6thrust23THRUST_200600_302600_NS6detail15normal_iteratorINSA_10device_ptrIjEEEEPS6_SG_NS0_5tupleIJSF_NSA_16discard_iteratorINSA_11use_defaultEEEEEENSH_IJSG_SG_EEES6_PlJ7is_evenIjEEEE10hipError_tPvRmT3_T4_T5_T6_T7_T9_mT8_P12ihipStream_tbDpT10_ENKUlT_T0_E_clISt17integral_constantIbLb0EES19_EEDaS14_S15_EUlS14_E_NS1_11comp_targetILNS1_3genE4ELNS1_11target_archE910ELNS1_3gpuE8ELNS1_3repE0EEENS1_30default_config_static_selectorELNS0_4arch9wavefront6targetE1EEEvT1_
; %bb.0:
	s_load_dwordx2 s[8:9], s[4:5], 0x60
	s_load_dwordx4 s[0:3], s[4:5], 0x8
	s_load_dwordx4 s[24:27], s[4:5], 0x50
	s_load_dword s7, s[4:5], 0x78
	v_lshlrev_b32_e32 v1, 2, v0
	s_waitcnt lgkmcnt(0)
	v_mov_b32_e32 v3, s9
	s_lshl_b64 s[10:11], s[2:3], 2
	s_add_u32 s9, s0, s10
	s_addc_u32 s10, s1, s11
	s_add_i32 s11, s7, -1
	s_mulk_i32 s7, 0xa00
	s_add_i32 s1, s7, s2
	s_sub_i32 s33, s8, s1
	s_add_u32 s2, s2, s7
	s_addc_u32 s3, s3, 0
	s_cmp_eq_u32 s6, s11
	v_mov_b32_e32 v2, s8
	s_load_dwordx2 s[22:23], s[26:27], 0x0
	s_cselect_b64 s[26:27], -1, 0
	s_cmp_lg_u32 s6, s11
	s_mul_i32 s0, s6, 0xa00
	s_mov_b32 s1, 0
	v_cmp_lt_u64_e32 vcc, s[2:3], v[2:3]
	s_cselect_b64 s[2:3], -1, 0
	s_or_b64 s[2:3], s[2:3], vcc
	s_lshl_b64 s[0:1], s[0:1], 2
	s_add_u32 s7, s9, s0
	s_addc_u32 s8, s10, s1
	s_mov_b64 s[0:1], -1
	s_and_b64 vcc, exec, s[2:3]
	s_cbranch_vccz .LBB2429_2
; %bb.1:
	v_mov_b32_e32 v3, s8
	v_add_co_u32_e32 v2, vcc, s7, v1
	v_addc_co_u32_e32 v3, vcc, 0, v3, vcc
	v_add_co_u32_e32 v4, vcc, 0x1000, v2
	v_addc_co_u32_e32 v5, vcc, 0, v3, vcc
	flat_load_dword v6, v[2:3]
	flat_load_dword v7, v[2:3] offset:1024
	flat_load_dword v8, v[2:3] offset:2048
	;; [unrolled: 1-line block ×3, first 2 shown]
	flat_load_dword v10, v[4:5]
	flat_load_dword v11, v[4:5] offset:1024
	flat_load_dword v12, v[4:5] offset:2048
	;; [unrolled: 1-line block ×3, first 2 shown]
	v_add_co_u32_e32 v2, vcc, 0x2000, v2
	v_addc_co_u32_e32 v3, vcc, 0, v3, vcc
	flat_load_dword v4, v[2:3]
	flat_load_dword v5, v[2:3] offset:1024
	s_mov_b64 s[0:1], 0
	s_waitcnt vmcnt(0) lgkmcnt(0)
	ds_write2st64_b32 v1, v6, v7 offset1:4
	ds_write2st64_b32 v1, v8, v9 offset0:8 offset1:12
	ds_write2st64_b32 v1, v10, v11 offset0:16 offset1:20
	;; [unrolled: 1-line block ×4, first 2 shown]
	s_waitcnt lgkmcnt(0)
	s_barrier
.LBB2429_2:
	s_andn2_b64 vcc, exec, s[0:1]
	s_addk_i32 s33, 0xa00
	s_cbranch_vccnz .LBB2429_24
; %bb.3:
	v_cmp_gt_u32_e32 vcc, s33, v0
                                        ; implicit-def: $vgpr2_vgpr3_vgpr4_vgpr5_vgpr6_vgpr7_vgpr8_vgpr9_vgpr10_vgpr11
	s_and_saveexec_b64 s[0:1], vcc
	s_cbranch_execz .LBB2429_5
; %bb.4:
	v_mov_b32_e32 v3, s8
	v_add_co_u32_e32 v2, vcc, s7, v1
	v_addc_co_u32_e32 v3, vcc, 0, v3, vcc
	flat_load_dword v2, v[2:3]
.LBB2429_5:
	s_or_b64 exec, exec, s[0:1]
	v_or_b32_e32 v12, 0x100, v0
	v_cmp_gt_u32_e32 vcc, s33, v12
	s_and_saveexec_b64 s[0:1], vcc
	s_cbranch_execz .LBB2429_7
; %bb.6:
	v_mov_b32_e32 v3, s8
	v_add_co_u32_e32 v12, vcc, s7, v1
	v_addc_co_u32_e32 v13, vcc, 0, v3, vcc
	flat_load_dword v3, v[12:13] offset:1024
.LBB2429_7:
	s_or_b64 exec, exec, s[0:1]
	v_or_b32_e32 v12, 0x200, v0
	v_cmp_gt_u32_e32 vcc, s33, v12
	s_and_saveexec_b64 s[0:1], vcc
	s_cbranch_execz .LBB2429_9
; %bb.8:
	v_mov_b32_e32 v4, s8
	v_add_co_u32_e32 v12, vcc, s7, v1
	v_addc_co_u32_e32 v13, vcc, 0, v4, vcc
	flat_load_dword v4, v[12:13] offset:2048
.LBB2429_9:
	;; [unrolled: 11-line block ×3, first 2 shown]
	s_or_b64 exec, exec, s[0:1]
	v_or_b32_e32 v12, 0x400, v0
	v_cmp_gt_u32_e32 vcc, s33, v12
	s_and_saveexec_b64 s[0:1], vcc
	s_cbranch_execz .LBB2429_13
; %bb.12:
	v_lshlrev_b32_e32 v6, 2, v12
	v_mov_b32_e32 v13, s8
	v_add_co_u32_e32 v12, vcc, s7, v6
	v_addc_co_u32_e32 v13, vcc, 0, v13, vcc
	flat_load_dword v6, v[12:13]
.LBB2429_13:
	s_or_b64 exec, exec, s[0:1]
	v_or_b32_e32 v12, 0x500, v0
	v_cmp_gt_u32_e32 vcc, s33, v12
	s_and_saveexec_b64 s[0:1], vcc
	s_cbranch_execz .LBB2429_15
; %bb.14:
	v_lshlrev_b32_e32 v7, 2, v12
	v_mov_b32_e32 v13, s8
	v_add_co_u32_e32 v12, vcc, s7, v7
	v_addc_co_u32_e32 v13, vcc, 0, v13, vcc
	flat_load_dword v7, v[12:13]
.LBB2429_15:
	;; [unrolled: 12-line block ×6, first 2 shown]
	s_or_b64 exec, exec, s[0:1]
	s_waitcnt vmcnt(0) lgkmcnt(0)
	ds_write2st64_b32 v1, v2, v3 offset1:4
	ds_write2st64_b32 v1, v4, v5 offset0:8 offset1:12
	ds_write2st64_b32 v1, v6, v7 offset0:16 offset1:20
	;; [unrolled: 1-line block ×4, first 2 shown]
	s_waitcnt lgkmcnt(0)
	s_barrier
.LBB2429_24:
	v_mul_u32_u24_e32 v23, 10, v0
	v_lshlrev_b32_e32 v29, 2, v23
	s_waitcnt lgkmcnt(0)
	ds_read2_b64 v[6:9], v29 offset1:1
	ds_read2_b64 v[2:5], v29 offset0:2 offset1:3
	ds_read_b64 v[10:11], v29 offset:32
	v_cndmask_b32_e64 v12, 0, 1, s[2:3]
	v_cmp_ne_u32_e64 s[0:1], 1, v12
	s_andn2_b64 vcc, exec, s[2:3]
	s_waitcnt lgkmcnt(2)
	v_xor_b32_e32 v21, -1, v6
	v_xor_b32_e32 v20, -1, v7
	;; [unrolled: 1-line block ×4, first 2 shown]
	s_waitcnt lgkmcnt(1)
	v_xor_b32_e32 v17, -1, v2
	v_xor_b32_e32 v16, -1, v3
	;; [unrolled: 1-line block ×4, first 2 shown]
	s_waitcnt lgkmcnt(0)
	v_xor_b32_e32 v13, -1, v10
	v_xor_b32_e32 v12, -1, v11
	s_barrier
	s_cbranch_vccnz .LBB2429_26
; %bb.25:
	v_mov_b32_e32 v22, 1
	v_and_b32_e32 v25, 1, v21
	v_and_b32_sdwa v26, v20, v22 dst_sel:BYTE_1 dst_unused:UNUSED_PAD src0_sel:DWORD src1_sel:DWORD
	v_and_b32_e32 v27, 1, v19
	v_and_b32_sdwa v28, v18, v22 dst_sel:BYTE_1 dst_unused:UNUSED_PAD src0_sel:DWORD src1_sel:DWORD
	;; [unrolled: 2-line block ×4, first 2 shown]
	v_or_b32_e32 v25, v25, v26
	v_or_b32_sdwa v26, v27, v28 dst_sel:WORD_1 dst_unused:UNUSED_PAD src0_sel:DWORD src1_sel:DWORD
	v_or_b32_sdwa v26, v25, v26 dst_sel:DWORD dst_unused:UNUSED_PAD src0_sel:WORD_0 src1_sel:DWORD
	v_or_b32_e32 v25, v30, v31
	v_or_b32_sdwa v27, v32, v33 dst_sel:WORD_1 dst_unused:UNUSED_PAD src0_sel:DWORD src1_sel:DWORD
	v_and_b32_e32 v24, 1, v13
	v_and_b32_e32 v22, 1, v12
	v_or_b32_sdwa v25, v25, v27 dst_sel:DWORD dst_unused:UNUSED_PAD src0_sel:WORD_0 src1_sel:DWORD
	s_load_dwordx2 s[28:29], s[4:5], 0x70
	s_cbranch_execz .LBB2429_27
	s_branch .LBB2429_28
.LBB2429_26:
                                        ; implicit-def: $vgpr22
                                        ; implicit-def: $vgpr24
                                        ; implicit-def: $vgpr25
                                        ; implicit-def: $vgpr26
	s_load_dwordx2 s[28:29], s[4:5], 0x70
.LBB2429_27:
	v_or_b32_e32 v32, 1, v23
	v_cmp_gt_u32_e32 vcc, s33, v23
	v_add_u32_e32 v22, 2, v23
	v_cndmask_b32_e64 v33, 0, 1, vcc
	v_cmp_gt_u32_e32 vcc, s33, v32
	v_add_u32_e32 v31, 3, v23
	v_cndmask_b32_e64 v32, 0, 1, vcc
	;; [unrolled: 3-line block ×3, first 2 shown]
	v_cmp_gt_u32_e32 vcc, s33, v31
	v_add_u32_e32 v30, 5, v23
	v_and_b32_e32 v19, v22, v19
	v_cndmask_b32_e64 v22, 0, 1, vcc
	v_cmp_gt_u32_e32 vcc, s33, v24
	v_add_u32_e32 v25, 6, v23
	v_and_b32_sdwa v18, v22, v18 dst_sel:BYTE_1 dst_unused:UNUSED_PAD src0_sel:DWORD src1_sel:DWORD
	v_cndmask_b32_e64 v22, 0, 1, vcc
	v_cmp_gt_u32_e32 vcc, s33, v30
	v_add_u32_e32 v28, 7, v23
	v_and_b32_e32 v17, v22, v17
	v_cndmask_b32_e64 v22, 0, 1, vcc
	v_cmp_gt_u32_e32 vcc, s33, v25
	v_add_u32_e32 v26, 8, v23
	v_and_b32_sdwa v16, v22, v16 dst_sel:BYTE_1 dst_unused:UNUSED_PAD src0_sel:DWORD src1_sel:DWORD
	v_cndmask_b32_e64 v22, 0, 1, vcc
	v_cmp_gt_u32_e32 vcc, s33, v28
	v_add_u32_e32 v27, 9, v23
	v_and_b32_e32 v15, v22, v15
	v_cndmask_b32_e64 v22, 0, 1, vcc
	v_cmp_gt_u32_e32 vcc, s33, v26
	v_and_b32_sdwa v14, v22, v14 dst_sel:BYTE_1 dst_unused:UNUSED_PAD src0_sel:DWORD src1_sel:DWORD
	v_cndmask_b32_e64 v22, 0, 1, vcc
	v_cmp_gt_u32_e32 vcc, s33, v27
	v_and_b32_e32 v21, v33, v21
	v_and_b32_sdwa v20, v32, v20 dst_sel:BYTE_1 dst_unused:UNUSED_PAD src0_sel:DWORD src1_sel:DWORD
	v_and_b32_e32 v24, v22, v13
	v_cndmask_b32_e64 v13, 0, 1, vcc
	v_and_b32_e32 v22, v13, v12
	v_or_b32_e32 v12, v21, v20
	v_or_b32_sdwa v13, v19, v18 dst_sel:WORD_1 dst_unused:UNUSED_PAD src0_sel:DWORD src1_sel:DWORD
	v_or_b32_sdwa v26, v12, v13 dst_sel:DWORD dst_unused:UNUSED_PAD src0_sel:WORD_0 src1_sel:DWORD
	v_or_b32_e32 v12, v17, v16
	v_or_b32_sdwa v13, v15, v14 dst_sel:WORD_1 dst_unused:UNUSED_PAD src0_sel:DWORD src1_sel:DWORD
	v_or_b32_sdwa v25, v12, v13 dst_sel:DWORD dst_unused:UNUSED_PAD src0_sel:WORD_0 src1_sel:DWORD
.LBB2429_28:
	v_bfe_u32 v30, v26, 16, 8
	v_lshrrev_b32_e32 v28, 24, v26
	v_add_u32_sdwa v13, v26, v26 dst_sel:DWORD dst_unused:UNUSED_PAD src0_sel:BYTE_1 src1_sel:BYTE_0
	v_and_b32_e32 v31, 0xff, v25
	v_bfe_u32 v32, v25, 8, 8
	v_add3_u32 v13, v13, v30, v28
	v_bfe_u32 v33, v25, 16, 8
	v_lshrrev_b32_e32 v27, 24, v25
	v_add3_u32 v13, v13, v31, v32
	v_and_b32_e32 v34, 0xff, v24
	v_and_b32_e32 v12, 0xff, v22
	v_add3_u32 v13, v13, v33, v27
	v_add3_u32 v37, v13, v34, v12
	v_mbcnt_lo_u32_b32 v12, -1, 0
	v_mbcnt_hi_u32_b32 v35, -1, v12
	v_and_b32_e32 v12, 15, v35
	v_cmp_eq_u32_e64 s[16:17], 0, v12
	v_cmp_lt_u32_e64 s[14:15], 1, v12
	v_cmp_lt_u32_e64 s[12:13], 3, v12
	;; [unrolled: 1-line block ×3, first 2 shown]
	v_and_b32_e32 v12, 16, v35
	v_cmp_eq_u32_e64 s[8:9], 0, v12
	v_or_b32_e32 v12, 63, v0
	s_cmp_lg_u32 s6, 0
	v_cmp_lt_u32_e64 s[2:3], 31, v35
	v_lshrrev_b32_e32 v36, 6, v0
	v_cmp_eq_u32_e64 s[20:21], v12, v0
	s_cbranch_scc0 .LBB2429_55
; %bb.29:
	v_mov_b32_dpp v12, v37 row_shr:1 row_mask:0xf bank_mask:0xf
	v_cndmask_b32_e64 v12, v12, 0, s[16:17]
	v_add_u32_e32 v12, v12, v37
	s_nop 1
	v_mov_b32_dpp v13, v12 row_shr:2 row_mask:0xf bank_mask:0xf
	v_cndmask_b32_e64 v13, 0, v13, s[14:15]
	v_add_u32_e32 v12, v12, v13
	s_nop 1
	;; [unrolled: 4-line block ×4, first 2 shown]
	v_mov_b32_dpp v13, v12 row_bcast:15 row_mask:0xf bank_mask:0xf
	v_cndmask_b32_e64 v13, v13, 0, s[8:9]
	v_add_u32_e32 v12, v12, v13
	s_nop 1
	v_mov_b32_dpp v13, v12 row_bcast:31 row_mask:0xf bank_mask:0xf
	v_cndmask_b32_e64 v13, 0, v13, s[2:3]
	v_add_u32_e32 v12, v12, v13
	s_and_saveexec_b64 s[18:19], s[20:21]
	s_cbranch_execz .LBB2429_31
; %bb.30:
	v_lshlrev_b32_e32 v13, 2, v36
	ds_write_b32 v13, v12
.LBB2429_31:
	s_or_b64 exec, exec, s[18:19]
	v_cmp_gt_u32_e32 vcc, 4, v0
	s_waitcnt lgkmcnt(0)
	s_barrier
	s_and_saveexec_b64 s[18:19], vcc
	s_cbranch_execz .LBB2429_33
; %bb.32:
	ds_read_b32 v13, v1
	v_and_b32_e32 v14, 3, v35
	v_cmp_ne_u32_e32 vcc, 0, v14
	s_waitcnt lgkmcnt(0)
	v_mov_b32_dpp v15, v13 row_shr:1 row_mask:0xf bank_mask:0xf
	v_cndmask_b32_e32 v15, 0, v15, vcc
	v_add_u32_e32 v13, v15, v13
	v_cmp_lt_u32_e32 vcc, 1, v14
	s_nop 0
	v_mov_b32_dpp v15, v13 row_shr:2 row_mask:0xf bank_mask:0xf
	v_cndmask_b32_e32 v14, 0, v15, vcc
	v_add_u32_e32 v13, v13, v14
	ds_write_b32 v1, v13
.LBB2429_33:
	s_or_b64 exec, exec, s[18:19]
	v_cmp_gt_u32_e32 vcc, 64, v0
	v_cmp_lt_u32_e64 s[18:19], 63, v0
	s_waitcnt lgkmcnt(0)
	s_barrier
	s_waitcnt lgkmcnt(0)
                                        ; implicit-def: $vgpr38
	s_and_saveexec_b64 s[30:31], s[18:19]
	s_cbranch_execz .LBB2429_35
; %bb.34:
	v_lshl_add_u32 v13, v36, 2, -4
	ds_read_b32 v38, v13
	s_waitcnt lgkmcnt(0)
	v_add_u32_e32 v12, v38, v12
.LBB2429_35:
	s_or_b64 exec, exec, s[30:31]
	v_add_u32_e32 v13, -1, v35
	v_and_b32_e32 v14, 64, v35
	v_cmp_lt_i32_e64 s[18:19], v13, v14
	v_cndmask_b32_e64 v13, v13, v35, s[18:19]
	v_lshlrev_b32_e32 v13, 2, v13
	ds_bpermute_b32 v39, v13, v12
	v_cmp_eq_u32_e64 s[18:19], 0, v35
	s_and_saveexec_b64 s[30:31], vcc
	s_cbranch_execz .LBB2429_54
; %bb.36:
	v_mov_b32_e32 v19, 0
	ds_read_b32 v12, v19 offset:12
	s_and_saveexec_b64 s[34:35], s[18:19]
	s_cbranch_execz .LBB2429_38
; %bb.37:
	s_add_i32 s36, s6, 64
	s_mov_b32 s37, 0
	s_lshl_b64 s[36:37], s[36:37], 3
	s_add_u32 s36, s28, s36
	v_mov_b32_e32 v13, 1
	s_addc_u32 s37, s29, s37
	s_waitcnt lgkmcnt(0)
	global_store_dwordx2 v19, v[12:13], s[36:37]
.LBB2429_38:
	s_or_b64 exec, exec, s[34:35]
	v_xad_u32 v14, v35, -1, s6
	v_add_u32_e32 v18, 64, v14
	v_lshlrev_b64 v[16:17], 3, v[18:19]
	v_mov_b32_e32 v13, s29
	v_add_co_u32_e32 v20, vcc, s28, v16
	v_addc_co_u32_e32 v21, vcc, v13, v17, vcc
	global_load_dwordx2 v[16:17], v[20:21], off glc
	s_waitcnt vmcnt(0)
	v_cmp_eq_u16_sdwa s[36:37], v17, v19 src0_sel:BYTE_0 src1_sel:DWORD
	s_and_saveexec_b64 s[34:35], s[36:37]
	s_cbranch_execz .LBB2429_42
; %bb.39:
	s_mov_b64 s[36:37], 0
	v_mov_b32_e32 v13, 0
.LBB2429_40:                            ; =>This Inner Loop Header: Depth=1
	global_load_dwordx2 v[16:17], v[20:21], off glc
	s_waitcnt vmcnt(0)
	v_cmp_ne_u16_sdwa s[38:39], v17, v13 src0_sel:BYTE_0 src1_sel:DWORD
	s_or_b64 s[36:37], s[38:39], s[36:37]
	s_andn2_b64 exec, exec, s[36:37]
	s_cbranch_execnz .LBB2429_40
; %bb.41:
	s_or_b64 exec, exec, s[36:37]
.LBB2429_42:
	s_or_b64 exec, exec, s[34:35]
	v_and_b32_e32 v41, 63, v35
	v_mov_b32_e32 v40, 2
	v_cmp_ne_u32_e32 vcc, 63, v41
	v_cmp_eq_u16_sdwa s[34:35], v17, v40 src0_sel:BYTE_0 src1_sel:DWORD
	v_lshlrev_b64 v[18:19], v35, -1
	v_addc_co_u32_e32 v20, vcc, 0, v35, vcc
	v_and_b32_e32 v13, s35, v19
	v_lshlrev_b32_e32 v42, 2, v20
	v_or_b32_e32 v13, 0x80000000, v13
	ds_bpermute_b32 v20, v42, v16
	v_and_b32_e32 v15, s34, v18
	v_ffbl_b32_e32 v13, v13
	v_add_u32_e32 v13, 32, v13
	v_ffbl_b32_e32 v15, v15
	v_min_u32_e32 v13, v15, v13
	v_cmp_lt_u32_e32 vcc, v41, v13
	s_waitcnt lgkmcnt(0)
	v_cndmask_b32_e32 v15, 0, v20, vcc
	v_cmp_gt_u32_e32 vcc, 62, v41
	v_add_u32_e32 v15, v15, v16
	v_cndmask_b32_e64 v16, 0, 1, vcc
	v_lshlrev_b32_e32 v16, 1, v16
	v_add_lshl_u32 v43, v16, v35, 2
	ds_bpermute_b32 v16, v43, v15
	v_add_u32_e32 v44, 2, v41
	v_cmp_le_u32_e32 vcc, v44, v13
	v_add_u32_e32 v46, 4, v41
	v_add_u32_e32 v48, 8, v41
	s_waitcnt lgkmcnt(0)
	v_cndmask_b32_e32 v16, 0, v16, vcc
	v_cmp_gt_u32_e32 vcc, 60, v41
	v_add_u32_e32 v15, v15, v16
	v_cndmask_b32_e64 v16, 0, 1, vcc
	v_lshlrev_b32_e32 v16, 2, v16
	v_add_lshl_u32 v45, v16, v35, 2
	ds_bpermute_b32 v16, v45, v15
	v_cmp_le_u32_e32 vcc, v46, v13
	v_add_u32_e32 v50, 16, v41
	v_add_u32_e32 v52, 32, v41
	s_waitcnt lgkmcnt(0)
	v_cndmask_b32_e32 v16, 0, v16, vcc
	v_cmp_gt_u32_e32 vcc, 56, v41
	v_add_u32_e32 v15, v15, v16
	v_cndmask_b32_e64 v16, 0, 1, vcc
	v_lshlrev_b32_e32 v16, 3, v16
	v_add_lshl_u32 v47, v16, v35, 2
	ds_bpermute_b32 v16, v47, v15
	v_cmp_le_u32_e32 vcc, v48, v13
	s_waitcnt lgkmcnt(0)
	v_cndmask_b32_e32 v16, 0, v16, vcc
	v_cmp_gt_u32_e32 vcc, 48, v41
	v_add_u32_e32 v15, v15, v16
	v_cndmask_b32_e64 v16, 0, 1, vcc
	v_lshlrev_b32_e32 v16, 4, v16
	v_add_lshl_u32 v49, v16, v35, 2
	ds_bpermute_b32 v16, v49, v15
	v_cmp_le_u32_e32 vcc, v50, v13
	;; [unrolled: 9-line block ×3, first 2 shown]
	s_waitcnt lgkmcnt(0)
	v_cndmask_b32_e32 v13, 0, v16, vcc
	v_add_u32_e32 v16, v15, v13
	v_mov_b32_e32 v15, 0
	s_branch .LBB2429_44
.LBB2429_43:                            ;   in Loop: Header=BB2429_44 Depth=1
	s_or_b64 exec, exec, s[34:35]
	v_cmp_eq_u16_sdwa s[34:35], v17, v40 src0_sel:BYTE_0 src1_sel:DWORD
	v_and_b32_e32 v20, s35, v19
	v_or_b32_e32 v20, 0x80000000, v20
	ds_bpermute_b32 v53, v42, v16
	v_and_b32_e32 v21, s34, v18
	v_ffbl_b32_e32 v20, v20
	v_add_u32_e32 v20, 32, v20
	v_ffbl_b32_e32 v21, v21
	v_min_u32_e32 v20, v21, v20
	v_cmp_lt_u32_e32 vcc, v41, v20
	s_waitcnt lgkmcnt(0)
	v_cndmask_b32_e32 v21, 0, v53, vcc
	v_add_u32_e32 v16, v21, v16
	ds_bpermute_b32 v21, v43, v16
	v_cmp_le_u32_e32 vcc, v44, v20
	v_subrev_u32_e32 v14, 64, v14
	s_waitcnt lgkmcnt(0)
	v_cndmask_b32_e32 v21, 0, v21, vcc
	v_add_u32_e32 v16, v16, v21
	ds_bpermute_b32 v21, v45, v16
	v_cmp_le_u32_e32 vcc, v46, v20
	s_waitcnt lgkmcnt(0)
	v_cndmask_b32_e32 v21, 0, v21, vcc
	v_add_u32_e32 v16, v16, v21
	ds_bpermute_b32 v21, v47, v16
	v_cmp_le_u32_e32 vcc, v48, v20
	;; [unrolled: 5-line block ×4, first 2 shown]
	s_waitcnt lgkmcnt(0)
	v_cndmask_b32_e32 v20, 0, v21, vcc
	v_add3_u32 v16, v20, v13, v16
.LBB2429_44:                            ; =>This Loop Header: Depth=1
                                        ;     Child Loop BB2429_47 Depth 2
	v_cmp_ne_u16_sdwa s[34:35], v17, v40 src0_sel:BYTE_0 src1_sel:DWORD
	v_cndmask_b32_e64 v13, 0, 1, s[34:35]
	;;#ASMSTART
	;;#ASMEND
	v_cmp_ne_u32_e32 vcc, 0, v13
	s_cmp_lg_u64 vcc, exec
	v_mov_b32_e32 v13, v16
	s_cbranch_scc1 .LBB2429_49
; %bb.45:                               ;   in Loop: Header=BB2429_44 Depth=1
	v_lshlrev_b64 v[16:17], 3, v[14:15]
	v_mov_b32_e32 v21, s29
	v_add_co_u32_e32 v20, vcc, s28, v16
	v_addc_co_u32_e32 v21, vcc, v21, v17, vcc
	global_load_dwordx2 v[16:17], v[20:21], off glc
	s_waitcnt vmcnt(0)
	v_cmp_eq_u16_sdwa s[36:37], v17, v15 src0_sel:BYTE_0 src1_sel:DWORD
	s_and_saveexec_b64 s[34:35], s[36:37]
	s_cbranch_execz .LBB2429_43
; %bb.46:                               ;   in Loop: Header=BB2429_44 Depth=1
	s_mov_b64 s[36:37], 0
.LBB2429_47:                            ;   Parent Loop BB2429_44 Depth=1
                                        ; =>  This Inner Loop Header: Depth=2
	global_load_dwordx2 v[16:17], v[20:21], off glc
	s_waitcnt vmcnt(0)
	v_cmp_ne_u16_sdwa s[38:39], v17, v15 src0_sel:BYTE_0 src1_sel:DWORD
	s_or_b64 s[36:37], s[38:39], s[36:37]
	s_andn2_b64 exec, exec, s[36:37]
	s_cbranch_execnz .LBB2429_47
; %bb.48:                               ;   in Loop: Header=BB2429_44 Depth=1
	s_or_b64 exec, exec, s[36:37]
	s_branch .LBB2429_43
.LBB2429_49:                            ;   in Loop: Header=BB2429_44 Depth=1
                                        ; implicit-def: $vgpr16
                                        ; implicit-def: $vgpr17
	s_cbranch_execz .LBB2429_44
; %bb.50:
	s_and_saveexec_b64 s[34:35], s[18:19]
	s_cbranch_execz .LBB2429_52
; %bb.51:
	s_add_i32 s6, s6, 64
	s_mov_b32 s7, 0
	s_lshl_b64 s[6:7], s[6:7], 3
	s_add_u32 s6, s28, s6
	v_add_u32_e32 v14, v13, v12
	v_mov_b32_e32 v15, 2
	s_addc_u32 s7, s29, s7
	v_mov_b32_e32 v16, 0
	global_store_dwordx2 v16, v[14:15], s[6:7]
	ds_write_b64 v16, v[12:13] offset:10240
.LBB2429_52:
	s_or_b64 exec, exec, s[34:35]
	v_cmp_eq_u32_e32 vcc, 0, v0
	s_and_b64 exec, exec, vcc
	s_cbranch_execz .LBB2429_54
; %bb.53:
	v_mov_b32_e32 v12, 0
	ds_write_b32 v12, v13 offset:12
.LBB2429_54:
	s_or_b64 exec, exec, s[30:31]
	v_mov_b32_e32 v12, 0
	s_waitcnt lgkmcnt(0)
	s_barrier
	ds_read_b32 v13, v12 offset:12
	v_cndmask_b32_e64 v14, v39, v38, s[18:19]
	v_cmp_ne_u32_e32 vcc, 0, v0
	v_cndmask_b32_e32 v14, 0, v14, vcc
	s_waitcnt lgkmcnt(0)
	v_add_u32_e32 v40, v13, v14
	v_add_u32_sdwa v39, v40, v26 dst_sel:DWORD dst_unused:UNUSED_PAD src0_sel:DWORD src1_sel:BYTE_0
	v_add_u32_sdwa v38, v39, v26 dst_sel:DWORD dst_unused:UNUSED_PAD src0_sel:DWORD src1_sel:BYTE_1
	v_add_u32_e32 v21, v38, v30
	v_add_u32_e32 v20, v21, v28
	s_barrier
	ds_read_b64 v[12:13], v12 offset:10240
	v_add_u32_e32 v19, v20, v31
	v_add_u32_e32 v18, v19, v32
	;; [unrolled: 1-line block ×5, first 2 shown]
	s_waitcnt lgkmcnt(0)
	v_mov_b32_e32 v14, v13
	s_load_dwordx2 s[4:5], s[4:5], 0x28
	s_branch .LBB2429_65
.LBB2429_55:
                                        ; implicit-def: $vgpr14
                                        ; implicit-def: $vgpr12
                                        ; implicit-def: $vgpr15
                                        ; implicit-def: $vgpr16
                                        ; implicit-def: $vgpr17
                                        ; implicit-def: $vgpr18
                                        ; implicit-def: $vgpr19
                                        ; implicit-def: $vgpr20
                                        ; implicit-def: $vgpr21
                                        ; implicit-def: $vgpr38
                                        ; implicit-def: $vgpr39
                                        ; implicit-def: $vgpr40
	s_load_dwordx2 s[4:5], s[4:5], 0x28
	s_cbranch_execz .LBB2429_65
; %bb.56:
	v_mov_b32_dpp v12, v37 row_shr:1 row_mask:0xf bank_mask:0xf
	v_cndmask_b32_e64 v12, v12, 0, s[16:17]
	v_add_u32_e32 v12, v12, v37
	s_nop 1
	v_mov_b32_dpp v13, v12 row_shr:2 row_mask:0xf bank_mask:0xf
	v_cndmask_b32_e64 v13, 0, v13, s[14:15]
	v_add_u32_e32 v12, v12, v13
	s_nop 1
	;; [unrolled: 4-line block ×4, first 2 shown]
	v_mov_b32_dpp v13, v12 row_bcast:15 row_mask:0xf bank_mask:0xf
	v_cndmask_b32_e64 v13, v13, 0, s[8:9]
	v_add_u32_e32 v12, v12, v13
	s_nop 1
	v_mov_b32_dpp v13, v12 row_bcast:31 row_mask:0xf bank_mask:0xf
	v_cndmask_b32_e64 v13, 0, v13, s[2:3]
	v_add_u32_e32 v12, v12, v13
	s_and_saveexec_b64 s[2:3], s[20:21]
	s_cbranch_execz .LBB2429_58
; %bb.57:
	v_lshlrev_b32_e32 v13, 2, v36
	ds_write_b32 v13, v12
.LBB2429_58:
	s_or_b64 exec, exec, s[2:3]
	v_cmp_gt_u32_e32 vcc, 4, v0
	s_waitcnt lgkmcnt(0)
	s_barrier
	s_and_saveexec_b64 s[2:3], vcc
	s_cbranch_execz .LBB2429_60
; %bb.59:
	s_movk_i32 s6, 0xffdc
	v_mad_i32_i24 v13, v0, s6, v29
	ds_read_b32 v14, v13
	v_and_b32_e32 v15, 3, v35
	v_cmp_ne_u32_e32 vcc, 0, v15
	s_waitcnt lgkmcnt(0)
	v_mov_b32_dpp v16, v14 row_shr:1 row_mask:0xf bank_mask:0xf
	v_cndmask_b32_e32 v16, 0, v16, vcc
	v_add_u32_e32 v14, v16, v14
	v_cmp_lt_u32_e32 vcc, 1, v15
	s_nop 0
	v_mov_b32_dpp v16, v14 row_shr:2 row_mask:0xf bank_mask:0xf
	v_cndmask_b32_e32 v15, 0, v16, vcc
	v_add_u32_e32 v14, v14, v15
	ds_write_b32 v13, v14
.LBB2429_60:
	s_or_b64 exec, exec, s[2:3]
	v_cmp_lt_u32_e32 vcc, 63, v0
	v_mov_b32_e32 v13, 0
	v_mov_b32_e32 v14, 0
	s_waitcnt lgkmcnt(0)
	s_barrier
	s_and_saveexec_b64 s[2:3], vcc
	s_cbranch_execz .LBB2429_62
; %bb.61:
	v_lshl_add_u32 v14, v36, 2, -4
	ds_read_b32 v14, v14
.LBB2429_62:
	s_or_b64 exec, exec, s[2:3]
	v_add_u32_e32 v15, -1, v35
	v_and_b32_e32 v16, 64, v35
	v_cmp_lt_i32_e32 vcc, v15, v16
	v_cndmask_b32_e32 v15, v15, v35, vcc
	s_waitcnt lgkmcnt(0)
	v_add_u32_e32 v12, v14, v12
	v_lshlrev_b32_e32 v15, 2, v15
	ds_bpermute_b32 v15, v15, v12
	ds_read_b32 v12, v13 offset:12
	v_cmp_eq_u32_e32 vcc, 0, v0
	s_and_saveexec_b64 s[2:3], vcc
	s_cbranch_execz .LBB2429_64
; %bb.63:
	v_mov_b32_e32 v16, 0
	v_mov_b32_e32 v13, 2
	s_waitcnt lgkmcnt(0)
	global_store_dwordx2 v16, v[12:13], s[28:29] offset:512
.LBB2429_64:
	s_or_b64 exec, exec, s[2:3]
	v_cmp_eq_u32_e64 s[2:3], 0, v35
	s_waitcnt lgkmcnt(1)
	v_cndmask_b32_e64 v13, v15, v14, s[2:3]
	v_cndmask_b32_e64 v40, v13, 0, vcc
	v_add_u32_sdwa v39, v40, v26 dst_sel:DWORD dst_unused:UNUSED_PAD src0_sel:DWORD src1_sel:BYTE_0
	v_add_u32_sdwa v38, v39, v26 dst_sel:DWORD dst_unused:UNUSED_PAD src0_sel:DWORD src1_sel:BYTE_1
	v_add_u32_e32 v21, v38, v30
	v_add_u32_e32 v20, v21, v28
	;; [unrolled: 1-line block ×6, first 2 shown]
	v_mov_b32_e32 v14, 0
	v_add_u32_e32 v15, v16, v34
	s_waitcnt lgkmcnt(0)
	s_barrier
.LBB2429_65:
	v_add_u32_e32 v23, v12, v23
	v_sub_u32_e32 v30, v40, v14
	v_and_b32_e32 v32, 1, v26
	v_sub_u32_e32 v31, v23, v30
	v_cmp_eq_u32_e32 vcc, 1, v32
	v_cndmask_b32_e32 v30, v31, v30, vcc
	v_lshlrev_b32_e32 v30, 2, v30
	v_lshrrev_b32_e32 v29, 8, v26
	ds_write_b32 v30, v6
	v_sub_u32_e32 v6, v39, v14
	v_sub_u32_e32 v30, v23, v6
	v_and_b32_e32 v29, 1, v29
	v_add_u32_e32 v30, 1, v30
	v_cmp_eq_u32_e32 vcc, 1, v29
	v_cndmask_b32_e32 v6, v30, v6, vcc
	v_lshlrev_b32_e32 v6, 2, v6
	ds_write_b32 v6, v7
	v_sub_u32_e32 v6, v38, v14
	v_mov_b32_e32 v29, 1
	v_sub_u32_e32 v7, v23, v6
	v_and_b32_sdwa v26, v29, v26 dst_sel:DWORD dst_unused:UNUSED_PAD src0_sel:DWORD src1_sel:WORD_1
	v_add_u32_e32 v7, 2, v7
	v_cmp_eq_u32_e32 vcc, 1, v26
	v_cndmask_b32_e32 v6, v7, v6, vcc
	v_lshlrev_b32_e32 v6, 2, v6
	ds_write_b32 v6, v8
	v_sub_u32_e32 v6, v21, v14
	v_sub_u32_e32 v7, v23, v6
	v_and_b32_e32 v8, 1, v28
	v_add_u32_e32 v7, 3, v7
	v_cmp_eq_u32_e32 vcc, 1, v8
	v_cndmask_b32_e32 v6, v7, v6, vcc
	v_lshlrev_b32_e32 v6, 2, v6
	ds_write_b32 v6, v9
	v_sub_u32_e32 v6, v20, v14
	v_sub_u32_e32 v7, v23, v6
	v_and_b32_e32 v8, 1, v25
	v_add_u32_e32 v7, 4, v7
	v_cmp_eq_u32_e32 vcc, 1, v8
	v_cndmask_b32_e32 v6, v7, v6, vcc
	v_lshlrev_b32_e32 v6, 2, v6
	v_lshrrev_b32_e32 v13, 8, v25
	ds_write_b32 v6, v2
	v_sub_u32_e32 v2, v19, v14
	v_sub_u32_e32 v6, v23, v2
	v_and_b32_e32 v7, 1, v13
	v_add_u32_e32 v6, 5, v6
	v_cmp_eq_u32_e32 vcc, 1, v7
	v_cndmask_b32_e32 v2, v6, v2, vcc
	v_lshlrev_b32_e32 v2, 2, v2
	ds_write_b32 v2, v3
	v_sub_u32_e32 v2, v18, v14
	v_sub_u32_e32 v3, v23, v2
	v_and_b32_sdwa v6, v29, v25 dst_sel:DWORD dst_unused:UNUSED_PAD src0_sel:DWORD src1_sel:WORD_1
	v_add_u32_e32 v3, 6, v3
	v_cmp_eq_u32_e32 vcc, 1, v6
	v_cndmask_b32_e32 v2, v3, v2, vcc
	v_lshlrev_b32_e32 v2, 2, v2
	ds_write_b32 v2, v4
	v_sub_u32_e32 v2, v17, v14
	v_sub_u32_e32 v3, v23, v2
	v_and_b32_e32 v4, 1, v27
	v_add_u32_e32 v3, 7, v3
	v_cmp_eq_u32_e32 vcc, 1, v4
	v_cndmask_b32_e32 v2, v3, v2, vcc
	v_lshlrev_b32_e32 v2, 2, v2
	ds_write_b32 v2, v5
	v_sub_u32_e32 v2, v16, v14
	v_sub_u32_e32 v3, v23, v2
	v_and_b32_e32 v4, 1, v24
	;; [unrolled: 8-line block ×3, first 2 shown]
	v_add_u32_e32 v3, 9, v3
	v_cmp_eq_u32_e32 vcc, 1, v4
	v_cndmask_b32_e32 v2, v3, v2, vcc
	v_lshlrev_b32_e32 v2, 2, v2
	ds_write_b32 v2, v11
	s_waitcnt lgkmcnt(0)
	s_barrier
	ds_read2st64_b32 v[16:17], v1 offset1:4
	ds_read2st64_b32 v[10:11], v1 offset0:8 offset1:12
	ds_read2st64_b32 v[8:9], v1 offset0:16 offset1:20
	;; [unrolled: 1-line block ×4, first 2 shown]
	v_or_b32_e32 v25, 0x100, v0
	v_or_b32_e32 v24, 0x200, v0
	;; [unrolled: 1-line block ×8, first 2 shown]
	s_and_b64 vcc, exec, s[0:1]
	v_or_b32_e32 v13, 0x900, v0
	s_cbranch_vccnz .LBB2429_77
; %bb.66:
	s_lshl_b64 s[0:1], s[22:23], 2
	v_mov_b32_e32 v15, 0
	s_add_u32 s0, s4, s0
	s_addc_u32 s1, s5, s1
	v_lshlrev_b64 v[6:7], 2, v[14:15]
	v_mov_b32_e32 v15, s1
	v_add_co_u32_e32 v6, vcc, s0, v6
	v_addc_co_u32_e32 v7, vcc, v15, v7, vcc
	v_cmp_gt_u32_e32 vcc, v12, v0
	s_and_saveexec_b64 s[0:1], vcc
	s_cbranch_execnz .LBB2429_94
; %bb.67:
	s_or_b64 exec, exec, s[0:1]
	v_cmp_lt_u32_e32 vcc, v25, v12
	s_and_saveexec_b64 s[0:1], vcc
	s_cbranch_execnz .LBB2429_95
.LBB2429_68:
	s_or_b64 exec, exec, s[0:1]
	v_cmp_lt_u32_e32 vcc, v24, v12
	s_and_saveexec_b64 s[0:1], vcc
	s_cbranch_execnz .LBB2429_96
.LBB2429_69:
	s_or_b64 exec, exec, s[0:1]
	v_cmp_lt_u32_e32 vcc, v23, v12
	s_and_saveexec_b64 s[0:1], vcc
	s_cbranch_execnz .LBB2429_97
.LBB2429_70:
	s_or_b64 exec, exec, s[0:1]
	v_cmp_lt_u32_e32 vcc, v22, v12
	s_and_saveexec_b64 s[0:1], vcc
	s_cbranch_execnz .LBB2429_98
.LBB2429_71:
	s_or_b64 exec, exec, s[0:1]
	v_cmp_lt_u32_e32 vcc, v21, v12
	s_and_saveexec_b64 s[0:1], vcc
	s_cbranch_execnz .LBB2429_99
.LBB2429_72:
	s_or_b64 exec, exec, s[0:1]
	v_cmp_lt_u32_e32 vcc, v20, v12
	s_and_saveexec_b64 s[0:1], vcc
	s_cbranch_execnz .LBB2429_100
.LBB2429_73:
	s_or_b64 exec, exec, s[0:1]
	v_cmp_lt_u32_e32 vcc, v19, v12
	s_and_saveexec_b64 s[0:1], vcc
	s_cbranch_execnz .LBB2429_101
.LBB2429_74:
	s_or_b64 exec, exec, s[0:1]
	v_cmp_lt_u32_e32 vcc, v18, v12
	s_and_saveexec_b64 s[0:1], vcc
	s_cbranch_execz .LBB2429_76
.LBB2429_75:
	v_lshlrev_b32_e32 v15, 2, v18
	v_readfirstlane_b32 s2, v6
	v_readfirstlane_b32 s3, v7
	s_waitcnt lgkmcnt(0)
	s_nop 3
	global_store_dword v15, v2, s[2:3]
.LBB2429_76:
	s_or_b64 exec, exec, s[0:1]
	v_cmp_lt_u32_e64 s[0:1], v13, v12
	s_branch .LBB2429_89
.LBB2429_77:
	s_mov_b64 s[0:1], 0
                                        ; implicit-def: $vgpr6_vgpr7
	s_cbranch_execz .LBB2429_89
; %bb.78:
	s_lshl_b64 s[0:1], s[22:23], 2
	v_mov_b32_e32 v15, 0
	s_add_u32 s0, s4, s0
	s_addc_u32 s1, s5, s1
	v_lshlrev_b64 v[6:7], 2, v[14:15]
	v_mov_b32_e32 v15, s1
	v_add_co_u32_e32 v6, vcc, s0, v6
	v_min_u32_e32 v26, s33, v12
	v_addc_co_u32_e32 v7, vcc, v15, v7, vcc
	v_cmp_gt_u32_e32 vcc, v26, v0
	s_and_saveexec_b64 s[0:1], vcc
	s_cbranch_execnz .LBB2429_102
; %bb.79:
	s_or_b64 exec, exec, s[0:1]
	v_cmp_lt_u32_e32 vcc, v25, v26
	s_and_saveexec_b64 s[0:1], vcc
	s_cbranch_execnz .LBB2429_103
.LBB2429_80:
	s_or_b64 exec, exec, s[0:1]
	v_cmp_lt_u32_e32 vcc, v24, v26
	s_and_saveexec_b64 s[0:1], vcc
	s_cbranch_execnz .LBB2429_104
.LBB2429_81:
	s_or_b64 exec, exec, s[0:1]
	v_cmp_lt_u32_e32 vcc, v23, v26
	s_and_saveexec_b64 s[0:1], vcc
	s_cbranch_execnz .LBB2429_105
.LBB2429_82:
	s_or_b64 exec, exec, s[0:1]
	v_cmp_lt_u32_e32 vcc, v22, v26
	s_and_saveexec_b64 s[0:1], vcc
	s_cbranch_execnz .LBB2429_106
.LBB2429_83:
	s_or_b64 exec, exec, s[0:1]
	v_cmp_lt_u32_e32 vcc, v21, v26
	s_and_saveexec_b64 s[0:1], vcc
	s_cbranch_execnz .LBB2429_107
.LBB2429_84:
	s_or_b64 exec, exec, s[0:1]
	v_cmp_lt_u32_e32 vcc, v20, v26
	s_and_saveexec_b64 s[0:1], vcc
	s_cbranch_execnz .LBB2429_108
.LBB2429_85:
	s_or_b64 exec, exec, s[0:1]
	v_cmp_lt_u32_e32 vcc, v19, v26
	s_and_saveexec_b64 s[0:1], vcc
	s_cbranch_execnz .LBB2429_109
.LBB2429_86:
	s_or_b64 exec, exec, s[0:1]
	v_cmp_lt_u32_e32 vcc, v18, v26
	s_and_saveexec_b64 s[0:1], vcc
	s_cbranch_execz .LBB2429_88
.LBB2429_87:
	v_lshlrev_b32_e32 v1, 2, v18
	v_readfirstlane_b32 s2, v6
	v_readfirstlane_b32 s3, v7
	s_waitcnt lgkmcnt(0)
	s_nop 3
	global_store_dword v1, v2, s[2:3]
.LBB2429_88:
	s_or_b64 exec, exec, s[0:1]
	v_cmp_lt_u32_e64 s[0:1], v13, v26
.LBB2429_89:
	s_and_saveexec_b64 s[2:3], s[0:1]
	s_cbranch_execz .LBB2429_91
; %bb.90:
	v_lshlrev_b32_e32 v1, 2, v13
	v_readfirstlane_b32 s0, v6
	v_readfirstlane_b32 s1, v7
	s_waitcnt lgkmcnt(0)
	s_nop 3
	global_store_dword v1, v3, s[0:1]
.LBB2429_91:
	s_or_b64 exec, exec, s[2:3]
	v_cmp_eq_u32_e32 vcc, 0, v0
	s_and_b64 s[0:1], vcc, s[26:27]
	s_and_saveexec_b64 s[2:3], s[0:1]
	s_cbranch_execz .LBB2429_93
; %bb.92:
	v_mov_b32_e32 v0, s23
	v_add_co_u32_e32 v1, vcc, s22, v12
	s_waitcnt lgkmcnt(0)
	v_addc_co_u32_e32 v3, vcc, 0, v0, vcc
	v_add_co_u32_e32 v0, vcc, v1, v14
	v_mov_b32_e32 v2, 0
	v_addc_co_u32_e32 v1, vcc, 0, v3, vcc
	global_store_dwordx2 v2, v[0:1], s[24:25]
.LBB2429_93:
	s_endpgm
.LBB2429_94:
	v_readfirstlane_b32 s2, v6
	v_readfirstlane_b32 s3, v7
	s_waitcnt lgkmcnt(4)
	s_nop 3
	global_store_dword v1, v16, s[2:3]
	s_or_b64 exec, exec, s[0:1]
	v_cmp_lt_u32_e32 vcc, v25, v12
	s_and_saveexec_b64 s[0:1], vcc
	s_cbranch_execz .LBB2429_68
.LBB2429_95:
	v_readfirstlane_b32 s2, v6
	v_readfirstlane_b32 s3, v7
	s_waitcnt lgkmcnt(4)
	s_nop 3
	global_store_dword v1, v17, s[2:3] offset:1024
	s_or_b64 exec, exec, s[0:1]
	v_cmp_lt_u32_e32 vcc, v24, v12
	s_and_saveexec_b64 s[0:1], vcc
	s_cbranch_execz .LBB2429_69
.LBB2429_96:
	v_readfirstlane_b32 s2, v6
	v_readfirstlane_b32 s3, v7
	s_waitcnt lgkmcnt(3)
	s_nop 3
	global_store_dword v1, v10, s[2:3] offset:2048
	s_or_b64 exec, exec, s[0:1]
	v_cmp_lt_u32_e32 vcc, v23, v12
	s_and_saveexec_b64 s[0:1], vcc
	s_cbranch_execz .LBB2429_70
.LBB2429_97:
	v_readfirstlane_b32 s2, v6
	v_readfirstlane_b32 s3, v7
	s_waitcnt lgkmcnt(3)
	s_nop 3
	global_store_dword v1, v11, s[2:3] offset:3072
	s_or_b64 exec, exec, s[0:1]
	v_cmp_lt_u32_e32 vcc, v22, v12
	s_and_saveexec_b64 s[0:1], vcc
	s_cbranch_execz .LBB2429_71
.LBB2429_98:
	v_lshlrev_b32_e32 v15, 2, v22
	v_readfirstlane_b32 s2, v6
	v_readfirstlane_b32 s3, v7
	s_waitcnt lgkmcnt(2)
	s_nop 3
	global_store_dword v15, v8, s[2:3]
	s_or_b64 exec, exec, s[0:1]
	v_cmp_lt_u32_e32 vcc, v21, v12
	s_and_saveexec_b64 s[0:1], vcc
	s_cbranch_execz .LBB2429_72
.LBB2429_99:
	v_lshlrev_b32_e32 v15, 2, v21
	v_readfirstlane_b32 s2, v6
	v_readfirstlane_b32 s3, v7
	s_waitcnt lgkmcnt(2)
	s_nop 3
	global_store_dword v15, v9, s[2:3]
	s_or_b64 exec, exec, s[0:1]
	v_cmp_lt_u32_e32 vcc, v20, v12
	s_and_saveexec_b64 s[0:1], vcc
	s_cbranch_execz .LBB2429_73
.LBB2429_100:
	v_lshlrev_b32_e32 v15, 2, v20
	v_readfirstlane_b32 s2, v6
	v_readfirstlane_b32 s3, v7
	s_waitcnt lgkmcnt(1)
	s_nop 3
	global_store_dword v15, v4, s[2:3]
	s_or_b64 exec, exec, s[0:1]
	v_cmp_lt_u32_e32 vcc, v19, v12
	s_and_saveexec_b64 s[0:1], vcc
	s_cbranch_execz .LBB2429_74
.LBB2429_101:
	v_lshlrev_b32_e32 v15, 2, v19
	v_readfirstlane_b32 s2, v6
	v_readfirstlane_b32 s3, v7
	s_waitcnt lgkmcnt(1)
	s_nop 3
	global_store_dword v15, v5, s[2:3]
	s_or_b64 exec, exec, s[0:1]
	v_cmp_lt_u32_e32 vcc, v18, v12
	s_and_saveexec_b64 s[0:1], vcc
	s_cbranch_execnz .LBB2429_75
	s_branch .LBB2429_76
.LBB2429_102:
	v_readfirstlane_b32 s2, v6
	v_readfirstlane_b32 s3, v7
	s_waitcnt lgkmcnt(4)
	s_nop 3
	global_store_dword v1, v16, s[2:3]
	s_or_b64 exec, exec, s[0:1]
	v_cmp_lt_u32_e32 vcc, v25, v26
	s_and_saveexec_b64 s[0:1], vcc
	s_cbranch_execz .LBB2429_80
.LBB2429_103:
	v_readfirstlane_b32 s2, v6
	v_readfirstlane_b32 s3, v7
	s_waitcnt lgkmcnt(4)
	s_nop 3
	global_store_dword v1, v17, s[2:3] offset:1024
	s_or_b64 exec, exec, s[0:1]
	v_cmp_lt_u32_e32 vcc, v24, v26
	s_and_saveexec_b64 s[0:1], vcc
	s_cbranch_execz .LBB2429_81
.LBB2429_104:
	v_readfirstlane_b32 s2, v6
	v_readfirstlane_b32 s3, v7
	s_waitcnt lgkmcnt(3)
	s_nop 3
	global_store_dword v1, v10, s[2:3] offset:2048
	s_or_b64 exec, exec, s[0:1]
	v_cmp_lt_u32_e32 vcc, v23, v26
	s_and_saveexec_b64 s[0:1], vcc
	s_cbranch_execz .LBB2429_82
.LBB2429_105:
	v_readfirstlane_b32 s2, v6
	v_readfirstlane_b32 s3, v7
	s_waitcnt lgkmcnt(3)
	s_nop 3
	global_store_dword v1, v11, s[2:3] offset:3072
	s_or_b64 exec, exec, s[0:1]
	v_cmp_lt_u32_e32 vcc, v22, v26
	s_and_saveexec_b64 s[0:1], vcc
	s_cbranch_execz .LBB2429_83
.LBB2429_106:
	v_lshlrev_b32_e32 v1, 2, v22
	v_readfirstlane_b32 s2, v6
	v_readfirstlane_b32 s3, v7
	s_waitcnt lgkmcnt(2)
	s_nop 3
	global_store_dword v1, v8, s[2:3]
	s_or_b64 exec, exec, s[0:1]
	v_cmp_lt_u32_e32 vcc, v21, v26
	s_and_saveexec_b64 s[0:1], vcc
	s_cbranch_execz .LBB2429_84
.LBB2429_107:
	v_lshlrev_b32_e32 v1, 2, v21
	v_readfirstlane_b32 s2, v6
	v_readfirstlane_b32 s3, v7
	s_waitcnt lgkmcnt(2)
	s_nop 3
	global_store_dword v1, v9, s[2:3]
	s_or_b64 exec, exec, s[0:1]
	v_cmp_lt_u32_e32 vcc, v20, v26
	s_and_saveexec_b64 s[0:1], vcc
	s_cbranch_execz .LBB2429_85
.LBB2429_108:
	v_lshlrev_b32_e32 v1, 2, v20
	v_readfirstlane_b32 s2, v6
	v_readfirstlane_b32 s3, v7
	s_waitcnt lgkmcnt(1)
	s_nop 3
	global_store_dword v1, v4, s[2:3]
	s_or_b64 exec, exec, s[0:1]
	v_cmp_lt_u32_e32 vcc, v19, v26
	s_and_saveexec_b64 s[0:1], vcc
	s_cbranch_execz .LBB2429_86
.LBB2429_109:
	v_lshlrev_b32_e32 v1, 2, v19
	v_readfirstlane_b32 s2, v6
	v_readfirstlane_b32 s3, v7
	s_waitcnt lgkmcnt(1)
	s_nop 3
	global_store_dword v1, v5, s[2:3]
	s_or_b64 exec, exec, s[0:1]
	v_cmp_lt_u32_e32 vcc, v18, v26
	s_and_saveexec_b64 s[0:1], vcc
	s_cbranch_execnz .LBB2429_87
	s_branch .LBB2429_88
	.section	.rodata,"a",@progbits
	.p2align	6, 0x0
	.amdhsa_kernel _ZN7rocprim17ROCPRIM_400000_NS6detail17trampoline_kernelINS0_14default_configENS1_25partition_config_selectorILNS1_17partition_subalgoE0EjNS0_10empty_typeEbEEZZNS1_14partition_implILS5_0ELb0ES3_jN6thrust23THRUST_200600_302600_NS6detail15normal_iteratorINSA_10device_ptrIjEEEEPS6_SG_NS0_5tupleIJSF_NSA_16discard_iteratorINSA_11use_defaultEEEEEENSH_IJSG_SG_EEES6_PlJ7is_evenIjEEEE10hipError_tPvRmT3_T4_T5_T6_T7_T9_mT8_P12ihipStream_tbDpT10_ENKUlT_T0_E_clISt17integral_constantIbLb0EES19_EEDaS14_S15_EUlS14_E_NS1_11comp_targetILNS1_3genE4ELNS1_11target_archE910ELNS1_3gpuE8ELNS1_3repE0EEENS1_30default_config_static_selectorELNS0_4arch9wavefront6targetE1EEEvT1_
		.amdhsa_group_segment_fixed_size 10248
		.amdhsa_private_segment_fixed_size 0
		.amdhsa_kernarg_size 128
		.amdhsa_user_sgpr_count 6
		.amdhsa_user_sgpr_private_segment_buffer 1
		.amdhsa_user_sgpr_dispatch_ptr 0
		.amdhsa_user_sgpr_queue_ptr 0
		.amdhsa_user_sgpr_kernarg_segment_ptr 1
		.amdhsa_user_sgpr_dispatch_id 0
		.amdhsa_user_sgpr_flat_scratch_init 0
		.amdhsa_user_sgpr_kernarg_preload_length 0
		.amdhsa_user_sgpr_kernarg_preload_offset 0
		.amdhsa_user_sgpr_private_segment_size 0
		.amdhsa_uses_dynamic_stack 0
		.amdhsa_system_sgpr_private_segment_wavefront_offset 0
		.amdhsa_system_sgpr_workgroup_id_x 1
		.amdhsa_system_sgpr_workgroup_id_y 0
		.amdhsa_system_sgpr_workgroup_id_z 0
		.amdhsa_system_sgpr_workgroup_info 0
		.amdhsa_system_vgpr_workitem_id 0
		.amdhsa_next_free_vgpr 54
		.amdhsa_next_free_sgpr 40
		.amdhsa_accum_offset 56
		.amdhsa_reserve_vcc 1
		.amdhsa_reserve_flat_scratch 0
		.amdhsa_float_round_mode_32 0
		.amdhsa_float_round_mode_16_64 0
		.amdhsa_float_denorm_mode_32 3
		.amdhsa_float_denorm_mode_16_64 3
		.amdhsa_dx10_clamp 1
		.amdhsa_ieee_mode 1
		.amdhsa_fp16_overflow 0
		.amdhsa_tg_split 0
		.amdhsa_exception_fp_ieee_invalid_op 0
		.amdhsa_exception_fp_denorm_src 0
		.amdhsa_exception_fp_ieee_div_zero 0
		.amdhsa_exception_fp_ieee_overflow 0
		.amdhsa_exception_fp_ieee_underflow 0
		.amdhsa_exception_fp_ieee_inexact 0
		.amdhsa_exception_int_div_zero 0
	.end_amdhsa_kernel
	.section	.text._ZN7rocprim17ROCPRIM_400000_NS6detail17trampoline_kernelINS0_14default_configENS1_25partition_config_selectorILNS1_17partition_subalgoE0EjNS0_10empty_typeEbEEZZNS1_14partition_implILS5_0ELb0ES3_jN6thrust23THRUST_200600_302600_NS6detail15normal_iteratorINSA_10device_ptrIjEEEEPS6_SG_NS0_5tupleIJSF_NSA_16discard_iteratorINSA_11use_defaultEEEEEENSH_IJSG_SG_EEES6_PlJ7is_evenIjEEEE10hipError_tPvRmT3_T4_T5_T6_T7_T9_mT8_P12ihipStream_tbDpT10_ENKUlT_T0_E_clISt17integral_constantIbLb0EES19_EEDaS14_S15_EUlS14_E_NS1_11comp_targetILNS1_3genE4ELNS1_11target_archE910ELNS1_3gpuE8ELNS1_3repE0EEENS1_30default_config_static_selectorELNS0_4arch9wavefront6targetE1EEEvT1_,"axG",@progbits,_ZN7rocprim17ROCPRIM_400000_NS6detail17trampoline_kernelINS0_14default_configENS1_25partition_config_selectorILNS1_17partition_subalgoE0EjNS0_10empty_typeEbEEZZNS1_14partition_implILS5_0ELb0ES3_jN6thrust23THRUST_200600_302600_NS6detail15normal_iteratorINSA_10device_ptrIjEEEEPS6_SG_NS0_5tupleIJSF_NSA_16discard_iteratorINSA_11use_defaultEEEEEENSH_IJSG_SG_EEES6_PlJ7is_evenIjEEEE10hipError_tPvRmT3_T4_T5_T6_T7_T9_mT8_P12ihipStream_tbDpT10_ENKUlT_T0_E_clISt17integral_constantIbLb0EES19_EEDaS14_S15_EUlS14_E_NS1_11comp_targetILNS1_3genE4ELNS1_11target_archE910ELNS1_3gpuE8ELNS1_3repE0EEENS1_30default_config_static_selectorELNS0_4arch9wavefront6targetE1EEEvT1_,comdat
.Lfunc_end2429:
	.size	_ZN7rocprim17ROCPRIM_400000_NS6detail17trampoline_kernelINS0_14default_configENS1_25partition_config_selectorILNS1_17partition_subalgoE0EjNS0_10empty_typeEbEEZZNS1_14partition_implILS5_0ELb0ES3_jN6thrust23THRUST_200600_302600_NS6detail15normal_iteratorINSA_10device_ptrIjEEEEPS6_SG_NS0_5tupleIJSF_NSA_16discard_iteratorINSA_11use_defaultEEEEEENSH_IJSG_SG_EEES6_PlJ7is_evenIjEEEE10hipError_tPvRmT3_T4_T5_T6_T7_T9_mT8_P12ihipStream_tbDpT10_ENKUlT_T0_E_clISt17integral_constantIbLb0EES19_EEDaS14_S15_EUlS14_E_NS1_11comp_targetILNS1_3genE4ELNS1_11target_archE910ELNS1_3gpuE8ELNS1_3repE0EEENS1_30default_config_static_selectorELNS0_4arch9wavefront6targetE1EEEvT1_, .Lfunc_end2429-_ZN7rocprim17ROCPRIM_400000_NS6detail17trampoline_kernelINS0_14default_configENS1_25partition_config_selectorILNS1_17partition_subalgoE0EjNS0_10empty_typeEbEEZZNS1_14partition_implILS5_0ELb0ES3_jN6thrust23THRUST_200600_302600_NS6detail15normal_iteratorINSA_10device_ptrIjEEEEPS6_SG_NS0_5tupleIJSF_NSA_16discard_iteratorINSA_11use_defaultEEEEEENSH_IJSG_SG_EEES6_PlJ7is_evenIjEEEE10hipError_tPvRmT3_T4_T5_T6_T7_T9_mT8_P12ihipStream_tbDpT10_ENKUlT_T0_E_clISt17integral_constantIbLb0EES19_EEDaS14_S15_EUlS14_E_NS1_11comp_targetILNS1_3genE4ELNS1_11target_archE910ELNS1_3gpuE8ELNS1_3repE0EEENS1_30default_config_static_selectorELNS0_4arch9wavefront6targetE1EEEvT1_
                                        ; -- End function
	.section	.AMDGPU.csdata,"",@progbits
; Kernel info:
; codeLenInByte = 5180
; NumSgprs: 44
; NumVgprs: 54
; NumAgprs: 0
; TotalNumVgprs: 54
; ScratchSize: 0
; MemoryBound: 0
; FloatMode: 240
; IeeeMode: 1
; LDSByteSize: 10248 bytes/workgroup (compile time only)
; SGPRBlocks: 5
; VGPRBlocks: 6
; NumSGPRsForWavesPerEU: 44
; NumVGPRsForWavesPerEU: 54
; AccumOffset: 56
; Occupancy: 6
; WaveLimiterHint : 1
; COMPUTE_PGM_RSRC2:SCRATCH_EN: 0
; COMPUTE_PGM_RSRC2:USER_SGPR: 6
; COMPUTE_PGM_RSRC2:TRAP_HANDLER: 0
; COMPUTE_PGM_RSRC2:TGID_X_EN: 1
; COMPUTE_PGM_RSRC2:TGID_Y_EN: 0
; COMPUTE_PGM_RSRC2:TGID_Z_EN: 0
; COMPUTE_PGM_RSRC2:TIDIG_COMP_CNT: 0
; COMPUTE_PGM_RSRC3_GFX90A:ACCUM_OFFSET: 13
; COMPUTE_PGM_RSRC3_GFX90A:TG_SPLIT: 0
	.section	.text._ZN7rocprim17ROCPRIM_400000_NS6detail17trampoline_kernelINS0_14default_configENS1_25partition_config_selectorILNS1_17partition_subalgoE0EjNS0_10empty_typeEbEEZZNS1_14partition_implILS5_0ELb0ES3_jN6thrust23THRUST_200600_302600_NS6detail15normal_iteratorINSA_10device_ptrIjEEEEPS6_SG_NS0_5tupleIJSF_NSA_16discard_iteratorINSA_11use_defaultEEEEEENSH_IJSG_SG_EEES6_PlJ7is_evenIjEEEE10hipError_tPvRmT3_T4_T5_T6_T7_T9_mT8_P12ihipStream_tbDpT10_ENKUlT_T0_E_clISt17integral_constantIbLb0EES19_EEDaS14_S15_EUlS14_E_NS1_11comp_targetILNS1_3genE3ELNS1_11target_archE908ELNS1_3gpuE7ELNS1_3repE0EEENS1_30default_config_static_selectorELNS0_4arch9wavefront6targetE1EEEvT1_,"axG",@progbits,_ZN7rocprim17ROCPRIM_400000_NS6detail17trampoline_kernelINS0_14default_configENS1_25partition_config_selectorILNS1_17partition_subalgoE0EjNS0_10empty_typeEbEEZZNS1_14partition_implILS5_0ELb0ES3_jN6thrust23THRUST_200600_302600_NS6detail15normal_iteratorINSA_10device_ptrIjEEEEPS6_SG_NS0_5tupleIJSF_NSA_16discard_iteratorINSA_11use_defaultEEEEEENSH_IJSG_SG_EEES6_PlJ7is_evenIjEEEE10hipError_tPvRmT3_T4_T5_T6_T7_T9_mT8_P12ihipStream_tbDpT10_ENKUlT_T0_E_clISt17integral_constantIbLb0EES19_EEDaS14_S15_EUlS14_E_NS1_11comp_targetILNS1_3genE3ELNS1_11target_archE908ELNS1_3gpuE7ELNS1_3repE0EEENS1_30default_config_static_selectorELNS0_4arch9wavefront6targetE1EEEvT1_,comdat
	.protected	_ZN7rocprim17ROCPRIM_400000_NS6detail17trampoline_kernelINS0_14default_configENS1_25partition_config_selectorILNS1_17partition_subalgoE0EjNS0_10empty_typeEbEEZZNS1_14partition_implILS5_0ELb0ES3_jN6thrust23THRUST_200600_302600_NS6detail15normal_iteratorINSA_10device_ptrIjEEEEPS6_SG_NS0_5tupleIJSF_NSA_16discard_iteratorINSA_11use_defaultEEEEEENSH_IJSG_SG_EEES6_PlJ7is_evenIjEEEE10hipError_tPvRmT3_T4_T5_T6_T7_T9_mT8_P12ihipStream_tbDpT10_ENKUlT_T0_E_clISt17integral_constantIbLb0EES19_EEDaS14_S15_EUlS14_E_NS1_11comp_targetILNS1_3genE3ELNS1_11target_archE908ELNS1_3gpuE7ELNS1_3repE0EEENS1_30default_config_static_selectorELNS0_4arch9wavefront6targetE1EEEvT1_ ; -- Begin function _ZN7rocprim17ROCPRIM_400000_NS6detail17trampoline_kernelINS0_14default_configENS1_25partition_config_selectorILNS1_17partition_subalgoE0EjNS0_10empty_typeEbEEZZNS1_14partition_implILS5_0ELb0ES3_jN6thrust23THRUST_200600_302600_NS6detail15normal_iteratorINSA_10device_ptrIjEEEEPS6_SG_NS0_5tupleIJSF_NSA_16discard_iteratorINSA_11use_defaultEEEEEENSH_IJSG_SG_EEES6_PlJ7is_evenIjEEEE10hipError_tPvRmT3_T4_T5_T6_T7_T9_mT8_P12ihipStream_tbDpT10_ENKUlT_T0_E_clISt17integral_constantIbLb0EES19_EEDaS14_S15_EUlS14_E_NS1_11comp_targetILNS1_3genE3ELNS1_11target_archE908ELNS1_3gpuE7ELNS1_3repE0EEENS1_30default_config_static_selectorELNS0_4arch9wavefront6targetE1EEEvT1_
	.globl	_ZN7rocprim17ROCPRIM_400000_NS6detail17trampoline_kernelINS0_14default_configENS1_25partition_config_selectorILNS1_17partition_subalgoE0EjNS0_10empty_typeEbEEZZNS1_14partition_implILS5_0ELb0ES3_jN6thrust23THRUST_200600_302600_NS6detail15normal_iteratorINSA_10device_ptrIjEEEEPS6_SG_NS0_5tupleIJSF_NSA_16discard_iteratorINSA_11use_defaultEEEEEENSH_IJSG_SG_EEES6_PlJ7is_evenIjEEEE10hipError_tPvRmT3_T4_T5_T6_T7_T9_mT8_P12ihipStream_tbDpT10_ENKUlT_T0_E_clISt17integral_constantIbLb0EES19_EEDaS14_S15_EUlS14_E_NS1_11comp_targetILNS1_3genE3ELNS1_11target_archE908ELNS1_3gpuE7ELNS1_3repE0EEENS1_30default_config_static_selectorELNS0_4arch9wavefront6targetE1EEEvT1_
	.p2align	8
	.type	_ZN7rocprim17ROCPRIM_400000_NS6detail17trampoline_kernelINS0_14default_configENS1_25partition_config_selectorILNS1_17partition_subalgoE0EjNS0_10empty_typeEbEEZZNS1_14partition_implILS5_0ELb0ES3_jN6thrust23THRUST_200600_302600_NS6detail15normal_iteratorINSA_10device_ptrIjEEEEPS6_SG_NS0_5tupleIJSF_NSA_16discard_iteratorINSA_11use_defaultEEEEEENSH_IJSG_SG_EEES6_PlJ7is_evenIjEEEE10hipError_tPvRmT3_T4_T5_T6_T7_T9_mT8_P12ihipStream_tbDpT10_ENKUlT_T0_E_clISt17integral_constantIbLb0EES19_EEDaS14_S15_EUlS14_E_NS1_11comp_targetILNS1_3genE3ELNS1_11target_archE908ELNS1_3gpuE7ELNS1_3repE0EEENS1_30default_config_static_selectorELNS0_4arch9wavefront6targetE1EEEvT1_,@function
_ZN7rocprim17ROCPRIM_400000_NS6detail17trampoline_kernelINS0_14default_configENS1_25partition_config_selectorILNS1_17partition_subalgoE0EjNS0_10empty_typeEbEEZZNS1_14partition_implILS5_0ELb0ES3_jN6thrust23THRUST_200600_302600_NS6detail15normal_iteratorINSA_10device_ptrIjEEEEPS6_SG_NS0_5tupleIJSF_NSA_16discard_iteratorINSA_11use_defaultEEEEEENSH_IJSG_SG_EEES6_PlJ7is_evenIjEEEE10hipError_tPvRmT3_T4_T5_T6_T7_T9_mT8_P12ihipStream_tbDpT10_ENKUlT_T0_E_clISt17integral_constantIbLb0EES19_EEDaS14_S15_EUlS14_E_NS1_11comp_targetILNS1_3genE3ELNS1_11target_archE908ELNS1_3gpuE7ELNS1_3repE0EEENS1_30default_config_static_selectorELNS0_4arch9wavefront6targetE1EEEvT1_: ; @_ZN7rocprim17ROCPRIM_400000_NS6detail17trampoline_kernelINS0_14default_configENS1_25partition_config_selectorILNS1_17partition_subalgoE0EjNS0_10empty_typeEbEEZZNS1_14partition_implILS5_0ELb0ES3_jN6thrust23THRUST_200600_302600_NS6detail15normal_iteratorINSA_10device_ptrIjEEEEPS6_SG_NS0_5tupleIJSF_NSA_16discard_iteratorINSA_11use_defaultEEEEEENSH_IJSG_SG_EEES6_PlJ7is_evenIjEEEE10hipError_tPvRmT3_T4_T5_T6_T7_T9_mT8_P12ihipStream_tbDpT10_ENKUlT_T0_E_clISt17integral_constantIbLb0EES19_EEDaS14_S15_EUlS14_E_NS1_11comp_targetILNS1_3genE3ELNS1_11target_archE908ELNS1_3gpuE7ELNS1_3repE0EEENS1_30default_config_static_selectorELNS0_4arch9wavefront6targetE1EEEvT1_
; %bb.0:
	.section	.rodata,"a",@progbits
	.p2align	6, 0x0
	.amdhsa_kernel _ZN7rocprim17ROCPRIM_400000_NS6detail17trampoline_kernelINS0_14default_configENS1_25partition_config_selectorILNS1_17partition_subalgoE0EjNS0_10empty_typeEbEEZZNS1_14partition_implILS5_0ELb0ES3_jN6thrust23THRUST_200600_302600_NS6detail15normal_iteratorINSA_10device_ptrIjEEEEPS6_SG_NS0_5tupleIJSF_NSA_16discard_iteratorINSA_11use_defaultEEEEEENSH_IJSG_SG_EEES6_PlJ7is_evenIjEEEE10hipError_tPvRmT3_T4_T5_T6_T7_T9_mT8_P12ihipStream_tbDpT10_ENKUlT_T0_E_clISt17integral_constantIbLb0EES19_EEDaS14_S15_EUlS14_E_NS1_11comp_targetILNS1_3genE3ELNS1_11target_archE908ELNS1_3gpuE7ELNS1_3repE0EEENS1_30default_config_static_selectorELNS0_4arch9wavefront6targetE1EEEvT1_
		.amdhsa_group_segment_fixed_size 0
		.amdhsa_private_segment_fixed_size 0
		.amdhsa_kernarg_size 128
		.amdhsa_user_sgpr_count 6
		.amdhsa_user_sgpr_private_segment_buffer 1
		.amdhsa_user_sgpr_dispatch_ptr 0
		.amdhsa_user_sgpr_queue_ptr 0
		.amdhsa_user_sgpr_kernarg_segment_ptr 1
		.amdhsa_user_sgpr_dispatch_id 0
		.amdhsa_user_sgpr_flat_scratch_init 0
		.amdhsa_user_sgpr_kernarg_preload_length 0
		.amdhsa_user_sgpr_kernarg_preload_offset 0
		.amdhsa_user_sgpr_private_segment_size 0
		.amdhsa_uses_dynamic_stack 0
		.amdhsa_system_sgpr_private_segment_wavefront_offset 0
		.amdhsa_system_sgpr_workgroup_id_x 1
		.amdhsa_system_sgpr_workgroup_id_y 0
		.amdhsa_system_sgpr_workgroup_id_z 0
		.amdhsa_system_sgpr_workgroup_info 0
		.amdhsa_system_vgpr_workitem_id 0
		.amdhsa_next_free_vgpr 1
		.amdhsa_next_free_sgpr 0
		.amdhsa_accum_offset 4
		.amdhsa_reserve_vcc 0
		.amdhsa_reserve_flat_scratch 0
		.amdhsa_float_round_mode_32 0
		.amdhsa_float_round_mode_16_64 0
		.amdhsa_float_denorm_mode_32 3
		.amdhsa_float_denorm_mode_16_64 3
		.amdhsa_dx10_clamp 1
		.amdhsa_ieee_mode 1
		.amdhsa_fp16_overflow 0
		.amdhsa_tg_split 0
		.amdhsa_exception_fp_ieee_invalid_op 0
		.amdhsa_exception_fp_denorm_src 0
		.amdhsa_exception_fp_ieee_div_zero 0
		.amdhsa_exception_fp_ieee_overflow 0
		.amdhsa_exception_fp_ieee_underflow 0
		.amdhsa_exception_fp_ieee_inexact 0
		.amdhsa_exception_int_div_zero 0
	.end_amdhsa_kernel
	.section	.text._ZN7rocprim17ROCPRIM_400000_NS6detail17trampoline_kernelINS0_14default_configENS1_25partition_config_selectorILNS1_17partition_subalgoE0EjNS0_10empty_typeEbEEZZNS1_14partition_implILS5_0ELb0ES3_jN6thrust23THRUST_200600_302600_NS6detail15normal_iteratorINSA_10device_ptrIjEEEEPS6_SG_NS0_5tupleIJSF_NSA_16discard_iteratorINSA_11use_defaultEEEEEENSH_IJSG_SG_EEES6_PlJ7is_evenIjEEEE10hipError_tPvRmT3_T4_T5_T6_T7_T9_mT8_P12ihipStream_tbDpT10_ENKUlT_T0_E_clISt17integral_constantIbLb0EES19_EEDaS14_S15_EUlS14_E_NS1_11comp_targetILNS1_3genE3ELNS1_11target_archE908ELNS1_3gpuE7ELNS1_3repE0EEENS1_30default_config_static_selectorELNS0_4arch9wavefront6targetE1EEEvT1_,"axG",@progbits,_ZN7rocprim17ROCPRIM_400000_NS6detail17trampoline_kernelINS0_14default_configENS1_25partition_config_selectorILNS1_17partition_subalgoE0EjNS0_10empty_typeEbEEZZNS1_14partition_implILS5_0ELb0ES3_jN6thrust23THRUST_200600_302600_NS6detail15normal_iteratorINSA_10device_ptrIjEEEEPS6_SG_NS0_5tupleIJSF_NSA_16discard_iteratorINSA_11use_defaultEEEEEENSH_IJSG_SG_EEES6_PlJ7is_evenIjEEEE10hipError_tPvRmT3_T4_T5_T6_T7_T9_mT8_P12ihipStream_tbDpT10_ENKUlT_T0_E_clISt17integral_constantIbLb0EES19_EEDaS14_S15_EUlS14_E_NS1_11comp_targetILNS1_3genE3ELNS1_11target_archE908ELNS1_3gpuE7ELNS1_3repE0EEENS1_30default_config_static_selectorELNS0_4arch9wavefront6targetE1EEEvT1_,comdat
.Lfunc_end2430:
	.size	_ZN7rocprim17ROCPRIM_400000_NS6detail17trampoline_kernelINS0_14default_configENS1_25partition_config_selectorILNS1_17partition_subalgoE0EjNS0_10empty_typeEbEEZZNS1_14partition_implILS5_0ELb0ES3_jN6thrust23THRUST_200600_302600_NS6detail15normal_iteratorINSA_10device_ptrIjEEEEPS6_SG_NS0_5tupleIJSF_NSA_16discard_iteratorINSA_11use_defaultEEEEEENSH_IJSG_SG_EEES6_PlJ7is_evenIjEEEE10hipError_tPvRmT3_T4_T5_T6_T7_T9_mT8_P12ihipStream_tbDpT10_ENKUlT_T0_E_clISt17integral_constantIbLb0EES19_EEDaS14_S15_EUlS14_E_NS1_11comp_targetILNS1_3genE3ELNS1_11target_archE908ELNS1_3gpuE7ELNS1_3repE0EEENS1_30default_config_static_selectorELNS0_4arch9wavefront6targetE1EEEvT1_, .Lfunc_end2430-_ZN7rocprim17ROCPRIM_400000_NS6detail17trampoline_kernelINS0_14default_configENS1_25partition_config_selectorILNS1_17partition_subalgoE0EjNS0_10empty_typeEbEEZZNS1_14partition_implILS5_0ELb0ES3_jN6thrust23THRUST_200600_302600_NS6detail15normal_iteratorINSA_10device_ptrIjEEEEPS6_SG_NS0_5tupleIJSF_NSA_16discard_iteratorINSA_11use_defaultEEEEEENSH_IJSG_SG_EEES6_PlJ7is_evenIjEEEE10hipError_tPvRmT3_T4_T5_T6_T7_T9_mT8_P12ihipStream_tbDpT10_ENKUlT_T0_E_clISt17integral_constantIbLb0EES19_EEDaS14_S15_EUlS14_E_NS1_11comp_targetILNS1_3genE3ELNS1_11target_archE908ELNS1_3gpuE7ELNS1_3repE0EEENS1_30default_config_static_selectorELNS0_4arch9wavefront6targetE1EEEvT1_
                                        ; -- End function
	.section	.AMDGPU.csdata,"",@progbits
; Kernel info:
; codeLenInByte = 0
; NumSgprs: 4
; NumVgprs: 0
; NumAgprs: 0
; TotalNumVgprs: 0
; ScratchSize: 0
; MemoryBound: 0
; FloatMode: 240
; IeeeMode: 1
; LDSByteSize: 0 bytes/workgroup (compile time only)
; SGPRBlocks: 0
; VGPRBlocks: 0
; NumSGPRsForWavesPerEU: 4
; NumVGPRsForWavesPerEU: 1
; AccumOffset: 4
; Occupancy: 8
; WaveLimiterHint : 0
; COMPUTE_PGM_RSRC2:SCRATCH_EN: 0
; COMPUTE_PGM_RSRC2:USER_SGPR: 6
; COMPUTE_PGM_RSRC2:TRAP_HANDLER: 0
; COMPUTE_PGM_RSRC2:TGID_X_EN: 1
; COMPUTE_PGM_RSRC2:TGID_Y_EN: 0
; COMPUTE_PGM_RSRC2:TGID_Z_EN: 0
; COMPUTE_PGM_RSRC2:TIDIG_COMP_CNT: 0
; COMPUTE_PGM_RSRC3_GFX90A:ACCUM_OFFSET: 0
; COMPUTE_PGM_RSRC3_GFX90A:TG_SPLIT: 0
	.section	.text._ZN7rocprim17ROCPRIM_400000_NS6detail17trampoline_kernelINS0_14default_configENS1_25partition_config_selectorILNS1_17partition_subalgoE0EjNS0_10empty_typeEbEEZZNS1_14partition_implILS5_0ELb0ES3_jN6thrust23THRUST_200600_302600_NS6detail15normal_iteratorINSA_10device_ptrIjEEEEPS6_SG_NS0_5tupleIJSF_NSA_16discard_iteratorINSA_11use_defaultEEEEEENSH_IJSG_SG_EEES6_PlJ7is_evenIjEEEE10hipError_tPvRmT3_T4_T5_T6_T7_T9_mT8_P12ihipStream_tbDpT10_ENKUlT_T0_E_clISt17integral_constantIbLb0EES19_EEDaS14_S15_EUlS14_E_NS1_11comp_targetILNS1_3genE2ELNS1_11target_archE906ELNS1_3gpuE6ELNS1_3repE0EEENS1_30default_config_static_selectorELNS0_4arch9wavefront6targetE1EEEvT1_,"axG",@progbits,_ZN7rocprim17ROCPRIM_400000_NS6detail17trampoline_kernelINS0_14default_configENS1_25partition_config_selectorILNS1_17partition_subalgoE0EjNS0_10empty_typeEbEEZZNS1_14partition_implILS5_0ELb0ES3_jN6thrust23THRUST_200600_302600_NS6detail15normal_iteratorINSA_10device_ptrIjEEEEPS6_SG_NS0_5tupleIJSF_NSA_16discard_iteratorINSA_11use_defaultEEEEEENSH_IJSG_SG_EEES6_PlJ7is_evenIjEEEE10hipError_tPvRmT3_T4_T5_T6_T7_T9_mT8_P12ihipStream_tbDpT10_ENKUlT_T0_E_clISt17integral_constantIbLb0EES19_EEDaS14_S15_EUlS14_E_NS1_11comp_targetILNS1_3genE2ELNS1_11target_archE906ELNS1_3gpuE6ELNS1_3repE0EEENS1_30default_config_static_selectorELNS0_4arch9wavefront6targetE1EEEvT1_,comdat
	.protected	_ZN7rocprim17ROCPRIM_400000_NS6detail17trampoline_kernelINS0_14default_configENS1_25partition_config_selectorILNS1_17partition_subalgoE0EjNS0_10empty_typeEbEEZZNS1_14partition_implILS5_0ELb0ES3_jN6thrust23THRUST_200600_302600_NS6detail15normal_iteratorINSA_10device_ptrIjEEEEPS6_SG_NS0_5tupleIJSF_NSA_16discard_iteratorINSA_11use_defaultEEEEEENSH_IJSG_SG_EEES6_PlJ7is_evenIjEEEE10hipError_tPvRmT3_T4_T5_T6_T7_T9_mT8_P12ihipStream_tbDpT10_ENKUlT_T0_E_clISt17integral_constantIbLb0EES19_EEDaS14_S15_EUlS14_E_NS1_11comp_targetILNS1_3genE2ELNS1_11target_archE906ELNS1_3gpuE6ELNS1_3repE0EEENS1_30default_config_static_selectorELNS0_4arch9wavefront6targetE1EEEvT1_ ; -- Begin function _ZN7rocprim17ROCPRIM_400000_NS6detail17trampoline_kernelINS0_14default_configENS1_25partition_config_selectorILNS1_17partition_subalgoE0EjNS0_10empty_typeEbEEZZNS1_14partition_implILS5_0ELb0ES3_jN6thrust23THRUST_200600_302600_NS6detail15normal_iteratorINSA_10device_ptrIjEEEEPS6_SG_NS0_5tupleIJSF_NSA_16discard_iteratorINSA_11use_defaultEEEEEENSH_IJSG_SG_EEES6_PlJ7is_evenIjEEEE10hipError_tPvRmT3_T4_T5_T6_T7_T9_mT8_P12ihipStream_tbDpT10_ENKUlT_T0_E_clISt17integral_constantIbLb0EES19_EEDaS14_S15_EUlS14_E_NS1_11comp_targetILNS1_3genE2ELNS1_11target_archE906ELNS1_3gpuE6ELNS1_3repE0EEENS1_30default_config_static_selectorELNS0_4arch9wavefront6targetE1EEEvT1_
	.globl	_ZN7rocprim17ROCPRIM_400000_NS6detail17trampoline_kernelINS0_14default_configENS1_25partition_config_selectorILNS1_17partition_subalgoE0EjNS0_10empty_typeEbEEZZNS1_14partition_implILS5_0ELb0ES3_jN6thrust23THRUST_200600_302600_NS6detail15normal_iteratorINSA_10device_ptrIjEEEEPS6_SG_NS0_5tupleIJSF_NSA_16discard_iteratorINSA_11use_defaultEEEEEENSH_IJSG_SG_EEES6_PlJ7is_evenIjEEEE10hipError_tPvRmT3_T4_T5_T6_T7_T9_mT8_P12ihipStream_tbDpT10_ENKUlT_T0_E_clISt17integral_constantIbLb0EES19_EEDaS14_S15_EUlS14_E_NS1_11comp_targetILNS1_3genE2ELNS1_11target_archE906ELNS1_3gpuE6ELNS1_3repE0EEENS1_30default_config_static_selectorELNS0_4arch9wavefront6targetE1EEEvT1_
	.p2align	8
	.type	_ZN7rocprim17ROCPRIM_400000_NS6detail17trampoline_kernelINS0_14default_configENS1_25partition_config_selectorILNS1_17partition_subalgoE0EjNS0_10empty_typeEbEEZZNS1_14partition_implILS5_0ELb0ES3_jN6thrust23THRUST_200600_302600_NS6detail15normal_iteratorINSA_10device_ptrIjEEEEPS6_SG_NS0_5tupleIJSF_NSA_16discard_iteratorINSA_11use_defaultEEEEEENSH_IJSG_SG_EEES6_PlJ7is_evenIjEEEE10hipError_tPvRmT3_T4_T5_T6_T7_T9_mT8_P12ihipStream_tbDpT10_ENKUlT_T0_E_clISt17integral_constantIbLb0EES19_EEDaS14_S15_EUlS14_E_NS1_11comp_targetILNS1_3genE2ELNS1_11target_archE906ELNS1_3gpuE6ELNS1_3repE0EEENS1_30default_config_static_selectorELNS0_4arch9wavefront6targetE1EEEvT1_,@function
_ZN7rocprim17ROCPRIM_400000_NS6detail17trampoline_kernelINS0_14default_configENS1_25partition_config_selectorILNS1_17partition_subalgoE0EjNS0_10empty_typeEbEEZZNS1_14partition_implILS5_0ELb0ES3_jN6thrust23THRUST_200600_302600_NS6detail15normal_iteratorINSA_10device_ptrIjEEEEPS6_SG_NS0_5tupleIJSF_NSA_16discard_iteratorINSA_11use_defaultEEEEEENSH_IJSG_SG_EEES6_PlJ7is_evenIjEEEE10hipError_tPvRmT3_T4_T5_T6_T7_T9_mT8_P12ihipStream_tbDpT10_ENKUlT_T0_E_clISt17integral_constantIbLb0EES19_EEDaS14_S15_EUlS14_E_NS1_11comp_targetILNS1_3genE2ELNS1_11target_archE906ELNS1_3gpuE6ELNS1_3repE0EEENS1_30default_config_static_selectorELNS0_4arch9wavefront6targetE1EEEvT1_: ; @_ZN7rocprim17ROCPRIM_400000_NS6detail17trampoline_kernelINS0_14default_configENS1_25partition_config_selectorILNS1_17partition_subalgoE0EjNS0_10empty_typeEbEEZZNS1_14partition_implILS5_0ELb0ES3_jN6thrust23THRUST_200600_302600_NS6detail15normal_iteratorINSA_10device_ptrIjEEEEPS6_SG_NS0_5tupleIJSF_NSA_16discard_iteratorINSA_11use_defaultEEEEEENSH_IJSG_SG_EEES6_PlJ7is_evenIjEEEE10hipError_tPvRmT3_T4_T5_T6_T7_T9_mT8_P12ihipStream_tbDpT10_ENKUlT_T0_E_clISt17integral_constantIbLb0EES19_EEDaS14_S15_EUlS14_E_NS1_11comp_targetILNS1_3genE2ELNS1_11target_archE906ELNS1_3gpuE6ELNS1_3repE0EEENS1_30default_config_static_selectorELNS0_4arch9wavefront6targetE1EEEvT1_
; %bb.0:
	.section	.rodata,"a",@progbits
	.p2align	6, 0x0
	.amdhsa_kernel _ZN7rocprim17ROCPRIM_400000_NS6detail17trampoline_kernelINS0_14default_configENS1_25partition_config_selectorILNS1_17partition_subalgoE0EjNS0_10empty_typeEbEEZZNS1_14partition_implILS5_0ELb0ES3_jN6thrust23THRUST_200600_302600_NS6detail15normal_iteratorINSA_10device_ptrIjEEEEPS6_SG_NS0_5tupleIJSF_NSA_16discard_iteratorINSA_11use_defaultEEEEEENSH_IJSG_SG_EEES6_PlJ7is_evenIjEEEE10hipError_tPvRmT3_T4_T5_T6_T7_T9_mT8_P12ihipStream_tbDpT10_ENKUlT_T0_E_clISt17integral_constantIbLb0EES19_EEDaS14_S15_EUlS14_E_NS1_11comp_targetILNS1_3genE2ELNS1_11target_archE906ELNS1_3gpuE6ELNS1_3repE0EEENS1_30default_config_static_selectorELNS0_4arch9wavefront6targetE1EEEvT1_
		.amdhsa_group_segment_fixed_size 0
		.amdhsa_private_segment_fixed_size 0
		.amdhsa_kernarg_size 128
		.amdhsa_user_sgpr_count 6
		.amdhsa_user_sgpr_private_segment_buffer 1
		.amdhsa_user_sgpr_dispatch_ptr 0
		.amdhsa_user_sgpr_queue_ptr 0
		.amdhsa_user_sgpr_kernarg_segment_ptr 1
		.amdhsa_user_sgpr_dispatch_id 0
		.amdhsa_user_sgpr_flat_scratch_init 0
		.amdhsa_user_sgpr_kernarg_preload_length 0
		.amdhsa_user_sgpr_kernarg_preload_offset 0
		.amdhsa_user_sgpr_private_segment_size 0
		.amdhsa_uses_dynamic_stack 0
		.amdhsa_system_sgpr_private_segment_wavefront_offset 0
		.amdhsa_system_sgpr_workgroup_id_x 1
		.amdhsa_system_sgpr_workgroup_id_y 0
		.amdhsa_system_sgpr_workgroup_id_z 0
		.amdhsa_system_sgpr_workgroup_info 0
		.amdhsa_system_vgpr_workitem_id 0
		.amdhsa_next_free_vgpr 1
		.amdhsa_next_free_sgpr 0
		.amdhsa_accum_offset 4
		.amdhsa_reserve_vcc 0
		.amdhsa_reserve_flat_scratch 0
		.amdhsa_float_round_mode_32 0
		.amdhsa_float_round_mode_16_64 0
		.amdhsa_float_denorm_mode_32 3
		.amdhsa_float_denorm_mode_16_64 3
		.amdhsa_dx10_clamp 1
		.amdhsa_ieee_mode 1
		.amdhsa_fp16_overflow 0
		.amdhsa_tg_split 0
		.amdhsa_exception_fp_ieee_invalid_op 0
		.amdhsa_exception_fp_denorm_src 0
		.amdhsa_exception_fp_ieee_div_zero 0
		.amdhsa_exception_fp_ieee_overflow 0
		.amdhsa_exception_fp_ieee_underflow 0
		.amdhsa_exception_fp_ieee_inexact 0
		.amdhsa_exception_int_div_zero 0
	.end_amdhsa_kernel
	.section	.text._ZN7rocprim17ROCPRIM_400000_NS6detail17trampoline_kernelINS0_14default_configENS1_25partition_config_selectorILNS1_17partition_subalgoE0EjNS0_10empty_typeEbEEZZNS1_14partition_implILS5_0ELb0ES3_jN6thrust23THRUST_200600_302600_NS6detail15normal_iteratorINSA_10device_ptrIjEEEEPS6_SG_NS0_5tupleIJSF_NSA_16discard_iteratorINSA_11use_defaultEEEEEENSH_IJSG_SG_EEES6_PlJ7is_evenIjEEEE10hipError_tPvRmT3_T4_T5_T6_T7_T9_mT8_P12ihipStream_tbDpT10_ENKUlT_T0_E_clISt17integral_constantIbLb0EES19_EEDaS14_S15_EUlS14_E_NS1_11comp_targetILNS1_3genE2ELNS1_11target_archE906ELNS1_3gpuE6ELNS1_3repE0EEENS1_30default_config_static_selectorELNS0_4arch9wavefront6targetE1EEEvT1_,"axG",@progbits,_ZN7rocprim17ROCPRIM_400000_NS6detail17trampoline_kernelINS0_14default_configENS1_25partition_config_selectorILNS1_17partition_subalgoE0EjNS0_10empty_typeEbEEZZNS1_14partition_implILS5_0ELb0ES3_jN6thrust23THRUST_200600_302600_NS6detail15normal_iteratorINSA_10device_ptrIjEEEEPS6_SG_NS0_5tupleIJSF_NSA_16discard_iteratorINSA_11use_defaultEEEEEENSH_IJSG_SG_EEES6_PlJ7is_evenIjEEEE10hipError_tPvRmT3_T4_T5_T6_T7_T9_mT8_P12ihipStream_tbDpT10_ENKUlT_T0_E_clISt17integral_constantIbLb0EES19_EEDaS14_S15_EUlS14_E_NS1_11comp_targetILNS1_3genE2ELNS1_11target_archE906ELNS1_3gpuE6ELNS1_3repE0EEENS1_30default_config_static_selectorELNS0_4arch9wavefront6targetE1EEEvT1_,comdat
.Lfunc_end2431:
	.size	_ZN7rocprim17ROCPRIM_400000_NS6detail17trampoline_kernelINS0_14default_configENS1_25partition_config_selectorILNS1_17partition_subalgoE0EjNS0_10empty_typeEbEEZZNS1_14partition_implILS5_0ELb0ES3_jN6thrust23THRUST_200600_302600_NS6detail15normal_iteratorINSA_10device_ptrIjEEEEPS6_SG_NS0_5tupleIJSF_NSA_16discard_iteratorINSA_11use_defaultEEEEEENSH_IJSG_SG_EEES6_PlJ7is_evenIjEEEE10hipError_tPvRmT3_T4_T5_T6_T7_T9_mT8_P12ihipStream_tbDpT10_ENKUlT_T0_E_clISt17integral_constantIbLb0EES19_EEDaS14_S15_EUlS14_E_NS1_11comp_targetILNS1_3genE2ELNS1_11target_archE906ELNS1_3gpuE6ELNS1_3repE0EEENS1_30default_config_static_selectorELNS0_4arch9wavefront6targetE1EEEvT1_, .Lfunc_end2431-_ZN7rocprim17ROCPRIM_400000_NS6detail17trampoline_kernelINS0_14default_configENS1_25partition_config_selectorILNS1_17partition_subalgoE0EjNS0_10empty_typeEbEEZZNS1_14partition_implILS5_0ELb0ES3_jN6thrust23THRUST_200600_302600_NS6detail15normal_iteratorINSA_10device_ptrIjEEEEPS6_SG_NS0_5tupleIJSF_NSA_16discard_iteratorINSA_11use_defaultEEEEEENSH_IJSG_SG_EEES6_PlJ7is_evenIjEEEE10hipError_tPvRmT3_T4_T5_T6_T7_T9_mT8_P12ihipStream_tbDpT10_ENKUlT_T0_E_clISt17integral_constantIbLb0EES19_EEDaS14_S15_EUlS14_E_NS1_11comp_targetILNS1_3genE2ELNS1_11target_archE906ELNS1_3gpuE6ELNS1_3repE0EEENS1_30default_config_static_selectorELNS0_4arch9wavefront6targetE1EEEvT1_
                                        ; -- End function
	.section	.AMDGPU.csdata,"",@progbits
; Kernel info:
; codeLenInByte = 0
; NumSgprs: 4
; NumVgprs: 0
; NumAgprs: 0
; TotalNumVgprs: 0
; ScratchSize: 0
; MemoryBound: 0
; FloatMode: 240
; IeeeMode: 1
; LDSByteSize: 0 bytes/workgroup (compile time only)
; SGPRBlocks: 0
; VGPRBlocks: 0
; NumSGPRsForWavesPerEU: 4
; NumVGPRsForWavesPerEU: 1
; AccumOffset: 4
; Occupancy: 8
; WaveLimiterHint : 0
; COMPUTE_PGM_RSRC2:SCRATCH_EN: 0
; COMPUTE_PGM_RSRC2:USER_SGPR: 6
; COMPUTE_PGM_RSRC2:TRAP_HANDLER: 0
; COMPUTE_PGM_RSRC2:TGID_X_EN: 1
; COMPUTE_PGM_RSRC2:TGID_Y_EN: 0
; COMPUTE_PGM_RSRC2:TGID_Z_EN: 0
; COMPUTE_PGM_RSRC2:TIDIG_COMP_CNT: 0
; COMPUTE_PGM_RSRC3_GFX90A:ACCUM_OFFSET: 0
; COMPUTE_PGM_RSRC3_GFX90A:TG_SPLIT: 0
	.section	.text._ZN7rocprim17ROCPRIM_400000_NS6detail17trampoline_kernelINS0_14default_configENS1_25partition_config_selectorILNS1_17partition_subalgoE0EjNS0_10empty_typeEbEEZZNS1_14partition_implILS5_0ELb0ES3_jN6thrust23THRUST_200600_302600_NS6detail15normal_iteratorINSA_10device_ptrIjEEEEPS6_SG_NS0_5tupleIJSF_NSA_16discard_iteratorINSA_11use_defaultEEEEEENSH_IJSG_SG_EEES6_PlJ7is_evenIjEEEE10hipError_tPvRmT3_T4_T5_T6_T7_T9_mT8_P12ihipStream_tbDpT10_ENKUlT_T0_E_clISt17integral_constantIbLb0EES19_EEDaS14_S15_EUlS14_E_NS1_11comp_targetILNS1_3genE10ELNS1_11target_archE1200ELNS1_3gpuE4ELNS1_3repE0EEENS1_30default_config_static_selectorELNS0_4arch9wavefront6targetE1EEEvT1_,"axG",@progbits,_ZN7rocprim17ROCPRIM_400000_NS6detail17trampoline_kernelINS0_14default_configENS1_25partition_config_selectorILNS1_17partition_subalgoE0EjNS0_10empty_typeEbEEZZNS1_14partition_implILS5_0ELb0ES3_jN6thrust23THRUST_200600_302600_NS6detail15normal_iteratorINSA_10device_ptrIjEEEEPS6_SG_NS0_5tupleIJSF_NSA_16discard_iteratorINSA_11use_defaultEEEEEENSH_IJSG_SG_EEES6_PlJ7is_evenIjEEEE10hipError_tPvRmT3_T4_T5_T6_T7_T9_mT8_P12ihipStream_tbDpT10_ENKUlT_T0_E_clISt17integral_constantIbLb0EES19_EEDaS14_S15_EUlS14_E_NS1_11comp_targetILNS1_3genE10ELNS1_11target_archE1200ELNS1_3gpuE4ELNS1_3repE0EEENS1_30default_config_static_selectorELNS0_4arch9wavefront6targetE1EEEvT1_,comdat
	.protected	_ZN7rocprim17ROCPRIM_400000_NS6detail17trampoline_kernelINS0_14default_configENS1_25partition_config_selectorILNS1_17partition_subalgoE0EjNS0_10empty_typeEbEEZZNS1_14partition_implILS5_0ELb0ES3_jN6thrust23THRUST_200600_302600_NS6detail15normal_iteratorINSA_10device_ptrIjEEEEPS6_SG_NS0_5tupleIJSF_NSA_16discard_iteratorINSA_11use_defaultEEEEEENSH_IJSG_SG_EEES6_PlJ7is_evenIjEEEE10hipError_tPvRmT3_T4_T5_T6_T7_T9_mT8_P12ihipStream_tbDpT10_ENKUlT_T0_E_clISt17integral_constantIbLb0EES19_EEDaS14_S15_EUlS14_E_NS1_11comp_targetILNS1_3genE10ELNS1_11target_archE1200ELNS1_3gpuE4ELNS1_3repE0EEENS1_30default_config_static_selectorELNS0_4arch9wavefront6targetE1EEEvT1_ ; -- Begin function _ZN7rocprim17ROCPRIM_400000_NS6detail17trampoline_kernelINS0_14default_configENS1_25partition_config_selectorILNS1_17partition_subalgoE0EjNS0_10empty_typeEbEEZZNS1_14partition_implILS5_0ELb0ES3_jN6thrust23THRUST_200600_302600_NS6detail15normal_iteratorINSA_10device_ptrIjEEEEPS6_SG_NS0_5tupleIJSF_NSA_16discard_iteratorINSA_11use_defaultEEEEEENSH_IJSG_SG_EEES6_PlJ7is_evenIjEEEE10hipError_tPvRmT3_T4_T5_T6_T7_T9_mT8_P12ihipStream_tbDpT10_ENKUlT_T0_E_clISt17integral_constantIbLb0EES19_EEDaS14_S15_EUlS14_E_NS1_11comp_targetILNS1_3genE10ELNS1_11target_archE1200ELNS1_3gpuE4ELNS1_3repE0EEENS1_30default_config_static_selectorELNS0_4arch9wavefront6targetE1EEEvT1_
	.globl	_ZN7rocprim17ROCPRIM_400000_NS6detail17trampoline_kernelINS0_14default_configENS1_25partition_config_selectorILNS1_17partition_subalgoE0EjNS0_10empty_typeEbEEZZNS1_14partition_implILS5_0ELb0ES3_jN6thrust23THRUST_200600_302600_NS6detail15normal_iteratorINSA_10device_ptrIjEEEEPS6_SG_NS0_5tupleIJSF_NSA_16discard_iteratorINSA_11use_defaultEEEEEENSH_IJSG_SG_EEES6_PlJ7is_evenIjEEEE10hipError_tPvRmT3_T4_T5_T6_T7_T9_mT8_P12ihipStream_tbDpT10_ENKUlT_T0_E_clISt17integral_constantIbLb0EES19_EEDaS14_S15_EUlS14_E_NS1_11comp_targetILNS1_3genE10ELNS1_11target_archE1200ELNS1_3gpuE4ELNS1_3repE0EEENS1_30default_config_static_selectorELNS0_4arch9wavefront6targetE1EEEvT1_
	.p2align	8
	.type	_ZN7rocprim17ROCPRIM_400000_NS6detail17trampoline_kernelINS0_14default_configENS1_25partition_config_selectorILNS1_17partition_subalgoE0EjNS0_10empty_typeEbEEZZNS1_14partition_implILS5_0ELb0ES3_jN6thrust23THRUST_200600_302600_NS6detail15normal_iteratorINSA_10device_ptrIjEEEEPS6_SG_NS0_5tupleIJSF_NSA_16discard_iteratorINSA_11use_defaultEEEEEENSH_IJSG_SG_EEES6_PlJ7is_evenIjEEEE10hipError_tPvRmT3_T4_T5_T6_T7_T9_mT8_P12ihipStream_tbDpT10_ENKUlT_T0_E_clISt17integral_constantIbLb0EES19_EEDaS14_S15_EUlS14_E_NS1_11comp_targetILNS1_3genE10ELNS1_11target_archE1200ELNS1_3gpuE4ELNS1_3repE0EEENS1_30default_config_static_selectorELNS0_4arch9wavefront6targetE1EEEvT1_,@function
_ZN7rocprim17ROCPRIM_400000_NS6detail17trampoline_kernelINS0_14default_configENS1_25partition_config_selectorILNS1_17partition_subalgoE0EjNS0_10empty_typeEbEEZZNS1_14partition_implILS5_0ELb0ES3_jN6thrust23THRUST_200600_302600_NS6detail15normal_iteratorINSA_10device_ptrIjEEEEPS6_SG_NS0_5tupleIJSF_NSA_16discard_iteratorINSA_11use_defaultEEEEEENSH_IJSG_SG_EEES6_PlJ7is_evenIjEEEE10hipError_tPvRmT3_T4_T5_T6_T7_T9_mT8_P12ihipStream_tbDpT10_ENKUlT_T0_E_clISt17integral_constantIbLb0EES19_EEDaS14_S15_EUlS14_E_NS1_11comp_targetILNS1_3genE10ELNS1_11target_archE1200ELNS1_3gpuE4ELNS1_3repE0EEENS1_30default_config_static_selectorELNS0_4arch9wavefront6targetE1EEEvT1_: ; @_ZN7rocprim17ROCPRIM_400000_NS6detail17trampoline_kernelINS0_14default_configENS1_25partition_config_selectorILNS1_17partition_subalgoE0EjNS0_10empty_typeEbEEZZNS1_14partition_implILS5_0ELb0ES3_jN6thrust23THRUST_200600_302600_NS6detail15normal_iteratorINSA_10device_ptrIjEEEEPS6_SG_NS0_5tupleIJSF_NSA_16discard_iteratorINSA_11use_defaultEEEEEENSH_IJSG_SG_EEES6_PlJ7is_evenIjEEEE10hipError_tPvRmT3_T4_T5_T6_T7_T9_mT8_P12ihipStream_tbDpT10_ENKUlT_T0_E_clISt17integral_constantIbLb0EES19_EEDaS14_S15_EUlS14_E_NS1_11comp_targetILNS1_3genE10ELNS1_11target_archE1200ELNS1_3gpuE4ELNS1_3repE0EEENS1_30default_config_static_selectorELNS0_4arch9wavefront6targetE1EEEvT1_
; %bb.0:
	.section	.rodata,"a",@progbits
	.p2align	6, 0x0
	.amdhsa_kernel _ZN7rocprim17ROCPRIM_400000_NS6detail17trampoline_kernelINS0_14default_configENS1_25partition_config_selectorILNS1_17partition_subalgoE0EjNS0_10empty_typeEbEEZZNS1_14partition_implILS5_0ELb0ES3_jN6thrust23THRUST_200600_302600_NS6detail15normal_iteratorINSA_10device_ptrIjEEEEPS6_SG_NS0_5tupleIJSF_NSA_16discard_iteratorINSA_11use_defaultEEEEEENSH_IJSG_SG_EEES6_PlJ7is_evenIjEEEE10hipError_tPvRmT3_T4_T5_T6_T7_T9_mT8_P12ihipStream_tbDpT10_ENKUlT_T0_E_clISt17integral_constantIbLb0EES19_EEDaS14_S15_EUlS14_E_NS1_11comp_targetILNS1_3genE10ELNS1_11target_archE1200ELNS1_3gpuE4ELNS1_3repE0EEENS1_30default_config_static_selectorELNS0_4arch9wavefront6targetE1EEEvT1_
		.amdhsa_group_segment_fixed_size 0
		.amdhsa_private_segment_fixed_size 0
		.amdhsa_kernarg_size 128
		.amdhsa_user_sgpr_count 6
		.amdhsa_user_sgpr_private_segment_buffer 1
		.amdhsa_user_sgpr_dispatch_ptr 0
		.amdhsa_user_sgpr_queue_ptr 0
		.amdhsa_user_sgpr_kernarg_segment_ptr 1
		.amdhsa_user_sgpr_dispatch_id 0
		.amdhsa_user_sgpr_flat_scratch_init 0
		.amdhsa_user_sgpr_kernarg_preload_length 0
		.amdhsa_user_sgpr_kernarg_preload_offset 0
		.amdhsa_user_sgpr_private_segment_size 0
		.amdhsa_uses_dynamic_stack 0
		.amdhsa_system_sgpr_private_segment_wavefront_offset 0
		.amdhsa_system_sgpr_workgroup_id_x 1
		.amdhsa_system_sgpr_workgroup_id_y 0
		.amdhsa_system_sgpr_workgroup_id_z 0
		.amdhsa_system_sgpr_workgroup_info 0
		.amdhsa_system_vgpr_workitem_id 0
		.amdhsa_next_free_vgpr 1
		.amdhsa_next_free_sgpr 0
		.amdhsa_accum_offset 4
		.amdhsa_reserve_vcc 0
		.amdhsa_reserve_flat_scratch 0
		.amdhsa_float_round_mode_32 0
		.amdhsa_float_round_mode_16_64 0
		.amdhsa_float_denorm_mode_32 3
		.amdhsa_float_denorm_mode_16_64 3
		.amdhsa_dx10_clamp 1
		.amdhsa_ieee_mode 1
		.amdhsa_fp16_overflow 0
		.amdhsa_tg_split 0
		.amdhsa_exception_fp_ieee_invalid_op 0
		.amdhsa_exception_fp_denorm_src 0
		.amdhsa_exception_fp_ieee_div_zero 0
		.amdhsa_exception_fp_ieee_overflow 0
		.amdhsa_exception_fp_ieee_underflow 0
		.amdhsa_exception_fp_ieee_inexact 0
		.amdhsa_exception_int_div_zero 0
	.end_amdhsa_kernel
	.section	.text._ZN7rocprim17ROCPRIM_400000_NS6detail17trampoline_kernelINS0_14default_configENS1_25partition_config_selectorILNS1_17partition_subalgoE0EjNS0_10empty_typeEbEEZZNS1_14partition_implILS5_0ELb0ES3_jN6thrust23THRUST_200600_302600_NS6detail15normal_iteratorINSA_10device_ptrIjEEEEPS6_SG_NS0_5tupleIJSF_NSA_16discard_iteratorINSA_11use_defaultEEEEEENSH_IJSG_SG_EEES6_PlJ7is_evenIjEEEE10hipError_tPvRmT3_T4_T5_T6_T7_T9_mT8_P12ihipStream_tbDpT10_ENKUlT_T0_E_clISt17integral_constantIbLb0EES19_EEDaS14_S15_EUlS14_E_NS1_11comp_targetILNS1_3genE10ELNS1_11target_archE1200ELNS1_3gpuE4ELNS1_3repE0EEENS1_30default_config_static_selectorELNS0_4arch9wavefront6targetE1EEEvT1_,"axG",@progbits,_ZN7rocprim17ROCPRIM_400000_NS6detail17trampoline_kernelINS0_14default_configENS1_25partition_config_selectorILNS1_17partition_subalgoE0EjNS0_10empty_typeEbEEZZNS1_14partition_implILS5_0ELb0ES3_jN6thrust23THRUST_200600_302600_NS6detail15normal_iteratorINSA_10device_ptrIjEEEEPS6_SG_NS0_5tupleIJSF_NSA_16discard_iteratorINSA_11use_defaultEEEEEENSH_IJSG_SG_EEES6_PlJ7is_evenIjEEEE10hipError_tPvRmT3_T4_T5_T6_T7_T9_mT8_P12ihipStream_tbDpT10_ENKUlT_T0_E_clISt17integral_constantIbLb0EES19_EEDaS14_S15_EUlS14_E_NS1_11comp_targetILNS1_3genE10ELNS1_11target_archE1200ELNS1_3gpuE4ELNS1_3repE0EEENS1_30default_config_static_selectorELNS0_4arch9wavefront6targetE1EEEvT1_,comdat
.Lfunc_end2432:
	.size	_ZN7rocprim17ROCPRIM_400000_NS6detail17trampoline_kernelINS0_14default_configENS1_25partition_config_selectorILNS1_17partition_subalgoE0EjNS0_10empty_typeEbEEZZNS1_14partition_implILS5_0ELb0ES3_jN6thrust23THRUST_200600_302600_NS6detail15normal_iteratorINSA_10device_ptrIjEEEEPS6_SG_NS0_5tupleIJSF_NSA_16discard_iteratorINSA_11use_defaultEEEEEENSH_IJSG_SG_EEES6_PlJ7is_evenIjEEEE10hipError_tPvRmT3_T4_T5_T6_T7_T9_mT8_P12ihipStream_tbDpT10_ENKUlT_T0_E_clISt17integral_constantIbLb0EES19_EEDaS14_S15_EUlS14_E_NS1_11comp_targetILNS1_3genE10ELNS1_11target_archE1200ELNS1_3gpuE4ELNS1_3repE0EEENS1_30default_config_static_selectorELNS0_4arch9wavefront6targetE1EEEvT1_, .Lfunc_end2432-_ZN7rocprim17ROCPRIM_400000_NS6detail17trampoline_kernelINS0_14default_configENS1_25partition_config_selectorILNS1_17partition_subalgoE0EjNS0_10empty_typeEbEEZZNS1_14partition_implILS5_0ELb0ES3_jN6thrust23THRUST_200600_302600_NS6detail15normal_iteratorINSA_10device_ptrIjEEEEPS6_SG_NS0_5tupleIJSF_NSA_16discard_iteratorINSA_11use_defaultEEEEEENSH_IJSG_SG_EEES6_PlJ7is_evenIjEEEE10hipError_tPvRmT3_T4_T5_T6_T7_T9_mT8_P12ihipStream_tbDpT10_ENKUlT_T0_E_clISt17integral_constantIbLb0EES19_EEDaS14_S15_EUlS14_E_NS1_11comp_targetILNS1_3genE10ELNS1_11target_archE1200ELNS1_3gpuE4ELNS1_3repE0EEENS1_30default_config_static_selectorELNS0_4arch9wavefront6targetE1EEEvT1_
                                        ; -- End function
	.section	.AMDGPU.csdata,"",@progbits
; Kernel info:
; codeLenInByte = 0
; NumSgprs: 4
; NumVgprs: 0
; NumAgprs: 0
; TotalNumVgprs: 0
; ScratchSize: 0
; MemoryBound: 0
; FloatMode: 240
; IeeeMode: 1
; LDSByteSize: 0 bytes/workgroup (compile time only)
; SGPRBlocks: 0
; VGPRBlocks: 0
; NumSGPRsForWavesPerEU: 4
; NumVGPRsForWavesPerEU: 1
; AccumOffset: 4
; Occupancy: 8
; WaveLimiterHint : 0
; COMPUTE_PGM_RSRC2:SCRATCH_EN: 0
; COMPUTE_PGM_RSRC2:USER_SGPR: 6
; COMPUTE_PGM_RSRC2:TRAP_HANDLER: 0
; COMPUTE_PGM_RSRC2:TGID_X_EN: 1
; COMPUTE_PGM_RSRC2:TGID_Y_EN: 0
; COMPUTE_PGM_RSRC2:TGID_Z_EN: 0
; COMPUTE_PGM_RSRC2:TIDIG_COMP_CNT: 0
; COMPUTE_PGM_RSRC3_GFX90A:ACCUM_OFFSET: 0
; COMPUTE_PGM_RSRC3_GFX90A:TG_SPLIT: 0
	.section	.text._ZN7rocprim17ROCPRIM_400000_NS6detail17trampoline_kernelINS0_14default_configENS1_25partition_config_selectorILNS1_17partition_subalgoE0EjNS0_10empty_typeEbEEZZNS1_14partition_implILS5_0ELb0ES3_jN6thrust23THRUST_200600_302600_NS6detail15normal_iteratorINSA_10device_ptrIjEEEEPS6_SG_NS0_5tupleIJSF_NSA_16discard_iteratorINSA_11use_defaultEEEEEENSH_IJSG_SG_EEES6_PlJ7is_evenIjEEEE10hipError_tPvRmT3_T4_T5_T6_T7_T9_mT8_P12ihipStream_tbDpT10_ENKUlT_T0_E_clISt17integral_constantIbLb0EES19_EEDaS14_S15_EUlS14_E_NS1_11comp_targetILNS1_3genE9ELNS1_11target_archE1100ELNS1_3gpuE3ELNS1_3repE0EEENS1_30default_config_static_selectorELNS0_4arch9wavefront6targetE1EEEvT1_,"axG",@progbits,_ZN7rocprim17ROCPRIM_400000_NS6detail17trampoline_kernelINS0_14default_configENS1_25partition_config_selectorILNS1_17partition_subalgoE0EjNS0_10empty_typeEbEEZZNS1_14partition_implILS5_0ELb0ES3_jN6thrust23THRUST_200600_302600_NS6detail15normal_iteratorINSA_10device_ptrIjEEEEPS6_SG_NS0_5tupleIJSF_NSA_16discard_iteratorINSA_11use_defaultEEEEEENSH_IJSG_SG_EEES6_PlJ7is_evenIjEEEE10hipError_tPvRmT3_T4_T5_T6_T7_T9_mT8_P12ihipStream_tbDpT10_ENKUlT_T0_E_clISt17integral_constantIbLb0EES19_EEDaS14_S15_EUlS14_E_NS1_11comp_targetILNS1_3genE9ELNS1_11target_archE1100ELNS1_3gpuE3ELNS1_3repE0EEENS1_30default_config_static_selectorELNS0_4arch9wavefront6targetE1EEEvT1_,comdat
	.protected	_ZN7rocprim17ROCPRIM_400000_NS6detail17trampoline_kernelINS0_14default_configENS1_25partition_config_selectorILNS1_17partition_subalgoE0EjNS0_10empty_typeEbEEZZNS1_14partition_implILS5_0ELb0ES3_jN6thrust23THRUST_200600_302600_NS6detail15normal_iteratorINSA_10device_ptrIjEEEEPS6_SG_NS0_5tupleIJSF_NSA_16discard_iteratorINSA_11use_defaultEEEEEENSH_IJSG_SG_EEES6_PlJ7is_evenIjEEEE10hipError_tPvRmT3_T4_T5_T6_T7_T9_mT8_P12ihipStream_tbDpT10_ENKUlT_T0_E_clISt17integral_constantIbLb0EES19_EEDaS14_S15_EUlS14_E_NS1_11comp_targetILNS1_3genE9ELNS1_11target_archE1100ELNS1_3gpuE3ELNS1_3repE0EEENS1_30default_config_static_selectorELNS0_4arch9wavefront6targetE1EEEvT1_ ; -- Begin function _ZN7rocprim17ROCPRIM_400000_NS6detail17trampoline_kernelINS0_14default_configENS1_25partition_config_selectorILNS1_17partition_subalgoE0EjNS0_10empty_typeEbEEZZNS1_14partition_implILS5_0ELb0ES3_jN6thrust23THRUST_200600_302600_NS6detail15normal_iteratorINSA_10device_ptrIjEEEEPS6_SG_NS0_5tupleIJSF_NSA_16discard_iteratorINSA_11use_defaultEEEEEENSH_IJSG_SG_EEES6_PlJ7is_evenIjEEEE10hipError_tPvRmT3_T4_T5_T6_T7_T9_mT8_P12ihipStream_tbDpT10_ENKUlT_T0_E_clISt17integral_constantIbLb0EES19_EEDaS14_S15_EUlS14_E_NS1_11comp_targetILNS1_3genE9ELNS1_11target_archE1100ELNS1_3gpuE3ELNS1_3repE0EEENS1_30default_config_static_selectorELNS0_4arch9wavefront6targetE1EEEvT1_
	.globl	_ZN7rocprim17ROCPRIM_400000_NS6detail17trampoline_kernelINS0_14default_configENS1_25partition_config_selectorILNS1_17partition_subalgoE0EjNS0_10empty_typeEbEEZZNS1_14partition_implILS5_0ELb0ES3_jN6thrust23THRUST_200600_302600_NS6detail15normal_iteratorINSA_10device_ptrIjEEEEPS6_SG_NS0_5tupleIJSF_NSA_16discard_iteratorINSA_11use_defaultEEEEEENSH_IJSG_SG_EEES6_PlJ7is_evenIjEEEE10hipError_tPvRmT3_T4_T5_T6_T7_T9_mT8_P12ihipStream_tbDpT10_ENKUlT_T0_E_clISt17integral_constantIbLb0EES19_EEDaS14_S15_EUlS14_E_NS1_11comp_targetILNS1_3genE9ELNS1_11target_archE1100ELNS1_3gpuE3ELNS1_3repE0EEENS1_30default_config_static_selectorELNS0_4arch9wavefront6targetE1EEEvT1_
	.p2align	8
	.type	_ZN7rocprim17ROCPRIM_400000_NS6detail17trampoline_kernelINS0_14default_configENS1_25partition_config_selectorILNS1_17partition_subalgoE0EjNS0_10empty_typeEbEEZZNS1_14partition_implILS5_0ELb0ES3_jN6thrust23THRUST_200600_302600_NS6detail15normal_iteratorINSA_10device_ptrIjEEEEPS6_SG_NS0_5tupleIJSF_NSA_16discard_iteratorINSA_11use_defaultEEEEEENSH_IJSG_SG_EEES6_PlJ7is_evenIjEEEE10hipError_tPvRmT3_T4_T5_T6_T7_T9_mT8_P12ihipStream_tbDpT10_ENKUlT_T0_E_clISt17integral_constantIbLb0EES19_EEDaS14_S15_EUlS14_E_NS1_11comp_targetILNS1_3genE9ELNS1_11target_archE1100ELNS1_3gpuE3ELNS1_3repE0EEENS1_30default_config_static_selectorELNS0_4arch9wavefront6targetE1EEEvT1_,@function
_ZN7rocprim17ROCPRIM_400000_NS6detail17trampoline_kernelINS0_14default_configENS1_25partition_config_selectorILNS1_17partition_subalgoE0EjNS0_10empty_typeEbEEZZNS1_14partition_implILS5_0ELb0ES3_jN6thrust23THRUST_200600_302600_NS6detail15normal_iteratorINSA_10device_ptrIjEEEEPS6_SG_NS0_5tupleIJSF_NSA_16discard_iteratorINSA_11use_defaultEEEEEENSH_IJSG_SG_EEES6_PlJ7is_evenIjEEEE10hipError_tPvRmT3_T4_T5_T6_T7_T9_mT8_P12ihipStream_tbDpT10_ENKUlT_T0_E_clISt17integral_constantIbLb0EES19_EEDaS14_S15_EUlS14_E_NS1_11comp_targetILNS1_3genE9ELNS1_11target_archE1100ELNS1_3gpuE3ELNS1_3repE0EEENS1_30default_config_static_selectorELNS0_4arch9wavefront6targetE1EEEvT1_: ; @_ZN7rocprim17ROCPRIM_400000_NS6detail17trampoline_kernelINS0_14default_configENS1_25partition_config_selectorILNS1_17partition_subalgoE0EjNS0_10empty_typeEbEEZZNS1_14partition_implILS5_0ELb0ES3_jN6thrust23THRUST_200600_302600_NS6detail15normal_iteratorINSA_10device_ptrIjEEEEPS6_SG_NS0_5tupleIJSF_NSA_16discard_iteratorINSA_11use_defaultEEEEEENSH_IJSG_SG_EEES6_PlJ7is_evenIjEEEE10hipError_tPvRmT3_T4_T5_T6_T7_T9_mT8_P12ihipStream_tbDpT10_ENKUlT_T0_E_clISt17integral_constantIbLb0EES19_EEDaS14_S15_EUlS14_E_NS1_11comp_targetILNS1_3genE9ELNS1_11target_archE1100ELNS1_3gpuE3ELNS1_3repE0EEENS1_30default_config_static_selectorELNS0_4arch9wavefront6targetE1EEEvT1_
; %bb.0:
	.section	.rodata,"a",@progbits
	.p2align	6, 0x0
	.amdhsa_kernel _ZN7rocprim17ROCPRIM_400000_NS6detail17trampoline_kernelINS0_14default_configENS1_25partition_config_selectorILNS1_17partition_subalgoE0EjNS0_10empty_typeEbEEZZNS1_14partition_implILS5_0ELb0ES3_jN6thrust23THRUST_200600_302600_NS6detail15normal_iteratorINSA_10device_ptrIjEEEEPS6_SG_NS0_5tupleIJSF_NSA_16discard_iteratorINSA_11use_defaultEEEEEENSH_IJSG_SG_EEES6_PlJ7is_evenIjEEEE10hipError_tPvRmT3_T4_T5_T6_T7_T9_mT8_P12ihipStream_tbDpT10_ENKUlT_T0_E_clISt17integral_constantIbLb0EES19_EEDaS14_S15_EUlS14_E_NS1_11comp_targetILNS1_3genE9ELNS1_11target_archE1100ELNS1_3gpuE3ELNS1_3repE0EEENS1_30default_config_static_selectorELNS0_4arch9wavefront6targetE1EEEvT1_
		.amdhsa_group_segment_fixed_size 0
		.amdhsa_private_segment_fixed_size 0
		.amdhsa_kernarg_size 128
		.amdhsa_user_sgpr_count 6
		.amdhsa_user_sgpr_private_segment_buffer 1
		.amdhsa_user_sgpr_dispatch_ptr 0
		.amdhsa_user_sgpr_queue_ptr 0
		.amdhsa_user_sgpr_kernarg_segment_ptr 1
		.amdhsa_user_sgpr_dispatch_id 0
		.amdhsa_user_sgpr_flat_scratch_init 0
		.amdhsa_user_sgpr_kernarg_preload_length 0
		.amdhsa_user_sgpr_kernarg_preload_offset 0
		.amdhsa_user_sgpr_private_segment_size 0
		.amdhsa_uses_dynamic_stack 0
		.amdhsa_system_sgpr_private_segment_wavefront_offset 0
		.amdhsa_system_sgpr_workgroup_id_x 1
		.amdhsa_system_sgpr_workgroup_id_y 0
		.amdhsa_system_sgpr_workgroup_id_z 0
		.amdhsa_system_sgpr_workgroup_info 0
		.amdhsa_system_vgpr_workitem_id 0
		.amdhsa_next_free_vgpr 1
		.amdhsa_next_free_sgpr 0
		.amdhsa_accum_offset 4
		.amdhsa_reserve_vcc 0
		.amdhsa_reserve_flat_scratch 0
		.amdhsa_float_round_mode_32 0
		.amdhsa_float_round_mode_16_64 0
		.amdhsa_float_denorm_mode_32 3
		.amdhsa_float_denorm_mode_16_64 3
		.amdhsa_dx10_clamp 1
		.amdhsa_ieee_mode 1
		.amdhsa_fp16_overflow 0
		.amdhsa_tg_split 0
		.amdhsa_exception_fp_ieee_invalid_op 0
		.amdhsa_exception_fp_denorm_src 0
		.amdhsa_exception_fp_ieee_div_zero 0
		.amdhsa_exception_fp_ieee_overflow 0
		.amdhsa_exception_fp_ieee_underflow 0
		.amdhsa_exception_fp_ieee_inexact 0
		.amdhsa_exception_int_div_zero 0
	.end_amdhsa_kernel
	.section	.text._ZN7rocprim17ROCPRIM_400000_NS6detail17trampoline_kernelINS0_14default_configENS1_25partition_config_selectorILNS1_17partition_subalgoE0EjNS0_10empty_typeEbEEZZNS1_14partition_implILS5_0ELb0ES3_jN6thrust23THRUST_200600_302600_NS6detail15normal_iteratorINSA_10device_ptrIjEEEEPS6_SG_NS0_5tupleIJSF_NSA_16discard_iteratorINSA_11use_defaultEEEEEENSH_IJSG_SG_EEES6_PlJ7is_evenIjEEEE10hipError_tPvRmT3_T4_T5_T6_T7_T9_mT8_P12ihipStream_tbDpT10_ENKUlT_T0_E_clISt17integral_constantIbLb0EES19_EEDaS14_S15_EUlS14_E_NS1_11comp_targetILNS1_3genE9ELNS1_11target_archE1100ELNS1_3gpuE3ELNS1_3repE0EEENS1_30default_config_static_selectorELNS0_4arch9wavefront6targetE1EEEvT1_,"axG",@progbits,_ZN7rocprim17ROCPRIM_400000_NS6detail17trampoline_kernelINS0_14default_configENS1_25partition_config_selectorILNS1_17partition_subalgoE0EjNS0_10empty_typeEbEEZZNS1_14partition_implILS5_0ELb0ES3_jN6thrust23THRUST_200600_302600_NS6detail15normal_iteratorINSA_10device_ptrIjEEEEPS6_SG_NS0_5tupleIJSF_NSA_16discard_iteratorINSA_11use_defaultEEEEEENSH_IJSG_SG_EEES6_PlJ7is_evenIjEEEE10hipError_tPvRmT3_T4_T5_T6_T7_T9_mT8_P12ihipStream_tbDpT10_ENKUlT_T0_E_clISt17integral_constantIbLb0EES19_EEDaS14_S15_EUlS14_E_NS1_11comp_targetILNS1_3genE9ELNS1_11target_archE1100ELNS1_3gpuE3ELNS1_3repE0EEENS1_30default_config_static_selectorELNS0_4arch9wavefront6targetE1EEEvT1_,comdat
.Lfunc_end2433:
	.size	_ZN7rocprim17ROCPRIM_400000_NS6detail17trampoline_kernelINS0_14default_configENS1_25partition_config_selectorILNS1_17partition_subalgoE0EjNS0_10empty_typeEbEEZZNS1_14partition_implILS5_0ELb0ES3_jN6thrust23THRUST_200600_302600_NS6detail15normal_iteratorINSA_10device_ptrIjEEEEPS6_SG_NS0_5tupleIJSF_NSA_16discard_iteratorINSA_11use_defaultEEEEEENSH_IJSG_SG_EEES6_PlJ7is_evenIjEEEE10hipError_tPvRmT3_T4_T5_T6_T7_T9_mT8_P12ihipStream_tbDpT10_ENKUlT_T0_E_clISt17integral_constantIbLb0EES19_EEDaS14_S15_EUlS14_E_NS1_11comp_targetILNS1_3genE9ELNS1_11target_archE1100ELNS1_3gpuE3ELNS1_3repE0EEENS1_30default_config_static_selectorELNS0_4arch9wavefront6targetE1EEEvT1_, .Lfunc_end2433-_ZN7rocprim17ROCPRIM_400000_NS6detail17trampoline_kernelINS0_14default_configENS1_25partition_config_selectorILNS1_17partition_subalgoE0EjNS0_10empty_typeEbEEZZNS1_14partition_implILS5_0ELb0ES3_jN6thrust23THRUST_200600_302600_NS6detail15normal_iteratorINSA_10device_ptrIjEEEEPS6_SG_NS0_5tupleIJSF_NSA_16discard_iteratorINSA_11use_defaultEEEEEENSH_IJSG_SG_EEES6_PlJ7is_evenIjEEEE10hipError_tPvRmT3_T4_T5_T6_T7_T9_mT8_P12ihipStream_tbDpT10_ENKUlT_T0_E_clISt17integral_constantIbLb0EES19_EEDaS14_S15_EUlS14_E_NS1_11comp_targetILNS1_3genE9ELNS1_11target_archE1100ELNS1_3gpuE3ELNS1_3repE0EEENS1_30default_config_static_selectorELNS0_4arch9wavefront6targetE1EEEvT1_
                                        ; -- End function
	.section	.AMDGPU.csdata,"",@progbits
; Kernel info:
; codeLenInByte = 0
; NumSgprs: 4
; NumVgprs: 0
; NumAgprs: 0
; TotalNumVgprs: 0
; ScratchSize: 0
; MemoryBound: 0
; FloatMode: 240
; IeeeMode: 1
; LDSByteSize: 0 bytes/workgroup (compile time only)
; SGPRBlocks: 0
; VGPRBlocks: 0
; NumSGPRsForWavesPerEU: 4
; NumVGPRsForWavesPerEU: 1
; AccumOffset: 4
; Occupancy: 8
; WaveLimiterHint : 0
; COMPUTE_PGM_RSRC2:SCRATCH_EN: 0
; COMPUTE_PGM_RSRC2:USER_SGPR: 6
; COMPUTE_PGM_RSRC2:TRAP_HANDLER: 0
; COMPUTE_PGM_RSRC2:TGID_X_EN: 1
; COMPUTE_PGM_RSRC2:TGID_Y_EN: 0
; COMPUTE_PGM_RSRC2:TGID_Z_EN: 0
; COMPUTE_PGM_RSRC2:TIDIG_COMP_CNT: 0
; COMPUTE_PGM_RSRC3_GFX90A:ACCUM_OFFSET: 0
; COMPUTE_PGM_RSRC3_GFX90A:TG_SPLIT: 0
	.section	.text._ZN7rocprim17ROCPRIM_400000_NS6detail17trampoline_kernelINS0_14default_configENS1_25partition_config_selectorILNS1_17partition_subalgoE0EjNS0_10empty_typeEbEEZZNS1_14partition_implILS5_0ELb0ES3_jN6thrust23THRUST_200600_302600_NS6detail15normal_iteratorINSA_10device_ptrIjEEEEPS6_SG_NS0_5tupleIJSF_NSA_16discard_iteratorINSA_11use_defaultEEEEEENSH_IJSG_SG_EEES6_PlJ7is_evenIjEEEE10hipError_tPvRmT3_T4_T5_T6_T7_T9_mT8_P12ihipStream_tbDpT10_ENKUlT_T0_E_clISt17integral_constantIbLb0EES19_EEDaS14_S15_EUlS14_E_NS1_11comp_targetILNS1_3genE8ELNS1_11target_archE1030ELNS1_3gpuE2ELNS1_3repE0EEENS1_30default_config_static_selectorELNS0_4arch9wavefront6targetE1EEEvT1_,"axG",@progbits,_ZN7rocprim17ROCPRIM_400000_NS6detail17trampoline_kernelINS0_14default_configENS1_25partition_config_selectorILNS1_17partition_subalgoE0EjNS0_10empty_typeEbEEZZNS1_14partition_implILS5_0ELb0ES3_jN6thrust23THRUST_200600_302600_NS6detail15normal_iteratorINSA_10device_ptrIjEEEEPS6_SG_NS0_5tupleIJSF_NSA_16discard_iteratorINSA_11use_defaultEEEEEENSH_IJSG_SG_EEES6_PlJ7is_evenIjEEEE10hipError_tPvRmT3_T4_T5_T6_T7_T9_mT8_P12ihipStream_tbDpT10_ENKUlT_T0_E_clISt17integral_constantIbLb0EES19_EEDaS14_S15_EUlS14_E_NS1_11comp_targetILNS1_3genE8ELNS1_11target_archE1030ELNS1_3gpuE2ELNS1_3repE0EEENS1_30default_config_static_selectorELNS0_4arch9wavefront6targetE1EEEvT1_,comdat
	.protected	_ZN7rocprim17ROCPRIM_400000_NS6detail17trampoline_kernelINS0_14default_configENS1_25partition_config_selectorILNS1_17partition_subalgoE0EjNS0_10empty_typeEbEEZZNS1_14partition_implILS5_0ELb0ES3_jN6thrust23THRUST_200600_302600_NS6detail15normal_iteratorINSA_10device_ptrIjEEEEPS6_SG_NS0_5tupleIJSF_NSA_16discard_iteratorINSA_11use_defaultEEEEEENSH_IJSG_SG_EEES6_PlJ7is_evenIjEEEE10hipError_tPvRmT3_T4_T5_T6_T7_T9_mT8_P12ihipStream_tbDpT10_ENKUlT_T0_E_clISt17integral_constantIbLb0EES19_EEDaS14_S15_EUlS14_E_NS1_11comp_targetILNS1_3genE8ELNS1_11target_archE1030ELNS1_3gpuE2ELNS1_3repE0EEENS1_30default_config_static_selectorELNS0_4arch9wavefront6targetE1EEEvT1_ ; -- Begin function _ZN7rocprim17ROCPRIM_400000_NS6detail17trampoline_kernelINS0_14default_configENS1_25partition_config_selectorILNS1_17partition_subalgoE0EjNS0_10empty_typeEbEEZZNS1_14partition_implILS5_0ELb0ES3_jN6thrust23THRUST_200600_302600_NS6detail15normal_iteratorINSA_10device_ptrIjEEEEPS6_SG_NS0_5tupleIJSF_NSA_16discard_iteratorINSA_11use_defaultEEEEEENSH_IJSG_SG_EEES6_PlJ7is_evenIjEEEE10hipError_tPvRmT3_T4_T5_T6_T7_T9_mT8_P12ihipStream_tbDpT10_ENKUlT_T0_E_clISt17integral_constantIbLb0EES19_EEDaS14_S15_EUlS14_E_NS1_11comp_targetILNS1_3genE8ELNS1_11target_archE1030ELNS1_3gpuE2ELNS1_3repE0EEENS1_30default_config_static_selectorELNS0_4arch9wavefront6targetE1EEEvT1_
	.globl	_ZN7rocprim17ROCPRIM_400000_NS6detail17trampoline_kernelINS0_14default_configENS1_25partition_config_selectorILNS1_17partition_subalgoE0EjNS0_10empty_typeEbEEZZNS1_14partition_implILS5_0ELb0ES3_jN6thrust23THRUST_200600_302600_NS6detail15normal_iteratorINSA_10device_ptrIjEEEEPS6_SG_NS0_5tupleIJSF_NSA_16discard_iteratorINSA_11use_defaultEEEEEENSH_IJSG_SG_EEES6_PlJ7is_evenIjEEEE10hipError_tPvRmT3_T4_T5_T6_T7_T9_mT8_P12ihipStream_tbDpT10_ENKUlT_T0_E_clISt17integral_constantIbLb0EES19_EEDaS14_S15_EUlS14_E_NS1_11comp_targetILNS1_3genE8ELNS1_11target_archE1030ELNS1_3gpuE2ELNS1_3repE0EEENS1_30default_config_static_selectorELNS0_4arch9wavefront6targetE1EEEvT1_
	.p2align	8
	.type	_ZN7rocprim17ROCPRIM_400000_NS6detail17trampoline_kernelINS0_14default_configENS1_25partition_config_selectorILNS1_17partition_subalgoE0EjNS0_10empty_typeEbEEZZNS1_14partition_implILS5_0ELb0ES3_jN6thrust23THRUST_200600_302600_NS6detail15normal_iteratorINSA_10device_ptrIjEEEEPS6_SG_NS0_5tupleIJSF_NSA_16discard_iteratorINSA_11use_defaultEEEEEENSH_IJSG_SG_EEES6_PlJ7is_evenIjEEEE10hipError_tPvRmT3_T4_T5_T6_T7_T9_mT8_P12ihipStream_tbDpT10_ENKUlT_T0_E_clISt17integral_constantIbLb0EES19_EEDaS14_S15_EUlS14_E_NS1_11comp_targetILNS1_3genE8ELNS1_11target_archE1030ELNS1_3gpuE2ELNS1_3repE0EEENS1_30default_config_static_selectorELNS0_4arch9wavefront6targetE1EEEvT1_,@function
_ZN7rocprim17ROCPRIM_400000_NS6detail17trampoline_kernelINS0_14default_configENS1_25partition_config_selectorILNS1_17partition_subalgoE0EjNS0_10empty_typeEbEEZZNS1_14partition_implILS5_0ELb0ES3_jN6thrust23THRUST_200600_302600_NS6detail15normal_iteratorINSA_10device_ptrIjEEEEPS6_SG_NS0_5tupleIJSF_NSA_16discard_iteratorINSA_11use_defaultEEEEEENSH_IJSG_SG_EEES6_PlJ7is_evenIjEEEE10hipError_tPvRmT3_T4_T5_T6_T7_T9_mT8_P12ihipStream_tbDpT10_ENKUlT_T0_E_clISt17integral_constantIbLb0EES19_EEDaS14_S15_EUlS14_E_NS1_11comp_targetILNS1_3genE8ELNS1_11target_archE1030ELNS1_3gpuE2ELNS1_3repE0EEENS1_30default_config_static_selectorELNS0_4arch9wavefront6targetE1EEEvT1_: ; @_ZN7rocprim17ROCPRIM_400000_NS6detail17trampoline_kernelINS0_14default_configENS1_25partition_config_selectorILNS1_17partition_subalgoE0EjNS0_10empty_typeEbEEZZNS1_14partition_implILS5_0ELb0ES3_jN6thrust23THRUST_200600_302600_NS6detail15normal_iteratorINSA_10device_ptrIjEEEEPS6_SG_NS0_5tupleIJSF_NSA_16discard_iteratorINSA_11use_defaultEEEEEENSH_IJSG_SG_EEES6_PlJ7is_evenIjEEEE10hipError_tPvRmT3_T4_T5_T6_T7_T9_mT8_P12ihipStream_tbDpT10_ENKUlT_T0_E_clISt17integral_constantIbLb0EES19_EEDaS14_S15_EUlS14_E_NS1_11comp_targetILNS1_3genE8ELNS1_11target_archE1030ELNS1_3gpuE2ELNS1_3repE0EEENS1_30default_config_static_selectorELNS0_4arch9wavefront6targetE1EEEvT1_
; %bb.0:
	.section	.rodata,"a",@progbits
	.p2align	6, 0x0
	.amdhsa_kernel _ZN7rocprim17ROCPRIM_400000_NS6detail17trampoline_kernelINS0_14default_configENS1_25partition_config_selectorILNS1_17partition_subalgoE0EjNS0_10empty_typeEbEEZZNS1_14partition_implILS5_0ELb0ES3_jN6thrust23THRUST_200600_302600_NS6detail15normal_iteratorINSA_10device_ptrIjEEEEPS6_SG_NS0_5tupleIJSF_NSA_16discard_iteratorINSA_11use_defaultEEEEEENSH_IJSG_SG_EEES6_PlJ7is_evenIjEEEE10hipError_tPvRmT3_T4_T5_T6_T7_T9_mT8_P12ihipStream_tbDpT10_ENKUlT_T0_E_clISt17integral_constantIbLb0EES19_EEDaS14_S15_EUlS14_E_NS1_11comp_targetILNS1_3genE8ELNS1_11target_archE1030ELNS1_3gpuE2ELNS1_3repE0EEENS1_30default_config_static_selectorELNS0_4arch9wavefront6targetE1EEEvT1_
		.amdhsa_group_segment_fixed_size 0
		.amdhsa_private_segment_fixed_size 0
		.amdhsa_kernarg_size 128
		.amdhsa_user_sgpr_count 6
		.amdhsa_user_sgpr_private_segment_buffer 1
		.amdhsa_user_sgpr_dispatch_ptr 0
		.amdhsa_user_sgpr_queue_ptr 0
		.amdhsa_user_sgpr_kernarg_segment_ptr 1
		.amdhsa_user_sgpr_dispatch_id 0
		.amdhsa_user_sgpr_flat_scratch_init 0
		.amdhsa_user_sgpr_kernarg_preload_length 0
		.amdhsa_user_sgpr_kernarg_preload_offset 0
		.amdhsa_user_sgpr_private_segment_size 0
		.amdhsa_uses_dynamic_stack 0
		.amdhsa_system_sgpr_private_segment_wavefront_offset 0
		.amdhsa_system_sgpr_workgroup_id_x 1
		.amdhsa_system_sgpr_workgroup_id_y 0
		.amdhsa_system_sgpr_workgroup_id_z 0
		.amdhsa_system_sgpr_workgroup_info 0
		.amdhsa_system_vgpr_workitem_id 0
		.amdhsa_next_free_vgpr 1
		.amdhsa_next_free_sgpr 0
		.amdhsa_accum_offset 4
		.amdhsa_reserve_vcc 0
		.amdhsa_reserve_flat_scratch 0
		.amdhsa_float_round_mode_32 0
		.amdhsa_float_round_mode_16_64 0
		.amdhsa_float_denorm_mode_32 3
		.amdhsa_float_denorm_mode_16_64 3
		.amdhsa_dx10_clamp 1
		.amdhsa_ieee_mode 1
		.amdhsa_fp16_overflow 0
		.amdhsa_tg_split 0
		.amdhsa_exception_fp_ieee_invalid_op 0
		.amdhsa_exception_fp_denorm_src 0
		.amdhsa_exception_fp_ieee_div_zero 0
		.amdhsa_exception_fp_ieee_overflow 0
		.amdhsa_exception_fp_ieee_underflow 0
		.amdhsa_exception_fp_ieee_inexact 0
		.amdhsa_exception_int_div_zero 0
	.end_amdhsa_kernel
	.section	.text._ZN7rocprim17ROCPRIM_400000_NS6detail17trampoline_kernelINS0_14default_configENS1_25partition_config_selectorILNS1_17partition_subalgoE0EjNS0_10empty_typeEbEEZZNS1_14partition_implILS5_0ELb0ES3_jN6thrust23THRUST_200600_302600_NS6detail15normal_iteratorINSA_10device_ptrIjEEEEPS6_SG_NS0_5tupleIJSF_NSA_16discard_iteratorINSA_11use_defaultEEEEEENSH_IJSG_SG_EEES6_PlJ7is_evenIjEEEE10hipError_tPvRmT3_T4_T5_T6_T7_T9_mT8_P12ihipStream_tbDpT10_ENKUlT_T0_E_clISt17integral_constantIbLb0EES19_EEDaS14_S15_EUlS14_E_NS1_11comp_targetILNS1_3genE8ELNS1_11target_archE1030ELNS1_3gpuE2ELNS1_3repE0EEENS1_30default_config_static_selectorELNS0_4arch9wavefront6targetE1EEEvT1_,"axG",@progbits,_ZN7rocprim17ROCPRIM_400000_NS6detail17trampoline_kernelINS0_14default_configENS1_25partition_config_selectorILNS1_17partition_subalgoE0EjNS0_10empty_typeEbEEZZNS1_14partition_implILS5_0ELb0ES3_jN6thrust23THRUST_200600_302600_NS6detail15normal_iteratorINSA_10device_ptrIjEEEEPS6_SG_NS0_5tupleIJSF_NSA_16discard_iteratorINSA_11use_defaultEEEEEENSH_IJSG_SG_EEES6_PlJ7is_evenIjEEEE10hipError_tPvRmT3_T4_T5_T6_T7_T9_mT8_P12ihipStream_tbDpT10_ENKUlT_T0_E_clISt17integral_constantIbLb0EES19_EEDaS14_S15_EUlS14_E_NS1_11comp_targetILNS1_3genE8ELNS1_11target_archE1030ELNS1_3gpuE2ELNS1_3repE0EEENS1_30default_config_static_selectorELNS0_4arch9wavefront6targetE1EEEvT1_,comdat
.Lfunc_end2434:
	.size	_ZN7rocprim17ROCPRIM_400000_NS6detail17trampoline_kernelINS0_14default_configENS1_25partition_config_selectorILNS1_17partition_subalgoE0EjNS0_10empty_typeEbEEZZNS1_14partition_implILS5_0ELb0ES3_jN6thrust23THRUST_200600_302600_NS6detail15normal_iteratorINSA_10device_ptrIjEEEEPS6_SG_NS0_5tupleIJSF_NSA_16discard_iteratorINSA_11use_defaultEEEEEENSH_IJSG_SG_EEES6_PlJ7is_evenIjEEEE10hipError_tPvRmT3_T4_T5_T6_T7_T9_mT8_P12ihipStream_tbDpT10_ENKUlT_T0_E_clISt17integral_constantIbLb0EES19_EEDaS14_S15_EUlS14_E_NS1_11comp_targetILNS1_3genE8ELNS1_11target_archE1030ELNS1_3gpuE2ELNS1_3repE0EEENS1_30default_config_static_selectorELNS0_4arch9wavefront6targetE1EEEvT1_, .Lfunc_end2434-_ZN7rocprim17ROCPRIM_400000_NS6detail17trampoline_kernelINS0_14default_configENS1_25partition_config_selectorILNS1_17partition_subalgoE0EjNS0_10empty_typeEbEEZZNS1_14partition_implILS5_0ELb0ES3_jN6thrust23THRUST_200600_302600_NS6detail15normal_iteratorINSA_10device_ptrIjEEEEPS6_SG_NS0_5tupleIJSF_NSA_16discard_iteratorINSA_11use_defaultEEEEEENSH_IJSG_SG_EEES6_PlJ7is_evenIjEEEE10hipError_tPvRmT3_T4_T5_T6_T7_T9_mT8_P12ihipStream_tbDpT10_ENKUlT_T0_E_clISt17integral_constantIbLb0EES19_EEDaS14_S15_EUlS14_E_NS1_11comp_targetILNS1_3genE8ELNS1_11target_archE1030ELNS1_3gpuE2ELNS1_3repE0EEENS1_30default_config_static_selectorELNS0_4arch9wavefront6targetE1EEEvT1_
                                        ; -- End function
	.section	.AMDGPU.csdata,"",@progbits
; Kernel info:
; codeLenInByte = 0
; NumSgprs: 4
; NumVgprs: 0
; NumAgprs: 0
; TotalNumVgprs: 0
; ScratchSize: 0
; MemoryBound: 0
; FloatMode: 240
; IeeeMode: 1
; LDSByteSize: 0 bytes/workgroup (compile time only)
; SGPRBlocks: 0
; VGPRBlocks: 0
; NumSGPRsForWavesPerEU: 4
; NumVGPRsForWavesPerEU: 1
; AccumOffset: 4
; Occupancy: 8
; WaveLimiterHint : 0
; COMPUTE_PGM_RSRC2:SCRATCH_EN: 0
; COMPUTE_PGM_RSRC2:USER_SGPR: 6
; COMPUTE_PGM_RSRC2:TRAP_HANDLER: 0
; COMPUTE_PGM_RSRC2:TGID_X_EN: 1
; COMPUTE_PGM_RSRC2:TGID_Y_EN: 0
; COMPUTE_PGM_RSRC2:TGID_Z_EN: 0
; COMPUTE_PGM_RSRC2:TIDIG_COMP_CNT: 0
; COMPUTE_PGM_RSRC3_GFX90A:ACCUM_OFFSET: 0
; COMPUTE_PGM_RSRC3_GFX90A:TG_SPLIT: 0
	.section	.text._ZN7rocprim17ROCPRIM_400000_NS6detail17trampoline_kernelINS0_14default_configENS1_25partition_config_selectorILNS1_17partition_subalgoE0EjNS0_10empty_typeEbEEZZNS1_14partition_implILS5_0ELb0ES3_jN6thrust23THRUST_200600_302600_NS6detail15normal_iteratorINSA_10device_ptrIjEEEEPS6_SG_NS0_5tupleIJSF_NSA_16discard_iteratorINSA_11use_defaultEEEEEENSH_IJSG_SG_EEES6_PlJ7is_evenIjEEEE10hipError_tPvRmT3_T4_T5_T6_T7_T9_mT8_P12ihipStream_tbDpT10_ENKUlT_T0_E_clISt17integral_constantIbLb1EES19_EEDaS14_S15_EUlS14_E_NS1_11comp_targetILNS1_3genE0ELNS1_11target_archE4294967295ELNS1_3gpuE0ELNS1_3repE0EEENS1_30default_config_static_selectorELNS0_4arch9wavefront6targetE1EEEvT1_,"axG",@progbits,_ZN7rocprim17ROCPRIM_400000_NS6detail17trampoline_kernelINS0_14default_configENS1_25partition_config_selectorILNS1_17partition_subalgoE0EjNS0_10empty_typeEbEEZZNS1_14partition_implILS5_0ELb0ES3_jN6thrust23THRUST_200600_302600_NS6detail15normal_iteratorINSA_10device_ptrIjEEEEPS6_SG_NS0_5tupleIJSF_NSA_16discard_iteratorINSA_11use_defaultEEEEEENSH_IJSG_SG_EEES6_PlJ7is_evenIjEEEE10hipError_tPvRmT3_T4_T5_T6_T7_T9_mT8_P12ihipStream_tbDpT10_ENKUlT_T0_E_clISt17integral_constantIbLb1EES19_EEDaS14_S15_EUlS14_E_NS1_11comp_targetILNS1_3genE0ELNS1_11target_archE4294967295ELNS1_3gpuE0ELNS1_3repE0EEENS1_30default_config_static_selectorELNS0_4arch9wavefront6targetE1EEEvT1_,comdat
	.protected	_ZN7rocprim17ROCPRIM_400000_NS6detail17trampoline_kernelINS0_14default_configENS1_25partition_config_selectorILNS1_17partition_subalgoE0EjNS0_10empty_typeEbEEZZNS1_14partition_implILS5_0ELb0ES3_jN6thrust23THRUST_200600_302600_NS6detail15normal_iteratorINSA_10device_ptrIjEEEEPS6_SG_NS0_5tupleIJSF_NSA_16discard_iteratorINSA_11use_defaultEEEEEENSH_IJSG_SG_EEES6_PlJ7is_evenIjEEEE10hipError_tPvRmT3_T4_T5_T6_T7_T9_mT8_P12ihipStream_tbDpT10_ENKUlT_T0_E_clISt17integral_constantIbLb1EES19_EEDaS14_S15_EUlS14_E_NS1_11comp_targetILNS1_3genE0ELNS1_11target_archE4294967295ELNS1_3gpuE0ELNS1_3repE0EEENS1_30default_config_static_selectorELNS0_4arch9wavefront6targetE1EEEvT1_ ; -- Begin function _ZN7rocprim17ROCPRIM_400000_NS6detail17trampoline_kernelINS0_14default_configENS1_25partition_config_selectorILNS1_17partition_subalgoE0EjNS0_10empty_typeEbEEZZNS1_14partition_implILS5_0ELb0ES3_jN6thrust23THRUST_200600_302600_NS6detail15normal_iteratorINSA_10device_ptrIjEEEEPS6_SG_NS0_5tupleIJSF_NSA_16discard_iteratorINSA_11use_defaultEEEEEENSH_IJSG_SG_EEES6_PlJ7is_evenIjEEEE10hipError_tPvRmT3_T4_T5_T6_T7_T9_mT8_P12ihipStream_tbDpT10_ENKUlT_T0_E_clISt17integral_constantIbLb1EES19_EEDaS14_S15_EUlS14_E_NS1_11comp_targetILNS1_3genE0ELNS1_11target_archE4294967295ELNS1_3gpuE0ELNS1_3repE0EEENS1_30default_config_static_selectorELNS0_4arch9wavefront6targetE1EEEvT1_
	.globl	_ZN7rocprim17ROCPRIM_400000_NS6detail17trampoline_kernelINS0_14default_configENS1_25partition_config_selectorILNS1_17partition_subalgoE0EjNS0_10empty_typeEbEEZZNS1_14partition_implILS5_0ELb0ES3_jN6thrust23THRUST_200600_302600_NS6detail15normal_iteratorINSA_10device_ptrIjEEEEPS6_SG_NS0_5tupleIJSF_NSA_16discard_iteratorINSA_11use_defaultEEEEEENSH_IJSG_SG_EEES6_PlJ7is_evenIjEEEE10hipError_tPvRmT3_T4_T5_T6_T7_T9_mT8_P12ihipStream_tbDpT10_ENKUlT_T0_E_clISt17integral_constantIbLb1EES19_EEDaS14_S15_EUlS14_E_NS1_11comp_targetILNS1_3genE0ELNS1_11target_archE4294967295ELNS1_3gpuE0ELNS1_3repE0EEENS1_30default_config_static_selectorELNS0_4arch9wavefront6targetE1EEEvT1_
	.p2align	8
	.type	_ZN7rocprim17ROCPRIM_400000_NS6detail17trampoline_kernelINS0_14default_configENS1_25partition_config_selectorILNS1_17partition_subalgoE0EjNS0_10empty_typeEbEEZZNS1_14partition_implILS5_0ELb0ES3_jN6thrust23THRUST_200600_302600_NS6detail15normal_iteratorINSA_10device_ptrIjEEEEPS6_SG_NS0_5tupleIJSF_NSA_16discard_iteratorINSA_11use_defaultEEEEEENSH_IJSG_SG_EEES6_PlJ7is_evenIjEEEE10hipError_tPvRmT3_T4_T5_T6_T7_T9_mT8_P12ihipStream_tbDpT10_ENKUlT_T0_E_clISt17integral_constantIbLb1EES19_EEDaS14_S15_EUlS14_E_NS1_11comp_targetILNS1_3genE0ELNS1_11target_archE4294967295ELNS1_3gpuE0ELNS1_3repE0EEENS1_30default_config_static_selectorELNS0_4arch9wavefront6targetE1EEEvT1_,@function
_ZN7rocprim17ROCPRIM_400000_NS6detail17trampoline_kernelINS0_14default_configENS1_25partition_config_selectorILNS1_17partition_subalgoE0EjNS0_10empty_typeEbEEZZNS1_14partition_implILS5_0ELb0ES3_jN6thrust23THRUST_200600_302600_NS6detail15normal_iteratorINSA_10device_ptrIjEEEEPS6_SG_NS0_5tupleIJSF_NSA_16discard_iteratorINSA_11use_defaultEEEEEENSH_IJSG_SG_EEES6_PlJ7is_evenIjEEEE10hipError_tPvRmT3_T4_T5_T6_T7_T9_mT8_P12ihipStream_tbDpT10_ENKUlT_T0_E_clISt17integral_constantIbLb1EES19_EEDaS14_S15_EUlS14_E_NS1_11comp_targetILNS1_3genE0ELNS1_11target_archE4294967295ELNS1_3gpuE0ELNS1_3repE0EEENS1_30default_config_static_selectorELNS0_4arch9wavefront6targetE1EEEvT1_: ; @_ZN7rocprim17ROCPRIM_400000_NS6detail17trampoline_kernelINS0_14default_configENS1_25partition_config_selectorILNS1_17partition_subalgoE0EjNS0_10empty_typeEbEEZZNS1_14partition_implILS5_0ELb0ES3_jN6thrust23THRUST_200600_302600_NS6detail15normal_iteratorINSA_10device_ptrIjEEEEPS6_SG_NS0_5tupleIJSF_NSA_16discard_iteratorINSA_11use_defaultEEEEEENSH_IJSG_SG_EEES6_PlJ7is_evenIjEEEE10hipError_tPvRmT3_T4_T5_T6_T7_T9_mT8_P12ihipStream_tbDpT10_ENKUlT_T0_E_clISt17integral_constantIbLb1EES19_EEDaS14_S15_EUlS14_E_NS1_11comp_targetILNS1_3genE0ELNS1_11target_archE4294967295ELNS1_3gpuE0ELNS1_3repE0EEENS1_30default_config_static_selectorELNS0_4arch9wavefront6targetE1EEEvT1_
; %bb.0:
	.section	.rodata,"a",@progbits
	.p2align	6, 0x0
	.amdhsa_kernel _ZN7rocprim17ROCPRIM_400000_NS6detail17trampoline_kernelINS0_14default_configENS1_25partition_config_selectorILNS1_17partition_subalgoE0EjNS0_10empty_typeEbEEZZNS1_14partition_implILS5_0ELb0ES3_jN6thrust23THRUST_200600_302600_NS6detail15normal_iteratorINSA_10device_ptrIjEEEEPS6_SG_NS0_5tupleIJSF_NSA_16discard_iteratorINSA_11use_defaultEEEEEENSH_IJSG_SG_EEES6_PlJ7is_evenIjEEEE10hipError_tPvRmT3_T4_T5_T6_T7_T9_mT8_P12ihipStream_tbDpT10_ENKUlT_T0_E_clISt17integral_constantIbLb1EES19_EEDaS14_S15_EUlS14_E_NS1_11comp_targetILNS1_3genE0ELNS1_11target_archE4294967295ELNS1_3gpuE0ELNS1_3repE0EEENS1_30default_config_static_selectorELNS0_4arch9wavefront6targetE1EEEvT1_
		.amdhsa_group_segment_fixed_size 0
		.amdhsa_private_segment_fixed_size 0
		.amdhsa_kernarg_size 144
		.amdhsa_user_sgpr_count 6
		.amdhsa_user_sgpr_private_segment_buffer 1
		.amdhsa_user_sgpr_dispatch_ptr 0
		.amdhsa_user_sgpr_queue_ptr 0
		.amdhsa_user_sgpr_kernarg_segment_ptr 1
		.amdhsa_user_sgpr_dispatch_id 0
		.amdhsa_user_sgpr_flat_scratch_init 0
		.amdhsa_user_sgpr_kernarg_preload_length 0
		.amdhsa_user_sgpr_kernarg_preload_offset 0
		.amdhsa_user_sgpr_private_segment_size 0
		.amdhsa_uses_dynamic_stack 0
		.amdhsa_system_sgpr_private_segment_wavefront_offset 0
		.amdhsa_system_sgpr_workgroup_id_x 1
		.amdhsa_system_sgpr_workgroup_id_y 0
		.amdhsa_system_sgpr_workgroup_id_z 0
		.amdhsa_system_sgpr_workgroup_info 0
		.amdhsa_system_vgpr_workitem_id 0
		.amdhsa_next_free_vgpr 1
		.amdhsa_next_free_sgpr 0
		.amdhsa_accum_offset 4
		.amdhsa_reserve_vcc 0
		.amdhsa_reserve_flat_scratch 0
		.amdhsa_float_round_mode_32 0
		.amdhsa_float_round_mode_16_64 0
		.amdhsa_float_denorm_mode_32 3
		.amdhsa_float_denorm_mode_16_64 3
		.amdhsa_dx10_clamp 1
		.amdhsa_ieee_mode 1
		.amdhsa_fp16_overflow 0
		.amdhsa_tg_split 0
		.amdhsa_exception_fp_ieee_invalid_op 0
		.amdhsa_exception_fp_denorm_src 0
		.amdhsa_exception_fp_ieee_div_zero 0
		.amdhsa_exception_fp_ieee_overflow 0
		.amdhsa_exception_fp_ieee_underflow 0
		.amdhsa_exception_fp_ieee_inexact 0
		.amdhsa_exception_int_div_zero 0
	.end_amdhsa_kernel
	.section	.text._ZN7rocprim17ROCPRIM_400000_NS6detail17trampoline_kernelINS0_14default_configENS1_25partition_config_selectorILNS1_17partition_subalgoE0EjNS0_10empty_typeEbEEZZNS1_14partition_implILS5_0ELb0ES3_jN6thrust23THRUST_200600_302600_NS6detail15normal_iteratorINSA_10device_ptrIjEEEEPS6_SG_NS0_5tupleIJSF_NSA_16discard_iteratorINSA_11use_defaultEEEEEENSH_IJSG_SG_EEES6_PlJ7is_evenIjEEEE10hipError_tPvRmT3_T4_T5_T6_T7_T9_mT8_P12ihipStream_tbDpT10_ENKUlT_T0_E_clISt17integral_constantIbLb1EES19_EEDaS14_S15_EUlS14_E_NS1_11comp_targetILNS1_3genE0ELNS1_11target_archE4294967295ELNS1_3gpuE0ELNS1_3repE0EEENS1_30default_config_static_selectorELNS0_4arch9wavefront6targetE1EEEvT1_,"axG",@progbits,_ZN7rocprim17ROCPRIM_400000_NS6detail17trampoline_kernelINS0_14default_configENS1_25partition_config_selectorILNS1_17partition_subalgoE0EjNS0_10empty_typeEbEEZZNS1_14partition_implILS5_0ELb0ES3_jN6thrust23THRUST_200600_302600_NS6detail15normal_iteratorINSA_10device_ptrIjEEEEPS6_SG_NS0_5tupleIJSF_NSA_16discard_iteratorINSA_11use_defaultEEEEEENSH_IJSG_SG_EEES6_PlJ7is_evenIjEEEE10hipError_tPvRmT3_T4_T5_T6_T7_T9_mT8_P12ihipStream_tbDpT10_ENKUlT_T0_E_clISt17integral_constantIbLb1EES19_EEDaS14_S15_EUlS14_E_NS1_11comp_targetILNS1_3genE0ELNS1_11target_archE4294967295ELNS1_3gpuE0ELNS1_3repE0EEENS1_30default_config_static_selectorELNS0_4arch9wavefront6targetE1EEEvT1_,comdat
.Lfunc_end2435:
	.size	_ZN7rocprim17ROCPRIM_400000_NS6detail17trampoline_kernelINS0_14default_configENS1_25partition_config_selectorILNS1_17partition_subalgoE0EjNS0_10empty_typeEbEEZZNS1_14partition_implILS5_0ELb0ES3_jN6thrust23THRUST_200600_302600_NS6detail15normal_iteratorINSA_10device_ptrIjEEEEPS6_SG_NS0_5tupleIJSF_NSA_16discard_iteratorINSA_11use_defaultEEEEEENSH_IJSG_SG_EEES6_PlJ7is_evenIjEEEE10hipError_tPvRmT3_T4_T5_T6_T7_T9_mT8_P12ihipStream_tbDpT10_ENKUlT_T0_E_clISt17integral_constantIbLb1EES19_EEDaS14_S15_EUlS14_E_NS1_11comp_targetILNS1_3genE0ELNS1_11target_archE4294967295ELNS1_3gpuE0ELNS1_3repE0EEENS1_30default_config_static_selectorELNS0_4arch9wavefront6targetE1EEEvT1_, .Lfunc_end2435-_ZN7rocprim17ROCPRIM_400000_NS6detail17trampoline_kernelINS0_14default_configENS1_25partition_config_selectorILNS1_17partition_subalgoE0EjNS0_10empty_typeEbEEZZNS1_14partition_implILS5_0ELb0ES3_jN6thrust23THRUST_200600_302600_NS6detail15normal_iteratorINSA_10device_ptrIjEEEEPS6_SG_NS0_5tupleIJSF_NSA_16discard_iteratorINSA_11use_defaultEEEEEENSH_IJSG_SG_EEES6_PlJ7is_evenIjEEEE10hipError_tPvRmT3_T4_T5_T6_T7_T9_mT8_P12ihipStream_tbDpT10_ENKUlT_T0_E_clISt17integral_constantIbLb1EES19_EEDaS14_S15_EUlS14_E_NS1_11comp_targetILNS1_3genE0ELNS1_11target_archE4294967295ELNS1_3gpuE0ELNS1_3repE0EEENS1_30default_config_static_selectorELNS0_4arch9wavefront6targetE1EEEvT1_
                                        ; -- End function
	.section	.AMDGPU.csdata,"",@progbits
; Kernel info:
; codeLenInByte = 0
; NumSgprs: 4
; NumVgprs: 0
; NumAgprs: 0
; TotalNumVgprs: 0
; ScratchSize: 0
; MemoryBound: 0
; FloatMode: 240
; IeeeMode: 1
; LDSByteSize: 0 bytes/workgroup (compile time only)
; SGPRBlocks: 0
; VGPRBlocks: 0
; NumSGPRsForWavesPerEU: 4
; NumVGPRsForWavesPerEU: 1
; AccumOffset: 4
; Occupancy: 8
; WaveLimiterHint : 0
; COMPUTE_PGM_RSRC2:SCRATCH_EN: 0
; COMPUTE_PGM_RSRC2:USER_SGPR: 6
; COMPUTE_PGM_RSRC2:TRAP_HANDLER: 0
; COMPUTE_PGM_RSRC2:TGID_X_EN: 1
; COMPUTE_PGM_RSRC2:TGID_Y_EN: 0
; COMPUTE_PGM_RSRC2:TGID_Z_EN: 0
; COMPUTE_PGM_RSRC2:TIDIG_COMP_CNT: 0
; COMPUTE_PGM_RSRC3_GFX90A:ACCUM_OFFSET: 0
; COMPUTE_PGM_RSRC3_GFX90A:TG_SPLIT: 0
	.section	.text._ZN7rocprim17ROCPRIM_400000_NS6detail17trampoline_kernelINS0_14default_configENS1_25partition_config_selectorILNS1_17partition_subalgoE0EjNS0_10empty_typeEbEEZZNS1_14partition_implILS5_0ELb0ES3_jN6thrust23THRUST_200600_302600_NS6detail15normal_iteratorINSA_10device_ptrIjEEEEPS6_SG_NS0_5tupleIJSF_NSA_16discard_iteratorINSA_11use_defaultEEEEEENSH_IJSG_SG_EEES6_PlJ7is_evenIjEEEE10hipError_tPvRmT3_T4_T5_T6_T7_T9_mT8_P12ihipStream_tbDpT10_ENKUlT_T0_E_clISt17integral_constantIbLb1EES19_EEDaS14_S15_EUlS14_E_NS1_11comp_targetILNS1_3genE5ELNS1_11target_archE942ELNS1_3gpuE9ELNS1_3repE0EEENS1_30default_config_static_selectorELNS0_4arch9wavefront6targetE1EEEvT1_,"axG",@progbits,_ZN7rocprim17ROCPRIM_400000_NS6detail17trampoline_kernelINS0_14default_configENS1_25partition_config_selectorILNS1_17partition_subalgoE0EjNS0_10empty_typeEbEEZZNS1_14partition_implILS5_0ELb0ES3_jN6thrust23THRUST_200600_302600_NS6detail15normal_iteratorINSA_10device_ptrIjEEEEPS6_SG_NS0_5tupleIJSF_NSA_16discard_iteratorINSA_11use_defaultEEEEEENSH_IJSG_SG_EEES6_PlJ7is_evenIjEEEE10hipError_tPvRmT3_T4_T5_T6_T7_T9_mT8_P12ihipStream_tbDpT10_ENKUlT_T0_E_clISt17integral_constantIbLb1EES19_EEDaS14_S15_EUlS14_E_NS1_11comp_targetILNS1_3genE5ELNS1_11target_archE942ELNS1_3gpuE9ELNS1_3repE0EEENS1_30default_config_static_selectorELNS0_4arch9wavefront6targetE1EEEvT1_,comdat
	.protected	_ZN7rocprim17ROCPRIM_400000_NS6detail17trampoline_kernelINS0_14default_configENS1_25partition_config_selectorILNS1_17partition_subalgoE0EjNS0_10empty_typeEbEEZZNS1_14partition_implILS5_0ELb0ES3_jN6thrust23THRUST_200600_302600_NS6detail15normal_iteratorINSA_10device_ptrIjEEEEPS6_SG_NS0_5tupleIJSF_NSA_16discard_iteratorINSA_11use_defaultEEEEEENSH_IJSG_SG_EEES6_PlJ7is_evenIjEEEE10hipError_tPvRmT3_T4_T5_T6_T7_T9_mT8_P12ihipStream_tbDpT10_ENKUlT_T0_E_clISt17integral_constantIbLb1EES19_EEDaS14_S15_EUlS14_E_NS1_11comp_targetILNS1_3genE5ELNS1_11target_archE942ELNS1_3gpuE9ELNS1_3repE0EEENS1_30default_config_static_selectorELNS0_4arch9wavefront6targetE1EEEvT1_ ; -- Begin function _ZN7rocprim17ROCPRIM_400000_NS6detail17trampoline_kernelINS0_14default_configENS1_25partition_config_selectorILNS1_17partition_subalgoE0EjNS0_10empty_typeEbEEZZNS1_14partition_implILS5_0ELb0ES3_jN6thrust23THRUST_200600_302600_NS6detail15normal_iteratorINSA_10device_ptrIjEEEEPS6_SG_NS0_5tupleIJSF_NSA_16discard_iteratorINSA_11use_defaultEEEEEENSH_IJSG_SG_EEES6_PlJ7is_evenIjEEEE10hipError_tPvRmT3_T4_T5_T6_T7_T9_mT8_P12ihipStream_tbDpT10_ENKUlT_T0_E_clISt17integral_constantIbLb1EES19_EEDaS14_S15_EUlS14_E_NS1_11comp_targetILNS1_3genE5ELNS1_11target_archE942ELNS1_3gpuE9ELNS1_3repE0EEENS1_30default_config_static_selectorELNS0_4arch9wavefront6targetE1EEEvT1_
	.globl	_ZN7rocprim17ROCPRIM_400000_NS6detail17trampoline_kernelINS0_14default_configENS1_25partition_config_selectorILNS1_17partition_subalgoE0EjNS0_10empty_typeEbEEZZNS1_14partition_implILS5_0ELb0ES3_jN6thrust23THRUST_200600_302600_NS6detail15normal_iteratorINSA_10device_ptrIjEEEEPS6_SG_NS0_5tupleIJSF_NSA_16discard_iteratorINSA_11use_defaultEEEEEENSH_IJSG_SG_EEES6_PlJ7is_evenIjEEEE10hipError_tPvRmT3_T4_T5_T6_T7_T9_mT8_P12ihipStream_tbDpT10_ENKUlT_T0_E_clISt17integral_constantIbLb1EES19_EEDaS14_S15_EUlS14_E_NS1_11comp_targetILNS1_3genE5ELNS1_11target_archE942ELNS1_3gpuE9ELNS1_3repE0EEENS1_30default_config_static_selectorELNS0_4arch9wavefront6targetE1EEEvT1_
	.p2align	8
	.type	_ZN7rocprim17ROCPRIM_400000_NS6detail17trampoline_kernelINS0_14default_configENS1_25partition_config_selectorILNS1_17partition_subalgoE0EjNS0_10empty_typeEbEEZZNS1_14partition_implILS5_0ELb0ES3_jN6thrust23THRUST_200600_302600_NS6detail15normal_iteratorINSA_10device_ptrIjEEEEPS6_SG_NS0_5tupleIJSF_NSA_16discard_iteratorINSA_11use_defaultEEEEEENSH_IJSG_SG_EEES6_PlJ7is_evenIjEEEE10hipError_tPvRmT3_T4_T5_T6_T7_T9_mT8_P12ihipStream_tbDpT10_ENKUlT_T0_E_clISt17integral_constantIbLb1EES19_EEDaS14_S15_EUlS14_E_NS1_11comp_targetILNS1_3genE5ELNS1_11target_archE942ELNS1_3gpuE9ELNS1_3repE0EEENS1_30default_config_static_selectorELNS0_4arch9wavefront6targetE1EEEvT1_,@function
_ZN7rocprim17ROCPRIM_400000_NS6detail17trampoline_kernelINS0_14default_configENS1_25partition_config_selectorILNS1_17partition_subalgoE0EjNS0_10empty_typeEbEEZZNS1_14partition_implILS5_0ELb0ES3_jN6thrust23THRUST_200600_302600_NS6detail15normal_iteratorINSA_10device_ptrIjEEEEPS6_SG_NS0_5tupleIJSF_NSA_16discard_iteratorINSA_11use_defaultEEEEEENSH_IJSG_SG_EEES6_PlJ7is_evenIjEEEE10hipError_tPvRmT3_T4_T5_T6_T7_T9_mT8_P12ihipStream_tbDpT10_ENKUlT_T0_E_clISt17integral_constantIbLb1EES19_EEDaS14_S15_EUlS14_E_NS1_11comp_targetILNS1_3genE5ELNS1_11target_archE942ELNS1_3gpuE9ELNS1_3repE0EEENS1_30default_config_static_selectorELNS0_4arch9wavefront6targetE1EEEvT1_: ; @_ZN7rocprim17ROCPRIM_400000_NS6detail17trampoline_kernelINS0_14default_configENS1_25partition_config_selectorILNS1_17partition_subalgoE0EjNS0_10empty_typeEbEEZZNS1_14partition_implILS5_0ELb0ES3_jN6thrust23THRUST_200600_302600_NS6detail15normal_iteratorINSA_10device_ptrIjEEEEPS6_SG_NS0_5tupleIJSF_NSA_16discard_iteratorINSA_11use_defaultEEEEEENSH_IJSG_SG_EEES6_PlJ7is_evenIjEEEE10hipError_tPvRmT3_T4_T5_T6_T7_T9_mT8_P12ihipStream_tbDpT10_ENKUlT_T0_E_clISt17integral_constantIbLb1EES19_EEDaS14_S15_EUlS14_E_NS1_11comp_targetILNS1_3genE5ELNS1_11target_archE942ELNS1_3gpuE9ELNS1_3repE0EEENS1_30default_config_static_selectorELNS0_4arch9wavefront6targetE1EEEvT1_
; %bb.0:
	.section	.rodata,"a",@progbits
	.p2align	6, 0x0
	.amdhsa_kernel _ZN7rocprim17ROCPRIM_400000_NS6detail17trampoline_kernelINS0_14default_configENS1_25partition_config_selectorILNS1_17partition_subalgoE0EjNS0_10empty_typeEbEEZZNS1_14partition_implILS5_0ELb0ES3_jN6thrust23THRUST_200600_302600_NS6detail15normal_iteratorINSA_10device_ptrIjEEEEPS6_SG_NS0_5tupleIJSF_NSA_16discard_iteratorINSA_11use_defaultEEEEEENSH_IJSG_SG_EEES6_PlJ7is_evenIjEEEE10hipError_tPvRmT3_T4_T5_T6_T7_T9_mT8_P12ihipStream_tbDpT10_ENKUlT_T0_E_clISt17integral_constantIbLb1EES19_EEDaS14_S15_EUlS14_E_NS1_11comp_targetILNS1_3genE5ELNS1_11target_archE942ELNS1_3gpuE9ELNS1_3repE0EEENS1_30default_config_static_selectorELNS0_4arch9wavefront6targetE1EEEvT1_
		.amdhsa_group_segment_fixed_size 0
		.amdhsa_private_segment_fixed_size 0
		.amdhsa_kernarg_size 144
		.amdhsa_user_sgpr_count 6
		.amdhsa_user_sgpr_private_segment_buffer 1
		.amdhsa_user_sgpr_dispatch_ptr 0
		.amdhsa_user_sgpr_queue_ptr 0
		.amdhsa_user_sgpr_kernarg_segment_ptr 1
		.amdhsa_user_sgpr_dispatch_id 0
		.amdhsa_user_sgpr_flat_scratch_init 0
		.amdhsa_user_sgpr_kernarg_preload_length 0
		.amdhsa_user_sgpr_kernarg_preload_offset 0
		.amdhsa_user_sgpr_private_segment_size 0
		.amdhsa_uses_dynamic_stack 0
		.amdhsa_system_sgpr_private_segment_wavefront_offset 0
		.amdhsa_system_sgpr_workgroup_id_x 1
		.amdhsa_system_sgpr_workgroup_id_y 0
		.amdhsa_system_sgpr_workgroup_id_z 0
		.amdhsa_system_sgpr_workgroup_info 0
		.amdhsa_system_vgpr_workitem_id 0
		.amdhsa_next_free_vgpr 1
		.amdhsa_next_free_sgpr 0
		.amdhsa_accum_offset 4
		.amdhsa_reserve_vcc 0
		.amdhsa_reserve_flat_scratch 0
		.amdhsa_float_round_mode_32 0
		.amdhsa_float_round_mode_16_64 0
		.amdhsa_float_denorm_mode_32 3
		.amdhsa_float_denorm_mode_16_64 3
		.amdhsa_dx10_clamp 1
		.amdhsa_ieee_mode 1
		.amdhsa_fp16_overflow 0
		.amdhsa_tg_split 0
		.amdhsa_exception_fp_ieee_invalid_op 0
		.amdhsa_exception_fp_denorm_src 0
		.amdhsa_exception_fp_ieee_div_zero 0
		.amdhsa_exception_fp_ieee_overflow 0
		.amdhsa_exception_fp_ieee_underflow 0
		.amdhsa_exception_fp_ieee_inexact 0
		.amdhsa_exception_int_div_zero 0
	.end_amdhsa_kernel
	.section	.text._ZN7rocprim17ROCPRIM_400000_NS6detail17trampoline_kernelINS0_14default_configENS1_25partition_config_selectorILNS1_17partition_subalgoE0EjNS0_10empty_typeEbEEZZNS1_14partition_implILS5_0ELb0ES3_jN6thrust23THRUST_200600_302600_NS6detail15normal_iteratorINSA_10device_ptrIjEEEEPS6_SG_NS0_5tupleIJSF_NSA_16discard_iteratorINSA_11use_defaultEEEEEENSH_IJSG_SG_EEES6_PlJ7is_evenIjEEEE10hipError_tPvRmT3_T4_T5_T6_T7_T9_mT8_P12ihipStream_tbDpT10_ENKUlT_T0_E_clISt17integral_constantIbLb1EES19_EEDaS14_S15_EUlS14_E_NS1_11comp_targetILNS1_3genE5ELNS1_11target_archE942ELNS1_3gpuE9ELNS1_3repE0EEENS1_30default_config_static_selectorELNS0_4arch9wavefront6targetE1EEEvT1_,"axG",@progbits,_ZN7rocprim17ROCPRIM_400000_NS6detail17trampoline_kernelINS0_14default_configENS1_25partition_config_selectorILNS1_17partition_subalgoE0EjNS0_10empty_typeEbEEZZNS1_14partition_implILS5_0ELb0ES3_jN6thrust23THRUST_200600_302600_NS6detail15normal_iteratorINSA_10device_ptrIjEEEEPS6_SG_NS0_5tupleIJSF_NSA_16discard_iteratorINSA_11use_defaultEEEEEENSH_IJSG_SG_EEES6_PlJ7is_evenIjEEEE10hipError_tPvRmT3_T4_T5_T6_T7_T9_mT8_P12ihipStream_tbDpT10_ENKUlT_T0_E_clISt17integral_constantIbLb1EES19_EEDaS14_S15_EUlS14_E_NS1_11comp_targetILNS1_3genE5ELNS1_11target_archE942ELNS1_3gpuE9ELNS1_3repE0EEENS1_30default_config_static_selectorELNS0_4arch9wavefront6targetE1EEEvT1_,comdat
.Lfunc_end2436:
	.size	_ZN7rocprim17ROCPRIM_400000_NS6detail17trampoline_kernelINS0_14default_configENS1_25partition_config_selectorILNS1_17partition_subalgoE0EjNS0_10empty_typeEbEEZZNS1_14partition_implILS5_0ELb0ES3_jN6thrust23THRUST_200600_302600_NS6detail15normal_iteratorINSA_10device_ptrIjEEEEPS6_SG_NS0_5tupleIJSF_NSA_16discard_iteratorINSA_11use_defaultEEEEEENSH_IJSG_SG_EEES6_PlJ7is_evenIjEEEE10hipError_tPvRmT3_T4_T5_T6_T7_T9_mT8_P12ihipStream_tbDpT10_ENKUlT_T0_E_clISt17integral_constantIbLb1EES19_EEDaS14_S15_EUlS14_E_NS1_11comp_targetILNS1_3genE5ELNS1_11target_archE942ELNS1_3gpuE9ELNS1_3repE0EEENS1_30default_config_static_selectorELNS0_4arch9wavefront6targetE1EEEvT1_, .Lfunc_end2436-_ZN7rocprim17ROCPRIM_400000_NS6detail17trampoline_kernelINS0_14default_configENS1_25partition_config_selectorILNS1_17partition_subalgoE0EjNS0_10empty_typeEbEEZZNS1_14partition_implILS5_0ELb0ES3_jN6thrust23THRUST_200600_302600_NS6detail15normal_iteratorINSA_10device_ptrIjEEEEPS6_SG_NS0_5tupleIJSF_NSA_16discard_iteratorINSA_11use_defaultEEEEEENSH_IJSG_SG_EEES6_PlJ7is_evenIjEEEE10hipError_tPvRmT3_T4_T5_T6_T7_T9_mT8_P12ihipStream_tbDpT10_ENKUlT_T0_E_clISt17integral_constantIbLb1EES19_EEDaS14_S15_EUlS14_E_NS1_11comp_targetILNS1_3genE5ELNS1_11target_archE942ELNS1_3gpuE9ELNS1_3repE0EEENS1_30default_config_static_selectorELNS0_4arch9wavefront6targetE1EEEvT1_
                                        ; -- End function
	.section	.AMDGPU.csdata,"",@progbits
; Kernel info:
; codeLenInByte = 0
; NumSgprs: 4
; NumVgprs: 0
; NumAgprs: 0
; TotalNumVgprs: 0
; ScratchSize: 0
; MemoryBound: 0
; FloatMode: 240
; IeeeMode: 1
; LDSByteSize: 0 bytes/workgroup (compile time only)
; SGPRBlocks: 0
; VGPRBlocks: 0
; NumSGPRsForWavesPerEU: 4
; NumVGPRsForWavesPerEU: 1
; AccumOffset: 4
; Occupancy: 8
; WaveLimiterHint : 0
; COMPUTE_PGM_RSRC2:SCRATCH_EN: 0
; COMPUTE_PGM_RSRC2:USER_SGPR: 6
; COMPUTE_PGM_RSRC2:TRAP_HANDLER: 0
; COMPUTE_PGM_RSRC2:TGID_X_EN: 1
; COMPUTE_PGM_RSRC2:TGID_Y_EN: 0
; COMPUTE_PGM_RSRC2:TGID_Z_EN: 0
; COMPUTE_PGM_RSRC2:TIDIG_COMP_CNT: 0
; COMPUTE_PGM_RSRC3_GFX90A:ACCUM_OFFSET: 0
; COMPUTE_PGM_RSRC3_GFX90A:TG_SPLIT: 0
	.section	.text._ZN7rocprim17ROCPRIM_400000_NS6detail17trampoline_kernelINS0_14default_configENS1_25partition_config_selectorILNS1_17partition_subalgoE0EjNS0_10empty_typeEbEEZZNS1_14partition_implILS5_0ELb0ES3_jN6thrust23THRUST_200600_302600_NS6detail15normal_iteratorINSA_10device_ptrIjEEEEPS6_SG_NS0_5tupleIJSF_NSA_16discard_iteratorINSA_11use_defaultEEEEEENSH_IJSG_SG_EEES6_PlJ7is_evenIjEEEE10hipError_tPvRmT3_T4_T5_T6_T7_T9_mT8_P12ihipStream_tbDpT10_ENKUlT_T0_E_clISt17integral_constantIbLb1EES19_EEDaS14_S15_EUlS14_E_NS1_11comp_targetILNS1_3genE4ELNS1_11target_archE910ELNS1_3gpuE8ELNS1_3repE0EEENS1_30default_config_static_selectorELNS0_4arch9wavefront6targetE1EEEvT1_,"axG",@progbits,_ZN7rocprim17ROCPRIM_400000_NS6detail17trampoline_kernelINS0_14default_configENS1_25partition_config_selectorILNS1_17partition_subalgoE0EjNS0_10empty_typeEbEEZZNS1_14partition_implILS5_0ELb0ES3_jN6thrust23THRUST_200600_302600_NS6detail15normal_iteratorINSA_10device_ptrIjEEEEPS6_SG_NS0_5tupleIJSF_NSA_16discard_iteratorINSA_11use_defaultEEEEEENSH_IJSG_SG_EEES6_PlJ7is_evenIjEEEE10hipError_tPvRmT3_T4_T5_T6_T7_T9_mT8_P12ihipStream_tbDpT10_ENKUlT_T0_E_clISt17integral_constantIbLb1EES19_EEDaS14_S15_EUlS14_E_NS1_11comp_targetILNS1_3genE4ELNS1_11target_archE910ELNS1_3gpuE8ELNS1_3repE0EEENS1_30default_config_static_selectorELNS0_4arch9wavefront6targetE1EEEvT1_,comdat
	.protected	_ZN7rocprim17ROCPRIM_400000_NS6detail17trampoline_kernelINS0_14default_configENS1_25partition_config_selectorILNS1_17partition_subalgoE0EjNS0_10empty_typeEbEEZZNS1_14partition_implILS5_0ELb0ES3_jN6thrust23THRUST_200600_302600_NS6detail15normal_iteratorINSA_10device_ptrIjEEEEPS6_SG_NS0_5tupleIJSF_NSA_16discard_iteratorINSA_11use_defaultEEEEEENSH_IJSG_SG_EEES6_PlJ7is_evenIjEEEE10hipError_tPvRmT3_T4_T5_T6_T7_T9_mT8_P12ihipStream_tbDpT10_ENKUlT_T0_E_clISt17integral_constantIbLb1EES19_EEDaS14_S15_EUlS14_E_NS1_11comp_targetILNS1_3genE4ELNS1_11target_archE910ELNS1_3gpuE8ELNS1_3repE0EEENS1_30default_config_static_selectorELNS0_4arch9wavefront6targetE1EEEvT1_ ; -- Begin function _ZN7rocprim17ROCPRIM_400000_NS6detail17trampoline_kernelINS0_14default_configENS1_25partition_config_selectorILNS1_17partition_subalgoE0EjNS0_10empty_typeEbEEZZNS1_14partition_implILS5_0ELb0ES3_jN6thrust23THRUST_200600_302600_NS6detail15normal_iteratorINSA_10device_ptrIjEEEEPS6_SG_NS0_5tupleIJSF_NSA_16discard_iteratorINSA_11use_defaultEEEEEENSH_IJSG_SG_EEES6_PlJ7is_evenIjEEEE10hipError_tPvRmT3_T4_T5_T6_T7_T9_mT8_P12ihipStream_tbDpT10_ENKUlT_T0_E_clISt17integral_constantIbLb1EES19_EEDaS14_S15_EUlS14_E_NS1_11comp_targetILNS1_3genE4ELNS1_11target_archE910ELNS1_3gpuE8ELNS1_3repE0EEENS1_30default_config_static_selectorELNS0_4arch9wavefront6targetE1EEEvT1_
	.globl	_ZN7rocprim17ROCPRIM_400000_NS6detail17trampoline_kernelINS0_14default_configENS1_25partition_config_selectorILNS1_17partition_subalgoE0EjNS0_10empty_typeEbEEZZNS1_14partition_implILS5_0ELb0ES3_jN6thrust23THRUST_200600_302600_NS6detail15normal_iteratorINSA_10device_ptrIjEEEEPS6_SG_NS0_5tupleIJSF_NSA_16discard_iteratorINSA_11use_defaultEEEEEENSH_IJSG_SG_EEES6_PlJ7is_evenIjEEEE10hipError_tPvRmT3_T4_T5_T6_T7_T9_mT8_P12ihipStream_tbDpT10_ENKUlT_T0_E_clISt17integral_constantIbLb1EES19_EEDaS14_S15_EUlS14_E_NS1_11comp_targetILNS1_3genE4ELNS1_11target_archE910ELNS1_3gpuE8ELNS1_3repE0EEENS1_30default_config_static_selectorELNS0_4arch9wavefront6targetE1EEEvT1_
	.p2align	8
	.type	_ZN7rocprim17ROCPRIM_400000_NS6detail17trampoline_kernelINS0_14default_configENS1_25partition_config_selectorILNS1_17partition_subalgoE0EjNS0_10empty_typeEbEEZZNS1_14partition_implILS5_0ELb0ES3_jN6thrust23THRUST_200600_302600_NS6detail15normal_iteratorINSA_10device_ptrIjEEEEPS6_SG_NS0_5tupleIJSF_NSA_16discard_iteratorINSA_11use_defaultEEEEEENSH_IJSG_SG_EEES6_PlJ7is_evenIjEEEE10hipError_tPvRmT3_T4_T5_T6_T7_T9_mT8_P12ihipStream_tbDpT10_ENKUlT_T0_E_clISt17integral_constantIbLb1EES19_EEDaS14_S15_EUlS14_E_NS1_11comp_targetILNS1_3genE4ELNS1_11target_archE910ELNS1_3gpuE8ELNS1_3repE0EEENS1_30default_config_static_selectorELNS0_4arch9wavefront6targetE1EEEvT1_,@function
_ZN7rocprim17ROCPRIM_400000_NS6detail17trampoline_kernelINS0_14default_configENS1_25partition_config_selectorILNS1_17partition_subalgoE0EjNS0_10empty_typeEbEEZZNS1_14partition_implILS5_0ELb0ES3_jN6thrust23THRUST_200600_302600_NS6detail15normal_iteratorINSA_10device_ptrIjEEEEPS6_SG_NS0_5tupleIJSF_NSA_16discard_iteratorINSA_11use_defaultEEEEEENSH_IJSG_SG_EEES6_PlJ7is_evenIjEEEE10hipError_tPvRmT3_T4_T5_T6_T7_T9_mT8_P12ihipStream_tbDpT10_ENKUlT_T0_E_clISt17integral_constantIbLb1EES19_EEDaS14_S15_EUlS14_E_NS1_11comp_targetILNS1_3genE4ELNS1_11target_archE910ELNS1_3gpuE8ELNS1_3repE0EEENS1_30default_config_static_selectorELNS0_4arch9wavefront6targetE1EEEvT1_: ; @_ZN7rocprim17ROCPRIM_400000_NS6detail17trampoline_kernelINS0_14default_configENS1_25partition_config_selectorILNS1_17partition_subalgoE0EjNS0_10empty_typeEbEEZZNS1_14partition_implILS5_0ELb0ES3_jN6thrust23THRUST_200600_302600_NS6detail15normal_iteratorINSA_10device_ptrIjEEEEPS6_SG_NS0_5tupleIJSF_NSA_16discard_iteratorINSA_11use_defaultEEEEEENSH_IJSG_SG_EEES6_PlJ7is_evenIjEEEE10hipError_tPvRmT3_T4_T5_T6_T7_T9_mT8_P12ihipStream_tbDpT10_ENKUlT_T0_E_clISt17integral_constantIbLb1EES19_EEDaS14_S15_EUlS14_E_NS1_11comp_targetILNS1_3genE4ELNS1_11target_archE910ELNS1_3gpuE8ELNS1_3repE0EEENS1_30default_config_static_selectorELNS0_4arch9wavefront6targetE1EEEvT1_
; %bb.0:
	s_load_dwordx2 s[24:25], s[4:5], 0x28
	s_load_dwordx4 s[20:23], s[4:5], 0x50
	s_load_dwordx2 s[2:3], s[4:5], 0x60
	s_load_dwordx2 s[26:27], s[4:5], 0x70
	v_cmp_eq_u32_e64 s[0:1], 0, v0
	s_and_saveexec_b64 s[6:7], s[0:1]
	s_cbranch_execz .LBB2437_4
; %bb.1:
	s_mov_b64 s[10:11], exec
	v_mbcnt_lo_u32_b32 v1, s10, 0
	v_mbcnt_hi_u32_b32 v1, s11, v1
	v_cmp_eq_u32_e32 vcc, 0, v1
                                        ; implicit-def: $vgpr2
	s_and_saveexec_b64 s[8:9], vcc
	s_cbranch_execz .LBB2437_3
; %bb.2:
	s_load_dwordx2 s[12:13], s[4:5], 0x80
	s_bcnt1_i32_b64 s10, s[10:11]
	v_mov_b32_e32 v2, 0
	v_mov_b32_e32 v3, s10
	s_waitcnt lgkmcnt(0)
	global_atomic_add v2, v2, v3, s[12:13] glc
.LBB2437_3:
	s_or_b64 exec, exec, s[8:9]
	s_waitcnt vmcnt(0)
	v_readfirstlane_b32 s8, v2
	v_add_u32_e32 v1, s8, v1
	v_mov_b32_e32 v2, 0
	ds_write_b32 v2, v1
.LBB2437_4:
	s_or_b64 exec, exec, s[6:7]
	v_mov_b32_e32 v3, 0
	s_load_dwordx4 s[8:11], s[4:5], 0x8
	s_load_dword s6, s[4:5], 0x78
	s_waitcnt lgkmcnt(0)
	s_barrier
	ds_read_b32 v1, v3
	s_waitcnt lgkmcnt(0)
	s_barrier
	global_load_dwordx2 v[12:13], v3, s[22:23]
	v_mov_b32_e32 v5, s3
	s_lshl_b64 s[4:5], s[10:11], 2
	s_movk_i32 s3, 0xa00
	s_add_u32 s7, s8, s4
	v_mul_lo_u32 v2, v1, s3
	s_mul_i32 s3, s6, 0xa00
	s_addc_u32 s8, s9, s5
	s_add_i32 s5, s3, s10
	s_add_i32 s4, s6, -1
	s_sub_i32 s33, s2, s5
	v_mov_b32_e32 v4, s2
	s_add_u32 s2, s10, s3
	v_readfirstlane_b32 s36, v1
	s_addc_u32 s3, s11, 0
	s_cmp_eq_u32 s36, s4
	s_cselect_b64 s[22:23], -1, 0
	s_cmp_lg_u32 s36, s4
	v_cmp_lt_u64_e32 vcc, s[2:3], v[4:5]
	s_cselect_b64 s[2:3], -1, 0
	v_lshlrev_b64 v[2:3], 2, v[2:3]
	s_or_b64 s[4:5], vcc, s[2:3]
	v_mov_b32_e32 v1, s8
	v_add_co_u32_e32 v14, vcc, s7, v2
	v_addc_co_u32_e32 v15, vcc, v1, v3, vcc
	s_mov_b64 s[2:3], -1
	s_and_b64 vcc, exec, s[4:5]
	v_lshlrev_b32_e32 v1, 2, v0
	s_cbranch_vccz .LBB2437_6
; %bb.5:
	v_add_co_u32_e32 v2, vcc, v14, v1
	v_addc_co_u32_e32 v3, vcc, 0, v15, vcc
	v_add_co_u32_e32 v4, vcc, 0x1000, v2
	v_addc_co_u32_e32 v5, vcc, 0, v3, vcc
	flat_load_dword v6, v[2:3]
	flat_load_dword v7, v[2:3] offset:1024
	flat_load_dword v8, v[2:3] offset:2048
	;; [unrolled: 1-line block ×3, first 2 shown]
	flat_load_dword v10, v[4:5]
	flat_load_dword v11, v[4:5] offset:1024
	flat_load_dword v16, v[4:5] offset:2048
	;; [unrolled: 1-line block ×3, first 2 shown]
	v_add_co_u32_e32 v2, vcc, 0x2000, v2
	v_addc_co_u32_e32 v3, vcc, 0, v3, vcc
	flat_load_dword v4, v[2:3]
	flat_load_dword v5, v[2:3] offset:1024
	s_mov_b64 s[2:3], 0
	s_waitcnt vmcnt(0) lgkmcnt(0)
	ds_write2st64_b32 v1, v6, v7 offset1:4
	ds_write2st64_b32 v1, v8, v9 offset0:8 offset1:12
	ds_write2st64_b32 v1, v10, v11 offset0:16 offset1:20
	;; [unrolled: 1-line block ×4, first 2 shown]
	s_waitcnt lgkmcnt(0)
	s_barrier
.LBB2437_6:
	s_andn2_b64 vcc, exec, s[2:3]
	s_addk_i32 s33, 0xa00
	s_cbranch_vccnz .LBB2437_28
; %bb.7:
	v_cmp_gt_u32_e32 vcc, s33, v0
                                        ; implicit-def: $vgpr2_vgpr3_vgpr4_vgpr5_vgpr6_vgpr7_vgpr8_vgpr9_vgpr10_vgpr11
	s_and_saveexec_b64 s[2:3], vcc
	s_cbranch_execz .LBB2437_9
; %bb.8:
	v_add_co_u32_e32 v2, vcc, v14, v1
	v_addc_co_u32_e32 v3, vcc, 0, v15, vcc
	flat_load_dword v2, v[2:3]
.LBB2437_9:
	s_or_b64 exec, exec, s[2:3]
	v_or_b32_e32 v16, 0x100, v0
	v_cmp_gt_u32_e32 vcc, s33, v16
	s_and_saveexec_b64 s[2:3], vcc
	s_cbranch_execz .LBB2437_11
; %bb.10:
	v_add_co_u32_e32 v16, vcc, v14, v1
	v_addc_co_u32_e32 v17, vcc, 0, v15, vcc
	flat_load_dword v3, v[16:17] offset:1024
.LBB2437_11:
	s_or_b64 exec, exec, s[2:3]
	v_or_b32_e32 v16, 0x200, v0
	v_cmp_gt_u32_e32 vcc, s33, v16
	s_and_saveexec_b64 s[2:3], vcc
	s_cbranch_execz .LBB2437_13
; %bb.12:
	v_add_co_u32_e32 v16, vcc, v14, v1
	v_addc_co_u32_e32 v17, vcc, 0, v15, vcc
	flat_load_dword v4, v[16:17] offset:2048
.LBB2437_13:
	;; [unrolled: 10-line block ×3, first 2 shown]
	s_or_b64 exec, exec, s[2:3]
	v_or_b32_e32 v16, 0x400, v0
	v_cmp_gt_u32_e32 vcc, s33, v16
	s_and_saveexec_b64 s[2:3], vcc
	s_cbranch_execz .LBB2437_17
; %bb.16:
	v_lshlrev_b32_e32 v6, 2, v16
	v_add_co_u32_e32 v16, vcc, v14, v6
	v_addc_co_u32_e32 v17, vcc, 0, v15, vcc
	flat_load_dword v6, v[16:17]
.LBB2437_17:
	s_or_b64 exec, exec, s[2:3]
	v_or_b32_e32 v16, 0x500, v0
	v_cmp_gt_u32_e32 vcc, s33, v16
	s_and_saveexec_b64 s[2:3], vcc
	s_cbranch_execz .LBB2437_19
; %bb.18:
	v_lshlrev_b32_e32 v7, 2, v16
	v_add_co_u32_e32 v16, vcc, v14, v7
	v_addc_co_u32_e32 v17, vcc, 0, v15, vcc
	flat_load_dword v7, v[16:17]
.LBB2437_19:
	;; [unrolled: 11-line block ×6, first 2 shown]
	s_or_b64 exec, exec, s[2:3]
	s_waitcnt vmcnt(0) lgkmcnt(0)
	ds_write2st64_b32 v1, v2, v3 offset1:4
	ds_write2st64_b32 v1, v4, v5 offset0:8 offset1:12
	ds_write2st64_b32 v1, v6, v7 offset0:16 offset1:20
	ds_write2st64_b32 v1, v8, v9 offset0:24 offset1:28
	ds_write2st64_b32 v1, v10, v11 offset0:32 offset1:36
	s_waitcnt lgkmcnt(0)
	s_barrier
.LBB2437_28:
	v_mul_u32_u24_e32 v25, 10, v0
	v_lshlrev_b32_e32 v31, 2, v25
	ds_read2_b64 v[6:9], v31 offset1:1
	ds_read2_b64 v[2:5], v31 offset0:2 offset1:3
	ds_read_b64 v[10:11], v31 offset:32
	v_cndmask_b32_e64 v14, 0, 1, s[4:5]
	v_cmp_ne_u32_e64 s[2:3], 1, v14
	s_andn2_b64 vcc, exec, s[4:5]
	s_waitcnt lgkmcnt(2)
	v_xor_b32_e32 v23, -1, v6
	v_xor_b32_e32 v22, -1, v7
	;; [unrolled: 1-line block ×4, first 2 shown]
	s_waitcnt lgkmcnt(1)
	v_xor_b32_e32 v19, -1, v2
	v_xor_b32_e32 v18, -1, v3
	v_xor_b32_e32 v17, -1, v4
	v_xor_b32_e32 v16, -1, v5
	s_waitcnt lgkmcnt(0)
	v_xor_b32_e32 v15, -1, v10
	v_xor_b32_e32 v14, -1, v11
	s_barrier
	s_cbranch_vccnz .LBB2437_30
; %bb.29:
	v_mov_b32_e32 v24, 1
	v_and_b32_e32 v27, 1, v23
	v_and_b32_sdwa v28, v22, v24 dst_sel:BYTE_1 dst_unused:UNUSED_PAD src0_sel:DWORD src1_sel:DWORD
	v_and_b32_e32 v29, 1, v21
	v_and_b32_sdwa v30, v20, v24 dst_sel:BYTE_1 dst_unused:UNUSED_PAD src0_sel:DWORD src1_sel:DWORD
	v_and_b32_e32 v32, 1, v19
	v_and_b32_sdwa v33, v18, v24 dst_sel:BYTE_1 dst_unused:UNUSED_PAD src0_sel:DWORD src1_sel:DWORD
	v_and_b32_e32 v34, 1, v17
	v_and_b32_sdwa v35, v16, v24 dst_sel:BYTE_1 dst_unused:UNUSED_PAD src0_sel:DWORD src1_sel:DWORD
	v_or_b32_e32 v27, v27, v28
	v_or_b32_sdwa v28, v29, v30 dst_sel:WORD_1 dst_unused:UNUSED_PAD src0_sel:DWORD src1_sel:DWORD
	v_or_b32_sdwa v28, v27, v28 dst_sel:DWORD dst_unused:UNUSED_PAD src0_sel:WORD_0 src1_sel:DWORD
	v_or_b32_e32 v27, v32, v33
	v_or_b32_sdwa v29, v34, v35 dst_sel:WORD_1 dst_unused:UNUSED_PAD src0_sel:DWORD src1_sel:DWORD
	v_and_b32_e32 v26, 1, v15
	v_and_b32_e32 v24, 1, v14
	v_or_b32_sdwa v27, v27, v29 dst_sel:DWORD dst_unused:UNUSED_PAD src0_sel:WORD_0 src1_sel:DWORD
	s_cbranch_execz .LBB2437_31
	s_branch .LBB2437_32
.LBB2437_30:
                                        ; implicit-def: $vgpr24
                                        ; implicit-def: $vgpr26
                                        ; implicit-def: $vgpr27
                                        ; implicit-def: $vgpr28
.LBB2437_31:
	v_or_b32_e32 v34, 1, v25
	v_cmp_gt_u32_e32 vcc, s33, v25
	v_add_u32_e32 v24, 2, v25
	v_cndmask_b32_e64 v35, 0, 1, vcc
	v_cmp_gt_u32_e32 vcc, s33, v34
	v_add_u32_e32 v33, 3, v25
	v_cndmask_b32_e64 v34, 0, 1, vcc
	;; [unrolled: 3-line block ×3, first 2 shown]
	v_cmp_gt_u32_e32 vcc, s33, v33
	v_add_u32_e32 v32, 5, v25
	v_and_b32_e32 v21, v24, v21
	v_cndmask_b32_e64 v24, 0, 1, vcc
	v_cmp_gt_u32_e32 vcc, s33, v26
	v_add_u32_e32 v27, 6, v25
	v_and_b32_sdwa v20, v24, v20 dst_sel:BYTE_1 dst_unused:UNUSED_PAD src0_sel:DWORD src1_sel:DWORD
	v_cndmask_b32_e64 v24, 0, 1, vcc
	v_cmp_gt_u32_e32 vcc, s33, v32
	v_add_u32_e32 v30, 7, v25
	v_and_b32_e32 v19, v24, v19
	v_cndmask_b32_e64 v24, 0, 1, vcc
	v_cmp_gt_u32_e32 vcc, s33, v27
	v_add_u32_e32 v28, 8, v25
	v_and_b32_sdwa v18, v24, v18 dst_sel:BYTE_1 dst_unused:UNUSED_PAD src0_sel:DWORD src1_sel:DWORD
	v_cndmask_b32_e64 v24, 0, 1, vcc
	v_cmp_gt_u32_e32 vcc, s33, v30
	v_add_u32_e32 v29, 9, v25
	v_and_b32_e32 v17, v24, v17
	v_cndmask_b32_e64 v24, 0, 1, vcc
	v_cmp_gt_u32_e32 vcc, s33, v28
	v_and_b32_sdwa v16, v24, v16 dst_sel:BYTE_1 dst_unused:UNUSED_PAD src0_sel:DWORD src1_sel:DWORD
	v_cndmask_b32_e64 v24, 0, 1, vcc
	v_cmp_gt_u32_e32 vcc, s33, v29
	v_and_b32_e32 v23, v35, v23
	v_and_b32_sdwa v22, v34, v22 dst_sel:BYTE_1 dst_unused:UNUSED_PAD src0_sel:DWORD src1_sel:DWORD
	v_and_b32_e32 v26, v24, v15
	v_cndmask_b32_e64 v15, 0, 1, vcc
	v_and_b32_e32 v24, v15, v14
	v_or_b32_e32 v14, v23, v22
	v_or_b32_sdwa v15, v21, v20 dst_sel:WORD_1 dst_unused:UNUSED_PAD src0_sel:DWORD src1_sel:DWORD
	v_or_b32_sdwa v28, v14, v15 dst_sel:DWORD dst_unused:UNUSED_PAD src0_sel:WORD_0 src1_sel:DWORD
	v_or_b32_e32 v14, v19, v18
	v_or_b32_sdwa v15, v17, v16 dst_sel:WORD_1 dst_unused:UNUSED_PAD src0_sel:DWORD src1_sel:DWORD
	v_or_b32_sdwa v27, v14, v15 dst_sel:DWORD dst_unused:UNUSED_PAD src0_sel:WORD_0 src1_sel:DWORD
.LBB2437_32:
	v_bfe_u32 v32, v28, 16, 8
	v_lshrrev_b32_e32 v30, 24, v28
	v_add_u32_sdwa v15, v28, v28 dst_sel:DWORD dst_unused:UNUSED_PAD src0_sel:BYTE_1 src1_sel:BYTE_0
	v_and_b32_e32 v33, 0xff, v27
	v_bfe_u32 v34, v27, 8, 8
	v_add3_u32 v15, v15, v32, v30
	v_bfe_u32 v35, v27, 16, 8
	v_lshrrev_b32_e32 v29, 24, v27
	v_add3_u32 v15, v15, v33, v34
	v_and_b32_e32 v36, 0xff, v26
	v_and_b32_e32 v14, 0xff, v24
	v_add3_u32 v15, v15, v35, v29
	v_add3_u32 v39, v15, v36, v14
	v_mbcnt_lo_u32_b32 v14, -1, 0
	v_mbcnt_hi_u32_b32 v37, -1, v14
	v_and_b32_e32 v14, 15, v37
	v_cmp_eq_u32_e64 s[16:17], 0, v14
	v_cmp_lt_u32_e64 s[14:15], 1, v14
	v_cmp_lt_u32_e64 s[12:13], 3, v14
	v_cmp_lt_u32_e64 s[10:11], 7, v14
	v_and_b32_e32 v14, 16, v37
	v_cmp_eq_u32_e64 s[8:9], 0, v14
	v_or_b32_e32 v14, 63, v0
	s_cmp_lg_u32 s36, 0
	v_cmp_lt_u32_e64 s[4:5], 31, v37
	v_lshrrev_b32_e32 v38, 6, v0
	v_cmp_eq_u32_e64 s[6:7], v14, v0
	s_cbranch_scc0 .LBB2437_63
; %bb.33:
	v_mov_b32_dpp v14, v39 row_shr:1 row_mask:0xf bank_mask:0xf
	v_cndmask_b32_e64 v14, v14, 0, s[16:17]
	v_add_u32_e32 v14, v14, v39
	s_nop 1
	v_mov_b32_dpp v15, v14 row_shr:2 row_mask:0xf bank_mask:0xf
	v_cndmask_b32_e64 v15, 0, v15, s[14:15]
	v_add_u32_e32 v14, v14, v15
	s_nop 1
	;; [unrolled: 4-line block ×4, first 2 shown]
	v_mov_b32_dpp v15, v14 row_bcast:15 row_mask:0xf bank_mask:0xf
	v_cndmask_b32_e64 v15, v15, 0, s[8:9]
	v_add_u32_e32 v14, v14, v15
	s_nop 1
	v_mov_b32_dpp v15, v14 row_bcast:31 row_mask:0xf bank_mask:0xf
	v_cndmask_b32_e64 v15, 0, v15, s[4:5]
	v_add_u32_e32 v14, v14, v15
	s_and_saveexec_b64 s[18:19], s[6:7]
	s_cbranch_execz .LBB2437_35
; %bb.34:
	v_lshlrev_b32_e32 v15, 2, v38
	ds_write_b32 v15, v14
.LBB2437_35:
	s_or_b64 exec, exec, s[18:19]
	v_cmp_gt_u32_e32 vcc, 4, v0
	s_waitcnt lgkmcnt(0)
	s_barrier
	s_and_saveexec_b64 s[18:19], vcc
	s_cbranch_execz .LBB2437_37
; %bb.36:
	ds_read_b32 v15, v1
	v_and_b32_e32 v16, 3, v37
	v_cmp_ne_u32_e32 vcc, 0, v16
	s_waitcnt lgkmcnt(0)
	v_mov_b32_dpp v17, v15 row_shr:1 row_mask:0xf bank_mask:0xf
	v_cndmask_b32_e32 v17, 0, v17, vcc
	v_add_u32_e32 v15, v17, v15
	v_cmp_lt_u32_e32 vcc, 1, v16
	s_nop 0
	v_mov_b32_dpp v17, v15 row_shr:2 row_mask:0xf bank_mask:0xf
	v_cndmask_b32_e32 v16, 0, v17, vcc
	v_add_u32_e32 v15, v15, v16
	ds_write_b32 v1, v15
.LBB2437_37:
	s_or_b64 exec, exec, s[18:19]
	v_cmp_gt_u32_e32 vcc, 64, v0
	v_cmp_lt_u32_e64 s[18:19], 63, v0
	s_waitcnt lgkmcnt(0)
	s_barrier
	s_waitcnt lgkmcnt(0)
                                        ; implicit-def: $vgpr40
	s_and_saveexec_b64 s[28:29], s[18:19]
	s_cbranch_execz .LBB2437_39
; %bb.38:
	v_lshl_add_u32 v15, v38, 2, -4
	ds_read_b32 v40, v15
	s_waitcnt lgkmcnt(0)
	v_add_u32_e32 v14, v40, v14
.LBB2437_39:
	s_or_b64 exec, exec, s[28:29]
	v_add_u32_e32 v15, -1, v37
	v_and_b32_e32 v16, 64, v37
	v_cmp_lt_i32_e64 s[18:19], v15, v16
	v_cndmask_b32_e64 v15, v15, v37, s[18:19]
	v_lshlrev_b32_e32 v15, 2, v15
	ds_bpermute_b32 v41, v15, v14
	v_cmp_eq_u32_e64 s[18:19], 0, v37
	s_and_saveexec_b64 s[28:29], vcc
	s_cbranch_execz .LBB2437_62
; %bb.40:
	v_mov_b32_e32 v23, 0
	ds_read_b32 v14, v23 offset:12
	s_and_saveexec_b64 s[30:31], s[18:19]
	s_cbranch_execz .LBB2437_42
; %bb.41:
	s_add_i32 s34, s36, 64
	s_mov_b32 s35, 0
	s_lshl_b64 s[34:35], s[34:35], 3
	s_add_u32 s34, s26, s34
	v_mov_b32_e32 v15, 1
	s_addc_u32 s35, s27, s35
	s_waitcnt lgkmcnt(0)
	global_store_dwordx2 v23, v[14:15], s[34:35]
.LBB2437_42:
	s_or_b64 exec, exec, s[30:31]
	v_xad_u32 v16, v37, -1, s36
	v_add_u32_e32 v22, 64, v16
	v_lshlrev_b64 v[18:19], 3, v[22:23]
	v_mov_b32_e32 v15, s27
	v_add_co_u32_e32 v18, vcc, s26, v18
	v_addc_co_u32_e32 v19, vcc, v15, v19, vcc
	global_load_dwordx2 v[20:21], v[18:19], off glc
	s_waitcnt vmcnt(0)
	v_cmp_eq_u16_sdwa s[34:35], v21, v23 src0_sel:BYTE_0 src1_sel:DWORD
	s_and_saveexec_b64 s[30:31], s[34:35]
	s_cbranch_execz .LBB2437_48
; %bb.43:
	s_mov_b32 s37, 1
	s_mov_b64 s[34:35], 0
	v_mov_b32_e32 v15, 0
.LBB2437_44:                            ; =>This Loop Header: Depth=1
                                        ;     Child Loop BB2437_45 Depth 2
	s_max_u32 s38, s37, 1
.LBB2437_45:                            ;   Parent Loop BB2437_44 Depth=1
                                        ; =>  This Inner Loop Header: Depth=2
	s_add_i32 s38, s38, -1
	s_cmp_eq_u32 s38, 0
	s_sleep 1
	s_cbranch_scc0 .LBB2437_45
; %bb.46:                               ;   in Loop: Header=BB2437_44 Depth=1
	global_load_dwordx2 v[20:21], v[18:19], off glc
	s_cmp_lt_u32 s37, 32
	s_cselect_b64 s[38:39], -1, 0
	s_cmp_lg_u64 s[38:39], 0
	s_addc_u32 s37, s37, 0
	s_waitcnt vmcnt(0)
	v_cmp_ne_u16_sdwa s[38:39], v21, v15 src0_sel:BYTE_0 src1_sel:DWORD
	s_or_b64 s[34:35], s[38:39], s[34:35]
	s_andn2_b64 exec, exec, s[34:35]
	s_cbranch_execnz .LBB2437_44
; %bb.47:
	s_or_b64 exec, exec, s[34:35]
.LBB2437_48:
	s_or_b64 exec, exec, s[30:31]
	v_and_b32_e32 v43, 63, v37
	v_mov_b32_e32 v42, 2
	v_cmp_ne_u32_e32 vcc, 63, v43
	v_cmp_eq_u16_sdwa s[30:31], v21, v42 src0_sel:BYTE_0 src1_sel:DWORD
	v_lshlrev_b64 v[18:19], v37, -1
	v_addc_co_u32_e32 v22, vcc, 0, v37, vcc
	v_and_b32_e32 v15, s31, v19
	v_lshlrev_b32_e32 v44, 2, v22
	v_or_b32_e32 v15, 0x80000000, v15
	ds_bpermute_b32 v22, v44, v20
	v_and_b32_e32 v17, s30, v18
	v_ffbl_b32_e32 v15, v15
	v_add_u32_e32 v15, 32, v15
	v_ffbl_b32_e32 v17, v17
	v_min_u32_e32 v15, v17, v15
	v_cmp_lt_u32_e32 vcc, v43, v15
	s_waitcnt lgkmcnt(0)
	v_cndmask_b32_e32 v17, 0, v22, vcc
	v_cmp_gt_u32_e32 vcc, 62, v43
	v_add_u32_e32 v17, v17, v20
	v_cndmask_b32_e64 v20, 0, 1, vcc
	v_lshlrev_b32_e32 v20, 1, v20
	v_add_lshl_u32 v45, v20, v37, 2
	ds_bpermute_b32 v20, v45, v17
	v_add_u32_e32 v46, 2, v43
	v_cmp_le_u32_e32 vcc, v46, v15
	v_add_u32_e32 v48, 4, v43
	v_add_u32_e32 v50, 8, v43
	s_waitcnt lgkmcnt(0)
	v_cndmask_b32_e32 v20, 0, v20, vcc
	v_cmp_gt_u32_e32 vcc, 60, v43
	v_add_u32_e32 v17, v17, v20
	v_cndmask_b32_e64 v20, 0, 1, vcc
	v_lshlrev_b32_e32 v20, 2, v20
	v_add_lshl_u32 v47, v20, v37, 2
	ds_bpermute_b32 v20, v47, v17
	v_cmp_le_u32_e32 vcc, v48, v15
	v_add_u32_e32 v52, 16, v43
	v_add_u32_e32 v54, 32, v43
	s_waitcnt lgkmcnt(0)
	v_cndmask_b32_e32 v20, 0, v20, vcc
	v_cmp_gt_u32_e32 vcc, 56, v43
	v_add_u32_e32 v17, v17, v20
	v_cndmask_b32_e64 v20, 0, 1, vcc
	v_lshlrev_b32_e32 v20, 3, v20
	v_add_lshl_u32 v49, v20, v37, 2
	ds_bpermute_b32 v20, v49, v17
	v_cmp_le_u32_e32 vcc, v50, v15
	s_waitcnt lgkmcnt(0)
	v_cndmask_b32_e32 v20, 0, v20, vcc
	v_cmp_gt_u32_e32 vcc, 48, v43
	v_add_u32_e32 v17, v17, v20
	v_cndmask_b32_e64 v20, 0, 1, vcc
	v_lshlrev_b32_e32 v20, 4, v20
	v_add_lshl_u32 v51, v20, v37, 2
	ds_bpermute_b32 v20, v51, v17
	v_cmp_le_u32_e32 vcc, v52, v15
	;; [unrolled: 9-line block ×3, first 2 shown]
	s_waitcnt lgkmcnt(0)
	v_cndmask_b32_e32 v15, 0, v20, vcc
	v_add_u32_e32 v20, v17, v15
	v_mov_b32_e32 v17, 0
	s_branch .LBB2437_50
.LBB2437_49:                            ;   in Loop: Header=BB2437_50 Depth=1
	s_or_b64 exec, exec, s[30:31]
	v_cmp_eq_u16_sdwa s[30:31], v21, v42 src0_sel:BYTE_0 src1_sel:DWORD
	v_and_b32_e32 v22, s31, v19
	v_or_b32_e32 v22, 0x80000000, v22
	ds_bpermute_b32 v55, v44, v20
	v_and_b32_e32 v23, s30, v18
	v_ffbl_b32_e32 v22, v22
	v_add_u32_e32 v22, 32, v22
	v_ffbl_b32_e32 v23, v23
	v_min_u32_e32 v22, v23, v22
	v_cmp_lt_u32_e32 vcc, v43, v22
	s_waitcnt lgkmcnt(0)
	v_cndmask_b32_e32 v23, 0, v55, vcc
	v_add_u32_e32 v20, v23, v20
	ds_bpermute_b32 v23, v45, v20
	v_cmp_le_u32_e32 vcc, v46, v22
	v_subrev_u32_e32 v16, 64, v16
	s_waitcnt lgkmcnt(0)
	v_cndmask_b32_e32 v23, 0, v23, vcc
	v_add_u32_e32 v20, v20, v23
	ds_bpermute_b32 v23, v47, v20
	v_cmp_le_u32_e32 vcc, v48, v22
	s_waitcnt lgkmcnt(0)
	v_cndmask_b32_e32 v23, 0, v23, vcc
	v_add_u32_e32 v20, v20, v23
	ds_bpermute_b32 v23, v49, v20
	v_cmp_le_u32_e32 vcc, v50, v22
	;; [unrolled: 5-line block ×4, first 2 shown]
	s_waitcnt lgkmcnt(0)
	v_cndmask_b32_e32 v22, 0, v23, vcc
	v_add3_u32 v20, v22, v15, v20
.LBB2437_50:                            ; =>This Loop Header: Depth=1
                                        ;     Child Loop BB2437_53 Depth 2
                                        ;       Child Loop BB2437_54 Depth 3
	v_cmp_ne_u16_sdwa s[30:31], v21, v42 src0_sel:BYTE_0 src1_sel:DWORD
	v_cndmask_b32_e64 v15, 0, 1, s[30:31]
	;;#ASMSTART
	;;#ASMEND
	v_cmp_ne_u32_e32 vcc, 0, v15
	s_cmp_lg_u64 vcc, exec
	v_mov_b32_e32 v15, v20
	s_cbranch_scc1 .LBB2437_57
; %bb.51:                               ;   in Loop: Header=BB2437_50 Depth=1
	v_lshlrev_b64 v[20:21], 3, v[16:17]
	v_mov_b32_e32 v23, s27
	v_add_co_u32_e32 v22, vcc, s26, v20
	v_addc_co_u32_e32 v23, vcc, v23, v21, vcc
	global_load_dwordx2 v[20:21], v[22:23], off glc
	s_waitcnt vmcnt(0)
	v_cmp_eq_u16_sdwa s[34:35], v21, v17 src0_sel:BYTE_0 src1_sel:DWORD
	s_and_saveexec_b64 s[30:31], s[34:35]
	s_cbranch_execz .LBB2437_49
; %bb.52:                               ;   in Loop: Header=BB2437_50 Depth=1
	s_mov_b32 s37, 1
	s_mov_b64 s[34:35], 0
.LBB2437_53:                            ;   Parent Loop BB2437_50 Depth=1
                                        ; =>  This Loop Header: Depth=2
                                        ;       Child Loop BB2437_54 Depth 3
	s_max_u32 s38, s37, 1
.LBB2437_54:                            ;   Parent Loop BB2437_50 Depth=1
                                        ;     Parent Loop BB2437_53 Depth=2
                                        ; =>    This Inner Loop Header: Depth=3
	s_add_i32 s38, s38, -1
	s_cmp_eq_u32 s38, 0
	s_sleep 1
	s_cbranch_scc0 .LBB2437_54
; %bb.55:                               ;   in Loop: Header=BB2437_53 Depth=2
	global_load_dwordx2 v[20:21], v[22:23], off glc
	s_cmp_lt_u32 s37, 32
	s_cselect_b64 s[38:39], -1, 0
	s_cmp_lg_u64 s[38:39], 0
	s_addc_u32 s37, s37, 0
	s_waitcnt vmcnt(0)
	v_cmp_ne_u16_sdwa s[38:39], v21, v17 src0_sel:BYTE_0 src1_sel:DWORD
	s_or_b64 s[34:35], s[38:39], s[34:35]
	s_andn2_b64 exec, exec, s[34:35]
	s_cbranch_execnz .LBB2437_53
; %bb.56:                               ;   in Loop: Header=BB2437_50 Depth=1
	s_or_b64 exec, exec, s[34:35]
	s_branch .LBB2437_49
.LBB2437_57:                            ;   in Loop: Header=BB2437_50 Depth=1
                                        ; implicit-def: $vgpr20
                                        ; implicit-def: $vgpr21
	s_cbranch_execz .LBB2437_50
; %bb.58:
	s_and_saveexec_b64 s[30:31], s[18:19]
	s_cbranch_execz .LBB2437_60
; %bb.59:
	s_add_i32 s34, s36, 64
	s_mov_b32 s35, 0
	s_lshl_b64 s[34:35], s[34:35], 3
	s_add_u32 s34, s26, s34
	v_add_u32_e32 v16, v15, v14
	v_mov_b32_e32 v17, 2
	s_addc_u32 s35, s27, s35
	v_mov_b32_e32 v18, 0
	global_store_dwordx2 v18, v[16:17], s[34:35]
	ds_write_b64 v18, v[14:15] offset:10240
.LBB2437_60:
	s_or_b64 exec, exec, s[30:31]
	s_and_b64 exec, exec, s[0:1]
	s_cbranch_execz .LBB2437_62
; %bb.61:
	v_mov_b32_e32 v14, 0
	ds_write_b32 v14, v15 offset:12
.LBB2437_62:
	s_or_b64 exec, exec, s[28:29]
	v_mov_b32_e32 v14, 0
	s_waitcnt lgkmcnt(0)
	s_barrier
	ds_read_b32 v15, v14 offset:12
	v_cndmask_b32_e64 v16, v41, v40, s[18:19]
	v_cndmask_b32_e64 v16, v16, 0, s[0:1]
	s_waitcnt lgkmcnt(0)
	s_barrier
	v_add_u32_e32 v42, v15, v16
	v_add_u32_sdwa v41, v42, v28 dst_sel:DWORD dst_unused:UNUSED_PAD src0_sel:DWORD src1_sel:BYTE_0
	v_add_u32_sdwa v40, v41, v28 dst_sel:DWORD dst_unused:UNUSED_PAD src0_sel:DWORD src1_sel:BYTE_1
	v_add_u32_e32 v23, v40, v32
	v_add_u32_e32 v22, v23, v30
	ds_read_b64 v[14:15], v14 offset:10240
	v_add_u32_e32 v21, v22, v33
	v_add_u32_e32 v20, v21, v34
	;; [unrolled: 1-line block ×5, first 2 shown]
	s_waitcnt lgkmcnt(0)
	v_mov_b32_e32 v16, v15
	s_branch .LBB2437_73
.LBB2437_63:
                                        ; implicit-def: $vgpr16
                                        ; implicit-def: $vgpr14
                                        ; implicit-def: $vgpr17
                                        ; implicit-def: $vgpr18
                                        ; implicit-def: $vgpr19
                                        ; implicit-def: $vgpr20
                                        ; implicit-def: $vgpr21
                                        ; implicit-def: $vgpr22
                                        ; implicit-def: $vgpr23
                                        ; implicit-def: $vgpr40
                                        ; implicit-def: $vgpr41
                                        ; implicit-def: $vgpr42
	s_cbranch_execz .LBB2437_73
; %bb.64:
	s_nop 0
	v_mov_b32_dpp v14, v39 row_shr:1 row_mask:0xf bank_mask:0xf
	v_cndmask_b32_e64 v14, v14, 0, s[16:17]
	v_add_u32_e32 v14, v14, v39
	s_nop 1
	v_mov_b32_dpp v15, v14 row_shr:2 row_mask:0xf bank_mask:0xf
	v_cndmask_b32_e64 v15, 0, v15, s[14:15]
	v_add_u32_e32 v14, v14, v15
	s_nop 1
	v_mov_b32_dpp v15, v14 row_shr:4 row_mask:0xf bank_mask:0xf
	v_cndmask_b32_e64 v15, 0, v15, s[12:13]
	v_add_u32_e32 v14, v14, v15
	s_nop 1
	v_mov_b32_dpp v15, v14 row_shr:8 row_mask:0xf bank_mask:0xf
	v_cndmask_b32_e64 v15, 0, v15, s[10:11]
	v_add_u32_e32 v14, v14, v15
	s_nop 1
	v_mov_b32_dpp v15, v14 row_bcast:15 row_mask:0xf bank_mask:0xf
	v_cndmask_b32_e64 v15, v15, 0, s[8:9]
	v_add_u32_e32 v14, v14, v15
	s_nop 1
	v_mov_b32_dpp v15, v14 row_bcast:31 row_mask:0xf bank_mask:0xf
	v_cndmask_b32_e64 v15, 0, v15, s[4:5]
	v_add_u32_e32 v14, v14, v15
	s_and_saveexec_b64 s[4:5], s[6:7]
	s_cbranch_execz .LBB2437_66
; %bb.65:
	v_lshlrev_b32_e32 v15, 2, v38
	ds_write_b32 v15, v14
.LBB2437_66:
	s_or_b64 exec, exec, s[4:5]
	v_cmp_gt_u32_e32 vcc, 4, v0
	s_waitcnt lgkmcnt(0)
	s_barrier
	s_and_saveexec_b64 s[4:5], vcc
	s_cbranch_execz .LBB2437_68
; %bb.67:
	s_movk_i32 s6, 0xffdc
	v_mad_i32_i24 v15, v0, s6, v31
	ds_read_b32 v16, v15
	v_and_b32_e32 v17, 3, v37
	v_cmp_ne_u32_e32 vcc, 0, v17
	s_waitcnt lgkmcnt(0)
	v_mov_b32_dpp v18, v16 row_shr:1 row_mask:0xf bank_mask:0xf
	v_cndmask_b32_e32 v18, 0, v18, vcc
	v_add_u32_e32 v16, v18, v16
	v_cmp_lt_u32_e32 vcc, 1, v17
	s_nop 0
	v_mov_b32_dpp v18, v16 row_shr:2 row_mask:0xf bank_mask:0xf
	v_cndmask_b32_e32 v17, 0, v18, vcc
	v_add_u32_e32 v16, v16, v17
	ds_write_b32 v15, v16
.LBB2437_68:
	s_or_b64 exec, exec, s[4:5]
	v_cmp_lt_u32_e32 vcc, 63, v0
	v_mov_b32_e32 v15, 0
	v_mov_b32_e32 v16, 0
	s_waitcnt lgkmcnt(0)
	s_barrier
	s_and_saveexec_b64 s[4:5], vcc
	s_cbranch_execz .LBB2437_70
; %bb.69:
	v_lshl_add_u32 v16, v38, 2, -4
	ds_read_b32 v16, v16
.LBB2437_70:
	s_or_b64 exec, exec, s[4:5]
	v_add_u32_e32 v17, -1, v37
	v_and_b32_e32 v18, 64, v37
	v_cmp_lt_i32_e32 vcc, v17, v18
	v_cndmask_b32_e32 v17, v17, v37, vcc
	s_waitcnt lgkmcnt(0)
	v_add_u32_e32 v14, v16, v14
	v_lshlrev_b32_e32 v17, 2, v17
	ds_bpermute_b32 v17, v17, v14
	ds_read_b32 v14, v15 offset:12
	s_and_saveexec_b64 s[4:5], s[0:1]
	s_cbranch_execz .LBB2437_72
; %bb.71:
	v_mov_b32_e32 v18, 0
	v_mov_b32_e32 v15, 2
	s_waitcnt lgkmcnt(0)
	global_store_dwordx2 v18, v[14:15], s[26:27] offset:512
.LBB2437_72:
	s_or_b64 exec, exec, s[4:5]
	v_cmp_eq_u32_e32 vcc, 0, v37
	s_waitcnt lgkmcnt(1)
	v_cndmask_b32_e32 v15, v17, v16, vcc
	v_cndmask_b32_e64 v42, v15, 0, s[0:1]
	v_add_u32_sdwa v41, v42, v28 dst_sel:DWORD dst_unused:UNUSED_PAD src0_sel:DWORD src1_sel:BYTE_0
	v_add_u32_sdwa v40, v41, v28 dst_sel:DWORD dst_unused:UNUSED_PAD src0_sel:DWORD src1_sel:BYTE_1
	v_add_u32_e32 v23, v40, v32
	v_add_u32_e32 v22, v23, v30
	;; [unrolled: 1-line block ×6, first 2 shown]
	v_mov_b32_e32 v16, 0
	v_add_u32_e32 v17, v18, v36
	s_waitcnt lgkmcnt(0)
	s_barrier
.LBB2437_73:
	v_add_u32_e32 v25, v14, v25
	v_sub_u32_e32 v32, v42, v16
	v_and_b32_e32 v34, 1, v28
	v_sub_u32_e32 v33, v25, v32
	v_cmp_eq_u32_e32 vcc, 1, v34
	v_cndmask_b32_e32 v32, v33, v32, vcc
	v_lshlrev_b32_e32 v32, 2, v32
	v_lshrrev_b32_e32 v31, 8, v28
	ds_write_b32 v32, v6
	v_sub_u32_e32 v6, v41, v16
	v_sub_u32_e32 v32, v25, v6
	v_and_b32_e32 v31, 1, v31
	v_add_u32_e32 v32, 1, v32
	v_cmp_eq_u32_e32 vcc, 1, v31
	v_cndmask_b32_e32 v6, v32, v6, vcc
	v_lshlrev_b32_e32 v6, 2, v6
	ds_write_b32 v6, v7
	v_sub_u32_e32 v6, v40, v16
	v_mov_b32_e32 v31, 1
	v_sub_u32_e32 v7, v25, v6
	v_and_b32_sdwa v28, v31, v28 dst_sel:DWORD dst_unused:UNUSED_PAD src0_sel:DWORD src1_sel:WORD_1
	v_add_u32_e32 v7, 2, v7
	v_cmp_eq_u32_e32 vcc, 1, v28
	v_cndmask_b32_e32 v6, v7, v6, vcc
	v_lshlrev_b32_e32 v6, 2, v6
	ds_write_b32 v6, v8
	v_sub_u32_e32 v6, v23, v16
	v_sub_u32_e32 v7, v25, v6
	v_and_b32_e32 v8, 1, v30
	v_add_u32_e32 v7, 3, v7
	v_cmp_eq_u32_e32 vcc, 1, v8
	v_cndmask_b32_e32 v6, v7, v6, vcc
	v_lshlrev_b32_e32 v6, 2, v6
	ds_write_b32 v6, v9
	v_sub_u32_e32 v6, v22, v16
	v_sub_u32_e32 v7, v25, v6
	v_and_b32_e32 v8, 1, v27
	v_add_u32_e32 v7, 4, v7
	v_cmp_eq_u32_e32 vcc, 1, v8
	v_cndmask_b32_e32 v6, v7, v6, vcc
	v_lshlrev_b32_e32 v6, 2, v6
	v_lshrrev_b32_e32 v15, 8, v27
	ds_write_b32 v6, v2
	v_sub_u32_e32 v2, v21, v16
	v_sub_u32_e32 v6, v25, v2
	v_and_b32_e32 v7, 1, v15
	v_add_u32_e32 v6, 5, v6
	v_cmp_eq_u32_e32 vcc, 1, v7
	v_cndmask_b32_e32 v2, v6, v2, vcc
	v_lshlrev_b32_e32 v2, 2, v2
	ds_write_b32 v2, v3
	v_sub_u32_e32 v2, v20, v16
	v_sub_u32_e32 v3, v25, v2
	v_and_b32_sdwa v6, v31, v27 dst_sel:DWORD dst_unused:UNUSED_PAD src0_sel:DWORD src1_sel:WORD_1
	v_add_u32_e32 v3, 6, v3
	v_cmp_eq_u32_e32 vcc, 1, v6
	v_cndmask_b32_e32 v2, v3, v2, vcc
	v_lshlrev_b32_e32 v2, 2, v2
	ds_write_b32 v2, v4
	v_sub_u32_e32 v2, v19, v16
	v_sub_u32_e32 v3, v25, v2
	v_and_b32_e32 v4, 1, v29
	v_add_u32_e32 v3, 7, v3
	v_cmp_eq_u32_e32 vcc, 1, v4
	v_cndmask_b32_e32 v2, v3, v2, vcc
	v_lshlrev_b32_e32 v2, 2, v2
	ds_write_b32 v2, v5
	v_sub_u32_e32 v2, v18, v16
	v_sub_u32_e32 v3, v25, v2
	v_and_b32_e32 v4, 1, v26
	;; [unrolled: 8-line block ×3, first 2 shown]
	v_add_u32_e32 v3, 9, v3
	v_cmp_eq_u32_e32 vcc, 1, v4
	v_cndmask_b32_e32 v2, v3, v2, vcc
	v_lshlrev_b32_e32 v2, 2, v2
	ds_write_b32 v2, v11
	s_waitcnt lgkmcnt(0)
	s_barrier
	ds_read2st64_b32 v[18:19], v1 offset1:4
	ds_read2st64_b32 v[10:11], v1 offset0:8 offset1:12
	ds_read2st64_b32 v[8:9], v1 offset0:16 offset1:20
	;; [unrolled: 1-line block ×4, first 2 shown]
	v_or_b32_e32 v29, 0x100, v0
	v_or_b32_e32 v28, 0x200, v0
	;; [unrolled: 1-line block ×9, first 2 shown]
	s_and_b64 vcc, exec, s[2:3]
	s_waitcnt vmcnt(0)
	v_lshlrev_b64 v[20:21], 2, v[12:13]
	s_cbranch_vccnz .LBB2437_85
; %bb.74:
	v_mov_b32_e32 v17, 0
	v_mov_b32_e32 v4, s25
	v_add_co_u32_e32 v30, vcc, s24, v20
	v_addc_co_u32_e32 v31, vcc, v4, v21, vcc
	v_lshlrev_b64 v[4:5], 2, v[16:17]
	v_add_co_u32_e32 v4, vcc, v30, v4
	v_addc_co_u32_e32 v5, vcc, v31, v5, vcc
	v_cmp_gt_u32_e32 vcc, v14, v0
	s_and_saveexec_b64 s[2:3], vcc
	s_cbranch_execnz .LBB2437_102
; %bb.75:
	s_or_b64 exec, exec, s[2:3]
	v_cmp_lt_u32_e32 vcc, v29, v14
	s_and_saveexec_b64 s[2:3], vcc
	s_cbranch_execnz .LBB2437_103
.LBB2437_76:
	s_or_b64 exec, exec, s[2:3]
	v_cmp_lt_u32_e32 vcc, v28, v14
	s_and_saveexec_b64 s[2:3], vcc
	s_cbranch_execnz .LBB2437_104
.LBB2437_77:
	s_or_b64 exec, exec, s[2:3]
	v_cmp_lt_u32_e32 vcc, v27, v14
	s_and_saveexec_b64 s[2:3], vcc
	s_cbranch_execnz .LBB2437_105
.LBB2437_78:
	s_or_b64 exec, exec, s[2:3]
	v_cmp_lt_u32_e32 vcc, v26, v14
	s_and_saveexec_b64 s[2:3], vcc
	s_cbranch_execnz .LBB2437_106
.LBB2437_79:
	s_or_b64 exec, exec, s[2:3]
	v_cmp_lt_u32_e32 vcc, v25, v14
	s_and_saveexec_b64 s[2:3], vcc
	s_cbranch_execnz .LBB2437_107
.LBB2437_80:
	s_or_b64 exec, exec, s[2:3]
	v_cmp_lt_u32_e32 vcc, v24, v14
	s_and_saveexec_b64 s[2:3], vcc
	s_cbranch_execnz .LBB2437_108
.LBB2437_81:
	s_or_b64 exec, exec, s[2:3]
	v_cmp_lt_u32_e32 vcc, v23, v14
	s_and_saveexec_b64 s[2:3], vcc
	s_cbranch_execnz .LBB2437_109
.LBB2437_82:
	s_or_b64 exec, exec, s[2:3]
	v_cmp_lt_u32_e32 vcc, v22, v14
	s_and_saveexec_b64 s[2:3], vcc
	s_cbranch_execz .LBB2437_84
.LBB2437_83:
	v_lshlrev_b32_e32 v17, 2, v22
	v_readfirstlane_b32 s4, v4
	v_readfirstlane_b32 s5, v5
	s_waitcnt lgkmcnt(0)
	s_nop 3
	global_store_dword v17, v2, s[4:5]
.LBB2437_84:
	s_or_b64 exec, exec, s[2:3]
	v_cmp_lt_u32_e64 s[2:3], v15, v14
	s_branch .LBB2437_97
.LBB2437_85:
	s_mov_b64 s[2:3], 0
                                        ; implicit-def: $vgpr4_vgpr5
	s_cbranch_execz .LBB2437_97
; %bb.86:
	v_mov_b32_e32 v17, 0
	v_mov_b32_e32 v4, s25
	v_add_co_u32_e32 v20, vcc, s24, v20
	v_addc_co_u32_e32 v21, vcc, v4, v21, vcc
	v_lshlrev_b64 v[4:5], 2, v[16:17]
	v_add_co_u32_e32 v4, vcc, v20, v4
	v_min_u32_e32 v30, s33, v14
	v_addc_co_u32_e32 v5, vcc, v21, v5, vcc
	v_cmp_gt_u32_e32 vcc, v30, v0
	s_and_saveexec_b64 s[2:3], vcc
	s_cbranch_execnz .LBB2437_110
; %bb.87:
	s_or_b64 exec, exec, s[2:3]
	v_cmp_lt_u32_e32 vcc, v29, v30
	s_and_saveexec_b64 s[2:3], vcc
	s_cbranch_execnz .LBB2437_111
.LBB2437_88:
	s_or_b64 exec, exec, s[2:3]
	v_cmp_lt_u32_e32 vcc, v28, v30
	s_and_saveexec_b64 s[2:3], vcc
	s_cbranch_execnz .LBB2437_112
.LBB2437_89:
	s_or_b64 exec, exec, s[2:3]
	v_cmp_lt_u32_e32 vcc, v27, v30
	s_and_saveexec_b64 s[2:3], vcc
	s_cbranch_execnz .LBB2437_113
.LBB2437_90:
	s_or_b64 exec, exec, s[2:3]
	v_cmp_lt_u32_e32 vcc, v26, v30
	s_and_saveexec_b64 s[2:3], vcc
	s_cbranch_execnz .LBB2437_114
.LBB2437_91:
	s_or_b64 exec, exec, s[2:3]
	v_cmp_lt_u32_e32 vcc, v25, v30
	s_and_saveexec_b64 s[2:3], vcc
	s_cbranch_execnz .LBB2437_115
.LBB2437_92:
	s_or_b64 exec, exec, s[2:3]
	v_cmp_lt_u32_e32 vcc, v24, v30
	s_and_saveexec_b64 s[2:3], vcc
	s_cbranch_execnz .LBB2437_116
.LBB2437_93:
	s_or_b64 exec, exec, s[2:3]
	v_cmp_lt_u32_e32 vcc, v23, v30
	s_and_saveexec_b64 s[2:3], vcc
	s_cbranch_execnz .LBB2437_117
.LBB2437_94:
	s_or_b64 exec, exec, s[2:3]
	v_cmp_lt_u32_e32 vcc, v22, v30
	s_and_saveexec_b64 s[2:3], vcc
	s_cbranch_execz .LBB2437_96
.LBB2437_95:
	v_lshlrev_b32_e32 v0, 2, v22
	v_readfirstlane_b32 s4, v4
	v_readfirstlane_b32 s5, v5
	s_waitcnt lgkmcnt(0)
	s_nop 3
	global_store_dword v0, v2, s[4:5]
.LBB2437_96:
	s_or_b64 exec, exec, s[2:3]
	v_cmp_lt_u32_e64 s[2:3], v15, v30
.LBB2437_97:
	s_and_saveexec_b64 s[4:5], s[2:3]
	s_cbranch_execnz .LBB2437_100
; %bb.98:
	s_or_b64 exec, exec, s[4:5]
	s_and_b64 s[0:1], s[0:1], s[22:23]
	s_and_saveexec_b64 s[2:3], s[0:1]
	s_cbranch_execnz .LBB2437_101
.LBB2437_99:
	s_endpgm
.LBB2437_100:
	v_lshlrev_b32_e32 v0, 2, v15
	v_readfirstlane_b32 s2, v4
	v_readfirstlane_b32 s3, v5
	s_waitcnt lgkmcnt(0)
	s_nop 3
	global_store_dword v0, v3, s[2:3]
	s_or_b64 exec, exec, s[4:5]
	s_and_b64 s[0:1], s[0:1], s[22:23]
	s_and_saveexec_b64 s[2:3], s[0:1]
	s_cbranch_execz .LBB2437_99
.LBB2437_101:
	v_add_co_u32_e32 v0, vcc, v12, v14
	v_addc_co_u32_e32 v1, vcc, 0, v13, vcc
	v_add_co_u32_e32 v0, vcc, v0, v16
	s_waitcnt lgkmcnt(0)
	v_mov_b32_e32 v2, 0
	v_addc_co_u32_e32 v1, vcc, 0, v1, vcc
	global_store_dwordx2 v2, v[0:1], s[20:21]
	s_endpgm
.LBB2437_102:
	v_readfirstlane_b32 s4, v4
	v_readfirstlane_b32 s5, v5
	s_waitcnt lgkmcnt(4)
	s_nop 3
	global_store_dword v1, v18, s[4:5]
	s_or_b64 exec, exec, s[2:3]
	v_cmp_lt_u32_e32 vcc, v29, v14
	s_and_saveexec_b64 s[2:3], vcc
	s_cbranch_execz .LBB2437_76
.LBB2437_103:
	v_readfirstlane_b32 s4, v4
	v_readfirstlane_b32 s5, v5
	s_waitcnt lgkmcnt(4)
	s_nop 3
	global_store_dword v1, v19, s[4:5] offset:1024
	s_or_b64 exec, exec, s[2:3]
	v_cmp_lt_u32_e32 vcc, v28, v14
	s_and_saveexec_b64 s[2:3], vcc
	s_cbranch_execz .LBB2437_77
.LBB2437_104:
	v_readfirstlane_b32 s4, v4
	v_readfirstlane_b32 s5, v5
	s_waitcnt lgkmcnt(3)
	s_nop 3
	global_store_dword v1, v10, s[4:5] offset:2048
	s_or_b64 exec, exec, s[2:3]
	v_cmp_lt_u32_e32 vcc, v27, v14
	s_and_saveexec_b64 s[2:3], vcc
	s_cbranch_execz .LBB2437_78
.LBB2437_105:
	v_readfirstlane_b32 s4, v4
	v_readfirstlane_b32 s5, v5
	s_waitcnt lgkmcnt(3)
	s_nop 3
	global_store_dword v1, v11, s[4:5] offset:3072
	s_or_b64 exec, exec, s[2:3]
	v_cmp_lt_u32_e32 vcc, v26, v14
	s_and_saveexec_b64 s[2:3], vcc
	s_cbranch_execz .LBB2437_79
.LBB2437_106:
	v_lshlrev_b32_e32 v17, 2, v26
	v_readfirstlane_b32 s4, v4
	v_readfirstlane_b32 s5, v5
	s_waitcnt lgkmcnt(2)
	s_nop 3
	global_store_dword v17, v8, s[4:5]
	s_or_b64 exec, exec, s[2:3]
	v_cmp_lt_u32_e32 vcc, v25, v14
	s_and_saveexec_b64 s[2:3], vcc
	s_cbranch_execz .LBB2437_80
.LBB2437_107:
	v_lshlrev_b32_e32 v17, 2, v25
	v_readfirstlane_b32 s4, v4
	v_readfirstlane_b32 s5, v5
	s_waitcnt lgkmcnt(2)
	s_nop 3
	global_store_dword v17, v9, s[4:5]
	s_or_b64 exec, exec, s[2:3]
	v_cmp_lt_u32_e32 vcc, v24, v14
	s_and_saveexec_b64 s[2:3], vcc
	s_cbranch_execz .LBB2437_81
.LBB2437_108:
	v_lshlrev_b32_e32 v17, 2, v24
	v_readfirstlane_b32 s4, v4
	v_readfirstlane_b32 s5, v5
	s_waitcnt lgkmcnt(1)
	s_nop 3
	global_store_dword v17, v6, s[4:5]
	s_or_b64 exec, exec, s[2:3]
	v_cmp_lt_u32_e32 vcc, v23, v14
	s_and_saveexec_b64 s[2:3], vcc
	s_cbranch_execz .LBB2437_82
.LBB2437_109:
	v_lshlrev_b32_e32 v17, 2, v23
	v_readfirstlane_b32 s4, v4
	v_readfirstlane_b32 s5, v5
	s_waitcnt lgkmcnt(1)
	s_nop 3
	global_store_dword v17, v7, s[4:5]
	s_or_b64 exec, exec, s[2:3]
	v_cmp_lt_u32_e32 vcc, v22, v14
	s_and_saveexec_b64 s[2:3], vcc
	s_cbranch_execnz .LBB2437_83
	s_branch .LBB2437_84
.LBB2437_110:
	v_readfirstlane_b32 s4, v4
	v_readfirstlane_b32 s5, v5
	s_waitcnt lgkmcnt(4)
	s_nop 3
	global_store_dword v1, v18, s[4:5]
	s_or_b64 exec, exec, s[2:3]
	v_cmp_lt_u32_e32 vcc, v29, v30
	s_and_saveexec_b64 s[2:3], vcc
	s_cbranch_execz .LBB2437_88
.LBB2437_111:
	v_readfirstlane_b32 s4, v4
	v_readfirstlane_b32 s5, v5
	s_waitcnt lgkmcnt(4)
	s_nop 3
	global_store_dword v1, v19, s[4:5] offset:1024
	s_or_b64 exec, exec, s[2:3]
	v_cmp_lt_u32_e32 vcc, v28, v30
	s_and_saveexec_b64 s[2:3], vcc
	s_cbranch_execz .LBB2437_89
.LBB2437_112:
	v_readfirstlane_b32 s4, v4
	v_readfirstlane_b32 s5, v5
	s_waitcnt lgkmcnt(3)
	s_nop 3
	global_store_dword v1, v10, s[4:5] offset:2048
	s_or_b64 exec, exec, s[2:3]
	v_cmp_lt_u32_e32 vcc, v27, v30
	s_and_saveexec_b64 s[2:3], vcc
	s_cbranch_execz .LBB2437_90
.LBB2437_113:
	v_readfirstlane_b32 s4, v4
	v_readfirstlane_b32 s5, v5
	s_waitcnt lgkmcnt(3)
	s_nop 3
	global_store_dword v1, v11, s[4:5] offset:3072
	s_or_b64 exec, exec, s[2:3]
	v_cmp_lt_u32_e32 vcc, v26, v30
	s_and_saveexec_b64 s[2:3], vcc
	s_cbranch_execz .LBB2437_91
.LBB2437_114:
	v_lshlrev_b32_e32 v0, 2, v26
	v_readfirstlane_b32 s4, v4
	v_readfirstlane_b32 s5, v5
	s_waitcnt lgkmcnt(2)
	s_nop 3
	global_store_dword v0, v8, s[4:5]
	s_or_b64 exec, exec, s[2:3]
	v_cmp_lt_u32_e32 vcc, v25, v30
	s_and_saveexec_b64 s[2:3], vcc
	s_cbranch_execz .LBB2437_92
.LBB2437_115:
	v_lshlrev_b32_e32 v0, 2, v25
	v_readfirstlane_b32 s4, v4
	v_readfirstlane_b32 s5, v5
	s_waitcnt lgkmcnt(2)
	s_nop 3
	global_store_dword v0, v9, s[4:5]
	s_or_b64 exec, exec, s[2:3]
	v_cmp_lt_u32_e32 vcc, v24, v30
	s_and_saveexec_b64 s[2:3], vcc
	s_cbranch_execz .LBB2437_93
.LBB2437_116:
	v_lshlrev_b32_e32 v0, 2, v24
	v_readfirstlane_b32 s4, v4
	v_readfirstlane_b32 s5, v5
	s_waitcnt lgkmcnt(1)
	s_nop 3
	global_store_dword v0, v6, s[4:5]
	s_or_b64 exec, exec, s[2:3]
	v_cmp_lt_u32_e32 vcc, v23, v30
	s_and_saveexec_b64 s[2:3], vcc
	s_cbranch_execz .LBB2437_94
.LBB2437_117:
	v_lshlrev_b32_e32 v0, 2, v23
	v_readfirstlane_b32 s4, v4
	v_readfirstlane_b32 s5, v5
	s_waitcnt lgkmcnt(1)
	s_nop 3
	global_store_dword v0, v7, s[4:5]
	s_or_b64 exec, exec, s[2:3]
	v_cmp_lt_u32_e32 vcc, v22, v30
	s_and_saveexec_b64 s[2:3], vcc
	s_cbranch_execnz .LBB2437_95
	s_branch .LBB2437_96
	.section	.rodata,"a",@progbits
	.p2align	6, 0x0
	.amdhsa_kernel _ZN7rocprim17ROCPRIM_400000_NS6detail17trampoline_kernelINS0_14default_configENS1_25partition_config_selectorILNS1_17partition_subalgoE0EjNS0_10empty_typeEbEEZZNS1_14partition_implILS5_0ELb0ES3_jN6thrust23THRUST_200600_302600_NS6detail15normal_iteratorINSA_10device_ptrIjEEEEPS6_SG_NS0_5tupleIJSF_NSA_16discard_iteratorINSA_11use_defaultEEEEEENSH_IJSG_SG_EEES6_PlJ7is_evenIjEEEE10hipError_tPvRmT3_T4_T5_T6_T7_T9_mT8_P12ihipStream_tbDpT10_ENKUlT_T0_E_clISt17integral_constantIbLb1EES19_EEDaS14_S15_EUlS14_E_NS1_11comp_targetILNS1_3genE4ELNS1_11target_archE910ELNS1_3gpuE8ELNS1_3repE0EEENS1_30default_config_static_selectorELNS0_4arch9wavefront6targetE1EEEvT1_
		.amdhsa_group_segment_fixed_size 10248
		.amdhsa_private_segment_fixed_size 0
		.amdhsa_kernarg_size 144
		.amdhsa_user_sgpr_count 6
		.amdhsa_user_sgpr_private_segment_buffer 1
		.amdhsa_user_sgpr_dispatch_ptr 0
		.amdhsa_user_sgpr_queue_ptr 0
		.amdhsa_user_sgpr_kernarg_segment_ptr 1
		.amdhsa_user_sgpr_dispatch_id 0
		.amdhsa_user_sgpr_flat_scratch_init 0
		.amdhsa_user_sgpr_kernarg_preload_length 0
		.amdhsa_user_sgpr_kernarg_preload_offset 0
		.amdhsa_user_sgpr_private_segment_size 0
		.amdhsa_uses_dynamic_stack 0
		.amdhsa_system_sgpr_private_segment_wavefront_offset 0
		.amdhsa_system_sgpr_workgroup_id_x 1
		.amdhsa_system_sgpr_workgroup_id_y 0
		.amdhsa_system_sgpr_workgroup_id_z 0
		.amdhsa_system_sgpr_workgroup_info 0
		.amdhsa_system_vgpr_workitem_id 0
		.amdhsa_next_free_vgpr 56
		.amdhsa_next_free_sgpr 40
		.amdhsa_accum_offset 56
		.amdhsa_reserve_vcc 1
		.amdhsa_reserve_flat_scratch 0
		.amdhsa_float_round_mode_32 0
		.amdhsa_float_round_mode_16_64 0
		.amdhsa_float_denorm_mode_32 3
		.amdhsa_float_denorm_mode_16_64 3
		.amdhsa_dx10_clamp 1
		.amdhsa_ieee_mode 1
		.amdhsa_fp16_overflow 0
		.amdhsa_tg_split 0
		.amdhsa_exception_fp_ieee_invalid_op 0
		.amdhsa_exception_fp_denorm_src 0
		.amdhsa_exception_fp_ieee_div_zero 0
		.amdhsa_exception_fp_ieee_overflow 0
		.amdhsa_exception_fp_ieee_underflow 0
		.amdhsa_exception_fp_ieee_inexact 0
		.amdhsa_exception_int_div_zero 0
	.end_amdhsa_kernel
	.section	.text._ZN7rocprim17ROCPRIM_400000_NS6detail17trampoline_kernelINS0_14default_configENS1_25partition_config_selectorILNS1_17partition_subalgoE0EjNS0_10empty_typeEbEEZZNS1_14partition_implILS5_0ELb0ES3_jN6thrust23THRUST_200600_302600_NS6detail15normal_iteratorINSA_10device_ptrIjEEEEPS6_SG_NS0_5tupleIJSF_NSA_16discard_iteratorINSA_11use_defaultEEEEEENSH_IJSG_SG_EEES6_PlJ7is_evenIjEEEE10hipError_tPvRmT3_T4_T5_T6_T7_T9_mT8_P12ihipStream_tbDpT10_ENKUlT_T0_E_clISt17integral_constantIbLb1EES19_EEDaS14_S15_EUlS14_E_NS1_11comp_targetILNS1_3genE4ELNS1_11target_archE910ELNS1_3gpuE8ELNS1_3repE0EEENS1_30default_config_static_selectorELNS0_4arch9wavefront6targetE1EEEvT1_,"axG",@progbits,_ZN7rocprim17ROCPRIM_400000_NS6detail17trampoline_kernelINS0_14default_configENS1_25partition_config_selectorILNS1_17partition_subalgoE0EjNS0_10empty_typeEbEEZZNS1_14partition_implILS5_0ELb0ES3_jN6thrust23THRUST_200600_302600_NS6detail15normal_iteratorINSA_10device_ptrIjEEEEPS6_SG_NS0_5tupleIJSF_NSA_16discard_iteratorINSA_11use_defaultEEEEEENSH_IJSG_SG_EEES6_PlJ7is_evenIjEEEE10hipError_tPvRmT3_T4_T5_T6_T7_T9_mT8_P12ihipStream_tbDpT10_ENKUlT_T0_E_clISt17integral_constantIbLb1EES19_EEDaS14_S15_EUlS14_E_NS1_11comp_targetILNS1_3genE4ELNS1_11target_archE910ELNS1_3gpuE8ELNS1_3repE0EEENS1_30default_config_static_selectorELNS0_4arch9wavefront6targetE1EEEvT1_,comdat
.Lfunc_end2437:
	.size	_ZN7rocprim17ROCPRIM_400000_NS6detail17trampoline_kernelINS0_14default_configENS1_25partition_config_selectorILNS1_17partition_subalgoE0EjNS0_10empty_typeEbEEZZNS1_14partition_implILS5_0ELb0ES3_jN6thrust23THRUST_200600_302600_NS6detail15normal_iteratorINSA_10device_ptrIjEEEEPS6_SG_NS0_5tupleIJSF_NSA_16discard_iteratorINSA_11use_defaultEEEEEENSH_IJSG_SG_EEES6_PlJ7is_evenIjEEEE10hipError_tPvRmT3_T4_T5_T6_T7_T9_mT8_P12ihipStream_tbDpT10_ENKUlT_T0_E_clISt17integral_constantIbLb1EES19_EEDaS14_S15_EUlS14_E_NS1_11comp_targetILNS1_3genE4ELNS1_11target_archE910ELNS1_3gpuE8ELNS1_3repE0EEENS1_30default_config_static_selectorELNS0_4arch9wavefront6targetE1EEEvT1_, .Lfunc_end2437-_ZN7rocprim17ROCPRIM_400000_NS6detail17trampoline_kernelINS0_14default_configENS1_25partition_config_selectorILNS1_17partition_subalgoE0EjNS0_10empty_typeEbEEZZNS1_14partition_implILS5_0ELb0ES3_jN6thrust23THRUST_200600_302600_NS6detail15normal_iteratorINSA_10device_ptrIjEEEEPS6_SG_NS0_5tupleIJSF_NSA_16discard_iteratorINSA_11use_defaultEEEEEENSH_IJSG_SG_EEES6_PlJ7is_evenIjEEEE10hipError_tPvRmT3_T4_T5_T6_T7_T9_mT8_P12ihipStream_tbDpT10_ENKUlT_T0_E_clISt17integral_constantIbLb1EES19_EEDaS14_S15_EUlS14_E_NS1_11comp_targetILNS1_3genE4ELNS1_11target_archE910ELNS1_3gpuE8ELNS1_3repE0EEENS1_30default_config_static_selectorELNS0_4arch9wavefront6targetE1EEEvT1_
                                        ; -- End function
	.section	.AMDGPU.csdata,"",@progbits
; Kernel info:
; codeLenInByte = 5352
; NumSgprs: 44
; NumVgprs: 56
; NumAgprs: 0
; TotalNumVgprs: 56
; ScratchSize: 0
; MemoryBound: 0
; FloatMode: 240
; IeeeMode: 1
; LDSByteSize: 10248 bytes/workgroup (compile time only)
; SGPRBlocks: 5
; VGPRBlocks: 6
; NumSGPRsForWavesPerEU: 44
; NumVGPRsForWavesPerEU: 56
; AccumOffset: 56
; Occupancy: 6
; WaveLimiterHint : 1
; COMPUTE_PGM_RSRC2:SCRATCH_EN: 0
; COMPUTE_PGM_RSRC2:USER_SGPR: 6
; COMPUTE_PGM_RSRC2:TRAP_HANDLER: 0
; COMPUTE_PGM_RSRC2:TGID_X_EN: 1
; COMPUTE_PGM_RSRC2:TGID_Y_EN: 0
; COMPUTE_PGM_RSRC2:TGID_Z_EN: 0
; COMPUTE_PGM_RSRC2:TIDIG_COMP_CNT: 0
; COMPUTE_PGM_RSRC3_GFX90A:ACCUM_OFFSET: 13
; COMPUTE_PGM_RSRC3_GFX90A:TG_SPLIT: 0
	.section	.text._ZN7rocprim17ROCPRIM_400000_NS6detail17trampoline_kernelINS0_14default_configENS1_25partition_config_selectorILNS1_17partition_subalgoE0EjNS0_10empty_typeEbEEZZNS1_14partition_implILS5_0ELb0ES3_jN6thrust23THRUST_200600_302600_NS6detail15normal_iteratorINSA_10device_ptrIjEEEEPS6_SG_NS0_5tupleIJSF_NSA_16discard_iteratorINSA_11use_defaultEEEEEENSH_IJSG_SG_EEES6_PlJ7is_evenIjEEEE10hipError_tPvRmT3_T4_T5_T6_T7_T9_mT8_P12ihipStream_tbDpT10_ENKUlT_T0_E_clISt17integral_constantIbLb1EES19_EEDaS14_S15_EUlS14_E_NS1_11comp_targetILNS1_3genE3ELNS1_11target_archE908ELNS1_3gpuE7ELNS1_3repE0EEENS1_30default_config_static_selectorELNS0_4arch9wavefront6targetE1EEEvT1_,"axG",@progbits,_ZN7rocprim17ROCPRIM_400000_NS6detail17trampoline_kernelINS0_14default_configENS1_25partition_config_selectorILNS1_17partition_subalgoE0EjNS0_10empty_typeEbEEZZNS1_14partition_implILS5_0ELb0ES3_jN6thrust23THRUST_200600_302600_NS6detail15normal_iteratorINSA_10device_ptrIjEEEEPS6_SG_NS0_5tupleIJSF_NSA_16discard_iteratorINSA_11use_defaultEEEEEENSH_IJSG_SG_EEES6_PlJ7is_evenIjEEEE10hipError_tPvRmT3_T4_T5_T6_T7_T9_mT8_P12ihipStream_tbDpT10_ENKUlT_T0_E_clISt17integral_constantIbLb1EES19_EEDaS14_S15_EUlS14_E_NS1_11comp_targetILNS1_3genE3ELNS1_11target_archE908ELNS1_3gpuE7ELNS1_3repE0EEENS1_30default_config_static_selectorELNS0_4arch9wavefront6targetE1EEEvT1_,comdat
	.protected	_ZN7rocprim17ROCPRIM_400000_NS6detail17trampoline_kernelINS0_14default_configENS1_25partition_config_selectorILNS1_17partition_subalgoE0EjNS0_10empty_typeEbEEZZNS1_14partition_implILS5_0ELb0ES3_jN6thrust23THRUST_200600_302600_NS6detail15normal_iteratorINSA_10device_ptrIjEEEEPS6_SG_NS0_5tupleIJSF_NSA_16discard_iteratorINSA_11use_defaultEEEEEENSH_IJSG_SG_EEES6_PlJ7is_evenIjEEEE10hipError_tPvRmT3_T4_T5_T6_T7_T9_mT8_P12ihipStream_tbDpT10_ENKUlT_T0_E_clISt17integral_constantIbLb1EES19_EEDaS14_S15_EUlS14_E_NS1_11comp_targetILNS1_3genE3ELNS1_11target_archE908ELNS1_3gpuE7ELNS1_3repE0EEENS1_30default_config_static_selectorELNS0_4arch9wavefront6targetE1EEEvT1_ ; -- Begin function _ZN7rocprim17ROCPRIM_400000_NS6detail17trampoline_kernelINS0_14default_configENS1_25partition_config_selectorILNS1_17partition_subalgoE0EjNS0_10empty_typeEbEEZZNS1_14partition_implILS5_0ELb0ES3_jN6thrust23THRUST_200600_302600_NS6detail15normal_iteratorINSA_10device_ptrIjEEEEPS6_SG_NS0_5tupleIJSF_NSA_16discard_iteratorINSA_11use_defaultEEEEEENSH_IJSG_SG_EEES6_PlJ7is_evenIjEEEE10hipError_tPvRmT3_T4_T5_T6_T7_T9_mT8_P12ihipStream_tbDpT10_ENKUlT_T0_E_clISt17integral_constantIbLb1EES19_EEDaS14_S15_EUlS14_E_NS1_11comp_targetILNS1_3genE3ELNS1_11target_archE908ELNS1_3gpuE7ELNS1_3repE0EEENS1_30default_config_static_selectorELNS0_4arch9wavefront6targetE1EEEvT1_
	.globl	_ZN7rocprim17ROCPRIM_400000_NS6detail17trampoline_kernelINS0_14default_configENS1_25partition_config_selectorILNS1_17partition_subalgoE0EjNS0_10empty_typeEbEEZZNS1_14partition_implILS5_0ELb0ES3_jN6thrust23THRUST_200600_302600_NS6detail15normal_iteratorINSA_10device_ptrIjEEEEPS6_SG_NS0_5tupleIJSF_NSA_16discard_iteratorINSA_11use_defaultEEEEEENSH_IJSG_SG_EEES6_PlJ7is_evenIjEEEE10hipError_tPvRmT3_T4_T5_T6_T7_T9_mT8_P12ihipStream_tbDpT10_ENKUlT_T0_E_clISt17integral_constantIbLb1EES19_EEDaS14_S15_EUlS14_E_NS1_11comp_targetILNS1_3genE3ELNS1_11target_archE908ELNS1_3gpuE7ELNS1_3repE0EEENS1_30default_config_static_selectorELNS0_4arch9wavefront6targetE1EEEvT1_
	.p2align	8
	.type	_ZN7rocprim17ROCPRIM_400000_NS6detail17trampoline_kernelINS0_14default_configENS1_25partition_config_selectorILNS1_17partition_subalgoE0EjNS0_10empty_typeEbEEZZNS1_14partition_implILS5_0ELb0ES3_jN6thrust23THRUST_200600_302600_NS6detail15normal_iteratorINSA_10device_ptrIjEEEEPS6_SG_NS0_5tupleIJSF_NSA_16discard_iteratorINSA_11use_defaultEEEEEENSH_IJSG_SG_EEES6_PlJ7is_evenIjEEEE10hipError_tPvRmT3_T4_T5_T6_T7_T9_mT8_P12ihipStream_tbDpT10_ENKUlT_T0_E_clISt17integral_constantIbLb1EES19_EEDaS14_S15_EUlS14_E_NS1_11comp_targetILNS1_3genE3ELNS1_11target_archE908ELNS1_3gpuE7ELNS1_3repE0EEENS1_30default_config_static_selectorELNS0_4arch9wavefront6targetE1EEEvT1_,@function
_ZN7rocprim17ROCPRIM_400000_NS6detail17trampoline_kernelINS0_14default_configENS1_25partition_config_selectorILNS1_17partition_subalgoE0EjNS0_10empty_typeEbEEZZNS1_14partition_implILS5_0ELb0ES3_jN6thrust23THRUST_200600_302600_NS6detail15normal_iteratorINSA_10device_ptrIjEEEEPS6_SG_NS0_5tupleIJSF_NSA_16discard_iteratorINSA_11use_defaultEEEEEENSH_IJSG_SG_EEES6_PlJ7is_evenIjEEEE10hipError_tPvRmT3_T4_T5_T6_T7_T9_mT8_P12ihipStream_tbDpT10_ENKUlT_T0_E_clISt17integral_constantIbLb1EES19_EEDaS14_S15_EUlS14_E_NS1_11comp_targetILNS1_3genE3ELNS1_11target_archE908ELNS1_3gpuE7ELNS1_3repE0EEENS1_30default_config_static_selectorELNS0_4arch9wavefront6targetE1EEEvT1_: ; @_ZN7rocprim17ROCPRIM_400000_NS6detail17trampoline_kernelINS0_14default_configENS1_25partition_config_selectorILNS1_17partition_subalgoE0EjNS0_10empty_typeEbEEZZNS1_14partition_implILS5_0ELb0ES3_jN6thrust23THRUST_200600_302600_NS6detail15normal_iteratorINSA_10device_ptrIjEEEEPS6_SG_NS0_5tupleIJSF_NSA_16discard_iteratorINSA_11use_defaultEEEEEENSH_IJSG_SG_EEES6_PlJ7is_evenIjEEEE10hipError_tPvRmT3_T4_T5_T6_T7_T9_mT8_P12ihipStream_tbDpT10_ENKUlT_T0_E_clISt17integral_constantIbLb1EES19_EEDaS14_S15_EUlS14_E_NS1_11comp_targetILNS1_3genE3ELNS1_11target_archE908ELNS1_3gpuE7ELNS1_3repE0EEENS1_30default_config_static_selectorELNS0_4arch9wavefront6targetE1EEEvT1_
; %bb.0:
	.section	.rodata,"a",@progbits
	.p2align	6, 0x0
	.amdhsa_kernel _ZN7rocprim17ROCPRIM_400000_NS6detail17trampoline_kernelINS0_14default_configENS1_25partition_config_selectorILNS1_17partition_subalgoE0EjNS0_10empty_typeEbEEZZNS1_14partition_implILS5_0ELb0ES3_jN6thrust23THRUST_200600_302600_NS6detail15normal_iteratorINSA_10device_ptrIjEEEEPS6_SG_NS0_5tupleIJSF_NSA_16discard_iteratorINSA_11use_defaultEEEEEENSH_IJSG_SG_EEES6_PlJ7is_evenIjEEEE10hipError_tPvRmT3_T4_T5_T6_T7_T9_mT8_P12ihipStream_tbDpT10_ENKUlT_T0_E_clISt17integral_constantIbLb1EES19_EEDaS14_S15_EUlS14_E_NS1_11comp_targetILNS1_3genE3ELNS1_11target_archE908ELNS1_3gpuE7ELNS1_3repE0EEENS1_30default_config_static_selectorELNS0_4arch9wavefront6targetE1EEEvT1_
		.amdhsa_group_segment_fixed_size 0
		.amdhsa_private_segment_fixed_size 0
		.amdhsa_kernarg_size 144
		.amdhsa_user_sgpr_count 6
		.amdhsa_user_sgpr_private_segment_buffer 1
		.amdhsa_user_sgpr_dispatch_ptr 0
		.amdhsa_user_sgpr_queue_ptr 0
		.amdhsa_user_sgpr_kernarg_segment_ptr 1
		.amdhsa_user_sgpr_dispatch_id 0
		.amdhsa_user_sgpr_flat_scratch_init 0
		.amdhsa_user_sgpr_kernarg_preload_length 0
		.amdhsa_user_sgpr_kernarg_preload_offset 0
		.amdhsa_user_sgpr_private_segment_size 0
		.amdhsa_uses_dynamic_stack 0
		.amdhsa_system_sgpr_private_segment_wavefront_offset 0
		.amdhsa_system_sgpr_workgroup_id_x 1
		.amdhsa_system_sgpr_workgroup_id_y 0
		.amdhsa_system_sgpr_workgroup_id_z 0
		.amdhsa_system_sgpr_workgroup_info 0
		.amdhsa_system_vgpr_workitem_id 0
		.amdhsa_next_free_vgpr 1
		.amdhsa_next_free_sgpr 0
		.amdhsa_accum_offset 4
		.amdhsa_reserve_vcc 0
		.amdhsa_reserve_flat_scratch 0
		.amdhsa_float_round_mode_32 0
		.amdhsa_float_round_mode_16_64 0
		.amdhsa_float_denorm_mode_32 3
		.amdhsa_float_denorm_mode_16_64 3
		.amdhsa_dx10_clamp 1
		.amdhsa_ieee_mode 1
		.amdhsa_fp16_overflow 0
		.amdhsa_tg_split 0
		.amdhsa_exception_fp_ieee_invalid_op 0
		.amdhsa_exception_fp_denorm_src 0
		.amdhsa_exception_fp_ieee_div_zero 0
		.amdhsa_exception_fp_ieee_overflow 0
		.amdhsa_exception_fp_ieee_underflow 0
		.amdhsa_exception_fp_ieee_inexact 0
		.amdhsa_exception_int_div_zero 0
	.end_amdhsa_kernel
	.section	.text._ZN7rocprim17ROCPRIM_400000_NS6detail17trampoline_kernelINS0_14default_configENS1_25partition_config_selectorILNS1_17partition_subalgoE0EjNS0_10empty_typeEbEEZZNS1_14partition_implILS5_0ELb0ES3_jN6thrust23THRUST_200600_302600_NS6detail15normal_iteratorINSA_10device_ptrIjEEEEPS6_SG_NS0_5tupleIJSF_NSA_16discard_iteratorINSA_11use_defaultEEEEEENSH_IJSG_SG_EEES6_PlJ7is_evenIjEEEE10hipError_tPvRmT3_T4_T5_T6_T7_T9_mT8_P12ihipStream_tbDpT10_ENKUlT_T0_E_clISt17integral_constantIbLb1EES19_EEDaS14_S15_EUlS14_E_NS1_11comp_targetILNS1_3genE3ELNS1_11target_archE908ELNS1_3gpuE7ELNS1_3repE0EEENS1_30default_config_static_selectorELNS0_4arch9wavefront6targetE1EEEvT1_,"axG",@progbits,_ZN7rocprim17ROCPRIM_400000_NS6detail17trampoline_kernelINS0_14default_configENS1_25partition_config_selectorILNS1_17partition_subalgoE0EjNS0_10empty_typeEbEEZZNS1_14partition_implILS5_0ELb0ES3_jN6thrust23THRUST_200600_302600_NS6detail15normal_iteratorINSA_10device_ptrIjEEEEPS6_SG_NS0_5tupleIJSF_NSA_16discard_iteratorINSA_11use_defaultEEEEEENSH_IJSG_SG_EEES6_PlJ7is_evenIjEEEE10hipError_tPvRmT3_T4_T5_T6_T7_T9_mT8_P12ihipStream_tbDpT10_ENKUlT_T0_E_clISt17integral_constantIbLb1EES19_EEDaS14_S15_EUlS14_E_NS1_11comp_targetILNS1_3genE3ELNS1_11target_archE908ELNS1_3gpuE7ELNS1_3repE0EEENS1_30default_config_static_selectorELNS0_4arch9wavefront6targetE1EEEvT1_,comdat
.Lfunc_end2438:
	.size	_ZN7rocprim17ROCPRIM_400000_NS6detail17trampoline_kernelINS0_14default_configENS1_25partition_config_selectorILNS1_17partition_subalgoE0EjNS0_10empty_typeEbEEZZNS1_14partition_implILS5_0ELb0ES3_jN6thrust23THRUST_200600_302600_NS6detail15normal_iteratorINSA_10device_ptrIjEEEEPS6_SG_NS0_5tupleIJSF_NSA_16discard_iteratorINSA_11use_defaultEEEEEENSH_IJSG_SG_EEES6_PlJ7is_evenIjEEEE10hipError_tPvRmT3_T4_T5_T6_T7_T9_mT8_P12ihipStream_tbDpT10_ENKUlT_T0_E_clISt17integral_constantIbLb1EES19_EEDaS14_S15_EUlS14_E_NS1_11comp_targetILNS1_3genE3ELNS1_11target_archE908ELNS1_3gpuE7ELNS1_3repE0EEENS1_30default_config_static_selectorELNS0_4arch9wavefront6targetE1EEEvT1_, .Lfunc_end2438-_ZN7rocprim17ROCPRIM_400000_NS6detail17trampoline_kernelINS0_14default_configENS1_25partition_config_selectorILNS1_17partition_subalgoE0EjNS0_10empty_typeEbEEZZNS1_14partition_implILS5_0ELb0ES3_jN6thrust23THRUST_200600_302600_NS6detail15normal_iteratorINSA_10device_ptrIjEEEEPS6_SG_NS0_5tupleIJSF_NSA_16discard_iteratorINSA_11use_defaultEEEEEENSH_IJSG_SG_EEES6_PlJ7is_evenIjEEEE10hipError_tPvRmT3_T4_T5_T6_T7_T9_mT8_P12ihipStream_tbDpT10_ENKUlT_T0_E_clISt17integral_constantIbLb1EES19_EEDaS14_S15_EUlS14_E_NS1_11comp_targetILNS1_3genE3ELNS1_11target_archE908ELNS1_3gpuE7ELNS1_3repE0EEENS1_30default_config_static_selectorELNS0_4arch9wavefront6targetE1EEEvT1_
                                        ; -- End function
	.section	.AMDGPU.csdata,"",@progbits
; Kernel info:
; codeLenInByte = 0
; NumSgprs: 4
; NumVgprs: 0
; NumAgprs: 0
; TotalNumVgprs: 0
; ScratchSize: 0
; MemoryBound: 0
; FloatMode: 240
; IeeeMode: 1
; LDSByteSize: 0 bytes/workgroup (compile time only)
; SGPRBlocks: 0
; VGPRBlocks: 0
; NumSGPRsForWavesPerEU: 4
; NumVGPRsForWavesPerEU: 1
; AccumOffset: 4
; Occupancy: 8
; WaveLimiterHint : 0
; COMPUTE_PGM_RSRC2:SCRATCH_EN: 0
; COMPUTE_PGM_RSRC2:USER_SGPR: 6
; COMPUTE_PGM_RSRC2:TRAP_HANDLER: 0
; COMPUTE_PGM_RSRC2:TGID_X_EN: 1
; COMPUTE_PGM_RSRC2:TGID_Y_EN: 0
; COMPUTE_PGM_RSRC2:TGID_Z_EN: 0
; COMPUTE_PGM_RSRC2:TIDIG_COMP_CNT: 0
; COMPUTE_PGM_RSRC3_GFX90A:ACCUM_OFFSET: 0
; COMPUTE_PGM_RSRC3_GFX90A:TG_SPLIT: 0
	.section	.text._ZN7rocprim17ROCPRIM_400000_NS6detail17trampoline_kernelINS0_14default_configENS1_25partition_config_selectorILNS1_17partition_subalgoE0EjNS0_10empty_typeEbEEZZNS1_14partition_implILS5_0ELb0ES3_jN6thrust23THRUST_200600_302600_NS6detail15normal_iteratorINSA_10device_ptrIjEEEEPS6_SG_NS0_5tupleIJSF_NSA_16discard_iteratorINSA_11use_defaultEEEEEENSH_IJSG_SG_EEES6_PlJ7is_evenIjEEEE10hipError_tPvRmT3_T4_T5_T6_T7_T9_mT8_P12ihipStream_tbDpT10_ENKUlT_T0_E_clISt17integral_constantIbLb1EES19_EEDaS14_S15_EUlS14_E_NS1_11comp_targetILNS1_3genE2ELNS1_11target_archE906ELNS1_3gpuE6ELNS1_3repE0EEENS1_30default_config_static_selectorELNS0_4arch9wavefront6targetE1EEEvT1_,"axG",@progbits,_ZN7rocprim17ROCPRIM_400000_NS6detail17trampoline_kernelINS0_14default_configENS1_25partition_config_selectorILNS1_17partition_subalgoE0EjNS0_10empty_typeEbEEZZNS1_14partition_implILS5_0ELb0ES3_jN6thrust23THRUST_200600_302600_NS6detail15normal_iteratorINSA_10device_ptrIjEEEEPS6_SG_NS0_5tupleIJSF_NSA_16discard_iteratorINSA_11use_defaultEEEEEENSH_IJSG_SG_EEES6_PlJ7is_evenIjEEEE10hipError_tPvRmT3_T4_T5_T6_T7_T9_mT8_P12ihipStream_tbDpT10_ENKUlT_T0_E_clISt17integral_constantIbLb1EES19_EEDaS14_S15_EUlS14_E_NS1_11comp_targetILNS1_3genE2ELNS1_11target_archE906ELNS1_3gpuE6ELNS1_3repE0EEENS1_30default_config_static_selectorELNS0_4arch9wavefront6targetE1EEEvT1_,comdat
	.protected	_ZN7rocprim17ROCPRIM_400000_NS6detail17trampoline_kernelINS0_14default_configENS1_25partition_config_selectorILNS1_17partition_subalgoE0EjNS0_10empty_typeEbEEZZNS1_14partition_implILS5_0ELb0ES3_jN6thrust23THRUST_200600_302600_NS6detail15normal_iteratorINSA_10device_ptrIjEEEEPS6_SG_NS0_5tupleIJSF_NSA_16discard_iteratorINSA_11use_defaultEEEEEENSH_IJSG_SG_EEES6_PlJ7is_evenIjEEEE10hipError_tPvRmT3_T4_T5_T6_T7_T9_mT8_P12ihipStream_tbDpT10_ENKUlT_T0_E_clISt17integral_constantIbLb1EES19_EEDaS14_S15_EUlS14_E_NS1_11comp_targetILNS1_3genE2ELNS1_11target_archE906ELNS1_3gpuE6ELNS1_3repE0EEENS1_30default_config_static_selectorELNS0_4arch9wavefront6targetE1EEEvT1_ ; -- Begin function _ZN7rocprim17ROCPRIM_400000_NS6detail17trampoline_kernelINS0_14default_configENS1_25partition_config_selectorILNS1_17partition_subalgoE0EjNS0_10empty_typeEbEEZZNS1_14partition_implILS5_0ELb0ES3_jN6thrust23THRUST_200600_302600_NS6detail15normal_iteratorINSA_10device_ptrIjEEEEPS6_SG_NS0_5tupleIJSF_NSA_16discard_iteratorINSA_11use_defaultEEEEEENSH_IJSG_SG_EEES6_PlJ7is_evenIjEEEE10hipError_tPvRmT3_T4_T5_T6_T7_T9_mT8_P12ihipStream_tbDpT10_ENKUlT_T0_E_clISt17integral_constantIbLb1EES19_EEDaS14_S15_EUlS14_E_NS1_11comp_targetILNS1_3genE2ELNS1_11target_archE906ELNS1_3gpuE6ELNS1_3repE0EEENS1_30default_config_static_selectorELNS0_4arch9wavefront6targetE1EEEvT1_
	.globl	_ZN7rocprim17ROCPRIM_400000_NS6detail17trampoline_kernelINS0_14default_configENS1_25partition_config_selectorILNS1_17partition_subalgoE0EjNS0_10empty_typeEbEEZZNS1_14partition_implILS5_0ELb0ES3_jN6thrust23THRUST_200600_302600_NS6detail15normal_iteratorINSA_10device_ptrIjEEEEPS6_SG_NS0_5tupleIJSF_NSA_16discard_iteratorINSA_11use_defaultEEEEEENSH_IJSG_SG_EEES6_PlJ7is_evenIjEEEE10hipError_tPvRmT3_T4_T5_T6_T7_T9_mT8_P12ihipStream_tbDpT10_ENKUlT_T0_E_clISt17integral_constantIbLb1EES19_EEDaS14_S15_EUlS14_E_NS1_11comp_targetILNS1_3genE2ELNS1_11target_archE906ELNS1_3gpuE6ELNS1_3repE0EEENS1_30default_config_static_selectorELNS0_4arch9wavefront6targetE1EEEvT1_
	.p2align	8
	.type	_ZN7rocprim17ROCPRIM_400000_NS6detail17trampoline_kernelINS0_14default_configENS1_25partition_config_selectorILNS1_17partition_subalgoE0EjNS0_10empty_typeEbEEZZNS1_14partition_implILS5_0ELb0ES3_jN6thrust23THRUST_200600_302600_NS6detail15normal_iteratorINSA_10device_ptrIjEEEEPS6_SG_NS0_5tupleIJSF_NSA_16discard_iteratorINSA_11use_defaultEEEEEENSH_IJSG_SG_EEES6_PlJ7is_evenIjEEEE10hipError_tPvRmT3_T4_T5_T6_T7_T9_mT8_P12ihipStream_tbDpT10_ENKUlT_T0_E_clISt17integral_constantIbLb1EES19_EEDaS14_S15_EUlS14_E_NS1_11comp_targetILNS1_3genE2ELNS1_11target_archE906ELNS1_3gpuE6ELNS1_3repE0EEENS1_30default_config_static_selectorELNS0_4arch9wavefront6targetE1EEEvT1_,@function
_ZN7rocprim17ROCPRIM_400000_NS6detail17trampoline_kernelINS0_14default_configENS1_25partition_config_selectorILNS1_17partition_subalgoE0EjNS0_10empty_typeEbEEZZNS1_14partition_implILS5_0ELb0ES3_jN6thrust23THRUST_200600_302600_NS6detail15normal_iteratorINSA_10device_ptrIjEEEEPS6_SG_NS0_5tupleIJSF_NSA_16discard_iteratorINSA_11use_defaultEEEEEENSH_IJSG_SG_EEES6_PlJ7is_evenIjEEEE10hipError_tPvRmT3_T4_T5_T6_T7_T9_mT8_P12ihipStream_tbDpT10_ENKUlT_T0_E_clISt17integral_constantIbLb1EES19_EEDaS14_S15_EUlS14_E_NS1_11comp_targetILNS1_3genE2ELNS1_11target_archE906ELNS1_3gpuE6ELNS1_3repE0EEENS1_30default_config_static_selectorELNS0_4arch9wavefront6targetE1EEEvT1_: ; @_ZN7rocprim17ROCPRIM_400000_NS6detail17trampoline_kernelINS0_14default_configENS1_25partition_config_selectorILNS1_17partition_subalgoE0EjNS0_10empty_typeEbEEZZNS1_14partition_implILS5_0ELb0ES3_jN6thrust23THRUST_200600_302600_NS6detail15normal_iteratorINSA_10device_ptrIjEEEEPS6_SG_NS0_5tupleIJSF_NSA_16discard_iteratorINSA_11use_defaultEEEEEENSH_IJSG_SG_EEES6_PlJ7is_evenIjEEEE10hipError_tPvRmT3_T4_T5_T6_T7_T9_mT8_P12ihipStream_tbDpT10_ENKUlT_T0_E_clISt17integral_constantIbLb1EES19_EEDaS14_S15_EUlS14_E_NS1_11comp_targetILNS1_3genE2ELNS1_11target_archE906ELNS1_3gpuE6ELNS1_3repE0EEENS1_30default_config_static_selectorELNS0_4arch9wavefront6targetE1EEEvT1_
; %bb.0:
	.section	.rodata,"a",@progbits
	.p2align	6, 0x0
	.amdhsa_kernel _ZN7rocprim17ROCPRIM_400000_NS6detail17trampoline_kernelINS0_14default_configENS1_25partition_config_selectorILNS1_17partition_subalgoE0EjNS0_10empty_typeEbEEZZNS1_14partition_implILS5_0ELb0ES3_jN6thrust23THRUST_200600_302600_NS6detail15normal_iteratorINSA_10device_ptrIjEEEEPS6_SG_NS0_5tupleIJSF_NSA_16discard_iteratorINSA_11use_defaultEEEEEENSH_IJSG_SG_EEES6_PlJ7is_evenIjEEEE10hipError_tPvRmT3_T4_T5_T6_T7_T9_mT8_P12ihipStream_tbDpT10_ENKUlT_T0_E_clISt17integral_constantIbLb1EES19_EEDaS14_S15_EUlS14_E_NS1_11comp_targetILNS1_3genE2ELNS1_11target_archE906ELNS1_3gpuE6ELNS1_3repE0EEENS1_30default_config_static_selectorELNS0_4arch9wavefront6targetE1EEEvT1_
		.amdhsa_group_segment_fixed_size 0
		.amdhsa_private_segment_fixed_size 0
		.amdhsa_kernarg_size 144
		.amdhsa_user_sgpr_count 6
		.amdhsa_user_sgpr_private_segment_buffer 1
		.amdhsa_user_sgpr_dispatch_ptr 0
		.amdhsa_user_sgpr_queue_ptr 0
		.amdhsa_user_sgpr_kernarg_segment_ptr 1
		.amdhsa_user_sgpr_dispatch_id 0
		.amdhsa_user_sgpr_flat_scratch_init 0
		.amdhsa_user_sgpr_kernarg_preload_length 0
		.amdhsa_user_sgpr_kernarg_preload_offset 0
		.amdhsa_user_sgpr_private_segment_size 0
		.amdhsa_uses_dynamic_stack 0
		.amdhsa_system_sgpr_private_segment_wavefront_offset 0
		.amdhsa_system_sgpr_workgroup_id_x 1
		.amdhsa_system_sgpr_workgroup_id_y 0
		.amdhsa_system_sgpr_workgroup_id_z 0
		.amdhsa_system_sgpr_workgroup_info 0
		.amdhsa_system_vgpr_workitem_id 0
		.amdhsa_next_free_vgpr 1
		.amdhsa_next_free_sgpr 0
		.amdhsa_accum_offset 4
		.amdhsa_reserve_vcc 0
		.amdhsa_reserve_flat_scratch 0
		.amdhsa_float_round_mode_32 0
		.amdhsa_float_round_mode_16_64 0
		.amdhsa_float_denorm_mode_32 3
		.amdhsa_float_denorm_mode_16_64 3
		.amdhsa_dx10_clamp 1
		.amdhsa_ieee_mode 1
		.amdhsa_fp16_overflow 0
		.amdhsa_tg_split 0
		.amdhsa_exception_fp_ieee_invalid_op 0
		.amdhsa_exception_fp_denorm_src 0
		.amdhsa_exception_fp_ieee_div_zero 0
		.amdhsa_exception_fp_ieee_overflow 0
		.amdhsa_exception_fp_ieee_underflow 0
		.amdhsa_exception_fp_ieee_inexact 0
		.amdhsa_exception_int_div_zero 0
	.end_amdhsa_kernel
	.section	.text._ZN7rocprim17ROCPRIM_400000_NS6detail17trampoline_kernelINS0_14default_configENS1_25partition_config_selectorILNS1_17partition_subalgoE0EjNS0_10empty_typeEbEEZZNS1_14partition_implILS5_0ELb0ES3_jN6thrust23THRUST_200600_302600_NS6detail15normal_iteratorINSA_10device_ptrIjEEEEPS6_SG_NS0_5tupleIJSF_NSA_16discard_iteratorINSA_11use_defaultEEEEEENSH_IJSG_SG_EEES6_PlJ7is_evenIjEEEE10hipError_tPvRmT3_T4_T5_T6_T7_T9_mT8_P12ihipStream_tbDpT10_ENKUlT_T0_E_clISt17integral_constantIbLb1EES19_EEDaS14_S15_EUlS14_E_NS1_11comp_targetILNS1_3genE2ELNS1_11target_archE906ELNS1_3gpuE6ELNS1_3repE0EEENS1_30default_config_static_selectorELNS0_4arch9wavefront6targetE1EEEvT1_,"axG",@progbits,_ZN7rocprim17ROCPRIM_400000_NS6detail17trampoline_kernelINS0_14default_configENS1_25partition_config_selectorILNS1_17partition_subalgoE0EjNS0_10empty_typeEbEEZZNS1_14partition_implILS5_0ELb0ES3_jN6thrust23THRUST_200600_302600_NS6detail15normal_iteratorINSA_10device_ptrIjEEEEPS6_SG_NS0_5tupleIJSF_NSA_16discard_iteratorINSA_11use_defaultEEEEEENSH_IJSG_SG_EEES6_PlJ7is_evenIjEEEE10hipError_tPvRmT3_T4_T5_T6_T7_T9_mT8_P12ihipStream_tbDpT10_ENKUlT_T0_E_clISt17integral_constantIbLb1EES19_EEDaS14_S15_EUlS14_E_NS1_11comp_targetILNS1_3genE2ELNS1_11target_archE906ELNS1_3gpuE6ELNS1_3repE0EEENS1_30default_config_static_selectorELNS0_4arch9wavefront6targetE1EEEvT1_,comdat
.Lfunc_end2439:
	.size	_ZN7rocprim17ROCPRIM_400000_NS6detail17trampoline_kernelINS0_14default_configENS1_25partition_config_selectorILNS1_17partition_subalgoE0EjNS0_10empty_typeEbEEZZNS1_14partition_implILS5_0ELb0ES3_jN6thrust23THRUST_200600_302600_NS6detail15normal_iteratorINSA_10device_ptrIjEEEEPS6_SG_NS0_5tupleIJSF_NSA_16discard_iteratorINSA_11use_defaultEEEEEENSH_IJSG_SG_EEES6_PlJ7is_evenIjEEEE10hipError_tPvRmT3_T4_T5_T6_T7_T9_mT8_P12ihipStream_tbDpT10_ENKUlT_T0_E_clISt17integral_constantIbLb1EES19_EEDaS14_S15_EUlS14_E_NS1_11comp_targetILNS1_3genE2ELNS1_11target_archE906ELNS1_3gpuE6ELNS1_3repE0EEENS1_30default_config_static_selectorELNS0_4arch9wavefront6targetE1EEEvT1_, .Lfunc_end2439-_ZN7rocprim17ROCPRIM_400000_NS6detail17trampoline_kernelINS0_14default_configENS1_25partition_config_selectorILNS1_17partition_subalgoE0EjNS0_10empty_typeEbEEZZNS1_14partition_implILS5_0ELb0ES3_jN6thrust23THRUST_200600_302600_NS6detail15normal_iteratorINSA_10device_ptrIjEEEEPS6_SG_NS0_5tupleIJSF_NSA_16discard_iteratorINSA_11use_defaultEEEEEENSH_IJSG_SG_EEES6_PlJ7is_evenIjEEEE10hipError_tPvRmT3_T4_T5_T6_T7_T9_mT8_P12ihipStream_tbDpT10_ENKUlT_T0_E_clISt17integral_constantIbLb1EES19_EEDaS14_S15_EUlS14_E_NS1_11comp_targetILNS1_3genE2ELNS1_11target_archE906ELNS1_3gpuE6ELNS1_3repE0EEENS1_30default_config_static_selectorELNS0_4arch9wavefront6targetE1EEEvT1_
                                        ; -- End function
	.section	.AMDGPU.csdata,"",@progbits
; Kernel info:
; codeLenInByte = 0
; NumSgprs: 4
; NumVgprs: 0
; NumAgprs: 0
; TotalNumVgprs: 0
; ScratchSize: 0
; MemoryBound: 0
; FloatMode: 240
; IeeeMode: 1
; LDSByteSize: 0 bytes/workgroup (compile time only)
; SGPRBlocks: 0
; VGPRBlocks: 0
; NumSGPRsForWavesPerEU: 4
; NumVGPRsForWavesPerEU: 1
; AccumOffset: 4
; Occupancy: 8
; WaveLimiterHint : 0
; COMPUTE_PGM_RSRC2:SCRATCH_EN: 0
; COMPUTE_PGM_RSRC2:USER_SGPR: 6
; COMPUTE_PGM_RSRC2:TRAP_HANDLER: 0
; COMPUTE_PGM_RSRC2:TGID_X_EN: 1
; COMPUTE_PGM_RSRC2:TGID_Y_EN: 0
; COMPUTE_PGM_RSRC2:TGID_Z_EN: 0
; COMPUTE_PGM_RSRC2:TIDIG_COMP_CNT: 0
; COMPUTE_PGM_RSRC3_GFX90A:ACCUM_OFFSET: 0
; COMPUTE_PGM_RSRC3_GFX90A:TG_SPLIT: 0
	.section	.text._ZN7rocprim17ROCPRIM_400000_NS6detail17trampoline_kernelINS0_14default_configENS1_25partition_config_selectorILNS1_17partition_subalgoE0EjNS0_10empty_typeEbEEZZNS1_14partition_implILS5_0ELb0ES3_jN6thrust23THRUST_200600_302600_NS6detail15normal_iteratorINSA_10device_ptrIjEEEEPS6_SG_NS0_5tupleIJSF_NSA_16discard_iteratorINSA_11use_defaultEEEEEENSH_IJSG_SG_EEES6_PlJ7is_evenIjEEEE10hipError_tPvRmT3_T4_T5_T6_T7_T9_mT8_P12ihipStream_tbDpT10_ENKUlT_T0_E_clISt17integral_constantIbLb1EES19_EEDaS14_S15_EUlS14_E_NS1_11comp_targetILNS1_3genE10ELNS1_11target_archE1200ELNS1_3gpuE4ELNS1_3repE0EEENS1_30default_config_static_selectorELNS0_4arch9wavefront6targetE1EEEvT1_,"axG",@progbits,_ZN7rocprim17ROCPRIM_400000_NS6detail17trampoline_kernelINS0_14default_configENS1_25partition_config_selectorILNS1_17partition_subalgoE0EjNS0_10empty_typeEbEEZZNS1_14partition_implILS5_0ELb0ES3_jN6thrust23THRUST_200600_302600_NS6detail15normal_iteratorINSA_10device_ptrIjEEEEPS6_SG_NS0_5tupleIJSF_NSA_16discard_iteratorINSA_11use_defaultEEEEEENSH_IJSG_SG_EEES6_PlJ7is_evenIjEEEE10hipError_tPvRmT3_T4_T5_T6_T7_T9_mT8_P12ihipStream_tbDpT10_ENKUlT_T0_E_clISt17integral_constantIbLb1EES19_EEDaS14_S15_EUlS14_E_NS1_11comp_targetILNS1_3genE10ELNS1_11target_archE1200ELNS1_3gpuE4ELNS1_3repE0EEENS1_30default_config_static_selectorELNS0_4arch9wavefront6targetE1EEEvT1_,comdat
	.protected	_ZN7rocprim17ROCPRIM_400000_NS6detail17trampoline_kernelINS0_14default_configENS1_25partition_config_selectorILNS1_17partition_subalgoE0EjNS0_10empty_typeEbEEZZNS1_14partition_implILS5_0ELb0ES3_jN6thrust23THRUST_200600_302600_NS6detail15normal_iteratorINSA_10device_ptrIjEEEEPS6_SG_NS0_5tupleIJSF_NSA_16discard_iteratorINSA_11use_defaultEEEEEENSH_IJSG_SG_EEES6_PlJ7is_evenIjEEEE10hipError_tPvRmT3_T4_T5_T6_T7_T9_mT8_P12ihipStream_tbDpT10_ENKUlT_T0_E_clISt17integral_constantIbLb1EES19_EEDaS14_S15_EUlS14_E_NS1_11comp_targetILNS1_3genE10ELNS1_11target_archE1200ELNS1_3gpuE4ELNS1_3repE0EEENS1_30default_config_static_selectorELNS0_4arch9wavefront6targetE1EEEvT1_ ; -- Begin function _ZN7rocprim17ROCPRIM_400000_NS6detail17trampoline_kernelINS0_14default_configENS1_25partition_config_selectorILNS1_17partition_subalgoE0EjNS0_10empty_typeEbEEZZNS1_14partition_implILS5_0ELb0ES3_jN6thrust23THRUST_200600_302600_NS6detail15normal_iteratorINSA_10device_ptrIjEEEEPS6_SG_NS0_5tupleIJSF_NSA_16discard_iteratorINSA_11use_defaultEEEEEENSH_IJSG_SG_EEES6_PlJ7is_evenIjEEEE10hipError_tPvRmT3_T4_T5_T6_T7_T9_mT8_P12ihipStream_tbDpT10_ENKUlT_T0_E_clISt17integral_constantIbLb1EES19_EEDaS14_S15_EUlS14_E_NS1_11comp_targetILNS1_3genE10ELNS1_11target_archE1200ELNS1_3gpuE4ELNS1_3repE0EEENS1_30default_config_static_selectorELNS0_4arch9wavefront6targetE1EEEvT1_
	.globl	_ZN7rocprim17ROCPRIM_400000_NS6detail17trampoline_kernelINS0_14default_configENS1_25partition_config_selectorILNS1_17partition_subalgoE0EjNS0_10empty_typeEbEEZZNS1_14partition_implILS5_0ELb0ES3_jN6thrust23THRUST_200600_302600_NS6detail15normal_iteratorINSA_10device_ptrIjEEEEPS6_SG_NS0_5tupleIJSF_NSA_16discard_iteratorINSA_11use_defaultEEEEEENSH_IJSG_SG_EEES6_PlJ7is_evenIjEEEE10hipError_tPvRmT3_T4_T5_T6_T7_T9_mT8_P12ihipStream_tbDpT10_ENKUlT_T0_E_clISt17integral_constantIbLb1EES19_EEDaS14_S15_EUlS14_E_NS1_11comp_targetILNS1_3genE10ELNS1_11target_archE1200ELNS1_3gpuE4ELNS1_3repE0EEENS1_30default_config_static_selectorELNS0_4arch9wavefront6targetE1EEEvT1_
	.p2align	8
	.type	_ZN7rocprim17ROCPRIM_400000_NS6detail17trampoline_kernelINS0_14default_configENS1_25partition_config_selectorILNS1_17partition_subalgoE0EjNS0_10empty_typeEbEEZZNS1_14partition_implILS5_0ELb0ES3_jN6thrust23THRUST_200600_302600_NS6detail15normal_iteratorINSA_10device_ptrIjEEEEPS6_SG_NS0_5tupleIJSF_NSA_16discard_iteratorINSA_11use_defaultEEEEEENSH_IJSG_SG_EEES6_PlJ7is_evenIjEEEE10hipError_tPvRmT3_T4_T5_T6_T7_T9_mT8_P12ihipStream_tbDpT10_ENKUlT_T0_E_clISt17integral_constantIbLb1EES19_EEDaS14_S15_EUlS14_E_NS1_11comp_targetILNS1_3genE10ELNS1_11target_archE1200ELNS1_3gpuE4ELNS1_3repE0EEENS1_30default_config_static_selectorELNS0_4arch9wavefront6targetE1EEEvT1_,@function
_ZN7rocprim17ROCPRIM_400000_NS6detail17trampoline_kernelINS0_14default_configENS1_25partition_config_selectorILNS1_17partition_subalgoE0EjNS0_10empty_typeEbEEZZNS1_14partition_implILS5_0ELb0ES3_jN6thrust23THRUST_200600_302600_NS6detail15normal_iteratorINSA_10device_ptrIjEEEEPS6_SG_NS0_5tupleIJSF_NSA_16discard_iteratorINSA_11use_defaultEEEEEENSH_IJSG_SG_EEES6_PlJ7is_evenIjEEEE10hipError_tPvRmT3_T4_T5_T6_T7_T9_mT8_P12ihipStream_tbDpT10_ENKUlT_T0_E_clISt17integral_constantIbLb1EES19_EEDaS14_S15_EUlS14_E_NS1_11comp_targetILNS1_3genE10ELNS1_11target_archE1200ELNS1_3gpuE4ELNS1_3repE0EEENS1_30default_config_static_selectorELNS0_4arch9wavefront6targetE1EEEvT1_: ; @_ZN7rocprim17ROCPRIM_400000_NS6detail17trampoline_kernelINS0_14default_configENS1_25partition_config_selectorILNS1_17partition_subalgoE0EjNS0_10empty_typeEbEEZZNS1_14partition_implILS5_0ELb0ES3_jN6thrust23THRUST_200600_302600_NS6detail15normal_iteratorINSA_10device_ptrIjEEEEPS6_SG_NS0_5tupleIJSF_NSA_16discard_iteratorINSA_11use_defaultEEEEEENSH_IJSG_SG_EEES6_PlJ7is_evenIjEEEE10hipError_tPvRmT3_T4_T5_T6_T7_T9_mT8_P12ihipStream_tbDpT10_ENKUlT_T0_E_clISt17integral_constantIbLb1EES19_EEDaS14_S15_EUlS14_E_NS1_11comp_targetILNS1_3genE10ELNS1_11target_archE1200ELNS1_3gpuE4ELNS1_3repE0EEENS1_30default_config_static_selectorELNS0_4arch9wavefront6targetE1EEEvT1_
; %bb.0:
	.section	.rodata,"a",@progbits
	.p2align	6, 0x0
	.amdhsa_kernel _ZN7rocprim17ROCPRIM_400000_NS6detail17trampoline_kernelINS0_14default_configENS1_25partition_config_selectorILNS1_17partition_subalgoE0EjNS0_10empty_typeEbEEZZNS1_14partition_implILS5_0ELb0ES3_jN6thrust23THRUST_200600_302600_NS6detail15normal_iteratorINSA_10device_ptrIjEEEEPS6_SG_NS0_5tupleIJSF_NSA_16discard_iteratorINSA_11use_defaultEEEEEENSH_IJSG_SG_EEES6_PlJ7is_evenIjEEEE10hipError_tPvRmT3_T4_T5_T6_T7_T9_mT8_P12ihipStream_tbDpT10_ENKUlT_T0_E_clISt17integral_constantIbLb1EES19_EEDaS14_S15_EUlS14_E_NS1_11comp_targetILNS1_3genE10ELNS1_11target_archE1200ELNS1_3gpuE4ELNS1_3repE0EEENS1_30default_config_static_selectorELNS0_4arch9wavefront6targetE1EEEvT1_
		.amdhsa_group_segment_fixed_size 0
		.amdhsa_private_segment_fixed_size 0
		.amdhsa_kernarg_size 144
		.amdhsa_user_sgpr_count 6
		.amdhsa_user_sgpr_private_segment_buffer 1
		.amdhsa_user_sgpr_dispatch_ptr 0
		.amdhsa_user_sgpr_queue_ptr 0
		.amdhsa_user_sgpr_kernarg_segment_ptr 1
		.amdhsa_user_sgpr_dispatch_id 0
		.amdhsa_user_sgpr_flat_scratch_init 0
		.amdhsa_user_sgpr_kernarg_preload_length 0
		.amdhsa_user_sgpr_kernarg_preload_offset 0
		.amdhsa_user_sgpr_private_segment_size 0
		.amdhsa_uses_dynamic_stack 0
		.amdhsa_system_sgpr_private_segment_wavefront_offset 0
		.amdhsa_system_sgpr_workgroup_id_x 1
		.amdhsa_system_sgpr_workgroup_id_y 0
		.amdhsa_system_sgpr_workgroup_id_z 0
		.amdhsa_system_sgpr_workgroup_info 0
		.amdhsa_system_vgpr_workitem_id 0
		.amdhsa_next_free_vgpr 1
		.amdhsa_next_free_sgpr 0
		.amdhsa_accum_offset 4
		.amdhsa_reserve_vcc 0
		.amdhsa_reserve_flat_scratch 0
		.amdhsa_float_round_mode_32 0
		.amdhsa_float_round_mode_16_64 0
		.amdhsa_float_denorm_mode_32 3
		.amdhsa_float_denorm_mode_16_64 3
		.amdhsa_dx10_clamp 1
		.amdhsa_ieee_mode 1
		.amdhsa_fp16_overflow 0
		.amdhsa_tg_split 0
		.amdhsa_exception_fp_ieee_invalid_op 0
		.amdhsa_exception_fp_denorm_src 0
		.amdhsa_exception_fp_ieee_div_zero 0
		.amdhsa_exception_fp_ieee_overflow 0
		.amdhsa_exception_fp_ieee_underflow 0
		.amdhsa_exception_fp_ieee_inexact 0
		.amdhsa_exception_int_div_zero 0
	.end_amdhsa_kernel
	.section	.text._ZN7rocprim17ROCPRIM_400000_NS6detail17trampoline_kernelINS0_14default_configENS1_25partition_config_selectorILNS1_17partition_subalgoE0EjNS0_10empty_typeEbEEZZNS1_14partition_implILS5_0ELb0ES3_jN6thrust23THRUST_200600_302600_NS6detail15normal_iteratorINSA_10device_ptrIjEEEEPS6_SG_NS0_5tupleIJSF_NSA_16discard_iteratorINSA_11use_defaultEEEEEENSH_IJSG_SG_EEES6_PlJ7is_evenIjEEEE10hipError_tPvRmT3_T4_T5_T6_T7_T9_mT8_P12ihipStream_tbDpT10_ENKUlT_T0_E_clISt17integral_constantIbLb1EES19_EEDaS14_S15_EUlS14_E_NS1_11comp_targetILNS1_3genE10ELNS1_11target_archE1200ELNS1_3gpuE4ELNS1_3repE0EEENS1_30default_config_static_selectorELNS0_4arch9wavefront6targetE1EEEvT1_,"axG",@progbits,_ZN7rocprim17ROCPRIM_400000_NS6detail17trampoline_kernelINS0_14default_configENS1_25partition_config_selectorILNS1_17partition_subalgoE0EjNS0_10empty_typeEbEEZZNS1_14partition_implILS5_0ELb0ES3_jN6thrust23THRUST_200600_302600_NS6detail15normal_iteratorINSA_10device_ptrIjEEEEPS6_SG_NS0_5tupleIJSF_NSA_16discard_iteratorINSA_11use_defaultEEEEEENSH_IJSG_SG_EEES6_PlJ7is_evenIjEEEE10hipError_tPvRmT3_T4_T5_T6_T7_T9_mT8_P12ihipStream_tbDpT10_ENKUlT_T0_E_clISt17integral_constantIbLb1EES19_EEDaS14_S15_EUlS14_E_NS1_11comp_targetILNS1_3genE10ELNS1_11target_archE1200ELNS1_3gpuE4ELNS1_3repE0EEENS1_30default_config_static_selectorELNS0_4arch9wavefront6targetE1EEEvT1_,comdat
.Lfunc_end2440:
	.size	_ZN7rocprim17ROCPRIM_400000_NS6detail17trampoline_kernelINS0_14default_configENS1_25partition_config_selectorILNS1_17partition_subalgoE0EjNS0_10empty_typeEbEEZZNS1_14partition_implILS5_0ELb0ES3_jN6thrust23THRUST_200600_302600_NS6detail15normal_iteratorINSA_10device_ptrIjEEEEPS6_SG_NS0_5tupleIJSF_NSA_16discard_iteratorINSA_11use_defaultEEEEEENSH_IJSG_SG_EEES6_PlJ7is_evenIjEEEE10hipError_tPvRmT3_T4_T5_T6_T7_T9_mT8_P12ihipStream_tbDpT10_ENKUlT_T0_E_clISt17integral_constantIbLb1EES19_EEDaS14_S15_EUlS14_E_NS1_11comp_targetILNS1_3genE10ELNS1_11target_archE1200ELNS1_3gpuE4ELNS1_3repE0EEENS1_30default_config_static_selectorELNS0_4arch9wavefront6targetE1EEEvT1_, .Lfunc_end2440-_ZN7rocprim17ROCPRIM_400000_NS6detail17trampoline_kernelINS0_14default_configENS1_25partition_config_selectorILNS1_17partition_subalgoE0EjNS0_10empty_typeEbEEZZNS1_14partition_implILS5_0ELb0ES3_jN6thrust23THRUST_200600_302600_NS6detail15normal_iteratorINSA_10device_ptrIjEEEEPS6_SG_NS0_5tupleIJSF_NSA_16discard_iteratorINSA_11use_defaultEEEEEENSH_IJSG_SG_EEES6_PlJ7is_evenIjEEEE10hipError_tPvRmT3_T4_T5_T6_T7_T9_mT8_P12ihipStream_tbDpT10_ENKUlT_T0_E_clISt17integral_constantIbLb1EES19_EEDaS14_S15_EUlS14_E_NS1_11comp_targetILNS1_3genE10ELNS1_11target_archE1200ELNS1_3gpuE4ELNS1_3repE0EEENS1_30default_config_static_selectorELNS0_4arch9wavefront6targetE1EEEvT1_
                                        ; -- End function
	.section	.AMDGPU.csdata,"",@progbits
; Kernel info:
; codeLenInByte = 0
; NumSgprs: 4
; NumVgprs: 0
; NumAgprs: 0
; TotalNumVgprs: 0
; ScratchSize: 0
; MemoryBound: 0
; FloatMode: 240
; IeeeMode: 1
; LDSByteSize: 0 bytes/workgroup (compile time only)
; SGPRBlocks: 0
; VGPRBlocks: 0
; NumSGPRsForWavesPerEU: 4
; NumVGPRsForWavesPerEU: 1
; AccumOffset: 4
; Occupancy: 8
; WaveLimiterHint : 0
; COMPUTE_PGM_RSRC2:SCRATCH_EN: 0
; COMPUTE_PGM_RSRC2:USER_SGPR: 6
; COMPUTE_PGM_RSRC2:TRAP_HANDLER: 0
; COMPUTE_PGM_RSRC2:TGID_X_EN: 1
; COMPUTE_PGM_RSRC2:TGID_Y_EN: 0
; COMPUTE_PGM_RSRC2:TGID_Z_EN: 0
; COMPUTE_PGM_RSRC2:TIDIG_COMP_CNT: 0
; COMPUTE_PGM_RSRC3_GFX90A:ACCUM_OFFSET: 0
; COMPUTE_PGM_RSRC3_GFX90A:TG_SPLIT: 0
	.section	.text._ZN7rocprim17ROCPRIM_400000_NS6detail17trampoline_kernelINS0_14default_configENS1_25partition_config_selectorILNS1_17partition_subalgoE0EjNS0_10empty_typeEbEEZZNS1_14partition_implILS5_0ELb0ES3_jN6thrust23THRUST_200600_302600_NS6detail15normal_iteratorINSA_10device_ptrIjEEEEPS6_SG_NS0_5tupleIJSF_NSA_16discard_iteratorINSA_11use_defaultEEEEEENSH_IJSG_SG_EEES6_PlJ7is_evenIjEEEE10hipError_tPvRmT3_T4_T5_T6_T7_T9_mT8_P12ihipStream_tbDpT10_ENKUlT_T0_E_clISt17integral_constantIbLb1EES19_EEDaS14_S15_EUlS14_E_NS1_11comp_targetILNS1_3genE9ELNS1_11target_archE1100ELNS1_3gpuE3ELNS1_3repE0EEENS1_30default_config_static_selectorELNS0_4arch9wavefront6targetE1EEEvT1_,"axG",@progbits,_ZN7rocprim17ROCPRIM_400000_NS6detail17trampoline_kernelINS0_14default_configENS1_25partition_config_selectorILNS1_17partition_subalgoE0EjNS0_10empty_typeEbEEZZNS1_14partition_implILS5_0ELb0ES3_jN6thrust23THRUST_200600_302600_NS6detail15normal_iteratorINSA_10device_ptrIjEEEEPS6_SG_NS0_5tupleIJSF_NSA_16discard_iteratorINSA_11use_defaultEEEEEENSH_IJSG_SG_EEES6_PlJ7is_evenIjEEEE10hipError_tPvRmT3_T4_T5_T6_T7_T9_mT8_P12ihipStream_tbDpT10_ENKUlT_T0_E_clISt17integral_constantIbLb1EES19_EEDaS14_S15_EUlS14_E_NS1_11comp_targetILNS1_3genE9ELNS1_11target_archE1100ELNS1_3gpuE3ELNS1_3repE0EEENS1_30default_config_static_selectorELNS0_4arch9wavefront6targetE1EEEvT1_,comdat
	.protected	_ZN7rocprim17ROCPRIM_400000_NS6detail17trampoline_kernelINS0_14default_configENS1_25partition_config_selectorILNS1_17partition_subalgoE0EjNS0_10empty_typeEbEEZZNS1_14partition_implILS5_0ELb0ES3_jN6thrust23THRUST_200600_302600_NS6detail15normal_iteratorINSA_10device_ptrIjEEEEPS6_SG_NS0_5tupleIJSF_NSA_16discard_iteratorINSA_11use_defaultEEEEEENSH_IJSG_SG_EEES6_PlJ7is_evenIjEEEE10hipError_tPvRmT3_T4_T5_T6_T7_T9_mT8_P12ihipStream_tbDpT10_ENKUlT_T0_E_clISt17integral_constantIbLb1EES19_EEDaS14_S15_EUlS14_E_NS1_11comp_targetILNS1_3genE9ELNS1_11target_archE1100ELNS1_3gpuE3ELNS1_3repE0EEENS1_30default_config_static_selectorELNS0_4arch9wavefront6targetE1EEEvT1_ ; -- Begin function _ZN7rocprim17ROCPRIM_400000_NS6detail17trampoline_kernelINS0_14default_configENS1_25partition_config_selectorILNS1_17partition_subalgoE0EjNS0_10empty_typeEbEEZZNS1_14partition_implILS5_0ELb0ES3_jN6thrust23THRUST_200600_302600_NS6detail15normal_iteratorINSA_10device_ptrIjEEEEPS6_SG_NS0_5tupleIJSF_NSA_16discard_iteratorINSA_11use_defaultEEEEEENSH_IJSG_SG_EEES6_PlJ7is_evenIjEEEE10hipError_tPvRmT3_T4_T5_T6_T7_T9_mT8_P12ihipStream_tbDpT10_ENKUlT_T0_E_clISt17integral_constantIbLb1EES19_EEDaS14_S15_EUlS14_E_NS1_11comp_targetILNS1_3genE9ELNS1_11target_archE1100ELNS1_3gpuE3ELNS1_3repE0EEENS1_30default_config_static_selectorELNS0_4arch9wavefront6targetE1EEEvT1_
	.globl	_ZN7rocprim17ROCPRIM_400000_NS6detail17trampoline_kernelINS0_14default_configENS1_25partition_config_selectorILNS1_17partition_subalgoE0EjNS0_10empty_typeEbEEZZNS1_14partition_implILS5_0ELb0ES3_jN6thrust23THRUST_200600_302600_NS6detail15normal_iteratorINSA_10device_ptrIjEEEEPS6_SG_NS0_5tupleIJSF_NSA_16discard_iteratorINSA_11use_defaultEEEEEENSH_IJSG_SG_EEES6_PlJ7is_evenIjEEEE10hipError_tPvRmT3_T4_T5_T6_T7_T9_mT8_P12ihipStream_tbDpT10_ENKUlT_T0_E_clISt17integral_constantIbLb1EES19_EEDaS14_S15_EUlS14_E_NS1_11comp_targetILNS1_3genE9ELNS1_11target_archE1100ELNS1_3gpuE3ELNS1_3repE0EEENS1_30default_config_static_selectorELNS0_4arch9wavefront6targetE1EEEvT1_
	.p2align	8
	.type	_ZN7rocprim17ROCPRIM_400000_NS6detail17trampoline_kernelINS0_14default_configENS1_25partition_config_selectorILNS1_17partition_subalgoE0EjNS0_10empty_typeEbEEZZNS1_14partition_implILS5_0ELb0ES3_jN6thrust23THRUST_200600_302600_NS6detail15normal_iteratorINSA_10device_ptrIjEEEEPS6_SG_NS0_5tupleIJSF_NSA_16discard_iteratorINSA_11use_defaultEEEEEENSH_IJSG_SG_EEES6_PlJ7is_evenIjEEEE10hipError_tPvRmT3_T4_T5_T6_T7_T9_mT8_P12ihipStream_tbDpT10_ENKUlT_T0_E_clISt17integral_constantIbLb1EES19_EEDaS14_S15_EUlS14_E_NS1_11comp_targetILNS1_3genE9ELNS1_11target_archE1100ELNS1_3gpuE3ELNS1_3repE0EEENS1_30default_config_static_selectorELNS0_4arch9wavefront6targetE1EEEvT1_,@function
_ZN7rocprim17ROCPRIM_400000_NS6detail17trampoline_kernelINS0_14default_configENS1_25partition_config_selectorILNS1_17partition_subalgoE0EjNS0_10empty_typeEbEEZZNS1_14partition_implILS5_0ELb0ES3_jN6thrust23THRUST_200600_302600_NS6detail15normal_iteratorINSA_10device_ptrIjEEEEPS6_SG_NS0_5tupleIJSF_NSA_16discard_iteratorINSA_11use_defaultEEEEEENSH_IJSG_SG_EEES6_PlJ7is_evenIjEEEE10hipError_tPvRmT3_T4_T5_T6_T7_T9_mT8_P12ihipStream_tbDpT10_ENKUlT_T0_E_clISt17integral_constantIbLb1EES19_EEDaS14_S15_EUlS14_E_NS1_11comp_targetILNS1_3genE9ELNS1_11target_archE1100ELNS1_3gpuE3ELNS1_3repE0EEENS1_30default_config_static_selectorELNS0_4arch9wavefront6targetE1EEEvT1_: ; @_ZN7rocprim17ROCPRIM_400000_NS6detail17trampoline_kernelINS0_14default_configENS1_25partition_config_selectorILNS1_17partition_subalgoE0EjNS0_10empty_typeEbEEZZNS1_14partition_implILS5_0ELb0ES3_jN6thrust23THRUST_200600_302600_NS6detail15normal_iteratorINSA_10device_ptrIjEEEEPS6_SG_NS0_5tupleIJSF_NSA_16discard_iteratorINSA_11use_defaultEEEEEENSH_IJSG_SG_EEES6_PlJ7is_evenIjEEEE10hipError_tPvRmT3_T4_T5_T6_T7_T9_mT8_P12ihipStream_tbDpT10_ENKUlT_T0_E_clISt17integral_constantIbLb1EES19_EEDaS14_S15_EUlS14_E_NS1_11comp_targetILNS1_3genE9ELNS1_11target_archE1100ELNS1_3gpuE3ELNS1_3repE0EEENS1_30default_config_static_selectorELNS0_4arch9wavefront6targetE1EEEvT1_
; %bb.0:
	.section	.rodata,"a",@progbits
	.p2align	6, 0x0
	.amdhsa_kernel _ZN7rocprim17ROCPRIM_400000_NS6detail17trampoline_kernelINS0_14default_configENS1_25partition_config_selectorILNS1_17partition_subalgoE0EjNS0_10empty_typeEbEEZZNS1_14partition_implILS5_0ELb0ES3_jN6thrust23THRUST_200600_302600_NS6detail15normal_iteratorINSA_10device_ptrIjEEEEPS6_SG_NS0_5tupleIJSF_NSA_16discard_iteratorINSA_11use_defaultEEEEEENSH_IJSG_SG_EEES6_PlJ7is_evenIjEEEE10hipError_tPvRmT3_T4_T5_T6_T7_T9_mT8_P12ihipStream_tbDpT10_ENKUlT_T0_E_clISt17integral_constantIbLb1EES19_EEDaS14_S15_EUlS14_E_NS1_11comp_targetILNS1_3genE9ELNS1_11target_archE1100ELNS1_3gpuE3ELNS1_3repE0EEENS1_30default_config_static_selectorELNS0_4arch9wavefront6targetE1EEEvT1_
		.amdhsa_group_segment_fixed_size 0
		.amdhsa_private_segment_fixed_size 0
		.amdhsa_kernarg_size 144
		.amdhsa_user_sgpr_count 6
		.amdhsa_user_sgpr_private_segment_buffer 1
		.amdhsa_user_sgpr_dispatch_ptr 0
		.amdhsa_user_sgpr_queue_ptr 0
		.amdhsa_user_sgpr_kernarg_segment_ptr 1
		.amdhsa_user_sgpr_dispatch_id 0
		.amdhsa_user_sgpr_flat_scratch_init 0
		.amdhsa_user_sgpr_kernarg_preload_length 0
		.amdhsa_user_sgpr_kernarg_preload_offset 0
		.amdhsa_user_sgpr_private_segment_size 0
		.amdhsa_uses_dynamic_stack 0
		.amdhsa_system_sgpr_private_segment_wavefront_offset 0
		.amdhsa_system_sgpr_workgroup_id_x 1
		.amdhsa_system_sgpr_workgroup_id_y 0
		.amdhsa_system_sgpr_workgroup_id_z 0
		.amdhsa_system_sgpr_workgroup_info 0
		.amdhsa_system_vgpr_workitem_id 0
		.amdhsa_next_free_vgpr 1
		.amdhsa_next_free_sgpr 0
		.amdhsa_accum_offset 4
		.amdhsa_reserve_vcc 0
		.amdhsa_reserve_flat_scratch 0
		.amdhsa_float_round_mode_32 0
		.amdhsa_float_round_mode_16_64 0
		.amdhsa_float_denorm_mode_32 3
		.amdhsa_float_denorm_mode_16_64 3
		.amdhsa_dx10_clamp 1
		.amdhsa_ieee_mode 1
		.amdhsa_fp16_overflow 0
		.amdhsa_tg_split 0
		.amdhsa_exception_fp_ieee_invalid_op 0
		.amdhsa_exception_fp_denorm_src 0
		.amdhsa_exception_fp_ieee_div_zero 0
		.amdhsa_exception_fp_ieee_overflow 0
		.amdhsa_exception_fp_ieee_underflow 0
		.amdhsa_exception_fp_ieee_inexact 0
		.amdhsa_exception_int_div_zero 0
	.end_amdhsa_kernel
	.section	.text._ZN7rocprim17ROCPRIM_400000_NS6detail17trampoline_kernelINS0_14default_configENS1_25partition_config_selectorILNS1_17partition_subalgoE0EjNS0_10empty_typeEbEEZZNS1_14partition_implILS5_0ELb0ES3_jN6thrust23THRUST_200600_302600_NS6detail15normal_iteratorINSA_10device_ptrIjEEEEPS6_SG_NS0_5tupleIJSF_NSA_16discard_iteratorINSA_11use_defaultEEEEEENSH_IJSG_SG_EEES6_PlJ7is_evenIjEEEE10hipError_tPvRmT3_T4_T5_T6_T7_T9_mT8_P12ihipStream_tbDpT10_ENKUlT_T0_E_clISt17integral_constantIbLb1EES19_EEDaS14_S15_EUlS14_E_NS1_11comp_targetILNS1_3genE9ELNS1_11target_archE1100ELNS1_3gpuE3ELNS1_3repE0EEENS1_30default_config_static_selectorELNS0_4arch9wavefront6targetE1EEEvT1_,"axG",@progbits,_ZN7rocprim17ROCPRIM_400000_NS6detail17trampoline_kernelINS0_14default_configENS1_25partition_config_selectorILNS1_17partition_subalgoE0EjNS0_10empty_typeEbEEZZNS1_14partition_implILS5_0ELb0ES3_jN6thrust23THRUST_200600_302600_NS6detail15normal_iteratorINSA_10device_ptrIjEEEEPS6_SG_NS0_5tupleIJSF_NSA_16discard_iteratorINSA_11use_defaultEEEEEENSH_IJSG_SG_EEES6_PlJ7is_evenIjEEEE10hipError_tPvRmT3_T4_T5_T6_T7_T9_mT8_P12ihipStream_tbDpT10_ENKUlT_T0_E_clISt17integral_constantIbLb1EES19_EEDaS14_S15_EUlS14_E_NS1_11comp_targetILNS1_3genE9ELNS1_11target_archE1100ELNS1_3gpuE3ELNS1_3repE0EEENS1_30default_config_static_selectorELNS0_4arch9wavefront6targetE1EEEvT1_,comdat
.Lfunc_end2441:
	.size	_ZN7rocprim17ROCPRIM_400000_NS6detail17trampoline_kernelINS0_14default_configENS1_25partition_config_selectorILNS1_17partition_subalgoE0EjNS0_10empty_typeEbEEZZNS1_14partition_implILS5_0ELb0ES3_jN6thrust23THRUST_200600_302600_NS6detail15normal_iteratorINSA_10device_ptrIjEEEEPS6_SG_NS0_5tupleIJSF_NSA_16discard_iteratorINSA_11use_defaultEEEEEENSH_IJSG_SG_EEES6_PlJ7is_evenIjEEEE10hipError_tPvRmT3_T4_T5_T6_T7_T9_mT8_P12ihipStream_tbDpT10_ENKUlT_T0_E_clISt17integral_constantIbLb1EES19_EEDaS14_S15_EUlS14_E_NS1_11comp_targetILNS1_3genE9ELNS1_11target_archE1100ELNS1_3gpuE3ELNS1_3repE0EEENS1_30default_config_static_selectorELNS0_4arch9wavefront6targetE1EEEvT1_, .Lfunc_end2441-_ZN7rocprim17ROCPRIM_400000_NS6detail17trampoline_kernelINS0_14default_configENS1_25partition_config_selectorILNS1_17partition_subalgoE0EjNS0_10empty_typeEbEEZZNS1_14partition_implILS5_0ELb0ES3_jN6thrust23THRUST_200600_302600_NS6detail15normal_iteratorINSA_10device_ptrIjEEEEPS6_SG_NS0_5tupleIJSF_NSA_16discard_iteratorINSA_11use_defaultEEEEEENSH_IJSG_SG_EEES6_PlJ7is_evenIjEEEE10hipError_tPvRmT3_T4_T5_T6_T7_T9_mT8_P12ihipStream_tbDpT10_ENKUlT_T0_E_clISt17integral_constantIbLb1EES19_EEDaS14_S15_EUlS14_E_NS1_11comp_targetILNS1_3genE9ELNS1_11target_archE1100ELNS1_3gpuE3ELNS1_3repE0EEENS1_30default_config_static_selectorELNS0_4arch9wavefront6targetE1EEEvT1_
                                        ; -- End function
	.section	.AMDGPU.csdata,"",@progbits
; Kernel info:
; codeLenInByte = 0
; NumSgprs: 4
; NumVgprs: 0
; NumAgprs: 0
; TotalNumVgprs: 0
; ScratchSize: 0
; MemoryBound: 0
; FloatMode: 240
; IeeeMode: 1
; LDSByteSize: 0 bytes/workgroup (compile time only)
; SGPRBlocks: 0
; VGPRBlocks: 0
; NumSGPRsForWavesPerEU: 4
; NumVGPRsForWavesPerEU: 1
; AccumOffset: 4
; Occupancy: 8
; WaveLimiterHint : 0
; COMPUTE_PGM_RSRC2:SCRATCH_EN: 0
; COMPUTE_PGM_RSRC2:USER_SGPR: 6
; COMPUTE_PGM_RSRC2:TRAP_HANDLER: 0
; COMPUTE_PGM_RSRC2:TGID_X_EN: 1
; COMPUTE_PGM_RSRC2:TGID_Y_EN: 0
; COMPUTE_PGM_RSRC2:TGID_Z_EN: 0
; COMPUTE_PGM_RSRC2:TIDIG_COMP_CNT: 0
; COMPUTE_PGM_RSRC3_GFX90A:ACCUM_OFFSET: 0
; COMPUTE_PGM_RSRC3_GFX90A:TG_SPLIT: 0
	.section	.text._ZN7rocprim17ROCPRIM_400000_NS6detail17trampoline_kernelINS0_14default_configENS1_25partition_config_selectorILNS1_17partition_subalgoE0EjNS0_10empty_typeEbEEZZNS1_14partition_implILS5_0ELb0ES3_jN6thrust23THRUST_200600_302600_NS6detail15normal_iteratorINSA_10device_ptrIjEEEEPS6_SG_NS0_5tupleIJSF_NSA_16discard_iteratorINSA_11use_defaultEEEEEENSH_IJSG_SG_EEES6_PlJ7is_evenIjEEEE10hipError_tPvRmT3_T4_T5_T6_T7_T9_mT8_P12ihipStream_tbDpT10_ENKUlT_T0_E_clISt17integral_constantIbLb1EES19_EEDaS14_S15_EUlS14_E_NS1_11comp_targetILNS1_3genE8ELNS1_11target_archE1030ELNS1_3gpuE2ELNS1_3repE0EEENS1_30default_config_static_selectorELNS0_4arch9wavefront6targetE1EEEvT1_,"axG",@progbits,_ZN7rocprim17ROCPRIM_400000_NS6detail17trampoline_kernelINS0_14default_configENS1_25partition_config_selectorILNS1_17partition_subalgoE0EjNS0_10empty_typeEbEEZZNS1_14partition_implILS5_0ELb0ES3_jN6thrust23THRUST_200600_302600_NS6detail15normal_iteratorINSA_10device_ptrIjEEEEPS6_SG_NS0_5tupleIJSF_NSA_16discard_iteratorINSA_11use_defaultEEEEEENSH_IJSG_SG_EEES6_PlJ7is_evenIjEEEE10hipError_tPvRmT3_T4_T5_T6_T7_T9_mT8_P12ihipStream_tbDpT10_ENKUlT_T0_E_clISt17integral_constantIbLb1EES19_EEDaS14_S15_EUlS14_E_NS1_11comp_targetILNS1_3genE8ELNS1_11target_archE1030ELNS1_3gpuE2ELNS1_3repE0EEENS1_30default_config_static_selectorELNS0_4arch9wavefront6targetE1EEEvT1_,comdat
	.protected	_ZN7rocprim17ROCPRIM_400000_NS6detail17trampoline_kernelINS0_14default_configENS1_25partition_config_selectorILNS1_17partition_subalgoE0EjNS0_10empty_typeEbEEZZNS1_14partition_implILS5_0ELb0ES3_jN6thrust23THRUST_200600_302600_NS6detail15normal_iteratorINSA_10device_ptrIjEEEEPS6_SG_NS0_5tupleIJSF_NSA_16discard_iteratorINSA_11use_defaultEEEEEENSH_IJSG_SG_EEES6_PlJ7is_evenIjEEEE10hipError_tPvRmT3_T4_T5_T6_T7_T9_mT8_P12ihipStream_tbDpT10_ENKUlT_T0_E_clISt17integral_constantIbLb1EES19_EEDaS14_S15_EUlS14_E_NS1_11comp_targetILNS1_3genE8ELNS1_11target_archE1030ELNS1_3gpuE2ELNS1_3repE0EEENS1_30default_config_static_selectorELNS0_4arch9wavefront6targetE1EEEvT1_ ; -- Begin function _ZN7rocprim17ROCPRIM_400000_NS6detail17trampoline_kernelINS0_14default_configENS1_25partition_config_selectorILNS1_17partition_subalgoE0EjNS0_10empty_typeEbEEZZNS1_14partition_implILS5_0ELb0ES3_jN6thrust23THRUST_200600_302600_NS6detail15normal_iteratorINSA_10device_ptrIjEEEEPS6_SG_NS0_5tupleIJSF_NSA_16discard_iteratorINSA_11use_defaultEEEEEENSH_IJSG_SG_EEES6_PlJ7is_evenIjEEEE10hipError_tPvRmT3_T4_T5_T6_T7_T9_mT8_P12ihipStream_tbDpT10_ENKUlT_T0_E_clISt17integral_constantIbLb1EES19_EEDaS14_S15_EUlS14_E_NS1_11comp_targetILNS1_3genE8ELNS1_11target_archE1030ELNS1_3gpuE2ELNS1_3repE0EEENS1_30default_config_static_selectorELNS0_4arch9wavefront6targetE1EEEvT1_
	.globl	_ZN7rocprim17ROCPRIM_400000_NS6detail17trampoline_kernelINS0_14default_configENS1_25partition_config_selectorILNS1_17partition_subalgoE0EjNS0_10empty_typeEbEEZZNS1_14partition_implILS5_0ELb0ES3_jN6thrust23THRUST_200600_302600_NS6detail15normal_iteratorINSA_10device_ptrIjEEEEPS6_SG_NS0_5tupleIJSF_NSA_16discard_iteratorINSA_11use_defaultEEEEEENSH_IJSG_SG_EEES6_PlJ7is_evenIjEEEE10hipError_tPvRmT3_T4_T5_T6_T7_T9_mT8_P12ihipStream_tbDpT10_ENKUlT_T0_E_clISt17integral_constantIbLb1EES19_EEDaS14_S15_EUlS14_E_NS1_11comp_targetILNS1_3genE8ELNS1_11target_archE1030ELNS1_3gpuE2ELNS1_3repE0EEENS1_30default_config_static_selectorELNS0_4arch9wavefront6targetE1EEEvT1_
	.p2align	8
	.type	_ZN7rocprim17ROCPRIM_400000_NS6detail17trampoline_kernelINS0_14default_configENS1_25partition_config_selectorILNS1_17partition_subalgoE0EjNS0_10empty_typeEbEEZZNS1_14partition_implILS5_0ELb0ES3_jN6thrust23THRUST_200600_302600_NS6detail15normal_iteratorINSA_10device_ptrIjEEEEPS6_SG_NS0_5tupleIJSF_NSA_16discard_iteratorINSA_11use_defaultEEEEEENSH_IJSG_SG_EEES6_PlJ7is_evenIjEEEE10hipError_tPvRmT3_T4_T5_T6_T7_T9_mT8_P12ihipStream_tbDpT10_ENKUlT_T0_E_clISt17integral_constantIbLb1EES19_EEDaS14_S15_EUlS14_E_NS1_11comp_targetILNS1_3genE8ELNS1_11target_archE1030ELNS1_3gpuE2ELNS1_3repE0EEENS1_30default_config_static_selectorELNS0_4arch9wavefront6targetE1EEEvT1_,@function
_ZN7rocprim17ROCPRIM_400000_NS6detail17trampoline_kernelINS0_14default_configENS1_25partition_config_selectorILNS1_17partition_subalgoE0EjNS0_10empty_typeEbEEZZNS1_14partition_implILS5_0ELb0ES3_jN6thrust23THRUST_200600_302600_NS6detail15normal_iteratorINSA_10device_ptrIjEEEEPS6_SG_NS0_5tupleIJSF_NSA_16discard_iteratorINSA_11use_defaultEEEEEENSH_IJSG_SG_EEES6_PlJ7is_evenIjEEEE10hipError_tPvRmT3_T4_T5_T6_T7_T9_mT8_P12ihipStream_tbDpT10_ENKUlT_T0_E_clISt17integral_constantIbLb1EES19_EEDaS14_S15_EUlS14_E_NS1_11comp_targetILNS1_3genE8ELNS1_11target_archE1030ELNS1_3gpuE2ELNS1_3repE0EEENS1_30default_config_static_selectorELNS0_4arch9wavefront6targetE1EEEvT1_: ; @_ZN7rocprim17ROCPRIM_400000_NS6detail17trampoline_kernelINS0_14default_configENS1_25partition_config_selectorILNS1_17partition_subalgoE0EjNS0_10empty_typeEbEEZZNS1_14partition_implILS5_0ELb0ES3_jN6thrust23THRUST_200600_302600_NS6detail15normal_iteratorINSA_10device_ptrIjEEEEPS6_SG_NS0_5tupleIJSF_NSA_16discard_iteratorINSA_11use_defaultEEEEEENSH_IJSG_SG_EEES6_PlJ7is_evenIjEEEE10hipError_tPvRmT3_T4_T5_T6_T7_T9_mT8_P12ihipStream_tbDpT10_ENKUlT_T0_E_clISt17integral_constantIbLb1EES19_EEDaS14_S15_EUlS14_E_NS1_11comp_targetILNS1_3genE8ELNS1_11target_archE1030ELNS1_3gpuE2ELNS1_3repE0EEENS1_30default_config_static_selectorELNS0_4arch9wavefront6targetE1EEEvT1_
; %bb.0:
	.section	.rodata,"a",@progbits
	.p2align	6, 0x0
	.amdhsa_kernel _ZN7rocprim17ROCPRIM_400000_NS6detail17trampoline_kernelINS0_14default_configENS1_25partition_config_selectorILNS1_17partition_subalgoE0EjNS0_10empty_typeEbEEZZNS1_14partition_implILS5_0ELb0ES3_jN6thrust23THRUST_200600_302600_NS6detail15normal_iteratorINSA_10device_ptrIjEEEEPS6_SG_NS0_5tupleIJSF_NSA_16discard_iteratorINSA_11use_defaultEEEEEENSH_IJSG_SG_EEES6_PlJ7is_evenIjEEEE10hipError_tPvRmT3_T4_T5_T6_T7_T9_mT8_P12ihipStream_tbDpT10_ENKUlT_T0_E_clISt17integral_constantIbLb1EES19_EEDaS14_S15_EUlS14_E_NS1_11comp_targetILNS1_3genE8ELNS1_11target_archE1030ELNS1_3gpuE2ELNS1_3repE0EEENS1_30default_config_static_selectorELNS0_4arch9wavefront6targetE1EEEvT1_
		.amdhsa_group_segment_fixed_size 0
		.amdhsa_private_segment_fixed_size 0
		.amdhsa_kernarg_size 144
		.amdhsa_user_sgpr_count 6
		.amdhsa_user_sgpr_private_segment_buffer 1
		.amdhsa_user_sgpr_dispatch_ptr 0
		.amdhsa_user_sgpr_queue_ptr 0
		.amdhsa_user_sgpr_kernarg_segment_ptr 1
		.amdhsa_user_sgpr_dispatch_id 0
		.amdhsa_user_sgpr_flat_scratch_init 0
		.amdhsa_user_sgpr_kernarg_preload_length 0
		.amdhsa_user_sgpr_kernarg_preload_offset 0
		.amdhsa_user_sgpr_private_segment_size 0
		.amdhsa_uses_dynamic_stack 0
		.amdhsa_system_sgpr_private_segment_wavefront_offset 0
		.amdhsa_system_sgpr_workgroup_id_x 1
		.amdhsa_system_sgpr_workgroup_id_y 0
		.amdhsa_system_sgpr_workgroup_id_z 0
		.amdhsa_system_sgpr_workgroup_info 0
		.amdhsa_system_vgpr_workitem_id 0
		.amdhsa_next_free_vgpr 1
		.amdhsa_next_free_sgpr 0
		.amdhsa_accum_offset 4
		.amdhsa_reserve_vcc 0
		.amdhsa_reserve_flat_scratch 0
		.amdhsa_float_round_mode_32 0
		.amdhsa_float_round_mode_16_64 0
		.amdhsa_float_denorm_mode_32 3
		.amdhsa_float_denorm_mode_16_64 3
		.amdhsa_dx10_clamp 1
		.amdhsa_ieee_mode 1
		.amdhsa_fp16_overflow 0
		.amdhsa_tg_split 0
		.amdhsa_exception_fp_ieee_invalid_op 0
		.amdhsa_exception_fp_denorm_src 0
		.amdhsa_exception_fp_ieee_div_zero 0
		.amdhsa_exception_fp_ieee_overflow 0
		.amdhsa_exception_fp_ieee_underflow 0
		.amdhsa_exception_fp_ieee_inexact 0
		.amdhsa_exception_int_div_zero 0
	.end_amdhsa_kernel
	.section	.text._ZN7rocprim17ROCPRIM_400000_NS6detail17trampoline_kernelINS0_14default_configENS1_25partition_config_selectorILNS1_17partition_subalgoE0EjNS0_10empty_typeEbEEZZNS1_14partition_implILS5_0ELb0ES3_jN6thrust23THRUST_200600_302600_NS6detail15normal_iteratorINSA_10device_ptrIjEEEEPS6_SG_NS0_5tupleIJSF_NSA_16discard_iteratorINSA_11use_defaultEEEEEENSH_IJSG_SG_EEES6_PlJ7is_evenIjEEEE10hipError_tPvRmT3_T4_T5_T6_T7_T9_mT8_P12ihipStream_tbDpT10_ENKUlT_T0_E_clISt17integral_constantIbLb1EES19_EEDaS14_S15_EUlS14_E_NS1_11comp_targetILNS1_3genE8ELNS1_11target_archE1030ELNS1_3gpuE2ELNS1_3repE0EEENS1_30default_config_static_selectorELNS0_4arch9wavefront6targetE1EEEvT1_,"axG",@progbits,_ZN7rocprim17ROCPRIM_400000_NS6detail17trampoline_kernelINS0_14default_configENS1_25partition_config_selectorILNS1_17partition_subalgoE0EjNS0_10empty_typeEbEEZZNS1_14partition_implILS5_0ELb0ES3_jN6thrust23THRUST_200600_302600_NS6detail15normal_iteratorINSA_10device_ptrIjEEEEPS6_SG_NS0_5tupleIJSF_NSA_16discard_iteratorINSA_11use_defaultEEEEEENSH_IJSG_SG_EEES6_PlJ7is_evenIjEEEE10hipError_tPvRmT3_T4_T5_T6_T7_T9_mT8_P12ihipStream_tbDpT10_ENKUlT_T0_E_clISt17integral_constantIbLb1EES19_EEDaS14_S15_EUlS14_E_NS1_11comp_targetILNS1_3genE8ELNS1_11target_archE1030ELNS1_3gpuE2ELNS1_3repE0EEENS1_30default_config_static_selectorELNS0_4arch9wavefront6targetE1EEEvT1_,comdat
.Lfunc_end2442:
	.size	_ZN7rocprim17ROCPRIM_400000_NS6detail17trampoline_kernelINS0_14default_configENS1_25partition_config_selectorILNS1_17partition_subalgoE0EjNS0_10empty_typeEbEEZZNS1_14partition_implILS5_0ELb0ES3_jN6thrust23THRUST_200600_302600_NS6detail15normal_iteratorINSA_10device_ptrIjEEEEPS6_SG_NS0_5tupleIJSF_NSA_16discard_iteratorINSA_11use_defaultEEEEEENSH_IJSG_SG_EEES6_PlJ7is_evenIjEEEE10hipError_tPvRmT3_T4_T5_T6_T7_T9_mT8_P12ihipStream_tbDpT10_ENKUlT_T0_E_clISt17integral_constantIbLb1EES19_EEDaS14_S15_EUlS14_E_NS1_11comp_targetILNS1_3genE8ELNS1_11target_archE1030ELNS1_3gpuE2ELNS1_3repE0EEENS1_30default_config_static_selectorELNS0_4arch9wavefront6targetE1EEEvT1_, .Lfunc_end2442-_ZN7rocprim17ROCPRIM_400000_NS6detail17trampoline_kernelINS0_14default_configENS1_25partition_config_selectorILNS1_17partition_subalgoE0EjNS0_10empty_typeEbEEZZNS1_14partition_implILS5_0ELb0ES3_jN6thrust23THRUST_200600_302600_NS6detail15normal_iteratorINSA_10device_ptrIjEEEEPS6_SG_NS0_5tupleIJSF_NSA_16discard_iteratorINSA_11use_defaultEEEEEENSH_IJSG_SG_EEES6_PlJ7is_evenIjEEEE10hipError_tPvRmT3_T4_T5_T6_T7_T9_mT8_P12ihipStream_tbDpT10_ENKUlT_T0_E_clISt17integral_constantIbLb1EES19_EEDaS14_S15_EUlS14_E_NS1_11comp_targetILNS1_3genE8ELNS1_11target_archE1030ELNS1_3gpuE2ELNS1_3repE0EEENS1_30default_config_static_selectorELNS0_4arch9wavefront6targetE1EEEvT1_
                                        ; -- End function
	.section	.AMDGPU.csdata,"",@progbits
; Kernel info:
; codeLenInByte = 0
; NumSgprs: 4
; NumVgprs: 0
; NumAgprs: 0
; TotalNumVgprs: 0
; ScratchSize: 0
; MemoryBound: 0
; FloatMode: 240
; IeeeMode: 1
; LDSByteSize: 0 bytes/workgroup (compile time only)
; SGPRBlocks: 0
; VGPRBlocks: 0
; NumSGPRsForWavesPerEU: 4
; NumVGPRsForWavesPerEU: 1
; AccumOffset: 4
; Occupancy: 8
; WaveLimiterHint : 0
; COMPUTE_PGM_RSRC2:SCRATCH_EN: 0
; COMPUTE_PGM_RSRC2:USER_SGPR: 6
; COMPUTE_PGM_RSRC2:TRAP_HANDLER: 0
; COMPUTE_PGM_RSRC2:TGID_X_EN: 1
; COMPUTE_PGM_RSRC2:TGID_Y_EN: 0
; COMPUTE_PGM_RSRC2:TGID_Z_EN: 0
; COMPUTE_PGM_RSRC2:TIDIG_COMP_CNT: 0
; COMPUTE_PGM_RSRC3_GFX90A:ACCUM_OFFSET: 0
; COMPUTE_PGM_RSRC3_GFX90A:TG_SPLIT: 0
	.section	.text._ZN7rocprim17ROCPRIM_400000_NS6detail17trampoline_kernelINS0_14default_configENS1_25partition_config_selectorILNS1_17partition_subalgoE0EjNS0_10empty_typeEbEEZZNS1_14partition_implILS5_0ELb0ES3_jN6thrust23THRUST_200600_302600_NS6detail15normal_iteratorINSA_10device_ptrIjEEEEPS6_SG_NS0_5tupleIJSF_NSA_16discard_iteratorINSA_11use_defaultEEEEEENSH_IJSG_SG_EEES6_PlJ7is_evenIjEEEE10hipError_tPvRmT3_T4_T5_T6_T7_T9_mT8_P12ihipStream_tbDpT10_ENKUlT_T0_E_clISt17integral_constantIbLb1EES18_IbLb0EEEEDaS14_S15_EUlS14_E_NS1_11comp_targetILNS1_3genE0ELNS1_11target_archE4294967295ELNS1_3gpuE0ELNS1_3repE0EEENS1_30default_config_static_selectorELNS0_4arch9wavefront6targetE1EEEvT1_,"axG",@progbits,_ZN7rocprim17ROCPRIM_400000_NS6detail17trampoline_kernelINS0_14default_configENS1_25partition_config_selectorILNS1_17partition_subalgoE0EjNS0_10empty_typeEbEEZZNS1_14partition_implILS5_0ELb0ES3_jN6thrust23THRUST_200600_302600_NS6detail15normal_iteratorINSA_10device_ptrIjEEEEPS6_SG_NS0_5tupleIJSF_NSA_16discard_iteratorINSA_11use_defaultEEEEEENSH_IJSG_SG_EEES6_PlJ7is_evenIjEEEE10hipError_tPvRmT3_T4_T5_T6_T7_T9_mT8_P12ihipStream_tbDpT10_ENKUlT_T0_E_clISt17integral_constantIbLb1EES18_IbLb0EEEEDaS14_S15_EUlS14_E_NS1_11comp_targetILNS1_3genE0ELNS1_11target_archE4294967295ELNS1_3gpuE0ELNS1_3repE0EEENS1_30default_config_static_selectorELNS0_4arch9wavefront6targetE1EEEvT1_,comdat
	.protected	_ZN7rocprim17ROCPRIM_400000_NS6detail17trampoline_kernelINS0_14default_configENS1_25partition_config_selectorILNS1_17partition_subalgoE0EjNS0_10empty_typeEbEEZZNS1_14partition_implILS5_0ELb0ES3_jN6thrust23THRUST_200600_302600_NS6detail15normal_iteratorINSA_10device_ptrIjEEEEPS6_SG_NS0_5tupleIJSF_NSA_16discard_iteratorINSA_11use_defaultEEEEEENSH_IJSG_SG_EEES6_PlJ7is_evenIjEEEE10hipError_tPvRmT3_T4_T5_T6_T7_T9_mT8_P12ihipStream_tbDpT10_ENKUlT_T0_E_clISt17integral_constantIbLb1EES18_IbLb0EEEEDaS14_S15_EUlS14_E_NS1_11comp_targetILNS1_3genE0ELNS1_11target_archE4294967295ELNS1_3gpuE0ELNS1_3repE0EEENS1_30default_config_static_selectorELNS0_4arch9wavefront6targetE1EEEvT1_ ; -- Begin function _ZN7rocprim17ROCPRIM_400000_NS6detail17trampoline_kernelINS0_14default_configENS1_25partition_config_selectorILNS1_17partition_subalgoE0EjNS0_10empty_typeEbEEZZNS1_14partition_implILS5_0ELb0ES3_jN6thrust23THRUST_200600_302600_NS6detail15normal_iteratorINSA_10device_ptrIjEEEEPS6_SG_NS0_5tupleIJSF_NSA_16discard_iteratorINSA_11use_defaultEEEEEENSH_IJSG_SG_EEES6_PlJ7is_evenIjEEEE10hipError_tPvRmT3_T4_T5_T6_T7_T9_mT8_P12ihipStream_tbDpT10_ENKUlT_T0_E_clISt17integral_constantIbLb1EES18_IbLb0EEEEDaS14_S15_EUlS14_E_NS1_11comp_targetILNS1_3genE0ELNS1_11target_archE4294967295ELNS1_3gpuE0ELNS1_3repE0EEENS1_30default_config_static_selectorELNS0_4arch9wavefront6targetE1EEEvT1_
	.globl	_ZN7rocprim17ROCPRIM_400000_NS6detail17trampoline_kernelINS0_14default_configENS1_25partition_config_selectorILNS1_17partition_subalgoE0EjNS0_10empty_typeEbEEZZNS1_14partition_implILS5_0ELb0ES3_jN6thrust23THRUST_200600_302600_NS6detail15normal_iteratorINSA_10device_ptrIjEEEEPS6_SG_NS0_5tupleIJSF_NSA_16discard_iteratorINSA_11use_defaultEEEEEENSH_IJSG_SG_EEES6_PlJ7is_evenIjEEEE10hipError_tPvRmT3_T4_T5_T6_T7_T9_mT8_P12ihipStream_tbDpT10_ENKUlT_T0_E_clISt17integral_constantIbLb1EES18_IbLb0EEEEDaS14_S15_EUlS14_E_NS1_11comp_targetILNS1_3genE0ELNS1_11target_archE4294967295ELNS1_3gpuE0ELNS1_3repE0EEENS1_30default_config_static_selectorELNS0_4arch9wavefront6targetE1EEEvT1_
	.p2align	8
	.type	_ZN7rocprim17ROCPRIM_400000_NS6detail17trampoline_kernelINS0_14default_configENS1_25partition_config_selectorILNS1_17partition_subalgoE0EjNS0_10empty_typeEbEEZZNS1_14partition_implILS5_0ELb0ES3_jN6thrust23THRUST_200600_302600_NS6detail15normal_iteratorINSA_10device_ptrIjEEEEPS6_SG_NS0_5tupleIJSF_NSA_16discard_iteratorINSA_11use_defaultEEEEEENSH_IJSG_SG_EEES6_PlJ7is_evenIjEEEE10hipError_tPvRmT3_T4_T5_T6_T7_T9_mT8_P12ihipStream_tbDpT10_ENKUlT_T0_E_clISt17integral_constantIbLb1EES18_IbLb0EEEEDaS14_S15_EUlS14_E_NS1_11comp_targetILNS1_3genE0ELNS1_11target_archE4294967295ELNS1_3gpuE0ELNS1_3repE0EEENS1_30default_config_static_selectorELNS0_4arch9wavefront6targetE1EEEvT1_,@function
_ZN7rocprim17ROCPRIM_400000_NS6detail17trampoline_kernelINS0_14default_configENS1_25partition_config_selectorILNS1_17partition_subalgoE0EjNS0_10empty_typeEbEEZZNS1_14partition_implILS5_0ELb0ES3_jN6thrust23THRUST_200600_302600_NS6detail15normal_iteratorINSA_10device_ptrIjEEEEPS6_SG_NS0_5tupleIJSF_NSA_16discard_iteratorINSA_11use_defaultEEEEEENSH_IJSG_SG_EEES6_PlJ7is_evenIjEEEE10hipError_tPvRmT3_T4_T5_T6_T7_T9_mT8_P12ihipStream_tbDpT10_ENKUlT_T0_E_clISt17integral_constantIbLb1EES18_IbLb0EEEEDaS14_S15_EUlS14_E_NS1_11comp_targetILNS1_3genE0ELNS1_11target_archE4294967295ELNS1_3gpuE0ELNS1_3repE0EEENS1_30default_config_static_selectorELNS0_4arch9wavefront6targetE1EEEvT1_: ; @_ZN7rocprim17ROCPRIM_400000_NS6detail17trampoline_kernelINS0_14default_configENS1_25partition_config_selectorILNS1_17partition_subalgoE0EjNS0_10empty_typeEbEEZZNS1_14partition_implILS5_0ELb0ES3_jN6thrust23THRUST_200600_302600_NS6detail15normal_iteratorINSA_10device_ptrIjEEEEPS6_SG_NS0_5tupleIJSF_NSA_16discard_iteratorINSA_11use_defaultEEEEEENSH_IJSG_SG_EEES6_PlJ7is_evenIjEEEE10hipError_tPvRmT3_T4_T5_T6_T7_T9_mT8_P12ihipStream_tbDpT10_ENKUlT_T0_E_clISt17integral_constantIbLb1EES18_IbLb0EEEEDaS14_S15_EUlS14_E_NS1_11comp_targetILNS1_3genE0ELNS1_11target_archE4294967295ELNS1_3gpuE0ELNS1_3repE0EEENS1_30default_config_static_selectorELNS0_4arch9wavefront6targetE1EEEvT1_
; %bb.0:
	.section	.rodata,"a",@progbits
	.p2align	6, 0x0
	.amdhsa_kernel _ZN7rocprim17ROCPRIM_400000_NS6detail17trampoline_kernelINS0_14default_configENS1_25partition_config_selectorILNS1_17partition_subalgoE0EjNS0_10empty_typeEbEEZZNS1_14partition_implILS5_0ELb0ES3_jN6thrust23THRUST_200600_302600_NS6detail15normal_iteratorINSA_10device_ptrIjEEEEPS6_SG_NS0_5tupleIJSF_NSA_16discard_iteratorINSA_11use_defaultEEEEEENSH_IJSG_SG_EEES6_PlJ7is_evenIjEEEE10hipError_tPvRmT3_T4_T5_T6_T7_T9_mT8_P12ihipStream_tbDpT10_ENKUlT_T0_E_clISt17integral_constantIbLb1EES18_IbLb0EEEEDaS14_S15_EUlS14_E_NS1_11comp_targetILNS1_3genE0ELNS1_11target_archE4294967295ELNS1_3gpuE0ELNS1_3repE0EEENS1_30default_config_static_selectorELNS0_4arch9wavefront6targetE1EEEvT1_
		.amdhsa_group_segment_fixed_size 0
		.amdhsa_private_segment_fixed_size 0
		.amdhsa_kernarg_size 128
		.amdhsa_user_sgpr_count 6
		.amdhsa_user_sgpr_private_segment_buffer 1
		.amdhsa_user_sgpr_dispatch_ptr 0
		.amdhsa_user_sgpr_queue_ptr 0
		.amdhsa_user_sgpr_kernarg_segment_ptr 1
		.amdhsa_user_sgpr_dispatch_id 0
		.amdhsa_user_sgpr_flat_scratch_init 0
		.amdhsa_user_sgpr_kernarg_preload_length 0
		.amdhsa_user_sgpr_kernarg_preload_offset 0
		.amdhsa_user_sgpr_private_segment_size 0
		.amdhsa_uses_dynamic_stack 0
		.amdhsa_system_sgpr_private_segment_wavefront_offset 0
		.amdhsa_system_sgpr_workgroup_id_x 1
		.amdhsa_system_sgpr_workgroup_id_y 0
		.amdhsa_system_sgpr_workgroup_id_z 0
		.amdhsa_system_sgpr_workgroup_info 0
		.amdhsa_system_vgpr_workitem_id 0
		.amdhsa_next_free_vgpr 1
		.amdhsa_next_free_sgpr 0
		.amdhsa_accum_offset 4
		.amdhsa_reserve_vcc 0
		.amdhsa_reserve_flat_scratch 0
		.amdhsa_float_round_mode_32 0
		.amdhsa_float_round_mode_16_64 0
		.amdhsa_float_denorm_mode_32 3
		.amdhsa_float_denorm_mode_16_64 3
		.amdhsa_dx10_clamp 1
		.amdhsa_ieee_mode 1
		.amdhsa_fp16_overflow 0
		.amdhsa_tg_split 0
		.amdhsa_exception_fp_ieee_invalid_op 0
		.amdhsa_exception_fp_denorm_src 0
		.amdhsa_exception_fp_ieee_div_zero 0
		.amdhsa_exception_fp_ieee_overflow 0
		.amdhsa_exception_fp_ieee_underflow 0
		.amdhsa_exception_fp_ieee_inexact 0
		.amdhsa_exception_int_div_zero 0
	.end_amdhsa_kernel
	.section	.text._ZN7rocprim17ROCPRIM_400000_NS6detail17trampoline_kernelINS0_14default_configENS1_25partition_config_selectorILNS1_17partition_subalgoE0EjNS0_10empty_typeEbEEZZNS1_14partition_implILS5_0ELb0ES3_jN6thrust23THRUST_200600_302600_NS6detail15normal_iteratorINSA_10device_ptrIjEEEEPS6_SG_NS0_5tupleIJSF_NSA_16discard_iteratorINSA_11use_defaultEEEEEENSH_IJSG_SG_EEES6_PlJ7is_evenIjEEEE10hipError_tPvRmT3_T4_T5_T6_T7_T9_mT8_P12ihipStream_tbDpT10_ENKUlT_T0_E_clISt17integral_constantIbLb1EES18_IbLb0EEEEDaS14_S15_EUlS14_E_NS1_11comp_targetILNS1_3genE0ELNS1_11target_archE4294967295ELNS1_3gpuE0ELNS1_3repE0EEENS1_30default_config_static_selectorELNS0_4arch9wavefront6targetE1EEEvT1_,"axG",@progbits,_ZN7rocprim17ROCPRIM_400000_NS6detail17trampoline_kernelINS0_14default_configENS1_25partition_config_selectorILNS1_17partition_subalgoE0EjNS0_10empty_typeEbEEZZNS1_14partition_implILS5_0ELb0ES3_jN6thrust23THRUST_200600_302600_NS6detail15normal_iteratorINSA_10device_ptrIjEEEEPS6_SG_NS0_5tupleIJSF_NSA_16discard_iteratorINSA_11use_defaultEEEEEENSH_IJSG_SG_EEES6_PlJ7is_evenIjEEEE10hipError_tPvRmT3_T4_T5_T6_T7_T9_mT8_P12ihipStream_tbDpT10_ENKUlT_T0_E_clISt17integral_constantIbLb1EES18_IbLb0EEEEDaS14_S15_EUlS14_E_NS1_11comp_targetILNS1_3genE0ELNS1_11target_archE4294967295ELNS1_3gpuE0ELNS1_3repE0EEENS1_30default_config_static_selectorELNS0_4arch9wavefront6targetE1EEEvT1_,comdat
.Lfunc_end2443:
	.size	_ZN7rocprim17ROCPRIM_400000_NS6detail17trampoline_kernelINS0_14default_configENS1_25partition_config_selectorILNS1_17partition_subalgoE0EjNS0_10empty_typeEbEEZZNS1_14partition_implILS5_0ELb0ES3_jN6thrust23THRUST_200600_302600_NS6detail15normal_iteratorINSA_10device_ptrIjEEEEPS6_SG_NS0_5tupleIJSF_NSA_16discard_iteratorINSA_11use_defaultEEEEEENSH_IJSG_SG_EEES6_PlJ7is_evenIjEEEE10hipError_tPvRmT3_T4_T5_T6_T7_T9_mT8_P12ihipStream_tbDpT10_ENKUlT_T0_E_clISt17integral_constantIbLb1EES18_IbLb0EEEEDaS14_S15_EUlS14_E_NS1_11comp_targetILNS1_3genE0ELNS1_11target_archE4294967295ELNS1_3gpuE0ELNS1_3repE0EEENS1_30default_config_static_selectorELNS0_4arch9wavefront6targetE1EEEvT1_, .Lfunc_end2443-_ZN7rocprim17ROCPRIM_400000_NS6detail17trampoline_kernelINS0_14default_configENS1_25partition_config_selectorILNS1_17partition_subalgoE0EjNS0_10empty_typeEbEEZZNS1_14partition_implILS5_0ELb0ES3_jN6thrust23THRUST_200600_302600_NS6detail15normal_iteratorINSA_10device_ptrIjEEEEPS6_SG_NS0_5tupleIJSF_NSA_16discard_iteratorINSA_11use_defaultEEEEEENSH_IJSG_SG_EEES6_PlJ7is_evenIjEEEE10hipError_tPvRmT3_T4_T5_T6_T7_T9_mT8_P12ihipStream_tbDpT10_ENKUlT_T0_E_clISt17integral_constantIbLb1EES18_IbLb0EEEEDaS14_S15_EUlS14_E_NS1_11comp_targetILNS1_3genE0ELNS1_11target_archE4294967295ELNS1_3gpuE0ELNS1_3repE0EEENS1_30default_config_static_selectorELNS0_4arch9wavefront6targetE1EEEvT1_
                                        ; -- End function
	.section	.AMDGPU.csdata,"",@progbits
; Kernel info:
; codeLenInByte = 0
; NumSgprs: 4
; NumVgprs: 0
; NumAgprs: 0
; TotalNumVgprs: 0
; ScratchSize: 0
; MemoryBound: 0
; FloatMode: 240
; IeeeMode: 1
; LDSByteSize: 0 bytes/workgroup (compile time only)
; SGPRBlocks: 0
; VGPRBlocks: 0
; NumSGPRsForWavesPerEU: 4
; NumVGPRsForWavesPerEU: 1
; AccumOffset: 4
; Occupancy: 8
; WaveLimiterHint : 0
; COMPUTE_PGM_RSRC2:SCRATCH_EN: 0
; COMPUTE_PGM_RSRC2:USER_SGPR: 6
; COMPUTE_PGM_RSRC2:TRAP_HANDLER: 0
; COMPUTE_PGM_RSRC2:TGID_X_EN: 1
; COMPUTE_PGM_RSRC2:TGID_Y_EN: 0
; COMPUTE_PGM_RSRC2:TGID_Z_EN: 0
; COMPUTE_PGM_RSRC2:TIDIG_COMP_CNT: 0
; COMPUTE_PGM_RSRC3_GFX90A:ACCUM_OFFSET: 0
; COMPUTE_PGM_RSRC3_GFX90A:TG_SPLIT: 0
	.section	.text._ZN7rocprim17ROCPRIM_400000_NS6detail17trampoline_kernelINS0_14default_configENS1_25partition_config_selectorILNS1_17partition_subalgoE0EjNS0_10empty_typeEbEEZZNS1_14partition_implILS5_0ELb0ES3_jN6thrust23THRUST_200600_302600_NS6detail15normal_iteratorINSA_10device_ptrIjEEEEPS6_SG_NS0_5tupleIJSF_NSA_16discard_iteratorINSA_11use_defaultEEEEEENSH_IJSG_SG_EEES6_PlJ7is_evenIjEEEE10hipError_tPvRmT3_T4_T5_T6_T7_T9_mT8_P12ihipStream_tbDpT10_ENKUlT_T0_E_clISt17integral_constantIbLb1EES18_IbLb0EEEEDaS14_S15_EUlS14_E_NS1_11comp_targetILNS1_3genE5ELNS1_11target_archE942ELNS1_3gpuE9ELNS1_3repE0EEENS1_30default_config_static_selectorELNS0_4arch9wavefront6targetE1EEEvT1_,"axG",@progbits,_ZN7rocprim17ROCPRIM_400000_NS6detail17trampoline_kernelINS0_14default_configENS1_25partition_config_selectorILNS1_17partition_subalgoE0EjNS0_10empty_typeEbEEZZNS1_14partition_implILS5_0ELb0ES3_jN6thrust23THRUST_200600_302600_NS6detail15normal_iteratorINSA_10device_ptrIjEEEEPS6_SG_NS0_5tupleIJSF_NSA_16discard_iteratorINSA_11use_defaultEEEEEENSH_IJSG_SG_EEES6_PlJ7is_evenIjEEEE10hipError_tPvRmT3_T4_T5_T6_T7_T9_mT8_P12ihipStream_tbDpT10_ENKUlT_T0_E_clISt17integral_constantIbLb1EES18_IbLb0EEEEDaS14_S15_EUlS14_E_NS1_11comp_targetILNS1_3genE5ELNS1_11target_archE942ELNS1_3gpuE9ELNS1_3repE0EEENS1_30default_config_static_selectorELNS0_4arch9wavefront6targetE1EEEvT1_,comdat
	.protected	_ZN7rocprim17ROCPRIM_400000_NS6detail17trampoline_kernelINS0_14default_configENS1_25partition_config_selectorILNS1_17partition_subalgoE0EjNS0_10empty_typeEbEEZZNS1_14partition_implILS5_0ELb0ES3_jN6thrust23THRUST_200600_302600_NS6detail15normal_iteratorINSA_10device_ptrIjEEEEPS6_SG_NS0_5tupleIJSF_NSA_16discard_iteratorINSA_11use_defaultEEEEEENSH_IJSG_SG_EEES6_PlJ7is_evenIjEEEE10hipError_tPvRmT3_T4_T5_T6_T7_T9_mT8_P12ihipStream_tbDpT10_ENKUlT_T0_E_clISt17integral_constantIbLb1EES18_IbLb0EEEEDaS14_S15_EUlS14_E_NS1_11comp_targetILNS1_3genE5ELNS1_11target_archE942ELNS1_3gpuE9ELNS1_3repE0EEENS1_30default_config_static_selectorELNS0_4arch9wavefront6targetE1EEEvT1_ ; -- Begin function _ZN7rocprim17ROCPRIM_400000_NS6detail17trampoline_kernelINS0_14default_configENS1_25partition_config_selectorILNS1_17partition_subalgoE0EjNS0_10empty_typeEbEEZZNS1_14partition_implILS5_0ELb0ES3_jN6thrust23THRUST_200600_302600_NS6detail15normal_iteratorINSA_10device_ptrIjEEEEPS6_SG_NS0_5tupleIJSF_NSA_16discard_iteratorINSA_11use_defaultEEEEEENSH_IJSG_SG_EEES6_PlJ7is_evenIjEEEE10hipError_tPvRmT3_T4_T5_T6_T7_T9_mT8_P12ihipStream_tbDpT10_ENKUlT_T0_E_clISt17integral_constantIbLb1EES18_IbLb0EEEEDaS14_S15_EUlS14_E_NS1_11comp_targetILNS1_3genE5ELNS1_11target_archE942ELNS1_3gpuE9ELNS1_3repE0EEENS1_30default_config_static_selectorELNS0_4arch9wavefront6targetE1EEEvT1_
	.globl	_ZN7rocprim17ROCPRIM_400000_NS6detail17trampoline_kernelINS0_14default_configENS1_25partition_config_selectorILNS1_17partition_subalgoE0EjNS0_10empty_typeEbEEZZNS1_14partition_implILS5_0ELb0ES3_jN6thrust23THRUST_200600_302600_NS6detail15normal_iteratorINSA_10device_ptrIjEEEEPS6_SG_NS0_5tupleIJSF_NSA_16discard_iteratorINSA_11use_defaultEEEEEENSH_IJSG_SG_EEES6_PlJ7is_evenIjEEEE10hipError_tPvRmT3_T4_T5_T6_T7_T9_mT8_P12ihipStream_tbDpT10_ENKUlT_T0_E_clISt17integral_constantIbLb1EES18_IbLb0EEEEDaS14_S15_EUlS14_E_NS1_11comp_targetILNS1_3genE5ELNS1_11target_archE942ELNS1_3gpuE9ELNS1_3repE0EEENS1_30default_config_static_selectorELNS0_4arch9wavefront6targetE1EEEvT1_
	.p2align	8
	.type	_ZN7rocprim17ROCPRIM_400000_NS6detail17trampoline_kernelINS0_14default_configENS1_25partition_config_selectorILNS1_17partition_subalgoE0EjNS0_10empty_typeEbEEZZNS1_14partition_implILS5_0ELb0ES3_jN6thrust23THRUST_200600_302600_NS6detail15normal_iteratorINSA_10device_ptrIjEEEEPS6_SG_NS0_5tupleIJSF_NSA_16discard_iteratorINSA_11use_defaultEEEEEENSH_IJSG_SG_EEES6_PlJ7is_evenIjEEEE10hipError_tPvRmT3_T4_T5_T6_T7_T9_mT8_P12ihipStream_tbDpT10_ENKUlT_T0_E_clISt17integral_constantIbLb1EES18_IbLb0EEEEDaS14_S15_EUlS14_E_NS1_11comp_targetILNS1_3genE5ELNS1_11target_archE942ELNS1_3gpuE9ELNS1_3repE0EEENS1_30default_config_static_selectorELNS0_4arch9wavefront6targetE1EEEvT1_,@function
_ZN7rocprim17ROCPRIM_400000_NS6detail17trampoline_kernelINS0_14default_configENS1_25partition_config_selectorILNS1_17partition_subalgoE0EjNS0_10empty_typeEbEEZZNS1_14partition_implILS5_0ELb0ES3_jN6thrust23THRUST_200600_302600_NS6detail15normal_iteratorINSA_10device_ptrIjEEEEPS6_SG_NS0_5tupleIJSF_NSA_16discard_iteratorINSA_11use_defaultEEEEEENSH_IJSG_SG_EEES6_PlJ7is_evenIjEEEE10hipError_tPvRmT3_T4_T5_T6_T7_T9_mT8_P12ihipStream_tbDpT10_ENKUlT_T0_E_clISt17integral_constantIbLb1EES18_IbLb0EEEEDaS14_S15_EUlS14_E_NS1_11comp_targetILNS1_3genE5ELNS1_11target_archE942ELNS1_3gpuE9ELNS1_3repE0EEENS1_30default_config_static_selectorELNS0_4arch9wavefront6targetE1EEEvT1_: ; @_ZN7rocprim17ROCPRIM_400000_NS6detail17trampoline_kernelINS0_14default_configENS1_25partition_config_selectorILNS1_17partition_subalgoE0EjNS0_10empty_typeEbEEZZNS1_14partition_implILS5_0ELb0ES3_jN6thrust23THRUST_200600_302600_NS6detail15normal_iteratorINSA_10device_ptrIjEEEEPS6_SG_NS0_5tupleIJSF_NSA_16discard_iteratorINSA_11use_defaultEEEEEENSH_IJSG_SG_EEES6_PlJ7is_evenIjEEEE10hipError_tPvRmT3_T4_T5_T6_T7_T9_mT8_P12ihipStream_tbDpT10_ENKUlT_T0_E_clISt17integral_constantIbLb1EES18_IbLb0EEEEDaS14_S15_EUlS14_E_NS1_11comp_targetILNS1_3genE5ELNS1_11target_archE942ELNS1_3gpuE9ELNS1_3repE0EEENS1_30default_config_static_selectorELNS0_4arch9wavefront6targetE1EEEvT1_
; %bb.0:
	.section	.rodata,"a",@progbits
	.p2align	6, 0x0
	.amdhsa_kernel _ZN7rocprim17ROCPRIM_400000_NS6detail17trampoline_kernelINS0_14default_configENS1_25partition_config_selectorILNS1_17partition_subalgoE0EjNS0_10empty_typeEbEEZZNS1_14partition_implILS5_0ELb0ES3_jN6thrust23THRUST_200600_302600_NS6detail15normal_iteratorINSA_10device_ptrIjEEEEPS6_SG_NS0_5tupleIJSF_NSA_16discard_iteratorINSA_11use_defaultEEEEEENSH_IJSG_SG_EEES6_PlJ7is_evenIjEEEE10hipError_tPvRmT3_T4_T5_T6_T7_T9_mT8_P12ihipStream_tbDpT10_ENKUlT_T0_E_clISt17integral_constantIbLb1EES18_IbLb0EEEEDaS14_S15_EUlS14_E_NS1_11comp_targetILNS1_3genE5ELNS1_11target_archE942ELNS1_3gpuE9ELNS1_3repE0EEENS1_30default_config_static_selectorELNS0_4arch9wavefront6targetE1EEEvT1_
		.amdhsa_group_segment_fixed_size 0
		.amdhsa_private_segment_fixed_size 0
		.amdhsa_kernarg_size 128
		.amdhsa_user_sgpr_count 6
		.amdhsa_user_sgpr_private_segment_buffer 1
		.amdhsa_user_sgpr_dispatch_ptr 0
		.amdhsa_user_sgpr_queue_ptr 0
		.amdhsa_user_sgpr_kernarg_segment_ptr 1
		.amdhsa_user_sgpr_dispatch_id 0
		.amdhsa_user_sgpr_flat_scratch_init 0
		.amdhsa_user_sgpr_kernarg_preload_length 0
		.amdhsa_user_sgpr_kernarg_preload_offset 0
		.amdhsa_user_sgpr_private_segment_size 0
		.amdhsa_uses_dynamic_stack 0
		.amdhsa_system_sgpr_private_segment_wavefront_offset 0
		.amdhsa_system_sgpr_workgroup_id_x 1
		.amdhsa_system_sgpr_workgroup_id_y 0
		.amdhsa_system_sgpr_workgroup_id_z 0
		.amdhsa_system_sgpr_workgroup_info 0
		.amdhsa_system_vgpr_workitem_id 0
		.amdhsa_next_free_vgpr 1
		.amdhsa_next_free_sgpr 0
		.amdhsa_accum_offset 4
		.amdhsa_reserve_vcc 0
		.amdhsa_reserve_flat_scratch 0
		.amdhsa_float_round_mode_32 0
		.amdhsa_float_round_mode_16_64 0
		.amdhsa_float_denorm_mode_32 3
		.amdhsa_float_denorm_mode_16_64 3
		.amdhsa_dx10_clamp 1
		.amdhsa_ieee_mode 1
		.amdhsa_fp16_overflow 0
		.amdhsa_tg_split 0
		.amdhsa_exception_fp_ieee_invalid_op 0
		.amdhsa_exception_fp_denorm_src 0
		.amdhsa_exception_fp_ieee_div_zero 0
		.amdhsa_exception_fp_ieee_overflow 0
		.amdhsa_exception_fp_ieee_underflow 0
		.amdhsa_exception_fp_ieee_inexact 0
		.amdhsa_exception_int_div_zero 0
	.end_amdhsa_kernel
	.section	.text._ZN7rocprim17ROCPRIM_400000_NS6detail17trampoline_kernelINS0_14default_configENS1_25partition_config_selectorILNS1_17partition_subalgoE0EjNS0_10empty_typeEbEEZZNS1_14partition_implILS5_0ELb0ES3_jN6thrust23THRUST_200600_302600_NS6detail15normal_iteratorINSA_10device_ptrIjEEEEPS6_SG_NS0_5tupleIJSF_NSA_16discard_iteratorINSA_11use_defaultEEEEEENSH_IJSG_SG_EEES6_PlJ7is_evenIjEEEE10hipError_tPvRmT3_T4_T5_T6_T7_T9_mT8_P12ihipStream_tbDpT10_ENKUlT_T0_E_clISt17integral_constantIbLb1EES18_IbLb0EEEEDaS14_S15_EUlS14_E_NS1_11comp_targetILNS1_3genE5ELNS1_11target_archE942ELNS1_3gpuE9ELNS1_3repE0EEENS1_30default_config_static_selectorELNS0_4arch9wavefront6targetE1EEEvT1_,"axG",@progbits,_ZN7rocprim17ROCPRIM_400000_NS6detail17trampoline_kernelINS0_14default_configENS1_25partition_config_selectorILNS1_17partition_subalgoE0EjNS0_10empty_typeEbEEZZNS1_14partition_implILS5_0ELb0ES3_jN6thrust23THRUST_200600_302600_NS6detail15normal_iteratorINSA_10device_ptrIjEEEEPS6_SG_NS0_5tupleIJSF_NSA_16discard_iteratorINSA_11use_defaultEEEEEENSH_IJSG_SG_EEES6_PlJ7is_evenIjEEEE10hipError_tPvRmT3_T4_T5_T6_T7_T9_mT8_P12ihipStream_tbDpT10_ENKUlT_T0_E_clISt17integral_constantIbLb1EES18_IbLb0EEEEDaS14_S15_EUlS14_E_NS1_11comp_targetILNS1_3genE5ELNS1_11target_archE942ELNS1_3gpuE9ELNS1_3repE0EEENS1_30default_config_static_selectorELNS0_4arch9wavefront6targetE1EEEvT1_,comdat
.Lfunc_end2444:
	.size	_ZN7rocprim17ROCPRIM_400000_NS6detail17trampoline_kernelINS0_14default_configENS1_25partition_config_selectorILNS1_17partition_subalgoE0EjNS0_10empty_typeEbEEZZNS1_14partition_implILS5_0ELb0ES3_jN6thrust23THRUST_200600_302600_NS6detail15normal_iteratorINSA_10device_ptrIjEEEEPS6_SG_NS0_5tupleIJSF_NSA_16discard_iteratorINSA_11use_defaultEEEEEENSH_IJSG_SG_EEES6_PlJ7is_evenIjEEEE10hipError_tPvRmT3_T4_T5_T6_T7_T9_mT8_P12ihipStream_tbDpT10_ENKUlT_T0_E_clISt17integral_constantIbLb1EES18_IbLb0EEEEDaS14_S15_EUlS14_E_NS1_11comp_targetILNS1_3genE5ELNS1_11target_archE942ELNS1_3gpuE9ELNS1_3repE0EEENS1_30default_config_static_selectorELNS0_4arch9wavefront6targetE1EEEvT1_, .Lfunc_end2444-_ZN7rocprim17ROCPRIM_400000_NS6detail17trampoline_kernelINS0_14default_configENS1_25partition_config_selectorILNS1_17partition_subalgoE0EjNS0_10empty_typeEbEEZZNS1_14partition_implILS5_0ELb0ES3_jN6thrust23THRUST_200600_302600_NS6detail15normal_iteratorINSA_10device_ptrIjEEEEPS6_SG_NS0_5tupleIJSF_NSA_16discard_iteratorINSA_11use_defaultEEEEEENSH_IJSG_SG_EEES6_PlJ7is_evenIjEEEE10hipError_tPvRmT3_T4_T5_T6_T7_T9_mT8_P12ihipStream_tbDpT10_ENKUlT_T0_E_clISt17integral_constantIbLb1EES18_IbLb0EEEEDaS14_S15_EUlS14_E_NS1_11comp_targetILNS1_3genE5ELNS1_11target_archE942ELNS1_3gpuE9ELNS1_3repE0EEENS1_30default_config_static_selectorELNS0_4arch9wavefront6targetE1EEEvT1_
                                        ; -- End function
	.section	.AMDGPU.csdata,"",@progbits
; Kernel info:
; codeLenInByte = 0
; NumSgprs: 4
; NumVgprs: 0
; NumAgprs: 0
; TotalNumVgprs: 0
; ScratchSize: 0
; MemoryBound: 0
; FloatMode: 240
; IeeeMode: 1
; LDSByteSize: 0 bytes/workgroup (compile time only)
; SGPRBlocks: 0
; VGPRBlocks: 0
; NumSGPRsForWavesPerEU: 4
; NumVGPRsForWavesPerEU: 1
; AccumOffset: 4
; Occupancy: 8
; WaveLimiterHint : 0
; COMPUTE_PGM_RSRC2:SCRATCH_EN: 0
; COMPUTE_PGM_RSRC2:USER_SGPR: 6
; COMPUTE_PGM_RSRC2:TRAP_HANDLER: 0
; COMPUTE_PGM_RSRC2:TGID_X_EN: 1
; COMPUTE_PGM_RSRC2:TGID_Y_EN: 0
; COMPUTE_PGM_RSRC2:TGID_Z_EN: 0
; COMPUTE_PGM_RSRC2:TIDIG_COMP_CNT: 0
; COMPUTE_PGM_RSRC3_GFX90A:ACCUM_OFFSET: 0
; COMPUTE_PGM_RSRC3_GFX90A:TG_SPLIT: 0
	.section	.text._ZN7rocprim17ROCPRIM_400000_NS6detail17trampoline_kernelINS0_14default_configENS1_25partition_config_selectorILNS1_17partition_subalgoE0EjNS0_10empty_typeEbEEZZNS1_14partition_implILS5_0ELb0ES3_jN6thrust23THRUST_200600_302600_NS6detail15normal_iteratorINSA_10device_ptrIjEEEEPS6_SG_NS0_5tupleIJSF_NSA_16discard_iteratorINSA_11use_defaultEEEEEENSH_IJSG_SG_EEES6_PlJ7is_evenIjEEEE10hipError_tPvRmT3_T4_T5_T6_T7_T9_mT8_P12ihipStream_tbDpT10_ENKUlT_T0_E_clISt17integral_constantIbLb1EES18_IbLb0EEEEDaS14_S15_EUlS14_E_NS1_11comp_targetILNS1_3genE4ELNS1_11target_archE910ELNS1_3gpuE8ELNS1_3repE0EEENS1_30default_config_static_selectorELNS0_4arch9wavefront6targetE1EEEvT1_,"axG",@progbits,_ZN7rocprim17ROCPRIM_400000_NS6detail17trampoline_kernelINS0_14default_configENS1_25partition_config_selectorILNS1_17partition_subalgoE0EjNS0_10empty_typeEbEEZZNS1_14partition_implILS5_0ELb0ES3_jN6thrust23THRUST_200600_302600_NS6detail15normal_iteratorINSA_10device_ptrIjEEEEPS6_SG_NS0_5tupleIJSF_NSA_16discard_iteratorINSA_11use_defaultEEEEEENSH_IJSG_SG_EEES6_PlJ7is_evenIjEEEE10hipError_tPvRmT3_T4_T5_T6_T7_T9_mT8_P12ihipStream_tbDpT10_ENKUlT_T0_E_clISt17integral_constantIbLb1EES18_IbLb0EEEEDaS14_S15_EUlS14_E_NS1_11comp_targetILNS1_3genE4ELNS1_11target_archE910ELNS1_3gpuE8ELNS1_3repE0EEENS1_30default_config_static_selectorELNS0_4arch9wavefront6targetE1EEEvT1_,comdat
	.protected	_ZN7rocprim17ROCPRIM_400000_NS6detail17trampoline_kernelINS0_14default_configENS1_25partition_config_selectorILNS1_17partition_subalgoE0EjNS0_10empty_typeEbEEZZNS1_14partition_implILS5_0ELb0ES3_jN6thrust23THRUST_200600_302600_NS6detail15normal_iteratorINSA_10device_ptrIjEEEEPS6_SG_NS0_5tupleIJSF_NSA_16discard_iteratorINSA_11use_defaultEEEEEENSH_IJSG_SG_EEES6_PlJ7is_evenIjEEEE10hipError_tPvRmT3_T4_T5_T6_T7_T9_mT8_P12ihipStream_tbDpT10_ENKUlT_T0_E_clISt17integral_constantIbLb1EES18_IbLb0EEEEDaS14_S15_EUlS14_E_NS1_11comp_targetILNS1_3genE4ELNS1_11target_archE910ELNS1_3gpuE8ELNS1_3repE0EEENS1_30default_config_static_selectorELNS0_4arch9wavefront6targetE1EEEvT1_ ; -- Begin function _ZN7rocprim17ROCPRIM_400000_NS6detail17trampoline_kernelINS0_14default_configENS1_25partition_config_selectorILNS1_17partition_subalgoE0EjNS0_10empty_typeEbEEZZNS1_14partition_implILS5_0ELb0ES3_jN6thrust23THRUST_200600_302600_NS6detail15normal_iteratorINSA_10device_ptrIjEEEEPS6_SG_NS0_5tupleIJSF_NSA_16discard_iteratorINSA_11use_defaultEEEEEENSH_IJSG_SG_EEES6_PlJ7is_evenIjEEEE10hipError_tPvRmT3_T4_T5_T6_T7_T9_mT8_P12ihipStream_tbDpT10_ENKUlT_T0_E_clISt17integral_constantIbLb1EES18_IbLb0EEEEDaS14_S15_EUlS14_E_NS1_11comp_targetILNS1_3genE4ELNS1_11target_archE910ELNS1_3gpuE8ELNS1_3repE0EEENS1_30default_config_static_selectorELNS0_4arch9wavefront6targetE1EEEvT1_
	.globl	_ZN7rocprim17ROCPRIM_400000_NS6detail17trampoline_kernelINS0_14default_configENS1_25partition_config_selectorILNS1_17partition_subalgoE0EjNS0_10empty_typeEbEEZZNS1_14partition_implILS5_0ELb0ES3_jN6thrust23THRUST_200600_302600_NS6detail15normal_iteratorINSA_10device_ptrIjEEEEPS6_SG_NS0_5tupleIJSF_NSA_16discard_iteratorINSA_11use_defaultEEEEEENSH_IJSG_SG_EEES6_PlJ7is_evenIjEEEE10hipError_tPvRmT3_T4_T5_T6_T7_T9_mT8_P12ihipStream_tbDpT10_ENKUlT_T0_E_clISt17integral_constantIbLb1EES18_IbLb0EEEEDaS14_S15_EUlS14_E_NS1_11comp_targetILNS1_3genE4ELNS1_11target_archE910ELNS1_3gpuE8ELNS1_3repE0EEENS1_30default_config_static_selectorELNS0_4arch9wavefront6targetE1EEEvT1_
	.p2align	8
	.type	_ZN7rocprim17ROCPRIM_400000_NS6detail17trampoline_kernelINS0_14default_configENS1_25partition_config_selectorILNS1_17partition_subalgoE0EjNS0_10empty_typeEbEEZZNS1_14partition_implILS5_0ELb0ES3_jN6thrust23THRUST_200600_302600_NS6detail15normal_iteratorINSA_10device_ptrIjEEEEPS6_SG_NS0_5tupleIJSF_NSA_16discard_iteratorINSA_11use_defaultEEEEEENSH_IJSG_SG_EEES6_PlJ7is_evenIjEEEE10hipError_tPvRmT3_T4_T5_T6_T7_T9_mT8_P12ihipStream_tbDpT10_ENKUlT_T0_E_clISt17integral_constantIbLb1EES18_IbLb0EEEEDaS14_S15_EUlS14_E_NS1_11comp_targetILNS1_3genE4ELNS1_11target_archE910ELNS1_3gpuE8ELNS1_3repE0EEENS1_30default_config_static_selectorELNS0_4arch9wavefront6targetE1EEEvT1_,@function
_ZN7rocprim17ROCPRIM_400000_NS6detail17trampoline_kernelINS0_14default_configENS1_25partition_config_selectorILNS1_17partition_subalgoE0EjNS0_10empty_typeEbEEZZNS1_14partition_implILS5_0ELb0ES3_jN6thrust23THRUST_200600_302600_NS6detail15normal_iteratorINSA_10device_ptrIjEEEEPS6_SG_NS0_5tupleIJSF_NSA_16discard_iteratorINSA_11use_defaultEEEEEENSH_IJSG_SG_EEES6_PlJ7is_evenIjEEEE10hipError_tPvRmT3_T4_T5_T6_T7_T9_mT8_P12ihipStream_tbDpT10_ENKUlT_T0_E_clISt17integral_constantIbLb1EES18_IbLb0EEEEDaS14_S15_EUlS14_E_NS1_11comp_targetILNS1_3genE4ELNS1_11target_archE910ELNS1_3gpuE8ELNS1_3repE0EEENS1_30default_config_static_selectorELNS0_4arch9wavefront6targetE1EEEvT1_: ; @_ZN7rocprim17ROCPRIM_400000_NS6detail17trampoline_kernelINS0_14default_configENS1_25partition_config_selectorILNS1_17partition_subalgoE0EjNS0_10empty_typeEbEEZZNS1_14partition_implILS5_0ELb0ES3_jN6thrust23THRUST_200600_302600_NS6detail15normal_iteratorINSA_10device_ptrIjEEEEPS6_SG_NS0_5tupleIJSF_NSA_16discard_iteratorINSA_11use_defaultEEEEEENSH_IJSG_SG_EEES6_PlJ7is_evenIjEEEE10hipError_tPvRmT3_T4_T5_T6_T7_T9_mT8_P12ihipStream_tbDpT10_ENKUlT_T0_E_clISt17integral_constantIbLb1EES18_IbLb0EEEEDaS14_S15_EUlS14_E_NS1_11comp_targetILNS1_3genE4ELNS1_11target_archE910ELNS1_3gpuE8ELNS1_3repE0EEENS1_30default_config_static_selectorELNS0_4arch9wavefront6targetE1EEEvT1_
; %bb.0:
	s_load_dwordx2 s[8:9], s[4:5], 0x60
	s_load_dwordx4 s[0:3], s[4:5], 0x8
	s_load_dwordx4 s[24:27], s[4:5], 0x50
	s_load_dword s7, s[4:5], 0x78
	v_lshlrev_b32_e32 v1, 2, v0
	s_waitcnt lgkmcnt(0)
	v_mov_b32_e32 v3, s9
	s_lshl_b64 s[10:11], s[2:3], 2
	s_add_u32 s9, s0, s10
	s_addc_u32 s10, s1, s11
	s_add_i32 s11, s7, -1
	s_mulk_i32 s7, 0xa00
	s_add_i32 s1, s7, s2
	s_sub_i32 s33, s8, s1
	s_add_u32 s2, s2, s7
	s_addc_u32 s3, s3, 0
	s_cmp_eq_u32 s6, s11
	v_mov_b32_e32 v2, s8
	s_load_dwordx2 s[22:23], s[26:27], 0x0
	s_cselect_b64 s[26:27], -1, 0
	s_cmp_lg_u32 s6, s11
	s_mul_i32 s0, s6, 0xa00
	s_mov_b32 s1, 0
	v_cmp_lt_u64_e32 vcc, s[2:3], v[2:3]
	s_cselect_b64 s[2:3], -1, 0
	s_or_b64 s[2:3], s[2:3], vcc
	s_lshl_b64 s[0:1], s[0:1], 2
	s_add_u32 s7, s9, s0
	s_addc_u32 s8, s10, s1
	s_mov_b64 s[0:1], -1
	s_and_b64 vcc, exec, s[2:3]
	s_cbranch_vccz .LBB2445_2
; %bb.1:
	v_mov_b32_e32 v3, s8
	v_add_co_u32_e32 v2, vcc, s7, v1
	v_addc_co_u32_e32 v3, vcc, 0, v3, vcc
	v_add_co_u32_e32 v4, vcc, 0x1000, v2
	v_addc_co_u32_e32 v5, vcc, 0, v3, vcc
	flat_load_dword v6, v[2:3]
	flat_load_dword v7, v[2:3] offset:1024
	flat_load_dword v8, v[2:3] offset:2048
	;; [unrolled: 1-line block ×3, first 2 shown]
	flat_load_dword v10, v[4:5]
	flat_load_dword v11, v[4:5] offset:1024
	flat_load_dword v12, v[4:5] offset:2048
	;; [unrolled: 1-line block ×3, first 2 shown]
	v_add_co_u32_e32 v2, vcc, 0x2000, v2
	v_addc_co_u32_e32 v3, vcc, 0, v3, vcc
	flat_load_dword v4, v[2:3]
	flat_load_dword v5, v[2:3] offset:1024
	s_mov_b64 s[0:1], 0
	s_waitcnt vmcnt(0) lgkmcnt(0)
	ds_write2st64_b32 v1, v6, v7 offset1:4
	ds_write2st64_b32 v1, v8, v9 offset0:8 offset1:12
	ds_write2st64_b32 v1, v10, v11 offset0:16 offset1:20
	;; [unrolled: 1-line block ×4, first 2 shown]
	s_waitcnt lgkmcnt(0)
	s_barrier
.LBB2445_2:
	s_andn2_b64 vcc, exec, s[0:1]
	s_addk_i32 s33, 0xa00
	s_cbranch_vccnz .LBB2445_24
; %bb.3:
	v_cmp_gt_u32_e32 vcc, s33, v0
                                        ; implicit-def: $vgpr2_vgpr3_vgpr4_vgpr5_vgpr6_vgpr7_vgpr8_vgpr9_vgpr10_vgpr11
	s_and_saveexec_b64 s[0:1], vcc
	s_cbranch_execz .LBB2445_5
; %bb.4:
	v_mov_b32_e32 v3, s8
	v_add_co_u32_e32 v2, vcc, s7, v1
	v_addc_co_u32_e32 v3, vcc, 0, v3, vcc
	flat_load_dword v2, v[2:3]
.LBB2445_5:
	s_or_b64 exec, exec, s[0:1]
	v_or_b32_e32 v12, 0x100, v0
	v_cmp_gt_u32_e32 vcc, s33, v12
	s_and_saveexec_b64 s[0:1], vcc
	s_cbranch_execz .LBB2445_7
; %bb.6:
	v_mov_b32_e32 v3, s8
	v_add_co_u32_e32 v12, vcc, s7, v1
	v_addc_co_u32_e32 v13, vcc, 0, v3, vcc
	flat_load_dword v3, v[12:13] offset:1024
.LBB2445_7:
	s_or_b64 exec, exec, s[0:1]
	v_or_b32_e32 v12, 0x200, v0
	v_cmp_gt_u32_e32 vcc, s33, v12
	s_and_saveexec_b64 s[0:1], vcc
	s_cbranch_execz .LBB2445_9
; %bb.8:
	v_mov_b32_e32 v4, s8
	v_add_co_u32_e32 v12, vcc, s7, v1
	v_addc_co_u32_e32 v13, vcc, 0, v4, vcc
	flat_load_dword v4, v[12:13] offset:2048
.LBB2445_9:
	;; [unrolled: 11-line block ×3, first 2 shown]
	s_or_b64 exec, exec, s[0:1]
	v_or_b32_e32 v12, 0x400, v0
	v_cmp_gt_u32_e32 vcc, s33, v12
	s_and_saveexec_b64 s[0:1], vcc
	s_cbranch_execz .LBB2445_13
; %bb.12:
	v_lshlrev_b32_e32 v6, 2, v12
	v_mov_b32_e32 v13, s8
	v_add_co_u32_e32 v12, vcc, s7, v6
	v_addc_co_u32_e32 v13, vcc, 0, v13, vcc
	flat_load_dword v6, v[12:13]
.LBB2445_13:
	s_or_b64 exec, exec, s[0:1]
	v_or_b32_e32 v12, 0x500, v0
	v_cmp_gt_u32_e32 vcc, s33, v12
	s_and_saveexec_b64 s[0:1], vcc
	s_cbranch_execz .LBB2445_15
; %bb.14:
	v_lshlrev_b32_e32 v7, 2, v12
	v_mov_b32_e32 v13, s8
	v_add_co_u32_e32 v12, vcc, s7, v7
	v_addc_co_u32_e32 v13, vcc, 0, v13, vcc
	flat_load_dword v7, v[12:13]
.LBB2445_15:
	;; [unrolled: 12-line block ×6, first 2 shown]
	s_or_b64 exec, exec, s[0:1]
	s_waitcnt vmcnt(0) lgkmcnt(0)
	ds_write2st64_b32 v1, v2, v3 offset1:4
	ds_write2st64_b32 v1, v4, v5 offset0:8 offset1:12
	ds_write2st64_b32 v1, v6, v7 offset0:16 offset1:20
	;; [unrolled: 1-line block ×4, first 2 shown]
	s_waitcnt lgkmcnt(0)
	s_barrier
.LBB2445_24:
	v_mul_u32_u24_e32 v23, 10, v0
	v_lshlrev_b32_e32 v29, 2, v23
	s_waitcnt lgkmcnt(0)
	ds_read2_b64 v[6:9], v29 offset1:1
	ds_read2_b64 v[2:5], v29 offset0:2 offset1:3
	ds_read_b64 v[10:11], v29 offset:32
	v_cndmask_b32_e64 v12, 0, 1, s[2:3]
	v_cmp_ne_u32_e64 s[0:1], 1, v12
	s_andn2_b64 vcc, exec, s[2:3]
	s_waitcnt lgkmcnt(2)
	v_xor_b32_e32 v21, -1, v6
	v_xor_b32_e32 v20, -1, v7
	;; [unrolled: 1-line block ×4, first 2 shown]
	s_waitcnt lgkmcnt(1)
	v_xor_b32_e32 v17, -1, v2
	v_xor_b32_e32 v16, -1, v3
	;; [unrolled: 1-line block ×4, first 2 shown]
	s_waitcnt lgkmcnt(0)
	v_xor_b32_e32 v13, -1, v10
	v_xor_b32_e32 v12, -1, v11
	s_barrier
	s_cbranch_vccnz .LBB2445_26
; %bb.25:
	v_mov_b32_e32 v22, 1
	v_and_b32_e32 v25, 1, v21
	v_and_b32_sdwa v26, v20, v22 dst_sel:BYTE_1 dst_unused:UNUSED_PAD src0_sel:DWORD src1_sel:DWORD
	v_and_b32_e32 v27, 1, v19
	v_and_b32_sdwa v28, v18, v22 dst_sel:BYTE_1 dst_unused:UNUSED_PAD src0_sel:DWORD src1_sel:DWORD
	;; [unrolled: 2-line block ×4, first 2 shown]
	v_or_b32_e32 v25, v25, v26
	v_or_b32_sdwa v26, v27, v28 dst_sel:WORD_1 dst_unused:UNUSED_PAD src0_sel:DWORD src1_sel:DWORD
	v_or_b32_sdwa v26, v25, v26 dst_sel:DWORD dst_unused:UNUSED_PAD src0_sel:WORD_0 src1_sel:DWORD
	v_or_b32_e32 v25, v30, v31
	v_or_b32_sdwa v27, v32, v33 dst_sel:WORD_1 dst_unused:UNUSED_PAD src0_sel:DWORD src1_sel:DWORD
	v_and_b32_e32 v24, 1, v13
	v_and_b32_e32 v22, 1, v12
	v_or_b32_sdwa v25, v25, v27 dst_sel:DWORD dst_unused:UNUSED_PAD src0_sel:WORD_0 src1_sel:DWORD
	s_load_dwordx2 s[28:29], s[4:5], 0x70
	s_cbranch_execz .LBB2445_27
	s_branch .LBB2445_28
.LBB2445_26:
                                        ; implicit-def: $vgpr22
                                        ; implicit-def: $vgpr24
                                        ; implicit-def: $vgpr25
                                        ; implicit-def: $vgpr26
	s_load_dwordx2 s[28:29], s[4:5], 0x70
.LBB2445_27:
	v_or_b32_e32 v32, 1, v23
	v_cmp_gt_u32_e32 vcc, s33, v23
	v_add_u32_e32 v22, 2, v23
	v_cndmask_b32_e64 v33, 0, 1, vcc
	v_cmp_gt_u32_e32 vcc, s33, v32
	v_add_u32_e32 v31, 3, v23
	v_cndmask_b32_e64 v32, 0, 1, vcc
	;; [unrolled: 3-line block ×3, first 2 shown]
	v_cmp_gt_u32_e32 vcc, s33, v31
	v_add_u32_e32 v30, 5, v23
	v_and_b32_e32 v19, v22, v19
	v_cndmask_b32_e64 v22, 0, 1, vcc
	v_cmp_gt_u32_e32 vcc, s33, v24
	v_add_u32_e32 v25, 6, v23
	v_and_b32_sdwa v18, v22, v18 dst_sel:BYTE_1 dst_unused:UNUSED_PAD src0_sel:DWORD src1_sel:DWORD
	v_cndmask_b32_e64 v22, 0, 1, vcc
	v_cmp_gt_u32_e32 vcc, s33, v30
	v_add_u32_e32 v28, 7, v23
	v_and_b32_e32 v17, v22, v17
	v_cndmask_b32_e64 v22, 0, 1, vcc
	v_cmp_gt_u32_e32 vcc, s33, v25
	v_add_u32_e32 v26, 8, v23
	v_and_b32_sdwa v16, v22, v16 dst_sel:BYTE_1 dst_unused:UNUSED_PAD src0_sel:DWORD src1_sel:DWORD
	v_cndmask_b32_e64 v22, 0, 1, vcc
	v_cmp_gt_u32_e32 vcc, s33, v28
	v_add_u32_e32 v27, 9, v23
	v_and_b32_e32 v15, v22, v15
	v_cndmask_b32_e64 v22, 0, 1, vcc
	v_cmp_gt_u32_e32 vcc, s33, v26
	v_and_b32_sdwa v14, v22, v14 dst_sel:BYTE_1 dst_unused:UNUSED_PAD src0_sel:DWORD src1_sel:DWORD
	v_cndmask_b32_e64 v22, 0, 1, vcc
	v_cmp_gt_u32_e32 vcc, s33, v27
	v_and_b32_e32 v21, v33, v21
	v_and_b32_sdwa v20, v32, v20 dst_sel:BYTE_1 dst_unused:UNUSED_PAD src0_sel:DWORD src1_sel:DWORD
	v_and_b32_e32 v24, v22, v13
	v_cndmask_b32_e64 v13, 0, 1, vcc
	v_and_b32_e32 v22, v13, v12
	v_or_b32_e32 v12, v21, v20
	v_or_b32_sdwa v13, v19, v18 dst_sel:WORD_1 dst_unused:UNUSED_PAD src0_sel:DWORD src1_sel:DWORD
	v_or_b32_sdwa v26, v12, v13 dst_sel:DWORD dst_unused:UNUSED_PAD src0_sel:WORD_0 src1_sel:DWORD
	v_or_b32_e32 v12, v17, v16
	v_or_b32_sdwa v13, v15, v14 dst_sel:WORD_1 dst_unused:UNUSED_PAD src0_sel:DWORD src1_sel:DWORD
	v_or_b32_sdwa v25, v12, v13 dst_sel:DWORD dst_unused:UNUSED_PAD src0_sel:WORD_0 src1_sel:DWORD
.LBB2445_28:
	v_bfe_u32 v30, v26, 16, 8
	v_lshrrev_b32_e32 v28, 24, v26
	v_add_u32_sdwa v13, v26, v26 dst_sel:DWORD dst_unused:UNUSED_PAD src0_sel:BYTE_1 src1_sel:BYTE_0
	v_and_b32_e32 v31, 0xff, v25
	v_bfe_u32 v32, v25, 8, 8
	v_add3_u32 v13, v13, v30, v28
	v_bfe_u32 v33, v25, 16, 8
	v_lshrrev_b32_e32 v27, 24, v25
	v_add3_u32 v13, v13, v31, v32
	v_and_b32_e32 v34, 0xff, v24
	v_and_b32_e32 v12, 0xff, v22
	v_add3_u32 v13, v13, v33, v27
	v_add3_u32 v37, v13, v34, v12
	v_mbcnt_lo_u32_b32 v12, -1, 0
	v_mbcnt_hi_u32_b32 v35, -1, v12
	v_and_b32_e32 v12, 15, v35
	v_cmp_eq_u32_e64 s[16:17], 0, v12
	v_cmp_lt_u32_e64 s[14:15], 1, v12
	v_cmp_lt_u32_e64 s[12:13], 3, v12
	;; [unrolled: 1-line block ×3, first 2 shown]
	v_and_b32_e32 v12, 16, v35
	v_cmp_eq_u32_e64 s[8:9], 0, v12
	v_or_b32_e32 v12, 63, v0
	s_cmp_lg_u32 s6, 0
	v_cmp_lt_u32_e64 s[2:3], 31, v35
	v_lshrrev_b32_e32 v36, 6, v0
	v_cmp_eq_u32_e64 s[20:21], v12, v0
	s_cbranch_scc0 .LBB2445_59
; %bb.29:
	v_mov_b32_dpp v12, v37 row_shr:1 row_mask:0xf bank_mask:0xf
	v_cndmask_b32_e64 v12, v12, 0, s[16:17]
	v_add_u32_e32 v12, v12, v37
	s_nop 1
	v_mov_b32_dpp v13, v12 row_shr:2 row_mask:0xf bank_mask:0xf
	v_cndmask_b32_e64 v13, 0, v13, s[14:15]
	v_add_u32_e32 v12, v12, v13
	s_nop 1
	;; [unrolled: 4-line block ×4, first 2 shown]
	v_mov_b32_dpp v13, v12 row_bcast:15 row_mask:0xf bank_mask:0xf
	v_cndmask_b32_e64 v13, v13, 0, s[8:9]
	v_add_u32_e32 v12, v12, v13
	s_nop 1
	v_mov_b32_dpp v13, v12 row_bcast:31 row_mask:0xf bank_mask:0xf
	v_cndmask_b32_e64 v13, 0, v13, s[2:3]
	v_add_u32_e32 v12, v12, v13
	s_and_saveexec_b64 s[18:19], s[20:21]
	s_cbranch_execz .LBB2445_31
; %bb.30:
	v_lshlrev_b32_e32 v13, 2, v36
	ds_write_b32 v13, v12
.LBB2445_31:
	s_or_b64 exec, exec, s[18:19]
	v_cmp_gt_u32_e32 vcc, 4, v0
	s_waitcnt lgkmcnt(0)
	s_barrier
	s_and_saveexec_b64 s[18:19], vcc
	s_cbranch_execz .LBB2445_33
; %bb.32:
	ds_read_b32 v13, v1
	v_and_b32_e32 v14, 3, v35
	v_cmp_ne_u32_e32 vcc, 0, v14
	s_waitcnt lgkmcnt(0)
	v_mov_b32_dpp v15, v13 row_shr:1 row_mask:0xf bank_mask:0xf
	v_cndmask_b32_e32 v15, 0, v15, vcc
	v_add_u32_e32 v13, v15, v13
	v_cmp_lt_u32_e32 vcc, 1, v14
	s_nop 0
	v_mov_b32_dpp v15, v13 row_shr:2 row_mask:0xf bank_mask:0xf
	v_cndmask_b32_e32 v14, 0, v15, vcc
	v_add_u32_e32 v13, v13, v14
	ds_write_b32 v1, v13
.LBB2445_33:
	s_or_b64 exec, exec, s[18:19]
	v_cmp_gt_u32_e32 vcc, 64, v0
	v_cmp_lt_u32_e64 s[18:19], 63, v0
	s_waitcnt lgkmcnt(0)
	s_barrier
	s_waitcnt lgkmcnt(0)
                                        ; implicit-def: $vgpr38
	s_and_saveexec_b64 s[30:31], s[18:19]
	s_cbranch_execz .LBB2445_35
; %bb.34:
	v_lshl_add_u32 v13, v36, 2, -4
	ds_read_b32 v38, v13
	s_waitcnt lgkmcnt(0)
	v_add_u32_e32 v12, v38, v12
.LBB2445_35:
	s_or_b64 exec, exec, s[30:31]
	v_add_u32_e32 v13, -1, v35
	v_and_b32_e32 v14, 64, v35
	v_cmp_lt_i32_e64 s[18:19], v13, v14
	v_cndmask_b32_e64 v13, v13, v35, s[18:19]
	v_lshlrev_b32_e32 v13, 2, v13
	ds_bpermute_b32 v39, v13, v12
	v_cmp_eq_u32_e64 s[18:19], 0, v35
	s_and_saveexec_b64 s[30:31], vcc
	s_cbranch_execz .LBB2445_58
; %bb.36:
	v_mov_b32_e32 v21, 0
	ds_read_b32 v12, v21 offset:12
	s_and_saveexec_b64 s[34:35], s[18:19]
	s_cbranch_execz .LBB2445_38
; %bb.37:
	s_add_i32 s36, s6, 64
	s_mov_b32 s37, 0
	s_lshl_b64 s[36:37], s[36:37], 3
	s_add_u32 s36, s28, s36
	v_mov_b32_e32 v13, 1
	s_addc_u32 s37, s29, s37
	s_waitcnt lgkmcnt(0)
	global_store_dwordx2 v21, v[12:13], s[36:37]
.LBB2445_38:
	s_or_b64 exec, exec, s[34:35]
	v_xad_u32 v14, v35, -1, s6
	v_add_u32_e32 v20, 64, v14
	v_lshlrev_b64 v[16:17], 3, v[20:21]
	v_mov_b32_e32 v13, s29
	v_add_co_u32_e32 v16, vcc, s28, v16
	v_addc_co_u32_e32 v17, vcc, v13, v17, vcc
	global_load_dwordx2 v[18:19], v[16:17], off glc
	s_waitcnt vmcnt(0)
	v_cmp_eq_u16_sdwa s[36:37], v19, v21 src0_sel:BYTE_0 src1_sel:DWORD
	s_and_saveexec_b64 s[34:35], s[36:37]
	s_cbranch_execz .LBB2445_44
; %bb.39:
	s_mov_b32 s7, 1
	s_mov_b64 s[36:37], 0
	v_mov_b32_e32 v13, 0
.LBB2445_40:                            ; =>This Loop Header: Depth=1
                                        ;     Child Loop BB2445_41 Depth 2
	s_max_u32 s38, s7, 1
.LBB2445_41:                            ;   Parent Loop BB2445_40 Depth=1
                                        ; =>  This Inner Loop Header: Depth=2
	s_add_i32 s38, s38, -1
	s_cmp_eq_u32 s38, 0
	s_sleep 1
	s_cbranch_scc0 .LBB2445_41
; %bb.42:                               ;   in Loop: Header=BB2445_40 Depth=1
	global_load_dwordx2 v[18:19], v[16:17], off glc
	s_cmp_lt_u32 s7, 32
	s_cselect_b64 s[38:39], -1, 0
	s_cmp_lg_u64 s[38:39], 0
	s_addc_u32 s7, s7, 0
	s_waitcnt vmcnt(0)
	v_cmp_ne_u16_sdwa s[38:39], v19, v13 src0_sel:BYTE_0 src1_sel:DWORD
	s_or_b64 s[36:37], s[38:39], s[36:37]
	s_andn2_b64 exec, exec, s[36:37]
	s_cbranch_execnz .LBB2445_40
; %bb.43:
	s_or_b64 exec, exec, s[36:37]
.LBB2445_44:
	s_or_b64 exec, exec, s[34:35]
	v_and_b32_e32 v41, 63, v35
	v_mov_b32_e32 v40, 2
	v_cmp_ne_u32_e32 vcc, 63, v41
	v_cmp_eq_u16_sdwa s[34:35], v19, v40 src0_sel:BYTE_0 src1_sel:DWORD
	v_lshlrev_b64 v[16:17], v35, -1
	v_addc_co_u32_e32 v20, vcc, 0, v35, vcc
	v_and_b32_e32 v13, s35, v17
	v_lshlrev_b32_e32 v42, 2, v20
	v_or_b32_e32 v13, 0x80000000, v13
	ds_bpermute_b32 v20, v42, v18
	v_and_b32_e32 v15, s34, v16
	v_ffbl_b32_e32 v13, v13
	v_add_u32_e32 v13, 32, v13
	v_ffbl_b32_e32 v15, v15
	v_min_u32_e32 v13, v15, v13
	v_cmp_lt_u32_e32 vcc, v41, v13
	s_waitcnt lgkmcnt(0)
	v_cndmask_b32_e32 v15, 0, v20, vcc
	v_cmp_gt_u32_e32 vcc, 62, v41
	v_add_u32_e32 v15, v15, v18
	v_cndmask_b32_e64 v18, 0, 1, vcc
	v_lshlrev_b32_e32 v18, 1, v18
	v_add_lshl_u32 v43, v18, v35, 2
	ds_bpermute_b32 v18, v43, v15
	v_add_u32_e32 v44, 2, v41
	v_cmp_le_u32_e32 vcc, v44, v13
	v_add_u32_e32 v46, 4, v41
	v_add_u32_e32 v48, 8, v41
	s_waitcnt lgkmcnt(0)
	v_cndmask_b32_e32 v18, 0, v18, vcc
	v_cmp_gt_u32_e32 vcc, 60, v41
	v_add_u32_e32 v15, v15, v18
	v_cndmask_b32_e64 v18, 0, 1, vcc
	v_lshlrev_b32_e32 v18, 2, v18
	v_add_lshl_u32 v45, v18, v35, 2
	ds_bpermute_b32 v18, v45, v15
	v_cmp_le_u32_e32 vcc, v46, v13
	v_add_u32_e32 v50, 16, v41
	v_add_u32_e32 v52, 32, v41
	s_waitcnt lgkmcnt(0)
	v_cndmask_b32_e32 v18, 0, v18, vcc
	v_cmp_gt_u32_e32 vcc, 56, v41
	v_add_u32_e32 v15, v15, v18
	v_cndmask_b32_e64 v18, 0, 1, vcc
	v_lshlrev_b32_e32 v18, 3, v18
	v_add_lshl_u32 v47, v18, v35, 2
	ds_bpermute_b32 v18, v47, v15
	v_cmp_le_u32_e32 vcc, v48, v13
	s_waitcnt lgkmcnt(0)
	v_cndmask_b32_e32 v18, 0, v18, vcc
	v_cmp_gt_u32_e32 vcc, 48, v41
	v_add_u32_e32 v15, v15, v18
	v_cndmask_b32_e64 v18, 0, 1, vcc
	v_lshlrev_b32_e32 v18, 4, v18
	v_add_lshl_u32 v49, v18, v35, 2
	ds_bpermute_b32 v18, v49, v15
	v_cmp_le_u32_e32 vcc, v50, v13
	;; [unrolled: 9-line block ×3, first 2 shown]
	s_waitcnt lgkmcnt(0)
	v_cndmask_b32_e32 v13, 0, v18, vcc
	v_add_u32_e32 v18, v15, v13
	v_mov_b32_e32 v15, 0
	s_branch .LBB2445_46
.LBB2445_45:                            ;   in Loop: Header=BB2445_46 Depth=1
	s_or_b64 exec, exec, s[34:35]
	v_cmp_eq_u16_sdwa s[34:35], v19, v40 src0_sel:BYTE_0 src1_sel:DWORD
	v_and_b32_e32 v20, s35, v17
	v_or_b32_e32 v20, 0x80000000, v20
	ds_bpermute_b32 v53, v42, v18
	v_and_b32_e32 v21, s34, v16
	v_ffbl_b32_e32 v20, v20
	v_add_u32_e32 v20, 32, v20
	v_ffbl_b32_e32 v21, v21
	v_min_u32_e32 v20, v21, v20
	v_cmp_lt_u32_e32 vcc, v41, v20
	s_waitcnt lgkmcnt(0)
	v_cndmask_b32_e32 v21, 0, v53, vcc
	v_add_u32_e32 v18, v21, v18
	ds_bpermute_b32 v21, v43, v18
	v_cmp_le_u32_e32 vcc, v44, v20
	v_subrev_u32_e32 v14, 64, v14
	s_waitcnt lgkmcnt(0)
	v_cndmask_b32_e32 v21, 0, v21, vcc
	v_add_u32_e32 v18, v18, v21
	ds_bpermute_b32 v21, v45, v18
	v_cmp_le_u32_e32 vcc, v46, v20
	s_waitcnt lgkmcnt(0)
	v_cndmask_b32_e32 v21, 0, v21, vcc
	v_add_u32_e32 v18, v18, v21
	ds_bpermute_b32 v21, v47, v18
	v_cmp_le_u32_e32 vcc, v48, v20
	;; [unrolled: 5-line block ×4, first 2 shown]
	s_waitcnt lgkmcnt(0)
	v_cndmask_b32_e32 v20, 0, v21, vcc
	v_add3_u32 v18, v20, v13, v18
.LBB2445_46:                            ; =>This Loop Header: Depth=1
                                        ;     Child Loop BB2445_49 Depth 2
                                        ;       Child Loop BB2445_50 Depth 3
	v_cmp_ne_u16_sdwa s[34:35], v19, v40 src0_sel:BYTE_0 src1_sel:DWORD
	v_cndmask_b32_e64 v13, 0, 1, s[34:35]
	;;#ASMSTART
	;;#ASMEND
	v_cmp_ne_u32_e32 vcc, 0, v13
	s_cmp_lg_u64 vcc, exec
	v_mov_b32_e32 v13, v18
	s_cbranch_scc1 .LBB2445_53
; %bb.47:                               ;   in Loop: Header=BB2445_46 Depth=1
	v_lshlrev_b64 v[18:19], 3, v[14:15]
	v_mov_b32_e32 v21, s29
	v_add_co_u32_e32 v20, vcc, s28, v18
	v_addc_co_u32_e32 v21, vcc, v21, v19, vcc
	global_load_dwordx2 v[18:19], v[20:21], off glc
	s_waitcnt vmcnt(0)
	v_cmp_eq_u16_sdwa s[36:37], v19, v15 src0_sel:BYTE_0 src1_sel:DWORD
	s_and_saveexec_b64 s[34:35], s[36:37]
	s_cbranch_execz .LBB2445_45
; %bb.48:                               ;   in Loop: Header=BB2445_46 Depth=1
	s_mov_b32 s7, 1
	s_mov_b64 s[36:37], 0
.LBB2445_49:                            ;   Parent Loop BB2445_46 Depth=1
                                        ; =>  This Loop Header: Depth=2
                                        ;       Child Loop BB2445_50 Depth 3
	s_max_u32 s38, s7, 1
.LBB2445_50:                            ;   Parent Loop BB2445_46 Depth=1
                                        ;     Parent Loop BB2445_49 Depth=2
                                        ; =>    This Inner Loop Header: Depth=3
	s_add_i32 s38, s38, -1
	s_cmp_eq_u32 s38, 0
	s_sleep 1
	s_cbranch_scc0 .LBB2445_50
; %bb.51:                               ;   in Loop: Header=BB2445_49 Depth=2
	global_load_dwordx2 v[18:19], v[20:21], off glc
	s_cmp_lt_u32 s7, 32
	s_cselect_b64 s[38:39], -1, 0
	s_cmp_lg_u64 s[38:39], 0
	s_addc_u32 s7, s7, 0
	s_waitcnt vmcnt(0)
	v_cmp_ne_u16_sdwa s[38:39], v19, v15 src0_sel:BYTE_0 src1_sel:DWORD
	s_or_b64 s[36:37], s[38:39], s[36:37]
	s_andn2_b64 exec, exec, s[36:37]
	s_cbranch_execnz .LBB2445_49
; %bb.52:                               ;   in Loop: Header=BB2445_46 Depth=1
	s_or_b64 exec, exec, s[36:37]
	s_branch .LBB2445_45
.LBB2445_53:                            ;   in Loop: Header=BB2445_46 Depth=1
                                        ; implicit-def: $vgpr18
                                        ; implicit-def: $vgpr19
	s_cbranch_execz .LBB2445_46
; %bb.54:
	s_and_saveexec_b64 s[34:35], s[18:19]
	s_cbranch_execz .LBB2445_56
; %bb.55:
	s_add_i32 s6, s6, 64
	s_mov_b32 s7, 0
	s_lshl_b64 s[6:7], s[6:7], 3
	s_add_u32 s6, s28, s6
	v_add_u32_e32 v14, v13, v12
	v_mov_b32_e32 v15, 2
	s_addc_u32 s7, s29, s7
	v_mov_b32_e32 v16, 0
	global_store_dwordx2 v16, v[14:15], s[6:7]
	ds_write_b64 v16, v[12:13] offset:10240
.LBB2445_56:
	s_or_b64 exec, exec, s[34:35]
	v_cmp_eq_u32_e32 vcc, 0, v0
	s_and_b64 exec, exec, vcc
	s_cbranch_execz .LBB2445_58
; %bb.57:
	v_mov_b32_e32 v12, 0
	ds_write_b32 v12, v13 offset:12
.LBB2445_58:
	s_or_b64 exec, exec, s[30:31]
	v_mov_b32_e32 v12, 0
	s_waitcnt lgkmcnt(0)
	s_barrier
	ds_read_b32 v13, v12 offset:12
	v_cndmask_b32_e64 v14, v39, v38, s[18:19]
	v_cmp_ne_u32_e32 vcc, 0, v0
	v_cndmask_b32_e32 v14, 0, v14, vcc
	s_waitcnt lgkmcnt(0)
	v_add_u32_e32 v40, v13, v14
	v_add_u32_sdwa v39, v40, v26 dst_sel:DWORD dst_unused:UNUSED_PAD src0_sel:DWORD src1_sel:BYTE_0
	v_add_u32_sdwa v38, v39, v26 dst_sel:DWORD dst_unused:UNUSED_PAD src0_sel:DWORD src1_sel:BYTE_1
	v_add_u32_e32 v21, v38, v30
	v_add_u32_e32 v20, v21, v28
	s_barrier
	ds_read_b64 v[12:13], v12 offset:10240
	v_add_u32_e32 v19, v20, v31
	v_add_u32_e32 v18, v19, v32
	;; [unrolled: 1-line block ×5, first 2 shown]
	s_waitcnt lgkmcnt(0)
	v_mov_b32_e32 v14, v13
	s_load_dwordx2 s[4:5], s[4:5], 0x28
	s_branch .LBB2445_69
.LBB2445_59:
                                        ; implicit-def: $vgpr14
                                        ; implicit-def: $vgpr12
                                        ; implicit-def: $vgpr15
                                        ; implicit-def: $vgpr16
                                        ; implicit-def: $vgpr17
                                        ; implicit-def: $vgpr18
                                        ; implicit-def: $vgpr19
                                        ; implicit-def: $vgpr20
                                        ; implicit-def: $vgpr21
                                        ; implicit-def: $vgpr38
                                        ; implicit-def: $vgpr39
                                        ; implicit-def: $vgpr40
	s_load_dwordx2 s[4:5], s[4:5], 0x28
	s_cbranch_execz .LBB2445_69
; %bb.60:
	v_mov_b32_dpp v12, v37 row_shr:1 row_mask:0xf bank_mask:0xf
	v_cndmask_b32_e64 v12, v12, 0, s[16:17]
	v_add_u32_e32 v12, v12, v37
	s_nop 1
	v_mov_b32_dpp v13, v12 row_shr:2 row_mask:0xf bank_mask:0xf
	v_cndmask_b32_e64 v13, 0, v13, s[14:15]
	v_add_u32_e32 v12, v12, v13
	s_nop 1
	;; [unrolled: 4-line block ×4, first 2 shown]
	v_mov_b32_dpp v13, v12 row_bcast:15 row_mask:0xf bank_mask:0xf
	v_cndmask_b32_e64 v13, v13, 0, s[8:9]
	v_add_u32_e32 v12, v12, v13
	s_nop 1
	v_mov_b32_dpp v13, v12 row_bcast:31 row_mask:0xf bank_mask:0xf
	v_cndmask_b32_e64 v13, 0, v13, s[2:3]
	v_add_u32_e32 v12, v12, v13
	s_and_saveexec_b64 s[2:3], s[20:21]
	s_cbranch_execz .LBB2445_62
; %bb.61:
	v_lshlrev_b32_e32 v13, 2, v36
	ds_write_b32 v13, v12
.LBB2445_62:
	s_or_b64 exec, exec, s[2:3]
	v_cmp_gt_u32_e32 vcc, 4, v0
	s_waitcnt lgkmcnt(0)
	s_barrier
	s_and_saveexec_b64 s[2:3], vcc
	s_cbranch_execz .LBB2445_64
; %bb.63:
	s_movk_i32 s6, 0xffdc
	v_mad_i32_i24 v13, v0, s6, v29
	ds_read_b32 v14, v13
	v_and_b32_e32 v15, 3, v35
	v_cmp_ne_u32_e32 vcc, 0, v15
	s_waitcnt lgkmcnt(0)
	v_mov_b32_dpp v16, v14 row_shr:1 row_mask:0xf bank_mask:0xf
	v_cndmask_b32_e32 v16, 0, v16, vcc
	v_add_u32_e32 v14, v16, v14
	v_cmp_lt_u32_e32 vcc, 1, v15
	s_nop 0
	v_mov_b32_dpp v16, v14 row_shr:2 row_mask:0xf bank_mask:0xf
	v_cndmask_b32_e32 v15, 0, v16, vcc
	v_add_u32_e32 v14, v14, v15
	ds_write_b32 v13, v14
.LBB2445_64:
	s_or_b64 exec, exec, s[2:3]
	v_cmp_lt_u32_e32 vcc, 63, v0
	v_mov_b32_e32 v13, 0
	v_mov_b32_e32 v14, 0
	s_waitcnt lgkmcnt(0)
	s_barrier
	s_and_saveexec_b64 s[2:3], vcc
	s_cbranch_execz .LBB2445_66
; %bb.65:
	v_lshl_add_u32 v14, v36, 2, -4
	ds_read_b32 v14, v14
.LBB2445_66:
	s_or_b64 exec, exec, s[2:3]
	v_add_u32_e32 v15, -1, v35
	v_and_b32_e32 v16, 64, v35
	v_cmp_lt_i32_e32 vcc, v15, v16
	v_cndmask_b32_e32 v15, v15, v35, vcc
	s_waitcnt lgkmcnt(0)
	v_add_u32_e32 v12, v14, v12
	v_lshlrev_b32_e32 v15, 2, v15
	ds_bpermute_b32 v15, v15, v12
	ds_read_b32 v12, v13 offset:12
	v_cmp_eq_u32_e32 vcc, 0, v0
	s_and_saveexec_b64 s[2:3], vcc
	s_cbranch_execz .LBB2445_68
; %bb.67:
	v_mov_b32_e32 v16, 0
	v_mov_b32_e32 v13, 2
	s_waitcnt lgkmcnt(0)
	global_store_dwordx2 v16, v[12:13], s[28:29] offset:512
.LBB2445_68:
	s_or_b64 exec, exec, s[2:3]
	v_cmp_eq_u32_e64 s[2:3], 0, v35
	s_waitcnt lgkmcnt(1)
	v_cndmask_b32_e64 v13, v15, v14, s[2:3]
	v_cndmask_b32_e64 v40, v13, 0, vcc
	v_add_u32_sdwa v39, v40, v26 dst_sel:DWORD dst_unused:UNUSED_PAD src0_sel:DWORD src1_sel:BYTE_0
	v_add_u32_sdwa v38, v39, v26 dst_sel:DWORD dst_unused:UNUSED_PAD src0_sel:DWORD src1_sel:BYTE_1
	v_add_u32_e32 v21, v38, v30
	v_add_u32_e32 v20, v21, v28
	;; [unrolled: 1-line block ×6, first 2 shown]
	v_mov_b32_e32 v14, 0
	v_add_u32_e32 v15, v16, v34
	s_waitcnt lgkmcnt(0)
	s_barrier
.LBB2445_69:
	v_add_u32_e32 v23, v12, v23
	v_sub_u32_e32 v30, v40, v14
	v_and_b32_e32 v32, 1, v26
	v_sub_u32_e32 v31, v23, v30
	v_cmp_eq_u32_e32 vcc, 1, v32
	v_cndmask_b32_e32 v30, v31, v30, vcc
	v_lshlrev_b32_e32 v30, 2, v30
	v_lshrrev_b32_e32 v29, 8, v26
	ds_write_b32 v30, v6
	v_sub_u32_e32 v6, v39, v14
	v_sub_u32_e32 v30, v23, v6
	v_and_b32_e32 v29, 1, v29
	v_add_u32_e32 v30, 1, v30
	v_cmp_eq_u32_e32 vcc, 1, v29
	v_cndmask_b32_e32 v6, v30, v6, vcc
	v_lshlrev_b32_e32 v6, 2, v6
	ds_write_b32 v6, v7
	v_sub_u32_e32 v6, v38, v14
	v_mov_b32_e32 v29, 1
	v_sub_u32_e32 v7, v23, v6
	v_and_b32_sdwa v26, v29, v26 dst_sel:DWORD dst_unused:UNUSED_PAD src0_sel:DWORD src1_sel:WORD_1
	v_add_u32_e32 v7, 2, v7
	v_cmp_eq_u32_e32 vcc, 1, v26
	v_cndmask_b32_e32 v6, v7, v6, vcc
	v_lshlrev_b32_e32 v6, 2, v6
	ds_write_b32 v6, v8
	v_sub_u32_e32 v6, v21, v14
	v_sub_u32_e32 v7, v23, v6
	v_and_b32_e32 v8, 1, v28
	v_add_u32_e32 v7, 3, v7
	v_cmp_eq_u32_e32 vcc, 1, v8
	v_cndmask_b32_e32 v6, v7, v6, vcc
	v_lshlrev_b32_e32 v6, 2, v6
	ds_write_b32 v6, v9
	v_sub_u32_e32 v6, v20, v14
	v_sub_u32_e32 v7, v23, v6
	v_and_b32_e32 v8, 1, v25
	v_add_u32_e32 v7, 4, v7
	v_cmp_eq_u32_e32 vcc, 1, v8
	v_cndmask_b32_e32 v6, v7, v6, vcc
	v_lshlrev_b32_e32 v6, 2, v6
	v_lshrrev_b32_e32 v13, 8, v25
	ds_write_b32 v6, v2
	v_sub_u32_e32 v2, v19, v14
	v_sub_u32_e32 v6, v23, v2
	v_and_b32_e32 v7, 1, v13
	v_add_u32_e32 v6, 5, v6
	v_cmp_eq_u32_e32 vcc, 1, v7
	v_cndmask_b32_e32 v2, v6, v2, vcc
	v_lshlrev_b32_e32 v2, 2, v2
	ds_write_b32 v2, v3
	v_sub_u32_e32 v2, v18, v14
	v_sub_u32_e32 v3, v23, v2
	v_and_b32_sdwa v6, v29, v25 dst_sel:DWORD dst_unused:UNUSED_PAD src0_sel:DWORD src1_sel:WORD_1
	v_add_u32_e32 v3, 6, v3
	v_cmp_eq_u32_e32 vcc, 1, v6
	v_cndmask_b32_e32 v2, v3, v2, vcc
	v_lshlrev_b32_e32 v2, 2, v2
	ds_write_b32 v2, v4
	v_sub_u32_e32 v2, v17, v14
	v_sub_u32_e32 v3, v23, v2
	v_and_b32_e32 v4, 1, v27
	v_add_u32_e32 v3, 7, v3
	v_cmp_eq_u32_e32 vcc, 1, v4
	v_cndmask_b32_e32 v2, v3, v2, vcc
	v_lshlrev_b32_e32 v2, 2, v2
	ds_write_b32 v2, v5
	v_sub_u32_e32 v2, v16, v14
	v_sub_u32_e32 v3, v23, v2
	v_and_b32_e32 v4, 1, v24
	;; [unrolled: 8-line block ×3, first 2 shown]
	v_add_u32_e32 v3, 9, v3
	v_cmp_eq_u32_e32 vcc, 1, v4
	v_cndmask_b32_e32 v2, v3, v2, vcc
	v_lshlrev_b32_e32 v2, 2, v2
	ds_write_b32 v2, v11
	s_waitcnt lgkmcnt(0)
	s_barrier
	ds_read2st64_b32 v[16:17], v1 offset1:4
	ds_read2st64_b32 v[10:11], v1 offset0:8 offset1:12
	ds_read2st64_b32 v[8:9], v1 offset0:16 offset1:20
	;; [unrolled: 1-line block ×4, first 2 shown]
	v_or_b32_e32 v25, 0x100, v0
	v_or_b32_e32 v24, 0x200, v0
	;; [unrolled: 1-line block ×8, first 2 shown]
	s_and_b64 vcc, exec, s[0:1]
	v_or_b32_e32 v13, 0x900, v0
	s_cbranch_vccnz .LBB2445_81
; %bb.70:
	s_lshl_b64 s[0:1], s[22:23], 2
	v_mov_b32_e32 v15, 0
	s_add_u32 s0, s4, s0
	s_addc_u32 s1, s5, s1
	v_lshlrev_b64 v[6:7], 2, v[14:15]
	v_mov_b32_e32 v15, s1
	v_add_co_u32_e32 v6, vcc, s0, v6
	v_addc_co_u32_e32 v7, vcc, v15, v7, vcc
	v_cmp_gt_u32_e32 vcc, v12, v0
	s_and_saveexec_b64 s[0:1], vcc
	s_cbranch_execnz .LBB2445_98
; %bb.71:
	s_or_b64 exec, exec, s[0:1]
	v_cmp_lt_u32_e32 vcc, v25, v12
	s_and_saveexec_b64 s[0:1], vcc
	s_cbranch_execnz .LBB2445_99
.LBB2445_72:
	s_or_b64 exec, exec, s[0:1]
	v_cmp_lt_u32_e32 vcc, v24, v12
	s_and_saveexec_b64 s[0:1], vcc
	s_cbranch_execnz .LBB2445_100
.LBB2445_73:
	s_or_b64 exec, exec, s[0:1]
	v_cmp_lt_u32_e32 vcc, v23, v12
	s_and_saveexec_b64 s[0:1], vcc
	s_cbranch_execnz .LBB2445_101
.LBB2445_74:
	s_or_b64 exec, exec, s[0:1]
	v_cmp_lt_u32_e32 vcc, v22, v12
	s_and_saveexec_b64 s[0:1], vcc
	s_cbranch_execnz .LBB2445_102
.LBB2445_75:
	s_or_b64 exec, exec, s[0:1]
	v_cmp_lt_u32_e32 vcc, v21, v12
	s_and_saveexec_b64 s[0:1], vcc
	s_cbranch_execnz .LBB2445_103
.LBB2445_76:
	s_or_b64 exec, exec, s[0:1]
	v_cmp_lt_u32_e32 vcc, v20, v12
	s_and_saveexec_b64 s[0:1], vcc
	s_cbranch_execnz .LBB2445_104
.LBB2445_77:
	s_or_b64 exec, exec, s[0:1]
	v_cmp_lt_u32_e32 vcc, v19, v12
	s_and_saveexec_b64 s[0:1], vcc
	s_cbranch_execnz .LBB2445_105
.LBB2445_78:
	s_or_b64 exec, exec, s[0:1]
	v_cmp_lt_u32_e32 vcc, v18, v12
	s_and_saveexec_b64 s[0:1], vcc
	s_cbranch_execz .LBB2445_80
.LBB2445_79:
	v_lshlrev_b32_e32 v15, 2, v18
	v_readfirstlane_b32 s2, v6
	v_readfirstlane_b32 s3, v7
	s_waitcnt lgkmcnt(0)
	s_nop 3
	global_store_dword v15, v2, s[2:3]
.LBB2445_80:
	s_or_b64 exec, exec, s[0:1]
	v_cmp_lt_u32_e64 s[0:1], v13, v12
	s_branch .LBB2445_93
.LBB2445_81:
	s_mov_b64 s[0:1], 0
                                        ; implicit-def: $vgpr6_vgpr7
	s_cbranch_execz .LBB2445_93
; %bb.82:
	s_lshl_b64 s[0:1], s[22:23], 2
	v_mov_b32_e32 v15, 0
	s_add_u32 s0, s4, s0
	s_addc_u32 s1, s5, s1
	v_lshlrev_b64 v[6:7], 2, v[14:15]
	v_mov_b32_e32 v15, s1
	v_add_co_u32_e32 v6, vcc, s0, v6
	v_min_u32_e32 v26, s33, v12
	v_addc_co_u32_e32 v7, vcc, v15, v7, vcc
	v_cmp_gt_u32_e32 vcc, v26, v0
	s_and_saveexec_b64 s[0:1], vcc
	s_cbranch_execnz .LBB2445_106
; %bb.83:
	s_or_b64 exec, exec, s[0:1]
	v_cmp_lt_u32_e32 vcc, v25, v26
	s_and_saveexec_b64 s[0:1], vcc
	s_cbranch_execnz .LBB2445_107
.LBB2445_84:
	s_or_b64 exec, exec, s[0:1]
	v_cmp_lt_u32_e32 vcc, v24, v26
	s_and_saveexec_b64 s[0:1], vcc
	s_cbranch_execnz .LBB2445_108
.LBB2445_85:
	s_or_b64 exec, exec, s[0:1]
	v_cmp_lt_u32_e32 vcc, v23, v26
	s_and_saveexec_b64 s[0:1], vcc
	s_cbranch_execnz .LBB2445_109
.LBB2445_86:
	s_or_b64 exec, exec, s[0:1]
	v_cmp_lt_u32_e32 vcc, v22, v26
	s_and_saveexec_b64 s[0:1], vcc
	s_cbranch_execnz .LBB2445_110
.LBB2445_87:
	s_or_b64 exec, exec, s[0:1]
	v_cmp_lt_u32_e32 vcc, v21, v26
	s_and_saveexec_b64 s[0:1], vcc
	s_cbranch_execnz .LBB2445_111
.LBB2445_88:
	s_or_b64 exec, exec, s[0:1]
	v_cmp_lt_u32_e32 vcc, v20, v26
	s_and_saveexec_b64 s[0:1], vcc
	s_cbranch_execnz .LBB2445_112
.LBB2445_89:
	s_or_b64 exec, exec, s[0:1]
	v_cmp_lt_u32_e32 vcc, v19, v26
	s_and_saveexec_b64 s[0:1], vcc
	s_cbranch_execnz .LBB2445_113
.LBB2445_90:
	s_or_b64 exec, exec, s[0:1]
	v_cmp_lt_u32_e32 vcc, v18, v26
	s_and_saveexec_b64 s[0:1], vcc
	s_cbranch_execz .LBB2445_92
.LBB2445_91:
	v_lshlrev_b32_e32 v1, 2, v18
	v_readfirstlane_b32 s2, v6
	v_readfirstlane_b32 s3, v7
	s_waitcnt lgkmcnt(0)
	s_nop 3
	global_store_dword v1, v2, s[2:3]
.LBB2445_92:
	s_or_b64 exec, exec, s[0:1]
	v_cmp_lt_u32_e64 s[0:1], v13, v26
.LBB2445_93:
	s_and_saveexec_b64 s[2:3], s[0:1]
	s_cbranch_execz .LBB2445_95
; %bb.94:
	v_lshlrev_b32_e32 v1, 2, v13
	v_readfirstlane_b32 s0, v6
	v_readfirstlane_b32 s1, v7
	s_waitcnt lgkmcnt(0)
	s_nop 3
	global_store_dword v1, v3, s[0:1]
.LBB2445_95:
	s_or_b64 exec, exec, s[2:3]
	v_cmp_eq_u32_e32 vcc, 0, v0
	s_and_b64 s[0:1], vcc, s[26:27]
	s_and_saveexec_b64 s[2:3], s[0:1]
	s_cbranch_execz .LBB2445_97
; %bb.96:
	v_mov_b32_e32 v0, s23
	v_add_co_u32_e32 v1, vcc, s22, v12
	s_waitcnt lgkmcnt(0)
	v_addc_co_u32_e32 v3, vcc, 0, v0, vcc
	v_add_co_u32_e32 v0, vcc, v1, v14
	v_mov_b32_e32 v2, 0
	v_addc_co_u32_e32 v1, vcc, 0, v3, vcc
	global_store_dwordx2 v2, v[0:1], s[24:25]
.LBB2445_97:
	s_endpgm
.LBB2445_98:
	v_readfirstlane_b32 s2, v6
	v_readfirstlane_b32 s3, v7
	s_waitcnt lgkmcnt(4)
	s_nop 3
	global_store_dword v1, v16, s[2:3]
	s_or_b64 exec, exec, s[0:1]
	v_cmp_lt_u32_e32 vcc, v25, v12
	s_and_saveexec_b64 s[0:1], vcc
	s_cbranch_execz .LBB2445_72
.LBB2445_99:
	v_readfirstlane_b32 s2, v6
	v_readfirstlane_b32 s3, v7
	s_waitcnt lgkmcnt(4)
	s_nop 3
	global_store_dword v1, v17, s[2:3] offset:1024
	s_or_b64 exec, exec, s[0:1]
	v_cmp_lt_u32_e32 vcc, v24, v12
	s_and_saveexec_b64 s[0:1], vcc
	s_cbranch_execz .LBB2445_73
.LBB2445_100:
	v_readfirstlane_b32 s2, v6
	v_readfirstlane_b32 s3, v7
	s_waitcnt lgkmcnt(3)
	s_nop 3
	global_store_dword v1, v10, s[2:3] offset:2048
	s_or_b64 exec, exec, s[0:1]
	v_cmp_lt_u32_e32 vcc, v23, v12
	s_and_saveexec_b64 s[0:1], vcc
	s_cbranch_execz .LBB2445_74
.LBB2445_101:
	v_readfirstlane_b32 s2, v6
	v_readfirstlane_b32 s3, v7
	s_waitcnt lgkmcnt(3)
	s_nop 3
	global_store_dword v1, v11, s[2:3] offset:3072
	s_or_b64 exec, exec, s[0:1]
	v_cmp_lt_u32_e32 vcc, v22, v12
	s_and_saveexec_b64 s[0:1], vcc
	s_cbranch_execz .LBB2445_75
.LBB2445_102:
	v_lshlrev_b32_e32 v15, 2, v22
	v_readfirstlane_b32 s2, v6
	v_readfirstlane_b32 s3, v7
	s_waitcnt lgkmcnt(2)
	s_nop 3
	global_store_dword v15, v8, s[2:3]
	s_or_b64 exec, exec, s[0:1]
	v_cmp_lt_u32_e32 vcc, v21, v12
	s_and_saveexec_b64 s[0:1], vcc
	s_cbranch_execz .LBB2445_76
.LBB2445_103:
	v_lshlrev_b32_e32 v15, 2, v21
	v_readfirstlane_b32 s2, v6
	v_readfirstlane_b32 s3, v7
	s_waitcnt lgkmcnt(2)
	s_nop 3
	global_store_dword v15, v9, s[2:3]
	s_or_b64 exec, exec, s[0:1]
	v_cmp_lt_u32_e32 vcc, v20, v12
	s_and_saveexec_b64 s[0:1], vcc
	s_cbranch_execz .LBB2445_77
.LBB2445_104:
	v_lshlrev_b32_e32 v15, 2, v20
	v_readfirstlane_b32 s2, v6
	v_readfirstlane_b32 s3, v7
	s_waitcnt lgkmcnt(1)
	s_nop 3
	global_store_dword v15, v4, s[2:3]
	s_or_b64 exec, exec, s[0:1]
	v_cmp_lt_u32_e32 vcc, v19, v12
	s_and_saveexec_b64 s[0:1], vcc
	s_cbranch_execz .LBB2445_78
.LBB2445_105:
	v_lshlrev_b32_e32 v15, 2, v19
	v_readfirstlane_b32 s2, v6
	v_readfirstlane_b32 s3, v7
	s_waitcnt lgkmcnt(1)
	s_nop 3
	global_store_dword v15, v5, s[2:3]
	s_or_b64 exec, exec, s[0:1]
	v_cmp_lt_u32_e32 vcc, v18, v12
	s_and_saveexec_b64 s[0:1], vcc
	s_cbranch_execnz .LBB2445_79
	s_branch .LBB2445_80
.LBB2445_106:
	v_readfirstlane_b32 s2, v6
	v_readfirstlane_b32 s3, v7
	s_waitcnt lgkmcnt(4)
	s_nop 3
	global_store_dword v1, v16, s[2:3]
	s_or_b64 exec, exec, s[0:1]
	v_cmp_lt_u32_e32 vcc, v25, v26
	s_and_saveexec_b64 s[0:1], vcc
	s_cbranch_execz .LBB2445_84
.LBB2445_107:
	v_readfirstlane_b32 s2, v6
	v_readfirstlane_b32 s3, v7
	s_waitcnt lgkmcnt(4)
	s_nop 3
	global_store_dword v1, v17, s[2:3] offset:1024
	s_or_b64 exec, exec, s[0:1]
	v_cmp_lt_u32_e32 vcc, v24, v26
	s_and_saveexec_b64 s[0:1], vcc
	s_cbranch_execz .LBB2445_85
.LBB2445_108:
	v_readfirstlane_b32 s2, v6
	v_readfirstlane_b32 s3, v7
	s_waitcnt lgkmcnt(3)
	s_nop 3
	global_store_dword v1, v10, s[2:3] offset:2048
	s_or_b64 exec, exec, s[0:1]
	v_cmp_lt_u32_e32 vcc, v23, v26
	s_and_saveexec_b64 s[0:1], vcc
	s_cbranch_execz .LBB2445_86
.LBB2445_109:
	v_readfirstlane_b32 s2, v6
	v_readfirstlane_b32 s3, v7
	s_waitcnt lgkmcnt(3)
	s_nop 3
	global_store_dword v1, v11, s[2:3] offset:3072
	s_or_b64 exec, exec, s[0:1]
	v_cmp_lt_u32_e32 vcc, v22, v26
	s_and_saveexec_b64 s[0:1], vcc
	s_cbranch_execz .LBB2445_87
.LBB2445_110:
	v_lshlrev_b32_e32 v1, 2, v22
	v_readfirstlane_b32 s2, v6
	v_readfirstlane_b32 s3, v7
	s_waitcnt lgkmcnt(2)
	s_nop 3
	global_store_dword v1, v8, s[2:3]
	s_or_b64 exec, exec, s[0:1]
	v_cmp_lt_u32_e32 vcc, v21, v26
	s_and_saveexec_b64 s[0:1], vcc
	s_cbranch_execz .LBB2445_88
.LBB2445_111:
	v_lshlrev_b32_e32 v1, 2, v21
	v_readfirstlane_b32 s2, v6
	v_readfirstlane_b32 s3, v7
	s_waitcnt lgkmcnt(2)
	s_nop 3
	global_store_dword v1, v9, s[2:3]
	s_or_b64 exec, exec, s[0:1]
	v_cmp_lt_u32_e32 vcc, v20, v26
	s_and_saveexec_b64 s[0:1], vcc
	s_cbranch_execz .LBB2445_89
.LBB2445_112:
	v_lshlrev_b32_e32 v1, 2, v20
	v_readfirstlane_b32 s2, v6
	v_readfirstlane_b32 s3, v7
	s_waitcnt lgkmcnt(1)
	s_nop 3
	global_store_dword v1, v4, s[2:3]
	s_or_b64 exec, exec, s[0:1]
	v_cmp_lt_u32_e32 vcc, v19, v26
	s_and_saveexec_b64 s[0:1], vcc
	s_cbranch_execz .LBB2445_90
.LBB2445_113:
	v_lshlrev_b32_e32 v1, 2, v19
	v_readfirstlane_b32 s2, v6
	v_readfirstlane_b32 s3, v7
	s_waitcnt lgkmcnt(1)
	s_nop 3
	global_store_dword v1, v5, s[2:3]
	s_or_b64 exec, exec, s[0:1]
	v_cmp_lt_u32_e32 vcc, v18, v26
	s_and_saveexec_b64 s[0:1], vcc
	s_cbranch_execnz .LBB2445_91
	s_branch .LBB2445_92
	.section	.rodata,"a",@progbits
	.p2align	6, 0x0
	.amdhsa_kernel _ZN7rocprim17ROCPRIM_400000_NS6detail17trampoline_kernelINS0_14default_configENS1_25partition_config_selectorILNS1_17partition_subalgoE0EjNS0_10empty_typeEbEEZZNS1_14partition_implILS5_0ELb0ES3_jN6thrust23THRUST_200600_302600_NS6detail15normal_iteratorINSA_10device_ptrIjEEEEPS6_SG_NS0_5tupleIJSF_NSA_16discard_iteratorINSA_11use_defaultEEEEEENSH_IJSG_SG_EEES6_PlJ7is_evenIjEEEE10hipError_tPvRmT3_T4_T5_T6_T7_T9_mT8_P12ihipStream_tbDpT10_ENKUlT_T0_E_clISt17integral_constantIbLb1EES18_IbLb0EEEEDaS14_S15_EUlS14_E_NS1_11comp_targetILNS1_3genE4ELNS1_11target_archE910ELNS1_3gpuE8ELNS1_3repE0EEENS1_30default_config_static_selectorELNS0_4arch9wavefront6targetE1EEEvT1_
		.amdhsa_group_segment_fixed_size 10248
		.amdhsa_private_segment_fixed_size 0
		.amdhsa_kernarg_size 128
		.amdhsa_user_sgpr_count 6
		.amdhsa_user_sgpr_private_segment_buffer 1
		.amdhsa_user_sgpr_dispatch_ptr 0
		.amdhsa_user_sgpr_queue_ptr 0
		.amdhsa_user_sgpr_kernarg_segment_ptr 1
		.amdhsa_user_sgpr_dispatch_id 0
		.amdhsa_user_sgpr_flat_scratch_init 0
		.amdhsa_user_sgpr_kernarg_preload_length 0
		.amdhsa_user_sgpr_kernarg_preload_offset 0
		.amdhsa_user_sgpr_private_segment_size 0
		.amdhsa_uses_dynamic_stack 0
		.amdhsa_system_sgpr_private_segment_wavefront_offset 0
		.amdhsa_system_sgpr_workgroup_id_x 1
		.amdhsa_system_sgpr_workgroup_id_y 0
		.amdhsa_system_sgpr_workgroup_id_z 0
		.amdhsa_system_sgpr_workgroup_info 0
		.amdhsa_system_vgpr_workitem_id 0
		.amdhsa_next_free_vgpr 54
		.amdhsa_next_free_sgpr 40
		.amdhsa_accum_offset 56
		.amdhsa_reserve_vcc 1
		.amdhsa_reserve_flat_scratch 0
		.amdhsa_float_round_mode_32 0
		.amdhsa_float_round_mode_16_64 0
		.amdhsa_float_denorm_mode_32 3
		.amdhsa_float_denorm_mode_16_64 3
		.amdhsa_dx10_clamp 1
		.amdhsa_ieee_mode 1
		.amdhsa_fp16_overflow 0
		.amdhsa_tg_split 0
		.amdhsa_exception_fp_ieee_invalid_op 0
		.amdhsa_exception_fp_denorm_src 0
		.amdhsa_exception_fp_ieee_div_zero 0
		.amdhsa_exception_fp_ieee_overflow 0
		.amdhsa_exception_fp_ieee_underflow 0
		.amdhsa_exception_fp_ieee_inexact 0
		.amdhsa_exception_int_div_zero 0
	.end_amdhsa_kernel
	.section	.text._ZN7rocprim17ROCPRIM_400000_NS6detail17trampoline_kernelINS0_14default_configENS1_25partition_config_selectorILNS1_17partition_subalgoE0EjNS0_10empty_typeEbEEZZNS1_14partition_implILS5_0ELb0ES3_jN6thrust23THRUST_200600_302600_NS6detail15normal_iteratorINSA_10device_ptrIjEEEEPS6_SG_NS0_5tupleIJSF_NSA_16discard_iteratorINSA_11use_defaultEEEEEENSH_IJSG_SG_EEES6_PlJ7is_evenIjEEEE10hipError_tPvRmT3_T4_T5_T6_T7_T9_mT8_P12ihipStream_tbDpT10_ENKUlT_T0_E_clISt17integral_constantIbLb1EES18_IbLb0EEEEDaS14_S15_EUlS14_E_NS1_11comp_targetILNS1_3genE4ELNS1_11target_archE910ELNS1_3gpuE8ELNS1_3repE0EEENS1_30default_config_static_selectorELNS0_4arch9wavefront6targetE1EEEvT1_,"axG",@progbits,_ZN7rocprim17ROCPRIM_400000_NS6detail17trampoline_kernelINS0_14default_configENS1_25partition_config_selectorILNS1_17partition_subalgoE0EjNS0_10empty_typeEbEEZZNS1_14partition_implILS5_0ELb0ES3_jN6thrust23THRUST_200600_302600_NS6detail15normal_iteratorINSA_10device_ptrIjEEEEPS6_SG_NS0_5tupleIJSF_NSA_16discard_iteratorINSA_11use_defaultEEEEEENSH_IJSG_SG_EEES6_PlJ7is_evenIjEEEE10hipError_tPvRmT3_T4_T5_T6_T7_T9_mT8_P12ihipStream_tbDpT10_ENKUlT_T0_E_clISt17integral_constantIbLb1EES18_IbLb0EEEEDaS14_S15_EUlS14_E_NS1_11comp_targetILNS1_3genE4ELNS1_11target_archE910ELNS1_3gpuE8ELNS1_3repE0EEENS1_30default_config_static_selectorELNS0_4arch9wavefront6targetE1EEEvT1_,comdat
.Lfunc_end2445:
	.size	_ZN7rocprim17ROCPRIM_400000_NS6detail17trampoline_kernelINS0_14default_configENS1_25partition_config_selectorILNS1_17partition_subalgoE0EjNS0_10empty_typeEbEEZZNS1_14partition_implILS5_0ELb0ES3_jN6thrust23THRUST_200600_302600_NS6detail15normal_iteratorINSA_10device_ptrIjEEEEPS6_SG_NS0_5tupleIJSF_NSA_16discard_iteratorINSA_11use_defaultEEEEEENSH_IJSG_SG_EEES6_PlJ7is_evenIjEEEE10hipError_tPvRmT3_T4_T5_T6_T7_T9_mT8_P12ihipStream_tbDpT10_ENKUlT_T0_E_clISt17integral_constantIbLb1EES18_IbLb0EEEEDaS14_S15_EUlS14_E_NS1_11comp_targetILNS1_3genE4ELNS1_11target_archE910ELNS1_3gpuE8ELNS1_3repE0EEENS1_30default_config_static_selectorELNS0_4arch9wavefront6targetE1EEEvT1_, .Lfunc_end2445-_ZN7rocprim17ROCPRIM_400000_NS6detail17trampoline_kernelINS0_14default_configENS1_25partition_config_selectorILNS1_17partition_subalgoE0EjNS0_10empty_typeEbEEZZNS1_14partition_implILS5_0ELb0ES3_jN6thrust23THRUST_200600_302600_NS6detail15normal_iteratorINSA_10device_ptrIjEEEEPS6_SG_NS0_5tupleIJSF_NSA_16discard_iteratorINSA_11use_defaultEEEEEENSH_IJSG_SG_EEES6_PlJ7is_evenIjEEEE10hipError_tPvRmT3_T4_T5_T6_T7_T9_mT8_P12ihipStream_tbDpT10_ENKUlT_T0_E_clISt17integral_constantIbLb1EES18_IbLb0EEEEDaS14_S15_EUlS14_E_NS1_11comp_targetILNS1_3genE4ELNS1_11target_archE910ELNS1_3gpuE8ELNS1_3repE0EEENS1_30default_config_static_selectorELNS0_4arch9wavefront6targetE1EEEvT1_
                                        ; -- End function
	.section	.AMDGPU.csdata,"",@progbits
; Kernel info:
; codeLenInByte = 5260
; NumSgprs: 44
; NumVgprs: 54
; NumAgprs: 0
; TotalNumVgprs: 54
; ScratchSize: 0
; MemoryBound: 0
; FloatMode: 240
; IeeeMode: 1
; LDSByteSize: 10248 bytes/workgroup (compile time only)
; SGPRBlocks: 5
; VGPRBlocks: 6
; NumSGPRsForWavesPerEU: 44
; NumVGPRsForWavesPerEU: 54
; AccumOffset: 56
; Occupancy: 6
; WaveLimiterHint : 1
; COMPUTE_PGM_RSRC2:SCRATCH_EN: 0
; COMPUTE_PGM_RSRC2:USER_SGPR: 6
; COMPUTE_PGM_RSRC2:TRAP_HANDLER: 0
; COMPUTE_PGM_RSRC2:TGID_X_EN: 1
; COMPUTE_PGM_RSRC2:TGID_Y_EN: 0
; COMPUTE_PGM_RSRC2:TGID_Z_EN: 0
; COMPUTE_PGM_RSRC2:TIDIG_COMP_CNT: 0
; COMPUTE_PGM_RSRC3_GFX90A:ACCUM_OFFSET: 13
; COMPUTE_PGM_RSRC3_GFX90A:TG_SPLIT: 0
	.section	.text._ZN7rocprim17ROCPRIM_400000_NS6detail17trampoline_kernelINS0_14default_configENS1_25partition_config_selectorILNS1_17partition_subalgoE0EjNS0_10empty_typeEbEEZZNS1_14partition_implILS5_0ELb0ES3_jN6thrust23THRUST_200600_302600_NS6detail15normal_iteratorINSA_10device_ptrIjEEEEPS6_SG_NS0_5tupleIJSF_NSA_16discard_iteratorINSA_11use_defaultEEEEEENSH_IJSG_SG_EEES6_PlJ7is_evenIjEEEE10hipError_tPvRmT3_T4_T5_T6_T7_T9_mT8_P12ihipStream_tbDpT10_ENKUlT_T0_E_clISt17integral_constantIbLb1EES18_IbLb0EEEEDaS14_S15_EUlS14_E_NS1_11comp_targetILNS1_3genE3ELNS1_11target_archE908ELNS1_3gpuE7ELNS1_3repE0EEENS1_30default_config_static_selectorELNS0_4arch9wavefront6targetE1EEEvT1_,"axG",@progbits,_ZN7rocprim17ROCPRIM_400000_NS6detail17trampoline_kernelINS0_14default_configENS1_25partition_config_selectorILNS1_17partition_subalgoE0EjNS0_10empty_typeEbEEZZNS1_14partition_implILS5_0ELb0ES3_jN6thrust23THRUST_200600_302600_NS6detail15normal_iteratorINSA_10device_ptrIjEEEEPS6_SG_NS0_5tupleIJSF_NSA_16discard_iteratorINSA_11use_defaultEEEEEENSH_IJSG_SG_EEES6_PlJ7is_evenIjEEEE10hipError_tPvRmT3_T4_T5_T6_T7_T9_mT8_P12ihipStream_tbDpT10_ENKUlT_T0_E_clISt17integral_constantIbLb1EES18_IbLb0EEEEDaS14_S15_EUlS14_E_NS1_11comp_targetILNS1_3genE3ELNS1_11target_archE908ELNS1_3gpuE7ELNS1_3repE0EEENS1_30default_config_static_selectorELNS0_4arch9wavefront6targetE1EEEvT1_,comdat
	.protected	_ZN7rocprim17ROCPRIM_400000_NS6detail17trampoline_kernelINS0_14default_configENS1_25partition_config_selectorILNS1_17partition_subalgoE0EjNS0_10empty_typeEbEEZZNS1_14partition_implILS5_0ELb0ES3_jN6thrust23THRUST_200600_302600_NS6detail15normal_iteratorINSA_10device_ptrIjEEEEPS6_SG_NS0_5tupleIJSF_NSA_16discard_iteratorINSA_11use_defaultEEEEEENSH_IJSG_SG_EEES6_PlJ7is_evenIjEEEE10hipError_tPvRmT3_T4_T5_T6_T7_T9_mT8_P12ihipStream_tbDpT10_ENKUlT_T0_E_clISt17integral_constantIbLb1EES18_IbLb0EEEEDaS14_S15_EUlS14_E_NS1_11comp_targetILNS1_3genE3ELNS1_11target_archE908ELNS1_3gpuE7ELNS1_3repE0EEENS1_30default_config_static_selectorELNS0_4arch9wavefront6targetE1EEEvT1_ ; -- Begin function _ZN7rocprim17ROCPRIM_400000_NS6detail17trampoline_kernelINS0_14default_configENS1_25partition_config_selectorILNS1_17partition_subalgoE0EjNS0_10empty_typeEbEEZZNS1_14partition_implILS5_0ELb0ES3_jN6thrust23THRUST_200600_302600_NS6detail15normal_iteratorINSA_10device_ptrIjEEEEPS6_SG_NS0_5tupleIJSF_NSA_16discard_iteratorINSA_11use_defaultEEEEEENSH_IJSG_SG_EEES6_PlJ7is_evenIjEEEE10hipError_tPvRmT3_T4_T5_T6_T7_T9_mT8_P12ihipStream_tbDpT10_ENKUlT_T0_E_clISt17integral_constantIbLb1EES18_IbLb0EEEEDaS14_S15_EUlS14_E_NS1_11comp_targetILNS1_3genE3ELNS1_11target_archE908ELNS1_3gpuE7ELNS1_3repE0EEENS1_30default_config_static_selectorELNS0_4arch9wavefront6targetE1EEEvT1_
	.globl	_ZN7rocprim17ROCPRIM_400000_NS6detail17trampoline_kernelINS0_14default_configENS1_25partition_config_selectorILNS1_17partition_subalgoE0EjNS0_10empty_typeEbEEZZNS1_14partition_implILS5_0ELb0ES3_jN6thrust23THRUST_200600_302600_NS6detail15normal_iteratorINSA_10device_ptrIjEEEEPS6_SG_NS0_5tupleIJSF_NSA_16discard_iteratorINSA_11use_defaultEEEEEENSH_IJSG_SG_EEES6_PlJ7is_evenIjEEEE10hipError_tPvRmT3_T4_T5_T6_T7_T9_mT8_P12ihipStream_tbDpT10_ENKUlT_T0_E_clISt17integral_constantIbLb1EES18_IbLb0EEEEDaS14_S15_EUlS14_E_NS1_11comp_targetILNS1_3genE3ELNS1_11target_archE908ELNS1_3gpuE7ELNS1_3repE0EEENS1_30default_config_static_selectorELNS0_4arch9wavefront6targetE1EEEvT1_
	.p2align	8
	.type	_ZN7rocprim17ROCPRIM_400000_NS6detail17trampoline_kernelINS0_14default_configENS1_25partition_config_selectorILNS1_17partition_subalgoE0EjNS0_10empty_typeEbEEZZNS1_14partition_implILS5_0ELb0ES3_jN6thrust23THRUST_200600_302600_NS6detail15normal_iteratorINSA_10device_ptrIjEEEEPS6_SG_NS0_5tupleIJSF_NSA_16discard_iteratorINSA_11use_defaultEEEEEENSH_IJSG_SG_EEES6_PlJ7is_evenIjEEEE10hipError_tPvRmT3_T4_T5_T6_T7_T9_mT8_P12ihipStream_tbDpT10_ENKUlT_T0_E_clISt17integral_constantIbLb1EES18_IbLb0EEEEDaS14_S15_EUlS14_E_NS1_11comp_targetILNS1_3genE3ELNS1_11target_archE908ELNS1_3gpuE7ELNS1_3repE0EEENS1_30default_config_static_selectorELNS0_4arch9wavefront6targetE1EEEvT1_,@function
_ZN7rocprim17ROCPRIM_400000_NS6detail17trampoline_kernelINS0_14default_configENS1_25partition_config_selectorILNS1_17partition_subalgoE0EjNS0_10empty_typeEbEEZZNS1_14partition_implILS5_0ELb0ES3_jN6thrust23THRUST_200600_302600_NS6detail15normal_iteratorINSA_10device_ptrIjEEEEPS6_SG_NS0_5tupleIJSF_NSA_16discard_iteratorINSA_11use_defaultEEEEEENSH_IJSG_SG_EEES6_PlJ7is_evenIjEEEE10hipError_tPvRmT3_T4_T5_T6_T7_T9_mT8_P12ihipStream_tbDpT10_ENKUlT_T0_E_clISt17integral_constantIbLb1EES18_IbLb0EEEEDaS14_S15_EUlS14_E_NS1_11comp_targetILNS1_3genE3ELNS1_11target_archE908ELNS1_3gpuE7ELNS1_3repE0EEENS1_30default_config_static_selectorELNS0_4arch9wavefront6targetE1EEEvT1_: ; @_ZN7rocprim17ROCPRIM_400000_NS6detail17trampoline_kernelINS0_14default_configENS1_25partition_config_selectorILNS1_17partition_subalgoE0EjNS0_10empty_typeEbEEZZNS1_14partition_implILS5_0ELb0ES3_jN6thrust23THRUST_200600_302600_NS6detail15normal_iteratorINSA_10device_ptrIjEEEEPS6_SG_NS0_5tupleIJSF_NSA_16discard_iteratorINSA_11use_defaultEEEEEENSH_IJSG_SG_EEES6_PlJ7is_evenIjEEEE10hipError_tPvRmT3_T4_T5_T6_T7_T9_mT8_P12ihipStream_tbDpT10_ENKUlT_T0_E_clISt17integral_constantIbLb1EES18_IbLb0EEEEDaS14_S15_EUlS14_E_NS1_11comp_targetILNS1_3genE3ELNS1_11target_archE908ELNS1_3gpuE7ELNS1_3repE0EEENS1_30default_config_static_selectorELNS0_4arch9wavefront6targetE1EEEvT1_
; %bb.0:
	.section	.rodata,"a",@progbits
	.p2align	6, 0x0
	.amdhsa_kernel _ZN7rocprim17ROCPRIM_400000_NS6detail17trampoline_kernelINS0_14default_configENS1_25partition_config_selectorILNS1_17partition_subalgoE0EjNS0_10empty_typeEbEEZZNS1_14partition_implILS5_0ELb0ES3_jN6thrust23THRUST_200600_302600_NS6detail15normal_iteratorINSA_10device_ptrIjEEEEPS6_SG_NS0_5tupleIJSF_NSA_16discard_iteratorINSA_11use_defaultEEEEEENSH_IJSG_SG_EEES6_PlJ7is_evenIjEEEE10hipError_tPvRmT3_T4_T5_T6_T7_T9_mT8_P12ihipStream_tbDpT10_ENKUlT_T0_E_clISt17integral_constantIbLb1EES18_IbLb0EEEEDaS14_S15_EUlS14_E_NS1_11comp_targetILNS1_3genE3ELNS1_11target_archE908ELNS1_3gpuE7ELNS1_3repE0EEENS1_30default_config_static_selectorELNS0_4arch9wavefront6targetE1EEEvT1_
		.amdhsa_group_segment_fixed_size 0
		.amdhsa_private_segment_fixed_size 0
		.amdhsa_kernarg_size 128
		.amdhsa_user_sgpr_count 6
		.amdhsa_user_sgpr_private_segment_buffer 1
		.amdhsa_user_sgpr_dispatch_ptr 0
		.amdhsa_user_sgpr_queue_ptr 0
		.amdhsa_user_sgpr_kernarg_segment_ptr 1
		.amdhsa_user_sgpr_dispatch_id 0
		.amdhsa_user_sgpr_flat_scratch_init 0
		.amdhsa_user_sgpr_kernarg_preload_length 0
		.amdhsa_user_sgpr_kernarg_preload_offset 0
		.amdhsa_user_sgpr_private_segment_size 0
		.amdhsa_uses_dynamic_stack 0
		.amdhsa_system_sgpr_private_segment_wavefront_offset 0
		.amdhsa_system_sgpr_workgroup_id_x 1
		.amdhsa_system_sgpr_workgroup_id_y 0
		.amdhsa_system_sgpr_workgroup_id_z 0
		.amdhsa_system_sgpr_workgroup_info 0
		.amdhsa_system_vgpr_workitem_id 0
		.amdhsa_next_free_vgpr 1
		.amdhsa_next_free_sgpr 0
		.amdhsa_accum_offset 4
		.amdhsa_reserve_vcc 0
		.amdhsa_reserve_flat_scratch 0
		.amdhsa_float_round_mode_32 0
		.amdhsa_float_round_mode_16_64 0
		.amdhsa_float_denorm_mode_32 3
		.amdhsa_float_denorm_mode_16_64 3
		.amdhsa_dx10_clamp 1
		.amdhsa_ieee_mode 1
		.amdhsa_fp16_overflow 0
		.amdhsa_tg_split 0
		.amdhsa_exception_fp_ieee_invalid_op 0
		.amdhsa_exception_fp_denorm_src 0
		.amdhsa_exception_fp_ieee_div_zero 0
		.amdhsa_exception_fp_ieee_overflow 0
		.amdhsa_exception_fp_ieee_underflow 0
		.amdhsa_exception_fp_ieee_inexact 0
		.amdhsa_exception_int_div_zero 0
	.end_amdhsa_kernel
	.section	.text._ZN7rocprim17ROCPRIM_400000_NS6detail17trampoline_kernelINS0_14default_configENS1_25partition_config_selectorILNS1_17partition_subalgoE0EjNS0_10empty_typeEbEEZZNS1_14partition_implILS5_0ELb0ES3_jN6thrust23THRUST_200600_302600_NS6detail15normal_iteratorINSA_10device_ptrIjEEEEPS6_SG_NS0_5tupleIJSF_NSA_16discard_iteratorINSA_11use_defaultEEEEEENSH_IJSG_SG_EEES6_PlJ7is_evenIjEEEE10hipError_tPvRmT3_T4_T5_T6_T7_T9_mT8_P12ihipStream_tbDpT10_ENKUlT_T0_E_clISt17integral_constantIbLb1EES18_IbLb0EEEEDaS14_S15_EUlS14_E_NS1_11comp_targetILNS1_3genE3ELNS1_11target_archE908ELNS1_3gpuE7ELNS1_3repE0EEENS1_30default_config_static_selectorELNS0_4arch9wavefront6targetE1EEEvT1_,"axG",@progbits,_ZN7rocprim17ROCPRIM_400000_NS6detail17trampoline_kernelINS0_14default_configENS1_25partition_config_selectorILNS1_17partition_subalgoE0EjNS0_10empty_typeEbEEZZNS1_14partition_implILS5_0ELb0ES3_jN6thrust23THRUST_200600_302600_NS6detail15normal_iteratorINSA_10device_ptrIjEEEEPS6_SG_NS0_5tupleIJSF_NSA_16discard_iteratorINSA_11use_defaultEEEEEENSH_IJSG_SG_EEES6_PlJ7is_evenIjEEEE10hipError_tPvRmT3_T4_T5_T6_T7_T9_mT8_P12ihipStream_tbDpT10_ENKUlT_T0_E_clISt17integral_constantIbLb1EES18_IbLb0EEEEDaS14_S15_EUlS14_E_NS1_11comp_targetILNS1_3genE3ELNS1_11target_archE908ELNS1_3gpuE7ELNS1_3repE0EEENS1_30default_config_static_selectorELNS0_4arch9wavefront6targetE1EEEvT1_,comdat
.Lfunc_end2446:
	.size	_ZN7rocprim17ROCPRIM_400000_NS6detail17trampoline_kernelINS0_14default_configENS1_25partition_config_selectorILNS1_17partition_subalgoE0EjNS0_10empty_typeEbEEZZNS1_14partition_implILS5_0ELb0ES3_jN6thrust23THRUST_200600_302600_NS6detail15normal_iteratorINSA_10device_ptrIjEEEEPS6_SG_NS0_5tupleIJSF_NSA_16discard_iteratorINSA_11use_defaultEEEEEENSH_IJSG_SG_EEES6_PlJ7is_evenIjEEEE10hipError_tPvRmT3_T4_T5_T6_T7_T9_mT8_P12ihipStream_tbDpT10_ENKUlT_T0_E_clISt17integral_constantIbLb1EES18_IbLb0EEEEDaS14_S15_EUlS14_E_NS1_11comp_targetILNS1_3genE3ELNS1_11target_archE908ELNS1_3gpuE7ELNS1_3repE0EEENS1_30default_config_static_selectorELNS0_4arch9wavefront6targetE1EEEvT1_, .Lfunc_end2446-_ZN7rocprim17ROCPRIM_400000_NS6detail17trampoline_kernelINS0_14default_configENS1_25partition_config_selectorILNS1_17partition_subalgoE0EjNS0_10empty_typeEbEEZZNS1_14partition_implILS5_0ELb0ES3_jN6thrust23THRUST_200600_302600_NS6detail15normal_iteratorINSA_10device_ptrIjEEEEPS6_SG_NS0_5tupleIJSF_NSA_16discard_iteratorINSA_11use_defaultEEEEEENSH_IJSG_SG_EEES6_PlJ7is_evenIjEEEE10hipError_tPvRmT3_T4_T5_T6_T7_T9_mT8_P12ihipStream_tbDpT10_ENKUlT_T0_E_clISt17integral_constantIbLb1EES18_IbLb0EEEEDaS14_S15_EUlS14_E_NS1_11comp_targetILNS1_3genE3ELNS1_11target_archE908ELNS1_3gpuE7ELNS1_3repE0EEENS1_30default_config_static_selectorELNS0_4arch9wavefront6targetE1EEEvT1_
                                        ; -- End function
	.section	.AMDGPU.csdata,"",@progbits
; Kernel info:
; codeLenInByte = 0
; NumSgprs: 4
; NumVgprs: 0
; NumAgprs: 0
; TotalNumVgprs: 0
; ScratchSize: 0
; MemoryBound: 0
; FloatMode: 240
; IeeeMode: 1
; LDSByteSize: 0 bytes/workgroup (compile time only)
; SGPRBlocks: 0
; VGPRBlocks: 0
; NumSGPRsForWavesPerEU: 4
; NumVGPRsForWavesPerEU: 1
; AccumOffset: 4
; Occupancy: 8
; WaveLimiterHint : 0
; COMPUTE_PGM_RSRC2:SCRATCH_EN: 0
; COMPUTE_PGM_RSRC2:USER_SGPR: 6
; COMPUTE_PGM_RSRC2:TRAP_HANDLER: 0
; COMPUTE_PGM_RSRC2:TGID_X_EN: 1
; COMPUTE_PGM_RSRC2:TGID_Y_EN: 0
; COMPUTE_PGM_RSRC2:TGID_Z_EN: 0
; COMPUTE_PGM_RSRC2:TIDIG_COMP_CNT: 0
; COMPUTE_PGM_RSRC3_GFX90A:ACCUM_OFFSET: 0
; COMPUTE_PGM_RSRC3_GFX90A:TG_SPLIT: 0
	.section	.text._ZN7rocprim17ROCPRIM_400000_NS6detail17trampoline_kernelINS0_14default_configENS1_25partition_config_selectorILNS1_17partition_subalgoE0EjNS0_10empty_typeEbEEZZNS1_14partition_implILS5_0ELb0ES3_jN6thrust23THRUST_200600_302600_NS6detail15normal_iteratorINSA_10device_ptrIjEEEEPS6_SG_NS0_5tupleIJSF_NSA_16discard_iteratorINSA_11use_defaultEEEEEENSH_IJSG_SG_EEES6_PlJ7is_evenIjEEEE10hipError_tPvRmT3_T4_T5_T6_T7_T9_mT8_P12ihipStream_tbDpT10_ENKUlT_T0_E_clISt17integral_constantIbLb1EES18_IbLb0EEEEDaS14_S15_EUlS14_E_NS1_11comp_targetILNS1_3genE2ELNS1_11target_archE906ELNS1_3gpuE6ELNS1_3repE0EEENS1_30default_config_static_selectorELNS0_4arch9wavefront6targetE1EEEvT1_,"axG",@progbits,_ZN7rocprim17ROCPRIM_400000_NS6detail17trampoline_kernelINS0_14default_configENS1_25partition_config_selectorILNS1_17partition_subalgoE0EjNS0_10empty_typeEbEEZZNS1_14partition_implILS5_0ELb0ES3_jN6thrust23THRUST_200600_302600_NS6detail15normal_iteratorINSA_10device_ptrIjEEEEPS6_SG_NS0_5tupleIJSF_NSA_16discard_iteratorINSA_11use_defaultEEEEEENSH_IJSG_SG_EEES6_PlJ7is_evenIjEEEE10hipError_tPvRmT3_T4_T5_T6_T7_T9_mT8_P12ihipStream_tbDpT10_ENKUlT_T0_E_clISt17integral_constantIbLb1EES18_IbLb0EEEEDaS14_S15_EUlS14_E_NS1_11comp_targetILNS1_3genE2ELNS1_11target_archE906ELNS1_3gpuE6ELNS1_3repE0EEENS1_30default_config_static_selectorELNS0_4arch9wavefront6targetE1EEEvT1_,comdat
	.protected	_ZN7rocprim17ROCPRIM_400000_NS6detail17trampoline_kernelINS0_14default_configENS1_25partition_config_selectorILNS1_17partition_subalgoE0EjNS0_10empty_typeEbEEZZNS1_14partition_implILS5_0ELb0ES3_jN6thrust23THRUST_200600_302600_NS6detail15normal_iteratorINSA_10device_ptrIjEEEEPS6_SG_NS0_5tupleIJSF_NSA_16discard_iteratorINSA_11use_defaultEEEEEENSH_IJSG_SG_EEES6_PlJ7is_evenIjEEEE10hipError_tPvRmT3_T4_T5_T6_T7_T9_mT8_P12ihipStream_tbDpT10_ENKUlT_T0_E_clISt17integral_constantIbLb1EES18_IbLb0EEEEDaS14_S15_EUlS14_E_NS1_11comp_targetILNS1_3genE2ELNS1_11target_archE906ELNS1_3gpuE6ELNS1_3repE0EEENS1_30default_config_static_selectorELNS0_4arch9wavefront6targetE1EEEvT1_ ; -- Begin function _ZN7rocprim17ROCPRIM_400000_NS6detail17trampoline_kernelINS0_14default_configENS1_25partition_config_selectorILNS1_17partition_subalgoE0EjNS0_10empty_typeEbEEZZNS1_14partition_implILS5_0ELb0ES3_jN6thrust23THRUST_200600_302600_NS6detail15normal_iteratorINSA_10device_ptrIjEEEEPS6_SG_NS0_5tupleIJSF_NSA_16discard_iteratorINSA_11use_defaultEEEEEENSH_IJSG_SG_EEES6_PlJ7is_evenIjEEEE10hipError_tPvRmT3_T4_T5_T6_T7_T9_mT8_P12ihipStream_tbDpT10_ENKUlT_T0_E_clISt17integral_constantIbLb1EES18_IbLb0EEEEDaS14_S15_EUlS14_E_NS1_11comp_targetILNS1_3genE2ELNS1_11target_archE906ELNS1_3gpuE6ELNS1_3repE0EEENS1_30default_config_static_selectorELNS0_4arch9wavefront6targetE1EEEvT1_
	.globl	_ZN7rocprim17ROCPRIM_400000_NS6detail17trampoline_kernelINS0_14default_configENS1_25partition_config_selectorILNS1_17partition_subalgoE0EjNS0_10empty_typeEbEEZZNS1_14partition_implILS5_0ELb0ES3_jN6thrust23THRUST_200600_302600_NS6detail15normal_iteratorINSA_10device_ptrIjEEEEPS6_SG_NS0_5tupleIJSF_NSA_16discard_iteratorINSA_11use_defaultEEEEEENSH_IJSG_SG_EEES6_PlJ7is_evenIjEEEE10hipError_tPvRmT3_T4_T5_T6_T7_T9_mT8_P12ihipStream_tbDpT10_ENKUlT_T0_E_clISt17integral_constantIbLb1EES18_IbLb0EEEEDaS14_S15_EUlS14_E_NS1_11comp_targetILNS1_3genE2ELNS1_11target_archE906ELNS1_3gpuE6ELNS1_3repE0EEENS1_30default_config_static_selectorELNS0_4arch9wavefront6targetE1EEEvT1_
	.p2align	8
	.type	_ZN7rocprim17ROCPRIM_400000_NS6detail17trampoline_kernelINS0_14default_configENS1_25partition_config_selectorILNS1_17partition_subalgoE0EjNS0_10empty_typeEbEEZZNS1_14partition_implILS5_0ELb0ES3_jN6thrust23THRUST_200600_302600_NS6detail15normal_iteratorINSA_10device_ptrIjEEEEPS6_SG_NS0_5tupleIJSF_NSA_16discard_iteratorINSA_11use_defaultEEEEEENSH_IJSG_SG_EEES6_PlJ7is_evenIjEEEE10hipError_tPvRmT3_T4_T5_T6_T7_T9_mT8_P12ihipStream_tbDpT10_ENKUlT_T0_E_clISt17integral_constantIbLb1EES18_IbLb0EEEEDaS14_S15_EUlS14_E_NS1_11comp_targetILNS1_3genE2ELNS1_11target_archE906ELNS1_3gpuE6ELNS1_3repE0EEENS1_30default_config_static_selectorELNS0_4arch9wavefront6targetE1EEEvT1_,@function
_ZN7rocprim17ROCPRIM_400000_NS6detail17trampoline_kernelINS0_14default_configENS1_25partition_config_selectorILNS1_17partition_subalgoE0EjNS0_10empty_typeEbEEZZNS1_14partition_implILS5_0ELb0ES3_jN6thrust23THRUST_200600_302600_NS6detail15normal_iteratorINSA_10device_ptrIjEEEEPS6_SG_NS0_5tupleIJSF_NSA_16discard_iteratorINSA_11use_defaultEEEEEENSH_IJSG_SG_EEES6_PlJ7is_evenIjEEEE10hipError_tPvRmT3_T4_T5_T6_T7_T9_mT8_P12ihipStream_tbDpT10_ENKUlT_T0_E_clISt17integral_constantIbLb1EES18_IbLb0EEEEDaS14_S15_EUlS14_E_NS1_11comp_targetILNS1_3genE2ELNS1_11target_archE906ELNS1_3gpuE6ELNS1_3repE0EEENS1_30default_config_static_selectorELNS0_4arch9wavefront6targetE1EEEvT1_: ; @_ZN7rocprim17ROCPRIM_400000_NS6detail17trampoline_kernelINS0_14default_configENS1_25partition_config_selectorILNS1_17partition_subalgoE0EjNS0_10empty_typeEbEEZZNS1_14partition_implILS5_0ELb0ES3_jN6thrust23THRUST_200600_302600_NS6detail15normal_iteratorINSA_10device_ptrIjEEEEPS6_SG_NS0_5tupleIJSF_NSA_16discard_iteratorINSA_11use_defaultEEEEEENSH_IJSG_SG_EEES6_PlJ7is_evenIjEEEE10hipError_tPvRmT3_T4_T5_T6_T7_T9_mT8_P12ihipStream_tbDpT10_ENKUlT_T0_E_clISt17integral_constantIbLb1EES18_IbLb0EEEEDaS14_S15_EUlS14_E_NS1_11comp_targetILNS1_3genE2ELNS1_11target_archE906ELNS1_3gpuE6ELNS1_3repE0EEENS1_30default_config_static_selectorELNS0_4arch9wavefront6targetE1EEEvT1_
; %bb.0:
	.section	.rodata,"a",@progbits
	.p2align	6, 0x0
	.amdhsa_kernel _ZN7rocprim17ROCPRIM_400000_NS6detail17trampoline_kernelINS0_14default_configENS1_25partition_config_selectorILNS1_17partition_subalgoE0EjNS0_10empty_typeEbEEZZNS1_14partition_implILS5_0ELb0ES3_jN6thrust23THRUST_200600_302600_NS6detail15normal_iteratorINSA_10device_ptrIjEEEEPS6_SG_NS0_5tupleIJSF_NSA_16discard_iteratorINSA_11use_defaultEEEEEENSH_IJSG_SG_EEES6_PlJ7is_evenIjEEEE10hipError_tPvRmT3_T4_T5_T6_T7_T9_mT8_P12ihipStream_tbDpT10_ENKUlT_T0_E_clISt17integral_constantIbLb1EES18_IbLb0EEEEDaS14_S15_EUlS14_E_NS1_11comp_targetILNS1_3genE2ELNS1_11target_archE906ELNS1_3gpuE6ELNS1_3repE0EEENS1_30default_config_static_selectorELNS0_4arch9wavefront6targetE1EEEvT1_
		.amdhsa_group_segment_fixed_size 0
		.amdhsa_private_segment_fixed_size 0
		.amdhsa_kernarg_size 128
		.amdhsa_user_sgpr_count 6
		.amdhsa_user_sgpr_private_segment_buffer 1
		.amdhsa_user_sgpr_dispatch_ptr 0
		.amdhsa_user_sgpr_queue_ptr 0
		.amdhsa_user_sgpr_kernarg_segment_ptr 1
		.amdhsa_user_sgpr_dispatch_id 0
		.amdhsa_user_sgpr_flat_scratch_init 0
		.amdhsa_user_sgpr_kernarg_preload_length 0
		.amdhsa_user_sgpr_kernarg_preload_offset 0
		.amdhsa_user_sgpr_private_segment_size 0
		.amdhsa_uses_dynamic_stack 0
		.amdhsa_system_sgpr_private_segment_wavefront_offset 0
		.amdhsa_system_sgpr_workgroup_id_x 1
		.amdhsa_system_sgpr_workgroup_id_y 0
		.amdhsa_system_sgpr_workgroup_id_z 0
		.amdhsa_system_sgpr_workgroup_info 0
		.amdhsa_system_vgpr_workitem_id 0
		.amdhsa_next_free_vgpr 1
		.amdhsa_next_free_sgpr 0
		.amdhsa_accum_offset 4
		.amdhsa_reserve_vcc 0
		.amdhsa_reserve_flat_scratch 0
		.amdhsa_float_round_mode_32 0
		.amdhsa_float_round_mode_16_64 0
		.amdhsa_float_denorm_mode_32 3
		.amdhsa_float_denorm_mode_16_64 3
		.amdhsa_dx10_clamp 1
		.amdhsa_ieee_mode 1
		.amdhsa_fp16_overflow 0
		.amdhsa_tg_split 0
		.amdhsa_exception_fp_ieee_invalid_op 0
		.amdhsa_exception_fp_denorm_src 0
		.amdhsa_exception_fp_ieee_div_zero 0
		.amdhsa_exception_fp_ieee_overflow 0
		.amdhsa_exception_fp_ieee_underflow 0
		.amdhsa_exception_fp_ieee_inexact 0
		.amdhsa_exception_int_div_zero 0
	.end_amdhsa_kernel
	.section	.text._ZN7rocprim17ROCPRIM_400000_NS6detail17trampoline_kernelINS0_14default_configENS1_25partition_config_selectorILNS1_17partition_subalgoE0EjNS0_10empty_typeEbEEZZNS1_14partition_implILS5_0ELb0ES3_jN6thrust23THRUST_200600_302600_NS6detail15normal_iteratorINSA_10device_ptrIjEEEEPS6_SG_NS0_5tupleIJSF_NSA_16discard_iteratorINSA_11use_defaultEEEEEENSH_IJSG_SG_EEES6_PlJ7is_evenIjEEEE10hipError_tPvRmT3_T4_T5_T6_T7_T9_mT8_P12ihipStream_tbDpT10_ENKUlT_T0_E_clISt17integral_constantIbLb1EES18_IbLb0EEEEDaS14_S15_EUlS14_E_NS1_11comp_targetILNS1_3genE2ELNS1_11target_archE906ELNS1_3gpuE6ELNS1_3repE0EEENS1_30default_config_static_selectorELNS0_4arch9wavefront6targetE1EEEvT1_,"axG",@progbits,_ZN7rocprim17ROCPRIM_400000_NS6detail17trampoline_kernelINS0_14default_configENS1_25partition_config_selectorILNS1_17partition_subalgoE0EjNS0_10empty_typeEbEEZZNS1_14partition_implILS5_0ELb0ES3_jN6thrust23THRUST_200600_302600_NS6detail15normal_iteratorINSA_10device_ptrIjEEEEPS6_SG_NS0_5tupleIJSF_NSA_16discard_iteratorINSA_11use_defaultEEEEEENSH_IJSG_SG_EEES6_PlJ7is_evenIjEEEE10hipError_tPvRmT3_T4_T5_T6_T7_T9_mT8_P12ihipStream_tbDpT10_ENKUlT_T0_E_clISt17integral_constantIbLb1EES18_IbLb0EEEEDaS14_S15_EUlS14_E_NS1_11comp_targetILNS1_3genE2ELNS1_11target_archE906ELNS1_3gpuE6ELNS1_3repE0EEENS1_30default_config_static_selectorELNS0_4arch9wavefront6targetE1EEEvT1_,comdat
.Lfunc_end2447:
	.size	_ZN7rocprim17ROCPRIM_400000_NS6detail17trampoline_kernelINS0_14default_configENS1_25partition_config_selectorILNS1_17partition_subalgoE0EjNS0_10empty_typeEbEEZZNS1_14partition_implILS5_0ELb0ES3_jN6thrust23THRUST_200600_302600_NS6detail15normal_iteratorINSA_10device_ptrIjEEEEPS6_SG_NS0_5tupleIJSF_NSA_16discard_iteratorINSA_11use_defaultEEEEEENSH_IJSG_SG_EEES6_PlJ7is_evenIjEEEE10hipError_tPvRmT3_T4_T5_T6_T7_T9_mT8_P12ihipStream_tbDpT10_ENKUlT_T0_E_clISt17integral_constantIbLb1EES18_IbLb0EEEEDaS14_S15_EUlS14_E_NS1_11comp_targetILNS1_3genE2ELNS1_11target_archE906ELNS1_3gpuE6ELNS1_3repE0EEENS1_30default_config_static_selectorELNS0_4arch9wavefront6targetE1EEEvT1_, .Lfunc_end2447-_ZN7rocprim17ROCPRIM_400000_NS6detail17trampoline_kernelINS0_14default_configENS1_25partition_config_selectorILNS1_17partition_subalgoE0EjNS0_10empty_typeEbEEZZNS1_14partition_implILS5_0ELb0ES3_jN6thrust23THRUST_200600_302600_NS6detail15normal_iteratorINSA_10device_ptrIjEEEEPS6_SG_NS0_5tupleIJSF_NSA_16discard_iteratorINSA_11use_defaultEEEEEENSH_IJSG_SG_EEES6_PlJ7is_evenIjEEEE10hipError_tPvRmT3_T4_T5_T6_T7_T9_mT8_P12ihipStream_tbDpT10_ENKUlT_T0_E_clISt17integral_constantIbLb1EES18_IbLb0EEEEDaS14_S15_EUlS14_E_NS1_11comp_targetILNS1_3genE2ELNS1_11target_archE906ELNS1_3gpuE6ELNS1_3repE0EEENS1_30default_config_static_selectorELNS0_4arch9wavefront6targetE1EEEvT1_
                                        ; -- End function
	.section	.AMDGPU.csdata,"",@progbits
; Kernel info:
; codeLenInByte = 0
; NumSgprs: 4
; NumVgprs: 0
; NumAgprs: 0
; TotalNumVgprs: 0
; ScratchSize: 0
; MemoryBound: 0
; FloatMode: 240
; IeeeMode: 1
; LDSByteSize: 0 bytes/workgroup (compile time only)
; SGPRBlocks: 0
; VGPRBlocks: 0
; NumSGPRsForWavesPerEU: 4
; NumVGPRsForWavesPerEU: 1
; AccumOffset: 4
; Occupancy: 8
; WaveLimiterHint : 0
; COMPUTE_PGM_RSRC2:SCRATCH_EN: 0
; COMPUTE_PGM_RSRC2:USER_SGPR: 6
; COMPUTE_PGM_RSRC2:TRAP_HANDLER: 0
; COMPUTE_PGM_RSRC2:TGID_X_EN: 1
; COMPUTE_PGM_RSRC2:TGID_Y_EN: 0
; COMPUTE_PGM_RSRC2:TGID_Z_EN: 0
; COMPUTE_PGM_RSRC2:TIDIG_COMP_CNT: 0
; COMPUTE_PGM_RSRC3_GFX90A:ACCUM_OFFSET: 0
; COMPUTE_PGM_RSRC3_GFX90A:TG_SPLIT: 0
	.section	.text._ZN7rocprim17ROCPRIM_400000_NS6detail17trampoline_kernelINS0_14default_configENS1_25partition_config_selectorILNS1_17partition_subalgoE0EjNS0_10empty_typeEbEEZZNS1_14partition_implILS5_0ELb0ES3_jN6thrust23THRUST_200600_302600_NS6detail15normal_iteratorINSA_10device_ptrIjEEEEPS6_SG_NS0_5tupleIJSF_NSA_16discard_iteratorINSA_11use_defaultEEEEEENSH_IJSG_SG_EEES6_PlJ7is_evenIjEEEE10hipError_tPvRmT3_T4_T5_T6_T7_T9_mT8_P12ihipStream_tbDpT10_ENKUlT_T0_E_clISt17integral_constantIbLb1EES18_IbLb0EEEEDaS14_S15_EUlS14_E_NS1_11comp_targetILNS1_3genE10ELNS1_11target_archE1200ELNS1_3gpuE4ELNS1_3repE0EEENS1_30default_config_static_selectorELNS0_4arch9wavefront6targetE1EEEvT1_,"axG",@progbits,_ZN7rocprim17ROCPRIM_400000_NS6detail17trampoline_kernelINS0_14default_configENS1_25partition_config_selectorILNS1_17partition_subalgoE0EjNS0_10empty_typeEbEEZZNS1_14partition_implILS5_0ELb0ES3_jN6thrust23THRUST_200600_302600_NS6detail15normal_iteratorINSA_10device_ptrIjEEEEPS6_SG_NS0_5tupleIJSF_NSA_16discard_iteratorINSA_11use_defaultEEEEEENSH_IJSG_SG_EEES6_PlJ7is_evenIjEEEE10hipError_tPvRmT3_T4_T5_T6_T7_T9_mT8_P12ihipStream_tbDpT10_ENKUlT_T0_E_clISt17integral_constantIbLb1EES18_IbLb0EEEEDaS14_S15_EUlS14_E_NS1_11comp_targetILNS1_3genE10ELNS1_11target_archE1200ELNS1_3gpuE4ELNS1_3repE0EEENS1_30default_config_static_selectorELNS0_4arch9wavefront6targetE1EEEvT1_,comdat
	.protected	_ZN7rocprim17ROCPRIM_400000_NS6detail17trampoline_kernelINS0_14default_configENS1_25partition_config_selectorILNS1_17partition_subalgoE0EjNS0_10empty_typeEbEEZZNS1_14partition_implILS5_0ELb0ES3_jN6thrust23THRUST_200600_302600_NS6detail15normal_iteratorINSA_10device_ptrIjEEEEPS6_SG_NS0_5tupleIJSF_NSA_16discard_iteratorINSA_11use_defaultEEEEEENSH_IJSG_SG_EEES6_PlJ7is_evenIjEEEE10hipError_tPvRmT3_T4_T5_T6_T7_T9_mT8_P12ihipStream_tbDpT10_ENKUlT_T0_E_clISt17integral_constantIbLb1EES18_IbLb0EEEEDaS14_S15_EUlS14_E_NS1_11comp_targetILNS1_3genE10ELNS1_11target_archE1200ELNS1_3gpuE4ELNS1_3repE0EEENS1_30default_config_static_selectorELNS0_4arch9wavefront6targetE1EEEvT1_ ; -- Begin function _ZN7rocprim17ROCPRIM_400000_NS6detail17trampoline_kernelINS0_14default_configENS1_25partition_config_selectorILNS1_17partition_subalgoE0EjNS0_10empty_typeEbEEZZNS1_14partition_implILS5_0ELb0ES3_jN6thrust23THRUST_200600_302600_NS6detail15normal_iteratorINSA_10device_ptrIjEEEEPS6_SG_NS0_5tupleIJSF_NSA_16discard_iteratorINSA_11use_defaultEEEEEENSH_IJSG_SG_EEES6_PlJ7is_evenIjEEEE10hipError_tPvRmT3_T4_T5_T6_T7_T9_mT8_P12ihipStream_tbDpT10_ENKUlT_T0_E_clISt17integral_constantIbLb1EES18_IbLb0EEEEDaS14_S15_EUlS14_E_NS1_11comp_targetILNS1_3genE10ELNS1_11target_archE1200ELNS1_3gpuE4ELNS1_3repE0EEENS1_30default_config_static_selectorELNS0_4arch9wavefront6targetE1EEEvT1_
	.globl	_ZN7rocprim17ROCPRIM_400000_NS6detail17trampoline_kernelINS0_14default_configENS1_25partition_config_selectorILNS1_17partition_subalgoE0EjNS0_10empty_typeEbEEZZNS1_14partition_implILS5_0ELb0ES3_jN6thrust23THRUST_200600_302600_NS6detail15normal_iteratorINSA_10device_ptrIjEEEEPS6_SG_NS0_5tupleIJSF_NSA_16discard_iteratorINSA_11use_defaultEEEEEENSH_IJSG_SG_EEES6_PlJ7is_evenIjEEEE10hipError_tPvRmT3_T4_T5_T6_T7_T9_mT8_P12ihipStream_tbDpT10_ENKUlT_T0_E_clISt17integral_constantIbLb1EES18_IbLb0EEEEDaS14_S15_EUlS14_E_NS1_11comp_targetILNS1_3genE10ELNS1_11target_archE1200ELNS1_3gpuE4ELNS1_3repE0EEENS1_30default_config_static_selectorELNS0_4arch9wavefront6targetE1EEEvT1_
	.p2align	8
	.type	_ZN7rocprim17ROCPRIM_400000_NS6detail17trampoline_kernelINS0_14default_configENS1_25partition_config_selectorILNS1_17partition_subalgoE0EjNS0_10empty_typeEbEEZZNS1_14partition_implILS5_0ELb0ES3_jN6thrust23THRUST_200600_302600_NS6detail15normal_iteratorINSA_10device_ptrIjEEEEPS6_SG_NS0_5tupleIJSF_NSA_16discard_iteratorINSA_11use_defaultEEEEEENSH_IJSG_SG_EEES6_PlJ7is_evenIjEEEE10hipError_tPvRmT3_T4_T5_T6_T7_T9_mT8_P12ihipStream_tbDpT10_ENKUlT_T0_E_clISt17integral_constantIbLb1EES18_IbLb0EEEEDaS14_S15_EUlS14_E_NS1_11comp_targetILNS1_3genE10ELNS1_11target_archE1200ELNS1_3gpuE4ELNS1_3repE0EEENS1_30default_config_static_selectorELNS0_4arch9wavefront6targetE1EEEvT1_,@function
_ZN7rocprim17ROCPRIM_400000_NS6detail17trampoline_kernelINS0_14default_configENS1_25partition_config_selectorILNS1_17partition_subalgoE0EjNS0_10empty_typeEbEEZZNS1_14partition_implILS5_0ELb0ES3_jN6thrust23THRUST_200600_302600_NS6detail15normal_iteratorINSA_10device_ptrIjEEEEPS6_SG_NS0_5tupleIJSF_NSA_16discard_iteratorINSA_11use_defaultEEEEEENSH_IJSG_SG_EEES6_PlJ7is_evenIjEEEE10hipError_tPvRmT3_T4_T5_T6_T7_T9_mT8_P12ihipStream_tbDpT10_ENKUlT_T0_E_clISt17integral_constantIbLb1EES18_IbLb0EEEEDaS14_S15_EUlS14_E_NS1_11comp_targetILNS1_3genE10ELNS1_11target_archE1200ELNS1_3gpuE4ELNS1_3repE0EEENS1_30default_config_static_selectorELNS0_4arch9wavefront6targetE1EEEvT1_: ; @_ZN7rocprim17ROCPRIM_400000_NS6detail17trampoline_kernelINS0_14default_configENS1_25partition_config_selectorILNS1_17partition_subalgoE0EjNS0_10empty_typeEbEEZZNS1_14partition_implILS5_0ELb0ES3_jN6thrust23THRUST_200600_302600_NS6detail15normal_iteratorINSA_10device_ptrIjEEEEPS6_SG_NS0_5tupleIJSF_NSA_16discard_iteratorINSA_11use_defaultEEEEEENSH_IJSG_SG_EEES6_PlJ7is_evenIjEEEE10hipError_tPvRmT3_T4_T5_T6_T7_T9_mT8_P12ihipStream_tbDpT10_ENKUlT_T0_E_clISt17integral_constantIbLb1EES18_IbLb0EEEEDaS14_S15_EUlS14_E_NS1_11comp_targetILNS1_3genE10ELNS1_11target_archE1200ELNS1_3gpuE4ELNS1_3repE0EEENS1_30default_config_static_selectorELNS0_4arch9wavefront6targetE1EEEvT1_
; %bb.0:
	.section	.rodata,"a",@progbits
	.p2align	6, 0x0
	.amdhsa_kernel _ZN7rocprim17ROCPRIM_400000_NS6detail17trampoline_kernelINS0_14default_configENS1_25partition_config_selectorILNS1_17partition_subalgoE0EjNS0_10empty_typeEbEEZZNS1_14partition_implILS5_0ELb0ES3_jN6thrust23THRUST_200600_302600_NS6detail15normal_iteratorINSA_10device_ptrIjEEEEPS6_SG_NS0_5tupleIJSF_NSA_16discard_iteratorINSA_11use_defaultEEEEEENSH_IJSG_SG_EEES6_PlJ7is_evenIjEEEE10hipError_tPvRmT3_T4_T5_T6_T7_T9_mT8_P12ihipStream_tbDpT10_ENKUlT_T0_E_clISt17integral_constantIbLb1EES18_IbLb0EEEEDaS14_S15_EUlS14_E_NS1_11comp_targetILNS1_3genE10ELNS1_11target_archE1200ELNS1_3gpuE4ELNS1_3repE0EEENS1_30default_config_static_selectorELNS0_4arch9wavefront6targetE1EEEvT1_
		.amdhsa_group_segment_fixed_size 0
		.amdhsa_private_segment_fixed_size 0
		.amdhsa_kernarg_size 128
		.amdhsa_user_sgpr_count 6
		.amdhsa_user_sgpr_private_segment_buffer 1
		.amdhsa_user_sgpr_dispatch_ptr 0
		.amdhsa_user_sgpr_queue_ptr 0
		.amdhsa_user_sgpr_kernarg_segment_ptr 1
		.amdhsa_user_sgpr_dispatch_id 0
		.amdhsa_user_sgpr_flat_scratch_init 0
		.amdhsa_user_sgpr_kernarg_preload_length 0
		.amdhsa_user_sgpr_kernarg_preload_offset 0
		.amdhsa_user_sgpr_private_segment_size 0
		.amdhsa_uses_dynamic_stack 0
		.amdhsa_system_sgpr_private_segment_wavefront_offset 0
		.amdhsa_system_sgpr_workgroup_id_x 1
		.amdhsa_system_sgpr_workgroup_id_y 0
		.amdhsa_system_sgpr_workgroup_id_z 0
		.amdhsa_system_sgpr_workgroup_info 0
		.amdhsa_system_vgpr_workitem_id 0
		.amdhsa_next_free_vgpr 1
		.amdhsa_next_free_sgpr 0
		.amdhsa_accum_offset 4
		.amdhsa_reserve_vcc 0
		.amdhsa_reserve_flat_scratch 0
		.amdhsa_float_round_mode_32 0
		.amdhsa_float_round_mode_16_64 0
		.amdhsa_float_denorm_mode_32 3
		.amdhsa_float_denorm_mode_16_64 3
		.amdhsa_dx10_clamp 1
		.amdhsa_ieee_mode 1
		.amdhsa_fp16_overflow 0
		.amdhsa_tg_split 0
		.amdhsa_exception_fp_ieee_invalid_op 0
		.amdhsa_exception_fp_denorm_src 0
		.amdhsa_exception_fp_ieee_div_zero 0
		.amdhsa_exception_fp_ieee_overflow 0
		.amdhsa_exception_fp_ieee_underflow 0
		.amdhsa_exception_fp_ieee_inexact 0
		.amdhsa_exception_int_div_zero 0
	.end_amdhsa_kernel
	.section	.text._ZN7rocprim17ROCPRIM_400000_NS6detail17trampoline_kernelINS0_14default_configENS1_25partition_config_selectorILNS1_17partition_subalgoE0EjNS0_10empty_typeEbEEZZNS1_14partition_implILS5_0ELb0ES3_jN6thrust23THRUST_200600_302600_NS6detail15normal_iteratorINSA_10device_ptrIjEEEEPS6_SG_NS0_5tupleIJSF_NSA_16discard_iteratorINSA_11use_defaultEEEEEENSH_IJSG_SG_EEES6_PlJ7is_evenIjEEEE10hipError_tPvRmT3_T4_T5_T6_T7_T9_mT8_P12ihipStream_tbDpT10_ENKUlT_T0_E_clISt17integral_constantIbLb1EES18_IbLb0EEEEDaS14_S15_EUlS14_E_NS1_11comp_targetILNS1_3genE10ELNS1_11target_archE1200ELNS1_3gpuE4ELNS1_3repE0EEENS1_30default_config_static_selectorELNS0_4arch9wavefront6targetE1EEEvT1_,"axG",@progbits,_ZN7rocprim17ROCPRIM_400000_NS6detail17trampoline_kernelINS0_14default_configENS1_25partition_config_selectorILNS1_17partition_subalgoE0EjNS0_10empty_typeEbEEZZNS1_14partition_implILS5_0ELb0ES3_jN6thrust23THRUST_200600_302600_NS6detail15normal_iteratorINSA_10device_ptrIjEEEEPS6_SG_NS0_5tupleIJSF_NSA_16discard_iteratorINSA_11use_defaultEEEEEENSH_IJSG_SG_EEES6_PlJ7is_evenIjEEEE10hipError_tPvRmT3_T4_T5_T6_T7_T9_mT8_P12ihipStream_tbDpT10_ENKUlT_T0_E_clISt17integral_constantIbLb1EES18_IbLb0EEEEDaS14_S15_EUlS14_E_NS1_11comp_targetILNS1_3genE10ELNS1_11target_archE1200ELNS1_3gpuE4ELNS1_3repE0EEENS1_30default_config_static_selectorELNS0_4arch9wavefront6targetE1EEEvT1_,comdat
.Lfunc_end2448:
	.size	_ZN7rocprim17ROCPRIM_400000_NS6detail17trampoline_kernelINS0_14default_configENS1_25partition_config_selectorILNS1_17partition_subalgoE0EjNS0_10empty_typeEbEEZZNS1_14partition_implILS5_0ELb0ES3_jN6thrust23THRUST_200600_302600_NS6detail15normal_iteratorINSA_10device_ptrIjEEEEPS6_SG_NS0_5tupleIJSF_NSA_16discard_iteratorINSA_11use_defaultEEEEEENSH_IJSG_SG_EEES6_PlJ7is_evenIjEEEE10hipError_tPvRmT3_T4_T5_T6_T7_T9_mT8_P12ihipStream_tbDpT10_ENKUlT_T0_E_clISt17integral_constantIbLb1EES18_IbLb0EEEEDaS14_S15_EUlS14_E_NS1_11comp_targetILNS1_3genE10ELNS1_11target_archE1200ELNS1_3gpuE4ELNS1_3repE0EEENS1_30default_config_static_selectorELNS0_4arch9wavefront6targetE1EEEvT1_, .Lfunc_end2448-_ZN7rocprim17ROCPRIM_400000_NS6detail17trampoline_kernelINS0_14default_configENS1_25partition_config_selectorILNS1_17partition_subalgoE0EjNS0_10empty_typeEbEEZZNS1_14partition_implILS5_0ELb0ES3_jN6thrust23THRUST_200600_302600_NS6detail15normal_iteratorINSA_10device_ptrIjEEEEPS6_SG_NS0_5tupleIJSF_NSA_16discard_iteratorINSA_11use_defaultEEEEEENSH_IJSG_SG_EEES6_PlJ7is_evenIjEEEE10hipError_tPvRmT3_T4_T5_T6_T7_T9_mT8_P12ihipStream_tbDpT10_ENKUlT_T0_E_clISt17integral_constantIbLb1EES18_IbLb0EEEEDaS14_S15_EUlS14_E_NS1_11comp_targetILNS1_3genE10ELNS1_11target_archE1200ELNS1_3gpuE4ELNS1_3repE0EEENS1_30default_config_static_selectorELNS0_4arch9wavefront6targetE1EEEvT1_
                                        ; -- End function
	.section	.AMDGPU.csdata,"",@progbits
; Kernel info:
; codeLenInByte = 0
; NumSgprs: 4
; NumVgprs: 0
; NumAgprs: 0
; TotalNumVgprs: 0
; ScratchSize: 0
; MemoryBound: 0
; FloatMode: 240
; IeeeMode: 1
; LDSByteSize: 0 bytes/workgroup (compile time only)
; SGPRBlocks: 0
; VGPRBlocks: 0
; NumSGPRsForWavesPerEU: 4
; NumVGPRsForWavesPerEU: 1
; AccumOffset: 4
; Occupancy: 8
; WaveLimiterHint : 0
; COMPUTE_PGM_RSRC2:SCRATCH_EN: 0
; COMPUTE_PGM_RSRC2:USER_SGPR: 6
; COMPUTE_PGM_RSRC2:TRAP_HANDLER: 0
; COMPUTE_PGM_RSRC2:TGID_X_EN: 1
; COMPUTE_PGM_RSRC2:TGID_Y_EN: 0
; COMPUTE_PGM_RSRC2:TGID_Z_EN: 0
; COMPUTE_PGM_RSRC2:TIDIG_COMP_CNT: 0
; COMPUTE_PGM_RSRC3_GFX90A:ACCUM_OFFSET: 0
; COMPUTE_PGM_RSRC3_GFX90A:TG_SPLIT: 0
	.section	.text._ZN7rocprim17ROCPRIM_400000_NS6detail17trampoline_kernelINS0_14default_configENS1_25partition_config_selectorILNS1_17partition_subalgoE0EjNS0_10empty_typeEbEEZZNS1_14partition_implILS5_0ELb0ES3_jN6thrust23THRUST_200600_302600_NS6detail15normal_iteratorINSA_10device_ptrIjEEEEPS6_SG_NS0_5tupleIJSF_NSA_16discard_iteratorINSA_11use_defaultEEEEEENSH_IJSG_SG_EEES6_PlJ7is_evenIjEEEE10hipError_tPvRmT3_T4_T5_T6_T7_T9_mT8_P12ihipStream_tbDpT10_ENKUlT_T0_E_clISt17integral_constantIbLb1EES18_IbLb0EEEEDaS14_S15_EUlS14_E_NS1_11comp_targetILNS1_3genE9ELNS1_11target_archE1100ELNS1_3gpuE3ELNS1_3repE0EEENS1_30default_config_static_selectorELNS0_4arch9wavefront6targetE1EEEvT1_,"axG",@progbits,_ZN7rocprim17ROCPRIM_400000_NS6detail17trampoline_kernelINS0_14default_configENS1_25partition_config_selectorILNS1_17partition_subalgoE0EjNS0_10empty_typeEbEEZZNS1_14partition_implILS5_0ELb0ES3_jN6thrust23THRUST_200600_302600_NS6detail15normal_iteratorINSA_10device_ptrIjEEEEPS6_SG_NS0_5tupleIJSF_NSA_16discard_iteratorINSA_11use_defaultEEEEEENSH_IJSG_SG_EEES6_PlJ7is_evenIjEEEE10hipError_tPvRmT3_T4_T5_T6_T7_T9_mT8_P12ihipStream_tbDpT10_ENKUlT_T0_E_clISt17integral_constantIbLb1EES18_IbLb0EEEEDaS14_S15_EUlS14_E_NS1_11comp_targetILNS1_3genE9ELNS1_11target_archE1100ELNS1_3gpuE3ELNS1_3repE0EEENS1_30default_config_static_selectorELNS0_4arch9wavefront6targetE1EEEvT1_,comdat
	.protected	_ZN7rocprim17ROCPRIM_400000_NS6detail17trampoline_kernelINS0_14default_configENS1_25partition_config_selectorILNS1_17partition_subalgoE0EjNS0_10empty_typeEbEEZZNS1_14partition_implILS5_0ELb0ES3_jN6thrust23THRUST_200600_302600_NS6detail15normal_iteratorINSA_10device_ptrIjEEEEPS6_SG_NS0_5tupleIJSF_NSA_16discard_iteratorINSA_11use_defaultEEEEEENSH_IJSG_SG_EEES6_PlJ7is_evenIjEEEE10hipError_tPvRmT3_T4_T5_T6_T7_T9_mT8_P12ihipStream_tbDpT10_ENKUlT_T0_E_clISt17integral_constantIbLb1EES18_IbLb0EEEEDaS14_S15_EUlS14_E_NS1_11comp_targetILNS1_3genE9ELNS1_11target_archE1100ELNS1_3gpuE3ELNS1_3repE0EEENS1_30default_config_static_selectorELNS0_4arch9wavefront6targetE1EEEvT1_ ; -- Begin function _ZN7rocprim17ROCPRIM_400000_NS6detail17trampoline_kernelINS0_14default_configENS1_25partition_config_selectorILNS1_17partition_subalgoE0EjNS0_10empty_typeEbEEZZNS1_14partition_implILS5_0ELb0ES3_jN6thrust23THRUST_200600_302600_NS6detail15normal_iteratorINSA_10device_ptrIjEEEEPS6_SG_NS0_5tupleIJSF_NSA_16discard_iteratorINSA_11use_defaultEEEEEENSH_IJSG_SG_EEES6_PlJ7is_evenIjEEEE10hipError_tPvRmT3_T4_T5_T6_T7_T9_mT8_P12ihipStream_tbDpT10_ENKUlT_T0_E_clISt17integral_constantIbLb1EES18_IbLb0EEEEDaS14_S15_EUlS14_E_NS1_11comp_targetILNS1_3genE9ELNS1_11target_archE1100ELNS1_3gpuE3ELNS1_3repE0EEENS1_30default_config_static_selectorELNS0_4arch9wavefront6targetE1EEEvT1_
	.globl	_ZN7rocprim17ROCPRIM_400000_NS6detail17trampoline_kernelINS0_14default_configENS1_25partition_config_selectorILNS1_17partition_subalgoE0EjNS0_10empty_typeEbEEZZNS1_14partition_implILS5_0ELb0ES3_jN6thrust23THRUST_200600_302600_NS6detail15normal_iteratorINSA_10device_ptrIjEEEEPS6_SG_NS0_5tupleIJSF_NSA_16discard_iteratorINSA_11use_defaultEEEEEENSH_IJSG_SG_EEES6_PlJ7is_evenIjEEEE10hipError_tPvRmT3_T4_T5_T6_T7_T9_mT8_P12ihipStream_tbDpT10_ENKUlT_T0_E_clISt17integral_constantIbLb1EES18_IbLb0EEEEDaS14_S15_EUlS14_E_NS1_11comp_targetILNS1_3genE9ELNS1_11target_archE1100ELNS1_3gpuE3ELNS1_3repE0EEENS1_30default_config_static_selectorELNS0_4arch9wavefront6targetE1EEEvT1_
	.p2align	8
	.type	_ZN7rocprim17ROCPRIM_400000_NS6detail17trampoline_kernelINS0_14default_configENS1_25partition_config_selectorILNS1_17partition_subalgoE0EjNS0_10empty_typeEbEEZZNS1_14partition_implILS5_0ELb0ES3_jN6thrust23THRUST_200600_302600_NS6detail15normal_iteratorINSA_10device_ptrIjEEEEPS6_SG_NS0_5tupleIJSF_NSA_16discard_iteratorINSA_11use_defaultEEEEEENSH_IJSG_SG_EEES6_PlJ7is_evenIjEEEE10hipError_tPvRmT3_T4_T5_T6_T7_T9_mT8_P12ihipStream_tbDpT10_ENKUlT_T0_E_clISt17integral_constantIbLb1EES18_IbLb0EEEEDaS14_S15_EUlS14_E_NS1_11comp_targetILNS1_3genE9ELNS1_11target_archE1100ELNS1_3gpuE3ELNS1_3repE0EEENS1_30default_config_static_selectorELNS0_4arch9wavefront6targetE1EEEvT1_,@function
_ZN7rocprim17ROCPRIM_400000_NS6detail17trampoline_kernelINS0_14default_configENS1_25partition_config_selectorILNS1_17partition_subalgoE0EjNS0_10empty_typeEbEEZZNS1_14partition_implILS5_0ELb0ES3_jN6thrust23THRUST_200600_302600_NS6detail15normal_iteratorINSA_10device_ptrIjEEEEPS6_SG_NS0_5tupleIJSF_NSA_16discard_iteratorINSA_11use_defaultEEEEEENSH_IJSG_SG_EEES6_PlJ7is_evenIjEEEE10hipError_tPvRmT3_T4_T5_T6_T7_T9_mT8_P12ihipStream_tbDpT10_ENKUlT_T0_E_clISt17integral_constantIbLb1EES18_IbLb0EEEEDaS14_S15_EUlS14_E_NS1_11comp_targetILNS1_3genE9ELNS1_11target_archE1100ELNS1_3gpuE3ELNS1_3repE0EEENS1_30default_config_static_selectorELNS0_4arch9wavefront6targetE1EEEvT1_: ; @_ZN7rocprim17ROCPRIM_400000_NS6detail17trampoline_kernelINS0_14default_configENS1_25partition_config_selectorILNS1_17partition_subalgoE0EjNS0_10empty_typeEbEEZZNS1_14partition_implILS5_0ELb0ES3_jN6thrust23THRUST_200600_302600_NS6detail15normal_iteratorINSA_10device_ptrIjEEEEPS6_SG_NS0_5tupleIJSF_NSA_16discard_iteratorINSA_11use_defaultEEEEEENSH_IJSG_SG_EEES6_PlJ7is_evenIjEEEE10hipError_tPvRmT3_T4_T5_T6_T7_T9_mT8_P12ihipStream_tbDpT10_ENKUlT_T0_E_clISt17integral_constantIbLb1EES18_IbLb0EEEEDaS14_S15_EUlS14_E_NS1_11comp_targetILNS1_3genE9ELNS1_11target_archE1100ELNS1_3gpuE3ELNS1_3repE0EEENS1_30default_config_static_selectorELNS0_4arch9wavefront6targetE1EEEvT1_
; %bb.0:
	.section	.rodata,"a",@progbits
	.p2align	6, 0x0
	.amdhsa_kernel _ZN7rocprim17ROCPRIM_400000_NS6detail17trampoline_kernelINS0_14default_configENS1_25partition_config_selectorILNS1_17partition_subalgoE0EjNS0_10empty_typeEbEEZZNS1_14partition_implILS5_0ELb0ES3_jN6thrust23THRUST_200600_302600_NS6detail15normal_iteratorINSA_10device_ptrIjEEEEPS6_SG_NS0_5tupleIJSF_NSA_16discard_iteratorINSA_11use_defaultEEEEEENSH_IJSG_SG_EEES6_PlJ7is_evenIjEEEE10hipError_tPvRmT3_T4_T5_T6_T7_T9_mT8_P12ihipStream_tbDpT10_ENKUlT_T0_E_clISt17integral_constantIbLb1EES18_IbLb0EEEEDaS14_S15_EUlS14_E_NS1_11comp_targetILNS1_3genE9ELNS1_11target_archE1100ELNS1_3gpuE3ELNS1_3repE0EEENS1_30default_config_static_selectorELNS0_4arch9wavefront6targetE1EEEvT1_
		.amdhsa_group_segment_fixed_size 0
		.amdhsa_private_segment_fixed_size 0
		.amdhsa_kernarg_size 128
		.amdhsa_user_sgpr_count 6
		.amdhsa_user_sgpr_private_segment_buffer 1
		.amdhsa_user_sgpr_dispatch_ptr 0
		.amdhsa_user_sgpr_queue_ptr 0
		.amdhsa_user_sgpr_kernarg_segment_ptr 1
		.amdhsa_user_sgpr_dispatch_id 0
		.amdhsa_user_sgpr_flat_scratch_init 0
		.amdhsa_user_sgpr_kernarg_preload_length 0
		.amdhsa_user_sgpr_kernarg_preload_offset 0
		.amdhsa_user_sgpr_private_segment_size 0
		.amdhsa_uses_dynamic_stack 0
		.amdhsa_system_sgpr_private_segment_wavefront_offset 0
		.amdhsa_system_sgpr_workgroup_id_x 1
		.amdhsa_system_sgpr_workgroup_id_y 0
		.amdhsa_system_sgpr_workgroup_id_z 0
		.amdhsa_system_sgpr_workgroup_info 0
		.amdhsa_system_vgpr_workitem_id 0
		.amdhsa_next_free_vgpr 1
		.amdhsa_next_free_sgpr 0
		.amdhsa_accum_offset 4
		.amdhsa_reserve_vcc 0
		.amdhsa_reserve_flat_scratch 0
		.amdhsa_float_round_mode_32 0
		.amdhsa_float_round_mode_16_64 0
		.amdhsa_float_denorm_mode_32 3
		.amdhsa_float_denorm_mode_16_64 3
		.amdhsa_dx10_clamp 1
		.amdhsa_ieee_mode 1
		.amdhsa_fp16_overflow 0
		.amdhsa_tg_split 0
		.amdhsa_exception_fp_ieee_invalid_op 0
		.amdhsa_exception_fp_denorm_src 0
		.amdhsa_exception_fp_ieee_div_zero 0
		.amdhsa_exception_fp_ieee_overflow 0
		.amdhsa_exception_fp_ieee_underflow 0
		.amdhsa_exception_fp_ieee_inexact 0
		.amdhsa_exception_int_div_zero 0
	.end_amdhsa_kernel
	.section	.text._ZN7rocprim17ROCPRIM_400000_NS6detail17trampoline_kernelINS0_14default_configENS1_25partition_config_selectorILNS1_17partition_subalgoE0EjNS0_10empty_typeEbEEZZNS1_14partition_implILS5_0ELb0ES3_jN6thrust23THRUST_200600_302600_NS6detail15normal_iteratorINSA_10device_ptrIjEEEEPS6_SG_NS0_5tupleIJSF_NSA_16discard_iteratorINSA_11use_defaultEEEEEENSH_IJSG_SG_EEES6_PlJ7is_evenIjEEEE10hipError_tPvRmT3_T4_T5_T6_T7_T9_mT8_P12ihipStream_tbDpT10_ENKUlT_T0_E_clISt17integral_constantIbLb1EES18_IbLb0EEEEDaS14_S15_EUlS14_E_NS1_11comp_targetILNS1_3genE9ELNS1_11target_archE1100ELNS1_3gpuE3ELNS1_3repE0EEENS1_30default_config_static_selectorELNS0_4arch9wavefront6targetE1EEEvT1_,"axG",@progbits,_ZN7rocprim17ROCPRIM_400000_NS6detail17trampoline_kernelINS0_14default_configENS1_25partition_config_selectorILNS1_17partition_subalgoE0EjNS0_10empty_typeEbEEZZNS1_14partition_implILS5_0ELb0ES3_jN6thrust23THRUST_200600_302600_NS6detail15normal_iteratorINSA_10device_ptrIjEEEEPS6_SG_NS0_5tupleIJSF_NSA_16discard_iteratorINSA_11use_defaultEEEEEENSH_IJSG_SG_EEES6_PlJ7is_evenIjEEEE10hipError_tPvRmT3_T4_T5_T6_T7_T9_mT8_P12ihipStream_tbDpT10_ENKUlT_T0_E_clISt17integral_constantIbLb1EES18_IbLb0EEEEDaS14_S15_EUlS14_E_NS1_11comp_targetILNS1_3genE9ELNS1_11target_archE1100ELNS1_3gpuE3ELNS1_3repE0EEENS1_30default_config_static_selectorELNS0_4arch9wavefront6targetE1EEEvT1_,comdat
.Lfunc_end2449:
	.size	_ZN7rocprim17ROCPRIM_400000_NS6detail17trampoline_kernelINS0_14default_configENS1_25partition_config_selectorILNS1_17partition_subalgoE0EjNS0_10empty_typeEbEEZZNS1_14partition_implILS5_0ELb0ES3_jN6thrust23THRUST_200600_302600_NS6detail15normal_iteratorINSA_10device_ptrIjEEEEPS6_SG_NS0_5tupleIJSF_NSA_16discard_iteratorINSA_11use_defaultEEEEEENSH_IJSG_SG_EEES6_PlJ7is_evenIjEEEE10hipError_tPvRmT3_T4_T5_T6_T7_T9_mT8_P12ihipStream_tbDpT10_ENKUlT_T0_E_clISt17integral_constantIbLb1EES18_IbLb0EEEEDaS14_S15_EUlS14_E_NS1_11comp_targetILNS1_3genE9ELNS1_11target_archE1100ELNS1_3gpuE3ELNS1_3repE0EEENS1_30default_config_static_selectorELNS0_4arch9wavefront6targetE1EEEvT1_, .Lfunc_end2449-_ZN7rocprim17ROCPRIM_400000_NS6detail17trampoline_kernelINS0_14default_configENS1_25partition_config_selectorILNS1_17partition_subalgoE0EjNS0_10empty_typeEbEEZZNS1_14partition_implILS5_0ELb0ES3_jN6thrust23THRUST_200600_302600_NS6detail15normal_iteratorINSA_10device_ptrIjEEEEPS6_SG_NS0_5tupleIJSF_NSA_16discard_iteratorINSA_11use_defaultEEEEEENSH_IJSG_SG_EEES6_PlJ7is_evenIjEEEE10hipError_tPvRmT3_T4_T5_T6_T7_T9_mT8_P12ihipStream_tbDpT10_ENKUlT_T0_E_clISt17integral_constantIbLb1EES18_IbLb0EEEEDaS14_S15_EUlS14_E_NS1_11comp_targetILNS1_3genE9ELNS1_11target_archE1100ELNS1_3gpuE3ELNS1_3repE0EEENS1_30default_config_static_selectorELNS0_4arch9wavefront6targetE1EEEvT1_
                                        ; -- End function
	.section	.AMDGPU.csdata,"",@progbits
; Kernel info:
; codeLenInByte = 0
; NumSgprs: 4
; NumVgprs: 0
; NumAgprs: 0
; TotalNumVgprs: 0
; ScratchSize: 0
; MemoryBound: 0
; FloatMode: 240
; IeeeMode: 1
; LDSByteSize: 0 bytes/workgroup (compile time only)
; SGPRBlocks: 0
; VGPRBlocks: 0
; NumSGPRsForWavesPerEU: 4
; NumVGPRsForWavesPerEU: 1
; AccumOffset: 4
; Occupancy: 8
; WaveLimiterHint : 0
; COMPUTE_PGM_RSRC2:SCRATCH_EN: 0
; COMPUTE_PGM_RSRC2:USER_SGPR: 6
; COMPUTE_PGM_RSRC2:TRAP_HANDLER: 0
; COMPUTE_PGM_RSRC2:TGID_X_EN: 1
; COMPUTE_PGM_RSRC2:TGID_Y_EN: 0
; COMPUTE_PGM_RSRC2:TGID_Z_EN: 0
; COMPUTE_PGM_RSRC2:TIDIG_COMP_CNT: 0
; COMPUTE_PGM_RSRC3_GFX90A:ACCUM_OFFSET: 0
; COMPUTE_PGM_RSRC3_GFX90A:TG_SPLIT: 0
	.section	.text._ZN7rocprim17ROCPRIM_400000_NS6detail17trampoline_kernelINS0_14default_configENS1_25partition_config_selectorILNS1_17partition_subalgoE0EjNS0_10empty_typeEbEEZZNS1_14partition_implILS5_0ELb0ES3_jN6thrust23THRUST_200600_302600_NS6detail15normal_iteratorINSA_10device_ptrIjEEEEPS6_SG_NS0_5tupleIJSF_NSA_16discard_iteratorINSA_11use_defaultEEEEEENSH_IJSG_SG_EEES6_PlJ7is_evenIjEEEE10hipError_tPvRmT3_T4_T5_T6_T7_T9_mT8_P12ihipStream_tbDpT10_ENKUlT_T0_E_clISt17integral_constantIbLb1EES18_IbLb0EEEEDaS14_S15_EUlS14_E_NS1_11comp_targetILNS1_3genE8ELNS1_11target_archE1030ELNS1_3gpuE2ELNS1_3repE0EEENS1_30default_config_static_selectorELNS0_4arch9wavefront6targetE1EEEvT1_,"axG",@progbits,_ZN7rocprim17ROCPRIM_400000_NS6detail17trampoline_kernelINS0_14default_configENS1_25partition_config_selectorILNS1_17partition_subalgoE0EjNS0_10empty_typeEbEEZZNS1_14partition_implILS5_0ELb0ES3_jN6thrust23THRUST_200600_302600_NS6detail15normal_iteratorINSA_10device_ptrIjEEEEPS6_SG_NS0_5tupleIJSF_NSA_16discard_iteratorINSA_11use_defaultEEEEEENSH_IJSG_SG_EEES6_PlJ7is_evenIjEEEE10hipError_tPvRmT3_T4_T5_T6_T7_T9_mT8_P12ihipStream_tbDpT10_ENKUlT_T0_E_clISt17integral_constantIbLb1EES18_IbLb0EEEEDaS14_S15_EUlS14_E_NS1_11comp_targetILNS1_3genE8ELNS1_11target_archE1030ELNS1_3gpuE2ELNS1_3repE0EEENS1_30default_config_static_selectorELNS0_4arch9wavefront6targetE1EEEvT1_,comdat
	.protected	_ZN7rocprim17ROCPRIM_400000_NS6detail17trampoline_kernelINS0_14default_configENS1_25partition_config_selectorILNS1_17partition_subalgoE0EjNS0_10empty_typeEbEEZZNS1_14partition_implILS5_0ELb0ES3_jN6thrust23THRUST_200600_302600_NS6detail15normal_iteratorINSA_10device_ptrIjEEEEPS6_SG_NS0_5tupleIJSF_NSA_16discard_iteratorINSA_11use_defaultEEEEEENSH_IJSG_SG_EEES6_PlJ7is_evenIjEEEE10hipError_tPvRmT3_T4_T5_T6_T7_T9_mT8_P12ihipStream_tbDpT10_ENKUlT_T0_E_clISt17integral_constantIbLb1EES18_IbLb0EEEEDaS14_S15_EUlS14_E_NS1_11comp_targetILNS1_3genE8ELNS1_11target_archE1030ELNS1_3gpuE2ELNS1_3repE0EEENS1_30default_config_static_selectorELNS0_4arch9wavefront6targetE1EEEvT1_ ; -- Begin function _ZN7rocprim17ROCPRIM_400000_NS6detail17trampoline_kernelINS0_14default_configENS1_25partition_config_selectorILNS1_17partition_subalgoE0EjNS0_10empty_typeEbEEZZNS1_14partition_implILS5_0ELb0ES3_jN6thrust23THRUST_200600_302600_NS6detail15normal_iteratorINSA_10device_ptrIjEEEEPS6_SG_NS0_5tupleIJSF_NSA_16discard_iteratorINSA_11use_defaultEEEEEENSH_IJSG_SG_EEES6_PlJ7is_evenIjEEEE10hipError_tPvRmT3_T4_T5_T6_T7_T9_mT8_P12ihipStream_tbDpT10_ENKUlT_T0_E_clISt17integral_constantIbLb1EES18_IbLb0EEEEDaS14_S15_EUlS14_E_NS1_11comp_targetILNS1_3genE8ELNS1_11target_archE1030ELNS1_3gpuE2ELNS1_3repE0EEENS1_30default_config_static_selectorELNS0_4arch9wavefront6targetE1EEEvT1_
	.globl	_ZN7rocprim17ROCPRIM_400000_NS6detail17trampoline_kernelINS0_14default_configENS1_25partition_config_selectorILNS1_17partition_subalgoE0EjNS0_10empty_typeEbEEZZNS1_14partition_implILS5_0ELb0ES3_jN6thrust23THRUST_200600_302600_NS6detail15normal_iteratorINSA_10device_ptrIjEEEEPS6_SG_NS0_5tupleIJSF_NSA_16discard_iteratorINSA_11use_defaultEEEEEENSH_IJSG_SG_EEES6_PlJ7is_evenIjEEEE10hipError_tPvRmT3_T4_T5_T6_T7_T9_mT8_P12ihipStream_tbDpT10_ENKUlT_T0_E_clISt17integral_constantIbLb1EES18_IbLb0EEEEDaS14_S15_EUlS14_E_NS1_11comp_targetILNS1_3genE8ELNS1_11target_archE1030ELNS1_3gpuE2ELNS1_3repE0EEENS1_30default_config_static_selectorELNS0_4arch9wavefront6targetE1EEEvT1_
	.p2align	8
	.type	_ZN7rocprim17ROCPRIM_400000_NS6detail17trampoline_kernelINS0_14default_configENS1_25partition_config_selectorILNS1_17partition_subalgoE0EjNS0_10empty_typeEbEEZZNS1_14partition_implILS5_0ELb0ES3_jN6thrust23THRUST_200600_302600_NS6detail15normal_iteratorINSA_10device_ptrIjEEEEPS6_SG_NS0_5tupleIJSF_NSA_16discard_iteratorINSA_11use_defaultEEEEEENSH_IJSG_SG_EEES6_PlJ7is_evenIjEEEE10hipError_tPvRmT3_T4_T5_T6_T7_T9_mT8_P12ihipStream_tbDpT10_ENKUlT_T0_E_clISt17integral_constantIbLb1EES18_IbLb0EEEEDaS14_S15_EUlS14_E_NS1_11comp_targetILNS1_3genE8ELNS1_11target_archE1030ELNS1_3gpuE2ELNS1_3repE0EEENS1_30default_config_static_selectorELNS0_4arch9wavefront6targetE1EEEvT1_,@function
_ZN7rocprim17ROCPRIM_400000_NS6detail17trampoline_kernelINS0_14default_configENS1_25partition_config_selectorILNS1_17partition_subalgoE0EjNS0_10empty_typeEbEEZZNS1_14partition_implILS5_0ELb0ES3_jN6thrust23THRUST_200600_302600_NS6detail15normal_iteratorINSA_10device_ptrIjEEEEPS6_SG_NS0_5tupleIJSF_NSA_16discard_iteratorINSA_11use_defaultEEEEEENSH_IJSG_SG_EEES6_PlJ7is_evenIjEEEE10hipError_tPvRmT3_T4_T5_T6_T7_T9_mT8_P12ihipStream_tbDpT10_ENKUlT_T0_E_clISt17integral_constantIbLb1EES18_IbLb0EEEEDaS14_S15_EUlS14_E_NS1_11comp_targetILNS1_3genE8ELNS1_11target_archE1030ELNS1_3gpuE2ELNS1_3repE0EEENS1_30default_config_static_selectorELNS0_4arch9wavefront6targetE1EEEvT1_: ; @_ZN7rocprim17ROCPRIM_400000_NS6detail17trampoline_kernelINS0_14default_configENS1_25partition_config_selectorILNS1_17partition_subalgoE0EjNS0_10empty_typeEbEEZZNS1_14partition_implILS5_0ELb0ES3_jN6thrust23THRUST_200600_302600_NS6detail15normal_iteratorINSA_10device_ptrIjEEEEPS6_SG_NS0_5tupleIJSF_NSA_16discard_iteratorINSA_11use_defaultEEEEEENSH_IJSG_SG_EEES6_PlJ7is_evenIjEEEE10hipError_tPvRmT3_T4_T5_T6_T7_T9_mT8_P12ihipStream_tbDpT10_ENKUlT_T0_E_clISt17integral_constantIbLb1EES18_IbLb0EEEEDaS14_S15_EUlS14_E_NS1_11comp_targetILNS1_3genE8ELNS1_11target_archE1030ELNS1_3gpuE2ELNS1_3repE0EEENS1_30default_config_static_selectorELNS0_4arch9wavefront6targetE1EEEvT1_
; %bb.0:
	.section	.rodata,"a",@progbits
	.p2align	6, 0x0
	.amdhsa_kernel _ZN7rocprim17ROCPRIM_400000_NS6detail17trampoline_kernelINS0_14default_configENS1_25partition_config_selectorILNS1_17partition_subalgoE0EjNS0_10empty_typeEbEEZZNS1_14partition_implILS5_0ELb0ES3_jN6thrust23THRUST_200600_302600_NS6detail15normal_iteratorINSA_10device_ptrIjEEEEPS6_SG_NS0_5tupleIJSF_NSA_16discard_iteratorINSA_11use_defaultEEEEEENSH_IJSG_SG_EEES6_PlJ7is_evenIjEEEE10hipError_tPvRmT3_T4_T5_T6_T7_T9_mT8_P12ihipStream_tbDpT10_ENKUlT_T0_E_clISt17integral_constantIbLb1EES18_IbLb0EEEEDaS14_S15_EUlS14_E_NS1_11comp_targetILNS1_3genE8ELNS1_11target_archE1030ELNS1_3gpuE2ELNS1_3repE0EEENS1_30default_config_static_selectorELNS0_4arch9wavefront6targetE1EEEvT1_
		.amdhsa_group_segment_fixed_size 0
		.amdhsa_private_segment_fixed_size 0
		.amdhsa_kernarg_size 128
		.amdhsa_user_sgpr_count 6
		.amdhsa_user_sgpr_private_segment_buffer 1
		.amdhsa_user_sgpr_dispatch_ptr 0
		.amdhsa_user_sgpr_queue_ptr 0
		.amdhsa_user_sgpr_kernarg_segment_ptr 1
		.amdhsa_user_sgpr_dispatch_id 0
		.amdhsa_user_sgpr_flat_scratch_init 0
		.amdhsa_user_sgpr_kernarg_preload_length 0
		.amdhsa_user_sgpr_kernarg_preload_offset 0
		.amdhsa_user_sgpr_private_segment_size 0
		.amdhsa_uses_dynamic_stack 0
		.amdhsa_system_sgpr_private_segment_wavefront_offset 0
		.amdhsa_system_sgpr_workgroup_id_x 1
		.amdhsa_system_sgpr_workgroup_id_y 0
		.amdhsa_system_sgpr_workgroup_id_z 0
		.amdhsa_system_sgpr_workgroup_info 0
		.amdhsa_system_vgpr_workitem_id 0
		.amdhsa_next_free_vgpr 1
		.amdhsa_next_free_sgpr 0
		.amdhsa_accum_offset 4
		.amdhsa_reserve_vcc 0
		.amdhsa_reserve_flat_scratch 0
		.amdhsa_float_round_mode_32 0
		.amdhsa_float_round_mode_16_64 0
		.amdhsa_float_denorm_mode_32 3
		.amdhsa_float_denorm_mode_16_64 3
		.amdhsa_dx10_clamp 1
		.amdhsa_ieee_mode 1
		.amdhsa_fp16_overflow 0
		.amdhsa_tg_split 0
		.amdhsa_exception_fp_ieee_invalid_op 0
		.amdhsa_exception_fp_denorm_src 0
		.amdhsa_exception_fp_ieee_div_zero 0
		.amdhsa_exception_fp_ieee_overflow 0
		.amdhsa_exception_fp_ieee_underflow 0
		.amdhsa_exception_fp_ieee_inexact 0
		.amdhsa_exception_int_div_zero 0
	.end_amdhsa_kernel
	.section	.text._ZN7rocprim17ROCPRIM_400000_NS6detail17trampoline_kernelINS0_14default_configENS1_25partition_config_selectorILNS1_17partition_subalgoE0EjNS0_10empty_typeEbEEZZNS1_14partition_implILS5_0ELb0ES3_jN6thrust23THRUST_200600_302600_NS6detail15normal_iteratorINSA_10device_ptrIjEEEEPS6_SG_NS0_5tupleIJSF_NSA_16discard_iteratorINSA_11use_defaultEEEEEENSH_IJSG_SG_EEES6_PlJ7is_evenIjEEEE10hipError_tPvRmT3_T4_T5_T6_T7_T9_mT8_P12ihipStream_tbDpT10_ENKUlT_T0_E_clISt17integral_constantIbLb1EES18_IbLb0EEEEDaS14_S15_EUlS14_E_NS1_11comp_targetILNS1_3genE8ELNS1_11target_archE1030ELNS1_3gpuE2ELNS1_3repE0EEENS1_30default_config_static_selectorELNS0_4arch9wavefront6targetE1EEEvT1_,"axG",@progbits,_ZN7rocprim17ROCPRIM_400000_NS6detail17trampoline_kernelINS0_14default_configENS1_25partition_config_selectorILNS1_17partition_subalgoE0EjNS0_10empty_typeEbEEZZNS1_14partition_implILS5_0ELb0ES3_jN6thrust23THRUST_200600_302600_NS6detail15normal_iteratorINSA_10device_ptrIjEEEEPS6_SG_NS0_5tupleIJSF_NSA_16discard_iteratorINSA_11use_defaultEEEEEENSH_IJSG_SG_EEES6_PlJ7is_evenIjEEEE10hipError_tPvRmT3_T4_T5_T6_T7_T9_mT8_P12ihipStream_tbDpT10_ENKUlT_T0_E_clISt17integral_constantIbLb1EES18_IbLb0EEEEDaS14_S15_EUlS14_E_NS1_11comp_targetILNS1_3genE8ELNS1_11target_archE1030ELNS1_3gpuE2ELNS1_3repE0EEENS1_30default_config_static_selectorELNS0_4arch9wavefront6targetE1EEEvT1_,comdat
.Lfunc_end2450:
	.size	_ZN7rocprim17ROCPRIM_400000_NS6detail17trampoline_kernelINS0_14default_configENS1_25partition_config_selectorILNS1_17partition_subalgoE0EjNS0_10empty_typeEbEEZZNS1_14partition_implILS5_0ELb0ES3_jN6thrust23THRUST_200600_302600_NS6detail15normal_iteratorINSA_10device_ptrIjEEEEPS6_SG_NS0_5tupleIJSF_NSA_16discard_iteratorINSA_11use_defaultEEEEEENSH_IJSG_SG_EEES6_PlJ7is_evenIjEEEE10hipError_tPvRmT3_T4_T5_T6_T7_T9_mT8_P12ihipStream_tbDpT10_ENKUlT_T0_E_clISt17integral_constantIbLb1EES18_IbLb0EEEEDaS14_S15_EUlS14_E_NS1_11comp_targetILNS1_3genE8ELNS1_11target_archE1030ELNS1_3gpuE2ELNS1_3repE0EEENS1_30default_config_static_selectorELNS0_4arch9wavefront6targetE1EEEvT1_, .Lfunc_end2450-_ZN7rocprim17ROCPRIM_400000_NS6detail17trampoline_kernelINS0_14default_configENS1_25partition_config_selectorILNS1_17partition_subalgoE0EjNS0_10empty_typeEbEEZZNS1_14partition_implILS5_0ELb0ES3_jN6thrust23THRUST_200600_302600_NS6detail15normal_iteratorINSA_10device_ptrIjEEEEPS6_SG_NS0_5tupleIJSF_NSA_16discard_iteratorINSA_11use_defaultEEEEEENSH_IJSG_SG_EEES6_PlJ7is_evenIjEEEE10hipError_tPvRmT3_T4_T5_T6_T7_T9_mT8_P12ihipStream_tbDpT10_ENKUlT_T0_E_clISt17integral_constantIbLb1EES18_IbLb0EEEEDaS14_S15_EUlS14_E_NS1_11comp_targetILNS1_3genE8ELNS1_11target_archE1030ELNS1_3gpuE2ELNS1_3repE0EEENS1_30default_config_static_selectorELNS0_4arch9wavefront6targetE1EEEvT1_
                                        ; -- End function
	.section	.AMDGPU.csdata,"",@progbits
; Kernel info:
; codeLenInByte = 0
; NumSgprs: 4
; NumVgprs: 0
; NumAgprs: 0
; TotalNumVgprs: 0
; ScratchSize: 0
; MemoryBound: 0
; FloatMode: 240
; IeeeMode: 1
; LDSByteSize: 0 bytes/workgroup (compile time only)
; SGPRBlocks: 0
; VGPRBlocks: 0
; NumSGPRsForWavesPerEU: 4
; NumVGPRsForWavesPerEU: 1
; AccumOffset: 4
; Occupancy: 8
; WaveLimiterHint : 0
; COMPUTE_PGM_RSRC2:SCRATCH_EN: 0
; COMPUTE_PGM_RSRC2:USER_SGPR: 6
; COMPUTE_PGM_RSRC2:TRAP_HANDLER: 0
; COMPUTE_PGM_RSRC2:TGID_X_EN: 1
; COMPUTE_PGM_RSRC2:TGID_Y_EN: 0
; COMPUTE_PGM_RSRC2:TGID_Z_EN: 0
; COMPUTE_PGM_RSRC2:TIDIG_COMP_CNT: 0
; COMPUTE_PGM_RSRC3_GFX90A:ACCUM_OFFSET: 0
; COMPUTE_PGM_RSRC3_GFX90A:TG_SPLIT: 0
	.section	.text._ZN7rocprim17ROCPRIM_400000_NS6detail17trampoline_kernelINS0_14default_configENS1_25partition_config_selectorILNS1_17partition_subalgoE0EjNS0_10empty_typeEbEEZZNS1_14partition_implILS5_0ELb0ES3_jN6thrust23THRUST_200600_302600_NS6detail15normal_iteratorINSA_10device_ptrIjEEEEPS6_SG_NS0_5tupleIJSF_NSA_16discard_iteratorINSA_11use_defaultEEEEEENSH_IJSG_SG_EEES6_PlJ7is_evenIjEEEE10hipError_tPvRmT3_T4_T5_T6_T7_T9_mT8_P12ihipStream_tbDpT10_ENKUlT_T0_E_clISt17integral_constantIbLb0EES18_IbLb1EEEEDaS14_S15_EUlS14_E_NS1_11comp_targetILNS1_3genE0ELNS1_11target_archE4294967295ELNS1_3gpuE0ELNS1_3repE0EEENS1_30default_config_static_selectorELNS0_4arch9wavefront6targetE1EEEvT1_,"axG",@progbits,_ZN7rocprim17ROCPRIM_400000_NS6detail17trampoline_kernelINS0_14default_configENS1_25partition_config_selectorILNS1_17partition_subalgoE0EjNS0_10empty_typeEbEEZZNS1_14partition_implILS5_0ELb0ES3_jN6thrust23THRUST_200600_302600_NS6detail15normal_iteratorINSA_10device_ptrIjEEEEPS6_SG_NS0_5tupleIJSF_NSA_16discard_iteratorINSA_11use_defaultEEEEEENSH_IJSG_SG_EEES6_PlJ7is_evenIjEEEE10hipError_tPvRmT3_T4_T5_T6_T7_T9_mT8_P12ihipStream_tbDpT10_ENKUlT_T0_E_clISt17integral_constantIbLb0EES18_IbLb1EEEEDaS14_S15_EUlS14_E_NS1_11comp_targetILNS1_3genE0ELNS1_11target_archE4294967295ELNS1_3gpuE0ELNS1_3repE0EEENS1_30default_config_static_selectorELNS0_4arch9wavefront6targetE1EEEvT1_,comdat
	.protected	_ZN7rocprim17ROCPRIM_400000_NS6detail17trampoline_kernelINS0_14default_configENS1_25partition_config_selectorILNS1_17partition_subalgoE0EjNS0_10empty_typeEbEEZZNS1_14partition_implILS5_0ELb0ES3_jN6thrust23THRUST_200600_302600_NS6detail15normal_iteratorINSA_10device_ptrIjEEEEPS6_SG_NS0_5tupleIJSF_NSA_16discard_iteratorINSA_11use_defaultEEEEEENSH_IJSG_SG_EEES6_PlJ7is_evenIjEEEE10hipError_tPvRmT3_T4_T5_T6_T7_T9_mT8_P12ihipStream_tbDpT10_ENKUlT_T0_E_clISt17integral_constantIbLb0EES18_IbLb1EEEEDaS14_S15_EUlS14_E_NS1_11comp_targetILNS1_3genE0ELNS1_11target_archE4294967295ELNS1_3gpuE0ELNS1_3repE0EEENS1_30default_config_static_selectorELNS0_4arch9wavefront6targetE1EEEvT1_ ; -- Begin function _ZN7rocprim17ROCPRIM_400000_NS6detail17trampoline_kernelINS0_14default_configENS1_25partition_config_selectorILNS1_17partition_subalgoE0EjNS0_10empty_typeEbEEZZNS1_14partition_implILS5_0ELb0ES3_jN6thrust23THRUST_200600_302600_NS6detail15normal_iteratorINSA_10device_ptrIjEEEEPS6_SG_NS0_5tupleIJSF_NSA_16discard_iteratorINSA_11use_defaultEEEEEENSH_IJSG_SG_EEES6_PlJ7is_evenIjEEEE10hipError_tPvRmT3_T4_T5_T6_T7_T9_mT8_P12ihipStream_tbDpT10_ENKUlT_T0_E_clISt17integral_constantIbLb0EES18_IbLb1EEEEDaS14_S15_EUlS14_E_NS1_11comp_targetILNS1_3genE0ELNS1_11target_archE4294967295ELNS1_3gpuE0ELNS1_3repE0EEENS1_30default_config_static_selectorELNS0_4arch9wavefront6targetE1EEEvT1_
	.globl	_ZN7rocprim17ROCPRIM_400000_NS6detail17trampoline_kernelINS0_14default_configENS1_25partition_config_selectorILNS1_17partition_subalgoE0EjNS0_10empty_typeEbEEZZNS1_14partition_implILS5_0ELb0ES3_jN6thrust23THRUST_200600_302600_NS6detail15normal_iteratorINSA_10device_ptrIjEEEEPS6_SG_NS0_5tupleIJSF_NSA_16discard_iteratorINSA_11use_defaultEEEEEENSH_IJSG_SG_EEES6_PlJ7is_evenIjEEEE10hipError_tPvRmT3_T4_T5_T6_T7_T9_mT8_P12ihipStream_tbDpT10_ENKUlT_T0_E_clISt17integral_constantIbLb0EES18_IbLb1EEEEDaS14_S15_EUlS14_E_NS1_11comp_targetILNS1_3genE0ELNS1_11target_archE4294967295ELNS1_3gpuE0ELNS1_3repE0EEENS1_30default_config_static_selectorELNS0_4arch9wavefront6targetE1EEEvT1_
	.p2align	8
	.type	_ZN7rocprim17ROCPRIM_400000_NS6detail17trampoline_kernelINS0_14default_configENS1_25partition_config_selectorILNS1_17partition_subalgoE0EjNS0_10empty_typeEbEEZZNS1_14partition_implILS5_0ELb0ES3_jN6thrust23THRUST_200600_302600_NS6detail15normal_iteratorINSA_10device_ptrIjEEEEPS6_SG_NS0_5tupleIJSF_NSA_16discard_iteratorINSA_11use_defaultEEEEEENSH_IJSG_SG_EEES6_PlJ7is_evenIjEEEE10hipError_tPvRmT3_T4_T5_T6_T7_T9_mT8_P12ihipStream_tbDpT10_ENKUlT_T0_E_clISt17integral_constantIbLb0EES18_IbLb1EEEEDaS14_S15_EUlS14_E_NS1_11comp_targetILNS1_3genE0ELNS1_11target_archE4294967295ELNS1_3gpuE0ELNS1_3repE0EEENS1_30default_config_static_selectorELNS0_4arch9wavefront6targetE1EEEvT1_,@function
_ZN7rocprim17ROCPRIM_400000_NS6detail17trampoline_kernelINS0_14default_configENS1_25partition_config_selectorILNS1_17partition_subalgoE0EjNS0_10empty_typeEbEEZZNS1_14partition_implILS5_0ELb0ES3_jN6thrust23THRUST_200600_302600_NS6detail15normal_iteratorINSA_10device_ptrIjEEEEPS6_SG_NS0_5tupleIJSF_NSA_16discard_iteratorINSA_11use_defaultEEEEEENSH_IJSG_SG_EEES6_PlJ7is_evenIjEEEE10hipError_tPvRmT3_T4_T5_T6_T7_T9_mT8_P12ihipStream_tbDpT10_ENKUlT_T0_E_clISt17integral_constantIbLb0EES18_IbLb1EEEEDaS14_S15_EUlS14_E_NS1_11comp_targetILNS1_3genE0ELNS1_11target_archE4294967295ELNS1_3gpuE0ELNS1_3repE0EEENS1_30default_config_static_selectorELNS0_4arch9wavefront6targetE1EEEvT1_: ; @_ZN7rocprim17ROCPRIM_400000_NS6detail17trampoline_kernelINS0_14default_configENS1_25partition_config_selectorILNS1_17partition_subalgoE0EjNS0_10empty_typeEbEEZZNS1_14partition_implILS5_0ELb0ES3_jN6thrust23THRUST_200600_302600_NS6detail15normal_iteratorINSA_10device_ptrIjEEEEPS6_SG_NS0_5tupleIJSF_NSA_16discard_iteratorINSA_11use_defaultEEEEEENSH_IJSG_SG_EEES6_PlJ7is_evenIjEEEE10hipError_tPvRmT3_T4_T5_T6_T7_T9_mT8_P12ihipStream_tbDpT10_ENKUlT_T0_E_clISt17integral_constantIbLb0EES18_IbLb1EEEEDaS14_S15_EUlS14_E_NS1_11comp_targetILNS1_3genE0ELNS1_11target_archE4294967295ELNS1_3gpuE0ELNS1_3repE0EEENS1_30default_config_static_selectorELNS0_4arch9wavefront6targetE1EEEvT1_
; %bb.0:
	.section	.rodata,"a",@progbits
	.p2align	6, 0x0
	.amdhsa_kernel _ZN7rocprim17ROCPRIM_400000_NS6detail17trampoline_kernelINS0_14default_configENS1_25partition_config_selectorILNS1_17partition_subalgoE0EjNS0_10empty_typeEbEEZZNS1_14partition_implILS5_0ELb0ES3_jN6thrust23THRUST_200600_302600_NS6detail15normal_iteratorINSA_10device_ptrIjEEEEPS6_SG_NS0_5tupleIJSF_NSA_16discard_iteratorINSA_11use_defaultEEEEEENSH_IJSG_SG_EEES6_PlJ7is_evenIjEEEE10hipError_tPvRmT3_T4_T5_T6_T7_T9_mT8_P12ihipStream_tbDpT10_ENKUlT_T0_E_clISt17integral_constantIbLb0EES18_IbLb1EEEEDaS14_S15_EUlS14_E_NS1_11comp_targetILNS1_3genE0ELNS1_11target_archE4294967295ELNS1_3gpuE0ELNS1_3repE0EEENS1_30default_config_static_selectorELNS0_4arch9wavefront6targetE1EEEvT1_
		.amdhsa_group_segment_fixed_size 0
		.amdhsa_private_segment_fixed_size 0
		.amdhsa_kernarg_size 144
		.amdhsa_user_sgpr_count 6
		.amdhsa_user_sgpr_private_segment_buffer 1
		.amdhsa_user_sgpr_dispatch_ptr 0
		.amdhsa_user_sgpr_queue_ptr 0
		.amdhsa_user_sgpr_kernarg_segment_ptr 1
		.amdhsa_user_sgpr_dispatch_id 0
		.amdhsa_user_sgpr_flat_scratch_init 0
		.amdhsa_user_sgpr_kernarg_preload_length 0
		.amdhsa_user_sgpr_kernarg_preload_offset 0
		.amdhsa_user_sgpr_private_segment_size 0
		.amdhsa_uses_dynamic_stack 0
		.amdhsa_system_sgpr_private_segment_wavefront_offset 0
		.amdhsa_system_sgpr_workgroup_id_x 1
		.amdhsa_system_sgpr_workgroup_id_y 0
		.amdhsa_system_sgpr_workgroup_id_z 0
		.amdhsa_system_sgpr_workgroup_info 0
		.amdhsa_system_vgpr_workitem_id 0
		.amdhsa_next_free_vgpr 1
		.amdhsa_next_free_sgpr 0
		.amdhsa_accum_offset 4
		.amdhsa_reserve_vcc 0
		.amdhsa_reserve_flat_scratch 0
		.amdhsa_float_round_mode_32 0
		.amdhsa_float_round_mode_16_64 0
		.amdhsa_float_denorm_mode_32 3
		.amdhsa_float_denorm_mode_16_64 3
		.amdhsa_dx10_clamp 1
		.amdhsa_ieee_mode 1
		.amdhsa_fp16_overflow 0
		.amdhsa_tg_split 0
		.amdhsa_exception_fp_ieee_invalid_op 0
		.amdhsa_exception_fp_denorm_src 0
		.amdhsa_exception_fp_ieee_div_zero 0
		.amdhsa_exception_fp_ieee_overflow 0
		.amdhsa_exception_fp_ieee_underflow 0
		.amdhsa_exception_fp_ieee_inexact 0
		.amdhsa_exception_int_div_zero 0
	.end_amdhsa_kernel
	.section	.text._ZN7rocprim17ROCPRIM_400000_NS6detail17trampoline_kernelINS0_14default_configENS1_25partition_config_selectorILNS1_17partition_subalgoE0EjNS0_10empty_typeEbEEZZNS1_14partition_implILS5_0ELb0ES3_jN6thrust23THRUST_200600_302600_NS6detail15normal_iteratorINSA_10device_ptrIjEEEEPS6_SG_NS0_5tupleIJSF_NSA_16discard_iteratorINSA_11use_defaultEEEEEENSH_IJSG_SG_EEES6_PlJ7is_evenIjEEEE10hipError_tPvRmT3_T4_T5_T6_T7_T9_mT8_P12ihipStream_tbDpT10_ENKUlT_T0_E_clISt17integral_constantIbLb0EES18_IbLb1EEEEDaS14_S15_EUlS14_E_NS1_11comp_targetILNS1_3genE0ELNS1_11target_archE4294967295ELNS1_3gpuE0ELNS1_3repE0EEENS1_30default_config_static_selectorELNS0_4arch9wavefront6targetE1EEEvT1_,"axG",@progbits,_ZN7rocprim17ROCPRIM_400000_NS6detail17trampoline_kernelINS0_14default_configENS1_25partition_config_selectorILNS1_17partition_subalgoE0EjNS0_10empty_typeEbEEZZNS1_14partition_implILS5_0ELb0ES3_jN6thrust23THRUST_200600_302600_NS6detail15normal_iteratorINSA_10device_ptrIjEEEEPS6_SG_NS0_5tupleIJSF_NSA_16discard_iteratorINSA_11use_defaultEEEEEENSH_IJSG_SG_EEES6_PlJ7is_evenIjEEEE10hipError_tPvRmT3_T4_T5_T6_T7_T9_mT8_P12ihipStream_tbDpT10_ENKUlT_T0_E_clISt17integral_constantIbLb0EES18_IbLb1EEEEDaS14_S15_EUlS14_E_NS1_11comp_targetILNS1_3genE0ELNS1_11target_archE4294967295ELNS1_3gpuE0ELNS1_3repE0EEENS1_30default_config_static_selectorELNS0_4arch9wavefront6targetE1EEEvT1_,comdat
.Lfunc_end2451:
	.size	_ZN7rocprim17ROCPRIM_400000_NS6detail17trampoline_kernelINS0_14default_configENS1_25partition_config_selectorILNS1_17partition_subalgoE0EjNS0_10empty_typeEbEEZZNS1_14partition_implILS5_0ELb0ES3_jN6thrust23THRUST_200600_302600_NS6detail15normal_iteratorINSA_10device_ptrIjEEEEPS6_SG_NS0_5tupleIJSF_NSA_16discard_iteratorINSA_11use_defaultEEEEEENSH_IJSG_SG_EEES6_PlJ7is_evenIjEEEE10hipError_tPvRmT3_T4_T5_T6_T7_T9_mT8_P12ihipStream_tbDpT10_ENKUlT_T0_E_clISt17integral_constantIbLb0EES18_IbLb1EEEEDaS14_S15_EUlS14_E_NS1_11comp_targetILNS1_3genE0ELNS1_11target_archE4294967295ELNS1_3gpuE0ELNS1_3repE0EEENS1_30default_config_static_selectorELNS0_4arch9wavefront6targetE1EEEvT1_, .Lfunc_end2451-_ZN7rocprim17ROCPRIM_400000_NS6detail17trampoline_kernelINS0_14default_configENS1_25partition_config_selectorILNS1_17partition_subalgoE0EjNS0_10empty_typeEbEEZZNS1_14partition_implILS5_0ELb0ES3_jN6thrust23THRUST_200600_302600_NS6detail15normal_iteratorINSA_10device_ptrIjEEEEPS6_SG_NS0_5tupleIJSF_NSA_16discard_iteratorINSA_11use_defaultEEEEEENSH_IJSG_SG_EEES6_PlJ7is_evenIjEEEE10hipError_tPvRmT3_T4_T5_T6_T7_T9_mT8_P12ihipStream_tbDpT10_ENKUlT_T0_E_clISt17integral_constantIbLb0EES18_IbLb1EEEEDaS14_S15_EUlS14_E_NS1_11comp_targetILNS1_3genE0ELNS1_11target_archE4294967295ELNS1_3gpuE0ELNS1_3repE0EEENS1_30default_config_static_selectorELNS0_4arch9wavefront6targetE1EEEvT1_
                                        ; -- End function
	.section	.AMDGPU.csdata,"",@progbits
; Kernel info:
; codeLenInByte = 0
; NumSgprs: 4
; NumVgprs: 0
; NumAgprs: 0
; TotalNumVgprs: 0
; ScratchSize: 0
; MemoryBound: 0
; FloatMode: 240
; IeeeMode: 1
; LDSByteSize: 0 bytes/workgroup (compile time only)
; SGPRBlocks: 0
; VGPRBlocks: 0
; NumSGPRsForWavesPerEU: 4
; NumVGPRsForWavesPerEU: 1
; AccumOffset: 4
; Occupancy: 8
; WaveLimiterHint : 0
; COMPUTE_PGM_RSRC2:SCRATCH_EN: 0
; COMPUTE_PGM_RSRC2:USER_SGPR: 6
; COMPUTE_PGM_RSRC2:TRAP_HANDLER: 0
; COMPUTE_PGM_RSRC2:TGID_X_EN: 1
; COMPUTE_PGM_RSRC2:TGID_Y_EN: 0
; COMPUTE_PGM_RSRC2:TGID_Z_EN: 0
; COMPUTE_PGM_RSRC2:TIDIG_COMP_CNT: 0
; COMPUTE_PGM_RSRC3_GFX90A:ACCUM_OFFSET: 0
; COMPUTE_PGM_RSRC3_GFX90A:TG_SPLIT: 0
	.section	.text._ZN7rocprim17ROCPRIM_400000_NS6detail17trampoline_kernelINS0_14default_configENS1_25partition_config_selectorILNS1_17partition_subalgoE0EjNS0_10empty_typeEbEEZZNS1_14partition_implILS5_0ELb0ES3_jN6thrust23THRUST_200600_302600_NS6detail15normal_iteratorINSA_10device_ptrIjEEEEPS6_SG_NS0_5tupleIJSF_NSA_16discard_iteratorINSA_11use_defaultEEEEEENSH_IJSG_SG_EEES6_PlJ7is_evenIjEEEE10hipError_tPvRmT3_T4_T5_T6_T7_T9_mT8_P12ihipStream_tbDpT10_ENKUlT_T0_E_clISt17integral_constantIbLb0EES18_IbLb1EEEEDaS14_S15_EUlS14_E_NS1_11comp_targetILNS1_3genE5ELNS1_11target_archE942ELNS1_3gpuE9ELNS1_3repE0EEENS1_30default_config_static_selectorELNS0_4arch9wavefront6targetE1EEEvT1_,"axG",@progbits,_ZN7rocprim17ROCPRIM_400000_NS6detail17trampoline_kernelINS0_14default_configENS1_25partition_config_selectorILNS1_17partition_subalgoE0EjNS0_10empty_typeEbEEZZNS1_14partition_implILS5_0ELb0ES3_jN6thrust23THRUST_200600_302600_NS6detail15normal_iteratorINSA_10device_ptrIjEEEEPS6_SG_NS0_5tupleIJSF_NSA_16discard_iteratorINSA_11use_defaultEEEEEENSH_IJSG_SG_EEES6_PlJ7is_evenIjEEEE10hipError_tPvRmT3_T4_T5_T6_T7_T9_mT8_P12ihipStream_tbDpT10_ENKUlT_T0_E_clISt17integral_constantIbLb0EES18_IbLb1EEEEDaS14_S15_EUlS14_E_NS1_11comp_targetILNS1_3genE5ELNS1_11target_archE942ELNS1_3gpuE9ELNS1_3repE0EEENS1_30default_config_static_selectorELNS0_4arch9wavefront6targetE1EEEvT1_,comdat
	.protected	_ZN7rocprim17ROCPRIM_400000_NS6detail17trampoline_kernelINS0_14default_configENS1_25partition_config_selectorILNS1_17partition_subalgoE0EjNS0_10empty_typeEbEEZZNS1_14partition_implILS5_0ELb0ES3_jN6thrust23THRUST_200600_302600_NS6detail15normal_iteratorINSA_10device_ptrIjEEEEPS6_SG_NS0_5tupleIJSF_NSA_16discard_iteratorINSA_11use_defaultEEEEEENSH_IJSG_SG_EEES6_PlJ7is_evenIjEEEE10hipError_tPvRmT3_T4_T5_T6_T7_T9_mT8_P12ihipStream_tbDpT10_ENKUlT_T0_E_clISt17integral_constantIbLb0EES18_IbLb1EEEEDaS14_S15_EUlS14_E_NS1_11comp_targetILNS1_3genE5ELNS1_11target_archE942ELNS1_3gpuE9ELNS1_3repE0EEENS1_30default_config_static_selectorELNS0_4arch9wavefront6targetE1EEEvT1_ ; -- Begin function _ZN7rocprim17ROCPRIM_400000_NS6detail17trampoline_kernelINS0_14default_configENS1_25partition_config_selectorILNS1_17partition_subalgoE0EjNS0_10empty_typeEbEEZZNS1_14partition_implILS5_0ELb0ES3_jN6thrust23THRUST_200600_302600_NS6detail15normal_iteratorINSA_10device_ptrIjEEEEPS6_SG_NS0_5tupleIJSF_NSA_16discard_iteratorINSA_11use_defaultEEEEEENSH_IJSG_SG_EEES6_PlJ7is_evenIjEEEE10hipError_tPvRmT3_T4_T5_T6_T7_T9_mT8_P12ihipStream_tbDpT10_ENKUlT_T0_E_clISt17integral_constantIbLb0EES18_IbLb1EEEEDaS14_S15_EUlS14_E_NS1_11comp_targetILNS1_3genE5ELNS1_11target_archE942ELNS1_3gpuE9ELNS1_3repE0EEENS1_30default_config_static_selectorELNS0_4arch9wavefront6targetE1EEEvT1_
	.globl	_ZN7rocprim17ROCPRIM_400000_NS6detail17trampoline_kernelINS0_14default_configENS1_25partition_config_selectorILNS1_17partition_subalgoE0EjNS0_10empty_typeEbEEZZNS1_14partition_implILS5_0ELb0ES3_jN6thrust23THRUST_200600_302600_NS6detail15normal_iteratorINSA_10device_ptrIjEEEEPS6_SG_NS0_5tupleIJSF_NSA_16discard_iteratorINSA_11use_defaultEEEEEENSH_IJSG_SG_EEES6_PlJ7is_evenIjEEEE10hipError_tPvRmT3_T4_T5_T6_T7_T9_mT8_P12ihipStream_tbDpT10_ENKUlT_T0_E_clISt17integral_constantIbLb0EES18_IbLb1EEEEDaS14_S15_EUlS14_E_NS1_11comp_targetILNS1_3genE5ELNS1_11target_archE942ELNS1_3gpuE9ELNS1_3repE0EEENS1_30default_config_static_selectorELNS0_4arch9wavefront6targetE1EEEvT1_
	.p2align	8
	.type	_ZN7rocprim17ROCPRIM_400000_NS6detail17trampoline_kernelINS0_14default_configENS1_25partition_config_selectorILNS1_17partition_subalgoE0EjNS0_10empty_typeEbEEZZNS1_14partition_implILS5_0ELb0ES3_jN6thrust23THRUST_200600_302600_NS6detail15normal_iteratorINSA_10device_ptrIjEEEEPS6_SG_NS0_5tupleIJSF_NSA_16discard_iteratorINSA_11use_defaultEEEEEENSH_IJSG_SG_EEES6_PlJ7is_evenIjEEEE10hipError_tPvRmT3_T4_T5_T6_T7_T9_mT8_P12ihipStream_tbDpT10_ENKUlT_T0_E_clISt17integral_constantIbLb0EES18_IbLb1EEEEDaS14_S15_EUlS14_E_NS1_11comp_targetILNS1_3genE5ELNS1_11target_archE942ELNS1_3gpuE9ELNS1_3repE0EEENS1_30default_config_static_selectorELNS0_4arch9wavefront6targetE1EEEvT1_,@function
_ZN7rocprim17ROCPRIM_400000_NS6detail17trampoline_kernelINS0_14default_configENS1_25partition_config_selectorILNS1_17partition_subalgoE0EjNS0_10empty_typeEbEEZZNS1_14partition_implILS5_0ELb0ES3_jN6thrust23THRUST_200600_302600_NS6detail15normal_iteratorINSA_10device_ptrIjEEEEPS6_SG_NS0_5tupleIJSF_NSA_16discard_iteratorINSA_11use_defaultEEEEEENSH_IJSG_SG_EEES6_PlJ7is_evenIjEEEE10hipError_tPvRmT3_T4_T5_T6_T7_T9_mT8_P12ihipStream_tbDpT10_ENKUlT_T0_E_clISt17integral_constantIbLb0EES18_IbLb1EEEEDaS14_S15_EUlS14_E_NS1_11comp_targetILNS1_3genE5ELNS1_11target_archE942ELNS1_3gpuE9ELNS1_3repE0EEENS1_30default_config_static_selectorELNS0_4arch9wavefront6targetE1EEEvT1_: ; @_ZN7rocprim17ROCPRIM_400000_NS6detail17trampoline_kernelINS0_14default_configENS1_25partition_config_selectorILNS1_17partition_subalgoE0EjNS0_10empty_typeEbEEZZNS1_14partition_implILS5_0ELb0ES3_jN6thrust23THRUST_200600_302600_NS6detail15normal_iteratorINSA_10device_ptrIjEEEEPS6_SG_NS0_5tupleIJSF_NSA_16discard_iteratorINSA_11use_defaultEEEEEENSH_IJSG_SG_EEES6_PlJ7is_evenIjEEEE10hipError_tPvRmT3_T4_T5_T6_T7_T9_mT8_P12ihipStream_tbDpT10_ENKUlT_T0_E_clISt17integral_constantIbLb0EES18_IbLb1EEEEDaS14_S15_EUlS14_E_NS1_11comp_targetILNS1_3genE5ELNS1_11target_archE942ELNS1_3gpuE9ELNS1_3repE0EEENS1_30default_config_static_selectorELNS0_4arch9wavefront6targetE1EEEvT1_
; %bb.0:
	.section	.rodata,"a",@progbits
	.p2align	6, 0x0
	.amdhsa_kernel _ZN7rocprim17ROCPRIM_400000_NS6detail17trampoline_kernelINS0_14default_configENS1_25partition_config_selectorILNS1_17partition_subalgoE0EjNS0_10empty_typeEbEEZZNS1_14partition_implILS5_0ELb0ES3_jN6thrust23THRUST_200600_302600_NS6detail15normal_iteratorINSA_10device_ptrIjEEEEPS6_SG_NS0_5tupleIJSF_NSA_16discard_iteratorINSA_11use_defaultEEEEEENSH_IJSG_SG_EEES6_PlJ7is_evenIjEEEE10hipError_tPvRmT3_T4_T5_T6_T7_T9_mT8_P12ihipStream_tbDpT10_ENKUlT_T0_E_clISt17integral_constantIbLb0EES18_IbLb1EEEEDaS14_S15_EUlS14_E_NS1_11comp_targetILNS1_3genE5ELNS1_11target_archE942ELNS1_3gpuE9ELNS1_3repE0EEENS1_30default_config_static_selectorELNS0_4arch9wavefront6targetE1EEEvT1_
		.amdhsa_group_segment_fixed_size 0
		.amdhsa_private_segment_fixed_size 0
		.amdhsa_kernarg_size 144
		.amdhsa_user_sgpr_count 6
		.amdhsa_user_sgpr_private_segment_buffer 1
		.amdhsa_user_sgpr_dispatch_ptr 0
		.amdhsa_user_sgpr_queue_ptr 0
		.amdhsa_user_sgpr_kernarg_segment_ptr 1
		.amdhsa_user_sgpr_dispatch_id 0
		.amdhsa_user_sgpr_flat_scratch_init 0
		.amdhsa_user_sgpr_kernarg_preload_length 0
		.amdhsa_user_sgpr_kernarg_preload_offset 0
		.amdhsa_user_sgpr_private_segment_size 0
		.amdhsa_uses_dynamic_stack 0
		.amdhsa_system_sgpr_private_segment_wavefront_offset 0
		.amdhsa_system_sgpr_workgroup_id_x 1
		.amdhsa_system_sgpr_workgroup_id_y 0
		.amdhsa_system_sgpr_workgroup_id_z 0
		.amdhsa_system_sgpr_workgroup_info 0
		.amdhsa_system_vgpr_workitem_id 0
		.amdhsa_next_free_vgpr 1
		.amdhsa_next_free_sgpr 0
		.amdhsa_accum_offset 4
		.amdhsa_reserve_vcc 0
		.amdhsa_reserve_flat_scratch 0
		.amdhsa_float_round_mode_32 0
		.amdhsa_float_round_mode_16_64 0
		.amdhsa_float_denorm_mode_32 3
		.amdhsa_float_denorm_mode_16_64 3
		.amdhsa_dx10_clamp 1
		.amdhsa_ieee_mode 1
		.amdhsa_fp16_overflow 0
		.amdhsa_tg_split 0
		.amdhsa_exception_fp_ieee_invalid_op 0
		.amdhsa_exception_fp_denorm_src 0
		.amdhsa_exception_fp_ieee_div_zero 0
		.amdhsa_exception_fp_ieee_overflow 0
		.amdhsa_exception_fp_ieee_underflow 0
		.amdhsa_exception_fp_ieee_inexact 0
		.amdhsa_exception_int_div_zero 0
	.end_amdhsa_kernel
	.section	.text._ZN7rocprim17ROCPRIM_400000_NS6detail17trampoline_kernelINS0_14default_configENS1_25partition_config_selectorILNS1_17partition_subalgoE0EjNS0_10empty_typeEbEEZZNS1_14partition_implILS5_0ELb0ES3_jN6thrust23THRUST_200600_302600_NS6detail15normal_iteratorINSA_10device_ptrIjEEEEPS6_SG_NS0_5tupleIJSF_NSA_16discard_iteratorINSA_11use_defaultEEEEEENSH_IJSG_SG_EEES6_PlJ7is_evenIjEEEE10hipError_tPvRmT3_T4_T5_T6_T7_T9_mT8_P12ihipStream_tbDpT10_ENKUlT_T0_E_clISt17integral_constantIbLb0EES18_IbLb1EEEEDaS14_S15_EUlS14_E_NS1_11comp_targetILNS1_3genE5ELNS1_11target_archE942ELNS1_3gpuE9ELNS1_3repE0EEENS1_30default_config_static_selectorELNS0_4arch9wavefront6targetE1EEEvT1_,"axG",@progbits,_ZN7rocprim17ROCPRIM_400000_NS6detail17trampoline_kernelINS0_14default_configENS1_25partition_config_selectorILNS1_17partition_subalgoE0EjNS0_10empty_typeEbEEZZNS1_14partition_implILS5_0ELb0ES3_jN6thrust23THRUST_200600_302600_NS6detail15normal_iteratorINSA_10device_ptrIjEEEEPS6_SG_NS0_5tupleIJSF_NSA_16discard_iteratorINSA_11use_defaultEEEEEENSH_IJSG_SG_EEES6_PlJ7is_evenIjEEEE10hipError_tPvRmT3_T4_T5_T6_T7_T9_mT8_P12ihipStream_tbDpT10_ENKUlT_T0_E_clISt17integral_constantIbLb0EES18_IbLb1EEEEDaS14_S15_EUlS14_E_NS1_11comp_targetILNS1_3genE5ELNS1_11target_archE942ELNS1_3gpuE9ELNS1_3repE0EEENS1_30default_config_static_selectorELNS0_4arch9wavefront6targetE1EEEvT1_,comdat
.Lfunc_end2452:
	.size	_ZN7rocprim17ROCPRIM_400000_NS6detail17trampoline_kernelINS0_14default_configENS1_25partition_config_selectorILNS1_17partition_subalgoE0EjNS0_10empty_typeEbEEZZNS1_14partition_implILS5_0ELb0ES3_jN6thrust23THRUST_200600_302600_NS6detail15normal_iteratorINSA_10device_ptrIjEEEEPS6_SG_NS0_5tupleIJSF_NSA_16discard_iteratorINSA_11use_defaultEEEEEENSH_IJSG_SG_EEES6_PlJ7is_evenIjEEEE10hipError_tPvRmT3_T4_T5_T6_T7_T9_mT8_P12ihipStream_tbDpT10_ENKUlT_T0_E_clISt17integral_constantIbLb0EES18_IbLb1EEEEDaS14_S15_EUlS14_E_NS1_11comp_targetILNS1_3genE5ELNS1_11target_archE942ELNS1_3gpuE9ELNS1_3repE0EEENS1_30default_config_static_selectorELNS0_4arch9wavefront6targetE1EEEvT1_, .Lfunc_end2452-_ZN7rocprim17ROCPRIM_400000_NS6detail17trampoline_kernelINS0_14default_configENS1_25partition_config_selectorILNS1_17partition_subalgoE0EjNS0_10empty_typeEbEEZZNS1_14partition_implILS5_0ELb0ES3_jN6thrust23THRUST_200600_302600_NS6detail15normal_iteratorINSA_10device_ptrIjEEEEPS6_SG_NS0_5tupleIJSF_NSA_16discard_iteratorINSA_11use_defaultEEEEEENSH_IJSG_SG_EEES6_PlJ7is_evenIjEEEE10hipError_tPvRmT3_T4_T5_T6_T7_T9_mT8_P12ihipStream_tbDpT10_ENKUlT_T0_E_clISt17integral_constantIbLb0EES18_IbLb1EEEEDaS14_S15_EUlS14_E_NS1_11comp_targetILNS1_3genE5ELNS1_11target_archE942ELNS1_3gpuE9ELNS1_3repE0EEENS1_30default_config_static_selectorELNS0_4arch9wavefront6targetE1EEEvT1_
                                        ; -- End function
	.section	.AMDGPU.csdata,"",@progbits
; Kernel info:
; codeLenInByte = 0
; NumSgprs: 4
; NumVgprs: 0
; NumAgprs: 0
; TotalNumVgprs: 0
; ScratchSize: 0
; MemoryBound: 0
; FloatMode: 240
; IeeeMode: 1
; LDSByteSize: 0 bytes/workgroup (compile time only)
; SGPRBlocks: 0
; VGPRBlocks: 0
; NumSGPRsForWavesPerEU: 4
; NumVGPRsForWavesPerEU: 1
; AccumOffset: 4
; Occupancy: 8
; WaveLimiterHint : 0
; COMPUTE_PGM_RSRC2:SCRATCH_EN: 0
; COMPUTE_PGM_RSRC2:USER_SGPR: 6
; COMPUTE_PGM_RSRC2:TRAP_HANDLER: 0
; COMPUTE_PGM_RSRC2:TGID_X_EN: 1
; COMPUTE_PGM_RSRC2:TGID_Y_EN: 0
; COMPUTE_PGM_RSRC2:TGID_Z_EN: 0
; COMPUTE_PGM_RSRC2:TIDIG_COMP_CNT: 0
; COMPUTE_PGM_RSRC3_GFX90A:ACCUM_OFFSET: 0
; COMPUTE_PGM_RSRC3_GFX90A:TG_SPLIT: 0
	.section	.text._ZN7rocprim17ROCPRIM_400000_NS6detail17trampoline_kernelINS0_14default_configENS1_25partition_config_selectorILNS1_17partition_subalgoE0EjNS0_10empty_typeEbEEZZNS1_14partition_implILS5_0ELb0ES3_jN6thrust23THRUST_200600_302600_NS6detail15normal_iteratorINSA_10device_ptrIjEEEEPS6_SG_NS0_5tupleIJSF_NSA_16discard_iteratorINSA_11use_defaultEEEEEENSH_IJSG_SG_EEES6_PlJ7is_evenIjEEEE10hipError_tPvRmT3_T4_T5_T6_T7_T9_mT8_P12ihipStream_tbDpT10_ENKUlT_T0_E_clISt17integral_constantIbLb0EES18_IbLb1EEEEDaS14_S15_EUlS14_E_NS1_11comp_targetILNS1_3genE4ELNS1_11target_archE910ELNS1_3gpuE8ELNS1_3repE0EEENS1_30default_config_static_selectorELNS0_4arch9wavefront6targetE1EEEvT1_,"axG",@progbits,_ZN7rocprim17ROCPRIM_400000_NS6detail17trampoline_kernelINS0_14default_configENS1_25partition_config_selectorILNS1_17partition_subalgoE0EjNS0_10empty_typeEbEEZZNS1_14partition_implILS5_0ELb0ES3_jN6thrust23THRUST_200600_302600_NS6detail15normal_iteratorINSA_10device_ptrIjEEEEPS6_SG_NS0_5tupleIJSF_NSA_16discard_iteratorINSA_11use_defaultEEEEEENSH_IJSG_SG_EEES6_PlJ7is_evenIjEEEE10hipError_tPvRmT3_T4_T5_T6_T7_T9_mT8_P12ihipStream_tbDpT10_ENKUlT_T0_E_clISt17integral_constantIbLb0EES18_IbLb1EEEEDaS14_S15_EUlS14_E_NS1_11comp_targetILNS1_3genE4ELNS1_11target_archE910ELNS1_3gpuE8ELNS1_3repE0EEENS1_30default_config_static_selectorELNS0_4arch9wavefront6targetE1EEEvT1_,comdat
	.protected	_ZN7rocprim17ROCPRIM_400000_NS6detail17trampoline_kernelINS0_14default_configENS1_25partition_config_selectorILNS1_17partition_subalgoE0EjNS0_10empty_typeEbEEZZNS1_14partition_implILS5_0ELb0ES3_jN6thrust23THRUST_200600_302600_NS6detail15normal_iteratorINSA_10device_ptrIjEEEEPS6_SG_NS0_5tupleIJSF_NSA_16discard_iteratorINSA_11use_defaultEEEEEENSH_IJSG_SG_EEES6_PlJ7is_evenIjEEEE10hipError_tPvRmT3_T4_T5_T6_T7_T9_mT8_P12ihipStream_tbDpT10_ENKUlT_T0_E_clISt17integral_constantIbLb0EES18_IbLb1EEEEDaS14_S15_EUlS14_E_NS1_11comp_targetILNS1_3genE4ELNS1_11target_archE910ELNS1_3gpuE8ELNS1_3repE0EEENS1_30default_config_static_selectorELNS0_4arch9wavefront6targetE1EEEvT1_ ; -- Begin function _ZN7rocprim17ROCPRIM_400000_NS6detail17trampoline_kernelINS0_14default_configENS1_25partition_config_selectorILNS1_17partition_subalgoE0EjNS0_10empty_typeEbEEZZNS1_14partition_implILS5_0ELb0ES3_jN6thrust23THRUST_200600_302600_NS6detail15normal_iteratorINSA_10device_ptrIjEEEEPS6_SG_NS0_5tupleIJSF_NSA_16discard_iteratorINSA_11use_defaultEEEEEENSH_IJSG_SG_EEES6_PlJ7is_evenIjEEEE10hipError_tPvRmT3_T4_T5_T6_T7_T9_mT8_P12ihipStream_tbDpT10_ENKUlT_T0_E_clISt17integral_constantIbLb0EES18_IbLb1EEEEDaS14_S15_EUlS14_E_NS1_11comp_targetILNS1_3genE4ELNS1_11target_archE910ELNS1_3gpuE8ELNS1_3repE0EEENS1_30default_config_static_selectorELNS0_4arch9wavefront6targetE1EEEvT1_
	.globl	_ZN7rocprim17ROCPRIM_400000_NS6detail17trampoline_kernelINS0_14default_configENS1_25partition_config_selectorILNS1_17partition_subalgoE0EjNS0_10empty_typeEbEEZZNS1_14partition_implILS5_0ELb0ES3_jN6thrust23THRUST_200600_302600_NS6detail15normal_iteratorINSA_10device_ptrIjEEEEPS6_SG_NS0_5tupleIJSF_NSA_16discard_iteratorINSA_11use_defaultEEEEEENSH_IJSG_SG_EEES6_PlJ7is_evenIjEEEE10hipError_tPvRmT3_T4_T5_T6_T7_T9_mT8_P12ihipStream_tbDpT10_ENKUlT_T0_E_clISt17integral_constantIbLb0EES18_IbLb1EEEEDaS14_S15_EUlS14_E_NS1_11comp_targetILNS1_3genE4ELNS1_11target_archE910ELNS1_3gpuE8ELNS1_3repE0EEENS1_30default_config_static_selectorELNS0_4arch9wavefront6targetE1EEEvT1_
	.p2align	8
	.type	_ZN7rocprim17ROCPRIM_400000_NS6detail17trampoline_kernelINS0_14default_configENS1_25partition_config_selectorILNS1_17partition_subalgoE0EjNS0_10empty_typeEbEEZZNS1_14partition_implILS5_0ELb0ES3_jN6thrust23THRUST_200600_302600_NS6detail15normal_iteratorINSA_10device_ptrIjEEEEPS6_SG_NS0_5tupleIJSF_NSA_16discard_iteratorINSA_11use_defaultEEEEEENSH_IJSG_SG_EEES6_PlJ7is_evenIjEEEE10hipError_tPvRmT3_T4_T5_T6_T7_T9_mT8_P12ihipStream_tbDpT10_ENKUlT_T0_E_clISt17integral_constantIbLb0EES18_IbLb1EEEEDaS14_S15_EUlS14_E_NS1_11comp_targetILNS1_3genE4ELNS1_11target_archE910ELNS1_3gpuE8ELNS1_3repE0EEENS1_30default_config_static_selectorELNS0_4arch9wavefront6targetE1EEEvT1_,@function
_ZN7rocprim17ROCPRIM_400000_NS6detail17trampoline_kernelINS0_14default_configENS1_25partition_config_selectorILNS1_17partition_subalgoE0EjNS0_10empty_typeEbEEZZNS1_14partition_implILS5_0ELb0ES3_jN6thrust23THRUST_200600_302600_NS6detail15normal_iteratorINSA_10device_ptrIjEEEEPS6_SG_NS0_5tupleIJSF_NSA_16discard_iteratorINSA_11use_defaultEEEEEENSH_IJSG_SG_EEES6_PlJ7is_evenIjEEEE10hipError_tPvRmT3_T4_T5_T6_T7_T9_mT8_P12ihipStream_tbDpT10_ENKUlT_T0_E_clISt17integral_constantIbLb0EES18_IbLb1EEEEDaS14_S15_EUlS14_E_NS1_11comp_targetILNS1_3genE4ELNS1_11target_archE910ELNS1_3gpuE8ELNS1_3repE0EEENS1_30default_config_static_selectorELNS0_4arch9wavefront6targetE1EEEvT1_: ; @_ZN7rocprim17ROCPRIM_400000_NS6detail17trampoline_kernelINS0_14default_configENS1_25partition_config_selectorILNS1_17partition_subalgoE0EjNS0_10empty_typeEbEEZZNS1_14partition_implILS5_0ELb0ES3_jN6thrust23THRUST_200600_302600_NS6detail15normal_iteratorINSA_10device_ptrIjEEEEPS6_SG_NS0_5tupleIJSF_NSA_16discard_iteratorINSA_11use_defaultEEEEEENSH_IJSG_SG_EEES6_PlJ7is_evenIjEEEE10hipError_tPvRmT3_T4_T5_T6_T7_T9_mT8_P12ihipStream_tbDpT10_ENKUlT_T0_E_clISt17integral_constantIbLb0EES18_IbLb1EEEEDaS14_S15_EUlS14_E_NS1_11comp_targetILNS1_3genE4ELNS1_11target_archE910ELNS1_3gpuE8ELNS1_3repE0EEENS1_30default_config_static_selectorELNS0_4arch9wavefront6targetE1EEEvT1_
; %bb.0:
	s_load_dwordx2 s[24:25], s[4:5], 0x28
	s_load_dwordx4 s[20:23], s[4:5], 0x50
	s_load_dwordx2 s[2:3], s[4:5], 0x60
	s_load_dwordx2 s[26:27], s[4:5], 0x70
	v_cmp_eq_u32_e64 s[0:1], 0, v0
	s_and_saveexec_b64 s[6:7], s[0:1]
	s_cbranch_execz .LBB2453_4
; %bb.1:
	s_mov_b64 s[10:11], exec
	v_mbcnt_lo_u32_b32 v1, s10, 0
	v_mbcnt_hi_u32_b32 v1, s11, v1
	v_cmp_eq_u32_e32 vcc, 0, v1
                                        ; implicit-def: $vgpr2
	s_and_saveexec_b64 s[8:9], vcc
	s_cbranch_execz .LBB2453_3
; %bb.2:
	s_load_dwordx2 s[12:13], s[4:5], 0x80
	s_bcnt1_i32_b64 s10, s[10:11]
	v_mov_b32_e32 v2, 0
	v_mov_b32_e32 v3, s10
	s_waitcnt lgkmcnt(0)
	global_atomic_add v2, v2, v3, s[12:13] glc
.LBB2453_3:
	s_or_b64 exec, exec, s[8:9]
	s_waitcnt vmcnt(0)
	v_readfirstlane_b32 s8, v2
	v_add_u32_e32 v1, s8, v1
	v_mov_b32_e32 v2, 0
	ds_write_b32 v2, v1
.LBB2453_4:
	s_or_b64 exec, exec, s[6:7]
	v_mov_b32_e32 v3, 0
	s_load_dwordx4 s[8:11], s[4:5], 0x8
	s_load_dword s6, s[4:5], 0x78
	s_waitcnt lgkmcnt(0)
	s_barrier
	ds_read_b32 v1, v3
	s_waitcnt lgkmcnt(0)
	s_barrier
	global_load_dwordx2 v[12:13], v3, s[22:23]
	v_mov_b32_e32 v5, s3
	s_lshl_b64 s[4:5], s[10:11], 2
	s_movk_i32 s3, 0xa00
	s_add_u32 s7, s8, s4
	v_mul_lo_u32 v2, v1, s3
	s_mul_i32 s3, s6, 0xa00
	s_addc_u32 s8, s9, s5
	s_add_i32 s5, s3, s10
	s_add_i32 s4, s6, -1
	s_sub_i32 s33, s2, s5
	v_mov_b32_e32 v4, s2
	s_add_u32 s2, s10, s3
	v_readfirstlane_b32 s36, v1
	s_addc_u32 s3, s11, 0
	s_cmp_eq_u32 s36, s4
	s_cselect_b64 s[22:23], -1, 0
	s_cmp_lg_u32 s36, s4
	v_cmp_lt_u64_e32 vcc, s[2:3], v[4:5]
	s_cselect_b64 s[2:3], -1, 0
	v_lshlrev_b64 v[2:3], 2, v[2:3]
	s_or_b64 s[4:5], vcc, s[2:3]
	v_mov_b32_e32 v1, s8
	v_add_co_u32_e32 v14, vcc, s7, v2
	v_addc_co_u32_e32 v15, vcc, v1, v3, vcc
	s_mov_b64 s[2:3], -1
	s_and_b64 vcc, exec, s[4:5]
	v_lshlrev_b32_e32 v1, 2, v0
	s_cbranch_vccz .LBB2453_6
; %bb.5:
	v_add_co_u32_e32 v2, vcc, v14, v1
	v_addc_co_u32_e32 v3, vcc, 0, v15, vcc
	v_add_co_u32_e32 v4, vcc, 0x1000, v2
	v_addc_co_u32_e32 v5, vcc, 0, v3, vcc
	flat_load_dword v6, v[2:3]
	flat_load_dword v7, v[2:3] offset:1024
	flat_load_dword v8, v[2:3] offset:2048
	;; [unrolled: 1-line block ×3, first 2 shown]
	flat_load_dword v10, v[4:5]
	flat_load_dword v11, v[4:5] offset:1024
	flat_load_dword v16, v[4:5] offset:2048
	;; [unrolled: 1-line block ×3, first 2 shown]
	v_add_co_u32_e32 v2, vcc, 0x2000, v2
	v_addc_co_u32_e32 v3, vcc, 0, v3, vcc
	flat_load_dword v4, v[2:3]
	flat_load_dword v5, v[2:3] offset:1024
	s_mov_b64 s[2:3], 0
	s_waitcnt vmcnt(0) lgkmcnt(0)
	ds_write2st64_b32 v1, v6, v7 offset1:4
	ds_write2st64_b32 v1, v8, v9 offset0:8 offset1:12
	ds_write2st64_b32 v1, v10, v11 offset0:16 offset1:20
	;; [unrolled: 1-line block ×4, first 2 shown]
	s_waitcnt lgkmcnt(0)
	s_barrier
.LBB2453_6:
	s_andn2_b64 vcc, exec, s[2:3]
	s_addk_i32 s33, 0xa00
	s_cbranch_vccnz .LBB2453_28
; %bb.7:
	v_cmp_gt_u32_e32 vcc, s33, v0
                                        ; implicit-def: $vgpr2_vgpr3_vgpr4_vgpr5_vgpr6_vgpr7_vgpr8_vgpr9_vgpr10_vgpr11
	s_and_saveexec_b64 s[2:3], vcc
	s_cbranch_execz .LBB2453_9
; %bb.8:
	v_add_co_u32_e32 v2, vcc, v14, v1
	v_addc_co_u32_e32 v3, vcc, 0, v15, vcc
	flat_load_dword v2, v[2:3]
.LBB2453_9:
	s_or_b64 exec, exec, s[2:3]
	v_or_b32_e32 v16, 0x100, v0
	v_cmp_gt_u32_e32 vcc, s33, v16
	s_and_saveexec_b64 s[2:3], vcc
	s_cbranch_execz .LBB2453_11
; %bb.10:
	v_add_co_u32_e32 v16, vcc, v14, v1
	v_addc_co_u32_e32 v17, vcc, 0, v15, vcc
	flat_load_dword v3, v[16:17] offset:1024
.LBB2453_11:
	s_or_b64 exec, exec, s[2:3]
	v_or_b32_e32 v16, 0x200, v0
	v_cmp_gt_u32_e32 vcc, s33, v16
	s_and_saveexec_b64 s[2:3], vcc
	s_cbranch_execz .LBB2453_13
; %bb.12:
	v_add_co_u32_e32 v16, vcc, v14, v1
	v_addc_co_u32_e32 v17, vcc, 0, v15, vcc
	flat_load_dword v4, v[16:17] offset:2048
.LBB2453_13:
	;; [unrolled: 10-line block ×3, first 2 shown]
	s_or_b64 exec, exec, s[2:3]
	v_or_b32_e32 v16, 0x400, v0
	v_cmp_gt_u32_e32 vcc, s33, v16
	s_and_saveexec_b64 s[2:3], vcc
	s_cbranch_execz .LBB2453_17
; %bb.16:
	v_lshlrev_b32_e32 v6, 2, v16
	v_add_co_u32_e32 v16, vcc, v14, v6
	v_addc_co_u32_e32 v17, vcc, 0, v15, vcc
	flat_load_dword v6, v[16:17]
.LBB2453_17:
	s_or_b64 exec, exec, s[2:3]
	v_or_b32_e32 v16, 0x500, v0
	v_cmp_gt_u32_e32 vcc, s33, v16
	s_and_saveexec_b64 s[2:3], vcc
	s_cbranch_execz .LBB2453_19
; %bb.18:
	v_lshlrev_b32_e32 v7, 2, v16
	v_add_co_u32_e32 v16, vcc, v14, v7
	v_addc_co_u32_e32 v17, vcc, 0, v15, vcc
	flat_load_dword v7, v[16:17]
.LBB2453_19:
	;; [unrolled: 11-line block ×6, first 2 shown]
	s_or_b64 exec, exec, s[2:3]
	s_waitcnt vmcnt(0) lgkmcnt(0)
	ds_write2st64_b32 v1, v2, v3 offset1:4
	ds_write2st64_b32 v1, v4, v5 offset0:8 offset1:12
	ds_write2st64_b32 v1, v6, v7 offset0:16 offset1:20
	;; [unrolled: 1-line block ×4, first 2 shown]
	s_waitcnt lgkmcnt(0)
	s_barrier
.LBB2453_28:
	v_mul_u32_u24_e32 v25, 10, v0
	v_lshlrev_b32_e32 v31, 2, v25
	ds_read2_b64 v[6:9], v31 offset1:1
	ds_read2_b64 v[2:5], v31 offset0:2 offset1:3
	ds_read_b64 v[10:11], v31 offset:32
	v_cndmask_b32_e64 v14, 0, 1, s[4:5]
	v_cmp_ne_u32_e64 s[2:3], 1, v14
	s_andn2_b64 vcc, exec, s[4:5]
	s_waitcnt lgkmcnt(2)
	v_xor_b32_e32 v23, -1, v6
	v_xor_b32_e32 v22, -1, v7
	;; [unrolled: 1-line block ×4, first 2 shown]
	s_waitcnt lgkmcnt(1)
	v_xor_b32_e32 v19, -1, v2
	v_xor_b32_e32 v18, -1, v3
	;; [unrolled: 1-line block ×4, first 2 shown]
	s_waitcnt lgkmcnt(0)
	v_xor_b32_e32 v15, -1, v10
	v_xor_b32_e32 v14, -1, v11
	s_barrier
	s_cbranch_vccnz .LBB2453_30
; %bb.29:
	v_mov_b32_e32 v24, 1
	v_and_b32_e32 v27, 1, v23
	v_and_b32_sdwa v28, v22, v24 dst_sel:BYTE_1 dst_unused:UNUSED_PAD src0_sel:DWORD src1_sel:DWORD
	v_and_b32_e32 v29, 1, v21
	v_and_b32_sdwa v30, v20, v24 dst_sel:BYTE_1 dst_unused:UNUSED_PAD src0_sel:DWORD src1_sel:DWORD
	;; [unrolled: 2-line block ×4, first 2 shown]
	v_or_b32_e32 v27, v27, v28
	v_or_b32_sdwa v28, v29, v30 dst_sel:WORD_1 dst_unused:UNUSED_PAD src0_sel:DWORD src1_sel:DWORD
	v_or_b32_sdwa v28, v27, v28 dst_sel:DWORD dst_unused:UNUSED_PAD src0_sel:WORD_0 src1_sel:DWORD
	v_or_b32_e32 v27, v32, v33
	v_or_b32_sdwa v29, v34, v35 dst_sel:WORD_1 dst_unused:UNUSED_PAD src0_sel:DWORD src1_sel:DWORD
	v_and_b32_e32 v26, 1, v15
	v_and_b32_e32 v24, 1, v14
	v_or_b32_sdwa v27, v27, v29 dst_sel:DWORD dst_unused:UNUSED_PAD src0_sel:WORD_0 src1_sel:DWORD
	s_cbranch_execz .LBB2453_31
	s_branch .LBB2453_32
.LBB2453_30:
                                        ; implicit-def: $vgpr24
                                        ; implicit-def: $vgpr26
                                        ; implicit-def: $vgpr27
                                        ; implicit-def: $vgpr28
.LBB2453_31:
	v_or_b32_e32 v34, 1, v25
	v_cmp_gt_u32_e32 vcc, s33, v25
	v_add_u32_e32 v24, 2, v25
	v_cndmask_b32_e64 v35, 0, 1, vcc
	v_cmp_gt_u32_e32 vcc, s33, v34
	v_add_u32_e32 v33, 3, v25
	v_cndmask_b32_e64 v34, 0, 1, vcc
	;; [unrolled: 3-line block ×3, first 2 shown]
	v_cmp_gt_u32_e32 vcc, s33, v33
	v_add_u32_e32 v32, 5, v25
	v_and_b32_e32 v21, v24, v21
	v_cndmask_b32_e64 v24, 0, 1, vcc
	v_cmp_gt_u32_e32 vcc, s33, v26
	v_add_u32_e32 v27, 6, v25
	v_and_b32_sdwa v20, v24, v20 dst_sel:BYTE_1 dst_unused:UNUSED_PAD src0_sel:DWORD src1_sel:DWORD
	v_cndmask_b32_e64 v24, 0, 1, vcc
	v_cmp_gt_u32_e32 vcc, s33, v32
	v_add_u32_e32 v30, 7, v25
	v_and_b32_e32 v19, v24, v19
	v_cndmask_b32_e64 v24, 0, 1, vcc
	v_cmp_gt_u32_e32 vcc, s33, v27
	v_add_u32_e32 v28, 8, v25
	v_and_b32_sdwa v18, v24, v18 dst_sel:BYTE_1 dst_unused:UNUSED_PAD src0_sel:DWORD src1_sel:DWORD
	v_cndmask_b32_e64 v24, 0, 1, vcc
	v_cmp_gt_u32_e32 vcc, s33, v30
	v_add_u32_e32 v29, 9, v25
	v_and_b32_e32 v17, v24, v17
	v_cndmask_b32_e64 v24, 0, 1, vcc
	v_cmp_gt_u32_e32 vcc, s33, v28
	v_and_b32_sdwa v16, v24, v16 dst_sel:BYTE_1 dst_unused:UNUSED_PAD src0_sel:DWORD src1_sel:DWORD
	v_cndmask_b32_e64 v24, 0, 1, vcc
	v_cmp_gt_u32_e32 vcc, s33, v29
	v_and_b32_e32 v23, v35, v23
	v_and_b32_sdwa v22, v34, v22 dst_sel:BYTE_1 dst_unused:UNUSED_PAD src0_sel:DWORD src1_sel:DWORD
	v_and_b32_e32 v26, v24, v15
	v_cndmask_b32_e64 v15, 0, 1, vcc
	v_and_b32_e32 v24, v15, v14
	v_or_b32_e32 v14, v23, v22
	v_or_b32_sdwa v15, v21, v20 dst_sel:WORD_1 dst_unused:UNUSED_PAD src0_sel:DWORD src1_sel:DWORD
	v_or_b32_sdwa v28, v14, v15 dst_sel:DWORD dst_unused:UNUSED_PAD src0_sel:WORD_0 src1_sel:DWORD
	v_or_b32_e32 v14, v19, v18
	v_or_b32_sdwa v15, v17, v16 dst_sel:WORD_1 dst_unused:UNUSED_PAD src0_sel:DWORD src1_sel:DWORD
	v_or_b32_sdwa v27, v14, v15 dst_sel:DWORD dst_unused:UNUSED_PAD src0_sel:WORD_0 src1_sel:DWORD
.LBB2453_32:
	v_bfe_u32 v32, v28, 16, 8
	v_lshrrev_b32_e32 v30, 24, v28
	v_add_u32_sdwa v15, v28, v28 dst_sel:DWORD dst_unused:UNUSED_PAD src0_sel:BYTE_1 src1_sel:BYTE_0
	v_and_b32_e32 v33, 0xff, v27
	v_bfe_u32 v34, v27, 8, 8
	v_add3_u32 v15, v15, v32, v30
	v_bfe_u32 v35, v27, 16, 8
	v_lshrrev_b32_e32 v29, 24, v27
	v_add3_u32 v15, v15, v33, v34
	v_and_b32_e32 v36, 0xff, v26
	v_and_b32_e32 v14, 0xff, v24
	v_add3_u32 v15, v15, v35, v29
	v_add3_u32 v39, v15, v36, v14
	v_mbcnt_lo_u32_b32 v14, -1, 0
	v_mbcnt_hi_u32_b32 v37, -1, v14
	v_and_b32_e32 v14, 15, v37
	v_cmp_eq_u32_e64 s[16:17], 0, v14
	v_cmp_lt_u32_e64 s[14:15], 1, v14
	v_cmp_lt_u32_e64 s[12:13], 3, v14
	;; [unrolled: 1-line block ×3, first 2 shown]
	v_and_b32_e32 v14, 16, v37
	v_cmp_eq_u32_e64 s[8:9], 0, v14
	v_or_b32_e32 v14, 63, v0
	s_cmp_lg_u32 s36, 0
	v_cmp_lt_u32_e64 s[4:5], 31, v37
	v_lshrrev_b32_e32 v38, 6, v0
	v_cmp_eq_u32_e64 s[6:7], v14, v0
	s_cbranch_scc0 .LBB2453_59
; %bb.33:
	v_mov_b32_dpp v14, v39 row_shr:1 row_mask:0xf bank_mask:0xf
	v_cndmask_b32_e64 v14, v14, 0, s[16:17]
	v_add_u32_e32 v14, v14, v39
	s_nop 1
	v_mov_b32_dpp v15, v14 row_shr:2 row_mask:0xf bank_mask:0xf
	v_cndmask_b32_e64 v15, 0, v15, s[14:15]
	v_add_u32_e32 v14, v14, v15
	s_nop 1
	v_mov_b32_dpp v15, v14 row_shr:4 row_mask:0xf bank_mask:0xf
	v_cndmask_b32_e64 v15, 0, v15, s[12:13]
	v_add_u32_e32 v14, v14, v15
	s_nop 1
	v_mov_b32_dpp v15, v14 row_shr:8 row_mask:0xf bank_mask:0xf
	v_cndmask_b32_e64 v15, 0, v15, s[10:11]
	v_add_u32_e32 v14, v14, v15
	s_nop 1
	v_mov_b32_dpp v15, v14 row_bcast:15 row_mask:0xf bank_mask:0xf
	v_cndmask_b32_e64 v15, v15, 0, s[8:9]
	v_add_u32_e32 v14, v14, v15
	s_nop 1
	v_mov_b32_dpp v15, v14 row_bcast:31 row_mask:0xf bank_mask:0xf
	v_cndmask_b32_e64 v15, 0, v15, s[4:5]
	v_add_u32_e32 v14, v14, v15
	s_and_saveexec_b64 s[18:19], s[6:7]
	s_cbranch_execz .LBB2453_35
; %bb.34:
	v_lshlrev_b32_e32 v15, 2, v38
	ds_write_b32 v15, v14
.LBB2453_35:
	s_or_b64 exec, exec, s[18:19]
	v_cmp_gt_u32_e32 vcc, 4, v0
	s_waitcnt lgkmcnt(0)
	s_barrier
	s_and_saveexec_b64 s[18:19], vcc
	s_cbranch_execz .LBB2453_37
; %bb.36:
	ds_read_b32 v15, v1
	v_and_b32_e32 v16, 3, v37
	v_cmp_ne_u32_e32 vcc, 0, v16
	s_waitcnt lgkmcnt(0)
	v_mov_b32_dpp v17, v15 row_shr:1 row_mask:0xf bank_mask:0xf
	v_cndmask_b32_e32 v17, 0, v17, vcc
	v_add_u32_e32 v15, v17, v15
	v_cmp_lt_u32_e32 vcc, 1, v16
	s_nop 0
	v_mov_b32_dpp v17, v15 row_shr:2 row_mask:0xf bank_mask:0xf
	v_cndmask_b32_e32 v16, 0, v17, vcc
	v_add_u32_e32 v15, v15, v16
	ds_write_b32 v1, v15
.LBB2453_37:
	s_or_b64 exec, exec, s[18:19]
	v_cmp_gt_u32_e32 vcc, 64, v0
	v_cmp_lt_u32_e64 s[18:19], 63, v0
	s_waitcnt lgkmcnt(0)
	s_barrier
	s_waitcnt lgkmcnt(0)
                                        ; implicit-def: $vgpr40
	s_and_saveexec_b64 s[28:29], s[18:19]
	s_cbranch_execz .LBB2453_39
; %bb.38:
	v_lshl_add_u32 v15, v38, 2, -4
	ds_read_b32 v40, v15
	s_waitcnt lgkmcnt(0)
	v_add_u32_e32 v14, v40, v14
.LBB2453_39:
	s_or_b64 exec, exec, s[28:29]
	v_add_u32_e32 v15, -1, v37
	v_and_b32_e32 v16, 64, v37
	v_cmp_lt_i32_e64 s[18:19], v15, v16
	v_cndmask_b32_e64 v15, v15, v37, s[18:19]
	v_lshlrev_b32_e32 v15, 2, v15
	ds_bpermute_b32 v41, v15, v14
	v_cmp_eq_u32_e64 s[18:19], 0, v37
	s_and_saveexec_b64 s[28:29], vcc
	s_cbranch_execz .LBB2453_58
; %bb.40:
	v_mov_b32_e32 v21, 0
	ds_read_b32 v14, v21 offset:12
	s_and_saveexec_b64 s[30:31], s[18:19]
	s_cbranch_execz .LBB2453_42
; %bb.41:
	s_add_i32 s34, s36, 64
	s_mov_b32 s35, 0
	s_lshl_b64 s[34:35], s[34:35], 3
	s_add_u32 s34, s26, s34
	v_mov_b32_e32 v15, 1
	s_addc_u32 s35, s27, s35
	s_waitcnt lgkmcnt(0)
	global_store_dwordx2 v21, v[14:15], s[34:35]
.LBB2453_42:
	s_or_b64 exec, exec, s[30:31]
	v_xad_u32 v16, v37, -1, s36
	v_add_u32_e32 v20, 64, v16
	v_lshlrev_b64 v[18:19], 3, v[20:21]
	v_mov_b32_e32 v15, s27
	v_add_co_u32_e32 v22, vcc, s26, v18
	v_addc_co_u32_e32 v23, vcc, v15, v19, vcc
	global_load_dwordx2 v[18:19], v[22:23], off glc
	s_waitcnt vmcnt(0)
	v_cmp_eq_u16_sdwa s[34:35], v19, v21 src0_sel:BYTE_0 src1_sel:DWORD
	s_and_saveexec_b64 s[30:31], s[34:35]
	s_cbranch_execz .LBB2453_46
; %bb.43:
	s_mov_b64 s[34:35], 0
	v_mov_b32_e32 v15, 0
.LBB2453_44:                            ; =>This Inner Loop Header: Depth=1
	global_load_dwordx2 v[18:19], v[22:23], off glc
	s_waitcnt vmcnt(0)
	v_cmp_ne_u16_sdwa s[38:39], v19, v15 src0_sel:BYTE_0 src1_sel:DWORD
	s_or_b64 s[34:35], s[38:39], s[34:35]
	s_andn2_b64 exec, exec, s[34:35]
	s_cbranch_execnz .LBB2453_44
; %bb.45:
	s_or_b64 exec, exec, s[34:35]
.LBB2453_46:
	s_or_b64 exec, exec, s[30:31]
	v_and_b32_e32 v43, 63, v37
	v_mov_b32_e32 v42, 2
	v_cmp_ne_u32_e32 vcc, 63, v43
	v_cmp_eq_u16_sdwa s[30:31], v19, v42 src0_sel:BYTE_0 src1_sel:DWORD
	v_lshlrev_b64 v[20:21], v37, -1
	v_addc_co_u32_e32 v22, vcc, 0, v37, vcc
	v_and_b32_e32 v15, s31, v21
	v_lshlrev_b32_e32 v44, 2, v22
	v_or_b32_e32 v15, 0x80000000, v15
	ds_bpermute_b32 v22, v44, v18
	v_and_b32_e32 v17, s30, v20
	v_ffbl_b32_e32 v15, v15
	v_add_u32_e32 v15, 32, v15
	v_ffbl_b32_e32 v17, v17
	v_min_u32_e32 v15, v17, v15
	v_cmp_lt_u32_e32 vcc, v43, v15
	s_waitcnt lgkmcnt(0)
	v_cndmask_b32_e32 v17, 0, v22, vcc
	v_cmp_gt_u32_e32 vcc, 62, v43
	v_add_u32_e32 v17, v17, v18
	v_cndmask_b32_e64 v18, 0, 1, vcc
	v_lshlrev_b32_e32 v18, 1, v18
	v_add_lshl_u32 v45, v18, v37, 2
	ds_bpermute_b32 v18, v45, v17
	v_add_u32_e32 v46, 2, v43
	v_cmp_le_u32_e32 vcc, v46, v15
	v_add_u32_e32 v48, 4, v43
	v_add_u32_e32 v50, 8, v43
	s_waitcnt lgkmcnt(0)
	v_cndmask_b32_e32 v18, 0, v18, vcc
	v_cmp_gt_u32_e32 vcc, 60, v43
	v_add_u32_e32 v17, v17, v18
	v_cndmask_b32_e64 v18, 0, 1, vcc
	v_lshlrev_b32_e32 v18, 2, v18
	v_add_lshl_u32 v47, v18, v37, 2
	ds_bpermute_b32 v18, v47, v17
	v_cmp_le_u32_e32 vcc, v48, v15
	v_add_u32_e32 v52, 16, v43
	v_add_u32_e32 v54, 32, v43
	s_waitcnt lgkmcnt(0)
	v_cndmask_b32_e32 v18, 0, v18, vcc
	v_cmp_gt_u32_e32 vcc, 56, v43
	v_add_u32_e32 v17, v17, v18
	v_cndmask_b32_e64 v18, 0, 1, vcc
	v_lshlrev_b32_e32 v18, 3, v18
	v_add_lshl_u32 v49, v18, v37, 2
	ds_bpermute_b32 v18, v49, v17
	v_cmp_le_u32_e32 vcc, v50, v15
	s_waitcnt lgkmcnt(0)
	v_cndmask_b32_e32 v18, 0, v18, vcc
	v_cmp_gt_u32_e32 vcc, 48, v43
	v_add_u32_e32 v17, v17, v18
	v_cndmask_b32_e64 v18, 0, 1, vcc
	v_lshlrev_b32_e32 v18, 4, v18
	v_add_lshl_u32 v51, v18, v37, 2
	ds_bpermute_b32 v18, v51, v17
	v_cmp_le_u32_e32 vcc, v52, v15
	;; [unrolled: 9-line block ×3, first 2 shown]
	s_waitcnt lgkmcnt(0)
	v_cndmask_b32_e32 v15, 0, v18, vcc
	v_add_u32_e32 v18, v17, v15
	v_mov_b32_e32 v17, 0
	s_branch .LBB2453_48
.LBB2453_47:                            ;   in Loop: Header=BB2453_48 Depth=1
	s_or_b64 exec, exec, s[30:31]
	v_cmp_eq_u16_sdwa s[30:31], v19, v42 src0_sel:BYTE_0 src1_sel:DWORD
	v_and_b32_e32 v22, s31, v21
	v_or_b32_e32 v22, 0x80000000, v22
	ds_bpermute_b32 v55, v44, v18
	v_and_b32_e32 v23, s30, v20
	v_ffbl_b32_e32 v22, v22
	v_add_u32_e32 v22, 32, v22
	v_ffbl_b32_e32 v23, v23
	v_min_u32_e32 v22, v23, v22
	v_cmp_lt_u32_e32 vcc, v43, v22
	s_waitcnt lgkmcnt(0)
	v_cndmask_b32_e32 v23, 0, v55, vcc
	v_add_u32_e32 v18, v23, v18
	ds_bpermute_b32 v23, v45, v18
	v_cmp_le_u32_e32 vcc, v46, v22
	v_subrev_u32_e32 v16, 64, v16
	s_waitcnt lgkmcnt(0)
	v_cndmask_b32_e32 v23, 0, v23, vcc
	v_add_u32_e32 v18, v18, v23
	ds_bpermute_b32 v23, v47, v18
	v_cmp_le_u32_e32 vcc, v48, v22
	s_waitcnt lgkmcnt(0)
	v_cndmask_b32_e32 v23, 0, v23, vcc
	v_add_u32_e32 v18, v18, v23
	ds_bpermute_b32 v23, v49, v18
	v_cmp_le_u32_e32 vcc, v50, v22
	;; [unrolled: 5-line block ×4, first 2 shown]
	s_waitcnt lgkmcnt(0)
	v_cndmask_b32_e32 v22, 0, v23, vcc
	v_add3_u32 v18, v22, v15, v18
.LBB2453_48:                            ; =>This Loop Header: Depth=1
                                        ;     Child Loop BB2453_51 Depth 2
	v_cmp_ne_u16_sdwa s[30:31], v19, v42 src0_sel:BYTE_0 src1_sel:DWORD
	v_cndmask_b32_e64 v15, 0, 1, s[30:31]
	;;#ASMSTART
	;;#ASMEND
	v_cmp_ne_u32_e32 vcc, 0, v15
	s_cmp_lg_u64 vcc, exec
	v_mov_b32_e32 v15, v18
	s_cbranch_scc1 .LBB2453_53
; %bb.49:                               ;   in Loop: Header=BB2453_48 Depth=1
	v_lshlrev_b64 v[18:19], 3, v[16:17]
	v_mov_b32_e32 v23, s27
	v_add_co_u32_e32 v22, vcc, s26, v18
	v_addc_co_u32_e32 v23, vcc, v23, v19, vcc
	global_load_dwordx2 v[18:19], v[22:23], off glc
	s_waitcnt vmcnt(0)
	v_cmp_eq_u16_sdwa s[34:35], v19, v17 src0_sel:BYTE_0 src1_sel:DWORD
	s_and_saveexec_b64 s[30:31], s[34:35]
	s_cbranch_execz .LBB2453_47
; %bb.50:                               ;   in Loop: Header=BB2453_48 Depth=1
	s_mov_b64 s[34:35], 0
.LBB2453_51:                            ;   Parent Loop BB2453_48 Depth=1
                                        ; =>  This Inner Loop Header: Depth=2
	global_load_dwordx2 v[18:19], v[22:23], off glc
	s_waitcnt vmcnt(0)
	v_cmp_ne_u16_sdwa s[38:39], v19, v17 src0_sel:BYTE_0 src1_sel:DWORD
	s_or_b64 s[34:35], s[38:39], s[34:35]
	s_andn2_b64 exec, exec, s[34:35]
	s_cbranch_execnz .LBB2453_51
; %bb.52:                               ;   in Loop: Header=BB2453_48 Depth=1
	s_or_b64 exec, exec, s[34:35]
	s_branch .LBB2453_47
.LBB2453_53:                            ;   in Loop: Header=BB2453_48 Depth=1
                                        ; implicit-def: $vgpr18
                                        ; implicit-def: $vgpr19
	s_cbranch_execz .LBB2453_48
; %bb.54:
	s_and_saveexec_b64 s[30:31], s[18:19]
	s_cbranch_execz .LBB2453_56
; %bb.55:
	s_add_i32 s34, s36, 64
	s_mov_b32 s35, 0
	s_lshl_b64 s[34:35], s[34:35], 3
	s_add_u32 s34, s26, s34
	v_add_u32_e32 v16, v15, v14
	v_mov_b32_e32 v17, 2
	s_addc_u32 s35, s27, s35
	v_mov_b32_e32 v18, 0
	global_store_dwordx2 v18, v[16:17], s[34:35]
	ds_write_b64 v18, v[14:15] offset:10240
.LBB2453_56:
	s_or_b64 exec, exec, s[30:31]
	s_and_b64 exec, exec, s[0:1]
	s_cbranch_execz .LBB2453_58
; %bb.57:
	v_mov_b32_e32 v14, 0
	ds_write_b32 v14, v15 offset:12
.LBB2453_58:
	s_or_b64 exec, exec, s[28:29]
	v_mov_b32_e32 v14, 0
	s_waitcnt lgkmcnt(0)
	s_barrier
	ds_read_b32 v15, v14 offset:12
	v_cndmask_b32_e64 v16, v41, v40, s[18:19]
	v_cndmask_b32_e64 v16, v16, 0, s[0:1]
	s_waitcnt lgkmcnt(0)
	s_barrier
	v_add_u32_e32 v42, v15, v16
	v_add_u32_sdwa v41, v42, v28 dst_sel:DWORD dst_unused:UNUSED_PAD src0_sel:DWORD src1_sel:BYTE_0
	v_add_u32_sdwa v40, v41, v28 dst_sel:DWORD dst_unused:UNUSED_PAD src0_sel:DWORD src1_sel:BYTE_1
	v_add_u32_e32 v23, v40, v32
	v_add_u32_e32 v22, v23, v30
	ds_read_b64 v[14:15], v14 offset:10240
	v_add_u32_e32 v21, v22, v33
	v_add_u32_e32 v20, v21, v34
	;; [unrolled: 1-line block ×5, first 2 shown]
	s_waitcnt lgkmcnt(0)
	v_mov_b32_e32 v16, v15
	s_branch .LBB2453_69
.LBB2453_59:
                                        ; implicit-def: $vgpr16
                                        ; implicit-def: $vgpr14
                                        ; implicit-def: $vgpr17
                                        ; implicit-def: $vgpr18
                                        ; implicit-def: $vgpr19
                                        ; implicit-def: $vgpr20
                                        ; implicit-def: $vgpr21
                                        ; implicit-def: $vgpr22
                                        ; implicit-def: $vgpr23
                                        ; implicit-def: $vgpr40
                                        ; implicit-def: $vgpr41
                                        ; implicit-def: $vgpr42
	s_cbranch_execz .LBB2453_69
; %bb.60:
	s_nop 0
	v_mov_b32_dpp v14, v39 row_shr:1 row_mask:0xf bank_mask:0xf
	v_cndmask_b32_e64 v14, v14, 0, s[16:17]
	v_add_u32_e32 v14, v14, v39
	s_nop 1
	v_mov_b32_dpp v15, v14 row_shr:2 row_mask:0xf bank_mask:0xf
	v_cndmask_b32_e64 v15, 0, v15, s[14:15]
	v_add_u32_e32 v14, v14, v15
	;; [unrolled: 4-line block ×4, first 2 shown]
	s_nop 1
	v_mov_b32_dpp v15, v14 row_bcast:15 row_mask:0xf bank_mask:0xf
	v_cndmask_b32_e64 v15, v15, 0, s[8:9]
	v_add_u32_e32 v14, v14, v15
	s_nop 1
	v_mov_b32_dpp v15, v14 row_bcast:31 row_mask:0xf bank_mask:0xf
	v_cndmask_b32_e64 v15, 0, v15, s[4:5]
	v_add_u32_e32 v14, v14, v15
	s_and_saveexec_b64 s[4:5], s[6:7]
	s_cbranch_execz .LBB2453_62
; %bb.61:
	v_lshlrev_b32_e32 v15, 2, v38
	ds_write_b32 v15, v14
.LBB2453_62:
	s_or_b64 exec, exec, s[4:5]
	v_cmp_gt_u32_e32 vcc, 4, v0
	s_waitcnt lgkmcnt(0)
	s_barrier
	s_and_saveexec_b64 s[4:5], vcc
	s_cbranch_execz .LBB2453_64
; %bb.63:
	s_movk_i32 s6, 0xffdc
	v_mad_i32_i24 v15, v0, s6, v31
	ds_read_b32 v16, v15
	v_and_b32_e32 v17, 3, v37
	v_cmp_ne_u32_e32 vcc, 0, v17
	s_waitcnt lgkmcnt(0)
	v_mov_b32_dpp v18, v16 row_shr:1 row_mask:0xf bank_mask:0xf
	v_cndmask_b32_e32 v18, 0, v18, vcc
	v_add_u32_e32 v16, v18, v16
	v_cmp_lt_u32_e32 vcc, 1, v17
	s_nop 0
	v_mov_b32_dpp v18, v16 row_shr:2 row_mask:0xf bank_mask:0xf
	v_cndmask_b32_e32 v17, 0, v18, vcc
	v_add_u32_e32 v16, v16, v17
	ds_write_b32 v15, v16
.LBB2453_64:
	s_or_b64 exec, exec, s[4:5]
	v_cmp_lt_u32_e32 vcc, 63, v0
	v_mov_b32_e32 v15, 0
	v_mov_b32_e32 v16, 0
	s_waitcnt lgkmcnt(0)
	s_barrier
	s_and_saveexec_b64 s[4:5], vcc
	s_cbranch_execz .LBB2453_66
; %bb.65:
	v_lshl_add_u32 v16, v38, 2, -4
	ds_read_b32 v16, v16
.LBB2453_66:
	s_or_b64 exec, exec, s[4:5]
	v_add_u32_e32 v17, -1, v37
	v_and_b32_e32 v18, 64, v37
	v_cmp_lt_i32_e32 vcc, v17, v18
	v_cndmask_b32_e32 v17, v17, v37, vcc
	s_waitcnt lgkmcnt(0)
	v_add_u32_e32 v14, v16, v14
	v_lshlrev_b32_e32 v17, 2, v17
	ds_bpermute_b32 v17, v17, v14
	ds_read_b32 v14, v15 offset:12
	s_and_saveexec_b64 s[4:5], s[0:1]
	s_cbranch_execz .LBB2453_68
; %bb.67:
	v_mov_b32_e32 v18, 0
	v_mov_b32_e32 v15, 2
	s_waitcnt lgkmcnt(0)
	global_store_dwordx2 v18, v[14:15], s[26:27] offset:512
.LBB2453_68:
	s_or_b64 exec, exec, s[4:5]
	v_cmp_eq_u32_e32 vcc, 0, v37
	s_waitcnt lgkmcnt(1)
	v_cndmask_b32_e32 v15, v17, v16, vcc
	v_cndmask_b32_e64 v42, v15, 0, s[0:1]
	v_add_u32_sdwa v41, v42, v28 dst_sel:DWORD dst_unused:UNUSED_PAD src0_sel:DWORD src1_sel:BYTE_0
	v_add_u32_sdwa v40, v41, v28 dst_sel:DWORD dst_unused:UNUSED_PAD src0_sel:DWORD src1_sel:BYTE_1
	v_add_u32_e32 v23, v40, v32
	v_add_u32_e32 v22, v23, v30
	;; [unrolled: 1-line block ×6, first 2 shown]
	v_mov_b32_e32 v16, 0
	v_add_u32_e32 v17, v18, v36
	s_waitcnt lgkmcnt(0)
	s_barrier
.LBB2453_69:
	v_add_u32_e32 v25, v14, v25
	v_sub_u32_e32 v32, v42, v16
	v_and_b32_e32 v34, 1, v28
	v_sub_u32_e32 v33, v25, v32
	v_cmp_eq_u32_e32 vcc, 1, v34
	v_cndmask_b32_e32 v32, v33, v32, vcc
	v_lshlrev_b32_e32 v32, 2, v32
	v_lshrrev_b32_e32 v31, 8, v28
	ds_write_b32 v32, v6
	v_sub_u32_e32 v6, v41, v16
	v_sub_u32_e32 v32, v25, v6
	v_and_b32_e32 v31, 1, v31
	v_add_u32_e32 v32, 1, v32
	v_cmp_eq_u32_e32 vcc, 1, v31
	v_cndmask_b32_e32 v6, v32, v6, vcc
	v_lshlrev_b32_e32 v6, 2, v6
	ds_write_b32 v6, v7
	v_sub_u32_e32 v6, v40, v16
	v_mov_b32_e32 v31, 1
	v_sub_u32_e32 v7, v25, v6
	v_and_b32_sdwa v28, v31, v28 dst_sel:DWORD dst_unused:UNUSED_PAD src0_sel:DWORD src1_sel:WORD_1
	v_add_u32_e32 v7, 2, v7
	v_cmp_eq_u32_e32 vcc, 1, v28
	v_cndmask_b32_e32 v6, v7, v6, vcc
	v_lshlrev_b32_e32 v6, 2, v6
	ds_write_b32 v6, v8
	v_sub_u32_e32 v6, v23, v16
	v_sub_u32_e32 v7, v25, v6
	v_and_b32_e32 v8, 1, v30
	v_add_u32_e32 v7, 3, v7
	v_cmp_eq_u32_e32 vcc, 1, v8
	v_cndmask_b32_e32 v6, v7, v6, vcc
	v_lshlrev_b32_e32 v6, 2, v6
	ds_write_b32 v6, v9
	v_sub_u32_e32 v6, v22, v16
	v_sub_u32_e32 v7, v25, v6
	v_and_b32_e32 v8, 1, v27
	v_add_u32_e32 v7, 4, v7
	v_cmp_eq_u32_e32 vcc, 1, v8
	v_cndmask_b32_e32 v6, v7, v6, vcc
	v_lshlrev_b32_e32 v6, 2, v6
	v_lshrrev_b32_e32 v15, 8, v27
	ds_write_b32 v6, v2
	v_sub_u32_e32 v2, v21, v16
	v_sub_u32_e32 v6, v25, v2
	v_and_b32_e32 v7, 1, v15
	v_add_u32_e32 v6, 5, v6
	v_cmp_eq_u32_e32 vcc, 1, v7
	v_cndmask_b32_e32 v2, v6, v2, vcc
	v_lshlrev_b32_e32 v2, 2, v2
	ds_write_b32 v2, v3
	v_sub_u32_e32 v2, v20, v16
	v_sub_u32_e32 v3, v25, v2
	v_and_b32_sdwa v6, v31, v27 dst_sel:DWORD dst_unused:UNUSED_PAD src0_sel:DWORD src1_sel:WORD_1
	v_add_u32_e32 v3, 6, v3
	v_cmp_eq_u32_e32 vcc, 1, v6
	v_cndmask_b32_e32 v2, v3, v2, vcc
	v_lshlrev_b32_e32 v2, 2, v2
	ds_write_b32 v2, v4
	v_sub_u32_e32 v2, v19, v16
	v_sub_u32_e32 v3, v25, v2
	v_and_b32_e32 v4, 1, v29
	v_add_u32_e32 v3, 7, v3
	v_cmp_eq_u32_e32 vcc, 1, v4
	v_cndmask_b32_e32 v2, v3, v2, vcc
	v_lshlrev_b32_e32 v2, 2, v2
	ds_write_b32 v2, v5
	v_sub_u32_e32 v2, v18, v16
	v_sub_u32_e32 v3, v25, v2
	v_and_b32_e32 v4, 1, v26
	;; [unrolled: 8-line block ×3, first 2 shown]
	v_add_u32_e32 v3, 9, v3
	v_cmp_eq_u32_e32 vcc, 1, v4
	v_cndmask_b32_e32 v2, v3, v2, vcc
	v_lshlrev_b32_e32 v2, 2, v2
	ds_write_b32 v2, v11
	s_waitcnt lgkmcnt(0)
	s_barrier
	ds_read2st64_b32 v[18:19], v1 offset1:4
	ds_read2st64_b32 v[10:11], v1 offset0:8 offset1:12
	ds_read2st64_b32 v[8:9], v1 offset0:16 offset1:20
	;; [unrolled: 1-line block ×4, first 2 shown]
	v_or_b32_e32 v29, 0x100, v0
	v_or_b32_e32 v28, 0x200, v0
	;; [unrolled: 1-line block ×9, first 2 shown]
	s_and_b64 vcc, exec, s[2:3]
	s_waitcnt vmcnt(0)
	v_lshlrev_b64 v[20:21], 2, v[12:13]
	s_cbranch_vccnz .LBB2453_81
; %bb.70:
	v_mov_b32_e32 v17, 0
	v_mov_b32_e32 v4, s25
	v_add_co_u32_e32 v30, vcc, s24, v20
	v_addc_co_u32_e32 v31, vcc, v4, v21, vcc
	v_lshlrev_b64 v[4:5], 2, v[16:17]
	v_add_co_u32_e32 v4, vcc, v30, v4
	v_addc_co_u32_e32 v5, vcc, v31, v5, vcc
	v_cmp_gt_u32_e32 vcc, v14, v0
	s_and_saveexec_b64 s[2:3], vcc
	s_cbranch_execnz .LBB2453_98
; %bb.71:
	s_or_b64 exec, exec, s[2:3]
	v_cmp_lt_u32_e32 vcc, v29, v14
	s_and_saveexec_b64 s[2:3], vcc
	s_cbranch_execnz .LBB2453_99
.LBB2453_72:
	s_or_b64 exec, exec, s[2:3]
	v_cmp_lt_u32_e32 vcc, v28, v14
	s_and_saveexec_b64 s[2:3], vcc
	s_cbranch_execnz .LBB2453_100
.LBB2453_73:
	s_or_b64 exec, exec, s[2:3]
	v_cmp_lt_u32_e32 vcc, v27, v14
	s_and_saveexec_b64 s[2:3], vcc
	s_cbranch_execnz .LBB2453_101
.LBB2453_74:
	s_or_b64 exec, exec, s[2:3]
	v_cmp_lt_u32_e32 vcc, v26, v14
	s_and_saveexec_b64 s[2:3], vcc
	s_cbranch_execnz .LBB2453_102
.LBB2453_75:
	s_or_b64 exec, exec, s[2:3]
	v_cmp_lt_u32_e32 vcc, v25, v14
	s_and_saveexec_b64 s[2:3], vcc
	s_cbranch_execnz .LBB2453_103
.LBB2453_76:
	s_or_b64 exec, exec, s[2:3]
	v_cmp_lt_u32_e32 vcc, v24, v14
	s_and_saveexec_b64 s[2:3], vcc
	s_cbranch_execnz .LBB2453_104
.LBB2453_77:
	s_or_b64 exec, exec, s[2:3]
	v_cmp_lt_u32_e32 vcc, v23, v14
	s_and_saveexec_b64 s[2:3], vcc
	s_cbranch_execnz .LBB2453_105
.LBB2453_78:
	s_or_b64 exec, exec, s[2:3]
	v_cmp_lt_u32_e32 vcc, v22, v14
	s_and_saveexec_b64 s[2:3], vcc
	s_cbranch_execz .LBB2453_80
.LBB2453_79:
	v_lshlrev_b32_e32 v17, 2, v22
	v_readfirstlane_b32 s4, v4
	v_readfirstlane_b32 s5, v5
	s_waitcnt lgkmcnt(0)
	s_nop 3
	global_store_dword v17, v2, s[4:5]
.LBB2453_80:
	s_or_b64 exec, exec, s[2:3]
	v_cmp_lt_u32_e64 s[2:3], v15, v14
	s_branch .LBB2453_93
.LBB2453_81:
	s_mov_b64 s[2:3], 0
                                        ; implicit-def: $vgpr4_vgpr5
	s_cbranch_execz .LBB2453_93
; %bb.82:
	v_mov_b32_e32 v17, 0
	v_mov_b32_e32 v4, s25
	v_add_co_u32_e32 v20, vcc, s24, v20
	v_addc_co_u32_e32 v21, vcc, v4, v21, vcc
	v_lshlrev_b64 v[4:5], 2, v[16:17]
	v_add_co_u32_e32 v4, vcc, v20, v4
	v_min_u32_e32 v30, s33, v14
	v_addc_co_u32_e32 v5, vcc, v21, v5, vcc
	v_cmp_gt_u32_e32 vcc, v30, v0
	s_and_saveexec_b64 s[2:3], vcc
	s_cbranch_execnz .LBB2453_106
; %bb.83:
	s_or_b64 exec, exec, s[2:3]
	v_cmp_lt_u32_e32 vcc, v29, v30
	s_and_saveexec_b64 s[2:3], vcc
	s_cbranch_execnz .LBB2453_107
.LBB2453_84:
	s_or_b64 exec, exec, s[2:3]
	v_cmp_lt_u32_e32 vcc, v28, v30
	s_and_saveexec_b64 s[2:3], vcc
	s_cbranch_execnz .LBB2453_108
.LBB2453_85:
	s_or_b64 exec, exec, s[2:3]
	v_cmp_lt_u32_e32 vcc, v27, v30
	s_and_saveexec_b64 s[2:3], vcc
	s_cbranch_execnz .LBB2453_109
.LBB2453_86:
	s_or_b64 exec, exec, s[2:3]
	v_cmp_lt_u32_e32 vcc, v26, v30
	s_and_saveexec_b64 s[2:3], vcc
	s_cbranch_execnz .LBB2453_110
.LBB2453_87:
	s_or_b64 exec, exec, s[2:3]
	v_cmp_lt_u32_e32 vcc, v25, v30
	s_and_saveexec_b64 s[2:3], vcc
	s_cbranch_execnz .LBB2453_111
.LBB2453_88:
	s_or_b64 exec, exec, s[2:3]
	v_cmp_lt_u32_e32 vcc, v24, v30
	s_and_saveexec_b64 s[2:3], vcc
	s_cbranch_execnz .LBB2453_112
.LBB2453_89:
	s_or_b64 exec, exec, s[2:3]
	v_cmp_lt_u32_e32 vcc, v23, v30
	s_and_saveexec_b64 s[2:3], vcc
	s_cbranch_execnz .LBB2453_113
.LBB2453_90:
	s_or_b64 exec, exec, s[2:3]
	v_cmp_lt_u32_e32 vcc, v22, v30
	s_and_saveexec_b64 s[2:3], vcc
	s_cbranch_execz .LBB2453_92
.LBB2453_91:
	v_lshlrev_b32_e32 v0, 2, v22
	v_readfirstlane_b32 s4, v4
	v_readfirstlane_b32 s5, v5
	s_waitcnt lgkmcnt(0)
	s_nop 3
	global_store_dword v0, v2, s[4:5]
.LBB2453_92:
	s_or_b64 exec, exec, s[2:3]
	v_cmp_lt_u32_e64 s[2:3], v15, v30
.LBB2453_93:
	s_and_saveexec_b64 s[4:5], s[2:3]
	s_cbranch_execnz .LBB2453_96
; %bb.94:
	s_or_b64 exec, exec, s[4:5]
	s_and_b64 s[0:1], s[0:1], s[22:23]
	s_and_saveexec_b64 s[2:3], s[0:1]
	s_cbranch_execnz .LBB2453_97
.LBB2453_95:
	s_endpgm
.LBB2453_96:
	v_lshlrev_b32_e32 v0, 2, v15
	v_readfirstlane_b32 s2, v4
	v_readfirstlane_b32 s3, v5
	s_waitcnt lgkmcnt(0)
	s_nop 3
	global_store_dword v0, v3, s[2:3]
	s_or_b64 exec, exec, s[4:5]
	s_and_b64 s[0:1], s[0:1], s[22:23]
	s_and_saveexec_b64 s[2:3], s[0:1]
	s_cbranch_execz .LBB2453_95
.LBB2453_97:
	v_add_co_u32_e32 v0, vcc, v12, v14
	v_addc_co_u32_e32 v1, vcc, 0, v13, vcc
	v_add_co_u32_e32 v0, vcc, v0, v16
	s_waitcnt lgkmcnt(0)
	v_mov_b32_e32 v2, 0
	v_addc_co_u32_e32 v1, vcc, 0, v1, vcc
	global_store_dwordx2 v2, v[0:1], s[20:21]
	s_endpgm
.LBB2453_98:
	v_readfirstlane_b32 s4, v4
	v_readfirstlane_b32 s5, v5
	s_waitcnt lgkmcnt(4)
	s_nop 3
	global_store_dword v1, v18, s[4:5]
	s_or_b64 exec, exec, s[2:3]
	v_cmp_lt_u32_e32 vcc, v29, v14
	s_and_saveexec_b64 s[2:3], vcc
	s_cbranch_execz .LBB2453_72
.LBB2453_99:
	v_readfirstlane_b32 s4, v4
	v_readfirstlane_b32 s5, v5
	s_waitcnt lgkmcnt(4)
	s_nop 3
	global_store_dword v1, v19, s[4:5] offset:1024
	s_or_b64 exec, exec, s[2:3]
	v_cmp_lt_u32_e32 vcc, v28, v14
	s_and_saveexec_b64 s[2:3], vcc
	s_cbranch_execz .LBB2453_73
.LBB2453_100:
	v_readfirstlane_b32 s4, v4
	v_readfirstlane_b32 s5, v5
	s_waitcnt lgkmcnt(3)
	s_nop 3
	global_store_dword v1, v10, s[4:5] offset:2048
	s_or_b64 exec, exec, s[2:3]
	v_cmp_lt_u32_e32 vcc, v27, v14
	s_and_saveexec_b64 s[2:3], vcc
	s_cbranch_execz .LBB2453_74
.LBB2453_101:
	v_readfirstlane_b32 s4, v4
	v_readfirstlane_b32 s5, v5
	s_waitcnt lgkmcnt(3)
	s_nop 3
	global_store_dword v1, v11, s[4:5] offset:3072
	s_or_b64 exec, exec, s[2:3]
	v_cmp_lt_u32_e32 vcc, v26, v14
	s_and_saveexec_b64 s[2:3], vcc
	s_cbranch_execz .LBB2453_75
.LBB2453_102:
	v_lshlrev_b32_e32 v17, 2, v26
	v_readfirstlane_b32 s4, v4
	v_readfirstlane_b32 s5, v5
	s_waitcnt lgkmcnt(2)
	s_nop 3
	global_store_dword v17, v8, s[4:5]
	s_or_b64 exec, exec, s[2:3]
	v_cmp_lt_u32_e32 vcc, v25, v14
	s_and_saveexec_b64 s[2:3], vcc
	s_cbranch_execz .LBB2453_76
.LBB2453_103:
	v_lshlrev_b32_e32 v17, 2, v25
	v_readfirstlane_b32 s4, v4
	v_readfirstlane_b32 s5, v5
	s_waitcnt lgkmcnt(2)
	s_nop 3
	global_store_dword v17, v9, s[4:5]
	s_or_b64 exec, exec, s[2:3]
	v_cmp_lt_u32_e32 vcc, v24, v14
	s_and_saveexec_b64 s[2:3], vcc
	s_cbranch_execz .LBB2453_77
.LBB2453_104:
	v_lshlrev_b32_e32 v17, 2, v24
	v_readfirstlane_b32 s4, v4
	v_readfirstlane_b32 s5, v5
	s_waitcnt lgkmcnt(1)
	s_nop 3
	global_store_dword v17, v6, s[4:5]
	s_or_b64 exec, exec, s[2:3]
	v_cmp_lt_u32_e32 vcc, v23, v14
	s_and_saveexec_b64 s[2:3], vcc
	s_cbranch_execz .LBB2453_78
.LBB2453_105:
	v_lshlrev_b32_e32 v17, 2, v23
	v_readfirstlane_b32 s4, v4
	v_readfirstlane_b32 s5, v5
	s_waitcnt lgkmcnt(1)
	s_nop 3
	global_store_dword v17, v7, s[4:5]
	s_or_b64 exec, exec, s[2:3]
	v_cmp_lt_u32_e32 vcc, v22, v14
	s_and_saveexec_b64 s[2:3], vcc
	s_cbranch_execnz .LBB2453_79
	s_branch .LBB2453_80
.LBB2453_106:
	v_readfirstlane_b32 s4, v4
	v_readfirstlane_b32 s5, v5
	s_waitcnt lgkmcnt(4)
	s_nop 3
	global_store_dword v1, v18, s[4:5]
	s_or_b64 exec, exec, s[2:3]
	v_cmp_lt_u32_e32 vcc, v29, v30
	s_and_saveexec_b64 s[2:3], vcc
	s_cbranch_execz .LBB2453_84
.LBB2453_107:
	v_readfirstlane_b32 s4, v4
	v_readfirstlane_b32 s5, v5
	s_waitcnt lgkmcnt(4)
	s_nop 3
	global_store_dword v1, v19, s[4:5] offset:1024
	s_or_b64 exec, exec, s[2:3]
	v_cmp_lt_u32_e32 vcc, v28, v30
	s_and_saveexec_b64 s[2:3], vcc
	s_cbranch_execz .LBB2453_85
.LBB2453_108:
	v_readfirstlane_b32 s4, v4
	v_readfirstlane_b32 s5, v5
	s_waitcnt lgkmcnt(3)
	s_nop 3
	global_store_dword v1, v10, s[4:5] offset:2048
	s_or_b64 exec, exec, s[2:3]
	v_cmp_lt_u32_e32 vcc, v27, v30
	s_and_saveexec_b64 s[2:3], vcc
	s_cbranch_execz .LBB2453_86
.LBB2453_109:
	v_readfirstlane_b32 s4, v4
	v_readfirstlane_b32 s5, v5
	s_waitcnt lgkmcnt(3)
	s_nop 3
	global_store_dword v1, v11, s[4:5] offset:3072
	s_or_b64 exec, exec, s[2:3]
	v_cmp_lt_u32_e32 vcc, v26, v30
	s_and_saveexec_b64 s[2:3], vcc
	s_cbranch_execz .LBB2453_87
.LBB2453_110:
	v_lshlrev_b32_e32 v0, 2, v26
	v_readfirstlane_b32 s4, v4
	v_readfirstlane_b32 s5, v5
	s_waitcnt lgkmcnt(2)
	s_nop 3
	global_store_dword v0, v8, s[4:5]
	s_or_b64 exec, exec, s[2:3]
	v_cmp_lt_u32_e32 vcc, v25, v30
	s_and_saveexec_b64 s[2:3], vcc
	s_cbranch_execz .LBB2453_88
.LBB2453_111:
	v_lshlrev_b32_e32 v0, 2, v25
	v_readfirstlane_b32 s4, v4
	v_readfirstlane_b32 s5, v5
	s_waitcnt lgkmcnt(2)
	s_nop 3
	global_store_dword v0, v9, s[4:5]
	s_or_b64 exec, exec, s[2:3]
	v_cmp_lt_u32_e32 vcc, v24, v30
	s_and_saveexec_b64 s[2:3], vcc
	s_cbranch_execz .LBB2453_89
.LBB2453_112:
	v_lshlrev_b32_e32 v0, 2, v24
	v_readfirstlane_b32 s4, v4
	v_readfirstlane_b32 s5, v5
	s_waitcnt lgkmcnt(1)
	s_nop 3
	global_store_dword v0, v6, s[4:5]
	s_or_b64 exec, exec, s[2:3]
	v_cmp_lt_u32_e32 vcc, v23, v30
	s_and_saveexec_b64 s[2:3], vcc
	s_cbranch_execz .LBB2453_90
.LBB2453_113:
	v_lshlrev_b32_e32 v0, 2, v23
	v_readfirstlane_b32 s4, v4
	v_readfirstlane_b32 s5, v5
	s_waitcnt lgkmcnt(1)
	s_nop 3
	global_store_dword v0, v7, s[4:5]
	s_or_b64 exec, exec, s[2:3]
	v_cmp_lt_u32_e32 vcc, v22, v30
	s_and_saveexec_b64 s[2:3], vcc
	s_cbranch_execnz .LBB2453_91
	s_branch .LBB2453_92
	.section	.rodata,"a",@progbits
	.p2align	6, 0x0
	.amdhsa_kernel _ZN7rocprim17ROCPRIM_400000_NS6detail17trampoline_kernelINS0_14default_configENS1_25partition_config_selectorILNS1_17partition_subalgoE0EjNS0_10empty_typeEbEEZZNS1_14partition_implILS5_0ELb0ES3_jN6thrust23THRUST_200600_302600_NS6detail15normal_iteratorINSA_10device_ptrIjEEEEPS6_SG_NS0_5tupleIJSF_NSA_16discard_iteratorINSA_11use_defaultEEEEEENSH_IJSG_SG_EEES6_PlJ7is_evenIjEEEE10hipError_tPvRmT3_T4_T5_T6_T7_T9_mT8_P12ihipStream_tbDpT10_ENKUlT_T0_E_clISt17integral_constantIbLb0EES18_IbLb1EEEEDaS14_S15_EUlS14_E_NS1_11comp_targetILNS1_3genE4ELNS1_11target_archE910ELNS1_3gpuE8ELNS1_3repE0EEENS1_30default_config_static_selectorELNS0_4arch9wavefront6targetE1EEEvT1_
		.amdhsa_group_segment_fixed_size 10248
		.amdhsa_private_segment_fixed_size 0
		.amdhsa_kernarg_size 144
		.amdhsa_user_sgpr_count 6
		.amdhsa_user_sgpr_private_segment_buffer 1
		.amdhsa_user_sgpr_dispatch_ptr 0
		.amdhsa_user_sgpr_queue_ptr 0
		.amdhsa_user_sgpr_kernarg_segment_ptr 1
		.amdhsa_user_sgpr_dispatch_id 0
		.amdhsa_user_sgpr_flat_scratch_init 0
		.amdhsa_user_sgpr_kernarg_preload_length 0
		.amdhsa_user_sgpr_kernarg_preload_offset 0
		.amdhsa_user_sgpr_private_segment_size 0
		.amdhsa_uses_dynamic_stack 0
		.amdhsa_system_sgpr_private_segment_wavefront_offset 0
		.amdhsa_system_sgpr_workgroup_id_x 1
		.amdhsa_system_sgpr_workgroup_id_y 0
		.amdhsa_system_sgpr_workgroup_id_z 0
		.amdhsa_system_sgpr_workgroup_info 0
		.amdhsa_system_vgpr_workitem_id 0
		.amdhsa_next_free_vgpr 56
		.amdhsa_next_free_sgpr 40
		.amdhsa_accum_offset 56
		.amdhsa_reserve_vcc 1
		.amdhsa_reserve_flat_scratch 0
		.amdhsa_float_round_mode_32 0
		.amdhsa_float_round_mode_16_64 0
		.amdhsa_float_denorm_mode_32 3
		.amdhsa_float_denorm_mode_16_64 3
		.amdhsa_dx10_clamp 1
		.amdhsa_ieee_mode 1
		.amdhsa_fp16_overflow 0
		.amdhsa_tg_split 0
		.amdhsa_exception_fp_ieee_invalid_op 0
		.amdhsa_exception_fp_denorm_src 0
		.amdhsa_exception_fp_ieee_div_zero 0
		.amdhsa_exception_fp_ieee_overflow 0
		.amdhsa_exception_fp_ieee_underflow 0
		.amdhsa_exception_fp_ieee_inexact 0
		.amdhsa_exception_int_div_zero 0
	.end_amdhsa_kernel
	.section	.text._ZN7rocprim17ROCPRIM_400000_NS6detail17trampoline_kernelINS0_14default_configENS1_25partition_config_selectorILNS1_17partition_subalgoE0EjNS0_10empty_typeEbEEZZNS1_14partition_implILS5_0ELb0ES3_jN6thrust23THRUST_200600_302600_NS6detail15normal_iteratorINSA_10device_ptrIjEEEEPS6_SG_NS0_5tupleIJSF_NSA_16discard_iteratorINSA_11use_defaultEEEEEENSH_IJSG_SG_EEES6_PlJ7is_evenIjEEEE10hipError_tPvRmT3_T4_T5_T6_T7_T9_mT8_P12ihipStream_tbDpT10_ENKUlT_T0_E_clISt17integral_constantIbLb0EES18_IbLb1EEEEDaS14_S15_EUlS14_E_NS1_11comp_targetILNS1_3genE4ELNS1_11target_archE910ELNS1_3gpuE8ELNS1_3repE0EEENS1_30default_config_static_selectorELNS0_4arch9wavefront6targetE1EEEvT1_,"axG",@progbits,_ZN7rocprim17ROCPRIM_400000_NS6detail17trampoline_kernelINS0_14default_configENS1_25partition_config_selectorILNS1_17partition_subalgoE0EjNS0_10empty_typeEbEEZZNS1_14partition_implILS5_0ELb0ES3_jN6thrust23THRUST_200600_302600_NS6detail15normal_iteratorINSA_10device_ptrIjEEEEPS6_SG_NS0_5tupleIJSF_NSA_16discard_iteratorINSA_11use_defaultEEEEEENSH_IJSG_SG_EEES6_PlJ7is_evenIjEEEE10hipError_tPvRmT3_T4_T5_T6_T7_T9_mT8_P12ihipStream_tbDpT10_ENKUlT_T0_E_clISt17integral_constantIbLb0EES18_IbLb1EEEEDaS14_S15_EUlS14_E_NS1_11comp_targetILNS1_3genE4ELNS1_11target_archE910ELNS1_3gpuE8ELNS1_3repE0EEENS1_30default_config_static_selectorELNS0_4arch9wavefront6targetE1EEEvT1_,comdat
.Lfunc_end2453:
	.size	_ZN7rocprim17ROCPRIM_400000_NS6detail17trampoline_kernelINS0_14default_configENS1_25partition_config_selectorILNS1_17partition_subalgoE0EjNS0_10empty_typeEbEEZZNS1_14partition_implILS5_0ELb0ES3_jN6thrust23THRUST_200600_302600_NS6detail15normal_iteratorINSA_10device_ptrIjEEEEPS6_SG_NS0_5tupleIJSF_NSA_16discard_iteratorINSA_11use_defaultEEEEEENSH_IJSG_SG_EEES6_PlJ7is_evenIjEEEE10hipError_tPvRmT3_T4_T5_T6_T7_T9_mT8_P12ihipStream_tbDpT10_ENKUlT_T0_E_clISt17integral_constantIbLb0EES18_IbLb1EEEEDaS14_S15_EUlS14_E_NS1_11comp_targetILNS1_3genE4ELNS1_11target_archE910ELNS1_3gpuE8ELNS1_3repE0EEENS1_30default_config_static_selectorELNS0_4arch9wavefront6targetE1EEEvT1_, .Lfunc_end2453-_ZN7rocprim17ROCPRIM_400000_NS6detail17trampoline_kernelINS0_14default_configENS1_25partition_config_selectorILNS1_17partition_subalgoE0EjNS0_10empty_typeEbEEZZNS1_14partition_implILS5_0ELb0ES3_jN6thrust23THRUST_200600_302600_NS6detail15normal_iteratorINSA_10device_ptrIjEEEEPS6_SG_NS0_5tupleIJSF_NSA_16discard_iteratorINSA_11use_defaultEEEEEENSH_IJSG_SG_EEES6_PlJ7is_evenIjEEEE10hipError_tPvRmT3_T4_T5_T6_T7_T9_mT8_P12ihipStream_tbDpT10_ENKUlT_T0_E_clISt17integral_constantIbLb0EES18_IbLb1EEEEDaS14_S15_EUlS14_E_NS1_11comp_targetILNS1_3genE4ELNS1_11target_archE910ELNS1_3gpuE8ELNS1_3repE0EEENS1_30default_config_static_selectorELNS0_4arch9wavefront6targetE1EEEvT1_
                                        ; -- End function
	.section	.AMDGPU.csdata,"",@progbits
; Kernel info:
; codeLenInByte = 5272
; NumSgprs: 44
; NumVgprs: 56
; NumAgprs: 0
; TotalNumVgprs: 56
; ScratchSize: 0
; MemoryBound: 0
; FloatMode: 240
; IeeeMode: 1
; LDSByteSize: 10248 bytes/workgroup (compile time only)
; SGPRBlocks: 5
; VGPRBlocks: 6
; NumSGPRsForWavesPerEU: 44
; NumVGPRsForWavesPerEU: 56
; AccumOffset: 56
; Occupancy: 6
; WaveLimiterHint : 1
; COMPUTE_PGM_RSRC2:SCRATCH_EN: 0
; COMPUTE_PGM_RSRC2:USER_SGPR: 6
; COMPUTE_PGM_RSRC2:TRAP_HANDLER: 0
; COMPUTE_PGM_RSRC2:TGID_X_EN: 1
; COMPUTE_PGM_RSRC2:TGID_Y_EN: 0
; COMPUTE_PGM_RSRC2:TGID_Z_EN: 0
; COMPUTE_PGM_RSRC2:TIDIG_COMP_CNT: 0
; COMPUTE_PGM_RSRC3_GFX90A:ACCUM_OFFSET: 13
; COMPUTE_PGM_RSRC3_GFX90A:TG_SPLIT: 0
	.section	.text._ZN7rocprim17ROCPRIM_400000_NS6detail17trampoline_kernelINS0_14default_configENS1_25partition_config_selectorILNS1_17partition_subalgoE0EjNS0_10empty_typeEbEEZZNS1_14partition_implILS5_0ELb0ES3_jN6thrust23THRUST_200600_302600_NS6detail15normal_iteratorINSA_10device_ptrIjEEEEPS6_SG_NS0_5tupleIJSF_NSA_16discard_iteratorINSA_11use_defaultEEEEEENSH_IJSG_SG_EEES6_PlJ7is_evenIjEEEE10hipError_tPvRmT3_T4_T5_T6_T7_T9_mT8_P12ihipStream_tbDpT10_ENKUlT_T0_E_clISt17integral_constantIbLb0EES18_IbLb1EEEEDaS14_S15_EUlS14_E_NS1_11comp_targetILNS1_3genE3ELNS1_11target_archE908ELNS1_3gpuE7ELNS1_3repE0EEENS1_30default_config_static_selectorELNS0_4arch9wavefront6targetE1EEEvT1_,"axG",@progbits,_ZN7rocprim17ROCPRIM_400000_NS6detail17trampoline_kernelINS0_14default_configENS1_25partition_config_selectorILNS1_17partition_subalgoE0EjNS0_10empty_typeEbEEZZNS1_14partition_implILS5_0ELb0ES3_jN6thrust23THRUST_200600_302600_NS6detail15normal_iteratorINSA_10device_ptrIjEEEEPS6_SG_NS0_5tupleIJSF_NSA_16discard_iteratorINSA_11use_defaultEEEEEENSH_IJSG_SG_EEES6_PlJ7is_evenIjEEEE10hipError_tPvRmT3_T4_T5_T6_T7_T9_mT8_P12ihipStream_tbDpT10_ENKUlT_T0_E_clISt17integral_constantIbLb0EES18_IbLb1EEEEDaS14_S15_EUlS14_E_NS1_11comp_targetILNS1_3genE3ELNS1_11target_archE908ELNS1_3gpuE7ELNS1_3repE0EEENS1_30default_config_static_selectorELNS0_4arch9wavefront6targetE1EEEvT1_,comdat
	.protected	_ZN7rocprim17ROCPRIM_400000_NS6detail17trampoline_kernelINS0_14default_configENS1_25partition_config_selectorILNS1_17partition_subalgoE0EjNS0_10empty_typeEbEEZZNS1_14partition_implILS5_0ELb0ES3_jN6thrust23THRUST_200600_302600_NS6detail15normal_iteratorINSA_10device_ptrIjEEEEPS6_SG_NS0_5tupleIJSF_NSA_16discard_iteratorINSA_11use_defaultEEEEEENSH_IJSG_SG_EEES6_PlJ7is_evenIjEEEE10hipError_tPvRmT3_T4_T5_T6_T7_T9_mT8_P12ihipStream_tbDpT10_ENKUlT_T0_E_clISt17integral_constantIbLb0EES18_IbLb1EEEEDaS14_S15_EUlS14_E_NS1_11comp_targetILNS1_3genE3ELNS1_11target_archE908ELNS1_3gpuE7ELNS1_3repE0EEENS1_30default_config_static_selectorELNS0_4arch9wavefront6targetE1EEEvT1_ ; -- Begin function _ZN7rocprim17ROCPRIM_400000_NS6detail17trampoline_kernelINS0_14default_configENS1_25partition_config_selectorILNS1_17partition_subalgoE0EjNS0_10empty_typeEbEEZZNS1_14partition_implILS5_0ELb0ES3_jN6thrust23THRUST_200600_302600_NS6detail15normal_iteratorINSA_10device_ptrIjEEEEPS6_SG_NS0_5tupleIJSF_NSA_16discard_iteratorINSA_11use_defaultEEEEEENSH_IJSG_SG_EEES6_PlJ7is_evenIjEEEE10hipError_tPvRmT3_T4_T5_T6_T7_T9_mT8_P12ihipStream_tbDpT10_ENKUlT_T0_E_clISt17integral_constantIbLb0EES18_IbLb1EEEEDaS14_S15_EUlS14_E_NS1_11comp_targetILNS1_3genE3ELNS1_11target_archE908ELNS1_3gpuE7ELNS1_3repE0EEENS1_30default_config_static_selectorELNS0_4arch9wavefront6targetE1EEEvT1_
	.globl	_ZN7rocprim17ROCPRIM_400000_NS6detail17trampoline_kernelINS0_14default_configENS1_25partition_config_selectorILNS1_17partition_subalgoE0EjNS0_10empty_typeEbEEZZNS1_14partition_implILS5_0ELb0ES3_jN6thrust23THRUST_200600_302600_NS6detail15normal_iteratorINSA_10device_ptrIjEEEEPS6_SG_NS0_5tupleIJSF_NSA_16discard_iteratorINSA_11use_defaultEEEEEENSH_IJSG_SG_EEES6_PlJ7is_evenIjEEEE10hipError_tPvRmT3_T4_T5_T6_T7_T9_mT8_P12ihipStream_tbDpT10_ENKUlT_T0_E_clISt17integral_constantIbLb0EES18_IbLb1EEEEDaS14_S15_EUlS14_E_NS1_11comp_targetILNS1_3genE3ELNS1_11target_archE908ELNS1_3gpuE7ELNS1_3repE0EEENS1_30default_config_static_selectorELNS0_4arch9wavefront6targetE1EEEvT1_
	.p2align	8
	.type	_ZN7rocprim17ROCPRIM_400000_NS6detail17trampoline_kernelINS0_14default_configENS1_25partition_config_selectorILNS1_17partition_subalgoE0EjNS0_10empty_typeEbEEZZNS1_14partition_implILS5_0ELb0ES3_jN6thrust23THRUST_200600_302600_NS6detail15normal_iteratorINSA_10device_ptrIjEEEEPS6_SG_NS0_5tupleIJSF_NSA_16discard_iteratorINSA_11use_defaultEEEEEENSH_IJSG_SG_EEES6_PlJ7is_evenIjEEEE10hipError_tPvRmT3_T4_T5_T6_T7_T9_mT8_P12ihipStream_tbDpT10_ENKUlT_T0_E_clISt17integral_constantIbLb0EES18_IbLb1EEEEDaS14_S15_EUlS14_E_NS1_11comp_targetILNS1_3genE3ELNS1_11target_archE908ELNS1_3gpuE7ELNS1_3repE0EEENS1_30default_config_static_selectorELNS0_4arch9wavefront6targetE1EEEvT1_,@function
_ZN7rocprim17ROCPRIM_400000_NS6detail17trampoline_kernelINS0_14default_configENS1_25partition_config_selectorILNS1_17partition_subalgoE0EjNS0_10empty_typeEbEEZZNS1_14partition_implILS5_0ELb0ES3_jN6thrust23THRUST_200600_302600_NS6detail15normal_iteratorINSA_10device_ptrIjEEEEPS6_SG_NS0_5tupleIJSF_NSA_16discard_iteratorINSA_11use_defaultEEEEEENSH_IJSG_SG_EEES6_PlJ7is_evenIjEEEE10hipError_tPvRmT3_T4_T5_T6_T7_T9_mT8_P12ihipStream_tbDpT10_ENKUlT_T0_E_clISt17integral_constantIbLb0EES18_IbLb1EEEEDaS14_S15_EUlS14_E_NS1_11comp_targetILNS1_3genE3ELNS1_11target_archE908ELNS1_3gpuE7ELNS1_3repE0EEENS1_30default_config_static_selectorELNS0_4arch9wavefront6targetE1EEEvT1_: ; @_ZN7rocprim17ROCPRIM_400000_NS6detail17trampoline_kernelINS0_14default_configENS1_25partition_config_selectorILNS1_17partition_subalgoE0EjNS0_10empty_typeEbEEZZNS1_14partition_implILS5_0ELb0ES3_jN6thrust23THRUST_200600_302600_NS6detail15normal_iteratorINSA_10device_ptrIjEEEEPS6_SG_NS0_5tupleIJSF_NSA_16discard_iteratorINSA_11use_defaultEEEEEENSH_IJSG_SG_EEES6_PlJ7is_evenIjEEEE10hipError_tPvRmT3_T4_T5_T6_T7_T9_mT8_P12ihipStream_tbDpT10_ENKUlT_T0_E_clISt17integral_constantIbLb0EES18_IbLb1EEEEDaS14_S15_EUlS14_E_NS1_11comp_targetILNS1_3genE3ELNS1_11target_archE908ELNS1_3gpuE7ELNS1_3repE0EEENS1_30default_config_static_selectorELNS0_4arch9wavefront6targetE1EEEvT1_
; %bb.0:
	.section	.rodata,"a",@progbits
	.p2align	6, 0x0
	.amdhsa_kernel _ZN7rocprim17ROCPRIM_400000_NS6detail17trampoline_kernelINS0_14default_configENS1_25partition_config_selectorILNS1_17partition_subalgoE0EjNS0_10empty_typeEbEEZZNS1_14partition_implILS5_0ELb0ES3_jN6thrust23THRUST_200600_302600_NS6detail15normal_iteratorINSA_10device_ptrIjEEEEPS6_SG_NS0_5tupleIJSF_NSA_16discard_iteratorINSA_11use_defaultEEEEEENSH_IJSG_SG_EEES6_PlJ7is_evenIjEEEE10hipError_tPvRmT3_T4_T5_T6_T7_T9_mT8_P12ihipStream_tbDpT10_ENKUlT_T0_E_clISt17integral_constantIbLb0EES18_IbLb1EEEEDaS14_S15_EUlS14_E_NS1_11comp_targetILNS1_3genE3ELNS1_11target_archE908ELNS1_3gpuE7ELNS1_3repE0EEENS1_30default_config_static_selectorELNS0_4arch9wavefront6targetE1EEEvT1_
		.amdhsa_group_segment_fixed_size 0
		.amdhsa_private_segment_fixed_size 0
		.amdhsa_kernarg_size 144
		.amdhsa_user_sgpr_count 6
		.amdhsa_user_sgpr_private_segment_buffer 1
		.amdhsa_user_sgpr_dispatch_ptr 0
		.amdhsa_user_sgpr_queue_ptr 0
		.amdhsa_user_sgpr_kernarg_segment_ptr 1
		.amdhsa_user_sgpr_dispatch_id 0
		.amdhsa_user_sgpr_flat_scratch_init 0
		.amdhsa_user_sgpr_kernarg_preload_length 0
		.amdhsa_user_sgpr_kernarg_preload_offset 0
		.amdhsa_user_sgpr_private_segment_size 0
		.amdhsa_uses_dynamic_stack 0
		.amdhsa_system_sgpr_private_segment_wavefront_offset 0
		.amdhsa_system_sgpr_workgroup_id_x 1
		.amdhsa_system_sgpr_workgroup_id_y 0
		.amdhsa_system_sgpr_workgroup_id_z 0
		.amdhsa_system_sgpr_workgroup_info 0
		.amdhsa_system_vgpr_workitem_id 0
		.amdhsa_next_free_vgpr 1
		.amdhsa_next_free_sgpr 0
		.amdhsa_accum_offset 4
		.amdhsa_reserve_vcc 0
		.amdhsa_reserve_flat_scratch 0
		.amdhsa_float_round_mode_32 0
		.amdhsa_float_round_mode_16_64 0
		.amdhsa_float_denorm_mode_32 3
		.amdhsa_float_denorm_mode_16_64 3
		.amdhsa_dx10_clamp 1
		.amdhsa_ieee_mode 1
		.amdhsa_fp16_overflow 0
		.amdhsa_tg_split 0
		.amdhsa_exception_fp_ieee_invalid_op 0
		.amdhsa_exception_fp_denorm_src 0
		.amdhsa_exception_fp_ieee_div_zero 0
		.amdhsa_exception_fp_ieee_overflow 0
		.amdhsa_exception_fp_ieee_underflow 0
		.amdhsa_exception_fp_ieee_inexact 0
		.amdhsa_exception_int_div_zero 0
	.end_amdhsa_kernel
	.section	.text._ZN7rocprim17ROCPRIM_400000_NS6detail17trampoline_kernelINS0_14default_configENS1_25partition_config_selectorILNS1_17partition_subalgoE0EjNS0_10empty_typeEbEEZZNS1_14partition_implILS5_0ELb0ES3_jN6thrust23THRUST_200600_302600_NS6detail15normal_iteratorINSA_10device_ptrIjEEEEPS6_SG_NS0_5tupleIJSF_NSA_16discard_iteratorINSA_11use_defaultEEEEEENSH_IJSG_SG_EEES6_PlJ7is_evenIjEEEE10hipError_tPvRmT3_T4_T5_T6_T7_T9_mT8_P12ihipStream_tbDpT10_ENKUlT_T0_E_clISt17integral_constantIbLb0EES18_IbLb1EEEEDaS14_S15_EUlS14_E_NS1_11comp_targetILNS1_3genE3ELNS1_11target_archE908ELNS1_3gpuE7ELNS1_3repE0EEENS1_30default_config_static_selectorELNS0_4arch9wavefront6targetE1EEEvT1_,"axG",@progbits,_ZN7rocprim17ROCPRIM_400000_NS6detail17trampoline_kernelINS0_14default_configENS1_25partition_config_selectorILNS1_17partition_subalgoE0EjNS0_10empty_typeEbEEZZNS1_14partition_implILS5_0ELb0ES3_jN6thrust23THRUST_200600_302600_NS6detail15normal_iteratorINSA_10device_ptrIjEEEEPS6_SG_NS0_5tupleIJSF_NSA_16discard_iteratorINSA_11use_defaultEEEEEENSH_IJSG_SG_EEES6_PlJ7is_evenIjEEEE10hipError_tPvRmT3_T4_T5_T6_T7_T9_mT8_P12ihipStream_tbDpT10_ENKUlT_T0_E_clISt17integral_constantIbLb0EES18_IbLb1EEEEDaS14_S15_EUlS14_E_NS1_11comp_targetILNS1_3genE3ELNS1_11target_archE908ELNS1_3gpuE7ELNS1_3repE0EEENS1_30default_config_static_selectorELNS0_4arch9wavefront6targetE1EEEvT1_,comdat
.Lfunc_end2454:
	.size	_ZN7rocprim17ROCPRIM_400000_NS6detail17trampoline_kernelINS0_14default_configENS1_25partition_config_selectorILNS1_17partition_subalgoE0EjNS0_10empty_typeEbEEZZNS1_14partition_implILS5_0ELb0ES3_jN6thrust23THRUST_200600_302600_NS6detail15normal_iteratorINSA_10device_ptrIjEEEEPS6_SG_NS0_5tupleIJSF_NSA_16discard_iteratorINSA_11use_defaultEEEEEENSH_IJSG_SG_EEES6_PlJ7is_evenIjEEEE10hipError_tPvRmT3_T4_T5_T6_T7_T9_mT8_P12ihipStream_tbDpT10_ENKUlT_T0_E_clISt17integral_constantIbLb0EES18_IbLb1EEEEDaS14_S15_EUlS14_E_NS1_11comp_targetILNS1_3genE3ELNS1_11target_archE908ELNS1_3gpuE7ELNS1_3repE0EEENS1_30default_config_static_selectorELNS0_4arch9wavefront6targetE1EEEvT1_, .Lfunc_end2454-_ZN7rocprim17ROCPRIM_400000_NS6detail17trampoline_kernelINS0_14default_configENS1_25partition_config_selectorILNS1_17partition_subalgoE0EjNS0_10empty_typeEbEEZZNS1_14partition_implILS5_0ELb0ES3_jN6thrust23THRUST_200600_302600_NS6detail15normal_iteratorINSA_10device_ptrIjEEEEPS6_SG_NS0_5tupleIJSF_NSA_16discard_iteratorINSA_11use_defaultEEEEEENSH_IJSG_SG_EEES6_PlJ7is_evenIjEEEE10hipError_tPvRmT3_T4_T5_T6_T7_T9_mT8_P12ihipStream_tbDpT10_ENKUlT_T0_E_clISt17integral_constantIbLb0EES18_IbLb1EEEEDaS14_S15_EUlS14_E_NS1_11comp_targetILNS1_3genE3ELNS1_11target_archE908ELNS1_3gpuE7ELNS1_3repE0EEENS1_30default_config_static_selectorELNS0_4arch9wavefront6targetE1EEEvT1_
                                        ; -- End function
	.section	.AMDGPU.csdata,"",@progbits
; Kernel info:
; codeLenInByte = 0
; NumSgprs: 4
; NumVgprs: 0
; NumAgprs: 0
; TotalNumVgprs: 0
; ScratchSize: 0
; MemoryBound: 0
; FloatMode: 240
; IeeeMode: 1
; LDSByteSize: 0 bytes/workgroup (compile time only)
; SGPRBlocks: 0
; VGPRBlocks: 0
; NumSGPRsForWavesPerEU: 4
; NumVGPRsForWavesPerEU: 1
; AccumOffset: 4
; Occupancy: 8
; WaveLimiterHint : 0
; COMPUTE_PGM_RSRC2:SCRATCH_EN: 0
; COMPUTE_PGM_RSRC2:USER_SGPR: 6
; COMPUTE_PGM_RSRC2:TRAP_HANDLER: 0
; COMPUTE_PGM_RSRC2:TGID_X_EN: 1
; COMPUTE_PGM_RSRC2:TGID_Y_EN: 0
; COMPUTE_PGM_RSRC2:TGID_Z_EN: 0
; COMPUTE_PGM_RSRC2:TIDIG_COMP_CNT: 0
; COMPUTE_PGM_RSRC3_GFX90A:ACCUM_OFFSET: 0
; COMPUTE_PGM_RSRC3_GFX90A:TG_SPLIT: 0
	.section	.text._ZN7rocprim17ROCPRIM_400000_NS6detail17trampoline_kernelINS0_14default_configENS1_25partition_config_selectorILNS1_17partition_subalgoE0EjNS0_10empty_typeEbEEZZNS1_14partition_implILS5_0ELb0ES3_jN6thrust23THRUST_200600_302600_NS6detail15normal_iteratorINSA_10device_ptrIjEEEEPS6_SG_NS0_5tupleIJSF_NSA_16discard_iteratorINSA_11use_defaultEEEEEENSH_IJSG_SG_EEES6_PlJ7is_evenIjEEEE10hipError_tPvRmT3_T4_T5_T6_T7_T9_mT8_P12ihipStream_tbDpT10_ENKUlT_T0_E_clISt17integral_constantIbLb0EES18_IbLb1EEEEDaS14_S15_EUlS14_E_NS1_11comp_targetILNS1_3genE2ELNS1_11target_archE906ELNS1_3gpuE6ELNS1_3repE0EEENS1_30default_config_static_selectorELNS0_4arch9wavefront6targetE1EEEvT1_,"axG",@progbits,_ZN7rocprim17ROCPRIM_400000_NS6detail17trampoline_kernelINS0_14default_configENS1_25partition_config_selectorILNS1_17partition_subalgoE0EjNS0_10empty_typeEbEEZZNS1_14partition_implILS5_0ELb0ES3_jN6thrust23THRUST_200600_302600_NS6detail15normal_iteratorINSA_10device_ptrIjEEEEPS6_SG_NS0_5tupleIJSF_NSA_16discard_iteratorINSA_11use_defaultEEEEEENSH_IJSG_SG_EEES6_PlJ7is_evenIjEEEE10hipError_tPvRmT3_T4_T5_T6_T7_T9_mT8_P12ihipStream_tbDpT10_ENKUlT_T0_E_clISt17integral_constantIbLb0EES18_IbLb1EEEEDaS14_S15_EUlS14_E_NS1_11comp_targetILNS1_3genE2ELNS1_11target_archE906ELNS1_3gpuE6ELNS1_3repE0EEENS1_30default_config_static_selectorELNS0_4arch9wavefront6targetE1EEEvT1_,comdat
	.protected	_ZN7rocprim17ROCPRIM_400000_NS6detail17trampoline_kernelINS0_14default_configENS1_25partition_config_selectorILNS1_17partition_subalgoE0EjNS0_10empty_typeEbEEZZNS1_14partition_implILS5_0ELb0ES3_jN6thrust23THRUST_200600_302600_NS6detail15normal_iteratorINSA_10device_ptrIjEEEEPS6_SG_NS0_5tupleIJSF_NSA_16discard_iteratorINSA_11use_defaultEEEEEENSH_IJSG_SG_EEES6_PlJ7is_evenIjEEEE10hipError_tPvRmT3_T4_T5_T6_T7_T9_mT8_P12ihipStream_tbDpT10_ENKUlT_T0_E_clISt17integral_constantIbLb0EES18_IbLb1EEEEDaS14_S15_EUlS14_E_NS1_11comp_targetILNS1_3genE2ELNS1_11target_archE906ELNS1_3gpuE6ELNS1_3repE0EEENS1_30default_config_static_selectorELNS0_4arch9wavefront6targetE1EEEvT1_ ; -- Begin function _ZN7rocprim17ROCPRIM_400000_NS6detail17trampoline_kernelINS0_14default_configENS1_25partition_config_selectorILNS1_17partition_subalgoE0EjNS0_10empty_typeEbEEZZNS1_14partition_implILS5_0ELb0ES3_jN6thrust23THRUST_200600_302600_NS6detail15normal_iteratorINSA_10device_ptrIjEEEEPS6_SG_NS0_5tupleIJSF_NSA_16discard_iteratorINSA_11use_defaultEEEEEENSH_IJSG_SG_EEES6_PlJ7is_evenIjEEEE10hipError_tPvRmT3_T4_T5_T6_T7_T9_mT8_P12ihipStream_tbDpT10_ENKUlT_T0_E_clISt17integral_constantIbLb0EES18_IbLb1EEEEDaS14_S15_EUlS14_E_NS1_11comp_targetILNS1_3genE2ELNS1_11target_archE906ELNS1_3gpuE6ELNS1_3repE0EEENS1_30default_config_static_selectorELNS0_4arch9wavefront6targetE1EEEvT1_
	.globl	_ZN7rocprim17ROCPRIM_400000_NS6detail17trampoline_kernelINS0_14default_configENS1_25partition_config_selectorILNS1_17partition_subalgoE0EjNS0_10empty_typeEbEEZZNS1_14partition_implILS5_0ELb0ES3_jN6thrust23THRUST_200600_302600_NS6detail15normal_iteratorINSA_10device_ptrIjEEEEPS6_SG_NS0_5tupleIJSF_NSA_16discard_iteratorINSA_11use_defaultEEEEEENSH_IJSG_SG_EEES6_PlJ7is_evenIjEEEE10hipError_tPvRmT3_T4_T5_T6_T7_T9_mT8_P12ihipStream_tbDpT10_ENKUlT_T0_E_clISt17integral_constantIbLb0EES18_IbLb1EEEEDaS14_S15_EUlS14_E_NS1_11comp_targetILNS1_3genE2ELNS1_11target_archE906ELNS1_3gpuE6ELNS1_3repE0EEENS1_30default_config_static_selectorELNS0_4arch9wavefront6targetE1EEEvT1_
	.p2align	8
	.type	_ZN7rocprim17ROCPRIM_400000_NS6detail17trampoline_kernelINS0_14default_configENS1_25partition_config_selectorILNS1_17partition_subalgoE0EjNS0_10empty_typeEbEEZZNS1_14partition_implILS5_0ELb0ES3_jN6thrust23THRUST_200600_302600_NS6detail15normal_iteratorINSA_10device_ptrIjEEEEPS6_SG_NS0_5tupleIJSF_NSA_16discard_iteratorINSA_11use_defaultEEEEEENSH_IJSG_SG_EEES6_PlJ7is_evenIjEEEE10hipError_tPvRmT3_T4_T5_T6_T7_T9_mT8_P12ihipStream_tbDpT10_ENKUlT_T0_E_clISt17integral_constantIbLb0EES18_IbLb1EEEEDaS14_S15_EUlS14_E_NS1_11comp_targetILNS1_3genE2ELNS1_11target_archE906ELNS1_3gpuE6ELNS1_3repE0EEENS1_30default_config_static_selectorELNS0_4arch9wavefront6targetE1EEEvT1_,@function
_ZN7rocprim17ROCPRIM_400000_NS6detail17trampoline_kernelINS0_14default_configENS1_25partition_config_selectorILNS1_17partition_subalgoE0EjNS0_10empty_typeEbEEZZNS1_14partition_implILS5_0ELb0ES3_jN6thrust23THRUST_200600_302600_NS6detail15normal_iteratorINSA_10device_ptrIjEEEEPS6_SG_NS0_5tupleIJSF_NSA_16discard_iteratorINSA_11use_defaultEEEEEENSH_IJSG_SG_EEES6_PlJ7is_evenIjEEEE10hipError_tPvRmT3_T4_T5_T6_T7_T9_mT8_P12ihipStream_tbDpT10_ENKUlT_T0_E_clISt17integral_constantIbLb0EES18_IbLb1EEEEDaS14_S15_EUlS14_E_NS1_11comp_targetILNS1_3genE2ELNS1_11target_archE906ELNS1_3gpuE6ELNS1_3repE0EEENS1_30default_config_static_selectorELNS0_4arch9wavefront6targetE1EEEvT1_: ; @_ZN7rocprim17ROCPRIM_400000_NS6detail17trampoline_kernelINS0_14default_configENS1_25partition_config_selectorILNS1_17partition_subalgoE0EjNS0_10empty_typeEbEEZZNS1_14partition_implILS5_0ELb0ES3_jN6thrust23THRUST_200600_302600_NS6detail15normal_iteratorINSA_10device_ptrIjEEEEPS6_SG_NS0_5tupleIJSF_NSA_16discard_iteratorINSA_11use_defaultEEEEEENSH_IJSG_SG_EEES6_PlJ7is_evenIjEEEE10hipError_tPvRmT3_T4_T5_T6_T7_T9_mT8_P12ihipStream_tbDpT10_ENKUlT_T0_E_clISt17integral_constantIbLb0EES18_IbLb1EEEEDaS14_S15_EUlS14_E_NS1_11comp_targetILNS1_3genE2ELNS1_11target_archE906ELNS1_3gpuE6ELNS1_3repE0EEENS1_30default_config_static_selectorELNS0_4arch9wavefront6targetE1EEEvT1_
; %bb.0:
	.section	.rodata,"a",@progbits
	.p2align	6, 0x0
	.amdhsa_kernel _ZN7rocprim17ROCPRIM_400000_NS6detail17trampoline_kernelINS0_14default_configENS1_25partition_config_selectorILNS1_17partition_subalgoE0EjNS0_10empty_typeEbEEZZNS1_14partition_implILS5_0ELb0ES3_jN6thrust23THRUST_200600_302600_NS6detail15normal_iteratorINSA_10device_ptrIjEEEEPS6_SG_NS0_5tupleIJSF_NSA_16discard_iteratorINSA_11use_defaultEEEEEENSH_IJSG_SG_EEES6_PlJ7is_evenIjEEEE10hipError_tPvRmT3_T4_T5_T6_T7_T9_mT8_P12ihipStream_tbDpT10_ENKUlT_T0_E_clISt17integral_constantIbLb0EES18_IbLb1EEEEDaS14_S15_EUlS14_E_NS1_11comp_targetILNS1_3genE2ELNS1_11target_archE906ELNS1_3gpuE6ELNS1_3repE0EEENS1_30default_config_static_selectorELNS0_4arch9wavefront6targetE1EEEvT1_
		.amdhsa_group_segment_fixed_size 0
		.amdhsa_private_segment_fixed_size 0
		.amdhsa_kernarg_size 144
		.amdhsa_user_sgpr_count 6
		.amdhsa_user_sgpr_private_segment_buffer 1
		.amdhsa_user_sgpr_dispatch_ptr 0
		.amdhsa_user_sgpr_queue_ptr 0
		.amdhsa_user_sgpr_kernarg_segment_ptr 1
		.amdhsa_user_sgpr_dispatch_id 0
		.amdhsa_user_sgpr_flat_scratch_init 0
		.amdhsa_user_sgpr_kernarg_preload_length 0
		.amdhsa_user_sgpr_kernarg_preload_offset 0
		.amdhsa_user_sgpr_private_segment_size 0
		.amdhsa_uses_dynamic_stack 0
		.amdhsa_system_sgpr_private_segment_wavefront_offset 0
		.amdhsa_system_sgpr_workgroup_id_x 1
		.amdhsa_system_sgpr_workgroup_id_y 0
		.amdhsa_system_sgpr_workgroup_id_z 0
		.amdhsa_system_sgpr_workgroup_info 0
		.amdhsa_system_vgpr_workitem_id 0
		.amdhsa_next_free_vgpr 1
		.amdhsa_next_free_sgpr 0
		.amdhsa_accum_offset 4
		.amdhsa_reserve_vcc 0
		.amdhsa_reserve_flat_scratch 0
		.amdhsa_float_round_mode_32 0
		.amdhsa_float_round_mode_16_64 0
		.amdhsa_float_denorm_mode_32 3
		.amdhsa_float_denorm_mode_16_64 3
		.amdhsa_dx10_clamp 1
		.amdhsa_ieee_mode 1
		.amdhsa_fp16_overflow 0
		.amdhsa_tg_split 0
		.amdhsa_exception_fp_ieee_invalid_op 0
		.amdhsa_exception_fp_denorm_src 0
		.amdhsa_exception_fp_ieee_div_zero 0
		.amdhsa_exception_fp_ieee_overflow 0
		.amdhsa_exception_fp_ieee_underflow 0
		.amdhsa_exception_fp_ieee_inexact 0
		.amdhsa_exception_int_div_zero 0
	.end_amdhsa_kernel
	.section	.text._ZN7rocprim17ROCPRIM_400000_NS6detail17trampoline_kernelINS0_14default_configENS1_25partition_config_selectorILNS1_17partition_subalgoE0EjNS0_10empty_typeEbEEZZNS1_14partition_implILS5_0ELb0ES3_jN6thrust23THRUST_200600_302600_NS6detail15normal_iteratorINSA_10device_ptrIjEEEEPS6_SG_NS0_5tupleIJSF_NSA_16discard_iteratorINSA_11use_defaultEEEEEENSH_IJSG_SG_EEES6_PlJ7is_evenIjEEEE10hipError_tPvRmT3_T4_T5_T6_T7_T9_mT8_P12ihipStream_tbDpT10_ENKUlT_T0_E_clISt17integral_constantIbLb0EES18_IbLb1EEEEDaS14_S15_EUlS14_E_NS1_11comp_targetILNS1_3genE2ELNS1_11target_archE906ELNS1_3gpuE6ELNS1_3repE0EEENS1_30default_config_static_selectorELNS0_4arch9wavefront6targetE1EEEvT1_,"axG",@progbits,_ZN7rocprim17ROCPRIM_400000_NS6detail17trampoline_kernelINS0_14default_configENS1_25partition_config_selectorILNS1_17partition_subalgoE0EjNS0_10empty_typeEbEEZZNS1_14partition_implILS5_0ELb0ES3_jN6thrust23THRUST_200600_302600_NS6detail15normal_iteratorINSA_10device_ptrIjEEEEPS6_SG_NS0_5tupleIJSF_NSA_16discard_iteratorINSA_11use_defaultEEEEEENSH_IJSG_SG_EEES6_PlJ7is_evenIjEEEE10hipError_tPvRmT3_T4_T5_T6_T7_T9_mT8_P12ihipStream_tbDpT10_ENKUlT_T0_E_clISt17integral_constantIbLb0EES18_IbLb1EEEEDaS14_S15_EUlS14_E_NS1_11comp_targetILNS1_3genE2ELNS1_11target_archE906ELNS1_3gpuE6ELNS1_3repE0EEENS1_30default_config_static_selectorELNS0_4arch9wavefront6targetE1EEEvT1_,comdat
.Lfunc_end2455:
	.size	_ZN7rocprim17ROCPRIM_400000_NS6detail17trampoline_kernelINS0_14default_configENS1_25partition_config_selectorILNS1_17partition_subalgoE0EjNS0_10empty_typeEbEEZZNS1_14partition_implILS5_0ELb0ES3_jN6thrust23THRUST_200600_302600_NS6detail15normal_iteratorINSA_10device_ptrIjEEEEPS6_SG_NS0_5tupleIJSF_NSA_16discard_iteratorINSA_11use_defaultEEEEEENSH_IJSG_SG_EEES6_PlJ7is_evenIjEEEE10hipError_tPvRmT3_T4_T5_T6_T7_T9_mT8_P12ihipStream_tbDpT10_ENKUlT_T0_E_clISt17integral_constantIbLb0EES18_IbLb1EEEEDaS14_S15_EUlS14_E_NS1_11comp_targetILNS1_3genE2ELNS1_11target_archE906ELNS1_3gpuE6ELNS1_3repE0EEENS1_30default_config_static_selectorELNS0_4arch9wavefront6targetE1EEEvT1_, .Lfunc_end2455-_ZN7rocprim17ROCPRIM_400000_NS6detail17trampoline_kernelINS0_14default_configENS1_25partition_config_selectorILNS1_17partition_subalgoE0EjNS0_10empty_typeEbEEZZNS1_14partition_implILS5_0ELb0ES3_jN6thrust23THRUST_200600_302600_NS6detail15normal_iteratorINSA_10device_ptrIjEEEEPS6_SG_NS0_5tupleIJSF_NSA_16discard_iteratorINSA_11use_defaultEEEEEENSH_IJSG_SG_EEES6_PlJ7is_evenIjEEEE10hipError_tPvRmT3_T4_T5_T6_T7_T9_mT8_P12ihipStream_tbDpT10_ENKUlT_T0_E_clISt17integral_constantIbLb0EES18_IbLb1EEEEDaS14_S15_EUlS14_E_NS1_11comp_targetILNS1_3genE2ELNS1_11target_archE906ELNS1_3gpuE6ELNS1_3repE0EEENS1_30default_config_static_selectorELNS0_4arch9wavefront6targetE1EEEvT1_
                                        ; -- End function
	.section	.AMDGPU.csdata,"",@progbits
; Kernel info:
; codeLenInByte = 0
; NumSgprs: 4
; NumVgprs: 0
; NumAgprs: 0
; TotalNumVgprs: 0
; ScratchSize: 0
; MemoryBound: 0
; FloatMode: 240
; IeeeMode: 1
; LDSByteSize: 0 bytes/workgroup (compile time only)
; SGPRBlocks: 0
; VGPRBlocks: 0
; NumSGPRsForWavesPerEU: 4
; NumVGPRsForWavesPerEU: 1
; AccumOffset: 4
; Occupancy: 8
; WaveLimiterHint : 0
; COMPUTE_PGM_RSRC2:SCRATCH_EN: 0
; COMPUTE_PGM_RSRC2:USER_SGPR: 6
; COMPUTE_PGM_RSRC2:TRAP_HANDLER: 0
; COMPUTE_PGM_RSRC2:TGID_X_EN: 1
; COMPUTE_PGM_RSRC2:TGID_Y_EN: 0
; COMPUTE_PGM_RSRC2:TGID_Z_EN: 0
; COMPUTE_PGM_RSRC2:TIDIG_COMP_CNT: 0
; COMPUTE_PGM_RSRC3_GFX90A:ACCUM_OFFSET: 0
; COMPUTE_PGM_RSRC3_GFX90A:TG_SPLIT: 0
	.section	.text._ZN7rocprim17ROCPRIM_400000_NS6detail17trampoline_kernelINS0_14default_configENS1_25partition_config_selectorILNS1_17partition_subalgoE0EjNS0_10empty_typeEbEEZZNS1_14partition_implILS5_0ELb0ES3_jN6thrust23THRUST_200600_302600_NS6detail15normal_iteratorINSA_10device_ptrIjEEEEPS6_SG_NS0_5tupleIJSF_NSA_16discard_iteratorINSA_11use_defaultEEEEEENSH_IJSG_SG_EEES6_PlJ7is_evenIjEEEE10hipError_tPvRmT3_T4_T5_T6_T7_T9_mT8_P12ihipStream_tbDpT10_ENKUlT_T0_E_clISt17integral_constantIbLb0EES18_IbLb1EEEEDaS14_S15_EUlS14_E_NS1_11comp_targetILNS1_3genE10ELNS1_11target_archE1200ELNS1_3gpuE4ELNS1_3repE0EEENS1_30default_config_static_selectorELNS0_4arch9wavefront6targetE1EEEvT1_,"axG",@progbits,_ZN7rocprim17ROCPRIM_400000_NS6detail17trampoline_kernelINS0_14default_configENS1_25partition_config_selectorILNS1_17partition_subalgoE0EjNS0_10empty_typeEbEEZZNS1_14partition_implILS5_0ELb0ES3_jN6thrust23THRUST_200600_302600_NS6detail15normal_iteratorINSA_10device_ptrIjEEEEPS6_SG_NS0_5tupleIJSF_NSA_16discard_iteratorINSA_11use_defaultEEEEEENSH_IJSG_SG_EEES6_PlJ7is_evenIjEEEE10hipError_tPvRmT3_T4_T5_T6_T7_T9_mT8_P12ihipStream_tbDpT10_ENKUlT_T0_E_clISt17integral_constantIbLb0EES18_IbLb1EEEEDaS14_S15_EUlS14_E_NS1_11comp_targetILNS1_3genE10ELNS1_11target_archE1200ELNS1_3gpuE4ELNS1_3repE0EEENS1_30default_config_static_selectorELNS0_4arch9wavefront6targetE1EEEvT1_,comdat
	.protected	_ZN7rocprim17ROCPRIM_400000_NS6detail17trampoline_kernelINS0_14default_configENS1_25partition_config_selectorILNS1_17partition_subalgoE0EjNS0_10empty_typeEbEEZZNS1_14partition_implILS5_0ELb0ES3_jN6thrust23THRUST_200600_302600_NS6detail15normal_iteratorINSA_10device_ptrIjEEEEPS6_SG_NS0_5tupleIJSF_NSA_16discard_iteratorINSA_11use_defaultEEEEEENSH_IJSG_SG_EEES6_PlJ7is_evenIjEEEE10hipError_tPvRmT3_T4_T5_T6_T7_T9_mT8_P12ihipStream_tbDpT10_ENKUlT_T0_E_clISt17integral_constantIbLb0EES18_IbLb1EEEEDaS14_S15_EUlS14_E_NS1_11comp_targetILNS1_3genE10ELNS1_11target_archE1200ELNS1_3gpuE4ELNS1_3repE0EEENS1_30default_config_static_selectorELNS0_4arch9wavefront6targetE1EEEvT1_ ; -- Begin function _ZN7rocprim17ROCPRIM_400000_NS6detail17trampoline_kernelINS0_14default_configENS1_25partition_config_selectorILNS1_17partition_subalgoE0EjNS0_10empty_typeEbEEZZNS1_14partition_implILS5_0ELb0ES3_jN6thrust23THRUST_200600_302600_NS6detail15normal_iteratorINSA_10device_ptrIjEEEEPS6_SG_NS0_5tupleIJSF_NSA_16discard_iteratorINSA_11use_defaultEEEEEENSH_IJSG_SG_EEES6_PlJ7is_evenIjEEEE10hipError_tPvRmT3_T4_T5_T6_T7_T9_mT8_P12ihipStream_tbDpT10_ENKUlT_T0_E_clISt17integral_constantIbLb0EES18_IbLb1EEEEDaS14_S15_EUlS14_E_NS1_11comp_targetILNS1_3genE10ELNS1_11target_archE1200ELNS1_3gpuE4ELNS1_3repE0EEENS1_30default_config_static_selectorELNS0_4arch9wavefront6targetE1EEEvT1_
	.globl	_ZN7rocprim17ROCPRIM_400000_NS6detail17trampoline_kernelINS0_14default_configENS1_25partition_config_selectorILNS1_17partition_subalgoE0EjNS0_10empty_typeEbEEZZNS1_14partition_implILS5_0ELb0ES3_jN6thrust23THRUST_200600_302600_NS6detail15normal_iteratorINSA_10device_ptrIjEEEEPS6_SG_NS0_5tupleIJSF_NSA_16discard_iteratorINSA_11use_defaultEEEEEENSH_IJSG_SG_EEES6_PlJ7is_evenIjEEEE10hipError_tPvRmT3_T4_T5_T6_T7_T9_mT8_P12ihipStream_tbDpT10_ENKUlT_T0_E_clISt17integral_constantIbLb0EES18_IbLb1EEEEDaS14_S15_EUlS14_E_NS1_11comp_targetILNS1_3genE10ELNS1_11target_archE1200ELNS1_3gpuE4ELNS1_3repE0EEENS1_30default_config_static_selectorELNS0_4arch9wavefront6targetE1EEEvT1_
	.p2align	8
	.type	_ZN7rocprim17ROCPRIM_400000_NS6detail17trampoline_kernelINS0_14default_configENS1_25partition_config_selectorILNS1_17partition_subalgoE0EjNS0_10empty_typeEbEEZZNS1_14partition_implILS5_0ELb0ES3_jN6thrust23THRUST_200600_302600_NS6detail15normal_iteratorINSA_10device_ptrIjEEEEPS6_SG_NS0_5tupleIJSF_NSA_16discard_iteratorINSA_11use_defaultEEEEEENSH_IJSG_SG_EEES6_PlJ7is_evenIjEEEE10hipError_tPvRmT3_T4_T5_T6_T7_T9_mT8_P12ihipStream_tbDpT10_ENKUlT_T0_E_clISt17integral_constantIbLb0EES18_IbLb1EEEEDaS14_S15_EUlS14_E_NS1_11comp_targetILNS1_3genE10ELNS1_11target_archE1200ELNS1_3gpuE4ELNS1_3repE0EEENS1_30default_config_static_selectorELNS0_4arch9wavefront6targetE1EEEvT1_,@function
_ZN7rocprim17ROCPRIM_400000_NS6detail17trampoline_kernelINS0_14default_configENS1_25partition_config_selectorILNS1_17partition_subalgoE0EjNS0_10empty_typeEbEEZZNS1_14partition_implILS5_0ELb0ES3_jN6thrust23THRUST_200600_302600_NS6detail15normal_iteratorINSA_10device_ptrIjEEEEPS6_SG_NS0_5tupleIJSF_NSA_16discard_iteratorINSA_11use_defaultEEEEEENSH_IJSG_SG_EEES6_PlJ7is_evenIjEEEE10hipError_tPvRmT3_T4_T5_T6_T7_T9_mT8_P12ihipStream_tbDpT10_ENKUlT_T0_E_clISt17integral_constantIbLb0EES18_IbLb1EEEEDaS14_S15_EUlS14_E_NS1_11comp_targetILNS1_3genE10ELNS1_11target_archE1200ELNS1_3gpuE4ELNS1_3repE0EEENS1_30default_config_static_selectorELNS0_4arch9wavefront6targetE1EEEvT1_: ; @_ZN7rocprim17ROCPRIM_400000_NS6detail17trampoline_kernelINS0_14default_configENS1_25partition_config_selectorILNS1_17partition_subalgoE0EjNS0_10empty_typeEbEEZZNS1_14partition_implILS5_0ELb0ES3_jN6thrust23THRUST_200600_302600_NS6detail15normal_iteratorINSA_10device_ptrIjEEEEPS6_SG_NS0_5tupleIJSF_NSA_16discard_iteratorINSA_11use_defaultEEEEEENSH_IJSG_SG_EEES6_PlJ7is_evenIjEEEE10hipError_tPvRmT3_T4_T5_T6_T7_T9_mT8_P12ihipStream_tbDpT10_ENKUlT_T0_E_clISt17integral_constantIbLb0EES18_IbLb1EEEEDaS14_S15_EUlS14_E_NS1_11comp_targetILNS1_3genE10ELNS1_11target_archE1200ELNS1_3gpuE4ELNS1_3repE0EEENS1_30default_config_static_selectorELNS0_4arch9wavefront6targetE1EEEvT1_
; %bb.0:
	.section	.rodata,"a",@progbits
	.p2align	6, 0x0
	.amdhsa_kernel _ZN7rocprim17ROCPRIM_400000_NS6detail17trampoline_kernelINS0_14default_configENS1_25partition_config_selectorILNS1_17partition_subalgoE0EjNS0_10empty_typeEbEEZZNS1_14partition_implILS5_0ELb0ES3_jN6thrust23THRUST_200600_302600_NS6detail15normal_iteratorINSA_10device_ptrIjEEEEPS6_SG_NS0_5tupleIJSF_NSA_16discard_iteratorINSA_11use_defaultEEEEEENSH_IJSG_SG_EEES6_PlJ7is_evenIjEEEE10hipError_tPvRmT3_T4_T5_T6_T7_T9_mT8_P12ihipStream_tbDpT10_ENKUlT_T0_E_clISt17integral_constantIbLb0EES18_IbLb1EEEEDaS14_S15_EUlS14_E_NS1_11comp_targetILNS1_3genE10ELNS1_11target_archE1200ELNS1_3gpuE4ELNS1_3repE0EEENS1_30default_config_static_selectorELNS0_4arch9wavefront6targetE1EEEvT1_
		.amdhsa_group_segment_fixed_size 0
		.amdhsa_private_segment_fixed_size 0
		.amdhsa_kernarg_size 144
		.amdhsa_user_sgpr_count 6
		.amdhsa_user_sgpr_private_segment_buffer 1
		.amdhsa_user_sgpr_dispatch_ptr 0
		.amdhsa_user_sgpr_queue_ptr 0
		.amdhsa_user_sgpr_kernarg_segment_ptr 1
		.amdhsa_user_sgpr_dispatch_id 0
		.amdhsa_user_sgpr_flat_scratch_init 0
		.amdhsa_user_sgpr_kernarg_preload_length 0
		.amdhsa_user_sgpr_kernarg_preload_offset 0
		.amdhsa_user_sgpr_private_segment_size 0
		.amdhsa_uses_dynamic_stack 0
		.amdhsa_system_sgpr_private_segment_wavefront_offset 0
		.amdhsa_system_sgpr_workgroup_id_x 1
		.amdhsa_system_sgpr_workgroup_id_y 0
		.amdhsa_system_sgpr_workgroup_id_z 0
		.amdhsa_system_sgpr_workgroup_info 0
		.amdhsa_system_vgpr_workitem_id 0
		.amdhsa_next_free_vgpr 1
		.amdhsa_next_free_sgpr 0
		.amdhsa_accum_offset 4
		.amdhsa_reserve_vcc 0
		.amdhsa_reserve_flat_scratch 0
		.amdhsa_float_round_mode_32 0
		.amdhsa_float_round_mode_16_64 0
		.amdhsa_float_denorm_mode_32 3
		.amdhsa_float_denorm_mode_16_64 3
		.amdhsa_dx10_clamp 1
		.amdhsa_ieee_mode 1
		.amdhsa_fp16_overflow 0
		.amdhsa_tg_split 0
		.amdhsa_exception_fp_ieee_invalid_op 0
		.amdhsa_exception_fp_denorm_src 0
		.amdhsa_exception_fp_ieee_div_zero 0
		.amdhsa_exception_fp_ieee_overflow 0
		.amdhsa_exception_fp_ieee_underflow 0
		.amdhsa_exception_fp_ieee_inexact 0
		.amdhsa_exception_int_div_zero 0
	.end_amdhsa_kernel
	.section	.text._ZN7rocprim17ROCPRIM_400000_NS6detail17trampoline_kernelINS0_14default_configENS1_25partition_config_selectorILNS1_17partition_subalgoE0EjNS0_10empty_typeEbEEZZNS1_14partition_implILS5_0ELb0ES3_jN6thrust23THRUST_200600_302600_NS6detail15normal_iteratorINSA_10device_ptrIjEEEEPS6_SG_NS0_5tupleIJSF_NSA_16discard_iteratorINSA_11use_defaultEEEEEENSH_IJSG_SG_EEES6_PlJ7is_evenIjEEEE10hipError_tPvRmT3_T4_T5_T6_T7_T9_mT8_P12ihipStream_tbDpT10_ENKUlT_T0_E_clISt17integral_constantIbLb0EES18_IbLb1EEEEDaS14_S15_EUlS14_E_NS1_11comp_targetILNS1_3genE10ELNS1_11target_archE1200ELNS1_3gpuE4ELNS1_3repE0EEENS1_30default_config_static_selectorELNS0_4arch9wavefront6targetE1EEEvT1_,"axG",@progbits,_ZN7rocprim17ROCPRIM_400000_NS6detail17trampoline_kernelINS0_14default_configENS1_25partition_config_selectorILNS1_17partition_subalgoE0EjNS0_10empty_typeEbEEZZNS1_14partition_implILS5_0ELb0ES3_jN6thrust23THRUST_200600_302600_NS6detail15normal_iteratorINSA_10device_ptrIjEEEEPS6_SG_NS0_5tupleIJSF_NSA_16discard_iteratorINSA_11use_defaultEEEEEENSH_IJSG_SG_EEES6_PlJ7is_evenIjEEEE10hipError_tPvRmT3_T4_T5_T6_T7_T9_mT8_P12ihipStream_tbDpT10_ENKUlT_T0_E_clISt17integral_constantIbLb0EES18_IbLb1EEEEDaS14_S15_EUlS14_E_NS1_11comp_targetILNS1_3genE10ELNS1_11target_archE1200ELNS1_3gpuE4ELNS1_3repE0EEENS1_30default_config_static_selectorELNS0_4arch9wavefront6targetE1EEEvT1_,comdat
.Lfunc_end2456:
	.size	_ZN7rocprim17ROCPRIM_400000_NS6detail17trampoline_kernelINS0_14default_configENS1_25partition_config_selectorILNS1_17partition_subalgoE0EjNS0_10empty_typeEbEEZZNS1_14partition_implILS5_0ELb0ES3_jN6thrust23THRUST_200600_302600_NS6detail15normal_iteratorINSA_10device_ptrIjEEEEPS6_SG_NS0_5tupleIJSF_NSA_16discard_iteratorINSA_11use_defaultEEEEEENSH_IJSG_SG_EEES6_PlJ7is_evenIjEEEE10hipError_tPvRmT3_T4_T5_T6_T7_T9_mT8_P12ihipStream_tbDpT10_ENKUlT_T0_E_clISt17integral_constantIbLb0EES18_IbLb1EEEEDaS14_S15_EUlS14_E_NS1_11comp_targetILNS1_3genE10ELNS1_11target_archE1200ELNS1_3gpuE4ELNS1_3repE0EEENS1_30default_config_static_selectorELNS0_4arch9wavefront6targetE1EEEvT1_, .Lfunc_end2456-_ZN7rocprim17ROCPRIM_400000_NS6detail17trampoline_kernelINS0_14default_configENS1_25partition_config_selectorILNS1_17partition_subalgoE0EjNS0_10empty_typeEbEEZZNS1_14partition_implILS5_0ELb0ES3_jN6thrust23THRUST_200600_302600_NS6detail15normal_iteratorINSA_10device_ptrIjEEEEPS6_SG_NS0_5tupleIJSF_NSA_16discard_iteratorINSA_11use_defaultEEEEEENSH_IJSG_SG_EEES6_PlJ7is_evenIjEEEE10hipError_tPvRmT3_T4_T5_T6_T7_T9_mT8_P12ihipStream_tbDpT10_ENKUlT_T0_E_clISt17integral_constantIbLb0EES18_IbLb1EEEEDaS14_S15_EUlS14_E_NS1_11comp_targetILNS1_3genE10ELNS1_11target_archE1200ELNS1_3gpuE4ELNS1_3repE0EEENS1_30default_config_static_selectorELNS0_4arch9wavefront6targetE1EEEvT1_
                                        ; -- End function
	.section	.AMDGPU.csdata,"",@progbits
; Kernel info:
; codeLenInByte = 0
; NumSgprs: 4
; NumVgprs: 0
; NumAgprs: 0
; TotalNumVgprs: 0
; ScratchSize: 0
; MemoryBound: 0
; FloatMode: 240
; IeeeMode: 1
; LDSByteSize: 0 bytes/workgroup (compile time only)
; SGPRBlocks: 0
; VGPRBlocks: 0
; NumSGPRsForWavesPerEU: 4
; NumVGPRsForWavesPerEU: 1
; AccumOffset: 4
; Occupancy: 8
; WaveLimiterHint : 0
; COMPUTE_PGM_RSRC2:SCRATCH_EN: 0
; COMPUTE_PGM_RSRC2:USER_SGPR: 6
; COMPUTE_PGM_RSRC2:TRAP_HANDLER: 0
; COMPUTE_PGM_RSRC2:TGID_X_EN: 1
; COMPUTE_PGM_RSRC2:TGID_Y_EN: 0
; COMPUTE_PGM_RSRC2:TGID_Z_EN: 0
; COMPUTE_PGM_RSRC2:TIDIG_COMP_CNT: 0
; COMPUTE_PGM_RSRC3_GFX90A:ACCUM_OFFSET: 0
; COMPUTE_PGM_RSRC3_GFX90A:TG_SPLIT: 0
	.section	.text._ZN7rocprim17ROCPRIM_400000_NS6detail17trampoline_kernelINS0_14default_configENS1_25partition_config_selectorILNS1_17partition_subalgoE0EjNS0_10empty_typeEbEEZZNS1_14partition_implILS5_0ELb0ES3_jN6thrust23THRUST_200600_302600_NS6detail15normal_iteratorINSA_10device_ptrIjEEEEPS6_SG_NS0_5tupleIJSF_NSA_16discard_iteratorINSA_11use_defaultEEEEEENSH_IJSG_SG_EEES6_PlJ7is_evenIjEEEE10hipError_tPvRmT3_T4_T5_T6_T7_T9_mT8_P12ihipStream_tbDpT10_ENKUlT_T0_E_clISt17integral_constantIbLb0EES18_IbLb1EEEEDaS14_S15_EUlS14_E_NS1_11comp_targetILNS1_3genE9ELNS1_11target_archE1100ELNS1_3gpuE3ELNS1_3repE0EEENS1_30default_config_static_selectorELNS0_4arch9wavefront6targetE1EEEvT1_,"axG",@progbits,_ZN7rocprim17ROCPRIM_400000_NS6detail17trampoline_kernelINS0_14default_configENS1_25partition_config_selectorILNS1_17partition_subalgoE0EjNS0_10empty_typeEbEEZZNS1_14partition_implILS5_0ELb0ES3_jN6thrust23THRUST_200600_302600_NS6detail15normal_iteratorINSA_10device_ptrIjEEEEPS6_SG_NS0_5tupleIJSF_NSA_16discard_iteratorINSA_11use_defaultEEEEEENSH_IJSG_SG_EEES6_PlJ7is_evenIjEEEE10hipError_tPvRmT3_T4_T5_T6_T7_T9_mT8_P12ihipStream_tbDpT10_ENKUlT_T0_E_clISt17integral_constantIbLb0EES18_IbLb1EEEEDaS14_S15_EUlS14_E_NS1_11comp_targetILNS1_3genE9ELNS1_11target_archE1100ELNS1_3gpuE3ELNS1_3repE0EEENS1_30default_config_static_selectorELNS0_4arch9wavefront6targetE1EEEvT1_,comdat
	.protected	_ZN7rocprim17ROCPRIM_400000_NS6detail17trampoline_kernelINS0_14default_configENS1_25partition_config_selectorILNS1_17partition_subalgoE0EjNS0_10empty_typeEbEEZZNS1_14partition_implILS5_0ELb0ES3_jN6thrust23THRUST_200600_302600_NS6detail15normal_iteratorINSA_10device_ptrIjEEEEPS6_SG_NS0_5tupleIJSF_NSA_16discard_iteratorINSA_11use_defaultEEEEEENSH_IJSG_SG_EEES6_PlJ7is_evenIjEEEE10hipError_tPvRmT3_T4_T5_T6_T7_T9_mT8_P12ihipStream_tbDpT10_ENKUlT_T0_E_clISt17integral_constantIbLb0EES18_IbLb1EEEEDaS14_S15_EUlS14_E_NS1_11comp_targetILNS1_3genE9ELNS1_11target_archE1100ELNS1_3gpuE3ELNS1_3repE0EEENS1_30default_config_static_selectorELNS0_4arch9wavefront6targetE1EEEvT1_ ; -- Begin function _ZN7rocprim17ROCPRIM_400000_NS6detail17trampoline_kernelINS0_14default_configENS1_25partition_config_selectorILNS1_17partition_subalgoE0EjNS0_10empty_typeEbEEZZNS1_14partition_implILS5_0ELb0ES3_jN6thrust23THRUST_200600_302600_NS6detail15normal_iteratorINSA_10device_ptrIjEEEEPS6_SG_NS0_5tupleIJSF_NSA_16discard_iteratorINSA_11use_defaultEEEEEENSH_IJSG_SG_EEES6_PlJ7is_evenIjEEEE10hipError_tPvRmT3_T4_T5_T6_T7_T9_mT8_P12ihipStream_tbDpT10_ENKUlT_T0_E_clISt17integral_constantIbLb0EES18_IbLb1EEEEDaS14_S15_EUlS14_E_NS1_11comp_targetILNS1_3genE9ELNS1_11target_archE1100ELNS1_3gpuE3ELNS1_3repE0EEENS1_30default_config_static_selectorELNS0_4arch9wavefront6targetE1EEEvT1_
	.globl	_ZN7rocprim17ROCPRIM_400000_NS6detail17trampoline_kernelINS0_14default_configENS1_25partition_config_selectorILNS1_17partition_subalgoE0EjNS0_10empty_typeEbEEZZNS1_14partition_implILS5_0ELb0ES3_jN6thrust23THRUST_200600_302600_NS6detail15normal_iteratorINSA_10device_ptrIjEEEEPS6_SG_NS0_5tupleIJSF_NSA_16discard_iteratorINSA_11use_defaultEEEEEENSH_IJSG_SG_EEES6_PlJ7is_evenIjEEEE10hipError_tPvRmT3_T4_T5_T6_T7_T9_mT8_P12ihipStream_tbDpT10_ENKUlT_T0_E_clISt17integral_constantIbLb0EES18_IbLb1EEEEDaS14_S15_EUlS14_E_NS1_11comp_targetILNS1_3genE9ELNS1_11target_archE1100ELNS1_3gpuE3ELNS1_3repE0EEENS1_30default_config_static_selectorELNS0_4arch9wavefront6targetE1EEEvT1_
	.p2align	8
	.type	_ZN7rocprim17ROCPRIM_400000_NS6detail17trampoline_kernelINS0_14default_configENS1_25partition_config_selectorILNS1_17partition_subalgoE0EjNS0_10empty_typeEbEEZZNS1_14partition_implILS5_0ELb0ES3_jN6thrust23THRUST_200600_302600_NS6detail15normal_iteratorINSA_10device_ptrIjEEEEPS6_SG_NS0_5tupleIJSF_NSA_16discard_iteratorINSA_11use_defaultEEEEEENSH_IJSG_SG_EEES6_PlJ7is_evenIjEEEE10hipError_tPvRmT3_T4_T5_T6_T7_T9_mT8_P12ihipStream_tbDpT10_ENKUlT_T0_E_clISt17integral_constantIbLb0EES18_IbLb1EEEEDaS14_S15_EUlS14_E_NS1_11comp_targetILNS1_3genE9ELNS1_11target_archE1100ELNS1_3gpuE3ELNS1_3repE0EEENS1_30default_config_static_selectorELNS0_4arch9wavefront6targetE1EEEvT1_,@function
_ZN7rocprim17ROCPRIM_400000_NS6detail17trampoline_kernelINS0_14default_configENS1_25partition_config_selectorILNS1_17partition_subalgoE0EjNS0_10empty_typeEbEEZZNS1_14partition_implILS5_0ELb0ES3_jN6thrust23THRUST_200600_302600_NS6detail15normal_iteratorINSA_10device_ptrIjEEEEPS6_SG_NS0_5tupleIJSF_NSA_16discard_iteratorINSA_11use_defaultEEEEEENSH_IJSG_SG_EEES6_PlJ7is_evenIjEEEE10hipError_tPvRmT3_T4_T5_T6_T7_T9_mT8_P12ihipStream_tbDpT10_ENKUlT_T0_E_clISt17integral_constantIbLb0EES18_IbLb1EEEEDaS14_S15_EUlS14_E_NS1_11comp_targetILNS1_3genE9ELNS1_11target_archE1100ELNS1_3gpuE3ELNS1_3repE0EEENS1_30default_config_static_selectorELNS0_4arch9wavefront6targetE1EEEvT1_: ; @_ZN7rocprim17ROCPRIM_400000_NS6detail17trampoline_kernelINS0_14default_configENS1_25partition_config_selectorILNS1_17partition_subalgoE0EjNS0_10empty_typeEbEEZZNS1_14partition_implILS5_0ELb0ES3_jN6thrust23THRUST_200600_302600_NS6detail15normal_iteratorINSA_10device_ptrIjEEEEPS6_SG_NS0_5tupleIJSF_NSA_16discard_iteratorINSA_11use_defaultEEEEEENSH_IJSG_SG_EEES6_PlJ7is_evenIjEEEE10hipError_tPvRmT3_T4_T5_T6_T7_T9_mT8_P12ihipStream_tbDpT10_ENKUlT_T0_E_clISt17integral_constantIbLb0EES18_IbLb1EEEEDaS14_S15_EUlS14_E_NS1_11comp_targetILNS1_3genE9ELNS1_11target_archE1100ELNS1_3gpuE3ELNS1_3repE0EEENS1_30default_config_static_selectorELNS0_4arch9wavefront6targetE1EEEvT1_
; %bb.0:
	.section	.rodata,"a",@progbits
	.p2align	6, 0x0
	.amdhsa_kernel _ZN7rocprim17ROCPRIM_400000_NS6detail17trampoline_kernelINS0_14default_configENS1_25partition_config_selectorILNS1_17partition_subalgoE0EjNS0_10empty_typeEbEEZZNS1_14partition_implILS5_0ELb0ES3_jN6thrust23THRUST_200600_302600_NS6detail15normal_iteratorINSA_10device_ptrIjEEEEPS6_SG_NS0_5tupleIJSF_NSA_16discard_iteratorINSA_11use_defaultEEEEEENSH_IJSG_SG_EEES6_PlJ7is_evenIjEEEE10hipError_tPvRmT3_T4_T5_T6_T7_T9_mT8_P12ihipStream_tbDpT10_ENKUlT_T0_E_clISt17integral_constantIbLb0EES18_IbLb1EEEEDaS14_S15_EUlS14_E_NS1_11comp_targetILNS1_3genE9ELNS1_11target_archE1100ELNS1_3gpuE3ELNS1_3repE0EEENS1_30default_config_static_selectorELNS0_4arch9wavefront6targetE1EEEvT1_
		.amdhsa_group_segment_fixed_size 0
		.amdhsa_private_segment_fixed_size 0
		.amdhsa_kernarg_size 144
		.amdhsa_user_sgpr_count 6
		.amdhsa_user_sgpr_private_segment_buffer 1
		.amdhsa_user_sgpr_dispatch_ptr 0
		.amdhsa_user_sgpr_queue_ptr 0
		.amdhsa_user_sgpr_kernarg_segment_ptr 1
		.amdhsa_user_sgpr_dispatch_id 0
		.amdhsa_user_sgpr_flat_scratch_init 0
		.amdhsa_user_sgpr_kernarg_preload_length 0
		.amdhsa_user_sgpr_kernarg_preload_offset 0
		.amdhsa_user_sgpr_private_segment_size 0
		.amdhsa_uses_dynamic_stack 0
		.amdhsa_system_sgpr_private_segment_wavefront_offset 0
		.amdhsa_system_sgpr_workgroup_id_x 1
		.amdhsa_system_sgpr_workgroup_id_y 0
		.amdhsa_system_sgpr_workgroup_id_z 0
		.amdhsa_system_sgpr_workgroup_info 0
		.amdhsa_system_vgpr_workitem_id 0
		.amdhsa_next_free_vgpr 1
		.amdhsa_next_free_sgpr 0
		.amdhsa_accum_offset 4
		.amdhsa_reserve_vcc 0
		.amdhsa_reserve_flat_scratch 0
		.amdhsa_float_round_mode_32 0
		.amdhsa_float_round_mode_16_64 0
		.amdhsa_float_denorm_mode_32 3
		.amdhsa_float_denorm_mode_16_64 3
		.amdhsa_dx10_clamp 1
		.amdhsa_ieee_mode 1
		.amdhsa_fp16_overflow 0
		.amdhsa_tg_split 0
		.amdhsa_exception_fp_ieee_invalid_op 0
		.amdhsa_exception_fp_denorm_src 0
		.amdhsa_exception_fp_ieee_div_zero 0
		.amdhsa_exception_fp_ieee_overflow 0
		.amdhsa_exception_fp_ieee_underflow 0
		.amdhsa_exception_fp_ieee_inexact 0
		.amdhsa_exception_int_div_zero 0
	.end_amdhsa_kernel
	.section	.text._ZN7rocprim17ROCPRIM_400000_NS6detail17trampoline_kernelINS0_14default_configENS1_25partition_config_selectorILNS1_17partition_subalgoE0EjNS0_10empty_typeEbEEZZNS1_14partition_implILS5_0ELb0ES3_jN6thrust23THRUST_200600_302600_NS6detail15normal_iteratorINSA_10device_ptrIjEEEEPS6_SG_NS0_5tupleIJSF_NSA_16discard_iteratorINSA_11use_defaultEEEEEENSH_IJSG_SG_EEES6_PlJ7is_evenIjEEEE10hipError_tPvRmT3_T4_T5_T6_T7_T9_mT8_P12ihipStream_tbDpT10_ENKUlT_T0_E_clISt17integral_constantIbLb0EES18_IbLb1EEEEDaS14_S15_EUlS14_E_NS1_11comp_targetILNS1_3genE9ELNS1_11target_archE1100ELNS1_3gpuE3ELNS1_3repE0EEENS1_30default_config_static_selectorELNS0_4arch9wavefront6targetE1EEEvT1_,"axG",@progbits,_ZN7rocprim17ROCPRIM_400000_NS6detail17trampoline_kernelINS0_14default_configENS1_25partition_config_selectorILNS1_17partition_subalgoE0EjNS0_10empty_typeEbEEZZNS1_14partition_implILS5_0ELb0ES3_jN6thrust23THRUST_200600_302600_NS6detail15normal_iteratorINSA_10device_ptrIjEEEEPS6_SG_NS0_5tupleIJSF_NSA_16discard_iteratorINSA_11use_defaultEEEEEENSH_IJSG_SG_EEES6_PlJ7is_evenIjEEEE10hipError_tPvRmT3_T4_T5_T6_T7_T9_mT8_P12ihipStream_tbDpT10_ENKUlT_T0_E_clISt17integral_constantIbLb0EES18_IbLb1EEEEDaS14_S15_EUlS14_E_NS1_11comp_targetILNS1_3genE9ELNS1_11target_archE1100ELNS1_3gpuE3ELNS1_3repE0EEENS1_30default_config_static_selectorELNS0_4arch9wavefront6targetE1EEEvT1_,comdat
.Lfunc_end2457:
	.size	_ZN7rocprim17ROCPRIM_400000_NS6detail17trampoline_kernelINS0_14default_configENS1_25partition_config_selectorILNS1_17partition_subalgoE0EjNS0_10empty_typeEbEEZZNS1_14partition_implILS5_0ELb0ES3_jN6thrust23THRUST_200600_302600_NS6detail15normal_iteratorINSA_10device_ptrIjEEEEPS6_SG_NS0_5tupleIJSF_NSA_16discard_iteratorINSA_11use_defaultEEEEEENSH_IJSG_SG_EEES6_PlJ7is_evenIjEEEE10hipError_tPvRmT3_T4_T5_T6_T7_T9_mT8_P12ihipStream_tbDpT10_ENKUlT_T0_E_clISt17integral_constantIbLb0EES18_IbLb1EEEEDaS14_S15_EUlS14_E_NS1_11comp_targetILNS1_3genE9ELNS1_11target_archE1100ELNS1_3gpuE3ELNS1_3repE0EEENS1_30default_config_static_selectorELNS0_4arch9wavefront6targetE1EEEvT1_, .Lfunc_end2457-_ZN7rocprim17ROCPRIM_400000_NS6detail17trampoline_kernelINS0_14default_configENS1_25partition_config_selectorILNS1_17partition_subalgoE0EjNS0_10empty_typeEbEEZZNS1_14partition_implILS5_0ELb0ES3_jN6thrust23THRUST_200600_302600_NS6detail15normal_iteratorINSA_10device_ptrIjEEEEPS6_SG_NS0_5tupleIJSF_NSA_16discard_iteratorINSA_11use_defaultEEEEEENSH_IJSG_SG_EEES6_PlJ7is_evenIjEEEE10hipError_tPvRmT3_T4_T5_T6_T7_T9_mT8_P12ihipStream_tbDpT10_ENKUlT_T0_E_clISt17integral_constantIbLb0EES18_IbLb1EEEEDaS14_S15_EUlS14_E_NS1_11comp_targetILNS1_3genE9ELNS1_11target_archE1100ELNS1_3gpuE3ELNS1_3repE0EEENS1_30default_config_static_selectorELNS0_4arch9wavefront6targetE1EEEvT1_
                                        ; -- End function
	.section	.AMDGPU.csdata,"",@progbits
; Kernel info:
; codeLenInByte = 0
; NumSgprs: 4
; NumVgprs: 0
; NumAgprs: 0
; TotalNumVgprs: 0
; ScratchSize: 0
; MemoryBound: 0
; FloatMode: 240
; IeeeMode: 1
; LDSByteSize: 0 bytes/workgroup (compile time only)
; SGPRBlocks: 0
; VGPRBlocks: 0
; NumSGPRsForWavesPerEU: 4
; NumVGPRsForWavesPerEU: 1
; AccumOffset: 4
; Occupancy: 8
; WaveLimiterHint : 0
; COMPUTE_PGM_RSRC2:SCRATCH_EN: 0
; COMPUTE_PGM_RSRC2:USER_SGPR: 6
; COMPUTE_PGM_RSRC2:TRAP_HANDLER: 0
; COMPUTE_PGM_RSRC2:TGID_X_EN: 1
; COMPUTE_PGM_RSRC2:TGID_Y_EN: 0
; COMPUTE_PGM_RSRC2:TGID_Z_EN: 0
; COMPUTE_PGM_RSRC2:TIDIG_COMP_CNT: 0
; COMPUTE_PGM_RSRC3_GFX90A:ACCUM_OFFSET: 0
; COMPUTE_PGM_RSRC3_GFX90A:TG_SPLIT: 0
	.section	.text._ZN7rocprim17ROCPRIM_400000_NS6detail17trampoline_kernelINS0_14default_configENS1_25partition_config_selectorILNS1_17partition_subalgoE0EjNS0_10empty_typeEbEEZZNS1_14partition_implILS5_0ELb0ES3_jN6thrust23THRUST_200600_302600_NS6detail15normal_iteratorINSA_10device_ptrIjEEEEPS6_SG_NS0_5tupleIJSF_NSA_16discard_iteratorINSA_11use_defaultEEEEEENSH_IJSG_SG_EEES6_PlJ7is_evenIjEEEE10hipError_tPvRmT3_T4_T5_T6_T7_T9_mT8_P12ihipStream_tbDpT10_ENKUlT_T0_E_clISt17integral_constantIbLb0EES18_IbLb1EEEEDaS14_S15_EUlS14_E_NS1_11comp_targetILNS1_3genE8ELNS1_11target_archE1030ELNS1_3gpuE2ELNS1_3repE0EEENS1_30default_config_static_selectorELNS0_4arch9wavefront6targetE1EEEvT1_,"axG",@progbits,_ZN7rocprim17ROCPRIM_400000_NS6detail17trampoline_kernelINS0_14default_configENS1_25partition_config_selectorILNS1_17partition_subalgoE0EjNS0_10empty_typeEbEEZZNS1_14partition_implILS5_0ELb0ES3_jN6thrust23THRUST_200600_302600_NS6detail15normal_iteratorINSA_10device_ptrIjEEEEPS6_SG_NS0_5tupleIJSF_NSA_16discard_iteratorINSA_11use_defaultEEEEEENSH_IJSG_SG_EEES6_PlJ7is_evenIjEEEE10hipError_tPvRmT3_T4_T5_T6_T7_T9_mT8_P12ihipStream_tbDpT10_ENKUlT_T0_E_clISt17integral_constantIbLb0EES18_IbLb1EEEEDaS14_S15_EUlS14_E_NS1_11comp_targetILNS1_3genE8ELNS1_11target_archE1030ELNS1_3gpuE2ELNS1_3repE0EEENS1_30default_config_static_selectorELNS0_4arch9wavefront6targetE1EEEvT1_,comdat
	.protected	_ZN7rocprim17ROCPRIM_400000_NS6detail17trampoline_kernelINS0_14default_configENS1_25partition_config_selectorILNS1_17partition_subalgoE0EjNS0_10empty_typeEbEEZZNS1_14partition_implILS5_0ELb0ES3_jN6thrust23THRUST_200600_302600_NS6detail15normal_iteratorINSA_10device_ptrIjEEEEPS6_SG_NS0_5tupleIJSF_NSA_16discard_iteratorINSA_11use_defaultEEEEEENSH_IJSG_SG_EEES6_PlJ7is_evenIjEEEE10hipError_tPvRmT3_T4_T5_T6_T7_T9_mT8_P12ihipStream_tbDpT10_ENKUlT_T0_E_clISt17integral_constantIbLb0EES18_IbLb1EEEEDaS14_S15_EUlS14_E_NS1_11comp_targetILNS1_3genE8ELNS1_11target_archE1030ELNS1_3gpuE2ELNS1_3repE0EEENS1_30default_config_static_selectorELNS0_4arch9wavefront6targetE1EEEvT1_ ; -- Begin function _ZN7rocprim17ROCPRIM_400000_NS6detail17trampoline_kernelINS0_14default_configENS1_25partition_config_selectorILNS1_17partition_subalgoE0EjNS0_10empty_typeEbEEZZNS1_14partition_implILS5_0ELb0ES3_jN6thrust23THRUST_200600_302600_NS6detail15normal_iteratorINSA_10device_ptrIjEEEEPS6_SG_NS0_5tupleIJSF_NSA_16discard_iteratorINSA_11use_defaultEEEEEENSH_IJSG_SG_EEES6_PlJ7is_evenIjEEEE10hipError_tPvRmT3_T4_T5_T6_T7_T9_mT8_P12ihipStream_tbDpT10_ENKUlT_T0_E_clISt17integral_constantIbLb0EES18_IbLb1EEEEDaS14_S15_EUlS14_E_NS1_11comp_targetILNS1_3genE8ELNS1_11target_archE1030ELNS1_3gpuE2ELNS1_3repE0EEENS1_30default_config_static_selectorELNS0_4arch9wavefront6targetE1EEEvT1_
	.globl	_ZN7rocprim17ROCPRIM_400000_NS6detail17trampoline_kernelINS0_14default_configENS1_25partition_config_selectorILNS1_17partition_subalgoE0EjNS0_10empty_typeEbEEZZNS1_14partition_implILS5_0ELb0ES3_jN6thrust23THRUST_200600_302600_NS6detail15normal_iteratorINSA_10device_ptrIjEEEEPS6_SG_NS0_5tupleIJSF_NSA_16discard_iteratorINSA_11use_defaultEEEEEENSH_IJSG_SG_EEES6_PlJ7is_evenIjEEEE10hipError_tPvRmT3_T4_T5_T6_T7_T9_mT8_P12ihipStream_tbDpT10_ENKUlT_T0_E_clISt17integral_constantIbLb0EES18_IbLb1EEEEDaS14_S15_EUlS14_E_NS1_11comp_targetILNS1_3genE8ELNS1_11target_archE1030ELNS1_3gpuE2ELNS1_3repE0EEENS1_30default_config_static_selectorELNS0_4arch9wavefront6targetE1EEEvT1_
	.p2align	8
	.type	_ZN7rocprim17ROCPRIM_400000_NS6detail17trampoline_kernelINS0_14default_configENS1_25partition_config_selectorILNS1_17partition_subalgoE0EjNS0_10empty_typeEbEEZZNS1_14partition_implILS5_0ELb0ES3_jN6thrust23THRUST_200600_302600_NS6detail15normal_iteratorINSA_10device_ptrIjEEEEPS6_SG_NS0_5tupleIJSF_NSA_16discard_iteratorINSA_11use_defaultEEEEEENSH_IJSG_SG_EEES6_PlJ7is_evenIjEEEE10hipError_tPvRmT3_T4_T5_T6_T7_T9_mT8_P12ihipStream_tbDpT10_ENKUlT_T0_E_clISt17integral_constantIbLb0EES18_IbLb1EEEEDaS14_S15_EUlS14_E_NS1_11comp_targetILNS1_3genE8ELNS1_11target_archE1030ELNS1_3gpuE2ELNS1_3repE0EEENS1_30default_config_static_selectorELNS0_4arch9wavefront6targetE1EEEvT1_,@function
_ZN7rocprim17ROCPRIM_400000_NS6detail17trampoline_kernelINS0_14default_configENS1_25partition_config_selectorILNS1_17partition_subalgoE0EjNS0_10empty_typeEbEEZZNS1_14partition_implILS5_0ELb0ES3_jN6thrust23THRUST_200600_302600_NS6detail15normal_iteratorINSA_10device_ptrIjEEEEPS6_SG_NS0_5tupleIJSF_NSA_16discard_iteratorINSA_11use_defaultEEEEEENSH_IJSG_SG_EEES6_PlJ7is_evenIjEEEE10hipError_tPvRmT3_T4_T5_T6_T7_T9_mT8_P12ihipStream_tbDpT10_ENKUlT_T0_E_clISt17integral_constantIbLb0EES18_IbLb1EEEEDaS14_S15_EUlS14_E_NS1_11comp_targetILNS1_3genE8ELNS1_11target_archE1030ELNS1_3gpuE2ELNS1_3repE0EEENS1_30default_config_static_selectorELNS0_4arch9wavefront6targetE1EEEvT1_: ; @_ZN7rocprim17ROCPRIM_400000_NS6detail17trampoline_kernelINS0_14default_configENS1_25partition_config_selectorILNS1_17partition_subalgoE0EjNS0_10empty_typeEbEEZZNS1_14partition_implILS5_0ELb0ES3_jN6thrust23THRUST_200600_302600_NS6detail15normal_iteratorINSA_10device_ptrIjEEEEPS6_SG_NS0_5tupleIJSF_NSA_16discard_iteratorINSA_11use_defaultEEEEEENSH_IJSG_SG_EEES6_PlJ7is_evenIjEEEE10hipError_tPvRmT3_T4_T5_T6_T7_T9_mT8_P12ihipStream_tbDpT10_ENKUlT_T0_E_clISt17integral_constantIbLb0EES18_IbLb1EEEEDaS14_S15_EUlS14_E_NS1_11comp_targetILNS1_3genE8ELNS1_11target_archE1030ELNS1_3gpuE2ELNS1_3repE0EEENS1_30default_config_static_selectorELNS0_4arch9wavefront6targetE1EEEvT1_
; %bb.0:
	.section	.rodata,"a",@progbits
	.p2align	6, 0x0
	.amdhsa_kernel _ZN7rocprim17ROCPRIM_400000_NS6detail17trampoline_kernelINS0_14default_configENS1_25partition_config_selectorILNS1_17partition_subalgoE0EjNS0_10empty_typeEbEEZZNS1_14partition_implILS5_0ELb0ES3_jN6thrust23THRUST_200600_302600_NS6detail15normal_iteratorINSA_10device_ptrIjEEEEPS6_SG_NS0_5tupleIJSF_NSA_16discard_iteratorINSA_11use_defaultEEEEEENSH_IJSG_SG_EEES6_PlJ7is_evenIjEEEE10hipError_tPvRmT3_T4_T5_T6_T7_T9_mT8_P12ihipStream_tbDpT10_ENKUlT_T0_E_clISt17integral_constantIbLb0EES18_IbLb1EEEEDaS14_S15_EUlS14_E_NS1_11comp_targetILNS1_3genE8ELNS1_11target_archE1030ELNS1_3gpuE2ELNS1_3repE0EEENS1_30default_config_static_selectorELNS0_4arch9wavefront6targetE1EEEvT1_
		.amdhsa_group_segment_fixed_size 0
		.amdhsa_private_segment_fixed_size 0
		.amdhsa_kernarg_size 144
		.amdhsa_user_sgpr_count 6
		.amdhsa_user_sgpr_private_segment_buffer 1
		.amdhsa_user_sgpr_dispatch_ptr 0
		.amdhsa_user_sgpr_queue_ptr 0
		.amdhsa_user_sgpr_kernarg_segment_ptr 1
		.amdhsa_user_sgpr_dispatch_id 0
		.amdhsa_user_sgpr_flat_scratch_init 0
		.amdhsa_user_sgpr_kernarg_preload_length 0
		.amdhsa_user_sgpr_kernarg_preload_offset 0
		.amdhsa_user_sgpr_private_segment_size 0
		.amdhsa_uses_dynamic_stack 0
		.amdhsa_system_sgpr_private_segment_wavefront_offset 0
		.amdhsa_system_sgpr_workgroup_id_x 1
		.amdhsa_system_sgpr_workgroup_id_y 0
		.amdhsa_system_sgpr_workgroup_id_z 0
		.amdhsa_system_sgpr_workgroup_info 0
		.amdhsa_system_vgpr_workitem_id 0
		.amdhsa_next_free_vgpr 1
		.amdhsa_next_free_sgpr 0
		.amdhsa_accum_offset 4
		.amdhsa_reserve_vcc 0
		.amdhsa_reserve_flat_scratch 0
		.amdhsa_float_round_mode_32 0
		.amdhsa_float_round_mode_16_64 0
		.amdhsa_float_denorm_mode_32 3
		.amdhsa_float_denorm_mode_16_64 3
		.amdhsa_dx10_clamp 1
		.amdhsa_ieee_mode 1
		.amdhsa_fp16_overflow 0
		.amdhsa_tg_split 0
		.amdhsa_exception_fp_ieee_invalid_op 0
		.amdhsa_exception_fp_denorm_src 0
		.amdhsa_exception_fp_ieee_div_zero 0
		.amdhsa_exception_fp_ieee_overflow 0
		.amdhsa_exception_fp_ieee_underflow 0
		.amdhsa_exception_fp_ieee_inexact 0
		.amdhsa_exception_int_div_zero 0
	.end_amdhsa_kernel
	.section	.text._ZN7rocprim17ROCPRIM_400000_NS6detail17trampoline_kernelINS0_14default_configENS1_25partition_config_selectorILNS1_17partition_subalgoE0EjNS0_10empty_typeEbEEZZNS1_14partition_implILS5_0ELb0ES3_jN6thrust23THRUST_200600_302600_NS6detail15normal_iteratorINSA_10device_ptrIjEEEEPS6_SG_NS0_5tupleIJSF_NSA_16discard_iteratorINSA_11use_defaultEEEEEENSH_IJSG_SG_EEES6_PlJ7is_evenIjEEEE10hipError_tPvRmT3_T4_T5_T6_T7_T9_mT8_P12ihipStream_tbDpT10_ENKUlT_T0_E_clISt17integral_constantIbLb0EES18_IbLb1EEEEDaS14_S15_EUlS14_E_NS1_11comp_targetILNS1_3genE8ELNS1_11target_archE1030ELNS1_3gpuE2ELNS1_3repE0EEENS1_30default_config_static_selectorELNS0_4arch9wavefront6targetE1EEEvT1_,"axG",@progbits,_ZN7rocprim17ROCPRIM_400000_NS6detail17trampoline_kernelINS0_14default_configENS1_25partition_config_selectorILNS1_17partition_subalgoE0EjNS0_10empty_typeEbEEZZNS1_14partition_implILS5_0ELb0ES3_jN6thrust23THRUST_200600_302600_NS6detail15normal_iteratorINSA_10device_ptrIjEEEEPS6_SG_NS0_5tupleIJSF_NSA_16discard_iteratorINSA_11use_defaultEEEEEENSH_IJSG_SG_EEES6_PlJ7is_evenIjEEEE10hipError_tPvRmT3_T4_T5_T6_T7_T9_mT8_P12ihipStream_tbDpT10_ENKUlT_T0_E_clISt17integral_constantIbLb0EES18_IbLb1EEEEDaS14_S15_EUlS14_E_NS1_11comp_targetILNS1_3genE8ELNS1_11target_archE1030ELNS1_3gpuE2ELNS1_3repE0EEENS1_30default_config_static_selectorELNS0_4arch9wavefront6targetE1EEEvT1_,comdat
.Lfunc_end2458:
	.size	_ZN7rocprim17ROCPRIM_400000_NS6detail17trampoline_kernelINS0_14default_configENS1_25partition_config_selectorILNS1_17partition_subalgoE0EjNS0_10empty_typeEbEEZZNS1_14partition_implILS5_0ELb0ES3_jN6thrust23THRUST_200600_302600_NS6detail15normal_iteratorINSA_10device_ptrIjEEEEPS6_SG_NS0_5tupleIJSF_NSA_16discard_iteratorINSA_11use_defaultEEEEEENSH_IJSG_SG_EEES6_PlJ7is_evenIjEEEE10hipError_tPvRmT3_T4_T5_T6_T7_T9_mT8_P12ihipStream_tbDpT10_ENKUlT_T0_E_clISt17integral_constantIbLb0EES18_IbLb1EEEEDaS14_S15_EUlS14_E_NS1_11comp_targetILNS1_3genE8ELNS1_11target_archE1030ELNS1_3gpuE2ELNS1_3repE0EEENS1_30default_config_static_selectorELNS0_4arch9wavefront6targetE1EEEvT1_, .Lfunc_end2458-_ZN7rocprim17ROCPRIM_400000_NS6detail17trampoline_kernelINS0_14default_configENS1_25partition_config_selectorILNS1_17partition_subalgoE0EjNS0_10empty_typeEbEEZZNS1_14partition_implILS5_0ELb0ES3_jN6thrust23THRUST_200600_302600_NS6detail15normal_iteratorINSA_10device_ptrIjEEEEPS6_SG_NS0_5tupleIJSF_NSA_16discard_iteratorINSA_11use_defaultEEEEEENSH_IJSG_SG_EEES6_PlJ7is_evenIjEEEE10hipError_tPvRmT3_T4_T5_T6_T7_T9_mT8_P12ihipStream_tbDpT10_ENKUlT_T0_E_clISt17integral_constantIbLb0EES18_IbLb1EEEEDaS14_S15_EUlS14_E_NS1_11comp_targetILNS1_3genE8ELNS1_11target_archE1030ELNS1_3gpuE2ELNS1_3repE0EEENS1_30default_config_static_selectorELNS0_4arch9wavefront6targetE1EEEvT1_
                                        ; -- End function
	.section	.AMDGPU.csdata,"",@progbits
; Kernel info:
; codeLenInByte = 0
; NumSgprs: 4
; NumVgprs: 0
; NumAgprs: 0
; TotalNumVgprs: 0
; ScratchSize: 0
; MemoryBound: 0
; FloatMode: 240
; IeeeMode: 1
; LDSByteSize: 0 bytes/workgroup (compile time only)
; SGPRBlocks: 0
; VGPRBlocks: 0
; NumSGPRsForWavesPerEU: 4
; NumVGPRsForWavesPerEU: 1
; AccumOffset: 4
; Occupancy: 8
; WaveLimiterHint : 0
; COMPUTE_PGM_RSRC2:SCRATCH_EN: 0
; COMPUTE_PGM_RSRC2:USER_SGPR: 6
; COMPUTE_PGM_RSRC2:TRAP_HANDLER: 0
; COMPUTE_PGM_RSRC2:TGID_X_EN: 1
; COMPUTE_PGM_RSRC2:TGID_Y_EN: 0
; COMPUTE_PGM_RSRC2:TGID_Z_EN: 0
; COMPUTE_PGM_RSRC2:TIDIG_COMP_CNT: 0
; COMPUTE_PGM_RSRC3_GFX90A:ACCUM_OFFSET: 0
; COMPUTE_PGM_RSRC3_GFX90A:TG_SPLIT: 0
	.section	.text._ZN7rocprim17ROCPRIM_400000_NS6detail17trampoline_kernelINS0_14default_configENS1_25partition_config_selectorILNS1_17partition_subalgoE0EjNS0_10empty_typeEbEEZZNS1_14partition_implILS5_0ELb0ES3_jN6thrust23THRUST_200600_302600_NS6detail15normal_iteratorINSA_10device_ptrIjEEEEPS6_SG_NS0_5tupleIJNSA_16discard_iteratorINSA_11use_defaultEEESF_EEENSH_IJSG_SG_EEES6_PlJ7is_evenIjEEEE10hipError_tPvRmT3_T4_T5_T6_T7_T9_mT8_P12ihipStream_tbDpT10_ENKUlT_T0_E_clISt17integral_constantIbLb0EES19_EEDaS14_S15_EUlS14_E_NS1_11comp_targetILNS1_3genE0ELNS1_11target_archE4294967295ELNS1_3gpuE0ELNS1_3repE0EEENS1_30default_config_static_selectorELNS0_4arch9wavefront6targetE1EEEvT1_,"axG",@progbits,_ZN7rocprim17ROCPRIM_400000_NS6detail17trampoline_kernelINS0_14default_configENS1_25partition_config_selectorILNS1_17partition_subalgoE0EjNS0_10empty_typeEbEEZZNS1_14partition_implILS5_0ELb0ES3_jN6thrust23THRUST_200600_302600_NS6detail15normal_iteratorINSA_10device_ptrIjEEEEPS6_SG_NS0_5tupleIJNSA_16discard_iteratorINSA_11use_defaultEEESF_EEENSH_IJSG_SG_EEES6_PlJ7is_evenIjEEEE10hipError_tPvRmT3_T4_T5_T6_T7_T9_mT8_P12ihipStream_tbDpT10_ENKUlT_T0_E_clISt17integral_constantIbLb0EES19_EEDaS14_S15_EUlS14_E_NS1_11comp_targetILNS1_3genE0ELNS1_11target_archE4294967295ELNS1_3gpuE0ELNS1_3repE0EEENS1_30default_config_static_selectorELNS0_4arch9wavefront6targetE1EEEvT1_,comdat
	.protected	_ZN7rocprim17ROCPRIM_400000_NS6detail17trampoline_kernelINS0_14default_configENS1_25partition_config_selectorILNS1_17partition_subalgoE0EjNS0_10empty_typeEbEEZZNS1_14partition_implILS5_0ELb0ES3_jN6thrust23THRUST_200600_302600_NS6detail15normal_iteratorINSA_10device_ptrIjEEEEPS6_SG_NS0_5tupleIJNSA_16discard_iteratorINSA_11use_defaultEEESF_EEENSH_IJSG_SG_EEES6_PlJ7is_evenIjEEEE10hipError_tPvRmT3_T4_T5_T6_T7_T9_mT8_P12ihipStream_tbDpT10_ENKUlT_T0_E_clISt17integral_constantIbLb0EES19_EEDaS14_S15_EUlS14_E_NS1_11comp_targetILNS1_3genE0ELNS1_11target_archE4294967295ELNS1_3gpuE0ELNS1_3repE0EEENS1_30default_config_static_selectorELNS0_4arch9wavefront6targetE1EEEvT1_ ; -- Begin function _ZN7rocprim17ROCPRIM_400000_NS6detail17trampoline_kernelINS0_14default_configENS1_25partition_config_selectorILNS1_17partition_subalgoE0EjNS0_10empty_typeEbEEZZNS1_14partition_implILS5_0ELb0ES3_jN6thrust23THRUST_200600_302600_NS6detail15normal_iteratorINSA_10device_ptrIjEEEEPS6_SG_NS0_5tupleIJNSA_16discard_iteratorINSA_11use_defaultEEESF_EEENSH_IJSG_SG_EEES6_PlJ7is_evenIjEEEE10hipError_tPvRmT3_T4_T5_T6_T7_T9_mT8_P12ihipStream_tbDpT10_ENKUlT_T0_E_clISt17integral_constantIbLb0EES19_EEDaS14_S15_EUlS14_E_NS1_11comp_targetILNS1_3genE0ELNS1_11target_archE4294967295ELNS1_3gpuE0ELNS1_3repE0EEENS1_30default_config_static_selectorELNS0_4arch9wavefront6targetE1EEEvT1_
	.globl	_ZN7rocprim17ROCPRIM_400000_NS6detail17trampoline_kernelINS0_14default_configENS1_25partition_config_selectorILNS1_17partition_subalgoE0EjNS0_10empty_typeEbEEZZNS1_14partition_implILS5_0ELb0ES3_jN6thrust23THRUST_200600_302600_NS6detail15normal_iteratorINSA_10device_ptrIjEEEEPS6_SG_NS0_5tupleIJNSA_16discard_iteratorINSA_11use_defaultEEESF_EEENSH_IJSG_SG_EEES6_PlJ7is_evenIjEEEE10hipError_tPvRmT3_T4_T5_T6_T7_T9_mT8_P12ihipStream_tbDpT10_ENKUlT_T0_E_clISt17integral_constantIbLb0EES19_EEDaS14_S15_EUlS14_E_NS1_11comp_targetILNS1_3genE0ELNS1_11target_archE4294967295ELNS1_3gpuE0ELNS1_3repE0EEENS1_30default_config_static_selectorELNS0_4arch9wavefront6targetE1EEEvT1_
	.p2align	8
	.type	_ZN7rocprim17ROCPRIM_400000_NS6detail17trampoline_kernelINS0_14default_configENS1_25partition_config_selectorILNS1_17partition_subalgoE0EjNS0_10empty_typeEbEEZZNS1_14partition_implILS5_0ELb0ES3_jN6thrust23THRUST_200600_302600_NS6detail15normal_iteratorINSA_10device_ptrIjEEEEPS6_SG_NS0_5tupleIJNSA_16discard_iteratorINSA_11use_defaultEEESF_EEENSH_IJSG_SG_EEES6_PlJ7is_evenIjEEEE10hipError_tPvRmT3_T4_T5_T6_T7_T9_mT8_P12ihipStream_tbDpT10_ENKUlT_T0_E_clISt17integral_constantIbLb0EES19_EEDaS14_S15_EUlS14_E_NS1_11comp_targetILNS1_3genE0ELNS1_11target_archE4294967295ELNS1_3gpuE0ELNS1_3repE0EEENS1_30default_config_static_selectorELNS0_4arch9wavefront6targetE1EEEvT1_,@function
_ZN7rocprim17ROCPRIM_400000_NS6detail17trampoline_kernelINS0_14default_configENS1_25partition_config_selectorILNS1_17partition_subalgoE0EjNS0_10empty_typeEbEEZZNS1_14partition_implILS5_0ELb0ES3_jN6thrust23THRUST_200600_302600_NS6detail15normal_iteratorINSA_10device_ptrIjEEEEPS6_SG_NS0_5tupleIJNSA_16discard_iteratorINSA_11use_defaultEEESF_EEENSH_IJSG_SG_EEES6_PlJ7is_evenIjEEEE10hipError_tPvRmT3_T4_T5_T6_T7_T9_mT8_P12ihipStream_tbDpT10_ENKUlT_T0_E_clISt17integral_constantIbLb0EES19_EEDaS14_S15_EUlS14_E_NS1_11comp_targetILNS1_3genE0ELNS1_11target_archE4294967295ELNS1_3gpuE0ELNS1_3repE0EEENS1_30default_config_static_selectorELNS0_4arch9wavefront6targetE1EEEvT1_: ; @_ZN7rocprim17ROCPRIM_400000_NS6detail17trampoline_kernelINS0_14default_configENS1_25partition_config_selectorILNS1_17partition_subalgoE0EjNS0_10empty_typeEbEEZZNS1_14partition_implILS5_0ELb0ES3_jN6thrust23THRUST_200600_302600_NS6detail15normal_iteratorINSA_10device_ptrIjEEEEPS6_SG_NS0_5tupleIJNSA_16discard_iteratorINSA_11use_defaultEEESF_EEENSH_IJSG_SG_EEES6_PlJ7is_evenIjEEEE10hipError_tPvRmT3_T4_T5_T6_T7_T9_mT8_P12ihipStream_tbDpT10_ENKUlT_T0_E_clISt17integral_constantIbLb0EES19_EEDaS14_S15_EUlS14_E_NS1_11comp_targetILNS1_3genE0ELNS1_11target_archE4294967295ELNS1_3gpuE0ELNS1_3repE0EEENS1_30default_config_static_selectorELNS0_4arch9wavefront6targetE1EEEvT1_
; %bb.0:
	.section	.rodata,"a",@progbits
	.p2align	6, 0x0
	.amdhsa_kernel _ZN7rocprim17ROCPRIM_400000_NS6detail17trampoline_kernelINS0_14default_configENS1_25partition_config_selectorILNS1_17partition_subalgoE0EjNS0_10empty_typeEbEEZZNS1_14partition_implILS5_0ELb0ES3_jN6thrust23THRUST_200600_302600_NS6detail15normal_iteratorINSA_10device_ptrIjEEEEPS6_SG_NS0_5tupleIJNSA_16discard_iteratorINSA_11use_defaultEEESF_EEENSH_IJSG_SG_EEES6_PlJ7is_evenIjEEEE10hipError_tPvRmT3_T4_T5_T6_T7_T9_mT8_P12ihipStream_tbDpT10_ENKUlT_T0_E_clISt17integral_constantIbLb0EES19_EEDaS14_S15_EUlS14_E_NS1_11comp_targetILNS1_3genE0ELNS1_11target_archE4294967295ELNS1_3gpuE0ELNS1_3repE0EEENS1_30default_config_static_selectorELNS0_4arch9wavefront6targetE1EEEvT1_
		.amdhsa_group_segment_fixed_size 0
		.amdhsa_private_segment_fixed_size 0
		.amdhsa_kernarg_size 128
		.amdhsa_user_sgpr_count 6
		.amdhsa_user_sgpr_private_segment_buffer 1
		.amdhsa_user_sgpr_dispatch_ptr 0
		.amdhsa_user_sgpr_queue_ptr 0
		.amdhsa_user_sgpr_kernarg_segment_ptr 1
		.amdhsa_user_sgpr_dispatch_id 0
		.amdhsa_user_sgpr_flat_scratch_init 0
		.amdhsa_user_sgpr_kernarg_preload_length 0
		.amdhsa_user_sgpr_kernarg_preload_offset 0
		.amdhsa_user_sgpr_private_segment_size 0
		.amdhsa_uses_dynamic_stack 0
		.amdhsa_system_sgpr_private_segment_wavefront_offset 0
		.amdhsa_system_sgpr_workgroup_id_x 1
		.amdhsa_system_sgpr_workgroup_id_y 0
		.amdhsa_system_sgpr_workgroup_id_z 0
		.amdhsa_system_sgpr_workgroup_info 0
		.amdhsa_system_vgpr_workitem_id 0
		.amdhsa_next_free_vgpr 1
		.amdhsa_next_free_sgpr 0
		.amdhsa_accum_offset 4
		.amdhsa_reserve_vcc 0
		.amdhsa_reserve_flat_scratch 0
		.amdhsa_float_round_mode_32 0
		.amdhsa_float_round_mode_16_64 0
		.amdhsa_float_denorm_mode_32 3
		.amdhsa_float_denorm_mode_16_64 3
		.amdhsa_dx10_clamp 1
		.amdhsa_ieee_mode 1
		.amdhsa_fp16_overflow 0
		.amdhsa_tg_split 0
		.amdhsa_exception_fp_ieee_invalid_op 0
		.amdhsa_exception_fp_denorm_src 0
		.amdhsa_exception_fp_ieee_div_zero 0
		.amdhsa_exception_fp_ieee_overflow 0
		.amdhsa_exception_fp_ieee_underflow 0
		.amdhsa_exception_fp_ieee_inexact 0
		.amdhsa_exception_int_div_zero 0
	.end_amdhsa_kernel
	.section	.text._ZN7rocprim17ROCPRIM_400000_NS6detail17trampoline_kernelINS0_14default_configENS1_25partition_config_selectorILNS1_17partition_subalgoE0EjNS0_10empty_typeEbEEZZNS1_14partition_implILS5_0ELb0ES3_jN6thrust23THRUST_200600_302600_NS6detail15normal_iteratorINSA_10device_ptrIjEEEEPS6_SG_NS0_5tupleIJNSA_16discard_iteratorINSA_11use_defaultEEESF_EEENSH_IJSG_SG_EEES6_PlJ7is_evenIjEEEE10hipError_tPvRmT3_T4_T5_T6_T7_T9_mT8_P12ihipStream_tbDpT10_ENKUlT_T0_E_clISt17integral_constantIbLb0EES19_EEDaS14_S15_EUlS14_E_NS1_11comp_targetILNS1_3genE0ELNS1_11target_archE4294967295ELNS1_3gpuE0ELNS1_3repE0EEENS1_30default_config_static_selectorELNS0_4arch9wavefront6targetE1EEEvT1_,"axG",@progbits,_ZN7rocprim17ROCPRIM_400000_NS6detail17trampoline_kernelINS0_14default_configENS1_25partition_config_selectorILNS1_17partition_subalgoE0EjNS0_10empty_typeEbEEZZNS1_14partition_implILS5_0ELb0ES3_jN6thrust23THRUST_200600_302600_NS6detail15normal_iteratorINSA_10device_ptrIjEEEEPS6_SG_NS0_5tupleIJNSA_16discard_iteratorINSA_11use_defaultEEESF_EEENSH_IJSG_SG_EEES6_PlJ7is_evenIjEEEE10hipError_tPvRmT3_T4_T5_T6_T7_T9_mT8_P12ihipStream_tbDpT10_ENKUlT_T0_E_clISt17integral_constantIbLb0EES19_EEDaS14_S15_EUlS14_E_NS1_11comp_targetILNS1_3genE0ELNS1_11target_archE4294967295ELNS1_3gpuE0ELNS1_3repE0EEENS1_30default_config_static_selectorELNS0_4arch9wavefront6targetE1EEEvT1_,comdat
.Lfunc_end2459:
	.size	_ZN7rocprim17ROCPRIM_400000_NS6detail17trampoline_kernelINS0_14default_configENS1_25partition_config_selectorILNS1_17partition_subalgoE0EjNS0_10empty_typeEbEEZZNS1_14partition_implILS5_0ELb0ES3_jN6thrust23THRUST_200600_302600_NS6detail15normal_iteratorINSA_10device_ptrIjEEEEPS6_SG_NS0_5tupleIJNSA_16discard_iteratorINSA_11use_defaultEEESF_EEENSH_IJSG_SG_EEES6_PlJ7is_evenIjEEEE10hipError_tPvRmT3_T4_T5_T6_T7_T9_mT8_P12ihipStream_tbDpT10_ENKUlT_T0_E_clISt17integral_constantIbLb0EES19_EEDaS14_S15_EUlS14_E_NS1_11comp_targetILNS1_3genE0ELNS1_11target_archE4294967295ELNS1_3gpuE0ELNS1_3repE0EEENS1_30default_config_static_selectorELNS0_4arch9wavefront6targetE1EEEvT1_, .Lfunc_end2459-_ZN7rocprim17ROCPRIM_400000_NS6detail17trampoline_kernelINS0_14default_configENS1_25partition_config_selectorILNS1_17partition_subalgoE0EjNS0_10empty_typeEbEEZZNS1_14partition_implILS5_0ELb0ES3_jN6thrust23THRUST_200600_302600_NS6detail15normal_iteratorINSA_10device_ptrIjEEEEPS6_SG_NS0_5tupleIJNSA_16discard_iteratorINSA_11use_defaultEEESF_EEENSH_IJSG_SG_EEES6_PlJ7is_evenIjEEEE10hipError_tPvRmT3_T4_T5_T6_T7_T9_mT8_P12ihipStream_tbDpT10_ENKUlT_T0_E_clISt17integral_constantIbLb0EES19_EEDaS14_S15_EUlS14_E_NS1_11comp_targetILNS1_3genE0ELNS1_11target_archE4294967295ELNS1_3gpuE0ELNS1_3repE0EEENS1_30default_config_static_selectorELNS0_4arch9wavefront6targetE1EEEvT1_
                                        ; -- End function
	.section	.AMDGPU.csdata,"",@progbits
; Kernel info:
; codeLenInByte = 0
; NumSgprs: 4
; NumVgprs: 0
; NumAgprs: 0
; TotalNumVgprs: 0
; ScratchSize: 0
; MemoryBound: 0
; FloatMode: 240
; IeeeMode: 1
; LDSByteSize: 0 bytes/workgroup (compile time only)
; SGPRBlocks: 0
; VGPRBlocks: 0
; NumSGPRsForWavesPerEU: 4
; NumVGPRsForWavesPerEU: 1
; AccumOffset: 4
; Occupancy: 8
; WaveLimiterHint : 0
; COMPUTE_PGM_RSRC2:SCRATCH_EN: 0
; COMPUTE_PGM_RSRC2:USER_SGPR: 6
; COMPUTE_PGM_RSRC2:TRAP_HANDLER: 0
; COMPUTE_PGM_RSRC2:TGID_X_EN: 1
; COMPUTE_PGM_RSRC2:TGID_Y_EN: 0
; COMPUTE_PGM_RSRC2:TGID_Z_EN: 0
; COMPUTE_PGM_RSRC2:TIDIG_COMP_CNT: 0
; COMPUTE_PGM_RSRC3_GFX90A:ACCUM_OFFSET: 0
; COMPUTE_PGM_RSRC3_GFX90A:TG_SPLIT: 0
	.section	.text._ZN7rocprim17ROCPRIM_400000_NS6detail17trampoline_kernelINS0_14default_configENS1_25partition_config_selectorILNS1_17partition_subalgoE0EjNS0_10empty_typeEbEEZZNS1_14partition_implILS5_0ELb0ES3_jN6thrust23THRUST_200600_302600_NS6detail15normal_iteratorINSA_10device_ptrIjEEEEPS6_SG_NS0_5tupleIJNSA_16discard_iteratorINSA_11use_defaultEEESF_EEENSH_IJSG_SG_EEES6_PlJ7is_evenIjEEEE10hipError_tPvRmT3_T4_T5_T6_T7_T9_mT8_P12ihipStream_tbDpT10_ENKUlT_T0_E_clISt17integral_constantIbLb0EES19_EEDaS14_S15_EUlS14_E_NS1_11comp_targetILNS1_3genE5ELNS1_11target_archE942ELNS1_3gpuE9ELNS1_3repE0EEENS1_30default_config_static_selectorELNS0_4arch9wavefront6targetE1EEEvT1_,"axG",@progbits,_ZN7rocprim17ROCPRIM_400000_NS6detail17trampoline_kernelINS0_14default_configENS1_25partition_config_selectorILNS1_17partition_subalgoE0EjNS0_10empty_typeEbEEZZNS1_14partition_implILS5_0ELb0ES3_jN6thrust23THRUST_200600_302600_NS6detail15normal_iteratorINSA_10device_ptrIjEEEEPS6_SG_NS0_5tupleIJNSA_16discard_iteratorINSA_11use_defaultEEESF_EEENSH_IJSG_SG_EEES6_PlJ7is_evenIjEEEE10hipError_tPvRmT3_T4_T5_T6_T7_T9_mT8_P12ihipStream_tbDpT10_ENKUlT_T0_E_clISt17integral_constantIbLb0EES19_EEDaS14_S15_EUlS14_E_NS1_11comp_targetILNS1_3genE5ELNS1_11target_archE942ELNS1_3gpuE9ELNS1_3repE0EEENS1_30default_config_static_selectorELNS0_4arch9wavefront6targetE1EEEvT1_,comdat
	.protected	_ZN7rocprim17ROCPRIM_400000_NS6detail17trampoline_kernelINS0_14default_configENS1_25partition_config_selectorILNS1_17partition_subalgoE0EjNS0_10empty_typeEbEEZZNS1_14partition_implILS5_0ELb0ES3_jN6thrust23THRUST_200600_302600_NS6detail15normal_iteratorINSA_10device_ptrIjEEEEPS6_SG_NS0_5tupleIJNSA_16discard_iteratorINSA_11use_defaultEEESF_EEENSH_IJSG_SG_EEES6_PlJ7is_evenIjEEEE10hipError_tPvRmT3_T4_T5_T6_T7_T9_mT8_P12ihipStream_tbDpT10_ENKUlT_T0_E_clISt17integral_constantIbLb0EES19_EEDaS14_S15_EUlS14_E_NS1_11comp_targetILNS1_3genE5ELNS1_11target_archE942ELNS1_3gpuE9ELNS1_3repE0EEENS1_30default_config_static_selectorELNS0_4arch9wavefront6targetE1EEEvT1_ ; -- Begin function _ZN7rocprim17ROCPRIM_400000_NS6detail17trampoline_kernelINS0_14default_configENS1_25partition_config_selectorILNS1_17partition_subalgoE0EjNS0_10empty_typeEbEEZZNS1_14partition_implILS5_0ELb0ES3_jN6thrust23THRUST_200600_302600_NS6detail15normal_iteratorINSA_10device_ptrIjEEEEPS6_SG_NS0_5tupleIJNSA_16discard_iteratorINSA_11use_defaultEEESF_EEENSH_IJSG_SG_EEES6_PlJ7is_evenIjEEEE10hipError_tPvRmT3_T4_T5_T6_T7_T9_mT8_P12ihipStream_tbDpT10_ENKUlT_T0_E_clISt17integral_constantIbLb0EES19_EEDaS14_S15_EUlS14_E_NS1_11comp_targetILNS1_3genE5ELNS1_11target_archE942ELNS1_3gpuE9ELNS1_3repE0EEENS1_30default_config_static_selectorELNS0_4arch9wavefront6targetE1EEEvT1_
	.globl	_ZN7rocprim17ROCPRIM_400000_NS6detail17trampoline_kernelINS0_14default_configENS1_25partition_config_selectorILNS1_17partition_subalgoE0EjNS0_10empty_typeEbEEZZNS1_14partition_implILS5_0ELb0ES3_jN6thrust23THRUST_200600_302600_NS6detail15normal_iteratorINSA_10device_ptrIjEEEEPS6_SG_NS0_5tupleIJNSA_16discard_iteratorINSA_11use_defaultEEESF_EEENSH_IJSG_SG_EEES6_PlJ7is_evenIjEEEE10hipError_tPvRmT3_T4_T5_T6_T7_T9_mT8_P12ihipStream_tbDpT10_ENKUlT_T0_E_clISt17integral_constantIbLb0EES19_EEDaS14_S15_EUlS14_E_NS1_11comp_targetILNS1_3genE5ELNS1_11target_archE942ELNS1_3gpuE9ELNS1_3repE0EEENS1_30default_config_static_selectorELNS0_4arch9wavefront6targetE1EEEvT1_
	.p2align	8
	.type	_ZN7rocprim17ROCPRIM_400000_NS6detail17trampoline_kernelINS0_14default_configENS1_25partition_config_selectorILNS1_17partition_subalgoE0EjNS0_10empty_typeEbEEZZNS1_14partition_implILS5_0ELb0ES3_jN6thrust23THRUST_200600_302600_NS6detail15normal_iteratorINSA_10device_ptrIjEEEEPS6_SG_NS0_5tupleIJNSA_16discard_iteratorINSA_11use_defaultEEESF_EEENSH_IJSG_SG_EEES6_PlJ7is_evenIjEEEE10hipError_tPvRmT3_T4_T5_T6_T7_T9_mT8_P12ihipStream_tbDpT10_ENKUlT_T0_E_clISt17integral_constantIbLb0EES19_EEDaS14_S15_EUlS14_E_NS1_11comp_targetILNS1_3genE5ELNS1_11target_archE942ELNS1_3gpuE9ELNS1_3repE0EEENS1_30default_config_static_selectorELNS0_4arch9wavefront6targetE1EEEvT1_,@function
_ZN7rocprim17ROCPRIM_400000_NS6detail17trampoline_kernelINS0_14default_configENS1_25partition_config_selectorILNS1_17partition_subalgoE0EjNS0_10empty_typeEbEEZZNS1_14partition_implILS5_0ELb0ES3_jN6thrust23THRUST_200600_302600_NS6detail15normal_iteratorINSA_10device_ptrIjEEEEPS6_SG_NS0_5tupleIJNSA_16discard_iteratorINSA_11use_defaultEEESF_EEENSH_IJSG_SG_EEES6_PlJ7is_evenIjEEEE10hipError_tPvRmT3_T4_T5_T6_T7_T9_mT8_P12ihipStream_tbDpT10_ENKUlT_T0_E_clISt17integral_constantIbLb0EES19_EEDaS14_S15_EUlS14_E_NS1_11comp_targetILNS1_3genE5ELNS1_11target_archE942ELNS1_3gpuE9ELNS1_3repE0EEENS1_30default_config_static_selectorELNS0_4arch9wavefront6targetE1EEEvT1_: ; @_ZN7rocprim17ROCPRIM_400000_NS6detail17trampoline_kernelINS0_14default_configENS1_25partition_config_selectorILNS1_17partition_subalgoE0EjNS0_10empty_typeEbEEZZNS1_14partition_implILS5_0ELb0ES3_jN6thrust23THRUST_200600_302600_NS6detail15normal_iteratorINSA_10device_ptrIjEEEEPS6_SG_NS0_5tupleIJNSA_16discard_iteratorINSA_11use_defaultEEESF_EEENSH_IJSG_SG_EEES6_PlJ7is_evenIjEEEE10hipError_tPvRmT3_T4_T5_T6_T7_T9_mT8_P12ihipStream_tbDpT10_ENKUlT_T0_E_clISt17integral_constantIbLb0EES19_EEDaS14_S15_EUlS14_E_NS1_11comp_targetILNS1_3genE5ELNS1_11target_archE942ELNS1_3gpuE9ELNS1_3repE0EEENS1_30default_config_static_selectorELNS0_4arch9wavefront6targetE1EEEvT1_
; %bb.0:
	.section	.rodata,"a",@progbits
	.p2align	6, 0x0
	.amdhsa_kernel _ZN7rocprim17ROCPRIM_400000_NS6detail17trampoline_kernelINS0_14default_configENS1_25partition_config_selectorILNS1_17partition_subalgoE0EjNS0_10empty_typeEbEEZZNS1_14partition_implILS5_0ELb0ES3_jN6thrust23THRUST_200600_302600_NS6detail15normal_iteratorINSA_10device_ptrIjEEEEPS6_SG_NS0_5tupleIJNSA_16discard_iteratorINSA_11use_defaultEEESF_EEENSH_IJSG_SG_EEES6_PlJ7is_evenIjEEEE10hipError_tPvRmT3_T4_T5_T6_T7_T9_mT8_P12ihipStream_tbDpT10_ENKUlT_T0_E_clISt17integral_constantIbLb0EES19_EEDaS14_S15_EUlS14_E_NS1_11comp_targetILNS1_3genE5ELNS1_11target_archE942ELNS1_3gpuE9ELNS1_3repE0EEENS1_30default_config_static_selectorELNS0_4arch9wavefront6targetE1EEEvT1_
		.amdhsa_group_segment_fixed_size 0
		.amdhsa_private_segment_fixed_size 0
		.amdhsa_kernarg_size 128
		.amdhsa_user_sgpr_count 6
		.amdhsa_user_sgpr_private_segment_buffer 1
		.amdhsa_user_sgpr_dispatch_ptr 0
		.amdhsa_user_sgpr_queue_ptr 0
		.amdhsa_user_sgpr_kernarg_segment_ptr 1
		.amdhsa_user_sgpr_dispatch_id 0
		.amdhsa_user_sgpr_flat_scratch_init 0
		.amdhsa_user_sgpr_kernarg_preload_length 0
		.amdhsa_user_sgpr_kernarg_preload_offset 0
		.amdhsa_user_sgpr_private_segment_size 0
		.amdhsa_uses_dynamic_stack 0
		.amdhsa_system_sgpr_private_segment_wavefront_offset 0
		.amdhsa_system_sgpr_workgroup_id_x 1
		.amdhsa_system_sgpr_workgroup_id_y 0
		.amdhsa_system_sgpr_workgroup_id_z 0
		.amdhsa_system_sgpr_workgroup_info 0
		.amdhsa_system_vgpr_workitem_id 0
		.amdhsa_next_free_vgpr 1
		.amdhsa_next_free_sgpr 0
		.amdhsa_accum_offset 4
		.amdhsa_reserve_vcc 0
		.amdhsa_reserve_flat_scratch 0
		.amdhsa_float_round_mode_32 0
		.amdhsa_float_round_mode_16_64 0
		.amdhsa_float_denorm_mode_32 3
		.amdhsa_float_denorm_mode_16_64 3
		.amdhsa_dx10_clamp 1
		.amdhsa_ieee_mode 1
		.amdhsa_fp16_overflow 0
		.amdhsa_tg_split 0
		.amdhsa_exception_fp_ieee_invalid_op 0
		.amdhsa_exception_fp_denorm_src 0
		.amdhsa_exception_fp_ieee_div_zero 0
		.amdhsa_exception_fp_ieee_overflow 0
		.amdhsa_exception_fp_ieee_underflow 0
		.amdhsa_exception_fp_ieee_inexact 0
		.amdhsa_exception_int_div_zero 0
	.end_amdhsa_kernel
	.section	.text._ZN7rocprim17ROCPRIM_400000_NS6detail17trampoline_kernelINS0_14default_configENS1_25partition_config_selectorILNS1_17partition_subalgoE0EjNS0_10empty_typeEbEEZZNS1_14partition_implILS5_0ELb0ES3_jN6thrust23THRUST_200600_302600_NS6detail15normal_iteratorINSA_10device_ptrIjEEEEPS6_SG_NS0_5tupleIJNSA_16discard_iteratorINSA_11use_defaultEEESF_EEENSH_IJSG_SG_EEES6_PlJ7is_evenIjEEEE10hipError_tPvRmT3_T4_T5_T6_T7_T9_mT8_P12ihipStream_tbDpT10_ENKUlT_T0_E_clISt17integral_constantIbLb0EES19_EEDaS14_S15_EUlS14_E_NS1_11comp_targetILNS1_3genE5ELNS1_11target_archE942ELNS1_3gpuE9ELNS1_3repE0EEENS1_30default_config_static_selectorELNS0_4arch9wavefront6targetE1EEEvT1_,"axG",@progbits,_ZN7rocprim17ROCPRIM_400000_NS6detail17trampoline_kernelINS0_14default_configENS1_25partition_config_selectorILNS1_17partition_subalgoE0EjNS0_10empty_typeEbEEZZNS1_14partition_implILS5_0ELb0ES3_jN6thrust23THRUST_200600_302600_NS6detail15normal_iteratorINSA_10device_ptrIjEEEEPS6_SG_NS0_5tupleIJNSA_16discard_iteratorINSA_11use_defaultEEESF_EEENSH_IJSG_SG_EEES6_PlJ7is_evenIjEEEE10hipError_tPvRmT3_T4_T5_T6_T7_T9_mT8_P12ihipStream_tbDpT10_ENKUlT_T0_E_clISt17integral_constantIbLb0EES19_EEDaS14_S15_EUlS14_E_NS1_11comp_targetILNS1_3genE5ELNS1_11target_archE942ELNS1_3gpuE9ELNS1_3repE0EEENS1_30default_config_static_selectorELNS0_4arch9wavefront6targetE1EEEvT1_,comdat
.Lfunc_end2460:
	.size	_ZN7rocprim17ROCPRIM_400000_NS6detail17trampoline_kernelINS0_14default_configENS1_25partition_config_selectorILNS1_17partition_subalgoE0EjNS0_10empty_typeEbEEZZNS1_14partition_implILS5_0ELb0ES3_jN6thrust23THRUST_200600_302600_NS6detail15normal_iteratorINSA_10device_ptrIjEEEEPS6_SG_NS0_5tupleIJNSA_16discard_iteratorINSA_11use_defaultEEESF_EEENSH_IJSG_SG_EEES6_PlJ7is_evenIjEEEE10hipError_tPvRmT3_T4_T5_T6_T7_T9_mT8_P12ihipStream_tbDpT10_ENKUlT_T0_E_clISt17integral_constantIbLb0EES19_EEDaS14_S15_EUlS14_E_NS1_11comp_targetILNS1_3genE5ELNS1_11target_archE942ELNS1_3gpuE9ELNS1_3repE0EEENS1_30default_config_static_selectorELNS0_4arch9wavefront6targetE1EEEvT1_, .Lfunc_end2460-_ZN7rocprim17ROCPRIM_400000_NS6detail17trampoline_kernelINS0_14default_configENS1_25partition_config_selectorILNS1_17partition_subalgoE0EjNS0_10empty_typeEbEEZZNS1_14partition_implILS5_0ELb0ES3_jN6thrust23THRUST_200600_302600_NS6detail15normal_iteratorINSA_10device_ptrIjEEEEPS6_SG_NS0_5tupleIJNSA_16discard_iteratorINSA_11use_defaultEEESF_EEENSH_IJSG_SG_EEES6_PlJ7is_evenIjEEEE10hipError_tPvRmT3_T4_T5_T6_T7_T9_mT8_P12ihipStream_tbDpT10_ENKUlT_T0_E_clISt17integral_constantIbLb0EES19_EEDaS14_S15_EUlS14_E_NS1_11comp_targetILNS1_3genE5ELNS1_11target_archE942ELNS1_3gpuE9ELNS1_3repE0EEENS1_30default_config_static_selectorELNS0_4arch9wavefront6targetE1EEEvT1_
                                        ; -- End function
	.section	.AMDGPU.csdata,"",@progbits
; Kernel info:
; codeLenInByte = 0
; NumSgprs: 4
; NumVgprs: 0
; NumAgprs: 0
; TotalNumVgprs: 0
; ScratchSize: 0
; MemoryBound: 0
; FloatMode: 240
; IeeeMode: 1
; LDSByteSize: 0 bytes/workgroup (compile time only)
; SGPRBlocks: 0
; VGPRBlocks: 0
; NumSGPRsForWavesPerEU: 4
; NumVGPRsForWavesPerEU: 1
; AccumOffset: 4
; Occupancy: 8
; WaveLimiterHint : 0
; COMPUTE_PGM_RSRC2:SCRATCH_EN: 0
; COMPUTE_PGM_RSRC2:USER_SGPR: 6
; COMPUTE_PGM_RSRC2:TRAP_HANDLER: 0
; COMPUTE_PGM_RSRC2:TGID_X_EN: 1
; COMPUTE_PGM_RSRC2:TGID_Y_EN: 0
; COMPUTE_PGM_RSRC2:TGID_Z_EN: 0
; COMPUTE_PGM_RSRC2:TIDIG_COMP_CNT: 0
; COMPUTE_PGM_RSRC3_GFX90A:ACCUM_OFFSET: 0
; COMPUTE_PGM_RSRC3_GFX90A:TG_SPLIT: 0
	.section	.text._ZN7rocprim17ROCPRIM_400000_NS6detail17trampoline_kernelINS0_14default_configENS1_25partition_config_selectorILNS1_17partition_subalgoE0EjNS0_10empty_typeEbEEZZNS1_14partition_implILS5_0ELb0ES3_jN6thrust23THRUST_200600_302600_NS6detail15normal_iteratorINSA_10device_ptrIjEEEEPS6_SG_NS0_5tupleIJNSA_16discard_iteratorINSA_11use_defaultEEESF_EEENSH_IJSG_SG_EEES6_PlJ7is_evenIjEEEE10hipError_tPvRmT3_T4_T5_T6_T7_T9_mT8_P12ihipStream_tbDpT10_ENKUlT_T0_E_clISt17integral_constantIbLb0EES19_EEDaS14_S15_EUlS14_E_NS1_11comp_targetILNS1_3genE4ELNS1_11target_archE910ELNS1_3gpuE8ELNS1_3repE0EEENS1_30default_config_static_selectorELNS0_4arch9wavefront6targetE1EEEvT1_,"axG",@progbits,_ZN7rocprim17ROCPRIM_400000_NS6detail17trampoline_kernelINS0_14default_configENS1_25partition_config_selectorILNS1_17partition_subalgoE0EjNS0_10empty_typeEbEEZZNS1_14partition_implILS5_0ELb0ES3_jN6thrust23THRUST_200600_302600_NS6detail15normal_iteratorINSA_10device_ptrIjEEEEPS6_SG_NS0_5tupleIJNSA_16discard_iteratorINSA_11use_defaultEEESF_EEENSH_IJSG_SG_EEES6_PlJ7is_evenIjEEEE10hipError_tPvRmT3_T4_T5_T6_T7_T9_mT8_P12ihipStream_tbDpT10_ENKUlT_T0_E_clISt17integral_constantIbLb0EES19_EEDaS14_S15_EUlS14_E_NS1_11comp_targetILNS1_3genE4ELNS1_11target_archE910ELNS1_3gpuE8ELNS1_3repE0EEENS1_30default_config_static_selectorELNS0_4arch9wavefront6targetE1EEEvT1_,comdat
	.protected	_ZN7rocprim17ROCPRIM_400000_NS6detail17trampoline_kernelINS0_14default_configENS1_25partition_config_selectorILNS1_17partition_subalgoE0EjNS0_10empty_typeEbEEZZNS1_14partition_implILS5_0ELb0ES3_jN6thrust23THRUST_200600_302600_NS6detail15normal_iteratorINSA_10device_ptrIjEEEEPS6_SG_NS0_5tupleIJNSA_16discard_iteratorINSA_11use_defaultEEESF_EEENSH_IJSG_SG_EEES6_PlJ7is_evenIjEEEE10hipError_tPvRmT3_T4_T5_T6_T7_T9_mT8_P12ihipStream_tbDpT10_ENKUlT_T0_E_clISt17integral_constantIbLb0EES19_EEDaS14_S15_EUlS14_E_NS1_11comp_targetILNS1_3genE4ELNS1_11target_archE910ELNS1_3gpuE8ELNS1_3repE0EEENS1_30default_config_static_selectorELNS0_4arch9wavefront6targetE1EEEvT1_ ; -- Begin function _ZN7rocprim17ROCPRIM_400000_NS6detail17trampoline_kernelINS0_14default_configENS1_25partition_config_selectorILNS1_17partition_subalgoE0EjNS0_10empty_typeEbEEZZNS1_14partition_implILS5_0ELb0ES3_jN6thrust23THRUST_200600_302600_NS6detail15normal_iteratorINSA_10device_ptrIjEEEEPS6_SG_NS0_5tupleIJNSA_16discard_iteratorINSA_11use_defaultEEESF_EEENSH_IJSG_SG_EEES6_PlJ7is_evenIjEEEE10hipError_tPvRmT3_T4_T5_T6_T7_T9_mT8_P12ihipStream_tbDpT10_ENKUlT_T0_E_clISt17integral_constantIbLb0EES19_EEDaS14_S15_EUlS14_E_NS1_11comp_targetILNS1_3genE4ELNS1_11target_archE910ELNS1_3gpuE8ELNS1_3repE0EEENS1_30default_config_static_selectorELNS0_4arch9wavefront6targetE1EEEvT1_
	.globl	_ZN7rocprim17ROCPRIM_400000_NS6detail17trampoline_kernelINS0_14default_configENS1_25partition_config_selectorILNS1_17partition_subalgoE0EjNS0_10empty_typeEbEEZZNS1_14partition_implILS5_0ELb0ES3_jN6thrust23THRUST_200600_302600_NS6detail15normal_iteratorINSA_10device_ptrIjEEEEPS6_SG_NS0_5tupleIJNSA_16discard_iteratorINSA_11use_defaultEEESF_EEENSH_IJSG_SG_EEES6_PlJ7is_evenIjEEEE10hipError_tPvRmT3_T4_T5_T6_T7_T9_mT8_P12ihipStream_tbDpT10_ENKUlT_T0_E_clISt17integral_constantIbLb0EES19_EEDaS14_S15_EUlS14_E_NS1_11comp_targetILNS1_3genE4ELNS1_11target_archE910ELNS1_3gpuE8ELNS1_3repE0EEENS1_30default_config_static_selectorELNS0_4arch9wavefront6targetE1EEEvT1_
	.p2align	8
	.type	_ZN7rocprim17ROCPRIM_400000_NS6detail17trampoline_kernelINS0_14default_configENS1_25partition_config_selectorILNS1_17partition_subalgoE0EjNS0_10empty_typeEbEEZZNS1_14partition_implILS5_0ELb0ES3_jN6thrust23THRUST_200600_302600_NS6detail15normal_iteratorINSA_10device_ptrIjEEEEPS6_SG_NS0_5tupleIJNSA_16discard_iteratorINSA_11use_defaultEEESF_EEENSH_IJSG_SG_EEES6_PlJ7is_evenIjEEEE10hipError_tPvRmT3_T4_T5_T6_T7_T9_mT8_P12ihipStream_tbDpT10_ENKUlT_T0_E_clISt17integral_constantIbLb0EES19_EEDaS14_S15_EUlS14_E_NS1_11comp_targetILNS1_3genE4ELNS1_11target_archE910ELNS1_3gpuE8ELNS1_3repE0EEENS1_30default_config_static_selectorELNS0_4arch9wavefront6targetE1EEEvT1_,@function
_ZN7rocprim17ROCPRIM_400000_NS6detail17trampoline_kernelINS0_14default_configENS1_25partition_config_selectorILNS1_17partition_subalgoE0EjNS0_10empty_typeEbEEZZNS1_14partition_implILS5_0ELb0ES3_jN6thrust23THRUST_200600_302600_NS6detail15normal_iteratorINSA_10device_ptrIjEEEEPS6_SG_NS0_5tupleIJNSA_16discard_iteratorINSA_11use_defaultEEESF_EEENSH_IJSG_SG_EEES6_PlJ7is_evenIjEEEE10hipError_tPvRmT3_T4_T5_T6_T7_T9_mT8_P12ihipStream_tbDpT10_ENKUlT_T0_E_clISt17integral_constantIbLb0EES19_EEDaS14_S15_EUlS14_E_NS1_11comp_targetILNS1_3genE4ELNS1_11target_archE910ELNS1_3gpuE8ELNS1_3repE0EEENS1_30default_config_static_selectorELNS0_4arch9wavefront6targetE1EEEvT1_: ; @_ZN7rocprim17ROCPRIM_400000_NS6detail17trampoline_kernelINS0_14default_configENS1_25partition_config_selectorILNS1_17partition_subalgoE0EjNS0_10empty_typeEbEEZZNS1_14partition_implILS5_0ELb0ES3_jN6thrust23THRUST_200600_302600_NS6detail15normal_iteratorINSA_10device_ptrIjEEEEPS6_SG_NS0_5tupleIJNSA_16discard_iteratorINSA_11use_defaultEEESF_EEENSH_IJSG_SG_EEES6_PlJ7is_evenIjEEEE10hipError_tPvRmT3_T4_T5_T6_T7_T9_mT8_P12ihipStream_tbDpT10_ENKUlT_T0_E_clISt17integral_constantIbLb0EES19_EEDaS14_S15_EUlS14_E_NS1_11comp_targetILNS1_3genE4ELNS1_11target_archE910ELNS1_3gpuE8ELNS1_3repE0EEENS1_30default_config_static_selectorELNS0_4arch9wavefront6targetE1EEEvT1_
; %bb.0:
	s_load_dwordx2 s[0:1], s[4:5], 0x60
	s_load_dwordx4 s[20:23], s[4:5], 0x8
	s_load_dwordx4 s[24:27], s[4:5], 0x50
	s_load_dword s7, s[4:5], 0x78
	s_mul_i32 s8, s6, 0xa00
	s_waitcnt lgkmcnt(0)
	v_mov_b32_e32 v3, s1
	s_lshl_b64 s[2:3], s[22:23], 2
	s_add_u32 s10, s20, s2
	s_mul_i32 s1, s7, 0xa00
	s_addc_u32 s11, s21, s3
	s_add_i32 s3, s1, s22
	s_sub_i32 s33, s0, s3
	s_add_i32 s2, s7, -1
	s_addk_i32 s33, 0xa00
	v_mov_b32_e32 v2, s0
	s_add_u32 s0, s22, s1
	s_addc_u32 s1, s23, 0
	s_cmp_eq_u32 s6, s2
	s_load_dwordx2 s[28:29], s[26:27], 0x0
	s_cselect_b64 s[26:27], -1, 0
	s_cmp_lg_u32 s6, s2
	s_mov_b32 s9, 0
	v_cmp_lt_u64_e32 vcc, s[0:1], v[2:3]
	s_cselect_b64 s[0:1], -1, 0
	s_or_b64 s[2:3], s[0:1], vcc
	s_lshl_b64 s[30:31], s[8:9], 2
	s_add_u32 s7, s10, s30
	s_addc_u32 s10, s11, s31
	s_mov_b64 s[0:1], -1
	s_and_b64 vcc, exec, s[2:3]
	v_lshlrev_b32_e32 v22, 2, v0
	s_cbranch_vccz .LBB2461_2
; %bb.1:
	v_mov_b32_e32 v1, s10
	v_add_co_u32_e32 v2, vcc, s7, v22
	v_addc_co_u32_e32 v3, vcc, 0, v1, vcc
	v_add_co_u32_e32 v4, vcc, 0x1000, v2
	v_addc_co_u32_e32 v5, vcc, 0, v3, vcc
	flat_load_dword v1, v[2:3]
	flat_load_dword v6, v[2:3] offset:1024
	flat_load_dword v7, v[2:3] offset:2048
	;; [unrolled: 1-line block ×3, first 2 shown]
	flat_load_dword v9, v[4:5]
	flat_load_dword v10, v[4:5] offset:1024
	flat_load_dword v11, v[4:5] offset:2048
	flat_load_dword v12, v[4:5] offset:3072
	v_add_co_u32_e32 v2, vcc, 0x2000, v2
	v_addc_co_u32_e32 v3, vcc, 0, v3, vcc
	flat_load_dword v4, v[2:3]
	flat_load_dword v5, v[2:3] offset:1024
	s_mov_b64 s[0:1], 0
	s_waitcnt vmcnt(0) lgkmcnt(0)
	ds_write2st64_b32 v22, v1, v6 offset1:4
	ds_write2st64_b32 v22, v7, v8 offset0:8 offset1:12
	ds_write2st64_b32 v22, v9, v10 offset0:16 offset1:20
	;; [unrolled: 1-line block ×4, first 2 shown]
	s_waitcnt lgkmcnt(0)
	s_barrier
.LBB2461_2:
	s_andn2_b64 vcc, exec, s[0:1]
	v_cmp_gt_u32_e64 s[0:1], s33, v0
	s_cbranch_vccnz .LBB2461_24
; %bb.3:
                                        ; implicit-def: $vgpr2_vgpr3_vgpr4_vgpr5_vgpr6_vgpr7_vgpr8_vgpr9_vgpr10_vgpr11
	s_and_saveexec_b64 s[8:9], s[0:1]
	s_cbranch_execz .LBB2461_5
; %bb.4:
	v_mov_b32_e32 v1, s10
	v_add_co_u32_e32 v2, vcc, s7, v22
	v_addc_co_u32_e32 v3, vcc, 0, v1, vcc
	flat_load_dword v2, v[2:3]
.LBB2461_5:
	s_or_b64 exec, exec, s[8:9]
	v_or_b32_e32 v1, 0x100, v0
	v_cmp_gt_u32_e32 vcc, s33, v1
	s_and_saveexec_b64 s[0:1], vcc
	s_cbranch_execz .LBB2461_7
; %bb.6:
	v_mov_b32_e32 v1, s10
	v_add_co_u32_e32 v12, vcc, s7, v22
	v_addc_co_u32_e32 v13, vcc, 0, v1, vcc
	flat_load_dword v3, v[12:13] offset:1024
.LBB2461_7:
	s_or_b64 exec, exec, s[0:1]
	v_or_b32_e32 v1, 0x200, v0
	v_cmp_gt_u32_e32 vcc, s33, v1
	s_and_saveexec_b64 s[0:1], vcc
	s_cbranch_execz .LBB2461_9
; %bb.8:
	v_mov_b32_e32 v1, s10
	v_add_co_u32_e32 v12, vcc, s7, v22
	v_addc_co_u32_e32 v13, vcc, 0, v1, vcc
	flat_load_dword v4, v[12:13] offset:2048
.LBB2461_9:
	;; [unrolled: 11-line block ×3, first 2 shown]
	s_or_b64 exec, exec, s[0:1]
	v_or_b32_e32 v1, 0x400, v0
	v_cmp_gt_u32_e32 vcc, s33, v1
	s_and_saveexec_b64 s[0:1], vcc
	s_cbranch_execz .LBB2461_13
; %bb.12:
	v_lshlrev_b32_e32 v1, 2, v1
	v_mov_b32_e32 v6, s10
	v_add_co_u32_e32 v12, vcc, s7, v1
	v_addc_co_u32_e32 v13, vcc, 0, v6, vcc
	flat_load_dword v6, v[12:13]
.LBB2461_13:
	s_or_b64 exec, exec, s[0:1]
	v_or_b32_e32 v1, 0x500, v0
	v_cmp_gt_u32_e32 vcc, s33, v1
	s_and_saveexec_b64 s[0:1], vcc
	s_cbranch_execz .LBB2461_15
; %bb.14:
	v_lshlrev_b32_e32 v1, 2, v1
	v_mov_b32_e32 v7, s10
	v_add_co_u32_e32 v12, vcc, s7, v1
	v_addc_co_u32_e32 v13, vcc, 0, v7, vcc
	flat_load_dword v7, v[12:13]
.LBB2461_15:
	;; [unrolled: 12-line block ×6, first 2 shown]
	s_or_b64 exec, exec, s[0:1]
	s_waitcnt vmcnt(0) lgkmcnt(0)
	ds_write2st64_b32 v22, v2, v3 offset1:4
	ds_write2st64_b32 v22, v4, v5 offset0:8 offset1:12
	ds_write2st64_b32 v22, v6, v7 offset0:16 offset1:20
	;; [unrolled: 1-line block ×4, first 2 shown]
	s_waitcnt lgkmcnt(0)
	s_barrier
.LBB2461_24:
	v_mul_u32_u24_e32 v23, 10, v0
	v_lshlrev_b32_e32 v29, 2, v23
	s_waitcnt lgkmcnt(0)
	ds_read2_b64 v[6:9], v29 offset1:1
	ds_read2_b64 v[2:5], v29 offset0:2 offset1:3
	ds_read_b64 v[10:11], v29 offset:32
	v_cndmask_b32_e64 v1, 0, 1, s[2:3]
	v_cmp_ne_u32_e64 s[0:1], 1, v1
	s_andn2_b64 vcc, exec, s[2:3]
	s_waitcnt lgkmcnt(2)
	v_xor_b32_e32 v21, -1, v6
	v_xor_b32_e32 v20, -1, v7
	;; [unrolled: 1-line block ×4, first 2 shown]
	s_waitcnt lgkmcnt(1)
	v_xor_b32_e32 v17, -1, v2
	v_xor_b32_e32 v16, -1, v3
	;; [unrolled: 1-line block ×4, first 2 shown]
	s_waitcnt lgkmcnt(0)
	v_xor_b32_e32 v13, -1, v10
	v_xor_b32_e32 v12, -1, v11
	s_barrier
	s_cbranch_vccnz .LBB2461_26
; %bb.25:
	v_mov_b32_e32 v1, 1
	v_and_b32_e32 v25, 1, v21
	v_and_b32_sdwa v26, v20, v1 dst_sel:BYTE_1 dst_unused:UNUSED_PAD src0_sel:DWORD src1_sel:DWORD
	v_and_b32_e32 v27, 1, v19
	v_and_b32_sdwa v28, v18, v1 dst_sel:BYTE_1 dst_unused:UNUSED_PAD src0_sel:DWORD src1_sel:DWORD
	;; [unrolled: 2-line block ×4, first 2 shown]
	v_or_b32_e32 v25, v25, v26
	v_or_b32_sdwa v26, v27, v28 dst_sel:WORD_1 dst_unused:UNUSED_PAD src0_sel:DWORD src1_sel:DWORD
	v_or_b32_sdwa v26, v25, v26 dst_sel:DWORD dst_unused:UNUSED_PAD src0_sel:WORD_0 src1_sel:DWORD
	v_or_b32_e32 v25, v30, v31
	v_or_b32_sdwa v27, v32, v33 dst_sel:WORD_1 dst_unused:UNUSED_PAD src0_sel:DWORD src1_sel:DWORD
	v_and_b32_e32 v24, 1, v13
	v_and_b32_e32 v1, 1, v12
	v_or_b32_sdwa v25, v25, v27 dst_sel:DWORD dst_unused:UNUSED_PAD src0_sel:WORD_0 src1_sel:DWORD
	s_load_dwordx2 s[34:35], s[4:5], 0x70
	s_cbranch_execz .LBB2461_27
	s_branch .LBB2461_28
.LBB2461_26:
                                        ; implicit-def: $vgpr1
                                        ; implicit-def: $vgpr24
                                        ; implicit-def: $vgpr25
                                        ; implicit-def: $vgpr26
	s_load_dwordx2 s[34:35], s[4:5], 0x70
.LBB2461_27:
	v_or_b32_e32 v32, 1, v23
	v_cmp_gt_u32_e32 vcc, s33, v23
	v_add_u32_e32 v1, 2, v23
	v_cndmask_b32_e64 v33, 0, 1, vcc
	v_cmp_gt_u32_e32 vcc, s33, v32
	v_add_u32_e32 v31, 3, v23
	v_cndmask_b32_e64 v32, 0, 1, vcc
	;; [unrolled: 3-line block ×3, first 2 shown]
	v_cmp_gt_u32_e32 vcc, s33, v31
	v_add_u32_e32 v30, 5, v23
	v_and_b32_e32 v19, v1, v19
	v_cndmask_b32_e64 v1, 0, 1, vcc
	v_cmp_gt_u32_e32 vcc, s33, v24
	v_add_u32_e32 v25, 6, v23
	v_and_b32_sdwa v18, v1, v18 dst_sel:BYTE_1 dst_unused:UNUSED_PAD src0_sel:DWORD src1_sel:DWORD
	v_cndmask_b32_e64 v1, 0, 1, vcc
	v_cmp_gt_u32_e32 vcc, s33, v30
	v_add_u32_e32 v28, 7, v23
	v_and_b32_e32 v17, v1, v17
	v_cndmask_b32_e64 v1, 0, 1, vcc
	v_cmp_gt_u32_e32 vcc, s33, v25
	v_add_u32_e32 v26, 8, v23
	v_and_b32_sdwa v16, v1, v16 dst_sel:BYTE_1 dst_unused:UNUSED_PAD src0_sel:DWORD src1_sel:DWORD
	v_cndmask_b32_e64 v1, 0, 1, vcc
	v_cmp_gt_u32_e32 vcc, s33, v28
	v_add_u32_e32 v27, 9, v23
	v_and_b32_e32 v15, v1, v15
	v_cndmask_b32_e64 v1, 0, 1, vcc
	v_cmp_gt_u32_e32 vcc, s33, v26
	v_and_b32_sdwa v14, v1, v14 dst_sel:BYTE_1 dst_unused:UNUSED_PAD src0_sel:DWORD src1_sel:DWORD
	v_cndmask_b32_e64 v1, 0, 1, vcc
	v_cmp_gt_u32_e32 vcc, s33, v27
	v_and_b32_e32 v21, v33, v21
	v_and_b32_sdwa v20, v32, v20 dst_sel:BYTE_1 dst_unused:UNUSED_PAD src0_sel:DWORD src1_sel:DWORD
	v_and_b32_e32 v24, v1, v13
	v_cndmask_b32_e64 v1, 0, 1, vcc
	v_and_b32_e32 v1, v1, v12
	v_or_b32_e32 v12, v21, v20
	v_or_b32_sdwa v13, v19, v18 dst_sel:WORD_1 dst_unused:UNUSED_PAD src0_sel:DWORD src1_sel:DWORD
	v_or_b32_sdwa v26, v12, v13 dst_sel:DWORD dst_unused:UNUSED_PAD src0_sel:WORD_0 src1_sel:DWORD
	v_or_b32_e32 v12, v17, v16
	v_or_b32_sdwa v13, v15, v14 dst_sel:WORD_1 dst_unused:UNUSED_PAD src0_sel:DWORD src1_sel:DWORD
	v_or_b32_sdwa v25, v12, v13 dst_sel:DWORD dst_unused:UNUSED_PAD src0_sel:WORD_0 src1_sel:DWORD
.LBB2461_28:
	v_bfe_u32 v30, v26, 16, 8
	v_lshrrev_b32_e32 v28, 24, v26
	v_add_u32_sdwa v13, v26, v26 dst_sel:DWORD dst_unused:UNUSED_PAD src0_sel:BYTE_1 src1_sel:BYTE_0
	v_and_b32_e32 v31, 0xff, v25
	v_bfe_u32 v32, v25, 8, 8
	v_add3_u32 v13, v13, v30, v28
	v_bfe_u32 v33, v25, 16, 8
	v_lshrrev_b32_e32 v27, 24, v25
	v_add3_u32 v13, v13, v31, v32
	v_and_b32_e32 v34, 0xff, v24
	v_and_b32_e32 v12, 0xff, v1
	v_add3_u32 v13, v13, v33, v27
	v_add3_u32 v37, v13, v34, v12
	v_mbcnt_lo_u32_b32 v12, -1, 0
	v_mbcnt_hi_u32_b32 v35, -1, v12
	v_and_b32_e32 v12, 15, v35
	v_cmp_eq_u32_e64 s[16:17], 0, v12
	v_cmp_lt_u32_e64 s[14:15], 1, v12
	v_cmp_lt_u32_e64 s[12:13], 3, v12
	;; [unrolled: 1-line block ×3, first 2 shown]
	v_and_b32_e32 v12, 16, v35
	v_cmp_eq_u32_e64 s[8:9], 0, v12
	v_or_b32_e32 v12, 63, v0
	s_cmp_lg_u32 s6, 0
	v_cmp_lt_u32_e64 s[2:3], 31, v35
	v_lshrrev_b32_e32 v36, 6, v0
	v_cmp_eq_u32_e64 s[20:21], v12, v0
	s_cbranch_scc0 .LBB2461_55
; %bb.29:
	v_mov_b32_dpp v12, v37 row_shr:1 row_mask:0xf bank_mask:0xf
	v_cndmask_b32_e64 v12, v12, 0, s[16:17]
	v_add_u32_e32 v12, v12, v37
	s_nop 1
	v_mov_b32_dpp v13, v12 row_shr:2 row_mask:0xf bank_mask:0xf
	v_cndmask_b32_e64 v13, 0, v13, s[14:15]
	v_add_u32_e32 v12, v12, v13
	s_nop 1
	;; [unrolled: 4-line block ×4, first 2 shown]
	v_mov_b32_dpp v13, v12 row_bcast:15 row_mask:0xf bank_mask:0xf
	v_cndmask_b32_e64 v13, v13, 0, s[8:9]
	v_add_u32_e32 v12, v12, v13
	s_nop 1
	v_mov_b32_dpp v13, v12 row_bcast:31 row_mask:0xf bank_mask:0xf
	v_cndmask_b32_e64 v13, 0, v13, s[2:3]
	v_add_u32_e32 v12, v12, v13
	s_and_saveexec_b64 s[18:19], s[20:21]
	s_cbranch_execz .LBB2461_31
; %bb.30:
	v_lshlrev_b32_e32 v13, 2, v36
	ds_write_b32 v13, v12
.LBB2461_31:
	s_or_b64 exec, exec, s[18:19]
	v_cmp_gt_u32_e32 vcc, 4, v0
	s_waitcnt lgkmcnt(0)
	s_barrier
	s_and_saveexec_b64 s[18:19], vcc
	s_cbranch_execz .LBB2461_33
; %bb.32:
	ds_read_b32 v13, v22
	v_and_b32_e32 v14, 3, v35
	v_cmp_ne_u32_e32 vcc, 0, v14
	s_waitcnt lgkmcnt(0)
	v_mov_b32_dpp v15, v13 row_shr:1 row_mask:0xf bank_mask:0xf
	v_cndmask_b32_e32 v15, 0, v15, vcc
	v_add_u32_e32 v13, v15, v13
	v_cmp_lt_u32_e32 vcc, 1, v14
	s_nop 0
	v_mov_b32_dpp v15, v13 row_shr:2 row_mask:0xf bank_mask:0xf
	v_cndmask_b32_e32 v14, 0, v15, vcc
	v_add_u32_e32 v13, v13, v14
	ds_write_b32 v22, v13
.LBB2461_33:
	s_or_b64 exec, exec, s[18:19]
	v_cmp_gt_u32_e32 vcc, 64, v0
	v_cmp_lt_u32_e64 s[18:19], 63, v0
	s_waitcnt lgkmcnt(0)
	s_barrier
	s_waitcnt lgkmcnt(0)
                                        ; implicit-def: $vgpr38
	s_and_saveexec_b64 s[36:37], s[18:19]
	s_cbranch_execz .LBB2461_35
; %bb.34:
	v_lshl_add_u32 v13, v36, 2, -4
	ds_read_b32 v38, v13
	s_waitcnt lgkmcnt(0)
	v_add_u32_e32 v12, v38, v12
.LBB2461_35:
	s_or_b64 exec, exec, s[36:37]
	v_add_u32_e32 v13, -1, v35
	v_and_b32_e32 v14, 64, v35
	v_cmp_lt_i32_e64 s[18:19], v13, v14
	v_cndmask_b32_e64 v13, v13, v35, s[18:19]
	v_lshlrev_b32_e32 v13, 2, v13
	ds_bpermute_b32 v39, v13, v12
	v_cmp_eq_u32_e64 s[18:19], 0, v35
	s_and_saveexec_b64 s[36:37], vcc
	s_cbranch_execz .LBB2461_54
; %bb.36:
	v_mov_b32_e32 v19, 0
	ds_read_b32 v12, v19 offset:12
	s_and_saveexec_b64 s[38:39], s[18:19]
	s_cbranch_execz .LBB2461_38
; %bb.37:
	s_add_i32 s40, s6, 64
	s_mov_b32 s41, 0
	s_lshl_b64 s[40:41], s[40:41], 3
	s_add_u32 s40, s34, s40
	v_mov_b32_e32 v13, 1
	s_addc_u32 s41, s35, s41
	s_waitcnt lgkmcnt(0)
	global_store_dwordx2 v19, v[12:13], s[40:41]
.LBB2461_38:
	s_or_b64 exec, exec, s[38:39]
	v_xad_u32 v14, v35, -1, s6
	v_add_u32_e32 v18, 64, v14
	v_lshlrev_b64 v[16:17], 3, v[18:19]
	v_mov_b32_e32 v13, s35
	v_add_co_u32_e32 v20, vcc, s34, v16
	v_addc_co_u32_e32 v21, vcc, v13, v17, vcc
	global_load_dwordx2 v[16:17], v[20:21], off glc
	s_waitcnt vmcnt(0)
	v_cmp_eq_u16_sdwa s[40:41], v17, v19 src0_sel:BYTE_0 src1_sel:DWORD
	s_and_saveexec_b64 s[38:39], s[40:41]
	s_cbranch_execz .LBB2461_42
; %bb.39:
	s_mov_b64 s[40:41], 0
	v_mov_b32_e32 v13, 0
.LBB2461_40:                            ; =>This Inner Loop Header: Depth=1
	global_load_dwordx2 v[16:17], v[20:21], off glc
	s_waitcnt vmcnt(0)
	v_cmp_ne_u16_sdwa s[42:43], v17, v13 src0_sel:BYTE_0 src1_sel:DWORD
	s_or_b64 s[40:41], s[42:43], s[40:41]
	s_andn2_b64 exec, exec, s[40:41]
	s_cbranch_execnz .LBB2461_40
; %bb.41:
	s_or_b64 exec, exec, s[40:41]
.LBB2461_42:
	s_or_b64 exec, exec, s[38:39]
	v_and_b32_e32 v41, 63, v35
	v_mov_b32_e32 v40, 2
	v_cmp_ne_u32_e32 vcc, 63, v41
	v_cmp_eq_u16_sdwa s[38:39], v17, v40 src0_sel:BYTE_0 src1_sel:DWORD
	v_lshlrev_b64 v[18:19], v35, -1
	v_addc_co_u32_e32 v20, vcc, 0, v35, vcc
	v_and_b32_e32 v13, s39, v19
	v_lshlrev_b32_e32 v42, 2, v20
	v_or_b32_e32 v13, 0x80000000, v13
	ds_bpermute_b32 v20, v42, v16
	v_and_b32_e32 v15, s38, v18
	v_ffbl_b32_e32 v13, v13
	v_add_u32_e32 v13, 32, v13
	v_ffbl_b32_e32 v15, v15
	v_min_u32_e32 v13, v15, v13
	v_cmp_lt_u32_e32 vcc, v41, v13
	s_waitcnt lgkmcnt(0)
	v_cndmask_b32_e32 v15, 0, v20, vcc
	v_cmp_gt_u32_e32 vcc, 62, v41
	v_add_u32_e32 v15, v15, v16
	v_cndmask_b32_e64 v16, 0, 1, vcc
	v_lshlrev_b32_e32 v16, 1, v16
	v_add_lshl_u32 v43, v16, v35, 2
	ds_bpermute_b32 v16, v43, v15
	v_add_u32_e32 v44, 2, v41
	v_cmp_le_u32_e32 vcc, v44, v13
	v_add_u32_e32 v46, 4, v41
	v_add_u32_e32 v48, 8, v41
	s_waitcnt lgkmcnt(0)
	v_cndmask_b32_e32 v16, 0, v16, vcc
	v_cmp_gt_u32_e32 vcc, 60, v41
	v_add_u32_e32 v15, v15, v16
	v_cndmask_b32_e64 v16, 0, 1, vcc
	v_lshlrev_b32_e32 v16, 2, v16
	v_add_lshl_u32 v45, v16, v35, 2
	ds_bpermute_b32 v16, v45, v15
	v_cmp_le_u32_e32 vcc, v46, v13
	v_add_u32_e32 v50, 16, v41
	v_add_u32_e32 v52, 32, v41
	s_waitcnt lgkmcnt(0)
	v_cndmask_b32_e32 v16, 0, v16, vcc
	v_cmp_gt_u32_e32 vcc, 56, v41
	v_add_u32_e32 v15, v15, v16
	v_cndmask_b32_e64 v16, 0, 1, vcc
	v_lshlrev_b32_e32 v16, 3, v16
	v_add_lshl_u32 v47, v16, v35, 2
	ds_bpermute_b32 v16, v47, v15
	v_cmp_le_u32_e32 vcc, v48, v13
	s_waitcnt lgkmcnt(0)
	v_cndmask_b32_e32 v16, 0, v16, vcc
	v_cmp_gt_u32_e32 vcc, 48, v41
	v_add_u32_e32 v15, v15, v16
	v_cndmask_b32_e64 v16, 0, 1, vcc
	v_lshlrev_b32_e32 v16, 4, v16
	v_add_lshl_u32 v49, v16, v35, 2
	ds_bpermute_b32 v16, v49, v15
	v_cmp_le_u32_e32 vcc, v50, v13
	;; [unrolled: 9-line block ×3, first 2 shown]
	s_waitcnt lgkmcnt(0)
	v_cndmask_b32_e32 v13, 0, v16, vcc
	v_add_u32_e32 v16, v15, v13
	v_mov_b32_e32 v15, 0
	s_branch .LBB2461_44
.LBB2461_43:                            ;   in Loop: Header=BB2461_44 Depth=1
	s_or_b64 exec, exec, s[38:39]
	v_cmp_eq_u16_sdwa s[38:39], v17, v40 src0_sel:BYTE_0 src1_sel:DWORD
	v_and_b32_e32 v20, s39, v19
	v_or_b32_e32 v20, 0x80000000, v20
	ds_bpermute_b32 v53, v42, v16
	v_and_b32_e32 v21, s38, v18
	v_ffbl_b32_e32 v20, v20
	v_add_u32_e32 v20, 32, v20
	v_ffbl_b32_e32 v21, v21
	v_min_u32_e32 v20, v21, v20
	v_cmp_lt_u32_e32 vcc, v41, v20
	s_waitcnt lgkmcnt(0)
	v_cndmask_b32_e32 v21, 0, v53, vcc
	v_add_u32_e32 v16, v21, v16
	ds_bpermute_b32 v21, v43, v16
	v_cmp_le_u32_e32 vcc, v44, v20
	v_subrev_u32_e32 v14, 64, v14
	s_waitcnt lgkmcnt(0)
	v_cndmask_b32_e32 v21, 0, v21, vcc
	v_add_u32_e32 v16, v16, v21
	ds_bpermute_b32 v21, v45, v16
	v_cmp_le_u32_e32 vcc, v46, v20
	s_waitcnt lgkmcnt(0)
	v_cndmask_b32_e32 v21, 0, v21, vcc
	v_add_u32_e32 v16, v16, v21
	ds_bpermute_b32 v21, v47, v16
	v_cmp_le_u32_e32 vcc, v48, v20
	;; [unrolled: 5-line block ×4, first 2 shown]
	s_waitcnt lgkmcnt(0)
	v_cndmask_b32_e32 v20, 0, v21, vcc
	v_add3_u32 v16, v20, v13, v16
.LBB2461_44:                            ; =>This Loop Header: Depth=1
                                        ;     Child Loop BB2461_47 Depth 2
	v_cmp_ne_u16_sdwa s[38:39], v17, v40 src0_sel:BYTE_0 src1_sel:DWORD
	v_cndmask_b32_e64 v13, 0, 1, s[38:39]
	;;#ASMSTART
	;;#ASMEND
	v_cmp_ne_u32_e32 vcc, 0, v13
	s_cmp_lg_u64 vcc, exec
	v_mov_b32_e32 v13, v16
	s_cbranch_scc1 .LBB2461_49
; %bb.45:                               ;   in Loop: Header=BB2461_44 Depth=1
	v_lshlrev_b64 v[16:17], 3, v[14:15]
	v_mov_b32_e32 v21, s35
	v_add_co_u32_e32 v20, vcc, s34, v16
	v_addc_co_u32_e32 v21, vcc, v21, v17, vcc
	global_load_dwordx2 v[16:17], v[20:21], off glc
	s_waitcnt vmcnt(0)
	v_cmp_eq_u16_sdwa s[40:41], v17, v15 src0_sel:BYTE_0 src1_sel:DWORD
	s_and_saveexec_b64 s[38:39], s[40:41]
	s_cbranch_execz .LBB2461_43
; %bb.46:                               ;   in Loop: Header=BB2461_44 Depth=1
	s_mov_b64 s[40:41], 0
.LBB2461_47:                            ;   Parent Loop BB2461_44 Depth=1
                                        ; =>  This Inner Loop Header: Depth=2
	global_load_dwordx2 v[16:17], v[20:21], off glc
	s_waitcnt vmcnt(0)
	v_cmp_ne_u16_sdwa s[42:43], v17, v15 src0_sel:BYTE_0 src1_sel:DWORD
	s_or_b64 s[40:41], s[42:43], s[40:41]
	s_andn2_b64 exec, exec, s[40:41]
	s_cbranch_execnz .LBB2461_47
; %bb.48:                               ;   in Loop: Header=BB2461_44 Depth=1
	s_or_b64 exec, exec, s[40:41]
	s_branch .LBB2461_43
.LBB2461_49:                            ;   in Loop: Header=BB2461_44 Depth=1
                                        ; implicit-def: $vgpr16
                                        ; implicit-def: $vgpr17
	s_cbranch_execz .LBB2461_44
; %bb.50:
	s_and_saveexec_b64 s[38:39], s[18:19]
	s_cbranch_execz .LBB2461_52
; %bb.51:
	s_add_i32 s6, s6, 64
	s_mov_b32 s7, 0
	s_lshl_b64 s[6:7], s[6:7], 3
	s_add_u32 s6, s34, s6
	v_add_u32_e32 v14, v13, v12
	v_mov_b32_e32 v15, 2
	s_addc_u32 s7, s35, s7
	v_mov_b32_e32 v16, 0
	global_store_dwordx2 v16, v[14:15], s[6:7]
	ds_write_b64 v16, v[12:13] offset:10240
.LBB2461_52:
	s_or_b64 exec, exec, s[38:39]
	v_cmp_eq_u32_e32 vcc, 0, v0
	s_and_b64 exec, exec, vcc
	s_cbranch_execz .LBB2461_54
; %bb.53:
	v_mov_b32_e32 v12, 0
	ds_write_b32 v12, v13 offset:12
.LBB2461_54:
	s_or_b64 exec, exec, s[36:37]
	v_mov_b32_e32 v12, 0
	s_waitcnt lgkmcnt(0)
	s_barrier
	ds_read_b32 v13, v12 offset:12
	v_cndmask_b32_e64 v14, v39, v38, s[18:19]
	v_cmp_ne_u32_e32 vcc, 0, v0
	v_cndmask_b32_e32 v14, 0, v14, vcc
	s_waitcnt lgkmcnt(0)
	v_add_u32_e32 v39, v13, v14
	v_add_u32_sdwa v38, v39, v26 dst_sel:DWORD dst_unused:UNUSED_PAD src0_sel:DWORD src1_sel:BYTE_0
	v_add_u32_sdwa v21, v38, v26 dst_sel:DWORD dst_unused:UNUSED_PAD src0_sel:DWORD src1_sel:BYTE_1
	v_add_u32_e32 v20, v21, v30
	v_add_u32_e32 v19, v20, v28
	;; [unrolled: 1-line block ×3, first 2 shown]
	s_barrier
	ds_read_b64 v[12:13], v12 offset:10240
	v_add_u32_e32 v17, v18, v32
	v_add_u32_e32 v16, v17, v33
	;; [unrolled: 1-line block ×4, first 2 shown]
	s_load_dwordx2 s[4:5], s[4:5], 0x38
	s_branch .LBB2461_65
.LBB2461_55:
                                        ; implicit-def: $vgpr13
                                        ; implicit-def: $vgpr14
                                        ; implicit-def: $vgpr15
                                        ; implicit-def: $vgpr16
                                        ; implicit-def: $vgpr17
                                        ; implicit-def: $vgpr18
                                        ; implicit-def: $vgpr19
                                        ; implicit-def: $vgpr20
                                        ; implicit-def: $vgpr21
                                        ; implicit-def: $vgpr38
                                        ; implicit-def: $vgpr39
	s_load_dwordx2 s[4:5], s[4:5], 0x38
	s_cbranch_execz .LBB2461_65
; %bb.56:
	s_waitcnt lgkmcnt(0)
	v_mov_b32_dpp v12, v37 row_shr:1 row_mask:0xf bank_mask:0xf
	v_cndmask_b32_e64 v12, v12, 0, s[16:17]
	v_add_u32_e32 v12, v12, v37
	s_nop 1
	v_mov_b32_dpp v13, v12 row_shr:2 row_mask:0xf bank_mask:0xf
	v_cndmask_b32_e64 v13, 0, v13, s[14:15]
	v_add_u32_e32 v12, v12, v13
	s_nop 1
	;; [unrolled: 4-line block ×4, first 2 shown]
	v_mov_b32_dpp v13, v12 row_bcast:15 row_mask:0xf bank_mask:0xf
	v_cndmask_b32_e64 v13, v13, 0, s[8:9]
	v_add_u32_e32 v12, v12, v13
	s_nop 1
	v_mov_b32_dpp v13, v12 row_bcast:31 row_mask:0xf bank_mask:0xf
	v_cndmask_b32_e64 v13, 0, v13, s[2:3]
	v_add_u32_e32 v12, v12, v13
	s_and_saveexec_b64 s[2:3], s[20:21]
	s_cbranch_execz .LBB2461_58
; %bb.57:
	v_lshlrev_b32_e32 v13, 2, v36
	ds_write_b32 v13, v12
.LBB2461_58:
	s_or_b64 exec, exec, s[2:3]
	v_cmp_gt_u32_e32 vcc, 4, v0
	s_waitcnt lgkmcnt(0)
	s_barrier
	s_and_saveexec_b64 s[2:3], vcc
	s_cbranch_execz .LBB2461_60
; %bb.59:
	s_movk_i32 s6, 0xffdc
	v_mad_i32_i24 v13, v0, s6, v29
	ds_read_b32 v14, v13
	v_and_b32_e32 v15, 3, v35
	v_cmp_ne_u32_e32 vcc, 0, v15
	s_waitcnt lgkmcnt(0)
	v_mov_b32_dpp v16, v14 row_shr:1 row_mask:0xf bank_mask:0xf
	v_cndmask_b32_e32 v16, 0, v16, vcc
	v_add_u32_e32 v14, v16, v14
	v_cmp_lt_u32_e32 vcc, 1, v15
	s_nop 0
	v_mov_b32_dpp v16, v14 row_shr:2 row_mask:0xf bank_mask:0xf
	v_cndmask_b32_e32 v15, 0, v16, vcc
	v_add_u32_e32 v14, v14, v15
	ds_write_b32 v13, v14
.LBB2461_60:
	s_or_b64 exec, exec, s[2:3]
	v_cmp_lt_u32_e32 vcc, 63, v0
	v_mov_b32_e32 v13, 0
	v_mov_b32_e32 v14, 0
	s_waitcnt lgkmcnt(0)
	s_barrier
	s_and_saveexec_b64 s[2:3], vcc
	s_cbranch_execz .LBB2461_62
; %bb.61:
	v_lshl_add_u32 v14, v36, 2, -4
	ds_read_b32 v14, v14
.LBB2461_62:
	s_or_b64 exec, exec, s[2:3]
	v_add_u32_e32 v15, -1, v35
	v_and_b32_e32 v16, 64, v35
	v_cmp_lt_i32_e32 vcc, v15, v16
	v_cndmask_b32_e32 v15, v15, v35, vcc
	s_waitcnt lgkmcnt(0)
	v_add_u32_e32 v12, v14, v12
	v_lshlrev_b32_e32 v15, 2, v15
	ds_bpermute_b32 v15, v15, v12
	ds_read_b32 v12, v13 offset:12
	v_cmp_eq_u32_e32 vcc, 0, v0
	s_and_saveexec_b64 s[2:3], vcc
	s_cbranch_execz .LBB2461_64
; %bb.63:
	v_mov_b32_e32 v16, 0
	v_mov_b32_e32 v13, 2
	s_waitcnt lgkmcnt(0)
	global_store_dwordx2 v16, v[12:13], s[34:35] offset:512
.LBB2461_64:
	s_or_b64 exec, exec, s[2:3]
	v_cmp_eq_u32_e64 s[2:3], 0, v35
	s_waitcnt lgkmcnt(1)
	v_cndmask_b32_e64 v14, v15, v14, s[2:3]
	v_cndmask_b32_e64 v39, v14, 0, vcc
	v_add_u32_sdwa v38, v39, v26 dst_sel:DWORD dst_unused:UNUSED_PAD src0_sel:DWORD src1_sel:BYTE_0
	v_add_u32_sdwa v21, v38, v26 dst_sel:DWORD dst_unused:UNUSED_PAD src0_sel:DWORD src1_sel:BYTE_1
	v_add_u32_e32 v20, v21, v30
	v_add_u32_e32 v19, v20, v28
	;; [unrolled: 1-line block ×6, first 2 shown]
	v_mov_b32_e32 v13, 0
	v_add_u32_e32 v14, v15, v34
	s_waitcnt lgkmcnt(0)
	s_barrier
.LBB2461_65:
	s_waitcnt lgkmcnt(0)
	v_add_u32_e32 v23, v12, v23
	v_sub_u32_e32 v31, v39, v13
	v_and_b32_e32 v33, 1, v26
	v_sub_u32_e32 v32, v23, v31
	v_cmp_eq_u32_e32 vcc, 1, v33
	v_cndmask_b32_e32 v31, v32, v31, vcc
	v_lshlrev_b32_e32 v31, 2, v31
	v_lshrrev_b32_e32 v30, 8, v26
	ds_write_b32 v31, v6
	v_sub_u32_e32 v6, v38, v13
	v_sub_u32_e32 v31, v23, v6
	v_and_b32_e32 v30, 1, v30
	v_add_u32_e32 v31, 1, v31
	v_cmp_eq_u32_e32 vcc, 1, v30
	v_cndmask_b32_e32 v6, v31, v6, vcc
	v_lshlrev_b32_e32 v6, 2, v6
	ds_write_b32 v6, v7
	v_sub_u32_e32 v6, v21, v13
	v_mov_b32_e32 v21, 1
	v_sub_u32_e32 v7, v23, v6
	v_and_b32_sdwa v26, v21, v26 dst_sel:DWORD dst_unused:UNUSED_PAD src0_sel:DWORD src1_sel:WORD_1
	v_add_u32_e32 v7, 2, v7
	v_cmp_eq_u32_e32 vcc, 1, v26
	v_cndmask_b32_e32 v6, v7, v6, vcc
	v_lshlrev_b32_e32 v6, 2, v6
	ds_write_b32 v6, v8
	v_sub_u32_e32 v6, v20, v13
	v_sub_u32_e32 v7, v23, v6
	v_and_b32_e32 v8, 1, v28
	v_add_u32_e32 v7, 3, v7
	v_cmp_eq_u32_e32 vcc, 1, v8
	v_cndmask_b32_e32 v6, v7, v6, vcc
	v_lshlrev_b32_e32 v6, 2, v6
	ds_write_b32 v6, v9
	v_sub_u32_e32 v6, v19, v13
	v_sub_u32_e32 v7, v23, v6
	v_and_b32_e32 v8, 1, v25
	v_add_u32_e32 v7, 4, v7
	v_cmp_eq_u32_e32 vcc, 1, v8
	v_cndmask_b32_e32 v6, v7, v6, vcc
	v_lshlrev_b32_e32 v6, 2, v6
	v_lshrrev_b32_e32 v29, 8, v25
	ds_write_b32 v6, v2
	v_sub_u32_e32 v2, v18, v13
	v_sub_u32_e32 v6, v23, v2
	v_and_b32_e32 v7, 1, v29
	v_add_u32_e32 v6, 5, v6
	v_cmp_eq_u32_e32 vcc, 1, v7
	v_cndmask_b32_e32 v2, v6, v2, vcc
	v_lshlrev_b32_e32 v2, 2, v2
	ds_write_b32 v2, v3
	v_sub_u32_e32 v2, v17, v13
	v_sub_u32_e32 v3, v23, v2
	v_and_b32_sdwa v6, v21, v25 dst_sel:DWORD dst_unused:UNUSED_PAD src0_sel:DWORD src1_sel:WORD_1
	v_add_u32_e32 v3, 6, v3
	v_cmp_eq_u32_e32 vcc, 1, v6
	v_cndmask_b32_e32 v2, v3, v2, vcc
	v_lshlrev_b32_e32 v2, 2, v2
	ds_write_b32 v2, v4
	v_sub_u32_e32 v2, v16, v13
	v_sub_u32_e32 v3, v23, v2
	v_and_b32_e32 v4, 1, v27
	v_add_u32_e32 v3, 7, v3
	v_cmp_eq_u32_e32 vcc, 1, v4
	v_cndmask_b32_e32 v2, v3, v2, vcc
	v_lshlrev_b32_e32 v2, 2, v2
	ds_write_b32 v2, v5
	v_sub_u32_e32 v2, v15, v13
	v_sub_u32_e32 v3, v23, v2
	v_and_b32_e32 v4, 1, v24
	;; [unrolled: 8-line block ×3, first 2 shown]
	v_add_u32_e32 v3, 9, v3
	v_cmp_eq_u32_e32 vcc, 1, v1
	v_cndmask_b32_e32 v1, v3, v2, vcc
	v_lshlrev_b32_e32 v1, 2, v1
	ds_write_b32 v1, v11
	v_mov_b32_e32 v1, s29
	v_add_co_u32_e32 v2, vcc, s28, v12
	v_addc_co_u32_e32 v1, vcc, 0, v1, vcc
	v_add_co_u32_e32 v2, vcc, v2, v13
	v_addc_co_u32_e32 v3, vcc, 0, v1, vcc
	v_mov_b32_e32 v1, s23
	v_sub_co_u32_e32 v28, vcc, s22, v2
	v_subb_co_u32_e32 v29, vcc, v1, v3, vcc
	v_lshlrev_b64 v[28:29], 2, v[28:29]
	s_waitcnt lgkmcnt(0)
	s_barrier
	ds_read2st64_b32 v[16:17], v22 offset1:4
	ds_read2st64_b32 v[14:15], v22 offset0:8 offset1:12
	ds_read2st64_b32 v[10:11], v22 offset0:16 offset1:20
	;; [unrolled: 1-line block ×4, first 2 shown]
	v_mov_b32_e32 v1, s5
	v_add_co_u32_e32 v6, vcc, s4, v28
	v_addc_co_u32_e32 v1, vcc, v1, v29, vcc
	v_mov_b32_e32 v13, s31
	v_add_co_u32_e32 v6, vcc, s30, v6
	v_addc_co_u32_e32 v1, vcc, v1, v13, vcc
	v_or_b32_e32 v26, 0x100, v0
	v_or_b32_e32 v25, 0x200, v0
	;; [unrolled: 1-line block ×9, first 2 shown]
	s_and_b64 vcc, exec, s[0:1]
	v_cmp_le_u32_e64 s[0:1], v12, v0
	s_cbranch_vccnz .LBB2461_77
; %bb.66:
	s_and_saveexec_b64 s[2:3], s[0:1]
	s_cbranch_execnz .LBB2461_102
; %bb.67:
	s_or_b64 exec, exec, s[2:3]
	v_cmp_ge_u32_e32 vcc, v26, v12
	s_and_saveexec_b64 s[0:1], vcc
	s_cbranch_execnz .LBB2461_103
.LBB2461_68:
	s_or_b64 exec, exec, s[0:1]
	v_cmp_ge_u32_e32 vcc, v25, v12
	s_and_saveexec_b64 s[0:1], vcc
	s_cbranch_execnz .LBB2461_104
.LBB2461_69:
	s_or_b64 exec, exec, s[0:1]
	v_cmp_ge_u32_e32 vcc, v24, v12
	s_and_saveexec_b64 s[0:1], vcc
	s_cbranch_execnz .LBB2461_105
.LBB2461_70:
	s_or_b64 exec, exec, s[0:1]
	v_cmp_ge_u32_e32 vcc, v23, v12
	s_and_saveexec_b64 s[0:1], vcc
	s_cbranch_execnz .LBB2461_106
.LBB2461_71:
	s_or_b64 exec, exec, s[0:1]
	v_cmp_ge_u32_e32 vcc, v21, v12
	s_and_saveexec_b64 s[0:1], vcc
	s_cbranch_execnz .LBB2461_107
.LBB2461_72:
	s_or_b64 exec, exec, s[0:1]
	v_cmp_ge_u32_e32 vcc, v20, v12
	s_and_saveexec_b64 s[0:1], vcc
	s_cbranch_execnz .LBB2461_108
.LBB2461_73:
	s_or_b64 exec, exec, s[0:1]
	v_cmp_ge_u32_e32 vcc, v19, v12
	s_and_saveexec_b64 s[0:1], vcc
	s_cbranch_execnz .LBB2461_109
.LBB2461_74:
	s_or_b64 exec, exec, s[0:1]
	v_cmp_ge_u32_e32 vcc, v18, v12
	s_and_saveexec_b64 s[0:1], vcc
	s_cbranch_execz .LBB2461_76
.LBB2461_75:
	v_lshlrev_b32_e32 v13, 2, v18
	v_readfirstlane_b32 s2, v6
	v_readfirstlane_b32 s3, v1
	s_waitcnt lgkmcnt(0)
	s_nop 3
	global_store_dword v13, v4, s[2:3]
.LBB2461_76:
	s_or_b64 exec, exec, s[0:1]
	v_cmp_ge_u32_e64 s[0:1], v7, v12
	s_branch .LBB2461_97
.LBB2461_77:
	s_mov_b64 s[0:1], 0
	s_cbranch_execz .LBB2461_97
; %bb.78:
	v_cmp_gt_u32_e32 vcc, s33, v0
	v_cmp_le_u32_e64 s[0:1], v12, v0
	s_and_b64 s[2:3], vcc, s[0:1]
	s_and_saveexec_b64 s[0:1], s[2:3]
	s_cbranch_execz .LBB2461_80
; %bb.79:
	v_readfirstlane_b32 s2, v6
	v_readfirstlane_b32 s3, v1
	s_waitcnt lgkmcnt(4)
	s_nop 3
	global_store_dword v22, v16, s[2:3]
.LBB2461_80:
	s_or_b64 exec, exec, s[0:1]
	v_cmp_gt_u32_e32 vcc, s33, v26
	v_cmp_ge_u32_e64 s[0:1], v26, v12
	s_and_b64 s[2:3], vcc, s[0:1]
	s_and_saveexec_b64 s[0:1], s[2:3]
	s_cbranch_execz .LBB2461_82
; %bb.81:
	v_readfirstlane_b32 s2, v6
	v_readfirstlane_b32 s3, v1
	s_waitcnt lgkmcnt(4)
	s_nop 3
	global_store_dword v22, v17, s[2:3] offset:1024
.LBB2461_82:
	s_or_b64 exec, exec, s[0:1]
	v_cmp_gt_u32_e32 vcc, s33, v25
	v_cmp_ge_u32_e64 s[0:1], v25, v12
	s_and_b64 s[2:3], vcc, s[0:1]
	s_and_saveexec_b64 s[0:1], s[2:3]
	s_cbranch_execz .LBB2461_84
; %bb.83:
	v_readfirstlane_b32 s2, v6
	v_readfirstlane_b32 s3, v1
	s_waitcnt lgkmcnt(3)
	s_nop 3
	global_store_dword v22, v14, s[2:3] offset:2048
.LBB2461_84:
	;; [unrolled: 13-line block ×3, first 2 shown]
	s_or_b64 exec, exec, s[0:1]
	v_cmp_gt_u32_e32 vcc, s33, v23
	v_cmp_ge_u32_e64 s[0:1], v23, v12
	s_and_b64 s[2:3], vcc, s[0:1]
	s_and_saveexec_b64 s[0:1], s[2:3]
	s_cbranch_execz .LBB2461_88
; %bb.87:
	v_lshlrev_b32_e32 v13, 2, v23
	v_readfirstlane_b32 s2, v6
	v_readfirstlane_b32 s3, v1
	s_waitcnt lgkmcnt(2)
	s_nop 3
	global_store_dword v13, v10, s[2:3]
.LBB2461_88:
	s_or_b64 exec, exec, s[0:1]
	v_cmp_gt_u32_e32 vcc, s33, v21
	v_cmp_ge_u32_e64 s[0:1], v21, v12
	s_and_b64 s[2:3], vcc, s[0:1]
	s_and_saveexec_b64 s[0:1], s[2:3]
	s_cbranch_execz .LBB2461_90
; %bb.89:
	s_waitcnt lgkmcnt(2)
	v_lshlrev_b32_e32 v10, 2, v21
	v_readfirstlane_b32 s2, v6
	v_readfirstlane_b32 s3, v1
	s_nop 4
	global_store_dword v10, v11, s[2:3]
.LBB2461_90:
	s_or_b64 exec, exec, s[0:1]
	v_cmp_gt_u32_e32 vcc, s33, v20
	v_cmp_ge_u32_e64 s[0:1], v20, v12
	s_and_b64 s[2:3], vcc, s[0:1]
	s_and_saveexec_b64 s[0:1], s[2:3]
	s_cbranch_execz .LBB2461_92
; %bb.91:
	s_waitcnt lgkmcnt(2)
	v_lshlrev_b32_e32 v10, 2, v20
	v_readfirstlane_b32 s2, v6
	v_readfirstlane_b32 s3, v1
	s_waitcnt lgkmcnt(1)
	s_nop 3
	global_store_dword v10, v8, s[2:3]
.LBB2461_92:
	s_or_b64 exec, exec, s[0:1]
	v_cmp_gt_u32_e32 vcc, s33, v19
	v_cmp_ge_u32_e64 s[0:1], v19, v12
	s_and_b64 s[2:3], vcc, s[0:1]
	s_and_saveexec_b64 s[0:1], s[2:3]
	s_cbranch_execz .LBB2461_94
; %bb.93:
	s_waitcnt lgkmcnt(1)
	v_lshlrev_b32_e32 v8, 2, v19
	v_readfirstlane_b32 s2, v6
	v_readfirstlane_b32 s3, v1
	s_nop 4
	global_store_dword v8, v9, s[2:3]
.LBB2461_94:
	s_or_b64 exec, exec, s[0:1]
	v_cmp_gt_u32_e32 vcc, s33, v18
	v_cmp_ge_u32_e64 s[0:1], v18, v12
	s_and_b64 s[2:3], vcc, s[0:1]
	s_and_saveexec_b64 s[0:1], s[2:3]
	s_cbranch_execz .LBB2461_96
; %bb.95:
	s_waitcnt lgkmcnt(1)
	v_lshlrev_b32_e32 v8, 2, v18
	v_readfirstlane_b32 s2, v6
	v_readfirstlane_b32 s3, v1
	s_waitcnt lgkmcnt(0)
	s_nop 3
	global_store_dword v8, v4, s[2:3]
.LBB2461_96:
	s_or_b64 exec, exec, s[0:1]
	v_cmp_gt_u32_e32 vcc, s33, v7
	v_cmp_ge_u32_e64 s[0:1], v7, v12
	s_and_b64 s[0:1], vcc, s[0:1]
.LBB2461_97:
	s_and_saveexec_b64 s[2:3], s[0:1]
	s_cbranch_execz .LBB2461_99
; %bb.98:
	s_waitcnt lgkmcnt(0)
	v_lshlrev_b32_e32 v4, 2, v7
	v_readfirstlane_b32 s0, v6
	v_readfirstlane_b32 s1, v1
	s_nop 4
	global_store_dword v4, v5, s[0:1]
.LBB2461_99:
	s_or_b64 exec, exec, s[2:3]
	v_cmp_eq_u32_e32 vcc, 0, v0
	s_and_b64 s[0:1], vcc, s[26:27]
	s_and_saveexec_b64 s[2:3], s[0:1]
	s_cbranch_execz .LBB2461_101
; %bb.100:
	v_mov_b32_e32 v0, 0
	global_store_dwordx2 v0, v[2:3], s[24:25]
.LBB2461_101:
	s_endpgm
.LBB2461_102:
	v_readfirstlane_b32 s0, v6
	v_readfirstlane_b32 s1, v1
	s_waitcnt lgkmcnt(4)
	s_nop 3
	global_store_dword v22, v16, s[0:1]
	s_or_b64 exec, exec, s[2:3]
	v_cmp_ge_u32_e32 vcc, v26, v12
	s_and_saveexec_b64 s[0:1], vcc
	s_cbranch_execz .LBB2461_68
.LBB2461_103:
	v_readfirstlane_b32 s2, v6
	v_readfirstlane_b32 s3, v1
	s_waitcnt lgkmcnt(4)
	s_nop 3
	global_store_dword v22, v17, s[2:3] offset:1024
	s_or_b64 exec, exec, s[0:1]
	v_cmp_ge_u32_e32 vcc, v25, v12
	s_and_saveexec_b64 s[0:1], vcc
	s_cbranch_execz .LBB2461_69
.LBB2461_104:
	v_readfirstlane_b32 s2, v6
	v_readfirstlane_b32 s3, v1
	s_waitcnt lgkmcnt(3)
	s_nop 3
	global_store_dword v22, v14, s[2:3] offset:2048
	s_or_b64 exec, exec, s[0:1]
	v_cmp_ge_u32_e32 vcc, v24, v12
	s_and_saveexec_b64 s[0:1], vcc
	s_cbranch_execz .LBB2461_70
.LBB2461_105:
	v_readfirstlane_b32 s2, v6
	v_readfirstlane_b32 s3, v1
	s_waitcnt lgkmcnt(3)
	s_nop 3
	global_store_dword v22, v15, s[2:3] offset:3072
	s_or_b64 exec, exec, s[0:1]
	v_cmp_ge_u32_e32 vcc, v23, v12
	s_and_saveexec_b64 s[0:1], vcc
	s_cbranch_execz .LBB2461_71
.LBB2461_106:
	v_lshlrev_b32_e32 v13, 2, v23
	v_readfirstlane_b32 s2, v6
	v_readfirstlane_b32 s3, v1
	s_waitcnt lgkmcnt(2)
	s_nop 3
	global_store_dword v13, v10, s[2:3]
	s_or_b64 exec, exec, s[0:1]
	v_cmp_ge_u32_e32 vcc, v21, v12
	s_and_saveexec_b64 s[0:1], vcc
	s_cbranch_execz .LBB2461_72
.LBB2461_107:
	v_lshlrev_b32_e32 v13, 2, v21
	v_readfirstlane_b32 s2, v6
	v_readfirstlane_b32 s3, v1
	s_waitcnt lgkmcnt(2)
	s_nop 3
	global_store_dword v13, v11, s[2:3]
	s_or_b64 exec, exec, s[0:1]
	v_cmp_ge_u32_e32 vcc, v20, v12
	s_and_saveexec_b64 s[0:1], vcc
	s_cbranch_execz .LBB2461_73
.LBB2461_108:
	v_lshlrev_b32_e32 v13, 2, v20
	v_readfirstlane_b32 s2, v6
	v_readfirstlane_b32 s3, v1
	s_waitcnt lgkmcnt(1)
	s_nop 3
	global_store_dword v13, v8, s[2:3]
	s_or_b64 exec, exec, s[0:1]
	v_cmp_ge_u32_e32 vcc, v19, v12
	s_and_saveexec_b64 s[0:1], vcc
	s_cbranch_execz .LBB2461_74
.LBB2461_109:
	v_lshlrev_b32_e32 v13, 2, v19
	v_readfirstlane_b32 s2, v6
	v_readfirstlane_b32 s3, v1
	s_waitcnt lgkmcnt(1)
	s_nop 3
	global_store_dword v13, v9, s[2:3]
	s_or_b64 exec, exec, s[0:1]
	v_cmp_ge_u32_e32 vcc, v18, v12
	s_and_saveexec_b64 s[0:1], vcc
	s_cbranch_execnz .LBB2461_75
	s_branch .LBB2461_76
	.section	.rodata,"a",@progbits
	.p2align	6, 0x0
	.amdhsa_kernel _ZN7rocprim17ROCPRIM_400000_NS6detail17trampoline_kernelINS0_14default_configENS1_25partition_config_selectorILNS1_17partition_subalgoE0EjNS0_10empty_typeEbEEZZNS1_14partition_implILS5_0ELb0ES3_jN6thrust23THRUST_200600_302600_NS6detail15normal_iteratorINSA_10device_ptrIjEEEEPS6_SG_NS0_5tupleIJNSA_16discard_iteratorINSA_11use_defaultEEESF_EEENSH_IJSG_SG_EEES6_PlJ7is_evenIjEEEE10hipError_tPvRmT3_T4_T5_T6_T7_T9_mT8_P12ihipStream_tbDpT10_ENKUlT_T0_E_clISt17integral_constantIbLb0EES19_EEDaS14_S15_EUlS14_E_NS1_11comp_targetILNS1_3genE4ELNS1_11target_archE910ELNS1_3gpuE8ELNS1_3repE0EEENS1_30default_config_static_selectorELNS0_4arch9wavefront6targetE1EEEvT1_
		.amdhsa_group_segment_fixed_size 10248
		.amdhsa_private_segment_fixed_size 0
		.amdhsa_kernarg_size 128
		.amdhsa_user_sgpr_count 6
		.amdhsa_user_sgpr_private_segment_buffer 1
		.amdhsa_user_sgpr_dispatch_ptr 0
		.amdhsa_user_sgpr_queue_ptr 0
		.amdhsa_user_sgpr_kernarg_segment_ptr 1
		.amdhsa_user_sgpr_dispatch_id 0
		.amdhsa_user_sgpr_flat_scratch_init 0
		.amdhsa_user_sgpr_kernarg_preload_length 0
		.amdhsa_user_sgpr_kernarg_preload_offset 0
		.amdhsa_user_sgpr_private_segment_size 0
		.amdhsa_uses_dynamic_stack 0
		.amdhsa_system_sgpr_private_segment_wavefront_offset 0
		.amdhsa_system_sgpr_workgroup_id_x 1
		.amdhsa_system_sgpr_workgroup_id_y 0
		.amdhsa_system_sgpr_workgroup_id_z 0
		.amdhsa_system_sgpr_workgroup_info 0
		.amdhsa_system_vgpr_workitem_id 0
		.amdhsa_next_free_vgpr 54
		.amdhsa_next_free_sgpr 44
		.amdhsa_accum_offset 56
		.amdhsa_reserve_vcc 1
		.amdhsa_reserve_flat_scratch 0
		.amdhsa_float_round_mode_32 0
		.amdhsa_float_round_mode_16_64 0
		.amdhsa_float_denorm_mode_32 3
		.amdhsa_float_denorm_mode_16_64 3
		.amdhsa_dx10_clamp 1
		.amdhsa_ieee_mode 1
		.amdhsa_fp16_overflow 0
		.amdhsa_tg_split 0
		.amdhsa_exception_fp_ieee_invalid_op 0
		.amdhsa_exception_fp_denorm_src 0
		.amdhsa_exception_fp_ieee_div_zero 0
		.amdhsa_exception_fp_ieee_overflow 0
		.amdhsa_exception_fp_ieee_underflow 0
		.amdhsa_exception_fp_ieee_inexact 0
		.amdhsa_exception_int_div_zero 0
	.end_amdhsa_kernel
	.section	.text._ZN7rocprim17ROCPRIM_400000_NS6detail17trampoline_kernelINS0_14default_configENS1_25partition_config_selectorILNS1_17partition_subalgoE0EjNS0_10empty_typeEbEEZZNS1_14partition_implILS5_0ELb0ES3_jN6thrust23THRUST_200600_302600_NS6detail15normal_iteratorINSA_10device_ptrIjEEEEPS6_SG_NS0_5tupleIJNSA_16discard_iteratorINSA_11use_defaultEEESF_EEENSH_IJSG_SG_EEES6_PlJ7is_evenIjEEEE10hipError_tPvRmT3_T4_T5_T6_T7_T9_mT8_P12ihipStream_tbDpT10_ENKUlT_T0_E_clISt17integral_constantIbLb0EES19_EEDaS14_S15_EUlS14_E_NS1_11comp_targetILNS1_3genE4ELNS1_11target_archE910ELNS1_3gpuE8ELNS1_3repE0EEENS1_30default_config_static_selectorELNS0_4arch9wavefront6targetE1EEEvT1_,"axG",@progbits,_ZN7rocprim17ROCPRIM_400000_NS6detail17trampoline_kernelINS0_14default_configENS1_25partition_config_selectorILNS1_17partition_subalgoE0EjNS0_10empty_typeEbEEZZNS1_14partition_implILS5_0ELb0ES3_jN6thrust23THRUST_200600_302600_NS6detail15normal_iteratorINSA_10device_ptrIjEEEEPS6_SG_NS0_5tupleIJNSA_16discard_iteratorINSA_11use_defaultEEESF_EEENSH_IJSG_SG_EEES6_PlJ7is_evenIjEEEE10hipError_tPvRmT3_T4_T5_T6_T7_T9_mT8_P12ihipStream_tbDpT10_ENKUlT_T0_E_clISt17integral_constantIbLb0EES19_EEDaS14_S15_EUlS14_E_NS1_11comp_targetILNS1_3genE4ELNS1_11target_archE910ELNS1_3gpuE8ELNS1_3repE0EEENS1_30default_config_static_selectorELNS0_4arch9wavefront6targetE1EEEvT1_,comdat
.Lfunc_end2461:
	.size	_ZN7rocprim17ROCPRIM_400000_NS6detail17trampoline_kernelINS0_14default_configENS1_25partition_config_selectorILNS1_17partition_subalgoE0EjNS0_10empty_typeEbEEZZNS1_14partition_implILS5_0ELb0ES3_jN6thrust23THRUST_200600_302600_NS6detail15normal_iteratorINSA_10device_ptrIjEEEEPS6_SG_NS0_5tupleIJNSA_16discard_iteratorINSA_11use_defaultEEESF_EEENSH_IJSG_SG_EEES6_PlJ7is_evenIjEEEE10hipError_tPvRmT3_T4_T5_T6_T7_T9_mT8_P12ihipStream_tbDpT10_ENKUlT_T0_E_clISt17integral_constantIbLb0EES19_EEDaS14_S15_EUlS14_E_NS1_11comp_targetILNS1_3genE4ELNS1_11target_archE910ELNS1_3gpuE8ELNS1_3repE0EEENS1_30default_config_static_selectorELNS0_4arch9wavefront6targetE1EEEvT1_, .Lfunc_end2461-_ZN7rocprim17ROCPRIM_400000_NS6detail17trampoline_kernelINS0_14default_configENS1_25partition_config_selectorILNS1_17partition_subalgoE0EjNS0_10empty_typeEbEEZZNS1_14partition_implILS5_0ELb0ES3_jN6thrust23THRUST_200600_302600_NS6detail15normal_iteratorINSA_10device_ptrIjEEEEPS6_SG_NS0_5tupleIJNSA_16discard_iteratorINSA_11use_defaultEEESF_EEENSH_IJSG_SG_EEES6_PlJ7is_evenIjEEEE10hipError_tPvRmT3_T4_T5_T6_T7_T9_mT8_P12ihipStream_tbDpT10_ENKUlT_T0_E_clISt17integral_constantIbLb0EES19_EEDaS14_S15_EUlS14_E_NS1_11comp_targetILNS1_3genE4ELNS1_11target_archE910ELNS1_3gpuE8ELNS1_3repE0EEENS1_30default_config_static_selectorELNS0_4arch9wavefront6targetE1EEEvT1_
                                        ; -- End function
	.section	.AMDGPU.csdata,"",@progbits
; Kernel info:
; codeLenInByte = 5148
; NumSgprs: 48
; NumVgprs: 54
; NumAgprs: 0
; TotalNumVgprs: 54
; ScratchSize: 0
; MemoryBound: 0
; FloatMode: 240
; IeeeMode: 1
; LDSByteSize: 10248 bytes/workgroup (compile time only)
; SGPRBlocks: 5
; VGPRBlocks: 6
; NumSGPRsForWavesPerEU: 48
; NumVGPRsForWavesPerEU: 54
; AccumOffset: 56
; Occupancy: 6
; WaveLimiterHint : 1
; COMPUTE_PGM_RSRC2:SCRATCH_EN: 0
; COMPUTE_PGM_RSRC2:USER_SGPR: 6
; COMPUTE_PGM_RSRC2:TRAP_HANDLER: 0
; COMPUTE_PGM_RSRC2:TGID_X_EN: 1
; COMPUTE_PGM_RSRC2:TGID_Y_EN: 0
; COMPUTE_PGM_RSRC2:TGID_Z_EN: 0
; COMPUTE_PGM_RSRC2:TIDIG_COMP_CNT: 0
; COMPUTE_PGM_RSRC3_GFX90A:ACCUM_OFFSET: 13
; COMPUTE_PGM_RSRC3_GFX90A:TG_SPLIT: 0
	.section	.text._ZN7rocprim17ROCPRIM_400000_NS6detail17trampoline_kernelINS0_14default_configENS1_25partition_config_selectorILNS1_17partition_subalgoE0EjNS0_10empty_typeEbEEZZNS1_14partition_implILS5_0ELb0ES3_jN6thrust23THRUST_200600_302600_NS6detail15normal_iteratorINSA_10device_ptrIjEEEEPS6_SG_NS0_5tupleIJNSA_16discard_iteratorINSA_11use_defaultEEESF_EEENSH_IJSG_SG_EEES6_PlJ7is_evenIjEEEE10hipError_tPvRmT3_T4_T5_T6_T7_T9_mT8_P12ihipStream_tbDpT10_ENKUlT_T0_E_clISt17integral_constantIbLb0EES19_EEDaS14_S15_EUlS14_E_NS1_11comp_targetILNS1_3genE3ELNS1_11target_archE908ELNS1_3gpuE7ELNS1_3repE0EEENS1_30default_config_static_selectorELNS0_4arch9wavefront6targetE1EEEvT1_,"axG",@progbits,_ZN7rocprim17ROCPRIM_400000_NS6detail17trampoline_kernelINS0_14default_configENS1_25partition_config_selectorILNS1_17partition_subalgoE0EjNS0_10empty_typeEbEEZZNS1_14partition_implILS5_0ELb0ES3_jN6thrust23THRUST_200600_302600_NS6detail15normal_iteratorINSA_10device_ptrIjEEEEPS6_SG_NS0_5tupleIJNSA_16discard_iteratorINSA_11use_defaultEEESF_EEENSH_IJSG_SG_EEES6_PlJ7is_evenIjEEEE10hipError_tPvRmT3_T4_T5_T6_T7_T9_mT8_P12ihipStream_tbDpT10_ENKUlT_T0_E_clISt17integral_constantIbLb0EES19_EEDaS14_S15_EUlS14_E_NS1_11comp_targetILNS1_3genE3ELNS1_11target_archE908ELNS1_3gpuE7ELNS1_3repE0EEENS1_30default_config_static_selectorELNS0_4arch9wavefront6targetE1EEEvT1_,comdat
	.protected	_ZN7rocprim17ROCPRIM_400000_NS6detail17trampoline_kernelINS0_14default_configENS1_25partition_config_selectorILNS1_17partition_subalgoE0EjNS0_10empty_typeEbEEZZNS1_14partition_implILS5_0ELb0ES3_jN6thrust23THRUST_200600_302600_NS6detail15normal_iteratorINSA_10device_ptrIjEEEEPS6_SG_NS0_5tupleIJNSA_16discard_iteratorINSA_11use_defaultEEESF_EEENSH_IJSG_SG_EEES6_PlJ7is_evenIjEEEE10hipError_tPvRmT3_T4_T5_T6_T7_T9_mT8_P12ihipStream_tbDpT10_ENKUlT_T0_E_clISt17integral_constantIbLb0EES19_EEDaS14_S15_EUlS14_E_NS1_11comp_targetILNS1_3genE3ELNS1_11target_archE908ELNS1_3gpuE7ELNS1_3repE0EEENS1_30default_config_static_selectorELNS0_4arch9wavefront6targetE1EEEvT1_ ; -- Begin function _ZN7rocprim17ROCPRIM_400000_NS6detail17trampoline_kernelINS0_14default_configENS1_25partition_config_selectorILNS1_17partition_subalgoE0EjNS0_10empty_typeEbEEZZNS1_14partition_implILS5_0ELb0ES3_jN6thrust23THRUST_200600_302600_NS6detail15normal_iteratorINSA_10device_ptrIjEEEEPS6_SG_NS0_5tupleIJNSA_16discard_iteratorINSA_11use_defaultEEESF_EEENSH_IJSG_SG_EEES6_PlJ7is_evenIjEEEE10hipError_tPvRmT3_T4_T5_T6_T7_T9_mT8_P12ihipStream_tbDpT10_ENKUlT_T0_E_clISt17integral_constantIbLb0EES19_EEDaS14_S15_EUlS14_E_NS1_11comp_targetILNS1_3genE3ELNS1_11target_archE908ELNS1_3gpuE7ELNS1_3repE0EEENS1_30default_config_static_selectorELNS0_4arch9wavefront6targetE1EEEvT1_
	.globl	_ZN7rocprim17ROCPRIM_400000_NS6detail17trampoline_kernelINS0_14default_configENS1_25partition_config_selectorILNS1_17partition_subalgoE0EjNS0_10empty_typeEbEEZZNS1_14partition_implILS5_0ELb0ES3_jN6thrust23THRUST_200600_302600_NS6detail15normal_iteratorINSA_10device_ptrIjEEEEPS6_SG_NS0_5tupleIJNSA_16discard_iteratorINSA_11use_defaultEEESF_EEENSH_IJSG_SG_EEES6_PlJ7is_evenIjEEEE10hipError_tPvRmT3_T4_T5_T6_T7_T9_mT8_P12ihipStream_tbDpT10_ENKUlT_T0_E_clISt17integral_constantIbLb0EES19_EEDaS14_S15_EUlS14_E_NS1_11comp_targetILNS1_3genE3ELNS1_11target_archE908ELNS1_3gpuE7ELNS1_3repE0EEENS1_30default_config_static_selectorELNS0_4arch9wavefront6targetE1EEEvT1_
	.p2align	8
	.type	_ZN7rocprim17ROCPRIM_400000_NS6detail17trampoline_kernelINS0_14default_configENS1_25partition_config_selectorILNS1_17partition_subalgoE0EjNS0_10empty_typeEbEEZZNS1_14partition_implILS5_0ELb0ES3_jN6thrust23THRUST_200600_302600_NS6detail15normal_iteratorINSA_10device_ptrIjEEEEPS6_SG_NS0_5tupleIJNSA_16discard_iteratorINSA_11use_defaultEEESF_EEENSH_IJSG_SG_EEES6_PlJ7is_evenIjEEEE10hipError_tPvRmT3_T4_T5_T6_T7_T9_mT8_P12ihipStream_tbDpT10_ENKUlT_T0_E_clISt17integral_constantIbLb0EES19_EEDaS14_S15_EUlS14_E_NS1_11comp_targetILNS1_3genE3ELNS1_11target_archE908ELNS1_3gpuE7ELNS1_3repE0EEENS1_30default_config_static_selectorELNS0_4arch9wavefront6targetE1EEEvT1_,@function
_ZN7rocprim17ROCPRIM_400000_NS6detail17trampoline_kernelINS0_14default_configENS1_25partition_config_selectorILNS1_17partition_subalgoE0EjNS0_10empty_typeEbEEZZNS1_14partition_implILS5_0ELb0ES3_jN6thrust23THRUST_200600_302600_NS6detail15normal_iteratorINSA_10device_ptrIjEEEEPS6_SG_NS0_5tupleIJNSA_16discard_iteratorINSA_11use_defaultEEESF_EEENSH_IJSG_SG_EEES6_PlJ7is_evenIjEEEE10hipError_tPvRmT3_T4_T5_T6_T7_T9_mT8_P12ihipStream_tbDpT10_ENKUlT_T0_E_clISt17integral_constantIbLb0EES19_EEDaS14_S15_EUlS14_E_NS1_11comp_targetILNS1_3genE3ELNS1_11target_archE908ELNS1_3gpuE7ELNS1_3repE0EEENS1_30default_config_static_selectorELNS0_4arch9wavefront6targetE1EEEvT1_: ; @_ZN7rocprim17ROCPRIM_400000_NS6detail17trampoline_kernelINS0_14default_configENS1_25partition_config_selectorILNS1_17partition_subalgoE0EjNS0_10empty_typeEbEEZZNS1_14partition_implILS5_0ELb0ES3_jN6thrust23THRUST_200600_302600_NS6detail15normal_iteratorINSA_10device_ptrIjEEEEPS6_SG_NS0_5tupleIJNSA_16discard_iteratorINSA_11use_defaultEEESF_EEENSH_IJSG_SG_EEES6_PlJ7is_evenIjEEEE10hipError_tPvRmT3_T4_T5_T6_T7_T9_mT8_P12ihipStream_tbDpT10_ENKUlT_T0_E_clISt17integral_constantIbLb0EES19_EEDaS14_S15_EUlS14_E_NS1_11comp_targetILNS1_3genE3ELNS1_11target_archE908ELNS1_3gpuE7ELNS1_3repE0EEENS1_30default_config_static_selectorELNS0_4arch9wavefront6targetE1EEEvT1_
; %bb.0:
	.section	.rodata,"a",@progbits
	.p2align	6, 0x0
	.amdhsa_kernel _ZN7rocprim17ROCPRIM_400000_NS6detail17trampoline_kernelINS0_14default_configENS1_25partition_config_selectorILNS1_17partition_subalgoE0EjNS0_10empty_typeEbEEZZNS1_14partition_implILS5_0ELb0ES3_jN6thrust23THRUST_200600_302600_NS6detail15normal_iteratorINSA_10device_ptrIjEEEEPS6_SG_NS0_5tupleIJNSA_16discard_iteratorINSA_11use_defaultEEESF_EEENSH_IJSG_SG_EEES6_PlJ7is_evenIjEEEE10hipError_tPvRmT3_T4_T5_T6_T7_T9_mT8_P12ihipStream_tbDpT10_ENKUlT_T0_E_clISt17integral_constantIbLb0EES19_EEDaS14_S15_EUlS14_E_NS1_11comp_targetILNS1_3genE3ELNS1_11target_archE908ELNS1_3gpuE7ELNS1_3repE0EEENS1_30default_config_static_selectorELNS0_4arch9wavefront6targetE1EEEvT1_
		.amdhsa_group_segment_fixed_size 0
		.amdhsa_private_segment_fixed_size 0
		.amdhsa_kernarg_size 128
		.amdhsa_user_sgpr_count 6
		.amdhsa_user_sgpr_private_segment_buffer 1
		.amdhsa_user_sgpr_dispatch_ptr 0
		.amdhsa_user_sgpr_queue_ptr 0
		.amdhsa_user_sgpr_kernarg_segment_ptr 1
		.amdhsa_user_sgpr_dispatch_id 0
		.amdhsa_user_sgpr_flat_scratch_init 0
		.amdhsa_user_sgpr_kernarg_preload_length 0
		.amdhsa_user_sgpr_kernarg_preload_offset 0
		.amdhsa_user_sgpr_private_segment_size 0
		.amdhsa_uses_dynamic_stack 0
		.amdhsa_system_sgpr_private_segment_wavefront_offset 0
		.amdhsa_system_sgpr_workgroup_id_x 1
		.amdhsa_system_sgpr_workgroup_id_y 0
		.amdhsa_system_sgpr_workgroup_id_z 0
		.amdhsa_system_sgpr_workgroup_info 0
		.amdhsa_system_vgpr_workitem_id 0
		.amdhsa_next_free_vgpr 1
		.amdhsa_next_free_sgpr 0
		.amdhsa_accum_offset 4
		.amdhsa_reserve_vcc 0
		.amdhsa_reserve_flat_scratch 0
		.amdhsa_float_round_mode_32 0
		.amdhsa_float_round_mode_16_64 0
		.amdhsa_float_denorm_mode_32 3
		.amdhsa_float_denorm_mode_16_64 3
		.amdhsa_dx10_clamp 1
		.amdhsa_ieee_mode 1
		.amdhsa_fp16_overflow 0
		.amdhsa_tg_split 0
		.amdhsa_exception_fp_ieee_invalid_op 0
		.amdhsa_exception_fp_denorm_src 0
		.amdhsa_exception_fp_ieee_div_zero 0
		.amdhsa_exception_fp_ieee_overflow 0
		.amdhsa_exception_fp_ieee_underflow 0
		.amdhsa_exception_fp_ieee_inexact 0
		.amdhsa_exception_int_div_zero 0
	.end_amdhsa_kernel
	.section	.text._ZN7rocprim17ROCPRIM_400000_NS6detail17trampoline_kernelINS0_14default_configENS1_25partition_config_selectorILNS1_17partition_subalgoE0EjNS0_10empty_typeEbEEZZNS1_14partition_implILS5_0ELb0ES3_jN6thrust23THRUST_200600_302600_NS6detail15normal_iteratorINSA_10device_ptrIjEEEEPS6_SG_NS0_5tupleIJNSA_16discard_iteratorINSA_11use_defaultEEESF_EEENSH_IJSG_SG_EEES6_PlJ7is_evenIjEEEE10hipError_tPvRmT3_T4_T5_T6_T7_T9_mT8_P12ihipStream_tbDpT10_ENKUlT_T0_E_clISt17integral_constantIbLb0EES19_EEDaS14_S15_EUlS14_E_NS1_11comp_targetILNS1_3genE3ELNS1_11target_archE908ELNS1_3gpuE7ELNS1_3repE0EEENS1_30default_config_static_selectorELNS0_4arch9wavefront6targetE1EEEvT1_,"axG",@progbits,_ZN7rocprim17ROCPRIM_400000_NS6detail17trampoline_kernelINS0_14default_configENS1_25partition_config_selectorILNS1_17partition_subalgoE0EjNS0_10empty_typeEbEEZZNS1_14partition_implILS5_0ELb0ES3_jN6thrust23THRUST_200600_302600_NS6detail15normal_iteratorINSA_10device_ptrIjEEEEPS6_SG_NS0_5tupleIJNSA_16discard_iteratorINSA_11use_defaultEEESF_EEENSH_IJSG_SG_EEES6_PlJ7is_evenIjEEEE10hipError_tPvRmT3_T4_T5_T6_T7_T9_mT8_P12ihipStream_tbDpT10_ENKUlT_T0_E_clISt17integral_constantIbLb0EES19_EEDaS14_S15_EUlS14_E_NS1_11comp_targetILNS1_3genE3ELNS1_11target_archE908ELNS1_3gpuE7ELNS1_3repE0EEENS1_30default_config_static_selectorELNS0_4arch9wavefront6targetE1EEEvT1_,comdat
.Lfunc_end2462:
	.size	_ZN7rocprim17ROCPRIM_400000_NS6detail17trampoline_kernelINS0_14default_configENS1_25partition_config_selectorILNS1_17partition_subalgoE0EjNS0_10empty_typeEbEEZZNS1_14partition_implILS5_0ELb0ES3_jN6thrust23THRUST_200600_302600_NS6detail15normal_iteratorINSA_10device_ptrIjEEEEPS6_SG_NS0_5tupleIJNSA_16discard_iteratorINSA_11use_defaultEEESF_EEENSH_IJSG_SG_EEES6_PlJ7is_evenIjEEEE10hipError_tPvRmT3_T4_T5_T6_T7_T9_mT8_P12ihipStream_tbDpT10_ENKUlT_T0_E_clISt17integral_constantIbLb0EES19_EEDaS14_S15_EUlS14_E_NS1_11comp_targetILNS1_3genE3ELNS1_11target_archE908ELNS1_3gpuE7ELNS1_3repE0EEENS1_30default_config_static_selectorELNS0_4arch9wavefront6targetE1EEEvT1_, .Lfunc_end2462-_ZN7rocprim17ROCPRIM_400000_NS6detail17trampoline_kernelINS0_14default_configENS1_25partition_config_selectorILNS1_17partition_subalgoE0EjNS0_10empty_typeEbEEZZNS1_14partition_implILS5_0ELb0ES3_jN6thrust23THRUST_200600_302600_NS6detail15normal_iteratorINSA_10device_ptrIjEEEEPS6_SG_NS0_5tupleIJNSA_16discard_iteratorINSA_11use_defaultEEESF_EEENSH_IJSG_SG_EEES6_PlJ7is_evenIjEEEE10hipError_tPvRmT3_T4_T5_T6_T7_T9_mT8_P12ihipStream_tbDpT10_ENKUlT_T0_E_clISt17integral_constantIbLb0EES19_EEDaS14_S15_EUlS14_E_NS1_11comp_targetILNS1_3genE3ELNS1_11target_archE908ELNS1_3gpuE7ELNS1_3repE0EEENS1_30default_config_static_selectorELNS0_4arch9wavefront6targetE1EEEvT1_
                                        ; -- End function
	.section	.AMDGPU.csdata,"",@progbits
; Kernel info:
; codeLenInByte = 0
; NumSgprs: 4
; NumVgprs: 0
; NumAgprs: 0
; TotalNumVgprs: 0
; ScratchSize: 0
; MemoryBound: 0
; FloatMode: 240
; IeeeMode: 1
; LDSByteSize: 0 bytes/workgroup (compile time only)
; SGPRBlocks: 0
; VGPRBlocks: 0
; NumSGPRsForWavesPerEU: 4
; NumVGPRsForWavesPerEU: 1
; AccumOffset: 4
; Occupancy: 8
; WaveLimiterHint : 0
; COMPUTE_PGM_RSRC2:SCRATCH_EN: 0
; COMPUTE_PGM_RSRC2:USER_SGPR: 6
; COMPUTE_PGM_RSRC2:TRAP_HANDLER: 0
; COMPUTE_PGM_RSRC2:TGID_X_EN: 1
; COMPUTE_PGM_RSRC2:TGID_Y_EN: 0
; COMPUTE_PGM_RSRC2:TGID_Z_EN: 0
; COMPUTE_PGM_RSRC2:TIDIG_COMP_CNT: 0
; COMPUTE_PGM_RSRC3_GFX90A:ACCUM_OFFSET: 0
; COMPUTE_PGM_RSRC3_GFX90A:TG_SPLIT: 0
	.section	.text._ZN7rocprim17ROCPRIM_400000_NS6detail17trampoline_kernelINS0_14default_configENS1_25partition_config_selectorILNS1_17partition_subalgoE0EjNS0_10empty_typeEbEEZZNS1_14partition_implILS5_0ELb0ES3_jN6thrust23THRUST_200600_302600_NS6detail15normal_iteratorINSA_10device_ptrIjEEEEPS6_SG_NS0_5tupleIJNSA_16discard_iteratorINSA_11use_defaultEEESF_EEENSH_IJSG_SG_EEES6_PlJ7is_evenIjEEEE10hipError_tPvRmT3_T4_T5_T6_T7_T9_mT8_P12ihipStream_tbDpT10_ENKUlT_T0_E_clISt17integral_constantIbLb0EES19_EEDaS14_S15_EUlS14_E_NS1_11comp_targetILNS1_3genE2ELNS1_11target_archE906ELNS1_3gpuE6ELNS1_3repE0EEENS1_30default_config_static_selectorELNS0_4arch9wavefront6targetE1EEEvT1_,"axG",@progbits,_ZN7rocprim17ROCPRIM_400000_NS6detail17trampoline_kernelINS0_14default_configENS1_25partition_config_selectorILNS1_17partition_subalgoE0EjNS0_10empty_typeEbEEZZNS1_14partition_implILS5_0ELb0ES3_jN6thrust23THRUST_200600_302600_NS6detail15normal_iteratorINSA_10device_ptrIjEEEEPS6_SG_NS0_5tupleIJNSA_16discard_iteratorINSA_11use_defaultEEESF_EEENSH_IJSG_SG_EEES6_PlJ7is_evenIjEEEE10hipError_tPvRmT3_T4_T5_T6_T7_T9_mT8_P12ihipStream_tbDpT10_ENKUlT_T0_E_clISt17integral_constantIbLb0EES19_EEDaS14_S15_EUlS14_E_NS1_11comp_targetILNS1_3genE2ELNS1_11target_archE906ELNS1_3gpuE6ELNS1_3repE0EEENS1_30default_config_static_selectorELNS0_4arch9wavefront6targetE1EEEvT1_,comdat
	.protected	_ZN7rocprim17ROCPRIM_400000_NS6detail17trampoline_kernelINS0_14default_configENS1_25partition_config_selectorILNS1_17partition_subalgoE0EjNS0_10empty_typeEbEEZZNS1_14partition_implILS5_0ELb0ES3_jN6thrust23THRUST_200600_302600_NS6detail15normal_iteratorINSA_10device_ptrIjEEEEPS6_SG_NS0_5tupleIJNSA_16discard_iteratorINSA_11use_defaultEEESF_EEENSH_IJSG_SG_EEES6_PlJ7is_evenIjEEEE10hipError_tPvRmT3_T4_T5_T6_T7_T9_mT8_P12ihipStream_tbDpT10_ENKUlT_T0_E_clISt17integral_constantIbLb0EES19_EEDaS14_S15_EUlS14_E_NS1_11comp_targetILNS1_3genE2ELNS1_11target_archE906ELNS1_3gpuE6ELNS1_3repE0EEENS1_30default_config_static_selectorELNS0_4arch9wavefront6targetE1EEEvT1_ ; -- Begin function _ZN7rocprim17ROCPRIM_400000_NS6detail17trampoline_kernelINS0_14default_configENS1_25partition_config_selectorILNS1_17partition_subalgoE0EjNS0_10empty_typeEbEEZZNS1_14partition_implILS5_0ELb0ES3_jN6thrust23THRUST_200600_302600_NS6detail15normal_iteratorINSA_10device_ptrIjEEEEPS6_SG_NS0_5tupleIJNSA_16discard_iteratorINSA_11use_defaultEEESF_EEENSH_IJSG_SG_EEES6_PlJ7is_evenIjEEEE10hipError_tPvRmT3_T4_T5_T6_T7_T9_mT8_P12ihipStream_tbDpT10_ENKUlT_T0_E_clISt17integral_constantIbLb0EES19_EEDaS14_S15_EUlS14_E_NS1_11comp_targetILNS1_3genE2ELNS1_11target_archE906ELNS1_3gpuE6ELNS1_3repE0EEENS1_30default_config_static_selectorELNS0_4arch9wavefront6targetE1EEEvT1_
	.globl	_ZN7rocprim17ROCPRIM_400000_NS6detail17trampoline_kernelINS0_14default_configENS1_25partition_config_selectorILNS1_17partition_subalgoE0EjNS0_10empty_typeEbEEZZNS1_14partition_implILS5_0ELb0ES3_jN6thrust23THRUST_200600_302600_NS6detail15normal_iteratorINSA_10device_ptrIjEEEEPS6_SG_NS0_5tupleIJNSA_16discard_iteratorINSA_11use_defaultEEESF_EEENSH_IJSG_SG_EEES6_PlJ7is_evenIjEEEE10hipError_tPvRmT3_T4_T5_T6_T7_T9_mT8_P12ihipStream_tbDpT10_ENKUlT_T0_E_clISt17integral_constantIbLb0EES19_EEDaS14_S15_EUlS14_E_NS1_11comp_targetILNS1_3genE2ELNS1_11target_archE906ELNS1_3gpuE6ELNS1_3repE0EEENS1_30default_config_static_selectorELNS0_4arch9wavefront6targetE1EEEvT1_
	.p2align	8
	.type	_ZN7rocprim17ROCPRIM_400000_NS6detail17trampoline_kernelINS0_14default_configENS1_25partition_config_selectorILNS1_17partition_subalgoE0EjNS0_10empty_typeEbEEZZNS1_14partition_implILS5_0ELb0ES3_jN6thrust23THRUST_200600_302600_NS6detail15normal_iteratorINSA_10device_ptrIjEEEEPS6_SG_NS0_5tupleIJNSA_16discard_iteratorINSA_11use_defaultEEESF_EEENSH_IJSG_SG_EEES6_PlJ7is_evenIjEEEE10hipError_tPvRmT3_T4_T5_T6_T7_T9_mT8_P12ihipStream_tbDpT10_ENKUlT_T0_E_clISt17integral_constantIbLb0EES19_EEDaS14_S15_EUlS14_E_NS1_11comp_targetILNS1_3genE2ELNS1_11target_archE906ELNS1_3gpuE6ELNS1_3repE0EEENS1_30default_config_static_selectorELNS0_4arch9wavefront6targetE1EEEvT1_,@function
_ZN7rocprim17ROCPRIM_400000_NS6detail17trampoline_kernelINS0_14default_configENS1_25partition_config_selectorILNS1_17partition_subalgoE0EjNS0_10empty_typeEbEEZZNS1_14partition_implILS5_0ELb0ES3_jN6thrust23THRUST_200600_302600_NS6detail15normal_iteratorINSA_10device_ptrIjEEEEPS6_SG_NS0_5tupleIJNSA_16discard_iteratorINSA_11use_defaultEEESF_EEENSH_IJSG_SG_EEES6_PlJ7is_evenIjEEEE10hipError_tPvRmT3_T4_T5_T6_T7_T9_mT8_P12ihipStream_tbDpT10_ENKUlT_T0_E_clISt17integral_constantIbLb0EES19_EEDaS14_S15_EUlS14_E_NS1_11comp_targetILNS1_3genE2ELNS1_11target_archE906ELNS1_3gpuE6ELNS1_3repE0EEENS1_30default_config_static_selectorELNS0_4arch9wavefront6targetE1EEEvT1_: ; @_ZN7rocprim17ROCPRIM_400000_NS6detail17trampoline_kernelINS0_14default_configENS1_25partition_config_selectorILNS1_17partition_subalgoE0EjNS0_10empty_typeEbEEZZNS1_14partition_implILS5_0ELb0ES3_jN6thrust23THRUST_200600_302600_NS6detail15normal_iteratorINSA_10device_ptrIjEEEEPS6_SG_NS0_5tupleIJNSA_16discard_iteratorINSA_11use_defaultEEESF_EEENSH_IJSG_SG_EEES6_PlJ7is_evenIjEEEE10hipError_tPvRmT3_T4_T5_T6_T7_T9_mT8_P12ihipStream_tbDpT10_ENKUlT_T0_E_clISt17integral_constantIbLb0EES19_EEDaS14_S15_EUlS14_E_NS1_11comp_targetILNS1_3genE2ELNS1_11target_archE906ELNS1_3gpuE6ELNS1_3repE0EEENS1_30default_config_static_selectorELNS0_4arch9wavefront6targetE1EEEvT1_
; %bb.0:
	.section	.rodata,"a",@progbits
	.p2align	6, 0x0
	.amdhsa_kernel _ZN7rocprim17ROCPRIM_400000_NS6detail17trampoline_kernelINS0_14default_configENS1_25partition_config_selectorILNS1_17partition_subalgoE0EjNS0_10empty_typeEbEEZZNS1_14partition_implILS5_0ELb0ES3_jN6thrust23THRUST_200600_302600_NS6detail15normal_iteratorINSA_10device_ptrIjEEEEPS6_SG_NS0_5tupleIJNSA_16discard_iteratorINSA_11use_defaultEEESF_EEENSH_IJSG_SG_EEES6_PlJ7is_evenIjEEEE10hipError_tPvRmT3_T4_T5_T6_T7_T9_mT8_P12ihipStream_tbDpT10_ENKUlT_T0_E_clISt17integral_constantIbLb0EES19_EEDaS14_S15_EUlS14_E_NS1_11comp_targetILNS1_3genE2ELNS1_11target_archE906ELNS1_3gpuE6ELNS1_3repE0EEENS1_30default_config_static_selectorELNS0_4arch9wavefront6targetE1EEEvT1_
		.amdhsa_group_segment_fixed_size 0
		.amdhsa_private_segment_fixed_size 0
		.amdhsa_kernarg_size 128
		.amdhsa_user_sgpr_count 6
		.amdhsa_user_sgpr_private_segment_buffer 1
		.amdhsa_user_sgpr_dispatch_ptr 0
		.amdhsa_user_sgpr_queue_ptr 0
		.amdhsa_user_sgpr_kernarg_segment_ptr 1
		.amdhsa_user_sgpr_dispatch_id 0
		.amdhsa_user_sgpr_flat_scratch_init 0
		.amdhsa_user_sgpr_kernarg_preload_length 0
		.amdhsa_user_sgpr_kernarg_preload_offset 0
		.amdhsa_user_sgpr_private_segment_size 0
		.amdhsa_uses_dynamic_stack 0
		.amdhsa_system_sgpr_private_segment_wavefront_offset 0
		.amdhsa_system_sgpr_workgroup_id_x 1
		.amdhsa_system_sgpr_workgroup_id_y 0
		.amdhsa_system_sgpr_workgroup_id_z 0
		.amdhsa_system_sgpr_workgroup_info 0
		.amdhsa_system_vgpr_workitem_id 0
		.amdhsa_next_free_vgpr 1
		.amdhsa_next_free_sgpr 0
		.amdhsa_accum_offset 4
		.amdhsa_reserve_vcc 0
		.amdhsa_reserve_flat_scratch 0
		.amdhsa_float_round_mode_32 0
		.amdhsa_float_round_mode_16_64 0
		.amdhsa_float_denorm_mode_32 3
		.amdhsa_float_denorm_mode_16_64 3
		.amdhsa_dx10_clamp 1
		.amdhsa_ieee_mode 1
		.amdhsa_fp16_overflow 0
		.amdhsa_tg_split 0
		.amdhsa_exception_fp_ieee_invalid_op 0
		.amdhsa_exception_fp_denorm_src 0
		.amdhsa_exception_fp_ieee_div_zero 0
		.amdhsa_exception_fp_ieee_overflow 0
		.amdhsa_exception_fp_ieee_underflow 0
		.amdhsa_exception_fp_ieee_inexact 0
		.amdhsa_exception_int_div_zero 0
	.end_amdhsa_kernel
	.section	.text._ZN7rocprim17ROCPRIM_400000_NS6detail17trampoline_kernelINS0_14default_configENS1_25partition_config_selectorILNS1_17partition_subalgoE0EjNS0_10empty_typeEbEEZZNS1_14partition_implILS5_0ELb0ES3_jN6thrust23THRUST_200600_302600_NS6detail15normal_iteratorINSA_10device_ptrIjEEEEPS6_SG_NS0_5tupleIJNSA_16discard_iteratorINSA_11use_defaultEEESF_EEENSH_IJSG_SG_EEES6_PlJ7is_evenIjEEEE10hipError_tPvRmT3_T4_T5_T6_T7_T9_mT8_P12ihipStream_tbDpT10_ENKUlT_T0_E_clISt17integral_constantIbLb0EES19_EEDaS14_S15_EUlS14_E_NS1_11comp_targetILNS1_3genE2ELNS1_11target_archE906ELNS1_3gpuE6ELNS1_3repE0EEENS1_30default_config_static_selectorELNS0_4arch9wavefront6targetE1EEEvT1_,"axG",@progbits,_ZN7rocprim17ROCPRIM_400000_NS6detail17trampoline_kernelINS0_14default_configENS1_25partition_config_selectorILNS1_17partition_subalgoE0EjNS0_10empty_typeEbEEZZNS1_14partition_implILS5_0ELb0ES3_jN6thrust23THRUST_200600_302600_NS6detail15normal_iteratorINSA_10device_ptrIjEEEEPS6_SG_NS0_5tupleIJNSA_16discard_iteratorINSA_11use_defaultEEESF_EEENSH_IJSG_SG_EEES6_PlJ7is_evenIjEEEE10hipError_tPvRmT3_T4_T5_T6_T7_T9_mT8_P12ihipStream_tbDpT10_ENKUlT_T0_E_clISt17integral_constantIbLb0EES19_EEDaS14_S15_EUlS14_E_NS1_11comp_targetILNS1_3genE2ELNS1_11target_archE906ELNS1_3gpuE6ELNS1_3repE0EEENS1_30default_config_static_selectorELNS0_4arch9wavefront6targetE1EEEvT1_,comdat
.Lfunc_end2463:
	.size	_ZN7rocprim17ROCPRIM_400000_NS6detail17trampoline_kernelINS0_14default_configENS1_25partition_config_selectorILNS1_17partition_subalgoE0EjNS0_10empty_typeEbEEZZNS1_14partition_implILS5_0ELb0ES3_jN6thrust23THRUST_200600_302600_NS6detail15normal_iteratorINSA_10device_ptrIjEEEEPS6_SG_NS0_5tupleIJNSA_16discard_iteratorINSA_11use_defaultEEESF_EEENSH_IJSG_SG_EEES6_PlJ7is_evenIjEEEE10hipError_tPvRmT3_T4_T5_T6_T7_T9_mT8_P12ihipStream_tbDpT10_ENKUlT_T0_E_clISt17integral_constantIbLb0EES19_EEDaS14_S15_EUlS14_E_NS1_11comp_targetILNS1_3genE2ELNS1_11target_archE906ELNS1_3gpuE6ELNS1_3repE0EEENS1_30default_config_static_selectorELNS0_4arch9wavefront6targetE1EEEvT1_, .Lfunc_end2463-_ZN7rocprim17ROCPRIM_400000_NS6detail17trampoline_kernelINS0_14default_configENS1_25partition_config_selectorILNS1_17partition_subalgoE0EjNS0_10empty_typeEbEEZZNS1_14partition_implILS5_0ELb0ES3_jN6thrust23THRUST_200600_302600_NS6detail15normal_iteratorINSA_10device_ptrIjEEEEPS6_SG_NS0_5tupleIJNSA_16discard_iteratorINSA_11use_defaultEEESF_EEENSH_IJSG_SG_EEES6_PlJ7is_evenIjEEEE10hipError_tPvRmT3_T4_T5_T6_T7_T9_mT8_P12ihipStream_tbDpT10_ENKUlT_T0_E_clISt17integral_constantIbLb0EES19_EEDaS14_S15_EUlS14_E_NS1_11comp_targetILNS1_3genE2ELNS1_11target_archE906ELNS1_3gpuE6ELNS1_3repE0EEENS1_30default_config_static_selectorELNS0_4arch9wavefront6targetE1EEEvT1_
                                        ; -- End function
	.section	.AMDGPU.csdata,"",@progbits
; Kernel info:
; codeLenInByte = 0
; NumSgprs: 4
; NumVgprs: 0
; NumAgprs: 0
; TotalNumVgprs: 0
; ScratchSize: 0
; MemoryBound: 0
; FloatMode: 240
; IeeeMode: 1
; LDSByteSize: 0 bytes/workgroup (compile time only)
; SGPRBlocks: 0
; VGPRBlocks: 0
; NumSGPRsForWavesPerEU: 4
; NumVGPRsForWavesPerEU: 1
; AccumOffset: 4
; Occupancy: 8
; WaveLimiterHint : 0
; COMPUTE_PGM_RSRC2:SCRATCH_EN: 0
; COMPUTE_PGM_RSRC2:USER_SGPR: 6
; COMPUTE_PGM_RSRC2:TRAP_HANDLER: 0
; COMPUTE_PGM_RSRC2:TGID_X_EN: 1
; COMPUTE_PGM_RSRC2:TGID_Y_EN: 0
; COMPUTE_PGM_RSRC2:TGID_Z_EN: 0
; COMPUTE_PGM_RSRC2:TIDIG_COMP_CNT: 0
; COMPUTE_PGM_RSRC3_GFX90A:ACCUM_OFFSET: 0
; COMPUTE_PGM_RSRC3_GFX90A:TG_SPLIT: 0
	.section	.text._ZN7rocprim17ROCPRIM_400000_NS6detail17trampoline_kernelINS0_14default_configENS1_25partition_config_selectorILNS1_17partition_subalgoE0EjNS0_10empty_typeEbEEZZNS1_14partition_implILS5_0ELb0ES3_jN6thrust23THRUST_200600_302600_NS6detail15normal_iteratorINSA_10device_ptrIjEEEEPS6_SG_NS0_5tupleIJNSA_16discard_iteratorINSA_11use_defaultEEESF_EEENSH_IJSG_SG_EEES6_PlJ7is_evenIjEEEE10hipError_tPvRmT3_T4_T5_T6_T7_T9_mT8_P12ihipStream_tbDpT10_ENKUlT_T0_E_clISt17integral_constantIbLb0EES19_EEDaS14_S15_EUlS14_E_NS1_11comp_targetILNS1_3genE10ELNS1_11target_archE1200ELNS1_3gpuE4ELNS1_3repE0EEENS1_30default_config_static_selectorELNS0_4arch9wavefront6targetE1EEEvT1_,"axG",@progbits,_ZN7rocprim17ROCPRIM_400000_NS6detail17trampoline_kernelINS0_14default_configENS1_25partition_config_selectorILNS1_17partition_subalgoE0EjNS0_10empty_typeEbEEZZNS1_14partition_implILS5_0ELb0ES3_jN6thrust23THRUST_200600_302600_NS6detail15normal_iteratorINSA_10device_ptrIjEEEEPS6_SG_NS0_5tupleIJNSA_16discard_iteratorINSA_11use_defaultEEESF_EEENSH_IJSG_SG_EEES6_PlJ7is_evenIjEEEE10hipError_tPvRmT3_T4_T5_T6_T7_T9_mT8_P12ihipStream_tbDpT10_ENKUlT_T0_E_clISt17integral_constantIbLb0EES19_EEDaS14_S15_EUlS14_E_NS1_11comp_targetILNS1_3genE10ELNS1_11target_archE1200ELNS1_3gpuE4ELNS1_3repE0EEENS1_30default_config_static_selectorELNS0_4arch9wavefront6targetE1EEEvT1_,comdat
	.protected	_ZN7rocprim17ROCPRIM_400000_NS6detail17trampoline_kernelINS0_14default_configENS1_25partition_config_selectorILNS1_17partition_subalgoE0EjNS0_10empty_typeEbEEZZNS1_14partition_implILS5_0ELb0ES3_jN6thrust23THRUST_200600_302600_NS6detail15normal_iteratorINSA_10device_ptrIjEEEEPS6_SG_NS0_5tupleIJNSA_16discard_iteratorINSA_11use_defaultEEESF_EEENSH_IJSG_SG_EEES6_PlJ7is_evenIjEEEE10hipError_tPvRmT3_T4_T5_T6_T7_T9_mT8_P12ihipStream_tbDpT10_ENKUlT_T0_E_clISt17integral_constantIbLb0EES19_EEDaS14_S15_EUlS14_E_NS1_11comp_targetILNS1_3genE10ELNS1_11target_archE1200ELNS1_3gpuE4ELNS1_3repE0EEENS1_30default_config_static_selectorELNS0_4arch9wavefront6targetE1EEEvT1_ ; -- Begin function _ZN7rocprim17ROCPRIM_400000_NS6detail17trampoline_kernelINS0_14default_configENS1_25partition_config_selectorILNS1_17partition_subalgoE0EjNS0_10empty_typeEbEEZZNS1_14partition_implILS5_0ELb0ES3_jN6thrust23THRUST_200600_302600_NS6detail15normal_iteratorINSA_10device_ptrIjEEEEPS6_SG_NS0_5tupleIJNSA_16discard_iteratorINSA_11use_defaultEEESF_EEENSH_IJSG_SG_EEES6_PlJ7is_evenIjEEEE10hipError_tPvRmT3_T4_T5_T6_T7_T9_mT8_P12ihipStream_tbDpT10_ENKUlT_T0_E_clISt17integral_constantIbLb0EES19_EEDaS14_S15_EUlS14_E_NS1_11comp_targetILNS1_3genE10ELNS1_11target_archE1200ELNS1_3gpuE4ELNS1_3repE0EEENS1_30default_config_static_selectorELNS0_4arch9wavefront6targetE1EEEvT1_
	.globl	_ZN7rocprim17ROCPRIM_400000_NS6detail17trampoline_kernelINS0_14default_configENS1_25partition_config_selectorILNS1_17partition_subalgoE0EjNS0_10empty_typeEbEEZZNS1_14partition_implILS5_0ELb0ES3_jN6thrust23THRUST_200600_302600_NS6detail15normal_iteratorINSA_10device_ptrIjEEEEPS6_SG_NS0_5tupleIJNSA_16discard_iteratorINSA_11use_defaultEEESF_EEENSH_IJSG_SG_EEES6_PlJ7is_evenIjEEEE10hipError_tPvRmT3_T4_T5_T6_T7_T9_mT8_P12ihipStream_tbDpT10_ENKUlT_T0_E_clISt17integral_constantIbLb0EES19_EEDaS14_S15_EUlS14_E_NS1_11comp_targetILNS1_3genE10ELNS1_11target_archE1200ELNS1_3gpuE4ELNS1_3repE0EEENS1_30default_config_static_selectorELNS0_4arch9wavefront6targetE1EEEvT1_
	.p2align	8
	.type	_ZN7rocprim17ROCPRIM_400000_NS6detail17trampoline_kernelINS0_14default_configENS1_25partition_config_selectorILNS1_17partition_subalgoE0EjNS0_10empty_typeEbEEZZNS1_14partition_implILS5_0ELb0ES3_jN6thrust23THRUST_200600_302600_NS6detail15normal_iteratorINSA_10device_ptrIjEEEEPS6_SG_NS0_5tupleIJNSA_16discard_iteratorINSA_11use_defaultEEESF_EEENSH_IJSG_SG_EEES6_PlJ7is_evenIjEEEE10hipError_tPvRmT3_T4_T5_T6_T7_T9_mT8_P12ihipStream_tbDpT10_ENKUlT_T0_E_clISt17integral_constantIbLb0EES19_EEDaS14_S15_EUlS14_E_NS1_11comp_targetILNS1_3genE10ELNS1_11target_archE1200ELNS1_3gpuE4ELNS1_3repE0EEENS1_30default_config_static_selectorELNS0_4arch9wavefront6targetE1EEEvT1_,@function
_ZN7rocprim17ROCPRIM_400000_NS6detail17trampoline_kernelINS0_14default_configENS1_25partition_config_selectorILNS1_17partition_subalgoE0EjNS0_10empty_typeEbEEZZNS1_14partition_implILS5_0ELb0ES3_jN6thrust23THRUST_200600_302600_NS6detail15normal_iteratorINSA_10device_ptrIjEEEEPS6_SG_NS0_5tupleIJNSA_16discard_iteratorINSA_11use_defaultEEESF_EEENSH_IJSG_SG_EEES6_PlJ7is_evenIjEEEE10hipError_tPvRmT3_T4_T5_T6_T7_T9_mT8_P12ihipStream_tbDpT10_ENKUlT_T0_E_clISt17integral_constantIbLb0EES19_EEDaS14_S15_EUlS14_E_NS1_11comp_targetILNS1_3genE10ELNS1_11target_archE1200ELNS1_3gpuE4ELNS1_3repE0EEENS1_30default_config_static_selectorELNS0_4arch9wavefront6targetE1EEEvT1_: ; @_ZN7rocprim17ROCPRIM_400000_NS6detail17trampoline_kernelINS0_14default_configENS1_25partition_config_selectorILNS1_17partition_subalgoE0EjNS0_10empty_typeEbEEZZNS1_14partition_implILS5_0ELb0ES3_jN6thrust23THRUST_200600_302600_NS6detail15normal_iteratorINSA_10device_ptrIjEEEEPS6_SG_NS0_5tupleIJNSA_16discard_iteratorINSA_11use_defaultEEESF_EEENSH_IJSG_SG_EEES6_PlJ7is_evenIjEEEE10hipError_tPvRmT3_T4_T5_T6_T7_T9_mT8_P12ihipStream_tbDpT10_ENKUlT_T0_E_clISt17integral_constantIbLb0EES19_EEDaS14_S15_EUlS14_E_NS1_11comp_targetILNS1_3genE10ELNS1_11target_archE1200ELNS1_3gpuE4ELNS1_3repE0EEENS1_30default_config_static_selectorELNS0_4arch9wavefront6targetE1EEEvT1_
; %bb.0:
	.section	.rodata,"a",@progbits
	.p2align	6, 0x0
	.amdhsa_kernel _ZN7rocprim17ROCPRIM_400000_NS6detail17trampoline_kernelINS0_14default_configENS1_25partition_config_selectorILNS1_17partition_subalgoE0EjNS0_10empty_typeEbEEZZNS1_14partition_implILS5_0ELb0ES3_jN6thrust23THRUST_200600_302600_NS6detail15normal_iteratorINSA_10device_ptrIjEEEEPS6_SG_NS0_5tupleIJNSA_16discard_iteratorINSA_11use_defaultEEESF_EEENSH_IJSG_SG_EEES6_PlJ7is_evenIjEEEE10hipError_tPvRmT3_T4_T5_T6_T7_T9_mT8_P12ihipStream_tbDpT10_ENKUlT_T0_E_clISt17integral_constantIbLb0EES19_EEDaS14_S15_EUlS14_E_NS1_11comp_targetILNS1_3genE10ELNS1_11target_archE1200ELNS1_3gpuE4ELNS1_3repE0EEENS1_30default_config_static_selectorELNS0_4arch9wavefront6targetE1EEEvT1_
		.amdhsa_group_segment_fixed_size 0
		.amdhsa_private_segment_fixed_size 0
		.amdhsa_kernarg_size 128
		.amdhsa_user_sgpr_count 6
		.amdhsa_user_sgpr_private_segment_buffer 1
		.amdhsa_user_sgpr_dispatch_ptr 0
		.amdhsa_user_sgpr_queue_ptr 0
		.amdhsa_user_sgpr_kernarg_segment_ptr 1
		.amdhsa_user_sgpr_dispatch_id 0
		.amdhsa_user_sgpr_flat_scratch_init 0
		.amdhsa_user_sgpr_kernarg_preload_length 0
		.amdhsa_user_sgpr_kernarg_preload_offset 0
		.amdhsa_user_sgpr_private_segment_size 0
		.amdhsa_uses_dynamic_stack 0
		.amdhsa_system_sgpr_private_segment_wavefront_offset 0
		.amdhsa_system_sgpr_workgroup_id_x 1
		.amdhsa_system_sgpr_workgroup_id_y 0
		.amdhsa_system_sgpr_workgroup_id_z 0
		.amdhsa_system_sgpr_workgroup_info 0
		.amdhsa_system_vgpr_workitem_id 0
		.amdhsa_next_free_vgpr 1
		.amdhsa_next_free_sgpr 0
		.amdhsa_accum_offset 4
		.amdhsa_reserve_vcc 0
		.amdhsa_reserve_flat_scratch 0
		.amdhsa_float_round_mode_32 0
		.amdhsa_float_round_mode_16_64 0
		.amdhsa_float_denorm_mode_32 3
		.amdhsa_float_denorm_mode_16_64 3
		.amdhsa_dx10_clamp 1
		.amdhsa_ieee_mode 1
		.amdhsa_fp16_overflow 0
		.amdhsa_tg_split 0
		.amdhsa_exception_fp_ieee_invalid_op 0
		.amdhsa_exception_fp_denorm_src 0
		.amdhsa_exception_fp_ieee_div_zero 0
		.amdhsa_exception_fp_ieee_overflow 0
		.amdhsa_exception_fp_ieee_underflow 0
		.amdhsa_exception_fp_ieee_inexact 0
		.amdhsa_exception_int_div_zero 0
	.end_amdhsa_kernel
	.section	.text._ZN7rocprim17ROCPRIM_400000_NS6detail17trampoline_kernelINS0_14default_configENS1_25partition_config_selectorILNS1_17partition_subalgoE0EjNS0_10empty_typeEbEEZZNS1_14partition_implILS5_0ELb0ES3_jN6thrust23THRUST_200600_302600_NS6detail15normal_iteratorINSA_10device_ptrIjEEEEPS6_SG_NS0_5tupleIJNSA_16discard_iteratorINSA_11use_defaultEEESF_EEENSH_IJSG_SG_EEES6_PlJ7is_evenIjEEEE10hipError_tPvRmT3_T4_T5_T6_T7_T9_mT8_P12ihipStream_tbDpT10_ENKUlT_T0_E_clISt17integral_constantIbLb0EES19_EEDaS14_S15_EUlS14_E_NS1_11comp_targetILNS1_3genE10ELNS1_11target_archE1200ELNS1_3gpuE4ELNS1_3repE0EEENS1_30default_config_static_selectorELNS0_4arch9wavefront6targetE1EEEvT1_,"axG",@progbits,_ZN7rocprim17ROCPRIM_400000_NS6detail17trampoline_kernelINS0_14default_configENS1_25partition_config_selectorILNS1_17partition_subalgoE0EjNS0_10empty_typeEbEEZZNS1_14partition_implILS5_0ELb0ES3_jN6thrust23THRUST_200600_302600_NS6detail15normal_iteratorINSA_10device_ptrIjEEEEPS6_SG_NS0_5tupleIJNSA_16discard_iteratorINSA_11use_defaultEEESF_EEENSH_IJSG_SG_EEES6_PlJ7is_evenIjEEEE10hipError_tPvRmT3_T4_T5_T6_T7_T9_mT8_P12ihipStream_tbDpT10_ENKUlT_T0_E_clISt17integral_constantIbLb0EES19_EEDaS14_S15_EUlS14_E_NS1_11comp_targetILNS1_3genE10ELNS1_11target_archE1200ELNS1_3gpuE4ELNS1_3repE0EEENS1_30default_config_static_selectorELNS0_4arch9wavefront6targetE1EEEvT1_,comdat
.Lfunc_end2464:
	.size	_ZN7rocprim17ROCPRIM_400000_NS6detail17trampoline_kernelINS0_14default_configENS1_25partition_config_selectorILNS1_17partition_subalgoE0EjNS0_10empty_typeEbEEZZNS1_14partition_implILS5_0ELb0ES3_jN6thrust23THRUST_200600_302600_NS6detail15normal_iteratorINSA_10device_ptrIjEEEEPS6_SG_NS0_5tupleIJNSA_16discard_iteratorINSA_11use_defaultEEESF_EEENSH_IJSG_SG_EEES6_PlJ7is_evenIjEEEE10hipError_tPvRmT3_T4_T5_T6_T7_T9_mT8_P12ihipStream_tbDpT10_ENKUlT_T0_E_clISt17integral_constantIbLb0EES19_EEDaS14_S15_EUlS14_E_NS1_11comp_targetILNS1_3genE10ELNS1_11target_archE1200ELNS1_3gpuE4ELNS1_3repE0EEENS1_30default_config_static_selectorELNS0_4arch9wavefront6targetE1EEEvT1_, .Lfunc_end2464-_ZN7rocprim17ROCPRIM_400000_NS6detail17trampoline_kernelINS0_14default_configENS1_25partition_config_selectorILNS1_17partition_subalgoE0EjNS0_10empty_typeEbEEZZNS1_14partition_implILS5_0ELb0ES3_jN6thrust23THRUST_200600_302600_NS6detail15normal_iteratorINSA_10device_ptrIjEEEEPS6_SG_NS0_5tupleIJNSA_16discard_iteratorINSA_11use_defaultEEESF_EEENSH_IJSG_SG_EEES6_PlJ7is_evenIjEEEE10hipError_tPvRmT3_T4_T5_T6_T7_T9_mT8_P12ihipStream_tbDpT10_ENKUlT_T0_E_clISt17integral_constantIbLb0EES19_EEDaS14_S15_EUlS14_E_NS1_11comp_targetILNS1_3genE10ELNS1_11target_archE1200ELNS1_3gpuE4ELNS1_3repE0EEENS1_30default_config_static_selectorELNS0_4arch9wavefront6targetE1EEEvT1_
                                        ; -- End function
	.section	.AMDGPU.csdata,"",@progbits
; Kernel info:
; codeLenInByte = 0
; NumSgprs: 4
; NumVgprs: 0
; NumAgprs: 0
; TotalNumVgprs: 0
; ScratchSize: 0
; MemoryBound: 0
; FloatMode: 240
; IeeeMode: 1
; LDSByteSize: 0 bytes/workgroup (compile time only)
; SGPRBlocks: 0
; VGPRBlocks: 0
; NumSGPRsForWavesPerEU: 4
; NumVGPRsForWavesPerEU: 1
; AccumOffset: 4
; Occupancy: 8
; WaveLimiterHint : 0
; COMPUTE_PGM_RSRC2:SCRATCH_EN: 0
; COMPUTE_PGM_RSRC2:USER_SGPR: 6
; COMPUTE_PGM_RSRC2:TRAP_HANDLER: 0
; COMPUTE_PGM_RSRC2:TGID_X_EN: 1
; COMPUTE_PGM_RSRC2:TGID_Y_EN: 0
; COMPUTE_PGM_RSRC2:TGID_Z_EN: 0
; COMPUTE_PGM_RSRC2:TIDIG_COMP_CNT: 0
; COMPUTE_PGM_RSRC3_GFX90A:ACCUM_OFFSET: 0
; COMPUTE_PGM_RSRC3_GFX90A:TG_SPLIT: 0
	.section	.text._ZN7rocprim17ROCPRIM_400000_NS6detail17trampoline_kernelINS0_14default_configENS1_25partition_config_selectorILNS1_17partition_subalgoE0EjNS0_10empty_typeEbEEZZNS1_14partition_implILS5_0ELb0ES3_jN6thrust23THRUST_200600_302600_NS6detail15normal_iteratorINSA_10device_ptrIjEEEEPS6_SG_NS0_5tupleIJNSA_16discard_iteratorINSA_11use_defaultEEESF_EEENSH_IJSG_SG_EEES6_PlJ7is_evenIjEEEE10hipError_tPvRmT3_T4_T5_T6_T7_T9_mT8_P12ihipStream_tbDpT10_ENKUlT_T0_E_clISt17integral_constantIbLb0EES19_EEDaS14_S15_EUlS14_E_NS1_11comp_targetILNS1_3genE9ELNS1_11target_archE1100ELNS1_3gpuE3ELNS1_3repE0EEENS1_30default_config_static_selectorELNS0_4arch9wavefront6targetE1EEEvT1_,"axG",@progbits,_ZN7rocprim17ROCPRIM_400000_NS6detail17trampoline_kernelINS0_14default_configENS1_25partition_config_selectorILNS1_17partition_subalgoE0EjNS0_10empty_typeEbEEZZNS1_14partition_implILS5_0ELb0ES3_jN6thrust23THRUST_200600_302600_NS6detail15normal_iteratorINSA_10device_ptrIjEEEEPS6_SG_NS0_5tupleIJNSA_16discard_iteratorINSA_11use_defaultEEESF_EEENSH_IJSG_SG_EEES6_PlJ7is_evenIjEEEE10hipError_tPvRmT3_T4_T5_T6_T7_T9_mT8_P12ihipStream_tbDpT10_ENKUlT_T0_E_clISt17integral_constantIbLb0EES19_EEDaS14_S15_EUlS14_E_NS1_11comp_targetILNS1_3genE9ELNS1_11target_archE1100ELNS1_3gpuE3ELNS1_3repE0EEENS1_30default_config_static_selectorELNS0_4arch9wavefront6targetE1EEEvT1_,comdat
	.protected	_ZN7rocprim17ROCPRIM_400000_NS6detail17trampoline_kernelINS0_14default_configENS1_25partition_config_selectorILNS1_17partition_subalgoE0EjNS0_10empty_typeEbEEZZNS1_14partition_implILS5_0ELb0ES3_jN6thrust23THRUST_200600_302600_NS6detail15normal_iteratorINSA_10device_ptrIjEEEEPS6_SG_NS0_5tupleIJNSA_16discard_iteratorINSA_11use_defaultEEESF_EEENSH_IJSG_SG_EEES6_PlJ7is_evenIjEEEE10hipError_tPvRmT3_T4_T5_T6_T7_T9_mT8_P12ihipStream_tbDpT10_ENKUlT_T0_E_clISt17integral_constantIbLb0EES19_EEDaS14_S15_EUlS14_E_NS1_11comp_targetILNS1_3genE9ELNS1_11target_archE1100ELNS1_3gpuE3ELNS1_3repE0EEENS1_30default_config_static_selectorELNS0_4arch9wavefront6targetE1EEEvT1_ ; -- Begin function _ZN7rocprim17ROCPRIM_400000_NS6detail17trampoline_kernelINS0_14default_configENS1_25partition_config_selectorILNS1_17partition_subalgoE0EjNS0_10empty_typeEbEEZZNS1_14partition_implILS5_0ELb0ES3_jN6thrust23THRUST_200600_302600_NS6detail15normal_iteratorINSA_10device_ptrIjEEEEPS6_SG_NS0_5tupleIJNSA_16discard_iteratorINSA_11use_defaultEEESF_EEENSH_IJSG_SG_EEES6_PlJ7is_evenIjEEEE10hipError_tPvRmT3_T4_T5_T6_T7_T9_mT8_P12ihipStream_tbDpT10_ENKUlT_T0_E_clISt17integral_constantIbLb0EES19_EEDaS14_S15_EUlS14_E_NS1_11comp_targetILNS1_3genE9ELNS1_11target_archE1100ELNS1_3gpuE3ELNS1_3repE0EEENS1_30default_config_static_selectorELNS0_4arch9wavefront6targetE1EEEvT1_
	.globl	_ZN7rocprim17ROCPRIM_400000_NS6detail17trampoline_kernelINS0_14default_configENS1_25partition_config_selectorILNS1_17partition_subalgoE0EjNS0_10empty_typeEbEEZZNS1_14partition_implILS5_0ELb0ES3_jN6thrust23THRUST_200600_302600_NS6detail15normal_iteratorINSA_10device_ptrIjEEEEPS6_SG_NS0_5tupleIJNSA_16discard_iteratorINSA_11use_defaultEEESF_EEENSH_IJSG_SG_EEES6_PlJ7is_evenIjEEEE10hipError_tPvRmT3_T4_T5_T6_T7_T9_mT8_P12ihipStream_tbDpT10_ENKUlT_T0_E_clISt17integral_constantIbLb0EES19_EEDaS14_S15_EUlS14_E_NS1_11comp_targetILNS1_3genE9ELNS1_11target_archE1100ELNS1_3gpuE3ELNS1_3repE0EEENS1_30default_config_static_selectorELNS0_4arch9wavefront6targetE1EEEvT1_
	.p2align	8
	.type	_ZN7rocprim17ROCPRIM_400000_NS6detail17trampoline_kernelINS0_14default_configENS1_25partition_config_selectorILNS1_17partition_subalgoE0EjNS0_10empty_typeEbEEZZNS1_14partition_implILS5_0ELb0ES3_jN6thrust23THRUST_200600_302600_NS6detail15normal_iteratorINSA_10device_ptrIjEEEEPS6_SG_NS0_5tupleIJNSA_16discard_iteratorINSA_11use_defaultEEESF_EEENSH_IJSG_SG_EEES6_PlJ7is_evenIjEEEE10hipError_tPvRmT3_T4_T5_T6_T7_T9_mT8_P12ihipStream_tbDpT10_ENKUlT_T0_E_clISt17integral_constantIbLb0EES19_EEDaS14_S15_EUlS14_E_NS1_11comp_targetILNS1_3genE9ELNS1_11target_archE1100ELNS1_3gpuE3ELNS1_3repE0EEENS1_30default_config_static_selectorELNS0_4arch9wavefront6targetE1EEEvT1_,@function
_ZN7rocprim17ROCPRIM_400000_NS6detail17trampoline_kernelINS0_14default_configENS1_25partition_config_selectorILNS1_17partition_subalgoE0EjNS0_10empty_typeEbEEZZNS1_14partition_implILS5_0ELb0ES3_jN6thrust23THRUST_200600_302600_NS6detail15normal_iteratorINSA_10device_ptrIjEEEEPS6_SG_NS0_5tupleIJNSA_16discard_iteratorINSA_11use_defaultEEESF_EEENSH_IJSG_SG_EEES6_PlJ7is_evenIjEEEE10hipError_tPvRmT3_T4_T5_T6_T7_T9_mT8_P12ihipStream_tbDpT10_ENKUlT_T0_E_clISt17integral_constantIbLb0EES19_EEDaS14_S15_EUlS14_E_NS1_11comp_targetILNS1_3genE9ELNS1_11target_archE1100ELNS1_3gpuE3ELNS1_3repE0EEENS1_30default_config_static_selectorELNS0_4arch9wavefront6targetE1EEEvT1_: ; @_ZN7rocprim17ROCPRIM_400000_NS6detail17trampoline_kernelINS0_14default_configENS1_25partition_config_selectorILNS1_17partition_subalgoE0EjNS0_10empty_typeEbEEZZNS1_14partition_implILS5_0ELb0ES3_jN6thrust23THRUST_200600_302600_NS6detail15normal_iteratorINSA_10device_ptrIjEEEEPS6_SG_NS0_5tupleIJNSA_16discard_iteratorINSA_11use_defaultEEESF_EEENSH_IJSG_SG_EEES6_PlJ7is_evenIjEEEE10hipError_tPvRmT3_T4_T5_T6_T7_T9_mT8_P12ihipStream_tbDpT10_ENKUlT_T0_E_clISt17integral_constantIbLb0EES19_EEDaS14_S15_EUlS14_E_NS1_11comp_targetILNS1_3genE9ELNS1_11target_archE1100ELNS1_3gpuE3ELNS1_3repE0EEENS1_30default_config_static_selectorELNS0_4arch9wavefront6targetE1EEEvT1_
; %bb.0:
	.section	.rodata,"a",@progbits
	.p2align	6, 0x0
	.amdhsa_kernel _ZN7rocprim17ROCPRIM_400000_NS6detail17trampoline_kernelINS0_14default_configENS1_25partition_config_selectorILNS1_17partition_subalgoE0EjNS0_10empty_typeEbEEZZNS1_14partition_implILS5_0ELb0ES3_jN6thrust23THRUST_200600_302600_NS6detail15normal_iteratorINSA_10device_ptrIjEEEEPS6_SG_NS0_5tupleIJNSA_16discard_iteratorINSA_11use_defaultEEESF_EEENSH_IJSG_SG_EEES6_PlJ7is_evenIjEEEE10hipError_tPvRmT3_T4_T5_T6_T7_T9_mT8_P12ihipStream_tbDpT10_ENKUlT_T0_E_clISt17integral_constantIbLb0EES19_EEDaS14_S15_EUlS14_E_NS1_11comp_targetILNS1_3genE9ELNS1_11target_archE1100ELNS1_3gpuE3ELNS1_3repE0EEENS1_30default_config_static_selectorELNS0_4arch9wavefront6targetE1EEEvT1_
		.amdhsa_group_segment_fixed_size 0
		.amdhsa_private_segment_fixed_size 0
		.amdhsa_kernarg_size 128
		.amdhsa_user_sgpr_count 6
		.amdhsa_user_sgpr_private_segment_buffer 1
		.amdhsa_user_sgpr_dispatch_ptr 0
		.amdhsa_user_sgpr_queue_ptr 0
		.amdhsa_user_sgpr_kernarg_segment_ptr 1
		.amdhsa_user_sgpr_dispatch_id 0
		.amdhsa_user_sgpr_flat_scratch_init 0
		.amdhsa_user_sgpr_kernarg_preload_length 0
		.amdhsa_user_sgpr_kernarg_preload_offset 0
		.amdhsa_user_sgpr_private_segment_size 0
		.amdhsa_uses_dynamic_stack 0
		.amdhsa_system_sgpr_private_segment_wavefront_offset 0
		.amdhsa_system_sgpr_workgroup_id_x 1
		.amdhsa_system_sgpr_workgroup_id_y 0
		.amdhsa_system_sgpr_workgroup_id_z 0
		.amdhsa_system_sgpr_workgroup_info 0
		.amdhsa_system_vgpr_workitem_id 0
		.amdhsa_next_free_vgpr 1
		.amdhsa_next_free_sgpr 0
		.amdhsa_accum_offset 4
		.amdhsa_reserve_vcc 0
		.amdhsa_reserve_flat_scratch 0
		.amdhsa_float_round_mode_32 0
		.amdhsa_float_round_mode_16_64 0
		.amdhsa_float_denorm_mode_32 3
		.amdhsa_float_denorm_mode_16_64 3
		.amdhsa_dx10_clamp 1
		.amdhsa_ieee_mode 1
		.amdhsa_fp16_overflow 0
		.amdhsa_tg_split 0
		.amdhsa_exception_fp_ieee_invalid_op 0
		.amdhsa_exception_fp_denorm_src 0
		.amdhsa_exception_fp_ieee_div_zero 0
		.amdhsa_exception_fp_ieee_overflow 0
		.amdhsa_exception_fp_ieee_underflow 0
		.amdhsa_exception_fp_ieee_inexact 0
		.amdhsa_exception_int_div_zero 0
	.end_amdhsa_kernel
	.section	.text._ZN7rocprim17ROCPRIM_400000_NS6detail17trampoline_kernelINS0_14default_configENS1_25partition_config_selectorILNS1_17partition_subalgoE0EjNS0_10empty_typeEbEEZZNS1_14partition_implILS5_0ELb0ES3_jN6thrust23THRUST_200600_302600_NS6detail15normal_iteratorINSA_10device_ptrIjEEEEPS6_SG_NS0_5tupleIJNSA_16discard_iteratorINSA_11use_defaultEEESF_EEENSH_IJSG_SG_EEES6_PlJ7is_evenIjEEEE10hipError_tPvRmT3_T4_T5_T6_T7_T9_mT8_P12ihipStream_tbDpT10_ENKUlT_T0_E_clISt17integral_constantIbLb0EES19_EEDaS14_S15_EUlS14_E_NS1_11comp_targetILNS1_3genE9ELNS1_11target_archE1100ELNS1_3gpuE3ELNS1_3repE0EEENS1_30default_config_static_selectorELNS0_4arch9wavefront6targetE1EEEvT1_,"axG",@progbits,_ZN7rocprim17ROCPRIM_400000_NS6detail17trampoline_kernelINS0_14default_configENS1_25partition_config_selectorILNS1_17partition_subalgoE0EjNS0_10empty_typeEbEEZZNS1_14partition_implILS5_0ELb0ES3_jN6thrust23THRUST_200600_302600_NS6detail15normal_iteratorINSA_10device_ptrIjEEEEPS6_SG_NS0_5tupleIJNSA_16discard_iteratorINSA_11use_defaultEEESF_EEENSH_IJSG_SG_EEES6_PlJ7is_evenIjEEEE10hipError_tPvRmT3_T4_T5_T6_T7_T9_mT8_P12ihipStream_tbDpT10_ENKUlT_T0_E_clISt17integral_constantIbLb0EES19_EEDaS14_S15_EUlS14_E_NS1_11comp_targetILNS1_3genE9ELNS1_11target_archE1100ELNS1_3gpuE3ELNS1_3repE0EEENS1_30default_config_static_selectorELNS0_4arch9wavefront6targetE1EEEvT1_,comdat
.Lfunc_end2465:
	.size	_ZN7rocprim17ROCPRIM_400000_NS6detail17trampoline_kernelINS0_14default_configENS1_25partition_config_selectorILNS1_17partition_subalgoE0EjNS0_10empty_typeEbEEZZNS1_14partition_implILS5_0ELb0ES3_jN6thrust23THRUST_200600_302600_NS6detail15normal_iteratorINSA_10device_ptrIjEEEEPS6_SG_NS0_5tupleIJNSA_16discard_iteratorINSA_11use_defaultEEESF_EEENSH_IJSG_SG_EEES6_PlJ7is_evenIjEEEE10hipError_tPvRmT3_T4_T5_T6_T7_T9_mT8_P12ihipStream_tbDpT10_ENKUlT_T0_E_clISt17integral_constantIbLb0EES19_EEDaS14_S15_EUlS14_E_NS1_11comp_targetILNS1_3genE9ELNS1_11target_archE1100ELNS1_3gpuE3ELNS1_3repE0EEENS1_30default_config_static_selectorELNS0_4arch9wavefront6targetE1EEEvT1_, .Lfunc_end2465-_ZN7rocprim17ROCPRIM_400000_NS6detail17trampoline_kernelINS0_14default_configENS1_25partition_config_selectorILNS1_17partition_subalgoE0EjNS0_10empty_typeEbEEZZNS1_14partition_implILS5_0ELb0ES3_jN6thrust23THRUST_200600_302600_NS6detail15normal_iteratorINSA_10device_ptrIjEEEEPS6_SG_NS0_5tupleIJNSA_16discard_iteratorINSA_11use_defaultEEESF_EEENSH_IJSG_SG_EEES6_PlJ7is_evenIjEEEE10hipError_tPvRmT3_T4_T5_T6_T7_T9_mT8_P12ihipStream_tbDpT10_ENKUlT_T0_E_clISt17integral_constantIbLb0EES19_EEDaS14_S15_EUlS14_E_NS1_11comp_targetILNS1_3genE9ELNS1_11target_archE1100ELNS1_3gpuE3ELNS1_3repE0EEENS1_30default_config_static_selectorELNS0_4arch9wavefront6targetE1EEEvT1_
                                        ; -- End function
	.section	.AMDGPU.csdata,"",@progbits
; Kernel info:
; codeLenInByte = 0
; NumSgprs: 4
; NumVgprs: 0
; NumAgprs: 0
; TotalNumVgprs: 0
; ScratchSize: 0
; MemoryBound: 0
; FloatMode: 240
; IeeeMode: 1
; LDSByteSize: 0 bytes/workgroup (compile time only)
; SGPRBlocks: 0
; VGPRBlocks: 0
; NumSGPRsForWavesPerEU: 4
; NumVGPRsForWavesPerEU: 1
; AccumOffset: 4
; Occupancy: 8
; WaveLimiterHint : 0
; COMPUTE_PGM_RSRC2:SCRATCH_EN: 0
; COMPUTE_PGM_RSRC2:USER_SGPR: 6
; COMPUTE_PGM_RSRC2:TRAP_HANDLER: 0
; COMPUTE_PGM_RSRC2:TGID_X_EN: 1
; COMPUTE_PGM_RSRC2:TGID_Y_EN: 0
; COMPUTE_PGM_RSRC2:TGID_Z_EN: 0
; COMPUTE_PGM_RSRC2:TIDIG_COMP_CNT: 0
; COMPUTE_PGM_RSRC3_GFX90A:ACCUM_OFFSET: 0
; COMPUTE_PGM_RSRC3_GFX90A:TG_SPLIT: 0
	.section	.text._ZN7rocprim17ROCPRIM_400000_NS6detail17trampoline_kernelINS0_14default_configENS1_25partition_config_selectorILNS1_17partition_subalgoE0EjNS0_10empty_typeEbEEZZNS1_14partition_implILS5_0ELb0ES3_jN6thrust23THRUST_200600_302600_NS6detail15normal_iteratorINSA_10device_ptrIjEEEEPS6_SG_NS0_5tupleIJNSA_16discard_iteratorINSA_11use_defaultEEESF_EEENSH_IJSG_SG_EEES6_PlJ7is_evenIjEEEE10hipError_tPvRmT3_T4_T5_T6_T7_T9_mT8_P12ihipStream_tbDpT10_ENKUlT_T0_E_clISt17integral_constantIbLb0EES19_EEDaS14_S15_EUlS14_E_NS1_11comp_targetILNS1_3genE8ELNS1_11target_archE1030ELNS1_3gpuE2ELNS1_3repE0EEENS1_30default_config_static_selectorELNS0_4arch9wavefront6targetE1EEEvT1_,"axG",@progbits,_ZN7rocprim17ROCPRIM_400000_NS6detail17trampoline_kernelINS0_14default_configENS1_25partition_config_selectorILNS1_17partition_subalgoE0EjNS0_10empty_typeEbEEZZNS1_14partition_implILS5_0ELb0ES3_jN6thrust23THRUST_200600_302600_NS6detail15normal_iteratorINSA_10device_ptrIjEEEEPS6_SG_NS0_5tupleIJNSA_16discard_iteratorINSA_11use_defaultEEESF_EEENSH_IJSG_SG_EEES6_PlJ7is_evenIjEEEE10hipError_tPvRmT3_T4_T5_T6_T7_T9_mT8_P12ihipStream_tbDpT10_ENKUlT_T0_E_clISt17integral_constantIbLb0EES19_EEDaS14_S15_EUlS14_E_NS1_11comp_targetILNS1_3genE8ELNS1_11target_archE1030ELNS1_3gpuE2ELNS1_3repE0EEENS1_30default_config_static_selectorELNS0_4arch9wavefront6targetE1EEEvT1_,comdat
	.protected	_ZN7rocprim17ROCPRIM_400000_NS6detail17trampoline_kernelINS0_14default_configENS1_25partition_config_selectorILNS1_17partition_subalgoE0EjNS0_10empty_typeEbEEZZNS1_14partition_implILS5_0ELb0ES3_jN6thrust23THRUST_200600_302600_NS6detail15normal_iteratorINSA_10device_ptrIjEEEEPS6_SG_NS0_5tupleIJNSA_16discard_iteratorINSA_11use_defaultEEESF_EEENSH_IJSG_SG_EEES6_PlJ7is_evenIjEEEE10hipError_tPvRmT3_T4_T5_T6_T7_T9_mT8_P12ihipStream_tbDpT10_ENKUlT_T0_E_clISt17integral_constantIbLb0EES19_EEDaS14_S15_EUlS14_E_NS1_11comp_targetILNS1_3genE8ELNS1_11target_archE1030ELNS1_3gpuE2ELNS1_3repE0EEENS1_30default_config_static_selectorELNS0_4arch9wavefront6targetE1EEEvT1_ ; -- Begin function _ZN7rocprim17ROCPRIM_400000_NS6detail17trampoline_kernelINS0_14default_configENS1_25partition_config_selectorILNS1_17partition_subalgoE0EjNS0_10empty_typeEbEEZZNS1_14partition_implILS5_0ELb0ES3_jN6thrust23THRUST_200600_302600_NS6detail15normal_iteratorINSA_10device_ptrIjEEEEPS6_SG_NS0_5tupleIJNSA_16discard_iteratorINSA_11use_defaultEEESF_EEENSH_IJSG_SG_EEES6_PlJ7is_evenIjEEEE10hipError_tPvRmT3_T4_T5_T6_T7_T9_mT8_P12ihipStream_tbDpT10_ENKUlT_T0_E_clISt17integral_constantIbLb0EES19_EEDaS14_S15_EUlS14_E_NS1_11comp_targetILNS1_3genE8ELNS1_11target_archE1030ELNS1_3gpuE2ELNS1_3repE0EEENS1_30default_config_static_selectorELNS0_4arch9wavefront6targetE1EEEvT1_
	.globl	_ZN7rocprim17ROCPRIM_400000_NS6detail17trampoline_kernelINS0_14default_configENS1_25partition_config_selectorILNS1_17partition_subalgoE0EjNS0_10empty_typeEbEEZZNS1_14partition_implILS5_0ELb0ES3_jN6thrust23THRUST_200600_302600_NS6detail15normal_iteratorINSA_10device_ptrIjEEEEPS6_SG_NS0_5tupleIJNSA_16discard_iteratorINSA_11use_defaultEEESF_EEENSH_IJSG_SG_EEES6_PlJ7is_evenIjEEEE10hipError_tPvRmT3_T4_T5_T6_T7_T9_mT8_P12ihipStream_tbDpT10_ENKUlT_T0_E_clISt17integral_constantIbLb0EES19_EEDaS14_S15_EUlS14_E_NS1_11comp_targetILNS1_3genE8ELNS1_11target_archE1030ELNS1_3gpuE2ELNS1_3repE0EEENS1_30default_config_static_selectorELNS0_4arch9wavefront6targetE1EEEvT1_
	.p2align	8
	.type	_ZN7rocprim17ROCPRIM_400000_NS6detail17trampoline_kernelINS0_14default_configENS1_25partition_config_selectorILNS1_17partition_subalgoE0EjNS0_10empty_typeEbEEZZNS1_14partition_implILS5_0ELb0ES3_jN6thrust23THRUST_200600_302600_NS6detail15normal_iteratorINSA_10device_ptrIjEEEEPS6_SG_NS0_5tupleIJNSA_16discard_iteratorINSA_11use_defaultEEESF_EEENSH_IJSG_SG_EEES6_PlJ7is_evenIjEEEE10hipError_tPvRmT3_T4_T5_T6_T7_T9_mT8_P12ihipStream_tbDpT10_ENKUlT_T0_E_clISt17integral_constantIbLb0EES19_EEDaS14_S15_EUlS14_E_NS1_11comp_targetILNS1_3genE8ELNS1_11target_archE1030ELNS1_3gpuE2ELNS1_3repE0EEENS1_30default_config_static_selectorELNS0_4arch9wavefront6targetE1EEEvT1_,@function
_ZN7rocprim17ROCPRIM_400000_NS6detail17trampoline_kernelINS0_14default_configENS1_25partition_config_selectorILNS1_17partition_subalgoE0EjNS0_10empty_typeEbEEZZNS1_14partition_implILS5_0ELb0ES3_jN6thrust23THRUST_200600_302600_NS6detail15normal_iteratorINSA_10device_ptrIjEEEEPS6_SG_NS0_5tupleIJNSA_16discard_iteratorINSA_11use_defaultEEESF_EEENSH_IJSG_SG_EEES6_PlJ7is_evenIjEEEE10hipError_tPvRmT3_T4_T5_T6_T7_T9_mT8_P12ihipStream_tbDpT10_ENKUlT_T0_E_clISt17integral_constantIbLb0EES19_EEDaS14_S15_EUlS14_E_NS1_11comp_targetILNS1_3genE8ELNS1_11target_archE1030ELNS1_3gpuE2ELNS1_3repE0EEENS1_30default_config_static_selectorELNS0_4arch9wavefront6targetE1EEEvT1_: ; @_ZN7rocprim17ROCPRIM_400000_NS6detail17trampoline_kernelINS0_14default_configENS1_25partition_config_selectorILNS1_17partition_subalgoE0EjNS0_10empty_typeEbEEZZNS1_14partition_implILS5_0ELb0ES3_jN6thrust23THRUST_200600_302600_NS6detail15normal_iteratorINSA_10device_ptrIjEEEEPS6_SG_NS0_5tupleIJNSA_16discard_iteratorINSA_11use_defaultEEESF_EEENSH_IJSG_SG_EEES6_PlJ7is_evenIjEEEE10hipError_tPvRmT3_T4_T5_T6_T7_T9_mT8_P12ihipStream_tbDpT10_ENKUlT_T0_E_clISt17integral_constantIbLb0EES19_EEDaS14_S15_EUlS14_E_NS1_11comp_targetILNS1_3genE8ELNS1_11target_archE1030ELNS1_3gpuE2ELNS1_3repE0EEENS1_30default_config_static_selectorELNS0_4arch9wavefront6targetE1EEEvT1_
; %bb.0:
	.section	.rodata,"a",@progbits
	.p2align	6, 0x0
	.amdhsa_kernel _ZN7rocprim17ROCPRIM_400000_NS6detail17trampoline_kernelINS0_14default_configENS1_25partition_config_selectorILNS1_17partition_subalgoE0EjNS0_10empty_typeEbEEZZNS1_14partition_implILS5_0ELb0ES3_jN6thrust23THRUST_200600_302600_NS6detail15normal_iteratorINSA_10device_ptrIjEEEEPS6_SG_NS0_5tupleIJNSA_16discard_iteratorINSA_11use_defaultEEESF_EEENSH_IJSG_SG_EEES6_PlJ7is_evenIjEEEE10hipError_tPvRmT3_T4_T5_T6_T7_T9_mT8_P12ihipStream_tbDpT10_ENKUlT_T0_E_clISt17integral_constantIbLb0EES19_EEDaS14_S15_EUlS14_E_NS1_11comp_targetILNS1_3genE8ELNS1_11target_archE1030ELNS1_3gpuE2ELNS1_3repE0EEENS1_30default_config_static_selectorELNS0_4arch9wavefront6targetE1EEEvT1_
		.amdhsa_group_segment_fixed_size 0
		.amdhsa_private_segment_fixed_size 0
		.amdhsa_kernarg_size 128
		.amdhsa_user_sgpr_count 6
		.amdhsa_user_sgpr_private_segment_buffer 1
		.amdhsa_user_sgpr_dispatch_ptr 0
		.amdhsa_user_sgpr_queue_ptr 0
		.amdhsa_user_sgpr_kernarg_segment_ptr 1
		.amdhsa_user_sgpr_dispatch_id 0
		.amdhsa_user_sgpr_flat_scratch_init 0
		.amdhsa_user_sgpr_kernarg_preload_length 0
		.amdhsa_user_sgpr_kernarg_preload_offset 0
		.amdhsa_user_sgpr_private_segment_size 0
		.amdhsa_uses_dynamic_stack 0
		.amdhsa_system_sgpr_private_segment_wavefront_offset 0
		.amdhsa_system_sgpr_workgroup_id_x 1
		.amdhsa_system_sgpr_workgroup_id_y 0
		.amdhsa_system_sgpr_workgroup_id_z 0
		.amdhsa_system_sgpr_workgroup_info 0
		.amdhsa_system_vgpr_workitem_id 0
		.amdhsa_next_free_vgpr 1
		.amdhsa_next_free_sgpr 0
		.amdhsa_accum_offset 4
		.amdhsa_reserve_vcc 0
		.amdhsa_reserve_flat_scratch 0
		.amdhsa_float_round_mode_32 0
		.amdhsa_float_round_mode_16_64 0
		.amdhsa_float_denorm_mode_32 3
		.amdhsa_float_denorm_mode_16_64 3
		.amdhsa_dx10_clamp 1
		.amdhsa_ieee_mode 1
		.amdhsa_fp16_overflow 0
		.amdhsa_tg_split 0
		.amdhsa_exception_fp_ieee_invalid_op 0
		.amdhsa_exception_fp_denorm_src 0
		.amdhsa_exception_fp_ieee_div_zero 0
		.amdhsa_exception_fp_ieee_overflow 0
		.amdhsa_exception_fp_ieee_underflow 0
		.amdhsa_exception_fp_ieee_inexact 0
		.amdhsa_exception_int_div_zero 0
	.end_amdhsa_kernel
	.section	.text._ZN7rocprim17ROCPRIM_400000_NS6detail17trampoline_kernelINS0_14default_configENS1_25partition_config_selectorILNS1_17partition_subalgoE0EjNS0_10empty_typeEbEEZZNS1_14partition_implILS5_0ELb0ES3_jN6thrust23THRUST_200600_302600_NS6detail15normal_iteratorINSA_10device_ptrIjEEEEPS6_SG_NS0_5tupleIJNSA_16discard_iteratorINSA_11use_defaultEEESF_EEENSH_IJSG_SG_EEES6_PlJ7is_evenIjEEEE10hipError_tPvRmT3_T4_T5_T6_T7_T9_mT8_P12ihipStream_tbDpT10_ENKUlT_T0_E_clISt17integral_constantIbLb0EES19_EEDaS14_S15_EUlS14_E_NS1_11comp_targetILNS1_3genE8ELNS1_11target_archE1030ELNS1_3gpuE2ELNS1_3repE0EEENS1_30default_config_static_selectorELNS0_4arch9wavefront6targetE1EEEvT1_,"axG",@progbits,_ZN7rocprim17ROCPRIM_400000_NS6detail17trampoline_kernelINS0_14default_configENS1_25partition_config_selectorILNS1_17partition_subalgoE0EjNS0_10empty_typeEbEEZZNS1_14partition_implILS5_0ELb0ES3_jN6thrust23THRUST_200600_302600_NS6detail15normal_iteratorINSA_10device_ptrIjEEEEPS6_SG_NS0_5tupleIJNSA_16discard_iteratorINSA_11use_defaultEEESF_EEENSH_IJSG_SG_EEES6_PlJ7is_evenIjEEEE10hipError_tPvRmT3_T4_T5_T6_T7_T9_mT8_P12ihipStream_tbDpT10_ENKUlT_T0_E_clISt17integral_constantIbLb0EES19_EEDaS14_S15_EUlS14_E_NS1_11comp_targetILNS1_3genE8ELNS1_11target_archE1030ELNS1_3gpuE2ELNS1_3repE0EEENS1_30default_config_static_selectorELNS0_4arch9wavefront6targetE1EEEvT1_,comdat
.Lfunc_end2466:
	.size	_ZN7rocprim17ROCPRIM_400000_NS6detail17trampoline_kernelINS0_14default_configENS1_25partition_config_selectorILNS1_17partition_subalgoE0EjNS0_10empty_typeEbEEZZNS1_14partition_implILS5_0ELb0ES3_jN6thrust23THRUST_200600_302600_NS6detail15normal_iteratorINSA_10device_ptrIjEEEEPS6_SG_NS0_5tupleIJNSA_16discard_iteratorINSA_11use_defaultEEESF_EEENSH_IJSG_SG_EEES6_PlJ7is_evenIjEEEE10hipError_tPvRmT3_T4_T5_T6_T7_T9_mT8_P12ihipStream_tbDpT10_ENKUlT_T0_E_clISt17integral_constantIbLb0EES19_EEDaS14_S15_EUlS14_E_NS1_11comp_targetILNS1_3genE8ELNS1_11target_archE1030ELNS1_3gpuE2ELNS1_3repE0EEENS1_30default_config_static_selectorELNS0_4arch9wavefront6targetE1EEEvT1_, .Lfunc_end2466-_ZN7rocprim17ROCPRIM_400000_NS6detail17trampoline_kernelINS0_14default_configENS1_25partition_config_selectorILNS1_17partition_subalgoE0EjNS0_10empty_typeEbEEZZNS1_14partition_implILS5_0ELb0ES3_jN6thrust23THRUST_200600_302600_NS6detail15normal_iteratorINSA_10device_ptrIjEEEEPS6_SG_NS0_5tupleIJNSA_16discard_iteratorINSA_11use_defaultEEESF_EEENSH_IJSG_SG_EEES6_PlJ7is_evenIjEEEE10hipError_tPvRmT3_T4_T5_T6_T7_T9_mT8_P12ihipStream_tbDpT10_ENKUlT_T0_E_clISt17integral_constantIbLb0EES19_EEDaS14_S15_EUlS14_E_NS1_11comp_targetILNS1_3genE8ELNS1_11target_archE1030ELNS1_3gpuE2ELNS1_3repE0EEENS1_30default_config_static_selectorELNS0_4arch9wavefront6targetE1EEEvT1_
                                        ; -- End function
	.section	.AMDGPU.csdata,"",@progbits
; Kernel info:
; codeLenInByte = 0
; NumSgprs: 4
; NumVgprs: 0
; NumAgprs: 0
; TotalNumVgprs: 0
; ScratchSize: 0
; MemoryBound: 0
; FloatMode: 240
; IeeeMode: 1
; LDSByteSize: 0 bytes/workgroup (compile time only)
; SGPRBlocks: 0
; VGPRBlocks: 0
; NumSGPRsForWavesPerEU: 4
; NumVGPRsForWavesPerEU: 1
; AccumOffset: 4
; Occupancy: 8
; WaveLimiterHint : 0
; COMPUTE_PGM_RSRC2:SCRATCH_EN: 0
; COMPUTE_PGM_RSRC2:USER_SGPR: 6
; COMPUTE_PGM_RSRC2:TRAP_HANDLER: 0
; COMPUTE_PGM_RSRC2:TGID_X_EN: 1
; COMPUTE_PGM_RSRC2:TGID_Y_EN: 0
; COMPUTE_PGM_RSRC2:TGID_Z_EN: 0
; COMPUTE_PGM_RSRC2:TIDIG_COMP_CNT: 0
; COMPUTE_PGM_RSRC3_GFX90A:ACCUM_OFFSET: 0
; COMPUTE_PGM_RSRC3_GFX90A:TG_SPLIT: 0
	.section	.text._ZN7rocprim17ROCPRIM_400000_NS6detail17trampoline_kernelINS0_14default_configENS1_25partition_config_selectorILNS1_17partition_subalgoE0EjNS0_10empty_typeEbEEZZNS1_14partition_implILS5_0ELb0ES3_jN6thrust23THRUST_200600_302600_NS6detail15normal_iteratorINSA_10device_ptrIjEEEEPS6_SG_NS0_5tupleIJNSA_16discard_iteratorINSA_11use_defaultEEESF_EEENSH_IJSG_SG_EEES6_PlJ7is_evenIjEEEE10hipError_tPvRmT3_T4_T5_T6_T7_T9_mT8_P12ihipStream_tbDpT10_ENKUlT_T0_E_clISt17integral_constantIbLb1EES19_EEDaS14_S15_EUlS14_E_NS1_11comp_targetILNS1_3genE0ELNS1_11target_archE4294967295ELNS1_3gpuE0ELNS1_3repE0EEENS1_30default_config_static_selectorELNS0_4arch9wavefront6targetE1EEEvT1_,"axG",@progbits,_ZN7rocprim17ROCPRIM_400000_NS6detail17trampoline_kernelINS0_14default_configENS1_25partition_config_selectorILNS1_17partition_subalgoE0EjNS0_10empty_typeEbEEZZNS1_14partition_implILS5_0ELb0ES3_jN6thrust23THRUST_200600_302600_NS6detail15normal_iteratorINSA_10device_ptrIjEEEEPS6_SG_NS0_5tupleIJNSA_16discard_iteratorINSA_11use_defaultEEESF_EEENSH_IJSG_SG_EEES6_PlJ7is_evenIjEEEE10hipError_tPvRmT3_T4_T5_T6_T7_T9_mT8_P12ihipStream_tbDpT10_ENKUlT_T0_E_clISt17integral_constantIbLb1EES19_EEDaS14_S15_EUlS14_E_NS1_11comp_targetILNS1_3genE0ELNS1_11target_archE4294967295ELNS1_3gpuE0ELNS1_3repE0EEENS1_30default_config_static_selectorELNS0_4arch9wavefront6targetE1EEEvT1_,comdat
	.protected	_ZN7rocprim17ROCPRIM_400000_NS6detail17trampoline_kernelINS0_14default_configENS1_25partition_config_selectorILNS1_17partition_subalgoE0EjNS0_10empty_typeEbEEZZNS1_14partition_implILS5_0ELb0ES3_jN6thrust23THRUST_200600_302600_NS6detail15normal_iteratorINSA_10device_ptrIjEEEEPS6_SG_NS0_5tupleIJNSA_16discard_iteratorINSA_11use_defaultEEESF_EEENSH_IJSG_SG_EEES6_PlJ7is_evenIjEEEE10hipError_tPvRmT3_T4_T5_T6_T7_T9_mT8_P12ihipStream_tbDpT10_ENKUlT_T0_E_clISt17integral_constantIbLb1EES19_EEDaS14_S15_EUlS14_E_NS1_11comp_targetILNS1_3genE0ELNS1_11target_archE4294967295ELNS1_3gpuE0ELNS1_3repE0EEENS1_30default_config_static_selectorELNS0_4arch9wavefront6targetE1EEEvT1_ ; -- Begin function _ZN7rocprim17ROCPRIM_400000_NS6detail17trampoline_kernelINS0_14default_configENS1_25partition_config_selectorILNS1_17partition_subalgoE0EjNS0_10empty_typeEbEEZZNS1_14partition_implILS5_0ELb0ES3_jN6thrust23THRUST_200600_302600_NS6detail15normal_iteratorINSA_10device_ptrIjEEEEPS6_SG_NS0_5tupleIJNSA_16discard_iteratorINSA_11use_defaultEEESF_EEENSH_IJSG_SG_EEES6_PlJ7is_evenIjEEEE10hipError_tPvRmT3_T4_T5_T6_T7_T9_mT8_P12ihipStream_tbDpT10_ENKUlT_T0_E_clISt17integral_constantIbLb1EES19_EEDaS14_S15_EUlS14_E_NS1_11comp_targetILNS1_3genE0ELNS1_11target_archE4294967295ELNS1_3gpuE0ELNS1_3repE0EEENS1_30default_config_static_selectorELNS0_4arch9wavefront6targetE1EEEvT1_
	.globl	_ZN7rocprim17ROCPRIM_400000_NS6detail17trampoline_kernelINS0_14default_configENS1_25partition_config_selectorILNS1_17partition_subalgoE0EjNS0_10empty_typeEbEEZZNS1_14partition_implILS5_0ELb0ES3_jN6thrust23THRUST_200600_302600_NS6detail15normal_iteratorINSA_10device_ptrIjEEEEPS6_SG_NS0_5tupleIJNSA_16discard_iteratorINSA_11use_defaultEEESF_EEENSH_IJSG_SG_EEES6_PlJ7is_evenIjEEEE10hipError_tPvRmT3_T4_T5_T6_T7_T9_mT8_P12ihipStream_tbDpT10_ENKUlT_T0_E_clISt17integral_constantIbLb1EES19_EEDaS14_S15_EUlS14_E_NS1_11comp_targetILNS1_3genE0ELNS1_11target_archE4294967295ELNS1_3gpuE0ELNS1_3repE0EEENS1_30default_config_static_selectorELNS0_4arch9wavefront6targetE1EEEvT1_
	.p2align	8
	.type	_ZN7rocprim17ROCPRIM_400000_NS6detail17trampoline_kernelINS0_14default_configENS1_25partition_config_selectorILNS1_17partition_subalgoE0EjNS0_10empty_typeEbEEZZNS1_14partition_implILS5_0ELb0ES3_jN6thrust23THRUST_200600_302600_NS6detail15normal_iteratorINSA_10device_ptrIjEEEEPS6_SG_NS0_5tupleIJNSA_16discard_iteratorINSA_11use_defaultEEESF_EEENSH_IJSG_SG_EEES6_PlJ7is_evenIjEEEE10hipError_tPvRmT3_T4_T5_T6_T7_T9_mT8_P12ihipStream_tbDpT10_ENKUlT_T0_E_clISt17integral_constantIbLb1EES19_EEDaS14_S15_EUlS14_E_NS1_11comp_targetILNS1_3genE0ELNS1_11target_archE4294967295ELNS1_3gpuE0ELNS1_3repE0EEENS1_30default_config_static_selectorELNS0_4arch9wavefront6targetE1EEEvT1_,@function
_ZN7rocprim17ROCPRIM_400000_NS6detail17trampoline_kernelINS0_14default_configENS1_25partition_config_selectorILNS1_17partition_subalgoE0EjNS0_10empty_typeEbEEZZNS1_14partition_implILS5_0ELb0ES3_jN6thrust23THRUST_200600_302600_NS6detail15normal_iteratorINSA_10device_ptrIjEEEEPS6_SG_NS0_5tupleIJNSA_16discard_iteratorINSA_11use_defaultEEESF_EEENSH_IJSG_SG_EEES6_PlJ7is_evenIjEEEE10hipError_tPvRmT3_T4_T5_T6_T7_T9_mT8_P12ihipStream_tbDpT10_ENKUlT_T0_E_clISt17integral_constantIbLb1EES19_EEDaS14_S15_EUlS14_E_NS1_11comp_targetILNS1_3genE0ELNS1_11target_archE4294967295ELNS1_3gpuE0ELNS1_3repE0EEENS1_30default_config_static_selectorELNS0_4arch9wavefront6targetE1EEEvT1_: ; @_ZN7rocprim17ROCPRIM_400000_NS6detail17trampoline_kernelINS0_14default_configENS1_25partition_config_selectorILNS1_17partition_subalgoE0EjNS0_10empty_typeEbEEZZNS1_14partition_implILS5_0ELb0ES3_jN6thrust23THRUST_200600_302600_NS6detail15normal_iteratorINSA_10device_ptrIjEEEEPS6_SG_NS0_5tupleIJNSA_16discard_iteratorINSA_11use_defaultEEESF_EEENSH_IJSG_SG_EEES6_PlJ7is_evenIjEEEE10hipError_tPvRmT3_T4_T5_T6_T7_T9_mT8_P12ihipStream_tbDpT10_ENKUlT_T0_E_clISt17integral_constantIbLb1EES19_EEDaS14_S15_EUlS14_E_NS1_11comp_targetILNS1_3genE0ELNS1_11target_archE4294967295ELNS1_3gpuE0ELNS1_3repE0EEENS1_30default_config_static_selectorELNS0_4arch9wavefront6targetE1EEEvT1_
; %bb.0:
	.section	.rodata,"a",@progbits
	.p2align	6, 0x0
	.amdhsa_kernel _ZN7rocprim17ROCPRIM_400000_NS6detail17trampoline_kernelINS0_14default_configENS1_25partition_config_selectorILNS1_17partition_subalgoE0EjNS0_10empty_typeEbEEZZNS1_14partition_implILS5_0ELb0ES3_jN6thrust23THRUST_200600_302600_NS6detail15normal_iteratorINSA_10device_ptrIjEEEEPS6_SG_NS0_5tupleIJNSA_16discard_iteratorINSA_11use_defaultEEESF_EEENSH_IJSG_SG_EEES6_PlJ7is_evenIjEEEE10hipError_tPvRmT3_T4_T5_T6_T7_T9_mT8_P12ihipStream_tbDpT10_ENKUlT_T0_E_clISt17integral_constantIbLb1EES19_EEDaS14_S15_EUlS14_E_NS1_11comp_targetILNS1_3genE0ELNS1_11target_archE4294967295ELNS1_3gpuE0ELNS1_3repE0EEENS1_30default_config_static_selectorELNS0_4arch9wavefront6targetE1EEEvT1_
		.amdhsa_group_segment_fixed_size 0
		.amdhsa_private_segment_fixed_size 0
		.amdhsa_kernarg_size 144
		.amdhsa_user_sgpr_count 6
		.amdhsa_user_sgpr_private_segment_buffer 1
		.amdhsa_user_sgpr_dispatch_ptr 0
		.amdhsa_user_sgpr_queue_ptr 0
		.amdhsa_user_sgpr_kernarg_segment_ptr 1
		.amdhsa_user_sgpr_dispatch_id 0
		.amdhsa_user_sgpr_flat_scratch_init 0
		.amdhsa_user_sgpr_kernarg_preload_length 0
		.amdhsa_user_sgpr_kernarg_preload_offset 0
		.amdhsa_user_sgpr_private_segment_size 0
		.amdhsa_uses_dynamic_stack 0
		.amdhsa_system_sgpr_private_segment_wavefront_offset 0
		.amdhsa_system_sgpr_workgroup_id_x 1
		.amdhsa_system_sgpr_workgroup_id_y 0
		.amdhsa_system_sgpr_workgroup_id_z 0
		.amdhsa_system_sgpr_workgroup_info 0
		.amdhsa_system_vgpr_workitem_id 0
		.amdhsa_next_free_vgpr 1
		.amdhsa_next_free_sgpr 0
		.amdhsa_accum_offset 4
		.amdhsa_reserve_vcc 0
		.amdhsa_reserve_flat_scratch 0
		.amdhsa_float_round_mode_32 0
		.amdhsa_float_round_mode_16_64 0
		.amdhsa_float_denorm_mode_32 3
		.amdhsa_float_denorm_mode_16_64 3
		.amdhsa_dx10_clamp 1
		.amdhsa_ieee_mode 1
		.amdhsa_fp16_overflow 0
		.amdhsa_tg_split 0
		.amdhsa_exception_fp_ieee_invalid_op 0
		.amdhsa_exception_fp_denorm_src 0
		.amdhsa_exception_fp_ieee_div_zero 0
		.amdhsa_exception_fp_ieee_overflow 0
		.amdhsa_exception_fp_ieee_underflow 0
		.amdhsa_exception_fp_ieee_inexact 0
		.amdhsa_exception_int_div_zero 0
	.end_amdhsa_kernel
	.section	.text._ZN7rocprim17ROCPRIM_400000_NS6detail17trampoline_kernelINS0_14default_configENS1_25partition_config_selectorILNS1_17partition_subalgoE0EjNS0_10empty_typeEbEEZZNS1_14partition_implILS5_0ELb0ES3_jN6thrust23THRUST_200600_302600_NS6detail15normal_iteratorINSA_10device_ptrIjEEEEPS6_SG_NS0_5tupleIJNSA_16discard_iteratorINSA_11use_defaultEEESF_EEENSH_IJSG_SG_EEES6_PlJ7is_evenIjEEEE10hipError_tPvRmT3_T4_T5_T6_T7_T9_mT8_P12ihipStream_tbDpT10_ENKUlT_T0_E_clISt17integral_constantIbLb1EES19_EEDaS14_S15_EUlS14_E_NS1_11comp_targetILNS1_3genE0ELNS1_11target_archE4294967295ELNS1_3gpuE0ELNS1_3repE0EEENS1_30default_config_static_selectorELNS0_4arch9wavefront6targetE1EEEvT1_,"axG",@progbits,_ZN7rocprim17ROCPRIM_400000_NS6detail17trampoline_kernelINS0_14default_configENS1_25partition_config_selectorILNS1_17partition_subalgoE0EjNS0_10empty_typeEbEEZZNS1_14partition_implILS5_0ELb0ES3_jN6thrust23THRUST_200600_302600_NS6detail15normal_iteratorINSA_10device_ptrIjEEEEPS6_SG_NS0_5tupleIJNSA_16discard_iteratorINSA_11use_defaultEEESF_EEENSH_IJSG_SG_EEES6_PlJ7is_evenIjEEEE10hipError_tPvRmT3_T4_T5_T6_T7_T9_mT8_P12ihipStream_tbDpT10_ENKUlT_T0_E_clISt17integral_constantIbLb1EES19_EEDaS14_S15_EUlS14_E_NS1_11comp_targetILNS1_3genE0ELNS1_11target_archE4294967295ELNS1_3gpuE0ELNS1_3repE0EEENS1_30default_config_static_selectorELNS0_4arch9wavefront6targetE1EEEvT1_,comdat
.Lfunc_end2467:
	.size	_ZN7rocprim17ROCPRIM_400000_NS6detail17trampoline_kernelINS0_14default_configENS1_25partition_config_selectorILNS1_17partition_subalgoE0EjNS0_10empty_typeEbEEZZNS1_14partition_implILS5_0ELb0ES3_jN6thrust23THRUST_200600_302600_NS6detail15normal_iteratorINSA_10device_ptrIjEEEEPS6_SG_NS0_5tupleIJNSA_16discard_iteratorINSA_11use_defaultEEESF_EEENSH_IJSG_SG_EEES6_PlJ7is_evenIjEEEE10hipError_tPvRmT3_T4_T5_T6_T7_T9_mT8_P12ihipStream_tbDpT10_ENKUlT_T0_E_clISt17integral_constantIbLb1EES19_EEDaS14_S15_EUlS14_E_NS1_11comp_targetILNS1_3genE0ELNS1_11target_archE4294967295ELNS1_3gpuE0ELNS1_3repE0EEENS1_30default_config_static_selectorELNS0_4arch9wavefront6targetE1EEEvT1_, .Lfunc_end2467-_ZN7rocprim17ROCPRIM_400000_NS6detail17trampoline_kernelINS0_14default_configENS1_25partition_config_selectorILNS1_17partition_subalgoE0EjNS0_10empty_typeEbEEZZNS1_14partition_implILS5_0ELb0ES3_jN6thrust23THRUST_200600_302600_NS6detail15normal_iteratorINSA_10device_ptrIjEEEEPS6_SG_NS0_5tupleIJNSA_16discard_iteratorINSA_11use_defaultEEESF_EEENSH_IJSG_SG_EEES6_PlJ7is_evenIjEEEE10hipError_tPvRmT3_T4_T5_T6_T7_T9_mT8_P12ihipStream_tbDpT10_ENKUlT_T0_E_clISt17integral_constantIbLb1EES19_EEDaS14_S15_EUlS14_E_NS1_11comp_targetILNS1_3genE0ELNS1_11target_archE4294967295ELNS1_3gpuE0ELNS1_3repE0EEENS1_30default_config_static_selectorELNS0_4arch9wavefront6targetE1EEEvT1_
                                        ; -- End function
	.section	.AMDGPU.csdata,"",@progbits
; Kernel info:
; codeLenInByte = 0
; NumSgprs: 4
; NumVgprs: 0
; NumAgprs: 0
; TotalNumVgprs: 0
; ScratchSize: 0
; MemoryBound: 0
; FloatMode: 240
; IeeeMode: 1
; LDSByteSize: 0 bytes/workgroup (compile time only)
; SGPRBlocks: 0
; VGPRBlocks: 0
; NumSGPRsForWavesPerEU: 4
; NumVGPRsForWavesPerEU: 1
; AccumOffset: 4
; Occupancy: 8
; WaveLimiterHint : 0
; COMPUTE_PGM_RSRC2:SCRATCH_EN: 0
; COMPUTE_PGM_RSRC2:USER_SGPR: 6
; COMPUTE_PGM_RSRC2:TRAP_HANDLER: 0
; COMPUTE_PGM_RSRC2:TGID_X_EN: 1
; COMPUTE_PGM_RSRC2:TGID_Y_EN: 0
; COMPUTE_PGM_RSRC2:TGID_Z_EN: 0
; COMPUTE_PGM_RSRC2:TIDIG_COMP_CNT: 0
; COMPUTE_PGM_RSRC3_GFX90A:ACCUM_OFFSET: 0
; COMPUTE_PGM_RSRC3_GFX90A:TG_SPLIT: 0
	.section	.text._ZN7rocprim17ROCPRIM_400000_NS6detail17trampoline_kernelINS0_14default_configENS1_25partition_config_selectorILNS1_17partition_subalgoE0EjNS0_10empty_typeEbEEZZNS1_14partition_implILS5_0ELb0ES3_jN6thrust23THRUST_200600_302600_NS6detail15normal_iteratorINSA_10device_ptrIjEEEEPS6_SG_NS0_5tupleIJNSA_16discard_iteratorINSA_11use_defaultEEESF_EEENSH_IJSG_SG_EEES6_PlJ7is_evenIjEEEE10hipError_tPvRmT3_T4_T5_T6_T7_T9_mT8_P12ihipStream_tbDpT10_ENKUlT_T0_E_clISt17integral_constantIbLb1EES19_EEDaS14_S15_EUlS14_E_NS1_11comp_targetILNS1_3genE5ELNS1_11target_archE942ELNS1_3gpuE9ELNS1_3repE0EEENS1_30default_config_static_selectorELNS0_4arch9wavefront6targetE1EEEvT1_,"axG",@progbits,_ZN7rocprim17ROCPRIM_400000_NS6detail17trampoline_kernelINS0_14default_configENS1_25partition_config_selectorILNS1_17partition_subalgoE0EjNS0_10empty_typeEbEEZZNS1_14partition_implILS5_0ELb0ES3_jN6thrust23THRUST_200600_302600_NS6detail15normal_iteratorINSA_10device_ptrIjEEEEPS6_SG_NS0_5tupleIJNSA_16discard_iteratorINSA_11use_defaultEEESF_EEENSH_IJSG_SG_EEES6_PlJ7is_evenIjEEEE10hipError_tPvRmT3_T4_T5_T6_T7_T9_mT8_P12ihipStream_tbDpT10_ENKUlT_T0_E_clISt17integral_constantIbLb1EES19_EEDaS14_S15_EUlS14_E_NS1_11comp_targetILNS1_3genE5ELNS1_11target_archE942ELNS1_3gpuE9ELNS1_3repE0EEENS1_30default_config_static_selectorELNS0_4arch9wavefront6targetE1EEEvT1_,comdat
	.protected	_ZN7rocprim17ROCPRIM_400000_NS6detail17trampoline_kernelINS0_14default_configENS1_25partition_config_selectorILNS1_17partition_subalgoE0EjNS0_10empty_typeEbEEZZNS1_14partition_implILS5_0ELb0ES3_jN6thrust23THRUST_200600_302600_NS6detail15normal_iteratorINSA_10device_ptrIjEEEEPS6_SG_NS0_5tupleIJNSA_16discard_iteratorINSA_11use_defaultEEESF_EEENSH_IJSG_SG_EEES6_PlJ7is_evenIjEEEE10hipError_tPvRmT3_T4_T5_T6_T7_T9_mT8_P12ihipStream_tbDpT10_ENKUlT_T0_E_clISt17integral_constantIbLb1EES19_EEDaS14_S15_EUlS14_E_NS1_11comp_targetILNS1_3genE5ELNS1_11target_archE942ELNS1_3gpuE9ELNS1_3repE0EEENS1_30default_config_static_selectorELNS0_4arch9wavefront6targetE1EEEvT1_ ; -- Begin function _ZN7rocprim17ROCPRIM_400000_NS6detail17trampoline_kernelINS0_14default_configENS1_25partition_config_selectorILNS1_17partition_subalgoE0EjNS0_10empty_typeEbEEZZNS1_14partition_implILS5_0ELb0ES3_jN6thrust23THRUST_200600_302600_NS6detail15normal_iteratorINSA_10device_ptrIjEEEEPS6_SG_NS0_5tupleIJNSA_16discard_iteratorINSA_11use_defaultEEESF_EEENSH_IJSG_SG_EEES6_PlJ7is_evenIjEEEE10hipError_tPvRmT3_T4_T5_T6_T7_T9_mT8_P12ihipStream_tbDpT10_ENKUlT_T0_E_clISt17integral_constantIbLb1EES19_EEDaS14_S15_EUlS14_E_NS1_11comp_targetILNS1_3genE5ELNS1_11target_archE942ELNS1_3gpuE9ELNS1_3repE0EEENS1_30default_config_static_selectorELNS0_4arch9wavefront6targetE1EEEvT1_
	.globl	_ZN7rocprim17ROCPRIM_400000_NS6detail17trampoline_kernelINS0_14default_configENS1_25partition_config_selectorILNS1_17partition_subalgoE0EjNS0_10empty_typeEbEEZZNS1_14partition_implILS5_0ELb0ES3_jN6thrust23THRUST_200600_302600_NS6detail15normal_iteratorINSA_10device_ptrIjEEEEPS6_SG_NS0_5tupleIJNSA_16discard_iteratorINSA_11use_defaultEEESF_EEENSH_IJSG_SG_EEES6_PlJ7is_evenIjEEEE10hipError_tPvRmT3_T4_T5_T6_T7_T9_mT8_P12ihipStream_tbDpT10_ENKUlT_T0_E_clISt17integral_constantIbLb1EES19_EEDaS14_S15_EUlS14_E_NS1_11comp_targetILNS1_3genE5ELNS1_11target_archE942ELNS1_3gpuE9ELNS1_3repE0EEENS1_30default_config_static_selectorELNS0_4arch9wavefront6targetE1EEEvT1_
	.p2align	8
	.type	_ZN7rocprim17ROCPRIM_400000_NS6detail17trampoline_kernelINS0_14default_configENS1_25partition_config_selectorILNS1_17partition_subalgoE0EjNS0_10empty_typeEbEEZZNS1_14partition_implILS5_0ELb0ES3_jN6thrust23THRUST_200600_302600_NS6detail15normal_iteratorINSA_10device_ptrIjEEEEPS6_SG_NS0_5tupleIJNSA_16discard_iteratorINSA_11use_defaultEEESF_EEENSH_IJSG_SG_EEES6_PlJ7is_evenIjEEEE10hipError_tPvRmT3_T4_T5_T6_T7_T9_mT8_P12ihipStream_tbDpT10_ENKUlT_T0_E_clISt17integral_constantIbLb1EES19_EEDaS14_S15_EUlS14_E_NS1_11comp_targetILNS1_3genE5ELNS1_11target_archE942ELNS1_3gpuE9ELNS1_3repE0EEENS1_30default_config_static_selectorELNS0_4arch9wavefront6targetE1EEEvT1_,@function
_ZN7rocprim17ROCPRIM_400000_NS6detail17trampoline_kernelINS0_14default_configENS1_25partition_config_selectorILNS1_17partition_subalgoE0EjNS0_10empty_typeEbEEZZNS1_14partition_implILS5_0ELb0ES3_jN6thrust23THRUST_200600_302600_NS6detail15normal_iteratorINSA_10device_ptrIjEEEEPS6_SG_NS0_5tupleIJNSA_16discard_iteratorINSA_11use_defaultEEESF_EEENSH_IJSG_SG_EEES6_PlJ7is_evenIjEEEE10hipError_tPvRmT3_T4_T5_T6_T7_T9_mT8_P12ihipStream_tbDpT10_ENKUlT_T0_E_clISt17integral_constantIbLb1EES19_EEDaS14_S15_EUlS14_E_NS1_11comp_targetILNS1_3genE5ELNS1_11target_archE942ELNS1_3gpuE9ELNS1_3repE0EEENS1_30default_config_static_selectorELNS0_4arch9wavefront6targetE1EEEvT1_: ; @_ZN7rocprim17ROCPRIM_400000_NS6detail17trampoline_kernelINS0_14default_configENS1_25partition_config_selectorILNS1_17partition_subalgoE0EjNS0_10empty_typeEbEEZZNS1_14partition_implILS5_0ELb0ES3_jN6thrust23THRUST_200600_302600_NS6detail15normal_iteratorINSA_10device_ptrIjEEEEPS6_SG_NS0_5tupleIJNSA_16discard_iteratorINSA_11use_defaultEEESF_EEENSH_IJSG_SG_EEES6_PlJ7is_evenIjEEEE10hipError_tPvRmT3_T4_T5_T6_T7_T9_mT8_P12ihipStream_tbDpT10_ENKUlT_T0_E_clISt17integral_constantIbLb1EES19_EEDaS14_S15_EUlS14_E_NS1_11comp_targetILNS1_3genE5ELNS1_11target_archE942ELNS1_3gpuE9ELNS1_3repE0EEENS1_30default_config_static_selectorELNS0_4arch9wavefront6targetE1EEEvT1_
; %bb.0:
	.section	.rodata,"a",@progbits
	.p2align	6, 0x0
	.amdhsa_kernel _ZN7rocprim17ROCPRIM_400000_NS6detail17trampoline_kernelINS0_14default_configENS1_25partition_config_selectorILNS1_17partition_subalgoE0EjNS0_10empty_typeEbEEZZNS1_14partition_implILS5_0ELb0ES3_jN6thrust23THRUST_200600_302600_NS6detail15normal_iteratorINSA_10device_ptrIjEEEEPS6_SG_NS0_5tupleIJNSA_16discard_iteratorINSA_11use_defaultEEESF_EEENSH_IJSG_SG_EEES6_PlJ7is_evenIjEEEE10hipError_tPvRmT3_T4_T5_T6_T7_T9_mT8_P12ihipStream_tbDpT10_ENKUlT_T0_E_clISt17integral_constantIbLb1EES19_EEDaS14_S15_EUlS14_E_NS1_11comp_targetILNS1_3genE5ELNS1_11target_archE942ELNS1_3gpuE9ELNS1_3repE0EEENS1_30default_config_static_selectorELNS0_4arch9wavefront6targetE1EEEvT1_
		.amdhsa_group_segment_fixed_size 0
		.amdhsa_private_segment_fixed_size 0
		.amdhsa_kernarg_size 144
		.amdhsa_user_sgpr_count 6
		.amdhsa_user_sgpr_private_segment_buffer 1
		.amdhsa_user_sgpr_dispatch_ptr 0
		.amdhsa_user_sgpr_queue_ptr 0
		.amdhsa_user_sgpr_kernarg_segment_ptr 1
		.amdhsa_user_sgpr_dispatch_id 0
		.amdhsa_user_sgpr_flat_scratch_init 0
		.amdhsa_user_sgpr_kernarg_preload_length 0
		.amdhsa_user_sgpr_kernarg_preload_offset 0
		.amdhsa_user_sgpr_private_segment_size 0
		.amdhsa_uses_dynamic_stack 0
		.amdhsa_system_sgpr_private_segment_wavefront_offset 0
		.amdhsa_system_sgpr_workgroup_id_x 1
		.amdhsa_system_sgpr_workgroup_id_y 0
		.amdhsa_system_sgpr_workgroup_id_z 0
		.amdhsa_system_sgpr_workgroup_info 0
		.amdhsa_system_vgpr_workitem_id 0
		.amdhsa_next_free_vgpr 1
		.amdhsa_next_free_sgpr 0
		.amdhsa_accum_offset 4
		.amdhsa_reserve_vcc 0
		.amdhsa_reserve_flat_scratch 0
		.amdhsa_float_round_mode_32 0
		.amdhsa_float_round_mode_16_64 0
		.amdhsa_float_denorm_mode_32 3
		.amdhsa_float_denorm_mode_16_64 3
		.amdhsa_dx10_clamp 1
		.amdhsa_ieee_mode 1
		.amdhsa_fp16_overflow 0
		.amdhsa_tg_split 0
		.amdhsa_exception_fp_ieee_invalid_op 0
		.amdhsa_exception_fp_denorm_src 0
		.amdhsa_exception_fp_ieee_div_zero 0
		.amdhsa_exception_fp_ieee_overflow 0
		.amdhsa_exception_fp_ieee_underflow 0
		.amdhsa_exception_fp_ieee_inexact 0
		.amdhsa_exception_int_div_zero 0
	.end_amdhsa_kernel
	.section	.text._ZN7rocprim17ROCPRIM_400000_NS6detail17trampoline_kernelINS0_14default_configENS1_25partition_config_selectorILNS1_17partition_subalgoE0EjNS0_10empty_typeEbEEZZNS1_14partition_implILS5_0ELb0ES3_jN6thrust23THRUST_200600_302600_NS6detail15normal_iteratorINSA_10device_ptrIjEEEEPS6_SG_NS0_5tupleIJNSA_16discard_iteratorINSA_11use_defaultEEESF_EEENSH_IJSG_SG_EEES6_PlJ7is_evenIjEEEE10hipError_tPvRmT3_T4_T5_T6_T7_T9_mT8_P12ihipStream_tbDpT10_ENKUlT_T0_E_clISt17integral_constantIbLb1EES19_EEDaS14_S15_EUlS14_E_NS1_11comp_targetILNS1_3genE5ELNS1_11target_archE942ELNS1_3gpuE9ELNS1_3repE0EEENS1_30default_config_static_selectorELNS0_4arch9wavefront6targetE1EEEvT1_,"axG",@progbits,_ZN7rocprim17ROCPRIM_400000_NS6detail17trampoline_kernelINS0_14default_configENS1_25partition_config_selectorILNS1_17partition_subalgoE0EjNS0_10empty_typeEbEEZZNS1_14partition_implILS5_0ELb0ES3_jN6thrust23THRUST_200600_302600_NS6detail15normal_iteratorINSA_10device_ptrIjEEEEPS6_SG_NS0_5tupleIJNSA_16discard_iteratorINSA_11use_defaultEEESF_EEENSH_IJSG_SG_EEES6_PlJ7is_evenIjEEEE10hipError_tPvRmT3_T4_T5_T6_T7_T9_mT8_P12ihipStream_tbDpT10_ENKUlT_T0_E_clISt17integral_constantIbLb1EES19_EEDaS14_S15_EUlS14_E_NS1_11comp_targetILNS1_3genE5ELNS1_11target_archE942ELNS1_3gpuE9ELNS1_3repE0EEENS1_30default_config_static_selectorELNS0_4arch9wavefront6targetE1EEEvT1_,comdat
.Lfunc_end2468:
	.size	_ZN7rocprim17ROCPRIM_400000_NS6detail17trampoline_kernelINS0_14default_configENS1_25partition_config_selectorILNS1_17partition_subalgoE0EjNS0_10empty_typeEbEEZZNS1_14partition_implILS5_0ELb0ES3_jN6thrust23THRUST_200600_302600_NS6detail15normal_iteratorINSA_10device_ptrIjEEEEPS6_SG_NS0_5tupleIJNSA_16discard_iteratorINSA_11use_defaultEEESF_EEENSH_IJSG_SG_EEES6_PlJ7is_evenIjEEEE10hipError_tPvRmT3_T4_T5_T6_T7_T9_mT8_P12ihipStream_tbDpT10_ENKUlT_T0_E_clISt17integral_constantIbLb1EES19_EEDaS14_S15_EUlS14_E_NS1_11comp_targetILNS1_3genE5ELNS1_11target_archE942ELNS1_3gpuE9ELNS1_3repE0EEENS1_30default_config_static_selectorELNS0_4arch9wavefront6targetE1EEEvT1_, .Lfunc_end2468-_ZN7rocprim17ROCPRIM_400000_NS6detail17trampoline_kernelINS0_14default_configENS1_25partition_config_selectorILNS1_17partition_subalgoE0EjNS0_10empty_typeEbEEZZNS1_14partition_implILS5_0ELb0ES3_jN6thrust23THRUST_200600_302600_NS6detail15normal_iteratorINSA_10device_ptrIjEEEEPS6_SG_NS0_5tupleIJNSA_16discard_iteratorINSA_11use_defaultEEESF_EEENSH_IJSG_SG_EEES6_PlJ7is_evenIjEEEE10hipError_tPvRmT3_T4_T5_T6_T7_T9_mT8_P12ihipStream_tbDpT10_ENKUlT_T0_E_clISt17integral_constantIbLb1EES19_EEDaS14_S15_EUlS14_E_NS1_11comp_targetILNS1_3genE5ELNS1_11target_archE942ELNS1_3gpuE9ELNS1_3repE0EEENS1_30default_config_static_selectorELNS0_4arch9wavefront6targetE1EEEvT1_
                                        ; -- End function
	.section	.AMDGPU.csdata,"",@progbits
; Kernel info:
; codeLenInByte = 0
; NumSgprs: 4
; NumVgprs: 0
; NumAgprs: 0
; TotalNumVgprs: 0
; ScratchSize: 0
; MemoryBound: 0
; FloatMode: 240
; IeeeMode: 1
; LDSByteSize: 0 bytes/workgroup (compile time only)
; SGPRBlocks: 0
; VGPRBlocks: 0
; NumSGPRsForWavesPerEU: 4
; NumVGPRsForWavesPerEU: 1
; AccumOffset: 4
; Occupancy: 8
; WaveLimiterHint : 0
; COMPUTE_PGM_RSRC2:SCRATCH_EN: 0
; COMPUTE_PGM_RSRC2:USER_SGPR: 6
; COMPUTE_PGM_RSRC2:TRAP_HANDLER: 0
; COMPUTE_PGM_RSRC2:TGID_X_EN: 1
; COMPUTE_PGM_RSRC2:TGID_Y_EN: 0
; COMPUTE_PGM_RSRC2:TGID_Z_EN: 0
; COMPUTE_PGM_RSRC2:TIDIG_COMP_CNT: 0
; COMPUTE_PGM_RSRC3_GFX90A:ACCUM_OFFSET: 0
; COMPUTE_PGM_RSRC3_GFX90A:TG_SPLIT: 0
	.section	.text._ZN7rocprim17ROCPRIM_400000_NS6detail17trampoline_kernelINS0_14default_configENS1_25partition_config_selectorILNS1_17partition_subalgoE0EjNS0_10empty_typeEbEEZZNS1_14partition_implILS5_0ELb0ES3_jN6thrust23THRUST_200600_302600_NS6detail15normal_iteratorINSA_10device_ptrIjEEEEPS6_SG_NS0_5tupleIJNSA_16discard_iteratorINSA_11use_defaultEEESF_EEENSH_IJSG_SG_EEES6_PlJ7is_evenIjEEEE10hipError_tPvRmT3_T4_T5_T6_T7_T9_mT8_P12ihipStream_tbDpT10_ENKUlT_T0_E_clISt17integral_constantIbLb1EES19_EEDaS14_S15_EUlS14_E_NS1_11comp_targetILNS1_3genE4ELNS1_11target_archE910ELNS1_3gpuE8ELNS1_3repE0EEENS1_30default_config_static_selectorELNS0_4arch9wavefront6targetE1EEEvT1_,"axG",@progbits,_ZN7rocprim17ROCPRIM_400000_NS6detail17trampoline_kernelINS0_14default_configENS1_25partition_config_selectorILNS1_17partition_subalgoE0EjNS0_10empty_typeEbEEZZNS1_14partition_implILS5_0ELb0ES3_jN6thrust23THRUST_200600_302600_NS6detail15normal_iteratorINSA_10device_ptrIjEEEEPS6_SG_NS0_5tupleIJNSA_16discard_iteratorINSA_11use_defaultEEESF_EEENSH_IJSG_SG_EEES6_PlJ7is_evenIjEEEE10hipError_tPvRmT3_T4_T5_T6_T7_T9_mT8_P12ihipStream_tbDpT10_ENKUlT_T0_E_clISt17integral_constantIbLb1EES19_EEDaS14_S15_EUlS14_E_NS1_11comp_targetILNS1_3genE4ELNS1_11target_archE910ELNS1_3gpuE8ELNS1_3repE0EEENS1_30default_config_static_selectorELNS0_4arch9wavefront6targetE1EEEvT1_,comdat
	.protected	_ZN7rocprim17ROCPRIM_400000_NS6detail17trampoline_kernelINS0_14default_configENS1_25partition_config_selectorILNS1_17partition_subalgoE0EjNS0_10empty_typeEbEEZZNS1_14partition_implILS5_0ELb0ES3_jN6thrust23THRUST_200600_302600_NS6detail15normal_iteratorINSA_10device_ptrIjEEEEPS6_SG_NS0_5tupleIJNSA_16discard_iteratorINSA_11use_defaultEEESF_EEENSH_IJSG_SG_EEES6_PlJ7is_evenIjEEEE10hipError_tPvRmT3_T4_T5_T6_T7_T9_mT8_P12ihipStream_tbDpT10_ENKUlT_T0_E_clISt17integral_constantIbLb1EES19_EEDaS14_S15_EUlS14_E_NS1_11comp_targetILNS1_3genE4ELNS1_11target_archE910ELNS1_3gpuE8ELNS1_3repE0EEENS1_30default_config_static_selectorELNS0_4arch9wavefront6targetE1EEEvT1_ ; -- Begin function _ZN7rocprim17ROCPRIM_400000_NS6detail17trampoline_kernelINS0_14default_configENS1_25partition_config_selectorILNS1_17partition_subalgoE0EjNS0_10empty_typeEbEEZZNS1_14partition_implILS5_0ELb0ES3_jN6thrust23THRUST_200600_302600_NS6detail15normal_iteratorINSA_10device_ptrIjEEEEPS6_SG_NS0_5tupleIJNSA_16discard_iteratorINSA_11use_defaultEEESF_EEENSH_IJSG_SG_EEES6_PlJ7is_evenIjEEEE10hipError_tPvRmT3_T4_T5_T6_T7_T9_mT8_P12ihipStream_tbDpT10_ENKUlT_T0_E_clISt17integral_constantIbLb1EES19_EEDaS14_S15_EUlS14_E_NS1_11comp_targetILNS1_3genE4ELNS1_11target_archE910ELNS1_3gpuE8ELNS1_3repE0EEENS1_30default_config_static_selectorELNS0_4arch9wavefront6targetE1EEEvT1_
	.globl	_ZN7rocprim17ROCPRIM_400000_NS6detail17trampoline_kernelINS0_14default_configENS1_25partition_config_selectorILNS1_17partition_subalgoE0EjNS0_10empty_typeEbEEZZNS1_14partition_implILS5_0ELb0ES3_jN6thrust23THRUST_200600_302600_NS6detail15normal_iteratorINSA_10device_ptrIjEEEEPS6_SG_NS0_5tupleIJNSA_16discard_iteratorINSA_11use_defaultEEESF_EEENSH_IJSG_SG_EEES6_PlJ7is_evenIjEEEE10hipError_tPvRmT3_T4_T5_T6_T7_T9_mT8_P12ihipStream_tbDpT10_ENKUlT_T0_E_clISt17integral_constantIbLb1EES19_EEDaS14_S15_EUlS14_E_NS1_11comp_targetILNS1_3genE4ELNS1_11target_archE910ELNS1_3gpuE8ELNS1_3repE0EEENS1_30default_config_static_selectorELNS0_4arch9wavefront6targetE1EEEvT1_
	.p2align	8
	.type	_ZN7rocprim17ROCPRIM_400000_NS6detail17trampoline_kernelINS0_14default_configENS1_25partition_config_selectorILNS1_17partition_subalgoE0EjNS0_10empty_typeEbEEZZNS1_14partition_implILS5_0ELb0ES3_jN6thrust23THRUST_200600_302600_NS6detail15normal_iteratorINSA_10device_ptrIjEEEEPS6_SG_NS0_5tupleIJNSA_16discard_iteratorINSA_11use_defaultEEESF_EEENSH_IJSG_SG_EEES6_PlJ7is_evenIjEEEE10hipError_tPvRmT3_T4_T5_T6_T7_T9_mT8_P12ihipStream_tbDpT10_ENKUlT_T0_E_clISt17integral_constantIbLb1EES19_EEDaS14_S15_EUlS14_E_NS1_11comp_targetILNS1_3genE4ELNS1_11target_archE910ELNS1_3gpuE8ELNS1_3repE0EEENS1_30default_config_static_selectorELNS0_4arch9wavefront6targetE1EEEvT1_,@function
_ZN7rocprim17ROCPRIM_400000_NS6detail17trampoline_kernelINS0_14default_configENS1_25partition_config_selectorILNS1_17partition_subalgoE0EjNS0_10empty_typeEbEEZZNS1_14partition_implILS5_0ELb0ES3_jN6thrust23THRUST_200600_302600_NS6detail15normal_iteratorINSA_10device_ptrIjEEEEPS6_SG_NS0_5tupleIJNSA_16discard_iteratorINSA_11use_defaultEEESF_EEENSH_IJSG_SG_EEES6_PlJ7is_evenIjEEEE10hipError_tPvRmT3_T4_T5_T6_T7_T9_mT8_P12ihipStream_tbDpT10_ENKUlT_T0_E_clISt17integral_constantIbLb1EES19_EEDaS14_S15_EUlS14_E_NS1_11comp_targetILNS1_3genE4ELNS1_11target_archE910ELNS1_3gpuE8ELNS1_3repE0EEENS1_30default_config_static_selectorELNS0_4arch9wavefront6targetE1EEEvT1_: ; @_ZN7rocprim17ROCPRIM_400000_NS6detail17trampoline_kernelINS0_14default_configENS1_25partition_config_selectorILNS1_17partition_subalgoE0EjNS0_10empty_typeEbEEZZNS1_14partition_implILS5_0ELb0ES3_jN6thrust23THRUST_200600_302600_NS6detail15normal_iteratorINSA_10device_ptrIjEEEEPS6_SG_NS0_5tupleIJNSA_16discard_iteratorINSA_11use_defaultEEESF_EEENSH_IJSG_SG_EEES6_PlJ7is_evenIjEEEE10hipError_tPvRmT3_T4_T5_T6_T7_T9_mT8_P12ihipStream_tbDpT10_ENKUlT_T0_E_clISt17integral_constantIbLb1EES19_EEDaS14_S15_EUlS14_E_NS1_11comp_targetILNS1_3genE4ELNS1_11target_archE910ELNS1_3gpuE8ELNS1_3repE0EEENS1_30default_config_static_selectorELNS0_4arch9wavefront6targetE1EEEvT1_
; %bb.0:
	s_load_dwordx2 s[28:29], s[4:5], 0x38
	s_load_dwordx4 s[20:23], s[4:5], 0x50
	s_load_dwordx2 s[2:3], s[4:5], 0x60
	s_load_dwordx2 s[30:31], s[4:5], 0x70
	v_cmp_eq_u32_e64 s[0:1], 0, v0
	s_and_saveexec_b64 s[6:7], s[0:1]
	s_cbranch_execz .LBB2469_4
; %bb.1:
	s_mov_b64 s[10:11], exec
	v_mbcnt_lo_u32_b32 v1, s10, 0
	v_mbcnt_hi_u32_b32 v1, s11, v1
	v_cmp_eq_u32_e32 vcc, 0, v1
                                        ; implicit-def: $vgpr2
	s_and_saveexec_b64 s[8:9], vcc
	s_cbranch_execz .LBB2469_3
; %bb.2:
	s_load_dwordx2 s[12:13], s[4:5], 0x80
	s_bcnt1_i32_b64 s10, s[10:11]
	v_mov_b32_e32 v2, 0
	v_mov_b32_e32 v3, s10
	s_waitcnt lgkmcnt(0)
	global_atomic_add v2, v2, v3, s[12:13] glc
.LBB2469_3:
	s_or_b64 exec, exec, s[8:9]
	s_waitcnt vmcnt(0)
	v_readfirstlane_b32 s8, v2
	v_add_u32_e32 v1, s8, v1
	v_mov_b32_e32 v2, 0
	ds_write_b32 v2, v1
.LBB2469_4:
	s_or_b64 exec, exec, s[6:7]
	v_mov_b32_e32 v3, 0
	s_load_dwordx4 s[24:27], s[4:5], 0x8
	s_load_dword s6, s[4:5], 0x78
	s_waitcnt lgkmcnt(0)
	s_barrier
	ds_read_b32 v1, v3
	s_waitcnt lgkmcnt(0)
	s_barrier
	global_load_dwordx2 v[12:13], v3, s[22:23]
	v_mov_b32_e32 v5, s3
	s_lshl_b64 s[4:5], s[26:27], 2
	s_movk_i32 s3, 0xa00
	s_add_u32 s7, s24, s4
	v_mul_lo_u32 v2, v1, s3
	s_mul_i32 s3, s6, 0xa00
	s_addc_u32 s8, s25, s5
	s_add_i32 s5, s3, s26
	s_sub_i32 s33, s2, s5
	s_add_i32 s4, s6, -1
	s_addk_i32 s33, 0xa00
	v_mov_b32_e32 v4, s2
	s_add_u32 s2, s26, s3
	v_readfirstlane_b32 s38, v1
	s_addc_u32 s3, s27, 0
	s_cmp_eq_u32 s38, s4
	s_cselect_b64 s[22:23], -1, 0
	s_cmp_lg_u32 s38, s4
	v_cmp_lt_u64_e32 vcc, s[2:3], v[4:5]
	s_cselect_b64 s[2:3], -1, 0
	v_lshlrev_b64 v[14:15], 2, v[2:3]
	s_or_b64 s[4:5], vcc, s[2:3]
	v_mov_b32_e32 v2, s8
	v_add_co_u32_e32 v1, vcc, s7, v14
	v_addc_co_u32_e32 v16, vcc, v2, v15, vcc
	s_mov_b64 s[2:3], -1
	s_and_b64 vcc, exec, s[4:5]
	v_lshlrev_b32_e32 v26, 2, v0
	s_cbranch_vccz .LBB2469_6
; %bb.5:
	v_add_co_u32_e32 v2, vcc, v1, v26
	v_addc_co_u32_e32 v3, vcc, 0, v16, vcc
	v_add_co_u32_e32 v4, vcc, 0x1000, v2
	v_addc_co_u32_e32 v5, vcc, 0, v3, vcc
	flat_load_dword v6, v[2:3]
	flat_load_dword v7, v[2:3] offset:1024
	flat_load_dword v8, v[2:3] offset:2048
	;; [unrolled: 1-line block ×3, first 2 shown]
	flat_load_dword v10, v[4:5]
	flat_load_dword v11, v[4:5] offset:1024
	flat_load_dword v17, v[4:5] offset:2048
	;; [unrolled: 1-line block ×3, first 2 shown]
	v_add_co_u32_e32 v2, vcc, 0x2000, v2
	v_addc_co_u32_e32 v3, vcc, 0, v3, vcc
	flat_load_dword v4, v[2:3]
	flat_load_dword v5, v[2:3] offset:1024
	s_mov_b64 s[2:3], 0
	s_waitcnt vmcnt(0) lgkmcnt(0)
	ds_write2st64_b32 v26, v6, v7 offset1:4
	ds_write2st64_b32 v26, v8, v9 offset0:8 offset1:12
	ds_write2st64_b32 v26, v10, v11 offset0:16 offset1:20
	;; [unrolled: 1-line block ×4, first 2 shown]
	s_waitcnt lgkmcnt(0)
	s_barrier
.LBB2469_6:
	s_andn2_b64 vcc, exec, s[2:3]
	v_cmp_gt_u32_e64 s[2:3], s33, v0
	s_cbranch_vccnz .LBB2469_28
; %bb.7:
                                        ; implicit-def: $vgpr2_vgpr3_vgpr4_vgpr5_vgpr6_vgpr7_vgpr8_vgpr9_vgpr10_vgpr11
	s_and_saveexec_b64 s[6:7], s[2:3]
	s_cbranch_execz .LBB2469_9
; %bb.8:
	v_add_co_u32_e32 v2, vcc, v1, v26
	v_addc_co_u32_e32 v3, vcc, 0, v16, vcc
	flat_load_dword v2, v[2:3]
.LBB2469_9:
	s_or_b64 exec, exec, s[6:7]
	v_or_b32_e32 v17, 0x100, v0
	v_cmp_gt_u32_e32 vcc, s33, v17
	s_and_saveexec_b64 s[2:3], vcc
	s_cbranch_execz .LBB2469_11
; %bb.10:
	v_add_co_u32_e32 v18, vcc, v1, v26
	v_addc_co_u32_e32 v19, vcc, 0, v16, vcc
	flat_load_dword v3, v[18:19] offset:1024
.LBB2469_11:
	s_or_b64 exec, exec, s[2:3]
	v_or_b32_e32 v17, 0x200, v0
	v_cmp_gt_u32_e32 vcc, s33, v17
	s_and_saveexec_b64 s[2:3], vcc
	s_cbranch_execz .LBB2469_13
; %bb.12:
	v_add_co_u32_e32 v18, vcc, v1, v26
	v_addc_co_u32_e32 v19, vcc, 0, v16, vcc
	flat_load_dword v4, v[18:19] offset:2048
.LBB2469_13:
	s_or_b64 exec, exec, s[2:3]
	v_or_b32_e32 v17, 0x300, v0
	v_cmp_gt_u32_e32 vcc, s33, v17
	s_and_saveexec_b64 s[2:3], vcc
	s_cbranch_execz .LBB2469_15
; %bb.14:
	v_add_co_u32_e32 v18, vcc, v1, v26
	v_addc_co_u32_e32 v19, vcc, 0, v16, vcc
	flat_load_dword v5, v[18:19] offset:3072
.LBB2469_15:
	s_or_b64 exec, exec, s[2:3]
	v_or_b32_e32 v17, 0x400, v0
	v_cmp_gt_u32_e32 vcc, s33, v17
	s_and_saveexec_b64 s[2:3], vcc
	s_cbranch_execz .LBB2469_17
; %bb.16:
	v_lshlrev_b32_e32 v6, 2, v17
	v_add_co_u32_e32 v18, vcc, v1, v6
	v_addc_co_u32_e32 v19, vcc, 0, v16, vcc
	flat_load_dword v6, v[18:19]
.LBB2469_17:
	s_or_b64 exec, exec, s[2:3]
	v_or_b32_e32 v17, 0x500, v0
	v_cmp_gt_u32_e32 vcc, s33, v17
	s_and_saveexec_b64 s[2:3], vcc
	s_cbranch_execz .LBB2469_19
; %bb.18:
	v_lshlrev_b32_e32 v7, 2, v17
	v_add_co_u32_e32 v18, vcc, v1, v7
	v_addc_co_u32_e32 v19, vcc, 0, v16, vcc
	flat_load_dword v7, v[18:19]
.LBB2469_19:
	;; [unrolled: 11-line block ×6, first 2 shown]
	s_or_b64 exec, exec, s[2:3]
	s_waitcnt vmcnt(0) lgkmcnt(0)
	ds_write2st64_b32 v26, v2, v3 offset1:4
	ds_write2st64_b32 v26, v4, v5 offset0:8 offset1:12
	ds_write2st64_b32 v26, v6, v7 offset0:16 offset1:20
	;; [unrolled: 1-line block ×4, first 2 shown]
	s_waitcnt lgkmcnt(0)
	s_barrier
.LBB2469_28:
	v_mul_u32_u24_e32 v27, 10, v0
	v_lshlrev_b32_e32 v33, 2, v27
	ds_read2_b64 v[6:9], v33 offset1:1
	ds_read2_b64 v[2:5], v33 offset0:2 offset1:3
	ds_read_b64 v[10:11], v33 offset:32
	v_cndmask_b32_e64 v1, 0, 1, s[4:5]
	v_cmp_ne_u32_e64 s[2:3], 1, v1
	s_andn2_b64 vcc, exec, s[4:5]
	s_waitcnt lgkmcnt(2)
	v_xor_b32_e32 v25, -1, v6
	v_xor_b32_e32 v24, -1, v7
	;; [unrolled: 1-line block ×4, first 2 shown]
	s_waitcnt lgkmcnt(1)
	v_xor_b32_e32 v21, -1, v2
	v_xor_b32_e32 v20, -1, v3
	;; [unrolled: 1-line block ×4, first 2 shown]
	s_waitcnt lgkmcnt(0)
	v_xor_b32_e32 v17, -1, v10
	v_xor_b32_e32 v16, -1, v11
	s_barrier
	s_cbranch_vccnz .LBB2469_30
; %bb.29:
	v_mov_b32_e32 v1, 1
	v_and_b32_e32 v29, 1, v25
	v_and_b32_sdwa v30, v24, v1 dst_sel:BYTE_1 dst_unused:UNUSED_PAD src0_sel:DWORD src1_sel:DWORD
	v_and_b32_e32 v31, 1, v23
	v_and_b32_sdwa v32, v22, v1 dst_sel:BYTE_1 dst_unused:UNUSED_PAD src0_sel:DWORD src1_sel:DWORD
	;; [unrolled: 2-line block ×4, first 2 shown]
	v_or_b32_e32 v29, v29, v30
	v_or_b32_sdwa v30, v31, v32 dst_sel:WORD_1 dst_unused:UNUSED_PAD src0_sel:DWORD src1_sel:DWORD
	v_or_b32_sdwa v30, v29, v30 dst_sel:DWORD dst_unused:UNUSED_PAD src0_sel:WORD_0 src1_sel:DWORD
	v_or_b32_e32 v29, v34, v35
	v_or_b32_sdwa v31, v36, v37 dst_sel:WORD_1 dst_unused:UNUSED_PAD src0_sel:DWORD src1_sel:DWORD
	v_and_b32_e32 v28, 1, v17
	v_and_b32_e32 v1, 1, v16
	v_or_b32_sdwa v29, v29, v31 dst_sel:DWORD dst_unused:UNUSED_PAD src0_sel:WORD_0 src1_sel:DWORD
	s_cbranch_execz .LBB2469_31
	s_branch .LBB2469_32
.LBB2469_30:
                                        ; implicit-def: $vgpr1
                                        ; implicit-def: $vgpr28
                                        ; implicit-def: $vgpr29
                                        ; implicit-def: $vgpr30
.LBB2469_31:
	v_or_b32_e32 v36, 1, v27
	v_cmp_gt_u32_e32 vcc, s33, v27
	v_add_u32_e32 v1, 2, v27
	v_cndmask_b32_e64 v37, 0, 1, vcc
	v_cmp_gt_u32_e32 vcc, s33, v36
	v_add_u32_e32 v35, 3, v27
	v_cndmask_b32_e64 v36, 0, 1, vcc
	;; [unrolled: 3-line block ×3, first 2 shown]
	v_cmp_gt_u32_e32 vcc, s33, v35
	v_add_u32_e32 v34, 5, v27
	v_and_b32_e32 v23, v1, v23
	v_cndmask_b32_e64 v1, 0, 1, vcc
	v_cmp_gt_u32_e32 vcc, s33, v28
	v_add_u32_e32 v29, 6, v27
	v_and_b32_sdwa v22, v1, v22 dst_sel:BYTE_1 dst_unused:UNUSED_PAD src0_sel:DWORD src1_sel:DWORD
	v_cndmask_b32_e64 v1, 0, 1, vcc
	v_cmp_gt_u32_e32 vcc, s33, v34
	v_add_u32_e32 v32, 7, v27
	v_and_b32_e32 v21, v1, v21
	v_cndmask_b32_e64 v1, 0, 1, vcc
	v_cmp_gt_u32_e32 vcc, s33, v29
	v_add_u32_e32 v30, 8, v27
	v_and_b32_sdwa v20, v1, v20 dst_sel:BYTE_1 dst_unused:UNUSED_PAD src0_sel:DWORD src1_sel:DWORD
	v_cndmask_b32_e64 v1, 0, 1, vcc
	v_cmp_gt_u32_e32 vcc, s33, v32
	v_add_u32_e32 v31, 9, v27
	v_and_b32_e32 v19, v1, v19
	v_cndmask_b32_e64 v1, 0, 1, vcc
	v_cmp_gt_u32_e32 vcc, s33, v30
	v_and_b32_sdwa v18, v1, v18 dst_sel:BYTE_1 dst_unused:UNUSED_PAD src0_sel:DWORD src1_sel:DWORD
	v_cndmask_b32_e64 v1, 0, 1, vcc
	v_cmp_gt_u32_e32 vcc, s33, v31
	v_and_b32_e32 v25, v37, v25
	v_and_b32_sdwa v24, v36, v24 dst_sel:BYTE_1 dst_unused:UNUSED_PAD src0_sel:DWORD src1_sel:DWORD
	v_and_b32_e32 v28, v1, v17
	v_cndmask_b32_e64 v1, 0, 1, vcc
	v_and_b32_e32 v1, v1, v16
	v_or_b32_e32 v16, v25, v24
	v_or_b32_sdwa v17, v23, v22 dst_sel:WORD_1 dst_unused:UNUSED_PAD src0_sel:DWORD src1_sel:DWORD
	v_or_b32_sdwa v30, v16, v17 dst_sel:DWORD dst_unused:UNUSED_PAD src0_sel:WORD_0 src1_sel:DWORD
	v_or_b32_e32 v16, v21, v20
	v_or_b32_sdwa v17, v19, v18 dst_sel:WORD_1 dst_unused:UNUSED_PAD src0_sel:DWORD src1_sel:DWORD
	v_or_b32_sdwa v29, v16, v17 dst_sel:DWORD dst_unused:UNUSED_PAD src0_sel:WORD_0 src1_sel:DWORD
.LBB2469_32:
	v_bfe_u32 v34, v30, 16, 8
	v_lshrrev_b32_e32 v32, 24, v30
	v_add_u32_sdwa v17, v30, v30 dst_sel:DWORD dst_unused:UNUSED_PAD src0_sel:BYTE_1 src1_sel:BYTE_0
	v_and_b32_e32 v35, 0xff, v29
	v_bfe_u32 v36, v29, 8, 8
	v_add3_u32 v17, v17, v34, v32
	v_bfe_u32 v37, v29, 16, 8
	v_lshrrev_b32_e32 v31, 24, v29
	v_add3_u32 v17, v17, v35, v36
	v_and_b32_e32 v38, 0xff, v28
	v_and_b32_e32 v16, 0xff, v1
	v_add3_u32 v17, v17, v37, v31
	v_add3_u32 v41, v17, v38, v16
	v_mbcnt_lo_u32_b32 v16, -1, 0
	v_mbcnt_hi_u32_b32 v39, -1, v16
	v_and_b32_e32 v16, 15, v39
	v_cmp_eq_u32_e64 s[16:17], 0, v16
	v_cmp_lt_u32_e64 s[14:15], 1, v16
	v_cmp_lt_u32_e64 s[12:13], 3, v16
	;; [unrolled: 1-line block ×3, first 2 shown]
	v_and_b32_e32 v16, 16, v39
	v_cmp_eq_u32_e64 s[8:9], 0, v16
	v_or_b32_e32 v16, 63, v0
	s_cmp_lg_u32 s38, 0
	v_cmp_lt_u32_e64 s[4:5], 31, v39
	v_lshrrev_b32_e32 v40, 6, v0
	v_cmp_eq_u32_e64 s[6:7], v16, v0
	s_cbranch_scc0 .LBB2469_63
; %bb.33:
	v_mov_b32_dpp v16, v41 row_shr:1 row_mask:0xf bank_mask:0xf
	v_cndmask_b32_e64 v16, v16, 0, s[16:17]
	v_add_u32_e32 v16, v16, v41
	s_nop 1
	v_mov_b32_dpp v17, v16 row_shr:2 row_mask:0xf bank_mask:0xf
	v_cndmask_b32_e64 v17, 0, v17, s[14:15]
	v_add_u32_e32 v16, v16, v17
	s_nop 1
	;; [unrolled: 4-line block ×4, first 2 shown]
	v_mov_b32_dpp v17, v16 row_bcast:15 row_mask:0xf bank_mask:0xf
	v_cndmask_b32_e64 v17, v17, 0, s[8:9]
	v_add_u32_e32 v16, v16, v17
	s_nop 1
	v_mov_b32_dpp v17, v16 row_bcast:31 row_mask:0xf bank_mask:0xf
	v_cndmask_b32_e64 v17, 0, v17, s[4:5]
	v_add_u32_e32 v16, v16, v17
	s_and_saveexec_b64 s[18:19], s[6:7]
	s_cbranch_execz .LBB2469_35
; %bb.34:
	v_lshlrev_b32_e32 v17, 2, v40
	ds_write_b32 v17, v16
.LBB2469_35:
	s_or_b64 exec, exec, s[18:19]
	v_cmp_gt_u32_e32 vcc, 4, v0
	s_waitcnt lgkmcnt(0)
	s_barrier
	s_and_saveexec_b64 s[18:19], vcc
	s_cbranch_execz .LBB2469_37
; %bb.36:
	ds_read_b32 v17, v26
	v_and_b32_e32 v18, 3, v39
	v_cmp_ne_u32_e32 vcc, 0, v18
	s_waitcnt lgkmcnt(0)
	v_mov_b32_dpp v19, v17 row_shr:1 row_mask:0xf bank_mask:0xf
	v_cndmask_b32_e32 v19, 0, v19, vcc
	v_add_u32_e32 v17, v19, v17
	v_cmp_lt_u32_e32 vcc, 1, v18
	s_nop 0
	v_mov_b32_dpp v19, v17 row_shr:2 row_mask:0xf bank_mask:0xf
	v_cndmask_b32_e32 v18, 0, v19, vcc
	v_add_u32_e32 v17, v17, v18
	ds_write_b32 v26, v17
.LBB2469_37:
	s_or_b64 exec, exec, s[18:19]
	v_cmp_gt_u32_e32 vcc, 64, v0
	v_cmp_lt_u32_e64 s[18:19], 63, v0
	s_waitcnt lgkmcnt(0)
	s_barrier
	s_waitcnt lgkmcnt(0)
                                        ; implicit-def: $vgpr42
	s_and_saveexec_b64 s[24:25], s[18:19]
	s_cbranch_execz .LBB2469_39
; %bb.38:
	v_lshl_add_u32 v17, v40, 2, -4
	ds_read_b32 v42, v17
	s_waitcnt lgkmcnt(0)
	v_add_u32_e32 v16, v42, v16
.LBB2469_39:
	s_or_b64 exec, exec, s[24:25]
	v_add_u32_e32 v17, -1, v39
	v_and_b32_e32 v18, 64, v39
	v_cmp_lt_i32_e64 s[18:19], v17, v18
	v_cndmask_b32_e64 v17, v17, v39, s[18:19]
	v_lshlrev_b32_e32 v17, 2, v17
	ds_bpermute_b32 v43, v17, v16
	v_cmp_eq_u32_e64 s[18:19], 0, v39
	s_and_saveexec_b64 s[24:25], vcc
	s_cbranch_execz .LBB2469_62
; %bb.40:
	v_mov_b32_e32 v25, 0
	ds_read_b32 v16, v25 offset:12
	s_and_saveexec_b64 s[34:35], s[18:19]
	s_cbranch_execz .LBB2469_42
; %bb.41:
	s_add_i32 s36, s38, 64
	s_mov_b32 s37, 0
	s_lshl_b64 s[36:37], s[36:37], 3
	s_add_u32 s36, s30, s36
	v_mov_b32_e32 v17, 1
	s_addc_u32 s37, s31, s37
	s_waitcnt lgkmcnt(0)
	global_store_dwordx2 v25, v[16:17], s[36:37]
.LBB2469_42:
	s_or_b64 exec, exec, s[34:35]
	v_xad_u32 v18, v39, -1, s38
	v_add_u32_e32 v24, 64, v18
	v_lshlrev_b64 v[20:21], 3, v[24:25]
	v_mov_b32_e32 v17, s31
	v_add_co_u32_e32 v20, vcc, s30, v20
	v_addc_co_u32_e32 v21, vcc, v17, v21, vcc
	global_load_dwordx2 v[22:23], v[20:21], off glc
	s_waitcnt vmcnt(0)
	v_cmp_eq_u16_sdwa s[36:37], v23, v25 src0_sel:BYTE_0 src1_sel:DWORD
	s_and_saveexec_b64 s[34:35], s[36:37]
	s_cbranch_execz .LBB2469_48
; %bb.43:
	s_mov_b32 s39, 1
	s_mov_b64 s[36:37], 0
	v_mov_b32_e32 v17, 0
.LBB2469_44:                            ; =>This Loop Header: Depth=1
                                        ;     Child Loop BB2469_45 Depth 2
	s_max_u32 s40, s39, 1
.LBB2469_45:                            ;   Parent Loop BB2469_44 Depth=1
                                        ; =>  This Inner Loop Header: Depth=2
	s_add_i32 s40, s40, -1
	s_cmp_eq_u32 s40, 0
	s_sleep 1
	s_cbranch_scc0 .LBB2469_45
; %bb.46:                               ;   in Loop: Header=BB2469_44 Depth=1
	global_load_dwordx2 v[22:23], v[20:21], off glc
	s_cmp_lt_u32 s39, 32
	s_cselect_b64 s[40:41], -1, 0
	s_cmp_lg_u64 s[40:41], 0
	s_addc_u32 s39, s39, 0
	s_waitcnt vmcnt(0)
	v_cmp_ne_u16_sdwa s[40:41], v23, v17 src0_sel:BYTE_0 src1_sel:DWORD
	s_or_b64 s[36:37], s[40:41], s[36:37]
	s_andn2_b64 exec, exec, s[36:37]
	s_cbranch_execnz .LBB2469_44
; %bb.47:
	s_or_b64 exec, exec, s[36:37]
.LBB2469_48:
	s_or_b64 exec, exec, s[34:35]
	v_and_b32_e32 v45, 63, v39
	v_mov_b32_e32 v44, 2
	v_cmp_ne_u32_e32 vcc, 63, v45
	v_cmp_eq_u16_sdwa s[34:35], v23, v44 src0_sel:BYTE_0 src1_sel:DWORD
	v_lshlrev_b64 v[20:21], v39, -1
	v_addc_co_u32_e32 v24, vcc, 0, v39, vcc
	v_and_b32_e32 v17, s35, v21
	v_lshlrev_b32_e32 v46, 2, v24
	v_or_b32_e32 v17, 0x80000000, v17
	ds_bpermute_b32 v24, v46, v22
	v_and_b32_e32 v19, s34, v20
	v_ffbl_b32_e32 v17, v17
	v_add_u32_e32 v17, 32, v17
	v_ffbl_b32_e32 v19, v19
	v_min_u32_e32 v17, v19, v17
	v_cmp_lt_u32_e32 vcc, v45, v17
	s_waitcnt lgkmcnt(0)
	v_cndmask_b32_e32 v19, 0, v24, vcc
	v_cmp_gt_u32_e32 vcc, 62, v45
	v_add_u32_e32 v19, v19, v22
	v_cndmask_b32_e64 v22, 0, 1, vcc
	v_lshlrev_b32_e32 v22, 1, v22
	v_add_lshl_u32 v47, v22, v39, 2
	ds_bpermute_b32 v22, v47, v19
	v_add_u32_e32 v48, 2, v45
	v_cmp_le_u32_e32 vcc, v48, v17
	v_add_u32_e32 v50, 4, v45
	v_add_u32_e32 v52, 8, v45
	s_waitcnt lgkmcnt(0)
	v_cndmask_b32_e32 v22, 0, v22, vcc
	v_cmp_gt_u32_e32 vcc, 60, v45
	v_add_u32_e32 v19, v19, v22
	v_cndmask_b32_e64 v22, 0, 1, vcc
	v_lshlrev_b32_e32 v22, 2, v22
	v_add_lshl_u32 v49, v22, v39, 2
	ds_bpermute_b32 v22, v49, v19
	v_cmp_le_u32_e32 vcc, v50, v17
	v_add_u32_e32 v54, 16, v45
	v_add_u32_e32 v56, 32, v45
	s_waitcnt lgkmcnt(0)
	v_cndmask_b32_e32 v22, 0, v22, vcc
	v_cmp_gt_u32_e32 vcc, 56, v45
	v_add_u32_e32 v19, v19, v22
	v_cndmask_b32_e64 v22, 0, 1, vcc
	v_lshlrev_b32_e32 v22, 3, v22
	v_add_lshl_u32 v51, v22, v39, 2
	ds_bpermute_b32 v22, v51, v19
	v_cmp_le_u32_e32 vcc, v52, v17
	s_waitcnt lgkmcnt(0)
	v_cndmask_b32_e32 v22, 0, v22, vcc
	v_cmp_gt_u32_e32 vcc, 48, v45
	v_add_u32_e32 v19, v19, v22
	v_cndmask_b32_e64 v22, 0, 1, vcc
	v_lshlrev_b32_e32 v22, 4, v22
	v_add_lshl_u32 v53, v22, v39, 2
	ds_bpermute_b32 v22, v53, v19
	v_cmp_le_u32_e32 vcc, v54, v17
	;; [unrolled: 9-line block ×3, first 2 shown]
	s_waitcnt lgkmcnt(0)
	v_cndmask_b32_e32 v17, 0, v22, vcc
	v_add_u32_e32 v22, v19, v17
	v_mov_b32_e32 v19, 0
	s_branch .LBB2469_50
.LBB2469_49:                            ;   in Loop: Header=BB2469_50 Depth=1
	s_or_b64 exec, exec, s[34:35]
	v_cmp_eq_u16_sdwa s[34:35], v23, v44 src0_sel:BYTE_0 src1_sel:DWORD
	v_and_b32_e32 v24, s35, v21
	v_or_b32_e32 v24, 0x80000000, v24
	ds_bpermute_b32 v57, v46, v22
	v_and_b32_e32 v25, s34, v20
	v_ffbl_b32_e32 v24, v24
	v_add_u32_e32 v24, 32, v24
	v_ffbl_b32_e32 v25, v25
	v_min_u32_e32 v24, v25, v24
	v_cmp_lt_u32_e32 vcc, v45, v24
	s_waitcnt lgkmcnt(0)
	v_cndmask_b32_e32 v25, 0, v57, vcc
	v_add_u32_e32 v22, v25, v22
	ds_bpermute_b32 v25, v47, v22
	v_cmp_le_u32_e32 vcc, v48, v24
	v_subrev_u32_e32 v18, 64, v18
	s_waitcnt lgkmcnt(0)
	v_cndmask_b32_e32 v25, 0, v25, vcc
	v_add_u32_e32 v22, v22, v25
	ds_bpermute_b32 v25, v49, v22
	v_cmp_le_u32_e32 vcc, v50, v24
	s_waitcnt lgkmcnt(0)
	v_cndmask_b32_e32 v25, 0, v25, vcc
	v_add_u32_e32 v22, v22, v25
	ds_bpermute_b32 v25, v51, v22
	v_cmp_le_u32_e32 vcc, v52, v24
	;; [unrolled: 5-line block ×4, first 2 shown]
	s_waitcnt lgkmcnt(0)
	v_cndmask_b32_e32 v24, 0, v25, vcc
	v_add3_u32 v22, v24, v17, v22
.LBB2469_50:                            ; =>This Loop Header: Depth=1
                                        ;     Child Loop BB2469_53 Depth 2
                                        ;       Child Loop BB2469_54 Depth 3
	v_cmp_ne_u16_sdwa s[34:35], v23, v44 src0_sel:BYTE_0 src1_sel:DWORD
	v_cndmask_b32_e64 v17, 0, 1, s[34:35]
	;;#ASMSTART
	;;#ASMEND
	v_cmp_ne_u32_e32 vcc, 0, v17
	s_cmp_lg_u64 vcc, exec
	v_mov_b32_e32 v17, v22
	s_cbranch_scc1 .LBB2469_57
; %bb.51:                               ;   in Loop: Header=BB2469_50 Depth=1
	v_lshlrev_b64 v[22:23], 3, v[18:19]
	v_mov_b32_e32 v25, s31
	v_add_co_u32_e32 v24, vcc, s30, v22
	v_addc_co_u32_e32 v25, vcc, v25, v23, vcc
	global_load_dwordx2 v[22:23], v[24:25], off glc
	s_waitcnt vmcnt(0)
	v_cmp_eq_u16_sdwa s[36:37], v23, v19 src0_sel:BYTE_0 src1_sel:DWORD
	s_and_saveexec_b64 s[34:35], s[36:37]
	s_cbranch_execz .LBB2469_49
; %bb.52:                               ;   in Loop: Header=BB2469_50 Depth=1
	s_mov_b32 s39, 1
	s_mov_b64 s[36:37], 0
.LBB2469_53:                            ;   Parent Loop BB2469_50 Depth=1
                                        ; =>  This Loop Header: Depth=2
                                        ;       Child Loop BB2469_54 Depth 3
	s_max_u32 s40, s39, 1
.LBB2469_54:                            ;   Parent Loop BB2469_50 Depth=1
                                        ;     Parent Loop BB2469_53 Depth=2
                                        ; =>    This Inner Loop Header: Depth=3
	s_add_i32 s40, s40, -1
	s_cmp_eq_u32 s40, 0
	s_sleep 1
	s_cbranch_scc0 .LBB2469_54
; %bb.55:                               ;   in Loop: Header=BB2469_53 Depth=2
	global_load_dwordx2 v[22:23], v[24:25], off glc
	s_cmp_lt_u32 s39, 32
	s_cselect_b64 s[40:41], -1, 0
	s_cmp_lg_u64 s[40:41], 0
	s_addc_u32 s39, s39, 0
	s_waitcnt vmcnt(0)
	v_cmp_ne_u16_sdwa s[40:41], v23, v19 src0_sel:BYTE_0 src1_sel:DWORD
	s_or_b64 s[36:37], s[40:41], s[36:37]
	s_andn2_b64 exec, exec, s[36:37]
	s_cbranch_execnz .LBB2469_53
; %bb.56:                               ;   in Loop: Header=BB2469_50 Depth=1
	s_or_b64 exec, exec, s[36:37]
	s_branch .LBB2469_49
.LBB2469_57:                            ;   in Loop: Header=BB2469_50 Depth=1
                                        ; implicit-def: $vgpr22
                                        ; implicit-def: $vgpr23
	s_cbranch_execz .LBB2469_50
; %bb.58:
	s_and_saveexec_b64 s[34:35], s[18:19]
	s_cbranch_execz .LBB2469_60
; %bb.59:
	s_add_i32 s36, s38, 64
	s_mov_b32 s37, 0
	s_lshl_b64 s[36:37], s[36:37], 3
	s_add_u32 s36, s30, s36
	v_add_u32_e32 v18, v17, v16
	v_mov_b32_e32 v19, 2
	s_addc_u32 s37, s31, s37
	v_mov_b32_e32 v20, 0
	global_store_dwordx2 v20, v[18:19], s[36:37]
	ds_write_b64 v20, v[16:17] offset:10240
.LBB2469_60:
	s_or_b64 exec, exec, s[34:35]
	s_and_b64 exec, exec, s[0:1]
	s_cbranch_execz .LBB2469_62
; %bb.61:
	v_mov_b32_e32 v16, 0
	ds_write_b32 v16, v17 offset:12
.LBB2469_62:
	s_or_b64 exec, exec, s[24:25]
	v_mov_b32_e32 v16, 0
	s_waitcnt lgkmcnt(0)
	s_barrier
	ds_read_b32 v17, v16 offset:12
	v_cndmask_b32_e64 v18, v43, v42, s[18:19]
	v_cndmask_b32_e64 v18, v18, 0, s[0:1]
	s_waitcnt lgkmcnt(0)
	s_barrier
	v_add_u32_e32 v43, v17, v18
	v_add_u32_sdwa v42, v43, v30 dst_sel:DWORD dst_unused:UNUSED_PAD src0_sel:DWORD src1_sel:BYTE_0
	v_add_u32_sdwa v25, v42, v30 dst_sel:DWORD dst_unused:UNUSED_PAD src0_sel:DWORD src1_sel:BYTE_1
	v_add_u32_e32 v24, v25, v34
	v_add_u32_e32 v23, v24, v32
	;; [unrolled: 1-line block ×3, first 2 shown]
	ds_read_b64 v[16:17], v16 offset:10240
	v_add_u32_e32 v21, v22, v36
	v_add_u32_e32 v20, v21, v37
	;; [unrolled: 1-line block ×4, first 2 shown]
	s_branch .LBB2469_73
.LBB2469_63:
                                        ; implicit-def: $vgpr17
                                        ; implicit-def: $vgpr18
                                        ; implicit-def: $vgpr19
                                        ; implicit-def: $vgpr20
                                        ; implicit-def: $vgpr21
                                        ; implicit-def: $vgpr22
                                        ; implicit-def: $vgpr23
                                        ; implicit-def: $vgpr24
                                        ; implicit-def: $vgpr25
                                        ; implicit-def: $vgpr42
                                        ; implicit-def: $vgpr43
	s_cbranch_execz .LBB2469_73
; %bb.64:
	s_waitcnt lgkmcnt(0)
	v_mov_b32_dpp v16, v41 row_shr:1 row_mask:0xf bank_mask:0xf
	v_cndmask_b32_e64 v16, v16, 0, s[16:17]
	v_add_u32_e32 v16, v16, v41
	s_nop 1
	v_mov_b32_dpp v17, v16 row_shr:2 row_mask:0xf bank_mask:0xf
	v_cndmask_b32_e64 v17, 0, v17, s[14:15]
	v_add_u32_e32 v16, v16, v17
	s_nop 1
	;; [unrolled: 4-line block ×4, first 2 shown]
	v_mov_b32_dpp v17, v16 row_bcast:15 row_mask:0xf bank_mask:0xf
	v_cndmask_b32_e64 v17, v17, 0, s[8:9]
	v_add_u32_e32 v16, v16, v17
	s_nop 1
	v_mov_b32_dpp v17, v16 row_bcast:31 row_mask:0xf bank_mask:0xf
	v_cndmask_b32_e64 v17, 0, v17, s[4:5]
	v_add_u32_e32 v16, v16, v17
	s_and_saveexec_b64 s[4:5], s[6:7]
	s_cbranch_execz .LBB2469_66
; %bb.65:
	v_lshlrev_b32_e32 v17, 2, v40
	ds_write_b32 v17, v16
.LBB2469_66:
	s_or_b64 exec, exec, s[4:5]
	v_cmp_gt_u32_e32 vcc, 4, v0
	s_waitcnt lgkmcnt(0)
	s_barrier
	s_and_saveexec_b64 s[4:5], vcc
	s_cbranch_execz .LBB2469_68
; %bb.67:
	s_movk_i32 s6, 0xffdc
	v_mad_i32_i24 v17, v0, s6, v33
	ds_read_b32 v18, v17
	v_and_b32_e32 v19, 3, v39
	v_cmp_ne_u32_e32 vcc, 0, v19
	s_waitcnt lgkmcnt(0)
	v_mov_b32_dpp v20, v18 row_shr:1 row_mask:0xf bank_mask:0xf
	v_cndmask_b32_e32 v20, 0, v20, vcc
	v_add_u32_e32 v18, v20, v18
	v_cmp_lt_u32_e32 vcc, 1, v19
	s_nop 0
	v_mov_b32_dpp v20, v18 row_shr:2 row_mask:0xf bank_mask:0xf
	v_cndmask_b32_e32 v19, 0, v20, vcc
	v_add_u32_e32 v18, v18, v19
	ds_write_b32 v17, v18
.LBB2469_68:
	s_or_b64 exec, exec, s[4:5]
	v_cmp_lt_u32_e32 vcc, 63, v0
	v_mov_b32_e32 v17, 0
	v_mov_b32_e32 v18, 0
	s_waitcnt lgkmcnt(0)
	s_barrier
	s_and_saveexec_b64 s[4:5], vcc
	s_cbranch_execz .LBB2469_70
; %bb.69:
	v_lshl_add_u32 v18, v40, 2, -4
	ds_read_b32 v18, v18
.LBB2469_70:
	s_or_b64 exec, exec, s[4:5]
	v_add_u32_e32 v19, -1, v39
	v_and_b32_e32 v20, 64, v39
	v_cmp_lt_i32_e32 vcc, v19, v20
	v_cndmask_b32_e32 v19, v19, v39, vcc
	s_waitcnt lgkmcnt(0)
	v_add_u32_e32 v16, v18, v16
	v_lshlrev_b32_e32 v19, 2, v19
	ds_bpermute_b32 v19, v19, v16
	ds_read_b32 v16, v17 offset:12
	s_and_saveexec_b64 s[4:5], s[0:1]
	s_cbranch_execz .LBB2469_72
; %bb.71:
	v_mov_b32_e32 v20, 0
	v_mov_b32_e32 v17, 2
	s_waitcnt lgkmcnt(0)
	global_store_dwordx2 v20, v[16:17], s[30:31] offset:512
.LBB2469_72:
	s_or_b64 exec, exec, s[4:5]
	v_cmp_eq_u32_e32 vcc, 0, v39
	s_waitcnt lgkmcnt(1)
	v_cndmask_b32_e32 v18, v19, v18, vcc
	v_cndmask_b32_e64 v43, v18, 0, s[0:1]
	v_add_u32_sdwa v42, v43, v30 dst_sel:DWORD dst_unused:UNUSED_PAD src0_sel:DWORD src1_sel:BYTE_0
	v_add_u32_sdwa v25, v42, v30 dst_sel:DWORD dst_unused:UNUSED_PAD src0_sel:DWORD src1_sel:BYTE_1
	v_add_u32_e32 v24, v25, v34
	v_add_u32_e32 v23, v24, v32
	;; [unrolled: 1-line block ×6, first 2 shown]
	v_mov_b32_e32 v17, 0
	v_add_u32_e32 v18, v19, v38
	s_waitcnt lgkmcnt(0)
	s_barrier
.LBB2469_73:
	s_waitcnt lgkmcnt(0)
	v_add_u32_e32 v27, v16, v27
	v_sub_u32_e32 v35, v43, v17
	v_and_b32_e32 v37, 1, v30
	v_sub_u32_e32 v36, v27, v35
	v_cmp_eq_u32_e32 vcc, 1, v37
	v_cndmask_b32_e32 v35, v36, v35, vcc
	v_lshlrev_b32_e32 v35, 2, v35
	v_lshrrev_b32_e32 v34, 8, v30
	ds_write_b32 v35, v6
	v_sub_u32_e32 v6, v42, v17
	v_sub_u32_e32 v35, v27, v6
	v_and_b32_e32 v34, 1, v34
	v_add_u32_e32 v35, 1, v35
	v_cmp_eq_u32_e32 vcc, 1, v34
	v_cndmask_b32_e32 v6, v35, v6, vcc
	v_lshlrev_b32_e32 v6, 2, v6
	ds_write_b32 v6, v7
	v_sub_u32_e32 v6, v25, v17
	v_mov_b32_e32 v25, 1
	v_sub_u32_e32 v7, v27, v6
	v_and_b32_sdwa v30, v25, v30 dst_sel:DWORD dst_unused:UNUSED_PAD src0_sel:DWORD src1_sel:WORD_1
	v_add_u32_e32 v7, 2, v7
	v_cmp_eq_u32_e32 vcc, 1, v30
	v_cndmask_b32_e32 v6, v7, v6, vcc
	v_lshlrev_b32_e32 v6, 2, v6
	ds_write_b32 v6, v8
	v_sub_u32_e32 v6, v24, v17
	v_sub_u32_e32 v7, v27, v6
	v_and_b32_e32 v8, 1, v32
	v_add_u32_e32 v7, 3, v7
	v_cmp_eq_u32_e32 vcc, 1, v8
	v_cndmask_b32_e32 v6, v7, v6, vcc
	v_lshlrev_b32_e32 v6, 2, v6
	ds_write_b32 v6, v9
	v_sub_u32_e32 v6, v23, v17
	v_sub_u32_e32 v7, v27, v6
	v_and_b32_e32 v8, 1, v29
	v_add_u32_e32 v7, 4, v7
	v_cmp_eq_u32_e32 vcc, 1, v8
	v_cndmask_b32_e32 v6, v7, v6, vcc
	v_lshlrev_b32_e32 v6, 2, v6
	v_lshrrev_b32_e32 v33, 8, v29
	ds_write_b32 v6, v2
	v_sub_u32_e32 v2, v22, v17
	v_sub_u32_e32 v6, v27, v2
	v_and_b32_e32 v7, 1, v33
	v_add_u32_e32 v6, 5, v6
	v_cmp_eq_u32_e32 vcc, 1, v7
	v_cndmask_b32_e32 v2, v6, v2, vcc
	v_lshlrev_b32_e32 v2, 2, v2
	ds_write_b32 v2, v3
	v_sub_u32_e32 v2, v21, v17
	v_sub_u32_e32 v3, v27, v2
	v_and_b32_sdwa v6, v25, v29 dst_sel:DWORD dst_unused:UNUSED_PAD src0_sel:DWORD src1_sel:WORD_1
	v_add_u32_e32 v3, 6, v3
	v_cmp_eq_u32_e32 vcc, 1, v6
	v_cndmask_b32_e32 v2, v3, v2, vcc
	v_lshlrev_b32_e32 v2, 2, v2
	ds_write_b32 v2, v4
	v_sub_u32_e32 v2, v20, v17
	v_sub_u32_e32 v3, v27, v2
	v_and_b32_e32 v4, 1, v31
	v_add_u32_e32 v3, 7, v3
	v_cmp_eq_u32_e32 vcc, 1, v4
	v_cndmask_b32_e32 v2, v3, v2, vcc
	v_lshlrev_b32_e32 v2, 2, v2
	ds_write_b32 v2, v5
	v_sub_u32_e32 v2, v19, v17
	v_sub_u32_e32 v3, v27, v2
	v_and_b32_e32 v4, 1, v28
	;; [unrolled: 8-line block ×3, first 2 shown]
	v_add_u32_e32 v3, 9, v3
	v_cmp_eq_u32_e32 vcc, 1, v1
	v_cndmask_b32_e32 v1, v3, v2, vcc
	v_lshlrev_b32_e32 v1, 2, v1
	ds_write_b32 v1, v11
	s_waitcnt vmcnt(0)
	v_add_co_u32_e32 v1, vcc, v12, v16
	v_addc_co_u32_e32 v3, vcc, 0, v13, vcc
	v_add_co_u32_e32 v2, vcc, v1, v17
	v_addc_co_u32_e32 v3, vcc, 0, v3, vcc
	v_mov_b32_e32 v1, s27
	v_sub_co_u32_e32 v12, vcc, s26, v2
	v_subb_co_u32_e32 v13, vcc, v1, v3, vcc
	v_lshlrev_b64 v[12:13], 2, v[12:13]
	s_waitcnt lgkmcnt(0)
	s_barrier
	ds_read2st64_b32 v[20:21], v26 offset1:4
	ds_read2st64_b32 v[18:19], v26 offset0:8 offset1:12
	ds_read2st64_b32 v[10:11], v26 offset0:16 offset1:20
	;; [unrolled: 1-line block ×4, first 2 shown]
	v_mov_b32_e32 v1, s29
	v_add_co_u32_e32 v6, vcc, s28, v12
	v_addc_co_u32_e32 v1, vcc, v1, v13, vcc
	v_add_co_u32_e32 v6, vcc, v6, v14
	v_addc_co_u32_e32 v1, vcc, v1, v15, vcc
	v_or_b32_e32 v30, 0x100, v0
	v_or_b32_e32 v29, 0x200, v0
	v_or_b32_e32 v28, 0x300, v0
	v_or_b32_e32 v27, 0x400, v0
	v_or_b32_e32 v25, 0x500, v0
	v_or_b32_e32 v24, 0x600, v0
	v_or_b32_e32 v23, 0x700, v0
	v_or_b32_e32 v22, 0x800, v0
	v_or_b32_e32 v7, 0x900, v0
	s_and_b64 vcc, exec, s[2:3]
	v_cmp_le_u32_e64 s[2:3], v16, v0
	s_cbranch_vccnz .LBB2469_85
; %bb.74:
	s_and_saveexec_b64 s[4:5], s[2:3]
	s_cbranch_execnz .LBB2469_110
; %bb.75:
	s_or_b64 exec, exec, s[4:5]
	v_cmp_ge_u32_e32 vcc, v30, v16
	s_and_saveexec_b64 s[2:3], vcc
	s_cbranch_execnz .LBB2469_111
.LBB2469_76:
	s_or_b64 exec, exec, s[2:3]
	v_cmp_ge_u32_e32 vcc, v29, v16
	s_and_saveexec_b64 s[2:3], vcc
	s_cbranch_execnz .LBB2469_112
.LBB2469_77:
	s_or_b64 exec, exec, s[2:3]
	v_cmp_ge_u32_e32 vcc, v28, v16
	s_and_saveexec_b64 s[2:3], vcc
	s_cbranch_execnz .LBB2469_113
.LBB2469_78:
	s_or_b64 exec, exec, s[2:3]
	v_cmp_ge_u32_e32 vcc, v27, v16
	s_and_saveexec_b64 s[2:3], vcc
	s_cbranch_execnz .LBB2469_114
.LBB2469_79:
	s_or_b64 exec, exec, s[2:3]
	v_cmp_ge_u32_e32 vcc, v25, v16
	s_and_saveexec_b64 s[2:3], vcc
	s_cbranch_execnz .LBB2469_115
.LBB2469_80:
	s_or_b64 exec, exec, s[2:3]
	v_cmp_ge_u32_e32 vcc, v24, v16
	s_and_saveexec_b64 s[2:3], vcc
	s_cbranch_execnz .LBB2469_116
.LBB2469_81:
	s_or_b64 exec, exec, s[2:3]
	v_cmp_ge_u32_e32 vcc, v23, v16
	s_and_saveexec_b64 s[2:3], vcc
	s_cbranch_execnz .LBB2469_117
.LBB2469_82:
	s_or_b64 exec, exec, s[2:3]
	v_cmp_ge_u32_e32 vcc, v22, v16
	s_and_saveexec_b64 s[2:3], vcc
	s_cbranch_execz .LBB2469_84
.LBB2469_83:
	v_lshlrev_b32_e32 v12, 2, v22
	v_readfirstlane_b32 s4, v6
	v_readfirstlane_b32 s5, v1
	s_waitcnt lgkmcnt(0)
	s_nop 3
	global_store_dword v12, v4, s[4:5]
.LBB2469_84:
	s_or_b64 exec, exec, s[2:3]
	v_cmp_ge_u32_e64 s[2:3], v7, v16
	s_branch .LBB2469_105
.LBB2469_85:
	s_mov_b64 s[2:3], 0
	s_cbranch_execz .LBB2469_105
; %bb.86:
	v_cmp_gt_u32_e32 vcc, s33, v0
	v_cmp_le_u32_e64 s[2:3], v16, v0
	s_and_b64 s[4:5], vcc, s[2:3]
	s_and_saveexec_b64 s[2:3], s[4:5]
	s_cbranch_execz .LBB2469_88
; %bb.87:
	v_readfirstlane_b32 s4, v6
	v_readfirstlane_b32 s5, v1
	s_waitcnt lgkmcnt(4)
	s_nop 3
	global_store_dword v26, v20, s[4:5]
.LBB2469_88:
	s_or_b64 exec, exec, s[2:3]
	v_cmp_gt_u32_e32 vcc, s33, v30
	v_cmp_ge_u32_e64 s[2:3], v30, v16
	s_and_b64 s[4:5], vcc, s[2:3]
	s_and_saveexec_b64 s[2:3], s[4:5]
	s_cbranch_execz .LBB2469_90
; %bb.89:
	v_readfirstlane_b32 s4, v6
	v_readfirstlane_b32 s5, v1
	s_waitcnt lgkmcnt(4)
	s_nop 3
	global_store_dword v26, v21, s[4:5] offset:1024
.LBB2469_90:
	s_or_b64 exec, exec, s[2:3]
	v_cmp_gt_u32_e32 vcc, s33, v29
	v_cmp_ge_u32_e64 s[2:3], v29, v16
	s_and_b64 s[4:5], vcc, s[2:3]
	s_and_saveexec_b64 s[2:3], s[4:5]
	s_cbranch_execz .LBB2469_92
; %bb.91:
	v_readfirstlane_b32 s4, v6
	v_readfirstlane_b32 s5, v1
	s_waitcnt lgkmcnt(3)
	s_nop 3
	global_store_dword v26, v18, s[4:5] offset:2048
.LBB2469_92:
	;; [unrolled: 13-line block ×3, first 2 shown]
	s_or_b64 exec, exec, s[2:3]
	v_cmp_gt_u32_e32 vcc, s33, v27
	v_cmp_ge_u32_e64 s[2:3], v27, v16
	s_and_b64 s[4:5], vcc, s[2:3]
	s_and_saveexec_b64 s[2:3], s[4:5]
	s_cbranch_execz .LBB2469_96
; %bb.95:
	v_lshlrev_b32_e32 v0, 2, v27
	v_readfirstlane_b32 s4, v6
	v_readfirstlane_b32 s5, v1
	s_waitcnt lgkmcnt(2)
	s_nop 3
	global_store_dword v0, v10, s[4:5]
.LBB2469_96:
	s_or_b64 exec, exec, s[2:3]
	v_cmp_gt_u32_e32 vcc, s33, v25
	v_cmp_ge_u32_e64 s[2:3], v25, v16
	s_and_b64 s[4:5], vcc, s[2:3]
	s_and_saveexec_b64 s[2:3], s[4:5]
	s_cbranch_execz .LBB2469_98
; %bb.97:
	v_lshlrev_b32_e32 v0, 2, v25
	v_readfirstlane_b32 s4, v6
	v_readfirstlane_b32 s5, v1
	s_waitcnt lgkmcnt(2)
	s_nop 3
	global_store_dword v0, v11, s[4:5]
.LBB2469_98:
	;; [unrolled: 14-line block ×5, first 2 shown]
	s_or_b64 exec, exec, s[2:3]
	v_cmp_gt_u32_e32 vcc, s33, v7
	v_cmp_ge_u32_e64 s[2:3], v7, v16
	s_and_b64 s[2:3], vcc, s[2:3]
.LBB2469_105:
	s_and_saveexec_b64 s[4:5], s[2:3]
	s_cbranch_execnz .LBB2469_108
; %bb.106:
	s_or_b64 exec, exec, s[4:5]
	s_and_b64 s[0:1], s[0:1], s[22:23]
	s_and_saveexec_b64 s[2:3], s[0:1]
	s_cbranch_execnz .LBB2469_109
.LBB2469_107:
	s_endpgm
.LBB2469_108:
	v_lshlrev_b32_e32 v0, 2, v7
	v_readfirstlane_b32 s2, v6
	v_readfirstlane_b32 s3, v1
	s_waitcnt lgkmcnt(0)
	s_nop 3
	global_store_dword v0, v5, s[2:3]
	s_or_b64 exec, exec, s[4:5]
	s_and_b64 s[0:1], s[0:1], s[22:23]
	s_and_saveexec_b64 s[2:3], s[0:1]
	s_cbranch_execz .LBB2469_107
.LBB2469_109:
	v_mov_b32_e32 v0, 0
	global_store_dwordx2 v0, v[2:3], s[20:21]
	s_endpgm
.LBB2469_110:
	v_readfirstlane_b32 s2, v6
	v_readfirstlane_b32 s3, v1
	s_waitcnt lgkmcnt(4)
	s_nop 3
	global_store_dword v26, v20, s[2:3]
	s_or_b64 exec, exec, s[4:5]
	v_cmp_ge_u32_e32 vcc, v30, v16
	s_and_saveexec_b64 s[2:3], vcc
	s_cbranch_execz .LBB2469_76
.LBB2469_111:
	v_readfirstlane_b32 s4, v6
	v_readfirstlane_b32 s5, v1
	s_waitcnt lgkmcnt(4)
	s_nop 3
	global_store_dword v26, v21, s[4:5] offset:1024
	s_or_b64 exec, exec, s[2:3]
	v_cmp_ge_u32_e32 vcc, v29, v16
	s_and_saveexec_b64 s[2:3], vcc
	s_cbranch_execz .LBB2469_77
.LBB2469_112:
	v_readfirstlane_b32 s4, v6
	v_readfirstlane_b32 s5, v1
	s_waitcnt lgkmcnt(3)
	s_nop 3
	global_store_dword v26, v18, s[4:5] offset:2048
	s_or_b64 exec, exec, s[2:3]
	v_cmp_ge_u32_e32 vcc, v28, v16
	s_and_saveexec_b64 s[2:3], vcc
	s_cbranch_execz .LBB2469_78
.LBB2469_113:
	v_readfirstlane_b32 s4, v6
	v_readfirstlane_b32 s5, v1
	s_waitcnt lgkmcnt(3)
	s_nop 3
	global_store_dword v26, v19, s[4:5] offset:3072
	s_or_b64 exec, exec, s[2:3]
	v_cmp_ge_u32_e32 vcc, v27, v16
	s_and_saveexec_b64 s[2:3], vcc
	s_cbranch_execz .LBB2469_79
.LBB2469_114:
	v_lshlrev_b32_e32 v12, 2, v27
	v_readfirstlane_b32 s4, v6
	v_readfirstlane_b32 s5, v1
	s_waitcnt lgkmcnt(2)
	s_nop 3
	global_store_dword v12, v10, s[4:5]
	s_or_b64 exec, exec, s[2:3]
	v_cmp_ge_u32_e32 vcc, v25, v16
	s_and_saveexec_b64 s[2:3], vcc
	s_cbranch_execz .LBB2469_80
.LBB2469_115:
	v_lshlrev_b32_e32 v12, 2, v25
	v_readfirstlane_b32 s4, v6
	v_readfirstlane_b32 s5, v1
	s_waitcnt lgkmcnt(2)
	s_nop 3
	global_store_dword v12, v11, s[4:5]
	s_or_b64 exec, exec, s[2:3]
	v_cmp_ge_u32_e32 vcc, v24, v16
	s_and_saveexec_b64 s[2:3], vcc
	s_cbranch_execz .LBB2469_81
.LBB2469_116:
	v_lshlrev_b32_e32 v12, 2, v24
	v_readfirstlane_b32 s4, v6
	v_readfirstlane_b32 s5, v1
	s_waitcnt lgkmcnt(1)
	s_nop 3
	global_store_dword v12, v8, s[4:5]
	s_or_b64 exec, exec, s[2:3]
	v_cmp_ge_u32_e32 vcc, v23, v16
	s_and_saveexec_b64 s[2:3], vcc
	s_cbranch_execz .LBB2469_82
.LBB2469_117:
	v_lshlrev_b32_e32 v12, 2, v23
	v_readfirstlane_b32 s4, v6
	v_readfirstlane_b32 s5, v1
	s_waitcnt lgkmcnt(1)
	s_nop 3
	global_store_dword v12, v9, s[4:5]
	s_or_b64 exec, exec, s[2:3]
	v_cmp_ge_u32_e32 vcc, v22, v16
	s_and_saveexec_b64 s[2:3], vcc
	s_cbranch_execnz .LBB2469_83
	s_branch .LBB2469_84
	.section	.rodata,"a",@progbits
	.p2align	6, 0x0
	.amdhsa_kernel _ZN7rocprim17ROCPRIM_400000_NS6detail17trampoline_kernelINS0_14default_configENS1_25partition_config_selectorILNS1_17partition_subalgoE0EjNS0_10empty_typeEbEEZZNS1_14partition_implILS5_0ELb0ES3_jN6thrust23THRUST_200600_302600_NS6detail15normal_iteratorINSA_10device_ptrIjEEEEPS6_SG_NS0_5tupleIJNSA_16discard_iteratorINSA_11use_defaultEEESF_EEENSH_IJSG_SG_EEES6_PlJ7is_evenIjEEEE10hipError_tPvRmT3_T4_T5_T6_T7_T9_mT8_P12ihipStream_tbDpT10_ENKUlT_T0_E_clISt17integral_constantIbLb1EES19_EEDaS14_S15_EUlS14_E_NS1_11comp_targetILNS1_3genE4ELNS1_11target_archE910ELNS1_3gpuE8ELNS1_3repE0EEENS1_30default_config_static_selectorELNS0_4arch9wavefront6targetE1EEEvT1_
		.amdhsa_group_segment_fixed_size 10248
		.amdhsa_private_segment_fixed_size 0
		.amdhsa_kernarg_size 144
		.amdhsa_user_sgpr_count 6
		.amdhsa_user_sgpr_private_segment_buffer 1
		.amdhsa_user_sgpr_dispatch_ptr 0
		.amdhsa_user_sgpr_queue_ptr 0
		.amdhsa_user_sgpr_kernarg_segment_ptr 1
		.amdhsa_user_sgpr_dispatch_id 0
		.amdhsa_user_sgpr_flat_scratch_init 0
		.amdhsa_user_sgpr_kernarg_preload_length 0
		.amdhsa_user_sgpr_kernarg_preload_offset 0
		.amdhsa_user_sgpr_private_segment_size 0
		.amdhsa_uses_dynamic_stack 0
		.amdhsa_system_sgpr_private_segment_wavefront_offset 0
		.amdhsa_system_sgpr_workgroup_id_x 1
		.amdhsa_system_sgpr_workgroup_id_y 0
		.amdhsa_system_sgpr_workgroup_id_z 0
		.amdhsa_system_sgpr_workgroup_info 0
		.amdhsa_system_vgpr_workitem_id 0
		.amdhsa_next_free_vgpr 58
		.amdhsa_next_free_sgpr 42
		.amdhsa_accum_offset 60
		.amdhsa_reserve_vcc 1
		.amdhsa_reserve_flat_scratch 0
		.amdhsa_float_round_mode_32 0
		.amdhsa_float_round_mode_16_64 0
		.amdhsa_float_denorm_mode_32 3
		.amdhsa_float_denorm_mode_16_64 3
		.amdhsa_dx10_clamp 1
		.amdhsa_ieee_mode 1
		.amdhsa_fp16_overflow 0
		.amdhsa_tg_split 0
		.amdhsa_exception_fp_ieee_invalid_op 0
		.amdhsa_exception_fp_denorm_src 0
		.amdhsa_exception_fp_ieee_div_zero 0
		.amdhsa_exception_fp_ieee_overflow 0
		.amdhsa_exception_fp_ieee_underflow 0
		.amdhsa_exception_fp_ieee_inexact 0
		.amdhsa_exception_int_div_zero 0
	.end_amdhsa_kernel
	.section	.text._ZN7rocprim17ROCPRIM_400000_NS6detail17trampoline_kernelINS0_14default_configENS1_25partition_config_selectorILNS1_17partition_subalgoE0EjNS0_10empty_typeEbEEZZNS1_14partition_implILS5_0ELb0ES3_jN6thrust23THRUST_200600_302600_NS6detail15normal_iteratorINSA_10device_ptrIjEEEEPS6_SG_NS0_5tupleIJNSA_16discard_iteratorINSA_11use_defaultEEESF_EEENSH_IJSG_SG_EEES6_PlJ7is_evenIjEEEE10hipError_tPvRmT3_T4_T5_T6_T7_T9_mT8_P12ihipStream_tbDpT10_ENKUlT_T0_E_clISt17integral_constantIbLb1EES19_EEDaS14_S15_EUlS14_E_NS1_11comp_targetILNS1_3genE4ELNS1_11target_archE910ELNS1_3gpuE8ELNS1_3repE0EEENS1_30default_config_static_selectorELNS0_4arch9wavefront6targetE1EEEvT1_,"axG",@progbits,_ZN7rocprim17ROCPRIM_400000_NS6detail17trampoline_kernelINS0_14default_configENS1_25partition_config_selectorILNS1_17partition_subalgoE0EjNS0_10empty_typeEbEEZZNS1_14partition_implILS5_0ELb0ES3_jN6thrust23THRUST_200600_302600_NS6detail15normal_iteratorINSA_10device_ptrIjEEEEPS6_SG_NS0_5tupleIJNSA_16discard_iteratorINSA_11use_defaultEEESF_EEENSH_IJSG_SG_EEES6_PlJ7is_evenIjEEEE10hipError_tPvRmT3_T4_T5_T6_T7_T9_mT8_P12ihipStream_tbDpT10_ENKUlT_T0_E_clISt17integral_constantIbLb1EES19_EEDaS14_S15_EUlS14_E_NS1_11comp_targetILNS1_3genE4ELNS1_11target_archE910ELNS1_3gpuE8ELNS1_3repE0EEENS1_30default_config_static_selectorELNS0_4arch9wavefront6targetE1EEEvT1_,comdat
.Lfunc_end2469:
	.size	_ZN7rocprim17ROCPRIM_400000_NS6detail17trampoline_kernelINS0_14default_configENS1_25partition_config_selectorILNS1_17partition_subalgoE0EjNS0_10empty_typeEbEEZZNS1_14partition_implILS5_0ELb0ES3_jN6thrust23THRUST_200600_302600_NS6detail15normal_iteratorINSA_10device_ptrIjEEEEPS6_SG_NS0_5tupleIJNSA_16discard_iteratorINSA_11use_defaultEEESF_EEENSH_IJSG_SG_EEES6_PlJ7is_evenIjEEEE10hipError_tPvRmT3_T4_T5_T6_T7_T9_mT8_P12ihipStream_tbDpT10_ENKUlT_T0_E_clISt17integral_constantIbLb1EES19_EEDaS14_S15_EUlS14_E_NS1_11comp_targetILNS1_3genE4ELNS1_11target_archE910ELNS1_3gpuE8ELNS1_3repE0EEENS1_30default_config_static_selectorELNS0_4arch9wavefront6targetE1EEEvT1_, .Lfunc_end2469-_ZN7rocprim17ROCPRIM_400000_NS6detail17trampoline_kernelINS0_14default_configENS1_25partition_config_selectorILNS1_17partition_subalgoE0EjNS0_10empty_typeEbEEZZNS1_14partition_implILS5_0ELb0ES3_jN6thrust23THRUST_200600_302600_NS6detail15normal_iteratorINSA_10device_ptrIjEEEEPS6_SG_NS0_5tupleIJNSA_16discard_iteratorINSA_11use_defaultEEESF_EEENSH_IJSG_SG_EEES6_PlJ7is_evenIjEEEE10hipError_tPvRmT3_T4_T5_T6_T7_T9_mT8_P12ihipStream_tbDpT10_ENKUlT_T0_E_clISt17integral_constantIbLb1EES19_EEDaS14_S15_EUlS14_E_NS1_11comp_targetILNS1_3genE4ELNS1_11target_archE910ELNS1_3gpuE8ELNS1_3repE0EEENS1_30default_config_static_selectorELNS0_4arch9wavefront6targetE1EEEvT1_
                                        ; -- End function
	.section	.AMDGPU.csdata,"",@progbits
; Kernel info:
; codeLenInByte = 5300
; NumSgprs: 46
; NumVgprs: 58
; NumAgprs: 0
; TotalNumVgprs: 58
; ScratchSize: 0
; MemoryBound: 0
; FloatMode: 240
; IeeeMode: 1
; LDSByteSize: 10248 bytes/workgroup (compile time only)
; SGPRBlocks: 5
; VGPRBlocks: 7
; NumSGPRsForWavesPerEU: 46
; NumVGPRsForWavesPerEU: 58
; AccumOffset: 60
; Occupancy: 6
; WaveLimiterHint : 1
; COMPUTE_PGM_RSRC2:SCRATCH_EN: 0
; COMPUTE_PGM_RSRC2:USER_SGPR: 6
; COMPUTE_PGM_RSRC2:TRAP_HANDLER: 0
; COMPUTE_PGM_RSRC2:TGID_X_EN: 1
; COMPUTE_PGM_RSRC2:TGID_Y_EN: 0
; COMPUTE_PGM_RSRC2:TGID_Z_EN: 0
; COMPUTE_PGM_RSRC2:TIDIG_COMP_CNT: 0
; COMPUTE_PGM_RSRC3_GFX90A:ACCUM_OFFSET: 14
; COMPUTE_PGM_RSRC3_GFX90A:TG_SPLIT: 0
	.section	.text._ZN7rocprim17ROCPRIM_400000_NS6detail17trampoline_kernelINS0_14default_configENS1_25partition_config_selectorILNS1_17partition_subalgoE0EjNS0_10empty_typeEbEEZZNS1_14partition_implILS5_0ELb0ES3_jN6thrust23THRUST_200600_302600_NS6detail15normal_iteratorINSA_10device_ptrIjEEEEPS6_SG_NS0_5tupleIJNSA_16discard_iteratorINSA_11use_defaultEEESF_EEENSH_IJSG_SG_EEES6_PlJ7is_evenIjEEEE10hipError_tPvRmT3_T4_T5_T6_T7_T9_mT8_P12ihipStream_tbDpT10_ENKUlT_T0_E_clISt17integral_constantIbLb1EES19_EEDaS14_S15_EUlS14_E_NS1_11comp_targetILNS1_3genE3ELNS1_11target_archE908ELNS1_3gpuE7ELNS1_3repE0EEENS1_30default_config_static_selectorELNS0_4arch9wavefront6targetE1EEEvT1_,"axG",@progbits,_ZN7rocprim17ROCPRIM_400000_NS6detail17trampoline_kernelINS0_14default_configENS1_25partition_config_selectorILNS1_17partition_subalgoE0EjNS0_10empty_typeEbEEZZNS1_14partition_implILS5_0ELb0ES3_jN6thrust23THRUST_200600_302600_NS6detail15normal_iteratorINSA_10device_ptrIjEEEEPS6_SG_NS0_5tupleIJNSA_16discard_iteratorINSA_11use_defaultEEESF_EEENSH_IJSG_SG_EEES6_PlJ7is_evenIjEEEE10hipError_tPvRmT3_T4_T5_T6_T7_T9_mT8_P12ihipStream_tbDpT10_ENKUlT_T0_E_clISt17integral_constantIbLb1EES19_EEDaS14_S15_EUlS14_E_NS1_11comp_targetILNS1_3genE3ELNS1_11target_archE908ELNS1_3gpuE7ELNS1_3repE0EEENS1_30default_config_static_selectorELNS0_4arch9wavefront6targetE1EEEvT1_,comdat
	.protected	_ZN7rocprim17ROCPRIM_400000_NS6detail17trampoline_kernelINS0_14default_configENS1_25partition_config_selectorILNS1_17partition_subalgoE0EjNS0_10empty_typeEbEEZZNS1_14partition_implILS5_0ELb0ES3_jN6thrust23THRUST_200600_302600_NS6detail15normal_iteratorINSA_10device_ptrIjEEEEPS6_SG_NS0_5tupleIJNSA_16discard_iteratorINSA_11use_defaultEEESF_EEENSH_IJSG_SG_EEES6_PlJ7is_evenIjEEEE10hipError_tPvRmT3_T4_T5_T6_T7_T9_mT8_P12ihipStream_tbDpT10_ENKUlT_T0_E_clISt17integral_constantIbLb1EES19_EEDaS14_S15_EUlS14_E_NS1_11comp_targetILNS1_3genE3ELNS1_11target_archE908ELNS1_3gpuE7ELNS1_3repE0EEENS1_30default_config_static_selectorELNS0_4arch9wavefront6targetE1EEEvT1_ ; -- Begin function _ZN7rocprim17ROCPRIM_400000_NS6detail17trampoline_kernelINS0_14default_configENS1_25partition_config_selectorILNS1_17partition_subalgoE0EjNS0_10empty_typeEbEEZZNS1_14partition_implILS5_0ELb0ES3_jN6thrust23THRUST_200600_302600_NS6detail15normal_iteratorINSA_10device_ptrIjEEEEPS6_SG_NS0_5tupleIJNSA_16discard_iteratorINSA_11use_defaultEEESF_EEENSH_IJSG_SG_EEES6_PlJ7is_evenIjEEEE10hipError_tPvRmT3_T4_T5_T6_T7_T9_mT8_P12ihipStream_tbDpT10_ENKUlT_T0_E_clISt17integral_constantIbLb1EES19_EEDaS14_S15_EUlS14_E_NS1_11comp_targetILNS1_3genE3ELNS1_11target_archE908ELNS1_3gpuE7ELNS1_3repE0EEENS1_30default_config_static_selectorELNS0_4arch9wavefront6targetE1EEEvT1_
	.globl	_ZN7rocprim17ROCPRIM_400000_NS6detail17trampoline_kernelINS0_14default_configENS1_25partition_config_selectorILNS1_17partition_subalgoE0EjNS0_10empty_typeEbEEZZNS1_14partition_implILS5_0ELb0ES3_jN6thrust23THRUST_200600_302600_NS6detail15normal_iteratorINSA_10device_ptrIjEEEEPS6_SG_NS0_5tupleIJNSA_16discard_iteratorINSA_11use_defaultEEESF_EEENSH_IJSG_SG_EEES6_PlJ7is_evenIjEEEE10hipError_tPvRmT3_T4_T5_T6_T7_T9_mT8_P12ihipStream_tbDpT10_ENKUlT_T0_E_clISt17integral_constantIbLb1EES19_EEDaS14_S15_EUlS14_E_NS1_11comp_targetILNS1_3genE3ELNS1_11target_archE908ELNS1_3gpuE7ELNS1_3repE0EEENS1_30default_config_static_selectorELNS0_4arch9wavefront6targetE1EEEvT1_
	.p2align	8
	.type	_ZN7rocprim17ROCPRIM_400000_NS6detail17trampoline_kernelINS0_14default_configENS1_25partition_config_selectorILNS1_17partition_subalgoE0EjNS0_10empty_typeEbEEZZNS1_14partition_implILS5_0ELb0ES3_jN6thrust23THRUST_200600_302600_NS6detail15normal_iteratorINSA_10device_ptrIjEEEEPS6_SG_NS0_5tupleIJNSA_16discard_iteratorINSA_11use_defaultEEESF_EEENSH_IJSG_SG_EEES6_PlJ7is_evenIjEEEE10hipError_tPvRmT3_T4_T5_T6_T7_T9_mT8_P12ihipStream_tbDpT10_ENKUlT_T0_E_clISt17integral_constantIbLb1EES19_EEDaS14_S15_EUlS14_E_NS1_11comp_targetILNS1_3genE3ELNS1_11target_archE908ELNS1_3gpuE7ELNS1_3repE0EEENS1_30default_config_static_selectorELNS0_4arch9wavefront6targetE1EEEvT1_,@function
_ZN7rocprim17ROCPRIM_400000_NS6detail17trampoline_kernelINS0_14default_configENS1_25partition_config_selectorILNS1_17partition_subalgoE0EjNS0_10empty_typeEbEEZZNS1_14partition_implILS5_0ELb0ES3_jN6thrust23THRUST_200600_302600_NS6detail15normal_iteratorINSA_10device_ptrIjEEEEPS6_SG_NS0_5tupleIJNSA_16discard_iteratorINSA_11use_defaultEEESF_EEENSH_IJSG_SG_EEES6_PlJ7is_evenIjEEEE10hipError_tPvRmT3_T4_T5_T6_T7_T9_mT8_P12ihipStream_tbDpT10_ENKUlT_T0_E_clISt17integral_constantIbLb1EES19_EEDaS14_S15_EUlS14_E_NS1_11comp_targetILNS1_3genE3ELNS1_11target_archE908ELNS1_3gpuE7ELNS1_3repE0EEENS1_30default_config_static_selectorELNS0_4arch9wavefront6targetE1EEEvT1_: ; @_ZN7rocprim17ROCPRIM_400000_NS6detail17trampoline_kernelINS0_14default_configENS1_25partition_config_selectorILNS1_17partition_subalgoE0EjNS0_10empty_typeEbEEZZNS1_14partition_implILS5_0ELb0ES3_jN6thrust23THRUST_200600_302600_NS6detail15normal_iteratorINSA_10device_ptrIjEEEEPS6_SG_NS0_5tupleIJNSA_16discard_iteratorINSA_11use_defaultEEESF_EEENSH_IJSG_SG_EEES6_PlJ7is_evenIjEEEE10hipError_tPvRmT3_T4_T5_T6_T7_T9_mT8_P12ihipStream_tbDpT10_ENKUlT_T0_E_clISt17integral_constantIbLb1EES19_EEDaS14_S15_EUlS14_E_NS1_11comp_targetILNS1_3genE3ELNS1_11target_archE908ELNS1_3gpuE7ELNS1_3repE0EEENS1_30default_config_static_selectorELNS0_4arch9wavefront6targetE1EEEvT1_
; %bb.0:
	.section	.rodata,"a",@progbits
	.p2align	6, 0x0
	.amdhsa_kernel _ZN7rocprim17ROCPRIM_400000_NS6detail17trampoline_kernelINS0_14default_configENS1_25partition_config_selectorILNS1_17partition_subalgoE0EjNS0_10empty_typeEbEEZZNS1_14partition_implILS5_0ELb0ES3_jN6thrust23THRUST_200600_302600_NS6detail15normal_iteratorINSA_10device_ptrIjEEEEPS6_SG_NS0_5tupleIJNSA_16discard_iteratorINSA_11use_defaultEEESF_EEENSH_IJSG_SG_EEES6_PlJ7is_evenIjEEEE10hipError_tPvRmT3_T4_T5_T6_T7_T9_mT8_P12ihipStream_tbDpT10_ENKUlT_T0_E_clISt17integral_constantIbLb1EES19_EEDaS14_S15_EUlS14_E_NS1_11comp_targetILNS1_3genE3ELNS1_11target_archE908ELNS1_3gpuE7ELNS1_3repE0EEENS1_30default_config_static_selectorELNS0_4arch9wavefront6targetE1EEEvT1_
		.amdhsa_group_segment_fixed_size 0
		.amdhsa_private_segment_fixed_size 0
		.amdhsa_kernarg_size 144
		.amdhsa_user_sgpr_count 6
		.amdhsa_user_sgpr_private_segment_buffer 1
		.amdhsa_user_sgpr_dispatch_ptr 0
		.amdhsa_user_sgpr_queue_ptr 0
		.amdhsa_user_sgpr_kernarg_segment_ptr 1
		.amdhsa_user_sgpr_dispatch_id 0
		.amdhsa_user_sgpr_flat_scratch_init 0
		.amdhsa_user_sgpr_kernarg_preload_length 0
		.amdhsa_user_sgpr_kernarg_preload_offset 0
		.amdhsa_user_sgpr_private_segment_size 0
		.amdhsa_uses_dynamic_stack 0
		.amdhsa_system_sgpr_private_segment_wavefront_offset 0
		.amdhsa_system_sgpr_workgroup_id_x 1
		.amdhsa_system_sgpr_workgroup_id_y 0
		.amdhsa_system_sgpr_workgroup_id_z 0
		.amdhsa_system_sgpr_workgroup_info 0
		.amdhsa_system_vgpr_workitem_id 0
		.amdhsa_next_free_vgpr 1
		.amdhsa_next_free_sgpr 0
		.amdhsa_accum_offset 4
		.amdhsa_reserve_vcc 0
		.amdhsa_reserve_flat_scratch 0
		.amdhsa_float_round_mode_32 0
		.amdhsa_float_round_mode_16_64 0
		.amdhsa_float_denorm_mode_32 3
		.amdhsa_float_denorm_mode_16_64 3
		.amdhsa_dx10_clamp 1
		.amdhsa_ieee_mode 1
		.amdhsa_fp16_overflow 0
		.amdhsa_tg_split 0
		.amdhsa_exception_fp_ieee_invalid_op 0
		.amdhsa_exception_fp_denorm_src 0
		.amdhsa_exception_fp_ieee_div_zero 0
		.amdhsa_exception_fp_ieee_overflow 0
		.amdhsa_exception_fp_ieee_underflow 0
		.amdhsa_exception_fp_ieee_inexact 0
		.amdhsa_exception_int_div_zero 0
	.end_amdhsa_kernel
	.section	.text._ZN7rocprim17ROCPRIM_400000_NS6detail17trampoline_kernelINS0_14default_configENS1_25partition_config_selectorILNS1_17partition_subalgoE0EjNS0_10empty_typeEbEEZZNS1_14partition_implILS5_0ELb0ES3_jN6thrust23THRUST_200600_302600_NS6detail15normal_iteratorINSA_10device_ptrIjEEEEPS6_SG_NS0_5tupleIJNSA_16discard_iteratorINSA_11use_defaultEEESF_EEENSH_IJSG_SG_EEES6_PlJ7is_evenIjEEEE10hipError_tPvRmT3_T4_T5_T6_T7_T9_mT8_P12ihipStream_tbDpT10_ENKUlT_T0_E_clISt17integral_constantIbLb1EES19_EEDaS14_S15_EUlS14_E_NS1_11comp_targetILNS1_3genE3ELNS1_11target_archE908ELNS1_3gpuE7ELNS1_3repE0EEENS1_30default_config_static_selectorELNS0_4arch9wavefront6targetE1EEEvT1_,"axG",@progbits,_ZN7rocprim17ROCPRIM_400000_NS6detail17trampoline_kernelINS0_14default_configENS1_25partition_config_selectorILNS1_17partition_subalgoE0EjNS0_10empty_typeEbEEZZNS1_14partition_implILS5_0ELb0ES3_jN6thrust23THRUST_200600_302600_NS6detail15normal_iteratorINSA_10device_ptrIjEEEEPS6_SG_NS0_5tupleIJNSA_16discard_iteratorINSA_11use_defaultEEESF_EEENSH_IJSG_SG_EEES6_PlJ7is_evenIjEEEE10hipError_tPvRmT3_T4_T5_T6_T7_T9_mT8_P12ihipStream_tbDpT10_ENKUlT_T0_E_clISt17integral_constantIbLb1EES19_EEDaS14_S15_EUlS14_E_NS1_11comp_targetILNS1_3genE3ELNS1_11target_archE908ELNS1_3gpuE7ELNS1_3repE0EEENS1_30default_config_static_selectorELNS0_4arch9wavefront6targetE1EEEvT1_,comdat
.Lfunc_end2470:
	.size	_ZN7rocprim17ROCPRIM_400000_NS6detail17trampoline_kernelINS0_14default_configENS1_25partition_config_selectorILNS1_17partition_subalgoE0EjNS0_10empty_typeEbEEZZNS1_14partition_implILS5_0ELb0ES3_jN6thrust23THRUST_200600_302600_NS6detail15normal_iteratorINSA_10device_ptrIjEEEEPS6_SG_NS0_5tupleIJNSA_16discard_iteratorINSA_11use_defaultEEESF_EEENSH_IJSG_SG_EEES6_PlJ7is_evenIjEEEE10hipError_tPvRmT3_T4_T5_T6_T7_T9_mT8_P12ihipStream_tbDpT10_ENKUlT_T0_E_clISt17integral_constantIbLb1EES19_EEDaS14_S15_EUlS14_E_NS1_11comp_targetILNS1_3genE3ELNS1_11target_archE908ELNS1_3gpuE7ELNS1_3repE0EEENS1_30default_config_static_selectorELNS0_4arch9wavefront6targetE1EEEvT1_, .Lfunc_end2470-_ZN7rocprim17ROCPRIM_400000_NS6detail17trampoline_kernelINS0_14default_configENS1_25partition_config_selectorILNS1_17partition_subalgoE0EjNS0_10empty_typeEbEEZZNS1_14partition_implILS5_0ELb0ES3_jN6thrust23THRUST_200600_302600_NS6detail15normal_iteratorINSA_10device_ptrIjEEEEPS6_SG_NS0_5tupleIJNSA_16discard_iteratorINSA_11use_defaultEEESF_EEENSH_IJSG_SG_EEES6_PlJ7is_evenIjEEEE10hipError_tPvRmT3_T4_T5_T6_T7_T9_mT8_P12ihipStream_tbDpT10_ENKUlT_T0_E_clISt17integral_constantIbLb1EES19_EEDaS14_S15_EUlS14_E_NS1_11comp_targetILNS1_3genE3ELNS1_11target_archE908ELNS1_3gpuE7ELNS1_3repE0EEENS1_30default_config_static_selectorELNS0_4arch9wavefront6targetE1EEEvT1_
                                        ; -- End function
	.section	.AMDGPU.csdata,"",@progbits
; Kernel info:
; codeLenInByte = 0
; NumSgprs: 4
; NumVgprs: 0
; NumAgprs: 0
; TotalNumVgprs: 0
; ScratchSize: 0
; MemoryBound: 0
; FloatMode: 240
; IeeeMode: 1
; LDSByteSize: 0 bytes/workgroup (compile time only)
; SGPRBlocks: 0
; VGPRBlocks: 0
; NumSGPRsForWavesPerEU: 4
; NumVGPRsForWavesPerEU: 1
; AccumOffset: 4
; Occupancy: 8
; WaveLimiterHint : 0
; COMPUTE_PGM_RSRC2:SCRATCH_EN: 0
; COMPUTE_PGM_RSRC2:USER_SGPR: 6
; COMPUTE_PGM_RSRC2:TRAP_HANDLER: 0
; COMPUTE_PGM_RSRC2:TGID_X_EN: 1
; COMPUTE_PGM_RSRC2:TGID_Y_EN: 0
; COMPUTE_PGM_RSRC2:TGID_Z_EN: 0
; COMPUTE_PGM_RSRC2:TIDIG_COMP_CNT: 0
; COMPUTE_PGM_RSRC3_GFX90A:ACCUM_OFFSET: 0
; COMPUTE_PGM_RSRC3_GFX90A:TG_SPLIT: 0
	.section	.text._ZN7rocprim17ROCPRIM_400000_NS6detail17trampoline_kernelINS0_14default_configENS1_25partition_config_selectorILNS1_17partition_subalgoE0EjNS0_10empty_typeEbEEZZNS1_14partition_implILS5_0ELb0ES3_jN6thrust23THRUST_200600_302600_NS6detail15normal_iteratorINSA_10device_ptrIjEEEEPS6_SG_NS0_5tupleIJNSA_16discard_iteratorINSA_11use_defaultEEESF_EEENSH_IJSG_SG_EEES6_PlJ7is_evenIjEEEE10hipError_tPvRmT3_T4_T5_T6_T7_T9_mT8_P12ihipStream_tbDpT10_ENKUlT_T0_E_clISt17integral_constantIbLb1EES19_EEDaS14_S15_EUlS14_E_NS1_11comp_targetILNS1_3genE2ELNS1_11target_archE906ELNS1_3gpuE6ELNS1_3repE0EEENS1_30default_config_static_selectorELNS0_4arch9wavefront6targetE1EEEvT1_,"axG",@progbits,_ZN7rocprim17ROCPRIM_400000_NS6detail17trampoline_kernelINS0_14default_configENS1_25partition_config_selectorILNS1_17partition_subalgoE0EjNS0_10empty_typeEbEEZZNS1_14partition_implILS5_0ELb0ES3_jN6thrust23THRUST_200600_302600_NS6detail15normal_iteratorINSA_10device_ptrIjEEEEPS6_SG_NS0_5tupleIJNSA_16discard_iteratorINSA_11use_defaultEEESF_EEENSH_IJSG_SG_EEES6_PlJ7is_evenIjEEEE10hipError_tPvRmT3_T4_T5_T6_T7_T9_mT8_P12ihipStream_tbDpT10_ENKUlT_T0_E_clISt17integral_constantIbLb1EES19_EEDaS14_S15_EUlS14_E_NS1_11comp_targetILNS1_3genE2ELNS1_11target_archE906ELNS1_3gpuE6ELNS1_3repE0EEENS1_30default_config_static_selectorELNS0_4arch9wavefront6targetE1EEEvT1_,comdat
	.protected	_ZN7rocprim17ROCPRIM_400000_NS6detail17trampoline_kernelINS0_14default_configENS1_25partition_config_selectorILNS1_17partition_subalgoE0EjNS0_10empty_typeEbEEZZNS1_14partition_implILS5_0ELb0ES3_jN6thrust23THRUST_200600_302600_NS6detail15normal_iteratorINSA_10device_ptrIjEEEEPS6_SG_NS0_5tupleIJNSA_16discard_iteratorINSA_11use_defaultEEESF_EEENSH_IJSG_SG_EEES6_PlJ7is_evenIjEEEE10hipError_tPvRmT3_T4_T5_T6_T7_T9_mT8_P12ihipStream_tbDpT10_ENKUlT_T0_E_clISt17integral_constantIbLb1EES19_EEDaS14_S15_EUlS14_E_NS1_11comp_targetILNS1_3genE2ELNS1_11target_archE906ELNS1_3gpuE6ELNS1_3repE0EEENS1_30default_config_static_selectorELNS0_4arch9wavefront6targetE1EEEvT1_ ; -- Begin function _ZN7rocprim17ROCPRIM_400000_NS6detail17trampoline_kernelINS0_14default_configENS1_25partition_config_selectorILNS1_17partition_subalgoE0EjNS0_10empty_typeEbEEZZNS1_14partition_implILS5_0ELb0ES3_jN6thrust23THRUST_200600_302600_NS6detail15normal_iteratorINSA_10device_ptrIjEEEEPS6_SG_NS0_5tupleIJNSA_16discard_iteratorINSA_11use_defaultEEESF_EEENSH_IJSG_SG_EEES6_PlJ7is_evenIjEEEE10hipError_tPvRmT3_T4_T5_T6_T7_T9_mT8_P12ihipStream_tbDpT10_ENKUlT_T0_E_clISt17integral_constantIbLb1EES19_EEDaS14_S15_EUlS14_E_NS1_11comp_targetILNS1_3genE2ELNS1_11target_archE906ELNS1_3gpuE6ELNS1_3repE0EEENS1_30default_config_static_selectorELNS0_4arch9wavefront6targetE1EEEvT1_
	.globl	_ZN7rocprim17ROCPRIM_400000_NS6detail17trampoline_kernelINS0_14default_configENS1_25partition_config_selectorILNS1_17partition_subalgoE0EjNS0_10empty_typeEbEEZZNS1_14partition_implILS5_0ELb0ES3_jN6thrust23THRUST_200600_302600_NS6detail15normal_iteratorINSA_10device_ptrIjEEEEPS6_SG_NS0_5tupleIJNSA_16discard_iteratorINSA_11use_defaultEEESF_EEENSH_IJSG_SG_EEES6_PlJ7is_evenIjEEEE10hipError_tPvRmT3_T4_T5_T6_T7_T9_mT8_P12ihipStream_tbDpT10_ENKUlT_T0_E_clISt17integral_constantIbLb1EES19_EEDaS14_S15_EUlS14_E_NS1_11comp_targetILNS1_3genE2ELNS1_11target_archE906ELNS1_3gpuE6ELNS1_3repE0EEENS1_30default_config_static_selectorELNS0_4arch9wavefront6targetE1EEEvT1_
	.p2align	8
	.type	_ZN7rocprim17ROCPRIM_400000_NS6detail17trampoline_kernelINS0_14default_configENS1_25partition_config_selectorILNS1_17partition_subalgoE0EjNS0_10empty_typeEbEEZZNS1_14partition_implILS5_0ELb0ES3_jN6thrust23THRUST_200600_302600_NS6detail15normal_iteratorINSA_10device_ptrIjEEEEPS6_SG_NS0_5tupleIJNSA_16discard_iteratorINSA_11use_defaultEEESF_EEENSH_IJSG_SG_EEES6_PlJ7is_evenIjEEEE10hipError_tPvRmT3_T4_T5_T6_T7_T9_mT8_P12ihipStream_tbDpT10_ENKUlT_T0_E_clISt17integral_constantIbLb1EES19_EEDaS14_S15_EUlS14_E_NS1_11comp_targetILNS1_3genE2ELNS1_11target_archE906ELNS1_3gpuE6ELNS1_3repE0EEENS1_30default_config_static_selectorELNS0_4arch9wavefront6targetE1EEEvT1_,@function
_ZN7rocprim17ROCPRIM_400000_NS6detail17trampoline_kernelINS0_14default_configENS1_25partition_config_selectorILNS1_17partition_subalgoE0EjNS0_10empty_typeEbEEZZNS1_14partition_implILS5_0ELb0ES3_jN6thrust23THRUST_200600_302600_NS6detail15normal_iteratorINSA_10device_ptrIjEEEEPS6_SG_NS0_5tupleIJNSA_16discard_iteratorINSA_11use_defaultEEESF_EEENSH_IJSG_SG_EEES6_PlJ7is_evenIjEEEE10hipError_tPvRmT3_T4_T5_T6_T7_T9_mT8_P12ihipStream_tbDpT10_ENKUlT_T0_E_clISt17integral_constantIbLb1EES19_EEDaS14_S15_EUlS14_E_NS1_11comp_targetILNS1_3genE2ELNS1_11target_archE906ELNS1_3gpuE6ELNS1_3repE0EEENS1_30default_config_static_selectorELNS0_4arch9wavefront6targetE1EEEvT1_: ; @_ZN7rocprim17ROCPRIM_400000_NS6detail17trampoline_kernelINS0_14default_configENS1_25partition_config_selectorILNS1_17partition_subalgoE0EjNS0_10empty_typeEbEEZZNS1_14partition_implILS5_0ELb0ES3_jN6thrust23THRUST_200600_302600_NS6detail15normal_iteratorINSA_10device_ptrIjEEEEPS6_SG_NS0_5tupleIJNSA_16discard_iteratorINSA_11use_defaultEEESF_EEENSH_IJSG_SG_EEES6_PlJ7is_evenIjEEEE10hipError_tPvRmT3_T4_T5_T6_T7_T9_mT8_P12ihipStream_tbDpT10_ENKUlT_T0_E_clISt17integral_constantIbLb1EES19_EEDaS14_S15_EUlS14_E_NS1_11comp_targetILNS1_3genE2ELNS1_11target_archE906ELNS1_3gpuE6ELNS1_3repE0EEENS1_30default_config_static_selectorELNS0_4arch9wavefront6targetE1EEEvT1_
; %bb.0:
	.section	.rodata,"a",@progbits
	.p2align	6, 0x0
	.amdhsa_kernel _ZN7rocprim17ROCPRIM_400000_NS6detail17trampoline_kernelINS0_14default_configENS1_25partition_config_selectorILNS1_17partition_subalgoE0EjNS0_10empty_typeEbEEZZNS1_14partition_implILS5_0ELb0ES3_jN6thrust23THRUST_200600_302600_NS6detail15normal_iteratorINSA_10device_ptrIjEEEEPS6_SG_NS0_5tupleIJNSA_16discard_iteratorINSA_11use_defaultEEESF_EEENSH_IJSG_SG_EEES6_PlJ7is_evenIjEEEE10hipError_tPvRmT3_T4_T5_T6_T7_T9_mT8_P12ihipStream_tbDpT10_ENKUlT_T0_E_clISt17integral_constantIbLb1EES19_EEDaS14_S15_EUlS14_E_NS1_11comp_targetILNS1_3genE2ELNS1_11target_archE906ELNS1_3gpuE6ELNS1_3repE0EEENS1_30default_config_static_selectorELNS0_4arch9wavefront6targetE1EEEvT1_
		.amdhsa_group_segment_fixed_size 0
		.amdhsa_private_segment_fixed_size 0
		.amdhsa_kernarg_size 144
		.amdhsa_user_sgpr_count 6
		.amdhsa_user_sgpr_private_segment_buffer 1
		.amdhsa_user_sgpr_dispatch_ptr 0
		.amdhsa_user_sgpr_queue_ptr 0
		.amdhsa_user_sgpr_kernarg_segment_ptr 1
		.amdhsa_user_sgpr_dispatch_id 0
		.amdhsa_user_sgpr_flat_scratch_init 0
		.amdhsa_user_sgpr_kernarg_preload_length 0
		.amdhsa_user_sgpr_kernarg_preload_offset 0
		.amdhsa_user_sgpr_private_segment_size 0
		.amdhsa_uses_dynamic_stack 0
		.amdhsa_system_sgpr_private_segment_wavefront_offset 0
		.amdhsa_system_sgpr_workgroup_id_x 1
		.amdhsa_system_sgpr_workgroup_id_y 0
		.amdhsa_system_sgpr_workgroup_id_z 0
		.amdhsa_system_sgpr_workgroup_info 0
		.amdhsa_system_vgpr_workitem_id 0
		.amdhsa_next_free_vgpr 1
		.amdhsa_next_free_sgpr 0
		.amdhsa_accum_offset 4
		.amdhsa_reserve_vcc 0
		.amdhsa_reserve_flat_scratch 0
		.amdhsa_float_round_mode_32 0
		.amdhsa_float_round_mode_16_64 0
		.amdhsa_float_denorm_mode_32 3
		.amdhsa_float_denorm_mode_16_64 3
		.amdhsa_dx10_clamp 1
		.amdhsa_ieee_mode 1
		.amdhsa_fp16_overflow 0
		.amdhsa_tg_split 0
		.amdhsa_exception_fp_ieee_invalid_op 0
		.amdhsa_exception_fp_denorm_src 0
		.amdhsa_exception_fp_ieee_div_zero 0
		.amdhsa_exception_fp_ieee_overflow 0
		.amdhsa_exception_fp_ieee_underflow 0
		.amdhsa_exception_fp_ieee_inexact 0
		.amdhsa_exception_int_div_zero 0
	.end_amdhsa_kernel
	.section	.text._ZN7rocprim17ROCPRIM_400000_NS6detail17trampoline_kernelINS0_14default_configENS1_25partition_config_selectorILNS1_17partition_subalgoE0EjNS0_10empty_typeEbEEZZNS1_14partition_implILS5_0ELb0ES3_jN6thrust23THRUST_200600_302600_NS6detail15normal_iteratorINSA_10device_ptrIjEEEEPS6_SG_NS0_5tupleIJNSA_16discard_iteratorINSA_11use_defaultEEESF_EEENSH_IJSG_SG_EEES6_PlJ7is_evenIjEEEE10hipError_tPvRmT3_T4_T5_T6_T7_T9_mT8_P12ihipStream_tbDpT10_ENKUlT_T0_E_clISt17integral_constantIbLb1EES19_EEDaS14_S15_EUlS14_E_NS1_11comp_targetILNS1_3genE2ELNS1_11target_archE906ELNS1_3gpuE6ELNS1_3repE0EEENS1_30default_config_static_selectorELNS0_4arch9wavefront6targetE1EEEvT1_,"axG",@progbits,_ZN7rocprim17ROCPRIM_400000_NS6detail17trampoline_kernelINS0_14default_configENS1_25partition_config_selectorILNS1_17partition_subalgoE0EjNS0_10empty_typeEbEEZZNS1_14partition_implILS5_0ELb0ES3_jN6thrust23THRUST_200600_302600_NS6detail15normal_iteratorINSA_10device_ptrIjEEEEPS6_SG_NS0_5tupleIJNSA_16discard_iteratorINSA_11use_defaultEEESF_EEENSH_IJSG_SG_EEES6_PlJ7is_evenIjEEEE10hipError_tPvRmT3_T4_T5_T6_T7_T9_mT8_P12ihipStream_tbDpT10_ENKUlT_T0_E_clISt17integral_constantIbLb1EES19_EEDaS14_S15_EUlS14_E_NS1_11comp_targetILNS1_3genE2ELNS1_11target_archE906ELNS1_3gpuE6ELNS1_3repE0EEENS1_30default_config_static_selectorELNS0_4arch9wavefront6targetE1EEEvT1_,comdat
.Lfunc_end2471:
	.size	_ZN7rocprim17ROCPRIM_400000_NS6detail17trampoline_kernelINS0_14default_configENS1_25partition_config_selectorILNS1_17partition_subalgoE0EjNS0_10empty_typeEbEEZZNS1_14partition_implILS5_0ELb0ES3_jN6thrust23THRUST_200600_302600_NS6detail15normal_iteratorINSA_10device_ptrIjEEEEPS6_SG_NS0_5tupleIJNSA_16discard_iteratorINSA_11use_defaultEEESF_EEENSH_IJSG_SG_EEES6_PlJ7is_evenIjEEEE10hipError_tPvRmT3_T4_T5_T6_T7_T9_mT8_P12ihipStream_tbDpT10_ENKUlT_T0_E_clISt17integral_constantIbLb1EES19_EEDaS14_S15_EUlS14_E_NS1_11comp_targetILNS1_3genE2ELNS1_11target_archE906ELNS1_3gpuE6ELNS1_3repE0EEENS1_30default_config_static_selectorELNS0_4arch9wavefront6targetE1EEEvT1_, .Lfunc_end2471-_ZN7rocprim17ROCPRIM_400000_NS6detail17trampoline_kernelINS0_14default_configENS1_25partition_config_selectorILNS1_17partition_subalgoE0EjNS0_10empty_typeEbEEZZNS1_14partition_implILS5_0ELb0ES3_jN6thrust23THRUST_200600_302600_NS6detail15normal_iteratorINSA_10device_ptrIjEEEEPS6_SG_NS0_5tupleIJNSA_16discard_iteratorINSA_11use_defaultEEESF_EEENSH_IJSG_SG_EEES6_PlJ7is_evenIjEEEE10hipError_tPvRmT3_T4_T5_T6_T7_T9_mT8_P12ihipStream_tbDpT10_ENKUlT_T0_E_clISt17integral_constantIbLb1EES19_EEDaS14_S15_EUlS14_E_NS1_11comp_targetILNS1_3genE2ELNS1_11target_archE906ELNS1_3gpuE6ELNS1_3repE0EEENS1_30default_config_static_selectorELNS0_4arch9wavefront6targetE1EEEvT1_
                                        ; -- End function
	.section	.AMDGPU.csdata,"",@progbits
; Kernel info:
; codeLenInByte = 0
; NumSgprs: 4
; NumVgprs: 0
; NumAgprs: 0
; TotalNumVgprs: 0
; ScratchSize: 0
; MemoryBound: 0
; FloatMode: 240
; IeeeMode: 1
; LDSByteSize: 0 bytes/workgroup (compile time only)
; SGPRBlocks: 0
; VGPRBlocks: 0
; NumSGPRsForWavesPerEU: 4
; NumVGPRsForWavesPerEU: 1
; AccumOffset: 4
; Occupancy: 8
; WaveLimiterHint : 0
; COMPUTE_PGM_RSRC2:SCRATCH_EN: 0
; COMPUTE_PGM_RSRC2:USER_SGPR: 6
; COMPUTE_PGM_RSRC2:TRAP_HANDLER: 0
; COMPUTE_PGM_RSRC2:TGID_X_EN: 1
; COMPUTE_PGM_RSRC2:TGID_Y_EN: 0
; COMPUTE_PGM_RSRC2:TGID_Z_EN: 0
; COMPUTE_PGM_RSRC2:TIDIG_COMP_CNT: 0
; COMPUTE_PGM_RSRC3_GFX90A:ACCUM_OFFSET: 0
; COMPUTE_PGM_RSRC3_GFX90A:TG_SPLIT: 0
	.section	.text._ZN7rocprim17ROCPRIM_400000_NS6detail17trampoline_kernelINS0_14default_configENS1_25partition_config_selectorILNS1_17partition_subalgoE0EjNS0_10empty_typeEbEEZZNS1_14partition_implILS5_0ELb0ES3_jN6thrust23THRUST_200600_302600_NS6detail15normal_iteratorINSA_10device_ptrIjEEEEPS6_SG_NS0_5tupleIJNSA_16discard_iteratorINSA_11use_defaultEEESF_EEENSH_IJSG_SG_EEES6_PlJ7is_evenIjEEEE10hipError_tPvRmT3_T4_T5_T6_T7_T9_mT8_P12ihipStream_tbDpT10_ENKUlT_T0_E_clISt17integral_constantIbLb1EES19_EEDaS14_S15_EUlS14_E_NS1_11comp_targetILNS1_3genE10ELNS1_11target_archE1200ELNS1_3gpuE4ELNS1_3repE0EEENS1_30default_config_static_selectorELNS0_4arch9wavefront6targetE1EEEvT1_,"axG",@progbits,_ZN7rocprim17ROCPRIM_400000_NS6detail17trampoline_kernelINS0_14default_configENS1_25partition_config_selectorILNS1_17partition_subalgoE0EjNS0_10empty_typeEbEEZZNS1_14partition_implILS5_0ELb0ES3_jN6thrust23THRUST_200600_302600_NS6detail15normal_iteratorINSA_10device_ptrIjEEEEPS6_SG_NS0_5tupleIJNSA_16discard_iteratorINSA_11use_defaultEEESF_EEENSH_IJSG_SG_EEES6_PlJ7is_evenIjEEEE10hipError_tPvRmT3_T4_T5_T6_T7_T9_mT8_P12ihipStream_tbDpT10_ENKUlT_T0_E_clISt17integral_constantIbLb1EES19_EEDaS14_S15_EUlS14_E_NS1_11comp_targetILNS1_3genE10ELNS1_11target_archE1200ELNS1_3gpuE4ELNS1_3repE0EEENS1_30default_config_static_selectorELNS0_4arch9wavefront6targetE1EEEvT1_,comdat
	.protected	_ZN7rocprim17ROCPRIM_400000_NS6detail17trampoline_kernelINS0_14default_configENS1_25partition_config_selectorILNS1_17partition_subalgoE0EjNS0_10empty_typeEbEEZZNS1_14partition_implILS5_0ELb0ES3_jN6thrust23THRUST_200600_302600_NS6detail15normal_iteratorINSA_10device_ptrIjEEEEPS6_SG_NS0_5tupleIJNSA_16discard_iteratorINSA_11use_defaultEEESF_EEENSH_IJSG_SG_EEES6_PlJ7is_evenIjEEEE10hipError_tPvRmT3_T4_T5_T6_T7_T9_mT8_P12ihipStream_tbDpT10_ENKUlT_T0_E_clISt17integral_constantIbLb1EES19_EEDaS14_S15_EUlS14_E_NS1_11comp_targetILNS1_3genE10ELNS1_11target_archE1200ELNS1_3gpuE4ELNS1_3repE0EEENS1_30default_config_static_selectorELNS0_4arch9wavefront6targetE1EEEvT1_ ; -- Begin function _ZN7rocprim17ROCPRIM_400000_NS6detail17trampoline_kernelINS0_14default_configENS1_25partition_config_selectorILNS1_17partition_subalgoE0EjNS0_10empty_typeEbEEZZNS1_14partition_implILS5_0ELb0ES3_jN6thrust23THRUST_200600_302600_NS6detail15normal_iteratorINSA_10device_ptrIjEEEEPS6_SG_NS0_5tupleIJNSA_16discard_iteratorINSA_11use_defaultEEESF_EEENSH_IJSG_SG_EEES6_PlJ7is_evenIjEEEE10hipError_tPvRmT3_T4_T5_T6_T7_T9_mT8_P12ihipStream_tbDpT10_ENKUlT_T0_E_clISt17integral_constantIbLb1EES19_EEDaS14_S15_EUlS14_E_NS1_11comp_targetILNS1_3genE10ELNS1_11target_archE1200ELNS1_3gpuE4ELNS1_3repE0EEENS1_30default_config_static_selectorELNS0_4arch9wavefront6targetE1EEEvT1_
	.globl	_ZN7rocprim17ROCPRIM_400000_NS6detail17trampoline_kernelINS0_14default_configENS1_25partition_config_selectorILNS1_17partition_subalgoE0EjNS0_10empty_typeEbEEZZNS1_14partition_implILS5_0ELb0ES3_jN6thrust23THRUST_200600_302600_NS6detail15normal_iteratorINSA_10device_ptrIjEEEEPS6_SG_NS0_5tupleIJNSA_16discard_iteratorINSA_11use_defaultEEESF_EEENSH_IJSG_SG_EEES6_PlJ7is_evenIjEEEE10hipError_tPvRmT3_T4_T5_T6_T7_T9_mT8_P12ihipStream_tbDpT10_ENKUlT_T0_E_clISt17integral_constantIbLb1EES19_EEDaS14_S15_EUlS14_E_NS1_11comp_targetILNS1_3genE10ELNS1_11target_archE1200ELNS1_3gpuE4ELNS1_3repE0EEENS1_30default_config_static_selectorELNS0_4arch9wavefront6targetE1EEEvT1_
	.p2align	8
	.type	_ZN7rocprim17ROCPRIM_400000_NS6detail17trampoline_kernelINS0_14default_configENS1_25partition_config_selectorILNS1_17partition_subalgoE0EjNS0_10empty_typeEbEEZZNS1_14partition_implILS5_0ELb0ES3_jN6thrust23THRUST_200600_302600_NS6detail15normal_iteratorINSA_10device_ptrIjEEEEPS6_SG_NS0_5tupleIJNSA_16discard_iteratorINSA_11use_defaultEEESF_EEENSH_IJSG_SG_EEES6_PlJ7is_evenIjEEEE10hipError_tPvRmT3_T4_T5_T6_T7_T9_mT8_P12ihipStream_tbDpT10_ENKUlT_T0_E_clISt17integral_constantIbLb1EES19_EEDaS14_S15_EUlS14_E_NS1_11comp_targetILNS1_3genE10ELNS1_11target_archE1200ELNS1_3gpuE4ELNS1_3repE0EEENS1_30default_config_static_selectorELNS0_4arch9wavefront6targetE1EEEvT1_,@function
_ZN7rocprim17ROCPRIM_400000_NS6detail17trampoline_kernelINS0_14default_configENS1_25partition_config_selectorILNS1_17partition_subalgoE0EjNS0_10empty_typeEbEEZZNS1_14partition_implILS5_0ELb0ES3_jN6thrust23THRUST_200600_302600_NS6detail15normal_iteratorINSA_10device_ptrIjEEEEPS6_SG_NS0_5tupleIJNSA_16discard_iteratorINSA_11use_defaultEEESF_EEENSH_IJSG_SG_EEES6_PlJ7is_evenIjEEEE10hipError_tPvRmT3_T4_T5_T6_T7_T9_mT8_P12ihipStream_tbDpT10_ENKUlT_T0_E_clISt17integral_constantIbLb1EES19_EEDaS14_S15_EUlS14_E_NS1_11comp_targetILNS1_3genE10ELNS1_11target_archE1200ELNS1_3gpuE4ELNS1_3repE0EEENS1_30default_config_static_selectorELNS0_4arch9wavefront6targetE1EEEvT1_: ; @_ZN7rocprim17ROCPRIM_400000_NS6detail17trampoline_kernelINS0_14default_configENS1_25partition_config_selectorILNS1_17partition_subalgoE0EjNS0_10empty_typeEbEEZZNS1_14partition_implILS5_0ELb0ES3_jN6thrust23THRUST_200600_302600_NS6detail15normal_iteratorINSA_10device_ptrIjEEEEPS6_SG_NS0_5tupleIJNSA_16discard_iteratorINSA_11use_defaultEEESF_EEENSH_IJSG_SG_EEES6_PlJ7is_evenIjEEEE10hipError_tPvRmT3_T4_T5_T6_T7_T9_mT8_P12ihipStream_tbDpT10_ENKUlT_T0_E_clISt17integral_constantIbLb1EES19_EEDaS14_S15_EUlS14_E_NS1_11comp_targetILNS1_3genE10ELNS1_11target_archE1200ELNS1_3gpuE4ELNS1_3repE0EEENS1_30default_config_static_selectorELNS0_4arch9wavefront6targetE1EEEvT1_
; %bb.0:
	.section	.rodata,"a",@progbits
	.p2align	6, 0x0
	.amdhsa_kernel _ZN7rocprim17ROCPRIM_400000_NS6detail17trampoline_kernelINS0_14default_configENS1_25partition_config_selectorILNS1_17partition_subalgoE0EjNS0_10empty_typeEbEEZZNS1_14partition_implILS5_0ELb0ES3_jN6thrust23THRUST_200600_302600_NS6detail15normal_iteratorINSA_10device_ptrIjEEEEPS6_SG_NS0_5tupleIJNSA_16discard_iteratorINSA_11use_defaultEEESF_EEENSH_IJSG_SG_EEES6_PlJ7is_evenIjEEEE10hipError_tPvRmT3_T4_T5_T6_T7_T9_mT8_P12ihipStream_tbDpT10_ENKUlT_T0_E_clISt17integral_constantIbLb1EES19_EEDaS14_S15_EUlS14_E_NS1_11comp_targetILNS1_3genE10ELNS1_11target_archE1200ELNS1_3gpuE4ELNS1_3repE0EEENS1_30default_config_static_selectorELNS0_4arch9wavefront6targetE1EEEvT1_
		.amdhsa_group_segment_fixed_size 0
		.amdhsa_private_segment_fixed_size 0
		.amdhsa_kernarg_size 144
		.amdhsa_user_sgpr_count 6
		.amdhsa_user_sgpr_private_segment_buffer 1
		.amdhsa_user_sgpr_dispatch_ptr 0
		.amdhsa_user_sgpr_queue_ptr 0
		.amdhsa_user_sgpr_kernarg_segment_ptr 1
		.amdhsa_user_sgpr_dispatch_id 0
		.amdhsa_user_sgpr_flat_scratch_init 0
		.amdhsa_user_sgpr_kernarg_preload_length 0
		.amdhsa_user_sgpr_kernarg_preload_offset 0
		.amdhsa_user_sgpr_private_segment_size 0
		.amdhsa_uses_dynamic_stack 0
		.amdhsa_system_sgpr_private_segment_wavefront_offset 0
		.amdhsa_system_sgpr_workgroup_id_x 1
		.amdhsa_system_sgpr_workgroup_id_y 0
		.amdhsa_system_sgpr_workgroup_id_z 0
		.amdhsa_system_sgpr_workgroup_info 0
		.amdhsa_system_vgpr_workitem_id 0
		.amdhsa_next_free_vgpr 1
		.amdhsa_next_free_sgpr 0
		.amdhsa_accum_offset 4
		.amdhsa_reserve_vcc 0
		.amdhsa_reserve_flat_scratch 0
		.amdhsa_float_round_mode_32 0
		.amdhsa_float_round_mode_16_64 0
		.amdhsa_float_denorm_mode_32 3
		.amdhsa_float_denorm_mode_16_64 3
		.amdhsa_dx10_clamp 1
		.amdhsa_ieee_mode 1
		.amdhsa_fp16_overflow 0
		.amdhsa_tg_split 0
		.amdhsa_exception_fp_ieee_invalid_op 0
		.amdhsa_exception_fp_denorm_src 0
		.amdhsa_exception_fp_ieee_div_zero 0
		.amdhsa_exception_fp_ieee_overflow 0
		.amdhsa_exception_fp_ieee_underflow 0
		.amdhsa_exception_fp_ieee_inexact 0
		.amdhsa_exception_int_div_zero 0
	.end_amdhsa_kernel
	.section	.text._ZN7rocprim17ROCPRIM_400000_NS6detail17trampoline_kernelINS0_14default_configENS1_25partition_config_selectorILNS1_17partition_subalgoE0EjNS0_10empty_typeEbEEZZNS1_14partition_implILS5_0ELb0ES3_jN6thrust23THRUST_200600_302600_NS6detail15normal_iteratorINSA_10device_ptrIjEEEEPS6_SG_NS0_5tupleIJNSA_16discard_iteratorINSA_11use_defaultEEESF_EEENSH_IJSG_SG_EEES6_PlJ7is_evenIjEEEE10hipError_tPvRmT3_T4_T5_T6_T7_T9_mT8_P12ihipStream_tbDpT10_ENKUlT_T0_E_clISt17integral_constantIbLb1EES19_EEDaS14_S15_EUlS14_E_NS1_11comp_targetILNS1_3genE10ELNS1_11target_archE1200ELNS1_3gpuE4ELNS1_3repE0EEENS1_30default_config_static_selectorELNS0_4arch9wavefront6targetE1EEEvT1_,"axG",@progbits,_ZN7rocprim17ROCPRIM_400000_NS6detail17trampoline_kernelINS0_14default_configENS1_25partition_config_selectorILNS1_17partition_subalgoE0EjNS0_10empty_typeEbEEZZNS1_14partition_implILS5_0ELb0ES3_jN6thrust23THRUST_200600_302600_NS6detail15normal_iteratorINSA_10device_ptrIjEEEEPS6_SG_NS0_5tupleIJNSA_16discard_iteratorINSA_11use_defaultEEESF_EEENSH_IJSG_SG_EEES6_PlJ7is_evenIjEEEE10hipError_tPvRmT3_T4_T5_T6_T7_T9_mT8_P12ihipStream_tbDpT10_ENKUlT_T0_E_clISt17integral_constantIbLb1EES19_EEDaS14_S15_EUlS14_E_NS1_11comp_targetILNS1_3genE10ELNS1_11target_archE1200ELNS1_3gpuE4ELNS1_3repE0EEENS1_30default_config_static_selectorELNS0_4arch9wavefront6targetE1EEEvT1_,comdat
.Lfunc_end2472:
	.size	_ZN7rocprim17ROCPRIM_400000_NS6detail17trampoline_kernelINS0_14default_configENS1_25partition_config_selectorILNS1_17partition_subalgoE0EjNS0_10empty_typeEbEEZZNS1_14partition_implILS5_0ELb0ES3_jN6thrust23THRUST_200600_302600_NS6detail15normal_iteratorINSA_10device_ptrIjEEEEPS6_SG_NS0_5tupleIJNSA_16discard_iteratorINSA_11use_defaultEEESF_EEENSH_IJSG_SG_EEES6_PlJ7is_evenIjEEEE10hipError_tPvRmT3_T4_T5_T6_T7_T9_mT8_P12ihipStream_tbDpT10_ENKUlT_T0_E_clISt17integral_constantIbLb1EES19_EEDaS14_S15_EUlS14_E_NS1_11comp_targetILNS1_3genE10ELNS1_11target_archE1200ELNS1_3gpuE4ELNS1_3repE0EEENS1_30default_config_static_selectorELNS0_4arch9wavefront6targetE1EEEvT1_, .Lfunc_end2472-_ZN7rocprim17ROCPRIM_400000_NS6detail17trampoline_kernelINS0_14default_configENS1_25partition_config_selectorILNS1_17partition_subalgoE0EjNS0_10empty_typeEbEEZZNS1_14partition_implILS5_0ELb0ES3_jN6thrust23THRUST_200600_302600_NS6detail15normal_iteratorINSA_10device_ptrIjEEEEPS6_SG_NS0_5tupleIJNSA_16discard_iteratorINSA_11use_defaultEEESF_EEENSH_IJSG_SG_EEES6_PlJ7is_evenIjEEEE10hipError_tPvRmT3_T4_T5_T6_T7_T9_mT8_P12ihipStream_tbDpT10_ENKUlT_T0_E_clISt17integral_constantIbLb1EES19_EEDaS14_S15_EUlS14_E_NS1_11comp_targetILNS1_3genE10ELNS1_11target_archE1200ELNS1_3gpuE4ELNS1_3repE0EEENS1_30default_config_static_selectorELNS0_4arch9wavefront6targetE1EEEvT1_
                                        ; -- End function
	.section	.AMDGPU.csdata,"",@progbits
; Kernel info:
; codeLenInByte = 0
; NumSgprs: 4
; NumVgprs: 0
; NumAgprs: 0
; TotalNumVgprs: 0
; ScratchSize: 0
; MemoryBound: 0
; FloatMode: 240
; IeeeMode: 1
; LDSByteSize: 0 bytes/workgroup (compile time only)
; SGPRBlocks: 0
; VGPRBlocks: 0
; NumSGPRsForWavesPerEU: 4
; NumVGPRsForWavesPerEU: 1
; AccumOffset: 4
; Occupancy: 8
; WaveLimiterHint : 0
; COMPUTE_PGM_RSRC2:SCRATCH_EN: 0
; COMPUTE_PGM_RSRC2:USER_SGPR: 6
; COMPUTE_PGM_RSRC2:TRAP_HANDLER: 0
; COMPUTE_PGM_RSRC2:TGID_X_EN: 1
; COMPUTE_PGM_RSRC2:TGID_Y_EN: 0
; COMPUTE_PGM_RSRC2:TGID_Z_EN: 0
; COMPUTE_PGM_RSRC2:TIDIG_COMP_CNT: 0
; COMPUTE_PGM_RSRC3_GFX90A:ACCUM_OFFSET: 0
; COMPUTE_PGM_RSRC3_GFX90A:TG_SPLIT: 0
	.section	.text._ZN7rocprim17ROCPRIM_400000_NS6detail17trampoline_kernelINS0_14default_configENS1_25partition_config_selectorILNS1_17partition_subalgoE0EjNS0_10empty_typeEbEEZZNS1_14partition_implILS5_0ELb0ES3_jN6thrust23THRUST_200600_302600_NS6detail15normal_iteratorINSA_10device_ptrIjEEEEPS6_SG_NS0_5tupleIJNSA_16discard_iteratorINSA_11use_defaultEEESF_EEENSH_IJSG_SG_EEES6_PlJ7is_evenIjEEEE10hipError_tPvRmT3_T4_T5_T6_T7_T9_mT8_P12ihipStream_tbDpT10_ENKUlT_T0_E_clISt17integral_constantIbLb1EES19_EEDaS14_S15_EUlS14_E_NS1_11comp_targetILNS1_3genE9ELNS1_11target_archE1100ELNS1_3gpuE3ELNS1_3repE0EEENS1_30default_config_static_selectorELNS0_4arch9wavefront6targetE1EEEvT1_,"axG",@progbits,_ZN7rocprim17ROCPRIM_400000_NS6detail17trampoline_kernelINS0_14default_configENS1_25partition_config_selectorILNS1_17partition_subalgoE0EjNS0_10empty_typeEbEEZZNS1_14partition_implILS5_0ELb0ES3_jN6thrust23THRUST_200600_302600_NS6detail15normal_iteratorINSA_10device_ptrIjEEEEPS6_SG_NS0_5tupleIJNSA_16discard_iteratorINSA_11use_defaultEEESF_EEENSH_IJSG_SG_EEES6_PlJ7is_evenIjEEEE10hipError_tPvRmT3_T4_T5_T6_T7_T9_mT8_P12ihipStream_tbDpT10_ENKUlT_T0_E_clISt17integral_constantIbLb1EES19_EEDaS14_S15_EUlS14_E_NS1_11comp_targetILNS1_3genE9ELNS1_11target_archE1100ELNS1_3gpuE3ELNS1_3repE0EEENS1_30default_config_static_selectorELNS0_4arch9wavefront6targetE1EEEvT1_,comdat
	.protected	_ZN7rocprim17ROCPRIM_400000_NS6detail17trampoline_kernelINS0_14default_configENS1_25partition_config_selectorILNS1_17partition_subalgoE0EjNS0_10empty_typeEbEEZZNS1_14partition_implILS5_0ELb0ES3_jN6thrust23THRUST_200600_302600_NS6detail15normal_iteratorINSA_10device_ptrIjEEEEPS6_SG_NS0_5tupleIJNSA_16discard_iteratorINSA_11use_defaultEEESF_EEENSH_IJSG_SG_EEES6_PlJ7is_evenIjEEEE10hipError_tPvRmT3_T4_T5_T6_T7_T9_mT8_P12ihipStream_tbDpT10_ENKUlT_T0_E_clISt17integral_constantIbLb1EES19_EEDaS14_S15_EUlS14_E_NS1_11comp_targetILNS1_3genE9ELNS1_11target_archE1100ELNS1_3gpuE3ELNS1_3repE0EEENS1_30default_config_static_selectorELNS0_4arch9wavefront6targetE1EEEvT1_ ; -- Begin function _ZN7rocprim17ROCPRIM_400000_NS6detail17trampoline_kernelINS0_14default_configENS1_25partition_config_selectorILNS1_17partition_subalgoE0EjNS0_10empty_typeEbEEZZNS1_14partition_implILS5_0ELb0ES3_jN6thrust23THRUST_200600_302600_NS6detail15normal_iteratorINSA_10device_ptrIjEEEEPS6_SG_NS0_5tupleIJNSA_16discard_iteratorINSA_11use_defaultEEESF_EEENSH_IJSG_SG_EEES6_PlJ7is_evenIjEEEE10hipError_tPvRmT3_T4_T5_T6_T7_T9_mT8_P12ihipStream_tbDpT10_ENKUlT_T0_E_clISt17integral_constantIbLb1EES19_EEDaS14_S15_EUlS14_E_NS1_11comp_targetILNS1_3genE9ELNS1_11target_archE1100ELNS1_3gpuE3ELNS1_3repE0EEENS1_30default_config_static_selectorELNS0_4arch9wavefront6targetE1EEEvT1_
	.globl	_ZN7rocprim17ROCPRIM_400000_NS6detail17trampoline_kernelINS0_14default_configENS1_25partition_config_selectorILNS1_17partition_subalgoE0EjNS0_10empty_typeEbEEZZNS1_14partition_implILS5_0ELb0ES3_jN6thrust23THRUST_200600_302600_NS6detail15normal_iteratorINSA_10device_ptrIjEEEEPS6_SG_NS0_5tupleIJNSA_16discard_iteratorINSA_11use_defaultEEESF_EEENSH_IJSG_SG_EEES6_PlJ7is_evenIjEEEE10hipError_tPvRmT3_T4_T5_T6_T7_T9_mT8_P12ihipStream_tbDpT10_ENKUlT_T0_E_clISt17integral_constantIbLb1EES19_EEDaS14_S15_EUlS14_E_NS1_11comp_targetILNS1_3genE9ELNS1_11target_archE1100ELNS1_3gpuE3ELNS1_3repE0EEENS1_30default_config_static_selectorELNS0_4arch9wavefront6targetE1EEEvT1_
	.p2align	8
	.type	_ZN7rocprim17ROCPRIM_400000_NS6detail17trampoline_kernelINS0_14default_configENS1_25partition_config_selectorILNS1_17partition_subalgoE0EjNS0_10empty_typeEbEEZZNS1_14partition_implILS5_0ELb0ES3_jN6thrust23THRUST_200600_302600_NS6detail15normal_iteratorINSA_10device_ptrIjEEEEPS6_SG_NS0_5tupleIJNSA_16discard_iteratorINSA_11use_defaultEEESF_EEENSH_IJSG_SG_EEES6_PlJ7is_evenIjEEEE10hipError_tPvRmT3_T4_T5_T6_T7_T9_mT8_P12ihipStream_tbDpT10_ENKUlT_T0_E_clISt17integral_constantIbLb1EES19_EEDaS14_S15_EUlS14_E_NS1_11comp_targetILNS1_3genE9ELNS1_11target_archE1100ELNS1_3gpuE3ELNS1_3repE0EEENS1_30default_config_static_selectorELNS0_4arch9wavefront6targetE1EEEvT1_,@function
_ZN7rocprim17ROCPRIM_400000_NS6detail17trampoline_kernelINS0_14default_configENS1_25partition_config_selectorILNS1_17partition_subalgoE0EjNS0_10empty_typeEbEEZZNS1_14partition_implILS5_0ELb0ES3_jN6thrust23THRUST_200600_302600_NS6detail15normal_iteratorINSA_10device_ptrIjEEEEPS6_SG_NS0_5tupleIJNSA_16discard_iteratorINSA_11use_defaultEEESF_EEENSH_IJSG_SG_EEES6_PlJ7is_evenIjEEEE10hipError_tPvRmT3_T4_T5_T6_T7_T9_mT8_P12ihipStream_tbDpT10_ENKUlT_T0_E_clISt17integral_constantIbLb1EES19_EEDaS14_S15_EUlS14_E_NS1_11comp_targetILNS1_3genE9ELNS1_11target_archE1100ELNS1_3gpuE3ELNS1_3repE0EEENS1_30default_config_static_selectorELNS0_4arch9wavefront6targetE1EEEvT1_: ; @_ZN7rocprim17ROCPRIM_400000_NS6detail17trampoline_kernelINS0_14default_configENS1_25partition_config_selectorILNS1_17partition_subalgoE0EjNS0_10empty_typeEbEEZZNS1_14partition_implILS5_0ELb0ES3_jN6thrust23THRUST_200600_302600_NS6detail15normal_iteratorINSA_10device_ptrIjEEEEPS6_SG_NS0_5tupleIJNSA_16discard_iteratorINSA_11use_defaultEEESF_EEENSH_IJSG_SG_EEES6_PlJ7is_evenIjEEEE10hipError_tPvRmT3_T4_T5_T6_T7_T9_mT8_P12ihipStream_tbDpT10_ENKUlT_T0_E_clISt17integral_constantIbLb1EES19_EEDaS14_S15_EUlS14_E_NS1_11comp_targetILNS1_3genE9ELNS1_11target_archE1100ELNS1_3gpuE3ELNS1_3repE0EEENS1_30default_config_static_selectorELNS0_4arch9wavefront6targetE1EEEvT1_
; %bb.0:
	.section	.rodata,"a",@progbits
	.p2align	6, 0x0
	.amdhsa_kernel _ZN7rocprim17ROCPRIM_400000_NS6detail17trampoline_kernelINS0_14default_configENS1_25partition_config_selectorILNS1_17partition_subalgoE0EjNS0_10empty_typeEbEEZZNS1_14partition_implILS5_0ELb0ES3_jN6thrust23THRUST_200600_302600_NS6detail15normal_iteratorINSA_10device_ptrIjEEEEPS6_SG_NS0_5tupleIJNSA_16discard_iteratorINSA_11use_defaultEEESF_EEENSH_IJSG_SG_EEES6_PlJ7is_evenIjEEEE10hipError_tPvRmT3_T4_T5_T6_T7_T9_mT8_P12ihipStream_tbDpT10_ENKUlT_T0_E_clISt17integral_constantIbLb1EES19_EEDaS14_S15_EUlS14_E_NS1_11comp_targetILNS1_3genE9ELNS1_11target_archE1100ELNS1_3gpuE3ELNS1_3repE0EEENS1_30default_config_static_selectorELNS0_4arch9wavefront6targetE1EEEvT1_
		.amdhsa_group_segment_fixed_size 0
		.amdhsa_private_segment_fixed_size 0
		.amdhsa_kernarg_size 144
		.amdhsa_user_sgpr_count 6
		.amdhsa_user_sgpr_private_segment_buffer 1
		.amdhsa_user_sgpr_dispatch_ptr 0
		.amdhsa_user_sgpr_queue_ptr 0
		.amdhsa_user_sgpr_kernarg_segment_ptr 1
		.amdhsa_user_sgpr_dispatch_id 0
		.amdhsa_user_sgpr_flat_scratch_init 0
		.amdhsa_user_sgpr_kernarg_preload_length 0
		.amdhsa_user_sgpr_kernarg_preload_offset 0
		.amdhsa_user_sgpr_private_segment_size 0
		.amdhsa_uses_dynamic_stack 0
		.amdhsa_system_sgpr_private_segment_wavefront_offset 0
		.amdhsa_system_sgpr_workgroup_id_x 1
		.amdhsa_system_sgpr_workgroup_id_y 0
		.amdhsa_system_sgpr_workgroup_id_z 0
		.amdhsa_system_sgpr_workgroup_info 0
		.amdhsa_system_vgpr_workitem_id 0
		.amdhsa_next_free_vgpr 1
		.amdhsa_next_free_sgpr 0
		.amdhsa_accum_offset 4
		.amdhsa_reserve_vcc 0
		.amdhsa_reserve_flat_scratch 0
		.amdhsa_float_round_mode_32 0
		.amdhsa_float_round_mode_16_64 0
		.amdhsa_float_denorm_mode_32 3
		.amdhsa_float_denorm_mode_16_64 3
		.amdhsa_dx10_clamp 1
		.amdhsa_ieee_mode 1
		.amdhsa_fp16_overflow 0
		.amdhsa_tg_split 0
		.amdhsa_exception_fp_ieee_invalid_op 0
		.amdhsa_exception_fp_denorm_src 0
		.amdhsa_exception_fp_ieee_div_zero 0
		.amdhsa_exception_fp_ieee_overflow 0
		.amdhsa_exception_fp_ieee_underflow 0
		.amdhsa_exception_fp_ieee_inexact 0
		.amdhsa_exception_int_div_zero 0
	.end_amdhsa_kernel
	.section	.text._ZN7rocprim17ROCPRIM_400000_NS6detail17trampoline_kernelINS0_14default_configENS1_25partition_config_selectorILNS1_17partition_subalgoE0EjNS0_10empty_typeEbEEZZNS1_14partition_implILS5_0ELb0ES3_jN6thrust23THRUST_200600_302600_NS6detail15normal_iteratorINSA_10device_ptrIjEEEEPS6_SG_NS0_5tupleIJNSA_16discard_iteratorINSA_11use_defaultEEESF_EEENSH_IJSG_SG_EEES6_PlJ7is_evenIjEEEE10hipError_tPvRmT3_T4_T5_T6_T7_T9_mT8_P12ihipStream_tbDpT10_ENKUlT_T0_E_clISt17integral_constantIbLb1EES19_EEDaS14_S15_EUlS14_E_NS1_11comp_targetILNS1_3genE9ELNS1_11target_archE1100ELNS1_3gpuE3ELNS1_3repE0EEENS1_30default_config_static_selectorELNS0_4arch9wavefront6targetE1EEEvT1_,"axG",@progbits,_ZN7rocprim17ROCPRIM_400000_NS6detail17trampoline_kernelINS0_14default_configENS1_25partition_config_selectorILNS1_17partition_subalgoE0EjNS0_10empty_typeEbEEZZNS1_14partition_implILS5_0ELb0ES3_jN6thrust23THRUST_200600_302600_NS6detail15normal_iteratorINSA_10device_ptrIjEEEEPS6_SG_NS0_5tupleIJNSA_16discard_iteratorINSA_11use_defaultEEESF_EEENSH_IJSG_SG_EEES6_PlJ7is_evenIjEEEE10hipError_tPvRmT3_T4_T5_T6_T7_T9_mT8_P12ihipStream_tbDpT10_ENKUlT_T0_E_clISt17integral_constantIbLb1EES19_EEDaS14_S15_EUlS14_E_NS1_11comp_targetILNS1_3genE9ELNS1_11target_archE1100ELNS1_3gpuE3ELNS1_3repE0EEENS1_30default_config_static_selectorELNS0_4arch9wavefront6targetE1EEEvT1_,comdat
.Lfunc_end2473:
	.size	_ZN7rocprim17ROCPRIM_400000_NS6detail17trampoline_kernelINS0_14default_configENS1_25partition_config_selectorILNS1_17partition_subalgoE0EjNS0_10empty_typeEbEEZZNS1_14partition_implILS5_0ELb0ES3_jN6thrust23THRUST_200600_302600_NS6detail15normal_iteratorINSA_10device_ptrIjEEEEPS6_SG_NS0_5tupleIJNSA_16discard_iteratorINSA_11use_defaultEEESF_EEENSH_IJSG_SG_EEES6_PlJ7is_evenIjEEEE10hipError_tPvRmT3_T4_T5_T6_T7_T9_mT8_P12ihipStream_tbDpT10_ENKUlT_T0_E_clISt17integral_constantIbLb1EES19_EEDaS14_S15_EUlS14_E_NS1_11comp_targetILNS1_3genE9ELNS1_11target_archE1100ELNS1_3gpuE3ELNS1_3repE0EEENS1_30default_config_static_selectorELNS0_4arch9wavefront6targetE1EEEvT1_, .Lfunc_end2473-_ZN7rocprim17ROCPRIM_400000_NS6detail17trampoline_kernelINS0_14default_configENS1_25partition_config_selectorILNS1_17partition_subalgoE0EjNS0_10empty_typeEbEEZZNS1_14partition_implILS5_0ELb0ES3_jN6thrust23THRUST_200600_302600_NS6detail15normal_iteratorINSA_10device_ptrIjEEEEPS6_SG_NS0_5tupleIJNSA_16discard_iteratorINSA_11use_defaultEEESF_EEENSH_IJSG_SG_EEES6_PlJ7is_evenIjEEEE10hipError_tPvRmT3_T4_T5_T6_T7_T9_mT8_P12ihipStream_tbDpT10_ENKUlT_T0_E_clISt17integral_constantIbLb1EES19_EEDaS14_S15_EUlS14_E_NS1_11comp_targetILNS1_3genE9ELNS1_11target_archE1100ELNS1_3gpuE3ELNS1_3repE0EEENS1_30default_config_static_selectorELNS0_4arch9wavefront6targetE1EEEvT1_
                                        ; -- End function
	.section	.AMDGPU.csdata,"",@progbits
; Kernel info:
; codeLenInByte = 0
; NumSgprs: 4
; NumVgprs: 0
; NumAgprs: 0
; TotalNumVgprs: 0
; ScratchSize: 0
; MemoryBound: 0
; FloatMode: 240
; IeeeMode: 1
; LDSByteSize: 0 bytes/workgroup (compile time only)
; SGPRBlocks: 0
; VGPRBlocks: 0
; NumSGPRsForWavesPerEU: 4
; NumVGPRsForWavesPerEU: 1
; AccumOffset: 4
; Occupancy: 8
; WaveLimiterHint : 0
; COMPUTE_PGM_RSRC2:SCRATCH_EN: 0
; COMPUTE_PGM_RSRC2:USER_SGPR: 6
; COMPUTE_PGM_RSRC2:TRAP_HANDLER: 0
; COMPUTE_PGM_RSRC2:TGID_X_EN: 1
; COMPUTE_PGM_RSRC2:TGID_Y_EN: 0
; COMPUTE_PGM_RSRC2:TGID_Z_EN: 0
; COMPUTE_PGM_RSRC2:TIDIG_COMP_CNT: 0
; COMPUTE_PGM_RSRC3_GFX90A:ACCUM_OFFSET: 0
; COMPUTE_PGM_RSRC3_GFX90A:TG_SPLIT: 0
	.section	.text._ZN7rocprim17ROCPRIM_400000_NS6detail17trampoline_kernelINS0_14default_configENS1_25partition_config_selectorILNS1_17partition_subalgoE0EjNS0_10empty_typeEbEEZZNS1_14partition_implILS5_0ELb0ES3_jN6thrust23THRUST_200600_302600_NS6detail15normal_iteratorINSA_10device_ptrIjEEEEPS6_SG_NS0_5tupleIJNSA_16discard_iteratorINSA_11use_defaultEEESF_EEENSH_IJSG_SG_EEES6_PlJ7is_evenIjEEEE10hipError_tPvRmT3_T4_T5_T6_T7_T9_mT8_P12ihipStream_tbDpT10_ENKUlT_T0_E_clISt17integral_constantIbLb1EES19_EEDaS14_S15_EUlS14_E_NS1_11comp_targetILNS1_3genE8ELNS1_11target_archE1030ELNS1_3gpuE2ELNS1_3repE0EEENS1_30default_config_static_selectorELNS0_4arch9wavefront6targetE1EEEvT1_,"axG",@progbits,_ZN7rocprim17ROCPRIM_400000_NS6detail17trampoline_kernelINS0_14default_configENS1_25partition_config_selectorILNS1_17partition_subalgoE0EjNS0_10empty_typeEbEEZZNS1_14partition_implILS5_0ELb0ES3_jN6thrust23THRUST_200600_302600_NS6detail15normal_iteratorINSA_10device_ptrIjEEEEPS6_SG_NS0_5tupleIJNSA_16discard_iteratorINSA_11use_defaultEEESF_EEENSH_IJSG_SG_EEES6_PlJ7is_evenIjEEEE10hipError_tPvRmT3_T4_T5_T6_T7_T9_mT8_P12ihipStream_tbDpT10_ENKUlT_T0_E_clISt17integral_constantIbLb1EES19_EEDaS14_S15_EUlS14_E_NS1_11comp_targetILNS1_3genE8ELNS1_11target_archE1030ELNS1_3gpuE2ELNS1_3repE0EEENS1_30default_config_static_selectorELNS0_4arch9wavefront6targetE1EEEvT1_,comdat
	.protected	_ZN7rocprim17ROCPRIM_400000_NS6detail17trampoline_kernelINS0_14default_configENS1_25partition_config_selectorILNS1_17partition_subalgoE0EjNS0_10empty_typeEbEEZZNS1_14partition_implILS5_0ELb0ES3_jN6thrust23THRUST_200600_302600_NS6detail15normal_iteratorINSA_10device_ptrIjEEEEPS6_SG_NS0_5tupleIJNSA_16discard_iteratorINSA_11use_defaultEEESF_EEENSH_IJSG_SG_EEES6_PlJ7is_evenIjEEEE10hipError_tPvRmT3_T4_T5_T6_T7_T9_mT8_P12ihipStream_tbDpT10_ENKUlT_T0_E_clISt17integral_constantIbLb1EES19_EEDaS14_S15_EUlS14_E_NS1_11comp_targetILNS1_3genE8ELNS1_11target_archE1030ELNS1_3gpuE2ELNS1_3repE0EEENS1_30default_config_static_selectorELNS0_4arch9wavefront6targetE1EEEvT1_ ; -- Begin function _ZN7rocprim17ROCPRIM_400000_NS6detail17trampoline_kernelINS0_14default_configENS1_25partition_config_selectorILNS1_17partition_subalgoE0EjNS0_10empty_typeEbEEZZNS1_14partition_implILS5_0ELb0ES3_jN6thrust23THRUST_200600_302600_NS6detail15normal_iteratorINSA_10device_ptrIjEEEEPS6_SG_NS0_5tupleIJNSA_16discard_iteratorINSA_11use_defaultEEESF_EEENSH_IJSG_SG_EEES6_PlJ7is_evenIjEEEE10hipError_tPvRmT3_T4_T5_T6_T7_T9_mT8_P12ihipStream_tbDpT10_ENKUlT_T0_E_clISt17integral_constantIbLb1EES19_EEDaS14_S15_EUlS14_E_NS1_11comp_targetILNS1_3genE8ELNS1_11target_archE1030ELNS1_3gpuE2ELNS1_3repE0EEENS1_30default_config_static_selectorELNS0_4arch9wavefront6targetE1EEEvT1_
	.globl	_ZN7rocprim17ROCPRIM_400000_NS6detail17trampoline_kernelINS0_14default_configENS1_25partition_config_selectorILNS1_17partition_subalgoE0EjNS0_10empty_typeEbEEZZNS1_14partition_implILS5_0ELb0ES3_jN6thrust23THRUST_200600_302600_NS6detail15normal_iteratorINSA_10device_ptrIjEEEEPS6_SG_NS0_5tupleIJNSA_16discard_iteratorINSA_11use_defaultEEESF_EEENSH_IJSG_SG_EEES6_PlJ7is_evenIjEEEE10hipError_tPvRmT3_T4_T5_T6_T7_T9_mT8_P12ihipStream_tbDpT10_ENKUlT_T0_E_clISt17integral_constantIbLb1EES19_EEDaS14_S15_EUlS14_E_NS1_11comp_targetILNS1_3genE8ELNS1_11target_archE1030ELNS1_3gpuE2ELNS1_3repE0EEENS1_30default_config_static_selectorELNS0_4arch9wavefront6targetE1EEEvT1_
	.p2align	8
	.type	_ZN7rocprim17ROCPRIM_400000_NS6detail17trampoline_kernelINS0_14default_configENS1_25partition_config_selectorILNS1_17partition_subalgoE0EjNS0_10empty_typeEbEEZZNS1_14partition_implILS5_0ELb0ES3_jN6thrust23THRUST_200600_302600_NS6detail15normal_iteratorINSA_10device_ptrIjEEEEPS6_SG_NS0_5tupleIJNSA_16discard_iteratorINSA_11use_defaultEEESF_EEENSH_IJSG_SG_EEES6_PlJ7is_evenIjEEEE10hipError_tPvRmT3_T4_T5_T6_T7_T9_mT8_P12ihipStream_tbDpT10_ENKUlT_T0_E_clISt17integral_constantIbLb1EES19_EEDaS14_S15_EUlS14_E_NS1_11comp_targetILNS1_3genE8ELNS1_11target_archE1030ELNS1_3gpuE2ELNS1_3repE0EEENS1_30default_config_static_selectorELNS0_4arch9wavefront6targetE1EEEvT1_,@function
_ZN7rocprim17ROCPRIM_400000_NS6detail17trampoline_kernelINS0_14default_configENS1_25partition_config_selectorILNS1_17partition_subalgoE0EjNS0_10empty_typeEbEEZZNS1_14partition_implILS5_0ELb0ES3_jN6thrust23THRUST_200600_302600_NS6detail15normal_iteratorINSA_10device_ptrIjEEEEPS6_SG_NS0_5tupleIJNSA_16discard_iteratorINSA_11use_defaultEEESF_EEENSH_IJSG_SG_EEES6_PlJ7is_evenIjEEEE10hipError_tPvRmT3_T4_T5_T6_T7_T9_mT8_P12ihipStream_tbDpT10_ENKUlT_T0_E_clISt17integral_constantIbLb1EES19_EEDaS14_S15_EUlS14_E_NS1_11comp_targetILNS1_3genE8ELNS1_11target_archE1030ELNS1_3gpuE2ELNS1_3repE0EEENS1_30default_config_static_selectorELNS0_4arch9wavefront6targetE1EEEvT1_: ; @_ZN7rocprim17ROCPRIM_400000_NS6detail17trampoline_kernelINS0_14default_configENS1_25partition_config_selectorILNS1_17partition_subalgoE0EjNS0_10empty_typeEbEEZZNS1_14partition_implILS5_0ELb0ES3_jN6thrust23THRUST_200600_302600_NS6detail15normal_iteratorINSA_10device_ptrIjEEEEPS6_SG_NS0_5tupleIJNSA_16discard_iteratorINSA_11use_defaultEEESF_EEENSH_IJSG_SG_EEES6_PlJ7is_evenIjEEEE10hipError_tPvRmT3_T4_T5_T6_T7_T9_mT8_P12ihipStream_tbDpT10_ENKUlT_T0_E_clISt17integral_constantIbLb1EES19_EEDaS14_S15_EUlS14_E_NS1_11comp_targetILNS1_3genE8ELNS1_11target_archE1030ELNS1_3gpuE2ELNS1_3repE0EEENS1_30default_config_static_selectorELNS0_4arch9wavefront6targetE1EEEvT1_
; %bb.0:
	.section	.rodata,"a",@progbits
	.p2align	6, 0x0
	.amdhsa_kernel _ZN7rocprim17ROCPRIM_400000_NS6detail17trampoline_kernelINS0_14default_configENS1_25partition_config_selectorILNS1_17partition_subalgoE0EjNS0_10empty_typeEbEEZZNS1_14partition_implILS5_0ELb0ES3_jN6thrust23THRUST_200600_302600_NS6detail15normal_iteratorINSA_10device_ptrIjEEEEPS6_SG_NS0_5tupleIJNSA_16discard_iteratorINSA_11use_defaultEEESF_EEENSH_IJSG_SG_EEES6_PlJ7is_evenIjEEEE10hipError_tPvRmT3_T4_T5_T6_T7_T9_mT8_P12ihipStream_tbDpT10_ENKUlT_T0_E_clISt17integral_constantIbLb1EES19_EEDaS14_S15_EUlS14_E_NS1_11comp_targetILNS1_3genE8ELNS1_11target_archE1030ELNS1_3gpuE2ELNS1_3repE0EEENS1_30default_config_static_selectorELNS0_4arch9wavefront6targetE1EEEvT1_
		.amdhsa_group_segment_fixed_size 0
		.amdhsa_private_segment_fixed_size 0
		.amdhsa_kernarg_size 144
		.amdhsa_user_sgpr_count 6
		.amdhsa_user_sgpr_private_segment_buffer 1
		.amdhsa_user_sgpr_dispatch_ptr 0
		.amdhsa_user_sgpr_queue_ptr 0
		.amdhsa_user_sgpr_kernarg_segment_ptr 1
		.amdhsa_user_sgpr_dispatch_id 0
		.amdhsa_user_sgpr_flat_scratch_init 0
		.amdhsa_user_sgpr_kernarg_preload_length 0
		.amdhsa_user_sgpr_kernarg_preload_offset 0
		.amdhsa_user_sgpr_private_segment_size 0
		.amdhsa_uses_dynamic_stack 0
		.amdhsa_system_sgpr_private_segment_wavefront_offset 0
		.amdhsa_system_sgpr_workgroup_id_x 1
		.amdhsa_system_sgpr_workgroup_id_y 0
		.amdhsa_system_sgpr_workgroup_id_z 0
		.amdhsa_system_sgpr_workgroup_info 0
		.amdhsa_system_vgpr_workitem_id 0
		.amdhsa_next_free_vgpr 1
		.amdhsa_next_free_sgpr 0
		.amdhsa_accum_offset 4
		.amdhsa_reserve_vcc 0
		.amdhsa_reserve_flat_scratch 0
		.amdhsa_float_round_mode_32 0
		.amdhsa_float_round_mode_16_64 0
		.amdhsa_float_denorm_mode_32 3
		.amdhsa_float_denorm_mode_16_64 3
		.amdhsa_dx10_clamp 1
		.amdhsa_ieee_mode 1
		.amdhsa_fp16_overflow 0
		.amdhsa_tg_split 0
		.amdhsa_exception_fp_ieee_invalid_op 0
		.amdhsa_exception_fp_denorm_src 0
		.amdhsa_exception_fp_ieee_div_zero 0
		.amdhsa_exception_fp_ieee_overflow 0
		.amdhsa_exception_fp_ieee_underflow 0
		.amdhsa_exception_fp_ieee_inexact 0
		.amdhsa_exception_int_div_zero 0
	.end_amdhsa_kernel
	.section	.text._ZN7rocprim17ROCPRIM_400000_NS6detail17trampoline_kernelINS0_14default_configENS1_25partition_config_selectorILNS1_17partition_subalgoE0EjNS0_10empty_typeEbEEZZNS1_14partition_implILS5_0ELb0ES3_jN6thrust23THRUST_200600_302600_NS6detail15normal_iteratorINSA_10device_ptrIjEEEEPS6_SG_NS0_5tupleIJNSA_16discard_iteratorINSA_11use_defaultEEESF_EEENSH_IJSG_SG_EEES6_PlJ7is_evenIjEEEE10hipError_tPvRmT3_T4_T5_T6_T7_T9_mT8_P12ihipStream_tbDpT10_ENKUlT_T0_E_clISt17integral_constantIbLb1EES19_EEDaS14_S15_EUlS14_E_NS1_11comp_targetILNS1_3genE8ELNS1_11target_archE1030ELNS1_3gpuE2ELNS1_3repE0EEENS1_30default_config_static_selectorELNS0_4arch9wavefront6targetE1EEEvT1_,"axG",@progbits,_ZN7rocprim17ROCPRIM_400000_NS6detail17trampoline_kernelINS0_14default_configENS1_25partition_config_selectorILNS1_17partition_subalgoE0EjNS0_10empty_typeEbEEZZNS1_14partition_implILS5_0ELb0ES3_jN6thrust23THRUST_200600_302600_NS6detail15normal_iteratorINSA_10device_ptrIjEEEEPS6_SG_NS0_5tupleIJNSA_16discard_iteratorINSA_11use_defaultEEESF_EEENSH_IJSG_SG_EEES6_PlJ7is_evenIjEEEE10hipError_tPvRmT3_T4_T5_T6_T7_T9_mT8_P12ihipStream_tbDpT10_ENKUlT_T0_E_clISt17integral_constantIbLb1EES19_EEDaS14_S15_EUlS14_E_NS1_11comp_targetILNS1_3genE8ELNS1_11target_archE1030ELNS1_3gpuE2ELNS1_3repE0EEENS1_30default_config_static_selectorELNS0_4arch9wavefront6targetE1EEEvT1_,comdat
.Lfunc_end2474:
	.size	_ZN7rocprim17ROCPRIM_400000_NS6detail17trampoline_kernelINS0_14default_configENS1_25partition_config_selectorILNS1_17partition_subalgoE0EjNS0_10empty_typeEbEEZZNS1_14partition_implILS5_0ELb0ES3_jN6thrust23THRUST_200600_302600_NS6detail15normal_iteratorINSA_10device_ptrIjEEEEPS6_SG_NS0_5tupleIJNSA_16discard_iteratorINSA_11use_defaultEEESF_EEENSH_IJSG_SG_EEES6_PlJ7is_evenIjEEEE10hipError_tPvRmT3_T4_T5_T6_T7_T9_mT8_P12ihipStream_tbDpT10_ENKUlT_T0_E_clISt17integral_constantIbLb1EES19_EEDaS14_S15_EUlS14_E_NS1_11comp_targetILNS1_3genE8ELNS1_11target_archE1030ELNS1_3gpuE2ELNS1_3repE0EEENS1_30default_config_static_selectorELNS0_4arch9wavefront6targetE1EEEvT1_, .Lfunc_end2474-_ZN7rocprim17ROCPRIM_400000_NS6detail17trampoline_kernelINS0_14default_configENS1_25partition_config_selectorILNS1_17partition_subalgoE0EjNS0_10empty_typeEbEEZZNS1_14partition_implILS5_0ELb0ES3_jN6thrust23THRUST_200600_302600_NS6detail15normal_iteratorINSA_10device_ptrIjEEEEPS6_SG_NS0_5tupleIJNSA_16discard_iteratorINSA_11use_defaultEEESF_EEENSH_IJSG_SG_EEES6_PlJ7is_evenIjEEEE10hipError_tPvRmT3_T4_T5_T6_T7_T9_mT8_P12ihipStream_tbDpT10_ENKUlT_T0_E_clISt17integral_constantIbLb1EES19_EEDaS14_S15_EUlS14_E_NS1_11comp_targetILNS1_3genE8ELNS1_11target_archE1030ELNS1_3gpuE2ELNS1_3repE0EEENS1_30default_config_static_selectorELNS0_4arch9wavefront6targetE1EEEvT1_
                                        ; -- End function
	.section	.AMDGPU.csdata,"",@progbits
; Kernel info:
; codeLenInByte = 0
; NumSgprs: 4
; NumVgprs: 0
; NumAgprs: 0
; TotalNumVgprs: 0
; ScratchSize: 0
; MemoryBound: 0
; FloatMode: 240
; IeeeMode: 1
; LDSByteSize: 0 bytes/workgroup (compile time only)
; SGPRBlocks: 0
; VGPRBlocks: 0
; NumSGPRsForWavesPerEU: 4
; NumVGPRsForWavesPerEU: 1
; AccumOffset: 4
; Occupancy: 8
; WaveLimiterHint : 0
; COMPUTE_PGM_RSRC2:SCRATCH_EN: 0
; COMPUTE_PGM_RSRC2:USER_SGPR: 6
; COMPUTE_PGM_RSRC2:TRAP_HANDLER: 0
; COMPUTE_PGM_RSRC2:TGID_X_EN: 1
; COMPUTE_PGM_RSRC2:TGID_Y_EN: 0
; COMPUTE_PGM_RSRC2:TGID_Z_EN: 0
; COMPUTE_PGM_RSRC2:TIDIG_COMP_CNT: 0
; COMPUTE_PGM_RSRC3_GFX90A:ACCUM_OFFSET: 0
; COMPUTE_PGM_RSRC3_GFX90A:TG_SPLIT: 0
	.section	.text._ZN7rocprim17ROCPRIM_400000_NS6detail17trampoline_kernelINS0_14default_configENS1_25partition_config_selectorILNS1_17partition_subalgoE0EjNS0_10empty_typeEbEEZZNS1_14partition_implILS5_0ELb0ES3_jN6thrust23THRUST_200600_302600_NS6detail15normal_iteratorINSA_10device_ptrIjEEEEPS6_SG_NS0_5tupleIJNSA_16discard_iteratorINSA_11use_defaultEEESF_EEENSH_IJSG_SG_EEES6_PlJ7is_evenIjEEEE10hipError_tPvRmT3_T4_T5_T6_T7_T9_mT8_P12ihipStream_tbDpT10_ENKUlT_T0_E_clISt17integral_constantIbLb1EES18_IbLb0EEEEDaS14_S15_EUlS14_E_NS1_11comp_targetILNS1_3genE0ELNS1_11target_archE4294967295ELNS1_3gpuE0ELNS1_3repE0EEENS1_30default_config_static_selectorELNS0_4arch9wavefront6targetE1EEEvT1_,"axG",@progbits,_ZN7rocprim17ROCPRIM_400000_NS6detail17trampoline_kernelINS0_14default_configENS1_25partition_config_selectorILNS1_17partition_subalgoE0EjNS0_10empty_typeEbEEZZNS1_14partition_implILS5_0ELb0ES3_jN6thrust23THRUST_200600_302600_NS6detail15normal_iteratorINSA_10device_ptrIjEEEEPS6_SG_NS0_5tupleIJNSA_16discard_iteratorINSA_11use_defaultEEESF_EEENSH_IJSG_SG_EEES6_PlJ7is_evenIjEEEE10hipError_tPvRmT3_T4_T5_T6_T7_T9_mT8_P12ihipStream_tbDpT10_ENKUlT_T0_E_clISt17integral_constantIbLb1EES18_IbLb0EEEEDaS14_S15_EUlS14_E_NS1_11comp_targetILNS1_3genE0ELNS1_11target_archE4294967295ELNS1_3gpuE0ELNS1_3repE0EEENS1_30default_config_static_selectorELNS0_4arch9wavefront6targetE1EEEvT1_,comdat
	.protected	_ZN7rocprim17ROCPRIM_400000_NS6detail17trampoline_kernelINS0_14default_configENS1_25partition_config_selectorILNS1_17partition_subalgoE0EjNS0_10empty_typeEbEEZZNS1_14partition_implILS5_0ELb0ES3_jN6thrust23THRUST_200600_302600_NS6detail15normal_iteratorINSA_10device_ptrIjEEEEPS6_SG_NS0_5tupleIJNSA_16discard_iteratorINSA_11use_defaultEEESF_EEENSH_IJSG_SG_EEES6_PlJ7is_evenIjEEEE10hipError_tPvRmT3_T4_T5_T6_T7_T9_mT8_P12ihipStream_tbDpT10_ENKUlT_T0_E_clISt17integral_constantIbLb1EES18_IbLb0EEEEDaS14_S15_EUlS14_E_NS1_11comp_targetILNS1_3genE0ELNS1_11target_archE4294967295ELNS1_3gpuE0ELNS1_3repE0EEENS1_30default_config_static_selectorELNS0_4arch9wavefront6targetE1EEEvT1_ ; -- Begin function _ZN7rocprim17ROCPRIM_400000_NS6detail17trampoline_kernelINS0_14default_configENS1_25partition_config_selectorILNS1_17partition_subalgoE0EjNS0_10empty_typeEbEEZZNS1_14partition_implILS5_0ELb0ES3_jN6thrust23THRUST_200600_302600_NS6detail15normal_iteratorINSA_10device_ptrIjEEEEPS6_SG_NS0_5tupleIJNSA_16discard_iteratorINSA_11use_defaultEEESF_EEENSH_IJSG_SG_EEES6_PlJ7is_evenIjEEEE10hipError_tPvRmT3_T4_T5_T6_T7_T9_mT8_P12ihipStream_tbDpT10_ENKUlT_T0_E_clISt17integral_constantIbLb1EES18_IbLb0EEEEDaS14_S15_EUlS14_E_NS1_11comp_targetILNS1_3genE0ELNS1_11target_archE4294967295ELNS1_3gpuE0ELNS1_3repE0EEENS1_30default_config_static_selectorELNS0_4arch9wavefront6targetE1EEEvT1_
	.globl	_ZN7rocprim17ROCPRIM_400000_NS6detail17trampoline_kernelINS0_14default_configENS1_25partition_config_selectorILNS1_17partition_subalgoE0EjNS0_10empty_typeEbEEZZNS1_14partition_implILS5_0ELb0ES3_jN6thrust23THRUST_200600_302600_NS6detail15normal_iteratorINSA_10device_ptrIjEEEEPS6_SG_NS0_5tupleIJNSA_16discard_iteratorINSA_11use_defaultEEESF_EEENSH_IJSG_SG_EEES6_PlJ7is_evenIjEEEE10hipError_tPvRmT3_T4_T5_T6_T7_T9_mT8_P12ihipStream_tbDpT10_ENKUlT_T0_E_clISt17integral_constantIbLb1EES18_IbLb0EEEEDaS14_S15_EUlS14_E_NS1_11comp_targetILNS1_3genE0ELNS1_11target_archE4294967295ELNS1_3gpuE0ELNS1_3repE0EEENS1_30default_config_static_selectorELNS0_4arch9wavefront6targetE1EEEvT1_
	.p2align	8
	.type	_ZN7rocprim17ROCPRIM_400000_NS6detail17trampoline_kernelINS0_14default_configENS1_25partition_config_selectorILNS1_17partition_subalgoE0EjNS0_10empty_typeEbEEZZNS1_14partition_implILS5_0ELb0ES3_jN6thrust23THRUST_200600_302600_NS6detail15normal_iteratorINSA_10device_ptrIjEEEEPS6_SG_NS0_5tupleIJNSA_16discard_iteratorINSA_11use_defaultEEESF_EEENSH_IJSG_SG_EEES6_PlJ7is_evenIjEEEE10hipError_tPvRmT3_T4_T5_T6_T7_T9_mT8_P12ihipStream_tbDpT10_ENKUlT_T0_E_clISt17integral_constantIbLb1EES18_IbLb0EEEEDaS14_S15_EUlS14_E_NS1_11comp_targetILNS1_3genE0ELNS1_11target_archE4294967295ELNS1_3gpuE0ELNS1_3repE0EEENS1_30default_config_static_selectorELNS0_4arch9wavefront6targetE1EEEvT1_,@function
_ZN7rocprim17ROCPRIM_400000_NS6detail17trampoline_kernelINS0_14default_configENS1_25partition_config_selectorILNS1_17partition_subalgoE0EjNS0_10empty_typeEbEEZZNS1_14partition_implILS5_0ELb0ES3_jN6thrust23THRUST_200600_302600_NS6detail15normal_iteratorINSA_10device_ptrIjEEEEPS6_SG_NS0_5tupleIJNSA_16discard_iteratorINSA_11use_defaultEEESF_EEENSH_IJSG_SG_EEES6_PlJ7is_evenIjEEEE10hipError_tPvRmT3_T4_T5_T6_T7_T9_mT8_P12ihipStream_tbDpT10_ENKUlT_T0_E_clISt17integral_constantIbLb1EES18_IbLb0EEEEDaS14_S15_EUlS14_E_NS1_11comp_targetILNS1_3genE0ELNS1_11target_archE4294967295ELNS1_3gpuE0ELNS1_3repE0EEENS1_30default_config_static_selectorELNS0_4arch9wavefront6targetE1EEEvT1_: ; @_ZN7rocprim17ROCPRIM_400000_NS6detail17trampoline_kernelINS0_14default_configENS1_25partition_config_selectorILNS1_17partition_subalgoE0EjNS0_10empty_typeEbEEZZNS1_14partition_implILS5_0ELb0ES3_jN6thrust23THRUST_200600_302600_NS6detail15normal_iteratorINSA_10device_ptrIjEEEEPS6_SG_NS0_5tupleIJNSA_16discard_iteratorINSA_11use_defaultEEESF_EEENSH_IJSG_SG_EEES6_PlJ7is_evenIjEEEE10hipError_tPvRmT3_T4_T5_T6_T7_T9_mT8_P12ihipStream_tbDpT10_ENKUlT_T0_E_clISt17integral_constantIbLb1EES18_IbLb0EEEEDaS14_S15_EUlS14_E_NS1_11comp_targetILNS1_3genE0ELNS1_11target_archE4294967295ELNS1_3gpuE0ELNS1_3repE0EEENS1_30default_config_static_selectorELNS0_4arch9wavefront6targetE1EEEvT1_
; %bb.0:
	.section	.rodata,"a",@progbits
	.p2align	6, 0x0
	.amdhsa_kernel _ZN7rocprim17ROCPRIM_400000_NS6detail17trampoline_kernelINS0_14default_configENS1_25partition_config_selectorILNS1_17partition_subalgoE0EjNS0_10empty_typeEbEEZZNS1_14partition_implILS5_0ELb0ES3_jN6thrust23THRUST_200600_302600_NS6detail15normal_iteratorINSA_10device_ptrIjEEEEPS6_SG_NS0_5tupleIJNSA_16discard_iteratorINSA_11use_defaultEEESF_EEENSH_IJSG_SG_EEES6_PlJ7is_evenIjEEEE10hipError_tPvRmT3_T4_T5_T6_T7_T9_mT8_P12ihipStream_tbDpT10_ENKUlT_T0_E_clISt17integral_constantIbLb1EES18_IbLb0EEEEDaS14_S15_EUlS14_E_NS1_11comp_targetILNS1_3genE0ELNS1_11target_archE4294967295ELNS1_3gpuE0ELNS1_3repE0EEENS1_30default_config_static_selectorELNS0_4arch9wavefront6targetE1EEEvT1_
		.amdhsa_group_segment_fixed_size 0
		.amdhsa_private_segment_fixed_size 0
		.amdhsa_kernarg_size 128
		.amdhsa_user_sgpr_count 6
		.amdhsa_user_sgpr_private_segment_buffer 1
		.amdhsa_user_sgpr_dispatch_ptr 0
		.amdhsa_user_sgpr_queue_ptr 0
		.amdhsa_user_sgpr_kernarg_segment_ptr 1
		.amdhsa_user_sgpr_dispatch_id 0
		.amdhsa_user_sgpr_flat_scratch_init 0
		.amdhsa_user_sgpr_kernarg_preload_length 0
		.amdhsa_user_sgpr_kernarg_preload_offset 0
		.amdhsa_user_sgpr_private_segment_size 0
		.amdhsa_uses_dynamic_stack 0
		.amdhsa_system_sgpr_private_segment_wavefront_offset 0
		.amdhsa_system_sgpr_workgroup_id_x 1
		.amdhsa_system_sgpr_workgroup_id_y 0
		.amdhsa_system_sgpr_workgroup_id_z 0
		.amdhsa_system_sgpr_workgroup_info 0
		.amdhsa_system_vgpr_workitem_id 0
		.amdhsa_next_free_vgpr 1
		.amdhsa_next_free_sgpr 0
		.amdhsa_accum_offset 4
		.amdhsa_reserve_vcc 0
		.amdhsa_reserve_flat_scratch 0
		.amdhsa_float_round_mode_32 0
		.amdhsa_float_round_mode_16_64 0
		.amdhsa_float_denorm_mode_32 3
		.amdhsa_float_denorm_mode_16_64 3
		.amdhsa_dx10_clamp 1
		.amdhsa_ieee_mode 1
		.amdhsa_fp16_overflow 0
		.amdhsa_tg_split 0
		.amdhsa_exception_fp_ieee_invalid_op 0
		.amdhsa_exception_fp_denorm_src 0
		.amdhsa_exception_fp_ieee_div_zero 0
		.amdhsa_exception_fp_ieee_overflow 0
		.amdhsa_exception_fp_ieee_underflow 0
		.amdhsa_exception_fp_ieee_inexact 0
		.amdhsa_exception_int_div_zero 0
	.end_amdhsa_kernel
	.section	.text._ZN7rocprim17ROCPRIM_400000_NS6detail17trampoline_kernelINS0_14default_configENS1_25partition_config_selectorILNS1_17partition_subalgoE0EjNS0_10empty_typeEbEEZZNS1_14partition_implILS5_0ELb0ES3_jN6thrust23THRUST_200600_302600_NS6detail15normal_iteratorINSA_10device_ptrIjEEEEPS6_SG_NS0_5tupleIJNSA_16discard_iteratorINSA_11use_defaultEEESF_EEENSH_IJSG_SG_EEES6_PlJ7is_evenIjEEEE10hipError_tPvRmT3_T4_T5_T6_T7_T9_mT8_P12ihipStream_tbDpT10_ENKUlT_T0_E_clISt17integral_constantIbLb1EES18_IbLb0EEEEDaS14_S15_EUlS14_E_NS1_11comp_targetILNS1_3genE0ELNS1_11target_archE4294967295ELNS1_3gpuE0ELNS1_3repE0EEENS1_30default_config_static_selectorELNS0_4arch9wavefront6targetE1EEEvT1_,"axG",@progbits,_ZN7rocprim17ROCPRIM_400000_NS6detail17trampoline_kernelINS0_14default_configENS1_25partition_config_selectorILNS1_17partition_subalgoE0EjNS0_10empty_typeEbEEZZNS1_14partition_implILS5_0ELb0ES3_jN6thrust23THRUST_200600_302600_NS6detail15normal_iteratorINSA_10device_ptrIjEEEEPS6_SG_NS0_5tupleIJNSA_16discard_iteratorINSA_11use_defaultEEESF_EEENSH_IJSG_SG_EEES6_PlJ7is_evenIjEEEE10hipError_tPvRmT3_T4_T5_T6_T7_T9_mT8_P12ihipStream_tbDpT10_ENKUlT_T0_E_clISt17integral_constantIbLb1EES18_IbLb0EEEEDaS14_S15_EUlS14_E_NS1_11comp_targetILNS1_3genE0ELNS1_11target_archE4294967295ELNS1_3gpuE0ELNS1_3repE0EEENS1_30default_config_static_selectorELNS0_4arch9wavefront6targetE1EEEvT1_,comdat
.Lfunc_end2475:
	.size	_ZN7rocprim17ROCPRIM_400000_NS6detail17trampoline_kernelINS0_14default_configENS1_25partition_config_selectorILNS1_17partition_subalgoE0EjNS0_10empty_typeEbEEZZNS1_14partition_implILS5_0ELb0ES3_jN6thrust23THRUST_200600_302600_NS6detail15normal_iteratorINSA_10device_ptrIjEEEEPS6_SG_NS0_5tupleIJNSA_16discard_iteratorINSA_11use_defaultEEESF_EEENSH_IJSG_SG_EEES6_PlJ7is_evenIjEEEE10hipError_tPvRmT3_T4_T5_T6_T7_T9_mT8_P12ihipStream_tbDpT10_ENKUlT_T0_E_clISt17integral_constantIbLb1EES18_IbLb0EEEEDaS14_S15_EUlS14_E_NS1_11comp_targetILNS1_3genE0ELNS1_11target_archE4294967295ELNS1_3gpuE0ELNS1_3repE0EEENS1_30default_config_static_selectorELNS0_4arch9wavefront6targetE1EEEvT1_, .Lfunc_end2475-_ZN7rocprim17ROCPRIM_400000_NS6detail17trampoline_kernelINS0_14default_configENS1_25partition_config_selectorILNS1_17partition_subalgoE0EjNS0_10empty_typeEbEEZZNS1_14partition_implILS5_0ELb0ES3_jN6thrust23THRUST_200600_302600_NS6detail15normal_iteratorINSA_10device_ptrIjEEEEPS6_SG_NS0_5tupleIJNSA_16discard_iteratorINSA_11use_defaultEEESF_EEENSH_IJSG_SG_EEES6_PlJ7is_evenIjEEEE10hipError_tPvRmT3_T4_T5_T6_T7_T9_mT8_P12ihipStream_tbDpT10_ENKUlT_T0_E_clISt17integral_constantIbLb1EES18_IbLb0EEEEDaS14_S15_EUlS14_E_NS1_11comp_targetILNS1_3genE0ELNS1_11target_archE4294967295ELNS1_3gpuE0ELNS1_3repE0EEENS1_30default_config_static_selectorELNS0_4arch9wavefront6targetE1EEEvT1_
                                        ; -- End function
	.section	.AMDGPU.csdata,"",@progbits
; Kernel info:
; codeLenInByte = 0
; NumSgprs: 4
; NumVgprs: 0
; NumAgprs: 0
; TotalNumVgprs: 0
; ScratchSize: 0
; MemoryBound: 0
; FloatMode: 240
; IeeeMode: 1
; LDSByteSize: 0 bytes/workgroup (compile time only)
; SGPRBlocks: 0
; VGPRBlocks: 0
; NumSGPRsForWavesPerEU: 4
; NumVGPRsForWavesPerEU: 1
; AccumOffset: 4
; Occupancy: 8
; WaveLimiterHint : 0
; COMPUTE_PGM_RSRC2:SCRATCH_EN: 0
; COMPUTE_PGM_RSRC2:USER_SGPR: 6
; COMPUTE_PGM_RSRC2:TRAP_HANDLER: 0
; COMPUTE_PGM_RSRC2:TGID_X_EN: 1
; COMPUTE_PGM_RSRC2:TGID_Y_EN: 0
; COMPUTE_PGM_RSRC2:TGID_Z_EN: 0
; COMPUTE_PGM_RSRC2:TIDIG_COMP_CNT: 0
; COMPUTE_PGM_RSRC3_GFX90A:ACCUM_OFFSET: 0
; COMPUTE_PGM_RSRC3_GFX90A:TG_SPLIT: 0
	.section	.text._ZN7rocprim17ROCPRIM_400000_NS6detail17trampoline_kernelINS0_14default_configENS1_25partition_config_selectorILNS1_17partition_subalgoE0EjNS0_10empty_typeEbEEZZNS1_14partition_implILS5_0ELb0ES3_jN6thrust23THRUST_200600_302600_NS6detail15normal_iteratorINSA_10device_ptrIjEEEEPS6_SG_NS0_5tupleIJNSA_16discard_iteratorINSA_11use_defaultEEESF_EEENSH_IJSG_SG_EEES6_PlJ7is_evenIjEEEE10hipError_tPvRmT3_T4_T5_T6_T7_T9_mT8_P12ihipStream_tbDpT10_ENKUlT_T0_E_clISt17integral_constantIbLb1EES18_IbLb0EEEEDaS14_S15_EUlS14_E_NS1_11comp_targetILNS1_3genE5ELNS1_11target_archE942ELNS1_3gpuE9ELNS1_3repE0EEENS1_30default_config_static_selectorELNS0_4arch9wavefront6targetE1EEEvT1_,"axG",@progbits,_ZN7rocprim17ROCPRIM_400000_NS6detail17trampoline_kernelINS0_14default_configENS1_25partition_config_selectorILNS1_17partition_subalgoE0EjNS0_10empty_typeEbEEZZNS1_14partition_implILS5_0ELb0ES3_jN6thrust23THRUST_200600_302600_NS6detail15normal_iteratorINSA_10device_ptrIjEEEEPS6_SG_NS0_5tupleIJNSA_16discard_iteratorINSA_11use_defaultEEESF_EEENSH_IJSG_SG_EEES6_PlJ7is_evenIjEEEE10hipError_tPvRmT3_T4_T5_T6_T7_T9_mT8_P12ihipStream_tbDpT10_ENKUlT_T0_E_clISt17integral_constantIbLb1EES18_IbLb0EEEEDaS14_S15_EUlS14_E_NS1_11comp_targetILNS1_3genE5ELNS1_11target_archE942ELNS1_3gpuE9ELNS1_3repE0EEENS1_30default_config_static_selectorELNS0_4arch9wavefront6targetE1EEEvT1_,comdat
	.protected	_ZN7rocprim17ROCPRIM_400000_NS6detail17trampoline_kernelINS0_14default_configENS1_25partition_config_selectorILNS1_17partition_subalgoE0EjNS0_10empty_typeEbEEZZNS1_14partition_implILS5_0ELb0ES3_jN6thrust23THRUST_200600_302600_NS6detail15normal_iteratorINSA_10device_ptrIjEEEEPS6_SG_NS0_5tupleIJNSA_16discard_iteratorINSA_11use_defaultEEESF_EEENSH_IJSG_SG_EEES6_PlJ7is_evenIjEEEE10hipError_tPvRmT3_T4_T5_T6_T7_T9_mT8_P12ihipStream_tbDpT10_ENKUlT_T0_E_clISt17integral_constantIbLb1EES18_IbLb0EEEEDaS14_S15_EUlS14_E_NS1_11comp_targetILNS1_3genE5ELNS1_11target_archE942ELNS1_3gpuE9ELNS1_3repE0EEENS1_30default_config_static_selectorELNS0_4arch9wavefront6targetE1EEEvT1_ ; -- Begin function _ZN7rocprim17ROCPRIM_400000_NS6detail17trampoline_kernelINS0_14default_configENS1_25partition_config_selectorILNS1_17partition_subalgoE0EjNS0_10empty_typeEbEEZZNS1_14partition_implILS5_0ELb0ES3_jN6thrust23THRUST_200600_302600_NS6detail15normal_iteratorINSA_10device_ptrIjEEEEPS6_SG_NS0_5tupleIJNSA_16discard_iteratorINSA_11use_defaultEEESF_EEENSH_IJSG_SG_EEES6_PlJ7is_evenIjEEEE10hipError_tPvRmT3_T4_T5_T6_T7_T9_mT8_P12ihipStream_tbDpT10_ENKUlT_T0_E_clISt17integral_constantIbLb1EES18_IbLb0EEEEDaS14_S15_EUlS14_E_NS1_11comp_targetILNS1_3genE5ELNS1_11target_archE942ELNS1_3gpuE9ELNS1_3repE0EEENS1_30default_config_static_selectorELNS0_4arch9wavefront6targetE1EEEvT1_
	.globl	_ZN7rocprim17ROCPRIM_400000_NS6detail17trampoline_kernelINS0_14default_configENS1_25partition_config_selectorILNS1_17partition_subalgoE0EjNS0_10empty_typeEbEEZZNS1_14partition_implILS5_0ELb0ES3_jN6thrust23THRUST_200600_302600_NS6detail15normal_iteratorINSA_10device_ptrIjEEEEPS6_SG_NS0_5tupleIJNSA_16discard_iteratorINSA_11use_defaultEEESF_EEENSH_IJSG_SG_EEES6_PlJ7is_evenIjEEEE10hipError_tPvRmT3_T4_T5_T6_T7_T9_mT8_P12ihipStream_tbDpT10_ENKUlT_T0_E_clISt17integral_constantIbLb1EES18_IbLb0EEEEDaS14_S15_EUlS14_E_NS1_11comp_targetILNS1_3genE5ELNS1_11target_archE942ELNS1_3gpuE9ELNS1_3repE0EEENS1_30default_config_static_selectorELNS0_4arch9wavefront6targetE1EEEvT1_
	.p2align	8
	.type	_ZN7rocprim17ROCPRIM_400000_NS6detail17trampoline_kernelINS0_14default_configENS1_25partition_config_selectorILNS1_17partition_subalgoE0EjNS0_10empty_typeEbEEZZNS1_14partition_implILS5_0ELb0ES3_jN6thrust23THRUST_200600_302600_NS6detail15normal_iteratorINSA_10device_ptrIjEEEEPS6_SG_NS0_5tupleIJNSA_16discard_iteratorINSA_11use_defaultEEESF_EEENSH_IJSG_SG_EEES6_PlJ7is_evenIjEEEE10hipError_tPvRmT3_T4_T5_T6_T7_T9_mT8_P12ihipStream_tbDpT10_ENKUlT_T0_E_clISt17integral_constantIbLb1EES18_IbLb0EEEEDaS14_S15_EUlS14_E_NS1_11comp_targetILNS1_3genE5ELNS1_11target_archE942ELNS1_3gpuE9ELNS1_3repE0EEENS1_30default_config_static_selectorELNS0_4arch9wavefront6targetE1EEEvT1_,@function
_ZN7rocprim17ROCPRIM_400000_NS6detail17trampoline_kernelINS0_14default_configENS1_25partition_config_selectorILNS1_17partition_subalgoE0EjNS0_10empty_typeEbEEZZNS1_14partition_implILS5_0ELb0ES3_jN6thrust23THRUST_200600_302600_NS6detail15normal_iteratorINSA_10device_ptrIjEEEEPS6_SG_NS0_5tupleIJNSA_16discard_iteratorINSA_11use_defaultEEESF_EEENSH_IJSG_SG_EEES6_PlJ7is_evenIjEEEE10hipError_tPvRmT3_T4_T5_T6_T7_T9_mT8_P12ihipStream_tbDpT10_ENKUlT_T0_E_clISt17integral_constantIbLb1EES18_IbLb0EEEEDaS14_S15_EUlS14_E_NS1_11comp_targetILNS1_3genE5ELNS1_11target_archE942ELNS1_3gpuE9ELNS1_3repE0EEENS1_30default_config_static_selectorELNS0_4arch9wavefront6targetE1EEEvT1_: ; @_ZN7rocprim17ROCPRIM_400000_NS6detail17trampoline_kernelINS0_14default_configENS1_25partition_config_selectorILNS1_17partition_subalgoE0EjNS0_10empty_typeEbEEZZNS1_14partition_implILS5_0ELb0ES3_jN6thrust23THRUST_200600_302600_NS6detail15normal_iteratorINSA_10device_ptrIjEEEEPS6_SG_NS0_5tupleIJNSA_16discard_iteratorINSA_11use_defaultEEESF_EEENSH_IJSG_SG_EEES6_PlJ7is_evenIjEEEE10hipError_tPvRmT3_T4_T5_T6_T7_T9_mT8_P12ihipStream_tbDpT10_ENKUlT_T0_E_clISt17integral_constantIbLb1EES18_IbLb0EEEEDaS14_S15_EUlS14_E_NS1_11comp_targetILNS1_3genE5ELNS1_11target_archE942ELNS1_3gpuE9ELNS1_3repE0EEENS1_30default_config_static_selectorELNS0_4arch9wavefront6targetE1EEEvT1_
; %bb.0:
	.section	.rodata,"a",@progbits
	.p2align	6, 0x0
	.amdhsa_kernel _ZN7rocprim17ROCPRIM_400000_NS6detail17trampoline_kernelINS0_14default_configENS1_25partition_config_selectorILNS1_17partition_subalgoE0EjNS0_10empty_typeEbEEZZNS1_14partition_implILS5_0ELb0ES3_jN6thrust23THRUST_200600_302600_NS6detail15normal_iteratorINSA_10device_ptrIjEEEEPS6_SG_NS0_5tupleIJNSA_16discard_iteratorINSA_11use_defaultEEESF_EEENSH_IJSG_SG_EEES6_PlJ7is_evenIjEEEE10hipError_tPvRmT3_T4_T5_T6_T7_T9_mT8_P12ihipStream_tbDpT10_ENKUlT_T0_E_clISt17integral_constantIbLb1EES18_IbLb0EEEEDaS14_S15_EUlS14_E_NS1_11comp_targetILNS1_3genE5ELNS1_11target_archE942ELNS1_3gpuE9ELNS1_3repE0EEENS1_30default_config_static_selectorELNS0_4arch9wavefront6targetE1EEEvT1_
		.amdhsa_group_segment_fixed_size 0
		.amdhsa_private_segment_fixed_size 0
		.amdhsa_kernarg_size 128
		.amdhsa_user_sgpr_count 6
		.amdhsa_user_sgpr_private_segment_buffer 1
		.amdhsa_user_sgpr_dispatch_ptr 0
		.amdhsa_user_sgpr_queue_ptr 0
		.amdhsa_user_sgpr_kernarg_segment_ptr 1
		.amdhsa_user_sgpr_dispatch_id 0
		.amdhsa_user_sgpr_flat_scratch_init 0
		.amdhsa_user_sgpr_kernarg_preload_length 0
		.amdhsa_user_sgpr_kernarg_preload_offset 0
		.amdhsa_user_sgpr_private_segment_size 0
		.amdhsa_uses_dynamic_stack 0
		.amdhsa_system_sgpr_private_segment_wavefront_offset 0
		.amdhsa_system_sgpr_workgroup_id_x 1
		.amdhsa_system_sgpr_workgroup_id_y 0
		.amdhsa_system_sgpr_workgroup_id_z 0
		.amdhsa_system_sgpr_workgroup_info 0
		.amdhsa_system_vgpr_workitem_id 0
		.amdhsa_next_free_vgpr 1
		.amdhsa_next_free_sgpr 0
		.amdhsa_accum_offset 4
		.amdhsa_reserve_vcc 0
		.amdhsa_reserve_flat_scratch 0
		.amdhsa_float_round_mode_32 0
		.amdhsa_float_round_mode_16_64 0
		.amdhsa_float_denorm_mode_32 3
		.amdhsa_float_denorm_mode_16_64 3
		.amdhsa_dx10_clamp 1
		.amdhsa_ieee_mode 1
		.amdhsa_fp16_overflow 0
		.amdhsa_tg_split 0
		.amdhsa_exception_fp_ieee_invalid_op 0
		.amdhsa_exception_fp_denorm_src 0
		.amdhsa_exception_fp_ieee_div_zero 0
		.amdhsa_exception_fp_ieee_overflow 0
		.amdhsa_exception_fp_ieee_underflow 0
		.amdhsa_exception_fp_ieee_inexact 0
		.amdhsa_exception_int_div_zero 0
	.end_amdhsa_kernel
	.section	.text._ZN7rocprim17ROCPRIM_400000_NS6detail17trampoline_kernelINS0_14default_configENS1_25partition_config_selectorILNS1_17partition_subalgoE0EjNS0_10empty_typeEbEEZZNS1_14partition_implILS5_0ELb0ES3_jN6thrust23THRUST_200600_302600_NS6detail15normal_iteratorINSA_10device_ptrIjEEEEPS6_SG_NS0_5tupleIJNSA_16discard_iteratorINSA_11use_defaultEEESF_EEENSH_IJSG_SG_EEES6_PlJ7is_evenIjEEEE10hipError_tPvRmT3_T4_T5_T6_T7_T9_mT8_P12ihipStream_tbDpT10_ENKUlT_T0_E_clISt17integral_constantIbLb1EES18_IbLb0EEEEDaS14_S15_EUlS14_E_NS1_11comp_targetILNS1_3genE5ELNS1_11target_archE942ELNS1_3gpuE9ELNS1_3repE0EEENS1_30default_config_static_selectorELNS0_4arch9wavefront6targetE1EEEvT1_,"axG",@progbits,_ZN7rocprim17ROCPRIM_400000_NS6detail17trampoline_kernelINS0_14default_configENS1_25partition_config_selectorILNS1_17partition_subalgoE0EjNS0_10empty_typeEbEEZZNS1_14partition_implILS5_0ELb0ES3_jN6thrust23THRUST_200600_302600_NS6detail15normal_iteratorINSA_10device_ptrIjEEEEPS6_SG_NS0_5tupleIJNSA_16discard_iteratorINSA_11use_defaultEEESF_EEENSH_IJSG_SG_EEES6_PlJ7is_evenIjEEEE10hipError_tPvRmT3_T4_T5_T6_T7_T9_mT8_P12ihipStream_tbDpT10_ENKUlT_T0_E_clISt17integral_constantIbLb1EES18_IbLb0EEEEDaS14_S15_EUlS14_E_NS1_11comp_targetILNS1_3genE5ELNS1_11target_archE942ELNS1_3gpuE9ELNS1_3repE0EEENS1_30default_config_static_selectorELNS0_4arch9wavefront6targetE1EEEvT1_,comdat
.Lfunc_end2476:
	.size	_ZN7rocprim17ROCPRIM_400000_NS6detail17trampoline_kernelINS0_14default_configENS1_25partition_config_selectorILNS1_17partition_subalgoE0EjNS0_10empty_typeEbEEZZNS1_14partition_implILS5_0ELb0ES3_jN6thrust23THRUST_200600_302600_NS6detail15normal_iteratorINSA_10device_ptrIjEEEEPS6_SG_NS0_5tupleIJNSA_16discard_iteratorINSA_11use_defaultEEESF_EEENSH_IJSG_SG_EEES6_PlJ7is_evenIjEEEE10hipError_tPvRmT3_T4_T5_T6_T7_T9_mT8_P12ihipStream_tbDpT10_ENKUlT_T0_E_clISt17integral_constantIbLb1EES18_IbLb0EEEEDaS14_S15_EUlS14_E_NS1_11comp_targetILNS1_3genE5ELNS1_11target_archE942ELNS1_3gpuE9ELNS1_3repE0EEENS1_30default_config_static_selectorELNS0_4arch9wavefront6targetE1EEEvT1_, .Lfunc_end2476-_ZN7rocprim17ROCPRIM_400000_NS6detail17trampoline_kernelINS0_14default_configENS1_25partition_config_selectorILNS1_17partition_subalgoE0EjNS0_10empty_typeEbEEZZNS1_14partition_implILS5_0ELb0ES3_jN6thrust23THRUST_200600_302600_NS6detail15normal_iteratorINSA_10device_ptrIjEEEEPS6_SG_NS0_5tupleIJNSA_16discard_iteratorINSA_11use_defaultEEESF_EEENSH_IJSG_SG_EEES6_PlJ7is_evenIjEEEE10hipError_tPvRmT3_T4_T5_T6_T7_T9_mT8_P12ihipStream_tbDpT10_ENKUlT_T0_E_clISt17integral_constantIbLb1EES18_IbLb0EEEEDaS14_S15_EUlS14_E_NS1_11comp_targetILNS1_3genE5ELNS1_11target_archE942ELNS1_3gpuE9ELNS1_3repE0EEENS1_30default_config_static_selectorELNS0_4arch9wavefront6targetE1EEEvT1_
                                        ; -- End function
	.section	.AMDGPU.csdata,"",@progbits
; Kernel info:
; codeLenInByte = 0
; NumSgprs: 4
; NumVgprs: 0
; NumAgprs: 0
; TotalNumVgprs: 0
; ScratchSize: 0
; MemoryBound: 0
; FloatMode: 240
; IeeeMode: 1
; LDSByteSize: 0 bytes/workgroup (compile time only)
; SGPRBlocks: 0
; VGPRBlocks: 0
; NumSGPRsForWavesPerEU: 4
; NumVGPRsForWavesPerEU: 1
; AccumOffset: 4
; Occupancy: 8
; WaveLimiterHint : 0
; COMPUTE_PGM_RSRC2:SCRATCH_EN: 0
; COMPUTE_PGM_RSRC2:USER_SGPR: 6
; COMPUTE_PGM_RSRC2:TRAP_HANDLER: 0
; COMPUTE_PGM_RSRC2:TGID_X_EN: 1
; COMPUTE_PGM_RSRC2:TGID_Y_EN: 0
; COMPUTE_PGM_RSRC2:TGID_Z_EN: 0
; COMPUTE_PGM_RSRC2:TIDIG_COMP_CNT: 0
; COMPUTE_PGM_RSRC3_GFX90A:ACCUM_OFFSET: 0
; COMPUTE_PGM_RSRC3_GFX90A:TG_SPLIT: 0
	.section	.text._ZN7rocprim17ROCPRIM_400000_NS6detail17trampoline_kernelINS0_14default_configENS1_25partition_config_selectorILNS1_17partition_subalgoE0EjNS0_10empty_typeEbEEZZNS1_14partition_implILS5_0ELb0ES3_jN6thrust23THRUST_200600_302600_NS6detail15normal_iteratorINSA_10device_ptrIjEEEEPS6_SG_NS0_5tupleIJNSA_16discard_iteratorINSA_11use_defaultEEESF_EEENSH_IJSG_SG_EEES6_PlJ7is_evenIjEEEE10hipError_tPvRmT3_T4_T5_T6_T7_T9_mT8_P12ihipStream_tbDpT10_ENKUlT_T0_E_clISt17integral_constantIbLb1EES18_IbLb0EEEEDaS14_S15_EUlS14_E_NS1_11comp_targetILNS1_3genE4ELNS1_11target_archE910ELNS1_3gpuE8ELNS1_3repE0EEENS1_30default_config_static_selectorELNS0_4arch9wavefront6targetE1EEEvT1_,"axG",@progbits,_ZN7rocprim17ROCPRIM_400000_NS6detail17trampoline_kernelINS0_14default_configENS1_25partition_config_selectorILNS1_17partition_subalgoE0EjNS0_10empty_typeEbEEZZNS1_14partition_implILS5_0ELb0ES3_jN6thrust23THRUST_200600_302600_NS6detail15normal_iteratorINSA_10device_ptrIjEEEEPS6_SG_NS0_5tupleIJNSA_16discard_iteratorINSA_11use_defaultEEESF_EEENSH_IJSG_SG_EEES6_PlJ7is_evenIjEEEE10hipError_tPvRmT3_T4_T5_T6_T7_T9_mT8_P12ihipStream_tbDpT10_ENKUlT_T0_E_clISt17integral_constantIbLb1EES18_IbLb0EEEEDaS14_S15_EUlS14_E_NS1_11comp_targetILNS1_3genE4ELNS1_11target_archE910ELNS1_3gpuE8ELNS1_3repE0EEENS1_30default_config_static_selectorELNS0_4arch9wavefront6targetE1EEEvT1_,comdat
	.protected	_ZN7rocprim17ROCPRIM_400000_NS6detail17trampoline_kernelINS0_14default_configENS1_25partition_config_selectorILNS1_17partition_subalgoE0EjNS0_10empty_typeEbEEZZNS1_14partition_implILS5_0ELb0ES3_jN6thrust23THRUST_200600_302600_NS6detail15normal_iteratorINSA_10device_ptrIjEEEEPS6_SG_NS0_5tupleIJNSA_16discard_iteratorINSA_11use_defaultEEESF_EEENSH_IJSG_SG_EEES6_PlJ7is_evenIjEEEE10hipError_tPvRmT3_T4_T5_T6_T7_T9_mT8_P12ihipStream_tbDpT10_ENKUlT_T0_E_clISt17integral_constantIbLb1EES18_IbLb0EEEEDaS14_S15_EUlS14_E_NS1_11comp_targetILNS1_3genE4ELNS1_11target_archE910ELNS1_3gpuE8ELNS1_3repE0EEENS1_30default_config_static_selectorELNS0_4arch9wavefront6targetE1EEEvT1_ ; -- Begin function _ZN7rocprim17ROCPRIM_400000_NS6detail17trampoline_kernelINS0_14default_configENS1_25partition_config_selectorILNS1_17partition_subalgoE0EjNS0_10empty_typeEbEEZZNS1_14partition_implILS5_0ELb0ES3_jN6thrust23THRUST_200600_302600_NS6detail15normal_iteratorINSA_10device_ptrIjEEEEPS6_SG_NS0_5tupleIJNSA_16discard_iteratorINSA_11use_defaultEEESF_EEENSH_IJSG_SG_EEES6_PlJ7is_evenIjEEEE10hipError_tPvRmT3_T4_T5_T6_T7_T9_mT8_P12ihipStream_tbDpT10_ENKUlT_T0_E_clISt17integral_constantIbLb1EES18_IbLb0EEEEDaS14_S15_EUlS14_E_NS1_11comp_targetILNS1_3genE4ELNS1_11target_archE910ELNS1_3gpuE8ELNS1_3repE0EEENS1_30default_config_static_selectorELNS0_4arch9wavefront6targetE1EEEvT1_
	.globl	_ZN7rocprim17ROCPRIM_400000_NS6detail17trampoline_kernelINS0_14default_configENS1_25partition_config_selectorILNS1_17partition_subalgoE0EjNS0_10empty_typeEbEEZZNS1_14partition_implILS5_0ELb0ES3_jN6thrust23THRUST_200600_302600_NS6detail15normal_iteratorINSA_10device_ptrIjEEEEPS6_SG_NS0_5tupleIJNSA_16discard_iteratorINSA_11use_defaultEEESF_EEENSH_IJSG_SG_EEES6_PlJ7is_evenIjEEEE10hipError_tPvRmT3_T4_T5_T6_T7_T9_mT8_P12ihipStream_tbDpT10_ENKUlT_T0_E_clISt17integral_constantIbLb1EES18_IbLb0EEEEDaS14_S15_EUlS14_E_NS1_11comp_targetILNS1_3genE4ELNS1_11target_archE910ELNS1_3gpuE8ELNS1_3repE0EEENS1_30default_config_static_selectorELNS0_4arch9wavefront6targetE1EEEvT1_
	.p2align	8
	.type	_ZN7rocprim17ROCPRIM_400000_NS6detail17trampoline_kernelINS0_14default_configENS1_25partition_config_selectorILNS1_17partition_subalgoE0EjNS0_10empty_typeEbEEZZNS1_14partition_implILS5_0ELb0ES3_jN6thrust23THRUST_200600_302600_NS6detail15normal_iteratorINSA_10device_ptrIjEEEEPS6_SG_NS0_5tupleIJNSA_16discard_iteratorINSA_11use_defaultEEESF_EEENSH_IJSG_SG_EEES6_PlJ7is_evenIjEEEE10hipError_tPvRmT3_T4_T5_T6_T7_T9_mT8_P12ihipStream_tbDpT10_ENKUlT_T0_E_clISt17integral_constantIbLb1EES18_IbLb0EEEEDaS14_S15_EUlS14_E_NS1_11comp_targetILNS1_3genE4ELNS1_11target_archE910ELNS1_3gpuE8ELNS1_3repE0EEENS1_30default_config_static_selectorELNS0_4arch9wavefront6targetE1EEEvT1_,@function
_ZN7rocprim17ROCPRIM_400000_NS6detail17trampoline_kernelINS0_14default_configENS1_25partition_config_selectorILNS1_17partition_subalgoE0EjNS0_10empty_typeEbEEZZNS1_14partition_implILS5_0ELb0ES3_jN6thrust23THRUST_200600_302600_NS6detail15normal_iteratorINSA_10device_ptrIjEEEEPS6_SG_NS0_5tupleIJNSA_16discard_iteratorINSA_11use_defaultEEESF_EEENSH_IJSG_SG_EEES6_PlJ7is_evenIjEEEE10hipError_tPvRmT3_T4_T5_T6_T7_T9_mT8_P12ihipStream_tbDpT10_ENKUlT_T0_E_clISt17integral_constantIbLb1EES18_IbLb0EEEEDaS14_S15_EUlS14_E_NS1_11comp_targetILNS1_3genE4ELNS1_11target_archE910ELNS1_3gpuE8ELNS1_3repE0EEENS1_30default_config_static_selectorELNS0_4arch9wavefront6targetE1EEEvT1_: ; @_ZN7rocprim17ROCPRIM_400000_NS6detail17trampoline_kernelINS0_14default_configENS1_25partition_config_selectorILNS1_17partition_subalgoE0EjNS0_10empty_typeEbEEZZNS1_14partition_implILS5_0ELb0ES3_jN6thrust23THRUST_200600_302600_NS6detail15normal_iteratorINSA_10device_ptrIjEEEEPS6_SG_NS0_5tupleIJNSA_16discard_iteratorINSA_11use_defaultEEESF_EEENSH_IJSG_SG_EEES6_PlJ7is_evenIjEEEE10hipError_tPvRmT3_T4_T5_T6_T7_T9_mT8_P12ihipStream_tbDpT10_ENKUlT_T0_E_clISt17integral_constantIbLb1EES18_IbLb0EEEEDaS14_S15_EUlS14_E_NS1_11comp_targetILNS1_3genE4ELNS1_11target_archE910ELNS1_3gpuE8ELNS1_3repE0EEENS1_30default_config_static_selectorELNS0_4arch9wavefront6targetE1EEEvT1_
; %bb.0:
	s_load_dwordx2 s[0:1], s[4:5], 0x60
	s_load_dwordx4 s[20:23], s[4:5], 0x8
	s_load_dwordx4 s[24:27], s[4:5], 0x50
	s_load_dword s7, s[4:5], 0x78
	s_mul_i32 s8, s6, 0xa00
	s_waitcnt lgkmcnt(0)
	v_mov_b32_e32 v3, s1
	s_lshl_b64 s[2:3], s[22:23], 2
	s_add_u32 s10, s20, s2
	s_mul_i32 s1, s7, 0xa00
	s_addc_u32 s11, s21, s3
	s_add_i32 s3, s1, s22
	s_sub_i32 s33, s0, s3
	s_add_i32 s2, s7, -1
	s_addk_i32 s33, 0xa00
	v_mov_b32_e32 v2, s0
	s_add_u32 s0, s22, s1
	s_addc_u32 s1, s23, 0
	s_cmp_eq_u32 s6, s2
	s_load_dwordx2 s[28:29], s[26:27], 0x0
	s_cselect_b64 s[26:27], -1, 0
	s_cmp_lg_u32 s6, s2
	s_mov_b32 s9, 0
	v_cmp_lt_u64_e32 vcc, s[0:1], v[2:3]
	s_cselect_b64 s[0:1], -1, 0
	s_or_b64 s[2:3], s[0:1], vcc
	s_lshl_b64 s[30:31], s[8:9], 2
	s_add_u32 s7, s10, s30
	s_addc_u32 s10, s11, s31
	s_mov_b64 s[0:1], -1
	s_and_b64 vcc, exec, s[2:3]
	v_lshlrev_b32_e32 v22, 2, v0
	s_cbranch_vccz .LBB2477_2
; %bb.1:
	v_mov_b32_e32 v1, s10
	v_add_co_u32_e32 v2, vcc, s7, v22
	v_addc_co_u32_e32 v3, vcc, 0, v1, vcc
	v_add_co_u32_e32 v4, vcc, 0x1000, v2
	v_addc_co_u32_e32 v5, vcc, 0, v3, vcc
	flat_load_dword v1, v[2:3]
	flat_load_dword v6, v[2:3] offset:1024
	flat_load_dword v7, v[2:3] offset:2048
	;; [unrolled: 1-line block ×3, first 2 shown]
	flat_load_dword v9, v[4:5]
	flat_load_dword v10, v[4:5] offset:1024
	flat_load_dword v11, v[4:5] offset:2048
	;; [unrolled: 1-line block ×3, first 2 shown]
	v_add_co_u32_e32 v2, vcc, 0x2000, v2
	v_addc_co_u32_e32 v3, vcc, 0, v3, vcc
	flat_load_dword v4, v[2:3]
	flat_load_dword v5, v[2:3] offset:1024
	s_mov_b64 s[0:1], 0
	s_waitcnt vmcnt(0) lgkmcnt(0)
	ds_write2st64_b32 v22, v1, v6 offset1:4
	ds_write2st64_b32 v22, v7, v8 offset0:8 offset1:12
	ds_write2st64_b32 v22, v9, v10 offset0:16 offset1:20
	;; [unrolled: 1-line block ×4, first 2 shown]
	s_waitcnt lgkmcnt(0)
	s_barrier
.LBB2477_2:
	s_andn2_b64 vcc, exec, s[0:1]
	v_cmp_gt_u32_e64 s[0:1], s33, v0
	s_cbranch_vccnz .LBB2477_24
; %bb.3:
                                        ; implicit-def: $vgpr2_vgpr3_vgpr4_vgpr5_vgpr6_vgpr7_vgpr8_vgpr9_vgpr10_vgpr11
	s_and_saveexec_b64 s[8:9], s[0:1]
	s_cbranch_execz .LBB2477_5
; %bb.4:
	v_mov_b32_e32 v1, s10
	v_add_co_u32_e32 v2, vcc, s7, v22
	v_addc_co_u32_e32 v3, vcc, 0, v1, vcc
	flat_load_dword v2, v[2:3]
.LBB2477_5:
	s_or_b64 exec, exec, s[8:9]
	v_or_b32_e32 v1, 0x100, v0
	v_cmp_gt_u32_e32 vcc, s33, v1
	s_and_saveexec_b64 s[0:1], vcc
	s_cbranch_execz .LBB2477_7
; %bb.6:
	v_mov_b32_e32 v1, s10
	v_add_co_u32_e32 v12, vcc, s7, v22
	v_addc_co_u32_e32 v13, vcc, 0, v1, vcc
	flat_load_dword v3, v[12:13] offset:1024
.LBB2477_7:
	s_or_b64 exec, exec, s[0:1]
	v_or_b32_e32 v1, 0x200, v0
	v_cmp_gt_u32_e32 vcc, s33, v1
	s_and_saveexec_b64 s[0:1], vcc
	s_cbranch_execz .LBB2477_9
; %bb.8:
	v_mov_b32_e32 v1, s10
	v_add_co_u32_e32 v12, vcc, s7, v22
	v_addc_co_u32_e32 v13, vcc, 0, v1, vcc
	flat_load_dword v4, v[12:13] offset:2048
.LBB2477_9:
	;; [unrolled: 11-line block ×3, first 2 shown]
	s_or_b64 exec, exec, s[0:1]
	v_or_b32_e32 v1, 0x400, v0
	v_cmp_gt_u32_e32 vcc, s33, v1
	s_and_saveexec_b64 s[0:1], vcc
	s_cbranch_execz .LBB2477_13
; %bb.12:
	v_lshlrev_b32_e32 v1, 2, v1
	v_mov_b32_e32 v6, s10
	v_add_co_u32_e32 v12, vcc, s7, v1
	v_addc_co_u32_e32 v13, vcc, 0, v6, vcc
	flat_load_dword v6, v[12:13]
.LBB2477_13:
	s_or_b64 exec, exec, s[0:1]
	v_or_b32_e32 v1, 0x500, v0
	v_cmp_gt_u32_e32 vcc, s33, v1
	s_and_saveexec_b64 s[0:1], vcc
	s_cbranch_execz .LBB2477_15
; %bb.14:
	v_lshlrev_b32_e32 v1, 2, v1
	v_mov_b32_e32 v7, s10
	v_add_co_u32_e32 v12, vcc, s7, v1
	v_addc_co_u32_e32 v13, vcc, 0, v7, vcc
	flat_load_dword v7, v[12:13]
.LBB2477_15:
	;; [unrolled: 12-line block ×6, first 2 shown]
	s_or_b64 exec, exec, s[0:1]
	s_waitcnt vmcnt(0) lgkmcnt(0)
	ds_write2st64_b32 v22, v2, v3 offset1:4
	ds_write2st64_b32 v22, v4, v5 offset0:8 offset1:12
	ds_write2st64_b32 v22, v6, v7 offset0:16 offset1:20
	;; [unrolled: 1-line block ×4, first 2 shown]
	s_waitcnt lgkmcnt(0)
	s_barrier
.LBB2477_24:
	v_mul_u32_u24_e32 v23, 10, v0
	v_lshlrev_b32_e32 v29, 2, v23
	s_waitcnt lgkmcnt(0)
	ds_read2_b64 v[6:9], v29 offset1:1
	ds_read2_b64 v[2:5], v29 offset0:2 offset1:3
	ds_read_b64 v[10:11], v29 offset:32
	v_cndmask_b32_e64 v1, 0, 1, s[2:3]
	v_cmp_ne_u32_e64 s[0:1], 1, v1
	s_andn2_b64 vcc, exec, s[2:3]
	s_waitcnt lgkmcnt(2)
	v_xor_b32_e32 v21, -1, v6
	v_xor_b32_e32 v20, -1, v7
	;; [unrolled: 1-line block ×4, first 2 shown]
	s_waitcnt lgkmcnt(1)
	v_xor_b32_e32 v17, -1, v2
	v_xor_b32_e32 v16, -1, v3
	;; [unrolled: 1-line block ×4, first 2 shown]
	s_waitcnt lgkmcnt(0)
	v_xor_b32_e32 v13, -1, v10
	v_xor_b32_e32 v12, -1, v11
	s_barrier
	s_cbranch_vccnz .LBB2477_26
; %bb.25:
	v_mov_b32_e32 v1, 1
	v_and_b32_e32 v25, 1, v21
	v_and_b32_sdwa v26, v20, v1 dst_sel:BYTE_1 dst_unused:UNUSED_PAD src0_sel:DWORD src1_sel:DWORD
	v_and_b32_e32 v27, 1, v19
	v_and_b32_sdwa v28, v18, v1 dst_sel:BYTE_1 dst_unused:UNUSED_PAD src0_sel:DWORD src1_sel:DWORD
	;; [unrolled: 2-line block ×4, first 2 shown]
	v_or_b32_e32 v25, v25, v26
	v_or_b32_sdwa v26, v27, v28 dst_sel:WORD_1 dst_unused:UNUSED_PAD src0_sel:DWORD src1_sel:DWORD
	v_or_b32_sdwa v26, v25, v26 dst_sel:DWORD dst_unused:UNUSED_PAD src0_sel:WORD_0 src1_sel:DWORD
	v_or_b32_e32 v25, v30, v31
	v_or_b32_sdwa v27, v32, v33 dst_sel:WORD_1 dst_unused:UNUSED_PAD src0_sel:DWORD src1_sel:DWORD
	v_and_b32_e32 v24, 1, v13
	v_and_b32_e32 v1, 1, v12
	v_or_b32_sdwa v25, v25, v27 dst_sel:DWORD dst_unused:UNUSED_PAD src0_sel:WORD_0 src1_sel:DWORD
	s_load_dwordx2 s[34:35], s[4:5], 0x70
	s_cbranch_execz .LBB2477_27
	s_branch .LBB2477_28
.LBB2477_26:
                                        ; implicit-def: $vgpr1
                                        ; implicit-def: $vgpr24
                                        ; implicit-def: $vgpr25
                                        ; implicit-def: $vgpr26
	s_load_dwordx2 s[34:35], s[4:5], 0x70
.LBB2477_27:
	v_or_b32_e32 v32, 1, v23
	v_cmp_gt_u32_e32 vcc, s33, v23
	v_add_u32_e32 v1, 2, v23
	v_cndmask_b32_e64 v33, 0, 1, vcc
	v_cmp_gt_u32_e32 vcc, s33, v32
	v_add_u32_e32 v31, 3, v23
	v_cndmask_b32_e64 v32, 0, 1, vcc
	;; [unrolled: 3-line block ×3, first 2 shown]
	v_cmp_gt_u32_e32 vcc, s33, v31
	v_add_u32_e32 v30, 5, v23
	v_and_b32_e32 v19, v1, v19
	v_cndmask_b32_e64 v1, 0, 1, vcc
	v_cmp_gt_u32_e32 vcc, s33, v24
	v_add_u32_e32 v25, 6, v23
	v_and_b32_sdwa v18, v1, v18 dst_sel:BYTE_1 dst_unused:UNUSED_PAD src0_sel:DWORD src1_sel:DWORD
	v_cndmask_b32_e64 v1, 0, 1, vcc
	v_cmp_gt_u32_e32 vcc, s33, v30
	v_add_u32_e32 v28, 7, v23
	v_and_b32_e32 v17, v1, v17
	v_cndmask_b32_e64 v1, 0, 1, vcc
	v_cmp_gt_u32_e32 vcc, s33, v25
	v_add_u32_e32 v26, 8, v23
	v_and_b32_sdwa v16, v1, v16 dst_sel:BYTE_1 dst_unused:UNUSED_PAD src0_sel:DWORD src1_sel:DWORD
	v_cndmask_b32_e64 v1, 0, 1, vcc
	v_cmp_gt_u32_e32 vcc, s33, v28
	v_add_u32_e32 v27, 9, v23
	v_and_b32_e32 v15, v1, v15
	v_cndmask_b32_e64 v1, 0, 1, vcc
	v_cmp_gt_u32_e32 vcc, s33, v26
	v_and_b32_sdwa v14, v1, v14 dst_sel:BYTE_1 dst_unused:UNUSED_PAD src0_sel:DWORD src1_sel:DWORD
	v_cndmask_b32_e64 v1, 0, 1, vcc
	v_cmp_gt_u32_e32 vcc, s33, v27
	v_and_b32_e32 v21, v33, v21
	v_and_b32_sdwa v20, v32, v20 dst_sel:BYTE_1 dst_unused:UNUSED_PAD src0_sel:DWORD src1_sel:DWORD
	v_and_b32_e32 v24, v1, v13
	v_cndmask_b32_e64 v1, 0, 1, vcc
	v_and_b32_e32 v1, v1, v12
	v_or_b32_e32 v12, v21, v20
	v_or_b32_sdwa v13, v19, v18 dst_sel:WORD_1 dst_unused:UNUSED_PAD src0_sel:DWORD src1_sel:DWORD
	v_or_b32_sdwa v26, v12, v13 dst_sel:DWORD dst_unused:UNUSED_PAD src0_sel:WORD_0 src1_sel:DWORD
	v_or_b32_e32 v12, v17, v16
	v_or_b32_sdwa v13, v15, v14 dst_sel:WORD_1 dst_unused:UNUSED_PAD src0_sel:DWORD src1_sel:DWORD
	v_or_b32_sdwa v25, v12, v13 dst_sel:DWORD dst_unused:UNUSED_PAD src0_sel:WORD_0 src1_sel:DWORD
.LBB2477_28:
	v_bfe_u32 v30, v26, 16, 8
	v_lshrrev_b32_e32 v28, 24, v26
	v_add_u32_sdwa v13, v26, v26 dst_sel:DWORD dst_unused:UNUSED_PAD src0_sel:BYTE_1 src1_sel:BYTE_0
	v_and_b32_e32 v31, 0xff, v25
	v_bfe_u32 v32, v25, 8, 8
	v_add3_u32 v13, v13, v30, v28
	v_bfe_u32 v33, v25, 16, 8
	v_lshrrev_b32_e32 v27, 24, v25
	v_add3_u32 v13, v13, v31, v32
	v_and_b32_e32 v34, 0xff, v24
	v_and_b32_e32 v12, 0xff, v1
	v_add3_u32 v13, v13, v33, v27
	v_add3_u32 v37, v13, v34, v12
	v_mbcnt_lo_u32_b32 v12, -1, 0
	v_mbcnt_hi_u32_b32 v35, -1, v12
	v_and_b32_e32 v12, 15, v35
	v_cmp_eq_u32_e64 s[16:17], 0, v12
	v_cmp_lt_u32_e64 s[14:15], 1, v12
	v_cmp_lt_u32_e64 s[12:13], 3, v12
	;; [unrolled: 1-line block ×3, first 2 shown]
	v_and_b32_e32 v12, 16, v35
	v_cmp_eq_u32_e64 s[8:9], 0, v12
	v_or_b32_e32 v12, 63, v0
	s_cmp_lg_u32 s6, 0
	v_cmp_lt_u32_e64 s[2:3], 31, v35
	v_lshrrev_b32_e32 v36, 6, v0
	v_cmp_eq_u32_e64 s[20:21], v12, v0
	s_cbranch_scc0 .LBB2477_59
; %bb.29:
	v_mov_b32_dpp v12, v37 row_shr:1 row_mask:0xf bank_mask:0xf
	v_cndmask_b32_e64 v12, v12, 0, s[16:17]
	v_add_u32_e32 v12, v12, v37
	s_nop 1
	v_mov_b32_dpp v13, v12 row_shr:2 row_mask:0xf bank_mask:0xf
	v_cndmask_b32_e64 v13, 0, v13, s[14:15]
	v_add_u32_e32 v12, v12, v13
	s_nop 1
	v_mov_b32_dpp v13, v12 row_shr:4 row_mask:0xf bank_mask:0xf
	v_cndmask_b32_e64 v13, 0, v13, s[12:13]
	v_add_u32_e32 v12, v12, v13
	s_nop 1
	v_mov_b32_dpp v13, v12 row_shr:8 row_mask:0xf bank_mask:0xf
	v_cndmask_b32_e64 v13, 0, v13, s[10:11]
	v_add_u32_e32 v12, v12, v13
	s_nop 1
	v_mov_b32_dpp v13, v12 row_bcast:15 row_mask:0xf bank_mask:0xf
	v_cndmask_b32_e64 v13, v13, 0, s[8:9]
	v_add_u32_e32 v12, v12, v13
	s_nop 1
	v_mov_b32_dpp v13, v12 row_bcast:31 row_mask:0xf bank_mask:0xf
	v_cndmask_b32_e64 v13, 0, v13, s[2:3]
	v_add_u32_e32 v12, v12, v13
	s_and_saveexec_b64 s[18:19], s[20:21]
	s_cbranch_execz .LBB2477_31
; %bb.30:
	v_lshlrev_b32_e32 v13, 2, v36
	ds_write_b32 v13, v12
.LBB2477_31:
	s_or_b64 exec, exec, s[18:19]
	v_cmp_gt_u32_e32 vcc, 4, v0
	s_waitcnt lgkmcnt(0)
	s_barrier
	s_and_saveexec_b64 s[18:19], vcc
	s_cbranch_execz .LBB2477_33
; %bb.32:
	ds_read_b32 v13, v22
	v_and_b32_e32 v14, 3, v35
	v_cmp_ne_u32_e32 vcc, 0, v14
	s_waitcnt lgkmcnt(0)
	v_mov_b32_dpp v15, v13 row_shr:1 row_mask:0xf bank_mask:0xf
	v_cndmask_b32_e32 v15, 0, v15, vcc
	v_add_u32_e32 v13, v15, v13
	v_cmp_lt_u32_e32 vcc, 1, v14
	s_nop 0
	v_mov_b32_dpp v15, v13 row_shr:2 row_mask:0xf bank_mask:0xf
	v_cndmask_b32_e32 v14, 0, v15, vcc
	v_add_u32_e32 v13, v13, v14
	ds_write_b32 v22, v13
.LBB2477_33:
	s_or_b64 exec, exec, s[18:19]
	v_cmp_gt_u32_e32 vcc, 64, v0
	v_cmp_lt_u32_e64 s[18:19], 63, v0
	s_waitcnt lgkmcnt(0)
	s_barrier
	s_waitcnt lgkmcnt(0)
                                        ; implicit-def: $vgpr38
	s_and_saveexec_b64 s[36:37], s[18:19]
	s_cbranch_execz .LBB2477_35
; %bb.34:
	v_lshl_add_u32 v13, v36, 2, -4
	ds_read_b32 v38, v13
	s_waitcnt lgkmcnt(0)
	v_add_u32_e32 v12, v38, v12
.LBB2477_35:
	s_or_b64 exec, exec, s[36:37]
	v_add_u32_e32 v13, -1, v35
	v_and_b32_e32 v14, 64, v35
	v_cmp_lt_i32_e64 s[18:19], v13, v14
	v_cndmask_b32_e64 v13, v13, v35, s[18:19]
	v_lshlrev_b32_e32 v13, 2, v13
	ds_bpermute_b32 v39, v13, v12
	v_cmp_eq_u32_e64 s[18:19], 0, v35
	s_and_saveexec_b64 s[36:37], vcc
	s_cbranch_execz .LBB2477_58
; %bb.36:
	v_mov_b32_e32 v21, 0
	ds_read_b32 v12, v21 offset:12
	s_and_saveexec_b64 s[38:39], s[18:19]
	s_cbranch_execz .LBB2477_38
; %bb.37:
	s_add_i32 s40, s6, 64
	s_mov_b32 s41, 0
	s_lshl_b64 s[40:41], s[40:41], 3
	s_add_u32 s40, s34, s40
	v_mov_b32_e32 v13, 1
	s_addc_u32 s41, s35, s41
	s_waitcnt lgkmcnt(0)
	global_store_dwordx2 v21, v[12:13], s[40:41]
.LBB2477_38:
	s_or_b64 exec, exec, s[38:39]
	v_xad_u32 v14, v35, -1, s6
	v_add_u32_e32 v20, 64, v14
	v_lshlrev_b64 v[16:17], 3, v[20:21]
	v_mov_b32_e32 v13, s35
	v_add_co_u32_e32 v16, vcc, s34, v16
	v_addc_co_u32_e32 v17, vcc, v13, v17, vcc
	global_load_dwordx2 v[18:19], v[16:17], off glc
	s_waitcnt vmcnt(0)
	v_cmp_eq_u16_sdwa s[40:41], v19, v21 src0_sel:BYTE_0 src1_sel:DWORD
	s_and_saveexec_b64 s[38:39], s[40:41]
	s_cbranch_execz .LBB2477_44
; %bb.39:
	s_mov_b32 s7, 1
	s_mov_b64 s[40:41], 0
	v_mov_b32_e32 v13, 0
.LBB2477_40:                            ; =>This Loop Header: Depth=1
                                        ;     Child Loop BB2477_41 Depth 2
	s_max_u32 s42, s7, 1
.LBB2477_41:                            ;   Parent Loop BB2477_40 Depth=1
                                        ; =>  This Inner Loop Header: Depth=2
	s_add_i32 s42, s42, -1
	s_cmp_eq_u32 s42, 0
	s_sleep 1
	s_cbranch_scc0 .LBB2477_41
; %bb.42:                               ;   in Loop: Header=BB2477_40 Depth=1
	global_load_dwordx2 v[18:19], v[16:17], off glc
	s_cmp_lt_u32 s7, 32
	s_cselect_b64 s[42:43], -1, 0
	s_cmp_lg_u64 s[42:43], 0
	s_addc_u32 s7, s7, 0
	s_waitcnt vmcnt(0)
	v_cmp_ne_u16_sdwa s[42:43], v19, v13 src0_sel:BYTE_0 src1_sel:DWORD
	s_or_b64 s[40:41], s[42:43], s[40:41]
	s_andn2_b64 exec, exec, s[40:41]
	s_cbranch_execnz .LBB2477_40
; %bb.43:
	s_or_b64 exec, exec, s[40:41]
.LBB2477_44:
	s_or_b64 exec, exec, s[38:39]
	v_and_b32_e32 v41, 63, v35
	v_mov_b32_e32 v40, 2
	v_cmp_ne_u32_e32 vcc, 63, v41
	v_cmp_eq_u16_sdwa s[38:39], v19, v40 src0_sel:BYTE_0 src1_sel:DWORD
	v_lshlrev_b64 v[16:17], v35, -1
	v_addc_co_u32_e32 v20, vcc, 0, v35, vcc
	v_and_b32_e32 v13, s39, v17
	v_lshlrev_b32_e32 v42, 2, v20
	v_or_b32_e32 v13, 0x80000000, v13
	ds_bpermute_b32 v20, v42, v18
	v_and_b32_e32 v15, s38, v16
	v_ffbl_b32_e32 v13, v13
	v_add_u32_e32 v13, 32, v13
	v_ffbl_b32_e32 v15, v15
	v_min_u32_e32 v13, v15, v13
	v_cmp_lt_u32_e32 vcc, v41, v13
	s_waitcnt lgkmcnt(0)
	v_cndmask_b32_e32 v15, 0, v20, vcc
	v_cmp_gt_u32_e32 vcc, 62, v41
	v_add_u32_e32 v15, v15, v18
	v_cndmask_b32_e64 v18, 0, 1, vcc
	v_lshlrev_b32_e32 v18, 1, v18
	v_add_lshl_u32 v43, v18, v35, 2
	ds_bpermute_b32 v18, v43, v15
	v_add_u32_e32 v44, 2, v41
	v_cmp_le_u32_e32 vcc, v44, v13
	v_add_u32_e32 v46, 4, v41
	v_add_u32_e32 v48, 8, v41
	s_waitcnt lgkmcnt(0)
	v_cndmask_b32_e32 v18, 0, v18, vcc
	v_cmp_gt_u32_e32 vcc, 60, v41
	v_add_u32_e32 v15, v15, v18
	v_cndmask_b32_e64 v18, 0, 1, vcc
	v_lshlrev_b32_e32 v18, 2, v18
	v_add_lshl_u32 v45, v18, v35, 2
	ds_bpermute_b32 v18, v45, v15
	v_cmp_le_u32_e32 vcc, v46, v13
	v_add_u32_e32 v50, 16, v41
	v_add_u32_e32 v52, 32, v41
	s_waitcnt lgkmcnt(0)
	v_cndmask_b32_e32 v18, 0, v18, vcc
	v_cmp_gt_u32_e32 vcc, 56, v41
	v_add_u32_e32 v15, v15, v18
	v_cndmask_b32_e64 v18, 0, 1, vcc
	v_lshlrev_b32_e32 v18, 3, v18
	v_add_lshl_u32 v47, v18, v35, 2
	ds_bpermute_b32 v18, v47, v15
	v_cmp_le_u32_e32 vcc, v48, v13
	s_waitcnt lgkmcnt(0)
	v_cndmask_b32_e32 v18, 0, v18, vcc
	v_cmp_gt_u32_e32 vcc, 48, v41
	v_add_u32_e32 v15, v15, v18
	v_cndmask_b32_e64 v18, 0, 1, vcc
	v_lshlrev_b32_e32 v18, 4, v18
	v_add_lshl_u32 v49, v18, v35, 2
	ds_bpermute_b32 v18, v49, v15
	v_cmp_le_u32_e32 vcc, v50, v13
	;; [unrolled: 9-line block ×3, first 2 shown]
	s_waitcnt lgkmcnt(0)
	v_cndmask_b32_e32 v13, 0, v18, vcc
	v_add_u32_e32 v18, v15, v13
	v_mov_b32_e32 v15, 0
	s_branch .LBB2477_46
.LBB2477_45:                            ;   in Loop: Header=BB2477_46 Depth=1
	s_or_b64 exec, exec, s[38:39]
	v_cmp_eq_u16_sdwa s[38:39], v19, v40 src0_sel:BYTE_0 src1_sel:DWORD
	v_and_b32_e32 v20, s39, v17
	v_or_b32_e32 v20, 0x80000000, v20
	ds_bpermute_b32 v53, v42, v18
	v_and_b32_e32 v21, s38, v16
	v_ffbl_b32_e32 v20, v20
	v_add_u32_e32 v20, 32, v20
	v_ffbl_b32_e32 v21, v21
	v_min_u32_e32 v20, v21, v20
	v_cmp_lt_u32_e32 vcc, v41, v20
	s_waitcnt lgkmcnt(0)
	v_cndmask_b32_e32 v21, 0, v53, vcc
	v_add_u32_e32 v18, v21, v18
	ds_bpermute_b32 v21, v43, v18
	v_cmp_le_u32_e32 vcc, v44, v20
	v_subrev_u32_e32 v14, 64, v14
	s_waitcnt lgkmcnt(0)
	v_cndmask_b32_e32 v21, 0, v21, vcc
	v_add_u32_e32 v18, v18, v21
	ds_bpermute_b32 v21, v45, v18
	v_cmp_le_u32_e32 vcc, v46, v20
	s_waitcnt lgkmcnt(0)
	v_cndmask_b32_e32 v21, 0, v21, vcc
	v_add_u32_e32 v18, v18, v21
	ds_bpermute_b32 v21, v47, v18
	v_cmp_le_u32_e32 vcc, v48, v20
	s_waitcnt lgkmcnt(0)
	v_cndmask_b32_e32 v21, 0, v21, vcc
	v_add_u32_e32 v18, v18, v21
	ds_bpermute_b32 v21, v49, v18
	v_cmp_le_u32_e32 vcc, v50, v20
	s_waitcnt lgkmcnt(0)
	v_cndmask_b32_e32 v21, 0, v21, vcc
	v_add_u32_e32 v18, v18, v21
	ds_bpermute_b32 v21, v51, v18
	v_cmp_le_u32_e32 vcc, v52, v20
	s_waitcnt lgkmcnt(0)
	v_cndmask_b32_e32 v20, 0, v21, vcc
	v_add3_u32 v18, v20, v13, v18
.LBB2477_46:                            ; =>This Loop Header: Depth=1
                                        ;     Child Loop BB2477_49 Depth 2
                                        ;       Child Loop BB2477_50 Depth 3
	v_cmp_ne_u16_sdwa s[38:39], v19, v40 src0_sel:BYTE_0 src1_sel:DWORD
	v_cndmask_b32_e64 v13, 0, 1, s[38:39]
	;;#ASMSTART
	;;#ASMEND
	v_cmp_ne_u32_e32 vcc, 0, v13
	s_cmp_lg_u64 vcc, exec
	v_mov_b32_e32 v13, v18
	s_cbranch_scc1 .LBB2477_53
; %bb.47:                               ;   in Loop: Header=BB2477_46 Depth=1
	v_lshlrev_b64 v[18:19], 3, v[14:15]
	v_mov_b32_e32 v21, s35
	v_add_co_u32_e32 v20, vcc, s34, v18
	v_addc_co_u32_e32 v21, vcc, v21, v19, vcc
	global_load_dwordx2 v[18:19], v[20:21], off glc
	s_waitcnt vmcnt(0)
	v_cmp_eq_u16_sdwa s[40:41], v19, v15 src0_sel:BYTE_0 src1_sel:DWORD
	s_and_saveexec_b64 s[38:39], s[40:41]
	s_cbranch_execz .LBB2477_45
; %bb.48:                               ;   in Loop: Header=BB2477_46 Depth=1
	s_mov_b32 s7, 1
	s_mov_b64 s[40:41], 0
.LBB2477_49:                            ;   Parent Loop BB2477_46 Depth=1
                                        ; =>  This Loop Header: Depth=2
                                        ;       Child Loop BB2477_50 Depth 3
	s_max_u32 s42, s7, 1
.LBB2477_50:                            ;   Parent Loop BB2477_46 Depth=1
                                        ;     Parent Loop BB2477_49 Depth=2
                                        ; =>    This Inner Loop Header: Depth=3
	s_add_i32 s42, s42, -1
	s_cmp_eq_u32 s42, 0
	s_sleep 1
	s_cbranch_scc0 .LBB2477_50
; %bb.51:                               ;   in Loop: Header=BB2477_49 Depth=2
	global_load_dwordx2 v[18:19], v[20:21], off glc
	s_cmp_lt_u32 s7, 32
	s_cselect_b64 s[42:43], -1, 0
	s_cmp_lg_u64 s[42:43], 0
	s_addc_u32 s7, s7, 0
	s_waitcnt vmcnt(0)
	v_cmp_ne_u16_sdwa s[42:43], v19, v15 src0_sel:BYTE_0 src1_sel:DWORD
	s_or_b64 s[40:41], s[42:43], s[40:41]
	s_andn2_b64 exec, exec, s[40:41]
	s_cbranch_execnz .LBB2477_49
; %bb.52:                               ;   in Loop: Header=BB2477_46 Depth=1
	s_or_b64 exec, exec, s[40:41]
	s_branch .LBB2477_45
.LBB2477_53:                            ;   in Loop: Header=BB2477_46 Depth=1
                                        ; implicit-def: $vgpr18
                                        ; implicit-def: $vgpr19
	s_cbranch_execz .LBB2477_46
; %bb.54:
	s_and_saveexec_b64 s[38:39], s[18:19]
	s_cbranch_execz .LBB2477_56
; %bb.55:
	s_add_i32 s6, s6, 64
	s_mov_b32 s7, 0
	s_lshl_b64 s[6:7], s[6:7], 3
	s_add_u32 s6, s34, s6
	v_add_u32_e32 v14, v13, v12
	v_mov_b32_e32 v15, 2
	s_addc_u32 s7, s35, s7
	v_mov_b32_e32 v16, 0
	global_store_dwordx2 v16, v[14:15], s[6:7]
	ds_write_b64 v16, v[12:13] offset:10240
.LBB2477_56:
	s_or_b64 exec, exec, s[38:39]
	v_cmp_eq_u32_e32 vcc, 0, v0
	s_and_b64 exec, exec, vcc
	s_cbranch_execz .LBB2477_58
; %bb.57:
	v_mov_b32_e32 v12, 0
	ds_write_b32 v12, v13 offset:12
.LBB2477_58:
	s_or_b64 exec, exec, s[36:37]
	v_mov_b32_e32 v12, 0
	s_waitcnt lgkmcnt(0)
	s_barrier
	ds_read_b32 v13, v12 offset:12
	v_cndmask_b32_e64 v14, v39, v38, s[18:19]
	v_cmp_ne_u32_e32 vcc, 0, v0
	v_cndmask_b32_e32 v14, 0, v14, vcc
	s_waitcnt lgkmcnt(0)
	v_add_u32_e32 v39, v13, v14
	v_add_u32_sdwa v38, v39, v26 dst_sel:DWORD dst_unused:UNUSED_PAD src0_sel:DWORD src1_sel:BYTE_0
	v_add_u32_sdwa v21, v38, v26 dst_sel:DWORD dst_unused:UNUSED_PAD src0_sel:DWORD src1_sel:BYTE_1
	v_add_u32_e32 v20, v21, v30
	v_add_u32_e32 v19, v20, v28
	;; [unrolled: 1-line block ×3, first 2 shown]
	s_barrier
	ds_read_b64 v[12:13], v12 offset:10240
	v_add_u32_e32 v17, v18, v32
	v_add_u32_e32 v16, v17, v33
	;; [unrolled: 1-line block ×4, first 2 shown]
	s_load_dwordx2 s[4:5], s[4:5], 0x38
	s_branch .LBB2477_69
.LBB2477_59:
                                        ; implicit-def: $vgpr13
                                        ; implicit-def: $vgpr14
                                        ; implicit-def: $vgpr15
                                        ; implicit-def: $vgpr16
                                        ; implicit-def: $vgpr17
                                        ; implicit-def: $vgpr18
                                        ; implicit-def: $vgpr19
                                        ; implicit-def: $vgpr20
                                        ; implicit-def: $vgpr21
                                        ; implicit-def: $vgpr38
                                        ; implicit-def: $vgpr39
	s_load_dwordx2 s[4:5], s[4:5], 0x38
	s_cbranch_execz .LBB2477_69
; %bb.60:
	s_waitcnt lgkmcnt(0)
	v_mov_b32_dpp v12, v37 row_shr:1 row_mask:0xf bank_mask:0xf
	v_cndmask_b32_e64 v12, v12, 0, s[16:17]
	v_add_u32_e32 v12, v12, v37
	s_nop 1
	v_mov_b32_dpp v13, v12 row_shr:2 row_mask:0xf bank_mask:0xf
	v_cndmask_b32_e64 v13, 0, v13, s[14:15]
	v_add_u32_e32 v12, v12, v13
	s_nop 1
	;; [unrolled: 4-line block ×4, first 2 shown]
	v_mov_b32_dpp v13, v12 row_bcast:15 row_mask:0xf bank_mask:0xf
	v_cndmask_b32_e64 v13, v13, 0, s[8:9]
	v_add_u32_e32 v12, v12, v13
	s_nop 1
	v_mov_b32_dpp v13, v12 row_bcast:31 row_mask:0xf bank_mask:0xf
	v_cndmask_b32_e64 v13, 0, v13, s[2:3]
	v_add_u32_e32 v12, v12, v13
	s_and_saveexec_b64 s[2:3], s[20:21]
	s_cbranch_execz .LBB2477_62
; %bb.61:
	v_lshlrev_b32_e32 v13, 2, v36
	ds_write_b32 v13, v12
.LBB2477_62:
	s_or_b64 exec, exec, s[2:3]
	v_cmp_gt_u32_e32 vcc, 4, v0
	s_waitcnt lgkmcnt(0)
	s_barrier
	s_and_saveexec_b64 s[2:3], vcc
	s_cbranch_execz .LBB2477_64
; %bb.63:
	s_movk_i32 s6, 0xffdc
	v_mad_i32_i24 v13, v0, s6, v29
	ds_read_b32 v14, v13
	v_and_b32_e32 v15, 3, v35
	v_cmp_ne_u32_e32 vcc, 0, v15
	s_waitcnt lgkmcnt(0)
	v_mov_b32_dpp v16, v14 row_shr:1 row_mask:0xf bank_mask:0xf
	v_cndmask_b32_e32 v16, 0, v16, vcc
	v_add_u32_e32 v14, v16, v14
	v_cmp_lt_u32_e32 vcc, 1, v15
	s_nop 0
	v_mov_b32_dpp v16, v14 row_shr:2 row_mask:0xf bank_mask:0xf
	v_cndmask_b32_e32 v15, 0, v16, vcc
	v_add_u32_e32 v14, v14, v15
	ds_write_b32 v13, v14
.LBB2477_64:
	s_or_b64 exec, exec, s[2:3]
	v_cmp_lt_u32_e32 vcc, 63, v0
	v_mov_b32_e32 v13, 0
	v_mov_b32_e32 v14, 0
	s_waitcnt lgkmcnt(0)
	s_barrier
	s_and_saveexec_b64 s[2:3], vcc
	s_cbranch_execz .LBB2477_66
; %bb.65:
	v_lshl_add_u32 v14, v36, 2, -4
	ds_read_b32 v14, v14
.LBB2477_66:
	s_or_b64 exec, exec, s[2:3]
	v_add_u32_e32 v15, -1, v35
	v_and_b32_e32 v16, 64, v35
	v_cmp_lt_i32_e32 vcc, v15, v16
	v_cndmask_b32_e32 v15, v15, v35, vcc
	s_waitcnt lgkmcnt(0)
	v_add_u32_e32 v12, v14, v12
	v_lshlrev_b32_e32 v15, 2, v15
	ds_bpermute_b32 v15, v15, v12
	ds_read_b32 v12, v13 offset:12
	v_cmp_eq_u32_e32 vcc, 0, v0
	s_and_saveexec_b64 s[2:3], vcc
	s_cbranch_execz .LBB2477_68
; %bb.67:
	v_mov_b32_e32 v16, 0
	v_mov_b32_e32 v13, 2
	s_waitcnt lgkmcnt(0)
	global_store_dwordx2 v16, v[12:13], s[34:35] offset:512
.LBB2477_68:
	s_or_b64 exec, exec, s[2:3]
	v_cmp_eq_u32_e64 s[2:3], 0, v35
	s_waitcnt lgkmcnt(1)
	v_cndmask_b32_e64 v14, v15, v14, s[2:3]
	v_cndmask_b32_e64 v39, v14, 0, vcc
	v_add_u32_sdwa v38, v39, v26 dst_sel:DWORD dst_unused:UNUSED_PAD src0_sel:DWORD src1_sel:BYTE_0
	v_add_u32_sdwa v21, v38, v26 dst_sel:DWORD dst_unused:UNUSED_PAD src0_sel:DWORD src1_sel:BYTE_1
	v_add_u32_e32 v20, v21, v30
	v_add_u32_e32 v19, v20, v28
	;; [unrolled: 1-line block ×6, first 2 shown]
	v_mov_b32_e32 v13, 0
	v_add_u32_e32 v14, v15, v34
	s_waitcnt lgkmcnt(0)
	s_barrier
.LBB2477_69:
	s_waitcnt lgkmcnt(0)
	v_add_u32_e32 v23, v12, v23
	v_sub_u32_e32 v31, v39, v13
	v_and_b32_e32 v33, 1, v26
	v_sub_u32_e32 v32, v23, v31
	v_cmp_eq_u32_e32 vcc, 1, v33
	v_cndmask_b32_e32 v31, v32, v31, vcc
	v_lshlrev_b32_e32 v31, 2, v31
	v_lshrrev_b32_e32 v30, 8, v26
	ds_write_b32 v31, v6
	v_sub_u32_e32 v6, v38, v13
	v_sub_u32_e32 v31, v23, v6
	v_and_b32_e32 v30, 1, v30
	v_add_u32_e32 v31, 1, v31
	v_cmp_eq_u32_e32 vcc, 1, v30
	v_cndmask_b32_e32 v6, v31, v6, vcc
	v_lshlrev_b32_e32 v6, 2, v6
	ds_write_b32 v6, v7
	v_sub_u32_e32 v6, v21, v13
	v_mov_b32_e32 v21, 1
	v_sub_u32_e32 v7, v23, v6
	v_and_b32_sdwa v26, v21, v26 dst_sel:DWORD dst_unused:UNUSED_PAD src0_sel:DWORD src1_sel:WORD_1
	v_add_u32_e32 v7, 2, v7
	v_cmp_eq_u32_e32 vcc, 1, v26
	v_cndmask_b32_e32 v6, v7, v6, vcc
	v_lshlrev_b32_e32 v6, 2, v6
	ds_write_b32 v6, v8
	v_sub_u32_e32 v6, v20, v13
	v_sub_u32_e32 v7, v23, v6
	v_and_b32_e32 v8, 1, v28
	v_add_u32_e32 v7, 3, v7
	v_cmp_eq_u32_e32 vcc, 1, v8
	v_cndmask_b32_e32 v6, v7, v6, vcc
	v_lshlrev_b32_e32 v6, 2, v6
	ds_write_b32 v6, v9
	v_sub_u32_e32 v6, v19, v13
	v_sub_u32_e32 v7, v23, v6
	v_and_b32_e32 v8, 1, v25
	v_add_u32_e32 v7, 4, v7
	v_cmp_eq_u32_e32 vcc, 1, v8
	v_cndmask_b32_e32 v6, v7, v6, vcc
	v_lshlrev_b32_e32 v6, 2, v6
	v_lshrrev_b32_e32 v29, 8, v25
	ds_write_b32 v6, v2
	v_sub_u32_e32 v2, v18, v13
	v_sub_u32_e32 v6, v23, v2
	v_and_b32_e32 v7, 1, v29
	v_add_u32_e32 v6, 5, v6
	v_cmp_eq_u32_e32 vcc, 1, v7
	v_cndmask_b32_e32 v2, v6, v2, vcc
	v_lshlrev_b32_e32 v2, 2, v2
	ds_write_b32 v2, v3
	v_sub_u32_e32 v2, v17, v13
	v_sub_u32_e32 v3, v23, v2
	v_and_b32_sdwa v6, v21, v25 dst_sel:DWORD dst_unused:UNUSED_PAD src0_sel:DWORD src1_sel:WORD_1
	v_add_u32_e32 v3, 6, v3
	v_cmp_eq_u32_e32 vcc, 1, v6
	v_cndmask_b32_e32 v2, v3, v2, vcc
	v_lshlrev_b32_e32 v2, 2, v2
	ds_write_b32 v2, v4
	v_sub_u32_e32 v2, v16, v13
	v_sub_u32_e32 v3, v23, v2
	v_and_b32_e32 v4, 1, v27
	v_add_u32_e32 v3, 7, v3
	v_cmp_eq_u32_e32 vcc, 1, v4
	v_cndmask_b32_e32 v2, v3, v2, vcc
	v_lshlrev_b32_e32 v2, 2, v2
	ds_write_b32 v2, v5
	v_sub_u32_e32 v2, v15, v13
	v_sub_u32_e32 v3, v23, v2
	v_and_b32_e32 v4, 1, v24
	v_add_u32_e32 v3, 8, v3
	v_cmp_eq_u32_e32 vcc, 1, v4
	v_cndmask_b32_e32 v2, v3, v2, vcc
	v_lshlrev_b32_e32 v2, 2, v2
	ds_write_b32 v2, v10
	v_sub_u32_e32 v2, v14, v13
	v_sub_u32_e32 v3, v23, v2
	v_and_b32_e32 v1, 1, v1
	v_add_u32_e32 v3, 9, v3
	v_cmp_eq_u32_e32 vcc, 1, v1
	v_cndmask_b32_e32 v1, v3, v2, vcc
	v_lshlrev_b32_e32 v1, 2, v1
	ds_write_b32 v1, v11
	v_mov_b32_e32 v1, s29
	v_add_co_u32_e32 v2, vcc, s28, v12
	v_addc_co_u32_e32 v1, vcc, 0, v1, vcc
	v_add_co_u32_e32 v2, vcc, v2, v13
	v_addc_co_u32_e32 v3, vcc, 0, v1, vcc
	v_mov_b32_e32 v1, s23
	v_sub_co_u32_e32 v28, vcc, s22, v2
	v_subb_co_u32_e32 v29, vcc, v1, v3, vcc
	v_lshlrev_b64 v[28:29], 2, v[28:29]
	s_waitcnt lgkmcnt(0)
	s_barrier
	ds_read2st64_b32 v[16:17], v22 offset1:4
	ds_read2st64_b32 v[14:15], v22 offset0:8 offset1:12
	ds_read2st64_b32 v[10:11], v22 offset0:16 offset1:20
	;; [unrolled: 1-line block ×4, first 2 shown]
	v_mov_b32_e32 v1, s5
	v_add_co_u32_e32 v6, vcc, s4, v28
	v_addc_co_u32_e32 v1, vcc, v1, v29, vcc
	v_mov_b32_e32 v13, s31
	v_add_co_u32_e32 v6, vcc, s30, v6
	v_addc_co_u32_e32 v1, vcc, v1, v13, vcc
	v_or_b32_e32 v26, 0x100, v0
	v_or_b32_e32 v25, 0x200, v0
	;; [unrolled: 1-line block ×9, first 2 shown]
	s_and_b64 vcc, exec, s[0:1]
	v_cmp_le_u32_e64 s[0:1], v12, v0
	s_cbranch_vccnz .LBB2477_81
; %bb.70:
	s_and_saveexec_b64 s[2:3], s[0:1]
	s_cbranch_execnz .LBB2477_106
; %bb.71:
	s_or_b64 exec, exec, s[2:3]
	v_cmp_ge_u32_e32 vcc, v26, v12
	s_and_saveexec_b64 s[0:1], vcc
	s_cbranch_execnz .LBB2477_107
.LBB2477_72:
	s_or_b64 exec, exec, s[0:1]
	v_cmp_ge_u32_e32 vcc, v25, v12
	s_and_saveexec_b64 s[0:1], vcc
	s_cbranch_execnz .LBB2477_108
.LBB2477_73:
	s_or_b64 exec, exec, s[0:1]
	v_cmp_ge_u32_e32 vcc, v24, v12
	s_and_saveexec_b64 s[0:1], vcc
	s_cbranch_execnz .LBB2477_109
.LBB2477_74:
	s_or_b64 exec, exec, s[0:1]
	v_cmp_ge_u32_e32 vcc, v23, v12
	s_and_saveexec_b64 s[0:1], vcc
	s_cbranch_execnz .LBB2477_110
.LBB2477_75:
	s_or_b64 exec, exec, s[0:1]
	v_cmp_ge_u32_e32 vcc, v21, v12
	s_and_saveexec_b64 s[0:1], vcc
	s_cbranch_execnz .LBB2477_111
.LBB2477_76:
	s_or_b64 exec, exec, s[0:1]
	v_cmp_ge_u32_e32 vcc, v20, v12
	s_and_saveexec_b64 s[0:1], vcc
	s_cbranch_execnz .LBB2477_112
.LBB2477_77:
	s_or_b64 exec, exec, s[0:1]
	v_cmp_ge_u32_e32 vcc, v19, v12
	s_and_saveexec_b64 s[0:1], vcc
	s_cbranch_execnz .LBB2477_113
.LBB2477_78:
	s_or_b64 exec, exec, s[0:1]
	v_cmp_ge_u32_e32 vcc, v18, v12
	s_and_saveexec_b64 s[0:1], vcc
	s_cbranch_execz .LBB2477_80
.LBB2477_79:
	v_lshlrev_b32_e32 v13, 2, v18
	v_readfirstlane_b32 s2, v6
	v_readfirstlane_b32 s3, v1
	s_waitcnt lgkmcnt(0)
	s_nop 3
	global_store_dword v13, v4, s[2:3]
.LBB2477_80:
	s_or_b64 exec, exec, s[0:1]
	v_cmp_ge_u32_e64 s[0:1], v7, v12
	s_branch .LBB2477_101
.LBB2477_81:
	s_mov_b64 s[0:1], 0
	s_cbranch_execz .LBB2477_101
; %bb.82:
	v_cmp_gt_u32_e32 vcc, s33, v0
	v_cmp_le_u32_e64 s[0:1], v12, v0
	s_and_b64 s[2:3], vcc, s[0:1]
	s_and_saveexec_b64 s[0:1], s[2:3]
	s_cbranch_execz .LBB2477_84
; %bb.83:
	v_readfirstlane_b32 s2, v6
	v_readfirstlane_b32 s3, v1
	s_waitcnt lgkmcnt(4)
	s_nop 3
	global_store_dword v22, v16, s[2:3]
.LBB2477_84:
	s_or_b64 exec, exec, s[0:1]
	v_cmp_gt_u32_e32 vcc, s33, v26
	v_cmp_ge_u32_e64 s[0:1], v26, v12
	s_and_b64 s[2:3], vcc, s[0:1]
	s_and_saveexec_b64 s[0:1], s[2:3]
	s_cbranch_execz .LBB2477_86
; %bb.85:
	v_readfirstlane_b32 s2, v6
	v_readfirstlane_b32 s3, v1
	s_waitcnt lgkmcnt(4)
	s_nop 3
	global_store_dword v22, v17, s[2:3] offset:1024
.LBB2477_86:
	s_or_b64 exec, exec, s[0:1]
	v_cmp_gt_u32_e32 vcc, s33, v25
	v_cmp_ge_u32_e64 s[0:1], v25, v12
	s_and_b64 s[2:3], vcc, s[0:1]
	s_and_saveexec_b64 s[0:1], s[2:3]
	s_cbranch_execz .LBB2477_88
; %bb.87:
	v_readfirstlane_b32 s2, v6
	v_readfirstlane_b32 s3, v1
	s_waitcnt lgkmcnt(3)
	s_nop 3
	global_store_dword v22, v14, s[2:3] offset:2048
.LBB2477_88:
	;; [unrolled: 13-line block ×3, first 2 shown]
	s_or_b64 exec, exec, s[0:1]
	v_cmp_gt_u32_e32 vcc, s33, v23
	v_cmp_ge_u32_e64 s[0:1], v23, v12
	s_and_b64 s[2:3], vcc, s[0:1]
	s_and_saveexec_b64 s[0:1], s[2:3]
	s_cbranch_execz .LBB2477_92
; %bb.91:
	v_lshlrev_b32_e32 v13, 2, v23
	v_readfirstlane_b32 s2, v6
	v_readfirstlane_b32 s3, v1
	s_waitcnt lgkmcnt(2)
	s_nop 3
	global_store_dword v13, v10, s[2:3]
.LBB2477_92:
	s_or_b64 exec, exec, s[0:1]
	v_cmp_gt_u32_e32 vcc, s33, v21
	v_cmp_ge_u32_e64 s[0:1], v21, v12
	s_and_b64 s[2:3], vcc, s[0:1]
	s_and_saveexec_b64 s[0:1], s[2:3]
	s_cbranch_execz .LBB2477_94
; %bb.93:
	s_waitcnt lgkmcnt(2)
	v_lshlrev_b32_e32 v10, 2, v21
	v_readfirstlane_b32 s2, v6
	v_readfirstlane_b32 s3, v1
	s_nop 4
	global_store_dword v10, v11, s[2:3]
.LBB2477_94:
	s_or_b64 exec, exec, s[0:1]
	v_cmp_gt_u32_e32 vcc, s33, v20
	v_cmp_ge_u32_e64 s[0:1], v20, v12
	s_and_b64 s[2:3], vcc, s[0:1]
	s_and_saveexec_b64 s[0:1], s[2:3]
	s_cbranch_execz .LBB2477_96
; %bb.95:
	s_waitcnt lgkmcnt(2)
	v_lshlrev_b32_e32 v10, 2, v20
	v_readfirstlane_b32 s2, v6
	v_readfirstlane_b32 s3, v1
	s_waitcnt lgkmcnt(1)
	s_nop 3
	global_store_dword v10, v8, s[2:3]
.LBB2477_96:
	s_or_b64 exec, exec, s[0:1]
	v_cmp_gt_u32_e32 vcc, s33, v19
	v_cmp_ge_u32_e64 s[0:1], v19, v12
	s_and_b64 s[2:3], vcc, s[0:1]
	s_and_saveexec_b64 s[0:1], s[2:3]
	s_cbranch_execz .LBB2477_98
; %bb.97:
	s_waitcnt lgkmcnt(1)
	v_lshlrev_b32_e32 v8, 2, v19
	v_readfirstlane_b32 s2, v6
	v_readfirstlane_b32 s3, v1
	s_nop 4
	global_store_dword v8, v9, s[2:3]
.LBB2477_98:
	s_or_b64 exec, exec, s[0:1]
	v_cmp_gt_u32_e32 vcc, s33, v18
	v_cmp_ge_u32_e64 s[0:1], v18, v12
	s_and_b64 s[2:3], vcc, s[0:1]
	s_and_saveexec_b64 s[0:1], s[2:3]
	s_cbranch_execz .LBB2477_100
; %bb.99:
	s_waitcnt lgkmcnt(1)
	v_lshlrev_b32_e32 v8, 2, v18
	v_readfirstlane_b32 s2, v6
	v_readfirstlane_b32 s3, v1
	s_waitcnt lgkmcnt(0)
	s_nop 3
	global_store_dword v8, v4, s[2:3]
.LBB2477_100:
	s_or_b64 exec, exec, s[0:1]
	v_cmp_gt_u32_e32 vcc, s33, v7
	v_cmp_ge_u32_e64 s[0:1], v7, v12
	s_and_b64 s[0:1], vcc, s[0:1]
.LBB2477_101:
	s_and_saveexec_b64 s[2:3], s[0:1]
	s_cbranch_execz .LBB2477_103
; %bb.102:
	s_waitcnt lgkmcnt(0)
	v_lshlrev_b32_e32 v4, 2, v7
	v_readfirstlane_b32 s0, v6
	v_readfirstlane_b32 s1, v1
	s_nop 4
	global_store_dword v4, v5, s[0:1]
.LBB2477_103:
	s_or_b64 exec, exec, s[2:3]
	v_cmp_eq_u32_e32 vcc, 0, v0
	s_and_b64 s[0:1], vcc, s[26:27]
	s_and_saveexec_b64 s[2:3], s[0:1]
	s_cbranch_execz .LBB2477_105
; %bb.104:
	v_mov_b32_e32 v0, 0
	global_store_dwordx2 v0, v[2:3], s[24:25]
.LBB2477_105:
	s_endpgm
.LBB2477_106:
	v_readfirstlane_b32 s0, v6
	v_readfirstlane_b32 s1, v1
	s_waitcnt lgkmcnt(4)
	s_nop 3
	global_store_dword v22, v16, s[0:1]
	s_or_b64 exec, exec, s[2:3]
	v_cmp_ge_u32_e32 vcc, v26, v12
	s_and_saveexec_b64 s[0:1], vcc
	s_cbranch_execz .LBB2477_72
.LBB2477_107:
	v_readfirstlane_b32 s2, v6
	v_readfirstlane_b32 s3, v1
	s_waitcnt lgkmcnt(4)
	s_nop 3
	global_store_dword v22, v17, s[2:3] offset:1024
	s_or_b64 exec, exec, s[0:1]
	v_cmp_ge_u32_e32 vcc, v25, v12
	s_and_saveexec_b64 s[0:1], vcc
	s_cbranch_execz .LBB2477_73
.LBB2477_108:
	v_readfirstlane_b32 s2, v6
	v_readfirstlane_b32 s3, v1
	s_waitcnt lgkmcnt(3)
	s_nop 3
	global_store_dword v22, v14, s[2:3] offset:2048
	s_or_b64 exec, exec, s[0:1]
	v_cmp_ge_u32_e32 vcc, v24, v12
	s_and_saveexec_b64 s[0:1], vcc
	s_cbranch_execz .LBB2477_74
.LBB2477_109:
	v_readfirstlane_b32 s2, v6
	v_readfirstlane_b32 s3, v1
	s_waitcnt lgkmcnt(3)
	s_nop 3
	global_store_dword v22, v15, s[2:3] offset:3072
	s_or_b64 exec, exec, s[0:1]
	v_cmp_ge_u32_e32 vcc, v23, v12
	s_and_saveexec_b64 s[0:1], vcc
	s_cbranch_execz .LBB2477_75
.LBB2477_110:
	v_lshlrev_b32_e32 v13, 2, v23
	v_readfirstlane_b32 s2, v6
	v_readfirstlane_b32 s3, v1
	s_waitcnt lgkmcnt(2)
	s_nop 3
	global_store_dword v13, v10, s[2:3]
	s_or_b64 exec, exec, s[0:1]
	v_cmp_ge_u32_e32 vcc, v21, v12
	s_and_saveexec_b64 s[0:1], vcc
	s_cbranch_execz .LBB2477_76
.LBB2477_111:
	v_lshlrev_b32_e32 v13, 2, v21
	v_readfirstlane_b32 s2, v6
	v_readfirstlane_b32 s3, v1
	s_waitcnt lgkmcnt(2)
	s_nop 3
	global_store_dword v13, v11, s[2:3]
	s_or_b64 exec, exec, s[0:1]
	v_cmp_ge_u32_e32 vcc, v20, v12
	s_and_saveexec_b64 s[0:1], vcc
	s_cbranch_execz .LBB2477_77
.LBB2477_112:
	v_lshlrev_b32_e32 v13, 2, v20
	v_readfirstlane_b32 s2, v6
	v_readfirstlane_b32 s3, v1
	s_waitcnt lgkmcnt(1)
	s_nop 3
	global_store_dword v13, v8, s[2:3]
	s_or_b64 exec, exec, s[0:1]
	v_cmp_ge_u32_e32 vcc, v19, v12
	s_and_saveexec_b64 s[0:1], vcc
	s_cbranch_execz .LBB2477_78
.LBB2477_113:
	v_lshlrev_b32_e32 v13, 2, v19
	v_readfirstlane_b32 s2, v6
	v_readfirstlane_b32 s3, v1
	s_waitcnt lgkmcnt(1)
	s_nop 3
	global_store_dword v13, v9, s[2:3]
	s_or_b64 exec, exec, s[0:1]
	v_cmp_ge_u32_e32 vcc, v18, v12
	s_and_saveexec_b64 s[0:1], vcc
	s_cbranch_execnz .LBB2477_79
	s_branch .LBB2477_80
	.section	.rodata,"a",@progbits
	.p2align	6, 0x0
	.amdhsa_kernel _ZN7rocprim17ROCPRIM_400000_NS6detail17trampoline_kernelINS0_14default_configENS1_25partition_config_selectorILNS1_17partition_subalgoE0EjNS0_10empty_typeEbEEZZNS1_14partition_implILS5_0ELb0ES3_jN6thrust23THRUST_200600_302600_NS6detail15normal_iteratorINSA_10device_ptrIjEEEEPS6_SG_NS0_5tupleIJNSA_16discard_iteratorINSA_11use_defaultEEESF_EEENSH_IJSG_SG_EEES6_PlJ7is_evenIjEEEE10hipError_tPvRmT3_T4_T5_T6_T7_T9_mT8_P12ihipStream_tbDpT10_ENKUlT_T0_E_clISt17integral_constantIbLb1EES18_IbLb0EEEEDaS14_S15_EUlS14_E_NS1_11comp_targetILNS1_3genE4ELNS1_11target_archE910ELNS1_3gpuE8ELNS1_3repE0EEENS1_30default_config_static_selectorELNS0_4arch9wavefront6targetE1EEEvT1_
		.amdhsa_group_segment_fixed_size 10248
		.amdhsa_private_segment_fixed_size 0
		.amdhsa_kernarg_size 128
		.amdhsa_user_sgpr_count 6
		.amdhsa_user_sgpr_private_segment_buffer 1
		.amdhsa_user_sgpr_dispatch_ptr 0
		.amdhsa_user_sgpr_queue_ptr 0
		.amdhsa_user_sgpr_kernarg_segment_ptr 1
		.amdhsa_user_sgpr_dispatch_id 0
		.amdhsa_user_sgpr_flat_scratch_init 0
		.amdhsa_user_sgpr_kernarg_preload_length 0
		.amdhsa_user_sgpr_kernarg_preload_offset 0
		.amdhsa_user_sgpr_private_segment_size 0
		.amdhsa_uses_dynamic_stack 0
		.amdhsa_system_sgpr_private_segment_wavefront_offset 0
		.amdhsa_system_sgpr_workgroup_id_x 1
		.amdhsa_system_sgpr_workgroup_id_y 0
		.amdhsa_system_sgpr_workgroup_id_z 0
		.amdhsa_system_sgpr_workgroup_info 0
		.amdhsa_system_vgpr_workitem_id 0
		.amdhsa_next_free_vgpr 54
		.amdhsa_next_free_sgpr 44
		.amdhsa_accum_offset 56
		.amdhsa_reserve_vcc 1
		.amdhsa_reserve_flat_scratch 0
		.amdhsa_float_round_mode_32 0
		.amdhsa_float_round_mode_16_64 0
		.amdhsa_float_denorm_mode_32 3
		.amdhsa_float_denorm_mode_16_64 3
		.amdhsa_dx10_clamp 1
		.amdhsa_ieee_mode 1
		.amdhsa_fp16_overflow 0
		.amdhsa_tg_split 0
		.amdhsa_exception_fp_ieee_invalid_op 0
		.amdhsa_exception_fp_denorm_src 0
		.amdhsa_exception_fp_ieee_div_zero 0
		.amdhsa_exception_fp_ieee_overflow 0
		.amdhsa_exception_fp_ieee_underflow 0
		.amdhsa_exception_fp_ieee_inexact 0
		.amdhsa_exception_int_div_zero 0
	.end_amdhsa_kernel
	.section	.text._ZN7rocprim17ROCPRIM_400000_NS6detail17trampoline_kernelINS0_14default_configENS1_25partition_config_selectorILNS1_17partition_subalgoE0EjNS0_10empty_typeEbEEZZNS1_14partition_implILS5_0ELb0ES3_jN6thrust23THRUST_200600_302600_NS6detail15normal_iteratorINSA_10device_ptrIjEEEEPS6_SG_NS0_5tupleIJNSA_16discard_iteratorINSA_11use_defaultEEESF_EEENSH_IJSG_SG_EEES6_PlJ7is_evenIjEEEE10hipError_tPvRmT3_T4_T5_T6_T7_T9_mT8_P12ihipStream_tbDpT10_ENKUlT_T0_E_clISt17integral_constantIbLb1EES18_IbLb0EEEEDaS14_S15_EUlS14_E_NS1_11comp_targetILNS1_3genE4ELNS1_11target_archE910ELNS1_3gpuE8ELNS1_3repE0EEENS1_30default_config_static_selectorELNS0_4arch9wavefront6targetE1EEEvT1_,"axG",@progbits,_ZN7rocprim17ROCPRIM_400000_NS6detail17trampoline_kernelINS0_14default_configENS1_25partition_config_selectorILNS1_17partition_subalgoE0EjNS0_10empty_typeEbEEZZNS1_14partition_implILS5_0ELb0ES3_jN6thrust23THRUST_200600_302600_NS6detail15normal_iteratorINSA_10device_ptrIjEEEEPS6_SG_NS0_5tupleIJNSA_16discard_iteratorINSA_11use_defaultEEESF_EEENSH_IJSG_SG_EEES6_PlJ7is_evenIjEEEE10hipError_tPvRmT3_T4_T5_T6_T7_T9_mT8_P12ihipStream_tbDpT10_ENKUlT_T0_E_clISt17integral_constantIbLb1EES18_IbLb0EEEEDaS14_S15_EUlS14_E_NS1_11comp_targetILNS1_3genE4ELNS1_11target_archE910ELNS1_3gpuE8ELNS1_3repE0EEENS1_30default_config_static_selectorELNS0_4arch9wavefront6targetE1EEEvT1_,comdat
.Lfunc_end2477:
	.size	_ZN7rocprim17ROCPRIM_400000_NS6detail17trampoline_kernelINS0_14default_configENS1_25partition_config_selectorILNS1_17partition_subalgoE0EjNS0_10empty_typeEbEEZZNS1_14partition_implILS5_0ELb0ES3_jN6thrust23THRUST_200600_302600_NS6detail15normal_iteratorINSA_10device_ptrIjEEEEPS6_SG_NS0_5tupleIJNSA_16discard_iteratorINSA_11use_defaultEEESF_EEENSH_IJSG_SG_EEES6_PlJ7is_evenIjEEEE10hipError_tPvRmT3_T4_T5_T6_T7_T9_mT8_P12ihipStream_tbDpT10_ENKUlT_T0_E_clISt17integral_constantIbLb1EES18_IbLb0EEEEDaS14_S15_EUlS14_E_NS1_11comp_targetILNS1_3genE4ELNS1_11target_archE910ELNS1_3gpuE8ELNS1_3repE0EEENS1_30default_config_static_selectorELNS0_4arch9wavefront6targetE1EEEvT1_, .Lfunc_end2477-_ZN7rocprim17ROCPRIM_400000_NS6detail17trampoline_kernelINS0_14default_configENS1_25partition_config_selectorILNS1_17partition_subalgoE0EjNS0_10empty_typeEbEEZZNS1_14partition_implILS5_0ELb0ES3_jN6thrust23THRUST_200600_302600_NS6detail15normal_iteratorINSA_10device_ptrIjEEEEPS6_SG_NS0_5tupleIJNSA_16discard_iteratorINSA_11use_defaultEEESF_EEENSH_IJSG_SG_EEES6_PlJ7is_evenIjEEEE10hipError_tPvRmT3_T4_T5_T6_T7_T9_mT8_P12ihipStream_tbDpT10_ENKUlT_T0_E_clISt17integral_constantIbLb1EES18_IbLb0EEEEDaS14_S15_EUlS14_E_NS1_11comp_targetILNS1_3genE4ELNS1_11target_archE910ELNS1_3gpuE8ELNS1_3repE0EEENS1_30default_config_static_selectorELNS0_4arch9wavefront6targetE1EEEvT1_
                                        ; -- End function
	.section	.AMDGPU.csdata,"",@progbits
; Kernel info:
; codeLenInByte = 5228
; NumSgprs: 48
; NumVgprs: 54
; NumAgprs: 0
; TotalNumVgprs: 54
; ScratchSize: 0
; MemoryBound: 0
; FloatMode: 240
; IeeeMode: 1
; LDSByteSize: 10248 bytes/workgroup (compile time only)
; SGPRBlocks: 5
; VGPRBlocks: 6
; NumSGPRsForWavesPerEU: 48
; NumVGPRsForWavesPerEU: 54
; AccumOffset: 56
; Occupancy: 6
; WaveLimiterHint : 1
; COMPUTE_PGM_RSRC2:SCRATCH_EN: 0
; COMPUTE_PGM_RSRC2:USER_SGPR: 6
; COMPUTE_PGM_RSRC2:TRAP_HANDLER: 0
; COMPUTE_PGM_RSRC2:TGID_X_EN: 1
; COMPUTE_PGM_RSRC2:TGID_Y_EN: 0
; COMPUTE_PGM_RSRC2:TGID_Z_EN: 0
; COMPUTE_PGM_RSRC2:TIDIG_COMP_CNT: 0
; COMPUTE_PGM_RSRC3_GFX90A:ACCUM_OFFSET: 13
; COMPUTE_PGM_RSRC3_GFX90A:TG_SPLIT: 0
	.section	.text._ZN7rocprim17ROCPRIM_400000_NS6detail17trampoline_kernelINS0_14default_configENS1_25partition_config_selectorILNS1_17partition_subalgoE0EjNS0_10empty_typeEbEEZZNS1_14partition_implILS5_0ELb0ES3_jN6thrust23THRUST_200600_302600_NS6detail15normal_iteratorINSA_10device_ptrIjEEEEPS6_SG_NS0_5tupleIJNSA_16discard_iteratorINSA_11use_defaultEEESF_EEENSH_IJSG_SG_EEES6_PlJ7is_evenIjEEEE10hipError_tPvRmT3_T4_T5_T6_T7_T9_mT8_P12ihipStream_tbDpT10_ENKUlT_T0_E_clISt17integral_constantIbLb1EES18_IbLb0EEEEDaS14_S15_EUlS14_E_NS1_11comp_targetILNS1_3genE3ELNS1_11target_archE908ELNS1_3gpuE7ELNS1_3repE0EEENS1_30default_config_static_selectorELNS0_4arch9wavefront6targetE1EEEvT1_,"axG",@progbits,_ZN7rocprim17ROCPRIM_400000_NS6detail17trampoline_kernelINS0_14default_configENS1_25partition_config_selectorILNS1_17partition_subalgoE0EjNS0_10empty_typeEbEEZZNS1_14partition_implILS5_0ELb0ES3_jN6thrust23THRUST_200600_302600_NS6detail15normal_iteratorINSA_10device_ptrIjEEEEPS6_SG_NS0_5tupleIJNSA_16discard_iteratorINSA_11use_defaultEEESF_EEENSH_IJSG_SG_EEES6_PlJ7is_evenIjEEEE10hipError_tPvRmT3_T4_T5_T6_T7_T9_mT8_P12ihipStream_tbDpT10_ENKUlT_T0_E_clISt17integral_constantIbLb1EES18_IbLb0EEEEDaS14_S15_EUlS14_E_NS1_11comp_targetILNS1_3genE3ELNS1_11target_archE908ELNS1_3gpuE7ELNS1_3repE0EEENS1_30default_config_static_selectorELNS0_4arch9wavefront6targetE1EEEvT1_,comdat
	.protected	_ZN7rocprim17ROCPRIM_400000_NS6detail17trampoline_kernelINS0_14default_configENS1_25partition_config_selectorILNS1_17partition_subalgoE0EjNS0_10empty_typeEbEEZZNS1_14partition_implILS5_0ELb0ES3_jN6thrust23THRUST_200600_302600_NS6detail15normal_iteratorINSA_10device_ptrIjEEEEPS6_SG_NS0_5tupleIJNSA_16discard_iteratorINSA_11use_defaultEEESF_EEENSH_IJSG_SG_EEES6_PlJ7is_evenIjEEEE10hipError_tPvRmT3_T4_T5_T6_T7_T9_mT8_P12ihipStream_tbDpT10_ENKUlT_T0_E_clISt17integral_constantIbLb1EES18_IbLb0EEEEDaS14_S15_EUlS14_E_NS1_11comp_targetILNS1_3genE3ELNS1_11target_archE908ELNS1_3gpuE7ELNS1_3repE0EEENS1_30default_config_static_selectorELNS0_4arch9wavefront6targetE1EEEvT1_ ; -- Begin function _ZN7rocprim17ROCPRIM_400000_NS6detail17trampoline_kernelINS0_14default_configENS1_25partition_config_selectorILNS1_17partition_subalgoE0EjNS0_10empty_typeEbEEZZNS1_14partition_implILS5_0ELb0ES3_jN6thrust23THRUST_200600_302600_NS6detail15normal_iteratorINSA_10device_ptrIjEEEEPS6_SG_NS0_5tupleIJNSA_16discard_iteratorINSA_11use_defaultEEESF_EEENSH_IJSG_SG_EEES6_PlJ7is_evenIjEEEE10hipError_tPvRmT3_T4_T5_T6_T7_T9_mT8_P12ihipStream_tbDpT10_ENKUlT_T0_E_clISt17integral_constantIbLb1EES18_IbLb0EEEEDaS14_S15_EUlS14_E_NS1_11comp_targetILNS1_3genE3ELNS1_11target_archE908ELNS1_3gpuE7ELNS1_3repE0EEENS1_30default_config_static_selectorELNS0_4arch9wavefront6targetE1EEEvT1_
	.globl	_ZN7rocprim17ROCPRIM_400000_NS6detail17trampoline_kernelINS0_14default_configENS1_25partition_config_selectorILNS1_17partition_subalgoE0EjNS0_10empty_typeEbEEZZNS1_14partition_implILS5_0ELb0ES3_jN6thrust23THRUST_200600_302600_NS6detail15normal_iteratorINSA_10device_ptrIjEEEEPS6_SG_NS0_5tupleIJNSA_16discard_iteratorINSA_11use_defaultEEESF_EEENSH_IJSG_SG_EEES6_PlJ7is_evenIjEEEE10hipError_tPvRmT3_T4_T5_T6_T7_T9_mT8_P12ihipStream_tbDpT10_ENKUlT_T0_E_clISt17integral_constantIbLb1EES18_IbLb0EEEEDaS14_S15_EUlS14_E_NS1_11comp_targetILNS1_3genE3ELNS1_11target_archE908ELNS1_3gpuE7ELNS1_3repE0EEENS1_30default_config_static_selectorELNS0_4arch9wavefront6targetE1EEEvT1_
	.p2align	8
	.type	_ZN7rocprim17ROCPRIM_400000_NS6detail17trampoline_kernelINS0_14default_configENS1_25partition_config_selectorILNS1_17partition_subalgoE0EjNS0_10empty_typeEbEEZZNS1_14partition_implILS5_0ELb0ES3_jN6thrust23THRUST_200600_302600_NS6detail15normal_iteratorINSA_10device_ptrIjEEEEPS6_SG_NS0_5tupleIJNSA_16discard_iteratorINSA_11use_defaultEEESF_EEENSH_IJSG_SG_EEES6_PlJ7is_evenIjEEEE10hipError_tPvRmT3_T4_T5_T6_T7_T9_mT8_P12ihipStream_tbDpT10_ENKUlT_T0_E_clISt17integral_constantIbLb1EES18_IbLb0EEEEDaS14_S15_EUlS14_E_NS1_11comp_targetILNS1_3genE3ELNS1_11target_archE908ELNS1_3gpuE7ELNS1_3repE0EEENS1_30default_config_static_selectorELNS0_4arch9wavefront6targetE1EEEvT1_,@function
_ZN7rocprim17ROCPRIM_400000_NS6detail17trampoline_kernelINS0_14default_configENS1_25partition_config_selectorILNS1_17partition_subalgoE0EjNS0_10empty_typeEbEEZZNS1_14partition_implILS5_0ELb0ES3_jN6thrust23THRUST_200600_302600_NS6detail15normal_iteratorINSA_10device_ptrIjEEEEPS6_SG_NS0_5tupleIJNSA_16discard_iteratorINSA_11use_defaultEEESF_EEENSH_IJSG_SG_EEES6_PlJ7is_evenIjEEEE10hipError_tPvRmT3_T4_T5_T6_T7_T9_mT8_P12ihipStream_tbDpT10_ENKUlT_T0_E_clISt17integral_constantIbLb1EES18_IbLb0EEEEDaS14_S15_EUlS14_E_NS1_11comp_targetILNS1_3genE3ELNS1_11target_archE908ELNS1_3gpuE7ELNS1_3repE0EEENS1_30default_config_static_selectorELNS0_4arch9wavefront6targetE1EEEvT1_: ; @_ZN7rocprim17ROCPRIM_400000_NS6detail17trampoline_kernelINS0_14default_configENS1_25partition_config_selectorILNS1_17partition_subalgoE0EjNS0_10empty_typeEbEEZZNS1_14partition_implILS5_0ELb0ES3_jN6thrust23THRUST_200600_302600_NS6detail15normal_iteratorINSA_10device_ptrIjEEEEPS6_SG_NS0_5tupleIJNSA_16discard_iteratorINSA_11use_defaultEEESF_EEENSH_IJSG_SG_EEES6_PlJ7is_evenIjEEEE10hipError_tPvRmT3_T4_T5_T6_T7_T9_mT8_P12ihipStream_tbDpT10_ENKUlT_T0_E_clISt17integral_constantIbLb1EES18_IbLb0EEEEDaS14_S15_EUlS14_E_NS1_11comp_targetILNS1_3genE3ELNS1_11target_archE908ELNS1_3gpuE7ELNS1_3repE0EEENS1_30default_config_static_selectorELNS0_4arch9wavefront6targetE1EEEvT1_
; %bb.0:
	.section	.rodata,"a",@progbits
	.p2align	6, 0x0
	.amdhsa_kernel _ZN7rocprim17ROCPRIM_400000_NS6detail17trampoline_kernelINS0_14default_configENS1_25partition_config_selectorILNS1_17partition_subalgoE0EjNS0_10empty_typeEbEEZZNS1_14partition_implILS5_0ELb0ES3_jN6thrust23THRUST_200600_302600_NS6detail15normal_iteratorINSA_10device_ptrIjEEEEPS6_SG_NS0_5tupleIJNSA_16discard_iteratorINSA_11use_defaultEEESF_EEENSH_IJSG_SG_EEES6_PlJ7is_evenIjEEEE10hipError_tPvRmT3_T4_T5_T6_T7_T9_mT8_P12ihipStream_tbDpT10_ENKUlT_T0_E_clISt17integral_constantIbLb1EES18_IbLb0EEEEDaS14_S15_EUlS14_E_NS1_11comp_targetILNS1_3genE3ELNS1_11target_archE908ELNS1_3gpuE7ELNS1_3repE0EEENS1_30default_config_static_selectorELNS0_4arch9wavefront6targetE1EEEvT1_
		.amdhsa_group_segment_fixed_size 0
		.amdhsa_private_segment_fixed_size 0
		.amdhsa_kernarg_size 128
		.amdhsa_user_sgpr_count 6
		.amdhsa_user_sgpr_private_segment_buffer 1
		.amdhsa_user_sgpr_dispatch_ptr 0
		.amdhsa_user_sgpr_queue_ptr 0
		.amdhsa_user_sgpr_kernarg_segment_ptr 1
		.amdhsa_user_sgpr_dispatch_id 0
		.amdhsa_user_sgpr_flat_scratch_init 0
		.amdhsa_user_sgpr_kernarg_preload_length 0
		.amdhsa_user_sgpr_kernarg_preload_offset 0
		.amdhsa_user_sgpr_private_segment_size 0
		.amdhsa_uses_dynamic_stack 0
		.amdhsa_system_sgpr_private_segment_wavefront_offset 0
		.amdhsa_system_sgpr_workgroup_id_x 1
		.amdhsa_system_sgpr_workgroup_id_y 0
		.amdhsa_system_sgpr_workgroup_id_z 0
		.amdhsa_system_sgpr_workgroup_info 0
		.amdhsa_system_vgpr_workitem_id 0
		.amdhsa_next_free_vgpr 1
		.amdhsa_next_free_sgpr 0
		.amdhsa_accum_offset 4
		.amdhsa_reserve_vcc 0
		.amdhsa_reserve_flat_scratch 0
		.amdhsa_float_round_mode_32 0
		.amdhsa_float_round_mode_16_64 0
		.amdhsa_float_denorm_mode_32 3
		.amdhsa_float_denorm_mode_16_64 3
		.amdhsa_dx10_clamp 1
		.amdhsa_ieee_mode 1
		.amdhsa_fp16_overflow 0
		.amdhsa_tg_split 0
		.amdhsa_exception_fp_ieee_invalid_op 0
		.amdhsa_exception_fp_denorm_src 0
		.amdhsa_exception_fp_ieee_div_zero 0
		.amdhsa_exception_fp_ieee_overflow 0
		.amdhsa_exception_fp_ieee_underflow 0
		.amdhsa_exception_fp_ieee_inexact 0
		.amdhsa_exception_int_div_zero 0
	.end_amdhsa_kernel
	.section	.text._ZN7rocprim17ROCPRIM_400000_NS6detail17trampoline_kernelINS0_14default_configENS1_25partition_config_selectorILNS1_17partition_subalgoE0EjNS0_10empty_typeEbEEZZNS1_14partition_implILS5_0ELb0ES3_jN6thrust23THRUST_200600_302600_NS6detail15normal_iteratorINSA_10device_ptrIjEEEEPS6_SG_NS0_5tupleIJNSA_16discard_iteratorINSA_11use_defaultEEESF_EEENSH_IJSG_SG_EEES6_PlJ7is_evenIjEEEE10hipError_tPvRmT3_T4_T5_T6_T7_T9_mT8_P12ihipStream_tbDpT10_ENKUlT_T0_E_clISt17integral_constantIbLb1EES18_IbLb0EEEEDaS14_S15_EUlS14_E_NS1_11comp_targetILNS1_3genE3ELNS1_11target_archE908ELNS1_3gpuE7ELNS1_3repE0EEENS1_30default_config_static_selectorELNS0_4arch9wavefront6targetE1EEEvT1_,"axG",@progbits,_ZN7rocprim17ROCPRIM_400000_NS6detail17trampoline_kernelINS0_14default_configENS1_25partition_config_selectorILNS1_17partition_subalgoE0EjNS0_10empty_typeEbEEZZNS1_14partition_implILS5_0ELb0ES3_jN6thrust23THRUST_200600_302600_NS6detail15normal_iteratorINSA_10device_ptrIjEEEEPS6_SG_NS0_5tupleIJNSA_16discard_iteratorINSA_11use_defaultEEESF_EEENSH_IJSG_SG_EEES6_PlJ7is_evenIjEEEE10hipError_tPvRmT3_T4_T5_T6_T7_T9_mT8_P12ihipStream_tbDpT10_ENKUlT_T0_E_clISt17integral_constantIbLb1EES18_IbLb0EEEEDaS14_S15_EUlS14_E_NS1_11comp_targetILNS1_3genE3ELNS1_11target_archE908ELNS1_3gpuE7ELNS1_3repE0EEENS1_30default_config_static_selectorELNS0_4arch9wavefront6targetE1EEEvT1_,comdat
.Lfunc_end2478:
	.size	_ZN7rocprim17ROCPRIM_400000_NS6detail17trampoline_kernelINS0_14default_configENS1_25partition_config_selectorILNS1_17partition_subalgoE0EjNS0_10empty_typeEbEEZZNS1_14partition_implILS5_0ELb0ES3_jN6thrust23THRUST_200600_302600_NS6detail15normal_iteratorINSA_10device_ptrIjEEEEPS6_SG_NS0_5tupleIJNSA_16discard_iteratorINSA_11use_defaultEEESF_EEENSH_IJSG_SG_EEES6_PlJ7is_evenIjEEEE10hipError_tPvRmT3_T4_T5_T6_T7_T9_mT8_P12ihipStream_tbDpT10_ENKUlT_T0_E_clISt17integral_constantIbLb1EES18_IbLb0EEEEDaS14_S15_EUlS14_E_NS1_11comp_targetILNS1_3genE3ELNS1_11target_archE908ELNS1_3gpuE7ELNS1_3repE0EEENS1_30default_config_static_selectorELNS0_4arch9wavefront6targetE1EEEvT1_, .Lfunc_end2478-_ZN7rocprim17ROCPRIM_400000_NS6detail17trampoline_kernelINS0_14default_configENS1_25partition_config_selectorILNS1_17partition_subalgoE0EjNS0_10empty_typeEbEEZZNS1_14partition_implILS5_0ELb0ES3_jN6thrust23THRUST_200600_302600_NS6detail15normal_iteratorINSA_10device_ptrIjEEEEPS6_SG_NS0_5tupleIJNSA_16discard_iteratorINSA_11use_defaultEEESF_EEENSH_IJSG_SG_EEES6_PlJ7is_evenIjEEEE10hipError_tPvRmT3_T4_T5_T6_T7_T9_mT8_P12ihipStream_tbDpT10_ENKUlT_T0_E_clISt17integral_constantIbLb1EES18_IbLb0EEEEDaS14_S15_EUlS14_E_NS1_11comp_targetILNS1_3genE3ELNS1_11target_archE908ELNS1_3gpuE7ELNS1_3repE0EEENS1_30default_config_static_selectorELNS0_4arch9wavefront6targetE1EEEvT1_
                                        ; -- End function
	.section	.AMDGPU.csdata,"",@progbits
; Kernel info:
; codeLenInByte = 0
; NumSgprs: 4
; NumVgprs: 0
; NumAgprs: 0
; TotalNumVgprs: 0
; ScratchSize: 0
; MemoryBound: 0
; FloatMode: 240
; IeeeMode: 1
; LDSByteSize: 0 bytes/workgroup (compile time only)
; SGPRBlocks: 0
; VGPRBlocks: 0
; NumSGPRsForWavesPerEU: 4
; NumVGPRsForWavesPerEU: 1
; AccumOffset: 4
; Occupancy: 8
; WaveLimiterHint : 0
; COMPUTE_PGM_RSRC2:SCRATCH_EN: 0
; COMPUTE_PGM_RSRC2:USER_SGPR: 6
; COMPUTE_PGM_RSRC2:TRAP_HANDLER: 0
; COMPUTE_PGM_RSRC2:TGID_X_EN: 1
; COMPUTE_PGM_RSRC2:TGID_Y_EN: 0
; COMPUTE_PGM_RSRC2:TGID_Z_EN: 0
; COMPUTE_PGM_RSRC2:TIDIG_COMP_CNT: 0
; COMPUTE_PGM_RSRC3_GFX90A:ACCUM_OFFSET: 0
; COMPUTE_PGM_RSRC3_GFX90A:TG_SPLIT: 0
	.section	.text._ZN7rocprim17ROCPRIM_400000_NS6detail17trampoline_kernelINS0_14default_configENS1_25partition_config_selectorILNS1_17partition_subalgoE0EjNS0_10empty_typeEbEEZZNS1_14partition_implILS5_0ELb0ES3_jN6thrust23THRUST_200600_302600_NS6detail15normal_iteratorINSA_10device_ptrIjEEEEPS6_SG_NS0_5tupleIJNSA_16discard_iteratorINSA_11use_defaultEEESF_EEENSH_IJSG_SG_EEES6_PlJ7is_evenIjEEEE10hipError_tPvRmT3_T4_T5_T6_T7_T9_mT8_P12ihipStream_tbDpT10_ENKUlT_T0_E_clISt17integral_constantIbLb1EES18_IbLb0EEEEDaS14_S15_EUlS14_E_NS1_11comp_targetILNS1_3genE2ELNS1_11target_archE906ELNS1_3gpuE6ELNS1_3repE0EEENS1_30default_config_static_selectorELNS0_4arch9wavefront6targetE1EEEvT1_,"axG",@progbits,_ZN7rocprim17ROCPRIM_400000_NS6detail17trampoline_kernelINS0_14default_configENS1_25partition_config_selectorILNS1_17partition_subalgoE0EjNS0_10empty_typeEbEEZZNS1_14partition_implILS5_0ELb0ES3_jN6thrust23THRUST_200600_302600_NS6detail15normal_iteratorINSA_10device_ptrIjEEEEPS6_SG_NS0_5tupleIJNSA_16discard_iteratorINSA_11use_defaultEEESF_EEENSH_IJSG_SG_EEES6_PlJ7is_evenIjEEEE10hipError_tPvRmT3_T4_T5_T6_T7_T9_mT8_P12ihipStream_tbDpT10_ENKUlT_T0_E_clISt17integral_constantIbLb1EES18_IbLb0EEEEDaS14_S15_EUlS14_E_NS1_11comp_targetILNS1_3genE2ELNS1_11target_archE906ELNS1_3gpuE6ELNS1_3repE0EEENS1_30default_config_static_selectorELNS0_4arch9wavefront6targetE1EEEvT1_,comdat
	.protected	_ZN7rocprim17ROCPRIM_400000_NS6detail17trampoline_kernelINS0_14default_configENS1_25partition_config_selectorILNS1_17partition_subalgoE0EjNS0_10empty_typeEbEEZZNS1_14partition_implILS5_0ELb0ES3_jN6thrust23THRUST_200600_302600_NS6detail15normal_iteratorINSA_10device_ptrIjEEEEPS6_SG_NS0_5tupleIJNSA_16discard_iteratorINSA_11use_defaultEEESF_EEENSH_IJSG_SG_EEES6_PlJ7is_evenIjEEEE10hipError_tPvRmT3_T4_T5_T6_T7_T9_mT8_P12ihipStream_tbDpT10_ENKUlT_T0_E_clISt17integral_constantIbLb1EES18_IbLb0EEEEDaS14_S15_EUlS14_E_NS1_11comp_targetILNS1_3genE2ELNS1_11target_archE906ELNS1_3gpuE6ELNS1_3repE0EEENS1_30default_config_static_selectorELNS0_4arch9wavefront6targetE1EEEvT1_ ; -- Begin function _ZN7rocprim17ROCPRIM_400000_NS6detail17trampoline_kernelINS0_14default_configENS1_25partition_config_selectorILNS1_17partition_subalgoE0EjNS0_10empty_typeEbEEZZNS1_14partition_implILS5_0ELb0ES3_jN6thrust23THRUST_200600_302600_NS6detail15normal_iteratorINSA_10device_ptrIjEEEEPS6_SG_NS0_5tupleIJNSA_16discard_iteratorINSA_11use_defaultEEESF_EEENSH_IJSG_SG_EEES6_PlJ7is_evenIjEEEE10hipError_tPvRmT3_T4_T5_T6_T7_T9_mT8_P12ihipStream_tbDpT10_ENKUlT_T0_E_clISt17integral_constantIbLb1EES18_IbLb0EEEEDaS14_S15_EUlS14_E_NS1_11comp_targetILNS1_3genE2ELNS1_11target_archE906ELNS1_3gpuE6ELNS1_3repE0EEENS1_30default_config_static_selectorELNS0_4arch9wavefront6targetE1EEEvT1_
	.globl	_ZN7rocprim17ROCPRIM_400000_NS6detail17trampoline_kernelINS0_14default_configENS1_25partition_config_selectorILNS1_17partition_subalgoE0EjNS0_10empty_typeEbEEZZNS1_14partition_implILS5_0ELb0ES3_jN6thrust23THRUST_200600_302600_NS6detail15normal_iteratorINSA_10device_ptrIjEEEEPS6_SG_NS0_5tupleIJNSA_16discard_iteratorINSA_11use_defaultEEESF_EEENSH_IJSG_SG_EEES6_PlJ7is_evenIjEEEE10hipError_tPvRmT3_T4_T5_T6_T7_T9_mT8_P12ihipStream_tbDpT10_ENKUlT_T0_E_clISt17integral_constantIbLb1EES18_IbLb0EEEEDaS14_S15_EUlS14_E_NS1_11comp_targetILNS1_3genE2ELNS1_11target_archE906ELNS1_3gpuE6ELNS1_3repE0EEENS1_30default_config_static_selectorELNS0_4arch9wavefront6targetE1EEEvT1_
	.p2align	8
	.type	_ZN7rocprim17ROCPRIM_400000_NS6detail17trampoline_kernelINS0_14default_configENS1_25partition_config_selectorILNS1_17partition_subalgoE0EjNS0_10empty_typeEbEEZZNS1_14partition_implILS5_0ELb0ES3_jN6thrust23THRUST_200600_302600_NS6detail15normal_iteratorINSA_10device_ptrIjEEEEPS6_SG_NS0_5tupleIJNSA_16discard_iteratorINSA_11use_defaultEEESF_EEENSH_IJSG_SG_EEES6_PlJ7is_evenIjEEEE10hipError_tPvRmT3_T4_T5_T6_T7_T9_mT8_P12ihipStream_tbDpT10_ENKUlT_T0_E_clISt17integral_constantIbLb1EES18_IbLb0EEEEDaS14_S15_EUlS14_E_NS1_11comp_targetILNS1_3genE2ELNS1_11target_archE906ELNS1_3gpuE6ELNS1_3repE0EEENS1_30default_config_static_selectorELNS0_4arch9wavefront6targetE1EEEvT1_,@function
_ZN7rocprim17ROCPRIM_400000_NS6detail17trampoline_kernelINS0_14default_configENS1_25partition_config_selectorILNS1_17partition_subalgoE0EjNS0_10empty_typeEbEEZZNS1_14partition_implILS5_0ELb0ES3_jN6thrust23THRUST_200600_302600_NS6detail15normal_iteratorINSA_10device_ptrIjEEEEPS6_SG_NS0_5tupleIJNSA_16discard_iteratorINSA_11use_defaultEEESF_EEENSH_IJSG_SG_EEES6_PlJ7is_evenIjEEEE10hipError_tPvRmT3_T4_T5_T6_T7_T9_mT8_P12ihipStream_tbDpT10_ENKUlT_T0_E_clISt17integral_constantIbLb1EES18_IbLb0EEEEDaS14_S15_EUlS14_E_NS1_11comp_targetILNS1_3genE2ELNS1_11target_archE906ELNS1_3gpuE6ELNS1_3repE0EEENS1_30default_config_static_selectorELNS0_4arch9wavefront6targetE1EEEvT1_: ; @_ZN7rocprim17ROCPRIM_400000_NS6detail17trampoline_kernelINS0_14default_configENS1_25partition_config_selectorILNS1_17partition_subalgoE0EjNS0_10empty_typeEbEEZZNS1_14partition_implILS5_0ELb0ES3_jN6thrust23THRUST_200600_302600_NS6detail15normal_iteratorINSA_10device_ptrIjEEEEPS6_SG_NS0_5tupleIJNSA_16discard_iteratorINSA_11use_defaultEEESF_EEENSH_IJSG_SG_EEES6_PlJ7is_evenIjEEEE10hipError_tPvRmT3_T4_T5_T6_T7_T9_mT8_P12ihipStream_tbDpT10_ENKUlT_T0_E_clISt17integral_constantIbLb1EES18_IbLb0EEEEDaS14_S15_EUlS14_E_NS1_11comp_targetILNS1_3genE2ELNS1_11target_archE906ELNS1_3gpuE6ELNS1_3repE0EEENS1_30default_config_static_selectorELNS0_4arch9wavefront6targetE1EEEvT1_
; %bb.0:
	.section	.rodata,"a",@progbits
	.p2align	6, 0x0
	.amdhsa_kernel _ZN7rocprim17ROCPRIM_400000_NS6detail17trampoline_kernelINS0_14default_configENS1_25partition_config_selectorILNS1_17partition_subalgoE0EjNS0_10empty_typeEbEEZZNS1_14partition_implILS5_0ELb0ES3_jN6thrust23THRUST_200600_302600_NS6detail15normal_iteratorINSA_10device_ptrIjEEEEPS6_SG_NS0_5tupleIJNSA_16discard_iteratorINSA_11use_defaultEEESF_EEENSH_IJSG_SG_EEES6_PlJ7is_evenIjEEEE10hipError_tPvRmT3_T4_T5_T6_T7_T9_mT8_P12ihipStream_tbDpT10_ENKUlT_T0_E_clISt17integral_constantIbLb1EES18_IbLb0EEEEDaS14_S15_EUlS14_E_NS1_11comp_targetILNS1_3genE2ELNS1_11target_archE906ELNS1_3gpuE6ELNS1_3repE0EEENS1_30default_config_static_selectorELNS0_4arch9wavefront6targetE1EEEvT1_
		.amdhsa_group_segment_fixed_size 0
		.amdhsa_private_segment_fixed_size 0
		.amdhsa_kernarg_size 128
		.amdhsa_user_sgpr_count 6
		.amdhsa_user_sgpr_private_segment_buffer 1
		.amdhsa_user_sgpr_dispatch_ptr 0
		.amdhsa_user_sgpr_queue_ptr 0
		.amdhsa_user_sgpr_kernarg_segment_ptr 1
		.amdhsa_user_sgpr_dispatch_id 0
		.amdhsa_user_sgpr_flat_scratch_init 0
		.amdhsa_user_sgpr_kernarg_preload_length 0
		.amdhsa_user_sgpr_kernarg_preload_offset 0
		.amdhsa_user_sgpr_private_segment_size 0
		.amdhsa_uses_dynamic_stack 0
		.amdhsa_system_sgpr_private_segment_wavefront_offset 0
		.amdhsa_system_sgpr_workgroup_id_x 1
		.amdhsa_system_sgpr_workgroup_id_y 0
		.amdhsa_system_sgpr_workgroup_id_z 0
		.amdhsa_system_sgpr_workgroup_info 0
		.amdhsa_system_vgpr_workitem_id 0
		.amdhsa_next_free_vgpr 1
		.amdhsa_next_free_sgpr 0
		.amdhsa_accum_offset 4
		.amdhsa_reserve_vcc 0
		.amdhsa_reserve_flat_scratch 0
		.amdhsa_float_round_mode_32 0
		.amdhsa_float_round_mode_16_64 0
		.amdhsa_float_denorm_mode_32 3
		.amdhsa_float_denorm_mode_16_64 3
		.amdhsa_dx10_clamp 1
		.amdhsa_ieee_mode 1
		.amdhsa_fp16_overflow 0
		.amdhsa_tg_split 0
		.amdhsa_exception_fp_ieee_invalid_op 0
		.amdhsa_exception_fp_denorm_src 0
		.amdhsa_exception_fp_ieee_div_zero 0
		.amdhsa_exception_fp_ieee_overflow 0
		.amdhsa_exception_fp_ieee_underflow 0
		.amdhsa_exception_fp_ieee_inexact 0
		.amdhsa_exception_int_div_zero 0
	.end_amdhsa_kernel
	.section	.text._ZN7rocprim17ROCPRIM_400000_NS6detail17trampoline_kernelINS0_14default_configENS1_25partition_config_selectorILNS1_17partition_subalgoE0EjNS0_10empty_typeEbEEZZNS1_14partition_implILS5_0ELb0ES3_jN6thrust23THRUST_200600_302600_NS6detail15normal_iteratorINSA_10device_ptrIjEEEEPS6_SG_NS0_5tupleIJNSA_16discard_iteratorINSA_11use_defaultEEESF_EEENSH_IJSG_SG_EEES6_PlJ7is_evenIjEEEE10hipError_tPvRmT3_T4_T5_T6_T7_T9_mT8_P12ihipStream_tbDpT10_ENKUlT_T0_E_clISt17integral_constantIbLb1EES18_IbLb0EEEEDaS14_S15_EUlS14_E_NS1_11comp_targetILNS1_3genE2ELNS1_11target_archE906ELNS1_3gpuE6ELNS1_3repE0EEENS1_30default_config_static_selectorELNS0_4arch9wavefront6targetE1EEEvT1_,"axG",@progbits,_ZN7rocprim17ROCPRIM_400000_NS6detail17trampoline_kernelINS0_14default_configENS1_25partition_config_selectorILNS1_17partition_subalgoE0EjNS0_10empty_typeEbEEZZNS1_14partition_implILS5_0ELb0ES3_jN6thrust23THRUST_200600_302600_NS6detail15normal_iteratorINSA_10device_ptrIjEEEEPS6_SG_NS0_5tupleIJNSA_16discard_iteratorINSA_11use_defaultEEESF_EEENSH_IJSG_SG_EEES6_PlJ7is_evenIjEEEE10hipError_tPvRmT3_T4_T5_T6_T7_T9_mT8_P12ihipStream_tbDpT10_ENKUlT_T0_E_clISt17integral_constantIbLb1EES18_IbLb0EEEEDaS14_S15_EUlS14_E_NS1_11comp_targetILNS1_3genE2ELNS1_11target_archE906ELNS1_3gpuE6ELNS1_3repE0EEENS1_30default_config_static_selectorELNS0_4arch9wavefront6targetE1EEEvT1_,comdat
.Lfunc_end2479:
	.size	_ZN7rocprim17ROCPRIM_400000_NS6detail17trampoline_kernelINS0_14default_configENS1_25partition_config_selectorILNS1_17partition_subalgoE0EjNS0_10empty_typeEbEEZZNS1_14partition_implILS5_0ELb0ES3_jN6thrust23THRUST_200600_302600_NS6detail15normal_iteratorINSA_10device_ptrIjEEEEPS6_SG_NS0_5tupleIJNSA_16discard_iteratorINSA_11use_defaultEEESF_EEENSH_IJSG_SG_EEES6_PlJ7is_evenIjEEEE10hipError_tPvRmT3_T4_T5_T6_T7_T9_mT8_P12ihipStream_tbDpT10_ENKUlT_T0_E_clISt17integral_constantIbLb1EES18_IbLb0EEEEDaS14_S15_EUlS14_E_NS1_11comp_targetILNS1_3genE2ELNS1_11target_archE906ELNS1_3gpuE6ELNS1_3repE0EEENS1_30default_config_static_selectorELNS0_4arch9wavefront6targetE1EEEvT1_, .Lfunc_end2479-_ZN7rocprim17ROCPRIM_400000_NS6detail17trampoline_kernelINS0_14default_configENS1_25partition_config_selectorILNS1_17partition_subalgoE0EjNS0_10empty_typeEbEEZZNS1_14partition_implILS5_0ELb0ES3_jN6thrust23THRUST_200600_302600_NS6detail15normal_iteratorINSA_10device_ptrIjEEEEPS6_SG_NS0_5tupleIJNSA_16discard_iteratorINSA_11use_defaultEEESF_EEENSH_IJSG_SG_EEES6_PlJ7is_evenIjEEEE10hipError_tPvRmT3_T4_T5_T6_T7_T9_mT8_P12ihipStream_tbDpT10_ENKUlT_T0_E_clISt17integral_constantIbLb1EES18_IbLb0EEEEDaS14_S15_EUlS14_E_NS1_11comp_targetILNS1_3genE2ELNS1_11target_archE906ELNS1_3gpuE6ELNS1_3repE0EEENS1_30default_config_static_selectorELNS0_4arch9wavefront6targetE1EEEvT1_
                                        ; -- End function
	.section	.AMDGPU.csdata,"",@progbits
; Kernel info:
; codeLenInByte = 0
; NumSgprs: 4
; NumVgprs: 0
; NumAgprs: 0
; TotalNumVgprs: 0
; ScratchSize: 0
; MemoryBound: 0
; FloatMode: 240
; IeeeMode: 1
; LDSByteSize: 0 bytes/workgroup (compile time only)
; SGPRBlocks: 0
; VGPRBlocks: 0
; NumSGPRsForWavesPerEU: 4
; NumVGPRsForWavesPerEU: 1
; AccumOffset: 4
; Occupancy: 8
; WaveLimiterHint : 0
; COMPUTE_PGM_RSRC2:SCRATCH_EN: 0
; COMPUTE_PGM_RSRC2:USER_SGPR: 6
; COMPUTE_PGM_RSRC2:TRAP_HANDLER: 0
; COMPUTE_PGM_RSRC2:TGID_X_EN: 1
; COMPUTE_PGM_RSRC2:TGID_Y_EN: 0
; COMPUTE_PGM_RSRC2:TGID_Z_EN: 0
; COMPUTE_PGM_RSRC2:TIDIG_COMP_CNT: 0
; COMPUTE_PGM_RSRC3_GFX90A:ACCUM_OFFSET: 0
; COMPUTE_PGM_RSRC3_GFX90A:TG_SPLIT: 0
	.section	.text._ZN7rocprim17ROCPRIM_400000_NS6detail17trampoline_kernelINS0_14default_configENS1_25partition_config_selectorILNS1_17partition_subalgoE0EjNS0_10empty_typeEbEEZZNS1_14partition_implILS5_0ELb0ES3_jN6thrust23THRUST_200600_302600_NS6detail15normal_iteratorINSA_10device_ptrIjEEEEPS6_SG_NS0_5tupleIJNSA_16discard_iteratorINSA_11use_defaultEEESF_EEENSH_IJSG_SG_EEES6_PlJ7is_evenIjEEEE10hipError_tPvRmT3_T4_T5_T6_T7_T9_mT8_P12ihipStream_tbDpT10_ENKUlT_T0_E_clISt17integral_constantIbLb1EES18_IbLb0EEEEDaS14_S15_EUlS14_E_NS1_11comp_targetILNS1_3genE10ELNS1_11target_archE1200ELNS1_3gpuE4ELNS1_3repE0EEENS1_30default_config_static_selectorELNS0_4arch9wavefront6targetE1EEEvT1_,"axG",@progbits,_ZN7rocprim17ROCPRIM_400000_NS6detail17trampoline_kernelINS0_14default_configENS1_25partition_config_selectorILNS1_17partition_subalgoE0EjNS0_10empty_typeEbEEZZNS1_14partition_implILS5_0ELb0ES3_jN6thrust23THRUST_200600_302600_NS6detail15normal_iteratorINSA_10device_ptrIjEEEEPS6_SG_NS0_5tupleIJNSA_16discard_iteratorINSA_11use_defaultEEESF_EEENSH_IJSG_SG_EEES6_PlJ7is_evenIjEEEE10hipError_tPvRmT3_T4_T5_T6_T7_T9_mT8_P12ihipStream_tbDpT10_ENKUlT_T0_E_clISt17integral_constantIbLb1EES18_IbLb0EEEEDaS14_S15_EUlS14_E_NS1_11comp_targetILNS1_3genE10ELNS1_11target_archE1200ELNS1_3gpuE4ELNS1_3repE0EEENS1_30default_config_static_selectorELNS0_4arch9wavefront6targetE1EEEvT1_,comdat
	.protected	_ZN7rocprim17ROCPRIM_400000_NS6detail17trampoline_kernelINS0_14default_configENS1_25partition_config_selectorILNS1_17partition_subalgoE0EjNS0_10empty_typeEbEEZZNS1_14partition_implILS5_0ELb0ES3_jN6thrust23THRUST_200600_302600_NS6detail15normal_iteratorINSA_10device_ptrIjEEEEPS6_SG_NS0_5tupleIJNSA_16discard_iteratorINSA_11use_defaultEEESF_EEENSH_IJSG_SG_EEES6_PlJ7is_evenIjEEEE10hipError_tPvRmT3_T4_T5_T6_T7_T9_mT8_P12ihipStream_tbDpT10_ENKUlT_T0_E_clISt17integral_constantIbLb1EES18_IbLb0EEEEDaS14_S15_EUlS14_E_NS1_11comp_targetILNS1_3genE10ELNS1_11target_archE1200ELNS1_3gpuE4ELNS1_3repE0EEENS1_30default_config_static_selectorELNS0_4arch9wavefront6targetE1EEEvT1_ ; -- Begin function _ZN7rocprim17ROCPRIM_400000_NS6detail17trampoline_kernelINS0_14default_configENS1_25partition_config_selectorILNS1_17partition_subalgoE0EjNS0_10empty_typeEbEEZZNS1_14partition_implILS5_0ELb0ES3_jN6thrust23THRUST_200600_302600_NS6detail15normal_iteratorINSA_10device_ptrIjEEEEPS6_SG_NS0_5tupleIJNSA_16discard_iteratorINSA_11use_defaultEEESF_EEENSH_IJSG_SG_EEES6_PlJ7is_evenIjEEEE10hipError_tPvRmT3_T4_T5_T6_T7_T9_mT8_P12ihipStream_tbDpT10_ENKUlT_T0_E_clISt17integral_constantIbLb1EES18_IbLb0EEEEDaS14_S15_EUlS14_E_NS1_11comp_targetILNS1_3genE10ELNS1_11target_archE1200ELNS1_3gpuE4ELNS1_3repE0EEENS1_30default_config_static_selectorELNS0_4arch9wavefront6targetE1EEEvT1_
	.globl	_ZN7rocprim17ROCPRIM_400000_NS6detail17trampoline_kernelINS0_14default_configENS1_25partition_config_selectorILNS1_17partition_subalgoE0EjNS0_10empty_typeEbEEZZNS1_14partition_implILS5_0ELb0ES3_jN6thrust23THRUST_200600_302600_NS6detail15normal_iteratorINSA_10device_ptrIjEEEEPS6_SG_NS0_5tupleIJNSA_16discard_iteratorINSA_11use_defaultEEESF_EEENSH_IJSG_SG_EEES6_PlJ7is_evenIjEEEE10hipError_tPvRmT3_T4_T5_T6_T7_T9_mT8_P12ihipStream_tbDpT10_ENKUlT_T0_E_clISt17integral_constantIbLb1EES18_IbLb0EEEEDaS14_S15_EUlS14_E_NS1_11comp_targetILNS1_3genE10ELNS1_11target_archE1200ELNS1_3gpuE4ELNS1_3repE0EEENS1_30default_config_static_selectorELNS0_4arch9wavefront6targetE1EEEvT1_
	.p2align	8
	.type	_ZN7rocprim17ROCPRIM_400000_NS6detail17trampoline_kernelINS0_14default_configENS1_25partition_config_selectorILNS1_17partition_subalgoE0EjNS0_10empty_typeEbEEZZNS1_14partition_implILS5_0ELb0ES3_jN6thrust23THRUST_200600_302600_NS6detail15normal_iteratorINSA_10device_ptrIjEEEEPS6_SG_NS0_5tupleIJNSA_16discard_iteratorINSA_11use_defaultEEESF_EEENSH_IJSG_SG_EEES6_PlJ7is_evenIjEEEE10hipError_tPvRmT3_T4_T5_T6_T7_T9_mT8_P12ihipStream_tbDpT10_ENKUlT_T0_E_clISt17integral_constantIbLb1EES18_IbLb0EEEEDaS14_S15_EUlS14_E_NS1_11comp_targetILNS1_3genE10ELNS1_11target_archE1200ELNS1_3gpuE4ELNS1_3repE0EEENS1_30default_config_static_selectorELNS0_4arch9wavefront6targetE1EEEvT1_,@function
_ZN7rocprim17ROCPRIM_400000_NS6detail17trampoline_kernelINS0_14default_configENS1_25partition_config_selectorILNS1_17partition_subalgoE0EjNS0_10empty_typeEbEEZZNS1_14partition_implILS5_0ELb0ES3_jN6thrust23THRUST_200600_302600_NS6detail15normal_iteratorINSA_10device_ptrIjEEEEPS6_SG_NS0_5tupleIJNSA_16discard_iteratorINSA_11use_defaultEEESF_EEENSH_IJSG_SG_EEES6_PlJ7is_evenIjEEEE10hipError_tPvRmT3_T4_T5_T6_T7_T9_mT8_P12ihipStream_tbDpT10_ENKUlT_T0_E_clISt17integral_constantIbLb1EES18_IbLb0EEEEDaS14_S15_EUlS14_E_NS1_11comp_targetILNS1_3genE10ELNS1_11target_archE1200ELNS1_3gpuE4ELNS1_3repE0EEENS1_30default_config_static_selectorELNS0_4arch9wavefront6targetE1EEEvT1_: ; @_ZN7rocprim17ROCPRIM_400000_NS6detail17trampoline_kernelINS0_14default_configENS1_25partition_config_selectorILNS1_17partition_subalgoE0EjNS0_10empty_typeEbEEZZNS1_14partition_implILS5_0ELb0ES3_jN6thrust23THRUST_200600_302600_NS6detail15normal_iteratorINSA_10device_ptrIjEEEEPS6_SG_NS0_5tupleIJNSA_16discard_iteratorINSA_11use_defaultEEESF_EEENSH_IJSG_SG_EEES6_PlJ7is_evenIjEEEE10hipError_tPvRmT3_T4_T5_T6_T7_T9_mT8_P12ihipStream_tbDpT10_ENKUlT_T0_E_clISt17integral_constantIbLb1EES18_IbLb0EEEEDaS14_S15_EUlS14_E_NS1_11comp_targetILNS1_3genE10ELNS1_11target_archE1200ELNS1_3gpuE4ELNS1_3repE0EEENS1_30default_config_static_selectorELNS0_4arch9wavefront6targetE1EEEvT1_
; %bb.0:
	.section	.rodata,"a",@progbits
	.p2align	6, 0x0
	.amdhsa_kernel _ZN7rocprim17ROCPRIM_400000_NS6detail17trampoline_kernelINS0_14default_configENS1_25partition_config_selectorILNS1_17partition_subalgoE0EjNS0_10empty_typeEbEEZZNS1_14partition_implILS5_0ELb0ES3_jN6thrust23THRUST_200600_302600_NS6detail15normal_iteratorINSA_10device_ptrIjEEEEPS6_SG_NS0_5tupleIJNSA_16discard_iteratorINSA_11use_defaultEEESF_EEENSH_IJSG_SG_EEES6_PlJ7is_evenIjEEEE10hipError_tPvRmT3_T4_T5_T6_T7_T9_mT8_P12ihipStream_tbDpT10_ENKUlT_T0_E_clISt17integral_constantIbLb1EES18_IbLb0EEEEDaS14_S15_EUlS14_E_NS1_11comp_targetILNS1_3genE10ELNS1_11target_archE1200ELNS1_3gpuE4ELNS1_3repE0EEENS1_30default_config_static_selectorELNS0_4arch9wavefront6targetE1EEEvT1_
		.amdhsa_group_segment_fixed_size 0
		.amdhsa_private_segment_fixed_size 0
		.amdhsa_kernarg_size 128
		.amdhsa_user_sgpr_count 6
		.amdhsa_user_sgpr_private_segment_buffer 1
		.amdhsa_user_sgpr_dispatch_ptr 0
		.amdhsa_user_sgpr_queue_ptr 0
		.amdhsa_user_sgpr_kernarg_segment_ptr 1
		.amdhsa_user_sgpr_dispatch_id 0
		.amdhsa_user_sgpr_flat_scratch_init 0
		.amdhsa_user_sgpr_kernarg_preload_length 0
		.amdhsa_user_sgpr_kernarg_preload_offset 0
		.amdhsa_user_sgpr_private_segment_size 0
		.amdhsa_uses_dynamic_stack 0
		.amdhsa_system_sgpr_private_segment_wavefront_offset 0
		.amdhsa_system_sgpr_workgroup_id_x 1
		.amdhsa_system_sgpr_workgroup_id_y 0
		.amdhsa_system_sgpr_workgroup_id_z 0
		.amdhsa_system_sgpr_workgroup_info 0
		.amdhsa_system_vgpr_workitem_id 0
		.amdhsa_next_free_vgpr 1
		.amdhsa_next_free_sgpr 0
		.amdhsa_accum_offset 4
		.amdhsa_reserve_vcc 0
		.amdhsa_reserve_flat_scratch 0
		.amdhsa_float_round_mode_32 0
		.amdhsa_float_round_mode_16_64 0
		.amdhsa_float_denorm_mode_32 3
		.amdhsa_float_denorm_mode_16_64 3
		.amdhsa_dx10_clamp 1
		.amdhsa_ieee_mode 1
		.amdhsa_fp16_overflow 0
		.amdhsa_tg_split 0
		.amdhsa_exception_fp_ieee_invalid_op 0
		.amdhsa_exception_fp_denorm_src 0
		.amdhsa_exception_fp_ieee_div_zero 0
		.amdhsa_exception_fp_ieee_overflow 0
		.amdhsa_exception_fp_ieee_underflow 0
		.amdhsa_exception_fp_ieee_inexact 0
		.amdhsa_exception_int_div_zero 0
	.end_amdhsa_kernel
	.section	.text._ZN7rocprim17ROCPRIM_400000_NS6detail17trampoline_kernelINS0_14default_configENS1_25partition_config_selectorILNS1_17partition_subalgoE0EjNS0_10empty_typeEbEEZZNS1_14partition_implILS5_0ELb0ES3_jN6thrust23THRUST_200600_302600_NS6detail15normal_iteratorINSA_10device_ptrIjEEEEPS6_SG_NS0_5tupleIJNSA_16discard_iteratorINSA_11use_defaultEEESF_EEENSH_IJSG_SG_EEES6_PlJ7is_evenIjEEEE10hipError_tPvRmT3_T4_T5_T6_T7_T9_mT8_P12ihipStream_tbDpT10_ENKUlT_T0_E_clISt17integral_constantIbLb1EES18_IbLb0EEEEDaS14_S15_EUlS14_E_NS1_11comp_targetILNS1_3genE10ELNS1_11target_archE1200ELNS1_3gpuE4ELNS1_3repE0EEENS1_30default_config_static_selectorELNS0_4arch9wavefront6targetE1EEEvT1_,"axG",@progbits,_ZN7rocprim17ROCPRIM_400000_NS6detail17trampoline_kernelINS0_14default_configENS1_25partition_config_selectorILNS1_17partition_subalgoE0EjNS0_10empty_typeEbEEZZNS1_14partition_implILS5_0ELb0ES3_jN6thrust23THRUST_200600_302600_NS6detail15normal_iteratorINSA_10device_ptrIjEEEEPS6_SG_NS0_5tupleIJNSA_16discard_iteratorINSA_11use_defaultEEESF_EEENSH_IJSG_SG_EEES6_PlJ7is_evenIjEEEE10hipError_tPvRmT3_T4_T5_T6_T7_T9_mT8_P12ihipStream_tbDpT10_ENKUlT_T0_E_clISt17integral_constantIbLb1EES18_IbLb0EEEEDaS14_S15_EUlS14_E_NS1_11comp_targetILNS1_3genE10ELNS1_11target_archE1200ELNS1_3gpuE4ELNS1_3repE0EEENS1_30default_config_static_selectorELNS0_4arch9wavefront6targetE1EEEvT1_,comdat
.Lfunc_end2480:
	.size	_ZN7rocprim17ROCPRIM_400000_NS6detail17trampoline_kernelINS0_14default_configENS1_25partition_config_selectorILNS1_17partition_subalgoE0EjNS0_10empty_typeEbEEZZNS1_14partition_implILS5_0ELb0ES3_jN6thrust23THRUST_200600_302600_NS6detail15normal_iteratorINSA_10device_ptrIjEEEEPS6_SG_NS0_5tupleIJNSA_16discard_iteratorINSA_11use_defaultEEESF_EEENSH_IJSG_SG_EEES6_PlJ7is_evenIjEEEE10hipError_tPvRmT3_T4_T5_T6_T7_T9_mT8_P12ihipStream_tbDpT10_ENKUlT_T0_E_clISt17integral_constantIbLb1EES18_IbLb0EEEEDaS14_S15_EUlS14_E_NS1_11comp_targetILNS1_3genE10ELNS1_11target_archE1200ELNS1_3gpuE4ELNS1_3repE0EEENS1_30default_config_static_selectorELNS0_4arch9wavefront6targetE1EEEvT1_, .Lfunc_end2480-_ZN7rocprim17ROCPRIM_400000_NS6detail17trampoline_kernelINS0_14default_configENS1_25partition_config_selectorILNS1_17partition_subalgoE0EjNS0_10empty_typeEbEEZZNS1_14partition_implILS5_0ELb0ES3_jN6thrust23THRUST_200600_302600_NS6detail15normal_iteratorINSA_10device_ptrIjEEEEPS6_SG_NS0_5tupleIJNSA_16discard_iteratorINSA_11use_defaultEEESF_EEENSH_IJSG_SG_EEES6_PlJ7is_evenIjEEEE10hipError_tPvRmT3_T4_T5_T6_T7_T9_mT8_P12ihipStream_tbDpT10_ENKUlT_T0_E_clISt17integral_constantIbLb1EES18_IbLb0EEEEDaS14_S15_EUlS14_E_NS1_11comp_targetILNS1_3genE10ELNS1_11target_archE1200ELNS1_3gpuE4ELNS1_3repE0EEENS1_30default_config_static_selectorELNS0_4arch9wavefront6targetE1EEEvT1_
                                        ; -- End function
	.section	.AMDGPU.csdata,"",@progbits
; Kernel info:
; codeLenInByte = 0
; NumSgprs: 4
; NumVgprs: 0
; NumAgprs: 0
; TotalNumVgprs: 0
; ScratchSize: 0
; MemoryBound: 0
; FloatMode: 240
; IeeeMode: 1
; LDSByteSize: 0 bytes/workgroup (compile time only)
; SGPRBlocks: 0
; VGPRBlocks: 0
; NumSGPRsForWavesPerEU: 4
; NumVGPRsForWavesPerEU: 1
; AccumOffset: 4
; Occupancy: 8
; WaveLimiterHint : 0
; COMPUTE_PGM_RSRC2:SCRATCH_EN: 0
; COMPUTE_PGM_RSRC2:USER_SGPR: 6
; COMPUTE_PGM_RSRC2:TRAP_HANDLER: 0
; COMPUTE_PGM_RSRC2:TGID_X_EN: 1
; COMPUTE_PGM_RSRC2:TGID_Y_EN: 0
; COMPUTE_PGM_RSRC2:TGID_Z_EN: 0
; COMPUTE_PGM_RSRC2:TIDIG_COMP_CNT: 0
; COMPUTE_PGM_RSRC3_GFX90A:ACCUM_OFFSET: 0
; COMPUTE_PGM_RSRC3_GFX90A:TG_SPLIT: 0
	.section	.text._ZN7rocprim17ROCPRIM_400000_NS6detail17trampoline_kernelINS0_14default_configENS1_25partition_config_selectorILNS1_17partition_subalgoE0EjNS0_10empty_typeEbEEZZNS1_14partition_implILS5_0ELb0ES3_jN6thrust23THRUST_200600_302600_NS6detail15normal_iteratorINSA_10device_ptrIjEEEEPS6_SG_NS0_5tupleIJNSA_16discard_iteratorINSA_11use_defaultEEESF_EEENSH_IJSG_SG_EEES6_PlJ7is_evenIjEEEE10hipError_tPvRmT3_T4_T5_T6_T7_T9_mT8_P12ihipStream_tbDpT10_ENKUlT_T0_E_clISt17integral_constantIbLb1EES18_IbLb0EEEEDaS14_S15_EUlS14_E_NS1_11comp_targetILNS1_3genE9ELNS1_11target_archE1100ELNS1_3gpuE3ELNS1_3repE0EEENS1_30default_config_static_selectorELNS0_4arch9wavefront6targetE1EEEvT1_,"axG",@progbits,_ZN7rocprim17ROCPRIM_400000_NS6detail17trampoline_kernelINS0_14default_configENS1_25partition_config_selectorILNS1_17partition_subalgoE0EjNS0_10empty_typeEbEEZZNS1_14partition_implILS5_0ELb0ES3_jN6thrust23THRUST_200600_302600_NS6detail15normal_iteratorINSA_10device_ptrIjEEEEPS6_SG_NS0_5tupleIJNSA_16discard_iteratorINSA_11use_defaultEEESF_EEENSH_IJSG_SG_EEES6_PlJ7is_evenIjEEEE10hipError_tPvRmT3_T4_T5_T6_T7_T9_mT8_P12ihipStream_tbDpT10_ENKUlT_T0_E_clISt17integral_constantIbLb1EES18_IbLb0EEEEDaS14_S15_EUlS14_E_NS1_11comp_targetILNS1_3genE9ELNS1_11target_archE1100ELNS1_3gpuE3ELNS1_3repE0EEENS1_30default_config_static_selectorELNS0_4arch9wavefront6targetE1EEEvT1_,comdat
	.protected	_ZN7rocprim17ROCPRIM_400000_NS6detail17trampoline_kernelINS0_14default_configENS1_25partition_config_selectorILNS1_17partition_subalgoE0EjNS0_10empty_typeEbEEZZNS1_14partition_implILS5_0ELb0ES3_jN6thrust23THRUST_200600_302600_NS6detail15normal_iteratorINSA_10device_ptrIjEEEEPS6_SG_NS0_5tupleIJNSA_16discard_iteratorINSA_11use_defaultEEESF_EEENSH_IJSG_SG_EEES6_PlJ7is_evenIjEEEE10hipError_tPvRmT3_T4_T5_T6_T7_T9_mT8_P12ihipStream_tbDpT10_ENKUlT_T0_E_clISt17integral_constantIbLb1EES18_IbLb0EEEEDaS14_S15_EUlS14_E_NS1_11comp_targetILNS1_3genE9ELNS1_11target_archE1100ELNS1_3gpuE3ELNS1_3repE0EEENS1_30default_config_static_selectorELNS0_4arch9wavefront6targetE1EEEvT1_ ; -- Begin function _ZN7rocprim17ROCPRIM_400000_NS6detail17trampoline_kernelINS0_14default_configENS1_25partition_config_selectorILNS1_17partition_subalgoE0EjNS0_10empty_typeEbEEZZNS1_14partition_implILS5_0ELb0ES3_jN6thrust23THRUST_200600_302600_NS6detail15normal_iteratorINSA_10device_ptrIjEEEEPS6_SG_NS0_5tupleIJNSA_16discard_iteratorINSA_11use_defaultEEESF_EEENSH_IJSG_SG_EEES6_PlJ7is_evenIjEEEE10hipError_tPvRmT3_T4_T5_T6_T7_T9_mT8_P12ihipStream_tbDpT10_ENKUlT_T0_E_clISt17integral_constantIbLb1EES18_IbLb0EEEEDaS14_S15_EUlS14_E_NS1_11comp_targetILNS1_3genE9ELNS1_11target_archE1100ELNS1_3gpuE3ELNS1_3repE0EEENS1_30default_config_static_selectorELNS0_4arch9wavefront6targetE1EEEvT1_
	.globl	_ZN7rocprim17ROCPRIM_400000_NS6detail17trampoline_kernelINS0_14default_configENS1_25partition_config_selectorILNS1_17partition_subalgoE0EjNS0_10empty_typeEbEEZZNS1_14partition_implILS5_0ELb0ES3_jN6thrust23THRUST_200600_302600_NS6detail15normal_iteratorINSA_10device_ptrIjEEEEPS6_SG_NS0_5tupleIJNSA_16discard_iteratorINSA_11use_defaultEEESF_EEENSH_IJSG_SG_EEES6_PlJ7is_evenIjEEEE10hipError_tPvRmT3_T4_T5_T6_T7_T9_mT8_P12ihipStream_tbDpT10_ENKUlT_T0_E_clISt17integral_constantIbLb1EES18_IbLb0EEEEDaS14_S15_EUlS14_E_NS1_11comp_targetILNS1_3genE9ELNS1_11target_archE1100ELNS1_3gpuE3ELNS1_3repE0EEENS1_30default_config_static_selectorELNS0_4arch9wavefront6targetE1EEEvT1_
	.p2align	8
	.type	_ZN7rocprim17ROCPRIM_400000_NS6detail17trampoline_kernelINS0_14default_configENS1_25partition_config_selectorILNS1_17partition_subalgoE0EjNS0_10empty_typeEbEEZZNS1_14partition_implILS5_0ELb0ES3_jN6thrust23THRUST_200600_302600_NS6detail15normal_iteratorINSA_10device_ptrIjEEEEPS6_SG_NS0_5tupleIJNSA_16discard_iteratorINSA_11use_defaultEEESF_EEENSH_IJSG_SG_EEES6_PlJ7is_evenIjEEEE10hipError_tPvRmT3_T4_T5_T6_T7_T9_mT8_P12ihipStream_tbDpT10_ENKUlT_T0_E_clISt17integral_constantIbLb1EES18_IbLb0EEEEDaS14_S15_EUlS14_E_NS1_11comp_targetILNS1_3genE9ELNS1_11target_archE1100ELNS1_3gpuE3ELNS1_3repE0EEENS1_30default_config_static_selectorELNS0_4arch9wavefront6targetE1EEEvT1_,@function
_ZN7rocprim17ROCPRIM_400000_NS6detail17trampoline_kernelINS0_14default_configENS1_25partition_config_selectorILNS1_17partition_subalgoE0EjNS0_10empty_typeEbEEZZNS1_14partition_implILS5_0ELb0ES3_jN6thrust23THRUST_200600_302600_NS6detail15normal_iteratorINSA_10device_ptrIjEEEEPS6_SG_NS0_5tupleIJNSA_16discard_iteratorINSA_11use_defaultEEESF_EEENSH_IJSG_SG_EEES6_PlJ7is_evenIjEEEE10hipError_tPvRmT3_T4_T5_T6_T7_T9_mT8_P12ihipStream_tbDpT10_ENKUlT_T0_E_clISt17integral_constantIbLb1EES18_IbLb0EEEEDaS14_S15_EUlS14_E_NS1_11comp_targetILNS1_3genE9ELNS1_11target_archE1100ELNS1_3gpuE3ELNS1_3repE0EEENS1_30default_config_static_selectorELNS0_4arch9wavefront6targetE1EEEvT1_: ; @_ZN7rocprim17ROCPRIM_400000_NS6detail17trampoline_kernelINS0_14default_configENS1_25partition_config_selectorILNS1_17partition_subalgoE0EjNS0_10empty_typeEbEEZZNS1_14partition_implILS5_0ELb0ES3_jN6thrust23THRUST_200600_302600_NS6detail15normal_iteratorINSA_10device_ptrIjEEEEPS6_SG_NS0_5tupleIJNSA_16discard_iteratorINSA_11use_defaultEEESF_EEENSH_IJSG_SG_EEES6_PlJ7is_evenIjEEEE10hipError_tPvRmT3_T4_T5_T6_T7_T9_mT8_P12ihipStream_tbDpT10_ENKUlT_T0_E_clISt17integral_constantIbLb1EES18_IbLb0EEEEDaS14_S15_EUlS14_E_NS1_11comp_targetILNS1_3genE9ELNS1_11target_archE1100ELNS1_3gpuE3ELNS1_3repE0EEENS1_30default_config_static_selectorELNS0_4arch9wavefront6targetE1EEEvT1_
; %bb.0:
	.section	.rodata,"a",@progbits
	.p2align	6, 0x0
	.amdhsa_kernel _ZN7rocprim17ROCPRIM_400000_NS6detail17trampoline_kernelINS0_14default_configENS1_25partition_config_selectorILNS1_17partition_subalgoE0EjNS0_10empty_typeEbEEZZNS1_14partition_implILS5_0ELb0ES3_jN6thrust23THRUST_200600_302600_NS6detail15normal_iteratorINSA_10device_ptrIjEEEEPS6_SG_NS0_5tupleIJNSA_16discard_iteratorINSA_11use_defaultEEESF_EEENSH_IJSG_SG_EEES6_PlJ7is_evenIjEEEE10hipError_tPvRmT3_T4_T5_T6_T7_T9_mT8_P12ihipStream_tbDpT10_ENKUlT_T0_E_clISt17integral_constantIbLb1EES18_IbLb0EEEEDaS14_S15_EUlS14_E_NS1_11comp_targetILNS1_3genE9ELNS1_11target_archE1100ELNS1_3gpuE3ELNS1_3repE0EEENS1_30default_config_static_selectorELNS0_4arch9wavefront6targetE1EEEvT1_
		.amdhsa_group_segment_fixed_size 0
		.amdhsa_private_segment_fixed_size 0
		.amdhsa_kernarg_size 128
		.amdhsa_user_sgpr_count 6
		.amdhsa_user_sgpr_private_segment_buffer 1
		.amdhsa_user_sgpr_dispatch_ptr 0
		.amdhsa_user_sgpr_queue_ptr 0
		.amdhsa_user_sgpr_kernarg_segment_ptr 1
		.amdhsa_user_sgpr_dispatch_id 0
		.amdhsa_user_sgpr_flat_scratch_init 0
		.amdhsa_user_sgpr_kernarg_preload_length 0
		.amdhsa_user_sgpr_kernarg_preload_offset 0
		.amdhsa_user_sgpr_private_segment_size 0
		.amdhsa_uses_dynamic_stack 0
		.amdhsa_system_sgpr_private_segment_wavefront_offset 0
		.amdhsa_system_sgpr_workgroup_id_x 1
		.amdhsa_system_sgpr_workgroup_id_y 0
		.amdhsa_system_sgpr_workgroup_id_z 0
		.amdhsa_system_sgpr_workgroup_info 0
		.amdhsa_system_vgpr_workitem_id 0
		.amdhsa_next_free_vgpr 1
		.amdhsa_next_free_sgpr 0
		.amdhsa_accum_offset 4
		.amdhsa_reserve_vcc 0
		.amdhsa_reserve_flat_scratch 0
		.amdhsa_float_round_mode_32 0
		.amdhsa_float_round_mode_16_64 0
		.amdhsa_float_denorm_mode_32 3
		.amdhsa_float_denorm_mode_16_64 3
		.amdhsa_dx10_clamp 1
		.amdhsa_ieee_mode 1
		.amdhsa_fp16_overflow 0
		.amdhsa_tg_split 0
		.amdhsa_exception_fp_ieee_invalid_op 0
		.amdhsa_exception_fp_denorm_src 0
		.amdhsa_exception_fp_ieee_div_zero 0
		.amdhsa_exception_fp_ieee_overflow 0
		.amdhsa_exception_fp_ieee_underflow 0
		.amdhsa_exception_fp_ieee_inexact 0
		.amdhsa_exception_int_div_zero 0
	.end_amdhsa_kernel
	.section	.text._ZN7rocprim17ROCPRIM_400000_NS6detail17trampoline_kernelINS0_14default_configENS1_25partition_config_selectorILNS1_17partition_subalgoE0EjNS0_10empty_typeEbEEZZNS1_14partition_implILS5_0ELb0ES3_jN6thrust23THRUST_200600_302600_NS6detail15normal_iteratorINSA_10device_ptrIjEEEEPS6_SG_NS0_5tupleIJNSA_16discard_iteratorINSA_11use_defaultEEESF_EEENSH_IJSG_SG_EEES6_PlJ7is_evenIjEEEE10hipError_tPvRmT3_T4_T5_T6_T7_T9_mT8_P12ihipStream_tbDpT10_ENKUlT_T0_E_clISt17integral_constantIbLb1EES18_IbLb0EEEEDaS14_S15_EUlS14_E_NS1_11comp_targetILNS1_3genE9ELNS1_11target_archE1100ELNS1_3gpuE3ELNS1_3repE0EEENS1_30default_config_static_selectorELNS0_4arch9wavefront6targetE1EEEvT1_,"axG",@progbits,_ZN7rocprim17ROCPRIM_400000_NS6detail17trampoline_kernelINS0_14default_configENS1_25partition_config_selectorILNS1_17partition_subalgoE0EjNS0_10empty_typeEbEEZZNS1_14partition_implILS5_0ELb0ES3_jN6thrust23THRUST_200600_302600_NS6detail15normal_iteratorINSA_10device_ptrIjEEEEPS6_SG_NS0_5tupleIJNSA_16discard_iteratorINSA_11use_defaultEEESF_EEENSH_IJSG_SG_EEES6_PlJ7is_evenIjEEEE10hipError_tPvRmT3_T4_T5_T6_T7_T9_mT8_P12ihipStream_tbDpT10_ENKUlT_T0_E_clISt17integral_constantIbLb1EES18_IbLb0EEEEDaS14_S15_EUlS14_E_NS1_11comp_targetILNS1_3genE9ELNS1_11target_archE1100ELNS1_3gpuE3ELNS1_3repE0EEENS1_30default_config_static_selectorELNS0_4arch9wavefront6targetE1EEEvT1_,comdat
.Lfunc_end2481:
	.size	_ZN7rocprim17ROCPRIM_400000_NS6detail17trampoline_kernelINS0_14default_configENS1_25partition_config_selectorILNS1_17partition_subalgoE0EjNS0_10empty_typeEbEEZZNS1_14partition_implILS5_0ELb0ES3_jN6thrust23THRUST_200600_302600_NS6detail15normal_iteratorINSA_10device_ptrIjEEEEPS6_SG_NS0_5tupleIJNSA_16discard_iteratorINSA_11use_defaultEEESF_EEENSH_IJSG_SG_EEES6_PlJ7is_evenIjEEEE10hipError_tPvRmT3_T4_T5_T6_T7_T9_mT8_P12ihipStream_tbDpT10_ENKUlT_T0_E_clISt17integral_constantIbLb1EES18_IbLb0EEEEDaS14_S15_EUlS14_E_NS1_11comp_targetILNS1_3genE9ELNS1_11target_archE1100ELNS1_3gpuE3ELNS1_3repE0EEENS1_30default_config_static_selectorELNS0_4arch9wavefront6targetE1EEEvT1_, .Lfunc_end2481-_ZN7rocprim17ROCPRIM_400000_NS6detail17trampoline_kernelINS0_14default_configENS1_25partition_config_selectorILNS1_17partition_subalgoE0EjNS0_10empty_typeEbEEZZNS1_14partition_implILS5_0ELb0ES3_jN6thrust23THRUST_200600_302600_NS6detail15normal_iteratorINSA_10device_ptrIjEEEEPS6_SG_NS0_5tupleIJNSA_16discard_iteratorINSA_11use_defaultEEESF_EEENSH_IJSG_SG_EEES6_PlJ7is_evenIjEEEE10hipError_tPvRmT3_T4_T5_T6_T7_T9_mT8_P12ihipStream_tbDpT10_ENKUlT_T0_E_clISt17integral_constantIbLb1EES18_IbLb0EEEEDaS14_S15_EUlS14_E_NS1_11comp_targetILNS1_3genE9ELNS1_11target_archE1100ELNS1_3gpuE3ELNS1_3repE0EEENS1_30default_config_static_selectorELNS0_4arch9wavefront6targetE1EEEvT1_
                                        ; -- End function
	.section	.AMDGPU.csdata,"",@progbits
; Kernel info:
; codeLenInByte = 0
; NumSgprs: 4
; NumVgprs: 0
; NumAgprs: 0
; TotalNumVgprs: 0
; ScratchSize: 0
; MemoryBound: 0
; FloatMode: 240
; IeeeMode: 1
; LDSByteSize: 0 bytes/workgroup (compile time only)
; SGPRBlocks: 0
; VGPRBlocks: 0
; NumSGPRsForWavesPerEU: 4
; NumVGPRsForWavesPerEU: 1
; AccumOffset: 4
; Occupancy: 8
; WaveLimiterHint : 0
; COMPUTE_PGM_RSRC2:SCRATCH_EN: 0
; COMPUTE_PGM_RSRC2:USER_SGPR: 6
; COMPUTE_PGM_RSRC2:TRAP_HANDLER: 0
; COMPUTE_PGM_RSRC2:TGID_X_EN: 1
; COMPUTE_PGM_RSRC2:TGID_Y_EN: 0
; COMPUTE_PGM_RSRC2:TGID_Z_EN: 0
; COMPUTE_PGM_RSRC2:TIDIG_COMP_CNT: 0
; COMPUTE_PGM_RSRC3_GFX90A:ACCUM_OFFSET: 0
; COMPUTE_PGM_RSRC3_GFX90A:TG_SPLIT: 0
	.section	.text._ZN7rocprim17ROCPRIM_400000_NS6detail17trampoline_kernelINS0_14default_configENS1_25partition_config_selectorILNS1_17partition_subalgoE0EjNS0_10empty_typeEbEEZZNS1_14partition_implILS5_0ELb0ES3_jN6thrust23THRUST_200600_302600_NS6detail15normal_iteratorINSA_10device_ptrIjEEEEPS6_SG_NS0_5tupleIJNSA_16discard_iteratorINSA_11use_defaultEEESF_EEENSH_IJSG_SG_EEES6_PlJ7is_evenIjEEEE10hipError_tPvRmT3_T4_T5_T6_T7_T9_mT8_P12ihipStream_tbDpT10_ENKUlT_T0_E_clISt17integral_constantIbLb1EES18_IbLb0EEEEDaS14_S15_EUlS14_E_NS1_11comp_targetILNS1_3genE8ELNS1_11target_archE1030ELNS1_3gpuE2ELNS1_3repE0EEENS1_30default_config_static_selectorELNS0_4arch9wavefront6targetE1EEEvT1_,"axG",@progbits,_ZN7rocprim17ROCPRIM_400000_NS6detail17trampoline_kernelINS0_14default_configENS1_25partition_config_selectorILNS1_17partition_subalgoE0EjNS0_10empty_typeEbEEZZNS1_14partition_implILS5_0ELb0ES3_jN6thrust23THRUST_200600_302600_NS6detail15normal_iteratorINSA_10device_ptrIjEEEEPS6_SG_NS0_5tupleIJNSA_16discard_iteratorINSA_11use_defaultEEESF_EEENSH_IJSG_SG_EEES6_PlJ7is_evenIjEEEE10hipError_tPvRmT3_T4_T5_T6_T7_T9_mT8_P12ihipStream_tbDpT10_ENKUlT_T0_E_clISt17integral_constantIbLb1EES18_IbLb0EEEEDaS14_S15_EUlS14_E_NS1_11comp_targetILNS1_3genE8ELNS1_11target_archE1030ELNS1_3gpuE2ELNS1_3repE0EEENS1_30default_config_static_selectorELNS0_4arch9wavefront6targetE1EEEvT1_,comdat
	.protected	_ZN7rocprim17ROCPRIM_400000_NS6detail17trampoline_kernelINS0_14default_configENS1_25partition_config_selectorILNS1_17partition_subalgoE0EjNS0_10empty_typeEbEEZZNS1_14partition_implILS5_0ELb0ES3_jN6thrust23THRUST_200600_302600_NS6detail15normal_iteratorINSA_10device_ptrIjEEEEPS6_SG_NS0_5tupleIJNSA_16discard_iteratorINSA_11use_defaultEEESF_EEENSH_IJSG_SG_EEES6_PlJ7is_evenIjEEEE10hipError_tPvRmT3_T4_T5_T6_T7_T9_mT8_P12ihipStream_tbDpT10_ENKUlT_T0_E_clISt17integral_constantIbLb1EES18_IbLb0EEEEDaS14_S15_EUlS14_E_NS1_11comp_targetILNS1_3genE8ELNS1_11target_archE1030ELNS1_3gpuE2ELNS1_3repE0EEENS1_30default_config_static_selectorELNS0_4arch9wavefront6targetE1EEEvT1_ ; -- Begin function _ZN7rocprim17ROCPRIM_400000_NS6detail17trampoline_kernelINS0_14default_configENS1_25partition_config_selectorILNS1_17partition_subalgoE0EjNS0_10empty_typeEbEEZZNS1_14partition_implILS5_0ELb0ES3_jN6thrust23THRUST_200600_302600_NS6detail15normal_iteratorINSA_10device_ptrIjEEEEPS6_SG_NS0_5tupleIJNSA_16discard_iteratorINSA_11use_defaultEEESF_EEENSH_IJSG_SG_EEES6_PlJ7is_evenIjEEEE10hipError_tPvRmT3_T4_T5_T6_T7_T9_mT8_P12ihipStream_tbDpT10_ENKUlT_T0_E_clISt17integral_constantIbLb1EES18_IbLb0EEEEDaS14_S15_EUlS14_E_NS1_11comp_targetILNS1_3genE8ELNS1_11target_archE1030ELNS1_3gpuE2ELNS1_3repE0EEENS1_30default_config_static_selectorELNS0_4arch9wavefront6targetE1EEEvT1_
	.globl	_ZN7rocprim17ROCPRIM_400000_NS6detail17trampoline_kernelINS0_14default_configENS1_25partition_config_selectorILNS1_17partition_subalgoE0EjNS0_10empty_typeEbEEZZNS1_14partition_implILS5_0ELb0ES3_jN6thrust23THRUST_200600_302600_NS6detail15normal_iteratorINSA_10device_ptrIjEEEEPS6_SG_NS0_5tupleIJNSA_16discard_iteratorINSA_11use_defaultEEESF_EEENSH_IJSG_SG_EEES6_PlJ7is_evenIjEEEE10hipError_tPvRmT3_T4_T5_T6_T7_T9_mT8_P12ihipStream_tbDpT10_ENKUlT_T0_E_clISt17integral_constantIbLb1EES18_IbLb0EEEEDaS14_S15_EUlS14_E_NS1_11comp_targetILNS1_3genE8ELNS1_11target_archE1030ELNS1_3gpuE2ELNS1_3repE0EEENS1_30default_config_static_selectorELNS0_4arch9wavefront6targetE1EEEvT1_
	.p2align	8
	.type	_ZN7rocprim17ROCPRIM_400000_NS6detail17trampoline_kernelINS0_14default_configENS1_25partition_config_selectorILNS1_17partition_subalgoE0EjNS0_10empty_typeEbEEZZNS1_14partition_implILS5_0ELb0ES3_jN6thrust23THRUST_200600_302600_NS6detail15normal_iteratorINSA_10device_ptrIjEEEEPS6_SG_NS0_5tupleIJNSA_16discard_iteratorINSA_11use_defaultEEESF_EEENSH_IJSG_SG_EEES6_PlJ7is_evenIjEEEE10hipError_tPvRmT3_T4_T5_T6_T7_T9_mT8_P12ihipStream_tbDpT10_ENKUlT_T0_E_clISt17integral_constantIbLb1EES18_IbLb0EEEEDaS14_S15_EUlS14_E_NS1_11comp_targetILNS1_3genE8ELNS1_11target_archE1030ELNS1_3gpuE2ELNS1_3repE0EEENS1_30default_config_static_selectorELNS0_4arch9wavefront6targetE1EEEvT1_,@function
_ZN7rocprim17ROCPRIM_400000_NS6detail17trampoline_kernelINS0_14default_configENS1_25partition_config_selectorILNS1_17partition_subalgoE0EjNS0_10empty_typeEbEEZZNS1_14partition_implILS5_0ELb0ES3_jN6thrust23THRUST_200600_302600_NS6detail15normal_iteratorINSA_10device_ptrIjEEEEPS6_SG_NS0_5tupleIJNSA_16discard_iteratorINSA_11use_defaultEEESF_EEENSH_IJSG_SG_EEES6_PlJ7is_evenIjEEEE10hipError_tPvRmT3_T4_T5_T6_T7_T9_mT8_P12ihipStream_tbDpT10_ENKUlT_T0_E_clISt17integral_constantIbLb1EES18_IbLb0EEEEDaS14_S15_EUlS14_E_NS1_11comp_targetILNS1_3genE8ELNS1_11target_archE1030ELNS1_3gpuE2ELNS1_3repE0EEENS1_30default_config_static_selectorELNS0_4arch9wavefront6targetE1EEEvT1_: ; @_ZN7rocprim17ROCPRIM_400000_NS6detail17trampoline_kernelINS0_14default_configENS1_25partition_config_selectorILNS1_17partition_subalgoE0EjNS0_10empty_typeEbEEZZNS1_14partition_implILS5_0ELb0ES3_jN6thrust23THRUST_200600_302600_NS6detail15normal_iteratorINSA_10device_ptrIjEEEEPS6_SG_NS0_5tupleIJNSA_16discard_iteratorINSA_11use_defaultEEESF_EEENSH_IJSG_SG_EEES6_PlJ7is_evenIjEEEE10hipError_tPvRmT3_T4_T5_T6_T7_T9_mT8_P12ihipStream_tbDpT10_ENKUlT_T0_E_clISt17integral_constantIbLb1EES18_IbLb0EEEEDaS14_S15_EUlS14_E_NS1_11comp_targetILNS1_3genE8ELNS1_11target_archE1030ELNS1_3gpuE2ELNS1_3repE0EEENS1_30default_config_static_selectorELNS0_4arch9wavefront6targetE1EEEvT1_
; %bb.0:
	.section	.rodata,"a",@progbits
	.p2align	6, 0x0
	.amdhsa_kernel _ZN7rocprim17ROCPRIM_400000_NS6detail17trampoline_kernelINS0_14default_configENS1_25partition_config_selectorILNS1_17partition_subalgoE0EjNS0_10empty_typeEbEEZZNS1_14partition_implILS5_0ELb0ES3_jN6thrust23THRUST_200600_302600_NS6detail15normal_iteratorINSA_10device_ptrIjEEEEPS6_SG_NS0_5tupleIJNSA_16discard_iteratorINSA_11use_defaultEEESF_EEENSH_IJSG_SG_EEES6_PlJ7is_evenIjEEEE10hipError_tPvRmT3_T4_T5_T6_T7_T9_mT8_P12ihipStream_tbDpT10_ENKUlT_T0_E_clISt17integral_constantIbLb1EES18_IbLb0EEEEDaS14_S15_EUlS14_E_NS1_11comp_targetILNS1_3genE8ELNS1_11target_archE1030ELNS1_3gpuE2ELNS1_3repE0EEENS1_30default_config_static_selectorELNS0_4arch9wavefront6targetE1EEEvT1_
		.amdhsa_group_segment_fixed_size 0
		.amdhsa_private_segment_fixed_size 0
		.amdhsa_kernarg_size 128
		.amdhsa_user_sgpr_count 6
		.amdhsa_user_sgpr_private_segment_buffer 1
		.amdhsa_user_sgpr_dispatch_ptr 0
		.amdhsa_user_sgpr_queue_ptr 0
		.amdhsa_user_sgpr_kernarg_segment_ptr 1
		.amdhsa_user_sgpr_dispatch_id 0
		.amdhsa_user_sgpr_flat_scratch_init 0
		.amdhsa_user_sgpr_kernarg_preload_length 0
		.amdhsa_user_sgpr_kernarg_preload_offset 0
		.amdhsa_user_sgpr_private_segment_size 0
		.amdhsa_uses_dynamic_stack 0
		.amdhsa_system_sgpr_private_segment_wavefront_offset 0
		.amdhsa_system_sgpr_workgroup_id_x 1
		.amdhsa_system_sgpr_workgroup_id_y 0
		.amdhsa_system_sgpr_workgroup_id_z 0
		.amdhsa_system_sgpr_workgroup_info 0
		.amdhsa_system_vgpr_workitem_id 0
		.amdhsa_next_free_vgpr 1
		.amdhsa_next_free_sgpr 0
		.amdhsa_accum_offset 4
		.amdhsa_reserve_vcc 0
		.amdhsa_reserve_flat_scratch 0
		.amdhsa_float_round_mode_32 0
		.amdhsa_float_round_mode_16_64 0
		.amdhsa_float_denorm_mode_32 3
		.amdhsa_float_denorm_mode_16_64 3
		.amdhsa_dx10_clamp 1
		.amdhsa_ieee_mode 1
		.amdhsa_fp16_overflow 0
		.amdhsa_tg_split 0
		.amdhsa_exception_fp_ieee_invalid_op 0
		.amdhsa_exception_fp_denorm_src 0
		.amdhsa_exception_fp_ieee_div_zero 0
		.amdhsa_exception_fp_ieee_overflow 0
		.amdhsa_exception_fp_ieee_underflow 0
		.amdhsa_exception_fp_ieee_inexact 0
		.amdhsa_exception_int_div_zero 0
	.end_amdhsa_kernel
	.section	.text._ZN7rocprim17ROCPRIM_400000_NS6detail17trampoline_kernelINS0_14default_configENS1_25partition_config_selectorILNS1_17partition_subalgoE0EjNS0_10empty_typeEbEEZZNS1_14partition_implILS5_0ELb0ES3_jN6thrust23THRUST_200600_302600_NS6detail15normal_iteratorINSA_10device_ptrIjEEEEPS6_SG_NS0_5tupleIJNSA_16discard_iteratorINSA_11use_defaultEEESF_EEENSH_IJSG_SG_EEES6_PlJ7is_evenIjEEEE10hipError_tPvRmT3_T4_T5_T6_T7_T9_mT8_P12ihipStream_tbDpT10_ENKUlT_T0_E_clISt17integral_constantIbLb1EES18_IbLb0EEEEDaS14_S15_EUlS14_E_NS1_11comp_targetILNS1_3genE8ELNS1_11target_archE1030ELNS1_3gpuE2ELNS1_3repE0EEENS1_30default_config_static_selectorELNS0_4arch9wavefront6targetE1EEEvT1_,"axG",@progbits,_ZN7rocprim17ROCPRIM_400000_NS6detail17trampoline_kernelINS0_14default_configENS1_25partition_config_selectorILNS1_17partition_subalgoE0EjNS0_10empty_typeEbEEZZNS1_14partition_implILS5_0ELb0ES3_jN6thrust23THRUST_200600_302600_NS6detail15normal_iteratorINSA_10device_ptrIjEEEEPS6_SG_NS0_5tupleIJNSA_16discard_iteratorINSA_11use_defaultEEESF_EEENSH_IJSG_SG_EEES6_PlJ7is_evenIjEEEE10hipError_tPvRmT3_T4_T5_T6_T7_T9_mT8_P12ihipStream_tbDpT10_ENKUlT_T0_E_clISt17integral_constantIbLb1EES18_IbLb0EEEEDaS14_S15_EUlS14_E_NS1_11comp_targetILNS1_3genE8ELNS1_11target_archE1030ELNS1_3gpuE2ELNS1_3repE0EEENS1_30default_config_static_selectorELNS0_4arch9wavefront6targetE1EEEvT1_,comdat
.Lfunc_end2482:
	.size	_ZN7rocprim17ROCPRIM_400000_NS6detail17trampoline_kernelINS0_14default_configENS1_25partition_config_selectorILNS1_17partition_subalgoE0EjNS0_10empty_typeEbEEZZNS1_14partition_implILS5_0ELb0ES3_jN6thrust23THRUST_200600_302600_NS6detail15normal_iteratorINSA_10device_ptrIjEEEEPS6_SG_NS0_5tupleIJNSA_16discard_iteratorINSA_11use_defaultEEESF_EEENSH_IJSG_SG_EEES6_PlJ7is_evenIjEEEE10hipError_tPvRmT3_T4_T5_T6_T7_T9_mT8_P12ihipStream_tbDpT10_ENKUlT_T0_E_clISt17integral_constantIbLb1EES18_IbLb0EEEEDaS14_S15_EUlS14_E_NS1_11comp_targetILNS1_3genE8ELNS1_11target_archE1030ELNS1_3gpuE2ELNS1_3repE0EEENS1_30default_config_static_selectorELNS0_4arch9wavefront6targetE1EEEvT1_, .Lfunc_end2482-_ZN7rocprim17ROCPRIM_400000_NS6detail17trampoline_kernelINS0_14default_configENS1_25partition_config_selectorILNS1_17partition_subalgoE0EjNS0_10empty_typeEbEEZZNS1_14partition_implILS5_0ELb0ES3_jN6thrust23THRUST_200600_302600_NS6detail15normal_iteratorINSA_10device_ptrIjEEEEPS6_SG_NS0_5tupleIJNSA_16discard_iteratorINSA_11use_defaultEEESF_EEENSH_IJSG_SG_EEES6_PlJ7is_evenIjEEEE10hipError_tPvRmT3_T4_T5_T6_T7_T9_mT8_P12ihipStream_tbDpT10_ENKUlT_T0_E_clISt17integral_constantIbLb1EES18_IbLb0EEEEDaS14_S15_EUlS14_E_NS1_11comp_targetILNS1_3genE8ELNS1_11target_archE1030ELNS1_3gpuE2ELNS1_3repE0EEENS1_30default_config_static_selectorELNS0_4arch9wavefront6targetE1EEEvT1_
                                        ; -- End function
	.section	.AMDGPU.csdata,"",@progbits
; Kernel info:
; codeLenInByte = 0
; NumSgprs: 4
; NumVgprs: 0
; NumAgprs: 0
; TotalNumVgprs: 0
; ScratchSize: 0
; MemoryBound: 0
; FloatMode: 240
; IeeeMode: 1
; LDSByteSize: 0 bytes/workgroup (compile time only)
; SGPRBlocks: 0
; VGPRBlocks: 0
; NumSGPRsForWavesPerEU: 4
; NumVGPRsForWavesPerEU: 1
; AccumOffset: 4
; Occupancy: 8
; WaveLimiterHint : 0
; COMPUTE_PGM_RSRC2:SCRATCH_EN: 0
; COMPUTE_PGM_RSRC2:USER_SGPR: 6
; COMPUTE_PGM_RSRC2:TRAP_HANDLER: 0
; COMPUTE_PGM_RSRC2:TGID_X_EN: 1
; COMPUTE_PGM_RSRC2:TGID_Y_EN: 0
; COMPUTE_PGM_RSRC2:TGID_Z_EN: 0
; COMPUTE_PGM_RSRC2:TIDIG_COMP_CNT: 0
; COMPUTE_PGM_RSRC3_GFX90A:ACCUM_OFFSET: 0
; COMPUTE_PGM_RSRC3_GFX90A:TG_SPLIT: 0
	.section	.text._ZN7rocprim17ROCPRIM_400000_NS6detail17trampoline_kernelINS0_14default_configENS1_25partition_config_selectorILNS1_17partition_subalgoE0EjNS0_10empty_typeEbEEZZNS1_14partition_implILS5_0ELb0ES3_jN6thrust23THRUST_200600_302600_NS6detail15normal_iteratorINSA_10device_ptrIjEEEEPS6_SG_NS0_5tupleIJNSA_16discard_iteratorINSA_11use_defaultEEESF_EEENSH_IJSG_SG_EEES6_PlJ7is_evenIjEEEE10hipError_tPvRmT3_T4_T5_T6_T7_T9_mT8_P12ihipStream_tbDpT10_ENKUlT_T0_E_clISt17integral_constantIbLb0EES18_IbLb1EEEEDaS14_S15_EUlS14_E_NS1_11comp_targetILNS1_3genE0ELNS1_11target_archE4294967295ELNS1_3gpuE0ELNS1_3repE0EEENS1_30default_config_static_selectorELNS0_4arch9wavefront6targetE1EEEvT1_,"axG",@progbits,_ZN7rocprim17ROCPRIM_400000_NS6detail17trampoline_kernelINS0_14default_configENS1_25partition_config_selectorILNS1_17partition_subalgoE0EjNS0_10empty_typeEbEEZZNS1_14partition_implILS5_0ELb0ES3_jN6thrust23THRUST_200600_302600_NS6detail15normal_iteratorINSA_10device_ptrIjEEEEPS6_SG_NS0_5tupleIJNSA_16discard_iteratorINSA_11use_defaultEEESF_EEENSH_IJSG_SG_EEES6_PlJ7is_evenIjEEEE10hipError_tPvRmT3_T4_T5_T6_T7_T9_mT8_P12ihipStream_tbDpT10_ENKUlT_T0_E_clISt17integral_constantIbLb0EES18_IbLb1EEEEDaS14_S15_EUlS14_E_NS1_11comp_targetILNS1_3genE0ELNS1_11target_archE4294967295ELNS1_3gpuE0ELNS1_3repE0EEENS1_30default_config_static_selectorELNS0_4arch9wavefront6targetE1EEEvT1_,comdat
	.protected	_ZN7rocprim17ROCPRIM_400000_NS6detail17trampoline_kernelINS0_14default_configENS1_25partition_config_selectorILNS1_17partition_subalgoE0EjNS0_10empty_typeEbEEZZNS1_14partition_implILS5_0ELb0ES3_jN6thrust23THRUST_200600_302600_NS6detail15normal_iteratorINSA_10device_ptrIjEEEEPS6_SG_NS0_5tupleIJNSA_16discard_iteratorINSA_11use_defaultEEESF_EEENSH_IJSG_SG_EEES6_PlJ7is_evenIjEEEE10hipError_tPvRmT3_T4_T5_T6_T7_T9_mT8_P12ihipStream_tbDpT10_ENKUlT_T0_E_clISt17integral_constantIbLb0EES18_IbLb1EEEEDaS14_S15_EUlS14_E_NS1_11comp_targetILNS1_3genE0ELNS1_11target_archE4294967295ELNS1_3gpuE0ELNS1_3repE0EEENS1_30default_config_static_selectorELNS0_4arch9wavefront6targetE1EEEvT1_ ; -- Begin function _ZN7rocprim17ROCPRIM_400000_NS6detail17trampoline_kernelINS0_14default_configENS1_25partition_config_selectorILNS1_17partition_subalgoE0EjNS0_10empty_typeEbEEZZNS1_14partition_implILS5_0ELb0ES3_jN6thrust23THRUST_200600_302600_NS6detail15normal_iteratorINSA_10device_ptrIjEEEEPS6_SG_NS0_5tupleIJNSA_16discard_iteratorINSA_11use_defaultEEESF_EEENSH_IJSG_SG_EEES6_PlJ7is_evenIjEEEE10hipError_tPvRmT3_T4_T5_T6_T7_T9_mT8_P12ihipStream_tbDpT10_ENKUlT_T0_E_clISt17integral_constantIbLb0EES18_IbLb1EEEEDaS14_S15_EUlS14_E_NS1_11comp_targetILNS1_3genE0ELNS1_11target_archE4294967295ELNS1_3gpuE0ELNS1_3repE0EEENS1_30default_config_static_selectorELNS0_4arch9wavefront6targetE1EEEvT1_
	.globl	_ZN7rocprim17ROCPRIM_400000_NS6detail17trampoline_kernelINS0_14default_configENS1_25partition_config_selectorILNS1_17partition_subalgoE0EjNS0_10empty_typeEbEEZZNS1_14partition_implILS5_0ELb0ES3_jN6thrust23THRUST_200600_302600_NS6detail15normal_iteratorINSA_10device_ptrIjEEEEPS6_SG_NS0_5tupleIJNSA_16discard_iteratorINSA_11use_defaultEEESF_EEENSH_IJSG_SG_EEES6_PlJ7is_evenIjEEEE10hipError_tPvRmT3_T4_T5_T6_T7_T9_mT8_P12ihipStream_tbDpT10_ENKUlT_T0_E_clISt17integral_constantIbLb0EES18_IbLb1EEEEDaS14_S15_EUlS14_E_NS1_11comp_targetILNS1_3genE0ELNS1_11target_archE4294967295ELNS1_3gpuE0ELNS1_3repE0EEENS1_30default_config_static_selectorELNS0_4arch9wavefront6targetE1EEEvT1_
	.p2align	8
	.type	_ZN7rocprim17ROCPRIM_400000_NS6detail17trampoline_kernelINS0_14default_configENS1_25partition_config_selectorILNS1_17partition_subalgoE0EjNS0_10empty_typeEbEEZZNS1_14partition_implILS5_0ELb0ES3_jN6thrust23THRUST_200600_302600_NS6detail15normal_iteratorINSA_10device_ptrIjEEEEPS6_SG_NS0_5tupleIJNSA_16discard_iteratorINSA_11use_defaultEEESF_EEENSH_IJSG_SG_EEES6_PlJ7is_evenIjEEEE10hipError_tPvRmT3_T4_T5_T6_T7_T9_mT8_P12ihipStream_tbDpT10_ENKUlT_T0_E_clISt17integral_constantIbLb0EES18_IbLb1EEEEDaS14_S15_EUlS14_E_NS1_11comp_targetILNS1_3genE0ELNS1_11target_archE4294967295ELNS1_3gpuE0ELNS1_3repE0EEENS1_30default_config_static_selectorELNS0_4arch9wavefront6targetE1EEEvT1_,@function
_ZN7rocprim17ROCPRIM_400000_NS6detail17trampoline_kernelINS0_14default_configENS1_25partition_config_selectorILNS1_17partition_subalgoE0EjNS0_10empty_typeEbEEZZNS1_14partition_implILS5_0ELb0ES3_jN6thrust23THRUST_200600_302600_NS6detail15normal_iteratorINSA_10device_ptrIjEEEEPS6_SG_NS0_5tupleIJNSA_16discard_iteratorINSA_11use_defaultEEESF_EEENSH_IJSG_SG_EEES6_PlJ7is_evenIjEEEE10hipError_tPvRmT3_T4_T5_T6_T7_T9_mT8_P12ihipStream_tbDpT10_ENKUlT_T0_E_clISt17integral_constantIbLb0EES18_IbLb1EEEEDaS14_S15_EUlS14_E_NS1_11comp_targetILNS1_3genE0ELNS1_11target_archE4294967295ELNS1_3gpuE0ELNS1_3repE0EEENS1_30default_config_static_selectorELNS0_4arch9wavefront6targetE1EEEvT1_: ; @_ZN7rocprim17ROCPRIM_400000_NS6detail17trampoline_kernelINS0_14default_configENS1_25partition_config_selectorILNS1_17partition_subalgoE0EjNS0_10empty_typeEbEEZZNS1_14partition_implILS5_0ELb0ES3_jN6thrust23THRUST_200600_302600_NS6detail15normal_iteratorINSA_10device_ptrIjEEEEPS6_SG_NS0_5tupleIJNSA_16discard_iteratorINSA_11use_defaultEEESF_EEENSH_IJSG_SG_EEES6_PlJ7is_evenIjEEEE10hipError_tPvRmT3_T4_T5_T6_T7_T9_mT8_P12ihipStream_tbDpT10_ENKUlT_T0_E_clISt17integral_constantIbLb0EES18_IbLb1EEEEDaS14_S15_EUlS14_E_NS1_11comp_targetILNS1_3genE0ELNS1_11target_archE4294967295ELNS1_3gpuE0ELNS1_3repE0EEENS1_30default_config_static_selectorELNS0_4arch9wavefront6targetE1EEEvT1_
; %bb.0:
	.section	.rodata,"a",@progbits
	.p2align	6, 0x0
	.amdhsa_kernel _ZN7rocprim17ROCPRIM_400000_NS6detail17trampoline_kernelINS0_14default_configENS1_25partition_config_selectorILNS1_17partition_subalgoE0EjNS0_10empty_typeEbEEZZNS1_14partition_implILS5_0ELb0ES3_jN6thrust23THRUST_200600_302600_NS6detail15normal_iteratorINSA_10device_ptrIjEEEEPS6_SG_NS0_5tupleIJNSA_16discard_iteratorINSA_11use_defaultEEESF_EEENSH_IJSG_SG_EEES6_PlJ7is_evenIjEEEE10hipError_tPvRmT3_T4_T5_T6_T7_T9_mT8_P12ihipStream_tbDpT10_ENKUlT_T0_E_clISt17integral_constantIbLb0EES18_IbLb1EEEEDaS14_S15_EUlS14_E_NS1_11comp_targetILNS1_3genE0ELNS1_11target_archE4294967295ELNS1_3gpuE0ELNS1_3repE0EEENS1_30default_config_static_selectorELNS0_4arch9wavefront6targetE1EEEvT1_
		.amdhsa_group_segment_fixed_size 0
		.amdhsa_private_segment_fixed_size 0
		.amdhsa_kernarg_size 144
		.amdhsa_user_sgpr_count 6
		.amdhsa_user_sgpr_private_segment_buffer 1
		.amdhsa_user_sgpr_dispatch_ptr 0
		.amdhsa_user_sgpr_queue_ptr 0
		.amdhsa_user_sgpr_kernarg_segment_ptr 1
		.amdhsa_user_sgpr_dispatch_id 0
		.amdhsa_user_sgpr_flat_scratch_init 0
		.amdhsa_user_sgpr_kernarg_preload_length 0
		.amdhsa_user_sgpr_kernarg_preload_offset 0
		.amdhsa_user_sgpr_private_segment_size 0
		.amdhsa_uses_dynamic_stack 0
		.amdhsa_system_sgpr_private_segment_wavefront_offset 0
		.amdhsa_system_sgpr_workgroup_id_x 1
		.amdhsa_system_sgpr_workgroup_id_y 0
		.amdhsa_system_sgpr_workgroup_id_z 0
		.amdhsa_system_sgpr_workgroup_info 0
		.amdhsa_system_vgpr_workitem_id 0
		.amdhsa_next_free_vgpr 1
		.amdhsa_next_free_sgpr 0
		.amdhsa_accum_offset 4
		.amdhsa_reserve_vcc 0
		.amdhsa_reserve_flat_scratch 0
		.amdhsa_float_round_mode_32 0
		.amdhsa_float_round_mode_16_64 0
		.amdhsa_float_denorm_mode_32 3
		.amdhsa_float_denorm_mode_16_64 3
		.amdhsa_dx10_clamp 1
		.amdhsa_ieee_mode 1
		.amdhsa_fp16_overflow 0
		.amdhsa_tg_split 0
		.amdhsa_exception_fp_ieee_invalid_op 0
		.amdhsa_exception_fp_denorm_src 0
		.amdhsa_exception_fp_ieee_div_zero 0
		.amdhsa_exception_fp_ieee_overflow 0
		.amdhsa_exception_fp_ieee_underflow 0
		.amdhsa_exception_fp_ieee_inexact 0
		.amdhsa_exception_int_div_zero 0
	.end_amdhsa_kernel
	.section	.text._ZN7rocprim17ROCPRIM_400000_NS6detail17trampoline_kernelINS0_14default_configENS1_25partition_config_selectorILNS1_17partition_subalgoE0EjNS0_10empty_typeEbEEZZNS1_14partition_implILS5_0ELb0ES3_jN6thrust23THRUST_200600_302600_NS6detail15normal_iteratorINSA_10device_ptrIjEEEEPS6_SG_NS0_5tupleIJNSA_16discard_iteratorINSA_11use_defaultEEESF_EEENSH_IJSG_SG_EEES6_PlJ7is_evenIjEEEE10hipError_tPvRmT3_T4_T5_T6_T7_T9_mT8_P12ihipStream_tbDpT10_ENKUlT_T0_E_clISt17integral_constantIbLb0EES18_IbLb1EEEEDaS14_S15_EUlS14_E_NS1_11comp_targetILNS1_3genE0ELNS1_11target_archE4294967295ELNS1_3gpuE0ELNS1_3repE0EEENS1_30default_config_static_selectorELNS0_4arch9wavefront6targetE1EEEvT1_,"axG",@progbits,_ZN7rocprim17ROCPRIM_400000_NS6detail17trampoline_kernelINS0_14default_configENS1_25partition_config_selectorILNS1_17partition_subalgoE0EjNS0_10empty_typeEbEEZZNS1_14partition_implILS5_0ELb0ES3_jN6thrust23THRUST_200600_302600_NS6detail15normal_iteratorINSA_10device_ptrIjEEEEPS6_SG_NS0_5tupleIJNSA_16discard_iteratorINSA_11use_defaultEEESF_EEENSH_IJSG_SG_EEES6_PlJ7is_evenIjEEEE10hipError_tPvRmT3_T4_T5_T6_T7_T9_mT8_P12ihipStream_tbDpT10_ENKUlT_T0_E_clISt17integral_constantIbLb0EES18_IbLb1EEEEDaS14_S15_EUlS14_E_NS1_11comp_targetILNS1_3genE0ELNS1_11target_archE4294967295ELNS1_3gpuE0ELNS1_3repE0EEENS1_30default_config_static_selectorELNS0_4arch9wavefront6targetE1EEEvT1_,comdat
.Lfunc_end2483:
	.size	_ZN7rocprim17ROCPRIM_400000_NS6detail17trampoline_kernelINS0_14default_configENS1_25partition_config_selectorILNS1_17partition_subalgoE0EjNS0_10empty_typeEbEEZZNS1_14partition_implILS5_0ELb0ES3_jN6thrust23THRUST_200600_302600_NS6detail15normal_iteratorINSA_10device_ptrIjEEEEPS6_SG_NS0_5tupleIJNSA_16discard_iteratorINSA_11use_defaultEEESF_EEENSH_IJSG_SG_EEES6_PlJ7is_evenIjEEEE10hipError_tPvRmT3_T4_T5_T6_T7_T9_mT8_P12ihipStream_tbDpT10_ENKUlT_T0_E_clISt17integral_constantIbLb0EES18_IbLb1EEEEDaS14_S15_EUlS14_E_NS1_11comp_targetILNS1_3genE0ELNS1_11target_archE4294967295ELNS1_3gpuE0ELNS1_3repE0EEENS1_30default_config_static_selectorELNS0_4arch9wavefront6targetE1EEEvT1_, .Lfunc_end2483-_ZN7rocprim17ROCPRIM_400000_NS6detail17trampoline_kernelINS0_14default_configENS1_25partition_config_selectorILNS1_17partition_subalgoE0EjNS0_10empty_typeEbEEZZNS1_14partition_implILS5_0ELb0ES3_jN6thrust23THRUST_200600_302600_NS6detail15normal_iteratorINSA_10device_ptrIjEEEEPS6_SG_NS0_5tupleIJNSA_16discard_iteratorINSA_11use_defaultEEESF_EEENSH_IJSG_SG_EEES6_PlJ7is_evenIjEEEE10hipError_tPvRmT3_T4_T5_T6_T7_T9_mT8_P12ihipStream_tbDpT10_ENKUlT_T0_E_clISt17integral_constantIbLb0EES18_IbLb1EEEEDaS14_S15_EUlS14_E_NS1_11comp_targetILNS1_3genE0ELNS1_11target_archE4294967295ELNS1_3gpuE0ELNS1_3repE0EEENS1_30default_config_static_selectorELNS0_4arch9wavefront6targetE1EEEvT1_
                                        ; -- End function
	.section	.AMDGPU.csdata,"",@progbits
; Kernel info:
; codeLenInByte = 0
; NumSgprs: 4
; NumVgprs: 0
; NumAgprs: 0
; TotalNumVgprs: 0
; ScratchSize: 0
; MemoryBound: 0
; FloatMode: 240
; IeeeMode: 1
; LDSByteSize: 0 bytes/workgroup (compile time only)
; SGPRBlocks: 0
; VGPRBlocks: 0
; NumSGPRsForWavesPerEU: 4
; NumVGPRsForWavesPerEU: 1
; AccumOffset: 4
; Occupancy: 8
; WaveLimiterHint : 0
; COMPUTE_PGM_RSRC2:SCRATCH_EN: 0
; COMPUTE_PGM_RSRC2:USER_SGPR: 6
; COMPUTE_PGM_RSRC2:TRAP_HANDLER: 0
; COMPUTE_PGM_RSRC2:TGID_X_EN: 1
; COMPUTE_PGM_RSRC2:TGID_Y_EN: 0
; COMPUTE_PGM_RSRC2:TGID_Z_EN: 0
; COMPUTE_PGM_RSRC2:TIDIG_COMP_CNT: 0
; COMPUTE_PGM_RSRC3_GFX90A:ACCUM_OFFSET: 0
; COMPUTE_PGM_RSRC3_GFX90A:TG_SPLIT: 0
	.section	.text._ZN7rocprim17ROCPRIM_400000_NS6detail17trampoline_kernelINS0_14default_configENS1_25partition_config_selectorILNS1_17partition_subalgoE0EjNS0_10empty_typeEbEEZZNS1_14partition_implILS5_0ELb0ES3_jN6thrust23THRUST_200600_302600_NS6detail15normal_iteratorINSA_10device_ptrIjEEEEPS6_SG_NS0_5tupleIJNSA_16discard_iteratorINSA_11use_defaultEEESF_EEENSH_IJSG_SG_EEES6_PlJ7is_evenIjEEEE10hipError_tPvRmT3_T4_T5_T6_T7_T9_mT8_P12ihipStream_tbDpT10_ENKUlT_T0_E_clISt17integral_constantIbLb0EES18_IbLb1EEEEDaS14_S15_EUlS14_E_NS1_11comp_targetILNS1_3genE5ELNS1_11target_archE942ELNS1_3gpuE9ELNS1_3repE0EEENS1_30default_config_static_selectorELNS0_4arch9wavefront6targetE1EEEvT1_,"axG",@progbits,_ZN7rocprim17ROCPRIM_400000_NS6detail17trampoline_kernelINS0_14default_configENS1_25partition_config_selectorILNS1_17partition_subalgoE0EjNS0_10empty_typeEbEEZZNS1_14partition_implILS5_0ELb0ES3_jN6thrust23THRUST_200600_302600_NS6detail15normal_iteratorINSA_10device_ptrIjEEEEPS6_SG_NS0_5tupleIJNSA_16discard_iteratorINSA_11use_defaultEEESF_EEENSH_IJSG_SG_EEES6_PlJ7is_evenIjEEEE10hipError_tPvRmT3_T4_T5_T6_T7_T9_mT8_P12ihipStream_tbDpT10_ENKUlT_T0_E_clISt17integral_constantIbLb0EES18_IbLb1EEEEDaS14_S15_EUlS14_E_NS1_11comp_targetILNS1_3genE5ELNS1_11target_archE942ELNS1_3gpuE9ELNS1_3repE0EEENS1_30default_config_static_selectorELNS0_4arch9wavefront6targetE1EEEvT1_,comdat
	.protected	_ZN7rocprim17ROCPRIM_400000_NS6detail17trampoline_kernelINS0_14default_configENS1_25partition_config_selectorILNS1_17partition_subalgoE0EjNS0_10empty_typeEbEEZZNS1_14partition_implILS5_0ELb0ES3_jN6thrust23THRUST_200600_302600_NS6detail15normal_iteratorINSA_10device_ptrIjEEEEPS6_SG_NS0_5tupleIJNSA_16discard_iteratorINSA_11use_defaultEEESF_EEENSH_IJSG_SG_EEES6_PlJ7is_evenIjEEEE10hipError_tPvRmT3_T4_T5_T6_T7_T9_mT8_P12ihipStream_tbDpT10_ENKUlT_T0_E_clISt17integral_constantIbLb0EES18_IbLb1EEEEDaS14_S15_EUlS14_E_NS1_11comp_targetILNS1_3genE5ELNS1_11target_archE942ELNS1_3gpuE9ELNS1_3repE0EEENS1_30default_config_static_selectorELNS0_4arch9wavefront6targetE1EEEvT1_ ; -- Begin function _ZN7rocprim17ROCPRIM_400000_NS6detail17trampoline_kernelINS0_14default_configENS1_25partition_config_selectorILNS1_17partition_subalgoE0EjNS0_10empty_typeEbEEZZNS1_14partition_implILS5_0ELb0ES3_jN6thrust23THRUST_200600_302600_NS6detail15normal_iteratorINSA_10device_ptrIjEEEEPS6_SG_NS0_5tupleIJNSA_16discard_iteratorINSA_11use_defaultEEESF_EEENSH_IJSG_SG_EEES6_PlJ7is_evenIjEEEE10hipError_tPvRmT3_T4_T5_T6_T7_T9_mT8_P12ihipStream_tbDpT10_ENKUlT_T0_E_clISt17integral_constantIbLb0EES18_IbLb1EEEEDaS14_S15_EUlS14_E_NS1_11comp_targetILNS1_3genE5ELNS1_11target_archE942ELNS1_3gpuE9ELNS1_3repE0EEENS1_30default_config_static_selectorELNS0_4arch9wavefront6targetE1EEEvT1_
	.globl	_ZN7rocprim17ROCPRIM_400000_NS6detail17trampoline_kernelINS0_14default_configENS1_25partition_config_selectorILNS1_17partition_subalgoE0EjNS0_10empty_typeEbEEZZNS1_14partition_implILS5_0ELb0ES3_jN6thrust23THRUST_200600_302600_NS6detail15normal_iteratorINSA_10device_ptrIjEEEEPS6_SG_NS0_5tupleIJNSA_16discard_iteratorINSA_11use_defaultEEESF_EEENSH_IJSG_SG_EEES6_PlJ7is_evenIjEEEE10hipError_tPvRmT3_T4_T5_T6_T7_T9_mT8_P12ihipStream_tbDpT10_ENKUlT_T0_E_clISt17integral_constantIbLb0EES18_IbLb1EEEEDaS14_S15_EUlS14_E_NS1_11comp_targetILNS1_3genE5ELNS1_11target_archE942ELNS1_3gpuE9ELNS1_3repE0EEENS1_30default_config_static_selectorELNS0_4arch9wavefront6targetE1EEEvT1_
	.p2align	8
	.type	_ZN7rocprim17ROCPRIM_400000_NS6detail17trampoline_kernelINS0_14default_configENS1_25partition_config_selectorILNS1_17partition_subalgoE0EjNS0_10empty_typeEbEEZZNS1_14partition_implILS5_0ELb0ES3_jN6thrust23THRUST_200600_302600_NS6detail15normal_iteratorINSA_10device_ptrIjEEEEPS6_SG_NS0_5tupleIJNSA_16discard_iteratorINSA_11use_defaultEEESF_EEENSH_IJSG_SG_EEES6_PlJ7is_evenIjEEEE10hipError_tPvRmT3_T4_T5_T6_T7_T9_mT8_P12ihipStream_tbDpT10_ENKUlT_T0_E_clISt17integral_constantIbLb0EES18_IbLb1EEEEDaS14_S15_EUlS14_E_NS1_11comp_targetILNS1_3genE5ELNS1_11target_archE942ELNS1_3gpuE9ELNS1_3repE0EEENS1_30default_config_static_selectorELNS0_4arch9wavefront6targetE1EEEvT1_,@function
_ZN7rocprim17ROCPRIM_400000_NS6detail17trampoline_kernelINS0_14default_configENS1_25partition_config_selectorILNS1_17partition_subalgoE0EjNS0_10empty_typeEbEEZZNS1_14partition_implILS5_0ELb0ES3_jN6thrust23THRUST_200600_302600_NS6detail15normal_iteratorINSA_10device_ptrIjEEEEPS6_SG_NS0_5tupleIJNSA_16discard_iteratorINSA_11use_defaultEEESF_EEENSH_IJSG_SG_EEES6_PlJ7is_evenIjEEEE10hipError_tPvRmT3_T4_T5_T6_T7_T9_mT8_P12ihipStream_tbDpT10_ENKUlT_T0_E_clISt17integral_constantIbLb0EES18_IbLb1EEEEDaS14_S15_EUlS14_E_NS1_11comp_targetILNS1_3genE5ELNS1_11target_archE942ELNS1_3gpuE9ELNS1_3repE0EEENS1_30default_config_static_selectorELNS0_4arch9wavefront6targetE1EEEvT1_: ; @_ZN7rocprim17ROCPRIM_400000_NS6detail17trampoline_kernelINS0_14default_configENS1_25partition_config_selectorILNS1_17partition_subalgoE0EjNS0_10empty_typeEbEEZZNS1_14partition_implILS5_0ELb0ES3_jN6thrust23THRUST_200600_302600_NS6detail15normal_iteratorINSA_10device_ptrIjEEEEPS6_SG_NS0_5tupleIJNSA_16discard_iteratorINSA_11use_defaultEEESF_EEENSH_IJSG_SG_EEES6_PlJ7is_evenIjEEEE10hipError_tPvRmT3_T4_T5_T6_T7_T9_mT8_P12ihipStream_tbDpT10_ENKUlT_T0_E_clISt17integral_constantIbLb0EES18_IbLb1EEEEDaS14_S15_EUlS14_E_NS1_11comp_targetILNS1_3genE5ELNS1_11target_archE942ELNS1_3gpuE9ELNS1_3repE0EEENS1_30default_config_static_selectorELNS0_4arch9wavefront6targetE1EEEvT1_
; %bb.0:
	.section	.rodata,"a",@progbits
	.p2align	6, 0x0
	.amdhsa_kernel _ZN7rocprim17ROCPRIM_400000_NS6detail17trampoline_kernelINS0_14default_configENS1_25partition_config_selectorILNS1_17partition_subalgoE0EjNS0_10empty_typeEbEEZZNS1_14partition_implILS5_0ELb0ES3_jN6thrust23THRUST_200600_302600_NS6detail15normal_iteratorINSA_10device_ptrIjEEEEPS6_SG_NS0_5tupleIJNSA_16discard_iteratorINSA_11use_defaultEEESF_EEENSH_IJSG_SG_EEES6_PlJ7is_evenIjEEEE10hipError_tPvRmT3_T4_T5_T6_T7_T9_mT8_P12ihipStream_tbDpT10_ENKUlT_T0_E_clISt17integral_constantIbLb0EES18_IbLb1EEEEDaS14_S15_EUlS14_E_NS1_11comp_targetILNS1_3genE5ELNS1_11target_archE942ELNS1_3gpuE9ELNS1_3repE0EEENS1_30default_config_static_selectorELNS0_4arch9wavefront6targetE1EEEvT1_
		.amdhsa_group_segment_fixed_size 0
		.amdhsa_private_segment_fixed_size 0
		.amdhsa_kernarg_size 144
		.amdhsa_user_sgpr_count 6
		.amdhsa_user_sgpr_private_segment_buffer 1
		.amdhsa_user_sgpr_dispatch_ptr 0
		.amdhsa_user_sgpr_queue_ptr 0
		.amdhsa_user_sgpr_kernarg_segment_ptr 1
		.amdhsa_user_sgpr_dispatch_id 0
		.amdhsa_user_sgpr_flat_scratch_init 0
		.amdhsa_user_sgpr_kernarg_preload_length 0
		.amdhsa_user_sgpr_kernarg_preload_offset 0
		.amdhsa_user_sgpr_private_segment_size 0
		.amdhsa_uses_dynamic_stack 0
		.amdhsa_system_sgpr_private_segment_wavefront_offset 0
		.amdhsa_system_sgpr_workgroup_id_x 1
		.amdhsa_system_sgpr_workgroup_id_y 0
		.amdhsa_system_sgpr_workgroup_id_z 0
		.amdhsa_system_sgpr_workgroup_info 0
		.amdhsa_system_vgpr_workitem_id 0
		.amdhsa_next_free_vgpr 1
		.amdhsa_next_free_sgpr 0
		.amdhsa_accum_offset 4
		.amdhsa_reserve_vcc 0
		.amdhsa_reserve_flat_scratch 0
		.amdhsa_float_round_mode_32 0
		.amdhsa_float_round_mode_16_64 0
		.amdhsa_float_denorm_mode_32 3
		.amdhsa_float_denorm_mode_16_64 3
		.amdhsa_dx10_clamp 1
		.amdhsa_ieee_mode 1
		.amdhsa_fp16_overflow 0
		.amdhsa_tg_split 0
		.amdhsa_exception_fp_ieee_invalid_op 0
		.amdhsa_exception_fp_denorm_src 0
		.amdhsa_exception_fp_ieee_div_zero 0
		.amdhsa_exception_fp_ieee_overflow 0
		.amdhsa_exception_fp_ieee_underflow 0
		.amdhsa_exception_fp_ieee_inexact 0
		.amdhsa_exception_int_div_zero 0
	.end_amdhsa_kernel
	.section	.text._ZN7rocprim17ROCPRIM_400000_NS6detail17trampoline_kernelINS0_14default_configENS1_25partition_config_selectorILNS1_17partition_subalgoE0EjNS0_10empty_typeEbEEZZNS1_14partition_implILS5_0ELb0ES3_jN6thrust23THRUST_200600_302600_NS6detail15normal_iteratorINSA_10device_ptrIjEEEEPS6_SG_NS0_5tupleIJNSA_16discard_iteratorINSA_11use_defaultEEESF_EEENSH_IJSG_SG_EEES6_PlJ7is_evenIjEEEE10hipError_tPvRmT3_T4_T5_T6_T7_T9_mT8_P12ihipStream_tbDpT10_ENKUlT_T0_E_clISt17integral_constantIbLb0EES18_IbLb1EEEEDaS14_S15_EUlS14_E_NS1_11comp_targetILNS1_3genE5ELNS1_11target_archE942ELNS1_3gpuE9ELNS1_3repE0EEENS1_30default_config_static_selectorELNS0_4arch9wavefront6targetE1EEEvT1_,"axG",@progbits,_ZN7rocprim17ROCPRIM_400000_NS6detail17trampoline_kernelINS0_14default_configENS1_25partition_config_selectorILNS1_17partition_subalgoE0EjNS0_10empty_typeEbEEZZNS1_14partition_implILS5_0ELb0ES3_jN6thrust23THRUST_200600_302600_NS6detail15normal_iteratorINSA_10device_ptrIjEEEEPS6_SG_NS0_5tupleIJNSA_16discard_iteratorINSA_11use_defaultEEESF_EEENSH_IJSG_SG_EEES6_PlJ7is_evenIjEEEE10hipError_tPvRmT3_T4_T5_T6_T7_T9_mT8_P12ihipStream_tbDpT10_ENKUlT_T0_E_clISt17integral_constantIbLb0EES18_IbLb1EEEEDaS14_S15_EUlS14_E_NS1_11comp_targetILNS1_3genE5ELNS1_11target_archE942ELNS1_3gpuE9ELNS1_3repE0EEENS1_30default_config_static_selectorELNS0_4arch9wavefront6targetE1EEEvT1_,comdat
.Lfunc_end2484:
	.size	_ZN7rocprim17ROCPRIM_400000_NS6detail17trampoline_kernelINS0_14default_configENS1_25partition_config_selectorILNS1_17partition_subalgoE0EjNS0_10empty_typeEbEEZZNS1_14partition_implILS5_0ELb0ES3_jN6thrust23THRUST_200600_302600_NS6detail15normal_iteratorINSA_10device_ptrIjEEEEPS6_SG_NS0_5tupleIJNSA_16discard_iteratorINSA_11use_defaultEEESF_EEENSH_IJSG_SG_EEES6_PlJ7is_evenIjEEEE10hipError_tPvRmT3_T4_T5_T6_T7_T9_mT8_P12ihipStream_tbDpT10_ENKUlT_T0_E_clISt17integral_constantIbLb0EES18_IbLb1EEEEDaS14_S15_EUlS14_E_NS1_11comp_targetILNS1_3genE5ELNS1_11target_archE942ELNS1_3gpuE9ELNS1_3repE0EEENS1_30default_config_static_selectorELNS0_4arch9wavefront6targetE1EEEvT1_, .Lfunc_end2484-_ZN7rocprim17ROCPRIM_400000_NS6detail17trampoline_kernelINS0_14default_configENS1_25partition_config_selectorILNS1_17partition_subalgoE0EjNS0_10empty_typeEbEEZZNS1_14partition_implILS5_0ELb0ES3_jN6thrust23THRUST_200600_302600_NS6detail15normal_iteratorINSA_10device_ptrIjEEEEPS6_SG_NS0_5tupleIJNSA_16discard_iteratorINSA_11use_defaultEEESF_EEENSH_IJSG_SG_EEES6_PlJ7is_evenIjEEEE10hipError_tPvRmT3_T4_T5_T6_T7_T9_mT8_P12ihipStream_tbDpT10_ENKUlT_T0_E_clISt17integral_constantIbLb0EES18_IbLb1EEEEDaS14_S15_EUlS14_E_NS1_11comp_targetILNS1_3genE5ELNS1_11target_archE942ELNS1_3gpuE9ELNS1_3repE0EEENS1_30default_config_static_selectorELNS0_4arch9wavefront6targetE1EEEvT1_
                                        ; -- End function
	.section	.AMDGPU.csdata,"",@progbits
; Kernel info:
; codeLenInByte = 0
; NumSgprs: 4
; NumVgprs: 0
; NumAgprs: 0
; TotalNumVgprs: 0
; ScratchSize: 0
; MemoryBound: 0
; FloatMode: 240
; IeeeMode: 1
; LDSByteSize: 0 bytes/workgroup (compile time only)
; SGPRBlocks: 0
; VGPRBlocks: 0
; NumSGPRsForWavesPerEU: 4
; NumVGPRsForWavesPerEU: 1
; AccumOffset: 4
; Occupancy: 8
; WaveLimiterHint : 0
; COMPUTE_PGM_RSRC2:SCRATCH_EN: 0
; COMPUTE_PGM_RSRC2:USER_SGPR: 6
; COMPUTE_PGM_RSRC2:TRAP_HANDLER: 0
; COMPUTE_PGM_RSRC2:TGID_X_EN: 1
; COMPUTE_PGM_RSRC2:TGID_Y_EN: 0
; COMPUTE_PGM_RSRC2:TGID_Z_EN: 0
; COMPUTE_PGM_RSRC2:TIDIG_COMP_CNT: 0
; COMPUTE_PGM_RSRC3_GFX90A:ACCUM_OFFSET: 0
; COMPUTE_PGM_RSRC3_GFX90A:TG_SPLIT: 0
	.section	.text._ZN7rocprim17ROCPRIM_400000_NS6detail17trampoline_kernelINS0_14default_configENS1_25partition_config_selectorILNS1_17partition_subalgoE0EjNS0_10empty_typeEbEEZZNS1_14partition_implILS5_0ELb0ES3_jN6thrust23THRUST_200600_302600_NS6detail15normal_iteratorINSA_10device_ptrIjEEEEPS6_SG_NS0_5tupleIJNSA_16discard_iteratorINSA_11use_defaultEEESF_EEENSH_IJSG_SG_EEES6_PlJ7is_evenIjEEEE10hipError_tPvRmT3_T4_T5_T6_T7_T9_mT8_P12ihipStream_tbDpT10_ENKUlT_T0_E_clISt17integral_constantIbLb0EES18_IbLb1EEEEDaS14_S15_EUlS14_E_NS1_11comp_targetILNS1_3genE4ELNS1_11target_archE910ELNS1_3gpuE8ELNS1_3repE0EEENS1_30default_config_static_selectorELNS0_4arch9wavefront6targetE1EEEvT1_,"axG",@progbits,_ZN7rocprim17ROCPRIM_400000_NS6detail17trampoline_kernelINS0_14default_configENS1_25partition_config_selectorILNS1_17partition_subalgoE0EjNS0_10empty_typeEbEEZZNS1_14partition_implILS5_0ELb0ES3_jN6thrust23THRUST_200600_302600_NS6detail15normal_iteratorINSA_10device_ptrIjEEEEPS6_SG_NS0_5tupleIJNSA_16discard_iteratorINSA_11use_defaultEEESF_EEENSH_IJSG_SG_EEES6_PlJ7is_evenIjEEEE10hipError_tPvRmT3_T4_T5_T6_T7_T9_mT8_P12ihipStream_tbDpT10_ENKUlT_T0_E_clISt17integral_constantIbLb0EES18_IbLb1EEEEDaS14_S15_EUlS14_E_NS1_11comp_targetILNS1_3genE4ELNS1_11target_archE910ELNS1_3gpuE8ELNS1_3repE0EEENS1_30default_config_static_selectorELNS0_4arch9wavefront6targetE1EEEvT1_,comdat
	.protected	_ZN7rocprim17ROCPRIM_400000_NS6detail17trampoline_kernelINS0_14default_configENS1_25partition_config_selectorILNS1_17partition_subalgoE0EjNS0_10empty_typeEbEEZZNS1_14partition_implILS5_0ELb0ES3_jN6thrust23THRUST_200600_302600_NS6detail15normal_iteratorINSA_10device_ptrIjEEEEPS6_SG_NS0_5tupleIJNSA_16discard_iteratorINSA_11use_defaultEEESF_EEENSH_IJSG_SG_EEES6_PlJ7is_evenIjEEEE10hipError_tPvRmT3_T4_T5_T6_T7_T9_mT8_P12ihipStream_tbDpT10_ENKUlT_T0_E_clISt17integral_constantIbLb0EES18_IbLb1EEEEDaS14_S15_EUlS14_E_NS1_11comp_targetILNS1_3genE4ELNS1_11target_archE910ELNS1_3gpuE8ELNS1_3repE0EEENS1_30default_config_static_selectorELNS0_4arch9wavefront6targetE1EEEvT1_ ; -- Begin function _ZN7rocprim17ROCPRIM_400000_NS6detail17trampoline_kernelINS0_14default_configENS1_25partition_config_selectorILNS1_17partition_subalgoE0EjNS0_10empty_typeEbEEZZNS1_14partition_implILS5_0ELb0ES3_jN6thrust23THRUST_200600_302600_NS6detail15normal_iteratorINSA_10device_ptrIjEEEEPS6_SG_NS0_5tupleIJNSA_16discard_iteratorINSA_11use_defaultEEESF_EEENSH_IJSG_SG_EEES6_PlJ7is_evenIjEEEE10hipError_tPvRmT3_T4_T5_T6_T7_T9_mT8_P12ihipStream_tbDpT10_ENKUlT_T0_E_clISt17integral_constantIbLb0EES18_IbLb1EEEEDaS14_S15_EUlS14_E_NS1_11comp_targetILNS1_3genE4ELNS1_11target_archE910ELNS1_3gpuE8ELNS1_3repE0EEENS1_30default_config_static_selectorELNS0_4arch9wavefront6targetE1EEEvT1_
	.globl	_ZN7rocprim17ROCPRIM_400000_NS6detail17trampoline_kernelINS0_14default_configENS1_25partition_config_selectorILNS1_17partition_subalgoE0EjNS0_10empty_typeEbEEZZNS1_14partition_implILS5_0ELb0ES3_jN6thrust23THRUST_200600_302600_NS6detail15normal_iteratorINSA_10device_ptrIjEEEEPS6_SG_NS0_5tupleIJNSA_16discard_iteratorINSA_11use_defaultEEESF_EEENSH_IJSG_SG_EEES6_PlJ7is_evenIjEEEE10hipError_tPvRmT3_T4_T5_T6_T7_T9_mT8_P12ihipStream_tbDpT10_ENKUlT_T0_E_clISt17integral_constantIbLb0EES18_IbLb1EEEEDaS14_S15_EUlS14_E_NS1_11comp_targetILNS1_3genE4ELNS1_11target_archE910ELNS1_3gpuE8ELNS1_3repE0EEENS1_30default_config_static_selectorELNS0_4arch9wavefront6targetE1EEEvT1_
	.p2align	8
	.type	_ZN7rocprim17ROCPRIM_400000_NS6detail17trampoline_kernelINS0_14default_configENS1_25partition_config_selectorILNS1_17partition_subalgoE0EjNS0_10empty_typeEbEEZZNS1_14partition_implILS5_0ELb0ES3_jN6thrust23THRUST_200600_302600_NS6detail15normal_iteratorINSA_10device_ptrIjEEEEPS6_SG_NS0_5tupleIJNSA_16discard_iteratorINSA_11use_defaultEEESF_EEENSH_IJSG_SG_EEES6_PlJ7is_evenIjEEEE10hipError_tPvRmT3_T4_T5_T6_T7_T9_mT8_P12ihipStream_tbDpT10_ENKUlT_T0_E_clISt17integral_constantIbLb0EES18_IbLb1EEEEDaS14_S15_EUlS14_E_NS1_11comp_targetILNS1_3genE4ELNS1_11target_archE910ELNS1_3gpuE8ELNS1_3repE0EEENS1_30default_config_static_selectorELNS0_4arch9wavefront6targetE1EEEvT1_,@function
_ZN7rocprim17ROCPRIM_400000_NS6detail17trampoline_kernelINS0_14default_configENS1_25partition_config_selectorILNS1_17partition_subalgoE0EjNS0_10empty_typeEbEEZZNS1_14partition_implILS5_0ELb0ES3_jN6thrust23THRUST_200600_302600_NS6detail15normal_iteratorINSA_10device_ptrIjEEEEPS6_SG_NS0_5tupleIJNSA_16discard_iteratorINSA_11use_defaultEEESF_EEENSH_IJSG_SG_EEES6_PlJ7is_evenIjEEEE10hipError_tPvRmT3_T4_T5_T6_T7_T9_mT8_P12ihipStream_tbDpT10_ENKUlT_T0_E_clISt17integral_constantIbLb0EES18_IbLb1EEEEDaS14_S15_EUlS14_E_NS1_11comp_targetILNS1_3genE4ELNS1_11target_archE910ELNS1_3gpuE8ELNS1_3repE0EEENS1_30default_config_static_selectorELNS0_4arch9wavefront6targetE1EEEvT1_: ; @_ZN7rocprim17ROCPRIM_400000_NS6detail17trampoline_kernelINS0_14default_configENS1_25partition_config_selectorILNS1_17partition_subalgoE0EjNS0_10empty_typeEbEEZZNS1_14partition_implILS5_0ELb0ES3_jN6thrust23THRUST_200600_302600_NS6detail15normal_iteratorINSA_10device_ptrIjEEEEPS6_SG_NS0_5tupleIJNSA_16discard_iteratorINSA_11use_defaultEEESF_EEENSH_IJSG_SG_EEES6_PlJ7is_evenIjEEEE10hipError_tPvRmT3_T4_T5_T6_T7_T9_mT8_P12ihipStream_tbDpT10_ENKUlT_T0_E_clISt17integral_constantIbLb0EES18_IbLb1EEEEDaS14_S15_EUlS14_E_NS1_11comp_targetILNS1_3genE4ELNS1_11target_archE910ELNS1_3gpuE8ELNS1_3repE0EEENS1_30default_config_static_selectorELNS0_4arch9wavefront6targetE1EEEvT1_
; %bb.0:
	s_load_dwordx2 s[28:29], s[4:5], 0x38
	s_load_dwordx4 s[20:23], s[4:5], 0x50
	s_load_dwordx2 s[2:3], s[4:5], 0x60
	s_load_dwordx2 s[30:31], s[4:5], 0x70
	v_cmp_eq_u32_e64 s[0:1], 0, v0
	s_and_saveexec_b64 s[6:7], s[0:1]
	s_cbranch_execz .LBB2485_4
; %bb.1:
	s_mov_b64 s[10:11], exec
	v_mbcnt_lo_u32_b32 v1, s10, 0
	v_mbcnt_hi_u32_b32 v1, s11, v1
	v_cmp_eq_u32_e32 vcc, 0, v1
                                        ; implicit-def: $vgpr2
	s_and_saveexec_b64 s[8:9], vcc
	s_cbranch_execz .LBB2485_3
; %bb.2:
	s_load_dwordx2 s[12:13], s[4:5], 0x80
	s_bcnt1_i32_b64 s10, s[10:11]
	v_mov_b32_e32 v2, 0
	v_mov_b32_e32 v3, s10
	s_waitcnt lgkmcnt(0)
	global_atomic_add v2, v2, v3, s[12:13] glc
.LBB2485_3:
	s_or_b64 exec, exec, s[8:9]
	s_waitcnt vmcnt(0)
	v_readfirstlane_b32 s8, v2
	v_add_u32_e32 v1, s8, v1
	v_mov_b32_e32 v2, 0
	ds_write_b32 v2, v1
.LBB2485_4:
	s_or_b64 exec, exec, s[6:7]
	v_mov_b32_e32 v3, 0
	s_load_dwordx4 s[24:27], s[4:5], 0x8
	s_load_dword s6, s[4:5], 0x78
	s_waitcnt lgkmcnt(0)
	s_barrier
	ds_read_b32 v1, v3
	s_waitcnt lgkmcnt(0)
	s_barrier
	global_load_dwordx2 v[12:13], v3, s[22:23]
	v_mov_b32_e32 v5, s3
	s_lshl_b64 s[4:5], s[26:27], 2
	s_movk_i32 s3, 0xa00
	s_add_u32 s7, s24, s4
	v_mul_lo_u32 v2, v1, s3
	s_mul_i32 s3, s6, 0xa00
	s_addc_u32 s8, s25, s5
	s_add_i32 s5, s3, s26
	s_sub_i32 s33, s2, s5
	s_add_i32 s4, s6, -1
	s_addk_i32 s33, 0xa00
	v_mov_b32_e32 v4, s2
	s_add_u32 s2, s26, s3
	v_readfirstlane_b32 s38, v1
	s_addc_u32 s3, s27, 0
	s_cmp_eq_u32 s38, s4
	s_cselect_b64 s[22:23], -1, 0
	s_cmp_lg_u32 s38, s4
	v_cmp_lt_u64_e32 vcc, s[2:3], v[4:5]
	s_cselect_b64 s[2:3], -1, 0
	v_lshlrev_b64 v[14:15], 2, v[2:3]
	s_or_b64 s[4:5], vcc, s[2:3]
	v_mov_b32_e32 v2, s8
	v_add_co_u32_e32 v1, vcc, s7, v14
	v_addc_co_u32_e32 v16, vcc, v2, v15, vcc
	s_mov_b64 s[2:3], -1
	s_and_b64 vcc, exec, s[4:5]
	v_lshlrev_b32_e32 v26, 2, v0
	s_cbranch_vccz .LBB2485_6
; %bb.5:
	v_add_co_u32_e32 v2, vcc, v1, v26
	v_addc_co_u32_e32 v3, vcc, 0, v16, vcc
	v_add_co_u32_e32 v4, vcc, 0x1000, v2
	v_addc_co_u32_e32 v5, vcc, 0, v3, vcc
	flat_load_dword v6, v[2:3]
	flat_load_dword v7, v[2:3] offset:1024
	flat_load_dword v8, v[2:3] offset:2048
	;; [unrolled: 1-line block ×3, first 2 shown]
	flat_load_dword v10, v[4:5]
	flat_load_dword v11, v[4:5] offset:1024
	flat_load_dword v17, v[4:5] offset:2048
	;; [unrolled: 1-line block ×3, first 2 shown]
	v_add_co_u32_e32 v2, vcc, 0x2000, v2
	v_addc_co_u32_e32 v3, vcc, 0, v3, vcc
	flat_load_dword v4, v[2:3]
	flat_load_dword v5, v[2:3] offset:1024
	s_mov_b64 s[2:3], 0
	s_waitcnt vmcnt(0) lgkmcnt(0)
	ds_write2st64_b32 v26, v6, v7 offset1:4
	ds_write2st64_b32 v26, v8, v9 offset0:8 offset1:12
	ds_write2st64_b32 v26, v10, v11 offset0:16 offset1:20
	;; [unrolled: 1-line block ×4, first 2 shown]
	s_waitcnt lgkmcnt(0)
	s_barrier
.LBB2485_6:
	s_andn2_b64 vcc, exec, s[2:3]
	v_cmp_gt_u32_e64 s[2:3], s33, v0
	s_cbranch_vccnz .LBB2485_28
; %bb.7:
                                        ; implicit-def: $vgpr2_vgpr3_vgpr4_vgpr5_vgpr6_vgpr7_vgpr8_vgpr9_vgpr10_vgpr11
	s_and_saveexec_b64 s[6:7], s[2:3]
	s_cbranch_execz .LBB2485_9
; %bb.8:
	v_add_co_u32_e32 v2, vcc, v1, v26
	v_addc_co_u32_e32 v3, vcc, 0, v16, vcc
	flat_load_dword v2, v[2:3]
.LBB2485_9:
	s_or_b64 exec, exec, s[6:7]
	v_or_b32_e32 v17, 0x100, v0
	v_cmp_gt_u32_e32 vcc, s33, v17
	s_and_saveexec_b64 s[2:3], vcc
	s_cbranch_execz .LBB2485_11
; %bb.10:
	v_add_co_u32_e32 v18, vcc, v1, v26
	v_addc_co_u32_e32 v19, vcc, 0, v16, vcc
	flat_load_dword v3, v[18:19] offset:1024
.LBB2485_11:
	s_or_b64 exec, exec, s[2:3]
	v_or_b32_e32 v17, 0x200, v0
	v_cmp_gt_u32_e32 vcc, s33, v17
	s_and_saveexec_b64 s[2:3], vcc
	s_cbranch_execz .LBB2485_13
; %bb.12:
	v_add_co_u32_e32 v18, vcc, v1, v26
	v_addc_co_u32_e32 v19, vcc, 0, v16, vcc
	flat_load_dword v4, v[18:19] offset:2048
.LBB2485_13:
	;; [unrolled: 10-line block ×3, first 2 shown]
	s_or_b64 exec, exec, s[2:3]
	v_or_b32_e32 v17, 0x400, v0
	v_cmp_gt_u32_e32 vcc, s33, v17
	s_and_saveexec_b64 s[2:3], vcc
	s_cbranch_execz .LBB2485_17
; %bb.16:
	v_lshlrev_b32_e32 v6, 2, v17
	v_add_co_u32_e32 v18, vcc, v1, v6
	v_addc_co_u32_e32 v19, vcc, 0, v16, vcc
	flat_load_dword v6, v[18:19]
.LBB2485_17:
	s_or_b64 exec, exec, s[2:3]
	v_or_b32_e32 v17, 0x500, v0
	v_cmp_gt_u32_e32 vcc, s33, v17
	s_and_saveexec_b64 s[2:3], vcc
	s_cbranch_execz .LBB2485_19
; %bb.18:
	v_lshlrev_b32_e32 v7, 2, v17
	v_add_co_u32_e32 v18, vcc, v1, v7
	v_addc_co_u32_e32 v19, vcc, 0, v16, vcc
	flat_load_dword v7, v[18:19]
.LBB2485_19:
	;; [unrolled: 11-line block ×6, first 2 shown]
	s_or_b64 exec, exec, s[2:3]
	s_waitcnt vmcnt(0) lgkmcnt(0)
	ds_write2st64_b32 v26, v2, v3 offset1:4
	ds_write2st64_b32 v26, v4, v5 offset0:8 offset1:12
	ds_write2st64_b32 v26, v6, v7 offset0:16 offset1:20
	;; [unrolled: 1-line block ×4, first 2 shown]
	s_waitcnt lgkmcnt(0)
	s_barrier
.LBB2485_28:
	v_mul_u32_u24_e32 v27, 10, v0
	v_lshlrev_b32_e32 v33, 2, v27
	ds_read2_b64 v[6:9], v33 offset1:1
	ds_read2_b64 v[2:5], v33 offset0:2 offset1:3
	ds_read_b64 v[10:11], v33 offset:32
	v_cndmask_b32_e64 v1, 0, 1, s[4:5]
	v_cmp_ne_u32_e64 s[2:3], 1, v1
	s_andn2_b64 vcc, exec, s[4:5]
	s_waitcnt lgkmcnt(2)
	v_xor_b32_e32 v25, -1, v6
	v_xor_b32_e32 v24, -1, v7
	;; [unrolled: 1-line block ×4, first 2 shown]
	s_waitcnt lgkmcnt(1)
	v_xor_b32_e32 v21, -1, v2
	v_xor_b32_e32 v20, -1, v3
	;; [unrolled: 1-line block ×4, first 2 shown]
	s_waitcnt lgkmcnt(0)
	v_xor_b32_e32 v17, -1, v10
	v_xor_b32_e32 v16, -1, v11
	s_barrier
	s_cbranch_vccnz .LBB2485_30
; %bb.29:
	v_mov_b32_e32 v1, 1
	v_and_b32_e32 v29, 1, v25
	v_and_b32_sdwa v30, v24, v1 dst_sel:BYTE_1 dst_unused:UNUSED_PAD src0_sel:DWORD src1_sel:DWORD
	v_and_b32_e32 v31, 1, v23
	v_and_b32_sdwa v32, v22, v1 dst_sel:BYTE_1 dst_unused:UNUSED_PAD src0_sel:DWORD src1_sel:DWORD
	;; [unrolled: 2-line block ×4, first 2 shown]
	v_or_b32_e32 v29, v29, v30
	v_or_b32_sdwa v30, v31, v32 dst_sel:WORD_1 dst_unused:UNUSED_PAD src0_sel:DWORD src1_sel:DWORD
	v_or_b32_sdwa v30, v29, v30 dst_sel:DWORD dst_unused:UNUSED_PAD src0_sel:WORD_0 src1_sel:DWORD
	v_or_b32_e32 v29, v34, v35
	v_or_b32_sdwa v31, v36, v37 dst_sel:WORD_1 dst_unused:UNUSED_PAD src0_sel:DWORD src1_sel:DWORD
	v_and_b32_e32 v28, 1, v17
	v_and_b32_e32 v1, 1, v16
	v_or_b32_sdwa v29, v29, v31 dst_sel:DWORD dst_unused:UNUSED_PAD src0_sel:WORD_0 src1_sel:DWORD
	s_cbranch_execz .LBB2485_31
	s_branch .LBB2485_32
.LBB2485_30:
                                        ; implicit-def: $vgpr1
                                        ; implicit-def: $vgpr28
                                        ; implicit-def: $vgpr29
                                        ; implicit-def: $vgpr30
.LBB2485_31:
	v_or_b32_e32 v36, 1, v27
	v_cmp_gt_u32_e32 vcc, s33, v27
	v_add_u32_e32 v1, 2, v27
	v_cndmask_b32_e64 v37, 0, 1, vcc
	v_cmp_gt_u32_e32 vcc, s33, v36
	v_add_u32_e32 v35, 3, v27
	v_cndmask_b32_e64 v36, 0, 1, vcc
	;; [unrolled: 3-line block ×3, first 2 shown]
	v_cmp_gt_u32_e32 vcc, s33, v35
	v_add_u32_e32 v34, 5, v27
	v_and_b32_e32 v23, v1, v23
	v_cndmask_b32_e64 v1, 0, 1, vcc
	v_cmp_gt_u32_e32 vcc, s33, v28
	v_add_u32_e32 v29, 6, v27
	v_and_b32_sdwa v22, v1, v22 dst_sel:BYTE_1 dst_unused:UNUSED_PAD src0_sel:DWORD src1_sel:DWORD
	v_cndmask_b32_e64 v1, 0, 1, vcc
	v_cmp_gt_u32_e32 vcc, s33, v34
	v_add_u32_e32 v32, 7, v27
	v_and_b32_e32 v21, v1, v21
	v_cndmask_b32_e64 v1, 0, 1, vcc
	v_cmp_gt_u32_e32 vcc, s33, v29
	v_add_u32_e32 v30, 8, v27
	v_and_b32_sdwa v20, v1, v20 dst_sel:BYTE_1 dst_unused:UNUSED_PAD src0_sel:DWORD src1_sel:DWORD
	v_cndmask_b32_e64 v1, 0, 1, vcc
	v_cmp_gt_u32_e32 vcc, s33, v32
	v_add_u32_e32 v31, 9, v27
	v_and_b32_e32 v19, v1, v19
	v_cndmask_b32_e64 v1, 0, 1, vcc
	v_cmp_gt_u32_e32 vcc, s33, v30
	v_and_b32_sdwa v18, v1, v18 dst_sel:BYTE_1 dst_unused:UNUSED_PAD src0_sel:DWORD src1_sel:DWORD
	v_cndmask_b32_e64 v1, 0, 1, vcc
	v_cmp_gt_u32_e32 vcc, s33, v31
	v_and_b32_e32 v25, v37, v25
	v_and_b32_sdwa v24, v36, v24 dst_sel:BYTE_1 dst_unused:UNUSED_PAD src0_sel:DWORD src1_sel:DWORD
	v_and_b32_e32 v28, v1, v17
	v_cndmask_b32_e64 v1, 0, 1, vcc
	v_and_b32_e32 v1, v1, v16
	v_or_b32_e32 v16, v25, v24
	v_or_b32_sdwa v17, v23, v22 dst_sel:WORD_1 dst_unused:UNUSED_PAD src0_sel:DWORD src1_sel:DWORD
	v_or_b32_sdwa v30, v16, v17 dst_sel:DWORD dst_unused:UNUSED_PAD src0_sel:WORD_0 src1_sel:DWORD
	v_or_b32_e32 v16, v21, v20
	v_or_b32_sdwa v17, v19, v18 dst_sel:WORD_1 dst_unused:UNUSED_PAD src0_sel:DWORD src1_sel:DWORD
	v_or_b32_sdwa v29, v16, v17 dst_sel:DWORD dst_unused:UNUSED_PAD src0_sel:WORD_0 src1_sel:DWORD
.LBB2485_32:
	v_bfe_u32 v34, v30, 16, 8
	v_lshrrev_b32_e32 v32, 24, v30
	v_add_u32_sdwa v17, v30, v30 dst_sel:DWORD dst_unused:UNUSED_PAD src0_sel:BYTE_1 src1_sel:BYTE_0
	v_and_b32_e32 v35, 0xff, v29
	v_bfe_u32 v36, v29, 8, 8
	v_add3_u32 v17, v17, v34, v32
	v_bfe_u32 v37, v29, 16, 8
	v_lshrrev_b32_e32 v31, 24, v29
	v_add3_u32 v17, v17, v35, v36
	v_and_b32_e32 v38, 0xff, v28
	v_and_b32_e32 v16, 0xff, v1
	v_add3_u32 v17, v17, v37, v31
	v_add3_u32 v41, v17, v38, v16
	v_mbcnt_lo_u32_b32 v16, -1, 0
	v_mbcnt_hi_u32_b32 v39, -1, v16
	v_and_b32_e32 v16, 15, v39
	v_cmp_eq_u32_e64 s[16:17], 0, v16
	v_cmp_lt_u32_e64 s[14:15], 1, v16
	v_cmp_lt_u32_e64 s[12:13], 3, v16
	;; [unrolled: 1-line block ×3, first 2 shown]
	v_and_b32_e32 v16, 16, v39
	v_cmp_eq_u32_e64 s[8:9], 0, v16
	v_or_b32_e32 v16, 63, v0
	s_cmp_lg_u32 s38, 0
	v_cmp_lt_u32_e64 s[4:5], 31, v39
	v_lshrrev_b32_e32 v40, 6, v0
	v_cmp_eq_u32_e64 s[6:7], v16, v0
	s_cbranch_scc0 .LBB2485_59
; %bb.33:
	v_mov_b32_dpp v16, v41 row_shr:1 row_mask:0xf bank_mask:0xf
	v_cndmask_b32_e64 v16, v16, 0, s[16:17]
	v_add_u32_e32 v16, v16, v41
	s_nop 1
	v_mov_b32_dpp v17, v16 row_shr:2 row_mask:0xf bank_mask:0xf
	v_cndmask_b32_e64 v17, 0, v17, s[14:15]
	v_add_u32_e32 v16, v16, v17
	s_nop 1
	;; [unrolled: 4-line block ×4, first 2 shown]
	v_mov_b32_dpp v17, v16 row_bcast:15 row_mask:0xf bank_mask:0xf
	v_cndmask_b32_e64 v17, v17, 0, s[8:9]
	v_add_u32_e32 v16, v16, v17
	s_nop 1
	v_mov_b32_dpp v17, v16 row_bcast:31 row_mask:0xf bank_mask:0xf
	v_cndmask_b32_e64 v17, 0, v17, s[4:5]
	v_add_u32_e32 v16, v16, v17
	s_and_saveexec_b64 s[18:19], s[6:7]
	s_cbranch_execz .LBB2485_35
; %bb.34:
	v_lshlrev_b32_e32 v17, 2, v40
	ds_write_b32 v17, v16
.LBB2485_35:
	s_or_b64 exec, exec, s[18:19]
	v_cmp_gt_u32_e32 vcc, 4, v0
	s_waitcnt lgkmcnt(0)
	s_barrier
	s_and_saveexec_b64 s[18:19], vcc
	s_cbranch_execz .LBB2485_37
; %bb.36:
	ds_read_b32 v17, v26
	v_and_b32_e32 v18, 3, v39
	v_cmp_ne_u32_e32 vcc, 0, v18
	s_waitcnt lgkmcnt(0)
	v_mov_b32_dpp v19, v17 row_shr:1 row_mask:0xf bank_mask:0xf
	v_cndmask_b32_e32 v19, 0, v19, vcc
	v_add_u32_e32 v17, v19, v17
	v_cmp_lt_u32_e32 vcc, 1, v18
	s_nop 0
	v_mov_b32_dpp v19, v17 row_shr:2 row_mask:0xf bank_mask:0xf
	v_cndmask_b32_e32 v18, 0, v19, vcc
	v_add_u32_e32 v17, v17, v18
	ds_write_b32 v26, v17
.LBB2485_37:
	s_or_b64 exec, exec, s[18:19]
	v_cmp_gt_u32_e32 vcc, 64, v0
	v_cmp_lt_u32_e64 s[18:19], 63, v0
	s_waitcnt lgkmcnt(0)
	s_barrier
	s_waitcnt lgkmcnt(0)
                                        ; implicit-def: $vgpr42
	s_and_saveexec_b64 s[24:25], s[18:19]
	s_cbranch_execz .LBB2485_39
; %bb.38:
	v_lshl_add_u32 v17, v40, 2, -4
	ds_read_b32 v42, v17
	s_waitcnt lgkmcnt(0)
	v_add_u32_e32 v16, v42, v16
.LBB2485_39:
	s_or_b64 exec, exec, s[24:25]
	v_add_u32_e32 v17, -1, v39
	v_and_b32_e32 v18, 64, v39
	v_cmp_lt_i32_e64 s[18:19], v17, v18
	v_cndmask_b32_e64 v17, v17, v39, s[18:19]
	v_lshlrev_b32_e32 v17, 2, v17
	ds_bpermute_b32 v43, v17, v16
	v_cmp_eq_u32_e64 s[18:19], 0, v39
	s_and_saveexec_b64 s[24:25], vcc
	s_cbranch_execz .LBB2485_58
; %bb.40:
	v_mov_b32_e32 v23, 0
	ds_read_b32 v16, v23 offset:12
	s_and_saveexec_b64 s[34:35], s[18:19]
	s_cbranch_execz .LBB2485_42
; %bb.41:
	s_add_i32 s36, s38, 64
	s_mov_b32 s37, 0
	s_lshl_b64 s[36:37], s[36:37], 3
	s_add_u32 s36, s30, s36
	v_mov_b32_e32 v17, 1
	s_addc_u32 s37, s31, s37
	s_waitcnt lgkmcnt(0)
	global_store_dwordx2 v23, v[16:17], s[36:37]
.LBB2485_42:
	s_or_b64 exec, exec, s[34:35]
	v_xad_u32 v18, v39, -1, s38
	v_add_u32_e32 v22, 64, v18
	v_lshlrev_b64 v[20:21], 3, v[22:23]
	v_mov_b32_e32 v17, s31
	v_add_co_u32_e32 v24, vcc, s30, v20
	v_addc_co_u32_e32 v25, vcc, v17, v21, vcc
	global_load_dwordx2 v[20:21], v[24:25], off glc
	s_waitcnt vmcnt(0)
	v_cmp_eq_u16_sdwa s[36:37], v21, v23 src0_sel:BYTE_0 src1_sel:DWORD
	s_and_saveexec_b64 s[34:35], s[36:37]
	s_cbranch_execz .LBB2485_46
; %bb.43:
	s_mov_b64 s[36:37], 0
	v_mov_b32_e32 v17, 0
.LBB2485_44:                            ; =>This Inner Loop Header: Depth=1
	global_load_dwordx2 v[20:21], v[24:25], off glc
	s_waitcnt vmcnt(0)
	v_cmp_ne_u16_sdwa s[40:41], v21, v17 src0_sel:BYTE_0 src1_sel:DWORD
	s_or_b64 s[36:37], s[40:41], s[36:37]
	s_andn2_b64 exec, exec, s[36:37]
	s_cbranch_execnz .LBB2485_44
; %bb.45:
	s_or_b64 exec, exec, s[36:37]
.LBB2485_46:
	s_or_b64 exec, exec, s[34:35]
	v_and_b32_e32 v45, 63, v39
	v_mov_b32_e32 v44, 2
	v_cmp_ne_u32_e32 vcc, 63, v45
	v_cmp_eq_u16_sdwa s[34:35], v21, v44 src0_sel:BYTE_0 src1_sel:DWORD
	v_lshlrev_b64 v[22:23], v39, -1
	v_addc_co_u32_e32 v24, vcc, 0, v39, vcc
	v_and_b32_e32 v17, s35, v23
	v_lshlrev_b32_e32 v46, 2, v24
	v_or_b32_e32 v17, 0x80000000, v17
	ds_bpermute_b32 v24, v46, v20
	v_and_b32_e32 v19, s34, v22
	v_ffbl_b32_e32 v17, v17
	v_add_u32_e32 v17, 32, v17
	v_ffbl_b32_e32 v19, v19
	v_min_u32_e32 v17, v19, v17
	v_cmp_lt_u32_e32 vcc, v45, v17
	s_waitcnt lgkmcnt(0)
	v_cndmask_b32_e32 v19, 0, v24, vcc
	v_cmp_gt_u32_e32 vcc, 62, v45
	v_add_u32_e32 v19, v19, v20
	v_cndmask_b32_e64 v20, 0, 1, vcc
	v_lshlrev_b32_e32 v20, 1, v20
	v_add_lshl_u32 v47, v20, v39, 2
	ds_bpermute_b32 v20, v47, v19
	v_add_u32_e32 v48, 2, v45
	v_cmp_le_u32_e32 vcc, v48, v17
	v_add_u32_e32 v50, 4, v45
	v_add_u32_e32 v52, 8, v45
	s_waitcnt lgkmcnt(0)
	v_cndmask_b32_e32 v20, 0, v20, vcc
	v_cmp_gt_u32_e32 vcc, 60, v45
	v_add_u32_e32 v19, v19, v20
	v_cndmask_b32_e64 v20, 0, 1, vcc
	v_lshlrev_b32_e32 v20, 2, v20
	v_add_lshl_u32 v49, v20, v39, 2
	ds_bpermute_b32 v20, v49, v19
	v_cmp_le_u32_e32 vcc, v50, v17
	v_add_u32_e32 v54, 16, v45
	v_add_u32_e32 v56, 32, v45
	s_waitcnt lgkmcnt(0)
	v_cndmask_b32_e32 v20, 0, v20, vcc
	v_cmp_gt_u32_e32 vcc, 56, v45
	v_add_u32_e32 v19, v19, v20
	v_cndmask_b32_e64 v20, 0, 1, vcc
	v_lshlrev_b32_e32 v20, 3, v20
	v_add_lshl_u32 v51, v20, v39, 2
	ds_bpermute_b32 v20, v51, v19
	v_cmp_le_u32_e32 vcc, v52, v17
	s_waitcnt lgkmcnt(0)
	v_cndmask_b32_e32 v20, 0, v20, vcc
	v_cmp_gt_u32_e32 vcc, 48, v45
	v_add_u32_e32 v19, v19, v20
	v_cndmask_b32_e64 v20, 0, 1, vcc
	v_lshlrev_b32_e32 v20, 4, v20
	v_add_lshl_u32 v53, v20, v39, 2
	ds_bpermute_b32 v20, v53, v19
	v_cmp_le_u32_e32 vcc, v54, v17
	;; [unrolled: 9-line block ×3, first 2 shown]
	s_waitcnt lgkmcnt(0)
	v_cndmask_b32_e32 v17, 0, v20, vcc
	v_add_u32_e32 v20, v19, v17
	v_mov_b32_e32 v19, 0
	s_branch .LBB2485_48
.LBB2485_47:                            ;   in Loop: Header=BB2485_48 Depth=1
	s_or_b64 exec, exec, s[34:35]
	v_cmp_eq_u16_sdwa s[34:35], v21, v44 src0_sel:BYTE_0 src1_sel:DWORD
	v_and_b32_e32 v24, s35, v23
	v_or_b32_e32 v24, 0x80000000, v24
	ds_bpermute_b32 v57, v46, v20
	v_and_b32_e32 v25, s34, v22
	v_ffbl_b32_e32 v24, v24
	v_add_u32_e32 v24, 32, v24
	v_ffbl_b32_e32 v25, v25
	v_min_u32_e32 v24, v25, v24
	v_cmp_lt_u32_e32 vcc, v45, v24
	s_waitcnt lgkmcnt(0)
	v_cndmask_b32_e32 v25, 0, v57, vcc
	v_add_u32_e32 v20, v25, v20
	ds_bpermute_b32 v25, v47, v20
	v_cmp_le_u32_e32 vcc, v48, v24
	v_subrev_u32_e32 v18, 64, v18
	s_waitcnt lgkmcnt(0)
	v_cndmask_b32_e32 v25, 0, v25, vcc
	v_add_u32_e32 v20, v20, v25
	ds_bpermute_b32 v25, v49, v20
	v_cmp_le_u32_e32 vcc, v50, v24
	s_waitcnt lgkmcnt(0)
	v_cndmask_b32_e32 v25, 0, v25, vcc
	v_add_u32_e32 v20, v20, v25
	ds_bpermute_b32 v25, v51, v20
	v_cmp_le_u32_e32 vcc, v52, v24
	;; [unrolled: 5-line block ×4, first 2 shown]
	s_waitcnt lgkmcnt(0)
	v_cndmask_b32_e32 v24, 0, v25, vcc
	v_add3_u32 v20, v24, v17, v20
.LBB2485_48:                            ; =>This Loop Header: Depth=1
                                        ;     Child Loop BB2485_51 Depth 2
	v_cmp_ne_u16_sdwa s[34:35], v21, v44 src0_sel:BYTE_0 src1_sel:DWORD
	v_cndmask_b32_e64 v17, 0, 1, s[34:35]
	;;#ASMSTART
	;;#ASMEND
	v_cmp_ne_u32_e32 vcc, 0, v17
	s_cmp_lg_u64 vcc, exec
	v_mov_b32_e32 v17, v20
	s_cbranch_scc1 .LBB2485_53
; %bb.49:                               ;   in Loop: Header=BB2485_48 Depth=1
	v_lshlrev_b64 v[20:21], 3, v[18:19]
	v_mov_b32_e32 v25, s31
	v_add_co_u32_e32 v24, vcc, s30, v20
	v_addc_co_u32_e32 v25, vcc, v25, v21, vcc
	global_load_dwordx2 v[20:21], v[24:25], off glc
	s_waitcnt vmcnt(0)
	v_cmp_eq_u16_sdwa s[36:37], v21, v19 src0_sel:BYTE_0 src1_sel:DWORD
	s_and_saveexec_b64 s[34:35], s[36:37]
	s_cbranch_execz .LBB2485_47
; %bb.50:                               ;   in Loop: Header=BB2485_48 Depth=1
	s_mov_b64 s[36:37], 0
.LBB2485_51:                            ;   Parent Loop BB2485_48 Depth=1
                                        ; =>  This Inner Loop Header: Depth=2
	global_load_dwordx2 v[20:21], v[24:25], off glc
	s_waitcnt vmcnt(0)
	v_cmp_ne_u16_sdwa s[40:41], v21, v19 src0_sel:BYTE_0 src1_sel:DWORD
	s_or_b64 s[36:37], s[40:41], s[36:37]
	s_andn2_b64 exec, exec, s[36:37]
	s_cbranch_execnz .LBB2485_51
; %bb.52:                               ;   in Loop: Header=BB2485_48 Depth=1
	s_or_b64 exec, exec, s[36:37]
	s_branch .LBB2485_47
.LBB2485_53:                            ;   in Loop: Header=BB2485_48 Depth=1
                                        ; implicit-def: $vgpr20
                                        ; implicit-def: $vgpr21
	s_cbranch_execz .LBB2485_48
; %bb.54:
	s_and_saveexec_b64 s[34:35], s[18:19]
	s_cbranch_execz .LBB2485_56
; %bb.55:
	s_add_i32 s36, s38, 64
	s_mov_b32 s37, 0
	s_lshl_b64 s[36:37], s[36:37], 3
	s_add_u32 s36, s30, s36
	v_add_u32_e32 v18, v17, v16
	v_mov_b32_e32 v19, 2
	s_addc_u32 s37, s31, s37
	v_mov_b32_e32 v20, 0
	global_store_dwordx2 v20, v[18:19], s[36:37]
	ds_write_b64 v20, v[16:17] offset:10240
.LBB2485_56:
	s_or_b64 exec, exec, s[34:35]
	s_and_b64 exec, exec, s[0:1]
	s_cbranch_execz .LBB2485_58
; %bb.57:
	v_mov_b32_e32 v16, 0
	ds_write_b32 v16, v17 offset:12
.LBB2485_58:
	s_or_b64 exec, exec, s[24:25]
	v_mov_b32_e32 v16, 0
	s_waitcnt lgkmcnt(0)
	s_barrier
	ds_read_b32 v17, v16 offset:12
	v_cndmask_b32_e64 v18, v43, v42, s[18:19]
	v_cndmask_b32_e64 v18, v18, 0, s[0:1]
	s_waitcnt lgkmcnt(0)
	s_barrier
	v_add_u32_e32 v43, v17, v18
	v_add_u32_sdwa v42, v43, v30 dst_sel:DWORD dst_unused:UNUSED_PAD src0_sel:DWORD src1_sel:BYTE_0
	v_add_u32_sdwa v25, v42, v30 dst_sel:DWORD dst_unused:UNUSED_PAD src0_sel:DWORD src1_sel:BYTE_1
	v_add_u32_e32 v24, v25, v34
	v_add_u32_e32 v23, v24, v32
	;; [unrolled: 1-line block ×3, first 2 shown]
	ds_read_b64 v[16:17], v16 offset:10240
	v_add_u32_e32 v21, v22, v36
	v_add_u32_e32 v20, v21, v37
	;; [unrolled: 1-line block ×4, first 2 shown]
	s_branch .LBB2485_69
.LBB2485_59:
                                        ; implicit-def: $vgpr17
                                        ; implicit-def: $vgpr18
                                        ; implicit-def: $vgpr19
                                        ; implicit-def: $vgpr20
                                        ; implicit-def: $vgpr21
                                        ; implicit-def: $vgpr22
                                        ; implicit-def: $vgpr23
                                        ; implicit-def: $vgpr24
                                        ; implicit-def: $vgpr25
                                        ; implicit-def: $vgpr42
                                        ; implicit-def: $vgpr43
	s_cbranch_execz .LBB2485_69
; %bb.60:
	s_waitcnt lgkmcnt(0)
	v_mov_b32_dpp v16, v41 row_shr:1 row_mask:0xf bank_mask:0xf
	v_cndmask_b32_e64 v16, v16, 0, s[16:17]
	v_add_u32_e32 v16, v16, v41
	s_nop 1
	v_mov_b32_dpp v17, v16 row_shr:2 row_mask:0xf bank_mask:0xf
	v_cndmask_b32_e64 v17, 0, v17, s[14:15]
	v_add_u32_e32 v16, v16, v17
	s_nop 1
	v_mov_b32_dpp v17, v16 row_shr:4 row_mask:0xf bank_mask:0xf
	v_cndmask_b32_e64 v17, 0, v17, s[12:13]
	v_add_u32_e32 v16, v16, v17
	s_nop 1
	v_mov_b32_dpp v17, v16 row_shr:8 row_mask:0xf bank_mask:0xf
	v_cndmask_b32_e64 v17, 0, v17, s[10:11]
	v_add_u32_e32 v16, v16, v17
	s_nop 1
	v_mov_b32_dpp v17, v16 row_bcast:15 row_mask:0xf bank_mask:0xf
	v_cndmask_b32_e64 v17, v17, 0, s[8:9]
	v_add_u32_e32 v16, v16, v17
	s_nop 1
	v_mov_b32_dpp v17, v16 row_bcast:31 row_mask:0xf bank_mask:0xf
	v_cndmask_b32_e64 v17, 0, v17, s[4:5]
	v_add_u32_e32 v16, v16, v17
	s_and_saveexec_b64 s[4:5], s[6:7]
	s_cbranch_execz .LBB2485_62
; %bb.61:
	v_lshlrev_b32_e32 v17, 2, v40
	ds_write_b32 v17, v16
.LBB2485_62:
	s_or_b64 exec, exec, s[4:5]
	v_cmp_gt_u32_e32 vcc, 4, v0
	s_waitcnt lgkmcnt(0)
	s_barrier
	s_and_saveexec_b64 s[4:5], vcc
	s_cbranch_execz .LBB2485_64
; %bb.63:
	s_movk_i32 s6, 0xffdc
	v_mad_i32_i24 v17, v0, s6, v33
	ds_read_b32 v18, v17
	v_and_b32_e32 v19, 3, v39
	v_cmp_ne_u32_e32 vcc, 0, v19
	s_waitcnt lgkmcnt(0)
	v_mov_b32_dpp v20, v18 row_shr:1 row_mask:0xf bank_mask:0xf
	v_cndmask_b32_e32 v20, 0, v20, vcc
	v_add_u32_e32 v18, v20, v18
	v_cmp_lt_u32_e32 vcc, 1, v19
	s_nop 0
	v_mov_b32_dpp v20, v18 row_shr:2 row_mask:0xf bank_mask:0xf
	v_cndmask_b32_e32 v19, 0, v20, vcc
	v_add_u32_e32 v18, v18, v19
	ds_write_b32 v17, v18
.LBB2485_64:
	s_or_b64 exec, exec, s[4:5]
	v_cmp_lt_u32_e32 vcc, 63, v0
	v_mov_b32_e32 v17, 0
	v_mov_b32_e32 v18, 0
	s_waitcnt lgkmcnt(0)
	s_barrier
	s_and_saveexec_b64 s[4:5], vcc
	s_cbranch_execz .LBB2485_66
; %bb.65:
	v_lshl_add_u32 v18, v40, 2, -4
	ds_read_b32 v18, v18
.LBB2485_66:
	s_or_b64 exec, exec, s[4:5]
	v_add_u32_e32 v19, -1, v39
	v_and_b32_e32 v20, 64, v39
	v_cmp_lt_i32_e32 vcc, v19, v20
	v_cndmask_b32_e32 v19, v19, v39, vcc
	s_waitcnt lgkmcnt(0)
	v_add_u32_e32 v16, v18, v16
	v_lshlrev_b32_e32 v19, 2, v19
	ds_bpermute_b32 v19, v19, v16
	ds_read_b32 v16, v17 offset:12
	s_and_saveexec_b64 s[4:5], s[0:1]
	s_cbranch_execz .LBB2485_68
; %bb.67:
	v_mov_b32_e32 v20, 0
	v_mov_b32_e32 v17, 2
	s_waitcnt lgkmcnt(0)
	global_store_dwordx2 v20, v[16:17], s[30:31] offset:512
.LBB2485_68:
	s_or_b64 exec, exec, s[4:5]
	v_cmp_eq_u32_e32 vcc, 0, v39
	s_waitcnt lgkmcnt(1)
	v_cndmask_b32_e32 v18, v19, v18, vcc
	v_cndmask_b32_e64 v43, v18, 0, s[0:1]
	v_add_u32_sdwa v42, v43, v30 dst_sel:DWORD dst_unused:UNUSED_PAD src0_sel:DWORD src1_sel:BYTE_0
	v_add_u32_sdwa v25, v42, v30 dst_sel:DWORD dst_unused:UNUSED_PAD src0_sel:DWORD src1_sel:BYTE_1
	v_add_u32_e32 v24, v25, v34
	v_add_u32_e32 v23, v24, v32
	;; [unrolled: 1-line block ×6, first 2 shown]
	v_mov_b32_e32 v17, 0
	v_add_u32_e32 v18, v19, v38
	s_waitcnt lgkmcnt(0)
	s_barrier
.LBB2485_69:
	s_waitcnt lgkmcnt(0)
	v_add_u32_e32 v27, v16, v27
	v_sub_u32_e32 v35, v43, v17
	v_and_b32_e32 v37, 1, v30
	v_sub_u32_e32 v36, v27, v35
	v_cmp_eq_u32_e32 vcc, 1, v37
	v_cndmask_b32_e32 v35, v36, v35, vcc
	v_lshlrev_b32_e32 v35, 2, v35
	v_lshrrev_b32_e32 v34, 8, v30
	ds_write_b32 v35, v6
	v_sub_u32_e32 v6, v42, v17
	v_sub_u32_e32 v35, v27, v6
	v_and_b32_e32 v34, 1, v34
	v_add_u32_e32 v35, 1, v35
	v_cmp_eq_u32_e32 vcc, 1, v34
	v_cndmask_b32_e32 v6, v35, v6, vcc
	v_lshlrev_b32_e32 v6, 2, v6
	ds_write_b32 v6, v7
	v_sub_u32_e32 v6, v25, v17
	v_mov_b32_e32 v25, 1
	v_sub_u32_e32 v7, v27, v6
	v_and_b32_sdwa v30, v25, v30 dst_sel:DWORD dst_unused:UNUSED_PAD src0_sel:DWORD src1_sel:WORD_1
	v_add_u32_e32 v7, 2, v7
	v_cmp_eq_u32_e32 vcc, 1, v30
	v_cndmask_b32_e32 v6, v7, v6, vcc
	v_lshlrev_b32_e32 v6, 2, v6
	ds_write_b32 v6, v8
	v_sub_u32_e32 v6, v24, v17
	v_sub_u32_e32 v7, v27, v6
	v_and_b32_e32 v8, 1, v32
	v_add_u32_e32 v7, 3, v7
	v_cmp_eq_u32_e32 vcc, 1, v8
	v_cndmask_b32_e32 v6, v7, v6, vcc
	v_lshlrev_b32_e32 v6, 2, v6
	ds_write_b32 v6, v9
	v_sub_u32_e32 v6, v23, v17
	v_sub_u32_e32 v7, v27, v6
	v_and_b32_e32 v8, 1, v29
	v_add_u32_e32 v7, 4, v7
	v_cmp_eq_u32_e32 vcc, 1, v8
	v_cndmask_b32_e32 v6, v7, v6, vcc
	v_lshlrev_b32_e32 v6, 2, v6
	v_lshrrev_b32_e32 v33, 8, v29
	ds_write_b32 v6, v2
	v_sub_u32_e32 v2, v22, v17
	v_sub_u32_e32 v6, v27, v2
	v_and_b32_e32 v7, 1, v33
	v_add_u32_e32 v6, 5, v6
	v_cmp_eq_u32_e32 vcc, 1, v7
	v_cndmask_b32_e32 v2, v6, v2, vcc
	v_lshlrev_b32_e32 v2, 2, v2
	ds_write_b32 v2, v3
	v_sub_u32_e32 v2, v21, v17
	v_sub_u32_e32 v3, v27, v2
	v_and_b32_sdwa v6, v25, v29 dst_sel:DWORD dst_unused:UNUSED_PAD src0_sel:DWORD src1_sel:WORD_1
	v_add_u32_e32 v3, 6, v3
	v_cmp_eq_u32_e32 vcc, 1, v6
	v_cndmask_b32_e32 v2, v3, v2, vcc
	v_lshlrev_b32_e32 v2, 2, v2
	ds_write_b32 v2, v4
	v_sub_u32_e32 v2, v20, v17
	v_sub_u32_e32 v3, v27, v2
	v_and_b32_e32 v4, 1, v31
	v_add_u32_e32 v3, 7, v3
	v_cmp_eq_u32_e32 vcc, 1, v4
	v_cndmask_b32_e32 v2, v3, v2, vcc
	v_lshlrev_b32_e32 v2, 2, v2
	ds_write_b32 v2, v5
	v_sub_u32_e32 v2, v19, v17
	v_sub_u32_e32 v3, v27, v2
	v_and_b32_e32 v4, 1, v28
	;; [unrolled: 8-line block ×3, first 2 shown]
	v_add_u32_e32 v3, 9, v3
	v_cmp_eq_u32_e32 vcc, 1, v1
	v_cndmask_b32_e32 v1, v3, v2, vcc
	v_lshlrev_b32_e32 v1, 2, v1
	ds_write_b32 v1, v11
	s_waitcnt vmcnt(0)
	v_add_co_u32_e32 v1, vcc, v12, v16
	v_addc_co_u32_e32 v3, vcc, 0, v13, vcc
	v_add_co_u32_e32 v2, vcc, v1, v17
	v_addc_co_u32_e32 v3, vcc, 0, v3, vcc
	v_mov_b32_e32 v1, s27
	v_sub_co_u32_e32 v12, vcc, s26, v2
	v_subb_co_u32_e32 v13, vcc, v1, v3, vcc
	v_lshlrev_b64 v[12:13], 2, v[12:13]
	s_waitcnt lgkmcnt(0)
	s_barrier
	ds_read2st64_b32 v[20:21], v26 offset1:4
	ds_read2st64_b32 v[18:19], v26 offset0:8 offset1:12
	ds_read2st64_b32 v[10:11], v26 offset0:16 offset1:20
	;; [unrolled: 1-line block ×4, first 2 shown]
	v_mov_b32_e32 v1, s29
	v_add_co_u32_e32 v6, vcc, s28, v12
	v_addc_co_u32_e32 v1, vcc, v1, v13, vcc
	v_add_co_u32_e32 v6, vcc, v6, v14
	v_addc_co_u32_e32 v1, vcc, v1, v15, vcc
	v_or_b32_e32 v30, 0x100, v0
	v_or_b32_e32 v29, 0x200, v0
	;; [unrolled: 1-line block ×9, first 2 shown]
	s_and_b64 vcc, exec, s[2:3]
	v_cmp_le_u32_e64 s[2:3], v16, v0
	s_cbranch_vccnz .LBB2485_81
; %bb.70:
	s_and_saveexec_b64 s[4:5], s[2:3]
	s_cbranch_execnz .LBB2485_106
; %bb.71:
	s_or_b64 exec, exec, s[4:5]
	v_cmp_ge_u32_e32 vcc, v30, v16
	s_and_saveexec_b64 s[2:3], vcc
	s_cbranch_execnz .LBB2485_107
.LBB2485_72:
	s_or_b64 exec, exec, s[2:3]
	v_cmp_ge_u32_e32 vcc, v29, v16
	s_and_saveexec_b64 s[2:3], vcc
	s_cbranch_execnz .LBB2485_108
.LBB2485_73:
	s_or_b64 exec, exec, s[2:3]
	v_cmp_ge_u32_e32 vcc, v28, v16
	s_and_saveexec_b64 s[2:3], vcc
	s_cbranch_execnz .LBB2485_109
.LBB2485_74:
	s_or_b64 exec, exec, s[2:3]
	v_cmp_ge_u32_e32 vcc, v27, v16
	s_and_saveexec_b64 s[2:3], vcc
	s_cbranch_execnz .LBB2485_110
.LBB2485_75:
	s_or_b64 exec, exec, s[2:3]
	v_cmp_ge_u32_e32 vcc, v25, v16
	s_and_saveexec_b64 s[2:3], vcc
	s_cbranch_execnz .LBB2485_111
.LBB2485_76:
	s_or_b64 exec, exec, s[2:3]
	v_cmp_ge_u32_e32 vcc, v24, v16
	s_and_saveexec_b64 s[2:3], vcc
	s_cbranch_execnz .LBB2485_112
.LBB2485_77:
	s_or_b64 exec, exec, s[2:3]
	v_cmp_ge_u32_e32 vcc, v23, v16
	s_and_saveexec_b64 s[2:3], vcc
	s_cbranch_execnz .LBB2485_113
.LBB2485_78:
	s_or_b64 exec, exec, s[2:3]
	v_cmp_ge_u32_e32 vcc, v22, v16
	s_and_saveexec_b64 s[2:3], vcc
	s_cbranch_execz .LBB2485_80
.LBB2485_79:
	v_lshlrev_b32_e32 v12, 2, v22
	v_readfirstlane_b32 s4, v6
	v_readfirstlane_b32 s5, v1
	s_waitcnt lgkmcnt(0)
	s_nop 3
	global_store_dword v12, v4, s[4:5]
.LBB2485_80:
	s_or_b64 exec, exec, s[2:3]
	v_cmp_ge_u32_e64 s[2:3], v7, v16
	s_branch .LBB2485_101
.LBB2485_81:
	s_mov_b64 s[2:3], 0
	s_cbranch_execz .LBB2485_101
; %bb.82:
	v_cmp_gt_u32_e32 vcc, s33, v0
	v_cmp_le_u32_e64 s[2:3], v16, v0
	s_and_b64 s[4:5], vcc, s[2:3]
	s_and_saveexec_b64 s[2:3], s[4:5]
	s_cbranch_execz .LBB2485_84
; %bb.83:
	v_readfirstlane_b32 s4, v6
	v_readfirstlane_b32 s5, v1
	s_waitcnt lgkmcnt(4)
	s_nop 3
	global_store_dword v26, v20, s[4:5]
.LBB2485_84:
	s_or_b64 exec, exec, s[2:3]
	v_cmp_gt_u32_e32 vcc, s33, v30
	v_cmp_ge_u32_e64 s[2:3], v30, v16
	s_and_b64 s[4:5], vcc, s[2:3]
	s_and_saveexec_b64 s[2:3], s[4:5]
	s_cbranch_execz .LBB2485_86
; %bb.85:
	v_readfirstlane_b32 s4, v6
	v_readfirstlane_b32 s5, v1
	s_waitcnt lgkmcnt(4)
	s_nop 3
	global_store_dword v26, v21, s[4:5] offset:1024
.LBB2485_86:
	s_or_b64 exec, exec, s[2:3]
	v_cmp_gt_u32_e32 vcc, s33, v29
	v_cmp_ge_u32_e64 s[2:3], v29, v16
	s_and_b64 s[4:5], vcc, s[2:3]
	s_and_saveexec_b64 s[2:3], s[4:5]
	s_cbranch_execz .LBB2485_88
; %bb.87:
	v_readfirstlane_b32 s4, v6
	v_readfirstlane_b32 s5, v1
	s_waitcnt lgkmcnt(3)
	s_nop 3
	global_store_dword v26, v18, s[4:5] offset:2048
.LBB2485_88:
	;; [unrolled: 13-line block ×3, first 2 shown]
	s_or_b64 exec, exec, s[2:3]
	v_cmp_gt_u32_e32 vcc, s33, v27
	v_cmp_ge_u32_e64 s[2:3], v27, v16
	s_and_b64 s[4:5], vcc, s[2:3]
	s_and_saveexec_b64 s[2:3], s[4:5]
	s_cbranch_execz .LBB2485_92
; %bb.91:
	v_lshlrev_b32_e32 v0, 2, v27
	v_readfirstlane_b32 s4, v6
	v_readfirstlane_b32 s5, v1
	s_waitcnt lgkmcnt(2)
	s_nop 3
	global_store_dword v0, v10, s[4:5]
.LBB2485_92:
	s_or_b64 exec, exec, s[2:3]
	v_cmp_gt_u32_e32 vcc, s33, v25
	v_cmp_ge_u32_e64 s[2:3], v25, v16
	s_and_b64 s[4:5], vcc, s[2:3]
	s_and_saveexec_b64 s[2:3], s[4:5]
	s_cbranch_execz .LBB2485_94
; %bb.93:
	v_lshlrev_b32_e32 v0, 2, v25
	v_readfirstlane_b32 s4, v6
	v_readfirstlane_b32 s5, v1
	s_waitcnt lgkmcnt(2)
	s_nop 3
	global_store_dword v0, v11, s[4:5]
.LBB2485_94:
	;; [unrolled: 14-line block ×5, first 2 shown]
	s_or_b64 exec, exec, s[2:3]
	v_cmp_gt_u32_e32 vcc, s33, v7
	v_cmp_ge_u32_e64 s[2:3], v7, v16
	s_and_b64 s[2:3], vcc, s[2:3]
.LBB2485_101:
	s_and_saveexec_b64 s[4:5], s[2:3]
	s_cbranch_execnz .LBB2485_104
; %bb.102:
	s_or_b64 exec, exec, s[4:5]
	s_and_b64 s[0:1], s[0:1], s[22:23]
	s_and_saveexec_b64 s[2:3], s[0:1]
	s_cbranch_execnz .LBB2485_105
.LBB2485_103:
	s_endpgm
.LBB2485_104:
	v_lshlrev_b32_e32 v0, 2, v7
	v_readfirstlane_b32 s2, v6
	v_readfirstlane_b32 s3, v1
	s_waitcnt lgkmcnt(0)
	s_nop 3
	global_store_dword v0, v5, s[2:3]
	s_or_b64 exec, exec, s[4:5]
	s_and_b64 s[0:1], s[0:1], s[22:23]
	s_and_saveexec_b64 s[2:3], s[0:1]
	s_cbranch_execz .LBB2485_103
.LBB2485_105:
	v_mov_b32_e32 v0, 0
	global_store_dwordx2 v0, v[2:3], s[20:21]
	s_endpgm
.LBB2485_106:
	v_readfirstlane_b32 s2, v6
	v_readfirstlane_b32 s3, v1
	s_waitcnt lgkmcnt(4)
	s_nop 3
	global_store_dword v26, v20, s[2:3]
	s_or_b64 exec, exec, s[4:5]
	v_cmp_ge_u32_e32 vcc, v30, v16
	s_and_saveexec_b64 s[2:3], vcc
	s_cbranch_execz .LBB2485_72
.LBB2485_107:
	v_readfirstlane_b32 s4, v6
	v_readfirstlane_b32 s5, v1
	s_waitcnt lgkmcnt(4)
	s_nop 3
	global_store_dword v26, v21, s[4:5] offset:1024
	s_or_b64 exec, exec, s[2:3]
	v_cmp_ge_u32_e32 vcc, v29, v16
	s_and_saveexec_b64 s[2:3], vcc
	s_cbranch_execz .LBB2485_73
.LBB2485_108:
	v_readfirstlane_b32 s4, v6
	v_readfirstlane_b32 s5, v1
	s_waitcnt lgkmcnt(3)
	s_nop 3
	global_store_dword v26, v18, s[4:5] offset:2048
	s_or_b64 exec, exec, s[2:3]
	v_cmp_ge_u32_e32 vcc, v28, v16
	s_and_saveexec_b64 s[2:3], vcc
	s_cbranch_execz .LBB2485_74
.LBB2485_109:
	v_readfirstlane_b32 s4, v6
	v_readfirstlane_b32 s5, v1
	s_waitcnt lgkmcnt(3)
	s_nop 3
	global_store_dword v26, v19, s[4:5] offset:3072
	s_or_b64 exec, exec, s[2:3]
	v_cmp_ge_u32_e32 vcc, v27, v16
	s_and_saveexec_b64 s[2:3], vcc
	s_cbranch_execz .LBB2485_75
.LBB2485_110:
	v_lshlrev_b32_e32 v12, 2, v27
	v_readfirstlane_b32 s4, v6
	v_readfirstlane_b32 s5, v1
	s_waitcnt lgkmcnt(2)
	s_nop 3
	global_store_dword v12, v10, s[4:5]
	s_or_b64 exec, exec, s[2:3]
	v_cmp_ge_u32_e32 vcc, v25, v16
	s_and_saveexec_b64 s[2:3], vcc
	s_cbranch_execz .LBB2485_76
.LBB2485_111:
	v_lshlrev_b32_e32 v12, 2, v25
	v_readfirstlane_b32 s4, v6
	v_readfirstlane_b32 s5, v1
	s_waitcnt lgkmcnt(2)
	s_nop 3
	global_store_dword v12, v11, s[4:5]
	s_or_b64 exec, exec, s[2:3]
	v_cmp_ge_u32_e32 vcc, v24, v16
	s_and_saveexec_b64 s[2:3], vcc
	s_cbranch_execz .LBB2485_77
.LBB2485_112:
	v_lshlrev_b32_e32 v12, 2, v24
	v_readfirstlane_b32 s4, v6
	v_readfirstlane_b32 s5, v1
	s_waitcnt lgkmcnt(1)
	s_nop 3
	global_store_dword v12, v8, s[4:5]
	s_or_b64 exec, exec, s[2:3]
	v_cmp_ge_u32_e32 vcc, v23, v16
	s_and_saveexec_b64 s[2:3], vcc
	s_cbranch_execz .LBB2485_78
.LBB2485_113:
	v_lshlrev_b32_e32 v12, 2, v23
	v_readfirstlane_b32 s4, v6
	v_readfirstlane_b32 s5, v1
	s_waitcnt lgkmcnt(1)
	s_nop 3
	global_store_dword v12, v9, s[4:5]
	s_or_b64 exec, exec, s[2:3]
	v_cmp_ge_u32_e32 vcc, v22, v16
	s_and_saveexec_b64 s[2:3], vcc
	s_cbranch_execnz .LBB2485_79
	s_branch .LBB2485_80
	.section	.rodata,"a",@progbits
	.p2align	6, 0x0
	.amdhsa_kernel _ZN7rocprim17ROCPRIM_400000_NS6detail17trampoline_kernelINS0_14default_configENS1_25partition_config_selectorILNS1_17partition_subalgoE0EjNS0_10empty_typeEbEEZZNS1_14partition_implILS5_0ELb0ES3_jN6thrust23THRUST_200600_302600_NS6detail15normal_iteratorINSA_10device_ptrIjEEEEPS6_SG_NS0_5tupleIJNSA_16discard_iteratorINSA_11use_defaultEEESF_EEENSH_IJSG_SG_EEES6_PlJ7is_evenIjEEEE10hipError_tPvRmT3_T4_T5_T6_T7_T9_mT8_P12ihipStream_tbDpT10_ENKUlT_T0_E_clISt17integral_constantIbLb0EES18_IbLb1EEEEDaS14_S15_EUlS14_E_NS1_11comp_targetILNS1_3genE4ELNS1_11target_archE910ELNS1_3gpuE8ELNS1_3repE0EEENS1_30default_config_static_selectorELNS0_4arch9wavefront6targetE1EEEvT1_
		.amdhsa_group_segment_fixed_size 10248
		.amdhsa_private_segment_fixed_size 0
		.amdhsa_kernarg_size 144
		.amdhsa_user_sgpr_count 6
		.amdhsa_user_sgpr_private_segment_buffer 1
		.amdhsa_user_sgpr_dispatch_ptr 0
		.amdhsa_user_sgpr_queue_ptr 0
		.amdhsa_user_sgpr_kernarg_segment_ptr 1
		.amdhsa_user_sgpr_dispatch_id 0
		.amdhsa_user_sgpr_flat_scratch_init 0
		.amdhsa_user_sgpr_kernarg_preload_length 0
		.amdhsa_user_sgpr_kernarg_preload_offset 0
		.amdhsa_user_sgpr_private_segment_size 0
		.amdhsa_uses_dynamic_stack 0
		.amdhsa_system_sgpr_private_segment_wavefront_offset 0
		.amdhsa_system_sgpr_workgroup_id_x 1
		.amdhsa_system_sgpr_workgroup_id_y 0
		.amdhsa_system_sgpr_workgroup_id_z 0
		.amdhsa_system_sgpr_workgroup_info 0
		.amdhsa_system_vgpr_workitem_id 0
		.amdhsa_next_free_vgpr 58
		.amdhsa_next_free_sgpr 42
		.amdhsa_accum_offset 60
		.amdhsa_reserve_vcc 1
		.amdhsa_reserve_flat_scratch 0
		.amdhsa_float_round_mode_32 0
		.amdhsa_float_round_mode_16_64 0
		.amdhsa_float_denorm_mode_32 3
		.amdhsa_float_denorm_mode_16_64 3
		.amdhsa_dx10_clamp 1
		.amdhsa_ieee_mode 1
		.amdhsa_fp16_overflow 0
		.amdhsa_tg_split 0
		.amdhsa_exception_fp_ieee_invalid_op 0
		.amdhsa_exception_fp_denorm_src 0
		.amdhsa_exception_fp_ieee_div_zero 0
		.amdhsa_exception_fp_ieee_overflow 0
		.amdhsa_exception_fp_ieee_underflow 0
		.amdhsa_exception_fp_ieee_inexact 0
		.amdhsa_exception_int_div_zero 0
	.end_amdhsa_kernel
	.section	.text._ZN7rocprim17ROCPRIM_400000_NS6detail17trampoline_kernelINS0_14default_configENS1_25partition_config_selectorILNS1_17partition_subalgoE0EjNS0_10empty_typeEbEEZZNS1_14partition_implILS5_0ELb0ES3_jN6thrust23THRUST_200600_302600_NS6detail15normal_iteratorINSA_10device_ptrIjEEEEPS6_SG_NS0_5tupleIJNSA_16discard_iteratorINSA_11use_defaultEEESF_EEENSH_IJSG_SG_EEES6_PlJ7is_evenIjEEEE10hipError_tPvRmT3_T4_T5_T6_T7_T9_mT8_P12ihipStream_tbDpT10_ENKUlT_T0_E_clISt17integral_constantIbLb0EES18_IbLb1EEEEDaS14_S15_EUlS14_E_NS1_11comp_targetILNS1_3genE4ELNS1_11target_archE910ELNS1_3gpuE8ELNS1_3repE0EEENS1_30default_config_static_selectorELNS0_4arch9wavefront6targetE1EEEvT1_,"axG",@progbits,_ZN7rocprim17ROCPRIM_400000_NS6detail17trampoline_kernelINS0_14default_configENS1_25partition_config_selectorILNS1_17partition_subalgoE0EjNS0_10empty_typeEbEEZZNS1_14partition_implILS5_0ELb0ES3_jN6thrust23THRUST_200600_302600_NS6detail15normal_iteratorINSA_10device_ptrIjEEEEPS6_SG_NS0_5tupleIJNSA_16discard_iteratorINSA_11use_defaultEEESF_EEENSH_IJSG_SG_EEES6_PlJ7is_evenIjEEEE10hipError_tPvRmT3_T4_T5_T6_T7_T9_mT8_P12ihipStream_tbDpT10_ENKUlT_T0_E_clISt17integral_constantIbLb0EES18_IbLb1EEEEDaS14_S15_EUlS14_E_NS1_11comp_targetILNS1_3genE4ELNS1_11target_archE910ELNS1_3gpuE8ELNS1_3repE0EEENS1_30default_config_static_selectorELNS0_4arch9wavefront6targetE1EEEvT1_,comdat
.Lfunc_end2485:
	.size	_ZN7rocprim17ROCPRIM_400000_NS6detail17trampoline_kernelINS0_14default_configENS1_25partition_config_selectorILNS1_17partition_subalgoE0EjNS0_10empty_typeEbEEZZNS1_14partition_implILS5_0ELb0ES3_jN6thrust23THRUST_200600_302600_NS6detail15normal_iteratorINSA_10device_ptrIjEEEEPS6_SG_NS0_5tupleIJNSA_16discard_iteratorINSA_11use_defaultEEESF_EEENSH_IJSG_SG_EEES6_PlJ7is_evenIjEEEE10hipError_tPvRmT3_T4_T5_T6_T7_T9_mT8_P12ihipStream_tbDpT10_ENKUlT_T0_E_clISt17integral_constantIbLb0EES18_IbLb1EEEEDaS14_S15_EUlS14_E_NS1_11comp_targetILNS1_3genE4ELNS1_11target_archE910ELNS1_3gpuE8ELNS1_3repE0EEENS1_30default_config_static_selectorELNS0_4arch9wavefront6targetE1EEEvT1_, .Lfunc_end2485-_ZN7rocprim17ROCPRIM_400000_NS6detail17trampoline_kernelINS0_14default_configENS1_25partition_config_selectorILNS1_17partition_subalgoE0EjNS0_10empty_typeEbEEZZNS1_14partition_implILS5_0ELb0ES3_jN6thrust23THRUST_200600_302600_NS6detail15normal_iteratorINSA_10device_ptrIjEEEEPS6_SG_NS0_5tupleIJNSA_16discard_iteratorINSA_11use_defaultEEESF_EEENSH_IJSG_SG_EEES6_PlJ7is_evenIjEEEE10hipError_tPvRmT3_T4_T5_T6_T7_T9_mT8_P12ihipStream_tbDpT10_ENKUlT_T0_E_clISt17integral_constantIbLb0EES18_IbLb1EEEEDaS14_S15_EUlS14_E_NS1_11comp_targetILNS1_3genE4ELNS1_11target_archE910ELNS1_3gpuE8ELNS1_3repE0EEENS1_30default_config_static_selectorELNS0_4arch9wavefront6targetE1EEEvT1_
                                        ; -- End function
	.section	.AMDGPU.csdata,"",@progbits
; Kernel info:
; codeLenInByte = 5220
; NumSgprs: 46
; NumVgprs: 58
; NumAgprs: 0
; TotalNumVgprs: 58
; ScratchSize: 0
; MemoryBound: 0
; FloatMode: 240
; IeeeMode: 1
; LDSByteSize: 10248 bytes/workgroup (compile time only)
; SGPRBlocks: 5
; VGPRBlocks: 7
; NumSGPRsForWavesPerEU: 46
; NumVGPRsForWavesPerEU: 58
; AccumOffset: 60
; Occupancy: 6
; WaveLimiterHint : 1
; COMPUTE_PGM_RSRC2:SCRATCH_EN: 0
; COMPUTE_PGM_RSRC2:USER_SGPR: 6
; COMPUTE_PGM_RSRC2:TRAP_HANDLER: 0
; COMPUTE_PGM_RSRC2:TGID_X_EN: 1
; COMPUTE_PGM_RSRC2:TGID_Y_EN: 0
; COMPUTE_PGM_RSRC2:TGID_Z_EN: 0
; COMPUTE_PGM_RSRC2:TIDIG_COMP_CNT: 0
; COMPUTE_PGM_RSRC3_GFX90A:ACCUM_OFFSET: 14
; COMPUTE_PGM_RSRC3_GFX90A:TG_SPLIT: 0
	.section	.text._ZN7rocprim17ROCPRIM_400000_NS6detail17trampoline_kernelINS0_14default_configENS1_25partition_config_selectorILNS1_17partition_subalgoE0EjNS0_10empty_typeEbEEZZNS1_14partition_implILS5_0ELb0ES3_jN6thrust23THRUST_200600_302600_NS6detail15normal_iteratorINSA_10device_ptrIjEEEEPS6_SG_NS0_5tupleIJNSA_16discard_iteratorINSA_11use_defaultEEESF_EEENSH_IJSG_SG_EEES6_PlJ7is_evenIjEEEE10hipError_tPvRmT3_T4_T5_T6_T7_T9_mT8_P12ihipStream_tbDpT10_ENKUlT_T0_E_clISt17integral_constantIbLb0EES18_IbLb1EEEEDaS14_S15_EUlS14_E_NS1_11comp_targetILNS1_3genE3ELNS1_11target_archE908ELNS1_3gpuE7ELNS1_3repE0EEENS1_30default_config_static_selectorELNS0_4arch9wavefront6targetE1EEEvT1_,"axG",@progbits,_ZN7rocprim17ROCPRIM_400000_NS6detail17trampoline_kernelINS0_14default_configENS1_25partition_config_selectorILNS1_17partition_subalgoE0EjNS0_10empty_typeEbEEZZNS1_14partition_implILS5_0ELb0ES3_jN6thrust23THRUST_200600_302600_NS6detail15normal_iteratorINSA_10device_ptrIjEEEEPS6_SG_NS0_5tupleIJNSA_16discard_iteratorINSA_11use_defaultEEESF_EEENSH_IJSG_SG_EEES6_PlJ7is_evenIjEEEE10hipError_tPvRmT3_T4_T5_T6_T7_T9_mT8_P12ihipStream_tbDpT10_ENKUlT_T0_E_clISt17integral_constantIbLb0EES18_IbLb1EEEEDaS14_S15_EUlS14_E_NS1_11comp_targetILNS1_3genE3ELNS1_11target_archE908ELNS1_3gpuE7ELNS1_3repE0EEENS1_30default_config_static_selectorELNS0_4arch9wavefront6targetE1EEEvT1_,comdat
	.protected	_ZN7rocprim17ROCPRIM_400000_NS6detail17trampoline_kernelINS0_14default_configENS1_25partition_config_selectorILNS1_17partition_subalgoE0EjNS0_10empty_typeEbEEZZNS1_14partition_implILS5_0ELb0ES3_jN6thrust23THRUST_200600_302600_NS6detail15normal_iteratorINSA_10device_ptrIjEEEEPS6_SG_NS0_5tupleIJNSA_16discard_iteratorINSA_11use_defaultEEESF_EEENSH_IJSG_SG_EEES6_PlJ7is_evenIjEEEE10hipError_tPvRmT3_T4_T5_T6_T7_T9_mT8_P12ihipStream_tbDpT10_ENKUlT_T0_E_clISt17integral_constantIbLb0EES18_IbLb1EEEEDaS14_S15_EUlS14_E_NS1_11comp_targetILNS1_3genE3ELNS1_11target_archE908ELNS1_3gpuE7ELNS1_3repE0EEENS1_30default_config_static_selectorELNS0_4arch9wavefront6targetE1EEEvT1_ ; -- Begin function _ZN7rocprim17ROCPRIM_400000_NS6detail17trampoline_kernelINS0_14default_configENS1_25partition_config_selectorILNS1_17partition_subalgoE0EjNS0_10empty_typeEbEEZZNS1_14partition_implILS5_0ELb0ES3_jN6thrust23THRUST_200600_302600_NS6detail15normal_iteratorINSA_10device_ptrIjEEEEPS6_SG_NS0_5tupleIJNSA_16discard_iteratorINSA_11use_defaultEEESF_EEENSH_IJSG_SG_EEES6_PlJ7is_evenIjEEEE10hipError_tPvRmT3_T4_T5_T6_T7_T9_mT8_P12ihipStream_tbDpT10_ENKUlT_T0_E_clISt17integral_constantIbLb0EES18_IbLb1EEEEDaS14_S15_EUlS14_E_NS1_11comp_targetILNS1_3genE3ELNS1_11target_archE908ELNS1_3gpuE7ELNS1_3repE0EEENS1_30default_config_static_selectorELNS0_4arch9wavefront6targetE1EEEvT1_
	.globl	_ZN7rocprim17ROCPRIM_400000_NS6detail17trampoline_kernelINS0_14default_configENS1_25partition_config_selectorILNS1_17partition_subalgoE0EjNS0_10empty_typeEbEEZZNS1_14partition_implILS5_0ELb0ES3_jN6thrust23THRUST_200600_302600_NS6detail15normal_iteratorINSA_10device_ptrIjEEEEPS6_SG_NS0_5tupleIJNSA_16discard_iteratorINSA_11use_defaultEEESF_EEENSH_IJSG_SG_EEES6_PlJ7is_evenIjEEEE10hipError_tPvRmT3_T4_T5_T6_T7_T9_mT8_P12ihipStream_tbDpT10_ENKUlT_T0_E_clISt17integral_constantIbLb0EES18_IbLb1EEEEDaS14_S15_EUlS14_E_NS1_11comp_targetILNS1_3genE3ELNS1_11target_archE908ELNS1_3gpuE7ELNS1_3repE0EEENS1_30default_config_static_selectorELNS0_4arch9wavefront6targetE1EEEvT1_
	.p2align	8
	.type	_ZN7rocprim17ROCPRIM_400000_NS6detail17trampoline_kernelINS0_14default_configENS1_25partition_config_selectorILNS1_17partition_subalgoE0EjNS0_10empty_typeEbEEZZNS1_14partition_implILS5_0ELb0ES3_jN6thrust23THRUST_200600_302600_NS6detail15normal_iteratorINSA_10device_ptrIjEEEEPS6_SG_NS0_5tupleIJNSA_16discard_iteratorINSA_11use_defaultEEESF_EEENSH_IJSG_SG_EEES6_PlJ7is_evenIjEEEE10hipError_tPvRmT3_T4_T5_T6_T7_T9_mT8_P12ihipStream_tbDpT10_ENKUlT_T0_E_clISt17integral_constantIbLb0EES18_IbLb1EEEEDaS14_S15_EUlS14_E_NS1_11comp_targetILNS1_3genE3ELNS1_11target_archE908ELNS1_3gpuE7ELNS1_3repE0EEENS1_30default_config_static_selectorELNS0_4arch9wavefront6targetE1EEEvT1_,@function
_ZN7rocprim17ROCPRIM_400000_NS6detail17trampoline_kernelINS0_14default_configENS1_25partition_config_selectorILNS1_17partition_subalgoE0EjNS0_10empty_typeEbEEZZNS1_14partition_implILS5_0ELb0ES3_jN6thrust23THRUST_200600_302600_NS6detail15normal_iteratorINSA_10device_ptrIjEEEEPS6_SG_NS0_5tupleIJNSA_16discard_iteratorINSA_11use_defaultEEESF_EEENSH_IJSG_SG_EEES6_PlJ7is_evenIjEEEE10hipError_tPvRmT3_T4_T5_T6_T7_T9_mT8_P12ihipStream_tbDpT10_ENKUlT_T0_E_clISt17integral_constantIbLb0EES18_IbLb1EEEEDaS14_S15_EUlS14_E_NS1_11comp_targetILNS1_3genE3ELNS1_11target_archE908ELNS1_3gpuE7ELNS1_3repE0EEENS1_30default_config_static_selectorELNS0_4arch9wavefront6targetE1EEEvT1_: ; @_ZN7rocprim17ROCPRIM_400000_NS6detail17trampoline_kernelINS0_14default_configENS1_25partition_config_selectorILNS1_17partition_subalgoE0EjNS0_10empty_typeEbEEZZNS1_14partition_implILS5_0ELb0ES3_jN6thrust23THRUST_200600_302600_NS6detail15normal_iteratorINSA_10device_ptrIjEEEEPS6_SG_NS0_5tupleIJNSA_16discard_iteratorINSA_11use_defaultEEESF_EEENSH_IJSG_SG_EEES6_PlJ7is_evenIjEEEE10hipError_tPvRmT3_T4_T5_T6_T7_T9_mT8_P12ihipStream_tbDpT10_ENKUlT_T0_E_clISt17integral_constantIbLb0EES18_IbLb1EEEEDaS14_S15_EUlS14_E_NS1_11comp_targetILNS1_3genE3ELNS1_11target_archE908ELNS1_3gpuE7ELNS1_3repE0EEENS1_30default_config_static_selectorELNS0_4arch9wavefront6targetE1EEEvT1_
; %bb.0:
	.section	.rodata,"a",@progbits
	.p2align	6, 0x0
	.amdhsa_kernel _ZN7rocprim17ROCPRIM_400000_NS6detail17trampoline_kernelINS0_14default_configENS1_25partition_config_selectorILNS1_17partition_subalgoE0EjNS0_10empty_typeEbEEZZNS1_14partition_implILS5_0ELb0ES3_jN6thrust23THRUST_200600_302600_NS6detail15normal_iteratorINSA_10device_ptrIjEEEEPS6_SG_NS0_5tupleIJNSA_16discard_iteratorINSA_11use_defaultEEESF_EEENSH_IJSG_SG_EEES6_PlJ7is_evenIjEEEE10hipError_tPvRmT3_T4_T5_T6_T7_T9_mT8_P12ihipStream_tbDpT10_ENKUlT_T0_E_clISt17integral_constantIbLb0EES18_IbLb1EEEEDaS14_S15_EUlS14_E_NS1_11comp_targetILNS1_3genE3ELNS1_11target_archE908ELNS1_3gpuE7ELNS1_3repE0EEENS1_30default_config_static_selectorELNS0_4arch9wavefront6targetE1EEEvT1_
		.amdhsa_group_segment_fixed_size 0
		.amdhsa_private_segment_fixed_size 0
		.amdhsa_kernarg_size 144
		.amdhsa_user_sgpr_count 6
		.amdhsa_user_sgpr_private_segment_buffer 1
		.amdhsa_user_sgpr_dispatch_ptr 0
		.amdhsa_user_sgpr_queue_ptr 0
		.amdhsa_user_sgpr_kernarg_segment_ptr 1
		.amdhsa_user_sgpr_dispatch_id 0
		.amdhsa_user_sgpr_flat_scratch_init 0
		.amdhsa_user_sgpr_kernarg_preload_length 0
		.amdhsa_user_sgpr_kernarg_preload_offset 0
		.amdhsa_user_sgpr_private_segment_size 0
		.amdhsa_uses_dynamic_stack 0
		.amdhsa_system_sgpr_private_segment_wavefront_offset 0
		.amdhsa_system_sgpr_workgroup_id_x 1
		.amdhsa_system_sgpr_workgroup_id_y 0
		.amdhsa_system_sgpr_workgroup_id_z 0
		.amdhsa_system_sgpr_workgroup_info 0
		.amdhsa_system_vgpr_workitem_id 0
		.amdhsa_next_free_vgpr 1
		.amdhsa_next_free_sgpr 0
		.amdhsa_accum_offset 4
		.amdhsa_reserve_vcc 0
		.amdhsa_reserve_flat_scratch 0
		.amdhsa_float_round_mode_32 0
		.amdhsa_float_round_mode_16_64 0
		.amdhsa_float_denorm_mode_32 3
		.amdhsa_float_denorm_mode_16_64 3
		.amdhsa_dx10_clamp 1
		.amdhsa_ieee_mode 1
		.amdhsa_fp16_overflow 0
		.amdhsa_tg_split 0
		.amdhsa_exception_fp_ieee_invalid_op 0
		.amdhsa_exception_fp_denorm_src 0
		.amdhsa_exception_fp_ieee_div_zero 0
		.amdhsa_exception_fp_ieee_overflow 0
		.amdhsa_exception_fp_ieee_underflow 0
		.amdhsa_exception_fp_ieee_inexact 0
		.amdhsa_exception_int_div_zero 0
	.end_amdhsa_kernel
	.section	.text._ZN7rocprim17ROCPRIM_400000_NS6detail17trampoline_kernelINS0_14default_configENS1_25partition_config_selectorILNS1_17partition_subalgoE0EjNS0_10empty_typeEbEEZZNS1_14partition_implILS5_0ELb0ES3_jN6thrust23THRUST_200600_302600_NS6detail15normal_iteratorINSA_10device_ptrIjEEEEPS6_SG_NS0_5tupleIJNSA_16discard_iteratorINSA_11use_defaultEEESF_EEENSH_IJSG_SG_EEES6_PlJ7is_evenIjEEEE10hipError_tPvRmT3_T4_T5_T6_T7_T9_mT8_P12ihipStream_tbDpT10_ENKUlT_T0_E_clISt17integral_constantIbLb0EES18_IbLb1EEEEDaS14_S15_EUlS14_E_NS1_11comp_targetILNS1_3genE3ELNS1_11target_archE908ELNS1_3gpuE7ELNS1_3repE0EEENS1_30default_config_static_selectorELNS0_4arch9wavefront6targetE1EEEvT1_,"axG",@progbits,_ZN7rocprim17ROCPRIM_400000_NS6detail17trampoline_kernelINS0_14default_configENS1_25partition_config_selectorILNS1_17partition_subalgoE0EjNS0_10empty_typeEbEEZZNS1_14partition_implILS5_0ELb0ES3_jN6thrust23THRUST_200600_302600_NS6detail15normal_iteratorINSA_10device_ptrIjEEEEPS6_SG_NS0_5tupleIJNSA_16discard_iteratorINSA_11use_defaultEEESF_EEENSH_IJSG_SG_EEES6_PlJ7is_evenIjEEEE10hipError_tPvRmT3_T4_T5_T6_T7_T9_mT8_P12ihipStream_tbDpT10_ENKUlT_T0_E_clISt17integral_constantIbLb0EES18_IbLb1EEEEDaS14_S15_EUlS14_E_NS1_11comp_targetILNS1_3genE3ELNS1_11target_archE908ELNS1_3gpuE7ELNS1_3repE0EEENS1_30default_config_static_selectorELNS0_4arch9wavefront6targetE1EEEvT1_,comdat
.Lfunc_end2486:
	.size	_ZN7rocprim17ROCPRIM_400000_NS6detail17trampoline_kernelINS0_14default_configENS1_25partition_config_selectorILNS1_17partition_subalgoE0EjNS0_10empty_typeEbEEZZNS1_14partition_implILS5_0ELb0ES3_jN6thrust23THRUST_200600_302600_NS6detail15normal_iteratorINSA_10device_ptrIjEEEEPS6_SG_NS0_5tupleIJNSA_16discard_iteratorINSA_11use_defaultEEESF_EEENSH_IJSG_SG_EEES6_PlJ7is_evenIjEEEE10hipError_tPvRmT3_T4_T5_T6_T7_T9_mT8_P12ihipStream_tbDpT10_ENKUlT_T0_E_clISt17integral_constantIbLb0EES18_IbLb1EEEEDaS14_S15_EUlS14_E_NS1_11comp_targetILNS1_3genE3ELNS1_11target_archE908ELNS1_3gpuE7ELNS1_3repE0EEENS1_30default_config_static_selectorELNS0_4arch9wavefront6targetE1EEEvT1_, .Lfunc_end2486-_ZN7rocprim17ROCPRIM_400000_NS6detail17trampoline_kernelINS0_14default_configENS1_25partition_config_selectorILNS1_17partition_subalgoE0EjNS0_10empty_typeEbEEZZNS1_14partition_implILS5_0ELb0ES3_jN6thrust23THRUST_200600_302600_NS6detail15normal_iteratorINSA_10device_ptrIjEEEEPS6_SG_NS0_5tupleIJNSA_16discard_iteratorINSA_11use_defaultEEESF_EEENSH_IJSG_SG_EEES6_PlJ7is_evenIjEEEE10hipError_tPvRmT3_T4_T5_T6_T7_T9_mT8_P12ihipStream_tbDpT10_ENKUlT_T0_E_clISt17integral_constantIbLb0EES18_IbLb1EEEEDaS14_S15_EUlS14_E_NS1_11comp_targetILNS1_3genE3ELNS1_11target_archE908ELNS1_3gpuE7ELNS1_3repE0EEENS1_30default_config_static_selectorELNS0_4arch9wavefront6targetE1EEEvT1_
                                        ; -- End function
	.section	.AMDGPU.csdata,"",@progbits
; Kernel info:
; codeLenInByte = 0
; NumSgprs: 4
; NumVgprs: 0
; NumAgprs: 0
; TotalNumVgprs: 0
; ScratchSize: 0
; MemoryBound: 0
; FloatMode: 240
; IeeeMode: 1
; LDSByteSize: 0 bytes/workgroup (compile time only)
; SGPRBlocks: 0
; VGPRBlocks: 0
; NumSGPRsForWavesPerEU: 4
; NumVGPRsForWavesPerEU: 1
; AccumOffset: 4
; Occupancy: 8
; WaveLimiterHint : 0
; COMPUTE_PGM_RSRC2:SCRATCH_EN: 0
; COMPUTE_PGM_RSRC2:USER_SGPR: 6
; COMPUTE_PGM_RSRC2:TRAP_HANDLER: 0
; COMPUTE_PGM_RSRC2:TGID_X_EN: 1
; COMPUTE_PGM_RSRC2:TGID_Y_EN: 0
; COMPUTE_PGM_RSRC2:TGID_Z_EN: 0
; COMPUTE_PGM_RSRC2:TIDIG_COMP_CNT: 0
; COMPUTE_PGM_RSRC3_GFX90A:ACCUM_OFFSET: 0
; COMPUTE_PGM_RSRC3_GFX90A:TG_SPLIT: 0
	.section	.text._ZN7rocprim17ROCPRIM_400000_NS6detail17trampoline_kernelINS0_14default_configENS1_25partition_config_selectorILNS1_17partition_subalgoE0EjNS0_10empty_typeEbEEZZNS1_14partition_implILS5_0ELb0ES3_jN6thrust23THRUST_200600_302600_NS6detail15normal_iteratorINSA_10device_ptrIjEEEEPS6_SG_NS0_5tupleIJNSA_16discard_iteratorINSA_11use_defaultEEESF_EEENSH_IJSG_SG_EEES6_PlJ7is_evenIjEEEE10hipError_tPvRmT3_T4_T5_T6_T7_T9_mT8_P12ihipStream_tbDpT10_ENKUlT_T0_E_clISt17integral_constantIbLb0EES18_IbLb1EEEEDaS14_S15_EUlS14_E_NS1_11comp_targetILNS1_3genE2ELNS1_11target_archE906ELNS1_3gpuE6ELNS1_3repE0EEENS1_30default_config_static_selectorELNS0_4arch9wavefront6targetE1EEEvT1_,"axG",@progbits,_ZN7rocprim17ROCPRIM_400000_NS6detail17trampoline_kernelINS0_14default_configENS1_25partition_config_selectorILNS1_17partition_subalgoE0EjNS0_10empty_typeEbEEZZNS1_14partition_implILS5_0ELb0ES3_jN6thrust23THRUST_200600_302600_NS6detail15normal_iteratorINSA_10device_ptrIjEEEEPS6_SG_NS0_5tupleIJNSA_16discard_iteratorINSA_11use_defaultEEESF_EEENSH_IJSG_SG_EEES6_PlJ7is_evenIjEEEE10hipError_tPvRmT3_T4_T5_T6_T7_T9_mT8_P12ihipStream_tbDpT10_ENKUlT_T0_E_clISt17integral_constantIbLb0EES18_IbLb1EEEEDaS14_S15_EUlS14_E_NS1_11comp_targetILNS1_3genE2ELNS1_11target_archE906ELNS1_3gpuE6ELNS1_3repE0EEENS1_30default_config_static_selectorELNS0_4arch9wavefront6targetE1EEEvT1_,comdat
	.protected	_ZN7rocprim17ROCPRIM_400000_NS6detail17trampoline_kernelINS0_14default_configENS1_25partition_config_selectorILNS1_17partition_subalgoE0EjNS0_10empty_typeEbEEZZNS1_14partition_implILS5_0ELb0ES3_jN6thrust23THRUST_200600_302600_NS6detail15normal_iteratorINSA_10device_ptrIjEEEEPS6_SG_NS0_5tupleIJNSA_16discard_iteratorINSA_11use_defaultEEESF_EEENSH_IJSG_SG_EEES6_PlJ7is_evenIjEEEE10hipError_tPvRmT3_T4_T5_T6_T7_T9_mT8_P12ihipStream_tbDpT10_ENKUlT_T0_E_clISt17integral_constantIbLb0EES18_IbLb1EEEEDaS14_S15_EUlS14_E_NS1_11comp_targetILNS1_3genE2ELNS1_11target_archE906ELNS1_3gpuE6ELNS1_3repE0EEENS1_30default_config_static_selectorELNS0_4arch9wavefront6targetE1EEEvT1_ ; -- Begin function _ZN7rocprim17ROCPRIM_400000_NS6detail17trampoline_kernelINS0_14default_configENS1_25partition_config_selectorILNS1_17partition_subalgoE0EjNS0_10empty_typeEbEEZZNS1_14partition_implILS5_0ELb0ES3_jN6thrust23THRUST_200600_302600_NS6detail15normal_iteratorINSA_10device_ptrIjEEEEPS6_SG_NS0_5tupleIJNSA_16discard_iteratorINSA_11use_defaultEEESF_EEENSH_IJSG_SG_EEES6_PlJ7is_evenIjEEEE10hipError_tPvRmT3_T4_T5_T6_T7_T9_mT8_P12ihipStream_tbDpT10_ENKUlT_T0_E_clISt17integral_constantIbLb0EES18_IbLb1EEEEDaS14_S15_EUlS14_E_NS1_11comp_targetILNS1_3genE2ELNS1_11target_archE906ELNS1_3gpuE6ELNS1_3repE0EEENS1_30default_config_static_selectorELNS0_4arch9wavefront6targetE1EEEvT1_
	.globl	_ZN7rocprim17ROCPRIM_400000_NS6detail17trampoline_kernelINS0_14default_configENS1_25partition_config_selectorILNS1_17partition_subalgoE0EjNS0_10empty_typeEbEEZZNS1_14partition_implILS5_0ELb0ES3_jN6thrust23THRUST_200600_302600_NS6detail15normal_iteratorINSA_10device_ptrIjEEEEPS6_SG_NS0_5tupleIJNSA_16discard_iteratorINSA_11use_defaultEEESF_EEENSH_IJSG_SG_EEES6_PlJ7is_evenIjEEEE10hipError_tPvRmT3_T4_T5_T6_T7_T9_mT8_P12ihipStream_tbDpT10_ENKUlT_T0_E_clISt17integral_constantIbLb0EES18_IbLb1EEEEDaS14_S15_EUlS14_E_NS1_11comp_targetILNS1_3genE2ELNS1_11target_archE906ELNS1_3gpuE6ELNS1_3repE0EEENS1_30default_config_static_selectorELNS0_4arch9wavefront6targetE1EEEvT1_
	.p2align	8
	.type	_ZN7rocprim17ROCPRIM_400000_NS6detail17trampoline_kernelINS0_14default_configENS1_25partition_config_selectorILNS1_17partition_subalgoE0EjNS0_10empty_typeEbEEZZNS1_14partition_implILS5_0ELb0ES3_jN6thrust23THRUST_200600_302600_NS6detail15normal_iteratorINSA_10device_ptrIjEEEEPS6_SG_NS0_5tupleIJNSA_16discard_iteratorINSA_11use_defaultEEESF_EEENSH_IJSG_SG_EEES6_PlJ7is_evenIjEEEE10hipError_tPvRmT3_T4_T5_T6_T7_T9_mT8_P12ihipStream_tbDpT10_ENKUlT_T0_E_clISt17integral_constantIbLb0EES18_IbLb1EEEEDaS14_S15_EUlS14_E_NS1_11comp_targetILNS1_3genE2ELNS1_11target_archE906ELNS1_3gpuE6ELNS1_3repE0EEENS1_30default_config_static_selectorELNS0_4arch9wavefront6targetE1EEEvT1_,@function
_ZN7rocprim17ROCPRIM_400000_NS6detail17trampoline_kernelINS0_14default_configENS1_25partition_config_selectorILNS1_17partition_subalgoE0EjNS0_10empty_typeEbEEZZNS1_14partition_implILS5_0ELb0ES3_jN6thrust23THRUST_200600_302600_NS6detail15normal_iteratorINSA_10device_ptrIjEEEEPS6_SG_NS0_5tupleIJNSA_16discard_iteratorINSA_11use_defaultEEESF_EEENSH_IJSG_SG_EEES6_PlJ7is_evenIjEEEE10hipError_tPvRmT3_T4_T5_T6_T7_T9_mT8_P12ihipStream_tbDpT10_ENKUlT_T0_E_clISt17integral_constantIbLb0EES18_IbLb1EEEEDaS14_S15_EUlS14_E_NS1_11comp_targetILNS1_3genE2ELNS1_11target_archE906ELNS1_3gpuE6ELNS1_3repE0EEENS1_30default_config_static_selectorELNS0_4arch9wavefront6targetE1EEEvT1_: ; @_ZN7rocprim17ROCPRIM_400000_NS6detail17trampoline_kernelINS0_14default_configENS1_25partition_config_selectorILNS1_17partition_subalgoE0EjNS0_10empty_typeEbEEZZNS1_14partition_implILS5_0ELb0ES3_jN6thrust23THRUST_200600_302600_NS6detail15normal_iteratorINSA_10device_ptrIjEEEEPS6_SG_NS0_5tupleIJNSA_16discard_iteratorINSA_11use_defaultEEESF_EEENSH_IJSG_SG_EEES6_PlJ7is_evenIjEEEE10hipError_tPvRmT3_T4_T5_T6_T7_T9_mT8_P12ihipStream_tbDpT10_ENKUlT_T0_E_clISt17integral_constantIbLb0EES18_IbLb1EEEEDaS14_S15_EUlS14_E_NS1_11comp_targetILNS1_3genE2ELNS1_11target_archE906ELNS1_3gpuE6ELNS1_3repE0EEENS1_30default_config_static_selectorELNS0_4arch9wavefront6targetE1EEEvT1_
; %bb.0:
	.section	.rodata,"a",@progbits
	.p2align	6, 0x0
	.amdhsa_kernel _ZN7rocprim17ROCPRIM_400000_NS6detail17trampoline_kernelINS0_14default_configENS1_25partition_config_selectorILNS1_17partition_subalgoE0EjNS0_10empty_typeEbEEZZNS1_14partition_implILS5_0ELb0ES3_jN6thrust23THRUST_200600_302600_NS6detail15normal_iteratorINSA_10device_ptrIjEEEEPS6_SG_NS0_5tupleIJNSA_16discard_iteratorINSA_11use_defaultEEESF_EEENSH_IJSG_SG_EEES6_PlJ7is_evenIjEEEE10hipError_tPvRmT3_T4_T5_T6_T7_T9_mT8_P12ihipStream_tbDpT10_ENKUlT_T0_E_clISt17integral_constantIbLb0EES18_IbLb1EEEEDaS14_S15_EUlS14_E_NS1_11comp_targetILNS1_3genE2ELNS1_11target_archE906ELNS1_3gpuE6ELNS1_3repE0EEENS1_30default_config_static_selectorELNS0_4arch9wavefront6targetE1EEEvT1_
		.amdhsa_group_segment_fixed_size 0
		.amdhsa_private_segment_fixed_size 0
		.amdhsa_kernarg_size 144
		.amdhsa_user_sgpr_count 6
		.amdhsa_user_sgpr_private_segment_buffer 1
		.amdhsa_user_sgpr_dispatch_ptr 0
		.amdhsa_user_sgpr_queue_ptr 0
		.amdhsa_user_sgpr_kernarg_segment_ptr 1
		.amdhsa_user_sgpr_dispatch_id 0
		.amdhsa_user_sgpr_flat_scratch_init 0
		.amdhsa_user_sgpr_kernarg_preload_length 0
		.amdhsa_user_sgpr_kernarg_preload_offset 0
		.amdhsa_user_sgpr_private_segment_size 0
		.amdhsa_uses_dynamic_stack 0
		.amdhsa_system_sgpr_private_segment_wavefront_offset 0
		.amdhsa_system_sgpr_workgroup_id_x 1
		.amdhsa_system_sgpr_workgroup_id_y 0
		.amdhsa_system_sgpr_workgroup_id_z 0
		.amdhsa_system_sgpr_workgroup_info 0
		.amdhsa_system_vgpr_workitem_id 0
		.amdhsa_next_free_vgpr 1
		.amdhsa_next_free_sgpr 0
		.amdhsa_accum_offset 4
		.amdhsa_reserve_vcc 0
		.amdhsa_reserve_flat_scratch 0
		.amdhsa_float_round_mode_32 0
		.amdhsa_float_round_mode_16_64 0
		.amdhsa_float_denorm_mode_32 3
		.amdhsa_float_denorm_mode_16_64 3
		.amdhsa_dx10_clamp 1
		.amdhsa_ieee_mode 1
		.amdhsa_fp16_overflow 0
		.amdhsa_tg_split 0
		.amdhsa_exception_fp_ieee_invalid_op 0
		.amdhsa_exception_fp_denorm_src 0
		.amdhsa_exception_fp_ieee_div_zero 0
		.amdhsa_exception_fp_ieee_overflow 0
		.amdhsa_exception_fp_ieee_underflow 0
		.amdhsa_exception_fp_ieee_inexact 0
		.amdhsa_exception_int_div_zero 0
	.end_amdhsa_kernel
	.section	.text._ZN7rocprim17ROCPRIM_400000_NS6detail17trampoline_kernelINS0_14default_configENS1_25partition_config_selectorILNS1_17partition_subalgoE0EjNS0_10empty_typeEbEEZZNS1_14partition_implILS5_0ELb0ES3_jN6thrust23THRUST_200600_302600_NS6detail15normal_iteratorINSA_10device_ptrIjEEEEPS6_SG_NS0_5tupleIJNSA_16discard_iteratorINSA_11use_defaultEEESF_EEENSH_IJSG_SG_EEES6_PlJ7is_evenIjEEEE10hipError_tPvRmT3_T4_T5_T6_T7_T9_mT8_P12ihipStream_tbDpT10_ENKUlT_T0_E_clISt17integral_constantIbLb0EES18_IbLb1EEEEDaS14_S15_EUlS14_E_NS1_11comp_targetILNS1_3genE2ELNS1_11target_archE906ELNS1_3gpuE6ELNS1_3repE0EEENS1_30default_config_static_selectorELNS0_4arch9wavefront6targetE1EEEvT1_,"axG",@progbits,_ZN7rocprim17ROCPRIM_400000_NS6detail17trampoline_kernelINS0_14default_configENS1_25partition_config_selectorILNS1_17partition_subalgoE0EjNS0_10empty_typeEbEEZZNS1_14partition_implILS5_0ELb0ES3_jN6thrust23THRUST_200600_302600_NS6detail15normal_iteratorINSA_10device_ptrIjEEEEPS6_SG_NS0_5tupleIJNSA_16discard_iteratorINSA_11use_defaultEEESF_EEENSH_IJSG_SG_EEES6_PlJ7is_evenIjEEEE10hipError_tPvRmT3_T4_T5_T6_T7_T9_mT8_P12ihipStream_tbDpT10_ENKUlT_T0_E_clISt17integral_constantIbLb0EES18_IbLb1EEEEDaS14_S15_EUlS14_E_NS1_11comp_targetILNS1_3genE2ELNS1_11target_archE906ELNS1_3gpuE6ELNS1_3repE0EEENS1_30default_config_static_selectorELNS0_4arch9wavefront6targetE1EEEvT1_,comdat
.Lfunc_end2487:
	.size	_ZN7rocprim17ROCPRIM_400000_NS6detail17trampoline_kernelINS0_14default_configENS1_25partition_config_selectorILNS1_17partition_subalgoE0EjNS0_10empty_typeEbEEZZNS1_14partition_implILS5_0ELb0ES3_jN6thrust23THRUST_200600_302600_NS6detail15normal_iteratorINSA_10device_ptrIjEEEEPS6_SG_NS0_5tupleIJNSA_16discard_iteratorINSA_11use_defaultEEESF_EEENSH_IJSG_SG_EEES6_PlJ7is_evenIjEEEE10hipError_tPvRmT3_T4_T5_T6_T7_T9_mT8_P12ihipStream_tbDpT10_ENKUlT_T0_E_clISt17integral_constantIbLb0EES18_IbLb1EEEEDaS14_S15_EUlS14_E_NS1_11comp_targetILNS1_3genE2ELNS1_11target_archE906ELNS1_3gpuE6ELNS1_3repE0EEENS1_30default_config_static_selectorELNS0_4arch9wavefront6targetE1EEEvT1_, .Lfunc_end2487-_ZN7rocprim17ROCPRIM_400000_NS6detail17trampoline_kernelINS0_14default_configENS1_25partition_config_selectorILNS1_17partition_subalgoE0EjNS0_10empty_typeEbEEZZNS1_14partition_implILS5_0ELb0ES3_jN6thrust23THRUST_200600_302600_NS6detail15normal_iteratorINSA_10device_ptrIjEEEEPS6_SG_NS0_5tupleIJNSA_16discard_iteratorINSA_11use_defaultEEESF_EEENSH_IJSG_SG_EEES6_PlJ7is_evenIjEEEE10hipError_tPvRmT3_T4_T5_T6_T7_T9_mT8_P12ihipStream_tbDpT10_ENKUlT_T0_E_clISt17integral_constantIbLb0EES18_IbLb1EEEEDaS14_S15_EUlS14_E_NS1_11comp_targetILNS1_3genE2ELNS1_11target_archE906ELNS1_3gpuE6ELNS1_3repE0EEENS1_30default_config_static_selectorELNS0_4arch9wavefront6targetE1EEEvT1_
                                        ; -- End function
	.section	.AMDGPU.csdata,"",@progbits
; Kernel info:
; codeLenInByte = 0
; NumSgprs: 4
; NumVgprs: 0
; NumAgprs: 0
; TotalNumVgprs: 0
; ScratchSize: 0
; MemoryBound: 0
; FloatMode: 240
; IeeeMode: 1
; LDSByteSize: 0 bytes/workgroup (compile time only)
; SGPRBlocks: 0
; VGPRBlocks: 0
; NumSGPRsForWavesPerEU: 4
; NumVGPRsForWavesPerEU: 1
; AccumOffset: 4
; Occupancy: 8
; WaveLimiterHint : 0
; COMPUTE_PGM_RSRC2:SCRATCH_EN: 0
; COMPUTE_PGM_RSRC2:USER_SGPR: 6
; COMPUTE_PGM_RSRC2:TRAP_HANDLER: 0
; COMPUTE_PGM_RSRC2:TGID_X_EN: 1
; COMPUTE_PGM_RSRC2:TGID_Y_EN: 0
; COMPUTE_PGM_RSRC2:TGID_Z_EN: 0
; COMPUTE_PGM_RSRC2:TIDIG_COMP_CNT: 0
; COMPUTE_PGM_RSRC3_GFX90A:ACCUM_OFFSET: 0
; COMPUTE_PGM_RSRC3_GFX90A:TG_SPLIT: 0
	.section	.text._ZN7rocprim17ROCPRIM_400000_NS6detail17trampoline_kernelINS0_14default_configENS1_25partition_config_selectorILNS1_17partition_subalgoE0EjNS0_10empty_typeEbEEZZNS1_14partition_implILS5_0ELb0ES3_jN6thrust23THRUST_200600_302600_NS6detail15normal_iteratorINSA_10device_ptrIjEEEEPS6_SG_NS0_5tupleIJNSA_16discard_iteratorINSA_11use_defaultEEESF_EEENSH_IJSG_SG_EEES6_PlJ7is_evenIjEEEE10hipError_tPvRmT3_T4_T5_T6_T7_T9_mT8_P12ihipStream_tbDpT10_ENKUlT_T0_E_clISt17integral_constantIbLb0EES18_IbLb1EEEEDaS14_S15_EUlS14_E_NS1_11comp_targetILNS1_3genE10ELNS1_11target_archE1200ELNS1_3gpuE4ELNS1_3repE0EEENS1_30default_config_static_selectorELNS0_4arch9wavefront6targetE1EEEvT1_,"axG",@progbits,_ZN7rocprim17ROCPRIM_400000_NS6detail17trampoline_kernelINS0_14default_configENS1_25partition_config_selectorILNS1_17partition_subalgoE0EjNS0_10empty_typeEbEEZZNS1_14partition_implILS5_0ELb0ES3_jN6thrust23THRUST_200600_302600_NS6detail15normal_iteratorINSA_10device_ptrIjEEEEPS6_SG_NS0_5tupleIJNSA_16discard_iteratorINSA_11use_defaultEEESF_EEENSH_IJSG_SG_EEES6_PlJ7is_evenIjEEEE10hipError_tPvRmT3_T4_T5_T6_T7_T9_mT8_P12ihipStream_tbDpT10_ENKUlT_T0_E_clISt17integral_constantIbLb0EES18_IbLb1EEEEDaS14_S15_EUlS14_E_NS1_11comp_targetILNS1_3genE10ELNS1_11target_archE1200ELNS1_3gpuE4ELNS1_3repE0EEENS1_30default_config_static_selectorELNS0_4arch9wavefront6targetE1EEEvT1_,comdat
	.protected	_ZN7rocprim17ROCPRIM_400000_NS6detail17trampoline_kernelINS0_14default_configENS1_25partition_config_selectorILNS1_17partition_subalgoE0EjNS0_10empty_typeEbEEZZNS1_14partition_implILS5_0ELb0ES3_jN6thrust23THRUST_200600_302600_NS6detail15normal_iteratorINSA_10device_ptrIjEEEEPS6_SG_NS0_5tupleIJNSA_16discard_iteratorINSA_11use_defaultEEESF_EEENSH_IJSG_SG_EEES6_PlJ7is_evenIjEEEE10hipError_tPvRmT3_T4_T5_T6_T7_T9_mT8_P12ihipStream_tbDpT10_ENKUlT_T0_E_clISt17integral_constantIbLb0EES18_IbLb1EEEEDaS14_S15_EUlS14_E_NS1_11comp_targetILNS1_3genE10ELNS1_11target_archE1200ELNS1_3gpuE4ELNS1_3repE0EEENS1_30default_config_static_selectorELNS0_4arch9wavefront6targetE1EEEvT1_ ; -- Begin function _ZN7rocprim17ROCPRIM_400000_NS6detail17trampoline_kernelINS0_14default_configENS1_25partition_config_selectorILNS1_17partition_subalgoE0EjNS0_10empty_typeEbEEZZNS1_14partition_implILS5_0ELb0ES3_jN6thrust23THRUST_200600_302600_NS6detail15normal_iteratorINSA_10device_ptrIjEEEEPS6_SG_NS0_5tupleIJNSA_16discard_iteratorINSA_11use_defaultEEESF_EEENSH_IJSG_SG_EEES6_PlJ7is_evenIjEEEE10hipError_tPvRmT3_T4_T5_T6_T7_T9_mT8_P12ihipStream_tbDpT10_ENKUlT_T0_E_clISt17integral_constantIbLb0EES18_IbLb1EEEEDaS14_S15_EUlS14_E_NS1_11comp_targetILNS1_3genE10ELNS1_11target_archE1200ELNS1_3gpuE4ELNS1_3repE0EEENS1_30default_config_static_selectorELNS0_4arch9wavefront6targetE1EEEvT1_
	.globl	_ZN7rocprim17ROCPRIM_400000_NS6detail17trampoline_kernelINS0_14default_configENS1_25partition_config_selectorILNS1_17partition_subalgoE0EjNS0_10empty_typeEbEEZZNS1_14partition_implILS5_0ELb0ES3_jN6thrust23THRUST_200600_302600_NS6detail15normal_iteratorINSA_10device_ptrIjEEEEPS6_SG_NS0_5tupleIJNSA_16discard_iteratorINSA_11use_defaultEEESF_EEENSH_IJSG_SG_EEES6_PlJ7is_evenIjEEEE10hipError_tPvRmT3_T4_T5_T6_T7_T9_mT8_P12ihipStream_tbDpT10_ENKUlT_T0_E_clISt17integral_constantIbLb0EES18_IbLb1EEEEDaS14_S15_EUlS14_E_NS1_11comp_targetILNS1_3genE10ELNS1_11target_archE1200ELNS1_3gpuE4ELNS1_3repE0EEENS1_30default_config_static_selectorELNS0_4arch9wavefront6targetE1EEEvT1_
	.p2align	8
	.type	_ZN7rocprim17ROCPRIM_400000_NS6detail17trampoline_kernelINS0_14default_configENS1_25partition_config_selectorILNS1_17partition_subalgoE0EjNS0_10empty_typeEbEEZZNS1_14partition_implILS5_0ELb0ES3_jN6thrust23THRUST_200600_302600_NS6detail15normal_iteratorINSA_10device_ptrIjEEEEPS6_SG_NS0_5tupleIJNSA_16discard_iteratorINSA_11use_defaultEEESF_EEENSH_IJSG_SG_EEES6_PlJ7is_evenIjEEEE10hipError_tPvRmT3_T4_T5_T6_T7_T9_mT8_P12ihipStream_tbDpT10_ENKUlT_T0_E_clISt17integral_constantIbLb0EES18_IbLb1EEEEDaS14_S15_EUlS14_E_NS1_11comp_targetILNS1_3genE10ELNS1_11target_archE1200ELNS1_3gpuE4ELNS1_3repE0EEENS1_30default_config_static_selectorELNS0_4arch9wavefront6targetE1EEEvT1_,@function
_ZN7rocprim17ROCPRIM_400000_NS6detail17trampoline_kernelINS0_14default_configENS1_25partition_config_selectorILNS1_17partition_subalgoE0EjNS0_10empty_typeEbEEZZNS1_14partition_implILS5_0ELb0ES3_jN6thrust23THRUST_200600_302600_NS6detail15normal_iteratorINSA_10device_ptrIjEEEEPS6_SG_NS0_5tupleIJNSA_16discard_iteratorINSA_11use_defaultEEESF_EEENSH_IJSG_SG_EEES6_PlJ7is_evenIjEEEE10hipError_tPvRmT3_T4_T5_T6_T7_T9_mT8_P12ihipStream_tbDpT10_ENKUlT_T0_E_clISt17integral_constantIbLb0EES18_IbLb1EEEEDaS14_S15_EUlS14_E_NS1_11comp_targetILNS1_3genE10ELNS1_11target_archE1200ELNS1_3gpuE4ELNS1_3repE0EEENS1_30default_config_static_selectorELNS0_4arch9wavefront6targetE1EEEvT1_: ; @_ZN7rocprim17ROCPRIM_400000_NS6detail17trampoline_kernelINS0_14default_configENS1_25partition_config_selectorILNS1_17partition_subalgoE0EjNS0_10empty_typeEbEEZZNS1_14partition_implILS5_0ELb0ES3_jN6thrust23THRUST_200600_302600_NS6detail15normal_iteratorINSA_10device_ptrIjEEEEPS6_SG_NS0_5tupleIJNSA_16discard_iteratorINSA_11use_defaultEEESF_EEENSH_IJSG_SG_EEES6_PlJ7is_evenIjEEEE10hipError_tPvRmT3_T4_T5_T6_T7_T9_mT8_P12ihipStream_tbDpT10_ENKUlT_T0_E_clISt17integral_constantIbLb0EES18_IbLb1EEEEDaS14_S15_EUlS14_E_NS1_11comp_targetILNS1_3genE10ELNS1_11target_archE1200ELNS1_3gpuE4ELNS1_3repE0EEENS1_30default_config_static_selectorELNS0_4arch9wavefront6targetE1EEEvT1_
; %bb.0:
	.section	.rodata,"a",@progbits
	.p2align	6, 0x0
	.amdhsa_kernel _ZN7rocprim17ROCPRIM_400000_NS6detail17trampoline_kernelINS0_14default_configENS1_25partition_config_selectorILNS1_17partition_subalgoE0EjNS0_10empty_typeEbEEZZNS1_14partition_implILS5_0ELb0ES3_jN6thrust23THRUST_200600_302600_NS6detail15normal_iteratorINSA_10device_ptrIjEEEEPS6_SG_NS0_5tupleIJNSA_16discard_iteratorINSA_11use_defaultEEESF_EEENSH_IJSG_SG_EEES6_PlJ7is_evenIjEEEE10hipError_tPvRmT3_T4_T5_T6_T7_T9_mT8_P12ihipStream_tbDpT10_ENKUlT_T0_E_clISt17integral_constantIbLb0EES18_IbLb1EEEEDaS14_S15_EUlS14_E_NS1_11comp_targetILNS1_3genE10ELNS1_11target_archE1200ELNS1_3gpuE4ELNS1_3repE0EEENS1_30default_config_static_selectorELNS0_4arch9wavefront6targetE1EEEvT1_
		.amdhsa_group_segment_fixed_size 0
		.amdhsa_private_segment_fixed_size 0
		.amdhsa_kernarg_size 144
		.amdhsa_user_sgpr_count 6
		.amdhsa_user_sgpr_private_segment_buffer 1
		.amdhsa_user_sgpr_dispatch_ptr 0
		.amdhsa_user_sgpr_queue_ptr 0
		.amdhsa_user_sgpr_kernarg_segment_ptr 1
		.amdhsa_user_sgpr_dispatch_id 0
		.amdhsa_user_sgpr_flat_scratch_init 0
		.amdhsa_user_sgpr_kernarg_preload_length 0
		.amdhsa_user_sgpr_kernarg_preload_offset 0
		.amdhsa_user_sgpr_private_segment_size 0
		.amdhsa_uses_dynamic_stack 0
		.amdhsa_system_sgpr_private_segment_wavefront_offset 0
		.amdhsa_system_sgpr_workgroup_id_x 1
		.amdhsa_system_sgpr_workgroup_id_y 0
		.amdhsa_system_sgpr_workgroup_id_z 0
		.amdhsa_system_sgpr_workgroup_info 0
		.amdhsa_system_vgpr_workitem_id 0
		.amdhsa_next_free_vgpr 1
		.amdhsa_next_free_sgpr 0
		.amdhsa_accum_offset 4
		.amdhsa_reserve_vcc 0
		.amdhsa_reserve_flat_scratch 0
		.amdhsa_float_round_mode_32 0
		.amdhsa_float_round_mode_16_64 0
		.amdhsa_float_denorm_mode_32 3
		.amdhsa_float_denorm_mode_16_64 3
		.amdhsa_dx10_clamp 1
		.amdhsa_ieee_mode 1
		.amdhsa_fp16_overflow 0
		.amdhsa_tg_split 0
		.amdhsa_exception_fp_ieee_invalid_op 0
		.amdhsa_exception_fp_denorm_src 0
		.amdhsa_exception_fp_ieee_div_zero 0
		.amdhsa_exception_fp_ieee_overflow 0
		.amdhsa_exception_fp_ieee_underflow 0
		.amdhsa_exception_fp_ieee_inexact 0
		.amdhsa_exception_int_div_zero 0
	.end_amdhsa_kernel
	.section	.text._ZN7rocprim17ROCPRIM_400000_NS6detail17trampoline_kernelINS0_14default_configENS1_25partition_config_selectorILNS1_17partition_subalgoE0EjNS0_10empty_typeEbEEZZNS1_14partition_implILS5_0ELb0ES3_jN6thrust23THRUST_200600_302600_NS6detail15normal_iteratorINSA_10device_ptrIjEEEEPS6_SG_NS0_5tupleIJNSA_16discard_iteratorINSA_11use_defaultEEESF_EEENSH_IJSG_SG_EEES6_PlJ7is_evenIjEEEE10hipError_tPvRmT3_T4_T5_T6_T7_T9_mT8_P12ihipStream_tbDpT10_ENKUlT_T0_E_clISt17integral_constantIbLb0EES18_IbLb1EEEEDaS14_S15_EUlS14_E_NS1_11comp_targetILNS1_3genE10ELNS1_11target_archE1200ELNS1_3gpuE4ELNS1_3repE0EEENS1_30default_config_static_selectorELNS0_4arch9wavefront6targetE1EEEvT1_,"axG",@progbits,_ZN7rocprim17ROCPRIM_400000_NS6detail17trampoline_kernelINS0_14default_configENS1_25partition_config_selectorILNS1_17partition_subalgoE0EjNS0_10empty_typeEbEEZZNS1_14partition_implILS5_0ELb0ES3_jN6thrust23THRUST_200600_302600_NS6detail15normal_iteratorINSA_10device_ptrIjEEEEPS6_SG_NS0_5tupleIJNSA_16discard_iteratorINSA_11use_defaultEEESF_EEENSH_IJSG_SG_EEES6_PlJ7is_evenIjEEEE10hipError_tPvRmT3_T4_T5_T6_T7_T9_mT8_P12ihipStream_tbDpT10_ENKUlT_T0_E_clISt17integral_constantIbLb0EES18_IbLb1EEEEDaS14_S15_EUlS14_E_NS1_11comp_targetILNS1_3genE10ELNS1_11target_archE1200ELNS1_3gpuE4ELNS1_3repE0EEENS1_30default_config_static_selectorELNS0_4arch9wavefront6targetE1EEEvT1_,comdat
.Lfunc_end2488:
	.size	_ZN7rocprim17ROCPRIM_400000_NS6detail17trampoline_kernelINS0_14default_configENS1_25partition_config_selectorILNS1_17partition_subalgoE0EjNS0_10empty_typeEbEEZZNS1_14partition_implILS5_0ELb0ES3_jN6thrust23THRUST_200600_302600_NS6detail15normal_iteratorINSA_10device_ptrIjEEEEPS6_SG_NS0_5tupleIJNSA_16discard_iteratorINSA_11use_defaultEEESF_EEENSH_IJSG_SG_EEES6_PlJ7is_evenIjEEEE10hipError_tPvRmT3_T4_T5_T6_T7_T9_mT8_P12ihipStream_tbDpT10_ENKUlT_T0_E_clISt17integral_constantIbLb0EES18_IbLb1EEEEDaS14_S15_EUlS14_E_NS1_11comp_targetILNS1_3genE10ELNS1_11target_archE1200ELNS1_3gpuE4ELNS1_3repE0EEENS1_30default_config_static_selectorELNS0_4arch9wavefront6targetE1EEEvT1_, .Lfunc_end2488-_ZN7rocprim17ROCPRIM_400000_NS6detail17trampoline_kernelINS0_14default_configENS1_25partition_config_selectorILNS1_17partition_subalgoE0EjNS0_10empty_typeEbEEZZNS1_14partition_implILS5_0ELb0ES3_jN6thrust23THRUST_200600_302600_NS6detail15normal_iteratorINSA_10device_ptrIjEEEEPS6_SG_NS0_5tupleIJNSA_16discard_iteratorINSA_11use_defaultEEESF_EEENSH_IJSG_SG_EEES6_PlJ7is_evenIjEEEE10hipError_tPvRmT3_T4_T5_T6_T7_T9_mT8_P12ihipStream_tbDpT10_ENKUlT_T0_E_clISt17integral_constantIbLb0EES18_IbLb1EEEEDaS14_S15_EUlS14_E_NS1_11comp_targetILNS1_3genE10ELNS1_11target_archE1200ELNS1_3gpuE4ELNS1_3repE0EEENS1_30default_config_static_selectorELNS0_4arch9wavefront6targetE1EEEvT1_
                                        ; -- End function
	.section	.AMDGPU.csdata,"",@progbits
; Kernel info:
; codeLenInByte = 0
; NumSgprs: 4
; NumVgprs: 0
; NumAgprs: 0
; TotalNumVgprs: 0
; ScratchSize: 0
; MemoryBound: 0
; FloatMode: 240
; IeeeMode: 1
; LDSByteSize: 0 bytes/workgroup (compile time only)
; SGPRBlocks: 0
; VGPRBlocks: 0
; NumSGPRsForWavesPerEU: 4
; NumVGPRsForWavesPerEU: 1
; AccumOffset: 4
; Occupancy: 8
; WaveLimiterHint : 0
; COMPUTE_PGM_RSRC2:SCRATCH_EN: 0
; COMPUTE_PGM_RSRC2:USER_SGPR: 6
; COMPUTE_PGM_RSRC2:TRAP_HANDLER: 0
; COMPUTE_PGM_RSRC2:TGID_X_EN: 1
; COMPUTE_PGM_RSRC2:TGID_Y_EN: 0
; COMPUTE_PGM_RSRC2:TGID_Z_EN: 0
; COMPUTE_PGM_RSRC2:TIDIG_COMP_CNT: 0
; COMPUTE_PGM_RSRC3_GFX90A:ACCUM_OFFSET: 0
; COMPUTE_PGM_RSRC3_GFX90A:TG_SPLIT: 0
	.section	.text._ZN7rocprim17ROCPRIM_400000_NS6detail17trampoline_kernelINS0_14default_configENS1_25partition_config_selectorILNS1_17partition_subalgoE0EjNS0_10empty_typeEbEEZZNS1_14partition_implILS5_0ELb0ES3_jN6thrust23THRUST_200600_302600_NS6detail15normal_iteratorINSA_10device_ptrIjEEEEPS6_SG_NS0_5tupleIJNSA_16discard_iteratorINSA_11use_defaultEEESF_EEENSH_IJSG_SG_EEES6_PlJ7is_evenIjEEEE10hipError_tPvRmT3_T4_T5_T6_T7_T9_mT8_P12ihipStream_tbDpT10_ENKUlT_T0_E_clISt17integral_constantIbLb0EES18_IbLb1EEEEDaS14_S15_EUlS14_E_NS1_11comp_targetILNS1_3genE9ELNS1_11target_archE1100ELNS1_3gpuE3ELNS1_3repE0EEENS1_30default_config_static_selectorELNS0_4arch9wavefront6targetE1EEEvT1_,"axG",@progbits,_ZN7rocprim17ROCPRIM_400000_NS6detail17trampoline_kernelINS0_14default_configENS1_25partition_config_selectorILNS1_17partition_subalgoE0EjNS0_10empty_typeEbEEZZNS1_14partition_implILS5_0ELb0ES3_jN6thrust23THRUST_200600_302600_NS6detail15normal_iteratorINSA_10device_ptrIjEEEEPS6_SG_NS0_5tupleIJNSA_16discard_iteratorINSA_11use_defaultEEESF_EEENSH_IJSG_SG_EEES6_PlJ7is_evenIjEEEE10hipError_tPvRmT3_T4_T5_T6_T7_T9_mT8_P12ihipStream_tbDpT10_ENKUlT_T0_E_clISt17integral_constantIbLb0EES18_IbLb1EEEEDaS14_S15_EUlS14_E_NS1_11comp_targetILNS1_3genE9ELNS1_11target_archE1100ELNS1_3gpuE3ELNS1_3repE0EEENS1_30default_config_static_selectorELNS0_4arch9wavefront6targetE1EEEvT1_,comdat
	.protected	_ZN7rocprim17ROCPRIM_400000_NS6detail17trampoline_kernelINS0_14default_configENS1_25partition_config_selectorILNS1_17partition_subalgoE0EjNS0_10empty_typeEbEEZZNS1_14partition_implILS5_0ELb0ES3_jN6thrust23THRUST_200600_302600_NS6detail15normal_iteratorINSA_10device_ptrIjEEEEPS6_SG_NS0_5tupleIJNSA_16discard_iteratorINSA_11use_defaultEEESF_EEENSH_IJSG_SG_EEES6_PlJ7is_evenIjEEEE10hipError_tPvRmT3_T4_T5_T6_T7_T9_mT8_P12ihipStream_tbDpT10_ENKUlT_T0_E_clISt17integral_constantIbLb0EES18_IbLb1EEEEDaS14_S15_EUlS14_E_NS1_11comp_targetILNS1_3genE9ELNS1_11target_archE1100ELNS1_3gpuE3ELNS1_3repE0EEENS1_30default_config_static_selectorELNS0_4arch9wavefront6targetE1EEEvT1_ ; -- Begin function _ZN7rocprim17ROCPRIM_400000_NS6detail17trampoline_kernelINS0_14default_configENS1_25partition_config_selectorILNS1_17partition_subalgoE0EjNS0_10empty_typeEbEEZZNS1_14partition_implILS5_0ELb0ES3_jN6thrust23THRUST_200600_302600_NS6detail15normal_iteratorINSA_10device_ptrIjEEEEPS6_SG_NS0_5tupleIJNSA_16discard_iteratorINSA_11use_defaultEEESF_EEENSH_IJSG_SG_EEES6_PlJ7is_evenIjEEEE10hipError_tPvRmT3_T4_T5_T6_T7_T9_mT8_P12ihipStream_tbDpT10_ENKUlT_T0_E_clISt17integral_constantIbLb0EES18_IbLb1EEEEDaS14_S15_EUlS14_E_NS1_11comp_targetILNS1_3genE9ELNS1_11target_archE1100ELNS1_3gpuE3ELNS1_3repE0EEENS1_30default_config_static_selectorELNS0_4arch9wavefront6targetE1EEEvT1_
	.globl	_ZN7rocprim17ROCPRIM_400000_NS6detail17trampoline_kernelINS0_14default_configENS1_25partition_config_selectorILNS1_17partition_subalgoE0EjNS0_10empty_typeEbEEZZNS1_14partition_implILS5_0ELb0ES3_jN6thrust23THRUST_200600_302600_NS6detail15normal_iteratorINSA_10device_ptrIjEEEEPS6_SG_NS0_5tupleIJNSA_16discard_iteratorINSA_11use_defaultEEESF_EEENSH_IJSG_SG_EEES6_PlJ7is_evenIjEEEE10hipError_tPvRmT3_T4_T5_T6_T7_T9_mT8_P12ihipStream_tbDpT10_ENKUlT_T0_E_clISt17integral_constantIbLb0EES18_IbLb1EEEEDaS14_S15_EUlS14_E_NS1_11comp_targetILNS1_3genE9ELNS1_11target_archE1100ELNS1_3gpuE3ELNS1_3repE0EEENS1_30default_config_static_selectorELNS0_4arch9wavefront6targetE1EEEvT1_
	.p2align	8
	.type	_ZN7rocprim17ROCPRIM_400000_NS6detail17trampoline_kernelINS0_14default_configENS1_25partition_config_selectorILNS1_17partition_subalgoE0EjNS0_10empty_typeEbEEZZNS1_14partition_implILS5_0ELb0ES3_jN6thrust23THRUST_200600_302600_NS6detail15normal_iteratorINSA_10device_ptrIjEEEEPS6_SG_NS0_5tupleIJNSA_16discard_iteratorINSA_11use_defaultEEESF_EEENSH_IJSG_SG_EEES6_PlJ7is_evenIjEEEE10hipError_tPvRmT3_T4_T5_T6_T7_T9_mT8_P12ihipStream_tbDpT10_ENKUlT_T0_E_clISt17integral_constantIbLb0EES18_IbLb1EEEEDaS14_S15_EUlS14_E_NS1_11comp_targetILNS1_3genE9ELNS1_11target_archE1100ELNS1_3gpuE3ELNS1_3repE0EEENS1_30default_config_static_selectorELNS0_4arch9wavefront6targetE1EEEvT1_,@function
_ZN7rocprim17ROCPRIM_400000_NS6detail17trampoline_kernelINS0_14default_configENS1_25partition_config_selectorILNS1_17partition_subalgoE0EjNS0_10empty_typeEbEEZZNS1_14partition_implILS5_0ELb0ES3_jN6thrust23THRUST_200600_302600_NS6detail15normal_iteratorINSA_10device_ptrIjEEEEPS6_SG_NS0_5tupleIJNSA_16discard_iteratorINSA_11use_defaultEEESF_EEENSH_IJSG_SG_EEES6_PlJ7is_evenIjEEEE10hipError_tPvRmT3_T4_T5_T6_T7_T9_mT8_P12ihipStream_tbDpT10_ENKUlT_T0_E_clISt17integral_constantIbLb0EES18_IbLb1EEEEDaS14_S15_EUlS14_E_NS1_11comp_targetILNS1_3genE9ELNS1_11target_archE1100ELNS1_3gpuE3ELNS1_3repE0EEENS1_30default_config_static_selectorELNS0_4arch9wavefront6targetE1EEEvT1_: ; @_ZN7rocprim17ROCPRIM_400000_NS6detail17trampoline_kernelINS0_14default_configENS1_25partition_config_selectorILNS1_17partition_subalgoE0EjNS0_10empty_typeEbEEZZNS1_14partition_implILS5_0ELb0ES3_jN6thrust23THRUST_200600_302600_NS6detail15normal_iteratorINSA_10device_ptrIjEEEEPS6_SG_NS0_5tupleIJNSA_16discard_iteratorINSA_11use_defaultEEESF_EEENSH_IJSG_SG_EEES6_PlJ7is_evenIjEEEE10hipError_tPvRmT3_T4_T5_T6_T7_T9_mT8_P12ihipStream_tbDpT10_ENKUlT_T0_E_clISt17integral_constantIbLb0EES18_IbLb1EEEEDaS14_S15_EUlS14_E_NS1_11comp_targetILNS1_3genE9ELNS1_11target_archE1100ELNS1_3gpuE3ELNS1_3repE0EEENS1_30default_config_static_selectorELNS0_4arch9wavefront6targetE1EEEvT1_
; %bb.0:
	.section	.rodata,"a",@progbits
	.p2align	6, 0x0
	.amdhsa_kernel _ZN7rocprim17ROCPRIM_400000_NS6detail17trampoline_kernelINS0_14default_configENS1_25partition_config_selectorILNS1_17partition_subalgoE0EjNS0_10empty_typeEbEEZZNS1_14partition_implILS5_0ELb0ES3_jN6thrust23THRUST_200600_302600_NS6detail15normal_iteratorINSA_10device_ptrIjEEEEPS6_SG_NS0_5tupleIJNSA_16discard_iteratorINSA_11use_defaultEEESF_EEENSH_IJSG_SG_EEES6_PlJ7is_evenIjEEEE10hipError_tPvRmT3_T4_T5_T6_T7_T9_mT8_P12ihipStream_tbDpT10_ENKUlT_T0_E_clISt17integral_constantIbLb0EES18_IbLb1EEEEDaS14_S15_EUlS14_E_NS1_11comp_targetILNS1_3genE9ELNS1_11target_archE1100ELNS1_3gpuE3ELNS1_3repE0EEENS1_30default_config_static_selectorELNS0_4arch9wavefront6targetE1EEEvT1_
		.amdhsa_group_segment_fixed_size 0
		.amdhsa_private_segment_fixed_size 0
		.amdhsa_kernarg_size 144
		.amdhsa_user_sgpr_count 6
		.amdhsa_user_sgpr_private_segment_buffer 1
		.amdhsa_user_sgpr_dispatch_ptr 0
		.amdhsa_user_sgpr_queue_ptr 0
		.amdhsa_user_sgpr_kernarg_segment_ptr 1
		.amdhsa_user_sgpr_dispatch_id 0
		.amdhsa_user_sgpr_flat_scratch_init 0
		.amdhsa_user_sgpr_kernarg_preload_length 0
		.amdhsa_user_sgpr_kernarg_preload_offset 0
		.amdhsa_user_sgpr_private_segment_size 0
		.amdhsa_uses_dynamic_stack 0
		.amdhsa_system_sgpr_private_segment_wavefront_offset 0
		.amdhsa_system_sgpr_workgroup_id_x 1
		.amdhsa_system_sgpr_workgroup_id_y 0
		.amdhsa_system_sgpr_workgroup_id_z 0
		.amdhsa_system_sgpr_workgroup_info 0
		.amdhsa_system_vgpr_workitem_id 0
		.amdhsa_next_free_vgpr 1
		.amdhsa_next_free_sgpr 0
		.amdhsa_accum_offset 4
		.amdhsa_reserve_vcc 0
		.amdhsa_reserve_flat_scratch 0
		.amdhsa_float_round_mode_32 0
		.amdhsa_float_round_mode_16_64 0
		.amdhsa_float_denorm_mode_32 3
		.amdhsa_float_denorm_mode_16_64 3
		.amdhsa_dx10_clamp 1
		.amdhsa_ieee_mode 1
		.amdhsa_fp16_overflow 0
		.amdhsa_tg_split 0
		.amdhsa_exception_fp_ieee_invalid_op 0
		.amdhsa_exception_fp_denorm_src 0
		.amdhsa_exception_fp_ieee_div_zero 0
		.amdhsa_exception_fp_ieee_overflow 0
		.amdhsa_exception_fp_ieee_underflow 0
		.amdhsa_exception_fp_ieee_inexact 0
		.amdhsa_exception_int_div_zero 0
	.end_amdhsa_kernel
	.section	.text._ZN7rocprim17ROCPRIM_400000_NS6detail17trampoline_kernelINS0_14default_configENS1_25partition_config_selectorILNS1_17partition_subalgoE0EjNS0_10empty_typeEbEEZZNS1_14partition_implILS5_0ELb0ES3_jN6thrust23THRUST_200600_302600_NS6detail15normal_iteratorINSA_10device_ptrIjEEEEPS6_SG_NS0_5tupleIJNSA_16discard_iteratorINSA_11use_defaultEEESF_EEENSH_IJSG_SG_EEES6_PlJ7is_evenIjEEEE10hipError_tPvRmT3_T4_T5_T6_T7_T9_mT8_P12ihipStream_tbDpT10_ENKUlT_T0_E_clISt17integral_constantIbLb0EES18_IbLb1EEEEDaS14_S15_EUlS14_E_NS1_11comp_targetILNS1_3genE9ELNS1_11target_archE1100ELNS1_3gpuE3ELNS1_3repE0EEENS1_30default_config_static_selectorELNS0_4arch9wavefront6targetE1EEEvT1_,"axG",@progbits,_ZN7rocprim17ROCPRIM_400000_NS6detail17trampoline_kernelINS0_14default_configENS1_25partition_config_selectorILNS1_17partition_subalgoE0EjNS0_10empty_typeEbEEZZNS1_14partition_implILS5_0ELb0ES3_jN6thrust23THRUST_200600_302600_NS6detail15normal_iteratorINSA_10device_ptrIjEEEEPS6_SG_NS0_5tupleIJNSA_16discard_iteratorINSA_11use_defaultEEESF_EEENSH_IJSG_SG_EEES6_PlJ7is_evenIjEEEE10hipError_tPvRmT3_T4_T5_T6_T7_T9_mT8_P12ihipStream_tbDpT10_ENKUlT_T0_E_clISt17integral_constantIbLb0EES18_IbLb1EEEEDaS14_S15_EUlS14_E_NS1_11comp_targetILNS1_3genE9ELNS1_11target_archE1100ELNS1_3gpuE3ELNS1_3repE0EEENS1_30default_config_static_selectorELNS0_4arch9wavefront6targetE1EEEvT1_,comdat
.Lfunc_end2489:
	.size	_ZN7rocprim17ROCPRIM_400000_NS6detail17trampoline_kernelINS0_14default_configENS1_25partition_config_selectorILNS1_17partition_subalgoE0EjNS0_10empty_typeEbEEZZNS1_14partition_implILS5_0ELb0ES3_jN6thrust23THRUST_200600_302600_NS6detail15normal_iteratorINSA_10device_ptrIjEEEEPS6_SG_NS0_5tupleIJNSA_16discard_iteratorINSA_11use_defaultEEESF_EEENSH_IJSG_SG_EEES6_PlJ7is_evenIjEEEE10hipError_tPvRmT3_T4_T5_T6_T7_T9_mT8_P12ihipStream_tbDpT10_ENKUlT_T0_E_clISt17integral_constantIbLb0EES18_IbLb1EEEEDaS14_S15_EUlS14_E_NS1_11comp_targetILNS1_3genE9ELNS1_11target_archE1100ELNS1_3gpuE3ELNS1_3repE0EEENS1_30default_config_static_selectorELNS0_4arch9wavefront6targetE1EEEvT1_, .Lfunc_end2489-_ZN7rocprim17ROCPRIM_400000_NS6detail17trampoline_kernelINS0_14default_configENS1_25partition_config_selectorILNS1_17partition_subalgoE0EjNS0_10empty_typeEbEEZZNS1_14partition_implILS5_0ELb0ES3_jN6thrust23THRUST_200600_302600_NS6detail15normal_iteratorINSA_10device_ptrIjEEEEPS6_SG_NS0_5tupleIJNSA_16discard_iteratorINSA_11use_defaultEEESF_EEENSH_IJSG_SG_EEES6_PlJ7is_evenIjEEEE10hipError_tPvRmT3_T4_T5_T6_T7_T9_mT8_P12ihipStream_tbDpT10_ENKUlT_T0_E_clISt17integral_constantIbLb0EES18_IbLb1EEEEDaS14_S15_EUlS14_E_NS1_11comp_targetILNS1_3genE9ELNS1_11target_archE1100ELNS1_3gpuE3ELNS1_3repE0EEENS1_30default_config_static_selectorELNS0_4arch9wavefront6targetE1EEEvT1_
                                        ; -- End function
	.section	.AMDGPU.csdata,"",@progbits
; Kernel info:
; codeLenInByte = 0
; NumSgprs: 4
; NumVgprs: 0
; NumAgprs: 0
; TotalNumVgprs: 0
; ScratchSize: 0
; MemoryBound: 0
; FloatMode: 240
; IeeeMode: 1
; LDSByteSize: 0 bytes/workgroup (compile time only)
; SGPRBlocks: 0
; VGPRBlocks: 0
; NumSGPRsForWavesPerEU: 4
; NumVGPRsForWavesPerEU: 1
; AccumOffset: 4
; Occupancy: 8
; WaveLimiterHint : 0
; COMPUTE_PGM_RSRC2:SCRATCH_EN: 0
; COMPUTE_PGM_RSRC2:USER_SGPR: 6
; COMPUTE_PGM_RSRC2:TRAP_HANDLER: 0
; COMPUTE_PGM_RSRC2:TGID_X_EN: 1
; COMPUTE_PGM_RSRC2:TGID_Y_EN: 0
; COMPUTE_PGM_RSRC2:TGID_Z_EN: 0
; COMPUTE_PGM_RSRC2:TIDIG_COMP_CNT: 0
; COMPUTE_PGM_RSRC3_GFX90A:ACCUM_OFFSET: 0
; COMPUTE_PGM_RSRC3_GFX90A:TG_SPLIT: 0
	.section	.text._ZN7rocprim17ROCPRIM_400000_NS6detail17trampoline_kernelINS0_14default_configENS1_25partition_config_selectorILNS1_17partition_subalgoE0EjNS0_10empty_typeEbEEZZNS1_14partition_implILS5_0ELb0ES3_jN6thrust23THRUST_200600_302600_NS6detail15normal_iteratorINSA_10device_ptrIjEEEEPS6_SG_NS0_5tupleIJNSA_16discard_iteratorINSA_11use_defaultEEESF_EEENSH_IJSG_SG_EEES6_PlJ7is_evenIjEEEE10hipError_tPvRmT3_T4_T5_T6_T7_T9_mT8_P12ihipStream_tbDpT10_ENKUlT_T0_E_clISt17integral_constantIbLb0EES18_IbLb1EEEEDaS14_S15_EUlS14_E_NS1_11comp_targetILNS1_3genE8ELNS1_11target_archE1030ELNS1_3gpuE2ELNS1_3repE0EEENS1_30default_config_static_selectorELNS0_4arch9wavefront6targetE1EEEvT1_,"axG",@progbits,_ZN7rocprim17ROCPRIM_400000_NS6detail17trampoline_kernelINS0_14default_configENS1_25partition_config_selectorILNS1_17partition_subalgoE0EjNS0_10empty_typeEbEEZZNS1_14partition_implILS5_0ELb0ES3_jN6thrust23THRUST_200600_302600_NS6detail15normal_iteratorINSA_10device_ptrIjEEEEPS6_SG_NS0_5tupleIJNSA_16discard_iteratorINSA_11use_defaultEEESF_EEENSH_IJSG_SG_EEES6_PlJ7is_evenIjEEEE10hipError_tPvRmT3_T4_T5_T6_T7_T9_mT8_P12ihipStream_tbDpT10_ENKUlT_T0_E_clISt17integral_constantIbLb0EES18_IbLb1EEEEDaS14_S15_EUlS14_E_NS1_11comp_targetILNS1_3genE8ELNS1_11target_archE1030ELNS1_3gpuE2ELNS1_3repE0EEENS1_30default_config_static_selectorELNS0_4arch9wavefront6targetE1EEEvT1_,comdat
	.protected	_ZN7rocprim17ROCPRIM_400000_NS6detail17trampoline_kernelINS0_14default_configENS1_25partition_config_selectorILNS1_17partition_subalgoE0EjNS0_10empty_typeEbEEZZNS1_14partition_implILS5_0ELb0ES3_jN6thrust23THRUST_200600_302600_NS6detail15normal_iteratorINSA_10device_ptrIjEEEEPS6_SG_NS0_5tupleIJNSA_16discard_iteratorINSA_11use_defaultEEESF_EEENSH_IJSG_SG_EEES6_PlJ7is_evenIjEEEE10hipError_tPvRmT3_T4_T5_T6_T7_T9_mT8_P12ihipStream_tbDpT10_ENKUlT_T0_E_clISt17integral_constantIbLb0EES18_IbLb1EEEEDaS14_S15_EUlS14_E_NS1_11comp_targetILNS1_3genE8ELNS1_11target_archE1030ELNS1_3gpuE2ELNS1_3repE0EEENS1_30default_config_static_selectorELNS0_4arch9wavefront6targetE1EEEvT1_ ; -- Begin function _ZN7rocprim17ROCPRIM_400000_NS6detail17trampoline_kernelINS0_14default_configENS1_25partition_config_selectorILNS1_17partition_subalgoE0EjNS0_10empty_typeEbEEZZNS1_14partition_implILS5_0ELb0ES3_jN6thrust23THRUST_200600_302600_NS6detail15normal_iteratorINSA_10device_ptrIjEEEEPS6_SG_NS0_5tupleIJNSA_16discard_iteratorINSA_11use_defaultEEESF_EEENSH_IJSG_SG_EEES6_PlJ7is_evenIjEEEE10hipError_tPvRmT3_T4_T5_T6_T7_T9_mT8_P12ihipStream_tbDpT10_ENKUlT_T0_E_clISt17integral_constantIbLb0EES18_IbLb1EEEEDaS14_S15_EUlS14_E_NS1_11comp_targetILNS1_3genE8ELNS1_11target_archE1030ELNS1_3gpuE2ELNS1_3repE0EEENS1_30default_config_static_selectorELNS0_4arch9wavefront6targetE1EEEvT1_
	.globl	_ZN7rocprim17ROCPRIM_400000_NS6detail17trampoline_kernelINS0_14default_configENS1_25partition_config_selectorILNS1_17partition_subalgoE0EjNS0_10empty_typeEbEEZZNS1_14partition_implILS5_0ELb0ES3_jN6thrust23THRUST_200600_302600_NS6detail15normal_iteratorINSA_10device_ptrIjEEEEPS6_SG_NS0_5tupleIJNSA_16discard_iteratorINSA_11use_defaultEEESF_EEENSH_IJSG_SG_EEES6_PlJ7is_evenIjEEEE10hipError_tPvRmT3_T4_T5_T6_T7_T9_mT8_P12ihipStream_tbDpT10_ENKUlT_T0_E_clISt17integral_constantIbLb0EES18_IbLb1EEEEDaS14_S15_EUlS14_E_NS1_11comp_targetILNS1_3genE8ELNS1_11target_archE1030ELNS1_3gpuE2ELNS1_3repE0EEENS1_30default_config_static_selectorELNS0_4arch9wavefront6targetE1EEEvT1_
	.p2align	8
	.type	_ZN7rocprim17ROCPRIM_400000_NS6detail17trampoline_kernelINS0_14default_configENS1_25partition_config_selectorILNS1_17partition_subalgoE0EjNS0_10empty_typeEbEEZZNS1_14partition_implILS5_0ELb0ES3_jN6thrust23THRUST_200600_302600_NS6detail15normal_iteratorINSA_10device_ptrIjEEEEPS6_SG_NS0_5tupleIJNSA_16discard_iteratorINSA_11use_defaultEEESF_EEENSH_IJSG_SG_EEES6_PlJ7is_evenIjEEEE10hipError_tPvRmT3_T4_T5_T6_T7_T9_mT8_P12ihipStream_tbDpT10_ENKUlT_T0_E_clISt17integral_constantIbLb0EES18_IbLb1EEEEDaS14_S15_EUlS14_E_NS1_11comp_targetILNS1_3genE8ELNS1_11target_archE1030ELNS1_3gpuE2ELNS1_3repE0EEENS1_30default_config_static_selectorELNS0_4arch9wavefront6targetE1EEEvT1_,@function
_ZN7rocprim17ROCPRIM_400000_NS6detail17trampoline_kernelINS0_14default_configENS1_25partition_config_selectorILNS1_17partition_subalgoE0EjNS0_10empty_typeEbEEZZNS1_14partition_implILS5_0ELb0ES3_jN6thrust23THRUST_200600_302600_NS6detail15normal_iteratorINSA_10device_ptrIjEEEEPS6_SG_NS0_5tupleIJNSA_16discard_iteratorINSA_11use_defaultEEESF_EEENSH_IJSG_SG_EEES6_PlJ7is_evenIjEEEE10hipError_tPvRmT3_T4_T5_T6_T7_T9_mT8_P12ihipStream_tbDpT10_ENKUlT_T0_E_clISt17integral_constantIbLb0EES18_IbLb1EEEEDaS14_S15_EUlS14_E_NS1_11comp_targetILNS1_3genE8ELNS1_11target_archE1030ELNS1_3gpuE2ELNS1_3repE0EEENS1_30default_config_static_selectorELNS0_4arch9wavefront6targetE1EEEvT1_: ; @_ZN7rocprim17ROCPRIM_400000_NS6detail17trampoline_kernelINS0_14default_configENS1_25partition_config_selectorILNS1_17partition_subalgoE0EjNS0_10empty_typeEbEEZZNS1_14partition_implILS5_0ELb0ES3_jN6thrust23THRUST_200600_302600_NS6detail15normal_iteratorINSA_10device_ptrIjEEEEPS6_SG_NS0_5tupleIJNSA_16discard_iteratorINSA_11use_defaultEEESF_EEENSH_IJSG_SG_EEES6_PlJ7is_evenIjEEEE10hipError_tPvRmT3_T4_T5_T6_T7_T9_mT8_P12ihipStream_tbDpT10_ENKUlT_T0_E_clISt17integral_constantIbLb0EES18_IbLb1EEEEDaS14_S15_EUlS14_E_NS1_11comp_targetILNS1_3genE8ELNS1_11target_archE1030ELNS1_3gpuE2ELNS1_3repE0EEENS1_30default_config_static_selectorELNS0_4arch9wavefront6targetE1EEEvT1_
; %bb.0:
	.section	.rodata,"a",@progbits
	.p2align	6, 0x0
	.amdhsa_kernel _ZN7rocprim17ROCPRIM_400000_NS6detail17trampoline_kernelINS0_14default_configENS1_25partition_config_selectorILNS1_17partition_subalgoE0EjNS0_10empty_typeEbEEZZNS1_14partition_implILS5_0ELb0ES3_jN6thrust23THRUST_200600_302600_NS6detail15normal_iteratorINSA_10device_ptrIjEEEEPS6_SG_NS0_5tupleIJNSA_16discard_iteratorINSA_11use_defaultEEESF_EEENSH_IJSG_SG_EEES6_PlJ7is_evenIjEEEE10hipError_tPvRmT3_T4_T5_T6_T7_T9_mT8_P12ihipStream_tbDpT10_ENKUlT_T0_E_clISt17integral_constantIbLb0EES18_IbLb1EEEEDaS14_S15_EUlS14_E_NS1_11comp_targetILNS1_3genE8ELNS1_11target_archE1030ELNS1_3gpuE2ELNS1_3repE0EEENS1_30default_config_static_selectorELNS0_4arch9wavefront6targetE1EEEvT1_
		.amdhsa_group_segment_fixed_size 0
		.amdhsa_private_segment_fixed_size 0
		.amdhsa_kernarg_size 144
		.amdhsa_user_sgpr_count 6
		.amdhsa_user_sgpr_private_segment_buffer 1
		.amdhsa_user_sgpr_dispatch_ptr 0
		.amdhsa_user_sgpr_queue_ptr 0
		.amdhsa_user_sgpr_kernarg_segment_ptr 1
		.amdhsa_user_sgpr_dispatch_id 0
		.amdhsa_user_sgpr_flat_scratch_init 0
		.amdhsa_user_sgpr_kernarg_preload_length 0
		.amdhsa_user_sgpr_kernarg_preload_offset 0
		.amdhsa_user_sgpr_private_segment_size 0
		.amdhsa_uses_dynamic_stack 0
		.amdhsa_system_sgpr_private_segment_wavefront_offset 0
		.amdhsa_system_sgpr_workgroup_id_x 1
		.amdhsa_system_sgpr_workgroup_id_y 0
		.amdhsa_system_sgpr_workgroup_id_z 0
		.amdhsa_system_sgpr_workgroup_info 0
		.amdhsa_system_vgpr_workitem_id 0
		.amdhsa_next_free_vgpr 1
		.amdhsa_next_free_sgpr 0
		.amdhsa_accum_offset 4
		.amdhsa_reserve_vcc 0
		.amdhsa_reserve_flat_scratch 0
		.amdhsa_float_round_mode_32 0
		.amdhsa_float_round_mode_16_64 0
		.amdhsa_float_denorm_mode_32 3
		.amdhsa_float_denorm_mode_16_64 3
		.amdhsa_dx10_clamp 1
		.amdhsa_ieee_mode 1
		.amdhsa_fp16_overflow 0
		.amdhsa_tg_split 0
		.amdhsa_exception_fp_ieee_invalid_op 0
		.amdhsa_exception_fp_denorm_src 0
		.amdhsa_exception_fp_ieee_div_zero 0
		.amdhsa_exception_fp_ieee_overflow 0
		.amdhsa_exception_fp_ieee_underflow 0
		.amdhsa_exception_fp_ieee_inexact 0
		.amdhsa_exception_int_div_zero 0
	.end_amdhsa_kernel
	.section	.text._ZN7rocprim17ROCPRIM_400000_NS6detail17trampoline_kernelINS0_14default_configENS1_25partition_config_selectorILNS1_17partition_subalgoE0EjNS0_10empty_typeEbEEZZNS1_14partition_implILS5_0ELb0ES3_jN6thrust23THRUST_200600_302600_NS6detail15normal_iteratorINSA_10device_ptrIjEEEEPS6_SG_NS0_5tupleIJNSA_16discard_iteratorINSA_11use_defaultEEESF_EEENSH_IJSG_SG_EEES6_PlJ7is_evenIjEEEE10hipError_tPvRmT3_T4_T5_T6_T7_T9_mT8_P12ihipStream_tbDpT10_ENKUlT_T0_E_clISt17integral_constantIbLb0EES18_IbLb1EEEEDaS14_S15_EUlS14_E_NS1_11comp_targetILNS1_3genE8ELNS1_11target_archE1030ELNS1_3gpuE2ELNS1_3repE0EEENS1_30default_config_static_selectorELNS0_4arch9wavefront6targetE1EEEvT1_,"axG",@progbits,_ZN7rocprim17ROCPRIM_400000_NS6detail17trampoline_kernelINS0_14default_configENS1_25partition_config_selectorILNS1_17partition_subalgoE0EjNS0_10empty_typeEbEEZZNS1_14partition_implILS5_0ELb0ES3_jN6thrust23THRUST_200600_302600_NS6detail15normal_iteratorINSA_10device_ptrIjEEEEPS6_SG_NS0_5tupleIJNSA_16discard_iteratorINSA_11use_defaultEEESF_EEENSH_IJSG_SG_EEES6_PlJ7is_evenIjEEEE10hipError_tPvRmT3_T4_T5_T6_T7_T9_mT8_P12ihipStream_tbDpT10_ENKUlT_T0_E_clISt17integral_constantIbLb0EES18_IbLb1EEEEDaS14_S15_EUlS14_E_NS1_11comp_targetILNS1_3genE8ELNS1_11target_archE1030ELNS1_3gpuE2ELNS1_3repE0EEENS1_30default_config_static_selectorELNS0_4arch9wavefront6targetE1EEEvT1_,comdat
.Lfunc_end2490:
	.size	_ZN7rocprim17ROCPRIM_400000_NS6detail17trampoline_kernelINS0_14default_configENS1_25partition_config_selectorILNS1_17partition_subalgoE0EjNS0_10empty_typeEbEEZZNS1_14partition_implILS5_0ELb0ES3_jN6thrust23THRUST_200600_302600_NS6detail15normal_iteratorINSA_10device_ptrIjEEEEPS6_SG_NS0_5tupleIJNSA_16discard_iteratorINSA_11use_defaultEEESF_EEENSH_IJSG_SG_EEES6_PlJ7is_evenIjEEEE10hipError_tPvRmT3_T4_T5_T6_T7_T9_mT8_P12ihipStream_tbDpT10_ENKUlT_T0_E_clISt17integral_constantIbLb0EES18_IbLb1EEEEDaS14_S15_EUlS14_E_NS1_11comp_targetILNS1_3genE8ELNS1_11target_archE1030ELNS1_3gpuE2ELNS1_3repE0EEENS1_30default_config_static_selectorELNS0_4arch9wavefront6targetE1EEEvT1_, .Lfunc_end2490-_ZN7rocprim17ROCPRIM_400000_NS6detail17trampoline_kernelINS0_14default_configENS1_25partition_config_selectorILNS1_17partition_subalgoE0EjNS0_10empty_typeEbEEZZNS1_14partition_implILS5_0ELb0ES3_jN6thrust23THRUST_200600_302600_NS6detail15normal_iteratorINSA_10device_ptrIjEEEEPS6_SG_NS0_5tupleIJNSA_16discard_iteratorINSA_11use_defaultEEESF_EEENSH_IJSG_SG_EEES6_PlJ7is_evenIjEEEE10hipError_tPvRmT3_T4_T5_T6_T7_T9_mT8_P12ihipStream_tbDpT10_ENKUlT_T0_E_clISt17integral_constantIbLb0EES18_IbLb1EEEEDaS14_S15_EUlS14_E_NS1_11comp_targetILNS1_3genE8ELNS1_11target_archE1030ELNS1_3gpuE2ELNS1_3repE0EEENS1_30default_config_static_selectorELNS0_4arch9wavefront6targetE1EEEvT1_
                                        ; -- End function
	.section	.AMDGPU.csdata,"",@progbits
; Kernel info:
; codeLenInByte = 0
; NumSgprs: 4
; NumVgprs: 0
; NumAgprs: 0
; TotalNumVgprs: 0
; ScratchSize: 0
; MemoryBound: 0
; FloatMode: 240
; IeeeMode: 1
; LDSByteSize: 0 bytes/workgroup (compile time only)
; SGPRBlocks: 0
; VGPRBlocks: 0
; NumSGPRsForWavesPerEU: 4
; NumVGPRsForWavesPerEU: 1
; AccumOffset: 4
; Occupancy: 8
; WaveLimiterHint : 0
; COMPUTE_PGM_RSRC2:SCRATCH_EN: 0
; COMPUTE_PGM_RSRC2:USER_SGPR: 6
; COMPUTE_PGM_RSRC2:TRAP_HANDLER: 0
; COMPUTE_PGM_RSRC2:TGID_X_EN: 1
; COMPUTE_PGM_RSRC2:TGID_Y_EN: 0
; COMPUTE_PGM_RSRC2:TGID_Z_EN: 0
; COMPUTE_PGM_RSRC2:TIDIG_COMP_CNT: 0
; COMPUTE_PGM_RSRC3_GFX90A:ACCUM_OFFSET: 0
; COMPUTE_PGM_RSRC3_GFX90A:TG_SPLIT: 0
	.section	.text._ZN7rocprim17ROCPRIM_400000_NS6detail17trampoline_kernelINS0_14default_configENS1_25partition_config_selectorILNS1_17partition_subalgoE0EtNS0_10empty_typeEbEEZZNS1_14partition_implILS5_0ELb0ES3_jN6thrust23THRUST_200600_302600_NS6detail15normal_iteratorINSA_10device_ptrItEEEEPS6_SG_NS0_5tupleIJNSA_16discard_iteratorINSA_11use_defaultEEESK_EEENSH_IJSG_SG_EEES6_PlJ7is_evenItEEEE10hipError_tPvRmT3_T4_T5_T6_T7_T9_mT8_P12ihipStream_tbDpT10_ENKUlT_T0_E_clISt17integral_constantIbLb0EES19_EEDaS14_S15_EUlS14_E_NS1_11comp_targetILNS1_3genE0ELNS1_11target_archE4294967295ELNS1_3gpuE0ELNS1_3repE0EEENS1_30default_config_static_selectorELNS0_4arch9wavefront6targetE1EEEvT1_,"axG",@progbits,_ZN7rocprim17ROCPRIM_400000_NS6detail17trampoline_kernelINS0_14default_configENS1_25partition_config_selectorILNS1_17partition_subalgoE0EtNS0_10empty_typeEbEEZZNS1_14partition_implILS5_0ELb0ES3_jN6thrust23THRUST_200600_302600_NS6detail15normal_iteratorINSA_10device_ptrItEEEEPS6_SG_NS0_5tupleIJNSA_16discard_iteratorINSA_11use_defaultEEESK_EEENSH_IJSG_SG_EEES6_PlJ7is_evenItEEEE10hipError_tPvRmT3_T4_T5_T6_T7_T9_mT8_P12ihipStream_tbDpT10_ENKUlT_T0_E_clISt17integral_constantIbLb0EES19_EEDaS14_S15_EUlS14_E_NS1_11comp_targetILNS1_3genE0ELNS1_11target_archE4294967295ELNS1_3gpuE0ELNS1_3repE0EEENS1_30default_config_static_selectorELNS0_4arch9wavefront6targetE1EEEvT1_,comdat
	.protected	_ZN7rocprim17ROCPRIM_400000_NS6detail17trampoline_kernelINS0_14default_configENS1_25partition_config_selectorILNS1_17partition_subalgoE0EtNS0_10empty_typeEbEEZZNS1_14partition_implILS5_0ELb0ES3_jN6thrust23THRUST_200600_302600_NS6detail15normal_iteratorINSA_10device_ptrItEEEEPS6_SG_NS0_5tupleIJNSA_16discard_iteratorINSA_11use_defaultEEESK_EEENSH_IJSG_SG_EEES6_PlJ7is_evenItEEEE10hipError_tPvRmT3_T4_T5_T6_T7_T9_mT8_P12ihipStream_tbDpT10_ENKUlT_T0_E_clISt17integral_constantIbLb0EES19_EEDaS14_S15_EUlS14_E_NS1_11comp_targetILNS1_3genE0ELNS1_11target_archE4294967295ELNS1_3gpuE0ELNS1_3repE0EEENS1_30default_config_static_selectorELNS0_4arch9wavefront6targetE1EEEvT1_ ; -- Begin function _ZN7rocprim17ROCPRIM_400000_NS6detail17trampoline_kernelINS0_14default_configENS1_25partition_config_selectorILNS1_17partition_subalgoE0EtNS0_10empty_typeEbEEZZNS1_14partition_implILS5_0ELb0ES3_jN6thrust23THRUST_200600_302600_NS6detail15normal_iteratorINSA_10device_ptrItEEEEPS6_SG_NS0_5tupleIJNSA_16discard_iteratorINSA_11use_defaultEEESK_EEENSH_IJSG_SG_EEES6_PlJ7is_evenItEEEE10hipError_tPvRmT3_T4_T5_T6_T7_T9_mT8_P12ihipStream_tbDpT10_ENKUlT_T0_E_clISt17integral_constantIbLb0EES19_EEDaS14_S15_EUlS14_E_NS1_11comp_targetILNS1_3genE0ELNS1_11target_archE4294967295ELNS1_3gpuE0ELNS1_3repE0EEENS1_30default_config_static_selectorELNS0_4arch9wavefront6targetE1EEEvT1_
	.globl	_ZN7rocprim17ROCPRIM_400000_NS6detail17trampoline_kernelINS0_14default_configENS1_25partition_config_selectorILNS1_17partition_subalgoE0EtNS0_10empty_typeEbEEZZNS1_14partition_implILS5_0ELb0ES3_jN6thrust23THRUST_200600_302600_NS6detail15normal_iteratorINSA_10device_ptrItEEEEPS6_SG_NS0_5tupleIJNSA_16discard_iteratorINSA_11use_defaultEEESK_EEENSH_IJSG_SG_EEES6_PlJ7is_evenItEEEE10hipError_tPvRmT3_T4_T5_T6_T7_T9_mT8_P12ihipStream_tbDpT10_ENKUlT_T0_E_clISt17integral_constantIbLb0EES19_EEDaS14_S15_EUlS14_E_NS1_11comp_targetILNS1_3genE0ELNS1_11target_archE4294967295ELNS1_3gpuE0ELNS1_3repE0EEENS1_30default_config_static_selectorELNS0_4arch9wavefront6targetE1EEEvT1_
	.p2align	8
	.type	_ZN7rocprim17ROCPRIM_400000_NS6detail17trampoline_kernelINS0_14default_configENS1_25partition_config_selectorILNS1_17partition_subalgoE0EtNS0_10empty_typeEbEEZZNS1_14partition_implILS5_0ELb0ES3_jN6thrust23THRUST_200600_302600_NS6detail15normal_iteratorINSA_10device_ptrItEEEEPS6_SG_NS0_5tupleIJNSA_16discard_iteratorINSA_11use_defaultEEESK_EEENSH_IJSG_SG_EEES6_PlJ7is_evenItEEEE10hipError_tPvRmT3_T4_T5_T6_T7_T9_mT8_P12ihipStream_tbDpT10_ENKUlT_T0_E_clISt17integral_constantIbLb0EES19_EEDaS14_S15_EUlS14_E_NS1_11comp_targetILNS1_3genE0ELNS1_11target_archE4294967295ELNS1_3gpuE0ELNS1_3repE0EEENS1_30default_config_static_selectorELNS0_4arch9wavefront6targetE1EEEvT1_,@function
_ZN7rocprim17ROCPRIM_400000_NS6detail17trampoline_kernelINS0_14default_configENS1_25partition_config_selectorILNS1_17partition_subalgoE0EtNS0_10empty_typeEbEEZZNS1_14partition_implILS5_0ELb0ES3_jN6thrust23THRUST_200600_302600_NS6detail15normal_iteratorINSA_10device_ptrItEEEEPS6_SG_NS0_5tupleIJNSA_16discard_iteratorINSA_11use_defaultEEESK_EEENSH_IJSG_SG_EEES6_PlJ7is_evenItEEEE10hipError_tPvRmT3_T4_T5_T6_T7_T9_mT8_P12ihipStream_tbDpT10_ENKUlT_T0_E_clISt17integral_constantIbLb0EES19_EEDaS14_S15_EUlS14_E_NS1_11comp_targetILNS1_3genE0ELNS1_11target_archE4294967295ELNS1_3gpuE0ELNS1_3repE0EEENS1_30default_config_static_selectorELNS0_4arch9wavefront6targetE1EEEvT1_: ; @_ZN7rocprim17ROCPRIM_400000_NS6detail17trampoline_kernelINS0_14default_configENS1_25partition_config_selectorILNS1_17partition_subalgoE0EtNS0_10empty_typeEbEEZZNS1_14partition_implILS5_0ELb0ES3_jN6thrust23THRUST_200600_302600_NS6detail15normal_iteratorINSA_10device_ptrItEEEEPS6_SG_NS0_5tupleIJNSA_16discard_iteratorINSA_11use_defaultEEESK_EEENSH_IJSG_SG_EEES6_PlJ7is_evenItEEEE10hipError_tPvRmT3_T4_T5_T6_T7_T9_mT8_P12ihipStream_tbDpT10_ENKUlT_T0_E_clISt17integral_constantIbLb0EES19_EEDaS14_S15_EUlS14_E_NS1_11comp_targetILNS1_3genE0ELNS1_11target_archE4294967295ELNS1_3gpuE0ELNS1_3repE0EEENS1_30default_config_static_selectorELNS0_4arch9wavefront6targetE1EEEvT1_
; %bb.0:
	.section	.rodata,"a",@progbits
	.p2align	6, 0x0
	.amdhsa_kernel _ZN7rocprim17ROCPRIM_400000_NS6detail17trampoline_kernelINS0_14default_configENS1_25partition_config_selectorILNS1_17partition_subalgoE0EtNS0_10empty_typeEbEEZZNS1_14partition_implILS5_0ELb0ES3_jN6thrust23THRUST_200600_302600_NS6detail15normal_iteratorINSA_10device_ptrItEEEEPS6_SG_NS0_5tupleIJNSA_16discard_iteratorINSA_11use_defaultEEESK_EEENSH_IJSG_SG_EEES6_PlJ7is_evenItEEEE10hipError_tPvRmT3_T4_T5_T6_T7_T9_mT8_P12ihipStream_tbDpT10_ENKUlT_T0_E_clISt17integral_constantIbLb0EES19_EEDaS14_S15_EUlS14_E_NS1_11comp_targetILNS1_3genE0ELNS1_11target_archE4294967295ELNS1_3gpuE0ELNS1_3repE0EEENS1_30default_config_static_selectorELNS0_4arch9wavefront6targetE1EEEvT1_
		.amdhsa_group_segment_fixed_size 0
		.amdhsa_private_segment_fixed_size 0
		.amdhsa_kernarg_size 136
		.amdhsa_user_sgpr_count 6
		.amdhsa_user_sgpr_private_segment_buffer 1
		.amdhsa_user_sgpr_dispatch_ptr 0
		.amdhsa_user_sgpr_queue_ptr 0
		.amdhsa_user_sgpr_kernarg_segment_ptr 1
		.amdhsa_user_sgpr_dispatch_id 0
		.amdhsa_user_sgpr_flat_scratch_init 0
		.amdhsa_user_sgpr_kernarg_preload_length 0
		.amdhsa_user_sgpr_kernarg_preload_offset 0
		.amdhsa_user_sgpr_private_segment_size 0
		.amdhsa_uses_dynamic_stack 0
		.amdhsa_system_sgpr_private_segment_wavefront_offset 0
		.amdhsa_system_sgpr_workgroup_id_x 1
		.amdhsa_system_sgpr_workgroup_id_y 0
		.amdhsa_system_sgpr_workgroup_id_z 0
		.amdhsa_system_sgpr_workgroup_info 0
		.amdhsa_system_vgpr_workitem_id 0
		.amdhsa_next_free_vgpr 1
		.amdhsa_next_free_sgpr 0
		.amdhsa_accum_offset 4
		.amdhsa_reserve_vcc 0
		.amdhsa_reserve_flat_scratch 0
		.amdhsa_float_round_mode_32 0
		.amdhsa_float_round_mode_16_64 0
		.amdhsa_float_denorm_mode_32 3
		.amdhsa_float_denorm_mode_16_64 3
		.amdhsa_dx10_clamp 1
		.amdhsa_ieee_mode 1
		.amdhsa_fp16_overflow 0
		.amdhsa_tg_split 0
		.amdhsa_exception_fp_ieee_invalid_op 0
		.amdhsa_exception_fp_denorm_src 0
		.amdhsa_exception_fp_ieee_div_zero 0
		.amdhsa_exception_fp_ieee_overflow 0
		.amdhsa_exception_fp_ieee_underflow 0
		.amdhsa_exception_fp_ieee_inexact 0
		.amdhsa_exception_int_div_zero 0
	.end_amdhsa_kernel
	.section	.text._ZN7rocprim17ROCPRIM_400000_NS6detail17trampoline_kernelINS0_14default_configENS1_25partition_config_selectorILNS1_17partition_subalgoE0EtNS0_10empty_typeEbEEZZNS1_14partition_implILS5_0ELb0ES3_jN6thrust23THRUST_200600_302600_NS6detail15normal_iteratorINSA_10device_ptrItEEEEPS6_SG_NS0_5tupleIJNSA_16discard_iteratorINSA_11use_defaultEEESK_EEENSH_IJSG_SG_EEES6_PlJ7is_evenItEEEE10hipError_tPvRmT3_T4_T5_T6_T7_T9_mT8_P12ihipStream_tbDpT10_ENKUlT_T0_E_clISt17integral_constantIbLb0EES19_EEDaS14_S15_EUlS14_E_NS1_11comp_targetILNS1_3genE0ELNS1_11target_archE4294967295ELNS1_3gpuE0ELNS1_3repE0EEENS1_30default_config_static_selectorELNS0_4arch9wavefront6targetE1EEEvT1_,"axG",@progbits,_ZN7rocprim17ROCPRIM_400000_NS6detail17trampoline_kernelINS0_14default_configENS1_25partition_config_selectorILNS1_17partition_subalgoE0EtNS0_10empty_typeEbEEZZNS1_14partition_implILS5_0ELb0ES3_jN6thrust23THRUST_200600_302600_NS6detail15normal_iteratorINSA_10device_ptrItEEEEPS6_SG_NS0_5tupleIJNSA_16discard_iteratorINSA_11use_defaultEEESK_EEENSH_IJSG_SG_EEES6_PlJ7is_evenItEEEE10hipError_tPvRmT3_T4_T5_T6_T7_T9_mT8_P12ihipStream_tbDpT10_ENKUlT_T0_E_clISt17integral_constantIbLb0EES19_EEDaS14_S15_EUlS14_E_NS1_11comp_targetILNS1_3genE0ELNS1_11target_archE4294967295ELNS1_3gpuE0ELNS1_3repE0EEENS1_30default_config_static_selectorELNS0_4arch9wavefront6targetE1EEEvT1_,comdat
.Lfunc_end2491:
	.size	_ZN7rocprim17ROCPRIM_400000_NS6detail17trampoline_kernelINS0_14default_configENS1_25partition_config_selectorILNS1_17partition_subalgoE0EtNS0_10empty_typeEbEEZZNS1_14partition_implILS5_0ELb0ES3_jN6thrust23THRUST_200600_302600_NS6detail15normal_iteratorINSA_10device_ptrItEEEEPS6_SG_NS0_5tupleIJNSA_16discard_iteratorINSA_11use_defaultEEESK_EEENSH_IJSG_SG_EEES6_PlJ7is_evenItEEEE10hipError_tPvRmT3_T4_T5_T6_T7_T9_mT8_P12ihipStream_tbDpT10_ENKUlT_T0_E_clISt17integral_constantIbLb0EES19_EEDaS14_S15_EUlS14_E_NS1_11comp_targetILNS1_3genE0ELNS1_11target_archE4294967295ELNS1_3gpuE0ELNS1_3repE0EEENS1_30default_config_static_selectorELNS0_4arch9wavefront6targetE1EEEvT1_, .Lfunc_end2491-_ZN7rocprim17ROCPRIM_400000_NS6detail17trampoline_kernelINS0_14default_configENS1_25partition_config_selectorILNS1_17partition_subalgoE0EtNS0_10empty_typeEbEEZZNS1_14partition_implILS5_0ELb0ES3_jN6thrust23THRUST_200600_302600_NS6detail15normal_iteratorINSA_10device_ptrItEEEEPS6_SG_NS0_5tupleIJNSA_16discard_iteratorINSA_11use_defaultEEESK_EEENSH_IJSG_SG_EEES6_PlJ7is_evenItEEEE10hipError_tPvRmT3_T4_T5_T6_T7_T9_mT8_P12ihipStream_tbDpT10_ENKUlT_T0_E_clISt17integral_constantIbLb0EES19_EEDaS14_S15_EUlS14_E_NS1_11comp_targetILNS1_3genE0ELNS1_11target_archE4294967295ELNS1_3gpuE0ELNS1_3repE0EEENS1_30default_config_static_selectorELNS0_4arch9wavefront6targetE1EEEvT1_
                                        ; -- End function
	.section	.AMDGPU.csdata,"",@progbits
; Kernel info:
; codeLenInByte = 0
; NumSgprs: 4
; NumVgprs: 0
; NumAgprs: 0
; TotalNumVgprs: 0
; ScratchSize: 0
; MemoryBound: 0
; FloatMode: 240
; IeeeMode: 1
; LDSByteSize: 0 bytes/workgroup (compile time only)
; SGPRBlocks: 0
; VGPRBlocks: 0
; NumSGPRsForWavesPerEU: 4
; NumVGPRsForWavesPerEU: 1
; AccumOffset: 4
; Occupancy: 8
; WaveLimiterHint : 0
; COMPUTE_PGM_RSRC2:SCRATCH_EN: 0
; COMPUTE_PGM_RSRC2:USER_SGPR: 6
; COMPUTE_PGM_RSRC2:TRAP_HANDLER: 0
; COMPUTE_PGM_RSRC2:TGID_X_EN: 1
; COMPUTE_PGM_RSRC2:TGID_Y_EN: 0
; COMPUTE_PGM_RSRC2:TGID_Z_EN: 0
; COMPUTE_PGM_RSRC2:TIDIG_COMP_CNT: 0
; COMPUTE_PGM_RSRC3_GFX90A:ACCUM_OFFSET: 0
; COMPUTE_PGM_RSRC3_GFX90A:TG_SPLIT: 0
	.section	.text._ZN7rocprim17ROCPRIM_400000_NS6detail17trampoline_kernelINS0_14default_configENS1_25partition_config_selectorILNS1_17partition_subalgoE0EtNS0_10empty_typeEbEEZZNS1_14partition_implILS5_0ELb0ES3_jN6thrust23THRUST_200600_302600_NS6detail15normal_iteratorINSA_10device_ptrItEEEEPS6_SG_NS0_5tupleIJNSA_16discard_iteratorINSA_11use_defaultEEESK_EEENSH_IJSG_SG_EEES6_PlJ7is_evenItEEEE10hipError_tPvRmT3_T4_T5_T6_T7_T9_mT8_P12ihipStream_tbDpT10_ENKUlT_T0_E_clISt17integral_constantIbLb0EES19_EEDaS14_S15_EUlS14_E_NS1_11comp_targetILNS1_3genE5ELNS1_11target_archE942ELNS1_3gpuE9ELNS1_3repE0EEENS1_30default_config_static_selectorELNS0_4arch9wavefront6targetE1EEEvT1_,"axG",@progbits,_ZN7rocprim17ROCPRIM_400000_NS6detail17trampoline_kernelINS0_14default_configENS1_25partition_config_selectorILNS1_17partition_subalgoE0EtNS0_10empty_typeEbEEZZNS1_14partition_implILS5_0ELb0ES3_jN6thrust23THRUST_200600_302600_NS6detail15normal_iteratorINSA_10device_ptrItEEEEPS6_SG_NS0_5tupleIJNSA_16discard_iteratorINSA_11use_defaultEEESK_EEENSH_IJSG_SG_EEES6_PlJ7is_evenItEEEE10hipError_tPvRmT3_T4_T5_T6_T7_T9_mT8_P12ihipStream_tbDpT10_ENKUlT_T0_E_clISt17integral_constantIbLb0EES19_EEDaS14_S15_EUlS14_E_NS1_11comp_targetILNS1_3genE5ELNS1_11target_archE942ELNS1_3gpuE9ELNS1_3repE0EEENS1_30default_config_static_selectorELNS0_4arch9wavefront6targetE1EEEvT1_,comdat
	.protected	_ZN7rocprim17ROCPRIM_400000_NS6detail17trampoline_kernelINS0_14default_configENS1_25partition_config_selectorILNS1_17partition_subalgoE0EtNS0_10empty_typeEbEEZZNS1_14partition_implILS5_0ELb0ES3_jN6thrust23THRUST_200600_302600_NS6detail15normal_iteratorINSA_10device_ptrItEEEEPS6_SG_NS0_5tupleIJNSA_16discard_iteratorINSA_11use_defaultEEESK_EEENSH_IJSG_SG_EEES6_PlJ7is_evenItEEEE10hipError_tPvRmT3_T4_T5_T6_T7_T9_mT8_P12ihipStream_tbDpT10_ENKUlT_T0_E_clISt17integral_constantIbLb0EES19_EEDaS14_S15_EUlS14_E_NS1_11comp_targetILNS1_3genE5ELNS1_11target_archE942ELNS1_3gpuE9ELNS1_3repE0EEENS1_30default_config_static_selectorELNS0_4arch9wavefront6targetE1EEEvT1_ ; -- Begin function _ZN7rocprim17ROCPRIM_400000_NS6detail17trampoline_kernelINS0_14default_configENS1_25partition_config_selectorILNS1_17partition_subalgoE0EtNS0_10empty_typeEbEEZZNS1_14partition_implILS5_0ELb0ES3_jN6thrust23THRUST_200600_302600_NS6detail15normal_iteratorINSA_10device_ptrItEEEEPS6_SG_NS0_5tupleIJNSA_16discard_iteratorINSA_11use_defaultEEESK_EEENSH_IJSG_SG_EEES6_PlJ7is_evenItEEEE10hipError_tPvRmT3_T4_T5_T6_T7_T9_mT8_P12ihipStream_tbDpT10_ENKUlT_T0_E_clISt17integral_constantIbLb0EES19_EEDaS14_S15_EUlS14_E_NS1_11comp_targetILNS1_3genE5ELNS1_11target_archE942ELNS1_3gpuE9ELNS1_3repE0EEENS1_30default_config_static_selectorELNS0_4arch9wavefront6targetE1EEEvT1_
	.globl	_ZN7rocprim17ROCPRIM_400000_NS6detail17trampoline_kernelINS0_14default_configENS1_25partition_config_selectorILNS1_17partition_subalgoE0EtNS0_10empty_typeEbEEZZNS1_14partition_implILS5_0ELb0ES3_jN6thrust23THRUST_200600_302600_NS6detail15normal_iteratorINSA_10device_ptrItEEEEPS6_SG_NS0_5tupleIJNSA_16discard_iteratorINSA_11use_defaultEEESK_EEENSH_IJSG_SG_EEES6_PlJ7is_evenItEEEE10hipError_tPvRmT3_T4_T5_T6_T7_T9_mT8_P12ihipStream_tbDpT10_ENKUlT_T0_E_clISt17integral_constantIbLb0EES19_EEDaS14_S15_EUlS14_E_NS1_11comp_targetILNS1_3genE5ELNS1_11target_archE942ELNS1_3gpuE9ELNS1_3repE0EEENS1_30default_config_static_selectorELNS0_4arch9wavefront6targetE1EEEvT1_
	.p2align	8
	.type	_ZN7rocprim17ROCPRIM_400000_NS6detail17trampoline_kernelINS0_14default_configENS1_25partition_config_selectorILNS1_17partition_subalgoE0EtNS0_10empty_typeEbEEZZNS1_14partition_implILS5_0ELb0ES3_jN6thrust23THRUST_200600_302600_NS6detail15normal_iteratorINSA_10device_ptrItEEEEPS6_SG_NS0_5tupleIJNSA_16discard_iteratorINSA_11use_defaultEEESK_EEENSH_IJSG_SG_EEES6_PlJ7is_evenItEEEE10hipError_tPvRmT3_T4_T5_T6_T7_T9_mT8_P12ihipStream_tbDpT10_ENKUlT_T0_E_clISt17integral_constantIbLb0EES19_EEDaS14_S15_EUlS14_E_NS1_11comp_targetILNS1_3genE5ELNS1_11target_archE942ELNS1_3gpuE9ELNS1_3repE0EEENS1_30default_config_static_selectorELNS0_4arch9wavefront6targetE1EEEvT1_,@function
_ZN7rocprim17ROCPRIM_400000_NS6detail17trampoline_kernelINS0_14default_configENS1_25partition_config_selectorILNS1_17partition_subalgoE0EtNS0_10empty_typeEbEEZZNS1_14partition_implILS5_0ELb0ES3_jN6thrust23THRUST_200600_302600_NS6detail15normal_iteratorINSA_10device_ptrItEEEEPS6_SG_NS0_5tupleIJNSA_16discard_iteratorINSA_11use_defaultEEESK_EEENSH_IJSG_SG_EEES6_PlJ7is_evenItEEEE10hipError_tPvRmT3_T4_T5_T6_T7_T9_mT8_P12ihipStream_tbDpT10_ENKUlT_T0_E_clISt17integral_constantIbLb0EES19_EEDaS14_S15_EUlS14_E_NS1_11comp_targetILNS1_3genE5ELNS1_11target_archE942ELNS1_3gpuE9ELNS1_3repE0EEENS1_30default_config_static_selectorELNS0_4arch9wavefront6targetE1EEEvT1_: ; @_ZN7rocprim17ROCPRIM_400000_NS6detail17trampoline_kernelINS0_14default_configENS1_25partition_config_selectorILNS1_17partition_subalgoE0EtNS0_10empty_typeEbEEZZNS1_14partition_implILS5_0ELb0ES3_jN6thrust23THRUST_200600_302600_NS6detail15normal_iteratorINSA_10device_ptrItEEEEPS6_SG_NS0_5tupleIJNSA_16discard_iteratorINSA_11use_defaultEEESK_EEENSH_IJSG_SG_EEES6_PlJ7is_evenItEEEE10hipError_tPvRmT3_T4_T5_T6_T7_T9_mT8_P12ihipStream_tbDpT10_ENKUlT_T0_E_clISt17integral_constantIbLb0EES19_EEDaS14_S15_EUlS14_E_NS1_11comp_targetILNS1_3genE5ELNS1_11target_archE942ELNS1_3gpuE9ELNS1_3repE0EEENS1_30default_config_static_selectorELNS0_4arch9wavefront6targetE1EEEvT1_
; %bb.0:
	.section	.rodata,"a",@progbits
	.p2align	6, 0x0
	.amdhsa_kernel _ZN7rocprim17ROCPRIM_400000_NS6detail17trampoline_kernelINS0_14default_configENS1_25partition_config_selectorILNS1_17partition_subalgoE0EtNS0_10empty_typeEbEEZZNS1_14partition_implILS5_0ELb0ES3_jN6thrust23THRUST_200600_302600_NS6detail15normal_iteratorINSA_10device_ptrItEEEEPS6_SG_NS0_5tupleIJNSA_16discard_iteratorINSA_11use_defaultEEESK_EEENSH_IJSG_SG_EEES6_PlJ7is_evenItEEEE10hipError_tPvRmT3_T4_T5_T6_T7_T9_mT8_P12ihipStream_tbDpT10_ENKUlT_T0_E_clISt17integral_constantIbLb0EES19_EEDaS14_S15_EUlS14_E_NS1_11comp_targetILNS1_3genE5ELNS1_11target_archE942ELNS1_3gpuE9ELNS1_3repE0EEENS1_30default_config_static_selectorELNS0_4arch9wavefront6targetE1EEEvT1_
		.amdhsa_group_segment_fixed_size 0
		.amdhsa_private_segment_fixed_size 0
		.amdhsa_kernarg_size 136
		.amdhsa_user_sgpr_count 6
		.amdhsa_user_sgpr_private_segment_buffer 1
		.amdhsa_user_sgpr_dispatch_ptr 0
		.amdhsa_user_sgpr_queue_ptr 0
		.amdhsa_user_sgpr_kernarg_segment_ptr 1
		.amdhsa_user_sgpr_dispatch_id 0
		.amdhsa_user_sgpr_flat_scratch_init 0
		.amdhsa_user_sgpr_kernarg_preload_length 0
		.amdhsa_user_sgpr_kernarg_preload_offset 0
		.amdhsa_user_sgpr_private_segment_size 0
		.amdhsa_uses_dynamic_stack 0
		.amdhsa_system_sgpr_private_segment_wavefront_offset 0
		.amdhsa_system_sgpr_workgroup_id_x 1
		.amdhsa_system_sgpr_workgroup_id_y 0
		.amdhsa_system_sgpr_workgroup_id_z 0
		.amdhsa_system_sgpr_workgroup_info 0
		.amdhsa_system_vgpr_workitem_id 0
		.amdhsa_next_free_vgpr 1
		.amdhsa_next_free_sgpr 0
		.amdhsa_accum_offset 4
		.amdhsa_reserve_vcc 0
		.amdhsa_reserve_flat_scratch 0
		.amdhsa_float_round_mode_32 0
		.amdhsa_float_round_mode_16_64 0
		.amdhsa_float_denorm_mode_32 3
		.amdhsa_float_denorm_mode_16_64 3
		.amdhsa_dx10_clamp 1
		.amdhsa_ieee_mode 1
		.amdhsa_fp16_overflow 0
		.amdhsa_tg_split 0
		.amdhsa_exception_fp_ieee_invalid_op 0
		.amdhsa_exception_fp_denorm_src 0
		.amdhsa_exception_fp_ieee_div_zero 0
		.amdhsa_exception_fp_ieee_overflow 0
		.amdhsa_exception_fp_ieee_underflow 0
		.amdhsa_exception_fp_ieee_inexact 0
		.amdhsa_exception_int_div_zero 0
	.end_amdhsa_kernel
	.section	.text._ZN7rocprim17ROCPRIM_400000_NS6detail17trampoline_kernelINS0_14default_configENS1_25partition_config_selectorILNS1_17partition_subalgoE0EtNS0_10empty_typeEbEEZZNS1_14partition_implILS5_0ELb0ES3_jN6thrust23THRUST_200600_302600_NS6detail15normal_iteratorINSA_10device_ptrItEEEEPS6_SG_NS0_5tupleIJNSA_16discard_iteratorINSA_11use_defaultEEESK_EEENSH_IJSG_SG_EEES6_PlJ7is_evenItEEEE10hipError_tPvRmT3_T4_T5_T6_T7_T9_mT8_P12ihipStream_tbDpT10_ENKUlT_T0_E_clISt17integral_constantIbLb0EES19_EEDaS14_S15_EUlS14_E_NS1_11comp_targetILNS1_3genE5ELNS1_11target_archE942ELNS1_3gpuE9ELNS1_3repE0EEENS1_30default_config_static_selectorELNS0_4arch9wavefront6targetE1EEEvT1_,"axG",@progbits,_ZN7rocprim17ROCPRIM_400000_NS6detail17trampoline_kernelINS0_14default_configENS1_25partition_config_selectorILNS1_17partition_subalgoE0EtNS0_10empty_typeEbEEZZNS1_14partition_implILS5_0ELb0ES3_jN6thrust23THRUST_200600_302600_NS6detail15normal_iteratorINSA_10device_ptrItEEEEPS6_SG_NS0_5tupleIJNSA_16discard_iteratorINSA_11use_defaultEEESK_EEENSH_IJSG_SG_EEES6_PlJ7is_evenItEEEE10hipError_tPvRmT3_T4_T5_T6_T7_T9_mT8_P12ihipStream_tbDpT10_ENKUlT_T0_E_clISt17integral_constantIbLb0EES19_EEDaS14_S15_EUlS14_E_NS1_11comp_targetILNS1_3genE5ELNS1_11target_archE942ELNS1_3gpuE9ELNS1_3repE0EEENS1_30default_config_static_selectorELNS0_4arch9wavefront6targetE1EEEvT1_,comdat
.Lfunc_end2492:
	.size	_ZN7rocprim17ROCPRIM_400000_NS6detail17trampoline_kernelINS0_14default_configENS1_25partition_config_selectorILNS1_17partition_subalgoE0EtNS0_10empty_typeEbEEZZNS1_14partition_implILS5_0ELb0ES3_jN6thrust23THRUST_200600_302600_NS6detail15normal_iteratorINSA_10device_ptrItEEEEPS6_SG_NS0_5tupleIJNSA_16discard_iteratorINSA_11use_defaultEEESK_EEENSH_IJSG_SG_EEES6_PlJ7is_evenItEEEE10hipError_tPvRmT3_T4_T5_T6_T7_T9_mT8_P12ihipStream_tbDpT10_ENKUlT_T0_E_clISt17integral_constantIbLb0EES19_EEDaS14_S15_EUlS14_E_NS1_11comp_targetILNS1_3genE5ELNS1_11target_archE942ELNS1_3gpuE9ELNS1_3repE0EEENS1_30default_config_static_selectorELNS0_4arch9wavefront6targetE1EEEvT1_, .Lfunc_end2492-_ZN7rocprim17ROCPRIM_400000_NS6detail17trampoline_kernelINS0_14default_configENS1_25partition_config_selectorILNS1_17partition_subalgoE0EtNS0_10empty_typeEbEEZZNS1_14partition_implILS5_0ELb0ES3_jN6thrust23THRUST_200600_302600_NS6detail15normal_iteratorINSA_10device_ptrItEEEEPS6_SG_NS0_5tupleIJNSA_16discard_iteratorINSA_11use_defaultEEESK_EEENSH_IJSG_SG_EEES6_PlJ7is_evenItEEEE10hipError_tPvRmT3_T4_T5_T6_T7_T9_mT8_P12ihipStream_tbDpT10_ENKUlT_T0_E_clISt17integral_constantIbLb0EES19_EEDaS14_S15_EUlS14_E_NS1_11comp_targetILNS1_3genE5ELNS1_11target_archE942ELNS1_3gpuE9ELNS1_3repE0EEENS1_30default_config_static_selectorELNS0_4arch9wavefront6targetE1EEEvT1_
                                        ; -- End function
	.section	.AMDGPU.csdata,"",@progbits
; Kernel info:
; codeLenInByte = 0
; NumSgprs: 4
; NumVgprs: 0
; NumAgprs: 0
; TotalNumVgprs: 0
; ScratchSize: 0
; MemoryBound: 0
; FloatMode: 240
; IeeeMode: 1
; LDSByteSize: 0 bytes/workgroup (compile time only)
; SGPRBlocks: 0
; VGPRBlocks: 0
; NumSGPRsForWavesPerEU: 4
; NumVGPRsForWavesPerEU: 1
; AccumOffset: 4
; Occupancy: 8
; WaveLimiterHint : 0
; COMPUTE_PGM_RSRC2:SCRATCH_EN: 0
; COMPUTE_PGM_RSRC2:USER_SGPR: 6
; COMPUTE_PGM_RSRC2:TRAP_HANDLER: 0
; COMPUTE_PGM_RSRC2:TGID_X_EN: 1
; COMPUTE_PGM_RSRC2:TGID_Y_EN: 0
; COMPUTE_PGM_RSRC2:TGID_Z_EN: 0
; COMPUTE_PGM_RSRC2:TIDIG_COMP_CNT: 0
; COMPUTE_PGM_RSRC3_GFX90A:ACCUM_OFFSET: 0
; COMPUTE_PGM_RSRC3_GFX90A:TG_SPLIT: 0
	.section	.text._ZN7rocprim17ROCPRIM_400000_NS6detail17trampoline_kernelINS0_14default_configENS1_25partition_config_selectorILNS1_17partition_subalgoE0EtNS0_10empty_typeEbEEZZNS1_14partition_implILS5_0ELb0ES3_jN6thrust23THRUST_200600_302600_NS6detail15normal_iteratorINSA_10device_ptrItEEEEPS6_SG_NS0_5tupleIJNSA_16discard_iteratorINSA_11use_defaultEEESK_EEENSH_IJSG_SG_EEES6_PlJ7is_evenItEEEE10hipError_tPvRmT3_T4_T5_T6_T7_T9_mT8_P12ihipStream_tbDpT10_ENKUlT_T0_E_clISt17integral_constantIbLb0EES19_EEDaS14_S15_EUlS14_E_NS1_11comp_targetILNS1_3genE4ELNS1_11target_archE910ELNS1_3gpuE8ELNS1_3repE0EEENS1_30default_config_static_selectorELNS0_4arch9wavefront6targetE1EEEvT1_,"axG",@progbits,_ZN7rocprim17ROCPRIM_400000_NS6detail17trampoline_kernelINS0_14default_configENS1_25partition_config_selectorILNS1_17partition_subalgoE0EtNS0_10empty_typeEbEEZZNS1_14partition_implILS5_0ELb0ES3_jN6thrust23THRUST_200600_302600_NS6detail15normal_iteratorINSA_10device_ptrItEEEEPS6_SG_NS0_5tupleIJNSA_16discard_iteratorINSA_11use_defaultEEESK_EEENSH_IJSG_SG_EEES6_PlJ7is_evenItEEEE10hipError_tPvRmT3_T4_T5_T6_T7_T9_mT8_P12ihipStream_tbDpT10_ENKUlT_T0_E_clISt17integral_constantIbLb0EES19_EEDaS14_S15_EUlS14_E_NS1_11comp_targetILNS1_3genE4ELNS1_11target_archE910ELNS1_3gpuE8ELNS1_3repE0EEENS1_30default_config_static_selectorELNS0_4arch9wavefront6targetE1EEEvT1_,comdat
	.protected	_ZN7rocprim17ROCPRIM_400000_NS6detail17trampoline_kernelINS0_14default_configENS1_25partition_config_selectorILNS1_17partition_subalgoE0EtNS0_10empty_typeEbEEZZNS1_14partition_implILS5_0ELb0ES3_jN6thrust23THRUST_200600_302600_NS6detail15normal_iteratorINSA_10device_ptrItEEEEPS6_SG_NS0_5tupleIJNSA_16discard_iteratorINSA_11use_defaultEEESK_EEENSH_IJSG_SG_EEES6_PlJ7is_evenItEEEE10hipError_tPvRmT3_T4_T5_T6_T7_T9_mT8_P12ihipStream_tbDpT10_ENKUlT_T0_E_clISt17integral_constantIbLb0EES19_EEDaS14_S15_EUlS14_E_NS1_11comp_targetILNS1_3genE4ELNS1_11target_archE910ELNS1_3gpuE8ELNS1_3repE0EEENS1_30default_config_static_selectorELNS0_4arch9wavefront6targetE1EEEvT1_ ; -- Begin function _ZN7rocprim17ROCPRIM_400000_NS6detail17trampoline_kernelINS0_14default_configENS1_25partition_config_selectorILNS1_17partition_subalgoE0EtNS0_10empty_typeEbEEZZNS1_14partition_implILS5_0ELb0ES3_jN6thrust23THRUST_200600_302600_NS6detail15normal_iteratorINSA_10device_ptrItEEEEPS6_SG_NS0_5tupleIJNSA_16discard_iteratorINSA_11use_defaultEEESK_EEENSH_IJSG_SG_EEES6_PlJ7is_evenItEEEE10hipError_tPvRmT3_T4_T5_T6_T7_T9_mT8_P12ihipStream_tbDpT10_ENKUlT_T0_E_clISt17integral_constantIbLb0EES19_EEDaS14_S15_EUlS14_E_NS1_11comp_targetILNS1_3genE4ELNS1_11target_archE910ELNS1_3gpuE8ELNS1_3repE0EEENS1_30default_config_static_selectorELNS0_4arch9wavefront6targetE1EEEvT1_
	.globl	_ZN7rocprim17ROCPRIM_400000_NS6detail17trampoline_kernelINS0_14default_configENS1_25partition_config_selectorILNS1_17partition_subalgoE0EtNS0_10empty_typeEbEEZZNS1_14partition_implILS5_0ELb0ES3_jN6thrust23THRUST_200600_302600_NS6detail15normal_iteratorINSA_10device_ptrItEEEEPS6_SG_NS0_5tupleIJNSA_16discard_iteratorINSA_11use_defaultEEESK_EEENSH_IJSG_SG_EEES6_PlJ7is_evenItEEEE10hipError_tPvRmT3_T4_T5_T6_T7_T9_mT8_P12ihipStream_tbDpT10_ENKUlT_T0_E_clISt17integral_constantIbLb0EES19_EEDaS14_S15_EUlS14_E_NS1_11comp_targetILNS1_3genE4ELNS1_11target_archE910ELNS1_3gpuE8ELNS1_3repE0EEENS1_30default_config_static_selectorELNS0_4arch9wavefront6targetE1EEEvT1_
	.p2align	8
	.type	_ZN7rocprim17ROCPRIM_400000_NS6detail17trampoline_kernelINS0_14default_configENS1_25partition_config_selectorILNS1_17partition_subalgoE0EtNS0_10empty_typeEbEEZZNS1_14partition_implILS5_0ELb0ES3_jN6thrust23THRUST_200600_302600_NS6detail15normal_iteratorINSA_10device_ptrItEEEEPS6_SG_NS0_5tupleIJNSA_16discard_iteratorINSA_11use_defaultEEESK_EEENSH_IJSG_SG_EEES6_PlJ7is_evenItEEEE10hipError_tPvRmT3_T4_T5_T6_T7_T9_mT8_P12ihipStream_tbDpT10_ENKUlT_T0_E_clISt17integral_constantIbLb0EES19_EEDaS14_S15_EUlS14_E_NS1_11comp_targetILNS1_3genE4ELNS1_11target_archE910ELNS1_3gpuE8ELNS1_3repE0EEENS1_30default_config_static_selectorELNS0_4arch9wavefront6targetE1EEEvT1_,@function
_ZN7rocprim17ROCPRIM_400000_NS6detail17trampoline_kernelINS0_14default_configENS1_25partition_config_selectorILNS1_17partition_subalgoE0EtNS0_10empty_typeEbEEZZNS1_14partition_implILS5_0ELb0ES3_jN6thrust23THRUST_200600_302600_NS6detail15normal_iteratorINSA_10device_ptrItEEEEPS6_SG_NS0_5tupleIJNSA_16discard_iteratorINSA_11use_defaultEEESK_EEENSH_IJSG_SG_EEES6_PlJ7is_evenItEEEE10hipError_tPvRmT3_T4_T5_T6_T7_T9_mT8_P12ihipStream_tbDpT10_ENKUlT_T0_E_clISt17integral_constantIbLb0EES19_EEDaS14_S15_EUlS14_E_NS1_11comp_targetILNS1_3genE4ELNS1_11target_archE910ELNS1_3gpuE8ELNS1_3repE0EEENS1_30default_config_static_selectorELNS0_4arch9wavefront6targetE1EEEvT1_: ; @_ZN7rocprim17ROCPRIM_400000_NS6detail17trampoline_kernelINS0_14default_configENS1_25partition_config_selectorILNS1_17partition_subalgoE0EtNS0_10empty_typeEbEEZZNS1_14partition_implILS5_0ELb0ES3_jN6thrust23THRUST_200600_302600_NS6detail15normal_iteratorINSA_10device_ptrItEEEEPS6_SG_NS0_5tupleIJNSA_16discard_iteratorINSA_11use_defaultEEESK_EEENSH_IJSG_SG_EEES6_PlJ7is_evenItEEEE10hipError_tPvRmT3_T4_T5_T6_T7_T9_mT8_P12ihipStream_tbDpT10_ENKUlT_T0_E_clISt17integral_constantIbLb0EES19_EEDaS14_S15_EUlS14_E_NS1_11comp_targetILNS1_3genE4ELNS1_11target_archE910ELNS1_3gpuE8ELNS1_3repE0EEENS1_30default_config_static_selectorELNS0_4arch9wavefront6targetE1EEEvT1_
; %bb.0:
	s_load_dwordx2 s[8:9], s[4:5], 0x68
	s_load_dwordx4 s[0:3], s[4:5], 0x8
	s_load_dwordx4 s[20:23], s[4:5], 0x58
	s_load_dword s7, s[4:5], 0x80
	v_lshlrev_b32_e32 v1, 1, v0
	s_waitcnt lgkmcnt(0)
	v_mov_b32_e32 v3, s9
	s_lshl_b64 s[10:11], s[2:3], 1
	s_add_u32 s9, s0, s10
	s_mul_i32 s0, s7, 0x1c00
	s_addc_u32 s12, s1, s11
	s_add_i32 s1, s0, s2
	s_add_i32 s13, s7, -1
	s_sub_i32 s7, s8, s1
	s_add_u32 s0, s2, s0
	s_addc_u32 s1, s3, 0
	s_cmp_eq_u32 s6, s13
	v_mov_b32_e32 v2, s8
	s_load_dwordx2 s[18:19], s[22:23], 0x0
	s_cselect_b64 s[22:23], -1, 0
	s_cmp_lg_u32 s6, s13
	s_mul_i32 s10, s6, 0x1c00
	s_mov_b32 s11, 0
	v_cmp_lt_u64_e32 vcc, s[0:1], v[2:3]
	s_cselect_b64 s[0:1], -1, 0
	s_or_b64 s[0:1], s[0:1], vcc
	s_lshl_b64 s[2:3], s[10:11], 1
	s_add_u32 s8, s9, s2
	s_addc_u32 s9, s12, s3
	s_mov_b64 s[2:3], -1
	s_and_b64 vcc, exec, s[0:1]
	s_cbranch_vccz .LBB2493_2
; %bb.1:
	v_mov_b32_e32 v3, s9
	v_add_co_u32_e32 v2, vcc, s8, v1
	v_addc_co_u32_e32 v3, vcc, 0, v3, vcc
	v_add_co_u32_e32 v4, vcc, 0x1000, v2
	v_addc_co_u32_e32 v5, vcc, 0, v3, vcc
	flat_load_ushort v6, v[2:3]
	flat_load_ushort v7, v[2:3] offset:512
	flat_load_ushort v8, v[2:3] offset:1024
	;; [unrolled: 1-line block ×7, first 2 shown]
	flat_load_ushort v14, v[4:5]
	flat_load_ushort v15, v[4:5] offset:512
	flat_load_ushort v16, v[4:5] offset:1024
	;; [unrolled: 1-line block ×7, first 2 shown]
	v_add_co_u32_e32 v4, vcc, 0x2000, v2
	v_addc_co_u32_e32 v5, vcc, 0, v3, vcc
	v_add_co_u32_e32 v2, vcc, 0x3000, v2
	v_addc_co_u32_e32 v3, vcc, 0, v3, vcc
	flat_load_ushort v22, v[4:5]
	flat_load_ushort v23, v[4:5] offset:512
	flat_load_ushort v24, v[4:5] offset:1024
	;; [unrolled: 1-line block ×7, first 2 shown]
	s_nop 0
	flat_load_ushort v4, v[2:3]
	flat_load_ushort v5, v[2:3] offset:512
	flat_load_ushort v30, v[2:3] offset:1024
	;; [unrolled: 1-line block ×3, first 2 shown]
	s_mov_b64 s[2:3], 0
	s_waitcnt vmcnt(0) lgkmcnt(0)
	ds_write_b16 v1, v6
	ds_write_b16 v1, v7 offset:512
	ds_write_b16 v1, v8 offset:1024
	ds_write_b16 v1, v9 offset:1536
	ds_write_b16 v1, v10 offset:2048
	ds_write_b16 v1, v11 offset:2560
	ds_write_b16 v1, v12 offset:3072
	ds_write_b16 v1, v13 offset:3584
	ds_write_b16 v1, v14 offset:4096
	ds_write_b16 v1, v15 offset:4608
	ds_write_b16 v1, v16 offset:5120
	ds_write_b16 v1, v17 offset:5632
	ds_write_b16 v1, v18 offset:6144
	ds_write_b16 v1, v19 offset:6656
	ds_write_b16 v1, v20 offset:7168
	ds_write_b16 v1, v21 offset:7680
	ds_write_b16 v1, v22 offset:8192
	ds_write_b16 v1, v23 offset:8704
	ds_write_b16 v1, v24 offset:9216
	ds_write_b16 v1, v25 offset:9728
	ds_write_b16 v1, v26 offset:10240
	ds_write_b16 v1, v27 offset:10752
	ds_write_b16 v1, v28 offset:11264
	ds_write_b16 v1, v29 offset:11776
	ds_write_b16 v1, v4 offset:12288
	ds_write_b16 v1, v5 offset:12800
	ds_write_b16 v1, v30 offset:13312
	ds_write_b16 v1, v31 offset:13824
	s_waitcnt lgkmcnt(0)
	s_barrier
.LBB2493_2:
	s_andn2_b64 vcc, exec, s[2:3]
	s_addk_i32 s7, 0x1c00
	s_cbranch_vccnz .LBB2493_60
; %bb.3:
	v_cmp_gt_u32_e32 vcc, s7, v0
                                        ; implicit-def: $vgpr2
	s_and_saveexec_b64 s[2:3], vcc
	s_cbranch_execz .LBB2493_5
; %bb.4:
	v_mov_b32_e32 v3, s9
	v_add_co_u32_e32 v2, vcc, s8, v1
	v_addc_co_u32_e32 v3, vcc, 0, v3, vcc
	flat_load_ushort v2, v[2:3]
.LBB2493_5:
	s_or_b64 exec, exec, s[2:3]
	v_or_b32_e32 v3, 0x100, v0
	v_cmp_gt_u32_e32 vcc, s7, v3
                                        ; implicit-def: $vgpr3
	s_and_saveexec_b64 s[2:3], vcc
	s_cbranch_execz .LBB2493_7
; %bb.6:
	v_mov_b32_e32 v3, s9
	v_add_co_u32_e32 v4, vcc, s8, v1
	v_addc_co_u32_e32 v5, vcc, 0, v3, vcc
	flat_load_ushort v3, v[4:5] offset:512
.LBB2493_7:
	s_or_b64 exec, exec, s[2:3]
	v_or_b32_e32 v4, 0x200, v0
	v_cmp_gt_u32_e32 vcc, s7, v4
                                        ; implicit-def: $vgpr4
	s_and_saveexec_b64 s[2:3], vcc
	s_cbranch_execz .LBB2493_9
; %bb.8:
	v_mov_b32_e32 v5, s9
	v_add_co_u32_e32 v4, vcc, s8, v1
	v_addc_co_u32_e32 v5, vcc, 0, v5, vcc
	flat_load_ushort v4, v[4:5] offset:1024
.LBB2493_9:
	s_or_b64 exec, exec, s[2:3]
	v_or_b32_e32 v5, 0x300, v0
	v_cmp_gt_u32_e32 vcc, s7, v5
                                        ; implicit-def: $vgpr5
	s_and_saveexec_b64 s[2:3], vcc
	s_cbranch_execz .LBB2493_11
; %bb.10:
	v_mov_b32_e32 v5, s9
	v_add_co_u32_e32 v6, vcc, s8, v1
	v_addc_co_u32_e32 v7, vcc, 0, v5, vcc
	flat_load_ushort v5, v[6:7] offset:1536
.LBB2493_11:
	s_or_b64 exec, exec, s[2:3]
	v_or_b32_e32 v6, 0x400, v0
	v_cmp_gt_u32_e32 vcc, s7, v6
                                        ; implicit-def: $vgpr6
	s_and_saveexec_b64 s[2:3], vcc
	s_cbranch_execz .LBB2493_13
; %bb.12:
	v_mov_b32_e32 v7, s9
	v_add_co_u32_e32 v6, vcc, s8, v1
	v_addc_co_u32_e32 v7, vcc, 0, v7, vcc
	flat_load_ushort v6, v[6:7] offset:2048
.LBB2493_13:
	s_or_b64 exec, exec, s[2:3]
	v_or_b32_e32 v7, 0x500, v0
	v_cmp_gt_u32_e32 vcc, s7, v7
                                        ; implicit-def: $vgpr7
	s_and_saveexec_b64 s[2:3], vcc
	s_cbranch_execz .LBB2493_15
; %bb.14:
	v_mov_b32_e32 v7, s9
	v_add_co_u32_e32 v8, vcc, s8, v1
	v_addc_co_u32_e32 v9, vcc, 0, v7, vcc
	flat_load_ushort v7, v[8:9] offset:2560
.LBB2493_15:
	s_or_b64 exec, exec, s[2:3]
	v_or_b32_e32 v8, 0x600, v0
	v_cmp_gt_u32_e32 vcc, s7, v8
                                        ; implicit-def: $vgpr8
	s_and_saveexec_b64 s[2:3], vcc
	s_cbranch_execz .LBB2493_17
; %bb.16:
	v_mov_b32_e32 v9, s9
	v_add_co_u32_e32 v8, vcc, s8, v1
	v_addc_co_u32_e32 v9, vcc, 0, v9, vcc
	flat_load_ushort v8, v[8:9] offset:3072
.LBB2493_17:
	s_or_b64 exec, exec, s[2:3]
	v_or_b32_e32 v9, 0x700, v0
	v_cmp_gt_u32_e32 vcc, s7, v9
                                        ; implicit-def: $vgpr9
	s_and_saveexec_b64 s[2:3], vcc
	s_cbranch_execz .LBB2493_19
; %bb.18:
	v_mov_b32_e32 v9, s9
	v_add_co_u32_e32 v10, vcc, s8, v1
	v_addc_co_u32_e32 v11, vcc, 0, v9, vcc
	flat_load_ushort v9, v[10:11] offset:3584
.LBB2493_19:
	s_or_b64 exec, exec, s[2:3]
	v_or_b32_e32 v11, 0x800, v0
	v_cmp_gt_u32_e32 vcc, s7, v11
                                        ; implicit-def: $vgpr10
	s_and_saveexec_b64 s[2:3], vcc
	s_cbranch_execz .LBB2493_21
; %bb.20:
	v_lshlrev_b32_e32 v10, 1, v11
	v_mov_b32_e32 v11, s9
	v_add_co_u32_e32 v10, vcc, s8, v10
	v_addc_co_u32_e32 v11, vcc, 0, v11, vcc
	flat_load_ushort v10, v[10:11]
.LBB2493_21:
	s_or_b64 exec, exec, s[2:3]
	v_or_b32_e32 v12, 0x900, v0
	v_cmp_gt_u32_e32 vcc, s7, v12
                                        ; implicit-def: $vgpr11
	s_and_saveexec_b64 s[2:3], vcc
	s_cbranch_execz .LBB2493_23
; %bb.22:
	v_lshlrev_b32_e32 v11, 1, v12
	v_mov_b32_e32 v13, s9
	v_add_co_u32_e32 v12, vcc, s8, v11
	v_addc_co_u32_e32 v13, vcc, 0, v13, vcc
	flat_load_ushort v11, v[12:13]
.LBB2493_23:
	s_or_b64 exec, exec, s[2:3]
	v_or_b32_e32 v13, 0xa00, v0
	v_cmp_gt_u32_e32 vcc, s7, v13
                                        ; implicit-def: $vgpr12
	s_and_saveexec_b64 s[2:3], vcc
	s_cbranch_execz .LBB2493_25
; %bb.24:
	v_lshlrev_b32_e32 v12, 1, v13
	v_mov_b32_e32 v13, s9
	v_add_co_u32_e32 v12, vcc, s8, v12
	v_addc_co_u32_e32 v13, vcc, 0, v13, vcc
	flat_load_ushort v12, v[12:13]
.LBB2493_25:
	s_or_b64 exec, exec, s[2:3]
	v_or_b32_e32 v14, 0xb00, v0
	v_cmp_gt_u32_e32 vcc, s7, v14
                                        ; implicit-def: $vgpr13
	s_and_saveexec_b64 s[2:3], vcc
	s_cbranch_execz .LBB2493_27
; %bb.26:
	v_lshlrev_b32_e32 v13, 1, v14
	v_mov_b32_e32 v15, s9
	v_add_co_u32_e32 v14, vcc, s8, v13
	v_addc_co_u32_e32 v15, vcc, 0, v15, vcc
	flat_load_ushort v13, v[14:15]
.LBB2493_27:
	s_or_b64 exec, exec, s[2:3]
	v_or_b32_e32 v15, 0xc00, v0
	v_cmp_gt_u32_e32 vcc, s7, v15
                                        ; implicit-def: $vgpr14
	s_and_saveexec_b64 s[2:3], vcc
	s_cbranch_execz .LBB2493_29
; %bb.28:
	v_lshlrev_b32_e32 v14, 1, v15
	v_mov_b32_e32 v15, s9
	v_add_co_u32_e32 v14, vcc, s8, v14
	v_addc_co_u32_e32 v15, vcc, 0, v15, vcc
	flat_load_ushort v14, v[14:15]
.LBB2493_29:
	s_or_b64 exec, exec, s[2:3]
	v_or_b32_e32 v16, 0xd00, v0
	v_cmp_gt_u32_e32 vcc, s7, v16
                                        ; implicit-def: $vgpr15
	s_and_saveexec_b64 s[2:3], vcc
	s_cbranch_execz .LBB2493_31
; %bb.30:
	v_lshlrev_b32_e32 v15, 1, v16
	v_mov_b32_e32 v17, s9
	v_add_co_u32_e32 v16, vcc, s8, v15
	v_addc_co_u32_e32 v17, vcc, 0, v17, vcc
	flat_load_ushort v15, v[16:17]
.LBB2493_31:
	s_or_b64 exec, exec, s[2:3]
	v_or_b32_e32 v17, 0xe00, v0
	v_cmp_gt_u32_e32 vcc, s7, v17
                                        ; implicit-def: $vgpr16
	s_and_saveexec_b64 s[2:3], vcc
	s_cbranch_execz .LBB2493_33
; %bb.32:
	v_lshlrev_b32_e32 v16, 1, v17
	v_mov_b32_e32 v17, s9
	v_add_co_u32_e32 v16, vcc, s8, v16
	v_addc_co_u32_e32 v17, vcc, 0, v17, vcc
	flat_load_ushort v16, v[16:17]
.LBB2493_33:
	s_or_b64 exec, exec, s[2:3]
	v_or_b32_e32 v18, 0xf00, v0
	v_cmp_gt_u32_e32 vcc, s7, v18
                                        ; implicit-def: $vgpr17
	s_and_saveexec_b64 s[2:3], vcc
	s_cbranch_execz .LBB2493_35
; %bb.34:
	v_lshlrev_b32_e32 v17, 1, v18
	v_mov_b32_e32 v19, s9
	v_add_co_u32_e32 v18, vcc, s8, v17
	v_addc_co_u32_e32 v19, vcc, 0, v19, vcc
	flat_load_ushort v17, v[18:19]
.LBB2493_35:
	s_or_b64 exec, exec, s[2:3]
	v_or_b32_e32 v19, 0x1000, v0
	v_cmp_gt_u32_e32 vcc, s7, v19
                                        ; implicit-def: $vgpr18
	s_and_saveexec_b64 s[2:3], vcc
	s_cbranch_execz .LBB2493_37
; %bb.36:
	v_lshlrev_b32_e32 v18, 1, v19
	v_mov_b32_e32 v19, s9
	v_add_co_u32_e32 v18, vcc, s8, v18
	v_addc_co_u32_e32 v19, vcc, 0, v19, vcc
	flat_load_ushort v18, v[18:19]
.LBB2493_37:
	s_or_b64 exec, exec, s[2:3]
	v_or_b32_e32 v20, 0x1100, v0
	v_cmp_gt_u32_e32 vcc, s7, v20
                                        ; implicit-def: $vgpr19
	s_and_saveexec_b64 s[2:3], vcc
	s_cbranch_execz .LBB2493_39
; %bb.38:
	v_lshlrev_b32_e32 v19, 1, v20
	v_mov_b32_e32 v21, s9
	v_add_co_u32_e32 v20, vcc, s8, v19
	v_addc_co_u32_e32 v21, vcc, 0, v21, vcc
	flat_load_ushort v19, v[20:21]
.LBB2493_39:
	s_or_b64 exec, exec, s[2:3]
	v_or_b32_e32 v21, 0x1200, v0
	v_cmp_gt_u32_e32 vcc, s7, v21
                                        ; implicit-def: $vgpr20
	s_and_saveexec_b64 s[2:3], vcc
	s_cbranch_execz .LBB2493_41
; %bb.40:
	v_lshlrev_b32_e32 v20, 1, v21
	v_mov_b32_e32 v21, s9
	v_add_co_u32_e32 v20, vcc, s8, v20
	v_addc_co_u32_e32 v21, vcc, 0, v21, vcc
	flat_load_ushort v20, v[20:21]
.LBB2493_41:
	s_or_b64 exec, exec, s[2:3]
	v_or_b32_e32 v22, 0x1300, v0
	v_cmp_gt_u32_e32 vcc, s7, v22
                                        ; implicit-def: $vgpr21
	s_and_saveexec_b64 s[2:3], vcc
	s_cbranch_execz .LBB2493_43
; %bb.42:
	v_lshlrev_b32_e32 v21, 1, v22
	v_mov_b32_e32 v23, s9
	v_add_co_u32_e32 v22, vcc, s8, v21
	v_addc_co_u32_e32 v23, vcc, 0, v23, vcc
	flat_load_ushort v21, v[22:23]
.LBB2493_43:
	s_or_b64 exec, exec, s[2:3]
	v_or_b32_e32 v23, 0x1400, v0
	v_cmp_gt_u32_e32 vcc, s7, v23
                                        ; implicit-def: $vgpr22
	s_and_saveexec_b64 s[2:3], vcc
	s_cbranch_execz .LBB2493_45
; %bb.44:
	v_lshlrev_b32_e32 v22, 1, v23
	v_mov_b32_e32 v23, s9
	v_add_co_u32_e32 v22, vcc, s8, v22
	v_addc_co_u32_e32 v23, vcc, 0, v23, vcc
	flat_load_ushort v22, v[22:23]
.LBB2493_45:
	s_or_b64 exec, exec, s[2:3]
	v_or_b32_e32 v24, 0x1500, v0
	v_cmp_gt_u32_e32 vcc, s7, v24
                                        ; implicit-def: $vgpr23
	s_and_saveexec_b64 s[2:3], vcc
	s_cbranch_execz .LBB2493_47
; %bb.46:
	v_lshlrev_b32_e32 v23, 1, v24
	v_mov_b32_e32 v25, s9
	v_add_co_u32_e32 v24, vcc, s8, v23
	v_addc_co_u32_e32 v25, vcc, 0, v25, vcc
	flat_load_ushort v23, v[24:25]
.LBB2493_47:
	s_or_b64 exec, exec, s[2:3]
	v_or_b32_e32 v25, 0x1600, v0
	v_cmp_gt_u32_e32 vcc, s7, v25
                                        ; implicit-def: $vgpr24
	s_and_saveexec_b64 s[2:3], vcc
	s_cbranch_execz .LBB2493_49
; %bb.48:
	v_lshlrev_b32_e32 v24, 1, v25
	v_mov_b32_e32 v25, s9
	v_add_co_u32_e32 v24, vcc, s8, v24
	v_addc_co_u32_e32 v25, vcc, 0, v25, vcc
	flat_load_ushort v24, v[24:25]
.LBB2493_49:
	s_or_b64 exec, exec, s[2:3]
	v_or_b32_e32 v26, 0x1700, v0
	v_cmp_gt_u32_e32 vcc, s7, v26
                                        ; implicit-def: $vgpr25
	s_and_saveexec_b64 s[2:3], vcc
	s_cbranch_execz .LBB2493_51
; %bb.50:
	v_lshlrev_b32_e32 v25, 1, v26
	v_mov_b32_e32 v27, s9
	v_add_co_u32_e32 v26, vcc, s8, v25
	v_addc_co_u32_e32 v27, vcc, 0, v27, vcc
	flat_load_ushort v25, v[26:27]
.LBB2493_51:
	s_or_b64 exec, exec, s[2:3]
	v_or_b32_e32 v27, 0x1800, v0
	v_cmp_gt_u32_e32 vcc, s7, v27
                                        ; implicit-def: $vgpr26
	s_and_saveexec_b64 s[2:3], vcc
	s_cbranch_execz .LBB2493_53
; %bb.52:
	v_lshlrev_b32_e32 v26, 1, v27
	v_mov_b32_e32 v27, s9
	v_add_co_u32_e32 v26, vcc, s8, v26
	v_addc_co_u32_e32 v27, vcc, 0, v27, vcc
	flat_load_ushort v26, v[26:27]
.LBB2493_53:
	s_or_b64 exec, exec, s[2:3]
	v_or_b32_e32 v28, 0x1900, v0
	v_cmp_gt_u32_e32 vcc, s7, v28
                                        ; implicit-def: $vgpr27
	s_and_saveexec_b64 s[2:3], vcc
	s_cbranch_execz .LBB2493_55
; %bb.54:
	v_lshlrev_b32_e32 v27, 1, v28
	v_mov_b32_e32 v29, s9
	v_add_co_u32_e32 v28, vcc, s8, v27
	v_addc_co_u32_e32 v29, vcc, 0, v29, vcc
	flat_load_ushort v27, v[28:29]
.LBB2493_55:
	s_or_b64 exec, exec, s[2:3]
	v_or_b32_e32 v29, 0x1a00, v0
	v_cmp_gt_u32_e32 vcc, s7, v29
                                        ; implicit-def: $vgpr28
	s_and_saveexec_b64 s[2:3], vcc
	s_cbranch_execz .LBB2493_57
; %bb.56:
	v_lshlrev_b32_e32 v28, 1, v29
	v_mov_b32_e32 v29, s9
	v_add_co_u32_e32 v28, vcc, s8, v28
	v_addc_co_u32_e32 v29, vcc, 0, v29, vcc
	flat_load_ushort v28, v[28:29]
.LBB2493_57:
	s_or_b64 exec, exec, s[2:3]
	v_or_b32_e32 v30, 0x1b00, v0
	v_cmp_gt_u32_e32 vcc, s7, v30
                                        ; implicit-def: $vgpr29
	s_and_saveexec_b64 s[2:3], vcc
	s_cbranch_execz .LBB2493_59
; %bb.58:
	v_lshlrev_b32_e32 v29, 1, v30
	v_mov_b32_e32 v31, s9
	v_add_co_u32_e32 v30, vcc, s8, v29
	v_addc_co_u32_e32 v31, vcc, 0, v31, vcc
	flat_load_ushort v29, v[30:31]
.LBB2493_59:
	s_or_b64 exec, exec, s[2:3]
	s_waitcnt vmcnt(0) lgkmcnt(0)
	ds_write_b16 v1, v2
	ds_write_b16 v1, v3 offset:512
	ds_write_b16 v1, v4 offset:1024
	;; [unrolled: 1-line block ×27, first 2 shown]
	s_waitcnt lgkmcnt(0)
	s_barrier
.LBB2493_60:
	v_mul_u32_u24_e32 v38, 28, v0
	v_lshlrev_b32_e32 v6, 1, v38
	s_waitcnt lgkmcnt(0)
	ds_read_b64 v[14:15], v6 offset:48
	ds_read2_b64 v[2:5], v6 offset0:4 offset1:5
	ds_read2_b64 v[10:13], v6 offset1:1
	ds_read2_b64 v[6:9], v6 offset0:2 offset1:3
	s_andn2_b64 vcc, exec, s[0:1]
	s_waitcnt lgkmcnt(3)
	v_lshrrev_b32_e32 v26, 16, v14
	v_lshrrev_b32_e32 v1, 16, v15
	s_waitcnt lgkmcnt(2)
	v_lshrrev_b32_e32 v30, 16, v2
	v_lshrrev_b32_e32 v29, 16, v3
	v_lshrrev_b32_e32 v28, 16, v4
	v_lshrrev_b32_e32 v27, 16, v5
	s_waitcnt lgkmcnt(1)
	v_lshrrev_b32_e32 v39, 16, v10
	v_lshrrev_b32_e32 v37, 16, v11
	;; [unrolled: 5-line block ×3, first 2 shown]
	v_lshrrev_b32_e32 v32, 16, v8
	v_lshrrev_b32_e32 v31, 16, v9
	v_xor_b32_e32 v85, -1, v10
	v_xor_b32_e32 v84, -1, v39
	;; [unrolled: 1-line block ×28, first 2 shown]
	s_barrier
	s_cbranch_vccnz .LBB2493_62
; %bb.61:
	v_and_b32_e32 v67, 1, v85
	v_and_b32_e32 v66, 1, v84
	;; [unrolled: 1-line block ×28, first 2 shown]
	s_load_dwordx2 s[24:25], s[4:5], 0x78
	s_cbranch_execz .LBB2493_63
	s_branch .LBB2493_64
.LBB2493_62:
                                        ; implicit-def: $vgpr67
                                        ; implicit-def: $vgpr66
                                        ; implicit-def: $vgpr65
                                        ; implicit-def: $vgpr64
                                        ; implicit-def: $vgpr63
                                        ; implicit-def: $vgpr62
                                        ; implicit-def: $vgpr61
                                        ; implicit-def: $vgpr60
                                        ; implicit-def: $vgpr59
                                        ; implicit-def: $vgpr58
                                        ; implicit-def: $vgpr57
                                        ; implicit-def: $vgpr56
                                        ; implicit-def: $vgpr55
                                        ; implicit-def: $vgpr54
                                        ; implicit-def: $vgpr53
                                        ; implicit-def: $vgpr52
                                        ; implicit-def: $vgpr51
                                        ; implicit-def: $vgpr50
                                        ; implicit-def: $vgpr49
                                        ; implicit-def: $vgpr48
                                        ; implicit-def: $vgpr47
                                        ; implicit-def: $vgpr46
                                        ; implicit-def: $vgpr45
                                        ; implicit-def: $vgpr44
                                        ; implicit-def: $vgpr43
                                        ; implicit-def: $vgpr42
                                        ; implicit-def: $vgpr40
                                        ; implicit-def: $vgpr41
	s_load_dwordx2 s[24:25], s[4:5], 0x78
.LBB2493_63:
	v_or_b32_e32 v49, 1, v38
	v_cmp_gt_u32_e32 vcc, s7, v38
	v_or_b32_e32 v50, 2, v38
	v_cndmask_b32_e64 v58, 0, 1, vcc
	v_cmp_gt_u32_e32 vcc, s7, v49
	v_or_b32_e32 v51, 3, v38
	v_cndmask_b32_e64 v49, 0, 1, vcc
	v_cmp_gt_u32_e32 vcc, s7, v50
	v_add_u32_e32 v52, 4, v38
	v_and_b32_e32 v66, v49, v84
	v_cndmask_b32_e64 v49, 0, 1, vcc
	v_cmp_gt_u32_e32 vcc, s7, v51
	v_add_u32_e32 v53, 5, v38
	v_and_b32_e32 v65, v49, v83
	;; [unrolled: 4-line block ×9, first 2 shown]
	v_and_b32_e32 v58, v49, v76
	v_cndmask_b32_e64 v49, 0, 1, vcc
	v_cmp_gt_u32_e32 vcc, s7, v87
	v_add_u32_e32 v89, 13, v38
	v_and_b32_e32 v57, v49, v75
	v_cndmask_b32_e64 v49, 0, 1, vcc
	v_cmp_gt_u32_e32 vcc, s7, v88
	v_add_u32_e32 v90, 14, v38
	v_and_b32_e32 v56, v49, v74
	v_cndmask_b32_e64 v49, 0, 1, vcc
	v_cmp_gt_u32_e32 vcc, s7, v89
	v_add_u32_e32 v91, 15, v38
	v_and_b32_e32 v55, v49, v73
	v_cndmask_b32_e64 v49, 0, 1, vcc
	v_cmp_gt_u32_e32 vcc, s7, v90
	v_add_u32_e32 v92, 16, v38
	v_and_b32_e32 v54, v49, v72
	v_cndmask_b32_e64 v49, 0, 1, vcc
	v_cmp_gt_u32_e32 vcc, s7, v91
	v_add_u32_e32 v93, 17, v38
	v_and_b32_e32 v53, v49, v71
	v_cndmask_b32_e64 v49, 0, 1, vcc
	v_cmp_gt_u32_e32 vcc, s7, v92
	v_add_u32_e32 v94, 18, v38
	v_and_b32_e32 v52, v49, v70
	v_cndmask_b32_e64 v49, 0, 1, vcc
	v_cmp_gt_u32_e32 vcc, s7, v93
	v_add_u32_e32 v48, 19, v38
	v_and_b32_e32 v51, v49, v69
	v_cndmask_b32_e64 v49, 0, 1, vcc
	v_cmp_gt_u32_e32 vcc, s7, v94
	v_add_u32_e32 v47, 20, v38
	v_and_b32_e32 v50, v49, v68
	v_cndmask_b32_e64 v49, 0, 1, vcc
	v_cmp_gt_u32_e32 vcc, s7, v48
	v_add_u32_e32 v46, 21, v38
	v_and_b32_e32 v49, v49, v25
	v_cndmask_b32_e64 v25, 0, 1, vcc
	v_cmp_gt_u32_e32 vcc, s7, v47
	v_add_u32_e32 v45, 22, v38
	v_and_b32_e32 v48, v25, v24
	v_cndmask_b32_e64 v24, 0, 1, vcc
	v_cmp_gt_u32_e32 vcc, s7, v46
	v_add_u32_e32 v44, 23, v38
	v_and_b32_e32 v47, v24, v23
	v_cndmask_b32_e64 v23, 0, 1, vcc
	v_cmp_gt_u32_e32 vcc, s7, v45
	v_add_u32_e32 v43, 24, v38
	v_and_b32_e32 v46, v23, v22
	v_cndmask_b32_e64 v22, 0, 1, vcc
	v_cmp_gt_u32_e32 vcc, s7, v44
	v_add_u32_e32 v42, 25, v38
	v_and_b32_e32 v45, v22, v21
	v_cndmask_b32_e64 v21, 0, 1, vcc
	v_cmp_gt_u32_e32 vcc, s7, v43
	v_add_u32_e32 v40, 26, v38
	v_and_b32_e32 v44, v21, v20
	v_cndmask_b32_e64 v20, 0, 1, vcc
	v_cmp_gt_u32_e32 vcc, s7, v42
	v_add_u32_e32 v41, 27, v38
	v_and_b32_e32 v43, v20, v19
	v_cndmask_b32_e64 v19, 0, 1, vcc
	v_cmp_gt_u32_e32 vcc, s7, v40
	v_and_b32_e32 v42, v19, v18
	v_cndmask_b32_e64 v18, 0, 1, vcc
	v_cmp_gt_u32_e32 vcc, s7, v41
	v_and_b32_e32 v40, v18, v17
	v_cndmask_b32_e64 v17, 0, 1, vcc
	v_and_b32_e32 v41, v17, v16
.LBB2493_64:
	v_and_b32_e32 v92, 0xff, v43
	v_and_b32_e32 v93, 0xff, v42
	v_add_u32_sdwa v16, v40, v41 dst_sel:DWORD dst_unused:UNUSED_PAD src0_sel:BYTE_0 src1_sel:BYTE_0
	v_and_b32_e32 v90, 0xff, v45
	v_and_b32_e32 v91, 0xff, v44
	v_add3_u32 v16, v16, v93, v92
	v_and_b32_e32 v88, 0xff, v47
	v_and_b32_e32 v89, 0xff, v46
	v_add3_u32 v16, v16, v91, v90
	;; [unrolled: 3-line block ×12, first 2 shown]
	v_add3_u32 v96, v16, v69, v68
	v_mbcnt_lo_u32_b32 v16, -1, 0
	v_mbcnt_hi_u32_b32 v94, -1, v16
	v_and_b32_e32 v16, 15, v94
	v_cmp_eq_u32_e64 s[12:13], 0, v16
	v_cmp_lt_u32_e64 s[10:11], 1, v16
	v_cmp_lt_u32_e64 s[8:9], 3, v16
	;; [unrolled: 1-line block ×3, first 2 shown]
	v_and_b32_e32 v16, 16, v94
	v_cmp_eq_u32_e64 s[4:5], 0, v16
	v_or_b32_e32 v16, 63, v0
	s_cmp_lg_u32 s6, 0
	v_cmp_lt_u32_e64 s[0:1], 31, v94
	v_lshrrev_b32_e32 v95, 6, v0
	v_cmp_eq_u32_e64 s[2:3], v16, v0
	s_cbranch_scc0 .LBB2493_91
; %bb.65:
	v_mov_b32_dpp v16, v96 row_shr:1 row_mask:0xf bank_mask:0xf
	v_cndmask_b32_e64 v16, v16, 0, s[12:13]
	v_add_u32_e32 v16, v16, v96
	s_nop 1
	v_mov_b32_dpp v17, v16 row_shr:2 row_mask:0xf bank_mask:0xf
	v_cndmask_b32_e64 v17, 0, v17, s[10:11]
	v_add_u32_e32 v16, v16, v17
	s_nop 1
	;; [unrolled: 4-line block ×4, first 2 shown]
	v_mov_b32_dpp v17, v16 row_bcast:15 row_mask:0xf bank_mask:0xf
	v_cndmask_b32_e64 v17, v17, 0, s[4:5]
	v_add_u32_e32 v16, v16, v17
	s_nop 1
	v_mov_b32_dpp v17, v16 row_bcast:31 row_mask:0xf bank_mask:0xf
	v_cndmask_b32_e64 v17, 0, v17, s[0:1]
	v_add_u32_e32 v16, v16, v17
	s_and_saveexec_b64 s[14:15], s[2:3]
	s_cbranch_execz .LBB2493_67
; %bb.66:
	v_lshlrev_b32_e32 v17, 2, v95
	ds_write_b32 v17, v16
.LBB2493_67:
	s_or_b64 exec, exec, s[14:15]
	v_cmp_gt_u32_e32 vcc, 4, v0
	s_waitcnt lgkmcnt(0)
	s_barrier
	s_and_saveexec_b64 s[14:15], vcc
	s_cbranch_execz .LBB2493_69
; %bb.68:
	v_lshlrev_b32_e32 v17, 2, v0
	ds_read_b32 v18, v17
	v_and_b32_e32 v19, 3, v94
	v_cmp_ne_u32_e32 vcc, 0, v19
	s_waitcnt lgkmcnt(0)
	v_mov_b32_dpp v20, v18 row_shr:1 row_mask:0xf bank_mask:0xf
	v_cndmask_b32_e32 v20, 0, v20, vcc
	v_add_u32_e32 v18, v20, v18
	v_cmp_lt_u32_e32 vcc, 1, v19
	s_nop 0
	v_mov_b32_dpp v20, v18 row_shr:2 row_mask:0xf bank_mask:0xf
	v_cndmask_b32_e32 v19, 0, v20, vcc
	v_add_u32_e32 v18, v18, v19
	ds_write_b32 v17, v18
.LBB2493_69:
	s_or_b64 exec, exec, s[14:15]
	v_cmp_gt_u32_e32 vcc, 64, v0
	v_cmp_lt_u32_e64 s[14:15], 63, v0
	s_waitcnt lgkmcnt(0)
	s_barrier
	s_waitcnt lgkmcnt(0)
                                        ; implicit-def: $vgpr97
	s_and_saveexec_b64 s[26:27], s[14:15]
	s_cbranch_execz .LBB2493_71
; %bb.70:
	v_lshl_add_u32 v17, v95, 2, -4
	ds_read_b32 v97, v17
	s_waitcnt lgkmcnt(0)
	v_add_u32_e32 v16, v97, v16
.LBB2493_71:
	s_or_b64 exec, exec, s[26:27]
	v_add_u32_e32 v17, -1, v94
	v_and_b32_e32 v18, 64, v94
	v_cmp_lt_i32_e64 s[14:15], v17, v18
	v_cndmask_b32_e64 v17, v17, v94, s[14:15]
	v_lshlrev_b32_e32 v17, 2, v17
	ds_bpermute_b32 v98, v17, v16
	v_cmp_eq_u32_e64 s[14:15], 0, v94
	s_and_saveexec_b64 s[26:27], vcc
	s_cbranch_execz .LBB2493_90
; %bb.72:
	v_mov_b32_e32 v23, 0
	ds_read_b32 v16, v23 offset:12
	s_and_saveexec_b64 s[28:29], s[14:15]
	s_cbranch_execz .LBB2493_74
; %bb.73:
	s_add_i32 s30, s6, 64
	s_mov_b32 s31, 0
	s_lshl_b64 s[30:31], s[30:31], 3
	s_add_u32 s30, s24, s30
	v_mov_b32_e32 v17, 1
	s_addc_u32 s31, s25, s31
	s_waitcnt lgkmcnt(0)
	global_store_dwordx2 v23, v[16:17], s[30:31]
.LBB2493_74:
	s_or_b64 exec, exec, s[28:29]
	v_xad_u32 v18, v94, -1, s6
	v_add_u32_e32 v22, 64, v18
	v_lshlrev_b64 v[20:21], 3, v[22:23]
	v_mov_b32_e32 v17, s25
	v_add_co_u32_e32 v24, vcc, s24, v20
	v_addc_co_u32_e32 v25, vcc, v17, v21, vcc
	global_load_dwordx2 v[20:21], v[24:25], off glc
	s_waitcnt vmcnt(0)
	v_cmp_eq_u16_sdwa s[30:31], v21, v23 src0_sel:BYTE_0 src1_sel:DWORD
	s_and_saveexec_b64 s[28:29], s[30:31]
	s_cbranch_execz .LBB2493_78
; %bb.75:
	s_mov_b64 s[30:31], 0
	v_mov_b32_e32 v17, 0
.LBB2493_76:                            ; =>This Inner Loop Header: Depth=1
	global_load_dwordx2 v[20:21], v[24:25], off glc
	s_waitcnt vmcnt(0)
	v_cmp_ne_u16_sdwa s[34:35], v21, v17 src0_sel:BYTE_0 src1_sel:DWORD
	s_or_b64 s[30:31], s[34:35], s[30:31]
	s_andn2_b64 exec, exec, s[30:31]
	s_cbranch_execnz .LBB2493_76
; %bb.77:
	s_or_b64 exec, exec, s[30:31]
.LBB2493_78:
	s_or_b64 exec, exec, s[28:29]
	v_and_b32_e32 v100, 63, v94
	v_mov_b32_e32 v99, 2
	v_cmp_ne_u32_e32 vcc, 63, v100
	v_cmp_eq_u16_sdwa s[28:29], v21, v99 src0_sel:BYTE_0 src1_sel:DWORD
	v_lshlrev_b64 v[22:23], v94, -1
	v_addc_co_u32_e32 v24, vcc, 0, v94, vcc
	v_and_b32_e32 v17, s29, v23
	v_lshlrev_b32_e32 v101, 2, v24
	v_or_b32_e32 v17, 0x80000000, v17
	ds_bpermute_b32 v24, v101, v20
	v_and_b32_e32 v19, s28, v22
	v_ffbl_b32_e32 v17, v17
	v_add_u32_e32 v17, 32, v17
	v_ffbl_b32_e32 v19, v19
	v_min_u32_e32 v17, v19, v17
	v_cmp_lt_u32_e32 vcc, v100, v17
	s_waitcnt lgkmcnt(0)
	v_cndmask_b32_e32 v19, 0, v24, vcc
	v_cmp_gt_u32_e32 vcc, 62, v100
	v_add_u32_e32 v19, v19, v20
	v_cndmask_b32_e64 v20, 0, 1, vcc
	v_lshlrev_b32_e32 v20, 1, v20
	v_add_lshl_u32 v102, v20, v94, 2
	ds_bpermute_b32 v20, v102, v19
	v_add_u32_e32 v103, 2, v100
	v_cmp_le_u32_e32 vcc, v103, v17
	v_add_u32_e32 v105, 4, v100
	v_add_u32_e32 v107, 8, v100
	s_waitcnt lgkmcnt(0)
	v_cndmask_b32_e32 v20, 0, v20, vcc
	v_cmp_gt_u32_e32 vcc, 60, v100
	v_add_u32_e32 v19, v19, v20
	v_cndmask_b32_e64 v20, 0, 1, vcc
	v_lshlrev_b32_e32 v20, 2, v20
	v_add_lshl_u32 v104, v20, v94, 2
	ds_bpermute_b32 v20, v104, v19
	v_cmp_le_u32_e32 vcc, v105, v17
	v_add_u32_e32 v109, 16, v100
	v_add_u32_e32 v111, 32, v100
	s_waitcnt lgkmcnt(0)
	v_cndmask_b32_e32 v20, 0, v20, vcc
	v_cmp_gt_u32_e32 vcc, 56, v100
	v_add_u32_e32 v19, v19, v20
	v_cndmask_b32_e64 v20, 0, 1, vcc
	v_lshlrev_b32_e32 v20, 3, v20
	v_add_lshl_u32 v106, v20, v94, 2
	ds_bpermute_b32 v20, v106, v19
	v_cmp_le_u32_e32 vcc, v107, v17
	s_waitcnt lgkmcnt(0)
	v_cndmask_b32_e32 v20, 0, v20, vcc
	v_cmp_gt_u32_e32 vcc, 48, v100
	v_add_u32_e32 v19, v19, v20
	v_cndmask_b32_e64 v20, 0, 1, vcc
	v_lshlrev_b32_e32 v20, 4, v20
	v_add_lshl_u32 v108, v20, v94, 2
	ds_bpermute_b32 v20, v108, v19
	v_cmp_le_u32_e32 vcc, v109, v17
	;; [unrolled: 9-line block ×3, first 2 shown]
	s_waitcnt lgkmcnt(0)
	v_cndmask_b32_e32 v17, 0, v20, vcc
	v_add_u32_e32 v20, v19, v17
	v_mov_b32_e32 v19, 0
	s_branch .LBB2493_80
.LBB2493_79:                            ;   in Loop: Header=BB2493_80 Depth=1
	s_or_b64 exec, exec, s[28:29]
	v_cmp_eq_u16_sdwa s[28:29], v21, v99 src0_sel:BYTE_0 src1_sel:DWORD
	v_and_b32_e32 v24, s29, v23
	v_or_b32_e32 v24, 0x80000000, v24
	ds_bpermute_b32 v112, v101, v20
	v_and_b32_e32 v25, s28, v22
	v_ffbl_b32_e32 v24, v24
	v_add_u32_e32 v24, 32, v24
	v_ffbl_b32_e32 v25, v25
	v_min_u32_e32 v24, v25, v24
	v_cmp_lt_u32_e32 vcc, v100, v24
	s_waitcnt lgkmcnt(0)
	v_cndmask_b32_e32 v25, 0, v112, vcc
	v_add_u32_e32 v20, v25, v20
	ds_bpermute_b32 v25, v102, v20
	v_cmp_le_u32_e32 vcc, v103, v24
	v_subrev_u32_e32 v18, 64, v18
	s_waitcnt lgkmcnt(0)
	v_cndmask_b32_e32 v25, 0, v25, vcc
	v_add_u32_e32 v20, v20, v25
	ds_bpermute_b32 v25, v104, v20
	v_cmp_le_u32_e32 vcc, v105, v24
	s_waitcnt lgkmcnt(0)
	v_cndmask_b32_e32 v25, 0, v25, vcc
	v_add_u32_e32 v20, v20, v25
	ds_bpermute_b32 v25, v106, v20
	v_cmp_le_u32_e32 vcc, v107, v24
	;; [unrolled: 5-line block ×4, first 2 shown]
	s_waitcnt lgkmcnt(0)
	v_cndmask_b32_e32 v24, 0, v25, vcc
	v_add3_u32 v20, v24, v17, v20
.LBB2493_80:                            ; =>This Loop Header: Depth=1
                                        ;     Child Loop BB2493_83 Depth 2
	v_cmp_ne_u16_sdwa s[28:29], v21, v99 src0_sel:BYTE_0 src1_sel:DWORD
	v_cndmask_b32_e64 v17, 0, 1, s[28:29]
	;;#ASMSTART
	;;#ASMEND
	v_cmp_ne_u32_e32 vcc, 0, v17
	s_cmp_lg_u64 vcc, exec
	v_mov_b32_e32 v17, v20
	s_cbranch_scc1 .LBB2493_85
; %bb.81:                               ;   in Loop: Header=BB2493_80 Depth=1
	v_lshlrev_b64 v[20:21], 3, v[18:19]
	v_mov_b32_e32 v25, s25
	v_add_co_u32_e32 v24, vcc, s24, v20
	v_addc_co_u32_e32 v25, vcc, v25, v21, vcc
	global_load_dwordx2 v[20:21], v[24:25], off glc
	s_waitcnt vmcnt(0)
	v_cmp_eq_u16_sdwa s[30:31], v21, v19 src0_sel:BYTE_0 src1_sel:DWORD
	s_and_saveexec_b64 s[28:29], s[30:31]
	s_cbranch_execz .LBB2493_79
; %bb.82:                               ;   in Loop: Header=BB2493_80 Depth=1
	s_mov_b64 s[30:31], 0
.LBB2493_83:                            ;   Parent Loop BB2493_80 Depth=1
                                        ; =>  This Inner Loop Header: Depth=2
	global_load_dwordx2 v[20:21], v[24:25], off glc
	s_waitcnt vmcnt(0)
	v_cmp_ne_u16_sdwa s[34:35], v21, v19 src0_sel:BYTE_0 src1_sel:DWORD
	s_or_b64 s[30:31], s[34:35], s[30:31]
	s_andn2_b64 exec, exec, s[30:31]
	s_cbranch_execnz .LBB2493_83
; %bb.84:                               ;   in Loop: Header=BB2493_80 Depth=1
	s_or_b64 exec, exec, s[30:31]
	s_branch .LBB2493_79
.LBB2493_85:                            ;   in Loop: Header=BB2493_80 Depth=1
                                        ; implicit-def: $vgpr20
                                        ; implicit-def: $vgpr21
	s_cbranch_execz .LBB2493_80
; %bb.86:
	s_and_saveexec_b64 s[28:29], s[14:15]
	s_cbranch_execz .LBB2493_88
; %bb.87:
	s_add_i32 s6, s6, 64
	s_mov_b32 s7, 0
	s_lshl_b64 s[6:7], s[6:7], 3
	s_add_u32 s6, s24, s6
	v_add_u32_e32 v18, v17, v16
	v_mov_b32_e32 v19, 2
	s_addc_u32 s7, s25, s7
	v_mov_b32_e32 v20, 0
	global_store_dwordx2 v20, v[18:19], s[6:7]
	ds_write_b64 v20, v[16:17] offset:14336
.LBB2493_88:
	s_or_b64 exec, exec, s[28:29]
	v_cmp_eq_u32_e32 vcc, 0, v0
	s_and_b64 exec, exec, vcc
	s_cbranch_execz .LBB2493_90
; %bb.89:
	v_mov_b32_e32 v16, 0
	ds_write_b32 v16, v17 offset:12
.LBB2493_90:
	s_or_b64 exec, exec, s[26:27]
	v_mov_b32_e32 v16, 0
	s_waitcnt lgkmcnt(0)
	s_barrier
	ds_read_b32 v19, v16 offset:12
	s_waitcnt lgkmcnt(0)
	s_barrier
	ds_read_b64 v[16:17], v16 offset:14336
	v_cndmask_b32_e64 v18, v98, v97, s[14:15]
	v_cmp_ne_u32_e32 vcc, 0, v0
	v_cndmask_b32_e32 v18, 0, v18, vcc
	v_add_u32_e32 v18, v19, v18
	s_branch .LBB2493_101
.LBB2493_91:
                                        ; implicit-def: $vgpr17
                                        ; implicit-def: $vgpr18
	s_cbranch_execz .LBB2493_101
; %bb.92:
	s_waitcnt lgkmcnt(0)
	v_mov_b32_dpp v16, v96 row_shr:1 row_mask:0xf bank_mask:0xf
	v_cndmask_b32_e64 v16, v16, 0, s[12:13]
	v_add_u32_e32 v16, v16, v96
	s_nop 1
	v_mov_b32_dpp v17, v16 row_shr:2 row_mask:0xf bank_mask:0xf
	v_cndmask_b32_e64 v17, 0, v17, s[10:11]
	v_add_u32_e32 v16, v16, v17
	s_nop 1
	;; [unrolled: 4-line block ×4, first 2 shown]
	v_mov_b32_dpp v17, v16 row_bcast:15 row_mask:0xf bank_mask:0xf
	v_cndmask_b32_e64 v17, v17, 0, s[4:5]
	v_add_u32_e32 v16, v16, v17
	s_nop 1
	v_mov_b32_dpp v17, v16 row_bcast:31 row_mask:0xf bank_mask:0xf
	v_cndmask_b32_e64 v17, 0, v17, s[0:1]
	v_add_u32_e32 v16, v16, v17
	s_and_saveexec_b64 s[0:1], s[2:3]
	s_cbranch_execz .LBB2493_94
; %bb.93:
	v_lshlrev_b32_e32 v17, 2, v95
	ds_write_b32 v17, v16
.LBB2493_94:
	s_or_b64 exec, exec, s[0:1]
	v_cmp_gt_u32_e32 vcc, 4, v0
	s_waitcnt lgkmcnt(0)
	s_barrier
	s_and_saveexec_b64 s[0:1], vcc
	s_cbranch_execz .LBB2493_96
; %bb.95:
	v_lshlrev_b32_e32 v17, 2, v0
	ds_read_b32 v18, v17
	v_and_b32_e32 v19, 3, v94
	v_cmp_ne_u32_e32 vcc, 0, v19
	s_waitcnt lgkmcnt(0)
	v_mov_b32_dpp v20, v18 row_shr:1 row_mask:0xf bank_mask:0xf
	v_cndmask_b32_e32 v20, 0, v20, vcc
	v_add_u32_e32 v18, v20, v18
	v_cmp_lt_u32_e32 vcc, 1, v19
	s_nop 0
	v_mov_b32_dpp v20, v18 row_shr:2 row_mask:0xf bank_mask:0xf
	v_cndmask_b32_e32 v19, 0, v20, vcc
	v_add_u32_e32 v18, v18, v19
	ds_write_b32 v17, v18
.LBB2493_96:
	s_or_b64 exec, exec, s[0:1]
	v_cmp_lt_u32_e32 vcc, 63, v0
	v_mov_b32_e32 v17, 0
	v_mov_b32_e32 v18, 0
	s_waitcnt lgkmcnt(0)
	s_barrier
	s_and_saveexec_b64 s[0:1], vcc
	s_cbranch_execz .LBB2493_98
; %bb.97:
	v_lshl_add_u32 v18, v95, 2, -4
	ds_read_b32 v18, v18
.LBB2493_98:
	s_or_b64 exec, exec, s[0:1]
	v_add_u32_e32 v19, -1, v94
	v_and_b32_e32 v20, 64, v94
	v_cmp_lt_i32_e32 vcc, v19, v20
	v_cndmask_b32_e32 v19, v19, v94, vcc
	s_waitcnt lgkmcnt(0)
	v_add_u32_e32 v16, v18, v16
	v_lshlrev_b32_e32 v19, 2, v19
	ds_bpermute_b32 v19, v19, v16
	ds_read_b32 v16, v17 offset:12
	v_cmp_eq_u32_e32 vcc, 0, v0
	s_and_saveexec_b64 s[0:1], vcc
	s_cbranch_execz .LBB2493_100
; %bb.99:
	v_mov_b32_e32 v20, 0
	v_mov_b32_e32 v17, 2
	s_waitcnt lgkmcnt(0)
	global_store_dwordx2 v20, v[16:17], s[24:25] offset:512
.LBB2493_100:
	s_or_b64 exec, exec, s[0:1]
	v_cmp_eq_u32_e64 s[0:1], 0, v94
	s_waitcnt lgkmcnt(1)
	v_cndmask_b32_e64 v18, v19, v18, s[0:1]
	v_mov_b32_e32 v17, 0
	v_cndmask_b32_e64 v18, v18, 0, vcc
	s_waitcnt lgkmcnt(0)
	s_barrier
.LBB2493_101:
	v_add_u32_e32 v19, v18, v68
	v_add_u32_e32 v20, v19, v69
	;; [unrolled: 1-line block ×19, first 2 shown]
	s_waitcnt lgkmcnt(0)
	v_add_u32_e32 v38, v16, v38
	v_sub_u32_e32 v18, v18, v17
	v_and_b32_e32 v67, 1, v67
	v_add_u32_e32 v80, v79, v87
	v_sub_u32_e32 v87, v38, v18
	v_cmp_eq_u32_e32 vcc, 1, v67
	v_cndmask_b32_e32 v18, v87, v18, vcc
	v_lshlrev_b32_e32 v18, 1, v18
	ds_write_b16 v18, v10
	v_sub_u32_e32 v10, v19, v17
	v_sub_u32_e32 v18, v38, v10
	v_and_b32_e32 v19, 1, v66
	v_add_u32_e32 v18, 1, v18
	v_cmp_eq_u32_e32 vcc, 1, v19
	v_cndmask_b32_e32 v10, v18, v10, vcc
	v_lshlrev_b32_e32 v10, 1, v10
	ds_write_b16 v10, v39
	v_sub_u32_e32 v10, v20, v17
	v_sub_u32_e32 v18, v38, v10
	v_and_b32_e32 v19, 1, v65
	v_add_u32_e32 v18, 2, v18
	;; [unrolled: 8-line block ×20, first 2 shown]
	v_cmp_eq_u32_e32 vcc, 1, v6
	v_cndmask_b32_e32 v2, v3, v2, vcc
	v_add_u32_e32 v81, v80, v88
	v_lshlrev_b32_e32 v2, 1, v2
	ds_write_b16 v2, v4
	v_sub_u32_e32 v2, v81, v17
	v_sub_u32_e32 v3, v38, v2
	v_and_b32_e32 v4, 1, v46
	v_add_u32_e32 v3, 21, v3
	v_cmp_eq_u32_e32 vcc, 1, v4
	v_cndmask_b32_e32 v2, v3, v2, vcc
	v_add_u32_e32 v82, v81, v89
	v_lshlrev_b32_e32 v2, 1, v2
	ds_write_b16 v2, v28
	v_sub_u32_e32 v2, v82, v17
	v_sub_u32_e32 v3, v38, v2
	v_and_b32_e32 v4, 1, v45
	v_add_u32_e32 v3, 22, v3
	v_cmp_eq_u32_e32 vcc, 1, v4
	v_cndmask_b32_e32 v2, v3, v2, vcc
	v_add_u32_e32 v83, v82, v90
	v_lshlrev_b32_e32 v2, 1, v2
	ds_write_b16 v2, v5
	v_sub_u32_e32 v2, v83, v17
	v_sub_u32_e32 v3, v38, v2
	v_and_b32_e32 v4, 1, v44
	v_add_u32_e32 v3, 23, v3
	v_cmp_eq_u32_e32 vcc, 1, v4
	v_cndmask_b32_e32 v2, v3, v2, vcc
	v_add_u32_e32 v84, v83, v91
	v_lshlrev_b32_e32 v2, 1, v2
	ds_write_b16 v2, v27
	v_sub_u32_e32 v2, v84, v17
	v_sub_u32_e32 v3, v38, v2
	v_and_b32_e32 v4, 1, v43
	v_add_u32_e32 v3, 24, v3
	v_cmp_eq_u32_e32 vcc, 1, v4
	v_cndmask_b32_e32 v2, v3, v2, vcc
	v_add_u32_e32 v85, v84, v92
	v_lshlrev_b32_e32 v2, 1, v2
	ds_write_b16 v2, v14
	v_sub_u32_e32 v2, v85, v17
	v_sub_u32_e32 v3, v38, v2
	v_and_b32_e32 v4, 1, v42
	v_add_u32_e32 v3, 25, v3
	v_cmp_eq_u32_e32 vcc, 1, v4
	v_cndmask_b32_e32 v2, v3, v2, vcc
	v_add_u32_e32 v86, v85, v93
	v_lshlrev_b32_e32 v2, 1, v2
	ds_write_b16 v2, v26
	v_sub_u32_e32 v2, v86, v17
	v_sub_u32_e32 v3, v38, v2
	v_and_b32_e32 v4, 1, v40
	v_add_u32_e32 v3, 26, v3
	v_cmp_eq_u32_e32 vcc, 1, v4
	v_cndmask_b32_e32 v2, v3, v2, vcc
	v_lshlrev_b32_e32 v2, 1, v2
	ds_write_b16 v2, v15
	v_sub_u32_sdwa v2, v40, v17 dst_sel:DWORD dst_unused:UNUSED_PAD src0_sel:BYTE_0 src1_sel:DWORD
	v_add_u32_e32 v2, v86, v2
	v_sub_u32_e32 v3, v38, v2
	v_and_b32_e32 v4, 1, v41
	v_add_u32_e32 v3, 27, v3
	v_cmp_eq_u32_e32 vcc, 1, v4
	v_cndmask_b32_e32 v2, v3, v2, vcc
	v_cmp_eq_u32_e32 vcc, 0, v0
	v_lshlrev_b32_e32 v2, 1, v2
	s_and_b64 s[0:1], vcc, s[22:23]
	ds_write_b16 v2, v1
	s_waitcnt lgkmcnt(0)
	s_barrier
	s_and_saveexec_b64 s[2:3], s[0:1]
	s_cbranch_execz .LBB2493_103
; %bb.102:
	v_mov_b32_e32 v0, s19
	v_add_co_u32_e32 v1, vcc, s18, v16
	v_addc_co_u32_e32 v3, vcc, 0, v0, vcc
	v_add_co_u32_e32 v0, vcc, v1, v17
	v_mov_b32_e32 v2, 0
	v_addc_co_u32_e32 v1, vcc, 0, v3, vcc
	global_store_dwordx2 v2, v[0:1], s[20:21]
.LBB2493_103:
	s_endpgm
	.section	.rodata,"a",@progbits
	.p2align	6, 0x0
	.amdhsa_kernel _ZN7rocprim17ROCPRIM_400000_NS6detail17trampoline_kernelINS0_14default_configENS1_25partition_config_selectorILNS1_17partition_subalgoE0EtNS0_10empty_typeEbEEZZNS1_14partition_implILS5_0ELb0ES3_jN6thrust23THRUST_200600_302600_NS6detail15normal_iteratorINSA_10device_ptrItEEEEPS6_SG_NS0_5tupleIJNSA_16discard_iteratorINSA_11use_defaultEEESK_EEENSH_IJSG_SG_EEES6_PlJ7is_evenItEEEE10hipError_tPvRmT3_T4_T5_T6_T7_T9_mT8_P12ihipStream_tbDpT10_ENKUlT_T0_E_clISt17integral_constantIbLb0EES19_EEDaS14_S15_EUlS14_E_NS1_11comp_targetILNS1_3genE4ELNS1_11target_archE910ELNS1_3gpuE8ELNS1_3repE0EEENS1_30default_config_static_selectorELNS0_4arch9wavefront6targetE1EEEvT1_
		.amdhsa_group_segment_fixed_size 14344
		.amdhsa_private_segment_fixed_size 0
		.amdhsa_kernarg_size 136
		.amdhsa_user_sgpr_count 6
		.amdhsa_user_sgpr_private_segment_buffer 1
		.amdhsa_user_sgpr_dispatch_ptr 0
		.amdhsa_user_sgpr_queue_ptr 0
		.amdhsa_user_sgpr_kernarg_segment_ptr 1
		.amdhsa_user_sgpr_dispatch_id 0
		.amdhsa_user_sgpr_flat_scratch_init 0
		.amdhsa_user_sgpr_kernarg_preload_length 0
		.amdhsa_user_sgpr_kernarg_preload_offset 0
		.amdhsa_user_sgpr_private_segment_size 0
		.amdhsa_uses_dynamic_stack 0
		.amdhsa_system_sgpr_private_segment_wavefront_offset 0
		.amdhsa_system_sgpr_workgroup_id_x 1
		.amdhsa_system_sgpr_workgroup_id_y 0
		.amdhsa_system_sgpr_workgroup_id_z 0
		.amdhsa_system_sgpr_workgroup_info 0
		.amdhsa_system_vgpr_workitem_id 0
		.amdhsa_next_free_vgpr 113
		.amdhsa_next_free_sgpr 36
		.amdhsa_accum_offset 116
		.amdhsa_reserve_vcc 1
		.amdhsa_reserve_flat_scratch 0
		.amdhsa_float_round_mode_32 0
		.amdhsa_float_round_mode_16_64 0
		.amdhsa_float_denorm_mode_32 3
		.amdhsa_float_denorm_mode_16_64 3
		.amdhsa_dx10_clamp 1
		.amdhsa_ieee_mode 1
		.amdhsa_fp16_overflow 0
		.amdhsa_tg_split 0
		.amdhsa_exception_fp_ieee_invalid_op 0
		.amdhsa_exception_fp_denorm_src 0
		.amdhsa_exception_fp_ieee_div_zero 0
		.amdhsa_exception_fp_ieee_overflow 0
		.amdhsa_exception_fp_ieee_underflow 0
		.amdhsa_exception_fp_ieee_inexact 0
		.amdhsa_exception_int_div_zero 0
	.end_amdhsa_kernel
	.section	.text._ZN7rocprim17ROCPRIM_400000_NS6detail17trampoline_kernelINS0_14default_configENS1_25partition_config_selectorILNS1_17partition_subalgoE0EtNS0_10empty_typeEbEEZZNS1_14partition_implILS5_0ELb0ES3_jN6thrust23THRUST_200600_302600_NS6detail15normal_iteratorINSA_10device_ptrItEEEEPS6_SG_NS0_5tupleIJNSA_16discard_iteratorINSA_11use_defaultEEESK_EEENSH_IJSG_SG_EEES6_PlJ7is_evenItEEEE10hipError_tPvRmT3_T4_T5_T6_T7_T9_mT8_P12ihipStream_tbDpT10_ENKUlT_T0_E_clISt17integral_constantIbLb0EES19_EEDaS14_S15_EUlS14_E_NS1_11comp_targetILNS1_3genE4ELNS1_11target_archE910ELNS1_3gpuE8ELNS1_3repE0EEENS1_30default_config_static_selectorELNS0_4arch9wavefront6targetE1EEEvT1_,"axG",@progbits,_ZN7rocprim17ROCPRIM_400000_NS6detail17trampoline_kernelINS0_14default_configENS1_25partition_config_selectorILNS1_17partition_subalgoE0EtNS0_10empty_typeEbEEZZNS1_14partition_implILS5_0ELb0ES3_jN6thrust23THRUST_200600_302600_NS6detail15normal_iteratorINSA_10device_ptrItEEEEPS6_SG_NS0_5tupleIJNSA_16discard_iteratorINSA_11use_defaultEEESK_EEENSH_IJSG_SG_EEES6_PlJ7is_evenItEEEE10hipError_tPvRmT3_T4_T5_T6_T7_T9_mT8_P12ihipStream_tbDpT10_ENKUlT_T0_E_clISt17integral_constantIbLb0EES19_EEDaS14_S15_EUlS14_E_NS1_11comp_targetILNS1_3genE4ELNS1_11target_archE910ELNS1_3gpuE8ELNS1_3repE0EEENS1_30default_config_static_selectorELNS0_4arch9wavefront6targetE1EEEvT1_,comdat
.Lfunc_end2493:
	.size	_ZN7rocprim17ROCPRIM_400000_NS6detail17trampoline_kernelINS0_14default_configENS1_25partition_config_selectorILNS1_17partition_subalgoE0EtNS0_10empty_typeEbEEZZNS1_14partition_implILS5_0ELb0ES3_jN6thrust23THRUST_200600_302600_NS6detail15normal_iteratorINSA_10device_ptrItEEEEPS6_SG_NS0_5tupleIJNSA_16discard_iteratorINSA_11use_defaultEEESK_EEENSH_IJSG_SG_EEES6_PlJ7is_evenItEEEE10hipError_tPvRmT3_T4_T5_T6_T7_T9_mT8_P12ihipStream_tbDpT10_ENKUlT_T0_E_clISt17integral_constantIbLb0EES19_EEDaS14_S15_EUlS14_E_NS1_11comp_targetILNS1_3genE4ELNS1_11target_archE910ELNS1_3gpuE8ELNS1_3repE0EEENS1_30default_config_static_selectorELNS0_4arch9wavefront6targetE1EEEvT1_, .Lfunc_end2493-_ZN7rocprim17ROCPRIM_400000_NS6detail17trampoline_kernelINS0_14default_configENS1_25partition_config_selectorILNS1_17partition_subalgoE0EtNS0_10empty_typeEbEEZZNS1_14partition_implILS5_0ELb0ES3_jN6thrust23THRUST_200600_302600_NS6detail15normal_iteratorINSA_10device_ptrItEEEEPS6_SG_NS0_5tupleIJNSA_16discard_iteratorINSA_11use_defaultEEESK_EEENSH_IJSG_SG_EEES6_PlJ7is_evenItEEEE10hipError_tPvRmT3_T4_T5_T6_T7_T9_mT8_P12ihipStream_tbDpT10_ENKUlT_T0_E_clISt17integral_constantIbLb0EES19_EEDaS14_S15_EUlS14_E_NS1_11comp_targetILNS1_3genE4ELNS1_11target_archE910ELNS1_3gpuE8ELNS1_3repE0EEENS1_30default_config_static_selectorELNS0_4arch9wavefront6targetE1EEEvT1_
                                        ; -- End function
	.section	.AMDGPU.csdata,"",@progbits
; Kernel info:
; codeLenInByte = 6564
; NumSgprs: 40
; NumVgprs: 113
; NumAgprs: 0
; TotalNumVgprs: 113
; ScratchSize: 0
; MemoryBound: 0
; FloatMode: 240
; IeeeMode: 1
; LDSByteSize: 14344 bytes/workgroup (compile time only)
; SGPRBlocks: 4
; VGPRBlocks: 14
; NumSGPRsForWavesPerEU: 40
; NumVGPRsForWavesPerEU: 113
; AccumOffset: 116
; Occupancy: 4
; WaveLimiterHint : 1
; COMPUTE_PGM_RSRC2:SCRATCH_EN: 0
; COMPUTE_PGM_RSRC2:USER_SGPR: 6
; COMPUTE_PGM_RSRC2:TRAP_HANDLER: 0
; COMPUTE_PGM_RSRC2:TGID_X_EN: 1
; COMPUTE_PGM_RSRC2:TGID_Y_EN: 0
; COMPUTE_PGM_RSRC2:TGID_Z_EN: 0
; COMPUTE_PGM_RSRC2:TIDIG_COMP_CNT: 0
; COMPUTE_PGM_RSRC3_GFX90A:ACCUM_OFFSET: 28
; COMPUTE_PGM_RSRC3_GFX90A:TG_SPLIT: 0
	.section	.text._ZN7rocprim17ROCPRIM_400000_NS6detail17trampoline_kernelINS0_14default_configENS1_25partition_config_selectorILNS1_17partition_subalgoE0EtNS0_10empty_typeEbEEZZNS1_14partition_implILS5_0ELb0ES3_jN6thrust23THRUST_200600_302600_NS6detail15normal_iteratorINSA_10device_ptrItEEEEPS6_SG_NS0_5tupleIJNSA_16discard_iteratorINSA_11use_defaultEEESK_EEENSH_IJSG_SG_EEES6_PlJ7is_evenItEEEE10hipError_tPvRmT3_T4_T5_T6_T7_T9_mT8_P12ihipStream_tbDpT10_ENKUlT_T0_E_clISt17integral_constantIbLb0EES19_EEDaS14_S15_EUlS14_E_NS1_11comp_targetILNS1_3genE3ELNS1_11target_archE908ELNS1_3gpuE7ELNS1_3repE0EEENS1_30default_config_static_selectorELNS0_4arch9wavefront6targetE1EEEvT1_,"axG",@progbits,_ZN7rocprim17ROCPRIM_400000_NS6detail17trampoline_kernelINS0_14default_configENS1_25partition_config_selectorILNS1_17partition_subalgoE0EtNS0_10empty_typeEbEEZZNS1_14partition_implILS5_0ELb0ES3_jN6thrust23THRUST_200600_302600_NS6detail15normal_iteratorINSA_10device_ptrItEEEEPS6_SG_NS0_5tupleIJNSA_16discard_iteratorINSA_11use_defaultEEESK_EEENSH_IJSG_SG_EEES6_PlJ7is_evenItEEEE10hipError_tPvRmT3_T4_T5_T6_T7_T9_mT8_P12ihipStream_tbDpT10_ENKUlT_T0_E_clISt17integral_constantIbLb0EES19_EEDaS14_S15_EUlS14_E_NS1_11comp_targetILNS1_3genE3ELNS1_11target_archE908ELNS1_3gpuE7ELNS1_3repE0EEENS1_30default_config_static_selectorELNS0_4arch9wavefront6targetE1EEEvT1_,comdat
	.protected	_ZN7rocprim17ROCPRIM_400000_NS6detail17trampoline_kernelINS0_14default_configENS1_25partition_config_selectorILNS1_17partition_subalgoE0EtNS0_10empty_typeEbEEZZNS1_14partition_implILS5_0ELb0ES3_jN6thrust23THRUST_200600_302600_NS6detail15normal_iteratorINSA_10device_ptrItEEEEPS6_SG_NS0_5tupleIJNSA_16discard_iteratorINSA_11use_defaultEEESK_EEENSH_IJSG_SG_EEES6_PlJ7is_evenItEEEE10hipError_tPvRmT3_T4_T5_T6_T7_T9_mT8_P12ihipStream_tbDpT10_ENKUlT_T0_E_clISt17integral_constantIbLb0EES19_EEDaS14_S15_EUlS14_E_NS1_11comp_targetILNS1_3genE3ELNS1_11target_archE908ELNS1_3gpuE7ELNS1_3repE0EEENS1_30default_config_static_selectorELNS0_4arch9wavefront6targetE1EEEvT1_ ; -- Begin function _ZN7rocprim17ROCPRIM_400000_NS6detail17trampoline_kernelINS0_14default_configENS1_25partition_config_selectorILNS1_17partition_subalgoE0EtNS0_10empty_typeEbEEZZNS1_14partition_implILS5_0ELb0ES3_jN6thrust23THRUST_200600_302600_NS6detail15normal_iteratorINSA_10device_ptrItEEEEPS6_SG_NS0_5tupleIJNSA_16discard_iteratorINSA_11use_defaultEEESK_EEENSH_IJSG_SG_EEES6_PlJ7is_evenItEEEE10hipError_tPvRmT3_T4_T5_T6_T7_T9_mT8_P12ihipStream_tbDpT10_ENKUlT_T0_E_clISt17integral_constantIbLb0EES19_EEDaS14_S15_EUlS14_E_NS1_11comp_targetILNS1_3genE3ELNS1_11target_archE908ELNS1_3gpuE7ELNS1_3repE0EEENS1_30default_config_static_selectorELNS0_4arch9wavefront6targetE1EEEvT1_
	.globl	_ZN7rocprim17ROCPRIM_400000_NS6detail17trampoline_kernelINS0_14default_configENS1_25partition_config_selectorILNS1_17partition_subalgoE0EtNS0_10empty_typeEbEEZZNS1_14partition_implILS5_0ELb0ES3_jN6thrust23THRUST_200600_302600_NS6detail15normal_iteratorINSA_10device_ptrItEEEEPS6_SG_NS0_5tupleIJNSA_16discard_iteratorINSA_11use_defaultEEESK_EEENSH_IJSG_SG_EEES6_PlJ7is_evenItEEEE10hipError_tPvRmT3_T4_T5_T6_T7_T9_mT8_P12ihipStream_tbDpT10_ENKUlT_T0_E_clISt17integral_constantIbLb0EES19_EEDaS14_S15_EUlS14_E_NS1_11comp_targetILNS1_3genE3ELNS1_11target_archE908ELNS1_3gpuE7ELNS1_3repE0EEENS1_30default_config_static_selectorELNS0_4arch9wavefront6targetE1EEEvT1_
	.p2align	8
	.type	_ZN7rocprim17ROCPRIM_400000_NS6detail17trampoline_kernelINS0_14default_configENS1_25partition_config_selectorILNS1_17partition_subalgoE0EtNS0_10empty_typeEbEEZZNS1_14partition_implILS5_0ELb0ES3_jN6thrust23THRUST_200600_302600_NS6detail15normal_iteratorINSA_10device_ptrItEEEEPS6_SG_NS0_5tupleIJNSA_16discard_iteratorINSA_11use_defaultEEESK_EEENSH_IJSG_SG_EEES6_PlJ7is_evenItEEEE10hipError_tPvRmT3_T4_T5_T6_T7_T9_mT8_P12ihipStream_tbDpT10_ENKUlT_T0_E_clISt17integral_constantIbLb0EES19_EEDaS14_S15_EUlS14_E_NS1_11comp_targetILNS1_3genE3ELNS1_11target_archE908ELNS1_3gpuE7ELNS1_3repE0EEENS1_30default_config_static_selectorELNS0_4arch9wavefront6targetE1EEEvT1_,@function
_ZN7rocprim17ROCPRIM_400000_NS6detail17trampoline_kernelINS0_14default_configENS1_25partition_config_selectorILNS1_17partition_subalgoE0EtNS0_10empty_typeEbEEZZNS1_14partition_implILS5_0ELb0ES3_jN6thrust23THRUST_200600_302600_NS6detail15normal_iteratorINSA_10device_ptrItEEEEPS6_SG_NS0_5tupleIJNSA_16discard_iteratorINSA_11use_defaultEEESK_EEENSH_IJSG_SG_EEES6_PlJ7is_evenItEEEE10hipError_tPvRmT3_T4_T5_T6_T7_T9_mT8_P12ihipStream_tbDpT10_ENKUlT_T0_E_clISt17integral_constantIbLb0EES19_EEDaS14_S15_EUlS14_E_NS1_11comp_targetILNS1_3genE3ELNS1_11target_archE908ELNS1_3gpuE7ELNS1_3repE0EEENS1_30default_config_static_selectorELNS0_4arch9wavefront6targetE1EEEvT1_: ; @_ZN7rocprim17ROCPRIM_400000_NS6detail17trampoline_kernelINS0_14default_configENS1_25partition_config_selectorILNS1_17partition_subalgoE0EtNS0_10empty_typeEbEEZZNS1_14partition_implILS5_0ELb0ES3_jN6thrust23THRUST_200600_302600_NS6detail15normal_iteratorINSA_10device_ptrItEEEEPS6_SG_NS0_5tupleIJNSA_16discard_iteratorINSA_11use_defaultEEESK_EEENSH_IJSG_SG_EEES6_PlJ7is_evenItEEEE10hipError_tPvRmT3_T4_T5_T6_T7_T9_mT8_P12ihipStream_tbDpT10_ENKUlT_T0_E_clISt17integral_constantIbLb0EES19_EEDaS14_S15_EUlS14_E_NS1_11comp_targetILNS1_3genE3ELNS1_11target_archE908ELNS1_3gpuE7ELNS1_3repE0EEENS1_30default_config_static_selectorELNS0_4arch9wavefront6targetE1EEEvT1_
; %bb.0:
	.section	.rodata,"a",@progbits
	.p2align	6, 0x0
	.amdhsa_kernel _ZN7rocprim17ROCPRIM_400000_NS6detail17trampoline_kernelINS0_14default_configENS1_25partition_config_selectorILNS1_17partition_subalgoE0EtNS0_10empty_typeEbEEZZNS1_14partition_implILS5_0ELb0ES3_jN6thrust23THRUST_200600_302600_NS6detail15normal_iteratorINSA_10device_ptrItEEEEPS6_SG_NS0_5tupleIJNSA_16discard_iteratorINSA_11use_defaultEEESK_EEENSH_IJSG_SG_EEES6_PlJ7is_evenItEEEE10hipError_tPvRmT3_T4_T5_T6_T7_T9_mT8_P12ihipStream_tbDpT10_ENKUlT_T0_E_clISt17integral_constantIbLb0EES19_EEDaS14_S15_EUlS14_E_NS1_11comp_targetILNS1_3genE3ELNS1_11target_archE908ELNS1_3gpuE7ELNS1_3repE0EEENS1_30default_config_static_selectorELNS0_4arch9wavefront6targetE1EEEvT1_
		.amdhsa_group_segment_fixed_size 0
		.amdhsa_private_segment_fixed_size 0
		.amdhsa_kernarg_size 136
		.amdhsa_user_sgpr_count 6
		.amdhsa_user_sgpr_private_segment_buffer 1
		.amdhsa_user_sgpr_dispatch_ptr 0
		.amdhsa_user_sgpr_queue_ptr 0
		.amdhsa_user_sgpr_kernarg_segment_ptr 1
		.amdhsa_user_sgpr_dispatch_id 0
		.amdhsa_user_sgpr_flat_scratch_init 0
		.amdhsa_user_sgpr_kernarg_preload_length 0
		.amdhsa_user_sgpr_kernarg_preload_offset 0
		.amdhsa_user_sgpr_private_segment_size 0
		.amdhsa_uses_dynamic_stack 0
		.amdhsa_system_sgpr_private_segment_wavefront_offset 0
		.amdhsa_system_sgpr_workgroup_id_x 1
		.amdhsa_system_sgpr_workgroup_id_y 0
		.amdhsa_system_sgpr_workgroup_id_z 0
		.amdhsa_system_sgpr_workgroup_info 0
		.amdhsa_system_vgpr_workitem_id 0
		.amdhsa_next_free_vgpr 1
		.amdhsa_next_free_sgpr 0
		.amdhsa_accum_offset 4
		.amdhsa_reserve_vcc 0
		.amdhsa_reserve_flat_scratch 0
		.amdhsa_float_round_mode_32 0
		.amdhsa_float_round_mode_16_64 0
		.amdhsa_float_denorm_mode_32 3
		.amdhsa_float_denorm_mode_16_64 3
		.amdhsa_dx10_clamp 1
		.amdhsa_ieee_mode 1
		.amdhsa_fp16_overflow 0
		.amdhsa_tg_split 0
		.amdhsa_exception_fp_ieee_invalid_op 0
		.amdhsa_exception_fp_denorm_src 0
		.amdhsa_exception_fp_ieee_div_zero 0
		.amdhsa_exception_fp_ieee_overflow 0
		.amdhsa_exception_fp_ieee_underflow 0
		.amdhsa_exception_fp_ieee_inexact 0
		.amdhsa_exception_int_div_zero 0
	.end_amdhsa_kernel
	.section	.text._ZN7rocprim17ROCPRIM_400000_NS6detail17trampoline_kernelINS0_14default_configENS1_25partition_config_selectorILNS1_17partition_subalgoE0EtNS0_10empty_typeEbEEZZNS1_14partition_implILS5_0ELb0ES3_jN6thrust23THRUST_200600_302600_NS6detail15normal_iteratorINSA_10device_ptrItEEEEPS6_SG_NS0_5tupleIJNSA_16discard_iteratorINSA_11use_defaultEEESK_EEENSH_IJSG_SG_EEES6_PlJ7is_evenItEEEE10hipError_tPvRmT3_T4_T5_T6_T7_T9_mT8_P12ihipStream_tbDpT10_ENKUlT_T0_E_clISt17integral_constantIbLb0EES19_EEDaS14_S15_EUlS14_E_NS1_11comp_targetILNS1_3genE3ELNS1_11target_archE908ELNS1_3gpuE7ELNS1_3repE0EEENS1_30default_config_static_selectorELNS0_4arch9wavefront6targetE1EEEvT1_,"axG",@progbits,_ZN7rocprim17ROCPRIM_400000_NS6detail17trampoline_kernelINS0_14default_configENS1_25partition_config_selectorILNS1_17partition_subalgoE0EtNS0_10empty_typeEbEEZZNS1_14partition_implILS5_0ELb0ES3_jN6thrust23THRUST_200600_302600_NS6detail15normal_iteratorINSA_10device_ptrItEEEEPS6_SG_NS0_5tupleIJNSA_16discard_iteratorINSA_11use_defaultEEESK_EEENSH_IJSG_SG_EEES6_PlJ7is_evenItEEEE10hipError_tPvRmT3_T4_T5_T6_T7_T9_mT8_P12ihipStream_tbDpT10_ENKUlT_T0_E_clISt17integral_constantIbLb0EES19_EEDaS14_S15_EUlS14_E_NS1_11comp_targetILNS1_3genE3ELNS1_11target_archE908ELNS1_3gpuE7ELNS1_3repE0EEENS1_30default_config_static_selectorELNS0_4arch9wavefront6targetE1EEEvT1_,comdat
.Lfunc_end2494:
	.size	_ZN7rocprim17ROCPRIM_400000_NS6detail17trampoline_kernelINS0_14default_configENS1_25partition_config_selectorILNS1_17partition_subalgoE0EtNS0_10empty_typeEbEEZZNS1_14partition_implILS5_0ELb0ES3_jN6thrust23THRUST_200600_302600_NS6detail15normal_iteratorINSA_10device_ptrItEEEEPS6_SG_NS0_5tupleIJNSA_16discard_iteratorINSA_11use_defaultEEESK_EEENSH_IJSG_SG_EEES6_PlJ7is_evenItEEEE10hipError_tPvRmT3_T4_T5_T6_T7_T9_mT8_P12ihipStream_tbDpT10_ENKUlT_T0_E_clISt17integral_constantIbLb0EES19_EEDaS14_S15_EUlS14_E_NS1_11comp_targetILNS1_3genE3ELNS1_11target_archE908ELNS1_3gpuE7ELNS1_3repE0EEENS1_30default_config_static_selectorELNS0_4arch9wavefront6targetE1EEEvT1_, .Lfunc_end2494-_ZN7rocprim17ROCPRIM_400000_NS6detail17trampoline_kernelINS0_14default_configENS1_25partition_config_selectorILNS1_17partition_subalgoE0EtNS0_10empty_typeEbEEZZNS1_14partition_implILS5_0ELb0ES3_jN6thrust23THRUST_200600_302600_NS6detail15normal_iteratorINSA_10device_ptrItEEEEPS6_SG_NS0_5tupleIJNSA_16discard_iteratorINSA_11use_defaultEEESK_EEENSH_IJSG_SG_EEES6_PlJ7is_evenItEEEE10hipError_tPvRmT3_T4_T5_T6_T7_T9_mT8_P12ihipStream_tbDpT10_ENKUlT_T0_E_clISt17integral_constantIbLb0EES19_EEDaS14_S15_EUlS14_E_NS1_11comp_targetILNS1_3genE3ELNS1_11target_archE908ELNS1_3gpuE7ELNS1_3repE0EEENS1_30default_config_static_selectorELNS0_4arch9wavefront6targetE1EEEvT1_
                                        ; -- End function
	.section	.AMDGPU.csdata,"",@progbits
; Kernel info:
; codeLenInByte = 0
; NumSgprs: 4
; NumVgprs: 0
; NumAgprs: 0
; TotalNumVgprs: 0
; ScratchSize: 0
; MemoryBound: 0
; FloatMode: 240
; IeeeMode: 1
; LDSByteSize: 0 bytes/workgroup (compile time only)
; SGPRBlocks: 0
; VGPRBlocks: 0
; NumSGPRsForWavesPerEU: 4
; NumVGPRsForWavesPerEU: 1
; AccumOffset: 4
; Occupancy: 8
; WaveLimiterHint : 0
; COMPUTE_PGM_RSRC2:SCRATCH_EN: 0
; COMPUTE_PGM_RSRC2:USER_SGPR: 6
; COMPUTE_PGM_RSRC2:TRAP_HANDLER: 0
; COMPUTE_PGM_RSRC2:TGID_X_EN: 1
; COMPUTE_PGM_RSRC2:TGID_Y_EN: 0
; COMPUTE_PGM_RSRC2:TGID_Z_EN: 0
; COMPUTE_PGM_RSRC2:TIDIG_COMP_CNT: 0
; COMPUTE_PGM_RSRC3_GFX90A:ACCUM_OFFSET: 0
; COMPUTE_PGM_RSRC3_GFX90A:TG_SPLIT: 0
	.section	.text._ZN7rocprim17ROCPRIM_400000_NS6detail17trampoline_kernelINS0_14default_configENS1_25partition_config_selectorILNS1_17partition_subalgoE0EtNS0_10empty_typeEbEEZZNS1_14partition_implILS5_0ELb0ES3_jN6thrust23THRUST_200600_302600_NS6detail15normal_iteratorINSA_10device_ptrItEEEEPS6_SG_NS0_5tupleIJNSA_16discard_iteratorINSA_11use_defaultEEESK_EEENSH_IJSG_SG_EEES6_PlJ7is_evenItEEEE10hipError_tPvRmT3_T4_T5_T6_T7_T9_mT8_P12ihipStream_tbDpT10_ENKUlT_T0_E_clISt17integral_constantIbLb0EES19_EEDaS14_S15_EUlS14_E_NS1_11comp_targetILNS1_3genE2ELNS1_11target_archE906ELNS1_3gpuE6ELNS1_3repE0EEENS1_30default_config_static_selectorELNS0_4arch9wavefront6targetE1EEEvT1_,"axG",@progbits,_ZN7rocprim17ROCPRIM_400000_NS6detail17trampoline_kernelINS0_14default_configENS1_25partition_config_selectorILNS1_17partition_subalgoE0EtNS0_10empty_typeEbEEZZNS1_14partition_implILS5_0ELb0ES3_jN6thrust23THRUST_200600_302600_NS6detail15normal_iteratorINSA_10device_ptrItEEEEPS6_SG_NS0_5tupleIJNSA_16discard_iteratorINSA_11use_defaultEEESK_EEENSH_IJSG_SG_EEES6_PlJ7is_evenItEEEE10hipError_tPvRmT3_T4_T5_T6_T7_T9_mT8_P12ihipStream_tbDpT10_ENKUlT_T0_E_clISt17integral_constantIbLb0EES19_EEDaS14_S15_EUlS14_E_NS1_11comp_targetILNS1_3genE2ELNS1_11target_archE906ELNS1_3gpuE6ELNS1_3repE0EEENS1_30default_config_static_selectorELNS0_4arch9wavefront6targetE1EEEvT1_,comdat
	.protected	_ZN7rocprim17ROCPRIM_400000_NS6detail17trampoline_kernelINS0_14default_configENS1_25partition_config_selectorILNS1_17partition_subalgoE0EtNS0_10empty_typeEbEEZZNS1_14partition_implILS5_0ELb0ES3_jN6thrust23THRUST_200600_302600_NS6detail15normal_iteratorINSA_10device_ptrItEEEEPS6_SG_NS0_5tupleIJNSA_16discard_iteratorINSA_11use_defaultEEESK_EEENSH_IJSG_SG_EEES6_PlJ7is_evenItEEEE10hipError_tPvRmT3_T4_T5_T6_T7_T9_mT8_P12ihipStream_tbDpT10_ENKUlT_T0_E_clISt17integral_constantIbLb0EES19_EEDaS14_S15_EUlS14_E_NS1_11comp_targetILNS1_3genE2ELNS1_11target_archE906ELNS1_3gpuE6ELNS1_3repE0EEENS1_30default_config_static_selectorELNS0_4arch9wavefront6targetE1EEEvT1_ ; -- Begin function _ZN7rocprim17ROCPRIM_400000_NS6detail17trampoline_kernelINS0_14default_configENS1_25partition_config_selectorILNS1_17partition_subalgoE0EtNS0_10empty_typeEbEEZZNS1_14partition_implILS5_0ELb0ES3_jN6thrust23THRUST_200600_302600_NS6detail15normal_iteratorINSA_10device_ptrItEEEEPS6_SG_NS0_5tupleIJNSA_16discard_iteratorINSA_11use_defaultEEESK_EEENSH_IJSG_SG_EEES6_PlJ7is_evenItEEEE10hipError_tPvRmT3_T4_T5_T6_T7_T9_mT8_P12ihipStream_tbDpT10_ENKUlT_T0_E_clISt17integral_constantIbLb0EES19_EEDaS14_S15_EUlS14_E_NS1_11comp_targetILNS1_3genE2ELNS1_11target_archE906ELNS1_3gpuE6ELNS1_3repE0EEENS1_30default_config_static_selectorELNS0_4arch9wavefront6targetE1EEEvT1_
	.globl	_ZN7rocprim17ROCPRIM_400000_NS6detail17trampoline_kernelINS0_14default_configENS1_25partition_config_selectorILNS1_17partition_subalgoE0EtNS0_10empty_typeEbEEZZNS1_14partition_implILS5_0ELb0ES3_jN6thrust23THRUST_200600_302600_NS6detail15normal_iteratorINSA_10device_ptrItEEEEPS6_SG_NS0_5tupleIJNSA_16discard_iteratorINSA_11use_defaultEEESK_EEENSH_IJSG_SG_EEES6_PlJ7is_evenItEEEE10hipError_tPvRmT3_T4_T5_T6_T7_T9_mT8_P12ihipStream_tbDpT10_ENKUlT_T0_E_clISt17integral_constantIbLb0EES19_EEDaS14_S15_EUlS14_E_NS1_11comp_targetILNS1_3genE2ELNS1_11target_archE906ELNS1_3gpuE6ELNS1_3repE0EEENS1_30default_config_static_selectorELNS0_4arch9wavefront6targetE1EEEvT1_
	.p2align	8
	.type	_ZN7rocprim17ROCPRIM_400000_NS6detail17trampoline_kernelINS0_14default_configENS1_25partition_config_selectorILNS1_17partition_subalgoE0EtNS0_10empty_typeEbEEZZNS1_14partition_implILS5_0ELb0ES3_jN6thrust23THRUST_200600_302600_NS6detail15normal_iteratorINSA_10device_ptrItEEEEPS6_SG_NS0_5tupleIJNSA_16discard_iteratorINSA_11use_defaultEEESK_EEENSH_IJSG_SG_EEES6_PlJ7is_evenItEEEE10hipError_tPvRmT3_T4_T5_T6_T7_T9_mT8_P12ihipStream_tbDpT10_ENKUlT_T0_E_clISt17integral_constantIbLb0EES19_EEDaS14_S15_EUlS14_E_NS1_11comp_targetILNS1_3genE2ELNS1_11target_archE906ELNS1_3gpuE6ELNS1_3repE0EEENS1_30default_config_static_selectorELNS0_4arch9wavefront6targetE1EEEvT1_,@function
_ZN7rocprim17ROCPRIM_400000_NS6detail17trampoline_kernelINS0_14default_configENS1_25partition_config_selectorILNS1_17partition_subalgoE0EtNS0_10empty_typeEbEEZZNS1_14partition_implILS5_0ELb0ES3_jN6thrust23THRUST_200600_302600_NS6detail15normal_iteratorINSA_10device_ptrItEEEEPS6_SG_NS0_5tupleIJNSA_16discard_iteratorINSA_11use_defaultEEESK_EEENSH_IJSG_SG_EEES6_PlJ7is_evenItEEEE10hipError_tPvRmT3_T4_T5_T6_T7_T9_mT8_P12ihipStream_tbDpT10_ENKUlT_T0_E_clISt17integral_constantIbLb0EES19_EEDaS14_S15_EUlS14_E_NS1_11comp_targetILNS1_3genE2ELNS1_11target_archE906ELNS1_3gpuE6ELNS1_3repE0EEENS1_30default_config_static_selectorELNS0_4arch9wavefront6targetE1EEEvT1_: ; @_ZN7rocprim17ROCPRIM_400000_NS6detail17trampoline_kernelINS0_14default_configENS1_25partition_config_selectorILNS1_17partition_subalgoE0EtNS0_10empty_typeEbEEZZNS1_14partition_implILS5_0ELb0ES3_jN6thrust23THRUST_200600_302600_NS6detail15normal_iteratorINSA_10device_ptrItEEEEPS6_SG_NS0_5tupleIJNSA_16discard_iteratorINSA_11use_defaultEEESK_EEENSH_IJSG_SG_EEES6_PlJ7is_evenItEEEE10hipError_tPvRmT3_T4_T5_T6_T7_T9_mT8_P12ihipStream_tbDpT10_ENKUlT_T0_E_clISt17integral_constantIbLb0EES19_EEDaS14_S15_EUlS14_E_NS1_11comp_targetILNS1_3genE2ELNS1_11target_archE906ELNS1_3gpuE6ELNS1_3repE0EEENS1_30default_config_static_selectorELNS0_4arch9wavefront6targetE1EEEvT1_
; %bb.0:
	.section	.rodata,"a",@progbits
	.p2align	6, 0x0
	.amdhsa_kernel _ZN7rocprim17ROCPRIM_400000_NS6detail17trampoline_kernelINS0_14default_configENS1_25partition_config_selectorILNS1_17partition_subalgoE0EtNS0_10empty_typeEbEEZZNS1_14partition_implILS5_0ELb0ES3_jN6thrust23THRUST_200600_302600_NS6detail15normal_iteratorINSA_10device_ptrItEEEEPS6_SG_NS0_5tupleIJNSA_16discard_iteratorINSA_11use_defaultEEESK_EEENSH_IJSG_SG_EEES6_PlJ7is_evenItEEEE10hipError_tPvRmT3_T4_T5_T6_T7_T9_mT8_P12ihipStream_tbDpT10_ENKUlT_T0_E_clISt17integral_constantIbLb0EES19_EEDaS14_S15_EUlS14_E_NS1_11comp_targetILNS1_3genE2ELNS1_11target_archE906ELNS1_3gpuE6ELNS1_3repE0EEENS1_30default_config_static_selectorELNS0_4arch9wavefront6targetE1EEEvT1_
		.amdhsa_group_segment_fixed_size 0
		.amdhsa_private_segment_fixed_size 0
		.amdhsa_kernarg_size 136
		.amdhsa_user_sgpr_count 6
		.amdhsa_user_sgpr_private_segment_buffer 1
		.amdhsa_user_sgpr_dispatch_ptr 0
		.amdhsa_user_sgpr_queue_ptr 0
		.amdhsa_user_sgpr_kernarg_segment_ptr 1
		.amdhsa_user_sgpr_dispatch_id 0
		.amdhsa_user_sgpr_flat_scratch_init 0
		.amdhsa_user_sgpr_kernarg_preload_length 0
		.amdhsa_user_sgpr_kernarg_preload_offset 0
		.amdhsa_user_sgpr_private_segment_size 0
		.amdhsa_uses_dynamic_stack 0
		.amdhsa_system_sgpr_private_segment_wavefront_offset 0
		.amdhsa_system_sgpr_workgroup_id_x 1
		.amdhsa_system_sgpr_workgroup_id_y 0
		.amdhsa_system_sgpr_workgroup_id_z 0
		.amdhsa_system_sgpr_workgroup_info 0
		.amdhsa_system_vgpr_workitem_id 0
		.amdhsa_next_free_vgpr 1
		.amdhsa_next_free_sgpr 0
		.amdhsa_accum_offset 4
		.amdhsa_reserve_vcc 0
		.amdhsa_reserve_flat_scratch 0
		.amdhsa_float_round_mode_32 0
		.amdhsa_float_round_mode_16_64 0
		.amdhsa_float_denorm_mode_32 3
		.amdhsa_float_denorm_mode_16_64 3
		.amdhsa_dx10_clamp 1
		.amdhsa_ieee_mode 1
		.amdhsa_fp16_overflow 0
		.amdhsa_tg_split 0
		.amdhsa_exception_fp_ieee_invalid_op 0
		.amdhsa_exception_fp_denorm_src 0
		.amdhsa_exception_fp_ieee_div_zero 0
		.amdhsa_exception_fp_ieee_overflow 0
		.amdhsa_exception_fp_ieee_underflow 0
		.amdhsa_exception_fp_ieee_inexact 0
		.amdhsa_exception_int_div_zero 0
	.end_amdhsa_kernel
	.section	.text._ZN7rocprim17ROCPRIM_400000_NS6detail17trampoline_kernelINS0_14default_configENS1_25partition_config_selectorILNS1_17partition_subalgoE0EtNS0_10empty_typeEbEEZZNS1_14partition_implILS5_0ELb0ES3_jN6thrust23THRUST_200600_302600_NS6detail15normal_iteratorINSA_10device_ptrItEEEEPS6_SG_NS0_5tupleIJNSA_16discard_iteratorINSA_11use_defaultEEESK_EEENSH_IJSG_SG_EEES6_PlJ7is_evenItEEEE10hipError_tPvRmT3_T4_T5_T6_T7_T9_mT8_P12ihipStream_tbDpT10_ENKUlT_T0_E_clISt17integral_constantIbLb0EES19_EEDaS14_S15_EUlS14_E_NS1_11comp_targetILNS1_3genE2ELNS1_11target_archE906ELNS1_3gpuE6ELNS1_3repE0EEENS1_30default_config_static_selectorELNS0_4arch9wavefront6targetE1EEEvT1_,"axG",@progbits,_ZN7rocprim17ROCPRIM_400000_NS6detail17trampoline_kernelINS0_14default_configENS1_25partition_config_selectorILNS1_17partition_subalgoE0EtNS0_10empty_typeEbEEZZNS1_14partition_implILS5_0ELb0ES3_jN6thrust23THRUST_200600_302600_NS6detail15normal_iteratorINSA_10device_ptrItEEEEPS6_SG_NS0_5tupleIJNSA_16discard_iteratorINSA_11use_defaultEEESK_EEENSH_IJSG_SG_EEES6_PlJ7is_evenItEEEE10hipError_tPvRmT3_T4_T5_T6_T7_T9_mT8_P12ihipStream_tbDpT10_ENKUlT_T0_E_clISt17integral_constantIbLb0EES19_EEDaS14_S15_EUlS14_E_NS1_11comp_targetILNS1_3genE2ELNS1_11target_archE906ELNS1_3gpuE6ELNS1_3repE0EEENS1_30default_config_static_selectorELNS0_4arch9wavefront6targetE1EEEvT1_,comdat
.Lfunc_end2495:
	.size	_ZN7rocprim17ROCPRIM_400000_NS6detail17trampoline_kernelINS0_14default_configENS1_25partition_config_selectorILNS1_17partition_subalgoE0EtNS0_10empty_typeEbEEZZNS1_14partition_implILS5_0ELb0ES3_jN6thrust23THRUST_200600_302600_NS6detail15normal_iteratorINSA_10device_ptrItEEEEPS6_SG_NS0_5tupleIJNSA_16discard_iteratorINSA_11use_defaultEEESK_EEENSH_IJSG_SG_EEES6_PlJ7is_evenItEEEE10hipError_tPvRmT3_T4_T5_T6_T7_T9_mT8_P12ihipStream_tbDpT10_ENKUlT_T0_E_clISt17integral_constantIbLb0EES19_EEDaS14_S15_EUlS14_E_NS1_11comp_targetILNS1_3genE2ELNS1_11target_archE906ELNS1_3gpuE6ELNS1_3repE0EEENS1_30default_config_static_selectorELNS0_4arch9wavefront6targetE1EEEvT1_, .Lfunc_end2495-_ZN7rocprim17ROCPRIM_400000_NS6detail17trampoline_kernelINS0_14default_configENS1_25partition_config_selectorILNS1_17partition_subalgoE0EtNS0_10empty_typeEbEEZZNS1_14partition_implILS5_0ELb0ES3_jN6thrust23THRUST_200600_302600_NS6detail15normal_iteratorINSA_10device_ptrItEEEEPS6_SG_NS0_5tupleIJNSA_16discard_iteratorINSA_11use_defaultEEESK_EEENSH_IJSG_SG_EEES6_PlJ7is_evenItEEEE10hipError_tPvRmT3_T4_T5_T6_T7_T9_mT8_P12ihipStream_tbDpT10_ENKUlT_T0_E_clISt17integral_constantIbLb0EES19_EEDaS14_S15_EUlS14_E_NS1_11comp_targetILNS1_3genE2ELNS1_11target_archE906ELNS1_3gpuE6ELNS1_3repE0EEENS1_30default_config_static_selectorELNS0_4arch9wavefront6targetE1EEEvT1_
                                        ; -- End function
	.section	.AMDGPU.csdata,"",@progbits
; Kernel info:
; codeLenInByte = 0
; NumSgprs: 4
; NumVgprs: 0
; NumAgprs: 0
; TotalNumVgprs: 0
; ScratchSize: 0
; MemoryBound: 0
; FloatMode: 240
; IeeeMode: 1
; LDSByteSize: 0 bytes/workgroup (compile time only)
; SGPRBlocks: 0
; VGPRBlocks: 0
; NumSGPRsForWavesPerEU: 4
; NumVGPRsForWavesPerEU: 1
; AccumOffset: 4
; Occupancy: 8
; WaveLimiterHint : 0
; COMPUTE_PGM_RSRC2:SCRATCH_EN: 0
; COMPUTE_PGM_RSRC2:USER_SGPR: 6
; COMPUTE_PGM_RSRC2:TRAP_HANDLER: 0
; COMPUTE_PGM_RSRC2:TGID_X_EN: 1
; COMPUTE_PGM_RSRC2:TGID_Y_EN: 0
; COMPUTE_PGM_RSRC2:TGID_Z_EN: 0
; COMPUTE_PGM_RSRC2:TIDIG_COMP_CNT: 0
; COMPUTE_PGM_RSRC3_GFX90A:ACCUM_OFFSET: 0
; COMPUTE_PGM_RSRC3_GFX90A:TG_SPLIT: 0
	.section	.text._ZN7rocprim17ROCPRIM_400000_NS6detail17trampoline_kernelINS0_14default_configENS1_25partition_config_selectorILNS1_17partition_subalgoE0EtNS0_10empty_typeEbEEZZNS1_14partition_implILS5_0ELb0ES3_jN6thrust23THRUST_200600_302600_NS6detail15normal_iteratorINSA_10device_ptrItEEEEPS6_SG_NS0_5tupleIJNSA_16discard_iteratorINSA_11use_defaultEEESK_EEENSH_IJSG_SG_EEES6_PlJ7is_evenItEEEE10hipError_tPvRmT3_T4_T5_T6_T7_T9_mT8_P12ihipStream_tbDpT10_ENKUlT_T0_E_clISt17integral_constantIbLb0EES19_EEDaS14_S15_EUlS14_E_NS1_11comp_targetILNS1_3genE10ELNS1_11target_archE1200ELNS1_3gpuE4ELNS1_3repE0EEENS1_30default_config_static_selectorELNS0_4arch9wavefront6targetE1EEEvT1_,"axG",@progbits,_ZN7rocprim17ROCPRIM_400000_NS6detail17trampoline_kernelINS0_14default_configENS1_25partition_config_selectorILNS1_17partition_subalgoE0EtNS0_10empty_typeEbEEZZNS1_14partition_implILS5_0ELb0ES3_jN6thrust23THRUST_200600_302600_NS6detail15normal_iteratorINSA_10device_ptrItEEEEPS6_SG_NS0_5tupleIJNSA_16discard_iteratorINSA_11use_defaultEEESK_EEENSH_IJSG_SG_EEES6_PlJ7is_evenItEEEE10hipError_tPvRmT3_T4_T5_T6_T7_T9_mT8_P12ihipStream_tbDpT10_ENKUlT_T0_E_clISt17integral_constantIbLb0EES19_EEDaS14_S15_EUlS14_E_NS1_11comp_targetILNS1_3genE10ELNS1_11target_archE1200ELNS1_3gpuE4ELNS1_3repE0EEENS1_30default_config_static_selectorELNS0_4arch9wavefront6targetE1EEEvT1_,comdat
	.protected	_ZN7rocprim17ROCPRIM_400000_NS6detail17trampoline_kernelINS0_14default_configENS1_25partition_config_selectorILNS1_17partition_subalgoE0EtNS0_10empty_typeEbEEZZNS1_14partition_implILS5_0ELb0ES3_jN6thrust23THRUST_200600_302600_NS6detail15normal_iteratorINSA_10device_ptrItEEEEPS6_SG_NS0_5tupleIJNSA_16discard_iteratorINSA_11use_defaultEEESK_EEENSH_IJSG_SG_EEES6_PlJ7is_evenItEEEE10hipError_tPvRmT3_T4_T5_T6_T7_T9_mT8_P12ihipStream_tbDpT10_ENKUlT_T0_E_clISt17integral_constantIbLb0EES19_EEDaS14_S15_EUlS14_E_NS1_11comp_targetILNS1_3genE10ELNS1_11target_archE1200ELNS1_3gpuE4ELNS1_3repE0EEENS1_30default_config_static_selectorELNS0_4arch9wavefront6targetE1EEEvT1_ ; -- Begin function _ZN7rocprim17ROCPRIM_400000_NS6detail17trampoline_kernelINS0_14default_configENS1_25partition_config_selectorILNS1_17partition_subalgoE0EtNS0_10empty_typeEbEEZZNS1_14partition_implILS5_0ELb0ES3_jN6thrust23THRUST_200600_302600_NS6detail15normal_iteratorINSA_10device_ptrItEEEEPS6_SG_NS0_5tupleIJNSA_16discard_iteratorINSA_11use_defaultEEESK_EEENSH_IJSG_SG_EEES6_PlJ7is_evenItEEEE10hipError_tPvRmT3_T4_T5_T6_T7_T9_mT8_P12ihipStream_tbDpT10_ENKUlT_T0_E_clISt17integral_constantIbLb0EES19_EEDaS14_S15_EUlS14_E_NS1_11comp_targetILNS1_3genE10ELNS1_11target_archE1200ELNS1_3gpuE4ELNS1_3repE0EEENS1_30default_config_static_selectorELNS0_4arch9wavefront6targetE1EEEvT1_
	.globl	_ZN7rocprim17ROCPRIM_400000_NS6detail17trampoline_kernelINS0_14default_configENS1_25partition_config_selectorILNS1_17partition_subalgoE0EtNS0_10empty_typeEbEEZZNS1_14partition_implILS5_0ELb0ES3_jN6thrust23THRUST_200600_302600_NS6detail15normal_iteratorINSA_10device_ptrItEEEEPS6_SG_NS0_5tupleIJNSA_16discard_iteratorINSA_11use_defaultEEESK_EEENSH_IJSG_SG_EEES6_PlJ7is_evenItEEEE10hipError_tPvRmT3_T4_T5_T6_T7_T9_mT8_P12ihipStream_tbDpT10_ENKUlT_T0_E_clISt17integral_constantIbLb0EES19_EEDaS14_S15_EUlS14_E_NS1_11comp_targetILNS1_3genE10ELNS1_11target_archE1200ELNS1_3gpuE4ELNS1_3repE0EEENS1_30default_config_static_selectorELNS0_4arch9wavefront6targetE1EEEvT1_
	.p2align	8
	.type	_ZN7rocprim17ROCPRIM_400000_NS6detail17trampoline_kernelINS0_14default_configENS1_25partition_config_selectorILNS1_17partition_subalgoE0EtNS0_10empty_typeEbEEZZNS1_14partition_implILS5_0ELb0ES3_jN6thrust23THRUST_200600_302600_NS6detail15normal_iteratorINSA_10device_ptrItEEEEPS6_SG_NS0_5tupleIJNSA_16discard_iteratorINSA_11use_defaultEEESK_EEENSH_IJSG_SG_EEES6_PlJ7is_evenItEEEE10hipError_tPvRmT3_T4_T5_T6_T7_T9_mT8_P12ihipStream_tbDpT10_ENKUlT_T0_E_clISt17integral_constantIbLb0EES19_EEDaS14_S15_EUlS14_E_NS1_11comp_targetILNS1_3genE10ELNS1_11target_archE1200ELNS1_3gpuE4ELNS1_3repE0EEENS1_30default_config_static_selectorELNS0_4arch9wavefront6targetE1EEEvT1_,@function
_ZN7rocprim17ROCPRIM_400000_NS6detail17trampoline_kernelINS0_14default_configENS1_25partition_config_selectorILNS1_17partition_subalgoE0EtNS0_10empty_typeEbEEZZNS1_14partition_implILS5_0ELb0ES3_jN6thrust23THRUST_200600_302600_NS6detail15normal_iteratorINSA_10device_ptrItEEEEPS6_SG_NS0_5tupleIJNSA_16discard_iteratorINSA_11use_defaultEEESK_EEENSH_IJSG_SG_EEES6_PlJ7is_evenItEEEE10hipError_tPvRmT3_T4_T5_T6_T7_T9_mT8_P12ihipStream_tbDpT10_ENKUlT_T0_E_clISt17integral_constantIbLb0EES19_EEDaS14_S15_EUlS14_E_NS1_11comp_targetILNS1_3genE10ELNS1_11target_archE1200ELNS1_3gpuE4ELNS1_3repE0EEENS1_30default_config_static_selectorELNS0_4arch9wavefront6targetE1EEEvT1_: ; @_ZN7rocprim17ROCPRIM_400000_NS6detail17trampoline_kernelINS0_14default_configENS1_25partition_config_selectorILNS1_17partition_subalgoE0EtNS0_10empty_typeEbEEZZNS1_14partition_implILS5_0ELb0ES3_jN6thrust23THRUST_200600_302600_NS6detail15normal_iteratorINSA_10device_ptrItEEEEPS6_SG_NS0_5tupleIJNSA_16discard_iteratorINSA_11use_defaultEEESK_EEENSH_IJSG_SG_EEES6_PlJ7is_evenItEEEE10hipError_tPvRmT3_T4_T5_T6_T7_T9_mT8_P12ihipStream_tbDpT10_ENKUlT_T0_E_clISt17integral_constantIbLb0EES19_EEDaS14_S15_EUlS14_E_NS1_11comp_targetILNS1_3genE10ELNS1_11target_archE1200ELNS1_3gpuE4ELNS1_3repE0EEENS1_30default_config_static_selectorELNS0_4arch9wavefront6targetE1EEEvT1_
; %bb.0:
	.section	.rodata,"a",@progbits
	.p2align	6, 0x0
	.amdhsa_kernel _ZN7rocprim17ROCPRIM_400000_NS6detail17trampoline_kernelINS0_14default_configENS1_25partition_config_selectorILNS1_17partition_subalgoE0EtNS0_10empty_typeEbEEZZNS1_14partition_implILS5_0ELb0ES3_jN6thrust23THRUST_200600_302600_NS6detail15normal_iteratorINSA_10device_ptrItEEEEPS6_SG_NS0_5tupleIJNSA_16discard_iteratorINSA_11use_defaultEEESK_EEENSH_IJSG_SG_EEES6_PlJ7is_evenItEEEE10hipError_tPvRmT3_T4_T5_T6_T7_T9_mT8_P12ihipStream_tbDpT10_ENKUlT_T0_E_clISt17integral_constantIbLb0EES19_EEDaS14_S15_EUlS14_E_NS1_11comp_targetILNS1_3genE10ELNS1_11target_archE1200ELNS1_3gpuE4ELNS1_3repE0EEENS1_30default_config_static_selectorELNS0_4arch9wavefront6targetE1EEEvT1_
		.amdhsa_group_segment_fixed_size 0
		.amdhsa_private_segment_fixed_size 0
		.amdhsa_kernarg_size 136
		.amdhsa_user_sgpr_count 6
		.amdhsa_user_sgpr_private_segment_buffer 1
		.amdhsa_user_sgpr_dispatch_ptr 0
		.amdhsa_user_sgpr_queue_ptr 0
		.amdhsa_user_sgpr_kernarg_segment_ptr 1
		.amdhsa_user_sgpr_dispatch_id 0
		.amdhsa_user_sgpr_flat_scratch_init 0
		.amdhsa_user_sgpr_kernarg_preload_length 0
		.amdhsa_user_sgpr_kernarg_preload_offset 0
		.amdhsa_user_sgpr_private_segment_size 0
		.amdhsa_uses_dynamic_stack 0
		.amdhsa_system_sgpr_private_segment_wavefront_offset 0
		.amdhsa_system_sgpr_workgroup_id_x 1
		.amdhsa_system_sgpr_workgroup_id_y 0
		.amdhsa_system_sgpr_workgroup_id_z 0
		.amdhsa_system_sgpr_workgroup_info 0
		.amdhsa_system_vgpr_workitem_id 0
		.amdhsa_next_free_vgpr 1
		.amdhsa_next_free_sgpr 0
		.amdhsa_accum_offset 4
		.amdhsa_reserve_vcc 0
		.amdhsa_reserve_flat_scratch 0
		.amdhsa_float_round_mode_32 0
		.amdhsa_float_round_mode_16_64 0
		.amdhsa_float_denorm_mode_32 3
		.amdhsa_float_denorm_mode_16_64 3
		.amdhsa_dx10_clamp 1
		.amdhsa_ieee_mode 1
		.amdhsa_fp16_overflow 0
		.amdhsa_tg_split 0
		.amdhsa_exception_fp_ieee_invalid_op 0
		.amdhsa_exception_fp_denorm_src 0
		.amdhsa_exception_fp_ieee_div_zero 0
		.amdhsa_exception_fp_ieee_overflow 0
		.amdhsa_exception_fp_ieee_underflow 0
		.amdhsa_exception_fp_ieee_inexact 0
		.amdhsa_exception_int_div_zero 0
	.end_amdhsa_kernel
	.section	.text._ZN7rocprim17ROCPRIM_400000_NS6detail17trampoline_kernelINS0_14default_configENS1_25partition_config_selectorILNS1_17partition_subalgoE0EtNS0_10empty_typeEbEEZZNS1_14partition_implILS5_0ELb0ES3_jN6thrust23THRUST_200600_302600_NS6detail15normal_iteratorINSA_10device_ptrItEEEEPS6_SG_NS0_5tupleIJNSA_16discard_iteratorINSA_11use_defaultEEESK_EEENSH_IJSG_SG_EEES6_PlJ7is_evenItEEEE10hipError_tPvRmT3_T4_T5_T6_T7_T9_mT8_P12ihipStream_tbDpT10_ENKUlT_T0_E_clISt17integral_constantIbLb0EES19_EEDaS14_S15_EUlS14_E_NS1_11comp_targetILNS1_3genE10ELNS1_11target_archE1200ELNS1_3gpuE4ELNS1_3repE0EEENS1_30default_config_static_selectorELNS0_4arch9wavefront6targetE1EEEvT1_,"axG",@progbits,_ZN7rocprim17ROCPRIM_400000_NS6detail17trampoline_kernelINS0_14default_configENS1_25partition_config_selectorILNS1_17partition_subalgoE0EtNS0_10empty_typeEbEEZZNS1_14partition_implILS5_0ELb0ES3_jN6thrust23THRUST_200600_302600_NS6detail15normal_iteratorINSA_10device_ptrItEEEEPS6_SG_NS0_5tupleIJNSA_16discard_iteratorINSA_11use_defaultEEESK_EEENSH_IJSG_SG_EEES6_PlJ7is_evenItEEEE10hipError_tPvRmT3_T4_T5_T6_T7_T9_mT8_P12ihipStream_tbDpT10_ENKUlT_T0_E_clISt17integral_constantIbLb0EES19_EEDaS14_S15_EUlS14_E_NS1_11comp_targetILNS1_3genE10ELNS1_11target_archE1200ELNS1_3gpuE4ELNS1_3repE0EEENS1_30default_config_static_selectorELNS0_4arch9wavefront6targetE1EEEvT1_,comdat
.Lfunc_end2496:
	.size	_ZN7rocprim17ROCPRIM_400000_NS6detail17trampoline_kernelINS0_14default_configENS1_25partition_config_selectorILNS1_17partition_subalgoE0EtNS0_10empty_typeEbEEZZNS1_14partition_implILS5_0ELb0ES3_jN6thrust23THRUST_200600_302600_NS6detail15normal_iteratorINSA_10device_ptrItEEEEPS6_SG_NS0_5tupleIJNSA_16discard_iteratorINSA_11use_defaultEEESK_EEENSH_IJSG_SG_EEES6_PlJ7is_evenItEEEE10hipError_tPvRmT3_T4_T5_T6_T7_T9_mT8_P12ihipStream_tbDpT10_ENKUlT_T0_E_clISt17integral_constantIbLb0EES19_EEDaS14_S15_EUlS14_E_NS1_11comp_targetILNS1_3genE10ELNS1_11target_archE1200ELNS1_3gpuE4ELNS1_3repE0EEENS1_30default_config_static_selectorELNS0_4arch9wavefront6targetE1EEEvT1_, .Lfunc_end2496-_ZN7rocprim17ROCPRIM_400000_NS6detail17trampoline_kernelINS0_14default_configENS1_25partition_config_selectorILNS1_17partition_subalgoE0EtNS0_10empty_typeEbEEZZNS1_14partition_implILS5_0ELb0ES3_jN6thrust23THRUST_200600_302600_NS6detail15normal_iteratorINSA_10device_ptrItEEEEPS6_SG_NS0_5tupleIJNSA_16discard_iteratorINSA_11use_defaultEEESK_EEENSH_IJSG_SG_EEES6_PlJ7is_evenItEEEE10hipError_tPvRmT3_T4_T5_T6_T7_T9_mT8_P12ihipStream_tbDpT10_ENKUlT_T0_E_clISt17integral_constantIbLb0EES19_EEDaS14_S15_EUlS14_E_NS1_11comp_targetILNS1_3genE10ELNS1_11target_archE1200ELNS1_3gpuE4ELNS1_3repE0EEENS1_30default_config_static_selectorELNS0_4arch9wavefront6targetE1EEEvT1_
                                        ; -- End function
	.section	.AMDGPU.csdata,"",@progbits
; Kernel info:
; codeLenInByte = 0
; NumSgprs: 4
; NumVgprs: 0
; NumAgprs: 0
; TotalNumVgprs: 0
; ScratchSize: 0
; MemoryBound: 0
; FloatMode: 240
; IeeeMode: 1
; LDSByteSize: 0 bytes/workgroup (compile time only)
; SGPRBlocks: 0
; VGPRBlocks: 0
; NumSGPRsForWavesPerEU: 4
; NumVGPRsForWavesPerEU: 1
; AccumOffset: 4
; Occupancy: 8
; WaveLimiterHint : 0
; COMPUTE_PGM_RSRC2:SCRATCH_EN: 0
; COMPUTE_PGM_RSRC2:USER_SGPR: 6
; COMPUTE_PGM_RSRC2:TRAP_HANDLER: 0
; COMPUTE_PGM_RSRC2:TGID_X_EN: 1
; COMPUTE_PGM_RSRC2:TGID_Y_EN: 0
; COMPUTE_PGM_RSRC2:TGID_Z_EN: 0
; COMPUTE_PGM_RSRC2:TIDIG_COMP_CNT: 0
; COMPUTE_PGM_RSRC3_GFX90A:ACCUM_OFFSET: 0
; COMPUTE_PGM_RSRC3_GFX90A:TG_SPLIT: 0
	.section	.text._ZN7rocprim17ROCPRIM_400000_NS6detail17trampoline_kernelINS0_14default_configENS1_25partition_config_selectorILNS1_17partition_subalgoE0EtNS0_10empty_typeEbEEZZNS1_14partition_implILS5_0ELb0ES3_jN6thrust23THRUST_200600_302600_NS6detail15normal_iteratorINSA_10device_ptrItEEEEPS6_SG_NS0_5tupleIJNSA_16discard_iteratorINSA_11use_defaultEEESK_EEENSH_IJSG_SG_EEES6_PlJ7is_evenItEEEE10hipError_tPvRmT3_T4_T5_T6_T7_T9_mT8_P12ihipStream_tbDpT10_ENKUlT_T0_E_clISt17integral_constantIbLb0EES19_EEDaS14_S15_EUlS14_E_NS1_11comp_targetILNS1_3genE9ELNS1_11target_archE1100ELNS1_3gpuE3ELNS1_3repE0EEENS1_30default_config_static_selectorELNS0_4arch9wavefront6targetE1EEEvT1_,"axG",@progbits,_ZN7rocprim17ROCPRIM_400000_NS6detail17trampoline_kernelINS0_14default_configENS1_25partition_config_selectorILNS1_17partition_subalgoE0EtNS0_10empty_typeEbEEZZNS1_14partition_implILS5_0ELb0ES3_jN6thrust23THRUST_200600_302600_NS6detail15normal_iteratorINSA_10device_ptrItEEEEPS6_SG_NS0_5tupleIJNSA_16discard_iteratorINSA_11use_defaultEEESK_EEENSH_IJSG_SG_EEES6_PlJ7is_evenItEEEE10hipError_tPvRmT3_T4_T5_T6_T7_T9_mT8_P12ihipStream_tbDpT10_ENKUlT_T0_E_clISt17integral_constantIbLb0EES19_EEDaS14_S15_EUlS14_E_NS1_11comp_targetILNS1_3genE9ELNS1_11target_archE1100ELNS1_3gpuE3ELNS1_3repE0EEENS1_30default_config_static_selectorELNS0_4arch9wavefront6targetE1EEEvT1_,comdat
	.protected	_ZN7rocprim17ROCPRIM_400000_NS6detail17trampoline_kernelINS0_14default_configENS1_25partition_config_selectorILNS1_17partition_subalgoE0EtNS0_10empty_typeEbEEZZNS1_14partition_implILS5_0ELb0ES3_jN6thrust23THRUST_200600_302600_NS6detail15normal_iteratorINSA_10device_ptrItEEEEPS6_SG_NS0_5tupleIJNSA_16discard_iteratorINSA_11use_defaultEEESK_EEENSH_IJSG_SG_EEES6_PlJ7is_evenItEEEE10hipError_tPvRmT3_T4_T5_T6_T7_T9_mT8_P12ihipStream_tbDpT10_ENKUlT_T0_E_clISt17integral_constantIbLb0EES19_EEDaS14_S15_EUlS14_E_NS1_11comp_targetILNS1_3genE9ELNS1_11target_archE1100ELNS1_3gpuE3ELNS1_3repE0EEENS1_30default_config_static_selectorELNS0_4arch9wavefront6targetE1EEEvT1_ ; -- Begin function _ZN7rocprim17ROCPRIM_400000_NS6detail17trampoline_kernelINS0_14default_configENS1_25partition_config_selectorILNS1_17partition_subalgoE0EtNS0_10empty_typeEbEEZZNS1_14partition_implILS5_0ELb0ES3_jN6thrust23THRUST_200600_302600_NS6detail15normal_iteratorINSA_10device_ptrItEEEEPS6_SG_NS0_5tupleIJNSA_16discard_iteratorINSA_11use_defaultEEESK_EEENSH_IJSG_SG_EEES6_PlJ7is_evenItEEEE10hipError_tPvRmT3_T4_T5_T6_T7_T9_mT8_P12ihipStream_tbDpT10_ENKUlT_T0_E_clISt17integral_constantIbLb0EES19_EEDaS14_S15_EUlS14_E_NS1_11comp_targetILNS1_3genE9ELNS1_11target_archE1100ELNS1_3gpuE3ELNS1_3repE0EEENS1_30default_config_static_selectorELNS0_4arch9wavefront6targetE1EEEvT1_
	.globl	_ZN7rocprim17ROCPRIM_400000_NS6detail17trampoline_kernelINS0_14default_configENS1_25partition_config_selectorILNS1_17partition_subalgoE0EtNS0_10empty_typeEbEEZZNS1_14partition_implILS5_0ELb0ES3_jN6thrust23THRUST_200600_302600_NS6detail15normal_iteratorINSA_10device_ptrItEEEEPS6_SG_NS0_5tupleIJNSA_16discard_iteratorINSA_11use_defaultEEESK_EEENSH_IJSG_SG_EEES6_PlJ7is_evenItEEEE10hipError_tPvRmT3_T4_T5_T6_T7_T9_mT8_P12ihipStream_tbDpT10_ENKUlT_T0_E_clISt17integral_constantIbLb0EES19_EEDaS14_S15_EUlS14_E_NS1_11comp_targetILNS1_3genE9ELNS1_11target_archE1100ELNS1_3gpuE3ELNS1_3repE0EEENS1_30default_config_static_selectorELNS0_4arch9wavefront6targetE1EEEvT1_
	.p2align	8
	.type	_ZN7rocprim17ROCPRIM_400000_NS6detail17trampoline_kernelINS0_14default_configENS1_25partition_config_selectorILNS1_17partition_subalgoE0EtNS0_10empty_typeEbEEZZNS1_14partition_implILS5_0ELb0ES3_jN6thrust23THRUST_200600_302600_NS6detail15normal_iteratorINSA_10device_ptrItEEEEPS6_SG_NS0_5tupleIJNSA_16discard_iteratorINSA_11use_defaultEEESK_EEENSH_IJSG_SG_EEES6_PlJ7is_evenItEEEE10hipError_tPvRmT3_T4_T5_T6_T7_T9_mT8_P12ihipStream_tbDpT10_ENKUlT_T0_E_clISt17integral_constantIbLb0EES19_EEDaS14_S15_EUlS14_E_NS1_11comp_targetILNS1_3genE9ELNS1_11target_archE1100ELNS1_3gpuE3ELNS1_3repE0EEENS1_30default_config_static_selectorELNS0_4arch9wavefront6targetE1EEEvT1_,@function
_ZN7rocprim17ROCPRIM_400000_NS6detail17trampoline_kernelINS0_14default_configENS1_25partition_config_selectorILNS1_17partition_subalgoE0EtNS0_10empty_typeEbEEZZNS1_14partition_implILS5_0ELb0ES3_jN6thrust23THRUST_200600_302600_NS6detail15normal_iteratorINSA_10device_ptrItEEEEPS6_SG_NS0_5tupleIJNSA_16discard_iteratorINSA_11use_defaultEEESK_EEENSH_IJSG_SG_EEES6_PlJ7is_evenItEEEE10hipError_tPvRmT3_T4_T5_T6_T7_T9_mT8_P12ihipStream_tbDpT10_ENKUlT_T0_E_clISt17integral_constantIbLb0EES19_EEDaS14_S15_EUlS14_E_NS1_11comp_targetILNS1_3genE9ELNS1_11target_archE1100ELNS1_3gpuE3ELNS1_3repE0EEENS1_30default_config_static_selectorELNS0_4arch9wavefront6targetE1EEEvT1_: ; @_ZN7rocprim17ROCPRIM_400000_NS6detail17trampoline_kernelINS0_14default_configENS1_25partition_config_selectorILNS1_17partition_subalgoE0EtNS0_10empty_typeEbEEZZNS1_14partition_implILS5_0ELb0ES3_jN6thrust23THRUST_200600_302600_NS6detail15normal_iteratorINSA_10device_ptrItEEEEPS6_SG_NS0_5tupleIJNSA_16discard_iteratorINSA_11use_defaultEEESK_EEENSH_IJSG_SG_EEES6_PlJ7is_evenItEEEE10hipError_tPvRmT3_T4_T5_T6_T7_T9_mT8_P12ihipStream_tbDpT10_ENKUlT_T0_E_clISt17integral_constantIbLb0EES19_EEDaS14_S15_EUlS14_E_NS1_11comp_targetILNS1_3genE9ELNS1_11target_archE1100ELNS1_3gpuE3ELNS1_3repE0EEENS1_30default_config_static_selectorELNS0_4arch9wavefront6targetE1EEEvT1_
; %bb.0:
	.section	.rodata,"a",@progbits
	.p2align	6, 0x0
	.amdhsa_kernel _ZN7rocprim17ROCPRIM_400000_NS6detail17trampoline_kernelINS0_14default_configENS1_25partition_config_selectorILNS1_17partition_subalgoE0EtNS0_10empty_typeEbEEZZNS1_14partition_implILS5_0ELb0ES3_jN6thrust23THRUST_200600_302600_NS6detail15normal_iteratorINSA_10device_ptrItEEEEPS6_SG_NS0_5tupleIJNSA_16discard_iteratorINSA_11use_defaultEEESK_EEENSH_IJSG_SG_EEES6_PlJ7is_evenItEEEE10hipError_tPvRmT3_T4_T5_T6_T7_T9_mT8_P12ihipStream_tbDpT10_ENKUlT_T0_E_clISt17integral_constantIbLb0EES19_EEDaS14_S15_EUlS14_E_NS1_11comp_targetILNS1_3genE9ELNS1_11target_archE1100ELNS1_3gpuE3ELNS1_3repE0EEENS1_30default_config_static_selectorELNS0_4arch9wavefront6targetE1EEEvT1_
		.amdhsa_group_segment_fixed_size 0
		.amdhsa_private_segment_fixed_size 0
		.amdhsa_kernarg_size 136
		.amdhsa_user_sgpr_count 6
		.amdhsa_user_sgpr_private_segment_buffer 1
		.amdhsa_user_sgpr_dispatch_ptr 0
		.amdhsa_user_sgpr_queue_ptr 0
		.amdhsa_user_sgpr_kernarg_segment_ptr 1
		.amdhsa_user_sgpr_dispatch_id 0
		.amdhsa_user_sgpr_flat_scratch_init 0
		.amdhsa_user_sgpr_kernarg_preload_length 0
		.amdhsa_user_sgpr_kernarg_preload_offset 0
		.amdhsa_user_sgpr_private_segment_size 0
		.amdhsa_uses_dynamic_stack 0
		.amdhsa_system_sgpr_private_segment_wavefront_offset 0
		.amdhsa_system_sgpr_workgroup_id_x 1
		.amdhsa_system_sgpr_workgroup_id_y 0
		.amdhsa_system_sgpr_workgroup_id_z 0
		.amdhsa_system_sgpr_workgroup_info 0
		.amdhsa_system_vgpr_workitem_id 0
		.amdhsa_next_free_vgpr 1
		.amdhsa_next_free_sgpr 0
		.amdhsa_accum_offset 4
		.amdhsa_reserve_vcc 0
		.amdhsa_reserve_flat_scratch 0
		.amdhsa_float_round_mode_32 0
		.amdhsa_float_round_mode_16_64 0
		.amdhsa_float_denorm_mode_32 3
		.amdhsa_float_denorm_mode_16_64 3
		.amdhsa_dx10_clamp 1
		.amdhsa_ieee_mode 1
		.amdhsa_fp16_overflow 0
		.amdhsa_tg_split 0
		.amdhsa_exception_fp_ieee_invalid_op 0
		.amdhsa_exception_fp_denorm_src 0
		.amdhsa_exception_fp_ieee_div_zero 0
		.amdhsa_exception_fp_ieee_overflow 0
		.amdhsa_exception_fp_ieee_underflow 0
		.amdhsa_exception_fp_ieee_inexact 0
		.amdhsa_exception_int_div_zero 0
	.end_amdhsa_kernel
	.section	.text._ZN7rocprim17ROCPRIM_400000_NS6detail17trampoline_kernelINS0_14default_configENS1_25partition_config_selectorILNS1_17partition_subalgoE0EtNS0_10empty_typeEbEEZZNS1_14partition_implILS5_0ELb0ES3_jN6thrust23THRUST_200600_302600_NS6detail15normal_iteratorINSA_10device_ptrItEEEEPS6_SG_NS0_5tupleIJNSA_16discard_iteratorINSA_11use_defaultEEESK_EEENSH_IJSG_SG_EEES6_PlJ7is_evenItEEEE10hipError_tPvRmT3_T4_T5_T6_T7_T9_mT8_P12ihipStream_tbDpT10_ENKUlT_T0_E_clISt17integral_constantIbLb0EES19_EEDaS14_S15_EUlS14_E_NS1_11comp_targetILNS1_3genE9ELNS1_11target_archE1100ELNS1_3gpuE3ELNS1_3repE0EEENS1_30default_config_static_selectorELNS0_4arch9wavefront6targetE1EEEvT1_,"axG",@progbits,_ZN7rocprim17ROCPRIM_400000_NS6detail17trampoline_kernelINS0_14default_configENS1_25partition_config_selectorILNS1_17partition_subalgoE0EtNS0_10empty_typeEbEEZZNS1_14partition_implILS5_0ELb0ES3_jN6thrust23THRUST_200600_302600_NS6detail15normal_iteratorINSA_10device_ptrItEEEEPS6_SG_NS0_5tupleIJNSA_16discard_iteratorINSA_11use_defaultEEESK_EEENSH_IJSG_SG_EEES6_PlJ7is_evenItEEEE10hipError_tPvRmT3_T4_T5_T6_T7_T9_mT8_P12ihipStream_tbDpT10_ENKUlT_T0_E_clISt17integral_constantIbLb0EES19_EEDaS14_S15_EUlS14_E_NS1_11comp_targetILNS1_3genE9ELNS1_11target_archE1100ELNS1_3gpuE3ELNS1_3repE0EEENS1_30default_config_static_selectorELNS0_4arch9wavefront6targetE1EEEvT1_,comdat
.Lfunc_end2497:
	.size	_ZN7rocprim17ROCPRIM_400000_NS6detail17trampoline_kernelINS0_14default_configENS1_25partition_config_selectorILNS1_17partition_subalgoE0EtNS0_10empty_typeEbEEZZNS1_14partition_implILS5_0ELb0ES3_jN6thrust23THRUST_200600_302600_NS6detail15normal_iteratorINSA_10device_ptrItEEEEPS6_SG_NS0_5tupleIJNSA_16discard_iteratorINSA_11use_defaultEEESK_EEENSH_IJSG_SG_EEES6_PlJ7is_evenItEEEE10hipError_tPvRmT3_T4_T5_T6_T7_T9_mT8_P12ihipStream_tbDpT10_ENKUlT_T0_E_clISt17integral_constantIbLb0EES19_EEDaS14_S15_EUlS14_E_NS1_11comp_targetILNS1_3genE9ELNS1_11target_archE1100ELNS1_3gpuE3ELNS1_3repE0EEENS1_30default_config_static_selectorELNS0_4arch9wavefront6targetE1EEEvT1_, .Lfunc_end2497-_ZN7rocprim17ROCPRIM_400000_NS6detail17trampoline_kernelINS0_14default_configENS1_25partition_config_selectorILNS1_17partition_subalgoE0EtNS0_10empty_typeEbEEZZNS1_14partition_implILS5_0ELb0ES3_jN6thrust23THRUST_200600_302600_NS6detail15normal_iteratorINSA_10device_ptrItEEEEPS6_SG_NS0_5tupleIJNSA_16discard_iteratorINSA_11use_defaultEEESK_EEENSH_IJSG_SG_EEES6_PlJ7is_evenItEEEE10hipError_tPvRmT3_T4_T5_T6_T7_T9_mT8_P12ihipStream_tbDpT10_ENKUlT_T0_E_clISt17integral_constantIbLb0EES19_EEDaS14_S15_EUlS14_E_NS1_11comp_targetILNS1_3genE9ELNS1_11target_archE1100ELNS1_3gpuE3ELNS1_3repE0EEENS1_30default_config_static_selectorELNS0_4arch9wavefront6targetE1EEEvT1_
                                        ; -- End function
	.section	.AMDGPU.csdata,"",@progbits
; Kernel info:
; codeLenInByte = 0
; NumSgprs: 4
; NumVgprs: 0
; NumAgprs: 0
; TotalNumVgprs: 0
; ScratchSize: 0
; MemoryBound: 0
; FloatMode: 240
; IeeeMode: 1
; LDSByteSize: 0 bytes/workgroup (compile time only)
; SGPRBlocks: 0
; VGPRBlocks: 0
; NumSGPRsForWavesPerEU: 4
; NumVGPRsForWavesPerEU: 1
; AccumOffset: 4
; Occupancy: 8
; WaveLimiterHint : 0
; COMPUTE_PGM_RSRC2:SCRATCH_EN: 0
; COMPUTE_PGM_RSRC2:USER_SGPR: 6
; COMPUTE_PGM_RSRC2:TRAP_HANDLER: 0
; COMPUTE_PGM_RSRC2:TGID_X_EN: 1
; COMPUTE_PGM_RSRC2:TGID_Y_EN: 0
; COMPUTE_PGM_RSRC2:TGID_Z_EN: 0
; COMPUTE_PGM_RSRC2:TIDIG_COMP_CNT: 0
; COMPUTE_PGM_RSRC3_GFX90A:ACCUM_OFFSET: 0
; COMPUTE_PGM_RSRC3_GFX90A:TG_SPLIT: 0
	.section	.text._ZN7rocprim17ROCPRIM_400000_NS6detail17trampoline_kernelINS0_14default_configENS1_25partition_config_selectorILNS1_17partition_subalgoE0EtNS0_10empty_typeEbEEZZNS1_14partition_implILS5_0ELb0ES3_jN6thrust23THRUST_200600_302600_NS6detail15normal_iteratorINSA_10device_ptrItEEEEPS6_SG_NS0_5tupleIJNSA_16discard_iteratorINSA_11use_defaultEEESK_EEENSH_IJSG_SG_EEES6_PlJ7is_evenItEEEE10hipError_tPvRmT3_T4_T5_T6_T7_T9_mT8_P12ihipStream_tbDpT10_ENKUlT_T0_E_clISt17integral_constantIbLb0EES19_EEDaS14_S15_EUlS14_E_NS1_11comp_targetILNS1_3genE8ELNS1_11target_archE1030ELNS1_3gpuE2ELNS1_3repE0EEENS1_30default_config_static_selectorELNS0_4arch9wavefront6targetE1EEEvT1_,"axG",@progbits,_ZN7rocprim17ROCPRIM_400000_NS6detail17trampoline_kernelINS0_14default_configENS1_25partition_config_selectorILNS1_17partition_subalgoE0EtNS0_10empty_typeEbEEZZNS1_14partition_implILS5_0ELb0ES3_jN6thrust23THRUST_200600_302600_NS6detail15normal_iteratorINSA_10device_ptrItEEEEPS6_SG_NS0_5tupleIJNSA_16discard_iteratorINSA_11use_defaultEEESK_EEENSH_IJSG_SG_EEES6_PlJ7is_evenItEEEE10hipError_tPvRmT3_T4_T5_T6_T7_T9_mT8_P12ihipStream_tbDpT10_ENKUlT_T0_E_clISt17integral_constantIbLb0EES19_EEDaS14_S15_EUlS14_E_NS1_11comp_targetILNS1_3genE8ELNS1_11target_archE1030ELNS1_3gpuE2ELNS1_3repE0EEENS1_30default_config_static_selectorELNS0_4arch9wavefront6targetE1EEEvT1_,comdat
	.protected	_ZN7rocprim17ROCPRIM_400000_NS6detail17trampoline_kernelINS0_14default_configENS1_25partition_config_selectorILNS1_17partition_subalgoE0EtNS0_10empty_typeEbEEZZNS1_14partition_implILS5_0ELb0ES3_jN6thrust23THRUST_200600_302600_NS6detail15normal_iteratorINSA_10device_ptrItEEEEPS6_SG_NS0_5tupleIJNSA_16discard_iteratorINSA_11use_defaultEEESK_EEENSH_IJSG_SG_EEES6_PlJ7is_evenItEEEE10hipError_tPvRmT3_T4_T5_T6_T7_T9_mT8_P12ihipStream_tbDpT10_ENKUlT_T0_E_clISt17integral_constantIbLb0EES19_EEDaS14_S15_EUlS14_E_NS1_11comp_targetILNS1_3genE8ELNS1_11target_archE1030ELNS1_3gpuE2ELNS1_3repE0EEENS1_30default_config_static_selectorELNS0_4arch9wavefront6targetE1EEEvT1_ ; -- Begin function _ZN7rocprim17ROCPRIM_400000_NS6detail17trampoline_kernelINS0_14default_configENS1_25partition_config_selectorILNS1_17partition_subalgoE0EtNS0_10empty_typeEbEEZZNS1_14partition_implILS5_0ELb0ES3_jN6thrust23THRUST_200600_302600_NS6detail15normal_iteratorINSA_10device_ptrItEEEEPS6_SG_NS0_5tupleIJNSA_16discard_iteratorINSA_11use_defaultEEESK_EEENSH_IJSG_SG_EEES6_PlJ7is_evenItEEEE10hipError_tPvRmT3_T4_T5_T6_T7_T9_mT8_P12ihipStream_tbDpT10_ENKUlT_T0_E_clISt17integral_constantIbLb0EES19_EEDaS14_S15_EUlS14_E_NS1_11comp_targetILNS1_3genE8ELNS1_11target_archE1030ELNS1_3gpuE2ELNS1_3repE0EEENS1_30default_config_static_selectorELNS0_4arch9wavefront6targetE1EEEvT1_
	.globl	_ZN7rocprim17ROCPRIM_400000_NS6detail17trampoline_kernelINS0_14default_configENS1_25partition_config_selectorILNS1_17partition_subalgoE0EtNS0_10empty_typeEbEEZZNS1_14partition_implILS5_0ELb0ES3_jN6thrust23THRUST_200600_302600_NS6detail15normal_iteratorINSA_10device_ptrItEEEEPS6_SG_NS0_5tupleIJNSA_16discard_iteratorINSA_11use_defaultEEESK_EEENSH_IJSG_SG_EEES6_PlJ7is_evenItEEEE10hipError_tPvRmT3_T4_T5_T6_T7_T9_mT8_P12ihipStream_tbDpT10_ENKUlT_T0_E_clISt17integral_constantIbLb0EES19_EEDaS14_S15_EUlS14_E_NS1_11comp_targetILNS1_3genE8ELNS1_11target_archE1030ELNS1_3gpuE2ELNS1_3repE0EEENS1_30default_config_static_selectorELNS0_4arch9wavefront6targetE1EEEvT1_
	.p2align	8
	.type	_ZN7rocprim17ROCPRIM_400000_NS6detail17trampoline_kernelINS0_14default_configENS1_25partition_config_selectorILNS1_17partition_subalgoE0EtNS0_10empty_typeEbEEZZNS1_14partition_implILS5_0ELb0ES3_jN6thrust23THRUST_200600_302600_NS6detail15normal_iteratorINSA_10device_ptrItEEEEPS6_SG_NS0_5tupleIJNSA_16discard_iteratorINSA_11use_defaultEEESK_EEENSH_IJSG_SG_EEES6_PlJ7is_evenItEEEE10hipError_tPvRmT3_T4_T5_T6_T7_T9_mT8_P12ihipStream_tbDpT10_ENKUlT_T0_E_clISt17integral_constantIbLb0EES19_EEDaS14_S15_EUlS14_E_NS1_11comp_targetILNS1_3genE8ELNS1_11target_archE1030ELNS1_3gpuE2ELNS1_3repE0EEENS1_30default_config_static_selectorELNS0_4arch9wavefront6targetE1EEEvT1_,@function
_ZN7rocprim17ROCPRIM_400000_NS6detail17trampoline_kernelINS0_14default_configENS1_25partition_config_selectorILNS1_17partition_subalgoE0EtNS0_10empty_typeEbEEZZNS1_14partition_implILS5_0ELb0ES3_jN6thrust23THRUST_200600_302600_NS6detail15normal_iteratorINSA_10device_ptrItEEEEPS6_SG_NS0_5tupleIJNSA_16discard_iteratorINSA_11use_defaultEEESK_EEENSH_IJSG_SG_EEES6_PlJ7is_evenItEEEE10hipError_tPvRmT3_T4_T5_T6_T7_T9_mT8_P12ihipStream_tbDpT10_ENKUlT_T0_E_clISt17integral_constantIbLb0EES19_EEDaS14_S15_EUlS14_E_NS1_11comp_targetILNS1_3genE8ELNS1_11target_archE1030ELNS1_3gpuE2ELNS1_3repE0EEENS1_30default_config_static_selectorELNS0_4arch9wavefront6targetE1EEEvT1_: ; @_ZN7rocprim17ROCPRIM_400000_NS6detail17trampoline_kernelINS0_14default_configENS1_25partition_config_selectorILNS1_17partition_subalgoE0EtNS0_10empty_typeEbEEZZNS1_14partition_implILS5_0ELb0ES3_jN6thrust23THRUST_200600_302600_NS6detail15normal_iteratorINSA_10device_ptrItEEEEPS6_SG_NS0_5tupleIJNSA_16discard_iteratorINSA_11use_defaultEEESK_EEENSH_IJSG_SG_EEES6_PlJ7is_evenItEEEE10hipError_tPvRmT3_T4_T5_T6_T7_T9_mT8_P12ihipStream_tbDpT10_ENKUlT_T0_E_clISt17integral_constantIbLb0EES19_EEDaS14_S15_EUlS14_E_NS1_11comp_targetILNS1_3genE8ELNS1_11target_archE1030ELNS1_3gpuE2ELNS1_3repE0EEENS1_30default_config_static_selectorELNS0_4arch9wavefront6targetE1EEEvT1_
; %bb.0:
	.section	.rodata,"a",@progbits
	.p2align	6, 0x0
	.amdhsa_kernel _ZN7rocprim17ROCPRIM_400000_NS6detail17trampoline_kernelINS0_14default_configENS1_25partition_config_selectorILNS1_17partition_subalgoE0EtNS0_10empty_typeEbEEZZNS1_14partition_implILS5_0ELb0ES3_jN6thrust23THRUST_200600_302600_NS6detail15normal_iteratorINSA_10device_ptrItEEEEPS6_SG_NS0_5tupleIJNSA_16discard_iteratorINSA_11use_defaultEEESK_EEENSH_IJSG_SG_EEES6_PlJ7is_evenItEEEE10hipError_tPvRmT3_T4_T5_T6_T7_T9_mT8_P12ihipStream_tbDpT10_ENKUlT_T0_E_clISt17integral_constantIbLb0EES19_EEDaS14_S15_EUlS14_E_NS1_11comp_targetILNS1_3genE8ELNS1_11target_archE1030ELNS1_3gpuE2ELNS1_3repE0EEENS1_30default_config_static_selectorELNS0_4arch9wavefront6targetE1EEEvT1_
		.amdhsa_group_segment_fixed_size 0
		.amdhsa_private_segment_fixed_size 0
		.amdhsa_kernarg_size 136
		.amdhsa_user_sgpr_count 6
		.amdhsa_user_sgpr_private_segment_buffer 1
		.amdhsa_user_sgpr_dispatch_ptr 0
		.amdhsa_user_sgpr_queue_ptr 0
		.amdhsa_user_sgpr_kernarg_segment_ptr 1
		.amdhsa_user_sgpr_dispatch_id 0
		.amdhsa_user_sgpr_flat_scratch_init 0
		.amdhsa_user_sgpr_kernarg_preload_length 0
		.amdhsa_user_sgpr_kernarg_preload_offset 0
		.amdhsa_user_sgpr_private_segment_size 0
		.amdhsa_uses_dynamic_stack 0
		.amdhsa_system_sgpr_private_segment_wavefront_offset 0
		.amdhsa_system_sgpr_workgroup_id_x 1
		.amdhsa_system_sgpr_workgroup_id_y 0
		.amdhsa_system_sgpr_workgroup_id_z 0
		.amdhsa_system_sgpr_workgroup_info 0
		.amdhsa_system_vgpr_workitem_id 0
		.amdhsa_next_free_vgpr 1
		.amdhsa_next_free_sgpr 0
		.amdhsa_accum_offset 4
		.amdhsa_reserve_vcc 0
		.amdhsa_reserve_flat_scratch 0
		.amdhsa_float_round_mode_32 0
		.amdhsa_float_round_mode_16_64 0
		.amdhsa_float_denorm_mode_32 3
		.amdhsa_float_denorm_mode_16_64 3
		.amdhsa_dx10_clamp 1
		.amdhsa_ieee_mode 1
		.amdhsa_fp16_overflow 0
		.amdhsa_tg_split 0
		.amdhsa_exception_fp_ieee_invalid_op 0
		.amdhsa_exception_fp_denorm_src 0
		.amdhsa_exception_fp_ieee_div_zero 0
		.amdhsa_exception_fp_ieee_overflow 0
		.amdhsa_exception_fp_ieee_underflow 0
		.amdhsa_exception_fp_ieee_inexact 0
		.amdhsa_exception_int_div_zero 0
	.end_amdhsa_kernel
	.section	.text._ZN7rocprim17ROCPRIM_400000_NS6detail17trampoline_kernelINS0_14default_configENS1_25partition_config_selectorILNS1_17partition_subalgoE0EtNS0_10empty_typeEbEEZZNS1_14partition_implILS5_0ELb0ES3_jN6thrust23THRUST_200600_302600_NS6detail15normal_iteratorINSA_10device_ptrItEEEEPS6_SG_NS0_5tupleIJNSA_16discard_iteratorINSA_11use_defaultEEESK_EEENSH_IJSG_SG_EEES6_PlJ7is_evenItEEEE10hipError_tPvRmT3_T4_T5_T6_T7_T9_mT8_P12ihipStream_tbDpT10_ENKUlT_T0_E_clISt17integral_constantIbLb0EES19_EEDaS14_S15_EUlS14_E_NS1_11comp_targetILNS1_3genE8ELNS1_11target_archE1030ELNS1_3gpuE2ELNS1_3repE0EEENS1_30default_config_static_selectorELNS0_4arch9wavefront6targetE1EEEvT1_,"axG",@progbits,_ZN7rocprim17ROCPRIM_400000_NS6detail17trampoline_kernelINS0_14default_configENS1_25partition_config_selectorILNS1_17partition_subalgoE0EtNS0_10empty_typeEbEEZZNS1_14partition_implILS5_0ELb0ES3_jN6thrust23THRUST_200600_302600_NS6detail15normal_iteratorINSA_10device_ptrItEEEEPS6_SG_NS0_5tupleIJNSA_16discard_iteratorINSA_11use_defaultEEESK_EEENSH_IJSG_SG_EEES6_PlJ7is_evenItEEEE10hipError_tPvRmT3_T4_T5_T6_T7_T9_mT8_P12ihipStream_tbDpT10_ENKUlT_T0_E_clISt17integral_constantIbLb0EES19_EEDaS14_S15_EUlS14_E_NS1_11comp_targetILNS1_3genE8ELNS1_11target_archE1030ELNS1_3gpuE2ELNS1_3repE0EEENS1_30default_config_static_selectorELNS0_4arch9wavefront6targetE1EEEvT1_,comdat
.Lfunc_end2498:
	.size	_ZN7rocprim17ROCPRIM_400000_NS6detail17trampoline_kernelINS0_14default_configENS1_25partition_config_selectorILNS1_17partition_subalgoE0EtNS0_10empty_typeEbEEZZNS1_14partition_implILS5_0ELb0ES3_jN6thrust23THRUST_200600_302600_NS6detail15normal_iteratorINSA_10device_ptrItEEEEPS6_SG_NS0_5tupleIJNSA_16discard_iteratorINSA_11use_defaultEEESK_EEENSH_IJSG_SG_EEES6_PlJ7is_evenItEEEE10hipError_tPvRmT3_T4_T5_T6_T7_T9_mT8_P12ihipStream_tbDpT10_ENKUlT_T0_E_clISt17integral_constantIbLb0EES19_EEDaS14_S15_EUlS14_E_NS1_11comp_targetILNS1_3genE8ELNS1_11target_archE1030ELNS1_3gpuE2ELNS1_3repE0EEENS1_30default_config_static_selectorELNS0_4arch9wavefront6targetE1EEEvT1_, .Lfunc_end2498-_ZN7rocprim17ROCPRIM_400000_NS6detail17trampoline_kernelINS0_14default_configENS1_25partition_config_selectorILNS1_17partition_subalgoE0EtNS0_10empty_typeEbEEZZNS1_14partition_implILS5_0ELb0ES3_jN6thrust23THRUST_200600_302600_NS6detail15normal_iteratorINSA_10device_ptrItEEEEPS6_SG_NS0_5tupleIJNSA_16discard_iteratorINSA_11use_defaultEEESK_EEENSH_IJSG_SG_EEES6_PlJ7is_evenItEEEE10hipError_tPvRmT3_T4_T5_T6_T7_T9_mT8_P12ihipStream_tbDpT10_ENKUlT_T0_E_clISt17integral_constantIbLb0EES19_EEDaS14_S15_EUlS14_E_NS1_11comp_targetILNS1_3genE8ELNS1_11target_archE1030ELNS1_3gpuE2ELNS1_3repE0EEENS1_30default_config_static_selectorELNS0_4arch9wavefront6targetE1EEEvT1_
                                        ; -- End function
	.section	.AMDGPU.csdata,"",@progbits
; Kernel info:
; codeLenInByte = 0
; NumSgprs: 4
; NumVgprs: 0
; NumAgprs: 0
; TotalNumVgprs: 0
; ScratchSize: 0
; MemoryBound: 0
; FloatMode: 240
; IeeeMode: 1
; LDSByteSize: 0 bytes/workgroup (compile time only)
; SGPRBlocks: 0
; VGPRBlocks: 0
; NumSGPRsForWavesPerEU: 4
; NumVGPRsForWavesPerEU: 1
; AccumOffset: 4
; Occupancy: 8
; WaveLimiterHint : 0
; COMPUTE_PGM_RSRC2:SCRATCH_EN: 0
; COMPUTE_PGM_RSRC2:USER_SGPR: 6
; COMPUTE_PGM_RSRC2:TRAP_HANDLER: 0
; COMPUTE_PGM_RSRC2:TGID_X_EN: 1
; COMPUTE_PGM_RSRC2:TGID_Y_EN: 0
; COMPUTE_PGM_RSRC2:TGID_Z_EN: 0
; COMPUTE_PGM_RSRC2:TIDIG_COMP_CNT: 0
; COMPUTE_PGM_RSRC3_GFX90A:ACCUM_OFFSET: 0
; COMPUTE_PGM_RSRC3_GFX90A:TG_SPLIT: 0
	.section	.text._ZN7rocprim17ROCPRIM_400000_NS6detail17trampoline_kernelINS0_14default_configENS1_25partition_config_selectorILNS1_17partition_subalgoE0EtNS0_10empty_typeEbEEZZNS1_14partition_implILS5_0ELb0ES3_jN6thrust23THRUST_200600_302600_NS6detail15normal_iteratorINSA_10device_ptrItEEEEPS6_SG_NS0_5tupleIJNSA_16discard_iteratorINSA_11use_defaultEEESK_EEENSH_IJSG_SG_EEES6_PlJ7is_evenItEEEE10hipError_tPvRmT3_T4_T5_T6_T7_T9_mT8_P12ihipStream_tbDpT10_ENKUlT_T0_E_clISt17integral_constantIbLb1EES19_EEDaS14_S15_EUlS14_E_NS1_11comp_targetILNS1_3genE0ELNS1_11target_archE4294967295ELNS1_3gpuE0ELNS1_3repE0EEENS1_30default_config_static_selectorELNS0_4arch9wavefront6targetE1EEEvT1_,"axG",@progbits,_ZN7rocprim17ROCPRIM_400000_NS6detail17trampoline_kernelINS0_14default_configENS1_25partition_config_selectorILNS1_17partition_subalgoE0EtNS0_10empty_typeEbEEZZNS1_14partition_implILS5_0ELb0ES3_jN6thrust23THRUST_200600_302600_NS6detail15normal_iteratorINSA_10device_ptrItEEEEPS6_SG_NS0_5tupleIJNSA_16discard_iteratorINSA_11use_defaultEEESK_EEENSH_IJSG_SG_EEES6_PlJ7is_evenItEEEE10hipError_tPvRmT3_T4_T5_T6_T7_T9_mT8_P12ihipStream_tbDpT10_ENKUlT_T0_E_clISt17integral_constantIbLb1EES19_EEDaS14_S15_EUlS14_E_NS1_11comp_targetILNS1_3genE0ELNS1_11target_archE4294967295ELNS1_3gpuE0ELNS1_3repE0EEENS1_30default_config_static_selectorELNS0_4arch9wavefront6targetE1EEEvT1_,comdat
	.protected	_ZN7rocprim17ROCPRIM_400000_NS6detail17trampoline_kernelINS0_14default_configENS1_25partition_config_selectorILNS1_17partition_subalgoE0EtNS0_10empty_typeEbEEZZNS1_14partition_implILS5_0ELb0ES3_jN6thrust23THRUST_200600_302600_NS6detail15normal_iteratorINSA_10device_ptrItEEEEPS6_SG_NS0_5tupleIJNSA_16discard_iteratorINSA_11use_defaultEEESK_EEENSH_IJSG_SG_EEES6_PlJ7is_evenItEEEE10hipError_tPvRmT3_T4_T5_T6_T7_T9_mT8_P12ihipStream_tbDpT10_ENKUlT_T0_E_clISt17integral_constantIbLb1EES19_EEDaS14_S15_EUlS14_E_NS1_11comp_targetILNS1_3genE0ELNS1_11target_archE4294967295ELNS1_3gpuE0ELNS1_3repE0EEENS1_30default_config_static_selectorELNS0_4arch9wavefront6targetE1EEEvT1_ ; -- Begin function _ZN7rocprim17ROCPRIM_400000_NS6detail17trampoline_kernelINS0_14default_configENS1_25partition_config_selectorILNS1_17partition_subalgoE0EtNS0_10empty_typeEbEEZZNS1_14partition_implILS5_0ELb0ES3_jN6thrust23THRUST_200600_302600_NS6detail15normal_iteratorINSA_10device_ptrItEEEEPS6_SG_NS0_5tupleIJNSA_16discard_iteratorINSA_11use_defaultEEESK_EEENSH_IJSG_SG_EEES6_PlJ7is_evenItEEEE10hipError_tPvRmT3_T4_T5_T6_T7_T9_mT8_P12ihipStream_tbDpT10_ENKUlT_T0_E_clISt17integral_constantIbLb1EES19_EEDaS14_S15_EUlS14_E_NS1_11comp_targetILNS1_3genE0ELNS1_11target_archE4294967295ELNS1_3gpuE0ELNS1_3repE0EEENS1_30default_config_static_selectorELNS0_4arch9wavefront6targetE1EEEvT1_
	.globl	_ZN7rocprim17ROCPRIM_400000_NS6detail17trampoline_kernelINS0_14default_configENS1_25partition_config_selectorILNS1_17partition_subalgoE0EtNS0_10empty_typeEbEEZZNS1_14partition_implILS5_0ELb0ES3_jN6thrust23THRUST_200600_302600_NS6detail15normal_iteratorINSA_10device_ptrItEEEEPS6_SG_NS0_5tupleIJNSA_16discard_iteratorINSA_11use_defaultEEESK_EEENSH_IJSG_SG_EEES6_PlJ7is_evenItEEEE10hipError_tPvRmT3_T4_T5_T6_T7_T9_mT8_P12ihipStream_tbDpT10_ENKUlT_T0_E_clISt17integral_constantIbLb1EES19_EEDaS14_S15_EUlS14_E_NS1_11comp_targetILNS1_3genE0ELNS1_11target_archE4294967295ELNS1_3gpuE0ELNS1_3repE0EEENS1_30default_config_static_selectorELNS0_4arch9wavefront6targetE1EEEvT1_
	.p2align	8
	.type	_ZN7rocprim17ROCPRIM_400000_NS6detail17trampoline_kernelINS0_14default_configENS1_25partition_config_selectorILNS1_17partition_subalgoE0EtNS0_10empty_typeEbEEZZNS1_14partition_implILS5_0ELb0ES3_jN6thrust23THRUST_200600_302600_NS6detail15normal_iteratorINSA_10device_ptrItEEEEPS6_SG_NS0_5tupleIJNSA_16discard_iteratorINSA_11use_defaultEEESK_EEENSH_IJSG_SG_EEES6_PlJ7is_evenItEEEE10hipError_tPvRmT3_T4_T5_T6_T7_T9_mT8_P12ihipStream_tbDpT10_ENKUlT_T0_E_clISt17integral_constantIbLb1EES19_EEDaS14_S15_EUlS14_E_NS1_11comp_targetILNS1_3genE0ELNS1_11target_archE4294967295ELNS1_3gpuE0ELNS1_3repE0EEENS1_30default_config_static_selectorELNS0_4arch9wavefront6targetE1EEEvT1_,@function
_ZN7rocprim17ROCPRIM_400000_NS6detail17trampoline_kernelINS0_14default_configENS1_25partition_config_selectorILNS1_17partition_subalgoE0EtNS0_10empty_typeEbEEZZNS1_14partition_implILS5_0ELb0ES3_jN6thrust23THRUST_200600_302600_NS6detail15normal_iteratorINSA_10device_ptrItEEEEPS6_SG_NS0_5tupleIJNSA_16discard_iteratorINSA_11use_defaultEEESK_EEENSH_IJSG_SG_EEES6_PlJ7is_evenItEEEE10hipError_tPvRmT3_T4_T5_T6_T7_T9_mT8_P12ihipStream_tbDpT10_ENKUlT_T0_E_clISt17integral_constantIbLb1EES19_EEDaS14_S15_EUlS14_E_NS1_11comp_targetILNS1_3genE0ELNS1_11target_archE4294967295ELNS1_3gpuE0ELNS1_3repE0EEENS1_30default_config_static_selectorELNS0_4arch9wavefront6targetE1EEEvT1_: ; @_ZN7rocprim17ROCPRIM_400000_NS6detail17trampoline_kernelINS0_14default_configENS1_25partition_config_selectorILNS1_17partition_subalgoE0EtNS0_10empty_typeEbEEZZNS1_14partition_implILS5_0ELb0ES3_jN6thrust23THRUST_200600_302600_NS6detail15normal_iteratorINSA_10device_ptrItEEEEPS6_SG_NS0_5tupleIJNSA_16discard_iteratorINSA_11use_defaultEEESK_EEENSH_IJSG_SG_EEES6_PlJ7is_evenItEEEE10hipError_tPvRmT3_T4_T5_T6_T7_T9_mT8_P12ihipStream_tbDpT10_ENKUlT_T0_E_clISt17integral_constantIbLb1EES19_EEDaS14_S15_EUlS14_E_NS1_11comp_targetILNS1_3genE0ELNS1_11target_archE4294967295ELNS1_3gpuE0ELNS1_3repE0EEENS1_30default_config_static_selectorELNS0_4arch9wavefront6targetE1EEEvT1_
; %bb.0:
	.section	.rodata,"a",@progbits
	.p2align	6, 0x0
	.amdhsa_kernel _ZN7rocprim17ROCPRIM_400000_NS6detail17trampoline_kernelINS0_14default_configENS1_25partition_config_selectorILNS1_17partition_subalgoE0EtNS0_10empty_typeEbEEZZNS1_14partition_implILS5_0ELb0ES3_jN6thrust23THRUST_200600_302600_NS6detail15normal_iteratorINSA_10device_ptrItEEEEPS6_SG_NS0_5tupleIJNSA_16discard_iteratorINSA_11use_defaultEEESK_EEENSH_IJSG_SG_EEES6_PlJ7is_evenItEEEE10hipError_tPvRmT3_T4_T5_T6_T7_T9_mT8_P12ihipStream_tbDpT10_ENKUlT_T0_E_clISt17integral_constantIbLb1EES19_EEDaS14_S15_EUlS14_E_NS1_11comp_targetILNS1_3genE0ELNS1_11target_archE4294967295ELNS1_3gpuE0ELNS1_3repE0EEENS1_30default_config_static_selectorELNS0_4arch9wavefront6targetE1EEEvT1_
		.amdhsa_group_segment_fixed_size 0
		.amdhsa_private_segment_fixed_size 0
		.amdhsa_kernarg_size 152
		.amdhsa_user_sgpr_count 6
		.amdhsa_user_sgpr_private_segment_buffer 1
		.amdhsa_user_sgpr_dispatch_ptr 0
		.amdhsa_user_sgpr_queue_ptr 0
		.amdhsa_user_sgpr_kernarg_segment_ptr 1
		.amdhsa_user_sgpr_dispatch_id 0
		.amdhsa_user_sgpr_flat_scratch_init 0
		.amdhsa_user_sgpr_kernarg_preload_length 0
		.amdhsa_user_sgpr_kernarg_preload_offset 0
		.amdhsa_user_sgpr_private_segment_size 0
		.amdhsa_uses_dynamic_stack 0
		.amdhsa_system_sgpr_private_segment_wavefront_offset 0
		.amdhsa_system_sgpr_workgroup_id_x 1
		.amdhsa_system_sgpr_workgroup_id_y 0
		.amdhsa_system_sgpr_workgroup_id_z 0
		.amdhsa_system_sgpr_workgroup_info 0
		.amdhsa_system_vgpr_workitem_id 0
		.amdhsa_next_free_vgpr 1
		.amdhsa_next_free_sgpr 0
		.amdhsa_accum_offset 4
		.amdhsa_reserve_vcc 0
		.amdhsa_reserve_flat_scratch 0
		.amdhsa_float_round_mode_32 0
		.amdhsa_float_round_mode_16_64 0
		.amdhsa_float_denorm_mode_32 3
		.amdhsa_float_denorm_mode_16_64 3
		.amdhsa_dx10_clamp 1
		.amdhsa_ieee_mode 1
		.amdhsa_fp16_overflow 0
		.amdhsa_tg_split 0
		.amdhsa_exception_fp_ieee_invalid_op 0
		.amdhsa_exception_fp_denorm_src 0
		.amdhsa_exception_fp_ieee_div_zero 0
		.amdhsa_exception_fp_ieee_overflow 0
		.amdhsa_exception_fp_ieee_underflow 0
		.amdhsa_exception_fp_ieee_inexact 0
		.amdhsa_exception_int_div_zero 0
	.end_amdhsa_kernel
	.section	.text._ZN7rocprim17ROCPRIM_400000_NS6detail17trampoline_kernelINS0_14default_configENS1_25partition_config_selectorILNS1_17partition_subalgoE0EtNS0_10empty_typeEbEEZZNS1_14partition_implILS5_0ELb0ES3_jN6thrust23THRUST_200600_302600_NS6detail15normal_iteratorINSA_10device_ptrItEEEEPS6_SG_NS0_5tupleIJNSA_16discard_iteratorINSA_11use_defaultEEESK_EEENSH_IJSG_SG_EEES6_PlJ7is_evenItEEEE10hipError_tPvRmT3_T4_T5_T6_T7_T9_mT8_P12ihipStream_tbDpT10_ENKUlT_T0_E_clISt17integral_constantIbLb1EES19_EEDaS14_S15_EUlS14_E_NS1_11comp_targetILNS1_3genE0ELNS1_11target_archE4294967295ELNS1_3gpuE0ELNS1_3repE0EEENS1_30default_config_static_selectorELNS0_4arch9wavefront6targetE1EEEvT1_,"axG",@progbits,_ZN7rocprim17ROCPRIM_400000_NS6detail17trampoline_kernelINS0_14default_configENS1_25partition_config_selectorILNS1_17partition_subalgoE0EtNS0_10empty_typeEbEEZZNS1_14partition_implILS5_0ELb0ES3_jN6thrust23THRUST_200600_302600_NS6detail15normal_iteratorINSA_10device_ptrItEEEEPS6_SG_NS0_5tupleIJNSA_16discard_iteratorINSA_11use_defaultEEESK_EEENSH_IJSG_SG_EEES6_PlJ7is_evenItEEEE10hipError_tPvRmT3_T4_T5_T6_T7_T9_mT8_P12ihipStream_tbDpT10_ENKUlT_T0_E_clISt17integral_constantIbLb1EES19_EEDaS14_S15_EUlS14_E_NS1_11comp_targetILNS1_3genE0ELNS1_11target_archE4294967295ELNS1_3gpuE0ELNS1_3repE0EEENS1_30default_config_static_selectorELNS0_4arch9wavefront6targetE1EEEvT1_,comdat
.Lfunc_end2499:
	.size	_ZN7rocprim17ROCPRIM_400000_NS6detail17trampoline_kernelINS0_14default_configENS1_25partition_config_selectorILNS1_17partition_subalgoE0EtNS0_10empty_typeEbEEZZNS1_14partition_implILS5_0ELb0ES3_jN6thrust23THRUST_200600_302600_NS6detail15normal_iteratorINSA_10device_ptrItEEEEPS6_SG_NS0_5tupleIJNSA_16discard_iteratorINSA_11use_defaultEEESK_EEENSH_IJSG_SG_EEES6_PlJ7is_evenItEEEE10hipError_tPvRmT3_T4_T5_T6_T7_T9_mT8_P12ihipStream_tbDpT10_ENKUlT_T0_E_clISt17integral_constantIbLb1EES19_EEDaS14_S15_EUlS14_E_NS1_11comp_targetILNS1_3genE0ELNS1_11target_archE4294967295ELNS1_3gpuE0ELNS1_3repE0EEENS1_30default_config_static_selectorELNS0_4arch9wavefront6targetE1EEEvT1_, .Lfunc_end2499-_ZN7rocprim17ROCPRIM_400000_NS6detail17trampoline_kernelINS0_14default_configENS1_25partition_config_selectorILNS1_17partition_subalgoE0EtNS0_10empty_typeEbEEZZNS1_14partition_implILS5_0ELb0ES3_jN6thrust23THRUST_200600_302600_NS6detail15normal_iteratorINSA_10device_ptrItEEEEPS6_SG_NS0_5tupleIJNSA_16discard_iteratorINSA_11use_defaultEEESK_EEENSH_IJSG_SG_EEES6_PlJ7is_evenItEEEE10hipError_tPvRmT3_T4_T5_T6_T7_T9_mT8_P12ihipStream_tbDpT10_ENKUlT_T0_E_clISt17integral_constantIbLb1EES19_EEDaS14_S15_EUlS14_E_NS1_11comp_targetILNS1_3genE0ELNS1_11target_archE4294967295ELNS1_3gpuE0ELNS1_3repE0EEENS1_30default_config_static_selectorELNS0_4arch9wavefront6targetE1EEEvT1_
                                        ; -- End function
	.section	.AMDGPU.csdata,"",@progbits
; Kernel info:
; codeLenInByte = 0
; NumSgprs: 4
; NumVgprs: 0
; NumAgprs: 0
; TotalNumVgprs: 0
; ScratchSize: 0
; MemoryBound: 0
; FloatMode: 240
; IeeeMode: 1
; LDSByteSize: 0 bytes/workgroup (compile time only)
; SGPRBlocks: 0
; VGPRBlocks: 0
; NumSGPRsForWavesPerEU: 4
; NumVGPRsForWavesPerEU: 1
; AccumOffset: 4
; Occupancy: 8
; WaveLimiterHint : 0
; COMPUTE_PGM_RSRC2:SCRATCH_EN: 0
; COMPUTE_PGM_RSRC2:USER_SGPR: 6
; COMPUTE_PGM_RSRC2:TRAP_HANDLER: 0
; COMPUTE_PGM_RSRC2:TGID_X_EN: 1
; COMPUTE_PGM_RSRC2:TGID_Y_EN: 0
; COMPUTE_PGM_RSRC2:TGID_Z_EN: 0
; COMPUTE_PGM_RSRC2:TIDIG_COMP_CNT: 0
; COMPUTE_PGM_RSRC3_GFX90A:ACCUM_OFFSET: 0
; COMPUTE_PGM_RSRC3_GFX90A:TG_SPLIT: 0
	.section	.text._ZN7rocprim17ROCPRIM_400000_NS6detail17trampoline_kernelINS0_14default_configENS1_25partition_config_selectorILNS1_17partition_subalgoE0EtNS0_10empty_typeEbEEZZNS1_14partition_implILS5_0ELb0ES3_jN6thrust23THRUST_200600_302600_NS6detail15normal_iteratorINSA_10device_ptrItEEEEPS6_SG_NS0_5tupleIJNSA_16discard_iteratorINSA_11use_defaultEEESK_EEENSH_IJSG_SG_EEES6_PlJ7is_evenItEEEE10hipError_tPvRmT3_T4_T5_T6_T7_T9_mT8_P12ihipStream_tbDpT10_ENKUlT_T0_E_clISt17integral_constantIbLb1EES19_EEDaS14_S15_EUlS14_E_NS1_11comp_targetILNS1_3genE5ELNS1_11target_archE942ELNS1_3gpuE9ELNS1_3repE0EEENS1_30default_config_static_selectorELNS0_4arch9wavefront6targetE1EEEvT1_,"axG",@progbits,_ZN7rocprim17ROCPRIM_400000_NS6detail17trampoline_kernelINS0_14default_configENS1_25partition_config_selectorILNS1_17partition_subalgoE0EtNS0_10empty_typeEbEEZZNS1_14partition_implILS5_0ELb0ES3_jN6thrust23THRUST_200600_302600_NS6detail15normal_iteratorINSA_10device_ptrItEEEEPS6_SG_NS0_5tupleIJNSA_16discard_iteratorINSA_11use_defaultEEESK_EEENSH_IJSG_SG_EEES6_PlJ7is_evenItEEEE10hipError_tPvRmT3_T4_T5_T6_T7_T9_mT8_P12ihipStream_tbDpT10_ENKUlT_T0_E_clISt17integral_constantIbLb1EES19_EEDaS14_S15_EUlS14_E_NS1_11comp_targetILNS1_3genE5ELNS1_11target_archE942ELNS1_3gpuE9ELNS1_3repE0EEENS1_30default_config_static_selectorELNS0_4arch9wavefront6targetE1EEEvT1_,comdat
	.protected	_ZN7rocprim17ROCPRIM_400000_NS6detail17trampoline_kernelINS0_14default_configENS1_25partition_config_selectorILNS1_17partition_subalgoE0EtNS0_10empty_typeEbEEZZNS1_14partition_implILS5_0ELb0ES3_jN6thrust23THRUST_200600_302600_NS6detail15normal_iteratorINSA_10device_ptrItEEEEPS6_SG_NS0_5tupleIJNSA_16discard_iteratorINSA_11use_defaultEEESK_EEENSH_IJSG_SG_EEES6_PlJ7is_evenItEEEE10hipError_tPvRmT3_T4_T5_T6_T7_T9_mT8_P12ihipStream_tbDpT10_ENKUlT_T0_E_clISt17integral_constantIbLb1EES19_EEDaS14_S15_EUlS14_E_NS1_11comp_targetILNS1_3genE5ELNS1_11target_archE942ELNS1_3gpuE9ELNS1_3repE0EEENS1_30default_config_static_selectorELNS0_4arch9wavefront6targetE1EEEvT1_ ; -- Begin function _ZN7rocprim17ROCPRIM_400000_NS6detail17trampoline_kernelINS0_14default_configENS1_25partition_config_selectorILNS1_17partition_subalgoE0EtNS0_10empty_typeEbEEZZNS1_14partition_implILS5_0ELb0ES3_jN6thrust23THRUST_200600_302600_NS6detail15normal_iteratorINSA_10device_ptrItEEEEPS6_SG_NS0_5tupleIJNSA_16discard_iteratorINSA_11use_defaultEEESK_EEENSH_IJSG_SG_EEES6_PlJ7is_evenItEEEE10hipError_tPvRmT3_T4_T5_T6_T7_T9_mT8_P12ihipStream_tbDpT10_ENKUlT_T0_E_clISt17integral_constantIbLb1EES19_EEDaS14_S15_EUlS14_E_NS1_11comp_targetILNS1_3genE5ELNS1_11target_archE942ELNS1_3gpuE9ELNS1_3repE0EEENS1_30default_config_static_selectorELNS0_4arch9wavefront6targetE1EEEvT1_
	.globl	_ZN7rocprim17ROCPRIM_400000_NS6detail17trampoline_kernelINS0_14default_configENS1_25partition_config_selectorILNS1_17partition_subalgoE0EtNS0_10empty_typeEbEEZZNS1_14partition_implILS5_0ELb0ES3_jN6thrust23THRUST_200600_302600_NS6detail15normal_iteratorINSA_10device_ptrItEEEEPS6_SG_NS0_5tupleIJNSA_16discard_iteratorINSA_11use_defaultEEESK_EEENSH_IJSG_SG_EEES6_PlJ7is_evenItEEEE10hipError_tPvRmT3_T4_T5_T6_T7_T9_mT8_P12ihipStream_tbDpT10_ENKUlT_T0_E_clISt17integral_constantIbLb1EES19_EEDaS14_S15_EUlS14_E_NS1_11comp_targetILNS1_3genE5ELNS1_11target_archE942ELNS1_3gpuE9ELNS1_3repE0EEENS1_30default_config_static_selectorELNS0_4arch9wavefront6targetE1EEEvT1_
	.p2align	8
	.type	_ZN7rocprim17ROCPRIM_400000_NS6detail17trampoline_kernelINS0_14default_configENS1_25partition_config_selectorILNS1_17partition_subalgoE0EtNS0_10empty_typeEbEEZZNS1_14partition_implILS5_0ELb0ES3_jN6thrust23THRUST_200600_302600_NS6detail15normal_iteratorINSA_10device_ptrItEEEEPS6_SG_NS0_5tupleIJNSA_16discard_iteratorINSA_11use_defaultEEESK_EEENSH_IJSG_SG_EEES6_PlJ7is_evenItEEEE10hipError_tPvRmT3_T4_T5_T6_T7_T9_mT8_P12ihipStream_tbDpT10_ENKUlT_T0_E_clISt17integral_constantIbLb1EES19_EEDaS14_S15_EUlS14_E_NS1_11comp_targetILNS1_3genE5ELNS1_11target_archE942ELNS1_3gpuE9ELNS1_3repE0EEENS1_30default_config_static_selectorELNS0_4arch9wavefront6targetE1EEEvT1_,@function
_ZN7rocprim17ROCPRIM_400000_NS6detail17trampoline_kernelINS0_14default_configENS1_25partition_config_selectorILNS1_17partition_subalgoE0EtNS0_10empty_typeEbEEZZNS1_14partition_implILS5_0ELb0ES3_jN6thrust23THRUST_200600_302600_NS6detail15normal_iteratorINSA_10device_ptrItEEEEPS6_SG_NS0_5tupleIJNSA_16discard_iteratorINSA_11use_defaultEEESK_EEENSH_IJSG_SG_EEES6_PlJ7is_evenItEEEE10hipError_tPvRmT3_T4_T5_T6_T7_T9_mT8_P12ihipStream_tbDpT10_ENKUlT_T0_E_clISt17integral_constantIbLb1EES19_EEDaS14_S15_EUlS14_E_NS1_11comp_targetILNS1_3genE5ELNS1_11target_archE942ELNS1_3gpuE9ELNS1_3repE0EEENS1_30default_config_static_selectorELNS0_4arch9wavefront6targetE1EEEvT1_: ; @_ZN7rocprim17ROCPRIM_400000_NS6detail17trampoline_kernelINS0_14default_configENS1_25partition_config_selectorILNS1_17partition_subalgoE0EtNS0_10empty_typeEbEEZZNS1_14partition_implILS5_0ELb0ES3_jN6thrust23THRUST_200600_302600_NS6detail15normal_iteratorINSA_10device_ptrItEEEEPS6_SG_NS0_5tupleIJNSA_16discard_iteratorINSA_11use_defaultEEESK_EEENSH_IJSG_SG_EEES6_PlJ7is_evenItEEEE10hipError_tPvRmT3_T4_T5_T6_T7_T9_mT8_P12ihipStream_tbDpT10_ENKUlT_T0_E_clISt17integral_constantIbLb1EES19_EEDaS14_S15_EUlS14_E_NS1_11comp_targetILNS1_3genE5ELNS1_11target_archE942ELNS1_3gpuE9ELNS1_3repE0EEENS1_30default_config_static_selectorELNS0_4arch9wavefront6targetE1EEEvT1_
; %bb.0:
	.section	.rodata,"a",@progbits
	.p2align	6, 0x0
	.amdhsa_kernel _ZN7rocprim17ROCPRIM_400000_NS6detail17trampoline_kernelINS0_14default_configENS1_25partition_config_selectorILNS1_17partition_subalgoE0EtNS0_10empty_typeEbEEZZNS1_14partition_implILS5_0ELb0ES3_jN6thrust23THRUST_200600_302600_NS6detail15normal_iteratorINSA_10device_ptrItEEEEPS6_SG_NS0_5tupleIJNSA_16discard_iteratorINSA_11use_defaultEEESK_EEENSH_IJSG_SG_EEES6_PlJ7is_evenItEEEE10hipError_tPvRmT3_T4_T5_T6_T7_T9_mT8_P12ihipStream_tbDpT10_ENKUlT_T0_E_clISt17integral_constantIbLb1EES19_EEDaS14_S15_EUlS14_E_NS1_11comp_targetILNS1_3genE5ELNS1_11target_archE942ELNS1_3gpuE9ELNS1_3repE0EEENS1_30default_config_static_selectorELNS0_4arch9wavefront6targetE1EEEvT1_
		.amdhsa_group_segment_fixed_size 0
		.amdhsa_private_segment_fixed_size 0
		.amdhsa_kernarg_size 152
		.amdhsa_user_sgpr_count 6
		.amdhsa_user_sgpr_private_segment_buffer 1
		.amdhsa_user_sgpr_dispatch_ptr 0
		.amdhsa_user_sgpr_queue_ptr 0
		.amdhsa_user_sgpr_kernarg_segment_ptr 1
		.amdhsa_user_sgpr_dispatch_id 0
		.amdhsa_user_sgpr_flat_scratch_init 0
		.amdhsa_user_sgpr_kernarg_preload_length 0
		.amdhsa_user_sgpr_kernarg_preload_offset 0
		.amdhsa_user_sgpr_private_segment_size 0
		.amdhsa_uses_dynamic_stack 0
		.amdhsa_system_sgpr_private_segment_wavefront_offset 0
		.amdhsa_system_sgpr_workgroup_id_x 1
		.amdhsa_system_sgpr_workgroup_id_y 0
		.amdhsa_system_sgpr_workgroup_id_z 0
		.amdhsa_system_sgpr_workgroup_info 0
		.amdhsa_system_vgpr_workitem_id 0
		.amdhsa_next_free_vgpr 1
		.amdhsa_next_free_sgpr 0
		.amdhsa_accum_offset 4
		.amdhsa_reserve_vcc 0
		.amdhsa_reserve_flat_scratch 0
		.amdhsa_float_round_mode_32 0
		.amdhsa_float_round_mode_16_64 0
		.amdhsa_float_denorm_mode_32 3
		.amdhsa_float_denorm_mode_16_64 3
		.amdhsa_dx10_clamp 1
		.amdhsa_ieee_mode 1
		.amdhsa_fp16_overflow 0
		.amdhsa_tg_split 0
		.amdhsa_exception_fp_ieee_invalid_op 0
		.amdhsa_exception_fp_denorm_src 0
		.amdhsa_exception_fp_ieee_div_zero 0
		.amdhsa_exception_fp_ieee_overflow 0
		.amdhsa_exception_fp_ieee_underflow 0
		.amdhsa_exception_fp_ieee_inexact 0
		.amdhsa_exception_int_div_zero 0
	.end_amdhsa_kernel
	.section	.text._ZN7rocprim17ROCPRIM_400000_NS6detail17trampoline_kernelINS0_14default_configENS1_25partition_config_selectorILNS1_17partition_subalgoE0EtNS0_10empty_typeEbEEZZNS1_14partition_implILS5_0ELb0ES3_jN6thrust23THRUST_200600_302600_NS6detail15normal_iteratorINSA_10device_ptrItEEEEPS6_SG_NS0_5tupleIJNSA_16discard_iteratorINSA_11use_defaultEEESK_EEENSH_IJSG_SG_EEES6_PlJ7is_evenItEEEE10hipError_tPvRmT3_T4_T5_T6_T7_T9_mT8_P12ihipStream_tbDpT10_ENKUlT_T0_E_clISt17integral_constantIbLb1EES19_EEDaS14_S15_EUlS14_E_NS1_11comp_targetILNS1_3genE5ELNS1_11target_archE942ELNS1_3gpuE9ELNS1_3repE0EEENS1_30default_config_static_selectorELNS0_4arch9wavefront6targetE1EEEvT1_,"axG",@progbits,_ZN7rocprim17ROCPRIM_400000_NS6detail17trampoline_kernelINS0_14default_configENS1_25partition_config_selectorILNS1_17partition_subalgoE0EtNS0_10empty_typeEbEEZZNS1_14partition_implILS5_0ELb0ES3_jN6thrust23THRUST_200600_302600_NS6detail15normal_iteratorINSA_10device_ptrItEEEEPS6_SG_NS0_5tupleIJNSA_16discard_iteratorINSA_11use_defaultEEESK_EEENSH_IJSG_SG_EEES6_PlJ7is_evenItEEEE10hipError_tPvRmT3_T4_T5_T6_T7_T9_mT8_P12ihipStream_tbDpT10_ENKUlT_T0_E_clISt17integral_constantIbLb1EES19_EEDaS14_S15_EUlS14_E_NS1_11comp_targetILNS1_3genE5ELNS1_11target_archE942ELNS1_3gpuE9ELNS1_3repE0EEENS1_30default_config_static_selectorELNS0_4arch9wavefront6targetE1EEEvT1_,comdat
.Lfunc_end2500:
	.size	_ZN7rocprim17ROCPRIM_400000_NS6detail17trampoline_kernelINS0_14default_configENS1_25partition_config_selectorILNS1_17partition_subalgoE0EtNS0_10empty_typeEbEEZZNS1_14partition_implILS5_0ELb0ES3_jN6thrust23THRUST_200600_302600_NS6detail15normal_iteratorINSA_10device_ptrItEEEEPS6_SG_NS0_5tupleIJNSA_16discard_iteratorINSA_11use_defaultEEESK_EEENSH_IJSG_SG_EEES6_PlJ7is_evenItEEEE10hipError_tPvRmT3_T4_T5_T6_T7_T9_mT8_P12ihipStream_tbDpT10_ENKUlT_T0_E_clISt17integral_constantIbLb1EES19_EEDaS14_S15_EUlS14_E_NS1_11comp_targetILNS1_3genE5ELNS1_11target_archE942ELNS1_3gpuE9ELNS1_3repE0EEENS1_30default_config_static_selectorELNS0_4arch9wavefront6targetE1EEEvT1_, .Lfunc_end2500-_ZN7rocprim17ROCPRIM_400000_NS6detail17trampoline_kernelINS0_14default_configENS1_25partition_config_selectorILNS1_17partition_subalgoE0EtNS0_10empty_typeEbEEZZNS1_14partition_implILS5_0ELb0ES3_jN6thrust23THRUST_200600_302600_NS6detail15normal_iteratorINSA_10device_ptrItEEEEPS6_SG_NS0_5tupleIJNSA_16discard_iteratorINSA_11use_defaultEEESK_EEENSH_IJSG_SG_EEES6_PlJ7is_evenItEEEE10hipError_tPvRmT3_T4_T5_T6_T7_T9_mT8_P12ihipStream_tbDpT10_ENKUlT_T0_E_clISt17integral_constantIbLb1EES19_EEDaS14_S15_EUlS14_E_NS1_11comp_targetILNS1_3genE5ELNS1_11target_archE942ELNS1_3gpuE9ELNS1_3repE0EEENS1_30default_config_static_selectorELNS0_4arch9wavefront6targetE1EEEvT1_
                                        ; -- End function
	.section	.AMDGPU.csdata,"",@progbits
; Kernel info:
; codeLenInByte = 0
; NumSgprs: 4
; NumVgprs: 0
; NumAgprs: 0
; TotalNumVgprs: 0
; ScratchSize: 0
; MemoryBound: 0
; FloatMode: 240
; IeeeMode: 1
; LDSByteSize: 0 bytes/workgroup (compile time only)
; SGPRBlocks: 0
; VGPRBlocks: 0
; NumSGPRsForWavesPerEU: 4
; NumVGPRsForWavesPerEU: 1
; AccumOffset: 4
; Occupancy: 8
; WaveLimiterHint : 0
; COMPUTE_PGM_RSRC2:SCRATCH_EN: 0
; COMPUTE_PGM_RSRC2:USER_SGPR: 6
; COMPUTE_PGM_RSRC2:TRAP_HANDLER: 0
; COMPUTE_PGM_RSRC2:TGID_X_EN: 1
; COMPUTE_PGM_RSRC2:TGID_Y_EN: 0
; COMPUTE_PGM_RSRC2:TGID_Z_EN: 0
; COMPUTE_PGM_RSRC2:TIDIG_COMP_CNT: 0
; COMPUTE_PGM_RSRC3_GFX90A:ACCUM_OFFSET: 0
; COMPUTE_PGM_RSRC3_GFX90A:TG_SPLIT: 0
	.section	.text._ZN7rocprim17ROCPRIM_400000_NS6detail17trampoline_kernelINS0_14default_configENS1_25partition_config_selectorILNS1_17partition_subalgoE0EtNS0_10empty_typeEbEEZZNS1_14partition_implILS5_0ELb0ES3_jN6thrust23THRUST_200600_302600_NS6detail15normal_iteratorINSA_10device_ptrItEEEEPS6_SG_NS0_5tupleIJNSA_16discard_iteratorINSA_11use_defaultEEESK_EEENSH_IJSG_SG_EEES6_PlJ7is_evenItEEEE10hipError_tPvRmT3_T4_T5_T6_T7_T9_mT8_P12ihipStream_tbDpT10_ENKUlT_T0_E_clISt17integral_constantIbLb1EES19_EEDaS14_S15_EUlS14_E_NS1_11comp_targetILNS1_3genE4ELNS1_11target_archE910ELNS1_3gpuE8ELNS1_3repE0EEENS1_30default_config_static_selectorELNS0_4arch9wavefront6targetE1EEEvT1_,"axG",@progbits,_ZN7rocprim17ROCPRIM_400000_NS6detail17trampoline_kernelINS0_14default_configENS1_25partition_config_selectorILNS1_17partition_subalgoE0EtNS0_10empty_typeEbEEZZNS1_14partition_implILS5_0ELb0ES3_jN6thrust23THRUST_200600_302600_NS6detail15normal_iteratorINSA_10device_ptrItEEEEPS6_SG_NS0_5tupleIJNSA_16discard_iteratorINSA_11use_defaultEEESK_EEENSH_IJSG_SG_EEES6_PlJ7is_evenItEEEE10hipError_tPvRmT3_T4_T5_T6_T7_T9_mT8_P12ihipStream_tbDpT10_ENKUlT_T0_E_clISt17integral_constantIbLb1EES19_EEDaS14_S15_EUlS14_E_NS1_11comp_targetILNS1_3genE4ELNS1_11target_archE910ELNS1_3gpuE8ELNS1_3repE0EEENS1_30default_config_static_selectorELNS0_4arch9wavefront6targetE1EEEvT1_,comdat
	.protected	_ZN7rocprim17ROCPRIM_400000_NS6detail17trampoline_kernelINS0_14default_configENS1_25partition_config_selectorILNS1_17partition_subalgoE0EtNS0_10empty_typeEbEEZZNS1_14partition_implILS5_0ELb0ES3_jN6thrust23THRUST_200600_302600_NS6detail15normal_iteratorINSA_10device_ptrItEEEEPS6_SG_NS0_5tupleIJNSA_16discard_iteratorINSA_11use_defaultEEESK_EEENSH_IJSG_SG_EEES6_PlJ7is_evenItEEEE10hipError_tPvRmT3_T4_T5_T6_T7_T9_mT8_P12ihipStream_tbDpT10_ENKUlT_T0_E_clISt17integral_constantIbLb1EES19_EEDaS14_S15_EUlS14_E_NS1_11comp_targetILNS1_3genE4ELNS1_11target_archE910ELNS1_3gpuE8ELNS1_3repE0EEENS1_30default_config_static_selectorELNS0_4arch9wavefront6targetE1EEEvT1_ ; -- Begin function _ZN7rocprim17ROCPRIM_400000_NS6detail17trampoline_kernelINS0_14default_configENS1_25partition_config_selectorILNS1_17partition_subalgoE0EtNS0_10empty_typeEbEEZZNS1_14partition_implILS5_0ELb0ES3_jN6thrust23THRUST_200600_302600_NS6detail15normal_iteratorINSA_10device_ptrItEEEEPS6_SG_NS0_5tupleIJNSA_16discard_iteratorINSA_11use_defaultEEESK_EEENSH_IJSG_SG_EEES6_PlJ7is_evenItEEEE10hipError_tPvRmT3_T4_T5_T6_T7_T9_mT8_P12ihipStream_tbDpT10_ENKUlT_T0_E_clISt17integral_constantIbLb1EES19_EEDaS14_S15_EUlS14_E_NS1_11comp_targetILNS1_3genE4ELNS1_11target_archE910ELNS1_3gpuE8ELNS1_3repE0EEENS1_30default_config_static_selectorELNS0_4arch9wavefront6targetE1EEEvT1_
	.globl	_ZN7rocprim17ROCPRIM_400000_NS6detail17trampoline_kernelINS0_14default_configENS1_25partition_config_selectorILNS1_17partition_subalgoE0EtNS0_10empty_typeEbEEZZNS1_14partition_implILS5_0ELb0ES3_jN6thrust23THRUST_200600_302600_NS6detail15normal_iteratorINSA_10device_ptrItEEEEPS6_SG_NS0_5tupleIJNSA_16discard_iteratorINSA_11use_defaultEEESK_EEENSH_IJSG_SG_EEES6_PlJ7is_evenItEEEE10hipError_tPvRmT3_T4_T5_T6_T7_T9_mT8_P12ihipStream_tbDpT10_ENKUlT_T0_E_clISt17integral_constantIbLb1EES19_EEDaS14_S15_EUlS14_E_NS1_11comp_targetILNS1_3genE4ELNS1_11target_archE910ELNS1_3gpuE8ELNS1_3repE0EEENS1_30default_config_static_selectorELNS0_4arch9wavefront6targetE1EEEvT1_
	.p2align	8
	.type	_ZN7rocprim17ROCPRIM_400000_NS6detail17trampoline_kernelINS0_14default_configENS1_25partition_config_selectorILNS1_17partition_subalgoE0EtNS0_10empty_typeEbEEZZNS1_14partition_implILS5_0ELb0ES3_jN6thrust23THRUST_200600_302600_NS6detail15normal_iteratorINSA_10device_ptrItEEEEPS6_SG_NS0_5tupleIJNSA_16discard_iteratorINSA_11use_defaultEEESK_EEENSH_IJSG_SG_EEES6_PlJ7is_evenItEEEE10hipError_tPvRmT3_T4_T5_T6_T7_T9_mT8_P12ihipStream_tbDpT10_ENKUlT_T0_E_clISt17integral_constantIbLb1EES19_EEDaS14_S15_EUlS14_E_NS1_11comp_targetILNS1_3genE4ELNS1_11target_archE910ELNS1_3gpuE8ELNS1_3repE0EEENS1_30default_config_static_selectorELNS0_4arch9wavefront6targetE1EEEvT1_,@function
_ZN7rocprim17ROCPRIM_400000_NS6detail17trampoline_kernelINS0_14default_configENS1_25partition_config_selectorILNS1_17partition_subalgoE0EtNS0_10empty_typeEbEEZZNS1_14partition_implILS5_0ELb0ES3_jN6thrust23THRUST_200600_302600_NS6detail15normal_iteratorINSA_10device_ptrItEEEEPS6_SG_NS0_5tupleIJNSA_16discard_iteratorINSA_11use_defaultEEESK_EEENSH_IJSG_SG_EEES6_PlJ7is_evenItEEEE10hipError_tPvRmT3_T4_T5_T6_T7_T9_mT8_P12ihipStream_tbDpT10_ENKUlT_T0_E_clISt17integral_constantIbLb1EES19_EEDaS14_S15_EUlS14_E_NS1_11comp_targetILNS1_3genE4ELNS1_11target_archE910ELNS1_3gpuE8ELNS1_3repE0EEENS1_30default_config_static_selectorELNS0_4arch9wavefront6targetE1EEEvT1_: ; @_ZN7rocprim17ROCPRIM_400000_NS6detail17trampoline_kernelINS0_14default_configENS1_25partition_config_selectorILNS1_17partition_subalgoE0EtNS0_10empty_typeEbEEZZNS1_14partition_implILS5_0ELb0ES3_jN6thrust23THRUST_200600_302600_NS6detail15normal_iteratorINSA_10device_ptrItEEEEPS6_SG_NS0_5tupleIJNSA_16discard_iteratorINSA_11use_defaultEEESK_EEENSH_IJSG_SG_EEES6_PlJ7is_evenItEEEE10hipError_tPvRmT3_T4_T5_T6_T7_T9_mT8_P12ihipStream_tbDpT10_ENKUlT_T0_E_clISt17integral_constantIbLb1EES19_EEDaS14_S15_EUlS14_E_NS1_11comp_targetILNS1_3genE4ELNS1_11target_archE910ELNS1_3gpuE8ELNS1_3repE0EEENS1_30default_config_static_selectorELNS0_4arch9wavefront6targetE1EEEvT1_
; %bb.0:
	s_load_dwordx2 s[2:3], s[4:5], 0x68
	s_load_dwordx4 s[20:23], s[4:5], 0x58
	s_load_dwordx2 s[24:25], s[4:5], 0x78
	v_cmp_eq_u32_e64 s[0:1], 0, v0
	s_and_saveexec_b64 s[6:7], s[0:1]
	s_cbranch_execz .LBB2501_4
; %bb.1:
	s_mov_b64 s[10:11], exec
	v_mbcnt_lo_u32_b32 v1, s10, 0
	v_mbcnt_hi_u32_b32 v1, s11, v1
	v_cmp_eq_u32_e32 vcc, 0, v1
                                        ; implicit-def: $vgpr2
	s_and_saveexec_b64 s[8:9], vcc
	s_cbranch_execz .LBB2501_3
; %bb.2:
	s_load_dwordx2 s[12:13], s[4:5], 0x88
	s_bcnt1_i32_b64 s10, s[10:11]
	v_mov_b32_e32 v2, 0
	v_mov_b32_e32 v3, s10
	s_waitcnt lgkmcnt(0)
	global_atomic_add v2, v2, v3, s[12:13] glc
.LBB2501_3:
	s_or_b64 exec, exec, s[8:9]
	s_waitcnt vmcnt(0)
	v_readfirstlane_b32 s8, v2
	v_add_u32_e32 v1, s8, v1
	v_mov_b32_e32 v2, 0
	ds_write_b32 v2, v1
.LBB2501_4:
	s_or_b64 exec, exec, s[6:7]
	v_mov_b32_e32 v3, 0
	s_load_dwordx4 s[8:11], s[4:5], 0x8
	s_load_dword s6, s[4:5], 0x80
	s_waitcnt lgkmcnt(0)
	s_barrier
	ds_read_b32 v1, v3
	s_waitcnt lgkmcnt(0)
	s_barrier
	global_load_dwordx2 v[14:15], v3, s[22:23]
	v_mov_b32_e32 v5, s3
	s_lshl_b64 s[4:5], s[10:11], 1
	s_movk_i32 s3, 0x1c00
	s_add_u32 s4, s8, s4
	v_mul_lo_u32 v2, v1, s3
	s_mul_i32 s3, s6, 0x1c00
	s_addc_u32 s5, s9, s5
	s_add_i32 s7, s6, -1
	s_add_i32 s6, s3, s10
	s_sub_i32 s6, s2, s6
	v_mov_b32_e32 v4, s2
	s_add_u32 s2, s10, s3
	v_readfirstlane_b32 s30, v1
	s_addc_u32 s3, s11, 0
	s_cmp_eq_u32 s30, s7
	s_cselect_b64 s[18:19], -1, 0
	s_cmp_lg_u32 s30, s7
	v_cmp_lt_u64_e32 vcc, s[2:3], v[4:5]
	s_cselect_b64 s[2:3], -1, 0
	v_lshlrev_b64 v[2:3], 1, v[2:3]
	s_or_b64 s[2:3], vcc, s[2:3]
	v_mov_b32_e32 v1, s5
	v_add_co_u32_e32 v2, vcc, s4, v2
	v_addc_co_u32_e32 v3, vcc, v1, v3, vcc
	s_mov_b64 s[4:5], -1
	s_and_b64 vcc, exec, s[2:3]
	v_lshlrev_b32_e32 v1, 1, v0
	s_cbranch_vccz .LBB2501_6
; %bb.5:
	v_add_co_u32_e32 v4, vcc, v2, v1
	v_addc_co_u32_e32 v5, vcc, 0, v3, vcc
	v_add_co_u32_e32 v6, vcc, 0x1000, v4
	v_addc_co_u32_e32 v7, vcc, 0, v5, vcc
	flat_load_ushort v8, v[4:5]
	flat_load_ushort v9, v[4:5] offset:512
	flat_load_ushort v10, v[4:5] offset:1024
	;; [unrolled: 1-line block ×7, first 2 shown]
	flat_load_ushort v18, v[6:7]
	flat_load_ushort v19, v[6:7] offset:512
	flat_load_ushort v20, v[6:7] offset:1024
	;; [unrolled: 1-line block ×7, first 2 shown]
	v_add_co_u32_e32 v6, vcc, 0x2000, v4
	v_addc_co_u32_e32 v7, vcc, 0, v5, vcc
	v_add_co_u32_e32 v4, vcc, 0x3000, v4
	v_addc_co_u32_e32 v5, vcc, 0, v5, vcc
	flat_load_ushort v26, v[6:7]
	flat_load_ushort v27, v[6:7] offset:512
	flat_load_ushort v28, v[6:7] offset:1024
	;; [unrolled: 1-line block ×7, first 2 shown]
	s_nop 0
	flat_load_ushort v6, v[4:5]
	flat_load_ushort v7, v[4:5] offset:512
	flat_load_ushort v34, v[4:5] offset:1024
	;; [unrolled: 1-line block ×3, first 2 shown]
	s_mov_b64 s[4:5], 0
	s_waitcnt vmcnt(0) lgkmcnt(0)
	ds_write_b16 v1, v8
	ds_write_b16 v1, v9 offset:512
	ds_write_b16 v1, v10 offset:1024
	;; [unrolled: 1-line block ×27, first 2 shown]
	s_waitcnt lgkmcnt(0)
	s_barrier
.LBB2501_6:
	s_andn2_b64 vcc, exec, s[4:5]
	s_addk_i32 s6, 0x1c00
	s_cbranch_vccnz .LBB2501_64
; %bb.7:
	v_cmp_gt_u32_e32 vcc, s6, v0
                                        ; implicit-def: $vgpr4
	s_and_saveexec_b64 s[4:5], vcc
	s_cbranch_execz .LBB2501_9
; %bb.8:
	v_add_co_u32_e32 v4, vcc, v2, v1
	v_addc_co_u32_e32 v5, vcc, 0, v3, vcc
	flat_load_ushort v4, v[4:5]
.LBB2501_9:
	s_or_b64 exec, exec, s[4:5]
	v_or_b32_e32 v5, 0x100, v0
	v_cmp_gt_u32_e32 vcc, s6, v5
                                        ; implicit-def: $vgpr5
	s_and_saveexec_b64 s[4:5], vcc
	s_cbranch_execz .LBB2501_11
; %bb.10:
	v_add_co_u32_e32 v6, vcc, v2, v1
	v_addc_co_u32_e32 v7, vcc, 0, v3, vcc
	flat_load_ushort v5, v[6:7] offset:512
.LBB2501_11:
	s_or_b64 exec, exec, s[4:5]
	v_or_b32_e32 v6, 0x200, v0
	v_cmp_gt_u32_e32 vcc, s6, v6
                                        ; implicit-def: $vgpr6
	s_and_saveexec_b64 s[4:5], vcc
	s_cbranch_execz .LBB2501_13
; %bb.12:
	v_add_co_u32_e32 v6, vcc, v2, v1
	v_addc_co_u32_e32 v7, vcc, 0, v3, vcc
	flat_load_ushort v6, v[6:7] offset:1024
.LBB2501_13:
	s_or_b64 exec, exec, s[4:5]
	v_or_b32_e32 v7, 0x300, v0
	v_cmp_gt_u32_e32 vcc, s6, v7
                                        ; implicit-def: $vgpr7
	s_and_saveexec_b64 s[4:5], vcc
	s_cbranch_execz .LBB2501_15
; %bb.14:
	v_add_co_u32_e32 v8, vcc, v2, v1
	v_addc_co_u32_e32 v9, vcc, 0, v3, vcc
	flat_load_ushort v7, v[8:9] offset:1536
.LBB2501_15:
	s_or_b64 exec, exec, s[4:5]
	v_or_b32_e32 v8, 0x400, v0
	v_cmp_gt_u32_e32 vcc, s6, v8
                                        ; implicit-def: $vgpr8
	s_and_saveexec_b64 s[4:5], vcc
	s_cbranch_execz .LBB2501_17
; %bb.16:
	v_add_co_u32_e32 v8, vcc, v2, v1
	v_addc_co_u32_e32 v9, vcc, 0, v3, vcc
	flat_load_ushort v8, v[8:9] offset:2048
.LBB2501_17:
	s_or_b64 exec, exec, s[4:5]
	v_or_b32_e32 v9, 0x500, v0
	v_cmp_gt_u32_e32 vcc, s6, v9
                                        ; implicit-def: $vgpr9
	s_and_saveexec_b64 s[4:5], vcc
	s_cbranch_execz .LBB2501_19
; %bb.18:
	v_add_co_u32_e32 v10, vcc, v2, v1
	v_addc_co_u32_e32 v11, vcc, 0, v3, vcc
	flat_load_ushort v9, v[10:11] offset:2560
.LBB2501_19:
	s_or_b64 exec, exec, s[4:5]
	v_or_b32_e32 v10, 0x600, v0
	v_cmp_gt_u32_e32 vcc, s6, v10
                                        ; implicit-def: $vgpr10
	s_and_saveexec_b64 s[4:5], vcc
	s_cbranch_execz .LBB2501_21
; %bb.20:
	v_add_co_u32_e32 v10, vcc, v2, v1
	v_addc_co_u32_e32 v11, vcc, 0, v3, vcc
	flat_load_ushort v10, v[10:11] offset:3072
.LBB2501_21:
	s_or_b64 exec, exec, s[4:5]
	v_or_b32_e32 v11, 0x700, v0
	v_cmp_gt_u32_e32 vcc, s6, v11
                                        ; implicit-def: $vgpr11
	s_and_saveexec_b64 s[4:5], vcc
	s_cbranch_execz .LBB2501_23
; %bb.22:
	v_add_co_u32_e32 v12, vcc, v2, v1
	v_addc_co_u32_e32 v13, vcc, 0, v3, vcc
	flat_load_ushort v11, v[12:13] offset:3584
.LBB2501_23:
	s_or_b64 exec, exec, s[4:5]
	v_or_b32_e32 v13, 0x800, v0
	v_cmp_gt_u32_e32 vcc, s6, v13
                                        ; implicit-def: $vgpr12
	s_and_saveexec_b64 s[4:5], vcc
	s_cbranch_execz .LBB2501_25
; %bb.24:
	v_lshlrev_b32_e32 v12, 1, v13
	v_add_co_u32_e32 v12, vcc, v2, v12
	v_addc_co_u32_e32 v13, vcc, 0, v3, vcc
	flat_load_ushort v12, v[12:13]
.LBB2501_25:
	s_or_b64 exec, exec, s[4:5]
	v_or_b32_e32 v16, 0x900, v0
	v_cmp_gt_u32_e32 vcc, s6, v16
                                        ; implicit-def: $vgpr13
	s_and_saveexec_b64 s[4:5], vcc
	s_cbranch_execz .LBB2501_27
; %bb.26:
	v_lshlrev_b32_e32 v13, 1, v16
	v_add_co_u32_e32 v16, vcc, v2, v13
	v_addc_co_u32_e32 v17, vcc, 0, v3, vcc
	flat_load_ushort v13, v[16:17]
.LBB2501_27:
	s_or_b64 exec, exec, s[4:5]
	v_or_b32_e32 v17, 0xa00, v0
	v_cmp_gt_u32_e32 vcc, s6, v17
                                        ; implicit-def: $vgpr16
	s_and_saveexec_b64 s[4:5], vcc
	s_cbranch_execz .LBB2501_29
; %bb.28:
	v_lshlrev_b32_e32 v16, 1, v17
	v_add_co_u32_e32 v16, vcc, v2, v16
	v_addc_co_u32_e32 v17, vcc, 0, v3, vcc
	flat_load_ushort v16, v[16:17]
.LBB2501_29:
	s_or_b64 exec, exec, s[4:5]
	v_or_b32_e32 v18, 0xb00, v0
	v_cmp_gt_u32_e32 vcc, s6, v18
                                        ; implicit-def: $vgpr17
	s_and_saveexec_b64 s[4:5], vcc
	s_cbranch_execz .LBB2501_31
; %bb.30:
	v_lshlrev_b32_e32 v17, 1, v18
	v_add_co_u32_e32 v18, vcc, v2, v17
	v_addc_co_u32_e32 v19, vcc, 0, v3, vcc
	flat_load_ushort v17, v[18:19]
.LBB2501_31:
	s_or_b64 exec, exec, s[4:5]
	v_or_b32_e32 v19, 0xc00, v0
	v_cmp_gt_u32_e32 vcc, s6, v19
                                        ; implicit-def: $vgpr18
	s_and_saveexec_b64 s[4:5], vcc
	s_cbranch_execz .LBB2501_33
; %bb.32:
	v_lshlrev_b32_e32 v18, 1, v19
	v_add_co_u32_e32 v18, vcc, v2, v18
	v_addc_co_u32_e32 v19, vcc, 0, v3, vcc
	flat_load_ushort v18, v[18:19]
.LBB2501_33:
	s_or_b64 exec, exec, s[4:5]
	v_or_b32_e32 v20, 0xd00, v0
	v_cmp_gt_u32_e32 vcc, s6, v20
                                        ; implicit-def: $vgpr19
	s_and_saveexec_b64 s[4:5], vcc
	s_cbranch_execz .LBB2501_35
; %bb.34:
	v_lshlrev_b32_e32 v19, 1, v20
	v_add_co_u32_e32 v20, vcc, v2, v19
	v_addc_co_u32_e32 v21, vcc, 0, v3, vcc
	flat_load_ushort v19, v[20:21]
.LBB2501_35:
	s_or_b64 exec, exec, s[4:5]
	v_or_b32_e32 v21, 0xe00, v0
	v_cmp_gt_u32_e32 vcc, s6, v21
                                        ; implicit-def: $vgpr20
	s_and_saveexec_b64 s[4:5], vcc
	s_cbranch_execz .LBB2501_37
; %bb.36:
	v_lshlrev_b32_e32 v20, 1, v21
	v_add_co_u32_e32 v20, vcc, v2, v20
	v_addc_co_u32_e32 v21, vcc, 0, v3, vcc
	flat_load_ushort v20, v[20:21]
.LBB2501_37:
	s_or_b64 exec, exec, s[4:5]
	v_or_b32_e32 v22, 0xf00, v0
	v_cmp_gt_u32_e32 vcc, s6, v22
                                        ; implicit-def: $vgpr21
	s_and_saveexec_b64 s[4:5], vcc
	s_cbranch_execz .LBB2501_39
; %bb.38:
	v_lshlrev_b32_e32 v21, 1, v22
	v_add_co_u32_e32 v22, vcc, v2, v21
	v_addc_co_u32_e32 v23, vcc, 0, v3, vcc
	flat_load_ushort v21, v[22:23]
.LBB2501_39:
	s_or_b64 exec, exec, s[4:5]
	v_or_b32_e32 v23, 0x1000, v0
	v_cmp_gt_u32_e32 vcc, s6, v23
                                        ; implicit-def: $vgpr22
	s_and_saveexec_b64 s[4:5], vcc
	s_cbranch_execz .LBB2501_41
; %bb.40:
	v_lshlrev_b32_e32 v22, 1, v23
	v_add_co_u32_e32 v22, vcc, v2, v22
	v_addc_co_u32_e32 v23, vcc, 0, v3, vcc
	flat_load_ushort v22, v[22:23]
.LBB2501_41:
	s_or_b64 exec, exec, s[4:5]
	v_or_b32_e32 v24, 0x1100, v0
	v_cmp_gt_u32_e32 vcc, s6, v24
                                        ; implicit-def: $vgpr23
	s_and_saveexec_b64 s[4:5], vcc
	s_cbranch_execz .LBB2501_43
; %bb.42:
	v_lshlrev_b32_e32 v23, 1, v24
	v_add_co_u32_e32 v24, vcc, v2, v23
	v_addc_co_u32_e32 v25, vcc, 0, v3, vcc
	flat_load_ushort v23, v[24:25]
.LBB2501_43:
	s_or_b64 exec, exec, s[4:5]
	v_or_b32_e32 v25, 0x1200, v0
	v_cmp_gt_u32_e32 vcc, s6, v25
                                        ; implicit-def: $vgpr24
	s_and_saveexec_b64 s[4:5], vcc
	s_cbranch_execz .LBB2501_45
; %bb.44:
	v_lshlrev_b32_e32 v24, 1, v25
	v_add_co_u32_e32 v24, vcc, v2, v24
	v_addc_co_u32_e32 v25, vcc, 0, v3, vcc
	flat_load_ushort v24, v[24:25]
.LBB2501_45:
	s_or_b64 exec, exec, s[4:5]
	v_or_b32_e32 v26, 0x1300, v0
	v_cmp_gt_u32_e32 vcc, s6, v26
                                        ; implicit-def: $vgpr25
	s_and_saveexec_b64 s[4:5], vcc
	s_cbranch_execz .LBB2501_47
; %bb.46:
	v_lshlrev_b32_e32 v25, 1, v26
	v_add_co_u32_e32 v26, vcc, v2, v25
	v_addc_co_u32_e32 v27, vcc, 0, v3, vcc
	flat_load_ushort v25, v[26:27]
.LBB2501_47:
	s_or_b64 exec, exec, s[4:5]
	v_or_b32_e32 v27, 0x1400, v0
	v_cmp_gt_u32_e32 vcc, s6, v27
                                        ; implicit-def: $vgpr26
	s_and_saveexec_b64 s[4:5], vcc
	s_cbranch_execz .LBB2501_49
; %bb.48:
	v_lshlrev_b32_e32 v26, 1, v27
	v_add_co_u32_e32 v26, vcc, v2, v26
	v_addc_co_u32_e32 v27, vcc, 0, v3, vcc
	flat_load_ushort v26, v[26:27]
.LBB2501_49:
	s_or_b64 exec, exec, s[4:5]
	v_or_b32_e32 v28, 0x1500, v0
	v_cmp_gt_u32_e32 vcc, s6, v28
                                        ; implicit-def: $vgpr27
	s_and_saveexec_b64 s[4:5], vcc
	s_cbranch_execz .LBB2501_51
; %bb.50:
	v_lshlrev_b32_e32 v27, 1, v28
	v_add_co_u32_e32 v28, vcc, v2, v27
	v_addc_co_u32_e32 v29, vcc, 0, v3, vcc
	flat_load_ushort v27, v[28:29]
.LBB2501_51:
	s_or_b64 exec, exec, s[4:5]
	v_or_b32_e32 v29, 0x1600, v0
	v_cmp_gt_u32_e32 vcc, s6, v29
                                        ; implicit-def: $vgpr28
	s_and_saveexec_b64 s[4:5], vcc
	s_cbranch_execz .LBB2501_53
; %bb.52:
	v_lshlrev_b32_e32 v28, 1, v29
	v_add_co_u32_e32 v28, vcc, v2, v28
	v_addc_co_u32_e32 v29, vcc, 0, v3, vcc
	flat_load_ushort v28, v[28:29]
.LBB2501_53:
	s_or_b64 exec, exec, s[4:5]
	v_or_b32_e32 v30, 0x1700, v0
	v_cmp_gt_u32_e32 vcc, s6, v30
                                        ; implicit-def: $vgpr29
	s_and_saveexec_b64 s[4:5], vcc
	s_cbranch_execz .LBB2501_55
; %bb.54:
	v_lshlrev_b32_e32 v29, 1, v30
	v_add_co_u32_e32 v30, vcc, v2, v29
	v_addc_co_u32_e32 v31, vcc, 0, v3, vcc
	flat_load_ushort v29, v[30:31]
.LBB2501_55:
	s_or_b64 exec, exec, s[4:5]
	v_or_b32_e32 v31, 0x1800, v0
	v_cmp_gt_u32_e32 vcc, s6, v31
                                        ; implicit-def: $vgpr30
	s_and_saveexec_b64 s[4:5], vcc
	s_cbranch_execz .LBB2501_57
; %bb.56:
	v_lshlrev_b32_e32 v30, 1, v31
	v_add_co_u32_e32 v30, vcc, v2, v30
	v_addc_co_u32_e32 v31, vcc, 0, v3, vcc
	flat_load_ushort v30, v[30:31]
.LBB2501_57:
	s_or_b64 exec, exec, s[4:5]
	v_or_b32_e32 v32, 0x1900, v0
	v_cmp_gt_u32_e32 vcc, s6, v32
                                        ; implicit-def: $vgpr31
	s_and_saveexec_b64 s[4:5], vcc
	s_cbranch_execz .LBB2501_59
; %bb.58:
	v_lshlrev_b32_e32 v31, 1, v32
	v_add_co_u32_e32 v32, vcc, v2, v31
	v_addc_co_u32_e32 v33, vcc, 0, v3, vcc
	flat_load_ushort v31, v[32:33]
.LBB2501_59:
	s_or_b64 exec, exec, s[4:5]
	v_or_b32_e32 v33, 0x1a00, v0
	v_cmp_gt_u32_e32 vcc, s6, v33
                                        ; implicit-def: $vgpr32
	s_and_saveexec_b64 s[4:5], vcc
	s_cbranch_execz .LBB2501_61
; %bb.60:
	v_lshlrev_b32_e32 v32, 1, v33
	v_add_co_u32_e32 v32, vcc, v2, v32
	v_addc_co_u32_e32 v33, vcc, 0, v3, vcc
	flat_load_ushort v32, v[32:33]
.LBB2501_61:
	s_or_b64 exec, exec, s[4:5]
	v_or_b32_e32 v34, 0x1b00, v0
	v_cmp_gt_u32_e32 vcc, s6, v34
                                        ; implicit-def: $vgpr33
	s_and_saveexec_b64 s[4:5], vcc
	s_cbranch_execz .LBB2501_63
; %bb.62:
	v_lshlrev_b32_e32 v33, 1, v34
	v_add_co_u32_e32 v2, vcc, v2, v33
	v_addc_co_u32_e32 v3, vcc, 0, v3, vcc
	flat_load_ushort v33, v[2:3]
.LBB2501_63:
	s_or_b64 exec, exec, s[4:5]
	s_waitcnt vmcnt(0) lgkmcnt(0)
	ds_write_b16 v1, v4
	ds_write_b16 v1, v5 offset:512
	ds_write_b16 v1, v6 offset:1024
	;; [unrolled: 1-line block ×27, first 2 shown]
	s_waitcnt lgkmcnt(0)
	s_barrier
.LBB2501_64:
	v_mul_u32_u24_e32 v40, 28, v0
	v_lshlrev_b32_e32 v6, 1, v40
	ds_read_b64 v[16:17], v6 offset:48
	ds_read2_b64 v[2:5], v6 offset0:4 offset1:5
	ds_read2_b64 v[10:13], v6 offset1:1
	ds_read2_b64 v[6:9], v6 offset0:2 offset1:3
	s_andn2_b64 vcc, exec, s[2:3]
	s_waitcnt lgkmcnt(3)
	v_lshrrev_b32_e32 v28, 16, v16
	v_lshrrev_b32_e32 v1, 16, v17
	s_waitcnt lgkmcnt(2)
	v_lshrrev_b32_e32 v32, 16, v2
	v_lshrrev_b32_e32 v31, 16, v3
	v_lshrrev_b32_e32 v30, 16, v4
	v_lshrrev_b32_e32 v29, 16, v5
	s_waitcnt lgkmcnt(1)
	v_lshrrev_b32_e32 v41, 16, v10
	v_lshrrev_b32_e32 v39, 16, v11
	;; [unrolled: 5-line block ×3, first 2 shown]
	v_lshrrev_b32_e32 v34, 16, v8
	v_lshrrev_b32_e32 v33, 16, v9
	v_xor_b32_e32 v87, -1, v10
	v_xor_b32_e32 v86, -1, v41
	;; [unrolled: 1-line block ×28, first 2 shown]
	s_barrier
	s_cbranch_vccnz .LBB2501_66
; %bb.65:
	v_and_b32_e32 v69, 1, v87
	v_and_b32_e32 v68, 1, v86
	;; [unrolled: 1-line block ×28, first 2 shown]
	s_cbranch_execz .LBB2501_67
	s_branch .LBB2501_68
.LBB2501_66:
                                        ; implicit-def: $vgpr69
                                        ; implicit-def: $vgpr68
                                        ; implicit-def: $vgpr67
                                        ; implicit-def: $vgpr66
                                        ; implicit-def: $vgpr65
                                        ; implicit-def: $vgpr64
                                        ; implicit-def: $vgpr63
                                        ; implicit-def: $vgpr62
                                        ; implicit-def: $vgpr61
                                        ; implicit-def: $vgpr60
                                        ; implicit-def: $vgpr59
                                        ; implicit-def: $vgpr58
                                        ; implicit-def: $vgpr57
                                        ; implicit-def: $vgpr56
                                        ; implicit-def: $vgpr55
                                        ; implicit-def: $vgpr54
                                        ; implicit-def: $vgpr53
                                        ; implicit-def: $vgpr52
                                        ; implicit-def: $vgpr51
                                        ; implicit-def: $vgpr50
                                        ; implicit-def: $vgpr49
                                        ; implicit-def: $vgpr48
                                        ; implicit-def: $vgpr47
                                        ; implicit-def: $vgpr46
                                        ; implicit-def: $vgpr45
                                        ; implicit-def: $vgpr44
                                        ; implicit-def: $vgpr42
                                        ; implicit-def: $vgpr43
.LBB2501_67:
	v_or_b32_e32 v51, 1, v40
	v_cmp_gt_u32_e32 vcc, s6, v40
	v_or_b32_e32 v52, 2, v40
	v_cndmask_b32_e64 v60, 0, 1, vcc
	v_cmp_gt_u32_e32 vcc, s6, v51
	v_or_b32_e32 v53, 3, v40
	v_cndmask_b32_e64 v51, 0, 1, vcc
	v_cmp_gt_u32_e32 vcc, s6, v52
	v_add_u32_e32 v54, 4, v40
	v_and_b32_e32 v68, v51, v86
	v_cndmask_b32_e64 v51, 0, 1, vcc
	v_cmp_gt_u32_e32 vcc, s6, v53
	v_add_u32_e32 v55, 5, v40
	v_and_b32_e32 v67, v51, v85
	;; [unrolled: 4-line block ×9, first 2 shown]
	v_and_b32_e32 v60, v51, v78
	v_cndmask_b32_e64 v51, 0, 1, vcc
	v_cmp_gt_u32_e32 vcc, s6, v89
	v_add_u32_e32 v91, 13, v40
	v_and_b32_e32 v59, v51, v77
	v_cndmask_b32_e64 v51, 0, 1, vcc
	v_cmp_gt_u32_e32 vcc, s6, v90
	v_add_u32_e32 v92, 14, v40
	;; [unrolled: 4-line block ×15, first 2 shown]
	v_and_b32_e32 v45, v22, v21
	v_cndmask_b32_e64 v21, 0, 1, vcc
	v_cmp_gt_u32_e32 vcc, s6, v42
	v_and_b32_e32 v44, v21, v20
	v_cndmask_b32_e64 v20, 0, 1, vcc
	v_cmp_gt_u32_e32 vcc, s6, v43
	v_and_b32_e32 v42, v20, v19
	v_cndmask_b32_e64 v19, 0, 1, vcc
	v_and_b32_e32 v43, v19, v18
.LBB2501_68:
	v_and_b32_e32 v94, 0xff, v45
	v_and_b32_e32 v95, 0xff, v44
	v_add_u32_sdwa v18, v42, v43 dst_sel:DWORD dst_unused:UNUSED_PAD src0_sel:BYTE_0 src1_sel:BYTE_0
	v_and_b32_e32 v92, 0xff, v47
	v_and_b32_e32 v93, 0xff, v46
	v_add3_u32 v18, v18, v95, v94
	v_and_b32_e32 v90, 0xff, v49
	v_and_b32_e32 v91, 0xff, v48
	v_add3_u32 v18, v18, v93, v92
	;; [unrolled: 3-line block ×12, first 2 shown]
	v_add3_u32 v98, v18, v71, v70
	v_mbcnt_lo_u32_b32 v18, -1, 0
	v_mbcnt_hi_u32_b32 v96, -1, v18
	v_and_b32_e32 v18, 15, v96
	v_cmp_eq_u32_e64 s[14:15], 0, v18
	v_cmp_lt_u32_e64 s[12:13], 1, v18
	v_cmp_lt_u32_e64 s[10:11], 3, v18
	;; [unrolled: 1-line block ×3, first 2 shown]
	v_and_b32_e32 v18, 16, v96
	v_cmp_eq_u32_e64 s[6:7], 0, v18
	v_or_b32_e32 v18, 63, v0
	s_cmp_lg_u32 s30, 0
	v_cmp_lt_u32_e64 s[2:3], 31, v96
	v_lshrrev_b32_e32 v97, 6, v0
	v_cmp_eq_u32_e64 s[4:5], v18, v0
	s_cbranch_scc0 .LBB2501_99
; %bb.69:
	v_mov_b32_dpp v18, v98 row_shr:1 row_mask:0xf bank_mask:0xf
	v_cndmask_b32_e64 v18, v18, 0, s[14:15]
	v_add_u32_e32 v18, v18, v98
	s_nop 1
	v_mov_b32_dpp v19, v18 row_shr:2 row_mask:0xf bank_mask:0xf
	v_cndmask_b32_e64 v19, 0, v19, s[12:13]
	v_add_u32_e32 v18, v18, v19
	s_nop 1
	v_mov_b32_dpp v19, v18 row_shr:4 row_mask:0xf bank_mask:0xf
	v_cndmask_b32_e64 v19, 0, v19, s[10:11]
	v_add_u32_e32 v18, v18, v19
	s_nop 1
	v_mov_b32_dpp v19, v18 row_shr:8 row_mask:0xf bank_mask:0xf
	v_cndmask_b32_e64 v19, 0, v19, s[8:9]
	v_add_u32_e32 v18, v18, v19
	s_nop 1
	v_mov_b32_dpp v19, v18 row_bcast:15 row_mask:0xf bank_mask:0xf
	v_cndmask_b32_e64 v19, v19, 0, s[6:7]
	v_add_u32_e32 v18, v18, v19
	s_nop 1
	v_mov_b32_dpp v19, v18 row_bcast:31 row_mask:0xf bank_mask:0xf
	v_cndmask_b32_e64 v19, 0, v19, s[2:3]
	v_add_u32_e32 v18, v18, v19
	s_and_saveexec_b64 s[16:17], s[4:5]
	s_cbranch_execz .LBB2501_71
; %bb.70:
	v_lshlrev_b32_e32 v19, 2, v97
	ds_write_b32 v19, v18
.LBB2501_71:
	s_or_b64 exec, exec, s[16:17]
	v_cmp_gt_u32_e32 vcc, 4, v0
	s_waitcnt lgkmcnt(0)
	s_barrier
	s_and_saveexec_b64 s[16:17], vcc
	s_cbranch_execz .LBB2501_73
; %bb.72:
	v_lshlrev_b32_e32 v19, 2, v0
	ds_read_b32 v20, v19
	v_and_b32_e32 v21, 3, v96
	v_cmp_ne_u32_e32 vcc, 0, v21
	s_waitcnt lgkmcnt(0)
	v_mov_b32_dpp v22, v20 row_shr:1 row_mask:0xf bank_mask:0xf
	v_cndmask_b32_e32 v22, 0, v22, vcc
	v_add_u32_e32 v20, v22, v20
	v_cmp_lt_u32_e32 vcc, 1, v21
	s_nop 0
	v_mov_b32_dpp v22, v20 row_shr:2 row_mask:0xf bank_mask:0xf
	v_cndmask_b32_e32 v21, 0, v22, vcc
	v_add_u32_e32 v20, v20, v21
	ds_write_b32 v19, v20
.LBB2501_73:
	s_or_b64 exec, exec, s[16:17]
	v_cmp_gt_u32_e32 vcc, 64, v0
	v_cmp_lt_u32_e64 s[16:17], 63, v0
	s_waitcnt lgkmcnt(0)
	s_barrier
	s_waitcnt lgkmcnt(0)
                                        ; implicit-def: $vgpr99
	s_and_saveexec_b64 s[22:23], s[16:17]
	s_cbranch_execz .LBB2501_75
; %bb.74:
	v_lshl_add_u32 v19, v97, 2, -4
	ds_read_b32 v99, v19
	s_waitcnt lgkmcnt(0)
	v_add_u32_e32 v18, v99, v18
.LBB2501_75:
	s_or_b64 exec, exec, s[22:23]
	v_add_u32_e32 v19, -1, v96
	v_and_b32_e32 v20, 64, v96
	v_cmp_lt_i32_e64 s[16:17], v19, v20
	v_cndmask_b32_e64 v19, v19, v96, s[16:17]
	v_lshlrev_b32_e32 v19, 2, v19
	ds_bpermute_b32 v100, v19, v18
	v_cmp_eq_u32_e64 s[16:17], 0, v96
	s_and_saveexec_b64 s[22:23], vcc
	s_cbranch_execz .LBB2501_98
; %bb.76:
	v_mov_b32_e32 v27, 0
	ds_read_b32 v18, v27 offset:12
	s_and_saveexec_b64 s[26:27], s[16:17]
	s_cbranch_execz .LBB2501_78
; %bb.77:
	s_add_i32 s28, s30, 64
	s_mov_b32 s29, 0
	s_lshl_b64 s[28:29], s[28:29], 3
	s_add_u32 s28, s24, s28
	v_mov_b32_e32 v19, 1
	s_addc_u32 s29, s25, s29
	s_waitcnt lgkmcnt(0)
	global_store_dwordx2 v27, v[18:19], s[28:29]
.LBB2501_78:
	s_or_b64 exec, exec, s[26:27]
	v_xad_u32 v20, v96, -1, s30
	v_add_u32_e32 v26, 64, v20
	v_lshlrev_b64 v[22:23], 3, v[26:27]
	v_mov_b32_e32 v19, s25
	v_add_co_u32_e32 v22, vcc, s24, v22
	v_addc_co_u32_e32 v23, vcc, v19, v23, vcc
	global_load_dwordx2 v[24:25], v[22:23], off glc
	s_waitcnt vmcnt(0)
	v_cmp_eq_u16_sdwa s[28:29], v25, v27 src0_sel:BYTE_0 src1_sel:DWORD
	s_and_saveexec_b64 s[26:27], s[28:29]
	s_cbranch_execz .LBB2501_84
; %bb.79:
	s_mov_b32 s31, 1
	s_mov_b64 s[28:29], 0
	v_mov_b32_e32 v19, 0
.LBB2501_80:                            ; =>This Loop Header: Depth=1
                                        ;     Child Loop BB2501_81 Depth 2
	s_max_u32 s33, s31, 1
.LBB2501_81:                            ;   Parent Loop BB2501_80 Depth=1
                                        ; =>  This Inner Loop Header: Depth=2
	s_add_i32 s33, s33, -1
	s_cmp_eq_u32 s33, 0
	s_sleep 1
	s_cbranch_scc0 .LBB2501_81
; %bb.82:                               ;   in Loop: Header=BB2501_80 Depth=1
	global_load_dwordx2 v[24:25], v[22:23], off glc
	s_cmp_lt_u32 s31, 32
	s_cselect_b64 s[34:35], -1, 0
	s_cmp_lg_u64 s[34:35], 0
	s_addc_u32 s31, s31, 0
	s_waitcnt vmcnt(0)
	v_cmp_ne_u16_sdwa s[34:35], v25, v19 src0_sel:BYTE_0 src1_sel:DWORD
	s_or_b64 s[28:29], s[34:35], s[28:29]
	s_andn2_b64 exec, exec, s[28:29]
	s_cbranch_execnz .LBB2501_80
; %bb.83:
	s_or_b64 exec, exec, s[28:29]
.LBB2501_84:
	s_or_b64 exec, exec, s[26:27]
	v_and_b32_e32 v102, 63, v96
	v_mov_b32_e32 v101, 2
	v_cmp_ne_u32_e32 vcc, 63, v102
	v_cmp_eq_u16_sdwa s[26:27], v25, v101 src0_sel:BYTE_0 src1_sel:DWORD
	v_lshlrev_b64 v[22:23], v96, -1
	v_addc_co_u32_e32 v26, vcc, 0, v96, vcc
	v_and_b32_e32 v19, s27, v23
	v_lshlrev_b32_e32 v103, 2, v26
	v_or_b32_e32 v19, 0x80000000, v19
	ds_bpermute_b32 v26, v103, v24
	v_and_b32_e32 v21, s26, v22
	v_ffbl_b32_e32 v19, v19
	v_add_u32_e32 v19, 32, v19
	v_ffbl_b32_e32 v21, v21
	v_min_u32_e32 v19, v21, v19
	v_cmp_lt_u32_e32 vcc, v102, v19
	s_waitcnt lgkmcnt(0)
	v_cndmask_b32_e32 v21, 0, v26, vcc
	v_cmp_gt_u32_e32 vcc, 62, v102
	v_add_u32_e32 v21, v21, v24
	v_cndmask_b32_e64 v24, 0, 1, vcc
	v_lshlrev_b32_e32 v24, 1, v24
	v_add_lshl_u32 v104, v24, v96, 2
	ds_bpermute_b32 v24, v104, v21
	v_add_u32_e32 v105, 2, v102
	v_cmp_le_u32_e32 vcc, v105, v19
	v_add_u32_e32 v107, 4, v102
	v_add_u32_e32 v109, 8, v102
	s_waitcnt lgkmcnt(0)
	v_cndmask_b32_e32 v24, 0, v24, vcc
	v_cmp_gt_u32_e32 vcc, 60, v102
	v_add_u32_e32 v21, v21, v24
	v_cndmask_b32_e64 v24, 0, 1, vcc
	v_lshlrev_b32_e32 v24, 2, v24
	v_add_lshl_u32 v106, v24, v96, 2
	ds_bpermute_b32 v24, v106, v21
	v_cmp_le_u32_e32 vcc, v107, v19
	v_add_u32_e32 v111, 16, v102
	v_add_u32_e32 v113, 32, v102
	s_waitcnt lgkmcnt(0)
	v_cndmask_b32_e32 v24, 0, v24, vcc
	v_cmp_gt_u32_e32 vcc, 56, v102
	v_add_u32_e32 v21, v21, v24
	v_cndmask_b32_e64 v24, 0, 1, vcc
	v_lshlrev_b32_e32 v24, 3, v24
	v_add_lshl_u32 v108, v24, v96, 2
	ds_bpermute_b32 v24, v108, v21
	v_cmp_le_u32_e32 vcc, v109, v19
	s_waitcnt lgkmcnt(0)
	v_cndmask_b32_e32 v24, 0, v24, vcc
	v_cmp_gt_u32_e32 vcc, 48, v102
	v_add_u32_e32 v21, v21, v24
	v_cndmask_b32_e64 v24, 0, 1, vcc
	v_lshlrev_b32_e32 v24, 4, v24
	v_add_lshl_u32 v110, v24, v96, 2
	ds_bpermute_b32 v24, v110, v21
	v_cmp_le_u32_e32 vcc, v111, v19
	;; [unrolled: 9-line block ×3, first 2 shown]
	s_waitcnt lgkmcnt(0)
	v_cndmask_b32_e32 v19, 0, v24, vcc
	v_add_u32_e32 v24, v21, v19
	v_mov_b32_e32 v21, 0
	s_branch .LBB2501_86
.LBB2501_85:                            ;   in Loop: Header=BB2501_86 Depth=1
	s_or_b64 exec, exec, s[26:27]
	v_cmp_eq_u16_sdwa s[26:27], v25, v101 src0_sel:BYTE_0 src1_sel:DWORD
	v_and_b32_e32 v26, s27, v23
	v_or_b32_e32 v26, 0x80000000, v26
	ds_bpermute_b32 v114, v103, v24
	v_and_b32_e32 v27, s26, v22
	v_ffbl_b32_e32 v26, v26
	v_add_u32_e32 v26, 32, v26
	v_ffbl_b32_e32 v27, v27
	v_min_u32_e32 v26, v27, v26
	v_cmp_lt_u32_e32 vcc, v102, v26
	s_waitcnt lgkmcnt(0)
	v_cndmask_b32_e32 v27, 0, v114, vcc
	v_add_u32_e32 v24, v27, v24
	ds_bpermute_b32 v27, v104, v24
	v_cmp_le_u32_e32 vcc, v105, v26
	v_subrev_u32_e32 v20, 64, v20
	s_waitcnt lgkmcnt(0)
	v_cndmask_b32_e32 v27, 0, v27, vcc
	v_add_u32_e32 v24, v24, v27
	ds_bpermute_b32 v27, v106, v24
	v_cmp_le_u32_e32 vcc, v107, v26
	s_waitcnt lgkmcnt(0)
	v_cndmask_b32_e32 v27, 0, v27, vcc
	v_add_u32_e32 v24, v24, v27
	ds_bpermute_b32 v27, v108, v24
	v_cmp_le_u32_e32 vcc, v109, v26
	;; [unrolled: 5-line block ×4, first 2 shown]
	s_waitcnt lgkmcnt(0)
	v_cndmask_b32_e32 v26, 0, v27, vcc
	v_add3_u32 v24, v26, v19, v24
.LBB2501_86:                            ; =>This Loop Header: Depth=1
                                        ;     Child Loop BB2501_89 Depth 2
                                        ;       Child Loop BB2501_90 Depth 3
	v_cmp_ne_u16_sdwa s[26:27], v25, v101 src0_sel:BYTE_0 src1_sel:DWORD
	v_cndmask_b32_e64 v19, 0, 1, s[26:27]
	;;#ASMSTART
	;;#ASMEND
	v_cmp_ne_u32_e32 vcc, 0, v19
	s_cmp_lg_u64 vcc, exec
	v_mov_b32_e32 v19, v24
	s_cbranch_scc1 .LBB2501_93
; %bb.87:                               ;   in Loop: Header=BB2501_86 Depth=1
	v_lshlrev_b64 v[24:25], 3, v[20:21]
	v_mov_b32_e32 v27, s25
	v_add_co_u32_e32 v26, vcc, s24, v24
	v_addc_co_u32_e32 v27, vcc, v27, v25, vcc
	global_load_dwordx2 v[24:25], v[26:27], off glc
	s_waitcnt vmcnt(0)
	v_cmp_eq_u16_sdwa s[28:29], v25, v21 src0_sel:BYTE_0 src1_sel:DWORD
	s_and_saveexec_b64 s[26:27], s[28:29]
	s_cbranch_execz .LBB2501_85
; %bb.88:                               ;   in Loop: Header=BB2501_86 Depth=1
	s_mov_b32 s31, 1
	s_mov_b64 s[28:29], 0
.LBB2501_89:                            ;   Parent Loop BB2501_86 Depth=1
                                        ; =>  This Loop Header: Depth=2
                                        ;       Child Loop BB2501_90 Depth 3
	s_max_u32 s33, s31, 1
.LBB2501_90:                            ;   Parent Loop BB2501_86 Depth=1
                                        ;     Parent Loop BB2501_89 Depth=2
                                        ; =>    This Inner Loop Header: Depth=3
	s_add_i32 s33, s33, -1
	s_cmp_eq_u32 s33, 0
	s_sleep 1
	s_cbranch_scc0 .LBB2501_90
; %bb.91:                               ;   in Loop: Header=BB2501_89 Depth=2
	global_load_dwordx2 v[24:25], v[26:27], off glc
	s_cmp_lt_u32 s31, 32
	s_cselect_b64 s[34:35], -1, 0
	s_cmp_lg_u64 s[34:35], 0
	s_addc_u32 s31, s31, 0
	s_waitcnt vmcnt(0)
	v_cmp_ne_u16_sdwa s[34:35], v25, v21 src0_sel:BYTE_0 src1_sel:DWORD
	s_or_b64 s[28:29], s[34:35], s[28:29]
	s_andn2_b64 exec, exec, s[28:29]
	s_cbranch_execnz .LBB2501_89
; %bb.92:                               ;   in Loop: Header=BB2501_86 Depth=1
	s_or_b64 exec, exec, s[28:29]
	s_branch .LBB2501_85
.LBB2501_93:                            ;   in Loop: Header=BB2501_86 Depth=1
                                        ; implicit-def: $vgpr24
                                        ; implicit-def: $vgpr25
	s_cbranch_execz .LBB2501_86
; %bb.94:
	s_and_saveexec_b64 s[26:27], s[16:17]
	s_cbranch_execz .LBB2501_96
; %bb.95:
	s_add_i32 s28, s30, 64
	s_mov_b32 s29, 0
	s_lshl_b64 s[28:29], s[28:29], 3
	s_add_u32 s28, s24, s28
	v_add_u32_e32 v20, v19, v18
	v_mov_b32_e32 v21, 2
	s_addc_u32 s29, s25, s29
	v_mov_b32_e32 v22, 0
	global_store_dwordx2 v22, v[20:21], s[28:29]
	ds_write_b64 v22, v[18:19] offset:14336
.LBB2501_96:
	s_or_b64 exec, exec, s[26:27]
	s_and_b64 exec, exec, s[0:1]
	s_cbranch_execz .LBB2501_98
; %bb.97:
	v_mov_b32_e32 v18, 0
	ds_write_b32 v18, v19 offset:12
.LBB2501_98:
	s_or_b64 exec, exec, s[22:23]
	v_mov_b32_e32 v18, 0
	s_waitcnt lgkmcnt(0)
	s_barrier
	ds_read_b32 v20, v18 offset:12
	s_waitcnt lgkmcnt(0)
	s_barrier
	ds_read_b64 v[18:19], v18 offset:14336
	v_cndmask_b32_e64 v21, v100, v99, s[16:17]
	v_cndmask_b32_e64 v21, v21, 0, s[0:1]
	v_add_u32_e32 v20, v20, v21
	s_branch .LBB2501_109
.LBB2501_99:
                                        ; implicit-def: $vgpr19
                                        ; implicit-def: $vgpr20
	s_cbranch_execz .LBB2501_109
; %bb.100:
	s_waitcnt lgkmcnt(0)
	v_mov_b32_dpp v18, v98 row_shr:1 row_mask:0xf bank_mask:0xf
	v_cndmask_b32_e64 v18, v18, 0, s[14:15]
	v_add_u32_e32 v18, v18, v98
	s_nop 1
	v_mov_b32_dpp v19, v18 row_shr:2 row_mask:0xf bank_mask:0xf
	v_cndmask_b32_e64 v19, 0, v19, s[12:13]
	v_add_u32_e32 v18, v18, v19
	s_nop 1
	;; [unrolled: 4-line block ×4, first 2 shown]
	v_mov_b32_dpp v19, v18 row_bcast:15 row_mask:0xf bank_mask:0xf
	v_cndmask_b32_e64 v19, v19, 0, s[6:7]
	v_add_u32_e32 v18, v18, v19
	s_nop 1
	v_mov_b32_dpp v19, v18 row_bcast:31 row_mask:0xf bank_mask:0xf
	v_cndmask_b32_e64 v19, 0, v19, s[2:3]
	v_add_u32_e32 v18, v18, v19
	s_and_saveexec_b64 s[2:3], s[4:5]
	s_cbranch_execz .LBB2501_102
; %bb.101:
	v_lshlrev_b32_e32 v19, 2, v97
	ds_write_b32 v19, v18
.LBB2501_102:
	s_or_b64 exec, exec, s[2:3]
	v_cmp_gt_u32_e32 vcc, 4, v0
	s_waitcnt lgkmcnt(0)
	s_barrier
	s_and_saveexec_b64 s[2:3], vcc
	s_cbranch_execz .LBB2501_104
; %bb.103:
	v_lshlrev_b32_e32 v19, 2, v0
	ds_read_b32 v20, v19
	v_and_b32_e32 v21, 3, v96
	v_cmp_ne_u32_e32 vcc, 0, v21
	s_waitcnt lgkmcnt(0)
	v_mov_b32_dpp v22, v20 row_shr:1 row_mask:0xf bank_mask:0xf
	v_cndmask_b32_e32 v22, 0, v22, vcc
	v_add_u32_e32 v20, v22, v20
	v_cmp_lt_u32_e32 vcc, 1, v21
	s_nop 0
	v_mov_b32_dpp v22, v20 row_shr:2 row_mask:0xf bank_mask:0xf
	v_cndmask_b32_e32 v21, 0, v22, vcc
	v_add_u32_e32 v20, v20, v21
	ds_write_b32 v19, v20
.LBB2501_104:
	s_or_b64 exec, exec, s[2:3]
	v_cmp_lt_u32_e32 vcc, 63, v0
	v_mov_b32_e32 v19, 0
	v_mov_b32_e32 v0, 0
	s_waitcnt lgkmcnt(0)
	s_barrier
	s_and_saveexec_b64 s[2:3], vcc
	s_cbranch_execz .LBB2501_106
; %bb.105:
	v_lshl_add_u32 v0, v97, 2, -4
	ds_read_b32 v0, v0
.LBB2501_106:
	s_or_b64 exec, exec, s[2:3]
	v_add_u32_e32 v20, -1, v96
	v_and_b32_e32 v21, 64, v96
	v_cmp_lt_i32_e32 vcc, v20, v21
	v_cndmask_b32_e32 v20, v20, v96, vcc
	s_waitcnt lgkmcnt(0)
	v_add_u32_e32 v18, v0, v18
	v_lshlrev_b32_e32 v20, 2, v20
	ds_bpermute_b32 v20, v20, v18
	ds_read_b32 v18, v19 offset:12
	s_and_saveexec_b64 s[2:3], s[0:1]
	s_cbranch_execz .LBB2501_108
; %bb.107:
	v_mov_b32_e32 v21, 0
	v_mov_b32_e32 v19, 2
	s_waitcnt lgkmcnt(0)
	global_store_dwordx2 v21, v[18:19], s[24:25] offset:512
.LBB2501_108:
	s_or_b64 exec, exec, s[2:3]
	v_cmp_eq_u32_e32 vcc, 0, v96
	s_waitcnt lgkmcnt(1)
	v_cndmask_b32_e32 v0, v20, v0, vcc
	v_mov_b32_e32 v19, 0
	v_cndmask_b32_e64 v20, v0, 0, s[0:1]
	s_waitcnt lgkmcnt(0)
	s_barrier
.LBB2501_109:
	v_add_u32_e32 v0, v20, v70
	v_add_u32_e32 v21, v0, v71
	;; [unrolled: 1-line block ×18, first 2 shown]
	s_waitcnt lgkmcnt(0)
	v_add_u32_e32 v40, v18, v40
	v_sub_u32_e32 v20, v20, v19
	v_and_b32_e32 v69, 1, v69
	v_add_u32_e32 v80, v79, v88
	v_sub_u32_e32 v88, v40, v20
	v_cmp_eq_u32_e32 vcc, 1, v69
	v_cndmask_b32_e32 v20, v88, v20, vcc
	v_lshlrev_b32_e32 v20, 1, v20
	v_sub_u32_e32 v0, v0, v19
	ds_write_b16 v20, v10
	v_sub_u32_e32 v10, v40, v0
	v_and_b32_e32 v20, 1, v68
	v_add_u32_e32 v10, 1, v10
	v_cmp_eq_u32_e32 vcc, 1, v20
	v_cndmask_b32_e32 v0, v10, v0, vcc
	v_lshlrev_b32_e32 v0, 1, v0
	ds_write_b16 v0, v41
	v_sub_u32_e32 v0, v21, v19
	v_sub_u32_e32 v10, v40, v0
	v_and_b32_e32 v20, 1, v67
	v_add_u32_e32 v10, 2, v10
	v_cmp_eq_u32_e32 vcc, 1, v20
	v_cndmask_b32_e32 v0, v10, v0, vcc
	v_lshlrev_b32_e32 v0, 1, v0
	ds_write_b16 v0, v11
	v_sub_u32_e32 v0, v22, v19
	;; [unrolled: 8-line block ×18, first 2 shown]
	v_sub_u32_e32 v2, v40, v0
	v_and_b32_e32 v3, 1, v50
	v_add_u32_e32 v2, 19, v2
	v_cmp_eq_u32_e32 vcc, 1, v3
	v_cndmask_b32_e32 v0, v2, v0, vcc
	v_add_u32_e32 v81, v80, v89
	v_lshlrev_b32_e32 v0, 1, v0
	ds_write_b16 v0, v31
	v_sub_u32_e32 v0, v81, v19
	v_sub_u32_e32 v2, v40, v0
	v_and_b32_e32 v3, 1, v49
	v_add_u32_e32 v2, 20, v2
	v_cmp_eq_u32_e32 vcc, 1, v3
	v_cndmask_b32_e32 v0, v2, v0, vcc
	v_add_u32_e32 v82, v81, v90
	v_lshlrev_b32_e32 v0, 1, v0
	ds_write_b16 v0, v4
	v_sub_u32_e32 v0, v82, v19
	;; [unrolled: 9-line block ×7, first 2 shown]
	v_sub_u32_e32 v2, v40, v0
	v_and_b32_e32 v3, 1, v42
	v_add_u32_e32 v2, 26, v2
	v_cmp_eq_u32_e32 vcc, 1, v3
	v_cndmask_b32_e32 v0, v2, v0, vcc
	v_lshlrev_b32_e32 v0, 1, v0
	ds_write_b16 v0, v17
	v_sub_u32_sdwa v0, v42, v19 dst_sel:DWORD dst_unused:UNUSED_PAD src0_sel:BYTE_0 src1_sel:DWORD
	v_add_u32_e32 v0, v87, v0
	v_sub_u32_e32 v2, v40, v0
	v_and_b32_e32 v3, 1, v43
	v_add_u32_e32 v2, 27, v2
	v_cmp_eq_u32_e32 vcc, 1, v3
	v_cndmask_b32_e32 v0, v2, v0, vcc
	v_lshlrev_b32_e32 v0, 1, v0
	s_and_b64 s[0:1], s[0:1], s[18:19]
	ds_write_b16 v0, v1
	s_waitcnt lgkmcnt(0)
	s_barrier
	s_and_saveexec_b64 s[2:3], s[0:1]
	s_cbranch_execz .LBB2501_111
; %bb.110:
	s_waitcnt vmcnt(0)
	v_add_co_u32_e32 v0, vcc, v14, v18
	v_addc_co_u32_e32 v1, vcc, 0, v15, vcc
	v_add_co_u32_e32 v0, vcc, v0, v19
	v_mov_b32_e32 v2, 0
	v_addc_co_u32_e32 v1, vcc, 0, v1, vcc
	global_store_dwordx2 v2, v[0:1], s[20:21]
.LBB2501_111:
	s_endpgm
	.section	.rodata,"a",@progbits
	.p2align	6, 0x0
	.amdhsa_kernel _ZN7rocprim17ROCPRIM_400000_NS6detail17trampoline_kernelINS0_14default_configENS1_25partition_config_selectorILNS1_17partition_subalgoE0EtNS0_10empty_typeEbEEZZNS1_14partition_implILS5_0ELb0ES3_jN6thrust23THRUST_200600_302600_NS6detail15normal_iteratorINSA_10device_ptrItEEEEPS6_SG_NS0_5tupleIJNSA_16discard_iteratorINSA_11use_defaultEEESK_EEENSH_IJSG_SG_EEES6_PlJ7is_evenItEEEE10hipError_tPvRmT3_T4_T5_T6_T7_T9_mT8_P12ihipStream_tbDpT10_ENKUlT_T0_E_clISt17integral_constantIbLb1EES19_EEDaS14_S15_EUlS14_E_NS1_11comp_targetILNS1_3genE4ELNS1_11target_archE910ELNS1_3gpuE8ELNS1_3repE0EEENS1_30default_config_static_selectorELNS0_4arch9wavefront6targetE1EEEvT1_
		.amdhsa_group_segment_fixed_size 14344
		.amdhsa_private_segment_fixed_size 0
		.amdhsa_kernarg_size 152
		.amdhsa_user_sgpr_count 6
		.amdhsa_user_sgpr_private_segment_buffer 1
		.amdhsa_user_sgpr_dispatch_ptr 0
		.amdhsa_user_sgpr_queue_ptr 0
		.amdhsa_user_sgpr_kernarg_segment_ptr 1
		.amdhsa_user_sgpr_dispatch_id 0
		.amdhsa_user_sgpr_flat_scratch_init 0
		.amdhsa_user_sgpr_kernarg_preload_length 0
		.amdhsa_user_sgpr_kernarg_preload_offset 0
		.amdhsa_user_sgpr_private_segment_size 0
		.amdhsa_uses_dynamic_stack 0
		.amdhsa_system_sgpr_private_segment_wavefront_offset 0
		.amdhsa_system_sgpr_workgroup_id_x 1
		.amdhsa_system_sgpr_workgroup_id_y 0
		.amdhsa_system_sgpr_workgroup_id_z 0
		.amdhsa_system_sgpr_workgroup_info 0
		.amdhsa_system_vgpr_workitem_id 0
		.amdhsa_next_free_vgpr 115
		.amdhsa_next_free_sgpr 36
		.amdhsa_accum_offset 116
		.amdhsa_reserve_vcc 1
		.amdhsa_reserve_flat_scratch 0
		.amdhsa_float_round_mode_32 0
		.amdhsa_float_round_mode_16_64 0
		.amdhsa_float_denorm_mode_32 3
		.amdhsa_float_denorm_mode_16_64 3
		.amdhsa_dx10_clamp 1
		.amdhsa_ieee_mode 1
		.amdhsa_fp16_overflow 0
		.amdhsa_tg_split 0
		.amdhsa_exception_fp_ieee_invalid_op 0
		.amdhsa_exception_fp_denorm_src 0
		.amdhsa_exception_fp_ieee_div_zero 0
		.amdhsa_exception_fp_ieee_overflow 0
		.amdhsa_exception_fp_ieee_underflow 0
		.amdhsa_exception_fp_ieee_inexact 0
		.amdhsa_exception_int_div_zero 0
	.end_amdhsa_kernel
	.section	.text._ZN7rocprim17ROCPRIM_400000_NS6detail17trampoline_kernelINS0_14default_configENS1_25partition_config_selectorILNS1_17partition_subalgoE0EtNS0_10empty_typeEbEEZZNS1_14partition_implILS5_0ELb0ES3_jN6thrust23THRUST_200600_302600_NS6detail15normal_iteratorINSA_10device_ptrItEEEEPS6_SG_NS0_5tupleIJNSA_16discard_iteratorINSA_11use_defaultEEESK_EEENSH_IJSG_SG_EEES6_PlJ7is_evenItEEEE10hipError_tPvRmT3_T4_T5_T6_T7_T9_mT8_P12ihipStream_tbDpT10_ENKUlT_T0_E_clISt17integral_constantIbLb1EES19_EEDaS14_S15_EUlS14_E_NS1_11comp_targetILNS1_3genE4ELNS1_11target_archE910ELNS1_3gpuE8ELNS1_3repE0EEENS1_30default_config_static_selectorELNS0_4arch9wavefront6targetE1EEEvT1_,"axG",@progbits,_ZN7rocprim17ROCPRIM_400000_NS6detail17trampoline_kernelINS0_14default_configENS1_25partition_config_selectorILNS1_17partition_subalgoE0EtNS0_10empty_typeEbEEZZNS1_14partition_implILS5_0ELb0ES3_jN6thrust23THRUST_200600_302600_NS6detail15normal_iteratorINSA_10device_ptrItEEEEPS6_SG_NS0_5tupleIJNSA_16discard_iteratorINSA_11use_defaultEEESK_EEENSH_IJSG_SG_EEES6_PlJ7is_evenItEEEE10hipError_tPvRmT3_T4_T5_T6_T7_T9_mT8_P12ihipStream_tbDpT10_ENKUlT_T0_E_clISt17integral_constantIbLb1EES19_EEDaS14_S15_EUlS14_E_NS1_11comp_targetILNS1_3genE4ELNS1_11target_archE910ELNS1_3gpuE8ELNS1_3repE0EEENS1_30default_config_static_selectorELNS0_4arch9wavefront6targetE1EEEvT1_,comdat
.Lfunc_end2501:
	.size	_ZN7rocprim17ROCPRIM_400000_NS6detail17trampoline_kernelINS0_14default_configENS1_25partition_config_selectorILNS1_17partition_subalgoE0EtNS0_10empty_typeEbEEZZNS1_14partition_implILS5_0ELb0ES3_jN6thrust23THRUST_200600_302600_NS6detail15normal_iteratorINSA_10device_ptrItEEEEPS6_SG_NS0_5tupleIJNSA_16discard_iteratorINSA_11use_defaultEEESK_EEENSH_IJSG_SG_EEES6_PlJ7is_evenItEEEE10hipError_tPvRmT3_T4_T5_T6_T7_T9_mT8_P12ihipStream_tbDpT10_ENKUlT_T0_E_clISt17integral_constantIbLb1EES19_EEDaS14_S15_EUlS14_E_NS1_11comp_targetILNS1_3genE4ELNS1_11target_archE910ELNS1_3gpuE8ELNS1_3repE0EEENS1_30default_config_static_selectorELNS0_4arch9wavefront6targetE1EEEvT1_, .Lfunc_end2501-_ZN7rocprim17ROCPRIM_400000_NS6detail17trampoline_kernelINS0_14default_configENS1_25partition_config_selectorILNS1_17partition_subalgoE0EtNS0_10empty_typeEbEEZZNS1_14partition_implILS5_0ELb0ES3_jN6thrust23THRUST_200600_302600_NS6detail15normal_iteratorINSA_10device_ptrItEEEEPS6_SG_NS0_5tupleIJNSA_16discard_iteratorINSA_11use_defaultEEESK_EEENSH_IJSG_SG_EEES6_PlJ7is_evenItEEEE10hipError_tPvRmT3_T4_T5_T6_T7_T9_mT8_P12ihipStream_tbDpT10_ENKUlT_T0_E_clISt17integral_constantIbLb1EES19_EEDaS14_S15_EUlS14_E_NS1_11comp_targetILNS1_3genE4ELNS1_11target_archE910ELNS1_3gpuE8ELNS1_3repE0EEENS1_30default_config_static_selectorELNS0_4arch9wavefront6targetE1EEEvT1_
                                        ; -- End function
	.section	.AMDGPU.csdata,"",@progbits
; Kernel info:
; codeLenInByte = 6644
; NumSgprs: 40
; NumVgprs: 115
; NumAgprs: 0
; TotalNumVgprs: 115
; ScratchSize: 0
; MemoryBound: 0
; FloatMode: 240
; IeeeMode: 1
; LDSByteSize: 14344 bytes/workgroup (compile time only)
; SGPRBlocks: 4
; VGPRBlocks: 14
; NumSGPRsForWavesPerEU: 40
; NumVGPRsForWavesPerEU: 115
; AccumOffset: 116
; Occupancy: 4
; WaveLimiterHint : 1
; COMPUTE_PGM_RSRC2:SCRATCH_EN: 0
; COMPUTE_PGM_RSRC2:USER_SGPR: 6
; COMPUTE_PGM_RSRC2:TRAP_HANDLER: 0
; COMPUTE_PGM_RSRC2:TGID_X_EN: 1
; COMPUTE_PGM_RSRC2:TGID_Y_EN: 0
; COMPUTE_PGM_RSRC2:TGID_Z_EN: 0
; COMPUTE_PGM_RSRC2:TIDIG_COMP_CNT: 0
; COMPUTE_PGM_RSRC3_GFX90A:ACCUM_OFFSET: 28
; COMPUTE_PGM_RSRC3_GFX90A:TG_SPLIT: 0
	.section	.text._ZN7rocprim17ROCPRIM_400000_NS6detail17trampoline_kernelINS0_14default_configENS1_25partition_config_selectorILNS1_17partition_subalgoE0EtNS0_10empty_typeEbEEZZNS1_14partition_implILS5_0ELb0ES3_jN6thrust23THRUST_200600_302600_NS6detail15normal_iteratorINSA_10device_ptrItEEEEPS6_SG_NS0_5tupleIJNSA_16discard_iteratorINSA_11use_defaultEEESK_EEENSH_IJSG_SG_EEES6_PlJ7is_evenItEEEE10hipError_tPvRmT3_T4_T5_T6_T7_T9_mT8_P12ihipStream_tbDpT10_ENKUlT_T0_E_clISt17integral_constantIbLb1EES19_EEDaS14_S15_EUlS14_E_NS1_11comp_targetILNS1_3genE3ELNS1_11target_archE908ELNS1_3gpuE7ELNS1_3repE0EEENS1_30default_config_static_selectorELNS0_4arch9wavefront6targetE1EEEvT1_,"axG",@progbits,_ZN7rocprim17ROCPRIM_400000_NS6detail17trampoline_kernelINS0_14default_configENS1_25partition_config_selectorILNS1_17partition_subalgoE0EtNS0_10empty_typeEbEEZZNS1_14partition_implILS5_0ELb0ES3_jN6thrust23THRUST_200600_302600_NS6detail15normal_iteratorINSA_10device_ptrItEEEEPS6_SG_NS0_5tupleIJNSA_16discard_iteratorINSA_11use_defaultEEESK_EEENSH_IJSG_SG_EEES6_PlJ7is_evenItEEEE10hipError_tPvRmT3_T4_T5_T6_T7_T9_mT8_P12ihipStream_tbDpT10_ENKUlT_T0_E_clISt17integral_constantIbLb1EES19_EEDaS14_S15_EUlS14_E_NS1_11comp_targetILNS1_3genE3ELNS1_11target_archE908ELNS1_3gpuE7ELNS1_3repE0EEENS1_30default_config_static_selectorELNS0_4arch9wavefront6targetE1EEEvT1_,comdat
	.protected	_ZN7rocprim17ROCPRIM_400000_NS6detail17trampoline_kernelINS0_14default_configENS1_25partition_config_selectorILNS1_17partition_subalgoE0EtNS0_10empty_typeEbEEZZNS1_14partition_implILS5_0ELb0ES3_jN6thrust23THRUST_200600_302600_NS6detail15normal_iteratorINSA_10device_ptrItEEEEPS6_SG_NS0_5tupleIJNSA_16discard_iteratorINSA_11use_defaultEEESK_EEENSH_IJSG_SG_EEES6_PlJ7is_evenItEEEE10hipError_tPvRmT3_T4_T5_T6_T7_T9_mT8_P12ihipStream_tbDpT10_ENKUlT_T0_E_clISt17integral_constantIbLb1EES19_EEDaS14_S15_EUlS14_E_NS1_11comp_targetILNS1_3genE3ELNS1_11target_archE908ELNS1_3gpuE7ELNS1_3repE0EEENS1_30default_config_static_selectorELNS0_4arch9wavefront6targetE1EEEvT1_ ; -- Begin function _ZN7rocprim17ROCPRIM_400000_NS6detail17trampoline_kernelINS0_14default_configENS1_25partition_config_selectorILNS1_17partition_subalgoE0EtNS0_10empty_typeEbEEZZNS1_14partition_implILS5_0ELb0ES3_jN6thrust23THRUST_200600_302600_NS6detail15normal_iteratorINSA_10device_ptrItEEEEPS6_SG_NS0_5tupleIJNSA_16discard_iteratorINSA_11use_defaultEEESK_EEENSH_IJSG_SG_EEES6_PlJ7is_evenItEEEE10hipError_tPvRmT3_T4_T5_T6_T7_T9_mT8_P12ihipStream_tbDpT10_ENKUlT_T0_E_clISt17integral_constantIbLb1EES19_EEDaS14_S15_EUlS14_E_NS1_11comp_targetILNS1_3genE3ELNS1_11target_archE908ELNS1_3gpuE7ELNS1_3repE0EEENS1_30default_config_static_selectorELNS0_4arch9wavefront6targetE1EEEvT1_
	.globl	_ZN7rocprim17ROCPRIM_400000_NS6detail17trampoline_kernelINS0_14default_configENS1_25partition_config_selectorILNS1_17partition_subalgoE0EtNS0_10empty_typeEbEEZZNS1_14partition_implILS5_0ELb0ES3_jN6thrust23THRUST_200600_302600_NS6detail15normal_iteratorINSA_10device_ptrItEEEEPS6_SG_NS0_5tupleIJNSA_16discard_iteratorINSA_11use_defaultEEESK_EEENSH_IJSG_SG_EEES6_PlJ7is_evenItEEEE10hipError_tPvRmT3_T4_T5_T6_T7_T9_mT8_P12ihipStream_tbDpT10_ENKUlT_T0_E_clISt17integral_constantIbLb1EES19_EEDaS14_S15_EUlS14_E_NS1_11comp_targetILNS1_3genE3ELNS1_11target_archE908ELNS1_3gpuE7ELNS1_3repE0EEENS1_30default_config_static_selectorELNS0_4arch9wavefront6targetE1EEEvT1_
	.p2align	8
	.type	_ZN7rocprim17ROCPRIM_400000_NS6detail17trampoline_kernelINS0_14default_configENS1_25partition_config_selectorILNS1_17partition_subalgoE0EtNS0_10empty_typeEbEEZZNS1_14partition_implILS5_0ELb0ES3_jN6thrust23THRUST_200600_302600_NS6detail15normal_iteratorINSA_10device_ptrItEEEEPS6_SG_NS0_5tupleIJNSA_16discard_iteratorINSA_11use_defaultEEESK_EEENSH_IJSG_SG_EEES6_PlJ7is_evenItEEEE10hipError_tPvRmT3_T4_T5_T6_T7_T9_mT8_P12ihipStream_tbDpT10_ENKUlT_T0_E_clISt17integral_constantIbLb1EES19_EEDaS14_S15_EUlS14_E_NS1_11comp_targetILNS1_3genE3ELNS1_11target_archE908ELNS1_3gpuE7ELNS1_3repE0EEENS1_30default_config_static_selectorELNS0_4arch9wavefront6targetE1EEEvT1_,@function
_ZN7rocprim17ROCPRIM_400000_NS6detail17trampoline_kernelINS0_14default_configENS1_25partition_config_selectorILNS1_17partition_subalgoE0EtNS0_10empty_typeEbEEZZNS1_14partition_implILS5_0ELb0ES3_jN6thrust23THRUST_200600_302600_NS6detail15normal_iteratorINSA_10device_ptrItEEEEPS6_SG_NS0_5tupleIJNSA_16discard_iteratorINSA_11use_defaultEEESK_EEENSH_IJSG_SG_EEES6_PlJ7is_evenItEEEE10hipError_tPvRmT3_T4_T5_T6_T7_T9_mT8_P12ihipStream_tbDpT10_ENKUlT_T0_E_clISt17integral_constantIbLb1EES19_EEDaS14_S15_EUlS14_E_NS1_11comp_targetILNS1_3genE3ELNS1_11target_archE908ELNS1_3gpuE7ELNS1_3repE0EEENS1_30default_config_static_selectorELNS0_4arch9wavefront6targetE1EEEvT1_: ; @_ZN7rocprim17ROCPRIM_400000_NS6detail17trampoline_kernelINS0_14default_configENS1_25partition_config_selectorILNS1_17partition_subalgoE0EtNS0_10empty_typeEbEEZZNS1_14partition_implILS5_0ELb0ES3_jN6thrust23THRUST_200600_302600_NS6detail15normal_iteratorINSA_10device_ptrItEEEEPS6_SG_NS0_5tupleIJNSA_16discard_iteratorINSA_11use_defaultEEESK_EEENSH_IJSG_SG_EEES6_PlJ7is_evenItEEEE10hipError_tPvRmT3_T4_T5_T6_T7_T9_mT8_P12ihipStream_tbDpT10_ENKUlT_T0_E_clISt17integral_constantIbLb1EES19_EEDaS14_S15_EUlS14_E_NS1_11comp_targetILNS1_3genE3ELNS1_11target_archE908ELNS1_3gpuE7ELNS1_3repE0EEENS1_30default_config_static_selectorELNS0_4arch9wavefront6targetE1EEEvT1_
; %bb.0:
	.section	.rodata,"a",@progbits
	.p2align	6, 0x0
	.amdhsa_kernel _ZN7rocprim17ROCPRIM_400000_NS6detail17trampoline_kernelINS0_14default_configENS1_25partition_config_selectorILNS1_17partition_subalgoE0EtNS0_10empty_typeEbEEZZNS1_14partition_implILS5_0ELb0ES3_jN6thrust23THRUST_200600_302600_NS6detail15normal_iteratorINSA_10device_ptrItEEEEPS6_SG_NS0_5tupleIJNSA_16discard_iteratorINSA_11use_defaultEEESK_EEENSH_IJSG_SG_EEES6_PlJ7is_evenItEEEE10hipError_tPvRmT3_T4_T5_T6_T7_T9_mT8_P12ihipStream_tbDpT10_ENKUlT_T0_E_clISt17integral_constantIbLb1EES19_EEDaS14_S15_EUlS14_E_NS1_11comp_targetILNS1_3genE3ELNS1_11target_archE908ELNS1_3gpuE7ELNS1_3repE0EEENS1_30default_config_static_selectorELNS0_4arch9wavefront6targetE1EEEvT1_
		.amdhsa_group_segment_fixed_size 0
		.amdhsa_private_segment_fixed_size 0
		.amdhsa_kernarg_size 152
		.amdhsa_user_sgpr_count 6
		.amdhsa_user_sgpr_private_segment_buffer 1
		.amdhsa_user_sgpr_dispatch_ptr 0
		.amdhsa_user_sgpr_queue_ptr 0
		.amdhsa_user_sgpr_kernarg_segment_ptr 1
		.amdhsa_user_sgpr_dispatch_id 0
		.amdhsa_user_sgpr_flat_scratch_init 0
		.amdhsa_user_sgpr_kernarg_preload_length 0
		.amdhsa_user_sgpr_kernarg_preload_offset 0
		.amdhsa_user_sgpr_private_segment_size 0
		.amdhsa_uses_dynamic_stack 0
		.amdhsa_system_sgpr_private_segment_wavefront_offset 0
		.amdhsa_system_sgpr_workgroup_id_x 1
		.amdhsa_system_sgpr_workgroup_id_y 0
		.amdhsa_system_sgpr_workgroup_id_z 0
		.amdhsa_system_sgpr_workgroup_info 0
		.amdhsa_system_vgpr_workitem_id 0
		.amdhsa_next_free_vgpr 1
		.amdhsa_next_free_sgpr 0
		.amdhsa_accum_offset 4
		.amdhsa_reserve_vcc 0
		.amdhsa_reserve_flat_scratch 0
		.amdhsa_float_round_mode_32 0
		.amdhsa_float_round_mode_16_64 0
		.amdhsa_float_denorm_mode_32 3
		.amdhsa_float_denorm_mode_16_64 3
		.amdhsa_dx10_clamp 1
		.amdhsa_ieee_mode 1
		.amdhsa_fp16_overflow 0
		.amdhsa_tg_split 0
		.amdhsa_exception_fp_ieee_invalid_op 0
		.amdhsa_exception_fp_denorm_src 0
		.amdhsa_exception_fp_ieee_div_zero 0
		.amdhsa_exception_fp_ieee_overflow 0
		.amdhsa_exception_fp_ieee_underflow 0
		.amdhsa_exception_fp_ieee_inexact 0
		.amdhsa_exception_int_div_zero 0
	.end_amdhsa_kernel
	.section	.text._ZN7rocprim17ROCPRIM_400000_NS6detail17trampoline_kernelINS0_14default_configENS1_25partition_config_selectorILNS1_17partition_subalgoE0EtNS0_10empty_typeEbEEZZNS1_14partition_implILS5_0ELb0ES3_jN6thrust23THRUST_200600_302600_NS6detail15normal_iteratorINSA_10device_ptrItEEEEPS6_SG_NS0_5tupleIJNSA_16discard_iteratorINSA_11use_defaultEEESK_EEENSH_IJSG_SG_EEES6_PlJ7is_evenItEEEE10hipError_tPvRmT3_T4_T5_T6_T7_T9_mT8_P12ihipStream_tbDpT10_ENKUlT_T0_E_clISt17integral_constantIbLb1EES19_EEDaS14_S15_EUlS14_E_NS1_11comp_targetILNS1_3genE3ELNS1_11target_archE908ELNS1_3gpuE7ELNS1_3repE0EEENS1_30default_config_static_selectorELNS0_4arch9wavefront6targetE1EEEvT1_,"axG",@progbits,_ZN7rocprim17ROCPRIM_400000_NS6detail17trampoline_kernelINS0_14default_configENS1_25partition_config_selectorILNS1_17partition_subalgoE0EtNS0_10empty_typeEbEEZZNS1_14partition_implILS5_0ELb0ES3_jN6thrust23THRUST_200600_302600_NS6detail15normal_iteratorINSA_10device_ptrItEEEEPS6_SG_NS0_5tupleIJNSA_16discard_iteratorINSA_11use_defaultEEESK_EEENSH_IJSG_SG_EEES6_PlJ7is_evenItEEEE10hipError_tPvRmT3_T4_T5_T6_T7_T9_mT8_P12ihipStream_tbDpT10_ENKUlT_T0_E_clISt17integral_constantIbLb1EES19_EEDaS14_S15_EUlS14_E_NS1_11comp_targetILNS1_3genE3ELNS1_11target_archE908ELNS1_3gpuE7ELNS1_3repE0EEENS1_30default_config_static_selectorELNS0_4arch9wavefront6targetE1EEEvT1_,comdat
.Lfunc_end2502:
	.size	_ZN7rocprim17ROCPRIM_400000_NS6detail17trampoline_kernelINS0_14default_configENS1_25partition_config_selectorILNS1_17partition_subalgoE0EtNS0_10empty_typeEbEEZZNS1_14partition_implILS5_0ELb0ES3_jN6thrust23THRUST_200600_302600_NS6detail15normal_iteratorINSA_10device_ptrItEEEEPS6_SG_NS0_5tupleIJNSA_16discard_iteratorINSA_11use_defaultEEESK_EEENSH_IJSG_SG_EEES6_PlJ7is_evenItEEEE10hipError_tPvRmT3_T4_T5_T6_T7_T9_mT8_P12ihipStream_tbDpT10_ENKUlT_T0_E_clISt17integral_constantIbLb1EES19_EEDaS14_S15_EUlS14_E_NS1_11comp_targetILNS1_3genE3ELNS1_11target_archE908ELNS1_3gpuE7ELNS1_3repE0EEENS1_30default_config_static_selectorELNS0_4arch9wavefront6targetE1EEEvT1_, .Lfunc_end2502-_ZN7rocprim17ROCPRIM_400000_NS6detail17trampoline_kernelINS0_14default_configENS1_25partition_config_selectorILNS1_17partition_subalgoE0EtNS0_10empty_typeEbEEZZNS1_14partition_implILS5_0ELb0ES3_jN6thrust23THRUST_200600_302600_NS6detail15normal_iteratorINSA_10device_ptrItEEEEPS6_SG_NS0_5tupleIJNSA_16discard_iteratorINSA_11use_defaultEEESK_EEENSH_IJSG_SG_EEES6_PlJ7is_evenItEEEE10hipError_tPvRmT3_T4_T5_T6_T7_T9_mT8_P12ihipStream_tbDpT10_ENKUlT_T0_E_clISt17integral_constantIbLb1EES19_EEDaS14_S15_EUlS14_E_NS1_11comp_targetILNS1_3genE3ELNS1_11target_archE908ELNS1_3gpuE7ELNS1_3repE0EEENS1_30default_config_static_selectorELNS0_4arch9wavefront6targetE1EEEvT1_
                                        ; -- End function
	.section	.AMDGPU.csdata,"",@progbits
; Kernel info:
; codeLenInByte = 0
; NumSgprs: 4
; NumVgprs: 0
; NumAgprs: 0
; TotalNumVgprs: 0
; ScratchSize: 0
; MemoryBound: 0
; FloatMode: 240
; IeeeMode: 1
; LDSByteSize: 0 bytes/workgroup (compile time only)
; SGPRBlocks: 0
; VGPRBlocks: 0
; NumSGPRsForWavesPerEU: 4
; NumVGPRsForWavesPerEU: 1
; AccumOffset: 4
; Occupancy: 8
; WaveLimiterHint : 0
; COMPUTE_PGM_RSRC2:SCRATCH_EN: 0
; COMPUTE_PGM_RSRC2:USER_SGPR: 6
; COMPUTE_PGM_RSRC2:TRAP_HANDLER: 0
; COMPUTE_PGM_RSRC2:TGID_X_EN: 1
; COMPUTE_PGM_RSRC2:TGID_Y_EN: 0
; COMPUTE_PGM_RSRC2:TGID_Z_EN: 0
; COMPUTE_PGM_RSRC2:TIDIG_COMP_CNT: 0
; COMPUTE_PGM_RSRC3_GFX90A:ACCUM_OFFSET: 0
; COMPUTE_PGM_RSRC3_GFX90A:TG_SPLIT: 0
	.section	.text._ZN7rocprim17ROCPRIM_400000_NS6detail17trampoline_kernelINS0_14default_configENS1_25partition_config_selectorILNS1_17partition_subalgoE0EtNS0_10empty_typeEbEEZZNS1_14partition_implILS5_0ELb0ES3_jN6thrust23THRUST_200600_302600_NS6detail15normal_iteratorINSA_10device_ptrItEEEEPS6_SG_NS0_5tupleIJNSA_16discard_iteratorINSA_11use_defaultEEESK_EEENSH_IJSG_SG_EEES6_PlJ7is_evenItEEEE10hipError_tPvRmT3_T4_T5_T6_T7_T9_mT8_P12ihipStream_tbDpT10_ENKUlT_T0_E_clISt17integral_constantIbLb1EES19_EEDaS14_S15_EUlS14_E_NS1_11comp_targetILNS1_3genE2ELNS1_11target_archE906ELNS1_3gpuE6ELNS1_3repE0EEENS1_30default_config_static_selectorELNS0_4arch9wavefront6targetE1EEEvT1_,"axG",@progbits,_ZN7rocprim17ROCPRIM_400000_NS6detail17trampoline_kernelINS0_14default_configENS1_25partition_config_selectorILNS1_17partition_subalgoE0EtNS0_10empty_typeEbEEZZNS1_14partition_implILS5_0ELb0ES3_jN6thrust23THRUST_200600_302600_NS6detail15normal_iteratorINSA_10device_ptrItEEEEPS6_SG_NS0_5tupleIJNSA_16discard_iteratorINSA_11use_defaultEEESK_EEENSH_IJSG_SG_EEES6_PlJ7is_evenItEEEE10hipError_tPvRmT3_T4_T5_T6_T7_T9_mT8_P12ihipStream_tbDpT10_ENKUlT_T0_E_clISt17integral_constantIbLb1EES19_EEDaS14_S15_EUlS14_E_NS1_11comp_targetILNS1_3genE2ELNS1_11target_archE906ELNS1_3gpuE6ELNS1_3repE0EEENS1_30default_config_static_selectorELNS0_4arch9wavefront6targetE1EEEvT1_,comdat
	.protected	_ZN7rocprim17ROCPRIM_400000_NS6detail17trampoline_kernelINS0_14default_configENS1_25partition_config_selectorILNS1_17partition_subalgoE0EtNS0_10empty_typeEbEEZZNS1_14partition_implILS5_0ELb0ES3_jN6thrust23THRUST_200600_302600_NS6detail15normal_iteratorINSA_10device_ptrItEEEEPS6_SG_NS0_5tupleIJNSA_16discard_iteratorINSA_11use_defaultEEESK_EEENSH_IJSG_SG_EEES6_PlJ7is_evenItEEEE10hipError_tPvRmT3_T4_T5_T6_T7_T9_mT8_P12ihipStream_tbDpT10_ENKUlT_T0_E_clISt17integral_constantIbLb1EES19_EEDaS14_S15_EUlS14_E_NS1_11comp_targetILNS1_3genE2ELNS1_11target_archE906ELNS1_3gpuE6ELNS1_3repE0EEENS1_30default_config_static_selectorELNS0_4arch9wavefront6targetE1EEEvT1_ ; -- Begin function _ZN7rocprim17ROCPRIM_400000_NS6detail17trampoline_kernelINS0_14default_configENS1_25partition_config_selectorILNS1_17partition_subalgoE0EtNS0_10empty_typeEbEEZZNS1_14partition_implILS5_0ELb0ES3_jN6thrust23THRUST_200600_302600_NS6detail15normal_iteratorINSA_10device_ptrItEEEEPS6_SG_NS0_5tupleIJNSA_16discard_iteratorINSA_11use_defaultEEESK_EEENSH_IJSG_SG_EEES6_PlJ7is_evenItEEEE10hipError_tPvRmT3_T4_T5_T6_T7_T9_mT8_P12ihipStream_tbDpT10_ENKUlT_T0_E_clISt17integral_constantIbLb1EES19_EEDaS14_S15_EUlS14_E_NS1_11comp_targetILNS1_3genE2ELNS1_11target_archE906ELNS1_3gpuE6ELNS1_3repE0EEENS1_30default_config_static_selectorELNS0_4arch9wavefront6targetE1EEEvT1_
	.globl	_ZN7rocprim17ROCPRIM_400000_NS6detail17trampoline_kernelINS0_14default_configENS1_25partition_config_selectorILNS1_17partition_subalgoE0EtNS0_10empty_typeEbEEZZNS1_14partition_implILS5_0ELb0ES3_jN6thrust23THRUST_200600_302600_NS6detail15normal_iteratorINSA_10device_ptrItEEEEPS6_SG_NS0_5tupleIJNSA_16discard_iteratorINSA_11use_defaultEEESK_EEENSH_IJSG_SG_EEES6_PlJ7is_evenItEEEE10hipError_tPvRmT3_T4_T5_T6_T7_T9_mT8_P12ihipStream_tbDpT10_ENKUlT_T0_E_clISt17integral_constantIbLb1EES19_EEDaS14_S15_EUlS14_E_NS1_11comp_targetILNS1_3genE2ELNS1_11target_archE906ELNS1_3gpuE6ELNS1_3repE0EEENS1_30default_config_static_selectorELNS0_4arch9wavefront6targetE1EEEvT1_
	.p2align	8
	.type	_ZN7rocprim17ROCPRIM_400000_NS6detail17trampoline_kernelINS0_14default_configENS1_25partition_config_selectorILNS1_17partition_subalgoE0EtNS0_10empty_typeEbEEZZNS1_14partition_implILS5_0ELb0ES3_jN6thrust23THRUST_200600_302600_NS6detail15normal_iteratorINSA_10device_ptrItEEEEPS6_SG_NS0_5tupleIJNSA_16discard_iteratorINSA_11use_defaultEEESK_EEENSH_IJSG_SG_EEES6_PlJ7is_evenItEEEE10hipError_tPvRmT3_T4_T5_T6_T7_T9_mT8_P12ihipStream_tbDpT10_ENKUlT_T0_E_clISt17integral_constantIbLb1EES19_EEDaS14_S15_EUlS14_E_NS1_11comp_targetILNS1_3genE2ELNS1_11target_archE906ELNS1_3gpuE6ELNS1_3repE0EEENS1_30default_config_static_selectorELNS0_4arch9wavefront6targetE1EEEvT1_,@function
_ZN7rocprim17ROCPRIM_400000_NS6detail17trampoline_kernelINS0_14default_configENS1_25partition_config_selectorILNS1_17partition_subalgoE0EtNS0_10empty_typeEbEEZZNS1_14partition_implILS5_0ELb0ES3_jN6thrust23THRUST_200600_302600_NS6detail15normal_iteratorINSA_10device_ptrItEEEEPS6_SG_NS0_5tupleIJNSA_16discard_iteratorINSA_11use_defaultEEESK_EEENSH_IJSG_SG_EEES6_PlJ7is_evenItEEEE10hipError_tPvRmT3_T4_T5_T6_T7_T9_mT8_P12ihipStream_tbDpT10_ENKUlT_T0_E_clISt17integral_constantIbLb1EES19_EEDaS14_S15_EUlS14_E_NS1_11comp_targetILNS1_3genE2ELNS1_11target_archE906ELNS1_3gpuE6ELNS1_3repE0EEENS1_30default_config_static_selectorELNS0_4arch9wavefront6targetE1EEEvT1_: ; @_ZN7rocprim17ROCPRIM_400000_NS6detail17trampoline_kernelINS0_14default_configENS1_25partition_config_selectorILNS1_17partition_subalgoE0EtNS0_10empty_typeEbEEZZNS1_14partition_implILS5_0ELb0ES3_jN6thrust23THRUST_200600_302600_NS6detail15normal_iteratorINSA_10device_ptrItEEEEPS6_SG_NS0_5tupleIJNSA_16discard_iteratorINSA_11use_defaultEEESK_EEENSH_IJSG_SG_EEES6_PlJ7is_evenItEEEE10hipError_tPvRmT3_T4_T5_T6_T7_T9_mT8_P12ihipStream_tbDpT10_ENKUlT_T0_E_clISt17integral_constantIbLb1EES19_EEDaS14_S15_EUlS14_E_NS1_11comp_targetILNS1_3genE2ELNS1_11target_archE906ELNS1_3gpuE6ELNS1_3repE0EEENS1_30default_config_static_selectorELNS0_4arch9wavefront6targetE1EEEvT1_
; %bb.0:
	.section	.rodata,"a",@progbits
	.p2align	6, 0x0
	.amdhsa_kernel _ZN7rocprim17ROCPRIM_400000_NS6detail17trampoline_kernelINS0_14default_configENS1_25partition_config_selectorILNS1_17partition_subalgoE0EtNS0_10empty_typeEbEEZZNS1_14partition_implILS5_0ELb0ES3_jN6thrust23THRUST_200600_302600_NS6detail15normal_iteratorINSA_10device_ptrItEEEEPS6_SG_NS0_5tupleIJNSA_16discard_iteratorINSA_11use_defaultEEESK_EEENSH_IJSG_SG_EEES6_PlJ7is_evenItEEEE10hipError_tPvRmT3_T4_T5_T6_T7_T9_mT8_P12ihipStream_tbDpT10_ENKUlT_T0_E_clISt17integral_constantIbLb1EES19_EEDaS14_S15_EUlS14_E_NS1_11comp_targetILNS1_3genE2ELNS1_11target_archE906ELNS1_3gpuE6ELNS1_3repE0EEENS1_30default_config_static_selectorELNS0_4arch9wavefront6targetE1EEEvT1_
		.amdhsa_group_segment_fixed_size 0
		.amdhsa_private_segment_fixed_size 0
		.amdhsa_kernarg_size 152
		.amdhsa_user_sgpr_count 6
		.amdhsa_user_sgpr_private_segment_buffer 1
		.amdhsa_user_sgpr_dispatch_ptr 0
		.amdhsa_user_sgpr_queue_ptr 0
		.amdhsa_user_sgpr_kernarg_segment_ptr 1
		.amdhsa_user_sgpr_dispatch_id 0
		.amdhsa_user_sgpr_flat_scratch_init 0
		.amdhsa_user_sgpr_kernarg_preload_length 0
		.amdhsa_user_sgpr_kernarg_preload_offset 0
		.amdhsa_user_sgpr_private_segment_size 0
		.amdhsa_uses_dynamic_stack 0
		.amdhsa_system_sgpr_private_segment_wavefront_offset 0
		.amdhsa_system_sgpr_workgroup_id_x 1
		.amdhsa_system_sgpr_workgroup_id_y 0
		.amdhsa_system_sgpr_workgroup_id_z 0
		.amdhsa_system_sgpr_workgroup_info 0
		.amdhsa_system_vgpr_workitem_id 0
		.amdhsa_next_free_vgpr 1
		.amdhsa_next_free_sgpr 0
		.amdhsa_accum_offset 4
		.amdhsa_reserve_vcc 0
		.amdhsa_reserve_flat_scratch 0
		.amdhsa_float_round_mode_32 0
		.amdhsa_float_round_mode_16_64 0
		.amdhsa_float_denorm_mode_32 3
		.amdhsa_float_denorm_mode_16_64 3
		.amdhsa_dx10_clamp 1
		.amdhsa_ieee_mode 1
		.amdhsa_fp16_overflow 0
		.amdhsa_tg_split 0
		.amdhsa_exception_fp_ieee_invalid_op 0
		.amdhsa_exception_fp_denorm_src 0
		.amdhsa_exception_fp_ieee_div_zero 0
		.amdhsa_exception_fp_ieee_overflow 0
		.amdhsa_exception_fp_ieee_underflow 0
		.amdhsa_exception_fp_ieee_inexact 0
		.amdhsa_exception_int_div_zero 0
	.end_amdhsa_kernel
	.section	.text._ZN7rocprim17ROCPRIM_400000_NS6detail17trampoline_kernelINS0_14default_configENS1_25partition_config_selectorILNS1_17partition_subalgoE0EtNS0_10empty_typeEbEEZZNS1_14partition_implILS5_0ELb0ES3_jN6thrust23THRUST_200600_302600_NS6detail15normal_iteratorINSA_10device_ptrItEEEEPS6_SG_NS0_5tupleIJNSA_16discard_iteratorINSA_11use_defaultEEESK_EEENSH_IJSG_SG_EEES6_PlJ7is_evenItEEEE10hipError_tPvRmT3_T4_T5_T6_T7_T9_mT8_P12ihipStream_tbDpT10_ENKUlT_T0_E_clISt17integral_constantIbLb1EES19_EEDaS14_S15_EUlS14_E_NS1_11comp_targetILNS1_3genE2ELNS1_11target_archE906ELNS1_3gpuE6ELNS1_3repE0EEENS1_30default_config_static_selectorELNS0_4arch9wavefront6targetE1EEEvT1_,"axG",@progbits,_ZN7rocprim17ROCPRIM_400000_NS6detail17trampoline_kernelINS0_14default_configENS1_25partition_config_selectorILNS1_17partition_subalgoE0EtNS0_10empty_typeEbEEZZNS1_14partition_implILS5_0ELb0ES3_jN6thrust23THRUST_200600_302600_NS6detail15normal_iteratorINSA_10device_ptrItEEEEPS6_SG_NS0_5tupleIJNSA_16discard_iteratorINSA_11use_defaultEEESK_EEENSH_IJSG_SG_EEES6_PlJ7is_evenItEEEE10hipError_tPvRmT3_T4_T5_T6_T7_T9_mT8_P12ihipStream_tbDpT10_ENKUlT_T0_E_clISt17integral_constantIbLb1EES19_EEDaS14_S15_EUlS14_E_NS1_11comp_targetILNS1_3genE2ELNS1_11target_archE906ELNS1_3gpuE6ELNS1_3repE0EEENS1_30default_config_static_selectorELNS0_4arch9wavefront6targetE1EEEvT1_,comdat
.Lfunc_end2503:
	.size	_ZN7rocprim17ROCPRIM_400000_NS6detail17trampoline_kernelINS0_14default_configENS1_25partition_config_selectorILNS1_17partition_subalgoE0EtNS0_10empty_typeEbEEZZNS1_14partition_implILS5_0ELb0ES3_jN6thrust23THRUST_200600_302600_NS6detail15normal_iteratorINSA_10device_ptrItEEEEPS6_SG_NS0_5tupleIJNSA_16discard_iteratorINSA_11use_defaultEEESK_EEENSH_IJSG_SG_EEES6_PlJ7is_evenItEEEE10hipError_tPvRmT3_T4_T5_T6_T7_T9_mT8_P12ihipStream_tbDpT10_ENKUlT_T0_E_clISt17integral_constantIbLb1EES19_EEDaS14_S15_EUlS14_E_NS1_11comp_targetILNS1_3genE2ELNS1_11target_archE906ELNS1_3gpuE6ELNS1_3repE0EEENS1_30default_config_static_selectorELNS0_4arch9wavefront6targetE1EEEvT1_, .Lfunc_end2503-_ZN7rocprim17ROCPRIM_400000_NS6detail17trampoline_kernelINS0_14default_configENS1_25partition_config_selectorILNS1_17partition_subalgoE0EtNS0_10empty_typeEbEEZZNS1_14partition_implILS5_0ELb0ES3_jN6thrust23THRUST_200600_302600_NS6detail15normal_iteratorINSA_10device_ptrItEEEEPS6_SG_NS0_5tupleIJNSA_16discard_iteratorINSA_11use_defaultEEESK_EEENSH_IJSG_SG_EEES6_PlJ7is_evenItEEEE10hipError_tPvRmT3_T4_T5_T6_T7_T9_mT8_P12ihipStream_tbDpT10_ENKUlT_T0_E_clISt17integral_constantIbLb1EES19_EEDaS14_S15_EUlS14_E_NS1_11comp_targetILNS1_3genE2ELNS1_11target_archE906ELNS1_3gpuE6ELNS1_3repE0EEENS1_30default_config_static_selectorELNS0_4arch9wavefront6targetE1EEEvT1_
                                        ; -- End function
	.section	.AMDGPU.csdata,"",@progbits
; Kernel info:
; codeLenInByte = 0
; NumSgprs: 4
; NumVgprs: 0
; NumAgprs: 0
; TotalNumVgprs: 0
; ScratchSize: 0
; MemoryBound: 0
; FloatMode: 240
; IeeeMode: 1
; LDSByteSize: 0 bytes/workgroup (compile time only)
; SGPRBlocks: 0
; VGPRBlocks: 0
; NumSGPRsForWavesPerEU: 4
; NumVGPRsForWavesPerEU: 1
; AccumOffset: 4
; Occupancy: 8
; WaveLimiterHint : 0
; COMPUTE_PGM_RSRC2:SCRATCH_EN: 0
; COMPUTE_PGM_RSRC2:USER_SGPR: 6
; COMPUTE_PGM_RSRC2:TRAP_HANDLER: 0
; COMPUTE_PGM_RSRC2:TGID_X_EN: 1
; COMPUTE_PGM_RSRC2:TGID_Y_EN: 0
; COMPUTE_PGM_RSRC2:TGID_Z_EN: 0
; COMPUTE_PGM_RSRC2:TIDIG_COMP_CNT: 0
; COMPUTE_PGM_RSRC3_GFX90A:ACCUM_OFFSET: 0
; COMPUTE_PGM_RSRC3_GFX90A:TG_SPLIT: 0
	.section	.text._ZN7rocprim17ROCPRIM_400000_NS6detail17trampoline_kernelINS0_14default_configENS1_25partition_config_selectorILNS1_17partition_subalgoE0EtNS0_10empty_typeEbEEZZNS1_14partition_implILS5_0ELb0ES3_jN6thrust23THRUST_200600_302600_NS6detail15normal_iteratorINSA_10device_ptrItEEEEPS6_SG_NS0_5tupleIJNSA_16discard_iteratorINSA_11use_defaultEEESK_EEENSH_IJSG_SG_EEES6_PlJ7is_evenItEEEE10hipError_tPvRmT3_T4_T5_T6_T7_T9_mT8_P12ihipStream_tbDpT10_ENKUlT_T0_E_clISt17integral_constantIbLb1EES19_EEDaS14_S15_EUlS14_E_NS1_11comp_targetILNS1_3genE10ELNS1_11target_archE1200ELNS1_3gpuE4ELNS1_3repE0EEENS1_30default_config_static_selectorELNS0_4arch9wavefront6targetE1EEEvT1_,"axG",@progbits,_ZN7rocprim17ROCPRIM_400000_NS6detail17trampoline_kernelINS0_14default_configENS1_25partition_config_selectorILNS1_17partition_subalgoE0EtNS0_10empty_typeEbEEZZNS1_14partition_implILS5_0ELb0ES3_jN6thrust23THRUST_200600_302600_NS6detail15normal_iteratorINSA_10device_ptrItEEEEPS6_SG_NS0_5tupleIJNSA_16discard_iteratorINSA_11use_defaultEEESK_EEENSH_IJSG_SG_EEES6_PlJ7is_evenItEEEE10hipError_tPvRmT3_T4_T5_T6_T7_T9_mT8_P12ihipStream_tbDpT10_ENKUlT_T0_E_clISt17integral_constantIbLb1EES19_EEDaS14_S15_EUlS14_E_NS1_11comp_targetILNS1_3genE10ELNS1_11target_archE1200ELNS1_3gpuE4ELNS1_3repE0EEENS1_30default_config_static_selectorELNS0_4arch9wavefront6targetE1EEEvT1_,comdat
	.protected	_ZN7rocprim17ROCPRIM_400000_NS6detail17trampoline_kernelINS0_14default_configENS1_25partition_config_selectorILNS1_17partition_subalgoE0EtNS0_10empty_typeEbEEZZNS1_14partition_implILS5_0ELb0ES3_jN6thrust23THRUST_200600_302600_NS6detail15normal_iteratorINSA_10device_ptrItEEEEPS6_SG_NS0_5tupleIJNSA_16discard_iteratorINSA_11use_defaultEEESK_EEENSH_IJSG_SG_EEES6_PlJ7is_evenItEEEE10hipError_tPvRmT3_T4_T5_T6_T7_T9_mT8_P12ihipStream_tbDpT10_ENKUlT_T0_E_clISt17integral_constantIbLb1EES19_EEDaS14_S15_EUlS14_E_NS1_11comp_targetILNS1_3genE10ELNS1_11target_archE1200ELNS1_3gpuE4ELNS1_3repE0EEENS1_30default_config_static_selectorELNS0_4arch9wavefront6targetE1EEEvT1_ ; -- Begin function _ZN7rocprim17ROCPRIM_400000_NS6detail17trampoline_kernelINS0_14default_configENS1_25partition_config_selectorILNS1_17partition_subalgoE0EtNS0_10empty_typeEbEEZZNS1_14partition_implILS5_0ELb0ES3_jN6thrust23THRUST_200600_302600_NS6detail15normal_iteratorINSA_10device_ptrItEEEEPS6_SG_NS0_5tupleIJNSA_16discard_iteratorINSA_11use_defaultEEESK_EEENSH_IJSG_SG_EEES6_PlJ7is_evenItEEEE10hipError_tPvRmT3_T4_T5_T6_T7_T9_mT8_P12ihipStream_tbDpT10_ENKUlT_T0_E_clISt17integral_constantIbLb1EES19_EEDaS14_S15_EUlS14_E_NS1_11comp_targetILNS1_3genE10ELNS1_11target_archE1200ELNS1_3gpuE4ELNS1_3repE0EEENS1_30default_config_static_selectorELNS0_4arch9wavefront6targetE1EEEvT1_
	.globl	_ZN7rocprim17ROCPRIM_400000_NS6detail17trampoline_kernelINS0_14default_configENS1_25partition_config_selectorILNS1_17partition_subalgoE0EtNS0_10empty_typeEbEEZZNS1_14partition_implILS5_0ELb0ES3_jN6thrust23THRUST_200600_302600_NS6detail15normal_iteratorINSA_10device_ptrItEEEEPS6_SG_NS0_5tupleIJNSA_16discard_iteratorINSA_11use_defaultEEESK_EEENSH_IJSG_SG_EEES6_PlJ7is_evenItEEEE10hipError_tPvRmT3_T4_T5_T6_T7_T9_mT8_P12ihipStream_tbDpT10_ENKUlT_T0_E_clISt17integral_constantIbLb1EES19_EEDaS14_S15_EUlS14_E_NS1_11comp_targetILNS1_3genE10ELNS1_11target_archE1200ELNS1_3gpuE4ELNS1_3repE0EEENS1_30default_config_static_selectorELNS0_4arch9wavefront6targetE1EEEvT1_
	.p2align	8
	.type	_ZN7rocprim17ROCPRIM_400000_NS6detail17trampoline_kernelINS0_14default_configENS1_25partition_config_selectorILNS1_17partition_subalgoE0EtNS0_10empty_typeEbEEZZNS1_14partition_implILS5_0ELb0ES3_jN6thrust23THRUST_200600_302600_NS6detail15normal_iteratorINSA_10device_ptrItEEEEPS6_SG_NS0_5tupleIJNSA_16discard_iteratorINSA_11use_defaultEEESK_EEENSH_IJSG_SG_EEES6_PlJ7is_evenItEEEE10hipError_tPvRmT3_T4_T5_T6_T7_T9_mT8_P12ihipStream_tbDpT10_ENKUlT_T0_E_clISt17integral_constantIbLb1EES19_EEDaS14_S15_EUlS14_E_NS1_11comp_targetILNS1_3genE10ELNS1_11target_archE1200ELNS1_3gpuE4ELNS1_3repE0EEENS1_30default_config_static_selectorELNS0_4arch9wavefront6targetE1EEEvT1_,@function
_ZN7rocprim17ROCPRIM_400000_NS6detail17trampoline_kernelINS0_14default_configENS1_25partition_config_selectorILNS1_17partition_subalgoE0EtNS0_10empty_typeEbEEZZNS1_14partition_implILS5_0ELb0ES3_jN6thrust23THRUST_200600_302600_NS6detail15normal_iteratorINSA_10device_ptrItEEEEPS6_SG_NS0_5tupleIJNSA_16discard_iteratorINSA_11use_defaultEEESK_EEENSH_IJSG_SG_EEES6_PlJ7is_evenItEEEE10hipError_tPvRmT3_T4_T5_T6_T7_T9_mT8_P12ihipStream_tbDpT10_ENKUlT_T0_E_clISt17integral_constantIbLb1EES19_EEDaS14_S15_EUlS14_E_NS1_11comp_targetILNS1_3genE10ELNS1_11target_archE1200ELNS1_3gpuE4ELNS1_3repE0EEENS1_30default_config_static_selectorELNS0_4arch9wavefront6targetE1EEEvT1_: ; @_ZN7rocprim17ROCPRIM_400000_NS6detail17trampoline_kernelINS0_14default_configENS1_25partition_config_selectorILNS1_17partition_subalgoE0EtNS0_10empty_typeEbEEZZNS1_14partition_implILS5_0ELb0ES3_jN6thrust23THRUST_200600_302600_NS6detail15normal_iteratorINSA_10device_ptrItEEEEPS6_SG_NS0_5tupleIJNSA_16discard_iteratorINSA_11use_defaultEEESK_EEENSH_IJSG_SG_EEES6_PlJ7is_evenItEEEE10hipError_tPvRmT3_T4_T5_T6_T7_T9_mT8_P12ihipStream_tbDpT10_ENKUlT_T0_E_clISt17integral_constantIbLb1EES19_EEDaS14_S15_EUlS14_E_NS1_11comp_targetILNS1_3genE10ELNS1_11target_archE1200ELNS1_3gpuE4ELNS1_3repE0EEENS1_30default_config_static_selectorELNS0_4arch9wavefront6targetE1EEEvT1_
; %bb.0:
	.section	.rodata,"a",@progbits
	.p2align	6, 0x0
	.amdhsa_kernel _ZN7rocprim17ROCPRIM_400000_NS6detail17trampoline_kernelINS0_14default_configENS1_25partition_config_selectorILNS1_17partition_subalgoE0EtNS0_10empty_typeEbEEZZNS1_14partition_implILS5_0ELb0ES3_jN6thrust23THRUST_200600_302600_NS6detail15normal_iteratorINSA_10device_ptrItEEEEPS6_SG_NS0_5tupleIJNSA_16discard_iteratorINSA_11use_defaultEEESK_EEENSH_IJSG_SG_EEES6_PlJ7is_evenItEEEE10hipError_tPvRmT3_T4_T5_T6_T7_T9_mT8_P12ihipStream_tbDpT10_ENKUlT_T0_E_clISt17integral_constantIbLb1EES19_EEDaS14_S15_EUlS14_E_NS1_11comp_targetILNS1_3genE10ELNS1_11target_archE1200ELNS1_3gpuE4ELNS1_3repE0EEENS1_30default_config_static_selectorELNS0_4arch9wavefront6targetE1EEEvT1_
		.amdhsa_group_segment_fixed_size 0
		.amdhsa_private_segment_fixed_size 0
		.amdhsa_kernarg_size 152
		.amdhsa_user_sgpr_count 6
		.amdhsa_user_sgpr_private_segment_buffer 1
		.amdhsa_user_sgpr_dispatch_ptr 0
		.amdhsa_user_sgpr_queue_ptr 0
		.amdhsa_user_sgpr_kernarg_segment_ptr 1
		.amdhsa_user_sgpr_dispatch_id 0
		.amdhsa_user_sgpr_flat_scratch_init 0
		.amdhsa_user_sgpr_kernarg_preload_length 0
		.amdhsa_user_sgpr_kernarg_preload_offset 0
		.amdhsa_user_sgpr_private_segment_size 0
		.amdhsa_uses_dynamic_stack 0
		.amdhsa_system_sgpr_private_segment_wavefront_offset 0
		.amdhsa_system_sgpr_workgroup_id_x 1
		.amdhsa_system_sgpr_workgroup_id_y 0
		.amdhsa_system_sgpr_workgroup_id_z 0
		.amdhsa_system_sgpr_workgroup_info 0
		.amdhsa_system_vgpr_workitem_id 0
		.amdhsa_next_free_vgpr 1
		.amdhsa_next_free_sgpr 0
		.amdhsa_accum_offset 4
		.amdhsa_reserve_vcc 0
		.amdhsa_reserve_flat_scratch 0
		.amdhsa_float_round_mode_32 0
		.amdhsa_float_round_mode_16_64 0
		.amdhsa_float_denorm_mode_32 3
		.amdhsa_float_denorm_mode_16_64 3
		.amdhsa_dx10_clamp 1
		.amdhsa_ieee_mode 1
		.amdhsa_fp16_overflow 0
		.amdhsa_tg_split 0
		.amdhsa_exception_fp_ieee_invalid_op 0
		.amdhsa_exception_fp_denorm_src 0
		.amdhsa_exception_fp_ieee_div_zero 0
		.amdhsa_exception_fp_ieee_overflow 0
		.amdhsa_exception_fp_ieee_underflow 0
		.amdhsa_exception_fp_ieee_inexact 0
		.amdhsa_exception_int_div_zero 0
	.end_amdhsa_kernel
	.section	.text._ZN7rocprim17ROCPRIM_400000_NS6detail17trampoline_kernelINS0_14default_configENS1_25partition_config_selectorILNS1_17partition_subalgoE0EtNS0_10empty_typeEbEEZZNS1_14partition_implILS5_0ELb0ES3_jN6thrust23THRUST_200600_302600_NS6detail15normal_iteratorINSA_10device_ptrItEEEEPS6_SG_NS0_5tupleIJNSA_16discard_iteratorINSA_11use_defaultEEESK_EEENSH_IJSG_SG_EEES6_PlJ7is_evenItEEEE10hipError_tPvRmT3_T4_T5_T6_T7_T9_mT8_P12ihipStream_tbDpT10_ENKUlT_T0_E_clISt17integral_constantIbLb1EES19_EEDaS14_S15_EUlS14_E_NS1_11comp_targetILNS1_3genE10ELNS1_11target_archE1200ELNS1_3gpuE4ELNS1_3repE0EEENS1_30default_config_static_selectorELNS0_4arch9wavefront6targetE1EEEvT1_,"axG",@progbits,_ZN7rocprim17ROCPRIM_400000_NS6detail17trampoline_kernelINS0_14default_configENS1_25partition_config_selectorILNS1_17partition_subalgoE0EtNS0_10empty_typeEbEEZZNS1_14partition_implILS5_0ELb0ES3_jN6thrust23THRUST_200600_302600_NS6detail15normal_iteratorINSA_10device_ptrItEEEEPS6_SG_NS0_5tupleIJNSA_16discard_iteratorINSA_11use_defaultEEESK_EEENSH_IJSG_SG_EEES6_PlJ7is_evenItEEEE10hipError_tPvRmT3_T4_T5_T6_T7_T9_mT8_P12ihipStream_tbDpT10_ENKUlT_T0_E_clISt17integral_constantIbLb1EES19_EEDaS14_S15_EUlS14_E_NS1_11comp_targetILNS1_3genE10ELNS1_11target_archE1200ELNS1_3gpuE4ELNS1_3repE0EEENS1_30default_config_static_selectorELNS0_4arch9wavefront6targetE1EEEvT1_,comdat
.Lfunc_end2504:
	.size	_ZN7rocprim17ROCPRIM_400000_NS6detail17trampoline_kernelINS0_14default_configENS1_25partition_config_selectorILNS1_17partition_subalgoE0EtNS0_10empty_typeEbEEZZNS1_14partition_implILS5_0ELb0ES3_jN6thrust23THRUST_200600_302600_NS6detail15normal_iteratorINSA_10device_ptrItEEEEPS6_SG_NS0_5tupleIJNSA_16discard_iteratorINSA_11use_defaultEEESK_EEENSH_IJSG_SG_EEES6_PlJ7is_evenItEEEE10hipError_tPvRmT3_T4_T5_T6_T7_T9_mT8_P12ihipStream_tbDpT10_ENKUlT_T0_E_clISt17integral_constantIbLb1EES19_EEDaS14_S15_EUlS14_E_NS1_11comp_targetILNS1_3genE10ELNS1_11target_archE1200ELNS1_3gpuE4ELNS1_3repE0EEENS1_30default_config_static_selectorELNS0_4arch9wavefront6targetE1EEEvT1_, .Lfunc_end2504-_ZN7rocprim17ROCPRIM_400000_NS6detail17trampoline_kernelINS0_14default_configENS1_25partition_config_selectorILNS1_17partition_subalgoE0EtNS0_10empty_typeEbEEZZNS1_14partition_implILS5_0ELb0ES3_jN6thrust23THRUST_200600_302600_NS6detail15normal_iteratorINSA_10device_ptrItEEEEPS6_SG_NS0_5tupleIJNSA_16discard_iteratorINSA_11use_defaultEEESK_EEENSH_IJSG_SG_EEES6_PlJ7is_evenItEEEE10hipError_tPvRmT3_T4_T5_T6_T7_T9_mT8_P12ihipStream_tbDpT10_ENKUlT_T0_E_clISt17integral_constantIbLb1EES19_EEDaS14_S15_EUlS14_E_NS1_11comp_targetILNS1_3genE10ELNS1_11target_archE1200ELNS1_3gpuE4ELNS1_3repE0EEENS1_30default_config_static_selectorELNS0_4arch9wavefront6targetE1EEEvT1_
                                        ; -- End function
	.section	.AMDGPU.csdata,"",@progbits
; Kernel info:
; codeLenInByte = 0
; NumSgprs: 4
; NumVgprs: 0
; NumAgprs: 0
; TotalNumVgprs: 0
; ScratchSize: 0
; MemoryBound: 0
; FloatMode: 240
; IeeeMode: 1
; LDSByteSize: 0 bytes/workgroup (compile time only)
; SGPRBlocks: 0
; VGPRBlocks: 0
; NumSGPRsForWavesPerEU: 4
; NumVGPRsForWavesPerEU: 1
; AccumOffset: 4
; Occupancy: 8
; WaveLimiterHint : 0
; COMPUTE_PGM_RSRC2:SCRATCH_EN: 0
; COMPUTE_PGM_RSRC2:USER_SGPR: 6
; COMPUTE_PGM_RSRC2:TRAP_HANDLER: 0
; COMPUTE_PGM_RSRC2:TGID_X_EN: 1
; COMPUTE_PGM_RSRC2:TGID_Y_EN: 0
; COMPUTE_PGM_RSRC2:TGID_Z_EN: 0
; COMPUTE_PGM_RSRC2:TIDIG_COMP_CNT: 0
; COMPUTE_PGM_RSRC3_GFX90A:ACCUM_OFFSET: 0
; COMPUTE_PGM_RSRC3_GFX90A:TG_SPLIT: 0
	.section	.text._ZN7rocprim17ROCPRIM_400000_NS6detail17trampoline_kernelINS0_14default_configENS1_25partition_config_selectorILNS1_17partition_subalgoE0EtNS0_10empty_typeEbEEZZNS1_14partition_implILS5_0ELb0ES3_jN6thrust23THRUST_200600_302600_NS6detail15normal_iteratorINSA_10device_ptrItEEEEPS6_SG_NS0_5tupleIJNSA_16discard_iteratorINSA_11use_defaultEEESK_EEENSH_IJSG_SG_EEES6_PlJ7is_evenItEEEE10hipError_tPvRmT3_T4_T5_T6_T7_T9_mT8_P12ihipStream_tbDpT10_ENKUlT_T0_E_clISt17integral_constantIbLb1EES19_EEDaS14_S15_EUlS14_E_NS1_11comp_targetILNS1_3genE9ELNS1_11target_archE1100ELNS1_3gpuE3ELNS1_3repE0EEENS1_30default_config_static_selectorELNS0_4arch9wavefront6targetE1EEEvT1_,"axG",@progbits,_ZN7rocprim17ROCPRIM_400000_NS6detail17trampoline_kernelINS0_14default_configENS1_25partition_config_selectorILNS1_17partition_subalgoE0EtNS0_10empty_typeEbEEZZNS1_14partition_implILS5_0ELb0ES3_jN6thrust23THRUST_200600_302600_NS6detail15normal_iteratorINSA_10device_ptrItEEEEPS6_SG_NS0_5tupleIJNSA_16discard_iteratorINSA_11use_defaultEEESK_EEENSH_IJSG_SG_EEES6_PlJ7is_evenItEEEE10hipError_tPvRmT3_T4_T5_T6_T7_T9_mT8_P12ihipStream_tbDpT10_ENKUlT_T0_E_clISt17integral_constantIbLb1EES19_EEDaS14_S15_EUlS14_E_NS1_11comp_targetILNS1_3genE9ELNS1_11target_archE1100ELNS1_3gpuE3ELNS1_3repE0EEENS1_30default_config_static_selectorELNS0_4arch9wavefront6targetE1EEEvT1_,comdat
	.protected	_ZN7rocprim17ROCPRIM_400000_NS6detail17trampoline_kernelINS0_14default_configENS1_25partition_config_selectorILNS1_17partition_subalgoE0EtNS0_10empty_typeEbEEZZNS1_14partition_implILS5_0ELb0ES3_jN6thrust23THRUST_200600_302600_NS6detail15normal_iteratorINSA_10device_ptrItEEEEPS6_SG_NS0_5tupleIJNSA_16discard_iteratorINSA_11use_defaultEEESK_EEENSH_IJSG_SG_EEES6_PlJ7is_evenItEEEE10hipError_tPvRmT3_T4_T5_T6_T7_T9_mT8_P12ihipStream_tbDpT10_ENKUlT_T0_E_clISt17integral_constantIbLb1EES19_EEDaS14_S15_EUlS14_E_NS1_11comp_targetILNS1_3genE9ELNS1_11target_archE1100ELNS1_3gpuE3ELNS1_3repE0EEENS1_30default_config_static_selectorELNS0_4arch9wavefront6targetE1EEEvT1_ ; -- Begin function _ZN7rocprim17ROCPRIM_400000_NS6detail17trampoline_kernelINS0_14default_configENS1_25partition_config_selectorILNS1_17partition_subalgoE0EtNS0_10empty_typeEbEEZZNS1_14partition_implILS5_0ELb0ES3_jN6thrust23THRUST_200600_302600_NS6detail15normal_iteratorINSA_10device_ptrItEEEEPS6_SG_NS0_5tupleIJNSA_16discard_iteratorINSA_11use_defaultEEESK_EEENSH_IJSG_SG_EEES6_PlJ7is_evenItEEEE10hipError_tPvRmT3_T4_T5_T6_T7_T9_mT8_P12ihipStream_tbDpT10_ENKUlT_T0_E_clISt17integral_constantIbLb1EES19_EEDaS14_S15_EUlS14_E_NS1_11comp_targetILNS1_3genE9ELNS1_11target_archE1100ELNS1_3gpuE3ELNS1_3repE0EEENS1_30default_config_static_selectorELNS0_4arch9wavefront6targetE1EEEvT1_
	.globl	_ZN7rocprim17ROCPRIM_400000_NS6detail17trampoline_kernelINS0_14default_configENS1_25partition_config_selectorILNS1_17partition_subalgoE0EtNS0_10empty_typeEbEEZZNS1_14partition_implILS5_0ELb0ES3_jN6thrust23THRUST_200600_302600_NS6detail15normal_iteratorINSA_10device_ptrItEEEEPS6_SG_NS0_5tupleIJNSA_16discard_iteratorINSA_11use_defaultEEESK_EEENSH_IJSG_SG_EEES6_PlJ7is_evenItEEEE10hipError_tPvRmT3_T4_T5_T6_T7_T9_mT8_P12ihipStream_tbDpT10_ENKUlT_T0_E_clISt17integral_constantIbLb1EES19_EEDaS14_S15_EUlS14_E_NS1_11comp_targetILNS1_3genE9ELNS1_11target_archE1100ELNS1_3gpuE3ELNS1_3repE0EEENS1_30default_config_static_selectorELNS0_4arch9wavefront6targetE1EEEvT1_
	.p2align	8
	.type	_ZN7rocprim17ROCPRIM_400000_NS6detail17trampoline_kernelINS0_14default_configENS1_25partition_config_selectorILNS1_17partition_subalgoE0EtNS0_10empty_typeEbEEZZNS1_14partition_implILS5_0ELb0ES3_jN6thrust23THRUST_200600_302600_NS6detail15normal_iteratorINSA_10device_ptrItEEEEPS6_SG_NS0_5tupleIJNSA_16discard_iteratorINSA_11use_defaultEEESK_EEENSH_IJSG_SG_EEES6_PlJ7is_evenItEEEE10hipError_tPvRmT3_T4_T5_T6_T7_T9_mT8_P12ihipStream_tbDpT10_ENKUlT_T0_E_clISt17integral_constantIbLb1EES19_EEDaS14_S15_EUlS14_E_NS1_11comp_targetILNS1_3genE9ELNS1_11target_archE1100ELNS1_3gpuE3ELNS1_3repE0EEENS1_30default_config_static_selectorELNS0_4arch9wavefront6targetE1EEEvT1_,@function
_ZN7rocprim17ROCPRIM_400000_NS6detail17trampoline_kernelINS0_14default_configENS1_25partition_config_selectorILNS1_17partition_subalgoE0EtNS0_10empty_typeEbEEZZNS1_14partition_implILS5_0ELb0ES3_jN6thrust23THRUST_200600_302600_NS6detail15normal_iteratorINSA_10device_ptrItEEEEPS6_SG_NS0_5tupleIJNSA_16discard_iteratorINSA_11use_defaultEEESK_EEENSH_IJSG_SG_EEES6_PlJ7is_evenItEEEE10hipError_tPvRmT3_T4_T5_T6_T7_T9_mT8_P12ihipStream_tbDpT10_ENKUlT_T0_E_clISt17integral_constantIbLb1EES19_EEDaS14_S15_EUlS14_E_NS1_11comp_targetILNS1_3genE9ELNS1_11target_archE1100ELNS1_3gpuE3ELNS1_3repE0EEENS1_30default_config_static_selectorELNS0_4arch9wavefront6targetE1EEEvT1_: ; @_ZN7rocprim17ROCPRIM_400000_NS6detail17trampoline_kernelINS0_14default_configENS1_25partition_config_selectorILNS1_17partition_subalgoE0EtNS0_10empty_typeEbEEZZNS1_14partition_implILS5_0ELb0ES3_jN6thrust23THRUST_200600_302600_NS6detail15normal_iteratorINSA_10device_ptrItEEEEPS6_SG_NS0_5tupleIJNSA_16discard_iteratorINSA_11use_defaultEEESK_EEENSH_IJSG_SG_EEES6_PlJ7is_evenItEEEE10hipError_tPvRmT3_T4_T5_T6_T7_T9_mT8_P12ihipStream_tbDpT10_ENKUlT_T0_E_clISt17integral_constantIbLb1EES19_EEDaS14_S15_EUlS14_E_NS1_11comp_targetILNS1_3genE9ELNS1_11target_archE1100ELNS1_3gpuE3ELNS1_3repE0EEENS1_30default_config_static_selectorELNS0_4arch9wavefront6targetE1EEEvT1_
; %bb.0:
	.section	.rodata,"a",@progbits
	.p2align	6, 0x0
	.amdhsa_kernel _ZN7rocprim17ROCPRIM_400000_NS6detail17trampoline_kernelINS0_14default_configENS1_25partition_config_selectorILNS1_17partition_subalgoE0EtNS0_10empty_typeEbEEZZNS1_14partition_implILS5_0ELb0ES3_jN6thrust23THRUST_200600_302600_NS6detail15normal_iteratorINSA_10device_ptrItEEEEPS6_SG_NS0_5tupleIJNSA_16discard_iteratorINSA_11use_defaultEEESK_EEENSH_IJSG_SG_EEES6_PlJ7is_evenItEEEE10hipError_tPvRmT3_T4_T5_T6_T7_T9_mT8_P12ihipStream_tbDpT10_ENKUlT_T0_E_clISt17integral_constantIbLb1EES19_EEDaS14_S15_EUlS14_E_NS1_11comp_targetILNS1_3genE9ELNS1_11target_archE1100ELNS1_3gpuE3ELNS1_3repE0EEENS1_30default_config_static_selectorELNS0_4arch9wavefront6targetE1EEEvT1_
		.amdhsa_group_segment_fixed_size 0
		.amdhsa_private_segment_fixed_size 0
		.amdhsa_kernarg_size 152
		.amdhsa_user_sgpr_count 6
		.amdhsa_user_sgpr_private_segment_buffer 1
		.amdhsa_user_sgpr_dispatch_ptr 0
		.amdhsa_user_sgpr_queue_ptr 0
		.amdhsa_user_sgpr_kernarg_segment_ptr 1
		.amdhsa_user_sgpr_dispatch_id 0
		.amdhsa_user_sgpr_flat_scratch_init 0
		.amdhsa_user_sgpr_kernarg_preload_length 0
		.amdhsa_user_sgpr_kernarg_preload_offset 0
		.amdhsa_user_sgpr_private_segment_size 0
		.amdhsa_uses_dynamic_stack 0
		.amdhsa_system_sgpr_private_segment_wavefront_offset 0
		.amdhsa_system_sgpr_workgroup_id_x 1
		.amdhsa_system_sgpr_workgroup_id_y 0
		.amdhsa_system_sgpr_workgroup_id_z 0
		.amdhsa_system_sgpr_workgroup_info 0
		.amdhsa_system_vgpr_workitem_id 0
		.amdhsa_next_free_vgpr 1
		.amdhsa_next_free_sgpr 0
		.amdhsa_accum_offset 4
		.amdhsa_reserve_vcc 0
		.amdhsa_reserve_flat_scratch 0
		.amdhsa_float_round_mode_32 0
		.amdhsa_float_round_mode_16_64 0
		.amdhsa_float_denorm_mode_32 3
		.amdhsa_float_denorm_mode_16_64 3
		.amdhsa_dx10_clamp 1
		.amdhsa_ieee_mode 1
		.amdhsa_fp16_overflow 0
		.amdhsa_tg_split 0
		.amdhsa_exception_fp_ieee_invalid_op 0
		.amdhsa_exception_fp_denorm_src 0
		.amdhsa_exception_fp_ieee_div_zero 0
		.amdhsa_exception_fp_ieee_overflow 0
		.amdhsa_exception_fp_ieee_underflow 0
		.amdhsa_exception_fp_ieee_inexact 0
		.amdhsa_exception_int_div_zero 0
	.end_amdhsa_kernel
	.section	.text._ZN7rocprim17ROCPRIM_400000_NS6detail17trampoline_kernelINS0_14default_configENS1_25partition_config_selectorILNS1_17partition_subalgoE0EtNS0_10empty_typeEbEEZZNS1_14partition_implILS5_0ELb0ES3_jN6thrust23THRUST_200600_302600_NS6detail15normal_iteratorINSA_10device_ptrItEEEEPS6_SG_NS0_5tupleIJNSA_16discard_iteratorINSA_11use_defaultEEESK_EEENSH_IJSG_SG_EEES6_PlJ7is_evenItEEEE10hipError_tPvRmT3_T4_T5_T6_T7_T9_mT8_P12ihipStream_tbDpT10_ENKUlT_T0_E_clISt17integral_constantIbLb1EES19_EEDaS14_S15_EUlS14_E_NS1_11comp_targetILNS1_3genE9ELNS1_11target_archE1100ELNS1_3gpuE3ELNS1_3repE0EEENS1_30default_config_static_selectorELNS0_4arch9wavefront6targetE1EEEvT1_,"axG",@progbits,_ZN7rocprim17ROCPRIM_400000_NS6detail17trampoline_kernelINS0_14default_configENS1_25partition_config_selectorILNS1_17partition_subalgoE0EtNS0_10empty_typeEbEEZZNS1_14partition_implILS5_0ELb0ES3_jN6thrust23THRUST_200600_302600_NS6detail15normal_iteratorINSA_10device_ptrItEEEEPS6_SG_NS0_5tupleIJNSA_16discard_iteratorINSA_11use_defaultEEESK_EEENSH_IJSG_SG_EEES6_PlJ7is_evenItEEEE10hipError_tPvRmT3_T4_T5_T6_T7_T9_mT8_P12ihipStream_tbDpT10_ENKUlT_T0_E_clISt17integral_constantIbLb1EES19_EEDaS14_S15_EUlS14_E_NS1_11comp_targetILNS1_3genE9ELNS1_11target_archE1100ELNS1_3gpuE3ELNS1_3repE0EEENS1_30default_config_static_selectorELNS0_4arch9wavefront6targetE1EEEvT1_,comdat
.Lfunc_end2505:
	.size	_ZN7rocprim17ROCPRIM_400000_NS6detail17trampoline_kernelINS0_14default_configENS1_25partition_config_selectorILNS1_17partition_subalgoE0EtNS0_10empty_typeEbEEZZNS1_14partition_implILS5_0ELb0ES3_jN6thrust23THRUST_200600_302600_NS6detail15normal_iteratorINSA_10device_ptrItEEEEPS6_SG_NS0_5tupleIJNSA_16discard_iteratorINSA_11use_defaultEEESK_EEENSH_IJSG_SG_EEES6_PlJ7is_evenItEEEE10hipError_tPvRmT3_T4_T5_T6_T7_T9_mT8_P12ihipStream_tbDpT10_ENKUlT_T0_E_clISt17integral_constantIbLb1EES19_EEDaS14_S15_EUlS14_E_NS1_11comp_targetILNS1_3genE9ELNS1_11target_archE1100ELNS1_3gpuE3ELNS1_3repE0EEENS1_30default_config_static_selectorELNS0_4arch9wavefront6targetE1EEEvT1_, .Lfunc_end2505-_ZN7rocprim17ROCPRIM_400000_NS6detail17trampoline_kernelINS0_14default_configENS1_25partition_config_selectorILNS1_17partition_subalgoE0EtNS0_10empty_typeEbEEZZNS1_14partition_implILS5_0ELb0ES3_jN6thrust23THRUST_200600_302600_NS6detail15normal_iteratorINSA_10device_ptrItEEEEPS6_SG_NS0_5tupleIJNSA_16discard_iteratorINSA_11use_defaultEEESK_EEENSH_IJSG_SG_EEES6_PlJ7is_evenItEEEE10hipError_tPvRmT3_T4_T5_T6_T7_T9_mT8_P12ihipStream_tbDpT10_ENKUlT_T0_E_clISt17integral_constantIbLb1EES19_EEDaS14_S15_EUlS14_E_NS1_11comp_targetILNS1_3genE9ELNS1_11target_archE1100ELNS1_3gpuE3ELNS1_3repE0EEENS1_30default_config_static_selectorELNS0_4arch9wavefront6targetE1EEEvT1_
                                        ; -- End function
	.section	.AMDGPU.csdata,"",@progbits
; Kernel info:
; codeLenInByte = 0
; NumSgprs: 4
; NumVgprs: 0
; NumAgprs: 0
; TotalNumVgprs: 0
; ScratchSize: 0
; MemoryBound: 0
; FloatMode: 240
; IeeeMode: 1
; LDSByteSize: 0 bytes/workgroup (compile time only)
; SGPRBlocks: 0
; VGPRBlocks: 0
; NumSGPRsForWavesPerEU: 4
; NumVGPRsForWavesPerEU: 1
; AccumOffset: 4
; Occupancy: 8
; WaveLimiterHint : 0
; COMPUTE_PGM_RSRC2:SCRATCH_EN: 0
; COMPUTE_PGM_RSRC2:USER_SGPR: 6
; COMPUTE_PGM_RSRC2:TRAP_HANDLER: 0
; COMPUTE_PGM_RSRC2:TGID_X_EN: 1
; COMPUTE_PGM_RSRC2:TGID_Y_EN: 0
; COMPUTE_PGM_RSRC2:TGID_Z_EN: 0
; COMPUTE_PGM_RSRC2:TIDIG_COMP_CNT: 0
; COMPUTE_PGM_RSRC3_GFX90A:ACCUM_OFFSET: 0
; COMPUTE_PGM_RSRC3_GFX90A:TG_SPLIT: 0
	.section	.text._ZN7rocprim17ROCPRIM_400000_NS6detail17trampoline_kernelINS0_14default_configENS1_25partition_config_selectorILNS1_17partition_subalgoE0EtNS0_10empty_typeEbEEZZNS1_14partition_implILS5_0ELb0ES3_jN6thrust23THRUST_200600_302600_NS6detail15normal_iteratorINSA_10device_ptrItEEEEPS6_SG_NS0_5tupleIJNSA_16discard_iteratorINSA_11use_defaultEEESK_EEENSH_IJSG_SG_EEES6_PlJ7is_evenItEEEE10hipError_tPvRmT3_T4_T5_T6_T7_T9_mT8_P12ihipStream_tbDpT10_ENKUlT_T0_E_clISt17integral_constantIbLb1EES19_EEDaS14_S15_EUlS14_E_NS1_11comp_targetILNS1_3genE8ELNS1_11target_archE1030ELNS1_3gpuE2ELNS1_3repE0EEENS1_30default_config_static_selectorELNS0_4arch9wavefront6targetE1EEEvT1_,"axG",@progbits,_ZN7rocprim17ROCPRIM_400000_NS6detail17trampoline_kernelINS0_14default_configENS1_25partition_config_selectorILNS1_17partition_subalgoE0EtNS0_10empty_typeEbEEZZNS1_14partition_implILS5_0ELb0ES3_jN6thrust23THRUST_200600_302600_NS6detail15normal_iteratorINSA_10device_ptrItEEEEPS6_SG_NS0_5tupleIJNSA_16discard_iteratorINSA_11use_defaultEEESK_EEENSH_IJSG_SG_EEES6_PlJ7is_evenItEEEE10hipError_tPvRmT3_T4_T5_T6_T7_T9_mT8_P12ihipStream_tbDpT10_ENKUlT_T0_E_clISt17integral_constantIbLb1EES19_EEDaS14_S15_EUlS14_E_NS1_11comp_targetILNS1_3genE8ELNS1_11target_archE1030ELNS1_3gpuE2ELNS1_3repE0EEENS1_30default_config_static_selectorELNS0_4arch9wavefront6targetE1EEEvT1_,comdat
	.protected	_ZN7rocprim17ROCPRIM_400000_NS6detail17trampoline_kernelINS0_14default_configENS1_25partition_config_selectorILNS1_17partition_subalgoE0EtNS0_10empty_typeEbEEZZNS1_14partition_implILS5_0ELb0ES3_jN6thrust23THRUST_200600_302600_NS6detail15normal_iteratorINSA_10device_ptrItEEEEPS6_SG_NS0_5tupleIJNSA_16discard_iteratorINSA_11use_defaultEEESK_EEENSH_IJSG_SG_EEES6_PlJ7is_evenItEEEE10hipError_tPvRmT3_T4_T5_T6_T7_T9_mT8_P12ihipStream_tbDpT10_ENKUlT_T0_E_clISt17integral_constantIbLb1EES19_EEDaS14_S15_EUlS14_E_NS1_11comp_targetILNS1_3genE8ELNS1_11target_archE1030ELNS1_3gpuE2ELNS1_3repE0EEENS1_30default_config_static_selectorELNS0_4arch9wavefront6targetE1EEEvT1_ ; -- Begin function _ZN7rocprim17ROCPRIM_400000_NS6detail17trampoline_kernelINS0_14default_configENS1_25partition_config_selectorILNS1_17partition_subalgoE0EtNS0_10empty_typeEbEEZZNS1_14partition_implILS5_0ELb0ES3_jN6thrust23THRUST_200600_302600_NS6detail15normal_iteratorINSA_10device_ptrItEEEEPS6_SG_NS0_5tupleIJNSA_16discard_iteratorINSA_11use_defaultEEESK_EEENSH_IJSG_SG_EEES6_PlJ7is_evenItEEEE10hipError_tPvRmT3_T4_T5_T6_T7_T9_mT8_P12ihipStream_tbDpT10_ENKUlT_T0_E_clISt17integral_constantIbLb1EES19_EEDaS14_S15_EUlS14_E_NS1_11comp_targetILNS1_3genE8ELNS1_11target_archE1030ELNS1_3gpuE2ELNS1_3repE0EEENS1_30default_config_static_selectorELNS0_4arch9wavefront6targetE1EEEvT1_
	.globl	_ZN7rocprim17ROCPRIM_400000_NS6detail17trampoline_kernelINS0_14default_configENS1_25partition_config_selectorILNS1_17partition_subalgoE0EtNS0_10empty_typeEbEEZZNS1_14partition_implILS5_0ELb0ES3_jN6thrust23THRUST_200600_302600_NS6detail15normal_iteratorINSA_10device_ptrItEEEEPS6_SG_NS0_5tupleIJNSA_16discard_iteratorINSA_11use_defaultEEESK_EEENSH_IJSG_SG_EEES6_PlJ7is_evenItEEEE10hipError_tPvRmT3_T4_T5_T6_T7_T9_mT8_P12ihipStream_tbDpT10_ENKUlT_T0_E_clISt17integral_constantIbLb1EES19_EEDaS14_S15_EUlS14_E_NS1_11comp_targetILNS1_3genE8ELNS1_11target_archE1030ELNS1_3gpuE2ELNS1_3repE0EEENS1_30default_config_static_selectorELNS0_4arch9wavefront6targetE1EEEvT1_
	.p2align	8
	.type	_ZN7rocprim17ROCPRIM_400000_NS6detail17trampoline_kernelINS0_14default_configENS1_25partition_config_selectorILNS1_17partition_subalgoE0EtNS0_10empty_typeEbEEZZNS1_14partition_implILS5_0ELb0ES3_jN6thrust23THRUST_200600_302600_NS6detail15normal_iteratorINSA_10device_ptrItEEEEPS6_SG_NS0_5tupleIJNSA_16discard_iteratorINSA_11use_defaultEEESK_EEENSH_IJSG_SG_EEES6_PlJ7is_evenItEEEE10hipError_tPvRmT3_T4_T5_T6_T7_T9_mT8_P12ihipStream_tbDpT10_ENKUlT_T0_E_clISt17integral_constantIbLb1EES19_EEDaS14_S15_EUlS14_E_NS1_11comp_targetILNS1_3genE8ELNS1_11target_archE1030ELNS1_3gpuE2ELNS1_3repE0EEENS1_30default_config_static_selectorELNS0_4arch9wavefront6targetE1EEEvT1_,@function
_ZN7rocprim17ROCPRIM_400000_NS6detail17trampoline_kernelINS0_14default_configENS1_25partition_config_selectorILNS1_17partition_subalgoE0EtNS0_10empty_typeEbEEZZNS1_14partition_implILS5_0ELb0ES3_jN6thrust23THRUST_200600_302600_NS6detail15normal_iteratorINSA_10device_ptrItEEEEPS6_SG_NS0_5tupleIJNSA_16discard_iteratorINSA_11use_defaultEEESK_EEENSH_IJSG_SG_EEES6_PlJ7is_evenItEEEE10hipError_tPvRmT3_T4_T5_T6_T7_T9_mT8_P12ihipStream_tbDpT10_ENKUlT_T0_E_clISt17integral_constantIbLb1EES19_EEDaS14_S15_EUlS14_E_NS1_11comp_targetILNS1_3genE8ELNS1_11target_archE1030ELNS1_3gpuE2ELNS1_3repE0EEENS1_30default_config_static_selectorELNS0_4arch9wavefront6targetE1EEEvT1_: ; @_ZN7rocprim17ROCPRIM_400000_NS6detail17trampoline_kernelINS0_14default_configENS1_25partition_config_selectorILNS1_17partition_subalgoE0EtNS0_10empty_typeEbEEZZNS1_14partition_implILS5_0ELb0ES3_jN6thrust23THRUST_200600_302600_NS6detail15normal_iteratorINSA_10device_ptrItEEEEPS6_SG_NS0_5tupleIJNSA_16discard_iteratorINSA_11use_defaultEEESK_EEENSH_IJSG_SG_EEES6_PlJ7is_evenItEEEE10hipError_tPvRmT3_T4_T5_T6_T7_T9_mT8_P12ihipStream_tbDpT10_ENKUlT_T0_E_clISt17integral_constantIbLb1EES19_EEDaS14_S15_EUlS14_E_NS1_11comp_targetILNS1_3genE8ELNS1_11target_archE1030ELNS1_3gpuE2ELNS1_3repE0EEENS1_30default_config_static_selectorELNS0_4arch9wavefront6targetE1EEEvT1_
; %bb.0:
	.section	.rodata,"a",@progbits
	.p2align	6, 0x0
	.amdhsa_kernel _ZN7rocprim17ROCPRIM_400000_NS6detail17trampoline_kernelINS0_14default_configENS1_25partition_config_selectorILNS1_17partition_subalgoE0EtNS0_10empty_typeEbEEZZNS1_14partition_implILS5_0ELb0ES3_jN6thrust23THRUST_200600_302600_NS6detail15normal_iteratorINSA_10device_ptrItEEEEPS6_SG_NS0_5tupleIJNSA_16discard_iteratorINSA_11use_defaultEEESK_EEENSH_IJSG_SG_EEES6_PlJ7is_evenItEEEE10hipError_tPvRmT3_T4_T5_T6_T7_T9_mT8_P12ihipStream_tbDpT10_ENKUlT_T0_E_clISt17integral_constantIbLb1EES19_EEDaS14_S15_EUlS14_E_NS1_11comp_targetILNS1_3genE8ELNS1_11target_archE1030ELNS1_3gpuE2ELNS1_3repE0EEENS1_30default_config_static_selectorELNS0_4arch9wavefront6targetE1EEEvT1_
		.amdhsa_group_segment_fixed_size 0
		.amdhsa_private_segment_fixed_size 0
		.amdhsa_kernarg_size 152
		.amdhsa_user_sgpr_count 6
		.amdhsa_user_sgpr_private_segment_buffer 1
		.amdhsa_user_sgpr_dispatch_ptr 0
		.amdhsa_user_sgpr_queue_ptr 0
		.amdhsa_user_sgpr_kernarg_segment_ptr 1
		.amdhsa_user_sgpr_dispatch_id 0
		.amdhsa_user_sgpr_flat_scratch_init 0
		.amdhsa_user_sgpr_kernarg_preload_length 0
		.amdhsa_user_sgpr_kernarg_preload_offset 0
		.amdhsa_user_sgpr_private_segment_size 0
		.amdhsa_uses_dynamic_stack 0
		.amdhsa_system_sgpr_private_segment_wavefront_offset 0
		.amdhsa_system_sgpr_workgroup_id_x 1
		.amdhsa_system_sgpr_workgroup_id_y 0
		.amdhsa_system_sgpr_workgroup_id_z 0
		.amdhsa_system_sgpr_workgroup_info 0
		.amdhsa_system_vgpr_workitem_id 0
		.amdhsa_next_free_vgpr 1
		.amdhsa_next_free_sgpr 0
		.amdhsa_accum_offset 4
		.amdhsa_reserve_vcc 0
		.amdhsa_reserve_flat_scratch 0
		.amdhsa_float_round_mode_32 0
		.amdhsa_float_round_mode_16_64 0
		.amdhsa_float_denorm_mode_32 3
		.amdhsa_float_denorm_mode_16_64 3
		.amdhsa_dx10_clamp 1
		.amdhsa_ieee_mode 1
		.amdhsa_fp16_overflow 0
		.amdhsa_tg_split 0
		.amdhsa_exception_fp_ieee_invalid_op 0
		.amdhsa_exception_fp_denorm_src 0
		.amdhsa_exception_fp_ieee_div_zero 0
		.amdhsa_exception_fp_ieee_overflow 0
		.amdhsa_exception_fp_ieee_underflow 0
		.amdhsa_exception_fp_ieee_inexact 0
		.amdhsa_exception_int_div_zero 0
	.end_amdhsa_kernel
	.section	.text._ZN7rocprim17ROCPRIM_400000_NS6detail17trampoline_kernelINS0_14default_configENS1_25partition_config_selectorILNS1_17partition_subalgoE0EtNS0_10empty_typeEbEEZZNS1_14partition_implILS5_0ELb0ES3_jN6thrust23THRUST_200600_302600_NS6detail15normal_iteratorINSA_10device_ptrItEEEEPS6_SG_NS0_5tupleIJNSA_16discard_iteratorINSA_11use_defaultEEESK_EEENSH_IJSG_SG_EEES6_PlJ7is_evenItEEEE10hipError_tPvRmT3_T4_T5_T6_T7_T9_mT8_P12ihipStream_tbDpT10_ENKUlT_T0_E_clISt17integral_constantIbLb1EES19_EEDaS14_S15_EUlS14_E_NS1_11comp_targetILNS1_3genE8ELNS1_11target_archE1030ELNS1_3gpuE2ELNS1_3repE0EEENS1_30default_config_static_selectorELNS0_4arch9wavefront6targetE1EEEvT1_,"axG",@progbits,_ZN7rocprim17ROCPRIM_400000_NS6detail17trampoline_kernelINS0_14default_configENS1_25partition_config_selectorILNS1_17partition_subalgoE0EtNS0_10empty_typeEbEEZZNS1_14partition_implILS5_0ELb0ES3_jN6thrust23THRUST_200600_302600_NS6detail15normal_iteratorINSA_10device_ptrItEEEEPS6_SG_NS0_5tupleIJNSA_16discard_iteratorINSA_11use_defaultEEESK_EEENSH_IJSG_SG_EEES6_PlJ7is_evenItEEEE10hipError_tPvRmT3_T4_T5_T6_T7_T9_mT8_P12ihipStream_tbDpT10_ENKUlT_T0_E_clISt17integral_constantIbLb1EES19_EEDaS14_S15_EUlS14_E_NS1_11comp_targetILNS1_3genE8ELNS1_11target_archE1030ELNS1_3gpuE2ELNS1_3repE0EEENS1_30default_config_static_selectorELNS0_4arch9wavefront6targetE1EEEvT1_,comdat
.Lfunc_end2506:
	.size	_ZN7rocprim17ROCPRIM_400000_NS6detail17trampoline_kernelINS0_14default_configENS1_25partition_config_selectorILNS1_17partition_subalgoE0EtNS0_10empty_typeEbEEZZNS1_14partition_implILS5_0ELb0ES3_jN6thrust23THRUST_200600_302600_NS6detail15normal_iteratorINSA_10device_ptrItEEEEPS6_SG_NS0_5tupleIJNSA_16discard_iteratorINSA_11use_defaultEEESK_EEENSH_IJSG_SG_EEES6_PlJ7is_evenItEEEE10hipError_tPvRmT3_T4_T5_T6_T7_T9_mT8_P12ihipStream_tbDpT10_ENKUlT_T0_E_clISt17integral_constantIbLb1EES19_EEDaS14_S15_EUlS14_E_NS1_11comp_targetILNS1_3genE8ELNS1_11target_archE1030ELNS1_3gpuE2ELNS1_3repE0EEENS1_30default_config_static_selectorELNS0_4arch9wavefront6targetE1EEEvT1_, .Lfunc_end2506-_ZN7rocprim17ROCPRIM_400000_NS6detail17trampoline_kernelINS0_14default_configENS1_25partition_config_selectorILNS1_17partition_subalgoE0EtNS0_10empty_typeEbEEZZNS1_14partition_implILS5_0ELb0ES3_jN6thrust23THRUST_200600_302600_NS6detail15normal_iteratorINSA_10device_ptrItEEEEPS6_SG_NS0_5tupleIJNSA_16discard_iteratorINSA_11use_defaultEEESK_EEENSH_IJSG_SG_EEES6_PlJ7is_evenItEEEE10hipError_tPvRmT3_T4_T5_T6_T7_T9_mT8_P12ihipStream_tbDpT10_ENKUlT_T0_E_clISt17integral_constantIbLb1EES19_EEDaS14_S15_EUlS14_E_NS1_11comp_targetILNS1_3genE8ELNS1_11target_archE1030ELNS1_3gpuE2ELNS1_3repE0EEENS1_30default_config_static_selectorELNS0_4arch9wavefront6targetE1EEEvT1_
                                        ; -- End function
	.section	.AMDGPU.csdata,"",@progbits
; Kernel info:
; codeLenInByte = 0
; NumSgprs: 4
; NumVgprs: 0
; NumAgprs: 0
; TotalNumVgprs: 0
; ScratchSize: 0
; MemoryBound: 0
; FloatMode: 240
; IeeeMode: 1
; LDSByteSize: 0 bytes/workgroup (compile time only)
; SGPRBlocks: 0
; VGPRBlocks: 0
; NumSGPRsForWavesPerEU: 4
; NumVGPRsForWavesPerEU: 1
; AccumOffset: 4
; Occupancy: 8
; WaveLimiterHint : 0
; COMPUTE_PGM_RSRC2:SCRATCH_EN: 0
; COMPUTE_PGM_RSRC2:USER_SGPR: 6
; COMPUTE_PGM_RSRC2:TRAP_HANDLER: 0
; COMPUTE_PGM_RSRC2:TGID_X_EN: 1
; COMPUTE_PGM_RSRC2:TGID_Y_EN: 0
; COMPUTE_PGM_RSRC2:TGID_Z_EN: 0
; COMPUTE_PGM_RSRC2:TIDIG_COMP_CNT: 0
; COMPUTE_PGM_RSRC3_GFX90A:ACCUM_OFFSET: 0
; COMPUTE_PGM_RSRC3_GFX90A:TG_SPLIT: 0
	.section	.text._ZN7rocprim17ROCPRIM_400000_NS6detail17trampoline_kernelINS0_14default_configENS1_25partition_config_selectorILNS1_17partition_subalgoE0EtNS0_10empty_typeEbEEZZNS1_14partition_implILS5_0ELb0ES3_jN6thrust23THRUST_200600_302600_NS6detail15normal_iteratorINSA_10device_ptrItEEEEPS6_SG_NS0_5tupleIJNSA_16discard_iteratorINSA_11use_defaultEEESK_EEENSH_IJSG_SG_EEES6_PlJ7is_evenItEEEE10hipError_tPvRmT3_T4_T5_T6_T7_T9_mT8_P12ihipStream_tbDpT10_ENKUlT_T0_E_clISt17integral_constantIbLb1EES18_IbLb0EEEEDaS14_S15_EUlS14_E_NS1_11comp_targetILNS1_3genE0ELNS1_11target_archE4294967295ELNS1_3gpuE0ELNS1_3repE0EEENS1_30default_config_static_selectorELNS0_4arch9wavefront6targetE1EEEvT1_,"axG",@progbits,_ZN7rocprim17ROCPRIM_400000_NS6detail17trampoline_kernelINS0_14default_configENS1_25partition_config_selectorILNS1_17partition_subalgoE0EtNS0_10empty_typeEbEEZZNS1_14partition_implILS5_0ELb0ES3_jN6thrust23THRUST_200600_302600_NS6detail15normal_iteratorINSA_10device_ptrItEEEEPS6_SG_NS0_5tupleIJNSA_16discard_iteratorINSA_11use_defaultEEESK_EEENSH_IJSG_SG_EEES6_PlJ7is_evenItEEEE10hipError_tPvRmT3_T4_T5_T6_T7_T9_mT8_P12ihipStream_tbDpT10_ENKUlT_T0_E_clISt17integral_constantIbLb1EES18_IbLb0EEEEDaS14_S15_EUlS14_E_NS1_11comp_targetILNS1_3genE0ELNS1_11target_archE4294967295ELNS1_3gpuE0ELNS1_3repE0EEENS1_30default_config_static_selectorELNS0_4arch9wavefront6targetE1EEEvT1_,comdat
	.protected	_ZN7rocprim17ROCPRIM_400000_NS6detail17trampoline_kernelINS0_14default_configENS1_25partition_config_selectorILNS1_17partition_subalgoE0EtNS0_10empty_typeEbEEZZNS1_14partition_implILS5_0ELb0ES3_jN6thrust23THRUST_200600_302600_NS6detail15normal_iteratorINSA_10device_ptrItEEEEPS6_SG_NS0_5tupleIJNSA_16discard_iteratorINSA_11use_defaultEEESK_EEENSH_IJSG_SG_EEES6_PlJ7is_evenItEEEE10hipError_tPvRmT3_T4_T5_T6_T7_T9_mT8_P12ihipStream_tbDpT10_ENKUlT_T0_E_clISt17integral_constantIbLb1EES18_IbLb0EEEEDaS14_S15_EUlS14_E_NS1_11comp_targetILNS1_3genE0ELNS1_11target_archE4294967295ELNS1_3gpuE0ELNS1_3repE0EEENS1_30default_config_static_selectorELNS0_4arch9wavefront6targetE1EEEvT1_ ; -- Begin function _ZN7rocprim17ROCPRIM_400000_NS6detail17trampoline_kernelINS0_14default_configENS1_25partition_config_selectorILNS1_17partition_subalgoE0EtNS0_10empty_typeEbEEZZNS1_14partition_implILS5_0ELb0ES3_jN6thrust23THRUST_200600_302600_NS6detail15normal_iteratorINSA_10device_ptrItEEEEPS6_SG_NS0_5tupleIJNSA_16discard_iteratorINSA_11use_defaultEEESK_EEENSH_IJSG_SG_EEES6_PlJ7is_evenItEEEE10hipError_tPvRmT3_T4_T5_T6_T7_T9_mT8_P12ihipStream_tbDpT10_ENKUlT_T0_E_clISt17integral_constantIbLb1EES18_IbLb0EEEEDaS14_S15_EUlS14_E_NS1_11comp_targetILNS1_3genE0ELNS1_11target_archE4294967295ELNS1_3gpuE0ELNS1_3repE0EEENS1_30default_config_static_selectorELNS0_4arch9wavefront6targetE1EEEvT1_
	.globl	_ZN7rocprim17ROCPRIM_400000_NS6detail17trampoline_kernelINS0_14default_configENS1_25partition_config_selectorILNS1_17partition_subalgoE0EtNS0_10empty_typeEbEEZZNS1_14partition_implILS5_0ELb0ES3_jN6thrust23THRUST_200600_302600_NS6detail15normal_iteratorINSA_10device_ptrItEEEEPS6_SG_NS0_5tupleIJNSA_16discard_iteratorINSA_11use_defaultEEESK_EEENSH_IJSG_SG_EEES6_PlJ7is_evenItEEEE10hipError_tPvRmT3_T4_T5_T6_T7_T9_mT8_P12ihipStream_tbDpT10_ENKUlT_T0_E_clISt17integral_constantIbLb1EES18_IbLb0EEEEDaS14_S15_EUlS14_E_NS1_11comp_targetILNS1_3genE0ELNS1_11target_archE4294967295ELNS1_3gpuE0ELNS1_3repE0EEENS1_30default_config_static_selectorELNS0_4arch9wavefront6targetE1EEEvT1_
	.p2align	8
	.type	_ZN7rocprim17ROCPRIM_400000_NS6detail17trampoline_kernelINS0_14default_configENS1_25partition_config_selectorILNS1_17partition_subalgoE0EtNS0_10empty_typeEbEEZZNS1_14partition_implILS5_0ELb0ES3_jN6thrust23THRUST_200600_302600_NS6detail15normal_iteratorINSA_10device_ptrItEEEEPS6_SG_NS0_5tupleIJNSA_16discard_iteratorINSA_11use_defaultEEESK_EEENSH_IJSG_SG_EEES6_PlJ7is_evenItEEEE10hipError_tPvRmT3_T4_T5_T6_T7_T9_mT8_P12ihipStream_tbDpT10_ENKUlT_T0_E_clISt17integral_constantIbLb1EES18_IbLb0EEEEDaS14_S15_EUlS14_E_NS1_11comp_targetILNS1_3genE0ELNS1_11target_archE4294967295ELNS1_3gpuE0ELNS1_3repE0EEENS1_30default_config_static_selectorELNS0_4arch9wavefront6targetE1EEEvT1_,@function
_ZN7rocprim17ROCPRIM_400000_NS6detail17trampoline_kernelINS0_14default_configENS1_25partition_config_selectorILNS1_17partition_subalgoE0EtNS0_10empty_typeEbEEZZNS1_14partition_implILS5_0ELb0ES3_jN6thrust23THRUST_200600_302600_NS6detail15normal_iteratorINSA_10device_ptrItEEEEPS6_SG_NS0_5tupleIJNSA_16discard_iteratorINSA_11use_defaultEEESK_EEENSH_IJSG_SG_EEES6_PlJ7is_evenItEEEE10hipError_tPvRmT3_T4_T5_T6_T7_T9_mT8_P12ihipStream_tbDpT10_ENKUlT_T0_E_clISt17integral_constantIbLb1EES18_IbLb0EEEEDaS14_S15_EUlS14_E_NS1_11comp_targetILNS1_3genE0ELNS1_11target_archE4294967295ELNS1_3gpuE0ELNS1_3repE0EEENS1_30default_config_static_selectorELNS0_4arch9wavefront6targetE1EEEvT1_: ; @_ZN7rocprim17ROCPRIM_400000_NS6detail17trampoline_kernelINS0_14default_configENS1_25partition_config_selectorILNS1_17partition_subalgoE0EtNS0_10empty_typeEbEEZZNS1_14partition_implILS5_0ELb0ES3_jN6thrust23THRUST_200600_302600_NS6detail15normal_iteratorINSA_10device_ptrItEEEEPS6_SG_NS0_5tupleIJNSA_16discard_iteratorINSA_11use_defaultEEESK_EEENSH_IJSG_SG_EEES6_PlJ7is_evenItEEEE10hipError_tPvRmT3_T4_T5_T6_T7_T9_mT8_P12ihipStream_tbDpT10_ENKUlT_T0_E_clISt17integral_constantIbLb1EES18_IbLb0EEEEDaS14_S15_EUlS14_E_NS1_11comp_targetILNS1_3genE0ELNS1_11target_archE4294967295ELNS1_3gpuE0ELNS1_3repE0EEENS1_30default_config_static_selectorELNS0_4arch9wavefront6targetE1EEEvT1_
; %bb.0:
	.section	.rodata,"a",@progbits
	.p2align	6, 0x0
	.amdhsa_kernel _ZN7rocprim17ROCPRIM_400000_NS6detail17trampoline_kernelINS0_14default_configENS1_25partition_config_selectorILNS1_17partition_subalgoE0EtNS0_10empty_typeEbEEZZNS1_14partition_implILS5_0ELb0ES3_jN6thrust23THRUST_200600_302600_NS6detail15normal_iteratorINSA_10device_ptrItEEEEPS6_SG_NS0_5tupleIJNSA_16discard_iteratorINSA_11use_defaultEEESK_EEENSH_IJSG_SG_EEES6_PlJ7is_evenItEEEE10hipError_tPvRmT3_T4_T5_T6_T7_T9_mT8_P12ihipStream_tbDpT10_ENKUlT_T0_E_clISt17integral_constantIbLb1EES18_IbLb0EEEEDaS14_S15_EUlS14_E_NS1_11comp_targetILNS1_3genE0ELNS1_11target_archE4294967295ELNS1_3gpuE0ELNS1_3repE0EEENS1_30default_config_static_selectorELNS0_4arch9wavefront6targetE1EEEvT1_
		.amdhsa_group_segment_fixed_size 0
		.amdhsa_private_segment_fixed_size 0
		.amdhsa_kernarg_size 136
		.amdhsa_user_sgpr_count 6
		.amdhsa_user_sgpr_private_segment_buffer 1
		.amdhsa_user_sgpr_dispatch_ptr 0
		.amdhsa_user_sgpr_queue_ptr 0
		.amdhsa_user_sgpr_kernarg_segment_ptr 1
		.amdhsa_user_sgpr_dispatch_id 0
		.amdhsa_user_sgpr_flat_scratch_init 0
		.amdhsa_user_sgpr_kernarg_preload_length 0
		.amdhsa_user_sgpr_kernarg_preload_offset 0
		.amdhsa_user_sgpr_private_segment_size 0
		.amdhsa_uses_dynamic_stack 0
		.amdhsa_system_sgpr_private_segment_wavefront_offset 0
		.amdhsa_system_sgpr_workgroup_id_x 1
		.amdhsa_system_sgpr_workgroup_id_y 0
		.amdhsa_system_sgpr_workgroup_id_z 0
		.amdhsa_system_sgpr_workgroup_info 0
		.amdhsa_system_vgpr_workitem_id 0
		.amdhsa_next_free_vgpr 1
		.amdhsa_next_free_sgpr 0
		.amdhsa_accum_offset 4
		.amdhsa_reserve_vcc 0
		.amdhsa_reserve_flat_scratch 0
		.amdhsa_float_round_mode_32 0
		.amdhsa_float_round_mode_16_64 0
		.amdhsa_float_denorm_mode_32 3
		.amdhsa_float_denorm_mode_16_64 3
		.amdhsa_dx10_clamp 1
		.amdhsa_ieee_mode 1
		.amdhsa_fp16_overflow 0
		.amdhsa_tg_split 0
		.amdhsa_exception_fp_ieee_invalid_op 0
		.amdhsa_exception_fp_denorm_src 0
		.amdhsa_exception_fp_ieee_div_zero 0
		.amdhsa_exception_fp_ieee_overflow 0
		.amdhsa_exception_fp_ieee_underflow 0
		.amdhsa_exception_fp_ieee_inexact 0
		.amdhsa_exception_int_div_zero 0
	.end_amdhsa_kernel
	.section	.text._ZN7rocprim17ROCPRIM_400000_NS6detail17trampoline_kernelINS0_14default_configENS1_25partition_config_selectorILNS1_17partition_subalgoE0EtNS0_10empty_typeEbEEZZNS1_14partition_implILS5_0ELb0ES3_jN6thrust23THRUST_200600_302600_NS6detail15normal_iteratorINSA_10device_ptrItEEEEPS6_SG_NS0_5tupleIJNSA_16discard_iteratorINSA_11use_defaultEEESK_EEENSH_IJSG_SG_EEES6_PlJ7is_evenItEEEE10hipError_tPvRmT3_T4_T5_T6_T7_T9_mT8_P12ihipStream_tbDpT10_ENKUlT_T0_E_clISt17integral_constantIbLb1EES18_IbLb0EEEEDaS14_S15_EUlS14_E_NS1_11comp_targetILNS1_3genE0ELNS1_11target_archE4294967295ELNS1_3gpuE0ELNS1_3repE0EEENS1_30default_config_static_selectorELNS0_4arch9wavefront6targetE1EEEvT1_,"axG",@progbits,_ZN7rocprim17ROCPRIM_400000_NS6detail17trampoline_kernelINS0_14default_configENS1_25partition_config_selectorILNS1_17partition_subalgoE0EtNS0_10empty_typeEbEEZZNS1_14partition_implILS5_0ELb0ES3_jN6thrust23THRUST_200600_302600_NS6detail15normal_iteratorINSA_10device_ptrItEEEEPS6_SG_NS0_5tupleIJNSA_16discard_iteratorINSA_11use_defaultEEESK_EEENSH_IJSG_SG_EEES6_PlJ7is_evenItEEEE10hipError_tPvRmT3_T4_T5_T6_T7_T9_mT8_P12ihipStream_tbDpT10_ENKUlT_T0_E_clISt17integral_constantIbLb1EES18_IbLb0EEEEDaS14_S15_EUlS14_E_NS1_11comp_targetILNS1_3genE0ELNS1_11target_archE4294967295ELNS1_3gpuE0ELNS1_3repE0EEENS1_30default_config_static_selectorELNS0_4arch9wavefront6targetE1EEEvT1_,comdat
.Lfunc_end2507:
	.size	_ZN7rocprim17ROCPRIM_400000_NS6detail17trampoline_kernelINS0_14default_configENS1_25partition_config_selectorILNS1_17partition_subalgoE0EtNS0_10empty_typeEbEEZZNS1_14partition_implILS5_0ELb0ES3_jN6thrust23THRUST_200600_302600_NS6detail15normal_iteratorINSA_10device_ptrItEEEEPS6_SG_NS0_5tupleIJNSA_16discard_iteratorINSA_11use_defaultEEESK_EEENSH_IJSG_SG_EEES6_PlJ7is_evenItEEEE10hipError_tPvRmT3_T4_T5_T6_T7_T9_mT8_P12ihipStream_tbDpT10_ENKUlT_T0_E_clISt17integral_constantIbLb1EES18_IbLb0EEEEDaS14_S15_EUlS14_E_NS1_11comp_targetILNS1_3genE0ELNS1_11target_archE4294967295ELNS1_3gpuE0ELNS1_3repE0EEENS1_30default_config_static_selectorELNS0_4arch9wavefront6targetE1EEEvT1_, .Lfunc_end2507-_ZN7rocprim17ROCPRIM_400000_NS6detail17trampoline_kernelINS0_14default_configENS1_25partition_config_selectorILNS1_17partition_subalgoE0EtNS0_10empty_typeEbEEZZNS1_14partition_implILS5_0ELb0ES3_jN6thrust23THRUST_200600_302600_NS6detail15normal_iteratorINSA_10device_ptrItEEEEPS6_SG_NS0_5tupleIJNSA_16discard_iteratorINSA_11use_defaultEEESK_EEENSH_IJSG_SG_EEES6_PlJ7is_evenItEEEE10hipError_tPvRmT3_T4_T5_T6_T7_T9_mT8_P12ihipStream_tbDpT10_ENKUlT_T0_E_clISt17integral_constantIbLb1EES18_IbLb0EEEEDaS14_S15_EUlS14_E_NS1_11comp_targetILNS1_3genE0ELNS1_11target_archE4294967295ELNS1_3gpuE0ELNS1_3repE0EEENS1_30default_config_static_selectorELNS0_4arch9wavefront6targetE1EEEvT1_
                                        ; -- End function
	.section	.AMDGPU.csdata,"",@progbits
; Kernel info:
; codeLenInByte = 0
; NumSgprs: 4
; NumVgprs: 0
; NumAgprs: 0
; TotalNumVgprs: 0
; ScratchSize: 0
; MemoryBound: 0
; FloatMode: 240
; IeeeMode: 1
; LDSByteSize: 0 bytes/workgroup (compile time only)
; SGPRBlocks: 0
; VGPRBlocks: 0
; NumSGPRsForWavesPerEU: 4
; NumVGPRsForWavesPerEU: 1
; AccumOffset: 4
; Occupancy: 8
; WaveLimiterHint : 0
; COMPUTE_PGM_RSRC2:SCRATCH_EN: 0
; COMPUTE_PGM_RSRC2:USER_SGPR: 6
; COMPUTE_PGM_RSRC2:TRAP_HANDLER: 0
; COMPUTE_PGM_RSRC2:TGID_X_EN: 1
; COMPUTE_PGM_RSRC2:TGID_Y_EN: 0
; COMPUTE_PGM_RSRC2:TGID_Z_EN: 0
; COMPUTE_PGM_RSRC2:TIDIG_COMP_CNT: 0
; COMPUTE_PGM_RSRC3_GFX90A:ACCUM_OFFSET: 0
; COMPUTE_PGM_RSRC3_GFX90A:TG_SPLIT: 0
	.section	.text._ZN7rocprim17ROCPRIM_400000_NS6detail17trampoline_kernelINS0_14default_configENS1_25partition_config_selectorILNS1_17partition_subalgoE0EtNS0_10empty_typeEbEEZZNS1_14partition_implILS5_0ELb0ES3_jN6thrust23THRUST_200600_302600_NS6detail15normal_iteratorINSA_10device_ptrItEEEEPS6_SG_NS0_5tupleIJNSA_16discard_iteratorINSA_11use_defaultEEESK_EEENSH_IJSG_SG_EEES6_PlJ7is_evenItEEEE10hipError_tPvRmT3_T4_T5_T6_T7_T9_mT8_P12ihipStream_tbDpT10_ENKUlT_T0_E_clISt17integral_constantIbLb1EES18_IbLb0EEEEDaS14_S15_EUlS14_E_NS1_11comp_targetILNS1_3genE5ELNS1_11target_archE942ELNS1_3gpuE9ELNS1_3repE0EEENS1_30default_config_static_selectorELNS0_4arch9wavefront6targetE1EEEvT1_,"axG",@progbits,_ZN7rocprim17ROCPRIM_400000_NS6detail17trampoline_kernelINS0_14default_configENS1_25partition_config_selectorILNS1_17partition_subalgoE0EtNS0_10empty_typeEbEEZZNS1_14partition_implILS5_0ELb0ES3_jN6thrust23THRUST_200600_302600_NS6detail15normal_iteratorINSA_10device_ptrItEEEEPS6_SG_NS0_5tupleIJNSA_16discard_iteratorINSA_11use_defaultEEESK_EEENSH_IJSG_SG_EEES6_PlJ7is_evenItEEEE10hipError_tPvRmT3_T4_T5_T6_T7_T9_mT8_P12ihipStream_tbDpT10_ENKUlT_T0_E_clISt17integral_constantIbLb1EES18_IbLb0EEEEDaS14_S15_EUlS14_E_NS1_11comp_targetILNS1_3genE5ELNS1_11target_archE942ELNS1_3gpuE9ELNS1_3repE0EEENS1_30default_config_static_selectorELNS0_4arch9wavefront6targetE1EEEvT1_,comdat
	.protected	_ZN7rocprim17ROCPRIM_400000_NS6detail17trampoline_kernelINS0_14default_configENS1_25partition_config_selectorILNS1_17partition_subalgoE0EtNS0_10empty_typeEbEEZZNS1_14partition_implILS5_0ELb0ES3_jN6thrust23THRUST_200600_302600_NS6detail15normal_iteratorINSA_10device_ptrItEEEEPS6_SG_NS0_5tupleIJNSA_16discard_iteratorINSA_11use_defaultEEESK_EEENSH_IJSG_SG_EEES6_PlJ7is_evenItEEEE10hipError_tPvRmT3_T4_T5_T6_T7_T9_mT8_P12ihipStream_tbDpT10_ENKUlT_T0_E_clISt17integral_constantIbLb1EES18_IbLb0EEEEDaS14_S15_EUlS14_E_NS1_11comp_targetILNS1_3genE5ELNS1_11target_archE942ELNS1_3gpuE9ELNS1_3repE0EEENS1_30default_config_static_selectorELNS0_4arch9wavefront6targetE1EEEvT1_ ; -- Begin function _ZN7rocprim17ROCPRIM_400000_NS6detail17trampoline_kernelINS0_14default_configENS1_25partition_config_selectorILNS1_17partition_subalgoE0EtNS0_10empty_typeEbEEZZNS1_14partition_implILS5_0ELb0ES3_jN6thrust23THRUST_200600_302600_NS6detail15normal_iteratorINSA_10device_ptrItEEEEPS6_SG_NS0_5tupleIJNSA_16discard_iteratorINSA_11use_defaultEEESK_EEENSH_IJSG_SG_EEES6_PlJ7is_evenItEEEE10hipError_tPvRmT3_T4_T5_T6_T7_T9_mT8_P12ihipStream_tbDpT10_ENKUlT_T0_E_clISt17integral_constantIbLb1EES18_IbLb0EEEEDaS14_S15_EUlS14_E_NS1_11comp_targetILNS1_3genE5ELNS1_11target_archE942ELNS1_3gpuE9ELNS1_3repE0EEENS1_30default_config_static_selectorELNS0_4arch9wavefront6targetE1EEEvT1_
	.globl	_ZN7rocprim17ROCPRIM_400000_NS6detail17trampoline_kernelINS0_14default_configENS1_25partition_config_selectorILNS1_17partition_subalgoE0EtNS0_10empty_typeEbEEZZNS1_14partition_implILS5_0ELb0ES3_jN6thrust23THRUST_200600_302600_NS6detail15normal_iteratorINSA_10device_ptrItEEEEPS6_SG_NS0_5tupleIJNSA_16discard_iteratorINSA_11use_defaultEEESK_EEENSH_IJSG_SG_EEES6_PlJ7is_evenItEEEE10hipError_tPvRmT3_T4_T5_T6_T7_T9_mT8_P12ihipStream_tbDpT10_ENKUlT_T0_E_clISt17integral_constantIbLb1EES18_IbLb0EEEEDaS14_S15_EUlS14_E_NS1_11comp_targetILNS1_3genE5ELNS1_11target_archE942ELNS1_3gpuE9ELNS1_3repE0EEENS1_30default_config_static_selectorELNS0_4arch9wavefront6targetE1EEEvT1_
	.p2align	8
	.type	_ZN7rocprim17ROCPRIM_400000_NS6detail17trampoline_kernelINS0_14default_configENS1_25partition_config_selectorILNS1_17partition_subalgoE0EtNS0_10empty_typeEbEEZZNS1_14partition_implILS5_0ELb0ES3_jN6thrust23THRUST_200600_302600_NS6detail15normal_iteratorINSA_10device_ptrItEEEEPS6_SG_NS0_5tupleIJNSA_16discard_iteratorINSA_11use_defaultEEESK_EEENSH_IJSG_SG_EEES6_PlJ7is_evenItEEEE10hipError_tPvRmT3_T4_T5_T6_T7_T9_mT8_P12ihipStream_tbDpT10_ENKUlT_T0_E_clISt17integral_constantIbLb1EES18_IbLb0EEEEDaS14_S15_EUlS14_E_NS1_11comp_targetILNS1_3genE5ELNS1_11target_archE942ELNS1_3gpuE9ELNS1_3repE0EEENS1_30default_config_static_selectorELNS0_4arch9wavefront6targetE1EEEvT1_,@function
_ZN7rocprim17ROCPRIM_400000_NS6detail17trampoline_kernelINS0_14default_configENS1_25partition_config_selectorILNS1_17partition_subalgoE0EtNS0_10empty_typeEbEEZZNS1_14partition_implILS5_0ELb0ES3_jN6thrust23THRUST_200600_302600_NS6detail15normal_iteratorINSA_10device_ptrItEEEEPS6_SG_NS0_5tupleIJNSA_16discard_iteratorINSA_11use_defaultEEESK_EEENSH_IJSG_SG_EEES6_PlJ7is_evenItEEEE10hipError_tPvRmT3_T4_T5_T6_T7_T9_mT8_P12ihipStream_tbDpT10_ENKUlT_T0_E_clISt17integral_constantIbLb1EES18_IbLb0EEEEDaS14_S15_EUlS14_E_NS1_11comp_targetILNS1_3genE5ELNS1_11target_archE942ELNS1_3gpuE9ELNS1_3repE0EEENS1_30default_config_static_selectorELNS0_4arch9wavefront6targetE1EEEvT1_: ; @_ZN7rocprim17ROCPRIM_400000_NS6detail17trampoline_kernelINS0_14default_configENS1_25partition_config_selectorILNS1_17partition_subalgoE0EtNS0_10empty_typeEbEEZZNS1_14partition_implILS5_0ELb0ES3_jN6thrust23THRUST_200600_302600_NS6detail15normal_iteratorINSA_10device_ptrItEEEEPS6_SG_NS0_5tupleIJNSA_16discard_iteratorINSA_11use_defaultEEESK_EEENSH_IJSG_SG_EEES6_PlJ7is_evenItEEEE10hipError_tPvRmT3_T4_T5_T6_T7_T9_mT8_P12ihipStream_tbDpT10_ENKUlT_T0_E_clISt17integral_constantIbLb1EES18_IbLb0EEEEDaS14_S15_EUlS14_E_NS1_11comp_targetILNS1_3genE5ELNS1_11target_archE942ELNS1_3gpuE9ELNS1_3repE0EEENS1_30default_config_static_selectorELNS0_4arch9wavefront6targetE1EEEvT1_
; %bb.0:
	.section	.rodata,"a",@progbits
	.p2align	6, 0x0
	.amdhsa_kernel _ZN7rocprim17ROCPRIM_400000_NS6detail17trampoline_kernelINS0_14default_configENS1_25partition_config_selectorILNS1_17partition_subalgoE0EtNS0_10empty_typeEbEEZZNS1_14partition_implILS5_0ELb0ES3_jN6thrust23THRUST_200600_302600_NS6detail15normal_iteratorINSA_10device_ptrItEEEEPS6_SG_NS0_5tupleIJNSA_16discard_iteratorINSA_11use_defaultEEESK_EEENSH_IJSG_SG_EEES6_PlJ7is_evenItEEEE10hipError_tPvRmT3_T4_T5_T6_T7_T9_mT8_P12ihipStream_tbDpT10_ENKUlT_T0_E_clISt17integral_constantIbLb1EES18_IbLb0EEEEDaS14_S15_EUlS14_E_NS1_11comp_targetILNS1_3genE5ELNS1_11target_archE942ELNS1_3gpuE9ELNS1_3repE0EEENS1_30default_config_static_selectorELNS0_4arch9wavefront6targetE1EEEvT1_
		.amdhsa_group_segment_fixed_size 0
		.amdhsa_private_segment_fixed_size 0
		.amdhsa_kernarg_size 136
		.amdhsa_user_sgpr_count 6
		.amdhsa_user_sgpr_private_segment_buffer 1
		.amdhsa_user_sgpr_dispatch_ptr 0
		.amdhsa_user_sgpr_queue_ptr 0
		.amdhsa_user_sgpr_kernarg_segment_ptr 1
		.amdhsa_user_sgpr_dispatch_id 0
		.amdhsa_user_sgpr_flat_scratch_init 0
		.amdhsa_user_sgpr_kernarg_preload_length 0
		.amdhsa_user_sgpr_kernarg_preload_offset 0
		.amdhsa_user_sgpr_private_segment_size 0
		.amdhsa_uses_dynamic_stack 0
		.amdhsa_system_sgpr_private_segment_wavefront_offset 0
		.amdhsa_system_sgpr_workgroup_id_x 1
		.amdhsa_system_sgpr_workgroup_id_y 0
		.amdhsa_system_sgpr_workgroup_id_z 0
		.amdhsa_system_sgpr_workgroup_info 0
		.amdhsa_system_vgpr_workitem_id 0
		.amdhsa_next_free_vgpr 1
		.amdhsa_next_free_sgpr 0
		.amdhsa_accum_offset 4
		.amdhsa_reserve_vcc 0
		.amdhsa_reserve_flat_scratch 0
		.amdhsa_float_round_mode_32 0
		.amdhsa_float_round_mode_16_64 0
		.amdhsa_float_denorm_mode_32 3
		.amdhsa_float_denorm_mode_16_64 3
		.amdhsa_dx10_clamp 1
		.amdhsa_ieee_mode 1
		.amdhsa_fp16_overflow 0
		.amdhsa_tg_split 0
		.amdhsa_exception_fp_ieee_invalid_op 0
		.amdhsa_exception_fp_denorm_src 0
		.amdhsa_exception_fp_ieee_div_zero 0
		.amdhsa_exception_fp_ieee_overflow 0
		.amdhsa_exception_fp_ieee_underflow 0
		.amdhsa_exception_fp_ieee_inexact 0
		.amdhsa_exception_int_div_zero 0
	.end_amdhsa_kernel
	.section	.text._ZN7rocprim17ROCPRIM_400000_NS6detail17trampoline_kernelINS0_14default_configENS1_25partition_config_selectorILNS1_17partition_subalgoE0EtNS0_10empty_typeEbEEZZNS1_14partition_implILS5_0ELb0ES3_jN6thrust23THRUST_200600_302600_NS6detail15normal_iteratorINSA_10device_ptrItEEEEPS6_SG_NS0_5tupleIJNSA_16discard_iteratorINSA_11use_defaultEEESK_EEENSH_IJSG_SG_EEES6_PlJ7is_evenItEEEE10hipError_tPvRmT3_T4_T5_T6_T7_T9_mT8_P12ihipStream_tbDpT10_ENKUlT_T0_E_clISt17integral_constantIbLb1EES18_IbLb0EEEEDaS14_S15_EUlS14_E_NS1_11comp_targetILNS1_3genE5ELNS1_11target_archE942ELNS1_3gpuE9ELNS1_3repE0EEENS1_30default_config_static_selectorELNS0_4arch9wavefront6targetE1EEEvT1_,"axG",@progbits,_ZN7rocprim17ROCPRIM_400000_NS6detail17trampoline_kernelINS0_14default_configENS1_25partition_config_selectorILNS1_17partition_subalgoE0EtNS0_10empty_typeEbEEZZNS1_14partition_implILS5_0ELb0ES3_jN6thrust23THRUST_200600_302600_NS6detail15normal_iteratorINSA_10device_ptrItEEEEPS6_SG_NS0_5tupleIJNSA_16discard_iteratorINSA_11use_defaultEEESK_EEENSH_IJSG_SG_EEES6_PlJ7is_evenItEEEE10hipError_tPvRmT3_T4_T5_T6_T7_T9_mT8_P12ihipStream_tbDpT10_ENKUlT_T0_E_clISt17integral_constantIbLb1EES18_IbLb0EEEEDaS14_S15_EUlS14_E_NS1_11comp_targetILNS1_3genE5ELNS1_11target_archE942ELNS1_3gpuE9ELNS1_3repE0EEENS1_30default_config_static_selectorELNS0_4arch9wavefront6targetE1EEEvT1_,comdat
.Lfunc_end2508:
	.size	_ZN7rocprim17ROCPRIM_400000_NS6detail17trampoline_kernelINS0_14default_configENS1_25partition_config_selectorILNS1_17partition_subalgoE0EtNS0_10empty_typeEbEEZZNS1_14partition_implILS5_0ELb0ES3_jN6thrust23THRUST_200600_302600_NS6detail15normal_iteratorINSA_10device_ptrItEEEEPS6_SG_NS0_5tupleIJNSA_16discard_iteratorINSA_11use_defaultEEESK_EEENSH_IJSG_SG_EEES6_PlJ7is_evenItEEEE10hipError_tPvRmT3_T4_T5_T6_T7_T9_mT8_P12ihipStream_tbDpT10_ENKUlT_T0_E_clISt17integral_constantIbLb1EES18_IbLb0EEEEDaS14_S15_EUlS14_E_NS1_11comp_targetILNS1_3genE5ELNS1_11target_archE942ELNS1_3gpuE9ELNS1_3repE0EEENS1_30default_config_static_selectorELNS0_4arch9wavefront6targetE1EEEvT1_, .Lfunc_end2508-_ZN7rocprim17ROCPRIM_400000_NS6detail17trampoline_kernelINS0_14default_configENS1_25partition_config_selectorILNS1_17partition_subalgoE0EtNS0_10empty_typeEbEEZZNS1_14partition_implILS5_0ELb0ES3_jN6thrust23THRUST_200600_302600_NS6detail15normal_iteratorINSA_10device_ptrItEEEEPS6_SG_NS0_5tupleIJNSA_16discard_iteratorINSA_11use_defaultEEESK_EEENSH_IJSG_SG_EEES6_PlJ7is_evenItEEEE10hipError_tPvRmT3_T4_T5_T6_T7_T9_mT8_P12ihipStream_tbDpT10_ENKUlT_T0_E_clISt17integral_constantIbLb1EES18_IbLb0EEEEDaS14_S15_EUlS14_E_NS1_11comp_targetILNS1_3genE5ELNS1_11target_archE942ELNS1_3gpuE9ELNS1_3repE0EEENS1_30default_config_static_selectorELNS0_4arch9wavefront6targetE1EEEvT1_
                                        ; -- End function
	.section	.AMDGPU.csdata,"",@progbits
; Kernel info:
; codeLenInByte = 0
; NumSgprs: 4
; NumVgprs: 0
; NumAgprs: 0
; TotalNumVgprs: 0
; ScratchSize: 0
; MemoryBound: 0
; FloatMode: 240
; IeeeMode: 1
; LDSByteSize: 0 bytes/workgroup (compile time only)
; SGPRBlocks: 0
; VGPRBlocks: 0
; NumSGPRsForWavesPerEU: 4
; NumVGPRsForWavesPerEU: 1
; AccumOffset: 4
; Occupancy: 8
; WaveLimiterHint : 0
; COMPUTE_PGM_RSRC2:SCRATCH_EN: 0
; COMPUTE_PGM_RSRC2:USER_SGPR: 6
; COMPUTE_PGM_RSRC2:TRAP_HANDLER: 0
; COMPUTE_PGM_RSRC2:TGID_X_EN: 1
; COMPUTE_PGM_RSRC2:TGID_Y_EN: 0
; COMPUTE_PGM_RSRC2:TGID_Z_EN: 0
; COMPUTE_PGM_RSRC2:TIDIG_COMP_CNT: 0
; COMPUTE_PGM_RSRC3_GFX90A:ACCUM_OFFSET: 0
; COMPUTE_PGM_RSRC3_GFX90A:TG_SPLIT: 0
	.section	.text._ZN7rocprim17ROCPRIM_400000_NS6detail17trampoline_kernelINS0_14default_configENS1_25partition_config_selectorILNS1_17partition_subalgoE0EtNS0_10empty_typeEbEEZZNS1_14partition_implILS5_0ELb0ES3_jN6thrust23THRUST_200600_302600_NS6detail15normal_iteratorINSA_10device_ptrItEEEEPS6_SG_NS0_5tupleIJNSA_16discard_iteratorINSA_11use_defaultEEESK_EEENSH_IJSG_SG_EEES6_PlJ7is_evenItEEEE10hipError_tPvRmT3_T4_T5_T6_T7_T9_mT8_P12ihipStream_tbDpT10_ENKUlT_T0_E_clISt17integral_constantIbLb1EES18_IbLb0EEEEDaS14_S15_EUlS14_E_NS1_11comp_targetILNS1_3genE4ELNS1_11target_archE910ELNS1_3gpuE8ELNS1_3repE0EEENS1_30default_config_static_selectorELNS0_4arch9wavefront6targetE1EEEvT1_,"axG",@progbits,_ZN7rocprim17ROCPRIM_400000_NS6detail17trampoline_kernelINS0_14default_configENS1_25partition_config_selectorILNS1_17partition_subalgoE0EtNS0_10empty_typeEbEEZZNS1_14partition_implILS5_0ELb0ES3_jN6thrust23THRUST_200600_302600_NS6detail15normal_iteratorINSA_10device_ptrItEEEEPS6_SG_NS0_5tupleIJNSA_16discard_iteratorINSA_11use_defaultEEESK_EEENSH_IJSG_SG_EEES6_PlJ7is_evenItEEEE10hipError_tPvRmT3_T4_T5_T6_T7_T9_mT8_P12ihipStream_tbDpT10_ENKUlT_T0_E_clISt17integral_constantIbLb1EES18_IbLb0EEEEDaS14_S15_EUlS14_E_NS1_11comp_targetILNS1_3genE4ELNS1_11target_archE910ELNS1_3gpuE8ELNS1_3repE0EEENS1_30default_config_static_selectorELNS0_4arch9wavefront6targetE1EEEvT1_,comdat
	.protected	_ZN7rocprim17ROCPRIM_400000_NS6detail17trampoline_kernelINS0_14default_configENS1_25partition_config_selectorILNS1_17partition_subalgoE0EtNS0_10empty_typeEbEEZZNS1_14partition_implILS5_0ELb0ES3_jN6thrust23THRUST_200600_302600_NS6detail15normal_iteratorINSA_10device_ptrItEEEEPS6_SG_NS0_5tupleIJNSA_16discard_iteratorINSA_11use_defaultEEESK_EEENSH_IJSG_SG_EEES6_PlJ7is_evenItEEEE10hipError_tPvRmT3_T4_T5_T6_T7_T9_mT8_P12ihipStream_tbDpT10_ENKUlT_T0_E_clISt17integral_constantIbLb1EES18_IbLb0EEEEDaS14_S15_EUlS14_E_NS1_11comp_targetILNS1_3genE4ELNS1_11target_archE910ELNS1_3gpuE8ELNS1_3repE0EEENS1_30default_config_static_selectorELNS0_4arch9wavefront6targetE1EEEvT1_ ; -- Begin function _ZN7rocprim17ROCPRIM_400000_NS6detail17trampoline_kernelINS0_14default_configENS1_25partition_config_selectorILNS1_17partition_subalgoE0EtNS0_10empty_typeEbEEZZNS1_14partition_implILS5_0ELb0ES3_jN6thrust23THRUST_200600_302600_NS6detail15normal_iteratorINSA_10device_ptrItEEEEPS6_SG_NS0_5tupleIJNSA_16discard_iteratorINSA_11use_defaultEEESK_EEENSH_IJSG_SG_EEES6_PlJ7is_evenItEEEE10hipError_tPvRmT3_T4_T5_T6_T7_T9_mT8_P12ihipStream_tbDpT10_ENKUlT_T0_E_clISt17integral_constantIbLb1EES18_IbLb0EEEEDaS14_S15_EUlS14_E_NS1_11comp_targetILNS1_3genE4ELNS1_11target_archE910ELNS1_3gpuE8ELNS1_3repE0EEENS1_30default_config_static_selectorELNS0_4arch9wavefront6targetE1EEEvT1_
	.globl	_ZN7rocprim17ROCPRIM_400000_NS6detail17trampoline_kernelINS0_14default_configENS1_25partition_config_selectorILNS1_17partition_subalgoE0EtNS0_10empty_typeEbEEZZNS1_14partition_implILS5_0ELb0ES3_jN6thrust23THRUST_200600_302600_NS6detail15normal_iteratorINSA_10device_ptrItEEEEPS6_SG_NS0_5tupleIJNSA_16discard_iteratorINSA_11use_defaultEEESK_EEENSH_IJSG_SG_EEES6_PlJ7is_evenItEEEE10hipError_tPvRmT3_T4_T5_T6_T7_T9_mT8_P12ihipStream_tbDpT10_ENKUlT_T0_E_clISt17integral_constantIbLb1EES18_IbLb0EEEEDaS14_S15_EUlS14_E_NS1_11comp_targetILNS1_3genE4ELNS1_11target_archE910ELNS1_3gpuE8ELNS1_3repE0EEENS1_30default_config_static_selectorELNS0_4arch9wavefront6targetE1EEEvT1_
	.p2align	8
	.type	_ZN7rocprim17ROCPRIM_400000_NS6detail17trampoline_kernelINS0_14default_configENS1_25partition_config_selectorILNS1_17partition_subalgoE0EtNS0_10empty_typeEbEEZZNS1_14partition_implILS5_0ELb0ES3_jN6thrust23THRUST_200600_302600_NS6detail15normal_iteratorINSA_10device_ptrItEEEEPS6_SG_NS0_5tupleIJNSA_16discard_iteratorINSA_11use_defaultEEESK_EEENSH_IJSG_SG_EEES6_PlJ7is_evenItEEEE10hipError_tPvRmT3_T4_T5_T6_T7_T9_mT8_P12ihipStream_tbDpT10_ENKUlT_T0_E_clISt17integral_constantIbLb1EES18_IbLb0EEEEDaS14_S15_EUlS14_E_NS1_11comp_targetILNS1_3genE4ELNS1_11target_archE910ELNS1_3gpuE8ELNS1_3repE0EEENS1_30default_config_static_selectorELNS0_4arch9wavefront6targetE1EEEvT1_,@function
_ZN7rocprim17ROCPRIM_400000_NS6detail17trampoline_kernelINS0_14default_configENS1_25partition_config_selectorILNS1_17partition_subalgoE0EtNS0_10empty_typeEbEEZZNS1_14partition_implILS5_0ELb0ES3_jN6thrust23THRUST_200600_302600_NS6detail15normal_iteratorINSA_10device_ptrItEEEEPS6_SG_NS0_5tupleIJNSA_16discard_iteratorINSA_11use_defaultEEESK_EEENSH_IJSG_SG_EEES6_PlJ7is_evenItEEEE10hipError_tPvRmT3_T4_T5_T6_T7_T9_mT8_P12ihipStream_tbDpT10_ENKUlT_T0_E_clISt17integral_constantIbLb1EES18_IbLb0EEEEDaS14_S15_EUlS14_E_NS1_11comp_targetILNS1_3genE4ELNS1_11target_archE910ELNS1_3gpuE8ELNS1_3repE0EEENS1_30default_config_static_selectorELNS0_4arch9wavefront6targetE1EEEvT1_: ; @_ZN7rocprim17ROCPRIM_400000_NS6detail17trampoline_kernelINS0_14default_configENS1_25partition_config_selectorILNS1_17partition_subalgoE0EtNS0_10empty_typeEbEEZZNS1_14partition_implILS5_0ELb0ES3_jN6thrust23THRUST_200600_302600_NS6detail15normal_iteratorINSA_10device_ptrItEEEEPS6_SG_NS0_5tupleIJNSA_16discard_iteratorINSA_11use_defaultEEESK_EEENSH_IJSG_SG_EEES6_PlJ7is_evenItEEEE10hipError_tPvRmT3_T4_T5_T6_T7_T9_mT8_P12ihipStream_tbDpT10_ENKUlT_T0_E_clISt17integral_constantIbLb1EES18_IbLb0EEEEDaS14_S15_EUlS14_E_NS1_11comp_targetILNS1_3genE4ELNS1_11target_archE910ELNS1_3gpuE8ELNS1_3repE0EEENS1_30default_config_static_selectorELNS0_4arch9wavefront6targetE1EEEvT1_
; %bb.0:
	s_load_dwordx2 s[8:9], s[4:5], 0x68
	s_load_dwordx4 s[0:3], s[4:5], 0x8
	s_load_dwordx4 s[20:23], s[4:5], 0x58
	s_load_dword s7, s[4:5], 0x80
	v_lshlrev_b32_e32 v1, 1, v0
	s_waitcnt lgkmcnt(0)
	v_mov_b32_e32 v3, s9
	s_lshl_b64 s[10:11], s[2:3], 1
	s_add_u32 s9, s0, s10
	s_mul_i32 s0, s7, 0x1c00
	s_addc_u32 s12, s1, s11
	s_add_i32 s1, s0, s2
	s_add_i32 s13, s7, -1
	s_sub_i32 s7, s8, s1
	s_add_u32 s0, s2, s0
	s_addc_u32 s1, s3, 0
	s_cmp_eq_u32 s6, s13
	v_mov_b32_e32 v2, s8
	s_load_dwordx2 s[18:19], s[22:23], 0x0
	s_cselect_b64 s[22:23], -1, 0
	s_cmp_lg_u32 s6, s13
	s_mul_i32 s10, s6, 0x1c00
	s_mov_b32 s11, 0
	v_cmp_lt_u64_e32 vcc, s[0:1], v[2:3]
	s_cselect_b64 s[0:1], -1, 0
	s_or_b64 s[0:1], s[0:1], vcc
	s_lshl_b64 s[2:3], s[10:11], 1
	s_add_u32 s8, s9, s2
	s_addc_u32 s9, s12, s3
	s_mov_b64 s[2:3], -1
	s_and_b64 vcc, exec, s[0:1]
	s_cbranch_vccz .LBB2509_2
; %bb.1:
	v_mov_b32_e32 v3, s9
	v_add_co_u32_e32 v2, vcc, s8, v1
	v_addc_co_u32_e32 v3, vcc, 0, v3, vcc
	v_add_co_u32_e32 v4, vcc, 0x1000, v2
	v_addc_co_u32_e32 v5, vcc, 0, v3, vcc
	flat_load_ushort v6, v[2:3]
	flat_load_ushort v7, v[2:3] offset:512
	flat_load_ushort v8, v[2:3] offset:1024
	flat_load_ushort v9, v[2:3] offset:1536
	flat_load_ushort v10, v[2:3] offset:2048
	flat_load_ushort v11, v[2:3] offset:2560
	flat_load_ushort v12, v[2:3] offset:3072
	flat_load_ushort v13, v[2:3] offset:3584
	flat_load_ushort v14, v[4:5]
	flat_load_ushort v15, v[4:5] offset:512
	flat_load_ushort v16, v[4:5] offset:1024
	flat_load_ushort v17, v[4:5] offset:1536
	flat_load_ushort v18, v[4:5] offset:2048
	flat_load_ushort v19, v[4:5] offset:2560
	flat_load_ushort v20, v[4:5] offset:3072
	flat_load_ushort v21, v[4:5] offset:3584
	v_add_co_u32_e32 v4, vcc, 0x2000, v2
	v_addc_co_u32_e32 v5, vcc, 0, v3, vcc
	v_add_co_u32_e32 v2, vcc, 0x3000, v2
	v_addc_co_u32_e32 v3, vcc, 0, v3, vcc
	flat_load_ushort v22, v[4:5]
	flat_load_ushort v23, v[4:5] offset:512
	flat_load_ushort v24, v[4:5] offset:1024
	flat_load_ushort v25, v[4:5] offset:1536
	flat_load_ushort v26, v[4:5] offset:2048
	flat_load_ushort v27, v[4:5] offset:2560
	flat_load_ushort v28, v[4:5] offset:3072
	flat_load_ushort v29, v[4:5] offset:3584
	s_nop 0
	flat_load_ushort v4, v[2:3]
	flat_load_ushort v5, v[2:3] offset:512
	flat_load_ushort v30, v[2:3] offset:1024
	;; [unrolled: 1-line block ×3, first 2 shown]
	s_mov_b64 s[2:3], 0
	s_waitcnt vmcnt(0) lgkmcnt(0)
	ds_write_b16 v1, v6
	ds_write_b16 v1, v7 offset:512
	ds_write_b16 v1, v8 offset:1024
	;; [unrolled: 1-line block ×27, first 2 shown]
	s_waitcnt lgkmcnt(0)
	s_barrier
.LBB2509_2:
	s_andn2_b64 vcc, exec, s[2:3]
	s_addk_i32 s7, 0x1c00
	s_cbranch_vccnz .LBB2509_60
; %bb.3:
	v_cmp_gt_u32_e32 vcc, s7, v0
                                        ; implicit-def: $vgpr2
	s_and_saveexec_b64 s[2:3], vcc
	s_cbranch_execz .LBB2509_5
; %bb.4:
	v_mov_b32_e32 v3, s9
	v_add_co_u32_e32 v2, vcc, s8, v1
	v_addc_co_u32_e32 v3, vcc, 0, v3, vcc
	flat_load_ushort v2, v[2:3]
.LBB2509_5:
	s_or_b64 exec, exec, s[2:3]
	v_or_b32_e32 v3, 0x100, v0
	v_cmp_gt_u32_e32 vcc, s7, v3
                                        ; implicit-def: $vgpr3
	s_and_saveexec_b64 s[2:3], vcc
	s_cbranch_execz .LBB2509_7
; %bb.6:
	v_mov_b32_e32 v3, s9
	v_add_co_u32_e32 v4, vcc, s8, v1
	v_addc_co_u32_e32 v5, vcc, 0, v3, vcc
	flat_load_ushort v3, v[4:5] offset:512
.LBB2509_7:
	s_or_b64 exec, exec, s[2:3]
	v_or_b32_e32 v4, 0x200, v0
	v_cmp_gt_u32_e32 vcc, s7, v4
                                        ; implicit-def: $vgpr4
	s_and_saveexec_b64 s[2:3], vcc
	s_cbranch_execz .LBB2509_9
; %bb.8:
	v_mov_b32_e32 v5, s9
	v_add_co_u32_e32 v4, vcc, s8, v1
	v_addc_co_u32_e32 v5, vcc, 0, v5, vcc
	flat_load_ushort v4, v[4:5] offset:1024
.LBB2509_9:
	s_or_b64 exec, exec, s[2:3]
	v_or_b32_e32 v5, 0x300, v0
	v_cmp_gt_u32_e32 vcc, s7, v5
                                        ; implicit-def: $vgpr5
	s_and_saveexec_b64 s[2:3], vcc
	s_cbranch_execz .LBB2509_11
; %bb.10:
	v_mov_b32_e32 v5, s9
	v_add_co_u32_e32 v6, vcc, s8, v1
	v_addc_co_u32_e32 v7, vcc, 0, v5, vcc
	flat_load_ushort v5, v[6:7] offset:1536
.LBB2509_11:
	s_or_b64 exec, exec, s[2:3]
	v_or_b32_e32 v6, 0x400, v0
	v_cmp_gt_u32_e32 vcc, s7, v6
                                        ; implicit-def: $vgpr6
	s_and_saveexec_b64 s[2:3], vcc
	s_cbranch_execz .LBB2509_13
; %bb.12:
	v_mov_b32_e32 v7, s9
	v_add_co_u32_e32 v6, vcc, s8, v1
	v_addc_co_u32_e32 v7, vcc, 0, v7, vcc
	flat_load_ushort v6, v[6:7] offset:2048
.LBB2509_13:
	s_or_b64 exec, exec, s[2:3]
	v_or_b32_e32 v7, 0x500, v0
	v_cmp_gt_u32_e32 vcc, s7, v7
                                        ; implicit-def: $vgpr7
	s_and_saveexec_b64 s[2:3], vcc
	s_cbranch_execz .LBB2509_15
; %bb.14:
	v_mov_b32_e32 v7, s9
	v_add_co_u32_e32 v8, vcc, s8, v1
	v_addc_co_u32_e32 v9, vcc, 0, v7, vcc
	flat_load_ushort v7, v[8:9] offset:2560
.LBB2509_15:
	s_or_b64 exec, exec, s[2:3]
	v_or_b32_e32 v8, 0x600, v0
	v_cmp_gt_u32_e32 vcc, s7, v8
                                        ; implicit-def: $vgpr8
	s_and_saveexec_b64 s[2:3], vcc
	s_cbranch_execz .LBB2509_17
; %bb.16:
	v_mov_b32_e32 v9, s9
	v_add_co_u32_e32 v8, vcc, s8, v1
	v_addc_co_u32_e32 v9, vcc, 0, v9, vcc
	flat_load_ushort v8, v[8:9] offset:3072
.LBB2509_17:
	s_or_b64 exec, exec, s[2:3]
	v_or_b32_e32 v9, 0x700, v0
	v_cmp_gt_u32_e32 vcc, s7, v9
                                        ; implicit-def: $vgpr9
	s_and_saveexec_b64 s[2:3], vcc
	s_cbranch_execz .LBB2509_19
; %bb.18:
	v_mov_b32_e32 v9, s9
	v_add_co_u32_e32 v10, vcc, s8, v1
	v_addc_co_u32_e32 v11, vcc, 0, v9, vcc
	flat_load_ushort v9, v[10:11] offset:3584
.LBB2509_19:
	s_or_b64 exec, exec, s[2:3]
	v_or_b32_e32 v11, 0x800, v0
	v_cmp_gt_u32_e32 vcc, s7, v11
                                        ; implicit-def: $vgpr10
	s_and_saveexec_b64 s[2:3], vcc
	s_cbranch_execz .LBB2509_21
; %bb.20:
	v_lshlrev_b32_e32 v10, 1, v11
	v_mov_b32_e32 v11, s9
	v_add_co_u32_e32 v10, vcc, s8, v10
	v_addc_co_u32_e32 v11, vcc, 0, v11, vcc
	flat_load_ushort v10, v[10:11]
.LBB2509_21:
	s_or_b64 exec, exec, s[2:3]
	v_or_b32_e32 v12, 0x900, v0
	v_cmp_gt_u32_e32 vcc, s7, v12
                                        ; implicit-def: $vgpr11
	s_and_saveexec_b64 s[2:3], vcc
	s_cbranch_execz .LBB2509_23
; %bb.22:
	v_lshlrev_b32_e32 v11, 1, v12
	v_mov_b32_e32 v13, s9
	v_add_co_u32_e32 v12, vcc, s8, v11
	v_addc_co_u32_e32 v13, vcc, 0, v13, vcc
	flat_load_ushort v11, v[12:13]
.LBB2509_23:
	s_or_b64 exec, exec, s[2:3]
	v_or_b32_e32 v13, 0xa00, v0
	v_cmp_gt_u32_e32 vcc, s7, v13
                                        ; implicit-def: $vgpr12
	s_and_saveexec_b64 s[2:3], vcc
	s_cbranch_execz .LBB2509_25
; %bb.24:
	v_lshlrev_b32_e32 v12, 1, v13
	v_mov_b32_e32 v13, s9
	v_add_co_u32_e32 v12, vcc, s8, v12
	v_addc_co_u32_e32 v13, vcc, 0, v13, vcc
	flat_load_ushort v12, v[12:13]
.LBB2509_25:
	s_or_b64 exec, exec, s[2:3]
	v_or_b32_e32 v14, 0xb00, v0
	v_cmp_gt_u32_e32 vcc, s7, v14
                                        ; implicit-def: $vgpr13
	s_and_saveexec_b64 s[2:3], vcc
	s_cbranch_execz .LBB2509_27
; %bb.26:
	v_lshlrev_b32_e32 v13, 1, v14
	v_mov_b32_e32 v15, s9
	v_add_co_u32_e32 v14, vcc, s8, v13
	v_addc_co_u32_e32 v15, vcc, 0, v15, vcc
	flat_load_ushort v13, v[14:15]
.LBB2509_27:
	s_or_b64 exec, exec, s[2:3]
	v_or_b32_e32 v15, 0xc00, v0
	v_cmp_gt_u32_e32 vcc, s7, v15
                                        ; implicit-def: $vgpr14
	s_and_saveexec_b64 s[2:3], vcc
	s_cbranch_execz .LBB2509_29
; %bb.28:
	v_lshlrev_b32_e32 v14, 1, v15
	v_mov_b32_e32 v15, s9
	v_add_co_u32_e32 v14, vcc, s8, v14
	v_addc_co_u32_e32 v15, vcc, 0, v15, vcc
	flat_load_ushort v14, v[14:15]
.LBB2509_29:
	s_or_b64 exec, exec, s[2:3]
	v_or_b32_e32 v16, 0xd00, v0
	v_cmp_gt_u32_e32 vcc, s7, v16
                                        ; implicit-def: $vgpr15
	s_and_saveexec_b64 s[2:3], vcc
	s_cbranch_execz .LBB2509_31
; %bb.30:
	v_lshlrev_b32_e32 v15, 1, v16
	v_mov_b32_e32 v17, s9
	v_add_co_u32_e32 v16, vcc, s8, v15
	v_addc_co_u32_e32 v17, vcc, 0, v17, vcc
	flat_load_ushort v15, v[16:17]
.LBB2509_31:
	s_or_b64 exec, exec, s[2:3]
	v_or_b32_e32 v17, 0xe00, v0
	v_cmp_gt_u32_e32 vcc, s7, v17
                                        ; implicit-def: $vgpr16
	s_and_saveexec_b64 s[2:3], vcc
	s_cbranch_execz .LBB2509_33
; %bb.32:
	v_lshlrev_b32_e32 v16, 1, v17
	v_mov_b32_e32 v17, s9
	v_add_co_u32_e32 v16, vcc, s8, v16
	v_addc_co_u32_e32 v17, vcc, 0, v17, vcc
	flat_load_ushort v16, v[16:17]
.LBB2509_33:
	s_or_b64 exec, exec, s[2:3]
	v_or_b32_e32 v18, 0xf00, v0
	v_cmp_gt_u32_e32 vcc, s7, v18
                                        ; implicit-def: $vgpr17
	s_and_saveexec_b64 s[2:3], vcc
	s_cbranch_execz .LBB2509_35
; %bb.34:
	v_lshlrev_b32_e32 v17, 1, v18
	v_mov_b32_e32 v19, s9
	v_add_co_u32_e32 v18, vcc, s8, v17
	v_addc_co_u32_e32 v19, vcc, 0, v19, vcc
	flat_load_ushort v17, v[18:19]
.LBB2509_35:
	s_or_b64 exec, exec, s[2:3]
	v_or_b32_e32 v19, 0x1000, v0
	v_cmp_gt_u32_e32 vcc, s7, v19
                                        ; implicit-def: $vgpr18
	s_and_saveexec_b64 s[2:3], vcc
	s_cbranch_execz .LBB2509_37
; %bb.36:
	v_lshlrev_b32_e32 v18, 1, v19
	v_mov_b32_e32 v19, s9
	v_add_co_u32_e32 v18, vcc, s8, v18
	v_addc_co_u32_e32 v19, vcc, 0, v19, vcc
	flat_load_ushort v18, v[18:19]
.LBB2509_37:
	s_or_b64 exec, exec, s[2:3]
	v_or_b32_e32 v20, 0x1100, v0
	v_cmp_gt_u32_e32 vcc, s7, v20
                                        ; implicit-def: $vgpr19
	s_and_saveexec_b64 s[2:3], vcc
	s_cbranch_execz .LBB2509_39
; %bb.38:
	v_lshlrev_b32_e32 v19, 1, v20
	v_mov_b32_e32 v21, s9
	v_add_co_u32_e32 v20, vcc, s8, v19
	v_addc_co_u32_e32 v21, vcc, 0, v21, vcc
	flat_load_ushort v19, v[20:21]
.LBB2509_39:
	s_or_b64 exec, exec, s[2:3]
	v_or_b32_e32 v21, 0x1200, v0
	v_cmp_gt_u32_e32 vcc, s7, v21
                                        ; implicit-def: $vgpr20
	s_and_saveexec_b64 s[2:3], vcc
	s_cbranch_execz .LBB2509_41
; %bb.40:
	v_lshlrev_b32_e32 v20, 1, v21
	v_mov_b32_e32 v21, s9
	v_add_co_u32_e32 v20, vcc, s8, v20
	v_addc_co_u32_e32 v21, vcc, 0, v21, vcc
	flat_load_ushort v20, v[20:21]
.LBB2509_41:
	s_or_b64 exec, exec, s[2:3]
	v_or_b32_e32 v22, 0x1300, v0
	v_cmp_gt_u32_e32 vcc, s7, v22
                                        ; implicit-def: $vgpr21
	s_and_saveexec_b64 s[2:3], vcc
	s_cbranch_execz .LBB2509_43
; %bb.42:
	v_lshlrev_b32_e32 v21, 1, v22
	v_mov_b32_e32 v23, s9
	v_add_co_u32_e32 v22, vcc, s8, v21
	v_addc_co_u32_e32 v23, vcc, 0, v23, vcc
	flat_load_ushort v21, v[22:23]
.LBB2509_43:
	s_or_b64 exec, exec, s[2:3]
	v_or_b32_e32 v23, 0x1400, v0
	v_cmp_gt_u32_e32 vcc, s7, v23
                                        ; implicit-def: $vgpr22
	s_and_saveexec_b64 s[2:3], vcc
	s_cbranch_execz .LBB2509_45
; %bb.44:
	v_lshlrev_b32_e32 v22, 1, v23
	v_mov_b32_e32 v23, s9
	v_add_co_u32_e32 v22, vcc, s8, v22
	v_addc_co_u32_e32 v23, vcc, 0, v23, vcc
	flat_load_ushort v22, v[22:23]
.LBB2509_45:
	s_or_b64 exec, exec, s[2:3]
	v_or_b32_e32 v24, 0x1500, v0
	v_cmp_gt_u32_e32 vcc, s7, v24
                                        ; implicit-def: $vgpr23
	s_and_saveexec_b64 s[2:3], vcc
	s_cbranch_execz .LBB2509_47
; %bb.46:
	v_lshlrev_b32_e32 v23, 1, v24
	v_mov_b32_e32 v25, s9
	v_add_co_u32_e32 v24, vcc, s8, v23
	v_addc_co_u32_e32 v25, vcc, 0, v25, vcc
	flat_load_ushort v23, v[24:25]
.LBB2509_47:
	s_or_b64 exec, exec, s[2:3]
	v_or_b32_e32 v25, 0x1600, v0
	v_cmp_gt_u32_e32 vcc, s7, v25
                                        ; implicit-def: $vgpr24
	s_and_saveexec_b64 s[2:3], vcc
	s_cbranch_execz .LBB2509_49
; %bb.48:
	v_lshlrev_b32_e32 v24, 1, v25
	v_mov_b32_e32 v25, s9
	v_add_co_u32_e32 v24, vcc, s8, v24
	v_addc_co_u32_e32 v25, vcc, 0, v25, vcc
	flat_load_ushort v24, v[24:25]
.LBB2509_49:
	s_or_b64 exec, exec, s[2:3]
	v_or_b32_e32 v26, 0x1700, v0
	v_cmp_gt_u32_e32 vcc, s7, v26
                                        ; implicit-def: $vgpr25
	s_and_saveexec_b64 s[2:3], vcc
	s_cbranch_execz .LBB2509_51
; %bb.50:
	v_lshlrev_b32_e32 v25, 1, v26
	v_mov_b32_e32 v27, s9
	v_add_co_u32_e32 v26, vcc, s8, v25
	v_addc_co_u32_e32 v27, vcc, 0, v27, vcc
	flat_load_ushort v25, v[26:27]
.LBB2509_51:
	s_or_b64 exec, exec, s[2:3]
	v_or_b32_e32 v27, 0x1800, v0
	v_cmp_gt_u32_e32 vcc, s7, v27
                                        ; implicit-def: $vgpr26
	s_and_saveexec_b64 s[2:3], vcc
	s_cbranch_execz .LBB2509_53
; %bb.52:
	v_lshlrev_b32_e32 v26, 1, v27
	v_mov_b32_e32 v27, s9
	v_add_co_u32_e32 v26, vcc, s8, v26
	v_addc_co_u32_e32 v27, vcc, 0, v27, vcc
	flat_load_ushort v26, v[26:27]
.LBB2509_53:
	s_or_b64 exec, exec, s[2:3]
	v_or_b32_e32 v28, 0x1900, v0
	v_cmp_gt_u32_e32 vcc, s7, v28
                                        ; implicit-def: $vgpr27
	s_and_saveexec_b64 s[2:3], vcc
	s_cbranch_execz .LBB2509_55
; %bb.54:
	v_lshlrev_b32_e32 v27, 1, v28
	v_mov_b32_e32 v29, s9
	v_add_co_u32_e32 v28, vcc, s8, v27
	v_addc_co_u32_e32 v29, vcc, 0, v29, vcc
	flat_load_ushort v27, v[28:29]
.LBB2509_55:
	s_or_b64 exec, exec, s[2:3]
	v_or_b32_e32 v29, 0x1a00, v0
	v_cmp_gt_u32_e32 vcc, s7, v29
                                        ; implicit-def: $vgpr28
	s_and_saveexec_b64 s[2:3], vcc
	s_cbranch_execz .LBB2509_57
; %bb.56:
	v_lshlrev_b32_e32 v28, 1, v29
	v_mov_b32_e32 v29, s9
	v_add_co_u32_e32 v28, vcc, s8, v28
	v_addc_co_u32_e32 v29, vcc, 0, v29, vcc
	flat_load_ushort v28, v[28:29]
.LBB2509_57:
	s_or_b64 exec, exec, s[2:3]
	v_or_b32_e32 v30, 0x1b00, v0
	v_cmp_gt_u32_e32 vcc, s7, v30
                                        ; implicit-def: $vgpr29
	s_and_saveexec_b64 s[2:3], vcc
	s_cbranch_execz .LBB2509_59
; %bb.58:
	v_lshlrev_b32_e32 v29, 1, v30
	v_mov_b32_e32 v31, s9
	v_add_co_u32_e32 v30, vcc, s8, v29
	v_addc_co_u32_e32 v31, vcc, 0, v31, vcc
	flat_load_ushort v29, v[30:31]
.LBB2509_59:
	s_or_b64 exec, exec, s[2:3]
	s_waitcnt vmcnt(0) lgkmcnt(0)
	ds_write_b16 v1, v2
	ds_write_b16 v1, v3 offset:512
	ds_write_b16 v1, v4 offset:1024
	;; [unrolled: 1-line block ×27, first 2 shown]
	s_waitcnt lgkmcnt(0)
	s_barrier
.LBB2509_60:
	v_mul_u32_u24_e32 v38, 28, v0
	v_lshlrev_b32_e32 v6, 1, v38
	s_waitcnt lgkmcnt(0)
	ds_read_b64 v[14:15], v6 offset:48
	ds_read2_b64 v[2:5], v6 offset0:4 offset1:5
	ds_read2_b64 v[10:13], v6 offset1:1
	ds_read2_b64 v[6:9], v6 offset0:2 offset1:3
	s_andn2_b64 vcc, exec, s[0:1]
	s_waitcnt lgkmcnt(3)
	v_lshrrev_b32_e32 v26, 16, v14
	v_lshrrev_b32_e32 v1, 16, v15
	s_waitcnt lgkmcnt(2)
	v_lshrrev_b32_e32 v30, 16, v2
	v_lshrrev_b32_e32 v29, 16, v3
	v_lshrrev_b32_e32 v28, 16, v4
	v_lshrrev_b32_e32 v27, 16, v5
	s_waitcnt lgkmcnt(1)
	v_lshrrev_b32_e32 v39, 16, v10
	v_lshrrev_b32_e32 v37, 16, v11
	;; [unrolled: 5-line block ×3, first 2 shown]
	v_lshrrev_b32_e32 v32, 16, v8
	v_lshrrev_b32_e32 v31, 16, v9
	v_xor_b32_e32 v85, -1, v10
	v_xor_b32_e32 v84, -1, v39
	;; [unrolled: 1-line block ×28, first 2 shown]
	s_barrier
	s_cbranch_vccnz .LBB2509_62
; %bb.61:
	v_and_b32_e32 v67, 1, v85
	v_and_b32_e32 v66, 1, v84
	;; [unrolled: 1-line block ×28, first 2 shown]
	s_load_dwordx2 s[24:25], s[4:5], 0x78
	s_cbranch_execz .LBB2509_63
	s_branch .LBB2509_64
.LBB2509_62:
                                        ; implicit-def: $vgpr67
                                        ; implicit-def: $vgpr66
                                        ; implicit-def: $vgpr65
                                        ; implicit-def: $vgpr64
                                        ; implicit-def: $vgpr63
                                        ; implicit-def: $vgpr62
                                        ; implicit-def: $vgpr61
                                        ; implicit-def: $vgpr60
                                        ; implicit-def: $vgpr59
                                        ; implicit-def: $vgpr58
                                        ; implicit-def: $vgpr57
                                        ; implicit-def: $vgpr56
                                        ; implicit-def: $vgpr55
                                        ; implicit-def: $vgpr54
                                        ; implicit-def: $vgpr53
                                        ; implicit-def: $vgpr52
                                        ; implicit-def: $vgpr51
                                        ; implicit-def: $vgpr50
                                        ; implicit-def: $vgpr49
                                        ; implicit-def: $vgpr48
                                        ; implicit-def: $vgpr47
                                        ; implicit-def: $vgpr46
                                        ; implicit-def: $vgpr45
                                        ; implicit-def: $vgpr44
                                        ; implicit-def: $vgpr43
                                        ; implicit-def: $vgpr42
                                        ; implicit-def: $vgpr40
                                        ; implicit-def: $vgpr41
	s_load_dwordx2 s[24:25], s[4:5], 0x78
.LBB2509_63:
	v_or_b32_e32 v49, 1, v38
	v_cmp_gt_u32_e32 vcc, s7, v38
	v_or_b32_e32 v50, 2, v38
	v_cndmask_b32_e64 v58, 0, 1, vcc
	v_cmp_gt_u32_e32 vcc, s7, v49
	v_or_b32_e32 v51, 3, v38
	v_cndmask_b32_e64 v49, 0, 1, vcc
	v_cmp_gt_u32_e32 vcc, s7, v50
	v_add_u32_e32 v52, 4, v38
	v_and_b32_e32 v66, v49, v84
	v_cndmask_b32_e64 v49, 0, 1, vcc
	v_cmp_gt_u32_e32 vcc, s7, v51
	v_add_u32_e32 v53, 5, v38
	v_and_b32_e32 v65, v49, v83
	;; [unrolled: 4-line block ×9, first 2 shown]
	v_and_b32_e32 v58, v49, v76
	v_cndmask_b32_e64 v49, 0, 1, vcc
	v_cmp_gt_u32_e32 vcc, s7, v87
	v_add_u32_e32 v89, 13, v38
	v_and_b32_e32 v57, v49, v75
	v_cndmask_b32_e64 v49, 0, 1, vcc
	v_cmp_gt_u32_e32 vcc, s7, v88
	v_add_u32_e32 v90, 14, v38
	;; [unrolled: 4-line block ×15, first 2 shown]
	v_and_b32_e32 v43, v20, v19
	v_cndmask_b32_e64 v19, 0, 1, vcc
	v_cmp_gt_u32_e32 vcc, s7, v40
	v_and_b32_e32 v42, v19, v18
	v_cndmask_b32_e64 v18, 0, 1, vcc
	v_cmp_gt_u32_e32 vcc, s7, v41
	v_and_b32_e32 v40, v18, v17
	v_cndmask_b32_e64 v17, 0, 1, vcc
	v_and_b32_e32 v41, v17, v16
.LBB2509_64:
	v_and_b32_e32 v92, 0xff, v43
	v_and_b32_e32 v93, 0xff, v42
	v_add_u32_sdwa v16, v40, v41 dst_sel:DWORD dst_unused:UNUSED_PAD src0_sel:BYTE_0 src1_sel:BYTE_0
	v_and_b32_e32 v90, 0xff, v45
	v_and_b32_e32 v91, 0xff, v44
	v_add3_u32 v16, v16, v93, v92
	v_and_b32_e32 v88, 0xff, v47
	v_and_b32_e32 v89, 0xff, v46
	v_add3_u32 v16, v16, v91, v90
	v_and_b32_e32 v86, 0xff, v49
	v_and_b32_e32 v87, 0xff, v48
	v_add3_u32 v16, v16, v89, v88
	v_and_b32_e32 v84, 0xff, v51
	v_and_b32_e32 v85, 0xff, v50
	v_add3_u32 v16, v16, v87, v86
	v_and_b32_e32 v82, 0xff, v53
	v_and_b32_e32 v83, 0xff, v52
	v_add3_u32 v16, v16, v85, v84
	v_and_b32_e32 v80, 0xff, v55
	v_and_b32_e32 v81, 0xff, v54
	v_add3_u32 v16, v16, v83, v82
	v_and_b32_e32 v78, 0xff, v57
	v_and_b32_e32 v79, 0xff, v56
	v_add3_u32 v16, v16, v81, v80
	v_and_b32_e32 v76, 0xff, v59
	v_and_b32_e32 v77, 0xff, v58
	v_add3_u32 v16, v16, v79, v78
	v_and_b32_e32 v74, 0xff, v61
	v_and_b32_e32 v75, 0xff, v60
	v_add3_u32 v16, v16, v77, v76
	v_and_b32_e32 v72, 0xff, v63
	v_and_b32_e32 v73, 0xff, v62
	v_add3_u32 v16, v16, v75, v74
	v_and_b32_e32 v70, 0xff, v65
	v_and_b32_e32 v71, 0xff, v64
	v_add3_u32 v16, v16, v73, v72
	v_and_b32_e32 v68, 0xff, v67
	v_and_b32_e32 v69, 0xff, v66
	v_add3_u32 v16, v16, v71, v70
	v_add3_u32 v96, v16, v69, v68
	v_mbcnt_lo_u32_b32 v16, -1, 0
	v_mbcnt_hi_u32_b32 v94, -1, v16
	v_and_b32_e32 v16, 15, v94
	v_cmp_eq_u32_e64 s[12:13], 0, v16
	v_cmp_lt_u32_e64 s[10:11], 1, v16
	v_cmp_lt_u32_e64 s[8:9], 3, v16
	;; [unrolled: 1-line block ×3, first 2 shown]
	v_and_b32_e32 v16, 16, v94
	v_cmp_eq_u32_e64 s[4:5], 0, v16
	v_or_b32_e32 v16, 63, v0
	s_cmp_lg_u32 s6, 0
	v_cmp_lt_u32_e64 s[0:1], 31, v94
	v_lshrrev_b32_e32 v95, 6, v0
	v_cmp_eq_u32_e64 s[2:3], v16, v0
	s_cbranch_scc0 .LBB2509_95
; %bb.65:
	v_mov_b32_dpp v16, v96 row_shr:1 row_mask:0xf bank_mask:0xf
	v_cndmask_b32_e64 v16, v16, 0, s[12:13]
	v_add_u32_e32 v16, v16, v96
	s_nop 1
	v_mov_b32_dpp v17, v16 row_shr:2 row_mask:0xf bank_mask:0xf
	v_cndmask_b32_e64 v17, 0, v17, s[10:11]
	v_add_u32_e32 v16, v16, v17
	s_nop 1
	;; [unrolled: 4-line block ×4, first 2 shown]
	v_mov_b32_dpp v17, v16 row_bcast:15 row_mask:0xf bank_mask:0xf
	v_cndmask_b32_e64 v17, v17, 0, s[4:5]
	v_add_u32_e32 v16, v16, v17
	s_nop 1
	v_mov_b32_dpp v17, v16 row_bcast:31 row_mask:0xf bank_mask:0xf
	v_cndmask_b32_e64 v17, 0, v17, s[0:1]
	v_add_u32_e32 v16, v16, v17
	s_and_saveexec_b64 s[14:15], s[2:3]
	s_cbranch_execz .LBB2509_67
; %bb.66:
	v_lshlrev_b32_e32 v17, 2, v95
	ds_write_b32 v17, v16
.LBB2509_67:
	s_or_b64 exec, exec, s[14:15]
	v_cmp_gt_u32_e32 vcc, 4, v0
	s_waitcnt lgkmcnt(0)
	s_barrier
	s_and_saveexec_b64 s[14:15], vcc
	s_cbranch_execz .LBB2509_69
; %bb.68:
	v_lshlrev_b32_e32 v17, 2, v0
	ds_read_b32 v18, v17
	v_and_b32_e32 v19, 3, v94
	v_cmp_ne_u32_e32 vcc, 0, v19
	s_waitcnt lgkmcnt(0)
	v_mov_b32_dpp v20, v18 row_shr:1 row_mask:0xf bank_mask:0xf
	v_cndmask_b32_e32 v20, 0, v20, vcc
	v_add_u32_e32 v18, v20, v18
	v_cmp_lt_u32_e32 vcc, 1, v19
	s_nop 0
	v_mov_b32_dpp v20, v18 row_shr:2 row_mask:0xf bank_mask:0xf
	v_cndmask_b32_e32 v19, 0, v20, vcc
	v_add_u32_e32 v18, v18, v19
	ds_write_b32 v17, v18
.LBB2509_69:
	s_or_b64 exec, exec, s[14:15]
	v_cmp_gt_u32_e32 vcc, 64, v0
	v_cmp_lt_u32_e64 s[14:15], 63, v0
	s_waitcnt lgkmcnt(0)
	s_barrier
	s_waitcnt lgkmcnt(0)
                                        ; implicit-def: $vgpr97
	s_and_saveexec_b64 s[26:27], s[14:15]
	s_cbranch_execz .LBB2509_71
; %bb.70:
	v_lshl_add_u32 v17, v95, 2, -4
	ds_read_b32 v97, v17
	s_waitcnt lgkmcnt(0)
	v_add_u32_e32 v16, v97, v16
.LBB2509_71:
	s_or_b64 exec, exec, s[26:27]
	v_add_u32_e32 v17, -1, v94
	v_and_b32_e32 v18, 64, v94
	v_cmp_lt_i32_e64 s[14:15], v17, v18
	v_cndmask_b32_e64 v17, v17, v94, s[14:15]
	v_lshlrev_b32_e32 v17, 2, v17
	ds_bpermute_b32 v98, v17, v16
	v_cmp_eq_u32_e64 s[14:15], 0, v94
	s_and_saveexec_b64 s[26:27], vcc
	s_cbranch_execz .LBB2509_94
; %bb.72:
	v_mov_b32_e32 v25, 0
	ds_read_b32 v16, v25 offset:12
	s_and_saveexec_b64 s[28:29], s[14:15]
	s_cbranch_execz .LBB2509_74
; %bb.73:
	s_add_i32 s30, s6, 64
	s_mov_b32 s31, 0
	s_lshl_b64 s[30:31], s[30:31], 3
	s_add_u32 s30, s24, s30
	v_mov_b32_e32 v17, 1
	s_addc_u32 s31, s25, s31
	s_waitcnt lgkmcnt(0)
	global_store_dwordx2 v25, v[16:17], s[30:31]
.LBB2509_74:
	s_or_b64 exec, exec, s[28:29]
	v_xad_u32 v18, v94, -1, s6
	v_add_u32_e32 v24, 64, v18
	v_lshlrev_b64 v[20:21], 3, v[24:25]
	v_mov_b32_e32 v17, s25
	v_add_co_u32_e32 v20, vcc, s24, v20
	v_addc_co_u32_e32 v21, vcc, v17, v21, vcc
	global_load_dwordx2 v[22:23], v[20:21], off glc
	s_waitcnt vmcnt(0)
	v_cmp_eq_u16_sdwa s[30:31], v23, v25 src0_sel:BYTE_0 src1_sel:DWORD
	s_and_saveexec_b64 s[28:29], s[30:31]
	s_cbranch_execz .LBB2509_80
; %bb.75:
	s_mov_b32 s7, 1
	s_mov_b64 s[30:31], 0
	v_mov_b32_e32 v17, 0
.LBB2509_76:                            ; =>This Loop Header: Depth=1
                                        ;     Child Loop BB2509_77 Depth 2
	s_max_u32 s33, s7, 1
.LBB2509_77:                            ;   Parent Loop BB2509_76 Depth=1
                                        ; =>  This Inner Loop Header: Depth=2
	s_add_i32 s33, s33, -1
	s_cmp_eq_u32 s33, 0
	s_sleep 1
	s_cbranch_scc0 .LBB2509_77
; %bb.78:                               ;   in Loop: Header=BB2509_76 Depth=1
	global_load_dwordx2 v[22:23], v[20:21], off glc
	s_cmp_lt_u32 s7, 32
	s_cselect_b64 s[34:35], -1, 0
	s_cmp_lg_u64 s[34:35], 0
	s_addc_u32 s7, s7, 0
	s_waitcnt vmcnt(0)
	v_cmp_ne_u16_sdwa s[34:35], v23, v17 src0_sel:BYTE_0 src1_sel:DWORD
	s_or_b64 s[30:31], s[34:35], s[30:31]
	s_andn2_b64 exec, exec, s[30:31]
	s_cbranch_execnz .LBB2509_76
; %bb.79:
	s_or_b64 exec, exec, s[30:31]
.LBB2509_80:
	s_or_b64 exec, exec, s[28:29]
	v_and_b32_e32 v100, 63, v94
	v_mov_b32_e32 v99, 2
	v_cmp_ne_u32_e32 vcc, 63, v100
	v_cmp_eq_u16_sdwa s[28:29], v23, v99 src0_sel:BYTE_0 src1_sel:DWORD
	v_lshlrev_b64 v[20:21], v94, -1
	v_addc_co_u32_e32 v24, vcc, 0, v94, vcc
	v_and_b32_e32 v17, s29, v21
	v_lshlrev_b32_e32 v101, 2, v24
	v_or_b32_e32 v17, 0x80000000, v17
	ds_bpermute_b32 v24, v101, v22
	v_and_b32_e32 v19, s28, v20
	v_ffbl_b32_e32 v17, v17
	v_add_u32_e32 v17, 32, v17
	v_ffbl_b32_e32 v19, v19
	v_min_u32_e32 v17, v19, v17
	v_cmp_lt_u32_e32 vcc, v100, v17
	s_waitcnt lgkmcnt(0)
	v_cndmask_b32_e32 v19, 0, v24, vcc
	v_cmp_gt_u32_e32 vcc, 62, v100
	v_add_u32_e32 v19, v19, v22
	v_cndmask_b32_e64 v22, 0, 1, vcc
	v_lshlrev_b32_e32 v22, 1, v22
	v_add_lshl_u32 v102, v22, v94, 2
	ds_bpermute_b32 v22, v102, v19
	v_add_u32_e32 v103, 2, v100
	v_cmp_le_u32_e32 vcc, v103, v17
	v_add_u32_e32 v105, 4, v100
	v_add_u32_e32 v107, 8, v100
	s_waitcnt lgkmcnt(0)
	v_cndmask_b32_e32 v22, 0, v22, vcc
	v_cmp_gt_u32_e32 vcc, 60, v100
	v_add_u32_e32 v19, v19, v22
	v_cndmask_b32_e64 v22, 0, 1, vcc
	v_lshlrev_b32_e32 v22, 2, v22
	v_add_lshl_u32 v104, v22, v94, 2
	ds_bpermute_b32 v22, v104, v19
	v_cmp_le_u32_e32 vcc, v105, v17
	v_add_u32_e32 v109, 16, v100
	v_add_u32_e32 v111, 32, v100
	s_waitcnt lgkmcnt(0)
	v_cndmask_b32_e32 v22, 0, v22, vcc
	v_cmp_gt_u32_e32 vcc, 56, v100
	v_add_u32_e32 v19, v19, v22
	v_cndmask_b32_e64 v22, 0, 1, vcc
	v_lshlrev_b32_e32 v22, 3, v22
	v_add_lshl_u32 v106, v22, v94, 2
	ds_bpermute_b32 v22, v106, v19
	v_cmp_le_u32_e32 vcc, v107, v17
	s_waitcnt lgkmcnt(0)
	v_cndmask_b32_e32 v22, 0, v22, vcc
	v_cmp_gt_u32_e32 vcc, 48, v100
	v_add_u32_e32 v19, v19, v22
	v_cndmask_b32_e64 v22, 0, 1, vcc
	v_lshlrev_b32_e32 v22, 4, v22
	v_add_lshl_u32 v108, v22, v94, 2
	ds_bpermute_b32 v22, v108, v19
	v_cmp_le_u32_e32 vcc, v109, v17
	;; [unrolled: 9-line block ×3, first 2 shown]
	s_waitcnt lgkmcnt(0)
	v_cndmask_b32_e32 v17, 0, v22, vcc
	v_add_u32_e32 v22, v19, v17
	v_mov_b32_e32 v19, 0
	s_branch .LBB2509_82
.LBB2509_81:                            ;   in Loop: Header=BB2509_82 Depth=1
	s_or_b64 exec, exec, s[28:29]
	v_cmp_eq_u16_sdwa s[28:29], v23, v99 src0_sel:BYTE_0 src1_sel:DWORD
	v_and_b32_e32 v24, s29, v21
	v_or_b32_e32 v24, 0x80000000, v24
	ds_bpermute_b32 v112, v101, v22
	v_and_b32_e32 v25, s28, v20
	v_ffbl_b32_e32 v24, v24
	v_add_u32_e32 v24, 32, v24
	v_ffbl_b32_e32 v25, v25
	v_min_u32_e32 v24, v25, v24
	v_cmp_lt_u32_e32 vcc, v100, v24
	s_waitcnt lgkmcnt(0)
	v_cndmask_b32_e32 v25, 0, v112, vcc
	v_add_u32_e32 v22, v25, v22
	ds_bpermute_b32 v25, v102, v22
	v_cmp_le_u32_e32 vcc, v103, v24
	v_subrev_u32_e32 v18, 64, v18
	s_waitcnt lgkmcnt(0)
	v_cndmask_b32_e32 v25, 0, v25, vcc
	v_add_u32_e32 v22, v22, v25
	ds_bpermute_b32 v25, v104, v22
	v_cmp_le_u32_e32 vcc, v105, v24
	s_waitcnt lgkmcnt(0)
	v_cndmask_b32_e32 v25, 0, v25, vcc
	v_add_u32_e32 v22, v22, v25
	ds_bpermute_b32 v25, v106, v22
	v_cmp_le_u32_e32 vcc, v107, v24
	;; [unrolled: 5-line block ×4, first 2 shown]
	s_waitcnt lgkmcnt(0)
	v_cndmask_b32_e32 v24, 0, v25, vcc
	v_add3_u32 v22, v24, v17, v22
.LBB2509_82:                            ; =>This Loop Header: Depth=1
                                        ;     Child Loop BB2509_85 Depth 2
                                        ;       Child Loop BB2509_86 Depth 3
	v_cmp_ne_u16_sdwa s[28:29], v23, v99 src0_sel:BYTE_0 src1_sel:DWORD
	v_cndmask_b32_e64 v17, 0, 1, s[28:29]
	;;#ASMSTART
	;;#ASMEND
	v_cmp_ne_u32_e32 vcc, 0, v17
	s_cmp_lg_u64 vcc, exec
	v_mov_b32_e32 v17, v22
	s_cbranch_scc1 .LBB2509_89
; %bb.83:                               ;   in Loop: Header=BB2509_82 Depth=1
	v_lshlrev_b64 v[22:23], 3, v[18:19]
	v_mov_b32_e32 v25, s25
	v_add_co_u32_e32 v24, vcc, s24, v22
	v_addc_co_u32_e32 v25, vcc, v25, v23, vcc
	global_load_dwordx2 v[22:23], v[24:25], off glc
	s_waitcnt vmcnt(0)
	v_cmp_eq_u16_sdwa s[30:31], v23, v19 src0_sel:BYTE_0 src1_sel:DWORD
	s_and_saveexec_b64 s[28:29], s[30:31]
	s_cbranch_execz .LBB2509_81
; %bb.84:                               ;   in Loop: Header=BB2509_82 Depth=1
	s_mov_b32 s7, 1
	s_mov_b64 s[30:31], 0
.LBB2509_85:                            ;   Parent Loop BB2509_82 Depth=1
                                        ; =>  This Loop Header: Depth=2
                                        ;       Child Loop BB2509_86 Depth 3
	s_max_u32 s33, s7, 1
.LBB2509_86:                            ;   Parent Loop BB2509_82 Depth=1
                                        ;     Parent Loop BB2509_85 Depth=2
                                        ; =>    This Inner Loop Header: Depth=3
	s_add_i32 s33, s33, -1
	s_cmp_eq_u32 s33, 0
	s_sleep 1
	s_cbranch_scc0 .LBB2509_86
; %bb.87:                               ;   in Loop: Header=BB2509_85 Depth=2
	global_load_dwordx2 v[22:23], v[24:25], off glc
	s_cmp_lt_u32 s7, 32
	s_cselect_b64 s[34:35], -1, 0
	s_cmp_lg_u64 s[34:35], 0
	s_addc_u32 s7, s7, 0
	s_waitcnt vmcnt(0)
	v_cmp_ne_u16_sdwa s[34:35], v23, v19 src0_sel:BYTE_0 src1_sel:DWORD
	s_or_b64 s[30:31], s[34:35], s[30:31]
	s_andn2_b64 exec, exec, s[30:31]
	s_cbranch_execnz .LBB2509_85
; %bb.88:                               ;   in Loop: Header=BB2509_82 Depth=1
	s_or_b64 exec, exec, s[30:31]
	s_branch .LBB2509_81
.LBB2509_89:                            ;   in Loop: Header=BB2509_82 Depth=1
                                        ; implicit-def: $vgpr22
                                        ; implicit-def: $vgpr23
	s_cbranch_execz .LBB2509_82
; %bb.90:
	s_and_saveexec_b64 s[28:29], s[14:15]
	s_cbranch_execz .LBB2509_92
; %bb.91:
	s_add_i32 s6, s6, 64
	s_mov_b32 s7, 0
	s_lshl_b64 s[6:7], s[6:7], 3
	s_add_u32 s6, s24, s6
	v_add_u32_e32 v18, v17, v16
	v_mov_b32_e32 v19, 2
	s_addc_u32 s7, s25, s7
	v_mov_b32_e32 v20, 0
	global_store_dwordx2 v20, v[18:19], s[6:7]
	ds_write_b64 v20, v[16:17] offset:14336
.LBB2509_92:
	s_or_b64 exec, exec, s[28:29]
	v_cmp_eq_u32_e32 vcc, 0, v0
	s_and_b64 exec, exec, vcc
	s_cbranch_execz .LBB2509_94
; %bb.93:
	v_mov_b32_e32 v16, 0
	ds_write_b32 v16, v17 offset:12
.LBB2509_94:
	s_or_b64 exec, exec, s[26:27]
	v_mov_b32_e32 v16, 0
	s_waitcnt lgkmcnt(0)
	s_barrier
	ds_read_b32 v19, v16 offset:12
	s_waitcnt lgkmcnt(0)
	s_barrier
	ds_read_b64 v[16:17], v16 offset:14336
	v_cndmask_b32_e64 v18, v98, v97, s[14:15]
	v_cmp_ne_u32_e32 vcc, 0, v0
	v_cndmask_b32_e32 v18, 0, v18, vcc
	v_add_u32_e32 v18, v19, v18
	s_branch .LBB2509_105
.LBB2509_95:
                                        ; implicit-def: $vgpr17
                                        ; implicit-def: $vgpr18
	s_cbranch_execz .LBB2509_105
; %bb.96:
	s_waitcnt lgkmcnt(0)
	v_mov_b32_dpp v16, v96 row_shr:1 row_mask:0xf bank_mask:0xf
	v_cndmask_b32_e64 v16, v16, 0, s[12:13]
	v_add_u32_e32 v16, v16, v96
	s_nop 1
	v_mov_b32_dpp v17, v16 row_shr:2 row_mask:0xf bank_mask:0xf
	v_cndmask_b32_e64 v17, 0, v17, s[10:11]
	v_add_u32_e32 v16, v16, v17
	s_nop 1
	;; [unrolled: 4-line block ×4, first 2 shown]
	v_mov_b32_dpp v17, v16 row_bcast:15 row_mask:0xf bank_mask:0xf
	v_cndmask_b32_e64 v17, v17, 0, s[4:5]
	v_add_u32_e32 v16, v16, v17
	s_nop 1
	v_mov_b32_dpp v17, v16 row_bcast:31 row_mask:0xf bank_mask:0xf
	v_cndmask_b32_e64 v17, 0, v17, s[0:1]
	v_add_u32_e32 v16, v16, v17
	s_and_saveexec_b64 s[0:1], s[2:3]
	s_cbranch_execz .LBB2509_98
; %bb.97:
	v_lshlrev_b32_e32 v17, 2, v95
	ds_write_b32 v17, v16
.LBB2509_98:
	s_or_b64 exec, exec, s[0:1]
	v_cmp_gt_u32_e32 vcc, 4, v0
	s_waitcnt lgkmcnt(0)
	s_barrier
	s_and_saveexec_b64 s[0:1], vcc
	s_cbranch_execz .LBB2509_100
; %bb.99:
	v_lshlrev_b32_e32 v17, 2, v0
	ds_read_b32 v18, v17
	v_and_b32_e32 v19, 3, v94
	v_cmp_ne_u32_e32 vcc, 0, v19
	s_waitcnt lgkmcnt(0)
	v_mov_b32_dpp v20, v18 row_shr:1 row_mask:0xf bank_mask:0xf
	v_cndmask_b32_e32 v20, 0, v20, vcc
	v_add_u32_e32 v18, v20, v18
	v_cmp_lt_u32_e32 vcc, 1, v19
	s_nop 0
	v_mov_b32_dpp v20, v18 row_shr:2 row_mask:0xf bank_mask:0xf
	v_cndmask_b32_e32 v19, 0, v20, vcc
	v_add_u32_e32 v18, v18, v19
	ds_write_b32 v17, v18
.LBB2509_100:
	s_or_b64 exec, exec, s[0:1]
	v_cmp_lt_u32_e32 vcc, 63, v0
	v_mov_b32_e32 v17, 0
	v_mov_b32_e32 v18, 0
	s_waitcnt lgkmcnt(0)
	s_barrier
	s_and_saveexec_b64 s[0:1], vcc
	s_cbranch_execz .LBB2509_102
; %bb.101:
	v_lshl_add_u32 v18, v95, 2, -4
	ds_read_b32 v18, v18
.LBB2509_102:
	s_or_b64 exec, exec, s[0:1]
	v_add_u32_e32 v19, -1, v94
	v_and_b32_e32 v20, 64, v94
	v_cmp_lt_i32_e32 vcc, v19, v20
	v_cndmask_b32_e32 v19, v19, v94, vcc
	s_waitcnt lgkmcnt(0)
	v_add_u32_e32 v16, v18, v16
	v_lshlrev_b32_e32 v19, 2, v19
	ds_bpermute_b32 v19, v19, v16
	ds_read_b32 v16, v17 offset:12
	v_cmp_eq_u32_e32 vcc, 0, v0
	s_and_saveexec_b64 s[0:1], vcc
	s_cbranch_execz .LBB2509_104
; %bb.103:
	v_mov_b32_e32 v20, 0
	v_mov_b32_e32 v17, 2
	s_waitcnt lgkmcnt(0)
	global_store_dwordx2 v20, v[16:17], s[24:25] offset:512
.LBB2509_104:
	s_or_b64 exec, exec, s[0:1]
	v_cmp_eq_u32_e64 s[0:1], 0, v94
	s_waitcnt lgkmcnt(1)
	v_cndmask_b32_e64 v18, v19, v18, s[0:1]
	v_mov_b32_e32 v17, 0
	v_cndmask_b32_e64 v18, v18, 0, vcc
	s_waitcnt lgkmcnt(0)
	s_barrier
.LBB2509_105:
	v_add_u32_e32 v19, v18, v68
	v_add_u32_e32 v20, v19, v69
	;; [unrolled: 1-line block ×19, first 2 shown]
	s_waitcnt lgkmcnt(0)
	v_add_u32_e32 v38, v16, v38
	v_sub_u32_e32 v18, v18, v17
	v_and_b32_e32 v67, 1, v67
	v_add_u32_e32 v80, v79, v87
	v_sub_u32_e32 v87, v38, v18
	v_cmp_eq_u32_e32 vcc, 1, v67
	v_cndmask_b32_e32 v18, v87, v18, vcc
	v_lshlrev_b32_e32 v18, 1, v18
	ds_write_b16 v18, v10
	v_sub_u32_e32 v10, v19, v17
	v_sub_u32_e32 v18, v38, v10
	v_and_b32_e32 v19, 1, v66
	v_add_u32_e32 v18, 1, v18
	v_cmp_eq_u32_e32 vcc, 1, v19
	v_cndmask_b32_e32 v10, v18, v10, vcc
	v_lshlrev_b32_e32 v10, 1, v10
	ds_write_b16 v10, v39
	v_sub_u32_e32 v10, v20, v17
	v_sub_u32_e32 v18, v38, v10
	v_and_b32_e32 v19, 1, v65
	v_add_u32_e32 v18, 2, v18
	v_cmp_eq_u32_e32 vcc, 1, v19
	v_cndmask_b32_e32 v10, v18, v10, vcc
	v_lshlrev_b32_e32 v10, 1, v10
	ds_write_b16 v10, v11
	v_sub_u32_e32 v10, v21, v17
	v_sub_u32_e32 v11, v38, v10
	v_and_b32_e32 v18, 1, v64
	v_add_u32_e32 v11, 3, v11
	v_cmp_eq_u32_e32 vcc, 1, v18
	v_cndmask_b32_e32 v10, v11, v10, vcc
	v_lshlrev_b32_e32 v10, 1, v10
	ds_write_b16 v10, v37
	v_sub_u32_e32 v10, v22, v17
	v_sub_u32_e32 v11, v38, v10
	v_and_b32_e32 v18, 1, v63
	v_add_u32_e32 v11, 4, v11
	v_cmp_eq_u32_e32 vcc, 1, v18
	v_cndmask_b32_e32 v10, v11, v10, vcc
	v_lshlrev_b32_e32 v10, 1, v10
	ds_write_b16 v10, v12
	v_sub_u32_e32 v10, v23, v17
	v_sub_u32_e32 v11, v38, v10
	v_and_b32_e32 v12, 1, v62
	v_add_u32_e32 v11, 5, v11
	v_cmp_eq_u32_e32 vcc, 1, v12
	v_cndmask_b32_e32 v10, v11, v10, vcc
	v_lshlrev_b32_e32 v10, 1, v10
	ds_write_b16 v10, v36
	v_sub_u32_e32 v10, v24, v17
	v_sub_u32_e32 v11, v38, v10
	v_and_b32_e32 v12, 1, v61
	v_add_u32_e32 v11, 6, v11
	v_cmp_eq_u32_e32 vcc, 1, v12
	v_cndmask_b32_e32 v10, v11, v10, vcc
	v_lshlrev_b32_e32 v10, 1, v10
	ds_write_b16 v10, v13
	v_sub_u32_e32 v10, v25, v17
	v_sub_u32_e32 v11, v38, v10
	v_and_b32_e32 v12, 1, v60
	v_add_u32_e32 v11, 7, v11
	v_cmp_eq_u32_e32 vcc, 1, v12
	v_cndmask_b32_e32 v10, v11, v10, vcc
	v_lshlrev_b32_e32 v10, 1, v10
	ds_write_b16 v10, v35
	v_sub_u32_e32 v10, v68, v17
	v_sub_u32_e32 v11, v38, v10
	v_and_b32_e32 v12, 1, v59
	v_add_u32_e32 v11, 8, v11
	v_cmp_eq_u32_e32 vcc, 1, v12
	v_cndmask_b32_e32 v10, v11, v10, vcc
	v_lshlrev_b32_e32 v10, 1, v10
	ds_write_b16 v10, v6
	v_sub_u32_e32 v6, v69, v17
	v_sub_u32_e32 v10, v38, v6
	v_and_b32_e32 v11, 1, v58
	v_add_u32_e32 v10, 9, v10
	v_cmp_eq_u32_e32 vcc, 1, v11
	v_cndmask_b32_e32 v6, v10, v6, vcc
	v_lshlrev_b32_e32 v6, 1, v6
	ds_write_b16 v6, v34
	v_sub_u32_e32 v6, v70, v17
	v_sub_u32_e32 v10, v38, v6
	v_and_b32_e32 v11, 1, v57
	v_add_u32_e32 v10, 10, v10
	v_cmp_eq_u32_e32 vcc, 1, v11
	v_cndmask_b32_e32 v6, v10, v6, vcc
	v_lshlrev_b32_e32 v6, 1, v6
	ds_write_b16 v6, v7
	v_sub_u32_e32 v6, v71, v17
	v_sub_u32_e32 v7, v38, v6
	v_and_b32_e32 v10, 1, v56
	v_add_u32_e32 v7, 11, v7
	v_cmp_eq_u32_e32 vcc, 1, v10
	v_cndmask_b32_e32 v6, v7, v6, vcc
	v_lshlrev_b32_e32 v6, 1, v6
	ds_write_b16 v6, v33
	v_sub_u32_e32 v6, v72, v17
	v_sub_u32_e32 v7, v38, v6
	v_and_b32_e32 v10, 1, v55
	v_add_u32_e32 v7, 12, v7
	v_cmp_eq_u32_e32 vcc, 1, v10
	v_cndmask_b32_e32 v6, v7, v6, vcc
	v_lshlrev_b32_e32 v6, 1, v6
	ds_write_b16 v6, v8
	v_sub_u32_e32 v6, v73, v17
	v_sub_u32_e32 v7, v38, v6
	v_and_b32_e32 v8, 1, v54
	v_add_u32_e32 v7, 13, v7
	v_cmp_eq_u32_e32 vcc, 1, v8
	v_cndmask_b32_e32 v6, v7, v6, vcc
	v_lshlrev_b32_e32 v6, 1, v6
	ds_write_b16 v6, v32
	v_sub_u32_e32 v6, v74, v17
	v_sub_u32_e32 v7, v38, v6
	v_and_b32_e32 v8, 1, v53
	v_add_u32_e32 v7, 14, v7
	v_cmp_eq_u32_e32 vcc, 1, v8
	v_cndmask_b32_e32 v6, v7, v6, vcc
	v_lshlrev_b32_e32 v6, 1, v6
	ds_write_b16 v6, v9
	v_sub_u32_e32 v6, v75, v17
	v_sub_u32_e32 v7, v38, v6
	v_and_b32_e32 v8, 1, v52
	v_add_u32_e32 v7, 15, v7
	v_cmp_eq_u32_e32 vcc, 1, v8
	v_cndmask_b32_e32 v6, v7, v6, vcc
	v_lshlrev_b32_e32 v6, 1, v6
	ds_write_b16 v6, v31
	v_sub_u32_e32 v6, v76, v17
	v_sub_u32_e32 v7, v38, v6
	v_and_b32_e32 v8, 1, v51
	v_add_u32_e32 v7, 16, v7
	v_cmp_eq_u32_e32 vcc, 1, v8
	v_cndmask_b32_e32 v6, v7, v6, vcc
	v_lshlrev_b32_e32 v6, 1, v6
	ds_write_b16 v6, v2
	v_sub_u32_e32 v2, v77, v17
	v_sub_u32_e32 v6, v38, v2
	v_and_b32_e32 v7, 1, v50
	v_add_u32_e32 v6, 17, v6
	v_cmp_eq_u32_e32 vcc, 1, v7
	v_cndmask_b32_e32 v2, v6, v2, vcc
	v_lshlrev_b32_e32 v2, 1, v2
	ds_write_b16 v2, v30
	v_sub_u32_e32 v2, v78, v17
	v_sub_u32_e32 v6, v38, v2
	v_and_b32_e32 v7, 1, v49
	v_add_u32_e32 v6, 18, v6
	v_cmp_eq_u32_e32 vcc, 1, v7
	v_cndmask_b32_e32 v2, v6, v2, vcc
	v_lshlrev_b32_e32 v2, 1, v2
	ds_write_b16 v2, v3
	v_sub_u32_e32 v2, v79, v17
	v_sub_u32_e32 v3, v38, v2
	v_and_b32_e32 v6, 1, v48
	v_add_u32_e32 v3, 19, v3
	v_cmp_eq_u32_e32 vcc, 1, v6
	v_cndmask_b32_e32 v2, v3, v2, vcc
	v_lshlrev_b32_e32 v2, 1, v2
	ds_write_b16 v2, v29
	v_sub_u32_e32 v2, v80, v17
	v_sub_u32_e32 v3, v38, v2
	v_and_b32_e32 v6, 1, v47
	v_add_u32_e32 v3, 20, v3
	v_cmp_eq_u32_e32 vcc, 1, v6
	v_cndmask_b32_e32 v2, v3, v2, vcc
	v_add_u32_e32 v81, v80, v88
	v_lshlrev_b32_e32 v2, 1, v2
	ds_write_b16 v2, v4
	v_sub_u32_e32 v2, v81, v17
	v_sub_u32_e32 v3, v38, v2
	v_and_b32_e32 v4, 1, v46
	v_add_u32_e32 v3, 21, v3
	v_cmp_eq_u32_e32 vcc, 1, v4
	v_cndmask_b32_e32 v2, v3, v2, vcc
	v_add_u32_e32 v82, v81, v89
	v_lshlrev_b32_e32 v2, 1, v2
	ds_write_b16 v2, v28
	v_sub_u32_e32 v2, v82, v17
	v_sub_u32_e32 v3, v38, v2
	v_and_b32_e32 v4, 1, v45
	v_add_u32_e32 v3, 22, v3
	v_cmp_eq_u32_e32 vcc, 1, v4
	v_cndmask_b32_e32 v2, v3, v2, vcc
	v_add_u32_e32 v83, v82, v90
	v_lshlrev_b32_e32 v2, 1, v2
	ds_write_b16 v2, v5
	v_sub_u32_e32 v2, v83, v17
	v_sub_u32_e32 v3, v38, v2
	v_and_b32_e32 v4, 1, v44
	v_add_u32_e32 v3, 23, v3
	v_cmp_eq_u32_e32 vcc, 1, v4
	v_cndmask_b32_e32 v2, v3, v2, vcc
	v_add_u32_e32 v84, v83, v91
	v_lshlrev_b32_e32 v2, 1, v2
	ds_write_b16 v2, v27
	v_sub_u32_e32 v2, v84, v17
	v_sub_u32_e32 v3, v38, v2
	v_and_b32_e32 v4, 1, v43
	v_add_u32_e32 v3, 24, v3
	v_cmp_eq_u32_e32 vcc, 1, v4
	v_cndmask_b32_e32 v2, v3, v2, vcc
	v_add_u32_e32 v85, v84, v92
	v_lshlrev_b32_e32 v2, 1, v2
	ds_write_b16 v2, v14
	v_sub_u32_e32 v2, v85, v17
	v_sub_u32_e32 v3, v38, v2
	v_and_b32_e32 v4, 1, v42
	v_add_u32_e32 v3, 25, v3
	v_cmp_eq_u32_e32 vcc, 1, v4
	v_cndmask_b32_e32 v2, v3, v2, vcc
	v_add_u32_e32 v86, v85, v93
	v_lshlrev_b32_e32 v2, 1, v2
	ds_write_b16 v2, v26
	v_sub_u32_e32 v2, v86, v17
	v_sub_u32_e32 v3, v38, v2
	v_and_b32_e32 v4, 1, v40
	v_add_u32_e32 v3, 26, v3
	v_cmp_eq_u32_e32 vcc, 1, v4
	v_cndmask_b32_e32 v2, v3, v2, vcc
	v_lshlrev_b32_e32 v2, 1, v2
	ds_write_b16 v2, v15
	v_sub_u32_sdwa v2, v40, v17 dst_sel:DWORD dst_unused:UNUSED_PAD src0_sel:BYTE_0 src1_sel:DWORD
	v_add_u32_e32 v2, v86, v2
	v_sub_u32_e32 v3, v38, v2
	v_and_b32_e32 v4, 1, v41
	v_add_u32_e32 v3, 27, v3
	v_cmp_eq_u32_e32 vcc, 1, v4
	v_cndmask_b32_e32 v2, v3, v2, vcc
	v_cmp_eq_u32_e32 vcc, 0, v0
	v_lshlrev_b32_e32 v2, 1, v2
	s_and_b64 s[0:1], vcc, s[22:23]
	ds_write_b16 v2, v1
	s_waitcnt lgkmcnt(0)
	s_barrier
	s_and_saveexec_b64 s[2:3], s[0:1]
	s_cbranch_execz .LBB2509_107
; %bb.106:
	v_mov_b32_e32 v0, s19
	v_add_co_u32_e32 v1, vcc, s18, v16
	v_addc_co_u32_e32 v3, vcc, 0, v0, vcc
	v_add_co_u32_e32 v0, vcc, v1, v17
	v_mov_b32_e32 v2, 0
	v_addc_co_u32_e32 v1, vcc, 0, v3, vcc
	global_store_dwordx2 v2, v[0:1], s[20:21]
.LBB2509_107:
	s_endpgm
	.section	.rodata,"a",@progbits
	.p2align	6, 0x0
	.amdhsa_kernel _ZN7rocprim17ROCPRIM_400000_NS6detail17trampoline_kernelINS0_14default_configENS1_25partition_config_selectorILNS1_17partition_subalgoE0EtNS0_10empty_typeEbEEZZNS1_14partition_implILS5_0ELb0ES3_jN6thrust23THRUST_200600_302600_NS6detail15normal_iteratorINSA_10device_ptrItEEEEPS6_SG_NS0_5tupleIJNSA_16discard_iteratorINSA_11use_defaultEEESK_EEENSH_IJSG_SG_EEES6_PlJ7is_evenItEEEE10hipError_tPvRmT3_T4_T5_T6_T7_T9_mT8_P12ihipStream_tbDpT10_ENKUlT_T0_E_clISt17integral_constantIbLb1EES18_IbLb0EEEEDaS14_S15_EUlS14_E_NS1_11comp_targetILNS1_3genE4ELNS1_11target_archE910ELNS1_3gpuE8ELNS1_3repE0EEENS1_30default_config_static_selectorELNS0_4arch9wavefront6targetE1EEEvT1_
		.amdhsa_group_segment_fixed_size 14344
		.amdhsa_private_segment_fixed_size 0
		.amdhsa_kernarg_size 136
		.amdhsa_user_sgpr_count 6
		.amdhsa_user_sgpr_private_segment_buffer 1
		.amdhsa_user_sgpr_dispatch_ptr 0
		.amdhsa_user_sgpr_queue_ptr 0
		.amdhsa_user_sgpr_kernarg_segment_ptr 1
		.amdhsa_user_sgpr_dispatch_id 0
		.amdhsa_user_sgpr_flat_scratch_init 0
		.amdhsa_user_sgpr_kernarg_preload_length 0
		.amdhsa_user_sgpr_kernarg_preload_offset 0
		.amdhsa_user_sgpr_private_segment_size 0
		.amdhsa_uses_dynamic_stack 0
		.amdhsa_system_sgpr_private_segment_wavefront_offset 0
		.amdhsa_system_sgpr_workgroup_id_x 1
		.amdhsa_system_sgpr_workgroup_id_y 0
		.amdhsa_system_sgpr_workgroup_id_z 0
		.amdhsa_system_sgpr_workgroup_info 0
		.amdhsa_system_vgpr_workitem_id 0
		.amdhsa_next_free_vgpr 113
		.amdhsa_next_free_sgpr 36
		.amdhsa_accum_offset 116
		.amdhsa_reserve_vcc 1
		.amdhsa_reserve_flat_scratch 0
		.amdhsa_float_round_mode_32 0
		.amdhsa_float_round_mode_16_64 0
		.amdhsa_float_denorm_mode_32 3
		.amdhsa_float_denorm_mode_16_64 3
		.amdhsa_dx10_clamp 1
		.amdhsa_ieee_mode 1
		.amdhsa_fp16_overflow 0
		.amdhsa_tg_split 0
		.amdhsa_exception_fp_ieee_invalid_op 0
		.amdhsa_exception_fp_denorm_src 0
		.amdhsa_exception_fp_ieee_div_zero 0
		.amdhsa_exception_fp_ieee_overflow 0
		.amdhsa_exception_fp_ieee_underflow 0
		.amdhsa_exception_fp_ieee_inexact 0
		.amdhsa_exception_int_div_zero 0
	.end_amdhsa_kernel
	.section	.text._ZN7rocprim17ROCPRIM_400000_NS6detail17trampoline_kernelINS0_14default_configENS1_25partition_config_selectorILNS1_17partition_subalgoE0EtNS0_10empty_typeEbEEZZNS1_14partition_implILS5_0ELb0ES3_jN6thrust23THRUST_200600_302600_NS6detail15normal_iteratorINSA_10device_ptrItEEEEPS6_SG_NS0_5tupleIJNSA_16discard_iteratorINSA_11use_defaultEEESK_EEENSH_IJSG_SG_EEES6_PlJ7is_evenItEEEE10hipError_tPvRmT3_T4_T5_T6_T7_T9_mT8_P12ihipStream_tbDpT10_ENKUlT_T0_E_clISt17integral_constantIbLb1EES18_IbLb0EEEEDaS14_S15_EUlS14_E_NS1_11comp_targetILNS1_3genE4ELNS1_11target_archE910ELNS1_3gpuE8ELNS1_3repE0EEENS1_30default_config_static_selectorELNS0_4arch9wavefront6targetE1EEEvT1_,"axG",@progbits,_ZN7rocprim17ROCPRIM_400000_NS6detail17trampoline_kernelINS0_14default_configENS1_25partition_config_selectorILNS1_17partition_subalgoE0EtNS0_10empty_typeEbEEZZNS1_14partition_implILS5_0ELb0ES3_jN6thrust23THRUST_200600_302600_NS6detail15normal_iteratorINSA_10device_ptrItEEEEPS6_SG_NS0_5tupleIJNSA_16discard_iteratorINSA_11use_defaultEEESK_EEENSH_IJSG_SG_EEES6_PlJ7is_evenItEEEE10hipError_tPvRmT3_T4_T5_T6_T7_T9_mT8_P12ihipStream_tbDpT10_ENKUlT_T0_E_clISt17integral_constantIbLb1EES18_IbLb0EEEEDaS14_S15_EUlS14_E_NS1_11comp_targetILNS1_3genE4ELNS1_11target_archE910ELNS1_3gpuE8ELNS1_3repE0EEENS1_30default_config_static_selectorELNS0_4arch9wavefront6targetE1EEEvT1_,comdat
.Lfunc_end2509:
	.size	_ZN7rocprim17ROCPRIM_400000_NS6detail17trampoline_kernelINS0_14default_configENS1_25partition_config_selectorILNS1_17partition_subalgoE0EtNS0_10empty_typeEbEEZZNS1_14partition_implILS5_0ELb0ES3_jN6thrust23THRUST_200600_302600_NS6detail15normal_iteratorINSA_10device_ptrItEEEEPS6_SG_NS0_5tupleIJNSA_16discard_iteratorINSA_11use_defaultEEESK_EEENSH_IJSG_SG_EEES6_PlJ7is_evenItEEEE10hipError_tPvRmT3_T4_T5_T6_T7_T9_mT8_P12ihipStream_tbDpT10_ENKUlT_T0_E_clISt17integral_constantIbLb1EES18_IbLb0EEEEDaS14_S15_EUlS14_E_NS1_11comp_targetILNS1_3genE4ELNS1_11target_archE910ELNS1_3gpuE8ELNS1_3repE0EEENS1_30default_config_static_selectorELNS0_4arch9wavefront6targetE1EEEvT1_, .Lfunc_end2509-_ZN7rocprim17ROCPRIM_400000_NS6detail17trampoline_kernelINS0_14default_configENS1_25partition_config_selectorILNS1_17partition_subalgoE0EtNS0_10empty_typeEbEEZZNS1_14partition_implILS5_0ELb0ES3_jN6thrust23THRUST_200600_302600_NS6detail15normal_iteratorINSA_10device_ptrItEEEEPS6_SG_NS0_5tupleIJNSA_16discard_iteratorINSA_11use_defaultEEESK_EEENSH_IJSG_SG_EEES6_PlJ7is_evenItEEEE10hipError_tPvRmT3_T4_T5_T6_T7_T9_mT8_P12ihipStream_tbDpT10_ENKUlT_T0_E_clISt17integral_constantIbLb1EES18_IbLb0EEEEDaS14_S15_EUlS14_E_NS1_11comp_targetILNS1_3genE4ELNS1_11target_archE910ELNS1_3gpuE8ELNS1_3repE0EEENS1_30default_config_static_selectorELNS0_4arch9wavefront6targetE1EEEvT1_
                                        ; -- End function
	.section	.AMDGPU.csdata,"",@progbits
; Kernel info:
; codeLenInByte = 6644
; NumSgprs: 40
; NumVgprs: 113
; NumAgprs: 0
; TotalNumVgprs: 113
; ScratchSize: 0
; MemoryBound: 0
; FloatMode: 240
; IeeeMode: 1
; LDSByteSize: 14344 bytes/workgroup (compile time only)
; SGPRBlocks: 4
; VGPRBlocks: 14
; NumSGPRsForWavesPerEU: 40
; NumVGPRsForWavesPerEU: 113
; AccumOffset: 116
; Occupancy: 4
; WaveLimiterHint : 1
; COMPUTE_PGM_RSRC2:SCRATCH_EN: 0
; COMPUTE_PGM_RSRC2:USER_SGPR: 6
; COMPUTE_PGM_RSRC2:TRAP_HANDLER: 0
; COMPUTE_PGM_RSRC2:TGID_X_EN: 1
; COMPUTE_PGM_RSRC2:TGID_Y_EN: 0
; COMPUTE_PGM_RSRC2:TGID_Z_EN: 0
; COMPUTE_PGM_RSRC2:TIDIG_COMP_CNT: 0
; COMPUTE_PGM_RSRC3_GFX90A:ACCUM_OFFSET: 28
; COMPUTE_PGM_RSRC3_GFX90A:TG_SPLIT: 0
	.section	.text._ZN7rocprim17ROCPRIM_400000_NS6detail17trampoline_kernelINS0_14default_configENS1_25partition_config_selectorILNS1_17partition_subalgoE0EtNS0_10empty_typeEbEEZZNS1_14partition_implILS5_0ELb0ES3_jN6thrust23THRUST_200600_302600_NS6detail15normal_iteratorINSA_10device_ptrItEEEEPS6_SG_NS0_5tupleIJNSA_16discard_iteratorINSA_11use_defaultEEESK_EEENSH_IJSG_SG_EEES6_PlJ7is_evenItEEEE10hipError_tPvRmT3_T4_T5_T6_T7_T9_mT8_P12ihipStream_tbDpT10_ENKUlT_T0_E_clISt17integral_constantIbLb1EES18_IbLb0EEEEDaS14_S15_EUlS14_E_NS1_11comp_targetILNS1_3genE3ELNS1_11target_archE908ELNS1_3gpuE7ELNS1_3repE0EEENS1_30default_config_static_selectorELNS0_4arch9wavefront6targetE1EEEvT1_,"axG",@progbits,_ZN7rocprim17ROCPRIM_400000_NS6detail17trampoline_kernelINS0_14default_configENS1_25partition_config_selectorILNS1_17partition_subalgoE0EtNS0_10empty_typeEbEEZZNS1_14partition_implILS5_0ELb0ES3_jN6thrust23THRUST_200600_302600_NS6detail15normal_iteratorINSA_10device_ptrItEEEEPS6_SG_NS0_5tupleIJNSA_16discard_iteratorINSA_11use_defaultEEESK_EEENSH_IJSG_SG_EEES6_PlJ7is_evenItEEEE10hipError_tPvRmT3_T4_T5_T6_T7_T9_mT8_P12ihipStream_tbDpT10_ENKUlT_T0_E_clISt17integral_constantIbLb1EES18_IbLb0EEEEDaS14_S15_EUlS14_E_NS1_11comp_targetILNS1_3genE3ELNS1_11target_archE908ELNS1_3gpuE7ELNS1_3repE0EEENS1_30default_config_static_selectorELNS0_4arch9wavefront6targetE1EEEvT1_,comdat
	.protected	_ZN7rocprim17ROCPRIM_400000_NS6detail17trampoline_kernelINS0_14default_configENS1_25partition_config_selectorILNS1_17partition_subalgoE0EtNS0_10empty_typeEbEEZZNS1_14partition_implILS5_0ELb0ES3_jN6thrust23THRUST_200600_302600_NS6detail15normal_iteratorINSA_10device_ptrItEEEEPS6_SG_NS0_5tupleIJNSA_16discard_iteratorINSA_11use_defaultEEESK_EEENSH_IJSG_SG_EEES6_PlJ7is_evenItEEEE10hipError_tPvRmT3_T4_T5_T6_T7_T9_mT8_P12ihipStream_tbDpT10_ENKUlT_T0_E_clISt17integral_constantIbLb1EES18_IbLb0EEEEDaS14_S15_EUlS14_E_NS1_11comp_targetILNS1_3genE3ELNS1_11target_archE908ELNS1_3gpuE7ELNS1_3repE0EEENS1_30default_config_static_selectorELNS0_4arch9wavefront6targetE1EEEvT1_ ; -- Begin function _ZN7rocprim17ROCPRIM_400000_NS6detail17trampoline_kernelINS0_14default_configENS1_25partition_config_selectorILNS1_17partition_subalgoE0EtNS0_10empty_typeEbEEZZNS1_14partition_implILS5_0ELb0ES3_jN6thrust23THRUST_200600_302600_NS6detail15normal_iteratorINSA_10device_ptrItEEEEPS6_SG_NS0_5tupleIJNSA_16discard_iteratorINSA_11use_defaultEEESK_EEENSH_IJSG_SG_EEES6_PlJ7is_evenItEEEE10hipError_tPvRmT3_T4_T5_T6_T7_T9_mT8_P12ihipStream_tbDpT10_ENKUlT_T0_E_clISt17integral_constantIbLb1EES18_IbLb0EEEEDaS14_S15_EUlS14_E_NS1_11comp_targetILNS1_3genE3ELNS1_11target_archE908ELNS1_3gpuE7ELNS1_3repE0EEENS1_30default_config_static_selectorELNS0_4arch9wavefront6targetE1EEEvT1_
	.globl	_ZN7rocprim17ROCPRIM_400000_NS6detail17trampoline_kernelINS0_14default_configENS1_25partition_config_selectorILNS1_17partition_subalgoE0EtNS0_10empty_typeEbEEZZNS1_14partition_implILS5_0ELb0ES3_jN6thrust23THRUST_200600_302600_NS6detail15normal_iteratorINSA_10device_ptrItEEEEPS6_SG_NS0_5tupleIJNSA_16discard_iteratorINSA_11use_defaultEEESK_EEENSH_IJSG_SG_EEES6_PlJ7is_evenItEEEE10hipError_tPvRmT3_T4_T5_T6_T7_T9_mT8_P12ihipStream_tbDpT10_ENKUlT_T0_E_clISt17integral_constantIbLb1EES18_IbLb0EEEEDaS14_S15_EUlS14_E_NS1_11comp_targetILNS1_3genE3ELNS1_11target_archE908ELNS1_3gpuE7ELNS1_3repE0EEENS1_30default_config_static_selectorELNS0_4arch9wavefront6targetE1EEEvT1_
	.p2align	8
	.type	_ZN7rocprim17ROCPRIM_400000_NS6detail17trampoline_kernelINS0_14default_configENS1_25partition_config_selectorILNS1_17partition_subalgoE0EtNS0_10empty_typeEbEEZZNS1_14partition_implILS5_0ELb0ES3_jN6thrust23THRUST_200600_302600_NS6detail15normal_iteratorINSA_10device_ptrItEEEEPS6_SG_NS0_5tupleIJNSA_16discard_iteratorINSA_11use_defaultEEESK_EEENSH_IJSG_SG_EEES6_PlJ7is_evenItEEEE10hipError_tPvRmT3_T4_T5_T6_T7_T9_mT8_P12ihipStream_tbDpT10_ENKUlT_T0_E_clISt17integral_constantIbLb1EES18_IbLb0EEEEDaS14_S15_EUlS14_E_NS1_11comp_targetILNS1_3genE3ELNS1_11target_archE908ELNS1_3gpuE7ELNS1_3repE0EEENS1_30default_config_static_selectorELNS0_4arch9wavefront6targetE1EEEvT1_,@function
_ZN7rocprim17ROCPRIM_400000_NS6detail17trampoline_kernelINS0_14default_configENS1_25partition_config_selectorILNS1_17partition_subalgoE0EtNS0_10empty_typeEbEEZZNS1_14partition_implILS5_0ELb0ES3_jN6thrust23THRUST_200600_302600_NS6detail15normal_iteratorINSA_10device_ptrItEEEEPS6_SG_NS0_5tupleIJNSA_16discard_iteratorINSA_11use_defaultEEESK_EEENSH_IJSG_SG_EEES6_PlJ7is_evenItEEEE10hipError_tPvRmT3_T4_T5_T6_T7_T9_mT8_P12ihipStream_tbDpT10_ENKUlT_T0_E_clISt17integral_constantIbLb1EES18_IbLb0EEEEDaS14_S15_EUlS14_E_NS1_11comp_targetILNS1_3genE3ELNS1_11target_archE908ELNS1_3gpuE7ELNS1_3repE0EEENS1_30default_config_static_selectorELNS0_4arch9wavefront6targetE1EEEvT1_: ; @_ZN7rocprim17ROCPRIM_400000_NS6detail17trampoline_kernelINS0_14default_configENS1_25partition_config_selectorILNS1_17partition_subalgoE0EtNS0_10empty_typeEbEEZZNS1_14partition_implILS5_0ELb0ES3_jN6thrust23THRUST_200600_302600_NS6detail15normal_iteratorINSA_10device_ptrItEEEEPS6_SG_NS0_5tupleIJNSA_16discard_iteratorINSA_11use_defaultEEESK_EEENSH_IJSG_SG_EEES6_PlJ7is_evenItEEEE10hipError_tPvRmT3_T4_T5_T6_T7_T9_mT8_P12ihipStream_tbDpT10_ENKUlT_T0_E_clISt17integral_constantIbLb1EES18_IbLb0EEEEDaS14_S15_EUlS14_E_NS1_11comp_targetILNS1_3genE3ELNS1_11target_archE908ELNS1_3gpuE7ELNS1_3repE0EEENS1_30default_config_static_selectorELNS0_4arch9wavefront6targetE1EEEvT1_
; %bb.0:
	.section	.rodata,"a",@progbits
	.p2align	6, 0x0
	.amdhsa_kernel _ZN7rocprim17ROCPRIM_400000_NS6detail17trampoline_kernelINS0_14default_configENS1_25partition_config_selectorILNS1_17partition_subalgoE0EtNS0_10empty_typeEbEEZZNS1_14partition_implILS5_0ELb0ES3_jN6thrust23THRUST_200600_302600_NS6detail15normal_iteratorINSA_10device_ptrItEEEEPS6_SG_NS0_5tupleIJNSA_16discard_iteratorINSA_11use_defaultEEESK_EEENSH_IJSG_SG_EEES6_PlJ7is_evenItEEEE10hipError_tPvRmT3_T4_T5_T6_T7_T9_mT8_P12ihipStream_tbDpT10_ENKUlT_T0_E_clISt17integral_constantIbLb1EES18_IbLb0EEEEDaS14_S15_EUlS14_E_NS1_11comp_targetILNS1_3genE3ELNS1_11target_archE908ELNS1_3gpuE7ELNS1_3repE0EEENS1_30default_config_static_selectorELNS0_4arch9wavefront6targetE1EEEvT1_
		.amdhsa_group_segment_fixed_size 0
		.amdhsa_private_segment_fixed_size 0
		.amdhsa_kernarg_size 136
		.amdhsa_user_sgpr_count 6
		.amdhsa_user_sgpr_private_segment_buffer 1
		.amdhsa_user_sgpr_dispatch_ptr 0
		.amdhsa_user_sgpr_queue_ptr 0
		.amdhsa_user_sgpr_kernarg_segment_ptr 1
		.amdhsa_user_sgpr_dispatch_id 0
		.amdhsa_user_sgpr_flat_scratch_init 0
		.amdhsa_user_sgpr_kernarg_preload_length 0
		.amdhsa_user_sgpr_kernarg_preload_offset 0
		.amdhsa_user_sgpr_private_segment_size 0
		.amdhsa_uses_dynamic_stack 0
		.amdhsa_system_sgpr_private_segment_wavefront_offset 0
		.amdhsa_system_sgpr_workgroup_id_x 1
		.amdhsa_system_sgpr_workgroup_id_y 0
		.amdhsa_system_sgpr_workgroup_id_z 0
		.amdhsa_system_sgpr_workgroup_info 0
		.amdhsa_system_vgpr_workitem_id 0
		.amdhsa_next_free_vgpr 1
		.amdhsa_next_free_sgpr 0
		.amdhsa_accum_offset 4
		.amdhsa_reserve_vcc 0
		.amdhsa_reserve_flat_scratch 0
		.amdhsa_float_round_mode_32 0
		.amdhsa_float_round_mode_16_64 0
		.amdhsa_float_denorm_mode_32 3
		.amdhsa_float_denorm_mode_16_64 3
		.amdhsa_dx10_clamp 1
		.amdhsa_ieee_mode 1
		.amdhsa_fp16_overflow 0
		.amdhsa_tg_split 0
		.amdhsa_exception_fp_ieee_invalid_op 0
		.amdhsa_exception_fp_denorm_src 0
		.amdhsa_exception_fp_ieee_div_zero 0
		.amdhsa_exception_fp_ieee_overflow 0
		.amdhsa_exception_fp_ieee_underflow 0
		.amdhsa_exception_fp_ieee_inexact 0
		.amdhsa_exception_int_div_zero 0
	.end_amdhsa_kernel
	.section	.text._ZN7rocprim17ROCPRIM_400000_NS6detail17trampoline_kernelINS0_14default_configENS1_25partition_config_selectorILNS1_17partition_subalgoE0EtNS0_10empty_typeEbEEZZNS1_14partition_implILS5_0ELb0ES3_jN6thrust23THRUST_200600_302600_NS6detail15normal_iteratorINSA_10device_ptrItEEEEPS6_SG_NS0_5tupleIJNSA_16discard_iteratorINSA_11use_defaultEEESK_EEENSH_IJSG_SG_EEES6_PlJ7is_evenItEEEE10hipError_tPvRmT3_T4_T5_T6_T7_T9_mT8_P12ihipStream_tbDpT10_ENKUlT_T0_E_clISt17integral_constantIbLb1EES18_IbLb0EEEEDaS14_S15_EUlS14_E_NS1_11comp_targetILNS1_3genE3ELNS1_11target_archE908ELNS1_3gpuE7ELNS1_3repE0EEENS1_30default_config_static_selectorELNS0_4arch9wavefront6targetE1EEEvT1_,"axG",@progbits,_ZN7rocprim17ROCPRIM_400000_NS6detail17trampoline_kernelINS0_14default_configENS1_25partition_config_selectorILNS1_17partition_subalgoE0EtNS0_10empty_typeEbEEZZNS1_14partition_implILS5_0ELb0ES3_jN6thrust23THRUST_200600_302600_NS6detail15normal_iteratorINSA_10device_ptrItEEEEPS6_SG_NS0_5tupleIJNSA_16discard_iteratorINSA_11use_defaultEEESK_EEENSH_IJSG_SG_EEES6_PlJ7is_evenItEEEE10hipError_tPvRmT3_T4_T5_T6_T7_T9_mT8_P12ihipStream_tbDpT10_ENKUlT_T0_E_clISt17integral_constantIbLb1EES18_IbLb0EEEEDaS14_S15_EUlS14_E_NS1_11comp_targetILNS1_3genE3ELNS1_11target_archE908ELNS1_3gpuE7ELNS1_3repE0EEENS1_30default_config_static_selectorELNS0_4arch9wavefront6targetE1EEEvT1_,comdat
.Lfunc_end2510:
	.size	_ZN7rocprim17ROCPRIM_400000_NS6detail17trampoline_kernelINS0_14default_configENS1_25partition_config_selectorILNS1_17partition_subalgoE0EtNS0_10empty_typeEbEEZZNS1_14partition_implILS5_0ELb0ES3_jN6thrust23THRUST_200600_302600_NS6detail15normal_iteratorINSA_10device_ptrItEEEEPS6_SG_NS0_5tupleIJNSA_16discard_iteratorINSA_11use_defaultEEESK_EEENSH_IJSG_SG_EEES6_PlJ7is_evenItEEEE10hipError_tPvRmT3_T4_T5_T6_T7_T9_mT8_P12ihipStream_tbDpT10_ENKUlT_T0_E_clISt17integral_constantIbLb1EES18_IbLb0EEEEDaS14_S15_EUlS14_E_NS1_11comp_targetILNS1_3genE3ELNS1_11target_archE908ELNS1_3gpuE7ELNS1_3repE0EEENS1_30default_config_static_selectorELNS0_4arch9wavefront6targetE1EEEvT1_, .Lfunc_end2510-_ZN7rocprim17ROCPRIM_400000_NS6detail17trampoline_kernelINS0_14default_configENS1_25partition_config_selectorILNS1_17partition_subalgoE0EtNS0_10empty_typeEbEEZZNS1_14partition_implILS5_0ELb0ES3_jN6thrust23THRUST_200600_302600_NS6detail15normal_iteratorINSA_10device_ptrItEEEEPS6_SG_NS0_5tupleIJNSA_16discard_iteratorINSA_11use_defaultEEESK_EEENSH_IJSG_SG_EEES6_PlJ7is_evenItEEEE10hipError_tPvRmT3_T4_T5_T6_T7_T9_mT8_P12ihipStream_tbDpT10_ENKUlT_T0_E_clISt17integral_constantIbLb1EES18_IbLb0EEEEDaS14_S15_EUlS14_E_NS1_11comp_targetILNS1_3genE3ELNS1_11target_archE908ELNS1_3gpuE7ELNS1_3repE0EEENS1_30default_config_static_selectorELNS0_4arch9wavefront6targetE1EEEvT1_
                                        ; -- End function
	.section	.AMDGPU.csdata,"",@progbits
; Kernel info:
; codeLenInByte = 0
; NumSgprs: 4
; NumVgprs: 0
; NumAgprs: 0
; TotalNumVgprs: 0
; ScratchSize: 0
; MemoryBound: 0
; FloatMode: 240
; IeeeMode: 1
; LDSByteSize: 0 bytes/workgroup (compile time only)
; SGPRBlocks: 0
; VGPRBlocks: 0
; NumSGPRsForWavesPerEU: 4
; NumVGPRsForWavesPerEU: 1
; AccumOffset: 4
; Occupancy: 8
; WaveLimiterHint : 0
; COMPUTE_PGM_RSRC2:SCRATCH_EN: 0
; COMPUTE_PGM_RSRC2:USER_SGPR: 6
; COMPUTE_PGM_RSRC2:TRAP_HANDLER: 0
; COMPUTE_PGM_RSRC2:TGID_X_EN: 1
; COMPUTE_PGM_RSRC2:TGID_Y_EN: 0
; COMPUTE_PGM_RSRC2:TGID_Z_EN: 0
; COMPUTE_PGM_RSRC2:TIDIG_COMP_CNT: 0
; COMPUTE_PGM_RSRC3_GFX90A:ACCUM_OFFSET: 0
; COMPUTE_PGM_RSRC3_GFX90A:TG_SPLIT: 0
	.section	.text._ZN7rocprim17ROCPRIM_400000_NS6detail17trampoline_kernelINS0_14default_configENS1_25partition_config_selectorILNS1_17partition_subalgoE0EtNS0_10empty_typeEbEEZZNS1_14partition_implILS5_0ELb0ES3_jN6thrust23THRUST_200600_302600_NS6detail15normal_iteratorINSA_10device_ptrItEEEEPS6_SG_NS0_5tupleIJNSA_16discard_iteratorINSA_11use_defaultEEESK_EEENSH_IJSG_SG_EEES6_PlJ7is_evenItEEEE10hipError_tPvRmT3_T4_T5_T6_T7_T9_mT8_P12ihipStream_tbDpT10_ENKUlT_T0_E_clISt17integral_constantIbLb1EES18_IbLb0EEEEDaS14_S15_EUlS14_E_NS1_11comp_targetILNS1_3genE2ELNS1_11target_archE906ELNS1_3gpuE6ELNS1_3repE0EEENS1_30default_config_static_selectorELNS0_4arch9wavefront6targetE1EEEvT1_,"axG",@progbits,_ZN7rocprim17ROCPRIM_400000_NS6detail17trampoline_kernelINS0_14default_configENS1_25partition_config_selectorILNS1_17partition_subalgoE0EtNS0_10empty_typeEbEEZZNS1_14partition_implILS5_0ELb0ES3_jN6thrust23THRUST_200600_302600_NS6detail15normal_iteratorINSA_10device_ptrItEEEEPS6_SG_NS0_5tupleIJNSA_16discard_iteratorINSA_11use_defaultEEESK_EEENSH_IJSG_SG_EEES6_PlJ7is_evenItEEEE10hipError_tPvRmT3_T4_T5_T6_T7_T9_mT8_P12ihipStream_tbDpT10_ENKUlT_T0_E_clISt17integral_constantIbLb1EES18_IbLb0EEEEDaS14_S15_EUlS14_E_NS1_11comp_targetILNS1_3genE2ELNS1_11target_archE906ELNS1_3gpuE6ELNS1_3repE0EEENS1_30default_config_static_selectorELNS0_4arch9wavefront6targetE1EEEvT1_,comdat
	.protected	_ZN7rocprim17ROCPRIM_400000_NS6detail17trampoline_kernelINS0_14default_configENS1_25partition_config_selectorILNS1_17partition_subalgoE0EtNS0_10empty_typeEbEEZZNS1_14partition_implILS5_0ELb0ES3_jN6thrust23THRUST_200600_302600_NS6detail15normal_iteratorINSA_10device_ptrItEEEEPS6_SG_NS0_5tupleIJNSA_16discard_iteratorINSA_11use_defaultEEESK_EEENSH_IJSG_SG_EEES6_PlJ7is_evenItEEEE10hipError_tPvRmT3_T4_T5_T6_T7_T9_mT8_P12ihipStream_tbDpT10_ENKUlT_T0_E_clISt17integral_constantIbLb1EES18_IbLb0EEEEDaS14_S15_EUlS14_E_NS1_11comp_targetILNS1_3genE2ELNS1_11target_archE906ELNS1_3gpuE6ELNS1_3repE0EEENS1_30default_config_static_selectorELNS0_4arch9wavefront6targetE1EEEvT1_ ; -- Begin function _ZN7rocprim17ROCPRIM_400000_NS6detail17trampoline_kernelINS0_14default_configENS1_25partition_config_selectorILNS1_17partition_subalgoE0EtNS0_10empty_typeEbEEZZNS1_14partition_implILS5_0ELb0ES3_jN6thrust23THRUST_200600_302600_NS6detail15normal_iteratorINSA_10device_ptrItEEEEPS6_SG_NS0_5tupleIJNSA_16discard_iteratorINSA_11use_defaultEEESK_EEENSH_IJSG_SG_EEES6_PlJ7is_evenItEEEE10hipError_tPvRmT3_T4_T5_T6_T7_T9_mT8_P12ihipStream_tbDpT10_ENKUlT_T0_E_clISt17integral_constantIbLb1EES18_IbLb0EEEEDaS14_S15_EUlS14_E_NS1_11comp_targetILNS1_3genE2ELNS1_11target_archE906ELNS1_3gpuE6ELNS1_3repE0EEENS1_30default_config_static_selectorELNS0_4arch9wavefront6targetE1EEEvT1_
	.globl	_ZN7rocprim17ROCPRIM_400000_NS6detail17trampoline_kernelINS0_14default_configENS1_25partition_config_selectorILNS1_17partition_subalgoE0EtNS0_10empty_typeEbEEZZNS1_14partition_implILS5_0ELb0ES3_jN6thrust23THRUST_200600_302600_NS6detail15normal_iteratorINSA_10device_ptrItEEEEPS6_SG_NS0_5tupleIJNSA_16discard_iteratorINSA_11use_defaultEEESK_EEENSH_IJSG_SG_EEES6_PlJ7is_evenItEEEE10hipError_tPvRmT3_T4_T5_T6_T7_T9_mT8_P12ihipStream_tbDpT10_ENKUlT_T0_E_clISt17integral_constantIbLb1EES18_IbLb0EEEEDaS14_S15_EUlS14_E_NS1_11comp_targetILNS1_3genE2ELNS1_11target_archE906ELNS1_3gpuE6ELNS1_3repE0EEENS1_30default_config_static_selectorELNS0_4arch9wavefront6targetE1EEEvT1_
	.p2align	8
	.type	_ZN7rocprim17ROCPRIM_400000_NS6detail17trampoline_kernelINS0_14default_configENS1_25partition_config_selectorILNS1_17partition_subalgoE0EtNS0_10empty_typeEbEEZZNS1_14partition_implILS5_0ELb0ES3_jN6thrust23THRUST_200600_302600_NS6detail15normal_iteratorINSA_10device_ptrItEEEEPS6_SG_NS0_5tupleIJNSA_16discard_iteratorINSA_11use_defaultEEESK_EEENSH_IJSG_SG_EEES6_PlJ7is_evenItEEEE10hipError_tPvRmT3_T4_T5_T6_T7_T9_mT8_P12ihipStream_tbDpT10_ENKUlT_T0_E_clISt17integral_constantIbLb1EES18_IbLb0EEEEDaS14_S15_EUlS14_E_NS1_11comp_targetILNS1_3genE2ELNS1_11target_archE906ELNS1_3gpuE6ELNS1_3repE0EEENS1_30default_config_static_selectorELNS0_4arch9wavefront6targetE1EEEvT1_,@function
_ZN7rocprim17ROCPRIM_400000_NS6detail17trampoline_kernelINS0_14default_configENS1_25partition_config_selectorILNS1_17partition_subalgoE0EtNS0_10empty_typeEbEEZZNS1_14partition_implILS5_0ELb0ES3_jN6thrust23THRUST_200600_302600_NS6detail15normal_iteratorINSA_10device_ptrItEEEEPS6_SG_NS0_5tupleIJNSA_16discard_iteratorINSA_11use_defaultEEESK_EEENSH_IJSG_SG_EEES6_PlJ7is_evenItEEEE10hipError_tPvRmT3_T4_T5_T6_T7_T9_mT8_P12ihipStream_tbDpT10_ENKUlT_T0_E_clISt17integral_constantIbLb1EES18_IbLb0EEEEDaS14_S15_EUlS14_E_NS1_11comp_targetILNS1_3genE2ELNS1_11target_archE906ELNS1_3gpuE6ELNS1_3repE0EEENS1_30default_config_static_selectorELNS0_4arch9wavefront6targetE1EEEvT1_: ; @_ZN7rocprim17ROCPRIM_400000_NS6detail17trampoline_kernelINS0_14default_configENS1_25partition_config_selectorILNS1_17partition_subalgoE0EtNS0_10empty_typeEbEEZZNS1_14partition_implILS5_0ELb0ES3_jN6thrust23THRUST_200600_302600_NS6detail15normal_iteratorINSA_10device_ptrItEEEEPS6_SG_NS0_5tupleIJNSA_16discard_iteratorINSA_11use_defaultEEESK_EEENSH_IJSG_SG_EEES6_PlJ7is_evenItEEEE10hipError_tPvRmT3_T4_T5_T6_T7_T9_mT8_P12ihipStream_tbDpT10_ENKUlT_T0_E_clISt17integral_constantIbLb1EES18_IbLb0EEEEDaS14_S15_EUlS14_E_NS1_11comp_targetILNS1_3genE2ELNS1_11target_archE906ELNS1_3gpuE6ELNS1_3repE0EEENS1_30default_config_static_selectorELNS0_4arch9wavefront6targetE1EEEvT1_
; %bb.0:
	.section	.rodata,"a",@progbits
	.p2align	6, 0x0
	.amdhsa_kernel _ZN7rocprim17ROCPRIM_400000_NS6detail17trampoline_kernelINS0_14default_configENS1_25partition_config_selectorILNS1_17partition_subalgoE0EtNS0_10empty_typeEbEEZZNS1_14partition_implILS5_0ELb0ES3_jN6thrust23THRUST_200600_302600_NS6detail15normal_iteratorINSA_10device_ptrItEEEEPS6_SG_NS0_5tupleIJNSA_16discard_iteratorINSA_11use_defaultEEESK_EEENSH_IJSG_SG_EEES6_PlJ7is_evenItEEEE10hipError_tPvRmT3_T4_T5_T6_T7_T9_mT8_P12ihipStream_tbDpT10_ENKUlT_T0_E_clISt17integral_constantIbLb1EES18_IbLb0EEEEDaS14_S15_EUlS14_E_NS1_11comp_targetILNS1_3genE2ELNS1_11target_archE906ELNS1_3gpuE6ELNS1_3repE0EEENS1_30default_config_static_selectorELNS0_4arch9wavefront6targetE1EEEvT1_
		.amdhsa_group_segment_fixed_size 0
		.amdhsa_private_segment_fixed_size 0
		.amdhsa_kernarg_size 136
		.amdhsa_user_sgpr_count 6
		.amdhsa_user_sgpr_private_segment_buffer 1
		.amdhsa_user_sgpr_dispatch_ptr 0
		.amdhsa_user_sgpr_queue_ptr 0
		.amdhsa_user_sgpr_kernarg_segment_ptr 1
		.amdhsa_user_sgpr_dispatch_id 0
		.amdhsa_user_sgpr_flat_scratch_init 0
		.amdhsa_user_sgpr_kernarg_preload_length 0
		.amdhsa_user_sgpr_kernarg_preload_offset 0
		.amdhsa_user_sgpr_private_segment_size 0
		.amdhsa_uses_dynamic_stack 0
		.amdhsa_system_sgpr_private_segment_wavefront_offset 0
		.amdhsa_system_sgpr_workgroup_id_x 1
		.amdhsa_system_sgpr_workgroup_id_y 0
		.amdhsa_system_sgpr_workgroup_id_z 0
		.amdhsa_system_sgpr_workgroup_info 0
		.amdhsa_system_vgpr_workitem_id 0
		.amdhsa_next_free_vgpr 1
		.amdhsa_next_free_sgpr 0
		.amdhsa_accum_offset 4
		.amdhsa_reserve_vcc 0
		.amdhsa_reserve_flat_scratch 0
		.amdhsa_float_round_mode_32 0
		.amdhsa_float_round_mode_16_64 0
		.amdhsa_float_denorm_mode_32 3
		.amdhsa_float_denorm_mode_16_64 3
		.amdhsa_dx10_clamp 1
		.amdhsa_ieee_mode 1
		.amdhsa_fp16_overflow 0
		.amdhsa_tg_split 0
		.amdhsa_exception_fp_ieee_invalid_op 0
		.amdhsa_exception_fp_denorm_src 0
		.amdhsa_exception_fp_ieee_div_zero 0
		.amdhsa_exception_fp_ieee_overflow 0
		.amdhsa_exception_fp_ieee_underflow 0
		.amdhsa_exception_fp_ieee_inexact 0
		.amdhsa_exception_int_div_zero 0
	.end_amdhsa_kernel
	.section	.text._ZN7rocprim17ROCPRIM_400000_NS6detail17trampoline_kernelINS0_14default_configENS1_25partition_config_selectorILNS1_17partition_subalgoE0EtNS0_10empty_typeEbEEZZNS1_14partition_implILS5_0ELb0ES3_jN6thrust23THRUST_200600_302600_NS6detail15normal_iteratorINSA_10device_ptrItEEEEPS6_SG_NS0_5tupleIJNSA_16discard_iteratorINSA_11use_defaultEEESK_EEENSH_IJSG_SG_EEES6_PlJ7is_evenItEEEE10hipError_tPvRmT3_T4_T5_T6_T7_T9_mT8_P12ihipStream_tbDpT10_ENKUlT_T0_E_clISt17integral_constantIbLb1EES18_IbLb0EEEEDaS14_S15_EUlS14_E_NS1_11comp_targetILNS1_3genE2ELNS1_11target_archE906ELNS1_3gpuE6ELNS1_3repE0EEENS1_30default_config_static_selectorELNS0_4arch9wavefront6targetE1EEEvT1_,"axG",@progbits,_ZN7rocprim17ROCPRIM_400000_NS6detail17trampoline_kernelINS0_14default_configENS1_25partition_config_selectorILNS1_17partition_subalgoE0EtNS0_10empty_typeEbEEZZNS1_14partition_implILS5_0ELb0ES3_jN6thrust23THRUST_200600_302600_NS6detail15normal_iteratorINSA_10device_ptrItEEEEPS6_SG_NS0_5tupleIJNSA_16discard_iteratorINSA_11use_defaultEEESK_EEENSH_IJSG_SG_EEES6_PlJ7is_evenItEEEE10hipError_tPvRmT3_T4_T5_T6_T7_T9_mT8_P12ihipStream_tbDpT10_ENKUlT_T0_E_clISt17integral_constantIbLb1EES18_IbLb0EEEEDaS14_S15_EUlS14_E_NS1_11comp_targetILNS1_3genE2ELNS1_11target_archE906ELNS1_3gpuE6ELNS1_3repE0EEENS1_30default_config_static_selectorELNS0_4arch9wavefront6targetE1EEEvT1_,comdat
.Lfunc_end2511:
	.size	_ZN7rocprim17ROCPRIM_400000_NS6detail17trampoline_kernelINS0_14default_configENS1_25partition_config_selectorILNS1_17partition_subalgoE0EtNS0_10empty_typeEbEEZZNS1_14partition_implILS5_0ELb0ES3_jN6thrust23THRUST_200600_302600_NS6detail15normal_iteratorINSA_10device_ptrItEEEEPS6_SG_NS0_5tupleIJNSA_16discard_iteratorINSA_11use_defaultEEESK_EEENSH_IJSG_SG_EEES6_PlJ7is_evenItEEEE10hipError_tPvRmT3_T4_T5_T6_T7_T9_mT8_P12ihipStream_tbDpT10_ENKUlT_T0_E_clISt17integral_constantIbLb1EES18_IbLb0EEEEDaS14_S15_EUlS14_E_NS1_11comp_targetILNS1_3genE2ELNS1_11target_archE906ELNS1_3gpuE6ELNS1_3repE0EEENS1_30default_config_static_selectorELNS0_4arch9wavefront6targetE1EEEvT1_, .Lfunc_end2511-_ZN7rocprim17ROCPRIM_400000_NS6detail17trampoline_kernelINS0_14default_configENS1_25partition_config_selectorILNS1_17partition_subalgoE0EtNS0_10empty_typeEbEEZZNS1_14partition_implILS5_0ELb0ES3_jN6thrust23THRUST_200600_302600_NS6detail15normal_iteratorINSA_10device_ptrItEEEEPS6_SG_NS0_5tupleIJNSA_16discard_iteratorINSA_11use_defaultEEESK_EEENSH_IJSG_SG_EEES6_PlJ7is_evenItEEEE10hipError_tPvRmT3_T4_T5_T6_T7_T9_mT8_P12ihipStream_tbDpT10_ENKUlT_T0_E_clISt17integral_constantIbLb1EES18_IbLb0EEEEDaS14_S15_EUlS14_E_NS1_11comp_targetILNS1_3genE2ELNS1_11target_archE906ELNS1_3gpuE6ELNS1_3repE0EEENS1_30default_config_static_selectorELNS0_4arch9wavefront6targetE1EEEvT1_
                                        ; -- End function
	.section	.AMDGPU.csdata,"",@progbits
; Kernel info:
; codeLenInByte = 0
; NumSgprs: 4
; NumVgprs: 0
; NumAgprs: 0
; TotalNumVgprs: 0
; ScratchSize: 0
; MemoryBound: 0
; FloatMode: 240
; IeeeMode: 1
; LDSByteSize: 0 bytes/workgroup (compile time only)
; SGPRBlocks: 0
; VGPRBlocks: 0
; NumSGPRsForWavesPerEU: 4
; NumVGPRsForWavesPerEU: 1
; AccumOffset: 4
; Occupancy: 8
; WaveLimiterHint : 0
; COMPUTE_PGM_RSRC2:SCRATCH_EN: 0
; COMPUTE_PGM_RSRC2:USER_SGPR: 6
; COMPUTE_PGM_RSRC2:TRAP_HANDLER: 0
; COMPUTE_PGM_RSRC2:TGID_X_EN: 1
; COMPUTE_PGM_RSRC2:TGID_Y_EN: 0
; COMPUTE_PGM_RSRC2:TGID_Z_EN: 0
; COMPUTE_PGM_RSRC2:TIDIG_COMP_CNT: 0
; COMPUTE_PGM_RSRC3_GFX90A:ACCUM_OFFSET: 0
; COMPUTE_PGM_RSRC3_GFX90A:TG_SPLIT: 0
	.section	.text._ZN7rocprim17ROCPRIM_400000_NS6detail17trampoline_kernelINS0_14default_configENS1_25partition_config_selectorILNS1_17partition_subalgoE0EtNS0_10empty_typeEbEEZZNS1_14partition_implILS5_0ELb0ES3_jN6thrust23THRUST_200600_302600_NS6detail15normal_iteratorINSA_10device_ptrItEEEEPS6_SG_NS0_5tupleIJNSA_16discard_iteratorINSA_11use_defaultEEESK_EEENSH_IJSG_SG_EEES6_PlJ7is_evenItEEEE10hipError_tPvRmT3_T4_T5_T6_T7_T9_mT8_P12ihipStream_tbDpT10_ENKUlT_T0_E_clISt17integral_constantIbLb1EES18_IbLb0EEEEDaS14_S15_EUlS14_E_NS1_11comp_targetILNS1_3genE10ELNS1_11target_archE1200ELNS1_3gpuE4ELNS1_3repE0EEENS1_30default_config_static_selectorELNS0_4arch9wavefront6targetE1EEEvT1_,"axG",@progbits,_ZN7rocprim17ROCPRIM_400000_NS6detail17trampoline_kernelINS0_14default_configENS1_25partition_config_selectorILNS1_17partition_subalgoE0EtNS0_10empty_typeEbEEZZNS1_14partition_implILS5_0ELb0ES3_jN6thrust23THRUST_200600_302600_NS6detail15normal_iteratorINSA_10device_ptrItEEEEPS6_SG_NS0_5tupleIJNSA_16discard_iteratorINSA_11use_defaultEEESK_EEENSH_IJSG_SG_EEES6_PlJ7is_evenItEEEE10hipError_tPvRmT3_T4_T5_T6_T7_T9_mT8_P12ihipStream_tbDpT10_ENKUlT_T0_E_clISt17integral_constantIbLb1EES18_IbLb0EEEEDaS14_S15_EUlS14_E_NS1_11comp_targetILNS1_3genE10ELNS1_11target_archE1200ELNS1_3gpuE4ELNS1_3repE0EEENS1_30default_config_static_selectorELNS0_4arch9wavefront6targetE1EEEvT1_,comdat
	.protected	_ZN7rocprim17ROCPRIM_400000_NS6detail17trampoline_kernelINS0_14default_configENS1_25partition_config_selectorILNS1_17partition_subalgoE0EtNS0_10empty_typeEbEEZZNS1_14partition_implILS5_0ELb0ES3_jN6thrust23THRUST_200600_302600_NS6detail15normal_iteratorINSA_10device_ptrItEEEEPS6_SG_NS0_5tupleIJNSA_16discard_iteratorINSA_11use_defaultEEESK_EEENSH_IJSG_SG_EEES6_PlJ7is_evenItEEEE10hipError_tPvRmT3_T4_T5_T6_T7_T9_mT8_P12ihipStream_tbDpT10_ENKUlT_T0_E_clISt17integral_constantIbLb1EES18_IbLb0EEEEDaS14_S15_EUlS14_E_NS1_11comp_targetILNS1_3genE10ELNS1_11target_archE1200ELNS1_3gpuE4ELNS1_3repE0EEENS1_30default_config_static_selectorELNS0_4arch9wavefront6targetE1EEEvT1_ ; -- Begin function _ZN7rocprim17ROCPRIM_400000_NS6detail17trampoline_kernelINS0_14default_configENS1_25partition_config_selectorILNS1_17partition_subalgoE0EtNS0_10empty_typeEbEEZZNS1_14partition_implILS5_0ELb0ES3_jN6thrust23THRUST_200600_302600_NS6detail15normal_iteratorINSA_10device_ptrItEEEEPS6_SG_NS0_5tupleIJNSA_16discard_iteratorINSA_11use_defaultEEESK_EEENSH_IJSG_SG_EEES6_PlJ7is_evenItEEEE10hipError_tPvRmT3_T4_T5_T6_T7_T9_mT8_P12ihipStream_tbDpT10_ENKUlT_T0_E_clISt17integral_constantIbLb1EES18_IbLb0EEEEDaS14_S15_EUlS14_E_NS1_11comp_targetILNS1_3genE10ELNS1_11target_archE1200ELNS1_3gpuE4ELNS1_3repE0EEENS1_30default_config_static_selectorELNS0_4arch9wavefront6targetE1EEEvT1_
	.globl	_ZN7rocprim17ROCPRIM_400000_NS6detail17trampoline_kernelINS0_14default_configENS1_25partition_config_selectorILNS1_17partition_subalgoE0EtNS0_10empty_typeEbEEZZNS1_14partition_implILS5_0ELb0ES3_jN6thrust23THRUST_200600_302600_NS6detail15normal_iteratorINSA_10device_ptrItEEEEPS6_SG_NS0_5tupleIJNSA_16discard_iteratorINSA_11use_defaultEEESK_EEENSH_IJSG_SG_EEES6_PlJ7is_evenItEEEE10hipError_tPvRmT3_T4_T5_T6_T7_T9_mT8_P12ihipStream_tbDpT10_ENKUlT_T0_E_clISt17integral_constantIbLb1EES18_IbLb0EEEEDaS14_S15_EUlS14_E_NS1_11comp_targetILNS1_3genE10ELNS1_11target_archE1200ELNS1_3gpuE4ELNS1_3repE0EEENS1_30default_config_static_selectorELNS0_4arch9wavefront6targetE1EEEvT1_
	.p2align	8
	.type	_ZN7rocprim17ROCPRIM_400000_NS6detail17trampoline_kernelINS0_14default_configENS1_25partition_config_selectorILNS1_17partition_subalgoE0EtNS0_10empty_typeEbEEZZNS1_14partition_implILS5_0ELb0ES3_jN6thrust23THRUST_200600_302600_NS6detail15normal_iteratorINSA_10device_ptrItEEEEPS6_SG_NS0_5tupleIJNSA_16discard_iteratorINSA_11use_defaultEEESK_EEENSH_IJSG_SG_EEES6_PlJ7is_evenItEEEE10hipError_tPvRmT3_T4_T5_T6_T7_T9_mT8_P12ihipStream_tbDpT10_ENKUlT_T0_E_clISt17integral_constantIbLb1EES18_IbLb0EEEEDaS14_S15_EUlS14_E_NS1_11comp_targetILNS1_3genE10ELNS1_11target_archE1200ELNS1_3gpuE4ELNS1_3repE0EEENS1_30default_config_static_selectorELNS0_4arch9wavefront6targetE1EEEvT1_,@function
_ZN7rocprim17ROCPRIM_400000_NS6detail17trampoline_kernelINS0_14default_configENS1_25partition_config_selectorILNS1_17partition_subalgoE0EtNS0_10empty_typeEbEEZZNS1_14partition_implILS5_0ELb0ES3_jN6thrust23THRUST_200600_302600_NS6detail15normal_iteratorINSA_10device_ptrItEEEEPS6_SG_NS0_5tupleIJNSA_16discard_iteratorINSA_11use_defaultEEESK_EEENSH_IJSG_SG_EEES6_PlJ7is_evenItEEEE10hipError_tPvRmT3_T4_T5_T6_T7_T9_mT8_P12ihipStream_tbDpT10_ENKUlT_T0_E_clISt17integral_constantIbLb1EES18_IbLb0EEEEDaS14_S15_EUlS14_E_NS1_11comp_targetILNS1_3genE10ELNS1_11target_archE1200ELNS1_3gpuE4ELNS1_3repE0EEENS1_30default_config_static_selectorELNS0_4arch9wavefront6targetE1EEEvT1_: ; @_ZN7rocprim17ROCPRIM_400000_NS6detail17trampoline_kernelINS0_14default_configENS1_25partition_config_selectorILNS1_17partition_subalgoE0EtNS0_10empty_typeEbEEZZNS1_14partition_implILS5_0ELb0ES3_jN6thrust23THRUST_200600_302600_NS6detail15normal_iteratorINSA_10device_ptrItEEEEPS6_SG_NS0_5tupleIJNSA_16discard_iteratorINSA_11use_defaultEEESK_EEENSH_IJSG_SG_EEES6_PlJ7is_evenItEEEE10hipError_tPvRmT3_T4_T5_T6_T7_T9_mT8_P12ihipStream_tbDpT10_ENKUlT_T0_E_clISt17integral_constantIbLb1EES18_IbLb0EEEEDaS14_S15_EUlS14_E_NS1_11comp_targetILNS1_3genE10ELNS1_11target_archE1200ELNS1_3gpuE4ELNS1_3repE0EEENS1_30default_config_static_selectorELNS0_4arch9wavefront6targetE1EEEvT1_
; %bb.0:
	.section	.rodata,"a",@progbits
	.p2align	6, 0x0
	.amdhsa_kernel _ZN7rocprim17ROCPRIM_400000_NS6detail17trampoline_kernelINS0_14default_configENS1_25partition_config_selectorILNS1_17partition_subalgoE0EtNS0_10empty_typeEbEEZZNS1_14partition_implILS5_0ELb0ES3_jN6thrust23THRUST_200600_302600_NS6detail15normal_iteratorINSA_10device_ptrItEEEEPS6_SG_NS0_5tupleIJNSA_16discard_iteratorINSA_11use_defaultEEESK_EEENSH_IJSG_SG_EEES6_PlJ7is_evenItEEEE10hipError_tPvRmT3_T4_T5_T6_T7_T9_mT8_P12ihipStream_tbDpT10_ENKUlT_T0_E_clISt17integral_constantIbLb1EES18_IbLb0EEEEDaS14_S15_EUlS14_E_NS1_11comp_targetILNS1_3genE10ELNS1_11target_archE1200ELNS1_3gpuE4ELNS1_3repE0EEENS1_30default_config_static_selectorELNS0_4arch9wavefront6targetE1EEEvT1_
		.amdhsa_group_segment_fixed_size 0
		.amdhsa_private_segment_fixed_size 0
		.amdhsa_kernarg_size 136
		.amdhsa_user_sgpr_count 6
		.amdhsa_user_sgpr_private_segment_buffer 1
		.amdhsa_user_sgpr_dispatch_ptr 0
		.amdhsa_user_sgpr_queue_ptr 0
		.amdhsa_user_sgpr_kernarg_segment_ptr 1
		.amdhsa_user_sgpr_dispatch_id 0
		.amdhsa_user_sgpr_flat_scratch_init 0
		.amdhsa_user_sgpr_kernarg_preload_length 0
		.amdhsa_user_sgpr_kernarg_preload_offset 0
		.amdhsa_user_sgpr_private_segment_size 0
		.amdhsa_uses_dynamic_stack 0
		.amdhsa_system_sgpr_private_segment_wavefront_offset 0
		.amdhsa_system_sgpr_workgroup_id_x 1
		.amdhsa_system_sgpr_workgroup_id_y 0
		.amdhsa_system_sgpr_workgroup_id_z 0
		.amdhsa_system_sgpr_workgroup_info 0
		.amdhsa_system_vgpr_workitem_id 0
		.amdhsa_next_free_vgpr 1
		.amdhsa_next_free_sgpr 0
		.amdhsa_accum_offset 4
		.amdhsa_reserve_vcc 0
		.amdhsa_reserve_flat_scratch 0
		.amdhsa_float_round_mode_32 0
		.amdhsa_float_round_mode_16_64 0
		.amdhsa_float_denorm_mode_32 3
		.amdhsa_float_denorm_mode_16_64 3
		.amdhsa_dx10_clamp 1
		.amdhsa_ieee_mode 1
		.amdhsa_fp16_overflow 0
		.amdhsa_tg_split 0
		.amdhsa_exception_fp_ieee_invalid_op 0
		.amdhsa_exception_fp_denorm_src 0
		.amdhsa_exception_fp_ieee_div_zero 0
		.amdhsa_exception_fp_ieee_overflow 0
		.amdhsa_exception_fp_ieee_underflow 0
		.amdhsa_exception_fp_ieee_inexact 0
		.amdhsa_exception_int_div_zero 0
	.end_amdhsa_kernel
	.section	.text._ZN7rocprim17ROCPRIM_400000_NS6detail17trampoline_kernelINS0_14default_configENS1_25partition_config_selectorILNS1_17partition_subalgoE0EtNS0_10empty_typeEbEEZZNS1_14partition_implILS5_0ELb0ES3_jN6thrust23THRUST_200600_302600_NS6detail15normal_iteratorINSA_10device_ptrItEEEEPS6_SG_NS0_5tupleIJNSA_16discard_iteratorINSA_11use_defaultEEESK_EEENSH_IJSG_SG_EEES6_PlJ7is_evenItEEEE10hipError_tPvRmT3_T4_T5_T6_T7_T9_mT8_P12ihipStream_tbDpT10_ENKUlT_T0_E_clISt17integral_constantIbLb1EES18_IbLb0EEEEDaS14_S15_EUlS14_E_NS1_11comp_targetILNS1_3genE10ELNS1_11target_archE1200ELNS1_3gpuE4ELNS1_3repE0EEENS1_30default_config_static_selectorELNS0_4arch9wavefront6targetE1EEEvT1_,"axG",@progbits,_ZN7rocprim17ROCPRIM_400000_NS6detail17trampoline_kernelINS0_14default_configENS1_25partition_config_selectorILNS1_17partition_subalgoE0EtNS0_10empty_typeEbEEZZNS1_14partition_implILS5_0ELb0ES3_jN6thrust23THRUST_200600_302600_NS6detail15normal_iteratorINSA_10device_ptrItEEEEPS6_SG_NS0_5tupleIJNSA_16discard_iteratorINSA_11use_defaultEEESK_EEENSH_IJSG_SG_EEES6_PlJ7is_evenItEEEE10hipError_tPvRmT3_T4_T5_T6_T7_T9_mT8_P12ihipStream_tbDpT10_ENKUlT_T0_E_clISt17integral_constantIbLb1EES18_IbLb0EEEEDaS14_S15_EUlS14_E_NS1_11comp_targetILNS1_3genE10ELNS1_11target_archE1200ELNS1_3gpuE4ELNS1_3repE0EEENS1_30default_config_static_selectorELNS0_4arch9wavefront6targetE1EEEvT1_,comdat
.Lfunc_end2512:
	.size	_ZN7rocprim17ROCPRIM_400000_NS6detail17trampoline_kernelINS0_14default_configENS1_25partition_config_selectorILNS1_17partition_subalgoE0EtNS0_10empty_typeEbEEZZNS1_14partition_implILS5_0ELb0ES3_jN6thrust23THRUST_200600_302600_NS6detail15normal_iteratorINSA_10device_ptrItEEEEPS6_SG_NS0_5tupleIJNSA_16discard_iteratorINSA_11use_defaultEEESK_EEENSH_IJSG_SG_EEES6_PlJ7is_evenItEEEE10hipError_tPvRmT3_T4_T5_T6_T7_T9_mT8_P12ihipStream_tbDpT10_ENKUlT_T0_E_clISt17integral_constantIbLb1EES18_IbLb0EEEEDaS14_S15_EUlS14_E_NS1_11comp_targetILNS1_3genE10ELNS1_11target_archE1200ELNS1_3gpuE4ELNS1_3repE0EEENS1_30default_config_static_selectorELNS0_4arch9wavefront6targetE1EEEvT1_, .Lfunc_end2512-_ZN7rocprim17ROCPRIM_400000_NS6detail17trampoline_kernelINS0_14default_configENS1_25partition_config_selectorILNS1_17partition_subalgoE0EtNS0_10empty_typeEbEEZZNS1_14partition_implILS5_0ELb0ES3_jN6thrust23THRUST_200600_302600_NS6detail15normal_iteratorINSA_10device_ptrItEEEEPS6_SG_NS0_5tupleIJNSA_16discard_iteratorINSA_11use_defaultEEESK_EEENSH_IJSG_SG_EEES6_PlJ7is_evenItEEEE10hipError_tPvRmT3_T4_T5_T6_T7_T9_mT8_P12ihipStream_tbDpT10_ENKUlT_T0_E_clISt17integral_constantIbLb1EES18_IbLb0EEEEDaS14_S15_EUlS14_E_NS1_11comp_targetILNS1_3genE10ELNS1_11target_archE1200ELNS1_3gpuE4ELNS1_3repE0EEENS1_30default_config_static_selectorELNS0_4arch9wavefront6targetE1EEEvT1_
                                        ; -- End function
	.section	.AMDGPU.csdata,"",@progbits
; Kernel info:
; codeLenInByte = 0
; NumSgprs: 4
; NumVgprs: 0
; NumAgprs: 0
; TotalNumVgprs: 0
; ScratchSize: 0
; MemoryBound: 0
; FloatMode: 240
; IeeeMode: 1
; LDSByteSize: 0 bytes/workgroup (compile time only)
; SGPRBlocks: 0
; VGPRBlocks: 0
; NumSGPRsForWavesPerEU: 4
; NumVGPRsForWavesPerEU: 1
; AccumOffset: 4
; Occupancy: 8
; WaveLimiterHint : 0
; COMPUTE_PGM_RSRC2:SCRATCH_EN: 0
; COMPUTE_PGM_RSRC2:USER_SGPR: 6
; COMPUTE_PGM_RSRC2:TRAP_HANDLER: 0
; COMPUTE_PGM_RSRC2:TGID_X_EN: 1
; COMPUTE_PGM_RSRC2:TGID_Y_EN: 0
; COMPUTE_PGM_RSRC2:TGID_Z_EN: 0
; COMPUTE_PGM_RSRC2:TIDIG_COMP_CNT: 0
; COMPUTE_PGM_RSRC3_GFX90A:ACCUM_OFFSET: 0
; COMPUTE_PGM_RSRC3_GFX90A:TG_SPLIT: 0
	.section	.text._ZN7rocprim17ROCPRIM_400000_NS6detail17trampoline_kernelINS0_14default_configENS1_25partition_config_selectorILNS1_17partition_subalgoE0EtNS0_10empty_typeEbEEZZNS1_14partition_implILS5_0ELb0ES3_jN6thrust23THRUST_200600_302600_NS6detail15normal_iteratorINSA_10device_ptrItEEEEPS6_SG_NS0_5tupleIJNSA_16discard_iteratorINSA_11use_defaultEEESK_EEENSH_IJSG_SG_EEES6_PlJ7is_evenItEEEE10hipError_tPvRmT3_T4_T5_T6_T7_T9_mT8_P12ihipStream_tbDpT10_ENKUlT_T0_E_clISt17integral_constantIbLb1EES18_IbLb0EEEEDaS14_S15_EUlS14_E_NS1_11comp_targetILNS1_3genE9ELNS1_11target_archE1100ELNS1_3gpuE3ELNS1_3repE0EEENS1_30default_config_static_selectorELNS0_4arch9wavefront6targetE1EEEvT1_,"axG",@progbits,_ZN7rocprim17ROCPRIM_400000_NS6detail17trampoline_kernelINS0_14default_configENS1_25partition_config_selectorILNS1_17partition_subalgoE0EtNS0_10empty_typeEbEEZZNS1_14partition_implILS5_0ELb0ES3_jN6thrust23THRUST_200600_302600_NS6detail15normal_iteratorINSA_10device_ptrItEEEEPS6_SG_NS0_5tupleIJNSA_16discard_iteratorINSA_11use_defaultEEESK_EEENSH_IJSG_SG_EEES6_PlJ7is_evenItEEEE10hipError_tPvRmT3_T4_T5_T6_T7_T9_mT8_P12ihipStream_tbDpT10_ENKUlT_T0_E_clISt17integral_constantIbLb1EES18_IbLb0EEEEDaS14_S15_EUlS14_E_NS1_11comp_targetILNS1_3genE9ELNS1_11target_archE1100ELNS1_3gpuE3ELNS1_3repE0EEENS1_30default_config_static_selectorELNS0_4arch9wavefront6targetE1EEEvT1_,comdat
	.protected	_ZN7rocprim17ROCPRIM_400000_NS6detail17trampoline_kernelINS0_14default_configENS1_25partition_config_selectorILNS1_17partition_subalgoE0EtNS0_10empty_typeEbEEZZNS1_14partition_implILS5_0ELb0ES3_jN6thrust23THRUST_200600_302600_NS6detail15normal_iteratorINSA_10device_ptrItEEEEPS6_SG_NS0_5tupleIJNSA_16discard_iteratorINSA_11use_defaultEEESK_EEENSH_IJSG_SG_EEES6_PlJ7is_evenItEEEE10hipError_tPvRmT3_T4_T5_T6_T7_T9_mT8_P12ihipStream_tbDpT10_ENKUlT_T0_E_clISt17integral_constantIbLb1EES18_IbLb0EEEEDaS14_S15_EUlS14_E_NS1_11comp_targetILNS1_3genE9ELNS1_11target_archE1100ELNS1_3gpuE3ELNS1_3repE0EEENS1_30default_config_static_selectorELNS0_4arch9wavefront6targetE1EEEvT1_ ; -- Begin function _ZN7rocprim17ROCPRIM_400000_NS6detail17trampoline_kernelINS0_14default_configENS1_25partition_config_selectorILNS1_17partition_subalgoE0EtNS0_10empty_typeEbEEZZNS1_14partition_implILS5_0ELb0ES3_jN6thrust23THRUST_200600_302600_NS6detail15normal_iteratorINSA_10device_ptrItEEEEPS6_SG_NS0_5tupleIJNSA_16discard_iteratorINSA_11use_defaultEEESK_EEENSH_IJSG_SG_EEES6_PlJ7is_evenItEEEE10hipError_tPvRmT3_T4_T5_T6_T7_T9_mT8_P12ihipStream_tbDpT10_ENKUlT_T0_E_clISt17integral_constantIbLb1EES18_IbLb0EEEEDaS14_S15_EUlS14_E_NS1_11comp_targetILNS1_3genE9ELNS1_11target_archE1100ELNS1_3gpuE3ELNS1_3repE0EEENS1_30default_config_static_selectorELNS0_4arch9wavefront6targetE1EEEvT1_
	.globl	_ZN7rocprim17ROCPRIM_400000_NS6detail17trampoline_kernelINS0_14default_configENS1_25partition_config_selectorILNS1_17partition_subalgoE0EtNS0_10empty_typeEbEEZZNS1_14partition_implILS5_0ELb0ES3_jN6thrust23THRUST_200600_302600_NS6detail15normal_iteratorINSA_10device_ptrItEEEEPS6_SG_NS0_5tupleIJNSA_16discard_iteratorINSA_11use_defaultEEESK_EEENSH_IJSG_SG_EEES6_PlJ7is_evenItEEEE10hipError_tPvRmT3_T4_T5_T6_T7_T9_mT8_P12ihipStream_tbDpT10_ENKUlT_T0_E_clISt17integral_constantIbLb1EES18_IbLb0EEEEDaS14_S15_EUlS14_E_NS1_11comp_targetILNS1_3genE9ELNS1_11target_archE1100ELNS1_3gpuE3ELNS1_3repE0EEENS1_30default_config_static_selectorELNS0_4arch9wavefront6targetE1EEEvT1_
	.p2align	8
	.type	_ZN7rocprim17ROCPRIM_400000_NS6detail17trampoline_kernelINS0_14default_configENS1_25partition_config_selectorILNS1_17partition_subalgoE0EtNS0_10empty_typeEbEEZZNS1_14partition_implILS5_0ELb0ES3_jN6thrust23THRUST_200600_302600_NS6detail15normal_iteratorINSA_10device_ptrItEEEEPS6_SG_NS0_5tupleIJNSA_16discard_iteratorINSA_11use_defaultEEESK_EEENSH_IJSG_SG_EEES6_PlJ7is_evenItEEEE10hipError_tPvRmT3_T4_T5_T6_T7_T9_mT8_P12ihipStream_tbDpT10_ENKUlT_T0_E_clISt17integral_constantIbLb1EES18_IbLb0EEEEDaS14_S15_EUlS14_E_NS1_11comp_targetILNS1_3genE9ELNS1_11target_archE1100ELNS1_3gpuE3ELNS1_3repE0EEENS1_30default_config_static_selectorELNS0_4arch9wavefront6targetE1EEEvT1_,@function
_ZN7rocprim17ROCPRIM_400000_NS6detail17trampoline_kernelINS0_14default_configENS1_25partition_config_selectorILNS1_17partition_subalgoE0EtNS0_10empty_typeEbEEZZNS1_14partition_implILS5_0ELb0ES3_jN6thrust23THRUST_200600_302600_NS6detail15normal_iteratorINSA_10device_ptrItEEEEPS6_SG_NS0_5tupleIJNSA_16discard_iteratorINSA_11use_defaultEEESK_EEENSH_IJSG_SG_EEES6_PlJ7is_evenItEEEE10hipError_tPvRmT3_T4_T5_T6_T7_T9_mT8_P12ihipStream_tbDpT10_ENKUlT_T0_E_clISt17integral_constantIbLb1EES18_IbLb0EEEEDaS14_S15_EUlS14_E_NS1_11comp_targetILNS1_3genE9ELNS1_11target_archE1100ELNS1_3gpuE3ELNS1_3repE0EEENS1_30default_config_static_selectorELNS0_4arch9wavefront6targetE1EEEvT1_: ; @_ZN7rocprim17ROCPRIM_400000_NS6detail17trampoline_kernelINS0_14default_configENS1_25partition_config_selectorILNS1_17partition_subalgoE0EtNS0_10empty_typeEbEEZZNS1_14partition_implILS5_0ELb0ES3_jN6thrust23THRUST_200600_302600_NS6detail15normal_iteratorINSA_10device_ptrItEEEEPS6_SG_NS0_5tupleIJNSA_16discard_iteratorINSA_11use_defaultEEESK_EEENSH_IJSG_SG_EEES6_PlJ7is_evenItEEEE10hipError_tPvRmT3_T4_T5_T6_T7_T9_mT8_P12ihipStream_tbDpT10_ENKUlT_T0_E_clISt17integral_constantIbLb1EES18_IbLb0EEEEDaS14_S15_EUlS14_E_NS1_11comp_targetILNS1_3genE9ELNS1_11target_archE1100ELNS1_3gpuE3ELNS1_3repE0EEENS1_30default_config_static_selectorELNS0_4arch9wavefront6targetE1EEEvT1_
; %bb.0:
	.section	.rodata,"a",@progbits
	.p2align	6, 0x0
	.amdhsa_kernel _ZN7rocprim17ROCPRIM_400000_NS6detail17trampoline_kernelINS0_14default_configENS1_25partition_config_selectorILNS1_17partition_subalgoE0EtNS0_10empty_typeEbEEZZNS1_14partition_implILS5_0ELb0ES3_jN6thrust23THRUST_200600_302600_NS6detail15normal_iteratorINSA_10device_ptrItEEEEPS6_SG_NS0_5tupleIJNSA_16discard_iteratorINSA_11use_defaultEEESK_EEENSH_IJSG_SG_EEES6_PlJ7is_evenItEEEE10hipError_tPvRmT3_T4_T5_T6_T7_T9_mT8_P12ihipStream_tbDpT10_ENKUlT_T0_E_clISt17integral_constantIbLb1EES18_IbLb0EEEEDaS14_S15_EUlS14_E_NS1_11comp_targetILNS1_3genE9ELNS1_11target_archE1100ELNS1_3gpuE3ELNS1_3repE0EEENS1_30default_config_static_selectorELNS0_4arch9wavefront6targetE1EEEvT1_
		.amdhsa_group_segment_fixed_size 0
		.amdhsa_private_segment_fixed_size 0
		.amdhsa_kernarg_size 136
		.amdhsa_user_sgpr_count 6
		.amdhsa_user_sgpr_private_segment_buffer 1
		.amdhsa_user_sgpr_dispatch_ptr 0
		.amdhsa_user_sgpr_queue_ptr 0
		.amdhsa_user_sgpr_kernarg_segment_ptr 1
		.amdhsa_user_sgpr_dispatch_id 0
		.amdhsa_user_sgpr_flat_scratch_init 0
		.amdhsa_user_sgpr_kernarg_preload_length 0
		.amdhsa_user_sgpr_kernarg_preload_offset 0
		.amdhsa_user_sgpr_private_segment_size 0
		.amdhsa_uses_dynamic_stack 0
		.amdhsa_system_sgpr_private_segment_wavefront_offset 0
		.amdhsa_system_sgpr_workgroup_id_x 1
		.amdhsa_system_sgpr_workgroup_id_y 0
		.amdhsa_system_sgpr_workgroup_id_z 0
		.amdhsa_system_sgpr_workgroup_info 0
		.amdhsa_system_vgpr_workitem_id 0
		.amdhsa_next_free_vgpr 1
		.amdhsa_next_free_sgpr 0
		.amdhsa_accum_offset 4
		.amdhsa_reserve_vcc 0
		.amdhsa_reserve_flat_scratch 0
		.amdhsa_float_round_mode_32 0
		.amdhsa_float_round_mode_16_64 0
		.amdhsa_float_denorm_mode_32 3
		.amdhsa_float_denorm_mode_16_64 3
		.amdhsa_dx10_clamp 1
		.amdhsa_ieee_mode 1
		.amdhsa_fp16_overflow 0
		.amdhsa_tg_split 0
		.amdhsa_exception_fp_ieee_invalid_op 0
		.amdhsa_exception_fp_denorm_src 0
		.amdhsa_exception_fp_ieee_div_zero 0
		.amdhsa_exception_fp_ieee_overflow 0
		.amdhsa_exception_fp_ieee_underflow 0
		.amdhsa_exception_fp_ieee_inexact 0
		.amdhsa_exception_int_div_zero 0
	.end_amdhsa_kernel
	.section	.text._ZN7rocprim17ROCPRIM_400000_NS6detail17trampoline_kernelINS0_14default_configENS1_25partition_config_selectorILNS1_17partition_subalgoE0EtNS0_10empty_typeEbEEZZNS1_14partition_implILS5_0ELb0ES3_jN6thrust23THRUST_200600_302600_NS6detail15normal_iteratorINSA_10device_ptrItEEEEPS6_SG_NS0_5tupleIJNSA_16discard_iteratorINSA_11use_defaultEEESK_EEENSH_IJSG_SG_EEES6_PlJ7is_evenItEEEE10hipError_tPvRmT3_T4_T5_T6_T7_T9_mT8_P12ihipStream_tbDpT10_ENKUlT_T0_E_clISt17integral_constantIbLb1EES18_IbLb0EEEEDaS14_S15_EUlS14_E_NS1_11comp_targetILNS1_3genE9ELNS1_11target_archE1100ELNS1_3gpuE3ELNS1_3repE0EEENS1_30default_config_static_selectorELNS0_4arch9wavefront6targetE1EEEvT1_,"axG",@progbits,_ZN7rocprim17ROCPRIM_400000_NS6detail17trampoline_kernelINS0_14default_configENS1_25partition_config_selectorILNS1_17partition_subalgoE0EtNS0_10empty_typeEbEEZZNS1_14partition_implILS5_0ELb0ES3_jN6thrust23THRUST_200600_302600_NS6detail15normal_iteratorINSA_10device_ptrItEEEEPS6_SG_NS0_5tupleIJNSA_16discard_iteratorINSA_11use_defaultEEESK_EEENSH_IJSG_SG_EEES6_PlJ7is_evenItEEEE10hipError_tPvRmT3_T4_T5_T6_T7_T9_mT8_P12ihipStream_tbDpT10_ENKUlT_T0_E_clISt17integral_constantIbLb1EES18_IbLb0EEEEDaS14_S15_EUlS14_E_NS1_11comp_targetILNS1_3genE9ELNS1_11target_archE1100ELNS1_3gpuE3ELNS1_3repE0EEENS1_30default_config_static_selectorELNS0_4arch9wavefront6targetE1EEEvT1_,comdat
.Lfunc_end2513:
	.size	_ZN7rocprim17ROCPRIM_400000_NS6detail17trampoline_kernelINS0_14default_configENS1_25partition_config_selectorILNS1_17partition_subalgoE0EtNS0_10empty_typeEbEEZZNS1_14partition_implILS5_0ELb0ES3_jN6thrust23THRUST_200600_302600_NS6detail15normal_iteratorINSA_10device_ptrItEEEEPS6_SG_NS0_5tupleIJNSA_16discard_iteratorINSA_11use_defaultEEESK_EEENSH_IJSG_SG_EEES6_PlJ7is_evenItEEEE10hipError_tPvRmT3_T4_T5_T6_T7_T9_mT8_P12ihipStream_tbDpT10_ENKUlT_T0_E_clISt17integral_constantIbLb1EES18_IbLb0EEEEDaS14_S15_EUlS14_E_NS1_11comp_targetILNS1_3genE9ELNS1_11target_archE1100ELNS1_3gpuE3ELNS1_3repE0EEENS1_30default_config_static_selectorELNS0_4arch9wavefront6targetE1EEEvT1_, .Lfunc_end2513-_ZN7rocprim17ROCPRIM_400000_NS6detail17trampoline_kernelINS0_14default_configENS1_25partition_config_selectorILNS1_17partition_subalgoE0EtNS0_10empty_typeEbEEZZNS1_14partition_implILS5_0ELb0ES3_jN6thrust23THRUST_200600_302600_NS6detail15normal_iteratorINSA_10device_ptrItEEEEPS6_SG_NS0_5tupleIJNSA_16discard_iteratorINSA_11use_defaultEEESK_EEENSH_IJSG_SG_EEES6_PlJ7is_evenItEEEE10hipError_tPvRmT3_T4_T5_T6_T7_T9_mT8_P12ihipStream_tbDpT10_ENKUlT_T0_E_clISt17integral_constantIbLb1EES18_IbLb0EEEEDaS14_S15_EUlS14_E_NS1_11comp_targetILNS1_3genE9ELNS1_11target_archE1100ELNS1_3gpuE3ELNS1_3repE0EEENS1_30default_config_static_selectorELNS0_4arch9wavefront6targetE1EEEvT1_
                                        ; -- End function
	.section	.AMDGPU.csdata,"",@progbits
; Kernel info:
; codeLenInByte = 0
; NumSgprs: 4
; NumVgprs: 0
; NumAgprs: 0
; TotalNumVgprs: 0
; ScratchSize: 0
; MemoryBound: 0
; FloatMode: 240
; IeeeMode: 1
; LDSByteSize: 0 bytes/workgroup (compile time only)
; SGPRBlocks: 0
; VGPRBlocks: 0
; NumSGPRsForWavesPerEU: 4
; NumVGPRsForWavesPerEU: 1
; AccumOffset: 4
; Occupancy: 8
; WaveLimiterHint : 0
; COMPUTE_PGM_RSRC2:SCRATCH_EN: 0
; COMPUTE_PGM_RSRC2:USER_SGPR: 6
; COMPUTE_PGM_RSRC2:TRAP_HANDLER: 0
; COMPUTE_PGM_RSRC2:TGID_X_EN: 1
; COMPUTE_PGM_RSRC2:TGID_Y_EN: 0
; COMPUTE_PGM_RSRC2:TGID_Z_EN: 0
; COMPUTE_PGM_RSRC2:TIDIG_COMP_CNT: 0
; COMPUTE_PGM_RSRC3_GFX90A:ACCUM_OFFSET: 0
; COMPUTE_PGM_RSRC3_GFX90A:TG_SPLIT: 0
	.section	.text._ZN7rocprim17ROCPRIM_400000_NS6detail17trampoline_kernelINS0_14default_configENS1_25partition_config_selectorILNS1_17partition_subalgoE0EtNS0_10empty_typeEbEEZZNS1_14partition_implILS5_0ELb0ES3_jN6thrust23THRUST_200600_302600_NS6detail15normal_iteratorINSA_10device_ptrItEEEEPS6_SG_NS0_5tupleIJNSA_16discard_iteratorINSA_11use_defaultEEESK_EEENSH_IJSG_SG_EEES6_PlJ7is_evenItEEEE10hipError_tPvRmT3_T4_T5_T6_T7_T9_mT8_P12ihipStream_tbDpT10_ENKUlT_T0_E_clISt17integral_constantIbLb1EES18_IbLb0EEEEDaS14_S15_EUlS14_E_NS1_11comp_targetILNS1_3genE8ELNS1_11target_archE1030ELNS1_3gpuE2ELNS1_3repE0EEENS1_30default_config_static_selectorELNS0_4arch9wavefront6targetE1EEEvT1_,"axG",@progbits,_ZN7rocprim17ROCPRIM_400000_NS6detail17trampoline_kernelINS0_14default_configENS1_25partition_config_selectorILNS1_17partition_subalgoE0EtNS0_10empty_typeEbEEZZNS1_14partition_implILS5_0ELb0ES3_jN6thrust23THRUST_200600_302600_NS6detail15normal_iteratorINSA_10device_ptrItEEEEPS6_SG_NS0_5tupleIJNSA_16discard_iteratorINSA_11use_defaultEEESK_EEENSH_IJSG_SG_EEES6_PlJ7is_evenItEEEE10hipError_tPvRmT3_T4_T5_T6_T7_T9_mT8_P12ihipStream_tbDpT10_ENKUlT_T0_E_clISt17integral_constantIbLb1EES18_IbLb0EEEEDaS14_S15_EUlS14_E_NS1_11comp_targetILNS1_3genE8ELNS1_11target_archE1030ELNS1_3gpuE2ELNS1_3repE0EEENS1_30default_config_static_selectorELNS0_4arch9wavefront6targetE1EEEvT1_,comdat
	.protected	_ZN7rocprim17ROCPRIM_400000_NS6detail17trampoline_kernelINS0_14default_configENS1_25partition_config_selectorILNS1_17partition_subalgoE0EtNS0_10empty_typeEbEEZZNS1_14partition_implILS5_0ELb0ES3_jN6thrust23THRUST_200600_302600_NS6detail15normal_iteratorINSA_10device_ptrItEEEEPS6_SG_NS0_5tupleIJNSA_16discard_iteratorINSA_11use_defaultEEESK_EEENSH_IJSG_SG_EEES6_PlJ7is_evenItEEEE10hipError_tPvRmT3_T4_T5_T6_T7_T9_mT8_P12ihipStream_tbDpT10_ENKUlT_T0_E_clISt17integral_constantIbLb1EES18_IbLb0EEEEDaS14_S15_EUlS14_E_NS1_11comp_targetILNS1_3genE8ELNS1_11target_archE1030ELNS1_3gpuE2ELNS1_3repE0EEENS1_30default_config_static_selectorELNS0_4arch9wavefront6targetE1EEEvT1_ ; -- Begin function _ZN7rocprim17ROCPRIM_400000_NS6detail17trampoline_kernelINS0_14default_configENS1_25partition_config_selectorILNS1_17partition_subalgoE0EtNS0_10empty_typeEbEEZZNS1_14partition_implILS5_0ELb0ES3_jN6thrust23THRUST_200600_302600_NS6detail15normal_iteratorINSA_10device_ptrItEEEEPS6_SG_NS0_5tupleIJNSA_16discard_iteratorINSA_11use_defaultEEESK_EEENSH_IJSG_SG_EEES6_PlJ7is_evenItEEEE10hipError_tPvRmT3_T4_T5_T6_T7_T9_mT8_P12ihipStream_tbDpT10_ENKUlT_T0_E_clISt17integral_constantIbLb1EES18_IbLb0EEEEDaS14_S15_EUlS14_E_NS1_11comp_targetILNS1_3genE8ELNS1_11target_archE1030ELNS1_3gpuE2ELNS1_3repE0EEENS1_30default_config_static_selectorELNS0_4arch9wavefront6targetE1EEEvT1_
	.globl	_ZN7rocprim17ROCPRIM_400000_NS6detail17trampoline_kernelINS0_14default_configENS1_25partition_config_selectorILNS1_17partition_subalgoE0EtNS0_10empty_typeEbEEZZNS1_14partition_implILS5_0ELb0ES3_jN6thrust23THRUST_200600_302600_NS6detail15normal_iteratorINSA_10device_ptrItEEEEPS6_SG_NS0_5tupleIJNSA_16discard_iteratorINSA_11use_defaultEEESK_EEENSH_IJSG_SG_EEES6_PlJ7is_evenItEEEE10hipError_tPvRmT3_T4_T5_T6_T7_T9_mT8_P12ihipStream_tbDpT10_ENKUlT_T0_E_clISt17integral_constantIbLb1EES18_IbLb0EEEEDaS14_S15_EUlS14_E_NS1_11comp_targetILNS1_3genE8ELNS1_11target_archE1030ELNS1_3gpuE2ELNS1_3repE0EEENS1_30default_config_static_selectorELNS0_4arch9wavefront6targetE1EEEvT1_
	.p2align	8
	.type	_ZN7rocprim17ROCPRIM_400000_NS6detail17trampoline_kernelINS0_14default_configENS1_25partition_config_selectorILNS1_17partition_subalgoE0EtNS0_10empty_typeEbEEZZNS1_14partition_implILS5_0ELb0ES3_jN6thrust23THRUST_200600_302600_NS6detail15normal_iteratorINSA_10device_ptrItEEEEPS6_SG_NS0_5tupleIJNSA_16discard_iteratorINSA_11use_defaultEEESK_EEENSH_IJSG_SG_EEES6_PlJ7is_evenItEEEE10hipError_tPvRmT3_T4_T5_T6_T7_T9_mT8_P12ihipStream_tbDpT10_ENKUlT_T0_E_clISt17integral_constantIbLb1EES18_IbLb0EEEEDaS14_S15_EUlS14_E_NS1_11comp_targetILNS1_3genE8ELNS1_11target_archE1030ELNS1_3gpuE2ELNS1_3repE0EEENS1_30default_config_static_selectorELNS0_4arch9wavefront6targetE1EEEvT1_,@function
_ZN7rocprim17ROCPRIM_400000_NS6detail17trampoline_kernelINS0_14default_configENS1_25partition_config_selectorILNS1_17partition_subalgoE0EtNS0_10empty_typeEbEEZZNS1_14partition_implILS5_0ELb0ES3_jN6thrust23THRUST_200600_302600_NS6detail15normal_iteratorINSA_10device_ptrItEEEEPS6_SG_NS0_5tupleIJNSA_16discard_iteratorINSA_11use_defaultEEESK_EEENSH_IJSG_SG_EEES6_PlJ7is_evenItEEEE10hipError_tPvRmT3_T4_T5_T6_T7_T9_mT8_P12ihipStream_tbDpT10_ENKUlT_T0_E_clISt17integral_constantIbLb1EES18_IbLb0EEEEDaS14_S15_EUlS14_E_NS1_11comp_targetILNS1_3genE8ELNS1_11target_archE1030ELNS1_3gpuE2ELNS1_3repE0EEENS1_30default_config_static_selectorELNS0_4arch9wavefront6targetE1EEEvT1_: ; @_ZN7rocprim17ROCPRIM_400000_NS6detail17trampoline_kernelINS0_14default_configENS1_25partition_config_selectorILNS1_17partition_subalgoE0EtNS0_10empty_typeEbEEZZNS1_14partition_implILS5_0ELb0ES3_jN6thrust23THRUST_200600_302600_NS6detail15normal_iteratorINSA_10device_ptrItEEEEPS6_SG_NS0_5tupleIJNSA_16discard_iteratorINSA_11use_defaultEEESK_EEENSH_IJSG_SG_EEES6_PlJ7is_evenItEEEE10hipError_tPvRmT3_T4_T5_T6_T7_T9_mT8_P12ihipStream_tbDpT10_ENKUlT_T0_E_clISt17integral_constantIbLb1EES18_IbLb0EEEEDaS14_S15_EUlS14_E_NS1_11comp_targetILNS1_3genE8ELNS1_11target_archE1030ELNS1_3gpuE2ELNS1_3repE0EEENS1_30default_config_static_selectorELNS0_4arch9wavefront6targetE1EEEvT1_
; %bb.0:
	.section	.rodata,"a",@progbits
	.p2align	6, 0x0
	.amdhsa_kernel _ZN7rocprim17ROCPRIM_400000_NS6detail17trampoline_kernelINS0_14default_configENS1_25partition_config_selectorILNS1_17partition_subalgoE0EtNS0_10empty_typeEbEEZZNS1_14partition_implILS5_0ELb0ES3_jN6thrust23THRUST_200600_302600_NS6detail15normal_iteratorINSA_10device_ptrItEEEEPS6_SG_NS0_5tupleIJNSA_16discard_iteratorINSA_11use_defaultEEESK_EEENSH_IJSG_SG_EEES6_PlJ7is_evenItEEEE10hipError_tPvRmT3_T4_T5_T6_T7_T9_mT8_P12ihipStream_tbDpT10_ENKUlT_T0_E_clISt17integral_constantIbLb1EES18_IbLb0EEEEDaS14_S15_EUlS14_E_NS1_11comp_targetILNS1_3genE8ELNS1_11target_archE1030ELNS1_3gpuE2ELNS1_3repE0EEENS1_30default_config_static_selectorELNS0_4arch9wavefront6targetE1EEEvT1_
		.amdhsa_group_segment_fixed_size 0
		.amdhsa_private_segment_fixed_size 0
		.amdhsa_kernarg_size 136
		.amdhsa_user_sgpr_count 6
		.amdhsa_user_sgpr_private_segment_buffer 1
		.amdhsa_user_sgpr_dispatch_ptr 0
		.amdhsa_user_sgpr_queue_ptr 0
		.amdhsa_user_sgpr_kernarg_segment_ptr 1
		.amdhsa_user_sgpr_dispatch_id 0
		.amdhsa_user_sgpr_flat_scratch_init 0
		.amdhsa_user_sgpr_kernarg_preload_length 0
		.amdhsa_user_sgpr_kernarg_preload_offset 0
		.amdhsa_user_sgpr_private_segment_size 0
		.amdhsa_uses_dynamic_stack 0
		.amdhsa_system_sgpr_private_segment_wavefront_offset 0
		.amdhsa_system_sgpr_workgroup_id_x 1
		.amdhsa_system_sgpr_workgroup_id_y 0
		.amdhsa_system_sgpr_workgroup_id_z 0
		.amdhsa_system_sgpr_workgroup_info 0
		.amdhsa_system_vgpr_workitem_id 0
		.amdhsa_next_free_vgpr 1
		.amdhsa_next_free_sgpr 0
		.amdhsa_accum_offset 4
		.amdhsa_reserve_vcc 0
		.amdhsa_reserve_flat_scratch 0
		.amdhsa_float_round_mode_32 0
		.amdhsa_float_round_mode_16_64 0
		.amdhsa_float_denorm_mode_32 3
		.amdhsa_float_denorm_mode_16_64 3
		.amdhsa_dx10_clamp 1
		.amdhsa_ieee_mode 1
		.amdhsa_fp16_overflow 0
		.amdhsa_tg_split 0
		.amdhsa_exception_fp_ieee_invalid_op 0
		.amdhsa_exception_fp_denorm_src 0
		.amdhsa_exception_fp_ieee_div_zero 0
		.amdhsa_exception_fp_ieee_overflow 0
		.amdhsa_exception_fp_ieee_underflow 0
		.amdhsa_exception_fp_ieee_inexact 0
		.amdhsa_exception_int_div_zero 0
	.end_amdhsa_kernel
	.section	.text._ZN7rocprim17ROCPRIM_400000_NS6detail17trampoline_kernelINS0_14default_configENS1_25partition_config_selectorILNS1_17partition_subalgoE0EtNS0_10empty_typeEbEEZZNS1_14partition_implILS5_0ELb0ES3_jN6thrust23THRUST_200600_302600_NS6detail15normal_iteratorINSA_10device_ptrItEEEEPS6_SG_NS0_5tupleIJNSA_16discard_iteratorINSA_11use_defaultEEESK_EEENSH_IJSG_SG_EEES6_PlJ7is_evenItEEEE10hipError_tPvRmT3_T4_T5_T6_T7_T9_mT8_P12ihipStream_tbDpT10_ENKUlT_T0_E_clISt17integral_constantIbLb1EES18_IbLb0EEEEDaS14_S15_EUlS14_E_NS1_11comp_targetILNS1_3genE8ELNS1_11target_archE1030ELNS1_3gpuE2ELNS1_3repE0EEENS1_30default_config_static_selectorELNS0_4arch9wavefront6targetE1EEEvT1_,"axG",@progbits,_ZN7rocprim17ROCPRIM_400000_NS6detail17trampoline_kernelINS0_14default_configENS1_25partition_config_selectorILNS1_17partition_subalgoE0EtNS0_10empty_typeEbEEZZNS1_14partition_implILS5_0ELb0ES3_jN6thrust23THRUST_200600_302600_NS6detail15normal_iteratorINSA_10device_ptrItEEEEPS6_SG_NS0_5tupleIJNSA_16discard_iteratorINSA_11use_defaultEEESK_EEENSH_IJSG_SG_EEES6_PlJ7is_evenItEEEE10hipError_tPvRmT3_T4_T5_T6_T7_T9_mT8_P12ihipStream_tbDpT10_ENKUlT_T0_E_clISt17integral_constantIbLb1EES18_IbLb0EEEEDaS14_S15_EUlS14_E_NS1_11comp_targetILNS1_3genE8ELNS1_11target_archE1030ELNS1_3gpuE2ELNS1_3repE0EEENS1_30default_config_static_selectorELNS0_4arch9wavefront6targetE1EEEvT1_,comdat
.Lfunc_end2514:
	.size	_ZN7rocprim17ROCPRIM_400000_NS6detail17trampoline_kernelINS0_14default_configENS1_25partition_config_selectorILNS1_17partition_subalgoE0EtNS0_10empty_typeEbEEZZNS1_14partition_implILS5_0ELb0ES3_jN6thrust23THRUST_200600_302600_NS6detail15normal_iteratorINSA_10device_ptrItEEEEPS6_SG_NS0_5tupleIJNSA_16discard_iteratorINSA_11use_defaultEEESK_EEENSH_IJSG_SG_EEES6_PlJ7is_evenItEEEE10hipError_tPvRmT3_T4_T5_T6_T7_T9_mT8_P12ihipStream_tbDpT10_ENKUlT_T0_E_clISt17integral_constantIbLb1EES18_IbLb0EEEEDaS14_S15_EUlS14_E_NS1_11comp_targetILNS1_3genE8ELNS1_11target_archE1030ELNS1_3gpuE2ELNS1_3repE0EEENS1_30default_config_static_selectorELNS0_4arch9wavefront6targetE1EEEvT1_, .Lfunc_end2514-_ZN7rocprim17ROCPRIM_400000_NS6detail17trampoline_kernelINS0_14default_configENS1_25partition_config_selectorILNS1_17partition_subalgoE0EtNS0_10empty_typeEbEEZZNS1_14partition_implILS5_0ELb0ES3_jN6thrust23THRUST_200600_302600_NS6detail15normal_iteratorINSA_10device_ptrItEEEEPS6_SG_NS0_5tupleIJNSA_16discard_iteratorINSA_11use_defaultEEESK_EEENSH_IJSG_SG_EEES6_PlJ7is_evenItEEEE10hipError_tPvRmT3_T4_T5_T6_T7_T9_mT8_P12ihipStream_tbDpT10_ENKUlT_T0_E_clISt17integral_constantIbLb1EES18_IbLb0EEEEDaS14_S15_EUlS14_E_NS1_11comp_targetILNS1_3genE8ELNS1_11target_archE1030ELNS1_3gpuE2ELNS1_3repE0EEENS1_30default_config_static_selectorELNS0_4arch9wavefront6targetE1EEEvT1_
                                        ; -- End function
	.section	.AMDGPU.csdata,"",@progbits
; Kernel info:
; codeLenInByte = 0
; NumSgprs: 4
; NumVgprs: 0
; NumAgprs: 0
; TotalNumVgprs: 0
; ScratchSize: 0
; MemoryBound: 0
; FloatMode: 240
; IeeeMode: 1
; LDSByteSize: 0 bytes/workgroup (compile time only)
; SGPRBlocks: 0
; VGPRBlocks: 0
; NumSGPRsForWavesPerEU: 4
; NumVGPRsForWavesPerEU: 1
; AccumOffset: 4
; Occupancy: 8
; WaveLimiterHint : 0
; COMPUTE_PGM_RSRC2:SCRATCH_EN: 0
; COMPUTE_PGM_RSRC2:USER_SGPR: 6
; COMPUTE_PGM_RSRC2:TRAP_HANDLER: 0
; COMPUTE_PGM_RSRC2:TGID_X_EN: 1
; COMPUTE_PGM_RSRC2:TGID_Y_EN: 0
; COMPUTE_PGM_RSRC2:TGID_Z_EN: 0
; COMPUTE_PGM_RSRC2:TIDIG_COMP_CNT: 0
; COMPUTE_PGM_RSRC3_GFX90A:ACCUM_OFFSET: 0
; COMPUTE_PGM_RSRC3_GFX90A:TG_SPLIT: 0
	.section	.text._ZN7rocprim17ROCPRIM_400000_NS6detail17trampoline_kernelINS0_14default_configENS1_25partition_config_selectorILNS1_17partition_subalgoE0EtNS0_10empty_typeEbEEZZNS1_14partition_implILS5_0ELb0ES3_jN6thrust23THRUST_200600_302600_NS6detail15normal_iteratorINSA_10device_ptrItEEEEPS6_SG_NS0_5tupleIJNSA_16discard_iteratorINSA_11use_defaultEEESK_EEENSH_IJSG_SG_EEES6_PlJ7is_evenItEEEE10hipError_tPvRmT3_T4_T5_T6_T7_T9_mT8_P12ihipStream_tbDpT10_ENKUlT_T0_E_clISt17integral_constantIbLb0EES18_IbLb1EEEEDaS14_S15_EUlS14_E_NS1_11comp_targetILNS1_3genE0ELNS1_11target_archE4294967295ELNS1_3gpuE0ELNS1_3repE0EEENS1_30default_config_static_selectorELNS0_4arch9wavefront6targetE1EEEvT1_,"axG",@progbits,_ZN7rocprim17ROCPRIM_400000_NS6detail17trampoline_kernelINS0_14default_configENS1_25partition_config_selectorILNS1_17partition_subalgoE0EtNS0_10empty_typeEbEEZZNS1_14partition_implILS5_0ELb0ES3_jN6thrust23THRUST_200600_302600_NS6detail15normal_iteratorINSA_10device_ptrItEEEEPS6_SG_NS0_5tupleIJNSA_16discard_iteratorINSA_11use_defaultEEESK_EEENSH_IJSG_SG_EEES6_PlJ7is_evenItEEEE10hipError_tPvRmT3_T4_T5_T6_T7_T9_mT8_P12ihipStream_tbDpT10_ENKUlT_T0_E_clISt17integral_constantIbLb0EES18_IbLb1EEEEDaS14_S15_EUlS14_E_NS1_11comp_targetILNS1_3genE0ELNS1_11target_archE4294967295ELNS1_3gpuE0ELNS1_3repE0EEENS1_30default_config_static_selectorELNS0_4arch9wavefront6targetE1EEEvT1_,comdat
	.protected	_ZN7rocprim17ROCPRIM_400000_NS6detail17trampoline_kernelINS0_14default_configENS1_25partition_config_selectorILNS1_17partition_subalgoE0EtNS0_10empty_typeEbEEZZNS1_14partition_implILS5_0ELb0ES3_jN6thrust23THRUST_200600_302600_NS6detail15normal_iteratorINSA_10device_ptrItEEEEPS6_SG_NS0_5tupleIJNSA_16discard_iteratorINSA_11use_defaultEEESK_EEENSH_IJSG_SG_EEES6_PlJ7is_evenItEEEE10hipError_tPvRmT3_T4_T5_T6_T7_T9_mT8_P12ihipStream_tbDpT10_ENKUlT_T0_E_clISt17integral_constantIbLb0EES18_IbLb1EEEEDaS14_S15_EUlS14_E_NS1_11comp_targetILNS1_3genE0ELNS1_11target_archE4294967295ELNS1_3gpuE0ELNS1_3repE0EEENS1_30default_config_static_selectorELNS0_4arch9wavefront6targetE1EEEvT1_ ; -- Begin function _ZN7rocprim17ROCPRIM_400000_NS6detail17trampoline_kernelINS0_14default_configENS1_25partition_config_selectorILNS1_17partition_subalgoE0EtNS0_10empty_typeEbEEZZNS1_14partition_implILS5_0ELb0ES3_jN6thrust23THRUST_200600_302600_NS6detail15normal_iteratorINSA_10device_ptrItEEEEPS6_SG_NS0_5tupleIJNSA_16discard_iteratorINSA_11use_defaultEEESK_EEENSH_IJSG_SG_EEES6_PlJ7is_evenItEEEE10hipError_tPvRmT3_T4_T5_T6_T7_T9_mT8_P12ihipStream_tbDpT10_ENKUlT_T0_E_clISt17integral_constantIbLb0EES18_IbLb1EEEEDaS14_S15_EUlS14_E_NS1_11comp_targetILNS1_3genE0ELNS1_11target_archE4294967295ELNS1_3gpuE0ELNS1_3repE0EEENS1_30default_config_static_selectorELNS0_4arch9wavefront6targetE1EEEvT1_
	.globl	_ZN7rocprim17ROCPRIM_400000_NS6detail17trampoline_kernelINS0_14default_configENS1_25partition_config_selectorILNS1_17partition_subalgoE0EtNS0_10empty_typeEbEEZZNS1_14partition_implILS5_0ELb0ES3_jN6thrust23THRUST_200600_302600_NS6detail15normal_iteratorINSA_10device_ptrItEEEEPS6_SG_NS0_5tupleIJNSA_16discard_iteratorINSA_11use_defaultEEESK_EEENSH_IJSG_SG_EEES6_PlJ7is_evenItEEEE10hipError_tPvRmT3_T4_T5_T6_T7_T9_mT8_P12ihipStream_tbDpT10_ENKUlT_T0_E_clISt17integral_constantIbLb0EES18_IbLb1EEEEDaS14_S15_EUlS14_E_NS1_11comp_targetILNS1_3genE0ELNS1_11target_archE4294967295ELNS1_3gpuE0ELNS1_3repE0EEENS1_30default_config_static_selectorELNS0_4arch9wavefront6targetE1EEEvT1_
	.p2align	8
	.type	_ZN7rocprim17ROCPRIM_400000_NS6detail17trampoline_kernelINS0_14default_configENS1_25partition_config_selectorILNS1_17partition_subalgoE0EtNS0_10empty_typeEbEEZZNS1_14partition_implILS5_0ELb0ES3_jN6thrust23THRUST_200600_302600_NS6detail15normal_iteratorINSA_10device_ptrItEEEEPS6_SG_NS0_5tupleIJNSA_16discard_iteratorINSA_11use_defaultEEESK_EEENSH_IJSG_SG_EEES6_PlJ7is_evenItEEEE10hipError_tPvRmT3_T4_T5_T6_T7_T9_mT8_P12ihipStream_tbDpT10_ENKUlT_T0_E_clISt17integral_constantIbLb0EES18_IbLb1EEEEDaS14_S15_EUlS14_E_NS1_11comp_targetILNS1_3genE0ELNS1_11target_archE4294967295ELNS1_3gpuE0ELNS1_3repE0EEENS1_30default_config_static_selectorELNS0_4arch9wavefront6targetE1EEEvT1_,@function
_ZN7rocprim17ROCPRIM_400000_NS6detail17trampoline_kernelINS0_14default_configENS1_25partition_config_selectorILNS1_17partition_subalgoE0EtNS0_10empty_typeEbEEZZNS1_14partition_implILS5_0ELb0ES3_jN6thrust23THRUST_200600_302600_NS6detail15normal_iteratorINSA_10device_ptrItEEEEPS6_SG_NS0_5tupleIJNSA_16discard_iteratorINSA_11use_defaultEEESK_EEENSH_IJSG_SG_EEES6_PlJ7is_evenItEEEE10hipError_tPvRmT3_T4_T5_T6_T7_T9_mT8_P12ihipStream_tbDpT10_ENKUlT_T0_E_clISt17integral_constantIbLb0EES18_IbLb1EEEEDaS14_S15_EUlS14_E_NS1_11comp_targetILNS1_3genE0ELNS1_11target_archE4294967295ELNS1_3gpuE0ELNS1_3repE0EEENS1_30default_config_static_selectorELNS0_4arch9wavefront6targetE1EEEvT1_: ; @_ZN7rocprim17ROCPRIM_400000_NS6detail17trampoline_kernelINS0_14default_configENS1_25partition_config_selectorILNS1_17partition_subalgoE0EtNS0_10empty_typeEbEEZZNS1_14partition_implILS5_0ELb0ES3_jN6thrust23THRUST_200600_302600_NS6detail15normal_iteratorINSA_10device_ptrItEEEEPS6_SG_NS0_5tupleIJNSA_16discard_iteratorINSA_11use_defaultEEESK_EEENSH_IJSG_SG_EEES6_PlJ7is_evenItEEEE10hipError_tPvRmT3_T4_T5_T6_T7_T9_mT8_P12ihipStream_tbDpT10_ENKUlT_T0_E_clISt17integral_constantIbLb0EES18_IbLb1EEEEDaS14_S15_EUlS14_E_NS1_11comp_targetILNS1_3genE0ELNS1_11target_archE4294967295ELNS1_3gpuE0ELNS1_3repE0EEENS1_30default_config_static_selectorELNS0_4arch9wavefront6targetE1EEEvT1_
; %bb.0:
	.section	.rodata,"a",@progbits
	.p2align	6, 0x0
	.amdhsa_kernel _ZN7rocprim17ROCPRIM_400000_NS6detail17trampoline_kernelINS0_14default_configENS1_25partition_config_selectorILNS1_17partition_subalgoE0EtNS0_10empty_typeEbEEZZNS1_14partition_implILS5_0ELb0ES3_jN6thrust23THRUST_200600_302600_NS6detail15normal_iteratorINSA_10device_ptrItEEEEPS6_SG_NS0_5tupleIJNSA_16discard_iteratorINSA_11use_defaultEEESK_EEENSH_IJSG_SG_EEES6_PlJ7is_evenItEEEE10hipError_tPvRmT3_T4_T5_T6_T7_T9_mT8_P12ihipStream_tbDpT10_ENKUlT_T0_E_clISt17integral_constantIbLb0EES18_IbLb1EEEEDaS14_S15_EUlS14_E_NS1_11comp_targetILNS1_3genE0ELNS1_11target_archE4294967295ELNS1_3gpuE0ELNS1_3repE0EEENS1_30default_config_static_selectorELNS0_4arch9wavefront6targetE1EEEvT1_
		.amdhsa_group_segment_fixed_size 0
		.amdhsa_private_segment_fixed_size 0
		.amdhsa_kernarg_size 152
		.amdhsa_user_sgpr_count 6
		.amdhsa_user_sgpr_private_segment_buffer 1
		.amdhsa_user_sgpr_dispatch_ptr 0
		.amdhsa_user_sgpr_queue_ptr 0
		.amdhsa_user_sgpr_kernarg_segment_ptr 1
		.amdhsa_user_sgpr_dispatch_id 0
		.amdhsa_user_sgpr_flat_scratch_init 0
		.amdhsa_user_sgpr_kernarg_preload_length 0
		.amdhsa_user_sgpr_kernarg_preload_offset 0
		.amdhsa_user_sgpr_private_segment_size 0
		.amdhsa_uses_dynamic_stack 0
		.amdhsa_system_sgpr_private_segment_wavefront_offset 0
		.amdhsa_system_sgpr_workgroup_id_x 1
		.amdhsa_system_sgpr_workgroup_id_y 0
		.amdhsa_system_sgpr_workgroup_id_z 0
		.amdhsa_system_sgpr_workgroup_info 0
		.amdhsa_system_vgpr_workitem_id 0
		.amdhsa_next_free_vgpr 1
		.amdhsa_next_free_sgpr 0
		.amdhsa_accum_offset 4
		.amdhsa_reserve_vcc 0
		.amdhsa_reserve_flat_scratch 0
		.amdhsa_float_round_mode_32 0
		.amdhsa_float_round_mode_16_64 0
		.amdhsa_float_denorm_mode_32 3
		.amdhsa_float_denorm_mode_16_64 3
		.amdhsa_dx10_clamp 1
		.amdhsa_ieee_mode 1
		.amdhsa_fp16_overflow 0
		.amdhsa_tg_split 0
		.amdhsa_exception_fp_ieee_invalid_op 0
		.amdhsa_exception_fp_denorm_src 0
		.amdhsa_exception_fp_ieee_div_zero 0
		.amdhsa_exception_fp_ieee_overflow 0
		.amdhsa_exception_fp_ieee_underflow 0
		.amdhsa_exception_fp_ieee_inexact 0
		.amdhsa_exception_int_div_zero 0
	.end_amdhsa_kernel
	.section	.text._ZN7rocprim17ROCPRIM_400000_NS6detail17trampoline_kernelINS0_14default_configENS1_25partition_config_selectorILNS1_17partition_subalgoE0EtNS0_10empty_typeEbEEZZNS1_14partition_implILS5_0ELb0ES3_jN6thrust23THRUST_200600_302600_NS6detail15normal_iteratorINSA_10device_ptrItEEEEPS6_SG_NS0_5tupleIJNSA_16discard_iteratorINSA_11use_defaultEEESK_EEENSH_IJSG_SG_EEES6_PlJ7is_evenItEEEE10hipError_tPvRmT3_T4_T5_T6_T7_T9_mT8_P12ihipStream_tbDpT10_ENKUlT_T0_E_clISt17integral_constantIbLb0EES18_IbLb1EEEEDaS14_S15_EUlS14_E_NS1_11comp_targetILNS1_3genE0ELNS1_11target_archE4294967295ELNS1_3gpuE0ELNS1_3repE0EEENS1_30default_config_static_selectorELNS0_4arch9wavefront6targetE1EEEvT1_,"axG",@progbits,_ZN7rocprim17ROCPRIM_400000_NS6detail17trampoline_kernelINS0_14default_configENS1_25partition_config_selectorILNS1_17partition_subalgoE0EtNS0_10empty_typeEbEEZZNS1_14partition_implILS5_0ELb0ES3_jN6thrust23THRUST_200600_302600_NS6detail15normal_iteratorINSA_10device_ptrItEEEEPS6_SG_NS0_5tupleIJNSA_16discard_iteratorINSA_11use_defaultEEESK_EEENSH_IJSG_SG_EEES6_PlJ7is_evenItEEEE10hipError_tPvRmT3_T4_T5_T6_T7_T9_mT8_P12ihipStream_tbDpT10_ENKUlT_T0_E_clISt17integral_constantIbLb0EES18_IbLb1EEEEDaS14_S15_EUlS14_E_NS1_11comp_targetILNS1_3genE0ELNS1_11target_archE4294967295ELNS1_3gpuE0ELNS1_3repE0EEENS1_30default_config_static_selectorELNS0_4arch9wavefront6targetE1EEEvT1_,comdat
.Lfunc_end2515:
	.size	_ZN7rocprim17ROCPRIM_400000_NS6detail17trampoline_kernelINS0_14default_configENS1_25partition_config_selectorILNS1_17partition_subalgoE0EtNS0_10empty_typeEbEEZZNS1_14partition_implILS5_0ELb0ES3_jN6thrust23THRUST_200600_302600_NS6detail15normal_iteratorINSA_10device_ptrItEEEEPS6_SG_NS0_5tupleIJNSA_16discard_iteratorINSA_11use_defaultEEESK_EEENSH_IJSG_SG_EEES6_PlJ7is_evenItEEEE10hipError_tPvRmT3_T4_T5_T6_T7_T9_mT8_P12ihipStream_tbDpT10_ENKUlT_T0_E_clISt17integral_constantIbLb0EES18_IbLb1EEEEDaS14_S15_EUlS14_E_NS1_11comp_targetILNS1_3genE0ELNS1_11target_archE4294967295ELNS1_3gpuE0ELNS1_3repE0EEENS1_30default_config_static_selectorELNS0_4arch9wavefront6targetE1EEEvT1_, .Lfunc_end2515-_ZN7rocprim17ROCPRIM_400000_NS6detail17trampoline_kernelINS0_14default_configENS1_25partition_config_selectorILNS1_17partition_subalgoE0EtNS0_10empty_typeEbEEZZNS1_14partition_implILS5_0ELb0ES3_jN6thrust23THRUST_200600_302600_NS6detail15normal_iteratorINSA_10device_ptrItEEEEPS6_SG_NS0_5tupleIJNSA_16discard_iteratorINSA_11use_defaultEEESK_EEENSH_IJSG_SG_EEES6_PlJ7is_evenItEEEE10hipError_tPvRmT3_T4_T5_T6_T7_T9_mT8_P12ihipStream_tbDpT10_ENKUlT_T0_E_clISt17integral_constantIbLb0EES18_IbLb1EEEEDaS14_S15_EUlS14_E_NS1_11comp_targetILNS1_3genE0ELNS1_11target_archE4294967295ELNS1_3gpuE0ELNS1_3repE0EEENS1_30default_config_static_selectorELNS0_4arch9wavefront6targetE1EEEvT1_
                                        ; -- End function
	.section	.AMDGPU.csdata,"",@progbits
; Kernel info:
; codeLenInByte = 0
; NumSgprs: 4
; NumVgprs: 0
; NumAgprs: 0
; TotalNumVgprs: 0
; ScratchSize: 0
; MemoryBound: 0
; FloatMode: 240
; IeeeMode: 1
; LDSByteSize: 0 bytes/workgroup (compile time only)
; SGPRBlocks: 0
; VGPRBlocks: 0
; NumSGPRsForWavesPerEU: 4
; NumVGPRsForWavesPerEU: 1
; AccumOffset: 4
; Occupancy: 8
; WaveLimiterHint : 0
; COMPUTE_PGM_RSRC2:SCRATCH_EN: 0
; COMPUTE_PGM_RSRC2:USER_SGPR: 6
; COMPUTE_PGM_RSRC2:TRAP_HANDLER: 0
; COMPUTE_PGM_RSRC2:TGID_X_EN: 1
; COMPUTE_PGM_RSRC2:TGID_Y_EN: 0
; COMPUTE_PGM_RSRC2:TGID_Z_EN: 0
; COMPUTE_PGM_RSRC2:TIDIG_COMP_CNT: 0
; COMPUTE_PGM_RSRC3_GFX90A:ACCUM_OFFSET: 0
; COMPUTE_PGM_RSRC3_GFX90A:TG_SPLIT: 0
	.section	.text._ZN7rocprim17ROCPRIM_400000_NS6detail17trampoline_kernelINS0_14default_configENS1_25partition_config_selectorILNS1_17partition_subalgoE0EtNS0_10empty_typeEbEEZZNS1_14partition_implILS5_0ELb0ES3_jN6thrust23THRUST_200600_302600_NS6detail15normal_iteratorINSA_10device_ptrItEEEEPS6_SG_NS0_5tupleIJNSA_16discard_iteratorINSA_11use_defaultEEESK_EEENSH_IJSG_SG_EEES6_PlJ7is_evenItEEEE10hipError_tPvRmT3_T4_T5_T6_T7_T9_mT8_P12ihipStream_tbDpT10_ENKUlT_T0_E_clISt17integral_constantIbLb0EES18_IbLb1EEEEDaS14_S15_EUlS14_E_NS1_11comp_targetILNS1_3genE5ELNS1_11target_archE942ELNS1_3gpuE9ELNS1_3repE0EEENS1_30default_config_static_selectorELNS0_4arch9wavefront6targetE1EEEvT1_,"axG",@progbits,_ZN7rocprim17ROCPRIM_400000_NS6detail17trampoline_kernelINS0_14default_configENS1_25partition_config_selectorILNS1_17partition_subalgoE0EtNS0_10empty_typeEbEEZZNS1_14partition_implILS5_0ELb0ES3_jN6thrust23THRUST_200600_302600_NS6detail15normal_iteratorINSA_10device_ptrItEEEEPS6_SG_NS0_5tupleIJNSA_16discard_iteratorINSA_11use_defaultEEESK_EEENSH_IJSG_SG_EEES6_PlJ7is_evenItEEEE10hipError_tPvRmT3_T4_T5_T6_T7_T9_mT8_P12ihipStream_tbDpT10_ENKUlT_T0_E_clISt17integral_constantIbLb0EES18_IbLb1EEEEDaS14_S15_EUlS14_E_NS1_11comp_targetILNS1_3genE5ELNS1_11target_archE942ELNS1_3gpuE9ELNS1_3repE0EEENS1_30default_config_static_selectorELNS0_4arch9wavefront6targetE1EEEvT1_,comdat
	.protected	_ZN7rocprim17ROCPRIM_400000_NS6detail17trampoline_kernelINS0_14default_configENS1_25partition_config_selectorILNS1_17partition_subalgoE0EtNS0_10empty_typeEbEEZZNS1_14partition_implILS5_0ELb0ES3_jN6thrust23THRUST_200600_302600_NS6detail15normal_iteratorINSA_10device_ptrItEEEEPS6_SG_NS0_5tupleIJNSA_16discard_iteratorINSA_11use_defaultEEESK_EEENSH_IJSG_SG_EEES6_PlJ7is_evenItEEEE10hipError_tPvRmT3_T4_T5_T6_T7_T9_mT8_P12ihipStream_tbDpT10_ENKUlT_T0_E_clISt17integral_constantIbLb0EES18_IbLb1EEEEDaS14_S15_EUlS14_E_NS1_11comp_targetILNS1_3genE5ELNS1_11target_archE942ELNS1_3gpuE9ELNS1_3repE0EEENS1_30default_config_static_selectorELNS0_4arch9wavefront6targetE1EEEvT1_ ; -- Begin function _ZN7rocprim17ROCPRIM_400000_NS6detail17trampoline_kernelINS0_14default_configENS1_25partition_config_selectorILNS1_17partition_subalgoE0EtNS0_10empty_typeEbEEZZNS1_14partition_implILS5_0ELb0ES3_jN6thrust23THRUST_200600_302600_NS6detail15normal_iteratorINSA_10device_ptrItEEEEPS6_SG_NS0_5tupleIJNSA_16discard_iteratorINSA_11use_defaultEEESK_EEENSH_IJSG_SG_EEES6_PlJ7is_evenItEEEE10hipError_tPvRmT3_T4_T5_T6_T7_T9_mT8_P12ihipStream_tbDpT10_ENKUlT_T0_E_clISt17integral_constantIbLb0EES18_IbLb1EEEEDaS14_S15_EUlS14_E_NS1_11comp_targetILNS1_3genE5ELNS1_11target_archE942ELNS1_3gpuE9ELNS1_3repE0EEENS1_30default_config_static_selectorELNS0_4arch9wavefront6targetE1EEEvT1_
	.globl	_ZN7rocprim17ROCPRIM_400000_NS6detail17trampoline_kernelINS0_14default_configENS1_25partition_config_selectorILNS1_17partition_subalgoE0EtNS0_10empty_typeEbEEZZNS1_14partition_implILS5_0ELb0ES3_jN6thrust23THRUST_200600_302600_NS6detail15normal_iteratorINSA_10device_ptrItEEEEPS6_SG_NS0_5tupleIJNSA_16discard_iteratorINSA_11use_defaultEEESK_EEENSH_IJSG_SG_EEES6_PlJ7is_evenItEEEE10hipError_tPvRmT3_T4_T5_T6_T7_T9_mT8_P12ihipStream_tbDpT10_ENKUlT_T0_E_clISt17integral_constantIbLb0EES18_IbLb1EEEEDaS14_S15_EUlS14_E_NS1_11comp_targetILNS1_3genE5ELNS1_11target_archE942ELNS1_3gpuE9ELNS1_3repE0EEENS1_30default_config_static_selectorELNS0_4arch9wavefront6targetE1EEEvT1_
	.p2align	8
	.type	_ZN7rocprim17ROCPRIM_400000_NS6detail17trampoline_kernelINS0_14default_configENS1_25partition_config_selectorILNS1_17partition_subalgoE0EtNS0_10empty_typeEbEEZZNS1_14partition_implILS5_0ELb0ES3_jN6thrust23THRUST_200600_302600_NS6detail15normal_iteratorINSA_10device_ptrItEEEEPS6_SG_NS0_5tupleIJNSA_16discard_iteratorINSA_11use_defaultEEESK_EEENSH_IJSG_SG_EEES6_PlJ7is_evenItEEEE10hipError_tPvRmT3_T4_T5_T6_T7_T9_mT8_P12ihipStream_tbDpT10_ENKUlT_T0_E_clISt17integral_constantIbLb0EES18_IbLb1EEEEDaS14_S15_EUlS14_E_NS1_11comp_targetILNS1_3genE5ELNS1_11target_archE942ELNS1_3gpuE9ELNS1_3repE0EEENS1_30default_config_static_selectorELNS0_4arch9wavefront6targetE1EEEvT1_,@function
_ZN7rocprim17ROCPRIM_400000_NS6detail17trampoline_kernelINS0_14default_configENS1_25partition_config_selectorILNS1_17partition_subalgoE0EtNS0_10empty_typeEbEEZZNS1_14partition_implILS5_0ELb0ES3_jN6thrust23THRUST_200600_302600_NS6detail15normal_iteratorINSA_10device_ptrItEEEEPS6_SG_NS0_5tupleIJNSA_16discard_iteratorINSA_11use_defaultEEESK_EEENSH_IJSG_SG_EEES6_PlJ7is_evenItEEEE10hipError_tPvRmT3_T4_T5_T6_T7_T9_mT8_P12ihipStream_tbDpT10_ENKUlT_T0_E_clISt17integral_constantIbLb0EES18_IbLb1EEEEDaS14_S15_EUlS14_E_NS1_11comp_targetILNS1_3genE5ELNS1_11target_archE942ELNS1_3gpuE9ELNS1_3repE0EEENS1_30default_config_static_selectorELNS0_4arch9wavefront6targetE1EEEvT1_: ; @_ZN7rocprim17ROCPRIM_400000_NS6detail17trampoline_kernelINS0_14default_configENS1_25partition_config_selectorILNS1_17partition_subalgoE0EtNS0_10empty_typeEbEEZZNS1_14partition_implILS5_0ELb0ES3_jN6thrust23THRUST_200600_302600_NS6detail15normal_iteratorINSA_10device_ptrItEEEEPS6_SG_NS0_5tupleIJNSA_16discard_iteratorINSA_11use_defaultEEESK_EEENSH_IJSG_SG_EEES6_PlJ7is_evenItEEEE10hipError_tPvRmT3_T4_T5_T6_T7_T9_mT8_P12ihipStream_tbDpT10_ENKUlT_T0_E_clISt17integral_constantIbLb0EES18_IbLb1EEEEDaS14_S15_EUlS14_E_NS1_11comp_targetILNS1_3genE5ELNS1_11target_archE942ELNS1_3gpuE9ELNS1_3repE0EEENS1_30default_config_static_selectorELNS0_4arch9wavefront6targetE1EEEvT1_
; %bb.0:
	.section	.rodata,"a",@progbits
	.p2align	6, 0x0
	.amdhsa_kernel _ZN7rocprim17ROCPRIM_400000_NS6detail17trampoline_kernelINS0_14default_configENS1_25partition_config_selectorILNS1_17partition_subalgoE0EtNS0_10empty_typeEbEEZZNS1_14partition_implILS5_0ELb0ES3_jN6thrust23THRUST_200600_302600_NS6detail15normal_iteratorINSA_10device_ptrItEEEEPS6_SG_NS0_5tupleIJNSA_16discard_iteratorINSA_11use_defaultEEESK_EEENSH_IJSG_SG_EEES6_PlJ7is_evenItEEEE10hipError_tPvRmT3_T4_T5_T6_T7_T9_mT8_P12ihipStream_tbDpT10_ENKUlT_T0_E_clISt17integral_constantIbLb0EES18_IbLb1EEEEDaS14_S15_EUlS14_E_NS1_11comp_targetILNS1_3genE5ELNS1_11target_archE942ELNS1_3gpuE9ELNS1_3repE0EEENS1_30default_config_static_selectorELNS0_4arch9wavefront6targetE1EEEvT1_
		.amdhsa_group_segment_fixed_size 0
		.amdhsa_private_segment_fixed_size 0
		.amdhsa_kernarg_size 152
		.amdhsa_user_sgpr_count 6
		.amdhsa_user_sgpr_private_segment_buffer 1
		.amdhsa_user_sgpr_dispatch_ptr 0
		.amdhsa_user_sgpr_queue_ptr 0
		.amdhsa_user_sgpr_kernarg_segment_ptr 1
		.amdhsa_user_sgpr_dispatch_id 0
		.amdhsa_user_sgpr_flat_scratch_init 0
		.amdhsa_user_sgpr_kernarg_preload_length 0
		.amdhsa_user_sgpr_kernarg_preload_offset 0
		.amdhsa_user_sgpr_private_segment_size 0
		.amdhsa_uses_dynamic_stack 0
		.amdhsa_system_sgpr_private_segment_wavefront_offset 0
		.amdhsa_system_sgpr_workgroup_id_x 1
		.amdhsa_system_sgpr_workgroup_id_y 0
		.amdhsa_system_sgpr_workgroup_id_z 0
		.amdhsa_system_sgpr_workgroup_info 0
		.amdhsa_system_vgpr_workitem_id 0
		.amdhsa_next_free_vgpr 1
		.amdhsa_next_free_sgpr 0
		.amdhsa_accum_offset 4
		.amdhsa_reserve_vcc 0
		.amdhsa_reserve_flat_scratch 0
		.amdhsa_float_round_mode_32 0
		.amdhsa_float_round_mode_16_64 0
		.amdhsa_float_denorm_mode_32 3
		.amdhsa_float_denorm_mode_16_64 3
		.amdhsa_dx10_clamp 1
		.amdhsa_ieee_mode 1
		.amdhsa_fp16_overflow 0
		.amdhsa_tg_split 0
		.amdhsa_exception_fp_ieee_invalid_op 0
		.amdhsa_exception_fp_denorm_src 0
		.amdhsa_exception_fp_ieee_div_zero 0
		.amdhsa_exception_fp_ieee_overflow 0
		.amdhsa_exception_fp_ieee_underflow 0
		.amdhsa_exception_fp_ieee_inexact 0
		.amdhsa_exception_int_div_zero 0
	.end_amdhsa_kernel
	.section	.text._ZN7rocprim17ROCPRIM_400000_NS6detail17trampoline_kernelINS0_14default_configENS1_25partition_config_selectorILNS1_17partition_subalgoE0EtNS0_10empty_typeEbEEZZNS1_14partition_implILS5_0ELb0ES3_jN6thrust23THRUST_200600_302600_NS6detail15normal_iteratorINSA_10device_ptrItEEEEPS6_SG_NS0_5tupleIJNSA_16discard_iteratorINSA_11use_defaultEEESK_EEENSH_IJSG_SG_EEES6_PlJ7is_evenItEEEE10hipError_tPvRmT3_T4_T5_T6_T7_T9_mT8_P12ihipStream_tbDpT10_ENKUlT_T0_E_clISt17integral_constantIbLb0EES18_IbLb1EEEEDaS14_S15_EUlS14_E_NS1_11comp_targetILNS1_3genE5ELNS1_11target_archE942ELNS1_3gpuE9ELNS1_3repE0EEENS1_30default_config_static_selectorELNS0_4arch9wavefront6targetE1EEEvT1_,"axG",@progbits,_ZN7rocprim17ROCPRIM_400000_NS6detail17trampoline_kernelINS0_14default_configENS1_25partition_config_selectorILNS1_17partition_subalgoE0EtNS0_10empty_typeEbEEZZNS1_14partition_implILS5_0ELb0ES3_jN6thrust23THRUST_200600_302600_NS6detail15normal_iteratorINSA_10device_ptrItEEEEPS6_SG_NS0_5tupleIJNSA_16discard_iteratorINSA_11use_defaultEEESK_EEENSH_IJSG_SG_EEES6_PlJ7is_evenItEEEE10hipError_tPvRmT3_T4_T5_T6_T7_T9_mT8_P12ihipStream_tbDpT10_ENKUlT_T0_E_clISt17integral_constantIbLb0EES18_IbLb1EEEEDaS14_S15_EUlS14_E_NS1_11comp_targetILNS1_3genE5ELNS1_11target_archE942ELNS1_3gpuE9ELNS1_3repE0EEENS1_30default_config_static_selectorELNS0_4arch9wavefront6targetE1EEEvT1_,comdat
.Lfunc_end2516:
	.size	_ZN7rocprim17ROCPRIM_400000_NS6detail17trampoline_kernelINS0_14default_configENS1_25partition_config_selectorILNS1_17partition_subalgoE0EtNS0_10empty_typeEbEEZZNS1_14partition_implILS5_0ELb0ES3_jN6thrust23THRUST_200600_302600_NS6detail15normal_iteratorINSA_10device_ptrItEEEEPS6_SG_NS0_5tupleIJNSA_16discard_iteratorINSA_11use_defaultEEESK_EEENSH_IJSG_SG_EEES6_PlJ7is_evenItEEEE10hipError_tPvRmT3_T4_T5_T6_T7_T9_mT8_P12ihipStream_tbDpT10_ENKUlT_T0_E_clISt17integral_constantIbLb0EES18_IbLb1EEEEDaS14_S15_EUlS14_E_NS1_11comp_targetILNS1_3genE5ELNS1_11target_archE942ELNS1_3gpuE9ELNS1_3repE0EEENS1_30default_config_static_selectorELNS0_4arch9wavefront6targetE1EEEvT1_, .Lfunc_end2516-_ZN7rocprim17ROCPRIM_400000_NS6detail17trampoline_kernelINS0_14default_configENS1_25partition_config_selectorILNS1_17partition_subalgoE0EtNS0_10empty_typeEbEEZZNS1_14partition_implILS5_0ELb0ES3_jN6thrust23THRUST_200600_302600_NS6detail15normal_iteratorINSA_10device_ptrItEEEEPS6_SG_NS0_5tupleIJNSA_16discard_iteratorINSA_11use_defaultEEESK_EEENSH_IJSG_SG_EEES6_PlJ7is_evenItEEEE10hipError_tPvRmT3_T4_T5_T6_T7_T9_mT8_P12ihipStream_tbDpT10_ENKUlT_T0_E_clISt17integral_constantIbLb0EES18_IbLb1EEEEDaS14_S15_EUlS14_E_NS1_11comp_targetILNS1_3genE5ELNS1_11target_archE942ELNS1_3gpuE9ELNS1_3repE0EEENS1_30default_config_static_selectorELNS0_4arch9wavefront6targetE1EEEvT1_
                                        ; -- End function
	.section	.AMDGPU.csdata,"",@progbits
; Kernel info:
; codeLenInByte = 0
; NumSgprs: 4
; NumVgprs: 0
; NumAgprs: 0
; TotalNumVgprs: 0
; ScratchSize: 0
; MemoryBound: 0
; FloatMode: 240
; IeeeMode: 1
; LDSByteSize: 0 bytes/workgroup (compile time only)
; SGPRBlocks: 0
; VGPRBlocks: 0
; NumSGPRsForWavesPerEU: 4
; NumVGPRsForWavesPerEU: 1
; AccumOffset: 4
; Occupancy: 8
; WaveLimiterHint : 0
; COMPUTE_PGM_RSRC2:SCRATCH_EN: 0
; COMPUTE_PGM_RSRC2:USER_SGPR: 6
; COMPUTE_PGM_RSRC2:TRAP_HANDLER: 0
; COMPUTE_PGM_RSRC2:TGID_X_EN: 1
; COMPUTE_PGM_RSRC2:TGID_Y_EN: 0
; COMPUTE_PGM_RSRC2:TGID_Z_EN: 0
; COMPUTE_PGM_RSRC2:TIDIG_COMP_CNT: 0
; COMPUTE_PGM_RSRC3_GFX90A:ACCUM_OFFSET: 0
; COMPUTE_PGM_RSRC3_GFX90A:TG_SPLIT: 0
	.section	.text._ZN7rocprim17ROCPRIM_400000_NS6detail17trampoline_kernelINS0_14default_configENS1_25partition_config_selectorILNS1_17partition_subalgoE0EtNS0_10empty_typeEbEEZZNS1_14partition_implILS5_0ELb0ES3_jN6thrust23THRUST_200600_302600_NS6detail15normal_iteratorINSA_10device_ptrItEEEEPS6_SG_NS0_5tupleIJNSA_16discard_iteratorINSA_11use_defaultEEESK_EEENSH_IJSG_SG_EEES6_PlJ7is_evenItEEEE10hipError_tPvRmT3_T4_T5_T6_T7_T9_mT8_P12ihipStream_tbDpT10_ENKUlT_T0_E_clISt17integral_constantIbLb0EES18_IbLb1EEEEDaS14_S15_EUlS14_E_NS1_11comp_targetILNS1_3genE4ELNS1_11target_archE910ELNS1_3gpuE8ELNS1_3repE0EEENS1_30default_config_static_selectorELNS0_4arch9wavefront6targetE1EEEvT1_,"axG",@progbits,_ZN7rocprim17ROCPRIM_400000_NS6detail17trampoline_kernelINS0_14default_configENS1_25partition_config_selectorILNS1_17partition_subalgoE0EtNS0_10empty_typeEbEEZZNS1_14partition_implILS5_0ELb0ES3_jN6thrust23THRUST_200600_302600_NS6detail15normal_iteratorINSA_10device_ptrItEEEEPS6_SG_NS0_5tupleIJNSA_16discard_iteratorINSA_11use_defaultEEESK_EEENSH_IJSG_SG_EEES6_PlJ7is_evenItEEEE10hipError_tPvRmT3_T4_T5_T6_T7_T9_mT8_P12ihipStream_tbDpT10_ENKUlT_T0_E_clISt17integral_constantIbLb0EES18_IbLb1EEEEDaS14_S15_EUlS14_E_NS1_11comp_targetILNS1_3genE4ELNS1_11target_archE910ELNS1_3gpuE8ELNS1_3repE0EEENS1_30default_config_static_selectorELNS0_4arch9wavefront6targetE1EEEvT1_,comdat
	.protected	_ZN7rocprim17ROCPRIM_400000_NS6detail17trampoline_kernelINS0_14default_configENS1_25partition_config_selectorILNS1_17partition_subalgoE0EtNS0_10empty_typeEbEEZZNS1_14partition_implILS5_0ELb0ES3_jN6thrust23THRUST_200600_302600_NS6detail15normal_iteratorINSA_10device_ptrItEEEEPS6_SG_NS0_5tupleIJNSA_16discard_iteratorINSA_11use_defaultEEESK_EEENSH_IJSG_SG_EEES6_PlJ7is_evenItEEEE10hipError_tPvRmT3_T4_T5_T6_T7_T9_mT8_P12ihipStream_tbDpT10_ENKUlT_T0_E_clISt17integral_constantIbLb0EES18_IbLb1EEEEDaS14_S15_EUlS14_E_NS1_11comp_targetILNS1_3genE4ELNS1_11target_archE910ELNS1_3gpuE8ELNS1_3repE0EEENS1_30default_config_static_selectorELNS0_4arch9wavefront6targetE1EEEvT1_ ; -- Begin function _ZN7rocprim17ROCPRIM_400000_NS6detail17trampoline_kernelINS0_14default_configENS1_25partition_config_selectorILNS1_17partition_subalgoE0EtNS0_10empty_typeEbEEZZNS1_14partition_implILS5_0ELb0ES3_jN6thrust23THRUST_200600_302600_NS6detail15normal_iteratorINSA_10device_ptrItEEEEPS6_SG_NS0_5tupleIJNSA_16discard_iteratorINSA_11use_defaultEEESK_EEENSH_IJSG_SG_EEES6_PlJ7is_evenItEEEE10hipError_tPvRmT3_T4_T5_T6_T7_T9_mT8_P12ihipStream_tbDpT10_ENKUlT_T0_E_clISt17integral_constantIbLb0EES18_IbLb1EEEEDaS14_S15_EUlS14_E_NS1_11comp_targetILNS1_3genE4ELNS1_11target_archE910ELNS1_3gpuE8ELNS1_3repE0EEENS1_30default_config_static_selectorELNS0_4arch9wavefront6targetE1EEEvT1_
	.globl	_ZN7rocprim17ROCPRIM_400000_NS6detail17trampoline_kernelINS0_14default_configENS1_25partition_config_selectorILNS1_17partition_subalgoE0EtNS0_10empty_typeEbEEZZNS1_14partition_implILS5_0ELb0ES3_jN6thrust23THRUST_200600_302600_NS6detail15normal_iteratorINSA_10device_ptrItEEEEPS6_SG_NS0_5tupleIJNSA_16discard_iteratorINSA_11use_defaultEEESK_EEENSH_IJSG_SG_EEES6_PlJ7is_evenItEEEE10hipError_tPvRmT3_T4_T5_T6_T7_T9_mT8_P12ihipStream_tbDpT10_ENKUlT_T0_E_clISt17integral_constantIbLb0EES18_IbLb1EEEEDaS14_S15_EUlS14_E_NS1_11comp_targetILNS1_3genE4ELNS1_11target_archE910ELNS1_3gpuE8ELNS1_3repE0EEENS1_30default_config_static_selectorELNS0_4arch9wavefront6targetE1EEEvT1_
	.p2align	8
	.type	_ZN7rocprim17ROCPRIM_400000_NS6detail17trampoline_kernelINS0_14default_configENS1_25partition_config_selectorILNS1_17partition_subalgoE0EtNS0_10empty_typeEbEEZZNS1_14partition_implILS5_0ELb0ES3_jN6thrust23THRUST_200600_302600_NS6detail15normal_iteratorINSA_10device_ptrItEEEEPS6_SG_NS0_5tupleIJNSA_16discard_iteratorINSA_11use_defaultEEESK_EEENSH_IJSG_SG_EEES6_PlJ7is_evenItEEEE10hipError_tPvRmT3_T4_T5_T6_T7_T9_mT8_P12ihipStream_tbDpT10_ENKUlT_T0_E_clISt17integral_constantIbLb0EES18_IbLb1EEEEDaS14_S15_EUlS14_E_NS1_11comp_targetILNS1_3genE4ELNS1_11target_archE910ELNS1_3gpuE8ELNS1_3repE0EEENS1_30default_config_static_selectorELNS0_4arch9wavefront6targetE1EEEvT1_,@function
_ZN7rocprim17ROCPRIM_400000_NS6detail17trampoline_kernelINS0_14default_configENS1_25partition_config_selectorILNS1_17partition_subalgoE0EtNS0_10empty_typeEbEEZZNS1_14partition_implILS5_0ELb0ES3_jN6thrust23THRUST_200600_302600_NS6detail15normal_iteratorINSA_10device_ptrItEEEEPS6_SG_NS0_5tupleIJNSA_16discard_iteratorINSA_11use_defaultEEESK_EEENSH_IJSG_SG_EEES6_PlJ7is_evenItEEEE10hipError_tPvRmT3_T4_T5_T6_T7_T9_mT8_P12ihipStream_tbDpT10_ENKUlT_T0_E_clISt17integral_constantIbLb0EES18_IbLb1EEEEDaS14_S15_EUlS14_E_NS1_11comp_targetILNS1_3genE4ELNS1_11target_archE910ELNS1_3gpuE8ELNS1_3repE0EEENS1_30default_config_static_selectorELNS0_4arch9wavefront6targetE1EEEvT1_: ; @_ZN7rocprim17ROCPRIM_400000_NS6detail17trampoline_kernelINS0_14default_configENS1_25partition_config_selectorILNS1_17partition_subalgoE0EtNS0_10empty_typeEbEEZZNS1_14partition_implILS5_0ELb0ES3_jN6thrust23THRUST_200600_302600_NS6detail15normal_iteratorINSA_10device_ptrItEEEEPS6_SG_NS0_5tupleIJNSA_16discard_iteratorINSA_11use_defaultEEESK_EEENSH_IJSG_SG_EEES6_PlJ7is_evenItEEEE10hipError_tPvRmT3_T4_T5_T6_T7_T9_mT8_P12ihipStream_tbDpT10_ENKUlT_T0_E_clISt17integral_constantIbLb0EES18_IbLb1EEEEDaS14_S15_EUlS14_E_NS1_11comp_targetILNS1_3genE4ELNS1_11target_archE910ELNS1_3gpuE8ELNS1_3repE0EEENS1_30default_config_static_selectorELNS0_4arch9wavefront6targetE1EEEvT1_
; %bb.0:
	s_load_dwordx2 s[2:3], s[4:5], 0x68
	s_load_dwordx4 s[20:23], s[4:5], 0x58
	s_load_dwordx2 s[24:25], s[4:5], 0x78
	v_cmp_eq_u32_e64 s[0:1], 0, v0
	s_and_saveexec_b64 s[6:7], s[0:1]
	s_cbranch_execz .LBB2517_4
; %bb.1:
	s_mov_b64 s[10:11], exec
	v_mbcnt_lo_u32_b32 v1, s10, 0
	v_mbcnt_hi_u32_b32 v1, s11, v1
	v_cmp_eq_u32_e32 vcc, 0, v1
                                        ; implicit-def: $vgpr2
	s_and_saveexec_b64 s[8:9], vcc
	s_cbranch_execz .LBB2517_3
; %bb.2:
	s_load_dwordx2 s[12:13], s[4:5], 0x88
	s_bcnt1_i32_b64 s10, s[10:11]
	v_mov_b32_e32 v2, 0
	v_mov_b32_e32 v3, s10
	s_waitcnt lgkmcnt(0)
	global_atomic_add v2, v2, v3, s[12:13] glc
.LBB2517_3:
	s_or_b64 exec, exec, s[8:9]
	s_waitcnt vmcnt(0)
	v_readfirstlane_b32 s8, v2
	v_add_u32_e32 v1, s8, v1
	v_mov_b32_e32 v2, 0
	ds_write_b32 v2, v1
.LBB2517_4:
	s_or_b64 exec, exec, s[6:7]
	v_mov_b32_e32 v3, 0
	s_load_dwordx4 s[8:11], s[4:5], 0x8
	s_load_dword s6, s[4:5], 0x80
	s_waitcnt lgkmcnt(0)
	s_barrier
	ds_read_b32 v1, v3
	s_waitcnt lgkmcnt(0)
	s_barrier
	global_load_dwordx2 v[14:15], v3, s[22:23]
	v_mov_b32_e32 v5, s3
	s_lshl_b64 s[4:5], s[10:11], 1
	s_movk_i32 s3, 0x1c00
	s_add_u32 s4, s8, s4
	v_mul_lo_u32 v2, v1, s3
	s_mul_i32 s3, s6, 0x1c00
	s_addc_u32 s5, s9, s5
	s_add_i32 s7, s6, -1
	s_add_i32 s6, s3, s10
	s_sub_i32 s6, s2, s6
	v_mov_b32_e32 v4, s2
	s_add_u32 s2, s10, s3
	v_readfirstlane_b32 s30, v1
	s_addc_u32 s3, s11, 0
	s_cmp_eq_u32 s30, s7
	s_cselect_b64 s[18:19], -1, 0
	s_cmp_lg_u32 s30, s7
	v_cmp_lt_u64_e32 vcc, s[2:3], v[4:5]
	s_cselect_b64 s[2:3], -1, 0
	v_lshlrev_b64 v[2:3], 1, v[2:3]
	s_or_b64 s[2:3], vcc, s[2:3]
	v_mov_b32_e32 v1, s5
	v_add_co_u32_e32 v2, vcc, s4, v2
	v_addc_co_u32_e32 v3, vcc, v1, v3, vcc
	s_mov_b64 s[4:5], -1
	s_and_b64 vcc, exec, s[2:3]
	v_lshlrev_b32_e32 v1, 1, v0
	s_cbranch_vccz .LBB2517_6
; %bb.5:
	v_add_co_u32_e32 v4, vcc, v2, v1
	v_addc_co_u32_e32 v5, vcc, 0, v3, vcc
	v_add_co_u32_e32 v6, vcc, 0x1000, v4
	v_addc_co_u32_e32 v7, vcc, 0, v5, vcc
	flat_load_ushort v8, v[4:5]
	flat_load_ushort v9, v[4:5] offset:512
	flat_load_ushort v10, v[4:5] offset:1024
	;; [unrolled: 1-line block ×7, first 2 shown]
	flat_load_ushort v18, v[6:7]
	flat_load_ushort v19, v[6:7] offset:512
	flat_load_ushort v20, v[6:7] offset:1024
	;; [unrolled: 1-line block ×7, first 2 shown]
	v_add_co_u32_e32 v6, vcc, 0x2000, v4
	v_addc_co_u32_e32 v7, vcc, 0, v5, vcc
	v_add_co_u32_e32 v4, vcc, 0x3000, v4
	v_addc_co_u32_e32 v5, vcc, 0, v5, vcc
	flat_load_ushort v26, v[6:7]
	flat_load_ushort v27, v[6:7] offset:512
	flat_load_ushort v28, v[6:7] offset:1024
	;; [unrolled: 1-line block ×7, first 2 shown]
	s_nop 0
	flat_load_ushort v6, v[4:5]
	flat_load_ushort v7, v[4:5] offset:512
	flat_load_ushort v34, v[4:5] offset:1024
	;; [unrolled: 1-line block ×3, first 2 shown]
	s_mov_b64 s[4:5], 0
	s_waitcnt vmcnt(0) lgkmcnt(0)
	ds_write_b16 v1, v8
	ds_write_b16 v1, v9 offset:512
	ds_write_b16 v1, v10 offset:1024
	ds_write_b16 v1, v11 offset:1536
	ds_write_b16 v1, v12 offset:2048
	ds_write_b16 v1, v13 offset:2560
	ds_write_b16 v1, v16 offset:3072
	ds_write_b16 v1, v17 offset:3584
	ds_write_b16 v1, v18 offset:4096
	ds_write_b16 v1, v19 offset:4608
	ds_write_b16 v1, v20 offset:5120
	ds_write_b16 v1, v21 offset:5632
	ds_write_b16 v1, v22 offset:6144
	ds_write_b16 v1, v23 offset:6656
	ds_write_b16 v1, v24 offset:7168
	ds_write_b16 v1, v25 offset:7680
	ds_write_b16 v1, v26 offset:8192
	ds_write_b16 v1, v27 offset:8704
	ds_write_b16 v1, v28 offset:9216
	ds_write_b16 v1, v29 offset:9728
	ds_write_b16 v1, v30 offset:10240
	ds_write_b16 v1, v31 offset:10752
	ds_write_b16 v1, v32 offset:11264
	ds_write_b16 v1, v33 offset:11776
	ds_write_b16 v1, v6 offset:12288
	ds_write_b16 v1, v7 offset:12800
	ds_write_b16 v1, v34 offset:13312
	ds_write_b16 v1, v35 offset:13824
	s_waitcnt lgkmcnt(0)
	s_barrier
.LBB2517_6:
	s_andn2_b64 vcc, exec, s[4:5]
	s_addk_i32 s6, 0x1c00
	s_cbranch_vccnz .LBB2517_64
; %bb.7:
	v_cmp_gt_u32_e32 vcc, s6, v0
                                        ; implicit-def: $vgpr4
	s_and_saveexec_b64 s[4:5], vcc
	s_cbranch_execz .LBB2517_9
; %bb.8:
	v_add_co_u32_e32 v4, vcc, v2, v1
	v_addc_co_u32_e32 v5, vcc, 0, v3, vcc
	flat_load_ushort v4, v[4:5]
.LBB2517_9:
	s_or_b64 exec, exec, s[4:5]
	v_or_b32_e32 v5, 0x100, v0
	v_cmp_gt_u32_e32 vcc, s6, v5
                                        ; implicit-def: $vgpr5
	s_and_saveexec_b64 s[4:5], vcc
	s_cbranch_execz .LBB2517_11
; %bb.10:
	v_add_co_u32_e32 v6, vcc, v2, v1
	v_addc_co_u32_e32 v7, vcc, 0, v3, vcc
	flat_load_ushort v5, v[6:7] offset:512
.LBB2517_11:
	s_or_b64 exec, exec, s[4:5]
	v_or_b32_e32 v6, 0x200, v0
	v_cmp_gt_u32_e32 vcc, s6, v6
                                        ; implicit-def: $vgpr6
	s_and_saveexec_b64 s[4:5], vcc
	s_cbranch_execz .LBB2517_13
; %bb.12:
	v_add_co_u32_e32 v6, vcc, v2, v1
	v_addc_co_u32_e32 v7, vcc, 0, v3, vcc
	flat_load_ushort v6, v[6:7] offset:1024
.LBB2517_13:
	s_or_b64 exec, exec, s[4:5]
	v_or_b32_e32 v7, 0x300, v0
	v_cmp_gt_u32_e32 vcc, s6, v7
                                        ; implicit-def: $vgpr7
	s_and_saveexec_b64 s[4:5], vcc
	s_cbranch_execz .LBB2517_15
; %bb.14:
	v_add_co_u32_e32 v8, vcc, v2, v1
	v_addc_co_u32_e32 v9, vcc, 0, v3, vcc
	flat_load_ushort v7, v[8:9] offset:1536
.LBB2517_15:
	s_or_b64 exec, exec, s[4:5]
	v_or_b32_e32 v8, 0x400, v0
	v_cmp_gt_u32_e32 vcc, s6, v8
                                        ; implicit-def: $vgpr8
	s_and_saveexec_b64 s[4:5], vcc
	s_cbranch_execz .LBB2517_17
; %bb.16:
	v_add_co_u32_e32 v8, vcc, v2, v1
	v_addc_co_u32_e32 v9, vcc, 0, v3, vcc
	flat_load_ushort v8, v[8:9] offset:2048
.LBB2517_17:
	s_or_b64 exec, exec, s[4:5]
	v_or_b32_e32 v9, 0x500, v0
	v_cmp_gt_u32_e32 vcc, s6, v9
                                        ; implicit-def: $vgpr9
	s_and_saveexec_b64 s[4:5], vcc
	s_cbranch_execz .LBB2517_19
; %bb.18:
	v_add_co_u32_e32 v10, vcc, v2, v1
	v_addc_co_u32_e32 v11, vcc, 0, v3, vcc
	flat_load_ushort v9, v[10:11] offset:2560
.LBB2517_19:
	s_or_b64 exec, exec, s[4:5]
	v_or_b32_e32 v10, 0x600, v0
	v_cmp_gt_u32_e32 vcc, s6, v10
                                        ; implicit-def: $vgpr10
	s_and_saveexec_b64 s[4:5], vcc
	s_cbranch_execz .LBB2517_21
; %bb.20:
	v_add_co_u32_e32 v10, vcc, v2, v1
	v_addc_co_u32_e32 v11, vcc, 0, v3, vcc
	flat_load_ushort v10, v[10:11] offset:3072
.LBB2517_21:
	s_or_b64 exec, exec, s[4:5]
	v_or_b32_e32 v11, 0x700, v0
	v_cmp_gt_u32_e32 vcc, s6, v11
                                        ; implicit-def: $vgpr11
	s_and_saveexec_b64 s[4:5], vcc
	s_cbranch_execz .LBB2517_23
; %bb.22:
	v_add_co_u32_e32 v12, vcc, v2, v1
	v_addc_co_u32_e32 v13, vcc, 0, v3, vcc
	flat_load_ushort v11, v[12:13] offset:3584
.LBB2517_23:
	s_or_b64 exec, exec, s[4:5]
	v_or_b32_e32 v13, 0x800, v0
	v_cmp_gt_u32_e32 vcc, s6, v13
                                        ; implicit-def: $vgpr12
	s_and_saveexec_b64 s[4:5], vcc
	s_cbranch_execz .LBB2517_25
; %bb.24:
	v_lshlrev_b32_e32 v12, 1, v13
	v_add_co_u32_e32 v12, vcc, v2, v12
	v_addc_co_u32_e32 v13, vcc, 0, v3, vcc
	flat_load_ushort v12, v[12:13]
.LBB2517_25:
	s_or_b64 exec, exec, s[4:5]
	v_or_b32_e32 v16, 0x900, v0
	v_cmp_gt_u32_e32 vcc, s6, v16
                                        ; implicit-def: $vgpr13
	s_and_saveexec_b64 s[4:5], vcc
	s_cbranch_execz .LBB2517_27
; %bb.26:
	v_lshlrev_b32_e32 v13, 1, v16
	v_add_co_u32_e32 v16, vcc, v2, v13
	v_addc_co_u32_e32 v17, vcc, 0, v3, vcc
	flat_load_ushort v13, v[16:17]
.LBB2517_27:
	s_or_b64 exec, exec, s[4:5]
	v_or_b32_e32 v17, 0xa00, v0
	v_cmp_gt_u32_e32 vcc, s6, v17
                                        ; implicit-def: $vgpr16
	s_and_saveexec_b64 s[4:5], vcc
	s_cbranch_execz .LBB2517_29
; %bb.28:
	v_lshlrev_b32_e32 v16, 1, v17
	v_add_co_u32_e32 v16, vcc, v2, v16
	v_addc_co_u32_e32 v17, vcc, 0, v3, vcc
	flat_load_ushort v16, v[16:17]
.LBB2517_29:
	s_or_b64 exec, exec, s[4:5]
	v_or_b32_e32 v18, 0xb00, v0
	v_cmp_gt_u32_e32 vcc, s6, v18
                                        ; implicit-def: $vgpr17
	s_and_saveexec_b64 s[4:5], vcc
	s_cbranch_execz .LBB2517_31
; %bb.30:
	v_lshlrev_b32_e32 v17, 1, v18
	v_add_co_u32_e32 v18, vcc, v2, v17
	v_addc_co_u32_e32 v19, vcc, 0, v3, vcc
	flat_load_ushort v17, v[18:19]
.LBB2517_31:
	s_or_b64 exec, exec, s[4:5]
	v_or_b32_e32 v19, 0xc00, v0
	v_cmp_gt_u32_e32 vcc, s6, v19
                                        ; implicit-def: $vgpr18
	s_and_saveexec_b64 s[4:5], vcc
	s_cbranch_execz .LBB2517_33
; %bb.32:
	v_lshlrev_b32_e32 v18, 1, v19
	v_add_co_u32_e32 v18, vcc, v2, v18
	v_addc_co_u32_e32 v19, vcc, 0, v3, vcc
	flat_load_ushort v18, v[18:19]
.LBB2517_33:
	s_or_b64 exec, exec, s[4:5]
	v_or_b32_e32 v20, 0xd00, v0
	v_cmp_gt_u32_e32 vcc, s6, v20
                                        ; implicit-def: $vgpr19
	s_and_saveexec_b64 s[4:5], vcc
	s_cbranch_execz .LBB2517_35
; %bb.34:
	v_lshlrev_b32_e32 v19, 1, v20
	v_add_co_u32_e32 v20, vcc, v2, v19
	v_addc_co_u32_e32 v21, vcc, 0, v3, vcc
	flat_load_ushort v19, v[20:21]
.LBB2517_35:
	s_or_b64 exec, exec, s[4:5]
	v_or_b32_e32 v21, 0xe00, v0
	v_cmp_gt_u32_e32 vcc, s6, v21
                                        ; implicit-def: $vgpr20
	s_and_saveexec_b64 s[4:5], vcc
	s_cbranch_execz .LBB2517_37
; %bb.36:
	v_lshlrev_b32_e32 v20, 1, v21
	v_add_co_u32_e32 v20, vcc, v2, v20
	v_addc_co_u32_e32 v21, vcc, 0, v3, vcc
	flat_load_ushort v20, v[20:21]
.LBB2517_37:
	s_or_b64 exec, exec, s[4:5]
	v_or_b32_e32 v22, 0xf00, v0
	v_cmp_gt_u32_e32 vcc, s6, v22
                                        ; implicit-def: $vgpr21
	s_and_saveexec_b64 s[4:5], vcc
	s_cbranch_execz .LBB2517_39
; %bb.38:
	v_lshlrev_b32_e32 v21, 1, v22
	v_add_co_u32_e32 v22, vcc, v2, v21
	v_addc_co_u32_e32 v23, vcc, 0, v3, vcc
	flat_load_ushort v21, v[22:23]
.LBB2517_39:
	s_or_b64 exec, exec, s[4:5]
	v_or_b32_e32 v23, 0x1000, v0
	v_cmp_gt_u32_e32 vcc, s6, v23
                                        ; implicit-def: $vgpr22
	s_and_saveexec_b64 s[4:5], vcc
	s_cbranch_execz .LBB2517_41
; %bb.40:
	v_lshlrev_b32_e32 v22, 1, v23
	v_add_co_u32_e32 v22, vcc, v2, v22
	v_addc_co_u32_e32 v23, vcc, 0, v3, vcc
	flat_load_ushort v22, v[22:23]
.LBB2517_41:
	s_or_b64 exec, exec, s[4:5]
	v_or_b32_e32 v24, 0x1100, v0
	v_cmp_gt_u32_e32 vcc, s6, v24
                                        ; implicit-def: $vgpr23
	s_and_saveexec_b64 s[4:5], vcc
	s_cbranch_execz .LBB2517_43
; %bb.42:
	v_lshlrev_b32_e32 v23, 1, v24
	v_add_co_u32_e32 v24, vcc, v2, v23
	v_addc_co_u32_e32 v25, vcc, 0, v3, vcc
	flat_load_ushort v23, v[24:25]
.LBB2517_43:
	s_or_b64 exec, exec, s[4:5]
	v_or_b32_e32 v25, 0x1200, v0
	v_cmp_gt_u32_e32 vcc, s6, v25
                                        ; implicit-def: $vgpr24
	s_and_saveexec_b64 s[4:5], vcc
	s_cbranch_execz .LBB2517_45
; %bb.44:
	v_lshlrev_b32_e32 v24, 1, v25
	v_add_co_u32_e32 v24, vcc, v2, v24
	v_addc_co_u32_e32 v25, vcc, 0, v3, vcc
	flat_load_ushort v24, v[24:25]
.LBB2517_45:
	s_or_b64 exec, exec, s[4:5]
	v_or_b32_e32 v26, 0x1300, v0
	v_cmp_gt_u32_e32 vcc, s6, v26
                                        ; implicit-def: $vgpr25
	s_and_saveexec_b64 s[4:5], vcc
	s_cbranch_execz .LBB2517_47
; %bb.46:
	v_lshlrev_b32_e32 v25, 1, v26
	v_add_co_u32_e32 v26, vcc, v2, v25
	v_addc_co_u32_e32 v27, vcc, 0, v3, vcc
	flat_load_ushort v25, v[26:27]
.LBB2517_47:
	s_or_b64 exec, exec, s[4:5]
	v_or_b32_e32 v27, 0x1400, v0
	v_cmp_gt_u32_e32 vcc, s6, v27
                                        ; implicit-def: $vgpr26
	s_and_saveexec_b64 s[4:5], vcc
	s_cbranch_execz .LBB2517_49
; %bb.48:
	v_lshlrev_b32_e32 v26, 1, v27
	v_add_co_u32_e32 v26, vcc, v2, v26
	v_addc_co_u32_e32 v27, vcc, 0, v3, vcc
	flat_load_ushort v26, v[26:27]
.LBB2517_49:
	s_or_b64 exec, exec, s[4:5]
	v_or_b32_e32 v28, 0x1500, v0
	v_cmp_gt_u32_e32 vcc, s6, v28
                                        ; implicit-def: $vgpr27
	s_and_saveexec_b64 s[4:5], vcc
	s_cbranch_execz .LBB2517_51
; %bb.50:
	v_lshlrev_b32_e32 v27, 1, v28
	v_add_co_u32_e32 v28, vcc, v2, v27
	v_addc_co_u32_e32 v29, vcc, 0, v3, vcc
	flat_load_ushort v27, v[28:29]
.LBB2517_51:
	s_or_b64 exec, exec, s[4:5]
	v_or_b32_e32 v29, 0x1600, v0
	v_cmp_gt_u32_e32 vcc, s6, v29
                                        ; implicit-def: $vgpr28
	s_and_saveexec_b64 s[4:5], vcc
	s_cbranch_execz .LBB2517_53
; %bb.52:
	v_lshlrev_b32_e32 v28, 1, v29
	v_add_co_u32_e32 v28, vcc, v2, v28
	v_addc_co_u32_e32 v29, vcc, 0, v3, vcc
	flat_load_ushort v28, v[28:29]
.LBB2517_53:
	s_or_b64 exec, exec, s[4:5]
	v_or_b32_e32 v30, 0x1700, v0
	v_cmp_gt_u32_e32 vcc, s6, v30
                                        ; implicit-def: $vgpr29
	s_and_saveexec_b64 s[4:5], vcc
	s_cbranch_execz .LBB2517_55
; %bb.54:
	v_lshlrev_b32_e32 v29, 1, v30
	v_add_co_u32_e32 v30, vcc, v2, v29
	v_addc_co_u32_e32 v31, vcc, 0, v3, vcc
	flat_load_ushort v29, v[30:31]
.LBB2517_55:
	s_or_b64 exec, exec, s[4:5]
	v_or_b32_e32 v31, 0x1800, v0
	v_cmp_gt_u32_e32 vcc, s6, v31
                                        ; implicit-def: $vgpr30
	s_and_saveexec_b64 s[4:5], vcc
	s_cbranch_execz .LBB2517_57
; %bb.56:
	v_lshlrev_b32_e32 v30, 1, v31
	v_add_co_u32_e32 v30, vcc, v2, v30
	v_addc_co_u32_e32 v31, vcc, 0, v3, vcc
	flat_load_ushort v30, v[30:31]
.LBB2517_57:
	s_or_b64 exec, exec, s[4:5]
	v_or_b32_e32 v32, 0x1900, v0
	v_cmp_gt_u32_e32 vcc, s6, v32
                                        ; implicit-def: $vgpr31
	s_and_saveexec_b64 s[4:5], vcc
	s_cbranch_execz .LBB2517_59
; %bb.58:
	v_lshlrev_b32_e32 v31, 1, v32
	v_add_co_u32_e32 v32, vcc, v2, v31
	v_addc_co_u32_e32 v33, vcc, 0, v3, vcc
	flat_load_ushort v31, v[32:33]
.LBB2517_59:
	s_or_b64 exec, exec, s[4:5]
	v_or_b32_e32 v33, 0x1a00, v0
	v_cmp_gt_u32_e32 vcc, s6, v33
                                        ; implicit-def: $vgpr32
	s_and_saveexec_b64 s[4:5], vcc
	s_cbranch_execz .LBB2517_61
; %bb.60:
	v_lshlrev_b32_e32 v32, 1, v33
	v_add_co_u32_e32 v32, vcc, v2, v32
	v_addc_co_u32_e32 v33, vcc, 0, v3, vcc
	flat_load_ushort v32, v[32:33]
.LBB2517_61:
	s_or_b64 exec, exec, s[4:5]
	v_or_b32_e32 v34, 0x1b00, v0
	v_cmp_gt_u32_e32 vcc, s6, v34
                                        ; implicit-def: $vgpr33
	s_and_saveexec_b64 s[4:5], vcc
	s_cbranch_execz .LBB2517_63
; %bb.62:
	v_lshlrev_b32_e32 v33, 1, v34
	v_add_co_u32_e32 v2, vcc, v2, v33
	v_addc_co_u32_e32 v3, vcc, 0, v3, vcc
	flat_load_ushort v33, v[2:3]
.LBB2517_63:
	s_or_b64 exec, exec, s[4:5]
	s_waitcnt vmcnt(0) lgkmcnt(0)
	ds_write_b16 v1, v4
	ds_write_b16 v1, v5 offset:512
	ds_write_b16 v1, v6 offset:1024
	;; [unrolled: 1-line block ×27, first 2 shown]
	s_waitcnt lgkmcnt(0)
	s_barrier
.LBB2517_64:
	v_mul_u32_u24_e32 v40, 28, v0
	v_lshlrev_b32_e32 v6, 1, v40
	ds_read_b64 v[16:17], v6 offset:48
	ds_read2_b64 v[2:5], v6 offset0:4 offset1:5
	ds_read2_b64 v[10:13], v6 offset1:1
	ds_read2_b64 v[6:9], v6 offset0:2 offset1:3
	s_andn2_b64 vcc, exec, s[2:3]
	s_waitcnt lgkmcnt(3)
	v_lshrrev_b32_e32 v28, 16, v16
	v_lshrrev_b32_e32 v1, 16, v17
	s_waitcnt lgkmcnt(2)
	v_lshrrev_b32_e32 v32, 16, v2
	v_lshrrev_b32_e32 v31, 16, v3
	v_lshrrev_b32_e32 v30, 16, v4
	v_lshrrev_b32_e32 v29, 16, v5
	s_waitcnt lgkmcnt(1)
	v_lshrrev_b32_e32 v41, 16, v10
	v_lshrrev_b32_e32 v39, 16, v11
	;; [unrolled: 5-line block ×3, first 2 shown]
	v_lshrrev_b32_e32 v34, 16, v8
	v_lshrrev_b32_e32 v33, 16, v9
	v_xor_b32_e32 v87, -1, v10
	v_xor_b32_e32 v86, -1, v41
	;; [unrolled: 1-line block ×28, first 2 shown]
	s_barrier
	s_cbranch_vccnz .LBB2517_66
; %bb.65:
	v_and_b32_e32 v69, 1, v87
	v_and_b32_e32 v68, 1, v86
	;; [unrolled: 1-line block ×28, first 2 shown]
	s_cbranch_execz .LBB2517_67
	s_branch .LBB2517_68
.LBB2517_66:
                                        ; implicit-def: $vgpr69
                                        ; implicit-def: $vgpr68
                                        ; implicit-def: $vgpr67
                                        ; implicit-def: $vgpr66
                                        ; implicit-def: $vgpr65
                                        ; implicit-def: $vgpr64
                                        ; implicit-def: $vgpr63
                                        ; implicit-def: $vgpr62
                                        ; implicit-def: $vgpr61
                                        ; implicit-def: $vgpr60
                                        ; implicit-def: $vgpr59
                                        ; implicit-def: $vgpr58
                                        ; implicit-def: $vgpr57
                                        ; implicit-def: $vgpr56
                                        ; implicit-def: $vgpr55
                                        ; implicit-def: $vgpr54
                                        ; implicit-def: $vgpr53
                                        ; implicit-def: $vgpr52
                                        ; implicit-def: $vgpr51
                                        ; implicit-def: $vgpr50
                                        ; implicit-def: $vgpr49
                                        ; implicit-def: $vgpr48
                                        ; implicit-def: $vgpr47
                                        ; implicit-def: $vgpr46
                                        ; implicit-def: $vgpr45
                                        ; implicit-def: $vgpr44
                                        ; implicit-def: $vgpr42
                                        ; implicit-def: $vgpr43
.LBB2517_67:
	v_or_b32_e32 v51, 1, v40
	v_cmp_gt_u32_e32 vcc, s6, v40
	v_or_b32_e32 v52, 2, v40
	v_cndmask_b32_e64 v60, 0, 1, vcc
	v_cmp_gt_u32_e32 vcc, s6, v51
	v_or_b32_e32 v53, 3, v40
	v_cndmask_b32_e64 v51, 0, 1, vcc
	v_cmp_gt_u32_e32 vcc, s6, v52
	v_add_u32_e32 v54, 4, v40
	v_and_b32_e32 v68, v51, v86
	v_cndmask_b32_e64 v51, 0, 1, vcc
	v_cmp_gt_u32_e32 vcc, s6, v53
	v_add_u32_e32 v55, 5, v40
	v_and_b32_e32 v67, v51, v85
	;; [unrolled: 4-line block ×9, first 2 shown]
	v_and_b32_e32 v60, v51, v78
	v_cndmask_b32_e64 v51, 0, 1, vcc
	v_cmp_gt_u32_e32 vcc, s6, v89
	v_add_u32_e32 v91, 13, v40
	v_and_b32_e32 v59, v51, v77
	v_cndmask_b32_e64 v51, 0, 1, vcc
	v_cmp_gt_u32_e32 vcc, s6, v90
	v_add_u32_e32 v92, 14, v40
	;; [unrolled: 4-line block ×15, first 2 shown]
	v_and_b32_e32 v45, v22, v21
	v_cndmask_b32_e64 v21, 0, 1, vcc
	v_cmp_gt_u32_e32 vcc, s6, v42
	v_and_b32_e32 v44, v21, v20
	v_cndmask_b32_e64 v20, 0, 1, vcc
	v_cmp_gt_u32_e32 vcc, s6, v43
	v_and_b32_e32 v42, v20, v19
	v_cndmask_b32_e64 v19, 0, 1, vcc
	v_and_b32_e32 v43, v19, v18
.LBB2517_68:
	v_and_b32_e32 v94, 0xff, v45
	v_and_b32_e32 v95, 0xff, v44
	v_add_u32_sdwa v18, v42, v43 dst_sel:DWORD dst_unused:UNUSED_PAD src0_sel:BYTE_0 src1_sel:BYTE_0
	v_and_b32_e32 v92, 0xff, v47
	v_and_b32_e32 v93, 0xff, v46
	v_add3_u32 v18, v18, v95, v94
	v_and_b32_e32 v90, 0xff, v49
	v_and_b32_e32 v91, 0xff, v48
	v_add3_u32 v18, v18, v93, v92
	;; [unrolled: 3-line block ×12, first 2 shown]
	v_add3_u32 v98, v18, v71, v70
	v_mbcnt_lo_u32_b32 v18, -1, 0
	v_mbcnt_hi_u32_b32 v96, -1, v18
	v_and_b32_e32 v18, 15, v96
	v_cmp_eq_u32_e64 s[14:15], 0, v18
	v_cmp_lt_u32_e64 s[12:13], 1, v18
	v_cmp_lt_u32_e64 s[10:11], 3, v18
	;; [unrolled: 1-line block ×3, first 2 shown]
	v_and_b32_e32 v18, 16, v96
	v_cmp_eq_u32_e64 s[6:7], 0, v18
	v_or_b32_e32 v18, 63, v0
	s_cmp_lg_u32 s30, 0
	v_cmp_lt_u32_e64 s[2:3], 31, v96
	v_lshrrev_b32_e32 v97, 6, v0
	v_cmp_eq_u32_e64 s[4:5], v18, v0
	s_cbranch_scc0 .LBB2517_95
; %bb.69:
	v_mov_b32_dpp v18, v98 row_shr:1 row_mask:0xf bank_mask:0xf
	v_cndmask_b32_e64 v18, v18, 0, s[14:15]
	v_add_u32_e32 v18, v18, v98
	s_nop 1
	v_mov_b32_dpp v19, v18 row_shr:2 row_mask:0xf bank_mask:0xf
	v_cndmask_b32_e64 v19, 0, v19, s[12:13]
	v_add_u32_e32 v18, v18, v19
	s_nop 1
	;; [unrolled: 4-line block ×4, first 2 shown]
	v_mov_b32_dpp v19, v18 row_bcast:15 row_mask:0xf bank_mask:0xf
	v_cndmask_b32_e64 v19, v19, 0, s[6:7]
	v_add_u32_e32 v18, v18, v19
	s_nop 1
	v_mov_b32_dpp v19, v18 row_bcast:31 row_mask:0xf bank_mask:0xf
	v_cndmask_b32_e64 v19, 0, v19, s[2:3]
	v_add_u32_e32 v18, v18, v19
	s_and_saveexec_b64 s[16:17], s[4:5]
	s_cbranch_execz .LBB2517_71
; %bb.70:
	v_lshlrev_b32_e32 v19, 2, v97
	ds_write_b32 v19, v18
.LBB2517_71:
	s_or_b64 exec, exec, s[16:17]
	v_cmp_gt_u32_e32 vcc, 4, v0
	s_waitcnt lgkmcnt(0)
	s_barrier
	s_and_saveexec_b64 s[16:17], vcc
	s_cbranch_execz .LBB2517_73
; %bb.72:
	v_lshlrev_b32_e32 v19, 2, v0
	ds_read_b32 v20, v19
	v_and_b32_e32 v21, 3, v96
	v_cmp_ne_u32_e32 vcc, 0, v21
	s_waitcnt lgkmcnt(0)
	v_mov_b32_dpp v22, v20 row_shr:1 row_mask:0xf bank_mask:0xf
	v_cndmask_b32_e32 v22, 0, v22, vcc
	v_add_u32_e32 v20, v22, v20
	v_cmp_lt_u32_e32 vcc, 1, v21
	s_nop 0
	v_mov_b32_dpp v22, v20 row_shr:2 row_mask:0xf bank_mask:0xf
	v_cndmask_b32_e32 v21, 0, v22, vcc
	v_add_u32_e32 v20, v20, v21
	ds_write_b32 v19, v20
.LBB2517_73:
	s_or_b64 exec, exec, s[16:17]
	v_cmp_gt_u32_e32 vcc, 64, v0
	v_cmp_lt_u32_e64 s[16:17], 63, v0
	s_waitcnt lgkmcnt(0)
	s_barrier
	s_waitcnt lgkmcnt(0)
                                        ; implicit-def: $vgpr99
	s_and_saveexec_b64 s[22:23], s[16:17]
	s_cbranch_execz .LBB2517_75
; %bb.74:
	v_lshl_add_u32 v19, v97, 2, -4
	ds_read_b32 v99, v19
	s_waitcnt lgkmcnt(0)
	v_add_u32_e32 v18, v99, v18
.LBB2517_75:
	s_or_b64 exec, exec, s[22:23]
	v_add_u32_e32 v19, -1, v96
	v_and_b32_e32 v20, 64, v96
	v_cmp_lt_i32_e64 s[16:17], v19, v20
	v_cndmask_b32_e64 v19, v19, v96, s[16:17]
	v_lshlrev_b32_e32 v19, 2, v19
	ds_bpermute_b32 v100, v19, v18
	v_cmp_eq_u32_e64 s[16:17], 0, v96
	s_and_saveexec_b64 s[22:23], vcc
	s_cbranch_execz .LBB2517_94
; %bb.76:
	v_mov_b32_e32 v25, 0
	ds_read_b32 v18, v25 offset:12
	s_and_saveexec_b64 s[26:27], s[16:17]
	s_cbranch_execz .LBB2517_78
; %bb.77:
	s_add_i32 s28, s30, 64
	s_mov_b32 s29, 0
	s_lshl_b64 s[28:29], s[28:29], 3
	s_add_u32 s28, s24, s28
	v_mov_b32_e32 v19, 1
	s_addc_u32 s29, s25, s29
	s_waitcnt lgkmcnt(0)
	global_store_dwordx2 v25, v[18:19], s[28:29]
.LBB2517_78:
	s_or_b64 exec, exec, s[26:27]
	v_xad_u32 v20, v96, -1, s30
	v_add_u32_e32 v24, 64, v20
	v_lshlrev_b64 v[22:23], 3, v[24:25]
	v_mov_b32_e32 v19, s25
	v_add_co_u32_e32 v26, vcc, s24, v22
	v_addc_co_u32_e32 v27, vcc, v19, v23, vcc
	global_load_dwordx2 v[22:23], v[26:27], off glc
	s_waitcnt vmcnt(0)
	v_cmp_eq_u16_sdwa s[28:29], v23, v25 src0_sel:BYTE_0 src1_sel:DWORD
	s_and_saveexec_b64 s[26:27], s[28:29]
	s_cbranch_execz .LBB2517_82
; %bb.79:
	s_mov_b64 s[28:29], 0
	v_mov_b32_e32 v19, 0
.LBB2517_80:                            ; =>This Inner Loop Header: Depth=1
	global_load_dwordx2 v[22:23], v[26:27], off glc
	s_waitcnt vmcnt(0)
	v_cmp_ne_u16_sdwa s[34:35], v23, v19 src0_sel:BYTE_0 src1_sel:DWORD
	s_or_b64 s[28:29], s[34:35], s[28:29]
	s_andn2_b64 exec, exec, s[28:29]
	s_cbranch_execnz .LBB2517_80
; %bb.81:
	s_or_b64 exec, exec, s[28:29]
.LBB2517_82:
	s_or_b64 exec, exec, s[26:27]
	v_and_b32_e32 v102, 63, v96
	v_mov_b32_e32 v101, 2
	v_cmp_ne_u32_e32 vcc, 63, v102
	v_cmp_eq_u16_sdwa s[26:27], v23, v101 src0_sel:BYTE_0 src1_sel:DWORD
	v_lshlrev_b64 v[24:25], v96, -1
	v_addc_co_u32_e32 v26, vcc, 0, v96, vcc
	v_and_b32_e32 v19, s27, v25
	v_lshlrev_b32_e32 v103, 2, v26
	v_or_b32_e32 v19, 0x80000000, v19
	ds_bpermute_b32 v26, v103, v22
	v_and_b32_e32 v21, s26, v24
	v_ffbl_b32_e32 v19, v19
	v_add_u32_e32 v19, 32, v19
	v_ffbl_b32_e32 v21, v21
	v_min_u32_e32 v19, v21, v19
	v_cmp_lt_u32_e32 vcc, v102, v19
	s_waitcnt lgkmcnt(0)
	v_cndmask_b32_e32 v21, 0, v26, vcc
	v_cmp_gt_u32_e32 vcc, 62, v102
	v_add_u32_e32 v21, v21, v22
	v_cndmask_b32_e64 v22, 0, 1, vcc
	v_lshlrev_b32_e32 v22, 1, v22
	v_add_lshl_u32 v104, v22, v96, 2
	ds_bpermute_b32 v22, v104, v21
	v_add_u32_e32 v105, 2, v102
	v_cmp_le_u32_e32 vcc, v105, v19
	v_add_u32_e32 v107, 4, v102
	v_add_u32_e32 v109, 8, v102
	s_waitcnt lgkmcnt(0)
	v_cndmask_b32_e32 v22, 0, v22, vcc
	v_cmp_gt_u32_e32 vcc, 60, v102
	v_add_u32_e32 v21, v21, v22
	v_cndmask_b32_e64 v22, 0, 1, vcc
	v_lshlrev_b32_e32 v22, 2, v22
	v_add_lshl_u32 v106, v22, v96, 2
	ds_bpermute_b32 v22, v106, v21
	v_cmp_le_u32_e32 vcc, v107, v19
	v_add_u32_e32 v111, 16, v102
	v_add_u32_e32 v113, 32, v102
	s_waitcnt lgkmcnt(0)
	v_cndmask_b32_e32 v22, 0, v22, vcc
	v_cmp_gt_u32_e32 vcc, 56, v102
	v_add_u32_e32 v21, v21, v22
	v_cndmask_b32_e64 v22, 0, 1, vcc
	v_lshlrev_b32_e32 v22, 3, v22
	v_add_lshl_u32 v108, v22, v96, 2
	ds_bpermute_b32 v22, v108, v21
	v_cmp_le_u32_e32 vcc, v109, v19
	s_waitcnt lgkmcnt(0)
	v_cndmask_b32_e32 v22, 0, v22, vcc
	v_cmp_gt_u32_e32 vcc, 48, v102
	v_add_u32_e32 v21, v21, v22
	v_cndmask_b32_e64 v22, 0, 1, vcc
	v_lshlrev_b32_e32 v22, 4, v22
	v_add_lshl_u32 v110, v22, v96, 2
	ds_bpermute_b32 v22, v110, v21
	v_cmp_le_u32_e32 vcc, v111, v19
	;; [unrolled: 9-line block ×3, first 2 shown]
	s_waitcnt lgkmcnt(0)
	v_cndmask_b32_e32 v19, 0, v22, vcc
	v_add_u32_e32 v22, v21, v19
	v_mov_b32_e32 v21, 0
	s_branch .LBB2517_84
.LBB2517_83:                            ;   in Loop: Header=BB2517_84 Depth=1
	s_or_b64 exec, exec, s[26:27]
	v_cmp_eq_u16_sdwa s[26:27], v23, v101 src0_sel:BYTE_0 src1_sel:DWORD
	v_and_b32_e32 v26, s27, v25
	v_or_b32_e32 v26, 0x80000000, v26
	ds_bpermute_b32 v114, v103, v22
	v_and_b32_e32 v27, s26, v24
	v_ffbl_b32_e32 v26, v26
	v_add_u32_e32 v26, 32, v26
	v_ffbl_b32_e32 v27, v27
	v_min_u32_e32 v26, v27, v26
	v_cmp_lt_u32_e32 vcc, v102, v26
	s_waitcnt lgkmcnt(0)
	v_cndmask_b32_e32 v27, 0, v114, vcc
	v_add_u32_e32 v22, v27, v22
	ds_bpermute_b32 v27, v104, v22
	v_cmp_le_u32_e32 vcc, v105, v26
	v_subrev_u32_e32 v20, 64, v20
	s_waitcnt lgkmcnt(0)
	v_cndmask_b32_e32 v27, 0, v27, vcc
	v_add_u32_e32 v22, v22, v27
	ds_bpermute_b32 v27, v106, v22
	v_cmp_le_u32_e32 vcc, v107, v26
	s_waitcnt lgkmcnt(0)
	v_cndmask_b32_e32 v27, 0, v27, vcc
	v_add_u32_e32 v22, v22, v27
	ds_bpermute_b32 v27, v108, v22
	v_cmp_le_u32_e32 vcc, v109, v26
	;; [unrolled: 5-line block ×4, first 2 shown]
	s_waitcnt lgkmcnt(0)
	v_cndmask_b32_e32 v26, 0, v27, vcc
	v_add3_u32 v22, v26, v19, v22
.LBB2517_84:                            ; =>This Loop Header: Depth=1
                                        ;     Child Loop BB2517_87 Depth 2
	v_cmp_ne_u16_sdwa s[26:27], v23, v101 src0_sel:BYTE_0 src1_sel:DWORD
	v_cndmask_b32_e64 v19, 0, 1, s[26:27]
	;;#ASMSTART
	;;#ASMEND
	v_cmp_ne_u32_e32 vcc, 0, v19
	s_cmp_lg_u64 vcc, exec
	v_mov_b32_e32 v19, v22
	s_cbranch_scc1 .LBB2517_89
; %bb.85:                               ;   in Loop: Header=BB2517_84 Depth=1
	v_lshlrev_b64 v[22:23], 3, v[20:21]
	v_mov_b32_e32 v27, s25
	v_add_co_u32_e32 v26, vcc, s24, v22
	v_addc_co_u32_e32 v27, vcc, v27, v23, vcc
	global_load_dwordx2 v[22:23], v[26:27], off glc
	s_waitcnt vmcnt(0)
	v_cmp_eq_u16_sdwa s[28:29], v23, v21 src0_sel:BYTE_0 src1_sel:DWORD
	s_and_saveexec_b64 s[26:27], s[28:29]
	s_cbranch_execz .LBB2517_83
; %bb.86:                               ;   in Loop: Header=BB2517_84 Depth=1
	s_mov_b64 s[28:29], 0
.LBB2517_87:                            ;   Parent Loop BB2517_84 Depth=1
                                        ; =>  This Inner Loop Header: Depth=2
	global_load_dwordx2 v[22:23], v[26:27], off glc
	s_waitcnt vmcnt(0)
	v_cmp_ne_u16_sdwa s[34:35], v23, v21 src0_sel:BYTE_0 src1_sel:DWORD
	s_or_b64 s[28:29], s[34:35], s[28:29]
	s_andn2_b64 exec, exec, s[28:29]
	s_cbranch_execnz .LBB2517_87
; %bb.88:                               ;   in Loop: Header=BB2517_84 Depth=1
	s_or_b64 exec, exec, s[28:29]
	s_branch .LBB2517_83
.LBB2517_89:                            ;   in Loop: Header=BB2517_84 Depth=1
                                        ; implicit-def: $vgpr22
                                        ; implicit-def: $vgpr23
	s_cbranch_execz .LBB2517_84
; %bb.90:
	s_and_saveexec_b64 s[26:27], s[16:17]
	s_cbranch_execz .LBB2517_92
; %bb.91:
	s_add_i32 s28, s30, 64
	s_mov_b32 s29, 0
	s_lshl_b64 s[28:29], s[28:29], 3
	s_add_u32 s28, s24, s28
	v_add_u32_e32 v20, v19, v18
	v_mov_b32_e32 v21, 2
	s_addc_u32 s29, s25, s29
	v_mov_b32_e32 v22, 0
	global_store_dwordx2 v22, v[20:21], s[28:29]
	ds_write_b64 v22, v[18:19] offset:14336
.LBB2517_92:
	s_or_b64 exec, exec, s[26:27]
	s_and_b64 exec, exec, s[0:1]
	s_cbranch_execz .LBB2517_94
; %bb.93:
	v_mov_b32_e32 v18, 0
	ds_write_b32 v18, v19 offset:12
.LBB2517_94:
	s_or_b64 exec, exec, s[22:23]
	v_mov_b32_e32 v18, 0
	s_waitcnt lgkmcnt(0)
	s_barrier
	ds_read_b32 v20, v18 offset:12
	s_waitcnt lgkmcnt(0)
	s_barrier
	ds_read_b64 v[18:19], v18 offset:14336
	v_cndmask_b32_e64 v21, v100, v99, s[16:17]
	v_cndmask_b32_e64 v21, v21, 0, s[0:1]
	v_add_u32_e32 v20, v20, v21
	s_branch .LBB2517_105
.LBB2517_95:
                                        ; implicit-def: $vgpr19
                                        ; implicit-def: $vgpr20
	s_cbranch_execz .LBB2517_105
; %bb.96:
	s_waitcnt lgkmcnt(0)
	v_mov_b32_dpp v18, v98 row_shr:1 row_mask:0xf bank_mask:0xf
	v_cndmask_b32_e64 v18, v18, 0, s[14:15]
	v_add_u32_e32 v18, v18, v98
	s_nop 1
	v_mov_b32_dpp v19, v18 row_shr:2 row_mask:0xf bank_mask:0xf
	v_cndmask_b32_e64 v19, 0, v19, s[12:13]
	v_add_u32_e32 v18, v18, v19
	s_nop 1
	;; [unrolled: 4-line block ×4, first 2 shown]
	v_mov_b32_dpp v19, v18 row_bcast:15 row_mask:0xf bank_mask:0xf
	v_cndmask_b32_e64 v19, v19, 0, s[6:7]
	v_add_u32_e32 v18, v18, v19
	s_nop 1
	v_mov_b32_dpp v19, v18 row_bcast:31 row_mask:0xf bank_mask:0xf
	v_cndmask_b32_e64 v19, 0, v19, s[2:3]
	v_add_u32_e32 v18, v18, v19
	s_and_saveexec_b64 s[2:3], s[4:5]
	s_cbranch_execz .LBB2517_98
; %bb.97:
	v_lshlrev_b32_e32 v19, 2, v97
	ds_write_b32 v19, v18
.LBB2517_98:
	s_or_b64 exec, exec, s[2:3]
	v_cmp_gt_u32_e32 vcc, 4, v0
	s_waitcnt lgkmcnt(0)
	s_barrier
	s_and_saveexec_b64 s[2:3], vcc
	s_cbranch_execz .LBB2517_100
; %bb.99:
	v_lshlrev_b32_e32 v19, 2, v0
	ds_read_b32 v20, v19
	v_and_b32_e32 v21, 3, v96
	v_cmp_ne_u32_e32 vcc, 0, v21
	s_waitcnt lgkmcnt(0)
	v_mov_b32_dpp v22, v20 row_shr:1 row_mask:0xf bank_mask:0xf
	v_cndmask_b32_e32 v22, 0, v22, vcc
	v_add_u32_e32 v20, v22, v20
	v_cmp_lt_u32_e32 vcc, 1, v21
	s_nop 0
	v_mov_b32_dpp v22, v20 row_shr:2 row_mask:0xf bank_mask:0xf
	v_cndmask_b32_e32 v21, 0, v22, vcc
	v_add_u32_e32 v20, v20, v21
	ds_write_b32 v19, v20
.LBB2517_100:
	s_or_b64 exec, exec, s[2:3]
	v_cmp_lt_u32_e32 vcc, 63, v0
	v_mov_b32_e32 v19, 0
	v_mov_b32_e32 v0, 0
	s_waitcnt lgkmcnt(0)
	s_barrier
	s_and_saveexec_b64 s[2:3], vcc
	s_cbranch_execz .LBB2517_102
; %bb.101:
	v_lshl_add_u32 v0, v97, 2, -4
	ds_read_b32 v0, v0
.LBB2517_102:
	s_or_b64 exec, exec, s[2:3]
	v_add_u32_e32 v20, -1, v96
	v_and_b32_e32 v21, 64, v96
	v_cmp_lt_i32_e32 vcc, v20, v21
	v_cndmask_b32_e32 v20, v20, v96, vcc
	s_waitcnt lgkmcnt(0)
	v_add_u32_e32 v18, v0, v18
	v_lshlrev_b32_e32 v20, 2, v20
	ds_bpermute_b32 v20, v20, v18
	ds_read_b32 v18, v19 offset:12
	s_and_saveexec_b64 s[2:3], s[0:1]
	s_cbranch_execz .LBB2517_104
; %bb.103:
	v_mov_b32_e32 v21, 0
	v_mov_b32_e32 v19, 2
	s_waitcnt lgkmcnt(0)
	global_store_dwordx2 v21, v[18:19], s[24:25] offset:512
.LBB2517_104:
	s_or_b64 exec, exec, s[2:3]
	v_cmp_eq_u32_e32 vcc, 0, v96
	s_waitcnt lgkmcnt(1)
	v_cndmask_b32_e32 v0, v20, v0, vcc
	v_mov_b32_e32 v19, 0
	v_cndmask_b32_e64 v20, v0, 0, s[0:1]
	s_waitcnt lgkmcnt(0)
	s_barrier
.LBB2517_105:
	v_add_u32_e32 v0, v20, v70
	v_add_u32_e32 v21, v0, v71
	;; [unrolled: 1-line block ×18, first 2 shown]
	s_waitcnt lgkmcnt(0)
	v_add_u32_e32 v40, v18, v40
	v_sub_u32_e32 v20, v20, v19
	v_and_b32_e32 v69, 1, v69
	v_add_u32_e32 v80, v79, v88
	v_sub_u32_e32 v88, v40, v20
	v_cmp_eq_u32_e32 vcc, 1, v69
	v_cndmask_b32_e32 v20, v88, v20, vcc
	v_lshlrev_b32_e32 v20, 1, v20
	v_sub_u32_e32 v0, v0, v19
	ds_write_b16 v20, v10
	v_sub_u32_e32 v10, v40, v0
	v_and_b32_e32 v20, 1, v68
	v_add_u32_e32 v10, 1, v10
	v_cmp_eq_u32_e32 vcc, 1, v20
	v_cndmask_b32_e32 v0, v10, v0, vcc
	v_lshlrev_b32_e32 v0, 1, v0
	ds_write_b16 v0, v41
	v_sub_u32_e32 v0, v21, v19
	v_sub_u32_e32 v10, v40, v0
	v_and_b32_e32 v20, 1, v67
	v_add_u32_e32 v10, 2, v10
	v_cmp_eq_u32_e32 vcc, 1, v20
	v_cndmask_b32_e32 v0, v10, v0, vcc
	v_lshlrev_b32_e32 v0, 1, v0
	ds_write_b16 v0, v11
	v_sub_u32_e32 v0, v22, v19
	;; [unrolled: 8-line block ×18, first 2 shown]
	v_sub_u32_e32 v2, v40, v0
	v_and_b32_e32 v3, 1, v50
	v_add_u32_e32 v2, 19, v2
	v_cmp_eq_u32_e32 vcc, 1, v3
	v_cndmask_b32_e32 v0, v2, v0, vcc
	v_add_u32_e32 v81, v80, v89
	v_lshlrev_b32_e32 v0, 1, v0
	ds_write_b16 v0, v31
	v_sub_u32_e32 v0, v81, v19
	v_sub_u32_e32 v2, v40, v0
	v_and_b32_e32 v3, 1, v49
	v_add_u32_e32 v2, 20, v2
	v_cmp_eq_u32_e32 vcc, 1, v3
	v_cndmask_b32_e32 v0, v2, v0, vcc
	v_add_u32_e32 v82, v81, v90
	v_lshlrev_b32_e32 v0, 1, v0
	ds_write_b16 v0, v4
	v_sub_u32_e32 v0, v82, v19
	;; [unrolled: 9-line block ×7, first 2 shown]
	v_sub_u32_e32 v2, v40, v0
	v_and_b32_e32 v3, 1, v42
	v_add_u32_e32 v2, 26, v2
	v_cmp_eq_u32_e32 vcc, 1, v3
	v_cndmask_b32_e32 v0, v2, v0, vcc
	v_lshlrev_b32_e32 v0, 1, v0
	ds_write_b16 v0, v17
	v_sub_u32_sdwa v0, v42, v19 dst_sel:DWORD dst_unused:UNUSED_PAD src0_sel:BYTE_0 src1_sel:DWORD
	v_add_u32_e32 v0, v87, v0
	v_sub_u32_e32 v2, v40, v0
	v_and_b32_e32 v3, 1, v43
	v_add_u32_e32 v2, 27, v2
	v_cmp_eq_u32_e32 vcc, 1, v3
	v_cndmask_b32_e32 v0, v2, v0, vcc
	v_lshlrev_b32_e32 v0, 1, v0
	s_and_b64 s[0:1], s[0:1], s[18:19]
	ds_write_b16 v0, v1
	s_waitcnt lgkmcnt(0)
	s_barrier
	s_and_saveexec_b64 s[2:3], s[0:1]
	s_cbranch_execz .LBB2517_107
; %bb.106:
	s_waitcnt vmcnt(0)
	v_add_co_u32_e32 v0, vcc, v14, v18
	v_addc_co_u32_e32 v1, vcc, 0, v15, vcc
	v_add_co_u32_e32 v0, vcc, v0, v19
	v_mov_b32_e32 v2, 0
	v_addc_co_u32_e32 v1, vcc, 0, v1, vcc
	global_store_dwordx2 v2, v[0:1], s[20:21]
.LBB2517_107:
	s_endpgm
	.section	.rodata,"a",@progbits
	.p2align	6, 0x0
	.amdhsa_kernel _ZN7rocprim17ROCPRIM_400000_NS6detail17trampoline_kernelINS0_14default_configENS1_25partition_config_selectorILNS1_17partition_subalgoE0EtNS0_10empty_typeEbEEZZNS1_14partition_implILS5_0ELb0ES3_jN6thrust23THRUST_200600_302600_NS6detail15normal_iteratorINSA_10device_ptrItEEEEPS6_SG_NS0_5tupleIJNSA_16discard_iteratorINSA_11use_defaultEEESK_EEENSH_IJSG_SG_EEES6_PlJ7is_evenItEEEE10hipError_tPvRmT3_T4_T5_T6_T7_T9_mT8_P12ihipStream_tbDpT10_ENKUlT_T0_E_clISt17integral_constantIbLb0EES18_IbLb1EEEEDaS14_S15_EUlS14_E_NS1_11comp_targetILNS1_3genE4ELNS1_11target_archE910ELNS1_3gpuE8ELNS1_3repE0EEENS1_30default_config_static_selectorELNS0_4arch9wavefront6targetE1EEEvT1_
		.amdhsa_group_segment_fixed_size 14344
		.amdhsa_private_segment_fixed_size 0
		.amdhsa_kernarg_size 152
		.amdhsa_user_sgpr_count 6
		.amdhsa_user_sgpr_private_segment_buffer 1
		.amdhsa_user_sgpr_dispatch_ptr 0
		.amdhsa_user_sgpr_queue_ptr 0
		.amdhsa_user_sgpr_kernarg_segment_ptr 1
		.amdhsa_user_sgpr_dispatch_id 0
		.amdhsa_user_sgpr_flat_scratch_init 0
		.amdhsa_user_sgpr_kernarg_preload_length 0
		.amdhsa_user_sgpr_kernarg_preload_offset 0
		.amdhsa_user_sgpr_private_segment_size 0
		.amdhsa_uses_dynamic_stack 0
		.amdhsa_system_sgpr_private_segment_wavefront_offset 0
		.amdhsa_system_sgpr_workgroup_id_x 1
		.amdhsa_system_sgpr_workgroup_id_y 0
		.amdhsa_system_sgpr_workgroup_id_z 0
		.amdhsa_system_sgpr_workgroup_info 0
		.amdhsa_system_vgpr_workitem_id 0
		.amdhsa_next_free_vgpr 115
		.amdhsa_next_free_sgpr 36
		.amdhsa_accum_offset 116
		.amdhsa_reserve_vcc 1
		.amdhsa_reserve_flat_scratch 0
		.amdhsa_float_round_mode_32 0
		.amdhsa_float_round_mode_16_64 0
		.amdhsa_float_denorm_mode_32 3
		.amdhsa_float_denorm_mode_16_64 3
		.amdhsa_dx10_clamp 1
		.amdhsa_ieee_mode 1
		.amdhsa_fp16_overflow 0
		.amdhsa_tg_split 0
		.amdhsa_exception_fp_ieee_invalid_op 0
		.amdhsa_exception_fp_denorm_src 0
		.amdhsa_exception_fp_ieee_div_zero 0
		.amdhsa_exception_fp_ieee_overflow 0
		.amdhsa_exception_fp_ieee_underflow 0
		.amdhsa_exception_fp_ieee_inexact 0
		.amdhsa_exception_int_div_zero 0
	.end_amdhsa_kernel
	.section	.text._ZN7rocprim17ROCPRIM_400000_NS6detail17trampoline_kernelINS0_14default_configENS1_25partition_config_selectorILNS1_17partition_subalgoE0EtNS0_10empty_typeEbEEZZNS1_14partition_implILS5_0ELb0ES3_jN6thrust23THRUST_200600_302600_NS6detail15normal_iteratorINSA_10device_ptrItEEEEPS6_SG_NS0_5tupleIJNSA_16discard_iteratorINSA_11use_defaultEEESK_EEENSH_IJSG_SG_EEES6_PlJ7is_evenItEEEE10hipError_tPvRmT3_T4_T5_T6_T7_T9_mT8_P12ihipStream_tbDpT10_ENKUlT_T0_E_clISt17integral_constantIbLb0EES18_IbLb1EEEEDaS14_S15_EUlS14_E_NS1_11comp_targetILNS1_3genE4ELNS1_11target_archE910ELNS1_3gpuE8ELNS1_3repE0EEENS1_30default_config_static_selectorELNS0_4arch9wavefront6targetE1EEEvT1_,"axG",@progbits,_ZN7rocprim17ROCPRIM_400000_NS6detail17trampoline_kernelINS0_14default_configENS1_25partition_config_selectorILNS1_17partition_subalgoE0EtNS0_10empty_typeEbEEZZNS1_14partition_implILS5_0ELb0ES3_jN6thrust23THRUST_200600_302600_NS6detail15normal_iteratorINSA_10device_ptrItEEEEPS6_SG_NS0_5tupleIJNSA_16discard_iteratorINSA_11use_defaultEEESK_EEENSH_IJSG_SG_EEES6_PlJ7is_evenItEEEE10hipError_tPvRmT3_T4_T5_T6_T7_T9_mT8_P12ihipStream_tbDpT10_ENKUlT_T0_E_clISt17integral_constantIbLb0EES18_IbLb1EEEEDaS14_S15_EUlS14_E_NS1_11comp_targetILNS1_3genE4ELNS1_11target_archE910ELNS1_3gpuE8ELNS1_3repE0EEENS1_30default_config_static_selectorELNS0_4arch9wavefront6targetE1EEEvT1_,comdat
.Lfunc_end2517:
	.size	_ZN7rocprim17ROCPRIM_400000_NS6detail17trampoline_kernelINS0_14default_configENS1_25partition_config_selectorILNS1_17partition_subalgoE0EtNS0_10empty_typeEbEEZZNS1_14partition_implILS5_0ELb0ES3_jN6thrust23THRUST_200600_302600_NS6detail15normal_iteratorINSA_10device_ptrItEEEEPS6_SG_NS0_5tupleIJNSA_16discard_iteratorINSA_11use_defaultEEESK_EEENSH_IJSG_SG_EEES6_PlJ7is_evenItEEEE10hipError_tPvRmT3_T4_T5_T6_T7_T9_mT8_P12ihipStream_tbDpT10_ENKUlT_T0_E_clISt17integral_constantIbLb0EES18_IbLb1EEEEDaS14_S15_EUlS14_E_NS1_11comp_targetILNS1_3genE4ELNS1_11target_archE910ELNS1_3gpuE8ELNS1_3repE0EEENS1_30default_config_static_selectorELNS0_4arch9wavefront6targetE1EEEvT1_, .Lfunc_end2517-_ZN7rocprim17ROCPRIM_400000_NS6detail17trampoline_kernelINS0_14default_configENS1_25partition_config_selectorILNS1_17partition_subalgoE0EtNS0_10empty_typeEbEEZZNS1_14partition_implILS5_0ELb0ES3_jN6thrust23THRUST_200600_302600_NS6detail15normal_iteratorINSA_10device_ptrItEEEEPS6_SG_NS0_5tupleIJNSA_16discard_iteratorINSA_11use_defaultEEESK_EEENSH_IJSG_SG_EEES6_PlJ7is_evenItEEEE10hipError_tPvRmT3_T4_T5_T6_T7_T9_mT8_P12ihipStream_tbDpT10_ENKUlT_T0_E_clISt17integral_constantIbLb0EES18_IbLb1EEEEDaS14_S15_EUlS14_E_NS1_11comp_targetILNS1_3genE4ELNS1_11target_archE910ELNS1_3gpuE8ELNS1_3repE0EEENS1_30default_config_static_selectorELNS0_4arch9wavefront6targetE1EEEvT1_
                                        ; -- End function
	.section	.AMDGPU.csdata,"",@progbits
; Kernel info:
; codeLenInByte = 6564
; NumSgprs: 40
; NumVgprs: 115
; NumAgprs: 0
; TotalNumVgprs: 115
; ScratchSize: 0
; MemoryBound: 0
; FloatMode: 240
; IeeeMode: 1
; LDSByteSize: 14344 bytes/workgroup (compile time only)
; SGPRBlocks: 4
; VGPRBlocks: 14
; NumSGPRsForWavesPerEU: 40
; NumVGPRsForWavesPerEU: 115
; AccumOffset: 116
; Occupancy: 4
; WaveLimiterHint : 1
; COMPUTE_PGM_RSRC2:SCRATCH_EN: 0
; COMPUTE_PGM_RSRC2:USER_SGPR: 6
; COMPUTE_PGM_RSRC2:TRAP_HANDLER: 0
; COMPUTE_PGM_RSRC2:TGID_X_EN: 1
; COMPUTE_PGM_RSRC2:TGID_Y_EN: 0
; COMPUTE_PGM_RSRC2:TGID_Z_EN: 0
; COMPUTE_PGM_RSRC2:TIDIG_COMP_CNT: 0
; COMPUTE_PGM_RSRC3_GFX90A:ACCUM_OFFSET: 28
; COMPUTE_PGM_RSRC3_GFX90A:TG_SPLIT: 0
	.section	.text._ZN7rocprim17ROCPRIM_400000_NS6detail17trampoline_kernelINS0_14default_configENS1_25partition_config_selectorILNS1_17partition_subalgoE0EtNS0_10empty_typeEbEEZZNS1_14partition_implILS5_0ELb0ES3_jN6thrust23THRUST_200600_302600_NS6detail15normal_iteratorINSA_10device_ptrItEEEEPS6_SG_NS0_5tupleIJNSA_16discard_iteratorINSA_11use_defaultEEESK_EEENSH_IJSG_SG_EEES6_PlJ7is_evenItEEEE10hipError_tPvRmT3_T4_T5_T6_T7_T9_mT8_P12ihipStream_tbDpT10_ENKUlT_T0_E_clISt17integral_constantIbLb0EES18_IbLb1EEEEDaS14_S15_EUlS14_E_NS1_11comp_targetILNS1_3genE3ELNS1_11target_archE908ELNS1_3gpuE7ELNS1_3repE0EEENS1_30default_config_static_selectorELNS0_4arch9wavefront6targetE1EEEvT1_,"axG",@progbits,_ZN7rocprim17ROCPRIM_400000_NS6detail17trampoline_kernelINS0_14default_configENS1_25partition_config_selectorILNS1_17partition_subalgoE0EtNS0_10empty_typeEbEEZZNS1_14partition_implILS5_0ELb0ES3_jN6thrust23THRUST_200600_302600_NS6detail15normal_iteratorINSA_10device_ptrItEEEEPS6_SG_NS0_5tupleIJNSA_16discard_iteratorINSA_11use_defaultEEESK_EEENSH_IJSG_SG_EEES6_PlJ7is_evenItEEEE10hipError_tPvRmT3_T4_T5_T6_T7_T9_mT8_P12ihipStream_tbDpT10_ENKUlT_T0_E_clISt17integral_constantIbLb0EES18_IbLb1EEEEDaS14_S15_EUlS14_E_NS1_11comp_targetILNS1_3genE3ELNS1_11target_archE908ELNS1_3gpuE7ELNS1_3repE0EEENS1_30default_config_static_selectorELNS0_4arch9wavefront6targetE1EEEvT1_,comdat
	.protected	_ZN7rocprim17ROCPRIM_400000_NS6detail17trampoline_kernelINS0_14default_configENS1_25partition_config_selectorILNS1_17partition_subalgoE0EtNS0_10empty_typeEbEEZZNS1_14partition_implILS5_0ELb0ES3_jN6thrust23THRUST_200600_302600_NS6detail15normal_iteratorINSA_10device_ptrItEEEEPS6_SG_NS0_5tupleIJNSA_16discard_iteratorINSA_11use_defaultEEESK_EEENSH_IJSG_SG_EEES6_PlJ7is_evenItEEEE10hipError_tPvRmT3_T4_T5_T6_T7_T9_mT8_P12ihipStream_tbDpT10_ENKUlT_T0_E_clISt17integral_constantIbLb0EES18_IbLb1EEEEDaS14_S15_EUlS14_E_NS1_11comp_targetILNS1_3genE3ELNS1_11target_archE908ELNS1_3gpuE7ELNS1_3repE0EEENS1_30default_config_static_selectorELNS0_4arch9wavefront6targetE1EEEvT1_ ; -- Begin function _ZN7rocprim17ROCPRIM_400000_NS6detail17trampoline_kernelINS0_14default_configENS1_25partition_config_selectorILNS1_17partition_subalgoE0EtNS0_10empty_typeEbEEZZNS1_14partition_implILS5_0ELb0ES3_jN6thrust23THRUST_200600_302600_NS6detail15normal_iteratorINSA_10device_ptrItEEEEPS6_SG_NS0_5tupleIJNSA_16discard_iteratorINSA_11use_defaultEEESK_EEENSH_IJSG_SG_EEES6_PlJ7is_evenItEEEE10hipError_tPvRmT3_T4_T5_T6_T7_T9_mT8_P12ihipStream_tbDpT10_ENKUlT_T0_E_clISt17integral_constantIbLb0EES18_IbLb1EEEEDaS14_S15_EUlS14_E_NS1_11comp_targetILNS1_3genE3ELNS1_11target_archE908ELNS1_3gpuE7ELNS1_3repE0EEENS1_30default_config_static_selectorELNS0_4arch9wavefront6targetE1EEEvT1_
	.globl	_ZN7rocprim17ROCPRIM_400000_NS6detail17trampoline_kernelINS0_14default_configENS1_25partition_config_selectorILNS1_17partition_subalgoE0EtNS0_10empty_typeEbEEZZNS1_14partition_implILS5_0ELb0ES3_jN6thrust23THRUST_200600_302600_NS6detail15normal_iteratorINSA_10device_ptrItEEEEPS6_SG_NS0_5tupleIJNSA_16discard_iteratorINSA_11use_defaultEEESK_EEENSH_IJSG_SG_EEES6_PlJ7is_evenItEEEE10hipError_tPvRmT3_T4_T5_T6_T7_T9_mT8_P12ihipStream_tbDpT10_ENKUlT_T0_E_clISt17integral_constantIbLb0EES18_IbLb1EEEEDaS14_S15_EUlS14_E_NS1_11comp_targetILNS1_3genE3ELNS1_11target_archE908ELNS1_3gpuE7ELNS1_3repE0EEENS1_30default_config_static_selectorELNS0_4arch9wavefront6targetE1EEEvT1_
	.p2align	8
	.type	_ZN7rocprim17ROCPRIM_400000_NS6detail17trampoline_kernelINS0_14default_configENS1_25partition_config_selectorILNS1_17partition_subalgoE0EtNS0_10empty_typeEbEEZZNS1_14partition_implILS5_0ELb0ES3_jN6thrust23THRUST_200600_302600_NS6detail15normal_iteratorINSA_10device_ptrItEEEEPS6_SG_NS0_5tupleIJNSA_16discard_iteratorINSA_11use_defaultEEESK_EEENSH_IJSG_SG_EEES6_PlJ7is_evenItEEEE10hipError_tPvRmT3_T4_T5_T6_T7_T9_mT8_P12ihipStream_tbDpT10_ENKUlT_T0_E_clISt17integral_constantIbLb0EES18_IbLb1EEEEDaS14_S15_EUlS14_E_NS1_11comp_targetILNS1_3genE3ELNS1_11target_archE908ELNS1_3gpuE7ELNS1_3repE0EEENS1_30default_config_static_selectorELNS0_4arch9wavefront6targetE1EEEvT1_,@function
_ZN7rocprim17ROCPRIM_400000_NS6detail17trampoline_kernelINS0_14default_configENS1_25partition_config_selectorILNS1_17partition_subalgoE0EtNS0_10empty_typeEbEEZZNS1_14partition_implILS5_0ELb0ES3_jN6thrust23THRUST_200600_302600_NS6detail15normal_iteratorINSA_10device_ptrItEEEEPS6_SG_NS0_5tupleIJNSA_16discard_iteratorINSA_11use_defaultEEESK_EEENSH_IJSG_SG_EEES6_PlJ7is_evenItEEEE10hipError_tPvRmT3_T4_T5_T6_T7_T9_mT8_P12ihipStream_tbDpT10_ENKUlT_T0_E_clISt17integral_constantIbLb0EES18_IbLb1EEEEDaS14_S15_EUlS14_E_NS1_11comp_targetILNS1_3genE3ELNS1_11target_archE908ELNS1_3gpuE7ELNS1_3repE0EEENS1_30default_config_static_selectorELNS0_4arch9wavefront6targetE1EEEvT1_: ; @_ZN7rocprim17ROCPRIM_400000_NS6detail17trampoline_kernelINS0_14default_configENS1_25partition_config_selectorILNS1_17partition_subalgoE0EtNS0_10empty_typeEbEEZZNS1_14partition_implILS5_0ELb0ES3_jN6thrust23THRUST_200600_302600_NS6detail15normal_iteratorINSA_10device_ptrItEEEEPS6_SG_NS0_5tupleIJNSA_16discard_iteratorINSA_11use_defaultEEESK_EEENSH_IJSG_SG_EEES6_PlJ7is_evenItEEEE10hipError_tPvRmT3_T4_T5_T6_T7_T9_mT8_P12ihipStream_tbDpT10_ENKUlT_T0_E_clISt17integral_constantIbLb0EES18_IbLb1EEEEDaS14_S15_EUlS14_E_NS1_11comp_targetILNS1_3genE3ELNS1_11target_archE908ELNS1_3gpuE7ELNS1_3repE0EEENS1_30default_config_static_selectorELNS0_4arch9wavefront6targetE1EEEvT1_
; %bb.0:
	.section	.rodata,"a",@progbits
	.p2align	6, 0x0
	.amdhsa_kernel _ZN7rocprim17ROCPRIM_400000_NS6detail17trampoline_kernelINS0_14default_configENS1_25partition_config_selectorILNS1_17partition_subalgoE0EtNS0_10empty_typeEbEEZZNS1_14partition_implILS5_0ELb0ES3_jN6thrust23THRUST_200600_302600_NS6detail15normal_iteratorINSA_10device_ptrItEEEEPS6_SG_NS0_5tupleIJNSA_16discard_iteratorINSA_11use_defaultEEESK_EEENSH_IJSG_SG_EEES6_PlJ7is_evenItEEEE10hipError_tPvRmT3_T4_T5_T6_T7_T9_mT8_P12ihipStream_tbDpT10_ENKUlT_T0_E_clISt17integral_constantIbLb0EES18_IbLb1EEEEDaS14_S15_EUlS14_E_NS1_11comp_targetILNS1_3genE3ELNS1_11target_archE908ELNS1_3gpuE7ELNS1_3repE0EEENS1_30default_config_static_selectorELNS0_4arch9wavefront6targetE1EEEvT1_
		.amdhsa_group_segment_fixed_size 0
		.amdhsa_private_segment_fixed_size 0
		.amdhsa_kernarg_size 152
		.amdhsa_user_sgpr_count 6
		.amdhsa_user_sgpr_private_segment_buffer 1
		.amdhsa_user_sgpr_dispatch_ptr 0
		.amdhsa_user_sgpr_queue_ptr 0
		.amdhsa_user_sgpr_kernarg_segment_ptr 1
		.amdhsa_user_sgpr_dispatch_id 0
		.amdhsa_user_sgpr_flat_scratch_init 0
		.amdhsa_user_sgpr_kernarg_preload_length 0
		.amdhsa_user_sgpr_kernarg_preload_offset 0
		.amdhsa_user_sgpr_private_segment_size 0
		.amdhsa_uses_dynamic_stack 0
		.amdhsa_system_sgpr_private_segment_wavefront_offset 0
		.amdhsa_system_sgpr_workgroup_id_x 1
		.amdhsa_system_sgpr_workgroup_id_y 0
		.amdhsa_system_sgpr_workgroup_id_z 0
		.amdhsa_system_sgpr_workgroup_info 0
		.amdhsa_system_vgpr_workitem_id 0
		.amdhsa_next_free_vgpr 1
		.amdhsa_next_free_sgpr 0
		.amdhsa_accum_offset 4
		.amdhsa_reserve_vcc 0
		.amdhsa_reserve_flat_scratch 0
		.amdhsa_float_round_mode_32 0
		.amdhsa_float_round_mode_16_64 0
		.amdhsa_float_denorm_mode_32 3
		.amdhsa_float_denorm_mode_16_64 3
		.amdhsa_dx10_clamp 1
		.amdhsa_ieee_mode 1
		.amdhsa_fp16_overflow 0
		.amdhsa_tg_split 0
		.amdhsa_exception_fp_ieee_invalid_op 0
		.amdhsa_exception_fp_denorm_src 0
		.amdhsa_exception_fp_ieee_div_zero 0
		.amdhsa_exception_fp_ieee_overflow 0
		.amdhsa_exception_fp_ieee_underflow 0
		.amdhsa_exception_fp_ieee_inexact 0
		.amdhsa_exception_int_div_zero 0
	.end_amdhsa_kernel
	.section	.text._ZN7rocprim17ROCPRIM_400000_NS6detail17trampoline_kernelINS0_14default_configENS1_25partition_config_selectorILNS1_17partition_subalgoE0EtNS0_10empty_typeEbEEZZNS1_14partition_implILS5_0ELb0ES3_jN6thrust23THRUST_200600_302600_NS6detail15normal_iteratorINSA_10device_ptrItEEEEPS6_SG_NS0_5tupleIJNSA_16discard_iteratorINSA_11use_defaultEEESK_EEENSH_IJSG_SG_EEES6_PlJ7is_evenItEEEE10hipError_tPvRmT3_T4_T5_T6_T7_T9_mT8_P12ihipStream_tbDpT10_ENKUlT_T0_E_clISt17integral_constantIbLb0EES18_IbLb1EEEEDaS14_S15_EUlS14_E_NS1_11comp_targetILNS1_3genE3ELNS1_11target_archE908ELNS1_3gpuE7ELNS1_3repE0EEENS1_30default_config_static_selectorELNS0_4arch9wavefront6targetE1EEEvT1_,"axG",@progbits,_ZN7rocprim17ROCPRIM_400000_NS6detail17trampoline_kernelINS0_14default_configENS1_25partition_config_selectorILNS1_17partition_subalgoE0EtNS0_10empty_typeEbEEZZNS1_14partition_implILS5_0ELb0ES3_jN6thrust23THRUST_200600_302600_NS6detail15normal_iteratorINSA_10device_ptrItEEEEPS6_SG_NS0_5tupleIJNSA_16discard_iteratorINSA_11use_defaultEEESK_EEENSH_IJSG_SG_EEES6_PlJ7is_evenItEEEE10hipError_tPvRmT3_T4_T5_T6_T7_T9_mT8_P12ihipStream_tbDpT10_ENKUlT_T0_E_clISt17integral_constantIbLb0EES18_IbLb1EEEEDaS14_S15_EUlS14_E_NS1_11comp_targetILNS1_3genE3ELNS1_11target_archE908ELNS1_3gpuE7ELNS1_3repE0EEENS1_30default_config_static_selectorELNS0_4arch9wavefront6targetE1EEEvT1_,comdat
.Lfunc_end2518:
	.size	_ZN7rocprim17ROCPRIM_400000_NS6detail17trampoline_kernelINS0_14default_configENS1_25partition_config_selectorILNS1_17partition_subalgoE0EtNS0_10empty_typeEbEEZZNS1_14partition_implILS5_0ELb0ES3_jN6thrust23THRUST_200600_302600_NS6detail15normal_iteratorINSA_10device_ptrItEEEEPS6_SG_NS0_5tupleIJNSA_16discard_iteratorINSA_11use_defaultEEESK_EEENSH_IJSG_SG_EEES6_PlJ7is_evenItEEEE10hipError_tPvRmT3_T4_T5_T6_T7_T9_mT8_P12ihipStream_tbDpT10_ENKUlT_T0_E_clISt17integral_constantIbLb0EES18_IbLb1EEEEDaS14_S15_EUlS14_E_NS1_11comp_targetILNS1_3genE3ELNS1_11target_archE908ELNS1_3gpuE7ELNS1_3repE0EEENS1_30default_config_static_selectorELNS0_4arch9wavefront6targetE1EEEvT1_, .Lfunc_end2518-_ZN7rocprim17ROCPRIM_400000_NS6detail17trampoline_kernelINS0_14default_configENS1_25partition_config_selectorILNS1_17partition_subalgoE0EtNS0_10empty_typeEbEEZZNS1_14partition_implILS5_0ELb0ES3_jN6thrust23THRUST_200600_302600_NS6detail15normal_iteratorINSA_10device_ptrItEEEEPS6_SG_NS0_5tupleIJNSA_16discard_iteratorINSA_11use_defaultEEESK_EEENSH_IJSG_SG_EEES6_PlJ7is_evenItEEEE10hipError_tPvRmT3_T4_T5_T6_T7_T9_mT8_P12ihipStream_tbDpT10_ENKUlT_T0_E_clISt17integral_constantIbLb0EES18_IbLb1EEEEDaS14_S15_EUlS14_E_NS1_11comp_targetILNS1_3genE3ELNS1_11target_archE908ELNS1_3gpuE7ELNS1_3repE0EEENS1_30default_config_static_selectorELNS0_4arch9wavefront6targetE1EEEvT1_
                                        ; -- End function
	.section	.AMDGPU.csdata,"",@progbits
; Kernel info:
; codeLenInByte = 0
; NumSgprs: 4
; NumVgprs: 0
; NumAgprs: 0
; TotalNumVgprs: 0
; ScratchSize: 0
; MemoryBound: 0
; FloatMode: 240
; IeeeMode: 1
; LDSByteSize: 0 bytes/workgroup (compile time only)
; SGPRBlocks: 0
; VGPRBlocks: 0
; NumSGPRsForWavesPerEU: 4
; NumVGPRsForWavesPerEU: 1
; AccumOffset: 4
; Occupancy: 8
; WaveLimiterHint : 0
; COMPUTE_PGM_RSRC2:SCRATCH_EN: 0
; COMPUTE_PGM_RSRC2:USER_SGPR: 6
; COMPUTE_PGM_RSRC2:TRAP_HANDLER: 0
; COMPUTE_PGM_RSRC2:TGID_X_EN: 1
; COMPUTE_PGM_RSRC2:TGID_Y_EN: 0
; COMPUTE_PGM_RSRC2:TGID_Z_EN: 0
; COMPUTE_PGM_RSRC2:TIDIG_COMP_CNT: 0
; COMPUTE_PGM_RSRC3_GFX90A:ACCUM_OFFSET: 0
; COMPUTE_PGM_RSRC3_GFX90A:TG_SPLIT: 0
	.section	.text._ZN7rocprim17ROCPRIM_400000_NS6detail17trampoline_kernelINS0_14default_configENS1_25partition_config_selectorILNS1_17partition_subalgoE0EtNS0_10empty_typeEbEEZZNS1_14partition_implILS5_0ELb0ES3_jN6thrust23THRUST_200600_302600_NS6detail15normal_iteratorINSA_10device_ptrItEEEEPS6_SG_NS0_5tupleIJNSA_16discard_iteratorINSA_11use_defaultEEESK_EEENSH_IJSG_SG_EEES6_PlJ7is_evenItEEEE10hipError_tPvRmT3_T4_T5_T6_T7_T9_mT8_P12ihipStream_tbDpT10_ENKUlT_T0_E_clISt17integral_constantIbLb0EES18_IbLb1EEEEDaS14_S15_EUlS14_E_NS1_11comp_targetILNS1_3genE2ELNS1_11target_archE906ELNS1_3gpuE6ELNS1_3repE0EEENS1_30default_config_static_selectorELNS0_4arch9wavefront6targetE1EEEvT1_,"axG",@progbits,_ZN7rocprim17ROCPRIM_400000_NS6detail17trampoline_kernelINS0_14default_configENS1_25partition_config_selectorILNS1_17partition_subalgoE0EtNS0_10empty_typeEbEEZZNS1_14partition_implILS5_0ELb0ES3_jN6thrust23THRUST_200600_302600_NS6detail15normal_iteratorINSA_10device_ptrItEEEEPS6_SG_NS0_5tupleIJNSA_16discard_iteratorINSA_11use_defaultEEESK_EEENSH_IJSG_SG_EEES6_PlJ7is_evenItEEEE10hipError_tPvRmT3_T4_T5_T6_T7_T9_mT8_P12ihipStream_tbDpT10_ENKUlT_T0_E_clISt17integral_constantIbLb0EES18_IbLb1EEEEDaS14_S15_EUlS14_E_NS1_11comp_targetILNS1_3genE2ELNS1_11target_archE906ELNS1_3gpuE6ELNS1_3repE0EEENS1_30default_config_static_selectorELNS0_4arch9wavefront6targetE1EEEvT1_,comdat
	.protected	_ZN7rocprim17ROCPRIM_400000_NS6detail17trampoline_kernelINS0_14default_configENS1_25partition_config_selectorILNS1_17partition_subalgoE0EtNS0_10empty_typeEbEEZZNS1_14partition_implILS5_0ELb0ES3_jN6thrust23THRUST_200600_302600_NS6detail15normal_iteratorINSA_10device_ptrItEEEEPS6_SG_NS0_5tupleIJNSA_16discard_iteratorINSA_11use_defaultEEESK_EEENSH_IJSG_SG_EEES6_PlJ7is_evenItEEEE10hipError_tPvRmT3_T4_T5_T6_T7_T9_mT8_P12ihipStream_tbDpT10_ENKUlT_T0_E_clISt17integral_constantIbLb0EES18_IbLb1EEEEDaS14_S15_EUlS14_E_NS1_11comp_targetILNS1_3genE2ELNS1_11target_archE906ELNS1_3gpuE6ELNS1_3repE0EEENS1_30default_config_static_selectorELNS0_4arch9wavefront6targetE1EEEvT1_ ; -- Begin function _ZN7rocprim17ROCPRIM_400000_NS6detail17trampoline_kernelINS0_14default_configENS1_25partition_config_selectorILNS1_17partition_subalgoE0EtNS0_10empty_typeEbEEZZNS1_14partition_implILS5_0ELb0ES3_jN6thrust23THRUST_200600_302600_NS6detail15normal_iteratorINSA_10device_ptrItEEEEPS6_SG_NS0_5tupleIJNSA_16discard_iteratorINSA_11use_defaultEEESK_EEENSH_IJSG_SG_EEES6_PlJ7is_evenItEEEE10hipError_tPvRmT3_T4_T5_T6_T7_T9_mT8_P12ihipStream_tbDpT10_ENKUlT_T0_E_clISt17integral_constantIbLb0EES18_IbLb1EEEEDaS14_S15_EUlS14_E_NS1_11comp_targetILNS1_3genE2ELNS1_11target_archE906ELNS1_3gpuE6ELNS1_3repE0EEENS1_30default_config_static_selectorELNS0_4arch9wavefront6targetE1EEEvT1_
	.globl	_ZN7rocprim17ROCPRIM_400000_NS6detail17trampoline_kernelINS0_14default_configENS1_25partition_config_selectorILNS1_17partition_subalgoE0EtNS0_10empty_typeEbEEZZNS1_14partition_implILS5_0ELb0ES3_jN6thrust23THRUST_200600_302600_NS6detail15normal_iteratorINSA_10device_ptrItEEEEPS6_SG_NS0_5tupleIJNSA_16discard_iteratorINSA_11use_defaultEEESK_EEENSH_IJSG_SG_EEES6_PlJ7is_evenItEEEE10hipError_tPvRmT3_T4_T5_T6_T7_T9_mT8_P12ihipStream_tbDpT10_ENKUlT_T0_E_clISt17integral_constantIbLb0EES18_IbLb1EEEEDaS14_S15_EUlS14_E_NS1_11comp_targetILNS1_3genE2ELNS1_11target_archE906ELNS1_3gpuE6ELNS1_3repE0EEENS1_30default_config_static_selectorELNS0_4arch9wavefront6targetE1EEEvT1_
	.p2align	8
	.type	_ZN7rocprim17ROCPRIM_400000_NS6detail17trampoline_kernelINS0_14default_configENS1_25partition_config_selectorILNS1_17partition_subalgoE0EtNS0_10empty_typeEbEEZZNS1_14partition_implILS5_0ELb0ES3_jN6thrust23THRUST_200600_302600_NS6detail15normal_iteratorINSA_10device_ptrItEEEEPS6_SG_NS0_5tupleIJNSA_16discard_iteratorINSA_11use_defaultEEESK_EEENSH_IJSG_SG_EEES6_PlJ7is_evenItEEEE10hipError_tPvRmT3_T4_T5_T6_T7_T9_mT8_P12ihipStream_tbDpT10_ENKUlT_T0_E_clISt17integral_constantIbLb0EES18_IbLb1EEEEDaS14_S15_EUlS14_E_NS1_11comp_targetILNS1_3genE2ELNS1_11target_archE906ELNS1_3gpuE6ELNS1_3repE0EEENS1_30default_config_static_selectorELNS0_4arch9wavefront6targetE1EEEvT1_,@function
_ZN7rocprim17ROCPRIM_400000_NS6detail17trampoline_kernelINS0_14default_configENS1_25partition_config_selectorILNS1_17partition_subalgoE0EtNS0_10empty_typeEbEEZZNS1_14partition_implILS5_0ELb0ES3_jN6thrust23THRUST_200600_302600_NS6detail15normal_iteratorINSA_10device_ptrItEEEEPS6_SG_NS0_5tupleIJNSA_16discard_iteratorINSA_11use_defaultEEESK_EEENSH_IJSG_SG_EEES6_PlJ7is_evenItEEEE10hipError_tPvRmT3_T4_T5_T6_T7_T9_mT8_P12ihipStream_tbDpT10_ENKUlT_T0_E_clISt17integral_constantIbLb0EES18_IbLb1EEEEDaS14_S15_EUlS14_E_NS1_11comp_targetILNS1_3genE2ELNS1_11target_archE906ELNS1_3gpuE6ELNS1_3repE0EEENS1_30default_config_static_selectorELNS0_4arch9wavefront6targetE1EEEvT1_: ; @_ZN7rocprim17ROCPRIM_400000_NS6detail17trampoline_kernelINS0_14default_configENS1_25partition_config_selectorILNS1_17partition_subalgoE0EtNS0_10empty_typeEbEEZZNS1_14partition_implILS5_0ELb0ES3_jN6thrust23THRUST_200600_302600_NS6detail15normal_iteratorINSA_10device_ptrItEEEEPS6_SG_NS0_5tupleIJNSA_16discard_iteratorINSA_11use_defaultEEESK_EEENSH_IJSG_SG_EEES6_PlJ7is_evenItEEEE10hipError_tPvRmT3_T4_T5_T6_T7_T9_mT8_P12ihipStream_tbDpT10_ENKUlT_T0_E_clISt17integral_constantIbLb0EES18_IbLb1EEEEDaS14_S15_EUlS14_E_NS1_11comp_targetILNS1_3genE2ELNS1_11target_archE906ELNS1_3gpuE6ELNS1_3repE0EEENS1_30default_config_static_selectorELNS0_4arch9wavefront6targetE1EEEvT1_
; %bb.0:
	.section	.rodata,"a",@progbits
	.p2align	6, 0x0
	.amdhsa_kernel _ZN7rocprim17ROCPRIM_400000_NS6detail17trampoline_kernelINS0_14default_configENS1_25partition_config_selectorILNS1_17partition_subalgoE0EtNS0_10empty_typeEbEEZZNS1_14partition_implILS5_0ELb0ES3_jN6thrust23THRUST_200600_302600_NS6detail15normal_iteratorINSA_10device_ptrItEEEEPS6_SG_NS0_5tupleIJNSA_16discard_iteratorINSA_11use_defaultEEESK_EEENSH_IJSG_SG_EEES6_PlJ7is_evenItEEEE10hipError_tPvRmT3_T4_T5_T6_T7_T9_mT8_P12ihipStream_tbDpT10_ENKUlT_T0_E_clISt17integral_constantIbLb0EES18_IbLb1EEEEDaS14_S15_EUlS14_E_NS1_11comp_targetILNS1_3genE2ELNS1_11target_archE906ELNS1_3gpuE6ELNS1_3repE0EEENS1_30default_config_static_selectorELNS0_4arch9wavefront6targetE1EEEvT1_
		.amdhsa_group_segment_fixed_size 0
		.amdhsa_private_segment_fixed_size 0
		.amdhsa_kernarg_size 152
		.amdhsa_user_sgpr_count 6
		.amdhsa_user_sgpr_private_segment_buffer 1
		.amdhsa_user_sgpr_dispatch_ptr 0
		.amdhsa_user_sgpr_queue_ptr 0
		.amdhsa_user_sgpr_kernarg_segment_ptr 1
		.amdhsa_user_sgpr_dispatch_id 0
		.amdhsa_user_sgpr_flat_scratch_init 0
		.amdhsa_user_sgpr_kernarg_preload_length 0
		.amdhsa_user_sgpr_kernarg_preload_offset 0
		.amdhsa_user_sgpr_private_segment_size 0
		.amdhsa_uses_dynamic_stack 0
		.amdhsa_system_sgpr_private_segment_wavefront_offset 0
		.amdhsa_system_sgpr_workgroup_id_x 1
		.amdhsa_system_sgpr_workgroup_id_y 0
		.amdhsa_system_sgpr_workgroup_id_z 0
		.amdhsa_system_sgpr_workgroup_info 0
		.amdhsa_system_vgpr_workitem_id 0
		.amdhsa_next_free_vgpr 1
		.amdhsa_next_free_sgpr 0
		.amdhsa_accum_offset 4
		.amdhsa_reserve_vcc 0
		.amdhsa_reserve_flat_scratch 0
		.amdhsa_float_round_mode_32 0
		.amdhsa_float_round_mode_16_64 0
		.amdhsa_float_denorm_mode_32 3
		.amdhsa_float_denorm_mode_16_64 3
		.amdhsa_dx10_clamp 1
		.amdhsa_ieee_mode 1
		.amdhsa_fp16_overflow 0
		.amdhsa_tg_split 0
		.amdhsa_exception_fp_ieee_invalid_op 0
		.amdhsa_exception_fp_denorm_src 0
		.amdhsa_exception_fp_ieee_div_zero 0
		.amdhsa_exception_fp_ieee_overflow 0
		.amdhsa_exception_fp_ieee_underflow 0
		.amdhsa_exception_fp_ieee_inexact 0
		.amdhsa_exception_int_div_zero 0
	.end_amdhsa_kernel
	.section	.text._ZN7rocprim17ROCPRIM_400000_NS6detail17trampoline_kernelINS0_14default_configENS1_25partition_config_selectorILNS1_17partition_subalgoE0EtNS0_10empty_typeEbEEZZNS1_14partition_implILS5_0ELb0ES3_jN6thrust23THRUST_200600_302600_NS6detail15normal_iteratorINSA_10device_ptrItEEEEPS6_SG_NS0_5tupleIJNSA_16discard_iteratorINSA_11use_defaultEEESK_EEENSH_IJSG_SG_EEES6_PlJ7is_evenItEEEE10hipError_tPvRmT3_T4_T5_T6_T7_T9_mT8_P12ihipStream_tbDpT10_ENKUlT_T0_E_clISt17integral_constantIbLb0EES18_IbLb1EEEEDaS14_S15_EUlS14_E_NS1_11comp_targetILNS1_3genE2ELNS1_11target_archE906ELNS1_3gpuE6ELNS1_3repE0EEENS1_30default_config_static_selectorELNS0_4arch9wavefront6targetE1EEEvT1_,"axG",@progbits,_ZN7rocprim17ROCPRIM_400000_NS6detail17trampoline_kernelINS0_14default_configENS1_25partition_config_selectorILNS1_17partition_subalgoE0EtNS0_10empty_typeEbEEZZNS1_14partition_implILS5_0ELb0ES3_jN6thrust23THRUST_200600_302600_NS6detail15normal_iteratorINSA_10device_ptrItEEEEPS6_SG_NS0_5tupleIJNSA_16discard_iteratorINSA_11use_defaultEEESK_EEENSH_IJSG_SG_EEES6_PlJ7is_evenItEEEE10hipError_tPvRmT3_T4_T5_T6_T7_T9_mT8_P12ihipStream_tbDpT10_ENKUlT_T0_E_clISt17integral_constantIbLb0EES18_IbLb1EEEEDaS14_S15_EUlS14_E_NS1_11comp_targetILNS1_3genE2ELNS1_11target_archE906ELNS1_3gpuE6ELNS1_3repE0EEENS1_30default_config_static_selectorELNS0_4arch9wavefront6targetE1EEEvT1_,comdat
.Lfunc_end2519:
	.size	_ZN7rocprim17ROCPRIM_400000_NS6detail17trampoline_kernelINS0_14default_configENS1_25partition_config_selectorILNS1_17partition_subalgoE0EtNS0_10empty_typeEbEEZZNS1_14partition_implILS5_0ELb0ES3_jN6thrust23THRUST_200600_302600_NS6detail15normal_iteratorINSA_10device_ptrItEEEEPS6_SG_NS0_5tupleIJNSA_16discard_iteratorINSA_11use_defaultEEESK_EEENSH_IJSG_SG_EEES6_PlJ7is_evenItEEEE10hipError_tPvRmT3_T4_T5_T6_T7_T9_mT8_P12ihipStream_tbDpT10_ENKUlT_T0_E_clISt17integral_constantIbLb0EES18_IbLb1EEEEDaS14_S15_EUlS14_E_NS1_11comp_targetILNS1_3genE2ELNS1_11target_archE906ELNS1_3gpuE6ELNS1_3repE0EEENS1_30default_config_static_selectorELNS0_4arch9wavefront6targetE1EEEvT1_, .Lfunc_end2519-_ZN7rocprim17ROCPRIM_400000_NS6detail17trampoline_kernelINS0_14default_configENS1_25partition_config_selectorILNS1_17partition_subalgoE0EtNS0_10empty_typeEbEEZZNS1_14partition_implILS5_0ELb0ES3_jN6thrust23THRUST_200600_302600_NS6detail15normal_iteratorINSA_10device_ptrItEEEEPS6_SG_NS0_5tupleIJNSA_16discard_iteratorINSA_11use_defaultEEESK_EEENSH_IJSG_SG_EEES6_PlJ7is_evenItEEEE10hipError_tPvRmT3_T4_T5_T6_T7_T9_mT8_P12ihipStream_tbDpT10_ENKUlT_T0_E_clISt17integral_constantIbLb0EES18_IbLb1EEEEDaS14_S15_EUlS14_E_NS1_11comp_targetILNS1_3genE2ELNS1_11target_archE906ELNS1_3gpuE6ELNS1_3repE0EEENS1_30default_config_static_selectorELNS0_4arch9wavefront6targetE1EEEvT1_
                                        ; -- End function
	.section	.AMDGPU.csdata,"",@progbits
; Kernel info:
; codeLenInByte = 0
; NumSgprs: 4
; NumVgprs: 0
; NumAgprs: 0
; TotalNumVgprs: 0
; ScratchSize: 0
; MemoryBound: 0
; FloatMode: 240
; IeeeMode: 1
; LDSByteSize: 0 bytes/workgroup (compile time only)
; SGPRBlocks: 0
; VGPRBlocks: 0
; NumSGPRsForWavesPerEU: 4
; NumVGPRsForWavesPerEU: 1
; AccumOffset: 4
; Occupancy: 8
; WaveLimiterHint : 0
; COMPUTE_PGM_RSRC2:SCRATCH_EN: 0
; COMPUTE_PGM_RSRC2:USER_SGPR: 6
; COMPUTE_PGM_RSRC2:TRAP_HANDLER: 0
; COMPUTE_PGM_RSRC2:TGID_X_EN: 1
; COMPUTE_PGM_RSRC2:TGID_Y_EN: 0
; COMPUTE_PGM_RSRC2:TGID_Z_EN: 0
; COMPUTE_PGM_RSRC2:TIDIG_COMP_CNT: 0
; COMPUTE_PGM_RSRC3_GFX90A:ACCUM_OFFSET: 0
; COMPUTE_PGM_RSRC3_GFX90A:TG_SPLIT: 0
	.section	.text._ZN7rocprim17ROCPRIM_400000_NS6detail17trampoline_kernelINS0_14default_configENS1_25partition_config_selectorILNS1_17partition_subalgoE0EtNS0_10empty_typeEbEEZZNS1_14partition_implILS5_0ELb0ES3_jN6thrust23THRUST_200600_302600_NS6detail15normal_iteratorINSA_10device_ptrItEEEEPS6_SG_NS0_5tupleIJNSA_16discard_iteratorINSA_11use_defaultEEESK_EEENSH_IJSG_SG_EEES6_PlJ7is_evenItEEEE10hipError_tPvRmT3_T4_T5_T6_T7_T9_mT8_P12ihipStream_tbDpT10_ENKUlT_T0_E_clISt17integral_constantIbLb0EES18_IbLb1EEEEDaS14_S15_EUlS14_E_NS1_11comp_targetILNS1_3genE10ELNS1_11target_archE1200ELNS1_3gpuE4ELNS1_3repE0EEENS1_30default_config_static_selectorELNS0_4arch9wavefront6targetE1EEEvT1_,"axG",@progbits,_ZN7rocprim17ROCPRIM_400000_NS6detail17trampoline_kernelINS0_14default_configENS1_25partition_config_selectorILNS1_17partition_subalgoE0EtNS0_10empty_typeEbEEZZNS1_14partition_implILS5_0ELb0ES3_jN6thrust23THRUST_200600_302600_NS6detail15normal_iteratorINSA_10device_ptrItEEEEPS6_SG_NS0_5tupleIJNSA_16discard_iteratorINSA_11use_defaultEEESK_EEENSH_IJSG_SG_EEES6_PlJ7is_evenItEEEE10hipError_tPvRmT3_T4_T5_T6_T7_T9_mT8_P12ihipStream_tbDpT10_ENKUlT_T0_E_clISt17integral_constantIbLb0EES18_IbLb1EEEEDaS14_S15_EUlS14_E_NS1_11comp_targetILNS1_3genE10ELNS1_11target_archE1200ELNS1_3gpuE4ELNS1_3repE0EEENS1_30default_config_static_selectorELNS0_4arch9wavefront6targetE1EEEvT1_,comdat
	.protected	_ZN7rocprim17ROCPRIM_400000_NS6detail17trampoline_kernelINS0_14default_configENS1_25partition_config_selectorILNS1_17partition_subalgoE0EtNS0_10empty_typeEbEEZZNS1_14partition_implILS5_0ELb0ES3_jN6thrust23THRUST_200600_302600_NS6detail15normal_iteratorINSA_10device_ptrItEEEEPS6_SG_NS0_5tupleIJNSA_16discard_iteratorINSA_11use_defaultEEESK_EEENSH_IJSG_SG_EEES6_PlJ7is_evenItEEEE10hipError_tPvRmT3_T4_T5_T6_T7_T9_mT8_P12ihipStream_tbDpT10_ENKUlT_T0_E_clISt17integral_constantIbLb0EES18_IbLb1EEEEDaS14_S15_EUlS14_E_NS1_11comp_targetILNS1_3genE10ELNS1_11target_archE1200ELNS1_3gpuE4ELNS1_3repE0EEENS1_30default_config_static_selectorELNS0_4arch9wavefront6targetE1EEEvT1_ ; -- Begin function _ZN7rocprim17ROCPRIM_400000_NS6detail17trampoline_kernelINS0_14default_configENS1_25partition_config_selectorILNS1_17partition_subalgoE0EtNS0_10empty_typeEbEEZZNS1_14partition_implILS5_0ELb0ES3_jN6thrust23THRUST_200600_302600_NS6detail15normal_iteratorINSA_10device_ptrItEEEEPS6_SG_NS0_5tupleIJNSA_16discard_iteratorINSA_11use_defaultEEESK_EEENSH_IJSG_SG_EEES6_PlJ7is_evenItEEEE10hipError_tPvRmT3_T4_T5_T6_T7_T9_mT8_P12ihipStream_tbDpT10_ENKUlT_T0_E_clISt17integral_constantIbLb0EES18_IbLb1EEEEDaS14_S15_EUlS14_E_NS1_11comp_targetILNS1_3genE10ELNS1_11target_archE1200ELNS1_3gpuE4ELNS1_3repE0EEENS1_30default_config_static_selectorELNS0_4arch9wavefront6targetE1EEEvT1_
	.globl	_ZN7rocprim17ROCPRIM_400000_NS6detail17trampoline_kernelINS0_14default_configENS1_25partition_config_selectorILNS1_17partition_subalgoE0EtNS0_10empty_typeEbEEZZNS1_14partition_implILS5_0ELb0ES3_jN6thrust23THRUST_200600_302600_NS6detail15normal_iteratorINSA_10device_ptrItEEEEPS6_SG_NS0_5tupleIJNSA_16discard_iteratorINSA_11use_defaultEEESK_EEENSH_IJSG_SG_EEES6_PlJ7is_evenItEEEE10hipError_tPvRmT3_T4_T5_T6_T7_T9_mT8_P12ihipStream_tbDpT10_ENKUlT_T0_E_clISt17integral_constantIbLb0EES18_IbLb1EEEEDaS14_S15_EUlS14_E_NS1_11comp_targetILNS1_3genE10ELNS1_11target_archE1200ELNS1_3gpuE4ELNS1_3repE0EEENS1_30default_config_static_selectorELNS0_4arch9wavefront6targetE1EEEvT1_
	.p2align	8
	.type	_ZN7rocprim17ROCPRIM_400000_NS6detail17trampoline_kernelINS0_14default_configENS1_25partition_config_selectorILNS1_17partition_subalgoE0EtNS0_10empty_typeEbEEZZNS1_14partition_implILS5_0ELb0ES3_jN6thrust23THRUST_200600_302600_NS6detail15normal_iteratorINSA_10device_ptrItEEEEPS6_SG_NS0_5tupleIJNSA_16discard_iteratorINSA_11use_defaultEEESK_EEENSH_IJSG_SG_EEES6_PlJ7is_evenItEEEE10hipError_tPvRmT3_T4_T5_T6_T7_T9_mT8_P12ihipStream_tbDpT10_ENKUlT_T0_E_clISt17integral_constantIbLb0EES18_IbLb1EEEEDaS14_S15_EUlS14_E_NS1_11comp_targetILNS1_3genE10ELNS1_11target_archE1200ELNS1_3gpuE4ELNS1_3repE0EEENS1_30default_config_static_selectorELNS0_4arch9wavefront6targetE1EEEvT1_,@function
_ZN7rocprim17ROCPRIM_400000_NS6detail17trampoline_kernelINS0_14default_configENS1_25partition_config_selectorILNS1_17partition_subalgoE0EtNS0_10empty_typeEbEEZZNS1_14partition_implILS5_0ELb0ES3_jN6thrust23THRUST_200600_302600_NS6detail15normal_iteratorINSA_10device_ptrItEEEEPS6_SG_NS0_5tupleIJNSA_16discard_iteratorINSA_11use_defaultEEESK_EEENSH_IJSG_SG_EEES6_PlJ7is_evenItEEEE10hipError_tPvRmT3_T4_T5_T6_T7_T9_mT8_P12ihipStream_tbDpT10_ENKUlT_T0_E_clISt17integral_constantIbLb0EES18_IbLb1EEEEDaS14_S15_EUlS14_E_NS1_11comp_targetILNS1_3genE10ELNS1_11target_archE1200ELNS1_3gpuE4ELNS1_3repE0EEENS1_30default_config_static_selectorELNS0_4arch9wavefront6targetE1EEEvT1_: ; @_ZN7rocprim17ROCPRIM_400000_NS6detail17trampoline_kernelINS0_14default_configENS1_25partition_config_selectorILNS1_17partition_subalgoE0EtNS0_10empty_typeEbEEZZNS1_14partition_implILS5_0ELb0ES3_jN6thrust23THRUST_200600_302600_NS6detail15normal_iteratorINSA_10device_ptrItEEEEPS6_SG_NS0_5tupleIJNSA_16discard_iteratorINSA_11use_defaultEEESK_EEENSH_IJSG_SG_EEES6_PlJ7is_evenItEEEE10hipError_tPvRmT3_T4_T5_T6_T7_T9_mT8_P12ihipStream_tbDpT10_ENKUlT_T0_E_clISt17integral_constantIbLb0EES18_IbLb1EEEEDaS14_S15_EUlS14_E_NS1_11comp_targetILNS1_3genE10ELNS1_11target_archE1200ELNS1_3gpuE4ELNS1_3repE0EEENS1_30default_config_static_selectorELNS0_4arch9wavefront6targetE1EEEvT1_
; %bb.0:
	.section	.rodata,"a",@progbits
	.p2align	6, 0x0
	.amdhsa_kernel _ZN7rocprim17ROCPRIM_400000_NS6detail17trampoline_kernelINS0_14default_configENS1_25partition_config_selectorILNS1_17partition_subalgoE0EtNS0_10empty_typeEbEEZZNS1_14partition_implILS5_0ELb0ES3_jN6thrust23THRUST_200600_302600_NS6detail15normal_iteratorINSA_10device_ptrItEEEEPS6_SG_NS0_5tupleIJNSA_16discard_iteratorINSA_11use_defaultEEESK_EEENSH_IJSG_SG_EEES6_PlJ7is_evenItEEEE10hipError_tPvRmT3_T4_T5_T6_T7_T9_mT8_P12ihipStream_tbDpT10_ENKUlT_T0_E_clISt17integral_constantIbLb0EES18_IbLb1EEEEDaS14_S15_EUlS14_E_NS1_11comp_targetILNS1_3genE10ELNS1_11target_archE1200ELNS1_3gpuE4ELNS1_3repE0EEENS1_30default_config_static_selectorELNS0_4arch9wavefront6targetE1EEEvT1_
		.amdhsa_group_segment_fixed_size 0
		.amdhsa_private_segment_fixed_size 0
		.amdhsa_kernarg_size 152
		.amdhsa_user_sgpr_count 6
		.amdhsa_user_sgpr_private_segment_buffer 1
		.amdhsa_user_sgpr_dispatch_ptr 0
		.amdhsa_user_sgpr_queue_ptr 0
		.amdhsa_user_sgpr_kernarg_segment_ptr 1
		.amdhsa_user_sgpr_dispatch_id 0
		.amdhsa_user_sgpr_flat_scratch_init 0
		.amdhsa_user_sgpr_kernarg_preload_length 0
		.amdhsa_user_sgpr_kernarg_preload_offset 0
		.amdhsa_user_sgpr_private_segment_size 0
		.amdhsa_uses_dynamic_stack 0
		.amdhsa_system_sgpr_private_segment_wavefront_offset 0
		.amdhsa_system_sgpr_workgroup_id_x 1
		.amdhsa_system_sgpr_workgroup_id_y 0
		.amdhsa_system_sgpr_workgroup_id_z 0
		.amdhsa_system_sgpr_workgroup_info 0
		.amdhsa_system_vgpr_workitem_id 0
		.amdhsa_next_free_vgpr 1
		.amdhsa_next_free_sgpr 0
		.amdhsa_accum_offset 4
		.amdhsa_reserve_vcc 0
		.amdhsa_reserve_flat_scratch 0
		.amdhsa_float_round_mode_32 0
		.amdhsa_float_round_mode_16_64 0
		.amdhsa_float_denorm_mode_32 3
		.amdhsa_float_denorm_mode_16_64 3
		.amdhsa_dx10_clamp 1
		.amdhsa_ieee_mode 1
		.amdhsa_fp16_overflow 0
		.amdhsa_tg_split 0
		.amdhsa_exception_fp_ieee_invalid_op 0
		.amdhsa_exception_fp_denorm_src 0
		.amdhsa_exception_fp_ieee_div_zero 0
		.amdhsa_exception_fp_ieee_overflow 0
		.amdhsa_exception_fp_ieee_underflow 0
		.amdhsa_exception_fp_ieee_inexact 0
		.amdhsa_exception_int_div_zero 0
	.end_amdhsa_kernel
	.section	.text._ZN7rocprim17ROCPRIM_400000_NS6detail17trampoline_kernelINS0_14default_configENS1_25partition_config_selectorILNS1_17partition_subalgoE0EtNS0_10empty_typeEbEEZZNS1_14partition_implILS5_0ELb0ES3_jN6thrust23THRUST_200600_302600_NS6detail15normal_iteratorINSA_10device_ptrItEEEEPS6_SG_NS0_5tupleIJNSA_16discard_iteratorINSA_11use_defaultEEESK_EEENSH_IJSG_SG_EEES6_PlJ7is_evenItEEEE10hipError_tPvRmT3_T4_T5_T6_T7_T9_mT8_P12ihipStream_tbDpT10_ENKUlT_T0_E_clISt17integral_constantIbLb0EES18_IbLb1EEEEDaS14_S15_EUlS14_E_NS1_11comp_targetILNS1_3genE10ELNS1_11target_archE1200ELNS1_3gpuE4ELNS1_3repE0EEENS1_30default_config_static_selectorELNS0_4arch9wavefront6targetE1EEEvT1_,"axG",@progbits,_ZN7rocprim17ROCPRIM_400000_NS6detail17trampoline_kernelINS0_14default_configENS1_25partition_config_selectorILNS1_17partition_subalgoE0EtNS0_10empty_typeEbEEZZNS1_14partition_implILS5_0ELb0ES3_jN6thrust23THRUST_200600_302600_NS6detail15normal_iteratorINSA_10device_ptrItEEEEPS6_SG_NS0_5tupleIJNSA_16discard_iteratorINSA_11use_defaultEEESK_EEENSH_IJSG_SG_EEES6_PlJ7is_evenItEEEE10hipError_tPvRmT3_T4_T5_T6_T7_T9_mT8_P12ihipStream_tbDpT10_ENKUlT_T0_E_clISt17integral_constantIbLb0EES18_IbLb1EEEEDaS14_S15_EUlS14_E_NS1_11comp_targetILNS1_3genE10ELNS1_11target_archE1200ELNS1_3gpuE4ELNS1_3repE0EEENS1_30default_config_static_selectorELNS0_4arch9wavefront6targetE1EEEvT1_,comdat
.Lfunc_end2520:
	.size	_ZN7rocprim17ROCPRIM_400000_NS6detail17trampoline_kernelINS0_14default_configENS1_25partition_config_selectorILNS1_17partition_subalgoE0EtNS0_10empty_typeEbEEZZNS1_14partition_implILS5_0ELb0ES3_jN6thrust23THRUST_200600_302600_NS6detail15normal_iteratorINSA_10device_ptrItEEEEPS6_SG_NS0_5tupleIJNSA_16discard_iteratorINSA_11use_defaultEEESK_EEENSH_IJSG_SG_EEES6_PlJ7is_evenItEEEE10hipError_tPvRmT3_T4_T5_T6_T7_T9_mT8_P12ihipStream_tbDpT10_ENKUlT_T0_E_clISt17integral_constantIbLb0EES18_IbLb1EEEEDaS14_S15_EUlS14_E_NS1_11comp_targetILNS1_3genE10ELNS1_11target_archE1200ELNS1_3gpuE4ELNS1_3repE0EEENS1_30default_config_static_selectorELNS0_4arch9wavefront6targetE1EEEvT1_, .Lfunc_end2520-_ZN7rocprim17ROCPRIM_400000_NS6detail17trampoline_kernelINS0_14default_configENS1_25partition_config_selectorILNS1_17partition_subalgoE0EtNS0_10empty_typeEbEEZZNS1_14partition_implILS5_0ELb0ES3_jN6thrust23THRUST_200600_302600_NS6detail15normal_iteratorINSA_10device_ptrItEEEEPS6_SG_NS0_5tupleIJNSA_16discard_iteratorINSA_11use_defaultEEESK_EEENSH_IJSG_SG_EEES6_PlJ7is_evenItEEEE10hipError_tPvRmT3_T4_T5_T6_T7_T9_mT8_P12ihipStream_tbDpT10_ENKUlT_T0_E_clISt17integral_constantIbLb0EES18_IbLb1EEEEDaS14_S15_EUlS14_E_NS1_11comp_targetILNS1_3genE10ELNS1_11target_archE1200ELNS1_3gpuE4ELNS1_3repE0EEENS1_30default_config_static_selectorELNS0_4arch9wavefront6targetE1EEEvT1_
                                        ; -- End function
	.section	.AMDGPU.csdata,"",@progbits
; Kernel info:
; codeLenInByte = 0
; NumSgprs: 4
; NumVgprs: 0
; NumAgprs: 0
; TotalNumVgprs: 0
; ScratchSize: 0
; MemoryBound: 0
; FloatMode: 240
; IeeeMode: 1
; LDSByteSize: 0 bytes/workgroup (compile time only)
; SGPRBlocks: 0
; VGPRBlocks: 0
; NumSGPRsForWavesPerEU: 4
; NumVGPRsForWavesPerEU: 1
; AccumOffset: 4
; Occupancy: 8
; WaveLimiterHint : 0
; COMPUTE_PGM_RSRC2:SCRATCH_EN: 0
; COMPUTE_PGM_RSRC2:USER_SGPR: 6
; COMPUTE_PGM_RSRC2:TRAP_HANDLER: 0
; COMPUTE_PGM_RSRC2:TGID_X_EN: 1
; COMPUTE_PGM_RSRC2:TGID_Y_EN: 0
; COMPUTE_PGM_RSRC2:TGID_Z_EN: 0
; COMPUTE_PGM_RSRC2:TIDIG_COMP_CNT: 0
; COMPUTE_PGM_RSRC3_GFX90A:ACCUM_OFFSET: 0
; COMPUTE_PGM_RSRC3_GFX90A:TG_SPLIT: 0
	.section	.text._ZN7rocprim17ROCPRIM_400000_NS6detail17trampoline_kernelINS0_14default_configENS1_25partition_config_selectorILNS1_17partition_subalgoE0EtNS0_10empty_typeEbEEZZNS1_14partition_implILS5_0ELb0ES3_jN6thrust23THRUST_200600_302600_NS6detail15normal_iteratorINSA_10device_ptrItEEEEPS6_SG_NS0_5tupleIJNSA_16discard_iteratorINSA_11use_defaultEEESK_EEENSH_IJSG_SG_EEES6_PlJ7is_evenItEEEE10hipError_tPvRmT3_T4_T5_T6_T7_T9_mT8_P12ihipStream_tbDpT10_ENKUlT_T0_E_clISt17integral_constantIbLb0EES18_IbLb1EEEEDaS14_S15_EUlS14_E_NS1_11comp_targetILNS1_3genE9ELNS1_11target_archE1100ELNS1_3gpuE3ELNS1_3repE0EEENS1_30default_config_static_selectorELNS0_4arch9wavefront6targetE1EEEvT1_,"axG",@progbits,_ZN7rocprim17ROCPRIM_400000_NS6detail17trampoline_kernelINS0_14default_configENS1_25partition_config_selectorILNS1_17partition_subalgoE0EtNS0_10empty_typeEbEEZZNS1_14partition_implILS5_0ELb0ES3_jN6thrust23THRUST_200600_302600_NS6detail15normal_iteratorINSA_10device_ptrItEEEEPS6_SG_NS0_5tupleIJNSA_16discard_iteratorINSA_11use_defaultEEESK_EEENSH_IJSG_SG_EEES6_PlJ7is_evenItEEEE10hipError_tPvRmT3_T4_T5_T6_T7_T9_mT8_P12ihipStream_tbDpT10_ENKUlT_T0_E_clISt17integral_constantIbLb0EES18_IbLb1EEEEDaS14_S15_EUlS14_E_NS1_11comp_targetILNS1_3genE9ELNS1_11target_archE1100ELNS1_3gpuE3ELNS1_3repE0EEENS1_30default_config_static_selectorELNS0_4arch9wavefront6targetE1EEEvT1_,comdat
	.protected	_ZN7rocprim17ROCPRIM_400000_NS6detail17trampoline_kernelINS0_14default_configENS1_25partition_config_selectorILNS1_17partition_subalgoE0EtNS0_10empty_typeEbEEZZNS1_14partition_implILS5_0ELb0ES3_jN6thrust23THRUST_200600_302600_NS6detail15normal_iteratorINSA_10device_ptrItEEEEPS6_SG_NS0_5tupleIJNSA_16discard_iteratorINSA_11use_defaultEEESK_EEENSH_IJSG_SG_EEES6_PlJ7is_evenItEEEE10hipError_tPvRmT3_T4_T5_T6_T7_T9_mT8_P12ihipStream_tbDpT10_ENKUlT_T0_E_clISt17integral_constantIbLb0EES18_IbLb1EEEEDaS14_S15_EUlS14_E_NS1_11comp_targetILNS1_3genE9ELNS1_11target_archE1100ELNS1_3gpuE3ELNS1_3repE0EEENS1_30default_config_static_selectorELNS0_4arch9wavefront6targetE1EEEvT1_ ; -- Begin function _ZN7rocprim17ROCPRIM_400000_NS6detail17trampoline_kernelINS0_14default_configENS1_25partition_config_selectorILNS1_17partition_subalgoE0EtNS0_10empty_typeEbEEZZNS1_14partition_implILS5_0ELb0ES3_jN6thrust23THRUST_200600_302600_NS6detail15normal_iteratorINSA_10device_ptrItEEEEPS6_SG_NS0_5tupleIJNSA_16discard_iteratorINSA_11use_defaultEEESK_EEENSH_IJSG_SG_EEES6_PlJ7is_evenItEEEE10hipError_tPvRmT3_T4_T5_T6_T7_T9_mT8_P12ihipStream_tbDpT10_ENKUlT_T0_E_clISt17integral_constantIbLb0EES18_IbLb1EEEEDaS14_S15_EUlS14_E_NS1_11comp_targetILNS1_3genE9ELNS1_11target_archE1100ELNS1_3gpuE3ELNS1_3repE0EEENS1_30default_config_static_selectorELNS0_4arch9wavefront6targetE1EEEvT1_
	.globl	_ZN7rocprim17ROCPRIM_400000_NS6detail17trampoline_kernelINS0_14default_configENS1_25partition_config_selectorILNS1_17partition_subalgoE0EtNS0_10empty_typeEbEEZZNS1_14partition_implILS5_0ELb0ES3_jN6thrust23THRUST_200600_302600_NS6detail15normal_iteratorINSA_10device_ptrItEEEEPS6_SG_NS0_5tupleIJNSA_16discard_iteratorINSA_11use_defaultEEESK_EEENSH_IJSG_SG_EEES6_PlJ7is_evenItEEEE10hipError_tPvRmT3_T4_T5_T6_T7_T9_mT8_P12ihipStream_tbDpT10_ENKUlT_T0_E_clISt17integral_constantIbLb0EES18_IbLb1EEEEDaS14_S15_EUlS14_E_NS1_11comp_targetILNS1_3genE9ELNS1_11target_archE1100ELNS1_3gpuE3ELNS1_3repE0EEENS1_30default_config_static_selectorELNS0_4arch9wavefront6targetE1EEEvT1_
	.p2align	8
	.type	_ZN7rocprim17ROCPRIM_400000_NS6detail17trampoline_kernelINS0_14default_configENS1_25partition_config_selectorILNS1_17partition_subalgoE0EtNS0_10empty_typeEbEEZZNS1_14partition_implILS5_0ELb0ES3_jN6thrust23THRUST_200600_302600_NS6detail15normal_iteratorINSA_10device_ptrItEEEEPS6_SG_NS0_5tupleIJNSA_16discard_iteratorINSA_11use_defaultEEESK_EEENSH_IJSG_SG_EEES6_PlJ7is_evenItEEEE10hipError_tPvRmT3_T4_T5_T6_T7_T9_mT8_P12ihipStream_tbDpT10_ENKUlT_T0_E_clISt17integral_constantIbLb0EES18_IbLb1EEEEDaS14_S15_EUlS14_E_NS1_11comp_targetILNS1_3genE9ELNS1_11target_archE1100ELNS1_3gpuE3ELNS1_3repE0EEENS1_30default_config_static_selectorELNS0_4arch9wavefront6targetE1EEEvT1_,@function
_ZN7rocprim17ROCPRIM_400000_NS6detail17trampoline_kernelINS0_14default_configENS1_25partition_config_selectorILNS1_17partition_subalgoE0EtNS0_10empty_typeEbEEZZNS1_14partition_implILS5_0ELb0ES3_jN6thrust23THRUST_200600_302600_NS6detail15normal_iteratorINSA_10device_ptrItEEEEPS6_SG_NS0_5tupleIJNSA_16discard_iteratorINSA_11use_defaultEEESK_EEENSH_IJSG_SG_EEES6_PlJ7is_evenItEEEE10hipError_tPvRmT3_T4_T5_T6_T7_T9_mT8_P12ihipStream_tbDpT10_ENKUlT_T0_E_clISt17integral_constantIbLb0EES18_IbLb1EEEEDaS14_S15_EUlS14_E_NS1_11comp_targetILNS1_3genE9ELNS1_11target_archE1100ELNS1_3gpuE3ELNS1_3repE0EEENS1_30default_config_static_selectorELNS0_4arch9wavefront6targetE1EEEvT1_: ; @_ZN7rocprim17ROCPRIM_400000_NS6detail17trampoline_kernelINS0_14default_configENS1_25partition_config_selectorILNS1_17partition_subalgoE0EtNS0_10empty_typeEbEEZZNS1_14partition_implILS5_0ELb0ES3_jN6thrust23THRUST_200600_302600_NS6detail15normal_iteratorINSA_10device_ptrItEEEEPS6_SG_NS0_5tupleIJNSA_16discard_iteratorINSA_11use_defaultEEESK_EEENSH_IJSG_SG_EEES6_PlJ7is_evenItEEEE10hipError_tPvRmT3_T4_T5_T6_T7_T9_mT8_P12ihipStream_tbDpT10_ENKUlT_T0_E_clISt17integral_constantIbLb0EES18_IbLb1EEEEDaS14_S15_EUlS14_E_NS1_11comp_targetILNS1_3genE9ELNS1_11target_archE1100ELNS1_3gpuE3ELNS1_3repE0EEENS1_30default_config_static_selectorELNS0_4arch9wavefront6targetE1EEEvT1_
; %bb.0:
	.section	.rodata,"a",@progbits
	.p2align	6, 0x0
	.amdhsa_kernel _ZN7rocprim17ROCPRIM_400000_NS6detail17trampoline_kernelINS0_14default_configENS1_25partition_config_selectorILNS1_17partition_subalgoE0EtNS0_10empty_typeEbEEZZNS1_14partition_implILS5_0ELb0ES3_jN6thrust23THRUST_200600_302600_NS6detail15normal_iteratorINSA_10device_ptrItEEEEPS6_SG_NS0_5tupleIJNSA_16discard_iteratorINSA_11use_defaultEEESK_EEENSH_IJSG_SG_EEES6_PlJ7is_evenItEEEE10hipError_tPvRmT3_T4_T5_T6_T7_T9_mT8_P12ihipStream_tbDpT10_ENKUlT_T0_E_clISt17integral_constantIbLb0EES18_IbLb1EEEEDaS14_S15_EUlS14_E_NS1_11comp_targetILNS1_3genE9ELNS1_11target_archE1100ELNS1_3gpuE3ELNS1_3repE0EEENS1_30default_config_static_selectorELNS0_4arch9wavefront6targetE1EEEvT1_
		.amdhsa_group_segment_fixed_size 0
		.amdhsa_private_segment_fixed_size 0
		.amdhsa_kernarg_size 152
		.amdhsa_user_sgpr_count 6
		.amdhsa_user_sgpr_private_segment_buffer 1
		.amdhsa_user_sgpr_dispatch_ptr 0
		.amdhsa_user_sgpr_queue_ptr 0
		.amdhsa_user_sgpr_kernarg_segment_ptr 1
		.amdhsa_user_sgpr_dispatch_id 0
		.amdhsa_user_sgpr_flat_scratch_init 0
		.amdhsa_user_sgpr_kernarg_preload_length 0
		.amdhsa_user_sgpr_kernarg_preload_offset 0
		.amdhsa_user_sgpr_private_segment_size 0
		.amdhsa_uses_dynamic_stack 0
		.amdhsa_system_sgpr_private_segment_wavefront_offset 0
		.amdhsa_system_sgpr_workgroup_id_x 1
		.amdhsa_system_sgpr_workgroup_id_y 0
		.amdhsa_system_sgpr_workgroup_id_z 0
		.amdhsa_system_sgpr_workgroup_info 0
		.amdhsa_system_vgpr_workitem_id 0
		.amdhsa_next_free_vgpr 1
		.amdhsa_next_free_sgpr 0
		.amdhsa_accum_offset 4
		.amdhsa_reserve_vcc 0
		.amdhsa_reserve_flat_scratch 0
		.amdhsa_float_round_mode_32 0
		.amdhsa_float_round_mode_16_64 0
		.amdhsa_float_denorm_mode_32 3
		.amdhsa_float_denorm_mode_16_64 3
		.amdhsa_dx10_clamp 1
		.amdhsa_ieee_mode 1
		.amdhsa_fp16_overflow 0
		.amdhsa_tg_split 0
		.amdhsa_exception_fp_ieee_invalid_op 0
		.amdhsa_exception_fp_denorm_src 0
		.amdhsa_exception_fp_ieee_div_zero 0
		.amdhsa_exception_fp_ieee_overflow 0
		.amdhsa_exception_fp_ieee_underflow 0
		.amdhsa_exception_fp_ieee_inexact 0
		.amdhsa_exception_int_div_zero 0
	.end_amdhsa_kernel
	.section	.text._ZN7rocprim17ROCPRIM_400000_NS6detail17trampoline_kernelINS0_14default_configENS1_25partition_config_selectorILNS1_17partition_subalgoE0EtNS0_10empty_typeEbEEZZNS1_14partition_implILS5_0ELb0ES3_jN6thrust23THRUST_200600_302600_NS6detail15normal_iteratorINSA_10device_ptrItEEEEPS6_SG_NS0_5tupleIJNSA_16discard_iteratorINSA_11use_defaultEEESK_EEENSH_IJSG_SG_EEES6_PlJ7is_evenItEEEE10hipError_tPvRmT3_T4_T5_T6_T7_T9_mT8_P12ihipStream_tbDpT10_ENKUlT_T0_E_clISt17integral_constantIbLb0EES18_IbLb1EEEEDaS14_S15_EUlS14_E_NS1_11comp_targetILNS1_3genE9ELNS1_11target_archE1100ELNS1_3gpuE3ELNS1_3repE0EEENS1_30default_config_static_selectorELNS0_4arch9wavefront6targetE1EEEvT1_,"axG",@progbits,_ZN7rocprim17ROCPRIM_400000_NS6detail17trampoline_kernelINS0_14default_configENS1_25partition_config_selectorILNS1_17partition_subalgoE0EtNS0_10empty_typeEbEEZZNS1_14partition_implILS5_0ELb0ES3_jN6thrust23THRUST_200600_302600_NS6detail15normal_iteratorINSA_10device_ptrItEEEEPS6_SG_NS0_5tupleIJNSA_16discard_iteratorINSA_11use_defaultEEESK_EEENSH_IJSG_SG_EEES6_PlJ7is_evenItEEEE10hipError_tPvRmT3_T4_T5_T6_T7_T9_mT8_P12ihipStream_tbDpT10_ENKUlT_T0_E_clISt17integral_constantIbLb0EES18_IbLb1EEEEDaS14_S15_EUlS14_E_NS1_11comp_targetILNS1_3genE9ELNS1_11target_archE1100ELNS1_3gpuE3ELNS1_3repE0EEENS1_30default_config_static_selectorELNS0_4arch9wavefront6targetE1EEEvT1_,comdat
.Lfunc_end2521:
	.size	_ZN7rocprim17ROCPRIM_400000_NS6detail17trampoline_kernelINS0_14default_configENS1_25partition_config_selectorILNS1_17partition_subalgoE0EtNS0_10empty_typeEbEEZZNS1_14partition_implILS5_0ELb0ES3_jN6thrust23THRUST_200600_302600_NS6detail15normal_iteratorINSA_10device_ptrItEEEEPS6_SG_NS0_5tupleIJNSA_16discard_iteratorINSA_11use_defaultEEESK_EEENSH_IJSG_SG_EEES6_PlJ7is_evenItEEEE10hipError_tPvRmT3_T4_T5_T6_T7_T9_mT8_P12ihipStream_tbDpT10_ENKUlT_T0_E_clISt17integral_constantIbLb0EES18_IbLb1EEEEDaS14_S15_EUlS14_E_NS1_11comp_targetILNS1_3genE9ELNS1_11target_archE1100ELNS1_3gpuE3ELNS1_3repE0EEENS1_30default_config_static_selectorELNS0_4arch9wavefront6targetE1EEEvT1_, .Lfunc_end2521-_ZN7rocprim17ROCPRIM_400000_NS6detail17trampoline_kernelINS0_14default_configENS1_25partition_config_selectorILNS1_17partition_subalgoE0EtNS0_10empty_typeEbEEZZNS1_14partition_implILS5_0ELb0ES3_jN6thrust23THRUST_200600_302600_NS6detail15normal_iteratorINSA_10device_ptrItEEEEPS6_SG_NS0_5tupleIJNSA_16discard_iteratorINSA_11use_defaultEEESK_EEENSH_IJSG_SG_EEES6_PlJ7is_evenItEEEE10hipError_tPvRmT3_T4_T5_T6_T7_T9_mT8_P12ihipStream_tbDpT10_ENKUlT_T0_E_clISt17integral_constantIbLb0EES18_IbLb1EEEEDaS14_S15_EUlS14_E_NS1_11comp_targetILNS1_3genE9ELNS1_11target_archE1100ELNS1_3gpuE3ELNS1_3repE0EEENS1_30default_config_static_selectorELNS0_4arch9wavefront6targetE1EEEvT1_
                                        ; -- End function
	.section	.AMDGPU.csdata,"",@progbits
; Kernel info:
; codeLenInByte = 0
; NumSgprs: 4
; NumVgprs: 0
; NumAgprs: 0
; TotalNumVgprs: 0
; ScratchSize: 0
; MemoryBound: 0
; FloatMode: 240
; IeeeMode: 1
; LDSByteSize: 0 bytes/workgroup (compile time only)
; SGPRBlocks: 0
; VGPRBlocks: 0
; NumSGPRsForWavesPerEU: 4
; NumVGPRsForWavesPerEU: 1
; AccumOffset: 4
; Occupancy: 8
; WaveLimiterHint : 0
; COMPUTE_PGM_RSRC2:SCRATCH_EN: 0
; COMPUTE_PGM_RSRC2:USER_SGPR: 6
; COMPUTE_PGM_RSRC2:TRAP_HANDLER: 0
; COMPUTE_PGM_RSRC2:TGID_X_EN: 1
; COMPUTE_PGM_RSRC2:TGID_Y_EN: 0
; COMPUTE_PGM_RSRC2:TGID_Z_EN: 0
; COMPUTE_PGM_RSRC2:TIDIG_COMP_CNT: 0
; COMPUTE_PGM_RSRC3_GFX90A:ACCUM_OFFSET: 0
; COMPUTE_PGM_RSRC3_GFX90A:TG_SPLIT: 0
	.section	.text._ZN7rocprim17ROCPRIM_400000_NS6detail17trampoline_kernelINS0_14default_configENS1_25partition_config_selectorILNS1_17partition_subalgoE0EtNS0_10empty_typeEbEEZZNS1_14partition_implILS5_0ELb0ES3_jN6thrust23THRUST_200600_302600_NS6detail15normal_iteratorINSA_10device_ptrItEEEEPS6_SG_NS0_5tupleIJNSA_16discard_iteratorINSA_11use_defaultEEESK_EEENSH_IJSG_SG_EEES6_PlJ7is_evenItEEEE10hipError_tPvRmT3_T4_T5_T6_T7_T9_mT8_P12ihipStream_tbDpT10_ENKUlT_T0_E_clISt17integral_constantIbLb0EES18_IbLb1EEEEDaS14_S15_EUlS14_E_NS1_11comp_targetILNS1_3genE8ELNS1_11target_archE1030ELNS1_3gpuE2ELNS1_3repE0EEENS1_30default_config_static_selectorELNS0_4arch9wavefront6targetE1EEEvT1_,"axG",@progbits,_ZN7rocprim17ROCPRIM_400000_NS6detail17trampoline_kernelINS0_14default_configENS1_25partition_config_selectorILNS1_17partition_subalgoE0EtNS0_10empty_typeEbEEZZNS1_14partition_implILS5_0ELb0ES3_jN6thrust23THRUST_200600_302600_NS6detail15normal_iteratorINSA_10device_ptrItEEEEPS6_SG_NS0_5tupleIJNSA_16discard_iteratorINSA_11use_defaultEEESK_EEENSH_IJSG_SG_EEES6_PlJ7is_evenItEEEE10hipError_tPvRmT3_T4_T5_T6_T7_T9_mT8_P12ihipStream_tbDpT10_ENKUlT_T0_E_clISt17integral_constantIbLb0EES18_IbLb1EEEEDaS14_S15_EUlS14_E_NS1_11comp_targetILNS1_3genE8ELNS1_11target_archE1030ELNS1_3gpuE2ELNS1_3repE0EEENS1_30default_config_static_selectorELNS0_4arch9wavefront6targetE1EEEvT1_,comdat
	.protected	_ZN7rocprim17ROCPRIM_400000_NS6detail17trampoline_kernelINS0_14default_configENS1_25partition_config_selectorILNS1_17partition_subalgoE0EtNS0_10empty_typeEbEEZZNS1_14partition_implILS5_0ELb0ES3_jN6thrust23THRUST_200600_302600_NS6detail15normal_iteratorINSA_10device_ptrItEEEEPS6_SG_NS0_5tupleIJNSA_16discard_iteratorINSA_11use_defaultEEESK_EEENSH_IJSG_SG_EEES6_PlJ7is_evenItEEEE10hipError_tPvRmT3_T4_T5_T6_T7_T9_mT8_P12ihipStream_tbDpT10_ENKUlT_T0_E_clISt17integral_constantIbLb0EES18_IbLb1EEEEDaS14_S15_EUlS14_E_NS1_11comp_targetILNS1_3genE8ELNS1_11target_archE1030ELNS1_3gpuE2ELNS1_3repE0EEENS1_30default_config_static_selectorELNS0_4arch9wavefront6targetE1EEEvT1_ ; -- Begin function _ZN7rocprim17ROCPRIM_400000_NS6detail17trampoline_kernelINS0_14default_configENS1_25partition_config_selectorILNS1_17partition_subalgoE0EtNS0_10empty_typeEbEEZZNS1_14partition_implILS5_0ELb0ES3_jN6thrust23THRUST_200600_302600_NS6detail15normal_iteratorINSA_10device_ptrItEEEEPS6_SG_NS0_5tupleIJNSA_16discard_iteratorINSA_11use_defaultEEESK_EEENSH_IJSG_SG_EEES6_PlJ7is_evenItEEEE10hipError_tPvRmT3_T4_T5_T6_T7_T9_mT8_P12ihipStream_tbDpT10_ENKUlT_T0_E_clISt17integral_constantIbLb0EES18_IbLb1EEEEDaS14_S15_EUlS14_E_NS1_11comp_targetILNS1_3genE8ELNS1_11target_archE1030ELNS1_3gpuE2ELNS1_3repE0EEENS1_30default_config_static_selectorELNS0_4arch9wavefront6targetE1EEEvT1_
	.globl	_ZN7rocprim17ROCPRIM_400000_NS6detail17trampoline_kernelINS0_14default_configENS1_25partition_config_selectorILNS1_17partition_subalgoE0EtNS0_10empty_typeEbEEZZNS1_14partition_implILS5_0ELb0ES3_jN6thrust23THRUST_200600_302600_NS6detail15normal_iteratorINSA_10device_ptrItEEEEPS6_SG_NS0_5tupleIJNSA_16discard_iteratorINSA_11use_defaultEEESK_EEENSH_IJSG_SG_EEES6_PlJ7is_evenItEEEE10hipError_tPvRmT3_T4_T5_T6_T7_T9_mT8_P12ihipStream_tbDpT10_ENKUlT_T0_E_clISt17integral_constantIbLb0EES18_IbLb1EEEEDaS14_S15_EUlS14_E_NS1_11comp_targetILNS1_3genE8ELNS1_11target_archE1030ELNS1_3gpuE2ELNS1_3repE0EEENS1_30default_config_static_selectorELNS0_4arch9wavefront6targetE1EEEvT1_
	.p2align	8
	.type	_ZN7rocprim17ROCPRIM_400000_NS6detail17trampoline_kernelINS0_14default_configENS1_25partition_config_selectorILNS1_17partition_subalgoE0EtNS0_10empty_typeEbEEZZNS1_14partition_implILS5_0ELb0ES3_jN6thrust23THRUST_200600_302600_NS6detail15normal_iteratorINSA_10device_ptrItEEEEPS6_SG_NS0_5tupleIJNSA_16discard_iteratorINSA_11use_defaultEEESK_EEENSH_IJSG_SG_EEES6_PlJ7is_evenItEEEE10hipError_tPvRmT3_T4_T5_T6_T7_T9_mT8_P12ihipStream_tbDpT10_ENKUlT_T0_E_clISt17integral_constantIbLb0EES18_IbLb1EEEEDaS14_S15_EUlS14_E_NS1_11comp_targetILNS1_3genE8ELNS1_11target_archE1030ELNS1_3gpuE2ELNS1_3repE0EEENS1_30default_config_static_selectorELNS0_4arch9wavefront6targetE1EEEvT1_,@function
_ZN7rocprim17ROCPRIM_400000_NS6detail17trampoline_kernelINS0_14default_configENS1_25partition_config_selectorILNS1_17partition_subalgoE0EtNS0_10empty_typeEbEEZZNS1_14partition_implILS5_0ELb0ES3_jN6thrust23THRUST_200600_302600_NS6detail15normal_iteratorINSA_10device_ptrItEEEEPS6_SG_NS0_5tupleIJNSA_16discard_iteratorINSA_11use_defaultEEESK_EEENSH_IJSG_SG_EEES6_PlJ7is_evenItEEEE10hipError_tPvRmT3_T4_T5_T6_T7_T9_mT8_P12ihipStream_tbDpT10_ENKUlT_T0_E_clISt17integral_constantIbLb0EES18_IbLb1EEEEDaS14_S15_EUlS14_E_NS1_11comp_targetILNS1_3genE8ELNS1_11target_archE1030ELNS1_3gpuE2ELNS1_3repE0EEENS1_30default_config_static_selectorELNS0_4arch9wavefront6targetE1EEEvT1_: ; @_ZN7rocprim17ROCPRIM_400000_NS6detail17trampoline_kernelINS0_14default_configENS1_25partition_config_selectorILNS1_17partition_subalgoE0EtNS0_10empty_typeEbEEZZNS1_14partition_implILS5_0ELb0ES3_jN6thrust23THRUST_200600_302600_NS6detail15normal_iteratorINSA_10device_ptrItEEEEPS6_SG_NS0_5tupleIJNSA_16discard_iteratorINSA_11use_defaultEEESK_EEENSH_IJSG_SG_EEES6_PlJ7is_evenItEEEE10hipError_tPvRmT3_T4_T5_T6_T7_T9_mT8_P12ihipStream_tbDpT10_ENKUlT_T0_E_clISt17integral_constantIbLb0EES18_IbLb1EEEEDaS14_S15_EUlS14_E_NS1_11comp_targetILNS1_3genE8ELNS1_11target_archE1030ELNS1_3gpuE2ELNS1_3repE0EEENS1_30default_config_static_selectorELNS0_4arch9wavefront6targetE1EEEvT1_
; %bb.0:
	.section	.rodata,"a",@progbits
	.p2align	6, 0x0
	.amdhsa_kernel _ZN7rocprim17ROCPRIM_400000_NS6detail17trampoline_kernelINS0_14default_configENS1_25partition_config_selectorILNS1_17partition_subalgoE0EtNS0_10empty_typeEbEEZZNS1_14partition_implILS5_0ELb0ES3_jN6thrust23THRUST_200600_302600_NS6detail15normal_iteratorINSA_10device_ptrItEEEEPS6_SG_NS0_5tupleIJNSA_16discard_iteratorINSA_11use_defaultEEESK_EEENSH_IJSG_SG_EEES6_PlJ7is_evenItEEEE10hipError_tPvRmT3_T4_T5_T6_T7_T9_mT8_P12ihipStream_tbDpT10_ENKUlT_T0_E_clISt17integral_constantIbLb0EES18_IbLb1EEEEDaS14_S15_EUlS14_E_NS1_11comp_targetILNS1_3genE8ELNS1_11target_archE1030ELNS1_3gpuE2ELNS1_3repE0EEENS1_30default_config_static_selectorELNS0_4arch9wavefront6targetE1EEEvT1_
		.amdhsa_group_segment_fixed_size 0
		.amdhsa_private_segment_fixed_size 0
		.amdhsa_kernarg_size 152
		.amdhsa_user_sgpr_count 6
		.amdhsa_user_sgpr_private_segment_buffer 1
		.amdhsa_user_sgpr_dispatch_ptr 0
		.amdhsa_user_sgpr_queue_ptr 0
		.amdhsa_user_sgpr_kernarg_segment_ptr 1
		.amdhsa_user_sgpr_dispatch_id 0
		.amdhsa_user_sgpr_flat_scratch_init 0
		.amdhsa_user_sgpr_kernarg_preload_length 0
		.amdhsa_user_sgpr_kernarg_preload_offset 0
		.amdhsa_user_sgpr_private_segment_size 0
		.amdhsa_uses_dynamic_stack 0
		.amdhsa_system_sgpr_private_segment_wavefront_offset 0
		.amdhsa_system_sgpr_workgroup_id_x 1
		.amdhsa_system_sgpr_workgroup_id_y 0
		.amdhsa_system_sgpr_workgroup_id_z 0
		.amdhsa_system_sgpr_workgroup_info 0
		.amdhsa_system_vgpr_workitem_id 0
		.amdhsa_next_free_vgpr 1
		.amdhsa_next_free_sgpr 0
		.amdhsa_accum_offset 4
		.amdhsa_reserve_vcc 0
		.amdhsa_reserve_flat_scratch 0
		.amdhsa_float_round_mode_32 0
		.amdhsa_float_round_mode_16_64 0
		.amdhsa_float_denorm_mode_32 3
		.amdhsa_float_denorm_mode_16_64 3
		.amdhsa_dx10_clamp 1
		.amdhsa_ieee_mode 1
		.amdhsa_fp16_overflow 0
		.amdhsa_tg_split 0
		.amdhsa_exception_fp_ieee_invalid_op 0
		.amdhsa_exception_fp_denorm_src 0
		.amdhsa_exception_fp_ieee_div_zero 0
		.amdhsa_exception_fp_ieee_overflow 0
		.amdhsa_exception_fp_ieee_underflow 0
		.amdhsa_exception_fp_ieee_inexact 0
		.amdhsa_exception_int_div_zero 0
	.end_amdhsa_kernel
	.section	.text._ZN7rocprim17ROCPRIM_400000_NS6detail17trampoline_kernelINS0_14default_configENS1_25partition_config_selectorILNS1_17partition_subalgoE0EtNS0_10empty_typeEbEEZZNS1_14partition_implILS5_0ELb0ES3_jN6thrust23THRUST_200600_302600_NS6detail15normal_iteratorINSA_10device_ptrItEEEEPS6_SG_NS0_5tupleIJNSA_16discard_iteratorINSA_11use_defaultEEESK_EEENSH_IJSG_SG_EEES6_PlJ7is_evenItEEEE10hipError_tPvRmT3_T4_T5_T6_T7_T9_mT8_P12ihipStream_tbDpT10_ENKUlT_T0_E_clISt17integral_constantIbLb0EES18_IbLb1EEEEDaS14_S15_EUlS14_E_NS1_11comp_targetILNS1_3genE8ELNS1_11target_archE1030ELNS1_3gpuE2ELNS1_3repE0EEENS1_30default_config_static_selectorELNS0_4arch9wavefront6targetE1EEEvT1_,"axG",@progbits,_ZN7rocprim17ROCPRIM_400000_NS6detail17trampoline_kernelINS0_14default_configENS1_25partition_config_selectorILNS1_17partition_subalgoE0EtNS0_10empty_typeEbEEZZNS1_14partition_implILS5_0ELb0ES3_jN6thrust23THRUST_200600_302600_NS6detail15normal_iteratorINSA_10device_ptrItEEEEPS6_SG_NS0_5tupleIJNSA_16discard_iteratorINSA_11use_defaultEEESK_EEENSH_IJSG_SG_EEES6_PlJ7is_evenItEEEE10hipError_tPvRmT3_T4_T5_T6_T7_T9_mT8_P12ihipStream_tbDpT10_ENKUlT_T0_E_clISt17integral_constantIbLb0EES18_IbLb1EEEEDaS14_S15_EUlS14_E_NS1_11comp_targetILNS1_3genE8ELNS1_11target_archE1030ELNS1_3gpuE2ELNS1_3repE0EEENS1_30default_config_static_selectorELNS0_4arch9wavefront6targetE1EEEvT1_,comdat
.Lfunc_end2522:
	.size	_ZN7rocprim17ROCPRIM_400000_NS6detail17trampoline_kernelINS0_14default_configENS1_25partition_config_selectorILNS1_17partition_subalgoE0EtNS0_10empty_typeEbEEZZNS1_14partition_implILS5_0ELb0ES3_jN6thrust23THRUST_200600_302600_NS6detail15normal_iteratorINSA_10device_ptrItEEEEPS6_SG_NS0_5tupleIJNSA_16discard_iteratorINSA_11use_defaultEEESK_EEENSH_IJSG_SG_EEES6_PlJ7is_evenItEEEE10hipError_tPvRmT3_T4_T5_T6_T7_T9_mT8_P12ihipStream_tbDpT10_ENKUlT_T0_E_clISt17integral_constantIbLb0EES18_IbLb1EEEEDaS14_S15_EUlS14_E_NS1_11comp_targetILNS1_3genE8ELNS1_11target_archE1030ELNS1_3gpuE2ELNS1_3repE0EEENS1_30default_config_static_selectorELNS0_4arch9wavefront6targetE1EEEvT1_, .Lfunc_end2522-_ZN7rocprim17ROCPRIM_400000_NS6detail17trampoline_kernelINS0_14default_configENS1_25partition_config_selectorILNS1_17partition_subalgoE0EtNS0_10empty_typeEbEEZZNS1_14partition_implILS5_0ELb0ES3_jN6thrust23THRUST_200600_302600_NS6detail15normal_iteratorINSA_10device_ptrItEEEEPS6_SG_NS0_5tupleIJNSA_16discard_iteratorINSA_11use_defaultEEESK_EEENSH_IJSG_SG_EEES6_PlJ7is_evenItEEEE10hipError_tPvRmT3_T4_T5_T6_T7_T9_mT8_P12ihipStream_tbDpT10_ENKUlT_T0_E_clISt17integral_constantIbLb0EES18_IbLb1EEEEDaS14_S15_EUlS14_E_NS1_11comp_targetILNS1_3genE8ELNS1_11target_archE1030ELNS1_3gpuE2ELNS1_3repE0EEENS1_30default_config_static_selectorELNS0_4arch9wavefront6targetE1EEEvT1_
                                        ; -- End function
	.section	.AMDGPU.csdata,"",@progbits
; Kernel info:
; codeLenInByte = 0
; NumSgprs: 4
; NumVgprs: 0
; NumAgprs: 0
; TotalNumVgprs: 0
; ScratchSize: 0
; MemoryBound: 0
; FloatMode: 240
; IeeeMode: 1
; LDSByteSize: 0 bytes/workgroup (compile time only)
; SGPRBlocks: 0
; VGPRBlocks: 0
; NumSGPRsForWavesPerEU: 4
; NumVGPRsForWavesPerEU: 1
; AccumOffset: 4
; Occupancy: 8
; WaveLimiterHint : 0
; COMPUTE_PGM_RSRC2:SCRATCH_EN: 0
; COMPUTE_PGM_RSRC2:USER_SGPR: 6
; COMPUTE_PGM_RSRC2:TRAP_HANDLER: 0
; COMPUTE_PGM_RSRC2:TGID_X_EN: 1
; COMPUTE_PGM_RSRC2:TGID_Y_EN: 0
; COMPUTE_PGM_RSRC2:TGID_Z_EN: 0
; COMPUTE_PGM_RSRC2:TIDIG_COMP_CNT: 0
; COMPUTE_PGM_RSRC3_GFX90A:ACCUM_OFFSET: 0
; COMPUTE_PGM_RSRC3_GFX90A:TG_SPLIT: 0
	.section	.text._ZN7rocprim17ROCPRIM_400000_NS6detail17trampoline_kernelINS0_14default_configENS1_25partition_config_selectorILNS1_17partition_subalgoE0EtNS0_10empty_typeEbEEZZNS1_14partition_implILS5_0ELb0ES3_jN6thrust23THRUST_200600_302600_NS6detail15normal_iteratorINSA_10device_ptrItEEEEPS6_SG_NS0_5tupleIJSF_NSA_16discard_iteratorINSA_11use_defaultEEEEEENSH_IJSG_SG_EEES6_PlJ7is_evenItEEEE10hipError_tPvRmT3_T4_T5_T6_T7_T9_mT8_P12ihipStream_tbDpT10_ENKUlT_T0_E_clISt17integral_constantIbLb0EES19_EEDaS14_S15_EUlS14_E_NS1_11comp_targetILNS1_3genE0ELNS1_11target_archE4294967295ELNS1_3gpuE0ELNS1_3repE0EEENS1_30default_config_static_selectorELNS0_4arch9wavefront6targetE1EEEvT1_,"axG",@progbits,_ZN7rocprim17ROCPRIM_400000_NS6detail17trampoline_kernelINS0_14default_configENS1_25partition_config_selectorILNS1_17partition_subalgoE0EtNS0_10empty_typeEbEEZZNS1_14partition_implILS5_0ELb0ES3_jN6thrust23THRUST_200600_302600_NS6detail15normal_iteratorINSA_10device_ptrItEEEEPS6_SG_NS0_5tupleIJSF_NSA_16discard_iteratorINSA_11use_defaultEEEEEENSH_IJSG_SG_EEES6_PlJ7is_evenItEEEE10hipError_tPvRmT3_T4_T5_T6_T7_T9_mT8_P12ihipStream_tbDpT10_ENKUlT_T0_E_clISt17integral_constantIbLb0EES19_EEDaS14_S15_EUlS14_E_NS1_11comp_targetILNS1_3genE0ELNS1_11target_archE4294967295ELNS1_3gpuE0ELNS1_3repE0EEENS1_30default_config_static_selectorELNS0_4arch9wavefront6targetE1EEEvT1_,comdat
	.protected	_ZN7rocprim17ROCPRIM_400000_NS6detail17trampoline_kernelINS0_14default_configENS1_25partition_config_selectorILNS1_17partition_subalgoE0EtNS0_10empty_typeEbEEZZNS1_14partition_implILS5_0ELb0ES3_jN6thrust23THRUST_200600_302600_NS6detail15normal_iteratorINSA_10device_ptrItEEEEPS6_SG_NS0_5tupleIJSF_NSA_16discard_iteratorINSA_11use_defaultEEEEEENSH_IJSG_SG_EEES6_PlJ7is_evenItEEEE10hipError_tPvRmT3_T4_T5_T6_T7_T9_mT8_P12ihipStream_tbDpT10_ENKUlT_T0_E_clISt17integral_constantIbLb0EES19_EEDaS14_S15_EUlS14_E_NS1_11comp_targetILNS1_3genE0ELNS1_11target_archE4294967295ELNS1_3gpuE0ELNS1_3repE0EEENS1_30default_config_static_selectorELNS0_4arch9wavefront6targetE1EEEvT1_ ; -- Begin function _ZN7rocprim17ROCPRIM_400000_NS6detail17trampoline_kernelINS0_14default_configENS1_25partition_config_selectorILNS1_17partition_subalgoE0EtNS0_10empty_typeEbEEZZNS1_14partition_implILS5_0ELb0ES3_jN6thrust23THRUST_200600_302600_NS6detail15normal_iteratorINSA_10device_ptrItEEEEPS6_SG_NS0_5tupleIJSF_NSA_16discard_iteratorINSA_11use_defaultEEEEEENSH_IJSG_SG_EEES6_PlJ7is_evenItEEEE10hipError_tPvRmT3_T4_T5_T6_T7_T9_mT8_P12ihipStream_tbDpT10_ENKUlT_T0_E_clISt17integral_constantIbLb0EES19_EEDaS14_S15_EUlS14_E_NS1_11comp_targetILNS1_3genE0ELNS1_11target_archE4294967295ELNS1_3gpuE0ELNS1_3repE0EEENS1_30default_config_static_selectorELNS0_4arch9wavefront6targetE1EEEvT1_
	.globl	_ZN7rocprim17ROCPRIM_400000_NS6detail17trampoline_kernelINS0_14default_configENS1_25partition_config_selectorILNS1_17partition_subalgoE0EtNS0_10empty_typeEbEEZZNS1_14partition_implILS5_0ELb0ES3_jN6thrust23THRUST_200600_302600_NS6detail15normal_iteratorINSA_10device_ptrItEEEEPS6_SG_NS0_5tupleIJSF_NSA_16discard_iteratorINSA_11use_defaultEEEEEENSH_IJSG_SG_EEES6_PlJ7is_evenItEEEE10hipError_tPvRmT3_T4_T5_T6_T7_T9_mT8_P12ihipStream_tbDpT10_ENKUlT_T0_E_clISt17integral_constantIbLb0EES19_EEDaS14_S15_EUlS14_E_NS1_11comp_targetILNS1_3genE0ELNS1_11target_archE4294967295ELNS1_3gpuE0ELNS1_3repE0EEENS1_30default_config_static_selectorELNS0_4arch9wavefront6targetE1EEEvT1_
	.p2align	8
	.type	_ZN7rocprim17ROCPRIM_400000_NS6detail17trampoline_kernelINS0_14default_configENS1_25partition_config_selectorILNS1_17partition_subalgoE0EtNS0_10empty_typeEbEEZZNS1_14partition_implILS5_0ELb0ES3_jN6thrust23THRUST_200600_302600_NS6detail15normal_iteratorINSA_10device_ptrItEEEEPS6_SG_NS0_5tupleIJSF_NSA_16discard_iteratorINSA_11use_defaultEEEEEENSH_IJSG_SG_EEES6_PlJ7is_evenItEEEE10hipError_tPvRmT3_T4_T5_T6_T7_T9_mT8_P12ihipStream_tbDpT10_ENKUlT_T0_E_clISt17integral_constantIbLb0EES19_EEDaS14_S15_EUlS14_E_NS1_11comp_targetILNS1_3genE0ELNS1_11target_archE4294967295ELNS1_3gpuE0ELNS1_3repE0EEENS1_30default_config_static_selectorELNS0_4arch9wavefront6targetE1EEEvT1_,@function
_ZN7rocprim17ROCPRIM_400000_NS6detail17trampoline_kernelINS0_14default_configENS1_25partition_config_selectorILNS1_17partition_subalgoE0EtNS0_10empty_typeEbEEZZNS1_14partition_implILS5_0ELb0ES3_jN6thrust23THRUST_200600_302600_NS6detail15normal_iteratorINSA_10device_ptrItEEEEPS6_SG_NS0_5tupleIJSF_NSA_16discard_iteratorINSA_11use_defaultEEEEEENSH_IJSG_SG_EEES6_PlJ7is_evenItEEEE10hipError_tPvRmT3_T4_T5_T6_T7_T9_mT8_P12ihipStream_tbDpT10_ENKUlT_T0_E_clISt17integral_constantIbLb0EES19_EEDaS14_S15_EUlS14_E_NS1_11comp_targetILNS1_3genE0ELNS1_11target_archE4294967295ELNS1_3gpuE0ELNS1_3repE0EEENS1_30default_config_static_selectorELNS0_4arch9wavefront6targetE1EEEvT1_: ; @_ZN7rocprim17ROCPRIM_400000_NS6detail17trampoline_kernelINS0_14default_configENS1_25partition_config_selectorILNS1_17partition_subalgoE0EtNS0_10empty_typeEbEEZZNS1_14partition_implILS5_0ELb0ES3_jN6thrust23THRUST_200600_302600_NS6detail15normal_iteratorINSA_10device_ptrItEEEEPS6_SG_NS0_5tupleIJSF_NSA_16discard_iteratorINSA_11use_defaultEEEEEENSH_IJSG_SG_EEES6_PlJ7is_evenItEEEE10hipError_tPvRmT3_T4_T5_T6_T7_T9_mT8_P12ihipStream_tbDpT10_ENKUlT_T0_E_clISt17integral_constantIbLb0EES19_EEDaS14_S15_EUlS14_E_NS1_11comp_targetILNS1_3genE0ELNS1_11target_archE4294967295ELNS1_3gpuE0ELNS1_3repE0EEENS1_30default_config_static_selectorELNS0_4arch9wavefront6targetE1EEEvT1_
; %bb.0:
	.section	.rodata,"a",@progbits
	.p2align	6, 0x0
	.amdhsa_kernel _ZN7rocprim17ROCPRIM_400000_NS6detail17trampoline_kernelINS0_14default_configENS1_25partition_config_selectorILNS1_17partition_subalgoE0EtNS0_10empty_typeEbEEZZNS1_14partition_implILS5_0ELb0ES3_jN6thrust23THRUST_200600_302600_NS6detail15normal_iteratorINSA_10device_ptrItEEEEPS6_SG_NS0_5tupleIJSF_NSA_16discard_iteratorINSA_11use_defaultEEEEEENSH_IJSG_SG_EEES6_PlJ7is_evenItEEEE10hipError_tPvRmT3_T4_T5_T6_T7_T9_mT8_P12ihipStream_tbDpT10_ENKUlT_T0_E_clISt17integral_constantIbLb0EES19_EEDaS14_S15_EUlS14_E_NS1_11comp_targetILNS1_3genE0ELNS1_11target_archE4294967295ELNS1_3gpuE0ELNS1_3repE0EEENS1_30default_config_static_selectorELNS0_4arch9wavefront6targetE1EEEvT1_
		.amdhsa_group_segment_fixed_size 0
		.amdhsa_private_segment_fixed_size 0
		.amdhsa_kernarg_size 128
		.amdhsa_user_sgpr_count 6
		.amdhsa_user_sgpr_private_segment_buffer 1
		.amdhsa_user_sgpr_dispatch_ptr 0
		.amdhsa_user_sgpr_queue_ptr 0
		.amdhsa_user_sgpr_kernarg_segment_ptr 1
		.amdhsa_user_sgpr_dispatch_id 0
		.amdhsa_user_sgpr_flat_scratch_init 0
		.amdhsa_user_sgpr_kernarg_preload_length 0
		.amdhsa_user_sgpr_kernarg_preload_offset 0
		.amdhsa_user_sgpr_private_segment_size 0
		.amdhsa_uses_dynamic_stack 0
		.amdhsa_system_sgpr_private_segment_wavefront_offset 0
		.amdhsa_system_sgpr_workgroup_id_x 1
		.amdhsa_system_sgpr_workgroup_id_y 0
		.amdhsa_system_sgpr_workgroup_id_z 0
		.amdhsa_system_sgpr_workgroup_info 0
		.amdhsa_system_vgpr_workitem_id 0
		.amdhsa_next_free_vgpr 1
		.amdhsa_next_free_sgpr 0
		.amdhsa_accum_offset 4
		.amdhsa_reserve_vcc 0
		.amdhsa_reserve_flat_scratch 0
		.amdhsa_float_round_mode_32 0
		.amdhsa_float_round_mode_16_64 0
		.amdhsa_float_denorm_mode_32 3
		.amdhsa_float_denorm_mode_16_64 3
		.amdhsa_dx10_clamp 1
		.amdhsa_ieee_mode 1
		.amdhsa_fp16_overflow 0
		.amdhsa_tg_split 0
		.amdhsa_exception_fp_ieee_invalid_op 0
		.amdhsa_exception_fp_denorm_src 0
		.amdhsa_exception_fp_ieee_div_zero 0
		.amdhsa_exception_fp_ieee_overflow 0
		.amdhsa_exception_fp_ieee_underflow 0
		.amdhsa_exception_fp_ieee_inexact 0
		.amdhsa_exception_int_div_zero 0
	.end_amdhsa_kernel
	.section	.text._ZN7rocprim17ROCPRIM_400000_NS6detail17trampoline_kernelINS0_14default_configENS1_25partition_config_selectorILNS1_17partition_subalgoE0EtNS0_10empty_typeEbEEZZNS1_14partition_implILS5_0ELb0ES3_jN6thrust23THRUST_200600_302600_NS6detail15normal_iteratorINSA_10device_ptrItEEEEPS6_SG_NS0_5tupleIJSF_NSA_16discard_iteratorINSA_11use_defaultEEEEEENSH_IJSG_SG_EEES6_PlJ7is_evenItEEEE10hipError_tPvRmT3_T4_T5_T6_T7_T9_mT8_P12ihipStream_tbDpT10_ENKUlT_T0_E_clISt17integral_constantIbLb0EES19_EEDaS14_S15_EUlS14_E_NS1_11comp_targetILNS1_3genE0ELNS1_11target_archE4294967295ELNS1_3gpuE0ELNS1_3repE0EEENS1_30default_config_static_selectorELNS0_4arch9wavefront6targetE1EEEvT1_,"axG",@progbits,_ZN7rocprim17ROCPRIM_400000_NS6detail17trampoline_kernelINS0_14default_configENS1_25partition_config_selectorILNS1_17partition_subalgoE0EtNS0_10empty_typeEbEEZZNS1_14partition_implILS5_0ELb0ES3_jN6thrust23THRUST_200600_302600_NS6detail15normal_iteratorINSA_10device_ptrItEEEEPS6_SG_NS0_5tupleIJSF_NSA_16discard_iteratorINSA_11use_defaultEEEEEENSH_IJSG_SG_EEES6_PlJ7is_evenItEEEE10hipError_tPvRmT3_T4_T5_T6_T7_T9_mT8_P12ihipStream_tbDpT10_ENKUlT_T0_E_clISt17integral_constantIbLb0EES19_EEDaS14_S15_EUlS14_E_NS1_11comp_targetILNS1_3genE0ELNS1_11target_archE4294967295ELNS1_3gpuE0ELNS1_3repE0EEENS1_30default_config_static_selectorELNS0_4arch9wavefront6targetE1EEEvT1_,comdat
.Lfunc_end2523:
	.size	_ZN7rocprim17ROCPRIM_400000_NS6detail17trampoline_kernelINS0_14default_configENS1_25partition_config_selectorILNS1_17partition_subalgoE0EtNS0_10empty_typeEbEEZZNS1_14partition_implILS5_0ELb0ES3_jN6thrust23THRUST_200600_302600_NS6detail15normal_iteratorINSA_10device_ptrItEEEEPS6_SG_NS0_5tupleIJSF_NSA_16discard_iteratorINSA_11use_defaultEEEEEENSH_IJSG_SG_EEES6_PlJ7is_evenItEEEE10hipError_tPvRmT3_T4_T5_T6_T7_T9_mT8_P12ihipStream_tbDpT10_ENKUlT_T0_E_clISt17integral_constantIbLb0EES19_EEDaS14_S15_EUlS14_E_NS1_11comp_targetILNS1_3genE0ELNS1_11target_archE4294967295ELNS1_3gpuE0ELNS1_3repE0EEENS1_30default_config_static_selectorELNS0_4arch9wavefront6targetE1EEEvT1_, .Lfunc_end2523-_ZN7rocprim17ROCPRIM_400000_NS6detail17trampoline_kernelINS0_14default_configENS1_25partition_config_selectorILNS1_17partition_subalgoE0EtNS0_10empty_typeEbEEZZNS1_14partition_implILS5_0ELb0ES3_jN6thrust23THRUST_200600_302600_NS6detail15normal_iteratorINSA_10device_ptrItEEEEPS6_SG_NS0_5tupleIJSF_NSA_16discard_iteratorINSA_11use_defaultEEEEEENSH_IJSG_SG_EEES6_PlJ7is_evenItEEEE10hipError_tPvRmT3_T4_T5_T6_T7_T9_mT8_P12ihipStream_tbDpT10_ENKUlT_T0_E_clISt17integral_constantIbLb0EES19_EEDaS14_S15_EUlS14_E_NS1_11comp_targetILNS1_3genE0ELNS1_11target_archE4294967295ELNS1_3gpuE0ELNS1_3repE0EEENS1_30default_config_static_selectorELNS0_4arch9wavefront6targetE1EEEvT1_
                                        ; -- End function
	.section	.AMDGPU.csdata,"",@progbits
; Kernel info:
; codeLenInByte = 0
; NumSgprs: 4
; NumVgprs: 0
; NumAgprs: 0
; TotalNumVgprs: 0
; ScratchSize: 0
; MemoryBound: 0
; FloatMode: 240
; IeeeMode: 1
; LDSByteSize: 0 bytes/workgroup (compile time only)
; SGPRBlocks: 0
; VGPRBlocks: 0
; NumSGPRsForWavesPerEU: 4
; NumVGPRsForWavesPerEU: 1
; AccumOffset: 4
; Occupancy: 8
; WaveLimiterHint : 0
; COMPUTE_PGM_RSRC2:SCRATCH_EN: 0
; COMPUTE_PGM_RSRC2:USER_SGPR: 6
; COMPUTE_PGM_RSRC2:TRAP_HANDLER: 0
; COMPUTE_PGM_RSRC2:TGID_X_EN: 1
; COMPUTE_PGM_RSRC2:TGID_Y_EN: 0
; COMPUTE_PGM_RSRC2:TGID_Z_EN: 0
; COMPUTE_PGM_RSRC2:TIDIG_COMP_CNT: 0
; COMPUTE_PGM_RSRC3_GFX90A:ACCUM_OFFSET: 0
; COMPUTE_PGM_RSRC3_GFX90A:TG_SPLIT: 0
	.section	.text._ZN7rocprim17ROCPRIM_400000_NS6detail17trampoline_kernelINS0_14default_configENS1_25partition_config_selectorILNS1_17partition_subalgoE0EtNS0_10empty_typeEbEEZZNS1_14partition_implILS5_0ELb0ES3_jN6thrust23THRUST_200600_302600_NS6detail15normal_iteratorINSA_10device_ptrItEEEEPS6_SG_NS0_5tupleIJSF_NSA_16discard_iteratorINSA_11use_defaultEEEEEENSH_IJSG_SG_EEES6_PlJ7is_evenItEEEE10hipError_tPvRmT3_T4_T5_T6_T7_T9_mT8_P12ihipStream_tbDpT10_ENKUlT_T0_E_clISt17integral_constantIbLb0EES19_EEDaS14_S15_EUlS14_E_NS1_11comp_targetILNS1_3genE5ELNS1_11target_archE942ELNS1_3gpuE9ELNS1_3repE0EEENS1_30default_config_static_selectorELNS0_4arch9wavefront6targetE1EEEvT1_,"axG",@progbits,_ZN7rocprim17ROCPRIM_400000_NS6detail17trampoline_kernelINS0_14default_configENS1_25partition_config_selectorILNS1_17partition_subalgoE0EtNS0_10empty_typeEbEEZZNS1_14partition_implILS5_0ELb0ES3_jN6thrust23THRUST_200600_302600_NS6detail15normal_iteratorINSA_10device_ptrItEEEEPS6_SG_NS0_5tupleIJSF_NSA_16discard_iteratorINSA_11use_defaultEEEEEENSH_IJSG_SG_EEES6_PlJ7is_evenItEEEE10hipError_tPvRmT3_T4_T5_T6_T7_T9_mT8_P12ihipStream_tbDpT10_ENKUlT_T0_E_clISt17integral_constantIbLb0EES19_EEDaS14_S15_EUlS14_E_NS1_11comp_targetILNS1_3genE5ELNS1_11target_archE942ELNS1_3gpuE9ELNS1_3repE0EEENS1_30default_config_static_selectorELNS0_4arch9wavefront6targetE1EEEvT1_,comdat
	.protected	_ZN7rocprim17ROCPRIM_400000_NS6detail17trampoline_kernelINS0_14default_configENS1_25partition_config_selectorILNS1_17partition_subalgoE0EtNS0_10empty_typeEbEEZZNS1_14partition_implILS5_0ELb0ES3_jN6thrust23THRUST_200600_302600_NS6detail15normal_iteratorINSA_10device_ptrItEEEEPS6_SG_NS0_5tupleIJSF_NSA_16discard_iteratorINSA_11use_defaultEEEEEENSH_IJSG_SG_EEES6_PlJ7is_evenItEEEE10hipError_tPvRmT3_T4_T5_T6_T7_T9_mT8_P12ihipStream_tbDpT10_ENKUlT_T0_E_clISt17integral_constantIbLb0EES19_EEDaS14_S15_EUlS14_E_NS1_11comp_targetILNS1_3genE5ELNS1_11target_archE942ELNS1_3gpuE9ELNS1_3repE0EEENS1_30default_config_static_selectorELNS0_4arch9wavefront6targetE1EEEvT1_ ; -- Begin function _ZN7rocprim17ROCPRIM_400000_NS6detail17trampoline_kernelINS0_14default_configENS1_25partition_config_selectorILNS1_17partition_subalgoE0EtNS0_10empty_typeEbEEZZNS1_14partition_implILS5_0ELb0ES3_jN6thrust23THRUST_200600_302600_NS6detail15normal_iteratorINSA_10device_ptrItEEEEPS6_SG_NS0_5tupleIJSF_NSA_16discard_iteratorINSA_11use_defaultEEEEEENSH_IJSG_SG_EEES6_PlJ7is_evenItEEEE10hipError_tPvRmT3_T4_T5_T6_T7_T9_mT8_P12ihipStream_tbDpT10_ENKUlT_T0_E_clISt17integral_constantIbLb0EES19_EEDaS14_S15_EUlS14_E_NS1_11comp_targetILNS1_3genE5ELNS1_11target_archE942ELNS1_3gpuE9ELNS1_3repE0EEENS1_30default_config_static_selectorELNS0_4arch9wavefront6targetE1EEEvT1_
	.globl	_ZN7rocprim17ROCPRIM_400000_NS6detail17trampoline_kernelINS0_14default_configENS1_25partition_config_selectorILNS1_17partition_subalgoE0EtNS0_10empty_typeEbEEZZNS1_14partition_implILS5_0ELb0ES3_jN6thrust23THRUST_200600_302600_NS6detail15normal_iteratorINSA_10device_ptrItEEEEPS6_SG_NS0_5tupleIJSF_NSA_16discard_iteratorINSA_11use_defaultEEEEEENSH_IJSG_SG_EEES6_PlJ7is_evenItEEEE10hipError_tPvRmT3_T4_T5_T6_T7_T9_mT8_P12ihipStream_tbDpT10_ENKUlT_T0_E_clISt17integral_constantIbLb0EES19_EEDaS14_S15_EUlS14_E_NS1_11comp_targetILNS1_3genE5ELNS1_11target_archE942ELNS1_3gpuE9ELNS1_3repE0EEENS1_30default_config_static_selectorELNS0_4arch9wavefront6targetE1EEEvT1_
	.p2align	8
	.type	_ZN7rocprim17ROCPRIM_400000_NS6detail17trampoline_kernelINS0_14default_configENS1_25partition_config_selectorILNS1_17partition_subalgoE0EtNS0_10empty_typeEbEEZZNS1_14partition_implILS5_0ELb0ES3_jN6thrust23THRUST_200600_302600_NS6detail15normal_iteratorINSA_10device_ptrItEEEEPS6_SG_NS0_5tupleIJSF_NSA_16discard_iteratorINSA_11use_defaultEEEEEENSH_IJSG_SG_EEES6_PlJ7is_evenItEEEE10hipError_tPvRmT3_T4_T5_T6_T7_T9_mT8_P12ihipStream_tbDpT10_ENKUlT_T0_E_clISt17integral_constantIbLb0EES19_EEDaS14_S15_EUlS14_E_NS1_11comp_targetILNS1_3genE5ELNS1_11target_archE942ELNS1_3gpuE9ELNS1_3repE0EEENS1_30default_config_static_selectorELNS0_4arch9wavefront6targetE1EEEvT1_,@function
_ZN7rocprim17ROCPRIM_400000_NS6detail17trampoline_kernelINS0_14default_configENS1_25partition_config_selectorILNS1_17partition_subalgoE0EtNS0_10empty_typeEbEEZZNS1_14partition_implILS5_0ELb0ES3_jN6thrust23THRUST_200600_302600_NS6detail15normal_iteratorINSA_10device_ptrItEEEEPS6_SG_NS0_5tupleIJSF_NSA_16discard_iteratorINSA_11use_defaultEEEEEENSH_IJSG_SG_EEES6_PlJ7is_evenItEEEE10hipError_tPvRmT3_T4_T5_T6_T7_T9_mT8_P12ihipStream_tbDpT10_ENKUlT_T0_E_clISt17integral_constantIbLb0EES19_EEDaS14_S15_EUlS14_E_NS1_11comp_targetILNS1_3genE5ELNS1_11target_archE942ELNS1_3gpuE9ELNS1_3repE0EEENS1_30default_config_static_selectorELNS0_4arch9wavefront6targetE1EEEvT1_: ; @_ZN7rocprim17ROCPRIM_400000_NS6detail17trampoline_kernelINS0_14default_configENS1_25partition_config_selectorILNS1_17partition_subalgoE0EtNS0_10empty_typeEbEEZZNS1_14partition_implILS5_0ELb0ES3_jN6thrust23THRUST_200600_302600_NS6detail15normal_iteratorINSA_10device_ptrItEEEEPS6_SG_NS0_5tupleIJSF_NSA_16discard_iteratorINSA_11use_defaultEEEEEENSH_IJSG_SG_EEES6_PlJ7is_evenItEEEE10hipError_tPvRmT3_T4_T5_T6_T7_T9_mT8_P12ihipStream_tbDpT10_ENKUlT_T0_E_clISt17integral_constantIbLb0EES19_EEDaS14_S15_EUlS14_E_NS1_11comp_targetILNS1_3genE5ELNS1_11target_archE942ELNS1_3gpuE9ELNS1_3repE0EEENS1_30default_config_static_selectorELNS0_4arch9wavefront6targetE1EEEvT1_
; %bb.0:
	.section	.rodata,"a",@progbits
	.p2align	6, 0x0
	.amdhsa_kernel _ZN7rocprim17ROCPRIM_400000_NS6detail17trampoline_kernelINS0_14default_configENS1_25partition_config_selectorILNS1_17partition_subalgoE0EtNS0_10empty_typeEbEEZZNS1_14partition_implILS5_0ELb0ES3_jN6thrust23THRUST_200600_302600_NS6detail15normal_iteratorINSA_10device_ptrItEEEEPS6_SG_NS0_5tupleIJSF_NSA_16discard_iteratorINSA_11use_defaultEEEEEENSH_IJSG_SG_EEES6_PlJ7is_evenItEEEE10hipError_tPvRmT3_T4_T5_T6_T7_T9_mT8_P12ihipStream_tbDpT10_ENKUlT_T0_E_clISt17integral_constantIbLb0EES19_EEDaS14_S15_EUlS14_E_NS1_11comp_targetILNS1_3genE5ELNS1_11target_archE942ELNS1_3gpuE9ELNS1_3repE0EEENS1_30default_config_static_selectorELNS0_4arch9wavefront6targetE1EEEvT1_
		.amdhsa_group_segment_fixed_size 0
		.amdhsa_private_segment_fixed_size 0
		.amdhsa_kernarg_size 128
		.amdhsa_user_sgpr_count 6
		.amdhsa_user_sgpr_private_segment_buffer 1
		.amdhsa_user_sgpr_dispatch_ptr 0
		.amdhsa_user_sgpr_queue_ptr 0
		.amdhsa_user_sgpr_kernarg_segment_ptr 1
		.amdhsa_user_sgpr_dispatch_id 0
		.amdhsa_user_sgpr_flat_scratch_init 0
		.amdhsa_user_sgpr_kernarg_preload_length 0
		.amdhsa_user_sgpr_kernarg_preload_offset 0
		.amdhsa_user_sgpr_private_segment_size 0
		.amdhsa_uses_dynamic_stack 0
		.amdhsa_system_sgpr_private_segment_wavefront_offset 0
		.amdhsa_system_sgpr_workgroup_id_x 1
		.amdhsa_system_sgpr_workgroup_id_y 0
		.amdhsa_system_sgpr_workgroup_id_z 0
		.amdhsa_system_sgpr_workgroup_info 0
		.amdhsa_system_vgpr_workitem_id 0
		.amdhsa_next_free_vgpr 1
		.amdhsa_next_free_sgpr 0
		.amdhsa_accum_offset 4
		.amdhsa_reserve_vcc 0
		.amdhsa_reserve_flat_scratch 0
		.amdhsa_float_round_mode_32 0
		.amdhsa_float_round_mode_16_64 0
		.amdhsa_float_denorm_mode_32 3
		.amdhsa_float_denorm_mode_16_64 3
		.amdhsa_dx10_clamp 1
		.amdhsa_ieee_mode 1
		.amdhsa_fp16_overflow 0
		.amdhsa_tg_split 0
		.amdhsa_exception_fp_ieee_invalid_op 0
		.amdhsa_exception_fp_denorm_src 0
		.amdhsa_exception_fp_ieee_div_zero 0
		.amdhsa_exception_fp_ieee_overflow 0
		.amdhsa_exception_fp_ieee_underflow 0
		.amdhsa_exception_fp_ieee_inexact 0
		.amdhsa_exception_int_div_zero 0
	.end_amdhsa_kernel
	.section	.text._ZN7rocprim17ROCPRIM_400000_NS6detail17trampoline_kernelINS0_14default_configENS1_25partition_config_selectorILNS1_17partition_subalgoE0EtNS0_10empty_typeEbEEZZNS1_14partition_implILS5_0ELb0ES3_jN6thrust23THRUST_200600_302600_NS6detail15normal_iteratorINSA_10device_ptrItEEEEPS6_SG_NS0_5tupleIJSF_NSA_16discard_iteratorINSA_11use_defaultEEEEEENSH_IJSG_SG_EEES6_PlJ7is_evenItEEEE10hipError_tPvRmT3_T4_T5_T6_T7_T9_mT8_P12ihipStream_tbDpT10_ENKUlT_T0_E_clISt17integral_constantIbLb0EES19_EEDaS14_S15_EUlS14_E_NS1_11comp_targetILNS1_3genE5ELNS1_11target_archE942ELNS1_3gpuE9ELNS1_3repE0EEENS1_30default_config_static_selectorELNS0_4arch9wavefront6targetE1EEEvT1_,"axG",@progbits,_ZN7rocprim17ROCPRIM_400000_NS6detail17trampoline_kernelINS0_14default_configENS1_25partition_config_selectorILNS1_17partition_subalgoE0EtNS0_10empty_typeEbEEZZNS1_14partition_implILS5_0ELb0ES3_jN6thrust23THRUST_200600_302600_NS6detail15normal_iteratorINSA_10device_ptrItEEEEPS6_SG_NS0_5tupleIJSF_NSA_16discard_iteratorINSA_11use_defaultEEEEEENSH_IJSG_SG_EEES6_PlJ7is_evenItEEEE10hipError_tPvRmT3_T4_T5_T6_T7_T9_mT8_P12ihipStream_tbDpT10_ENKUlT_T0_E_clISt17integral_constantIbLb0EES19_EEDaS14_S15_EUlS14_E_NS1_11comp_targetILNS1_3genE5ELNS1_11target_archE942ELNS1_3gpuE9ELNS1_3repE0EEENS1_30default_config_static_selectorELNS0_4arch9wavefront6targetE1EEEvT1_,comdat
.Lfunc_end2524:
	.size	_ZN7rocprim17ROCPRIM_400000_NS6detail17trampoline_kernelINS0_14default_configENS1_25partition_config_selectorILNS1_17partition_subalgoE0EtNS0_10empty_typeEbEEZZNS1_14partition_implILS5_0ELb0ES3_jN6thrust23THRUST_200600_302600_NS6detail15normal_iteratorINSA_10device_ptrItEEEEPS6_SG_NS0_5tupleIJSF_NSA_16discard_iteratorINSA_11use_defaultEEEEEENSH_IJSG_SG_EEES6_PlJ7is_evenItEEEE10hipError_tPvRmT3_T4_T5_T6_T7_T9_mT8_P12ihipStream_tbDpT10_ENKUlT_T0_E_clISt17integral_constantIbLb0EES19_EEDaS14_S15_EUlS14_E_NS1_11comp_targetILNS1_3genE5ELNS1_11target_archE942ELNS1_3gpuE9ELNS1_3repE0EEENS1_30default_config_static_selectorELNS0_4arch9wavefront6targetE1EEEvT1_, .Lfunc_end2524-_ZN7rocprim17ROCPRIM_400000_NS6detail17trampoline_kernelINS0_14default_configENS1_25partition_config_selectorILNS1_17partition_subalgoE0EtNS0_10empty_typeEbEEZZNS1_14partition_implILS5_0ELb0ES3_jN6thrust23THRUST_200600_302600_NS6detail15normal_iteratorINSA_10device_ptrItEEEEPS6_SG_NS0_5tupleIJSF_NSA_16discard_iteratorINSA_11use_defaultEEEEEENSH_IJSG_SG_EEES6_PlJ7is_evenItEEEE10hipError_tPvRmT3_T4_T5_T6_T7_T9_mT8_P12ihipStream_tbDpT10_ENKUlT_T0_E_clISt17integral_constantIbLb0EES19_EEDaS14_S15_EUlS14_E_NS1_11comp_targetILNS1_3genE5ELNS1_11target_archE942ELNS1_3gpuE9ELNS1_3repE0EEENS1_30default_config_static_selectorELNS0_4arch9wavefront6targetE1EEEvT1_
                                        ; -- End function
	.section	.AMDGPU.csdata,"",@progbits
; Kernel info:
; codeLenInByte = 0
; NumSgprs: 4
; NumVgprs: 0
; NumAgprs: 0
; TotalNumVgprs: 0
; ScratchSize: 0
; MemoryBound: 0
; FloatMode: 240
; IeeeMode: 1
; LDSByteSize: 0 bytes/workgroup (compile time only)
; SGPRBlocks: 0
; VGPRBlocks: 0
; NumSGPRsForWavesPerEU: 4
; NumVGPRsForWavesPerEU: 1
; AccumOffset: 4
; Occupancy: 8
; WaveLimiterHint : 0
; COMPUTE_PGM_RSRC2:SCRATCH_EN: 0
; COMPUTE_PGM_RSRC2:USER_SGPR: 6
; COMPUTE_PGM_RSRC2:TRAP_HANDLER: 0
; COMPUTE_PGM_RSRC2:TGID_X_EN: 1
; COMPUTE_PGM_RSRC2:TGID_Y_EN: 0
; COMPUTE_PGM_RSRC2:TGID_Z_EN: 0
; COMPUTE_PGM_RSRC2:TIDIG_COMP_CNT: 0
; COMPUTE_PGM_RSRC3_GFX90A:ACCUM_OFFSET: 0
; COMPUTE_PGM_RSRC3_GFX90A:TG_SPLIT: 0
	.section	.text._ZN7rocprim17ROCPRIM_400000_NS6detail17trampoline_kernelINS0_14default_configENS1_25partition_config_selectorILNS1_17partition_subalgoE0EtNS0_10empty_typeEbEEZZNS1_14partition_implILS5_0ELb0ES3_jN6thrust23THRUST_200600_302600_NS6detail15normal_iteratorINSA_10device_ptrItEEEEPS6_SG_NS0_5tupleIJSF_NSA_16discard_iteratorINSA_11use_defaultEEEEEENSH_IJSG_SG_EEES6_PlJ7is_evenItEEEE10hipError_tPvRmT3_T4_T5_T6_T7_T9_mT8_P12ihipStream_tbDpT10_ENKUlT_T0_E_clISt17integral_constantIbLb0EES19_EEDaS14_S15_EUlS14_E_NS1_11comp_targetILNS1_3genE4ELNS1_11target_archE910ELNS1_3gpuE8ELNS1_3repE0EEENS1_30default_config_static_selectorELNS0_4arch9wavefront6targetE1EEEvT1_,"axG",@progbits,_ZN7rocprim17ROCPRIM_400000_NS6detail17trampoline_kernelINS0_14default_configENS1_25partition_config_selectorILNS1_17partition_subalgoE0EtNS0_10empty_typeEbEEZZNS1_14partition_implILS5_0ELb0ES3_jN6thrust23THRUST_200600_302600_NS6detail15normal_iteratorINSA_10device_ptrItEEEEPS6_SG_NS0_5tupleIJSF_NSA_16discard_iteratorINSA_11use_defaultEEEEEENSH_IJSG_SG_EEES6_PlJ7is_evenItEEEE10hipError_tPvRmT3_T4_T5_T6_T7_T9_mT8_P12ihipStream_tbDpT10_ENKUlT_T0_E_clISt17integral_constantIbLb0EES19_EEDaS14_S15_EUlS14_E_NS1_11comp_targetILNS1_3genE4ELNS1_11target_archE910ELNS1_3gpuE8ELNS1_3repE0EEENS1_30default_config_static_selectorELNS0_4arch9wavefront6targetE1EEEvT1_,comdat
	.protected	_ZN7rocprim17ROCPRIM_400000_NS6detail17trampoline_kernelINS0_14default_configENS1_25partition_config_selectorILNS1_17partition_subalgoE0EtNS0_10empty_typeEbEEZZNS1_14partition_implILS5_0ELb0ES3_jN6thrust23THRUST_200600_302600_NS6detail15normal_iteratorINSA_10device_ptrItEEEEPS6_SG_NS0_5tupleIJSF_NSA_16discard_iteratorINSA_11use_defaultEEEEEENSH_IJSG_SG_EEES6_PlJ7is_evenItEEEE10hipError_tPvRmT3_T4_T5_T6_T7_T9_mT8_P12ihipStream_tbDpT10_ENKUlT_T0_E_clISt17integral_constantIbLb0EES19_EEDaS14_S15_EUlS14_E_NS1_11comp_targetILNS1_3genE4ELNS1_11target_archE910ELNS1_3gpuE8ELNS1_3repE0EEENS1_30default_config_static_selectorELNS0_4arch9wavefront6targetE1EEEvT1_ ; -- Begin function _ZN7rocprim17ROCPRIM_400000_NS6detail17trampoline_kernelINS0_14default_configENS1_25partition_config_selectorILNS1_17partition_subalgoE0EtNS0_10empty_typeEbEEZZNS1_14partition_implILS5_0ELb0ES3_jN6thrust23THRUST_200600_302600_NS6detail15normal_iteratorINSA_10device_ptrItEEEEPS6_SG_NS0_5tupleIJSF_NSA_16discard_iteratorINSA_11use_defaultEEEEEENSH_IJSG_SG_EEES6_PlJ7is_evenItEEEE10hipError_tPvRmT3_T4_T5_T6_T7_T9_mT8_P12ihipStream_tbDpT10_ENKUlT_T0_E_clISt17integral_constantIbLb0EES19_EEDaS14_S15_EUlS14_E_NS1_11comp_targetILNS1_3genE4ELNS1_11target_archE910ELNS1_3gpuE8ELNS1_3repE0EEENS1_30default_config_static_selectorELNS0_4arch9wavefront6targetE1EEEvT1_
	.globl	_ZN7rocprim17ROCPRIM_400000_NS6detail17trampoline_kernelINS0_14default_configENS1_25partition_config_selectorILNS1_17partition_subalgoE0EtNS0_10empty_typeEbEEZZNS1_14partition_implILS5_0ELb0ES3_jN6thrust23THRUST_200600_302600_NS6detail15normal_iteratorINSA_10device_ptrItEEEEPS6_SG_NS0_5tupleIJSF_NSA_16discard_iteratorINSA_11use_defaultEEEEEENSH_IJSG_SG_EEES6_PlJ7is_evenItEEEE10hipError_tPvRmT3_T4_T5_T6_T7_T9_mT8_P12ihipStream_tbDpT10_ENKUlT_T0_E_clISt17integral_constantIbLb0EES19_EEDaS14_S15_EUlS14_E_NS1_11comp_targetILNS1_3genE4ELNS1_11target_archE910ELNS1_3gpuE8ELNS1_3repE0EEENS1_30default_config_static_selectorELNS0_4arch9wavefront6targetE1EEEvT1_
	.p2align	8
	.type	_ZN7rocprim17ROCPRIM_400000_NS6detail17trampoline_kernelINS0_14default_configENS1_25partition_config_selectorILNS1_17partition_subalgoE0EtNS0_10empty_typeEbEEZZNS1_14partition_implILS5_0ELb0ES3_jN6thrust23THRUST_200600_302600_NS6detail15normal_iteratorINSA_10device_ptrItEEEEPS6_SG_NS0_5tupleIJSF_NSA_16discard_iteratorINSA_11use_defaultEEEEEENSH_IJSG_SG_EEES6_PlJ7is_evenItEEEE10hipError_tPvRmT3_T4_T5_T6_T7_T9_mT8_P12ihipStream_tbDpT10_ENKUlT_T0_E_clISt17integral_constantIbLb0EES19_EEDaS14_S15_EUlS14_E_NS1_11comp_targetILNS1_3genE4ELNS1_11target_archE910ELNS1_3gpuE8ELNS1_3repE0EEENS1_30default_config_static_selectorELNS0_4arch9wavefront6targetE1EEEvT1_,@function
_ZN7rocprim17ROCPRIM_400000_NS6detail17trampoline_kernelINS0_14default_configENS1_25partition_config_selectorILNS1_17partition_subalgoE0EtNS0_10empty_typeEbEEZZNS1_14partition_implILS5_0ELb0ES3_jN6thrust23THRUST_200600_302600_NS6detail15normal_iteratorINSA_10device_ptrItEEEEPS6_SG_NS0_5tupleIJSF_NSA_16discard_iteratorINSA_11use_defaultEEEEEENSH_IJSG_SG_EEES6_PlJ7is_evenItEEEE10hipError_tPvRmT3_T4_T5_T6_T7_T9_mT8_P12ihipStream_tbDpT10_ENKUlT_T0_E_clISt17integral_constantIbLb0EES19_EEDaS14_S15_EUlS14_E_NS1_11comp_targetILNS1_3genE4ELNS1_11target_archE910ELNS1_3gpuE8ELNS1_3repE0EEENS1_30default_config_static_selectorELNS0_4arch9wavefront6targetE1EEEvT1_: ; @_ZN7rocprim17ROCPRIM_400000_NS6detail17trampoline_kernelINS0_14default_configENS1_25partition_config_selectorILNS1_17partition_subalgoE0EtNS0_10empty_typeEbEEZZNS1_14partition_implILS5_0ELb0ES3_jN6thrust23THRUST_200600_302600_NS6detail15normal_iteratorINSA_10device_ptrItEEEEPS6_SG_NS0_5tupleIJSF_NSA_16discard_iteratorINSA_11use_defaultEEEEEENSH_IJSG_SG_EEES6_PlJ7is_evenItEEEE10hipError_tPvRmT3_T4_T5_T6_T7_T9_mT8_P12ihipStream_tbDpT10_ENKUlT_T0_E_clISt17integral_constantIbLb0EES19_EEDaS14_S15_EUlS14_E_NS1_11comp_targetILNS1_3genE4ELNS1_11target_archE910ELNS1_3gpuE8ELNS1_3repE0EEENS1_30default_config_static_selectorELNS0_4arch9wavefront6targetE1EEEvT1_
; %bb.0:
	s_load_dwordx2 s[8:9], s[4:5], 0x60
	s_load_dwordx4 s[0:3], s[4:5], 0x8
	s_load_dwordx4 s[24:27], s[4:5], 0x50
	s_load_dword s7, s[4:5], 0x78
	v_lshlrev_b32_e32 v1, 1, v0
	s_waitcnt lgkmcnt(0)
	v_mov_b32_e32 v3, s9
	s_lshl_b64 s[10:11], s[2:3], 1
	s_add_u32 s9, s0, s10
	s_addc_u32 s10, s1, s11
	s_add_i32 s11, s7, -1
	s_mulk_i32 s7, 0x1c00
	s_add_i32 s1, s7, s2
	s_sub_i32 s33, s8, s1
	s_add_u32 s2, s2, s7
	s_addc_u32 s3, s3, 0
	s_cmp_eq_u32 s6, s11
	v_mov_b32_e32 v2, s8
	s_load_dwordx2 s[22:23], s[26:27], 0x0
	s_cselect_b64 s[26:27], -1, 0
	s_cmp_lg_u32 s6, s11
	s_mul_i32 s0, s6, 0x1c00
	s_mov_b32 s1, 0
	v_cmp_lt_u64_e32 vcc, s[2:3], v[2:3]
	s_cselect_b64 s[2:3], -1, 0
	s_or_b64 s[2:3], s[2:3], vcc
	s_lshl_b64 s[0:1], s[0:1], 1
	s_add_u32 s7, s9, s0
	s_addc_u32 s8, s10, s1
	s_mov_b64 s[0:1], -1
	s_and_b64 vcc, exec, s[2:3]
	s_cbranch_vccz .LBB2525_2
; %bb.1:
	v_mov_b32_e32 v3, s8
	v_add_co_u32_e32 v2, vcc, s7, v1
	v_addc_co_u32_e32 v3, vcc, 0, v3, vcc
	v_add_co_u32_e32 v4, vcc, 0x1000, v2
	v_addc_co_u32_e32 v5, vcc, 0, v3, vcc
	flat_load_ushort v6, v[2:3]
	flat_load_ushort v7, v[2:3] offset:512
	flat_load_ushort v8, v[2:3] offset:1024
	;; [unrolled: 1-line block ×7, first 2 shown]
	flat_load_ushort v14, v[4:5]
	flat_load_ushort v15, v[4:5] offset:512
	flat_load_ushort v16, v[4:5] offset:1024
	;; [unrolled: 1-line block ×7, first 2 shown]
	v_add_co_u32_e32 v4, vcc, 0x2000, v2
	v_addc_co_u32_e32 v5, vcc, 0, v3, vcc
	v_add_co_u32_e32 v2, vcc, 0x3000, v2
	v_addc_co_u32_e32 v3, vcc, 0, v3, vcc
	flat_load_ushort v22, v[4:5]
	flat_load_ushort v23, v[4:5] offset:512
	flat_load_ushort v24, v[4:5] offset:1024
	;; [unrolled: 1-line block ×7, first 2 shown]
	s_nop 0
	flat_load_ushort v4, v[2:3]
	flat_load_ushort v5, v[2:3] offset:512
	flat_load_ushort v30, v[2:3] offset:1024
	;; [unrolled: 1-line block ×3, first 2 shown]
	s_mov_b64 s[0:1], 0
	s_waitcnt vmcnt(0) lgkmcnt(0)
	ds_write_b16 v1, v6
	ds_write_b16 v1, v7 offset:512
	ds_write_b16 v1, v8 offset:1024
	;; [unrolled: 1-line block ×27, first 2 shown]
	s_waitcnt lgkmcnt(0)
	s_barrier
.LBB2525_2:
	s_andn2_b64 vcc, exec, s[0:1]
	s_addk_i32 s33, 0x1c00
	s_cbranch_vccnz .LBB2525_60
; %bb.3:
	v_cmp_gt_u32_e32 vcc, s33, v0
                                        ; implicit-def: $vgpr2
	s_and_saveexec_b64 s[0:1], vcc
	s_cbranch_execz .LBB2525_5
; %bb.4:
	v_mov_b32_e32 v3, s8
	v_add_co_u32_e32 v2, vcc, s7, v1
	v_addc_co_u32_e32 v3, vcc, 0, v3, vcc
	flat_load_ushort v2, v[2:3]
.LBB2525_5:
	s_or_b64 exec, exec, s[0:1]
	v_or_b32_e32 v3, 0x100, v0
	v_cmp_gt_u32_e32 vcc, s33, v3
                                        ; implicit-def: $vgpr3
	s_and_saveexec_b64 s[0:1], vcc
	s_cbranch_execz .LBB2525_7
; %bb.6:
	v_mov_b32_e32 v3, s8
	v_add_co_u32_e32 v4, vcc, s7, v1
	v_addc_co_u32_e32 v5, vcc, 0, v3, vcc
	flat_load_ushort v3, v[4:5] offset:512
.LBB2525_7:
	s_or_b64 exec, exec, s[0:1]
	v_or_b32_e32 v4, 0x200, v0
	v_cmp_gt_u32_e32 vcc, s33, v4
                                        ; implicit-def: $vgpr4
	s_and_saveexec_b64 s[0:1], vcc
	s_cbranch_execz .LBB2525_9
; %bb.8:
	v_mov_b32_e32 v5, s8
	v_add_co_u32_e32 v4, vcc, s7, v1
	v_addc_co_u32_e32 v5, vcc, 0, v5, vcc
	flat_load_ushort v4, v[4:5] offset:1024
.LBB2525_9:
	s_or_b64 exec, exec, s[0:1]
	v_or_b32_e32 v5, 0x300, v0
	v_cmp_gt_u32_e32 vcc, s33, v5
                                        ; implicit-def: $vgpr5
	s_and_saveexec_b64 s[0:1], vcc
	s_cbranch_execz .LBB2525_11
; %bb.10:
	v_mov_b32_e32 v5, s8
	v_add_co_u32_e32 v6, vcc, s7, v1
	v_addc_co_u32_e32 v7, vcc, 0, v5, vcc
	flat_load_ushort v5, v[6:7] offset:1536
.LBB2525_11:
	s_or_b64 exec, exec, s[0:1]
	v_or_b32_e32 v6, 0x400, v0
	v_cmp_gt_u32_e32 vcc, s33, v6
                                        ; implicit-def: $vgpr6
	s_and_saveexec_b64 s[0:1], vcc
	s_cbranch_execz .LBB2525_13
; %bb.12:
	v_mov_b32_e32 v7, s8
	v_add_co_u32_e32 v6, vcc, s7, v1
	v_addc_co_u32_e32 v7, vcc, 0, v7, vcc
	flat_load_ushort v6, v[6:7] offset:2048
.LBB2525_13:
	s_or_b64 exec, exec, s[0:1]
	v_or_b32_e32 v7, 0x500, v0
	v_cmp_gt_u32_e32 vcc, s33, v7
                                        ; implicit-def: $vgpr7
	s_and_saveexec_b64 s[0:1], vcc
	s_cbranch_execz .LBB2525_15
; %bb.14:
	v_mov_b32_e32 v7, s8
	v_add_co_u32_e32 v8, vcc, s7, v1
	v_addc_co_u32_e32 v9, vcc, 0, v7, vcc
	flat_load_ushort v7, v[8:9] offset:2560
.LBB2525_15:
	s_or_b64 exec, exec, s[0:1]
	v_or_b32_e32 v8, 0x600, v0
	v_cmp_gt_u32_e32 vcc, s33, v8
                                        ; implicit-def: $vgpr8
	s_and_saveexec_b64 s[0:1], vcc
	s_cbranch_execz .LBB2525_17
; %bb.16:
	v_mov_b32_e32 v9, s8
	v_add_co_u32_e32 v8, vcc, s7, v1
	v_addc_co_u32_e32 v9, vcc, 0, v9, vcc
	flat_load_ushort v8, v[8:9] offset:3072
.LBB2525_17:
	s_or_b64 exec, exec, s[0:1]
	v_or_b32_e32 v9, 0x700, v0
	v_cmp_gt_u32_e32 vcc, s33, v9
                                        ; implicit-def: $vgpr9
	s_and_saveexec_b64 s[0:1], vcc
	s_cbranch_execz .LBB2525_19
; %bb.18:
	v_mov_b32_e32 v9, s8
	v_add_co_u32_e32 v10, vcc, s7, v1
	v_addc_co_u32_e32 v11, vcc, 0, v9, vcc
	flat_load_ushort v9, v[10:11] offset:3584
.LBB2525_19:
	s_or_b64 exec, exec, s[0:1]
	v_or_b32_e32 v11, 0x800, v0
	v_cmp_gt_u32_e32 vcc, s33, v11
                                        ; implicit-def: $vgpr10
	s_and_saveexec_b64 s[0:1], vcc
	s_cbranch_execz .LBB2525_21
; %bb.20:
	v_lshlrev_b32_e32 v10, 1, v11
	v_mov_b32_e32 v11, s8
	v_add_co_u32_e32 v10, vcc, s7, v10
	v_addc_co_u32_e32 v11, vcc, 0, v11, vcc
	flat_load_ushort v10, v[10:11]
.LBB2525_21:
	s_or_b64 exec, exec, s[0:1]
	v_or_b32_e32 v12, 0x900, v0
	v_cmp_gt_u32_e32 vcc, s33, v12
                                        ; implicit-def: $vgpr11
	s_and_saveexec_b64 s[0:1], vcc
	s_cbranch_execz .LBB2525_23
; %bb.22:
	v_lshlrev_b32_e32 v11, 1, v12
	v_mov_b32_e32 v13, s8
	v_add_co_u32_e32 v12, vcc, s7, v11
	v_addc_co_u32_e32 v13, vcc, 0, v13, vcc
	flat_load_ushort v11, v[12:13]
.LBB2525_23:
	s_or_b64 exec, exec, s[0:1]
	v_or_b32_e32 v13, 0xa00, v0
	v_cmp_gt_u32_e32 vcc, s33, v13
                                        ; implicit-def: $vgpr12
	s_and_saveexec_b64 s[0:1], vcc
	s_cbranch_execz .LBB2525_25
; %bb.24:
	v_lshlrev_b32_e32 v12, 1, v13
	v_mov_b32_e32 v13, s8
	v_add_co_u32_e32 v12, vcc, s7, v12
	v_addc_co_u32_e32 v13, vcc, 0, v13, vcc
	flat_load_ushort v12, v[12:13]
.LBB2525_25:
	s_or_b64 exec, exec, s[0:1]
	v_or_b32_e32 v14, 0xb00, v0
	v_cmp_gt_u32_e32 vcc, s33, v14
                                        ; implicit-def: $vgpr13
	s_and_saveexec_b64 s[0:1], vcc
	s_cbranch_execz .LBB2525_27
; %bb.26:
	v_lshlrev_b32_e32 v13, 1, v14
	v_mov_b32_e32 v15, s8
	v_add_co_u32_e32 v14, vcc, s7, v13
	v_addc_co_u32_e32 v15, vcc, 0, v15, vcc
	flat_load_ushort v13, v[14:15]
.LBB2525_27:
	s_or_b64 exec, exec, s[0:1]
	v_or_b32_e32 v15, 0xc00, v0
	v_cmp_gt_u32_e32 vcc, s33, v15
                                        ; implicit-def: $vgpr14
	s_and_saveexec_b64 s[0:1], vcc
	s_cbranch_execz .LBB2525_29
; %bb.28:
	v_lshlrev_b32_e32 v14, 1, v15
	v_mov_b32_e32 v15, s8
	v_add_co_u32_e32 v14, vcc, s7, v14
	v_addc_co_u32_e32 v15, vcc, 0, v15, vcc
	flat_load_ushort v14, v[14:15]
.LBB2525_29:
	s_or_b64 exec, exec, s[0:1]
	v_or_b32_e32 v16, 0xd00, v0
	v_cmp_gt_u32_e32 vcc, s33, v16
                                        ; implicit-def: $vgpr15
	s_and_saveexec_b64 s[0:1], vcc
	s_cbranch_execz .LBB2525_31
; %bb.30:
	v_lshlrev_b32_e32 v15, 1, v16
	v_mov_b32_e32 v17, s8
	v_add_co_u32_e32 v16, vcc, s7, v15
	v_addc_co_u32_e32 v17, vcc, 0, v17, vcc
	flat_load_ushort v15, v[16:17]
.LBB2525_31:
	s_or_b64 exec, exec, s[0:1]
	v_or_b32_e32 v17, 0xe00, v0
	v_cmp_gt_u32_e32 vcc, s33, v17
                                        ; implicit-def: $vgpr16
	s_and_saveexec_b64 s[0:1], vcc
	s_cbranch_execz .LBB2525_33
; %bb.32:
	v_lshlrev_b32_e32 v16, 1, v17
	v_mov_b32_e32 v17, s8
	v_add_co_u32_e32 v16, vcc, s7, v16
	v_addc_co_u32_e32 v17, vcc, 0, v17, vcc
	flat_load_ushort v16, v[16:17]
.LBB2525_33:
	s_or_b64 exec, exec, s[0:1]
	v_or_b32_e32 v18, 0xf00, v0
	v_cmp_gt_u32_e32 vcc, s33, v18
                                        ; implicit-def: $vgpr17
	s_and_saveexec_b64 s[0:1], vcc
	s_cbranch_execz .LBB2525_35
; %bb.34:
	v_lshlrev_b32_e32 v17, 1, v18
	v_mov_b32_e32 v19, s8
	v_add_co_u32_e32 v18, vcc, s7, v17
	v_addc_co_u32_e32 v19, vcc, 0, v19, vcc
	flat_load_ushort v17, v[18:19]
.LBB2525_35:
	s_or_b64 exec, exec, s[0:1]
	v_or_b32_e32 v19, 0x1000, v0
	v_cmp_gt_u32_e32 vcc, s33, v19
                                        ; implicit-def: $vgpr18
	s_and_saveexec_b64 s[0:1], vcc
	s_cbranch_execz .LBB2525_37
; %bb.36:
	v_lshlrev_b32_e32 v18, 1, v19
	v_mov_b32_e32 v19, s8
	v_add_co_u32_e32 v18, vcc, s7, v18
	v_addc_co_u32_e32 v19, vcc, 0, v19, vcc
	flat_load_ushort v18, v[18:19]
.LBB2525_37:
	s_or_b64 exec, exec, s[0:1]
	v_or_b32_e32 v20, 0x1100, v0
	v_cmp_gt_u32_e32 vcc, s33, v20
                                        ; implicit-def: $vgpr19
	s_and_saveexec_b64 s[0:1], vcc
	s_cbranch_execz .LBB2525_39
; %bb.38:
	v_lshlrev_b32_e32 v19, 1, v20
	v_mov_b32_e32 v21, s8
	v_add_co_u32_e32 v20, vcc, s7, v19
	v_addc_co_u32_e32 v21, vcc, 0, v21, vcc
	flat_load_ushort v19, v[20:21]
.LBB2525_39:
	s_or_b64 exec, exec, s[0:1]
	v_or_b32_e32 v21, 0x1200, v0
	v_cmp_gt_u32_e32 vcc, s33, v21
                                        ; implicit-def: $vgpr20
	s_and_saveexec_b64 s[0:1], vcc
	s_cbranch_execz .LBB2525_41
; %bb.40:
	v_lshlrev_b32_e32 v20, 1, v21
	v_mov_b32_e32 v21, s8
	v_add_co_u32_e32 v20, vcc, s7, v20
	v_addc_co_u32_e32 v21, vcc, 0, v21, vcc
	flat_load_ushort v20, v[20:21]
.LBB2525_41:
	s_or_b64 exec, exec, s[0:1]
	v_or_b32_e32 v22, 0x1300, v0
	v_cmp_gt_u32_e32 vcc, s33, v22
                                        ; implicit-def: $vgpr21
	s_and_saveexec_b64 s[0:1], vcc
	s_cbranch_execz .LBB2525_43
; %bb.42:
	v_lshlrev_b32_e32 v21, 1, v22
	v_mov_b32_e32 v23, s8
	v_add_co_u32_e32 v22, vcc, s7, v21
	v_addc_co_u32_e32 v23, vcc, 0, v23, vcc
	flat_load_ushort v21, v[22:23]
.LBB2525_43:
	s_or_b64 exec, exec, s[0:1]
	v_or_b32_e32 v23, 0x1400, v0
	v_cmp_gt_u32_e32 vcc, s33, v23
                                        ; implicit-def: $vgpr22
	s_and_saveexec_b64 s[0:1], vcc
	s_cbranch_execz .LBB2525_45
; %bb.44:
	v_lshlrev_b32_e32 v22, 1, v23
	v_mov_b32_e32 v23, s8
	v_add_co_u32_e32 v22, vcc, s7, v22
	v_addc_co_u32_e32 v23, vcc, 0, v23, vcc
	flat_load_ushort v22, v[22:23]
.LBB2525_45:
	s_or_b64 exec, exec, s[0:1]
	v_or_b32_e32 v24, 0x1500, v0
	v_cmp_gt_u32_e32 vcc, s33, v24
                                        ; implicit-def: $vgpr23
	s_and_saveexec_b64 s[0:1], vcc
	s_cbranch_execz .LBB2525_47
; %bb.46:
	v_lshlrev_b32_e32 v23, 1, v24
	v_mov_b32_e32 v25, s8
	v_add_co_u32_e32 v24, vcc, s7, v23
	v_addc_co_u32_e32 v25, vcc, 0, v25, vcc
	flat_load_ushort v23, v[24:25]
.LBB2525_47:
	s_or_b64 exec, exec, s[0:1]
	v_or_b32_e32 v25, 0x1600, v0
	v_cmp_gt_u32_e32 vcc, s33, v25
                                        ; implicit-def: $vgpr24
	s_and_saveexec_b64 s[0:1], vcc
	s_cbranch_execz .LBB2525_49
; %bb.48:
	v_lshlrev_b32_e32 v24, 1, v25
	v_mov_b32_e32 v25, s8
	v_add_co_u32_e32 v24, vcc, s7, v24
	v_addc_co_u32_e32 v25, vcc, 0, v25, vcc
	flat_load_ushort v24, v[24:25]
.LBB2525_49:
	s_or_b64 exec, exec, s[0:1]
	v_or_b32_e32 v26, 0x1700, v0
	v_cmp_gt_u32_e32 vcc, s33, v26
                                        ; implicit-def: $vgpr25
	s_and_saveexec_b64 s[0:1], vcc
	s_cbranch_execz .LBB2525_51
; %bb.50:
	v_lshlrev_b32_e32 v25, 1, v26
	v_mov_b32_e32 v27, s8
	v_add_co_u32_e32 v26, vcc, s7, v25
	v_addc_co_u32_e32 v27, vcc, 0, v27, vcc
	flat_load_ushort v25, v[26:27]
.LBB2525_51:
	s_or_b64 exec, exec, s[0:1]
	v_or_b32_e32 v27, 0x1800, v0
	v_cmp_gt_u32_e32 vcc, s33, v27
                                        ; implicit-def: $vgpr26
	s_and_saveexec_b64 s[0:1], vcc
	s_cbranch_execz .LBB2525_53
; %bb.52:
	v_lshlrev_b32_e32 v26, 1, v27
	v_mov_b32_e32 v27, s8
	v_add_co_u32_e32 v26, vcc, s7, v26
	v_addc_co_u32_e32 v27, vcc, 0, v27, vcc
	flat_load_ushort v26, v[26:27]
.LBB2525_53:
	s_or_b64 exec, exec, s[0:1]
	v_or_b32_e32 v28, 0x1900, v0
	v_cmp_gt_u32_e32 vcc, s33, v28
                                        ; implicit-def: $vgpr27
	s_and_saveexec_b64 s[0:1], vcc
	s_cbranch_execz .LBB2525_55
; %bb.54:
	v_lshlrev_b32_e32 v27, 1, v28
	v_mov_b32_e32 v29, s8
	v_add_co_u32_e32 v28, vcc, s7, v27
	v_addc_co_u32_e32 v29, vcc, 0, v29, vcc
	flat_load_ushort v27, v[28:29]
.LBB2525_55:
	s_or_b64 exec, exec, s[0:1]
	v_or_b32_e32 v29, 0x1a00, v0
	v_cmp_gt_u32_e32 vcc, s33, v29
                                        ; implicit-def: $vgpr28
	s_and_saveexec_b64 s[0:1], vcc
	s_cbranch_execz .LBB2525_57
; %bb.56:
	v_lshlrev_b32_e32 v28, 1, v29
	v_mov_b32_e32 v29, s8
	v_add_co_u32_e32 v28, vcc, s7, v28
	v_addc_co_u32_e32 v29, vcc, 0, v29, vcc
	flat_load_ushort v28, v[28:29]
.LBB2525_57:
	s_or_b64 exec, exec, s[0:1]
	v_or_b32_e32 v30, 0x1b00, v0
	v_cmp_gt_u32_e32 vcc, s33, v30
                                        ; implicit-def: $vgpr29
	s_and_saveexec_b64 s[0:1], vcc
	s_cbranch_execz .LBB2525_59
; %bb.58:
	v_lshlrev_b32_e32 v29, 1, v30
	v_mov_b32_e32 v31, s8
	v_add_co_u32_e32 v30, vcc, s7, v29
	v_addc_co_u32_e32 v31, vcc, 0, v31, vcc
	flat_load_ushort v29, v[30:31]
.LBB2525_59:
	s_or_b64 exec, exec, s[0:1]
	s_waitcnt vmcnt(0) lgkmcnt(0)
	ds_write_b16 v1, v2
	ds_write_b16 v1, v3 offset:512
	ds_write_b16 v1, v4 offset:1024
	ds_write_b16 v1, v5 offset:1536
	ds_write_b16 v1, v6 offset:2048
	ds_write_b16 v1, v7 offset:2560
	ds_write_b16 v1, v8 offset:3072
	ds_write_b16 v1, v9 offset:3584
	ds_write_b16 v1, v10 offset:4096
	ds_write_b16 v1, v11 offset:4608
	ds_write_b16 v1, v12 offset:5120
	ds_write_b16 v1, v13 offset:5632
	ds_write_b16 v1, v14 offset:6144
	ds_write_b16 v1, v15 offset:6656
	ds_write_b16 v1, v16 offset:7168
	ds_write_b16 v1, v17 offset:7680
	ds_write_b16 v1, v18 offset:8192
	ds_write_b16 v1, v19 offset:8704
	ds_write_b16 v1, v20 offset:9216
	ds_write_b16 v1, v21 offset:9728
	ds_write_b16 v1, v22 offset:10240
	ds_write_b16 v1, v23 offset:10752
	ds_write_b16 v1, v24 offset:11264
	ds_write_b16 v1, v25 offset:11776
	ds_write_b16 v1, v26 offset:12288
	ds_write_b16 v1, v27 offset:12800
	ds_write_b16 v1, v28 offset:13312
	ds_write_b16 v1, v29 offset:13824
	s_waitcnt lgkmcnt(0)
	s_barrier
.LBB2525_60:
	v_mul_u32_u24_e32 v39, 28, v0
	v_lshlrev_b32_e32 v6, 1, v39
	s_waitcnt lgkmcnt(0)
	ds_read_b64 v[18:19], v6 offset:48
	ds_read2_b64 v[2:5], v6 offset0:4 offset1:5
	ds_read2_b64 v[10:13], v6 offset1:1
	ds_read2_b64 v[6:9], v6 offset0:2 offset1:3
	v_cndmask_b32_e64 v14, 0, 1, s[2:3]
	s_waitcnt lgkmcnt(3)
	v_lshrrev_b32_e32 v27, 16, v18
	v_lshrrev_b32_e32 v26, 16, v19
	s_waitcnt lgkmcnt(2)
	v_lshrrev_b32_e32 v31, 16, v2
	v_lshrrev_b32_e32 v30, 16, v3
	v_lshrrev_b32_e32 v29, 16, v4
	v_lshrrev_b32_e32 v28, 16, v5
	s_waitcnt lgkmcnt(1)
	v_lshrrev_b32_e32 v40, 16, v10
	v_lshrrev_b32_e32 v38, 16, v11
	;; [unrolled: 5-line block ×3, first 2 shown]
	v_lshrrev_b32_e32 v33, 16, v8
	v_lshrrev_b32_e32 v32, 16, v9
	v_cmp_ne_u32_e64 s[0:1], 1, v14
	s_andn2_b64 vcc, exec, s[2:3]
	v_xor_b32_e32 v86, -1, v10
	v_xor_b32_e32 v85, -1, v40
	;; [unrolled: 1-line block ×28, first 2 shown]
	s_barrier
	s_cbranch_vccnz .LBB2525_62
; %bb.61:
	v_and_b32_e32 v68, 1, v86
	v_and_b32_e32 v67, 1, v85
	;; [unrolled: 1-line block ×28, first 2 shown]
	s_load_dwordx2 s[28:29], s[4:5], 0x70
	s_cbranch_execz .LBB2525_63
	s_branch .LBB2525_64
.LBB2525_62:
                                        ; implicit-def: $vgpr68
                                        ; implicit-def: $vgpr67
                                        ; implicit-def: $vgpr66
                                        ; implicit-def: $vgpr65
                                        ; implicit-def: $vgpr64
                                        ; implicit-def: $vgpr63
                                        ; implicit-def: $vgpr62
                                        ; implicit-def: $vgpr61
                                        ; implicit-def: $vgpr60
                                        ; implicit-def: $vgpr59
                                        ; implicit-def: $vgpr58
                                        ; implicit-def: $vgpr57
                                        ; implicit-def: $vgpr56
                                        ; implicit-def: $vgpr55
                                        ; implicit-def: $vgpr54
                                        ; implicit-def: $vgpr53
                                        ; implicit-def: $vgpr52
                                        ; implicit-def: $vgpr51
                                        ; implicit-def: $vgpr50
                                        ; implicit-def: $vgpr49
                                        ; implicit-def: $vgpr48
                                        ; implicit-def: $vgpr47
                                        ; implicit-def: $vgpr46
                                        ; implicit-def: $vgpr45
                                        ; implicit-def: $vgpr44
                                        ; implicit-def: $vgpr43
                                        ; implicit-def: $vgpr41
                                        ; implicit-def: $vgpr42
	s_load_dwordx2 s[28:29], s[4:5], 0x70
.LBB2525_63:
	v_or_b32_e32 v50, 1, v39
	v_cmp_gt_u32_e32 vcc, s33, v39
	v_or_b32_e32 v51, 2, v39
	v_cndmask_b32_e64 v59, 0, 1, vcc
	v_cmp_gt_u32_e32 vcc, s33, v50
	v_or_b32_e32 v52, 3, v39
	v_cndmask_b32_e64 v50, 0, 1, vcc
	v_cmp_gt_u32_e32 vcc, s33, v51
	v_add_u32_e32 v53, 4, v39
	v_and_b32_e32 v67, v50, v85
	v_cndmask_b32_e64 v50, 0, 1, vcc
	v_cmp_gt_u32_e32 vcc, s33, v52
	v_add_u32_e32 v54, 5, v39
	v_and_b32_e32 v66, v50, v84
	;; [unrolled: 4-line block ×9, first 2 shown]
	v_and_b32_e32 v59, v50, v77
	v_cndmask_b32_e64 v50, 0, 1, vcc
	v_cmp_gt_u32_e32 vcc, s33, v88
	v_add_u32_e32 v90, 13, v39
	v_and_b32_e32 v58, v50, v76
	v_cndmask_b32_e64 v50, 0, 1, vcc
	v_cmp_gt_u32_e32 vcc, s33, v89
	v_add_u32_e32 v91, 14, v39
	v_and_b32_e32 v57, v50, v75
	v_cndmask_b32_e64 v50, 0, 1, vcc
	v_cmp_gt_u32_e32 vcc, s33, v90
	v_add_u32_e32 v92, 15, v39
	v_and_b32_e32 v56, v50, v74
	v_cndmask_b32_e64 v50, 0, 1, vcc
	v_cmp_gt_u32_e32 vcc, s33, v91
	v_add_u32_e32 v93, 16, v39
	v_and_b32_e32 v55, v50, v73
	v_cndmask_b32_e64 v50, 0, 1, vcc
	v_cmp_gt_u32_e32 vcc, s33, v92
	v_add_u32_e32 v94, 17, v39
	v_and_b32_e32 v54, v50, v72
	v_cndmask_b32_e64 v50, 0, 1, vcc
	v_cmp_gt_u32_e32 vcc, s33, v93
	v_add_u32_e32 v95, 18, v39
	v_and_b32_e32 v53, v50, v71
	v_cndmask_b32_e64 v50, 0, 1, vcc
	v_cmp_gt_u32_e32 vcc, s33, v94
	v_add_u32_e32 v49, 19, v39
	v_and_b32_e32 v52, v50, v70
	v_cndmask_b32_e64 v50, 0, 1, vcc
	v_cmp_gt_u32_e32 vcc, s33, v95
	v_add_u32_e32 v48, 20, v39
	v_and_b32_e32 v51, v50, v69
	v_cndmask_b32_e64 v50, 0, 1, vcc
	v_cmp_gt_u32_e32 vcc, s33, v49
	v_add_u32_e32 v47, 21, v39
	v_and_b32_e32 v50, v50, v25
	v_cndmask_b32_e64 v25, 0, 1, vcc
	v_cmp_gt_u32_e32 vcc, s33, v48
	v_add_u32_e32 v46, 22, v39
	v_and_b32_e32 v49, v25, v24
	v_cndmask_b32_e64 v24, 0, 1, vcc
	v_cmp_gt_u32_e32 vcc, s33, v47
	v_add_u32_e32 v45, 23, v39
	v_and_b32_e32 v48, v24, v23
	v_cndmask_b32_e64 v23, 0, 1, vcc
	v_cmp_gt_u32_e32 vcc, s33, v46
	v_add_u32_e32 v44, 24, v39
	v_and_b32_e32 v47, v23, v22
	v_cndmask_b32_e64 v22, 0, 1, vcc
	v_cmp_gt_u32_e32 vcc, s33, v45
	v_add_u32_e32 v43, 25, v39
	v_and_b32_e32 v46, v22, v21
	v_cndmask_b32_e64 v21, 0, 1, vcc
	v_cmp_gt_u32_e32 vcc, s33, v44
	v_add_u32_e32 v41, 26, v39
	v_and_b32_e32 v45, v21, v20
	v_cndmask_b32_e64 v20, 0, 1, vcc
	v_cmp_gt_u32_e32 vcc, s33, v43
	v_add_u32_e32 v42, 27, v39
	v_and_b32_e32 v44, v20, v17
	v_cndmask_b32_e64 v17, 0, 1, vcc
	v_cmp_gt_u32_e32 vcc, s33, v41
	v_and_b32_e32 v43, v17, v16
	v_cndmask_b32_e64 v16, 0, 1, vcc
	v_cmp_gt_u32_e32 vcc, s33, v42
	v_and_b32_e32 v41, v16, v15
	v_cndmask_b32_e64 v15, 0, 1, vcc
	v_and_b32_e32 v42, v15, v14
.LBB2525_64:
	v_and_b32_e32 v93, 0xff, v44
	v_and_b32_e32 v94, 0xff, v43
	v_add_u32_sdwa v14, v41, v42 dst_sel:DWORD dst_unused:UNUSED_PAD src0_sel:BYTE_0 src1_sel:BYTE_0
	v_and_b32_e32 v91, 0xff, v46
	v_and_b32_e32 v92, 0xff, v45
	v_add3_u32 v14, v14, v94, v93
	v_and_b32_e32 v89, 0xff, v48
	v_and_b32_e32 v90, 0xff, v47
	v_add3_u32 v14, v14, v92, v91
	;; [unrolled: 3-line block ×12, first 2 shown]
	v_add3_u32 v97, v14, v70, v69
	v_mbcnt_lo_u32_b32 v14, -1, 0
	v_mbcnt_hi_u32_b32 v95, -1, v14
	v_and_b32_e32 v14, 15, v95
	v_cmp_eq_u32_e64 s[16:17], 0, v14
	v_cmp_lt_u32_e64 s[14:15], 1, v14
	v_cmp_lt_u32_e64 s[12:13], 3, v14
	;; [unrolled: 1-line block ×3, first 2 shown]
	v_and_b32_e32 v14, 16, v95
	v_cmp_eq_u32_e64 s[8:9], 0, v14
	v_or_b32_e32 v14, 63, v0
	s_cmp_lg_u32 s6, 0
	v_cmp_lt_u32_e64 s[2:3], 31, v95
	v_lshrrev_b32_e32 v96, 6, v0
	v_cmp_eq_u32_e64 s[20:21], v14, v0
	s_cbranch_scc0 .LBB2525_91
; %bb.65:
	v_mov_b32_dpp v14, v97 row_shr:1 row_mask:0xf bank_mask:0xf
	v_cndmask_b32_e64 v14, v14, 0, s[16:17]
	v_add_u32_e32 v14, v14, v97
	s_nop 1
	v_mov_b32_dpp v15, v14 row_shr:2 row_mask:0xf bank_mask:0xf
	v_cndmask_b32_e64 v15, 0, v15, s[14:15]
	v_add_u32_e32 v14, v14, v15
	s_nop 1
	;; [unrolled: 4-line block ×4, first 2 shown]
	v_mov_b32_dpp v15, v14 row_bcast:15 row_mask:0xf bank_mask:0xf
	v_cndmask_b32_e64 v15, v15, 0, s[8:9]
	v_add_u32_e32 v14, v14, v15
	s_nop 1
	v_mov_b32_dpp v15, v14 row_bcast:31 row_mask:0xf bank_mask:0xf
	v_cndmask_b32_e64 v15, 0, v15, s[2:3]
	v_add_u32_e32 v14, v14, v15
	s_and_saveexec_b64 s[18:19], s[20:21]
	s_cbranch_execz .LBB2525_67
; %bb.66:
	v_lshlrev_b32_e32 v15, 2, v96
	ds_write_b32 v15, v14
.LBB2525_67:
	s_or_b64 exec, exec, s[18:19]
	v_cmp_gt_u32_e32 vcc, 4, v0
	s_waitcnt lgkmcnt(0)
	s_barrier
	s_and_saveexec_b64 s[18:19], vcc
	s_cbranch_execz .LBB2525_69
; %bb.68:
	v_lshlrev_b32_e32 v15, 2, v0
	ds_read_b32 v16, v15
	v_and_b32_e32 v17, 3, v95
	v_cmp_ne_u32_e32 vcc, 0, v17
	s_waitcnt lgkmcnt(0)
	v_mov_b32_dpp v20, v16 row_shr:1 row_mask:0xf bank_mask:0xf
	v_cndmask_b32_e32 v20, 0, v20, vcc
	v_add_u32_e32 v16, v20, v16
	v_cmp_lt_u32_e32 vcc, 1, v17
	s_nop 0
	v_mov_b32_dpp v20, v16 row_shr:2 row_mask:0xf bank_mask:0xf
	v_cndmask_b32_e32 v17, 0, v20, vcc
	v_add_u32_e32 v16, v16, v17
	ds_write_b32 v15, v16
.LBB2525_69:
	s_or_b64 exec, exec, s[18:19]
	v_cmp_gt_u32_e32 vcc, 64, v0
	v_cmp_lt_u32_e64 s[18:19], 63, v0
	s_waitcnt lgkmcnt(0)
	s_barrier
	s_waitcnt lgkmcnt(0)
                                        ; implicit-def: $vgpr98
	s_and_saveexec_b64 s[30:31], s[18:19]
	s_cbranch_execz .LBB2525_71
; %bb.70:
	v_lshl_add_u32 v15, v96, 2, -4
	ds_read_b32 v98, v15
	s_waitcnt lgkmcnt(0)
	v_add_u32_e32 v14, v98, v14
.LBB2525_71:
	s_or_b64 exec, exec, s[30:31]
	v_add_u32_e32 v15, -1, v95
	v_and_b32_e32 v16, 64, v95
	v_cmp_lt_i32_e64 s[18:19], v15, v16
	v_cndmask_b32_e64 v15, v15, v95, s[18:19]
	v_lshlrev_b32_e32 v15, 2, v15
	ds_bpermute_b32 v99, v15, v14
	v_cmp_eq_u32_e64 s[18:19], 0, v95
	s_and_saveexec_b64 s[30:31], vcc
	s_cbranch_execz .LBB2525_90
; %bb.72:
	v_mov_b32_e32 v23, 0
	ds_read_b32 v14, v23 offset:12
	s_and_saveexec_b64 s[34:35], s[18:19]
	s_cbranch_execz .LBB2525_74
; %bb.73:
	s_add_i32 s36, s6, 64
	s_mov_b32 s37, 0
	s_lshl_b64 s[36:37], s[36:37], 3
	s_add_u32 s36, s28, s36
	v_mov_b32_e32 v15, 1
	s_addc_u32 s37, s29, s37
	s_waitcnt lgkmcnt(0)
	global_store_dwordx2 v23, v[14:15], s[36:37]
.LBB2525_74:
	s_or_b64 exec, exec, s[34:35]
	v_xad_u32 v16, v95, -1, s6
	v_add_u32_e32 v22, 64, v16
	v_lshlrev_b64 v[20:21], 3, v[22:23]
	v_mov_b32_e32 v15, s29
	v_add_co_u32_e32 v24, vcc, s28, v20
	v_addc_co_u32_e32 v25, vcc, v15, v21, vcc
	global_load_dwordx2 v[20:21], v[24:25], off glc
	s_waitcnt vmcnt(0)
	v_cmp_eq_u16_sdwa s[36:37], v21, v23 src0_sel:BYTE_0 src1_sel:DWORD
	s_and_saveexec_b64 s[34:35], s[36:37]
	s_cbranch_execz .LBB2525_78
; %bb.75:
	s_mov_b64 s[36:37], 0
	v_mov_b32_e32 v15, 0
.LBB2525_76:                            ; =>This Inner Loop Header: Depth=1
	global_load_dwordx2 v[20:21], v[24:25], off glc
	s_waitcnt vmcnt(0)
	v_cmp_ne_u16_sdwa s[38:39], v21, v15 src0_sel:BYTE_0 src1_sel:DWORD
	s_or_b64 s[36:37], s[38:39], s[36:37]
	s_andn2_b64 exec, exec, s[36:37]
	s_cbranch_execnz .LBB2525_76
; %bb.77:
	s_or_b64 exec, exec, s[36:37]
.LBB2525_78:
	s_or_b64 exec, exec, s[34:35]
	v_and_b32_e32 v101, 63, v95
	v_mov_b32_e32 v100, 2
	v_cmp_ne_u32_e32 vcc, 63, v101
	v_cmp_eq_u16_sdwa s[34:35], v21, v100 src0_sel:BYTE_0 src1_sel:DWORD
	v_lshlrev_b64 v[22:23], v95, -1
	v_addc_co_u32_e32 v24, vcc, 0, v95, vcc
	v_and_b32_e32 v15, s35, v23
	v_lshlrev_b32_e32 v102, 2, v24
	v_or_b32_e32 v15, 0x80000000, v15
	ds_bpermute_b32 v24, v102, v20
	v_and_b32_e32 v17, s34, v22
	v_ffbl_b32_e32 v15, v15
	v_add_u32_e32 v15, 32, v15
	v_ffbl_b32_e32 v17, v17
	v_min_u32_e32 v15, v17, v15
	v_cmp_lt_u32_e32 vcc, v101, v15
	s_waitcnt lgkmcnt(0)
	v_cndmask_b32_e32 v17, 0, v24, vcc
	v_cmp_gt_u32_e32 vcc, 62, v101
	v_add_u32_e32 v17, v17, v20
	v_cndmask_b32_e64 v20, 0, 1, vcc
	v_lshlrev_b32_e32 v20, 1, v20
	v_add_lshl_u32 v103, v20, v95, 2
	ds_bpermute_b32 v20, v103, v17
	v_add_u32_e32 v104, 2, v101
	v_cmp_le_u32_e32 vcc, v104, v15
	v_add_u32_e32 v106, 4, v101
	v_add_u32_e32 v108, 8, v101
	s_waitcnt lgkmcnt(0)
	v_cndmask_b32_e32 v20, 0, v20, vcc
	v_cmp_gt_u32_e32 vcc, 60, v101
	v_add_u32_e32 v17, v17, v20
	v_cndmask_b32_e64 v20, 0, 1, vcc
	v_lshlrev_b32_e32 v20, 2, v20
	v_add_lshl_u32 v105, v20, v95, 2
	ds_bpermute_b32 v20, v105, v17
	v_cmp_le_u32_e32 vcc, v106, v15
	v_add_u32_e32 v110, 16, v101
	v_add_u32_e32 v112, 32, v101
	s_waitcnt lgkmcnt(0)
	v_cndmask_b32_e32 v20, 0, v20, vcc
	v_cmp_gt_u32_e32 vcc, 56, v101
	v_add_u32_e32 v17, v17, v20
	v_cndmask_b32_e64 v20, 0, 1, vcc
	v_lshlrev_b32_e32 v20, 3, v20
	v_add_lshl_u32 v107, v20, v95, 2
	ds_bpermute_b32 v20, v107, v17
	v_cmp_le_u32_e32 vcc, v108, v15
	s_waitcnt lgkmcnt(0)
	v_cndmask_b32_e32 v20, 0, v20, vcc
	v_cmp_gt_u32_e32 vcc, 48, v101
	v_add_u32_e32 v17, v17, v20
	v_cndmask_b32_e64 v20, 0, 1, vcc
	v_lshlrev_b32_e32 v20, 4, v20
	v_add_lshl_u32 v109, v20, v95, 2
	ds_bpermute_b32 v20, v109, v17
	v_cmp_le_u32_e32 vcc, v110, v15
	;; [unrolled: 9-line block ×3, first 2 shown]
	s_waitcnt lgkmcnt(0)
	v_cndmask_b32_e32 v15, 0, v20, vcc
	v_add_u32_e32 v20, v17, v15
	v_mov_b32_e32 v17, 0
	s_branch .LBB2525_80
.LBB2525_79:                            ;   in Loop: Header=BB2525_80 Depth=1
	s_or_b64 exec, exec, s[34:35]
	v_cmp_eq_u16_sdwa s[34:35], v21, v100 src0_sel:BYTE_0 src1_sel:DWORD
	v_and_b32_e32 v24, s35, v23
	v_or_b32_e32 v24, 0x80000000, v24
	ds_bpermute_b32 v113, v102, v20
	v_and_b32_e32 v25, s34, v22
	v_ffbl_b32_e32 v24, v24
	v_add_u32_e32 v24, 32, v24
	v_ffbl_b32_e32 v25, v25
	v_min_u32_e32 v24, v25, v24
	v_cmp_lt_u32_e32 vcc, v101, v24
	s_waitcnt lgkmcnt(0)
	v_cndmask_b32_e32 v25, 0, v113, vcc
	v_add_u32_e32 v20, v25, v20
	ds_bpermute_b32 v25, v103, v20
	v_cmp_le_u32_e32 vcc, v104, v24
	v_subrev_u32_e32 v16, 64, v16
	s_waitcnt lgkmcnt(0)
	v_cndmask_b32_e32 v25, 0, v25, vcc
	v_add_u32_e32 v20, v20, v25
	ds_bpermute_b32 v25, v105, v20
	v_cmp_le_u32_e32 vcc, v106, v24
	s_waitcnt lgkmcnt(0)
	v_cndmask_b32_e32 v25, 0, v25, vcc
	v_add_u32_e32 v20, v20, v25
	ds_bpermute_b32 v25, v107, v20
	v_cmp_le_u32_e32 vcc, v108, v24
	;; [unrolled: 5-line block ×4, first 2 shown]
	s_waitcnt lgkmcnt(0)
	v_cndmask_b32_e32 v24, 0, v25, vcc
	v_add3_u32 v20, v24, v15, v20
.LBB2525_80:                            ; =>This Loop Header: Depth=1
                                        ;     Child Loop BB2525_83 Depth 2
	v_cmp_ne_u16_sdwa s[34:35], v21, v100 src0_sel:BYTE_0 src1_sel:DWORD
	v_cndmask_b32_e64 v15, 0, 1, s[34:35]
	;;#ASMSTART
	;;#ASMEND
	v_cmp_ne_u32_e32 vcc, 0, v15
	s_cmp_lg_u64 vcc, exec
	v_mov_b32_e32 v15, v20
	s_cbranch_scc1 .LBB2525_85
; %bb.81:                               ;   in Loop: Header=BB2525_80 Depth=1
	v_lshlrev_b64 v[20:21], 3, v[16:17]
	v_mov_b32_e32 v25, s29
	v_add_co_u32_e32 v24, vcc, s28, v20
	v_addc_co_u32_e32 v25, vcc, v25, v21, vcc
	global_load_dwordx2 v[20:21], v[24:25], off glc
	s_waitcnt vmcnt(0)
	v_cmp_eq_u16_sdwa s[36:37], v21, v17 src0_sel:BYTE_0 src1_sel:DWORD
	s_and_saveexec_b64 s[34:35], s[36:37]
	s_cbranch_execz .LBB2525_79
; %bb.82:                               ;   in Loop: Header=BB2525_80 Depth=1
	s_mov_b64 s[36:37], 0
.LBB2525_83:                            ;   Parent Loop BB2525_80 Depth=1
                                        ; =>  This Inner Loop Header: Depth=2
	global_load_dwordx2 v[20:21], v[24:25], off glc
	s_waitcnt vmcnt(0)
	v_cmp_ne_u16_sdwa s[38:39], v21, v17 src0_sel:BYTE_0 src1_sel:DWORD
	s_or_b64 s[36:37], s[38:39], s[36:37]
	s_andn2_b64 exec, exec, s[36:37]
	s_cbranch_execnz .LBB2525_83
; %bb.84:                               ;   in Loop: Header=BB2525_80 Depth=1
	s_or_b64 exec, exec, s[36:37]
	s_branch .LBB2525_79
.LBB2525_85:                            ;   in Loop: Header=BB2525_80 Depth=1
                                        ; implicit-def: $vgpr20
                                        ; implicit-def: $vgpr21
	s_cbranch_execz .LBB2525_80
; %bb.86:
	s_and_saveexec_b64 s[34:35], s[18:19]
	s_cbranch_execz .LBB2525_88
; %bb.87:
	s_add_i32 s6, s6, 64
	s_mov_b32 s7, 0
	s_lshl_b64 s[6:7], s[6:7], 3
	s_add_u32 s6, s28, s6
	v_add_u32_e32 v16, v15, v14
	v_mov_b32_e32 v17, 2
	s_addc_u32 s7, s29, s7
	v_mov_b32_e32 v20, 0
	global_store_dwordx2 v20, v[16:17], s[6:7]
	ds_write_b64 v20, v[14:15] offset:14336
.LBB2525_88:
	s_or_b64 exec, exec, s[34:35]
	v_cmp_eq_u32_e32 vcc, 0, v0
	s_and_b64 exec, exec, vcc
	s_cbranch_execz .LBB2525_90
; %bb.89:
	v_mov_b32_e32 v14, 0
	ds_write_b32 v14, v15 offset:12
.LBB2525_90:
	s_or_b64 exec, exec, s[30:31]
	v_mov_b32_e32 v14, 0
	s_waitcnt lgkmcnt(0)
	s_barrier
	ds_read_b32 v17, v14 offset:12
	s_waitcnt lgkmcnt(0)
	s_barrier
	ds_read_b64 v[14:15], v14 offset:14336
	v_cndmask_b32_e64 v16, v99, v98, s[18:19]
	v_cmp_ne_u32_e32 vcc, 0, v0
	v_cndmask_b32_e32 v16, 0, v16, vcc
	v_add_u32_e32 v17, v17, v16
	s_waitcnt lgkmcnt(0)
	v_mov_b32_e32 v16, v15
	s_load_dwordx2 s[4:5], s[4:5], 0x28
	s_branch .LBB2525_101
.LBB2525_91:
                                        ; implicit-def: $vgpr16
                                        ; implicit-def: $vgpr14
                                        ; implicit-def: $vgpr17
	s_load_dwordx2 s[4:5], s[4:5], 0x28
	s_cbranch_execz .LBB2525_101
; %bb.92:
	v_mov_b32_dpp v14, v97 row_shr:1 row_mask:0xf bank_mask:0xf
	v_cndmask_b32_e64 v14, v14, 0, s[16:17]
	v_add_u32_e32 v14, v14, v97
	s_nop 1
	v_mov_b32_dpp v15, v14 row_shr:2 row_mask:0xf bank_mask:0xf
	v_cndmask_b32_e64 v15, 0, v15, s[14:15]
	v_add_u32_e32 v14, v14, v15
	s_nop 1
	;; [unrolled: 4-line block ×4, first 2 shown]
	v_mov_b32_dpp v15, v14 row_bcast:15 row_mask:0xf bank_mask:0xf
	v_cndmask_b32_e64 v15, v15, 0, s[8:9]
	v_add_u32_e32 v14, v14, v15
	s_nop 1
	v_mov_b32_dpp v15, v14 row_bcast:31 row_mask:0xf bank_mask:0xf
	v_cndmask_b32_e64 v15, 0, v15, s[2:3]
	v_add_u32_e32 v14, v14, v15
	s_and_saveexec_b64 s[2:3], s[20:21]
	s_cbranch_execz .LBB2525_94
; %bb.93:
	v_lshlrev_b32_e32 v15, 2, v96
	ds_write_b32 v15, v14
.LBB2525_94:
	s_or_b64 exec, exec, s[2:3]
	v_cmp_gt_u32_e32 vcc, 4, v0
	s_waitcnt lgkmcnt(0)
	s_barrier
	s_and_saveexec_b64 s[2:3], vcc
	s_cbranch_execz .LBB2525_96
; %bb.95:
	v_lshlrev_b32_e32 v15, 2, v0
	ds_read_b32 v16, v15
	v_and_b32_e32 v17, 3, v95
	v_cmp_ne_u32_e32 vcc, 0, v17
	s_waitcnt lgkmcnt(0)
	v_mov_b32_dpp v20, v16 row_shr:1 row_mask:0xf bank_mask:0xf
	v_cndmask_b32_e32 v20, 0, v20, vcc
	v_add_u32_e32 v16, v20, v16
	v_cmp_lt_u32_e32 vcc, 1, v17
	s_nop 0
	v_mov_b32_dpp v20, v16 row_shr:2 row_mask:0xf bank_mask:0xf
	v_cndmask_b32_e32 v17, 0, v20, vcc
	v_add_u32_e32 v16, v16, v17
	ds_write_b32 v15, v16
.LBB2525_96:
	s_or_b64 exec, exec, s[2:3]
	v_cmp_lt_u32_e32 vcc, 63, v0
	v_mov_b32_e32 v15, 0
	v_mov_b32_e32 v16, 0
	s_waitcnt lgkmcnt(0)
	s_barrier
	s_and_saveexec_b64 s[2:3], vcc
	s_cbranch_execz .LBB2525_98
; %bb.97:
	v_lshl_add_u32 v16, v96, 2, -4
	ds_read_b32 v16, v16
.LBB2525_98:
	s_or_b64 exec, exec, s[2:3]
	v_add_u32_e32 v17, -1, v95
	v_and_b32_e32 v20, 64, v95
	v_cmp_lt_i32_e32 vcc, v17, v20
	v_cndmask_b32_e32 v17, v17, v95, vcc
	s_waitcnt lgkmcnt(0)
	v_add_u32_e32 v14, v16, v14
	v_lshlrev_b32_e32 v17, 2, v17
	ds_bpermute_b32 v17, v17, v14
	ds_read_b32 v14, v15 offset:12
	v_cmp_eq_u32_e32 vcc, 0, v0
	s_and_saveexec_b64 s[2:3], vcc
	s_cbranch_execz .LBB2525_100
; %bb.99:
	v_mov_b32_e32 v20, 0
	v_mov_b32_e32 v15, 2
	s_waitcnt lgkmcnt(0)
	global_store_dwordx2 v20, v[14:15], s[28:29] offset:512
.LBB2525_100:
	s_or_b64 exec, exec, s[2:3]
	v_cmp_eq_u32_e64 s[2:3], 0, v95
	s_waitcnt lgkmcnt(1)
	v_cndmask_b32_e64 v15, v17, v16, s[2:3]
	v_mov_b32_e32 v16, 0
	v_cndmask_b32_e64 v17, v15, 0, vcc
	s_waitcnt lgkmcnt(0)
	s_barrier
.LBB2525_101:
	v_add_u32_e32 v15, v17, v69
	v_add_u32_e32 v20, v15, v70
	v_add_u32_e32 v21, v20, v71
	v_add_u32_e32 v22, v21, v72
	v_add_u32_e32 v23, v22, v73
	v_add_u32_e32 v24, v23, v74
	v_add_u32_e32 v25, v24, v75
	v_add_u32_e32 v69, v25, v76
	v_add_u32_e32 v70, v69, v77
	v_add_u32_e32 v71, v70, v78
	v_add_u32_e32 v72, v71, v79
	v_add_u32_e32 v73, v72, v80
	v_add_u32_e32 v74, v73, v81
	v_add_u32_e32 v75, v74, v82
	v_add_u32_e32 v76, v75, v83
	v_add_u32_e32 v77, v76, v84
	v_add_u32_e32 v78, v77, v85
	v_add_u32_e32 v79, v78, v86
	v_add_u32_e32 v80, v79, v87
	v_add_u32_e32 v39, v14, v39
	v_sub_u32_e32 v17, v17, v16
	v_and_b32_e32 v68, 1, v68
	v_add_u32_e32 v81, v80, v88
	v_sub_u32_e32 v88, v39, v17
	v_cmp_eq_u32_e32 vcc, 1, v68
	v_cndmask_b32_e32 v17, v88, v17, vcc
	v_lshlrev_b32_e32 v17, 1, v17
	ds_write_b16 v17, v10
	v_sub_u32_e32 v10, v15, v16
	v_sub_u32_e32 v15, v39, v10
	v_and_b32_e32 v17, 1, v67
	v_add_u32_e32 v15, 1, v15
	v_cmp_eq_u32_e32 vcc, 1, v17
	v_cndmask_b32_e32 v10, v15, v10, vcc
	v_lshlrev_b32_e32 v10, 1, v10
	ds_write_b16 v10, v40
	v_sub_u32_e32 v10, v20, v16
	v_sub_u32_e32 v15, v39, v10
	v_and_b32_e32 v17, 1, v66
	v_add_u32_e32 v15, 2, v15
	;; [unrolled: 8-line block ×20, first 2 shown]
	v_cmp_eq_u32_e32 vcc, 1, v6
	v_cndmask_b32_e32 v2, v3, v2, vcc
	v_add_u32_e32 v82, v81, v89
	v_lshlrev_b32_e32 v2, 1, v2
	ds_write_b16 v2, v4
	v_sub_u32_e32 v2, v82, v16
	v_sub_u32_e32 v3, v39, v2
	v_and_b32_e32 v4, 1, v47
	v_add_u32_e32 v3, 21, v3
	v_cmp_eq_u32_e32 vcc, 1, v4
	v_cndmask_b32_e32 v2, v3, v2, vcc
	v_add_u32_e32 v83, v82, v90
	v_lshlrev_b32_e32 v2, 1, v2
	ds_write_b16 v2, v29
	v_sub_u32_e32 v2, v83, v16
	v_sub_u32_e32 v3, v39, v2
	v_and_b32_e32 v4, 1, v46
	v_add_u32_e32 v3, 22, v3
	v_cmp_eq_u32_e32 vcc, 1, v4
	v_cndmask_b32_e32 v2, v3, v2, vcc
	v_add_u32_e32 v84, v83, v91
	v_lshlrev_b32_e32 v2, 1, v2
	ds_write_b16 v2, v5
	v_sub_u32_e32 v2, v84, v16
	v_sub_u32_e32 v3, v39, v2
	v_and_b32_e32 v4, 1, v45
	v_add_u32_e32 v3, 23, v3
	v_cmp_eq_u32_e32 vcc, 1, v4
	v_cndmask_b32_e32 v2, v3, v2, vcc
	v_add_u32_e32 v85, v84, v92
	v_lshlrev_b32_e32 v2, 1, v2
	ds_write_b16 v2, v28
	v_sub_u32_e32 v2, v85, v16
	v_sub_u32_e32 v3, v39, v2
	v_and_b32_e32 v4, 1, v44
	v_add_u32_e32 v3, 24, v3
	v_cmp_eq_u32_e32 vcc, 1, v4
	v_cndmask_b32_e32 v2, v3, v2, vcc
	v_add_u32_e32 v86, v85, v93
	v_lshlrev_b32_e32 v2, 1, v2
	ds_write_b16 v2, v18
	v_sub_u32_e32 v2, v86, v16
	v_sub_u32_e32 v3, v39, v2
	v_and_b32_e32 v4, 1, v43
	v_add_u32_e32 v3, 25, v3
	v_cmp_eq_u32_e32 vcc, 1, v4
	v_cndmask_b32_e32 v2, v3, v2, vcc
	v_add_u32_e32 v87, v86, v94
	v_lshlrev_b32_e32 v2, 1, v2
	ds_write_b16 v2, v27
	v_sub_u32_e32 v2, v87, v16
	v_sub_u32_e32 v3, v39, v2
	v_and_b32_e32 v4, 1, v41
	v_add_u32_e32 v3, 26, v3
	v_cmp_eq_u32_e32 vcc, 1, v4
	v_cndmask_b32_e32 v2, v3, v2, vcc
	v_lshlrev_b32_e32 v2, 1, v2
	ds_write_b16 v2, v19
	v_sub_u32_sdwa v2, v41, v16 dst_sel:DWORD dst_unused:UNUSED_PAD src0_sel:BYTE_0 src1_sel:DWORD
	v_add_u32_e32 v2, v87, v2
	v_sub_u32_e32 v3, v39, v2
	v_and_b32_e32 v4, 1, v42
	v_add_u32_e32 v3, 27, v3
	v_cmp_eq_u32_e32 vcc, 1, v4
	v_cndmask_b32_e32 v2, v3, v2, vcc
	v_lshlrev_b32_e32 v2, 1, v2
	ds_write_b16 v2, v26
	s_waitcnt lgkmcnt(0)
	s_barrier
	ds_read_u16 v61, v1
	ds_read_u16 v60, v1 offset:512
	ds_read_u16 v58, v1 offset:1024
	;; [unrolled: 1-line block ×27, first 2 shown]
	v_or_b32_e32 v59, 0x100, v0
	v_or_b32_e32 v57, 0x200, v0
	;; [unrolled: 1-line block ×26, first 2 shown]
	s_and_b64 vcc, exec, s[0:1]
	v_or_b32_e32 v5, 0x1b00, v0
	s_cbranch_vccnz .LBB2525_131
; %bb.102:
	s_lshl_b64 s[0:1], s[22:23], 1
	v_mov_b32_e32 v17, 0
	s_add_u32 s0, s4, s0
	s_addc_u32 s1, s5, s1
	v_lshlrev_b64 v[2:3], 1, v[16:17]
	v_mov_b32_e32 v17, s1
	v_add_co_u32_e32 v2, vcc, s0, v2
	v_addc_co_u32_e32 v3, vcc, v17, v3, vcc
	v_cmp_lt_u32_e32 vcc, v0, v14
	s_and_saveexec_b64 s[0:1], vcc
	s_cbranch_execnz .LBB2525_166
; %bb.103:
	s_or_b64 exec, exec, s[0:1]
	v_cmp_lt_u32_e32 vcc, v59, v14
	s_and_saveexec_b64 s[0:1], vcc
	s_cbranch_execnz .LBB2525_167
.LBB2525_104:
	s_or_b64 exec, exec, s[0:1]
	v_cmp_lt_u32_e32 vcc, v57, v14
	s_and_saveexec_b64 s[0:1], vcc
	s_cbranch_execnz .LBB2525_168
.LBB2525_105:
	s_or_b64 exec, exec, s[0:1]
	v_cmp_lt_u32_e32 vcc, v55, v14
	s_and_saveexec_b64 s[0:1], vcc
	s_cbranch_execnz .LBB2525_169
.LBB2525_106:
	s_or_b64 exec, exec, s[0:1]
	v_cmp_lt_u32_e32 vcc, v53, v14
	s_and_saveexec_b64 s[0:1], vcc
	s_cbranch_execnz .LBB2525_170
.LBB2525_107:
	s_or_b64 exec, exec, s[0:1]
	v_cmp_lt_u32_e32 vcc, v52, v14
	s_and_saveexec_b64 s[0:1], vcc
	s_cbranch_execnz .LBB2525_171
.LBB2525_108:
	s_or_b64 exec, exec, s[0:1]
	v_cmp_lt_u32_e32 vcc, v50, v14
	s_and_saveexec_b64 s[0:1], vcc
	s_cbranch_execnz .LBB2525_172
.LBB2525_109:
	s_or_b64 exec, exec, s[0:1]
	v_cmp_lt_u32_e32 vcc, v48, v14
	s_and_saveexec_b64 s[0:1], vcc
	s_cbranch_execnz .LBB2525_173
.LBB2525_110:
	s_or_b64 exec, exec, s[0:1]
	v_cmp_lt_u32_e32 vcc, v45, v14
	s_and_saveexec_b64 s[0:1], vcc
	s_cbranch_execnz .LBB2525_174
.LBB2525_111:
	s_or_b64 exec, exec, s[0:1]
	v_cmp_lt_u32_e32 vcc, v43, v14
	s_and_saveexec_b64 s[0:1], vcc
	s_cbranch_execnz .LBB2525_175
.LBB2525_112:
	s_or_b64 exec, exec, s[0:1]
	v_cmp_lt_u32_e32 vcc, v41, v14
	s_and_saveexec_b64 s[0:1], vcc
	s_cbranch_execnz .LBB2525_176
.LBB2525_113:
	s_or_b64 exec, exec, s[0:1]
	v_cmp_lt_u32_e32 vcc, v39, v14
	s_and_saveexec_b64 s[0:1], vcc
	s_cbranch_execnz .LBB2525_177
.LBB2525_114:
	s_or_b64 exec, exec, s[0:1]
	v_cmp_lt_u32_e32 vcc, v37, v14
	s_and_saveexec_b64 s[0:1], vcc
	s_cbranch_execnz .LBB2525_178
.LBB2525_115:
	s_or_b64 exec, exec, s[0:1]
	v_cmp_lt_u32_e32 vcc, v35, v14
	s_and_saveexec_b64 s[0:1], vcc
	s_cbranch_execnz .LBB2525_179
.LBB2525_116:
	s_or_b64 exec, exec, s[0:1]
	v_cmp_lt_u32_e32 vcc, v33, v14
	s_and_saveexec_b64 s[0:1], vcc
	s_cbranch_execnz .LBB2525_180
.LBB2525_117:
	s_or_b64 exec, exec, s[0:1]
	v_cmp_lt_u32_e32 vcc, v30, v14
	s_and_saveexec_b64 s[0:1], vcc
	s_cbranch_execnz .LBB2525_181
.LBB2525_118:
	s_or_b64 exec, exec, s[0:1]
	v_cmp_lt_u32_e32 vcc, v29, v14
	s_and_saveexec_b64 s[0:1], vcc
	s_cbranch_execnz .LBB2525_182
.LBB2525_119:
	s_or_b64 exec, exec, s[0:1]
	v_cmp_lt_u32_e32 vcc, v27, v14
	s_and_saveexec_b64 s[0:1], vcc
	s_cbranch_execnz .LBB2525_183
.LBB2525_120:
	s_or_b64 exec, exec, s[0:1]
	v_cmp_lt_u32_e32 vcc, v25, v14
	s_and_saveexec_b64 s[0:1], vcc
	s_cbranch_execnz .LBB2525_184
.LBB2525_121:
	s_or_b64 exec, exec, s[0:1]
	v_cmp_lt_u32_e32 vcc, v23, v14
	s_and_saveexec_b64 s[0:1], vcc
	s_cbranch_execnz .LBB2525_185
.LBB2525_122:
	s_or_b64 exec, exec, s[0:1]
	v_cmp_lt_u32_e32 vcc, v21, v14
	s_and_saveexec_b64 s[0:1], vcc
	s_cbranch_execnz .LBB2525_186
.LBB2525_123:
	s_or_b64 exec, exec, s[0:1]
	v_cmp_lt_u32_e32 vcc, v19, v14
	s_and_saveexec_b64 s[0:1], vcc
	s_cbranch_execnz .LBB2525_187
.LBB2525_124:
	s_or_b64 exec, exec, s[0:1]
	v_cmp_lt_u32_e32 vcc, v15, v14
	s_and_saveexec_b64 s[0:1], vcc
	s_cbranch_execnz .LBB2525_188
.LBB2525_125:
	s_or_b64 exec, exec, s[0:1]
	v_cmp_lt_u32_e32 vcc, v12, v14
	s_and_saveexec_b64 s[0:1], vcc
	s_cbranch_execnz .LBB2525_189
.LBB2525_126:
	s_or_b64 exec, exec, s[0:1]
	v_cmp_lt_u32_e32 vcc, v11, v14
	s_and_saveexec_b64 s[0:1], vcc
	s_cbranch_execnz .LBB2525_190
.LBB2525_127:
	s_or_b64 exec, exec, s[0:1]
	v_cmp_lt_u32_e32 vcc, v9, v14
	s_and_saveexec_b64 s[0:1], vcc
	s_cbranch_execnz .LBB2525_191
.LBB2525_128:
	s_or_b64 exec, exec, s[0:1]
	v_cmp_lt_u32_e32 vcc, v7, v14
	s_and_saveexec_b64 s[0:1], vcc
	s_cbranch_execz .LBB2525_130
.LBB2525_129:
	v_lshlrev_b32_e32 v17, 1, v7
	v_readfirstlane_b32 s2, v2
	v_readfirstlane_b32 s3, v3
	s_waitcnt lgkmcnt(1)
	s_nop 3
	global_store_short v17, v6, s[2:3]
.LBB2525_130:
	s_or_b64 exec, exec, s[0:1]
	v_cmp_lt_u32_e64 s[0:1], v5, v14
	s_branch .LBB2525_161
.LBB2525_131:
	s_mov_b64 s[0:1], 0
                                        ; implicit-def: $vgpr2_vgpr3
	s_cbranch_execz .LBB2525_161
; %bb.132:
	s_lshl_b64 s[0:1], s[22:23], 1
	v_mov_b32_e32 v17, 0
	s_add_u32 s0, s4, s0
	s_addc_u32 s1, s5, s1
	v_lshlrev_b64 v[2:3], 1, v[16:17]
	v_mov_b32_e32 v17, s1
	v_add_co_u32_e32 v2, vcc, s0, v2
	v_min_u32_e32 v62, s33, v14
	v_addc_co_u32_e32 v3, vcc, v17, v3, vcc
	v_cmp_gt_u32_e32 vcc, v62, v0
	s_and_saveexec_b64 s[0:1], vcc
	s_cbranch_execnz .LBB2525_192
; %bb.133:
	s_or_b64 exec, exec, s[0:1]
	v_cmp_lt_u32_e32 vcc, v59, v62
	s_and_saveexec_b64 s[0:1], vcc
	s_cbranch_execnz .LBB2525_193
.LBB2525_134:
	s_or_b64 exec, exec, s[0:1]
	v_cmp_lt_u32_e32 vcc, v57, v62
	s_and_saveexec_b64 s[0:1], vcc
	s_cbranch_execnz .LBB2525_194
.LBB2525_135:
	s_or_b64 exec, exec, s[0:1]
	v_cmp_lt_u32_e32 vcc, v55, v62
	s_and_saveexec_b64 s[0:1], vcc
	s_cbranch_execnz .LBB2525_195
.LBB2525_136:
	s_or_b64 exec, exec, s[0:1]
	v_cmp_lt_u32_e32 vcc, v53, v62
	s_and_saveexec_b64 s[0:1], vcc
	s_cbranch_execnz .LBB2525_196
.LBB2525_137:
	s_or_b64 exec, exec, s[0:1]
	v_cmp_lt_u32_e32 vcc, v52, v62
	s_and_saveexec_b64 s[0:1], vcc
	s_cbranch_execnz .LBB2525_197
.LBB2525_138:
	s_or_b64 exec, exec, s[0:1]
	v_cmp_lt_u32_e32 vcc, v50, v62
	s_and_saveexec_b64 s[0:1], vcc
	s_cbranch_execnz .LBB2525_198
.LBB2525_139:
	s_or_b64 exec, exec, s[0:1]
	v_cmp_lt_u32_e32 vcc, v48, v62
	s_and_saveexec_b64 s[0:1], vcc
	s_cbranch_execnz .LBB2525_199
.LBB2525_140:
	s_or_b64 exec, exec, s[0:1]
	v_cmp_lt_u32_e32 vcc, v45, v62
	s_and_saveexec_b64 s[0:1], vcc
	s_cbranch_execnz .LBB2525_200
.LBB2525_141:
	s_or_b64 exec, exec, s[0:1]
	v_cmp_lt_u32_e32 vcc, v43, v62
	s_and_saveexec_b64 s[0:1], vcc
	s_cbranch_execnz .LBB2525_201
.LBB2525_142:
	s_or_b64 exec, exec, s[0:1]
	v_cmp_lt_u32_e32 vcc, v41, v62
	s_and_saveexec_b64 s[0:1], vcc
	s_cbranch_execnz .LBB2525_202
.LBB2525_143:
	s_or_b64 exec, exec, s[0:1]
	v_cmp_lt_u32_e32 vcc, v39, v62
	s_and_saveexec_b64 s[0:1], vcc
	s_cbranch_execnz .LBB2525_203
.LBB2525_144:
	s_or_b64 exec, exec, s[0:1]
	v_cmp_lt_u32_e32 vcc, v37, v62
	s_and_saveexec_b64 s[0:1], vcc
	s_cbranch_execnz .LBB2525_204
.LBB2525_145:
	s_or_b64 exec, exec, s[0:1]
	v_cmp_lt_u32_e32 vcc, v35, v62
	s_and_saveexec_b64 s[0:1], vcc
	s_cbranch_execnz .LBB2525_205
.LBB2525_146:
	s_or_b64 exec, exec, s[0:1]
	v_cmp_lt_u32_e32 vcc, v33, v62
	s_and_saveexec_b64 s[0:1], vcc
	s_cbranch_execnz .LBB2525_206
.LBB2525_147:
	s_or_b64 exec, exec, s[0:1]
	v_cmp_lt_u32_e32 vcc, v30, v62
	s_and_saveexec_b64 s[0:1], vcc
	s_cbranch_execnz .LBB2525_207
.LBB2525_148:
	s_or_b64 exec, exec, s[0:1]
	v_cmp_lt_u32_e32 vcc, v29, v62
	s_and_saveexec_b64 s[0:1], vcc
	s_cbranch_execnz .LBB2525_208
.LBB2525_149:
	s_or_b64 exec, exec, s[0:1]
	v_cmp_lt_u32_e32 vcc, v27, v62
	s_and_saveexec_b64 s[0:1], vcc
	s_cbranch_execnz .LBB2525_209
.LBB2525_150:
	s_or_b64 exec, exec, s[0:1]
	v_cmp_lt_u32_e32 vcc, v25, v62
	s_and_saveexec_b64 s[0:1], vcc
	s_cbranch_execnz .LBB2525_210
.LBB2525_151:
	s_or_b64 exec, exec, s[0:1]
	v_cmp_lt_u32_e32 vcc, v23, v62
	s_and_saveexec_b64 s[0:1], vcc
	s_cbranch_execnz .LBB2525_211
.LBB2525_152:
	s_or_b64 exec, exec, s[0:1]
	v_cmp_lt_u32_e32 vcc, v21, v62
	s_and_saveexec_b64 s[0:1], vcc
	s_cbranch_execnz .LBB2525_212
.LBB2525_153:
	s_or_b64 exec, exec, s[0:1]
	v_cmp_lt_u32_e32 vcc, v19, v62
	s_and_saveexec_b64 s[0:1], vcc
	s_cbranch_execnz .LBB2525_213
.LBB2525_154:
	s_or_b64 exec, exec, s[0:1]
	v_cmp_lt_u32_e32 vcc, v15, v62
	s_and_saveexec_b64 s[0:1], vcc
	s_cbranch_execnz .LBB2525_214
.LBB2525_155:
	s_or_b64 exec, exec, s[0:1]
	v_cmp_lt_u32_e32 vcc, v12, v62
	s_and_saveexec_b64 s[0:1], vcc
	s_cbranch_execnz .LBB2525_215
.LBB2525_156:
	s_or_b64 exec, exec, s[0:1]
	v_cmp_lt_u32_e32 vcc, v11, v62
	s_and_saveexec_b64 s[0:1], vcc
	s_cbranch_execnz .LBB2525_216
.LBB2525_157:
	s_or_b64 exec, exec, s[0:1]
	v_cmp_lt_u32_e32 vcc, v9, v62
	s_and_saveexec_b64 s[0:1], vcc
	s_cbranch_execnz .LBB2525_217
.LBB2525_158:
	s_or_b64 exec, exec, s[0:1]
	v_cmp_lt_u32_e32 vcc, v7, v62
	s_and_saveexec_b64 s[0:1], vcc
	s_cbranch_execz .LBB2525_160
.LBB2525_159:
	v_lshlrev_b32_e32 v1, 1, v7
	v_readfirstlane_b32 s2, v2
	v_readfirstlane_b32 s3, v3
	s_waitcnt lgkmcnt(1)
	s_nop 3
	global_store_short v1, v6, s[2:3]
.LBB2525_160:
	s_or_b64 exec, exec, s[0:1]
	v_cmp_lt_u32_e64 s[0:1], v5, v62
.LBB2525_161:
	s_and_saveexec_b64 s[2:3], s[0:1]
	s_cbranch_execz .LBB2525_163
; %bb.162:
	v_lshlrev_b32_e32 v1, 1, v5
	v_readfirstlane_b32 s0, v2
	v_readfirstlane_b32 s1, v3
	s_waitcnt lgkmcnt(0)
	s_nop 3
	global_store_short v1, v4, s[0:1]
.LBB2525_163:
	s_or_b64 exec, exec, s[2:3]
	v_cmp_eq_u32_e32 vcc, 0, v0
	s_and_b64 s[0:1], vcc, s[26:27]
	s_and_saveexec_b64 s[2:3], s[0:1]
	s_cbranch_execz .LBB2525_165
; %bb.164:
	v_mov_b32_e32 v0, s23
	v_add_co_u32_e32 v1, vcc, s22, v14
	v_addc_co_u32_e32 v3, vcc, 0, v0, vcc
	v_add_co_u32_e32 v0, vcc, v1, v16
	v_mov_b32_e32 v2, 0
	v_addc_co_u32_e32 v1, vcc, 0, v3, vcc
	global_store_dwordx2 v2, v[0:1], s[24:25]
.LBB2525_165:
	s_endpgm
.LBB2525_166:
	v_readfirstlane_b32 s2, v2
	v_readfirstlane_b32 s3, v3
	s_waitcnt lgkmcnt(14)
	s_nop 3
	global_store_short v1, v61, s[2:3]
	s_or_b64 exec, exec, s[0:1]
	v_cmp_lt_u32_e32 vcc, v59, v14
	s_and_saveexec_b64 s[0:1], vcc
	s_cbranch_execz .LBB2525_104
.LBB2525_167:
	v_readfirstlane_b32 s2, v2
	v_readfirstlane_b32 s3, v3
	s_waitcnt lgkmcnt(14)
	s_nop 3
	global_store_short v1, v60, s[2:3] offset:512
	s_or_b64 exec, exec, s[0:1]
	v_cmp_lt_u32_e32 vcc, v57, v14
	s_and_saveexec_b64 s[0:1], vcc
	s_cbranch_execz .LBB2525_105
.LBB2525_168:
	v_readfirstlane_b32 s2, v2
	v_readfirstlane_b32 s3, v3
	s_waitcnt lgkmcnt(14)
	s_nop 3
	global_store_short v1, v58, s[2:3] offset:1024
	s_or_b64 exec, exec, s[0:1]
	v_cmp_lt_u32_e32 vcc, v55, v14
	s_and_saveexec_b64 s[0:1], vcc
	s_cbranch_execz .LBB2525_106
.LBB2525_169:
	v_readfirstlane_b32 s2, v2
	v_readfirstlane_b32 s3, v3
	s_waitcnt lgkmcnt(14)
	s_nop 3
	global_store_short v1, v56, s[2:3] offset:1536
	s_or_b64 exec, exec, s[0:1]
	v_cmp_lt_u32_e32 vcc, v53, v14
	s_and_saveexec_b64 s[0:1], vcc
	s_cbranch_execz .LBB2525_107
.LBB2525_170:
	v_readfirstlane_b32 s2, v2
	v_readfirstlane_b32 s3, v3
	s_waitcnt lgkmcnt(14)
	s_nop 3
	global_store_short v1, v54, s[2:3] offset:2048
	s_or_b64 exec, exec, s[0:1]
	v_cmp_lt_u32_e32 vcc, v52, v14
	s_and_saveexec_b64 s[0:1], vcc
	s_cbranch_execz .LBB2525_108
.LBB2525_171:
	v_readfirstlane_b32 s2, v2
	v_readfirstlane_b32 s3, v3
	s_waitcnt lgkmcnt(14)
	s_nop 3
	global_store_short v1, v51, s[2:3] offset:2560
	s_or_b64 exec, exec, s[0:1]
	v_cmp_lt_u32_e32 vcc, v50, v14
	s_and_saveexec_b64 s[0:1], vcc
	s_cbranch_execz .LBB2525_109
.LBB2525_172:
	v_readfirstlane_b32 s2, v2
	v_readfirstlane_b32 s3, v3
	s_waitcnt lgkmcnt(14)
	s_nop 3
	global_store_short v1, v49, s[2:3] offset:3072
	s_or_b64 exec, exec, s[0:1]
	v_cmp_lt_u32_e32 vcc, v48, v14
	s_and_saveexec_b64 s[0:1], vcc
	s_cbranch_execz .LBB2525_110
.LBB2525_173:
	v_readfirstlane_b32 s2, v2
	v_readfirstlane_b32 s3, v3
	s_waitcnt lgkmcnt(14)
	s_nop 3
	global_store_short v1, v46, s[2:3] offset:3584
	s_or_b64 exec, exec, s[0:1]
	v_cmp_lt_u32_e32 vcc, v45, v14
	s_and_saveexec_b64 s[0:1], vcc
	s_cbranch_execz .LBB2525_111
.LBB2525_174:
	v_lshlrev_b32_e32 v17, 1, v45
	v_readfirstlane_b32 s2, v2
	v_readfirstlane_b32 s3, v3
	s_waitcnt lgkmcnt(14)
	s_nop 3
	global_store_short v17, v47, s[2:3]
	s_or_b64 exec, exec, s[0:1]
	v_cmp_lt_u32_e32 vcc, v43, v14
	s_and_saveexec_b64 s[0:1], vcc
	s_cbranch_execz .LBB2525_112
.LBB2525_175:
	v_lshlrev_b32_e32 v17, 1, v43
	v_readfirstlane_b32 s2, v2
	v_readfirstlane_b32 s3, v3
	s_waitcnt lgkmcnt(14)
	s_nop 3
	global_store_short v17, v44, s[2:3]
	s_or_b64 exec, exec, s[0:1]
	v_cmp_lt_u32_e32 vcc, v41, v14
	s_and_saveexec_b64 s[0:1], vcc
	s_cbranch_execz .LBB2525_113
.LBB2525_176:
	v_lshlrev_b32_e32 v17, 1, v41
	v_readfirstlane_b32 s2, v2
	v_readfirstlane_b32 s3, v3
	s_waitcnt lgkmcnt(14)
	s_nop 3
	global_store_short v17, v42, s[2:3]
	s_or_b64 exec, exec, s[0:1]
	v_cmp_lt_u32_e32 vcc, v39, v14
	s_and_saveexec_b64 s[0:1], vcc
	s_cbranch_execz .LBB2525_114
.LBB2525_177:
	v_lshlrev_b32_e32 v17, 1, v39
	v_readfirstlane_b32 s2, v2
	v_readfirstlane_b32 s3, v3
	s_waitcnt lgkmcnt(14)
	s_nop 3
	global_store_short v17, v40, s[2:3]
	s_or_b64 exec, exec, s[0:1]
	v_cmp_lt_u32_e32 vcc, v37, v14
	s_and_saveexec_b64 s[0:1], vcc
	s_cbranch_execz .LBB2525_115
.LBB2525_178:
	v_lshlrev_b32_e32 v17, 1, v37
	v_readfirstlane_b32 s2, v2
	v_readfirstlane_b32 s3, v3
	s_waitcnt lgkmcnt(14)
	s_nop 3
	global_store_short v17, v38, s[2:3]
	s_or_b64 exec, exec, s[0:1]
	v_cmp_lt_u32_e32 vcc, v35, v14
	s_and_saveexec_b64 s[0:1], vcc
	s_cbranch_execz .LBB2525_116
.LBB2525_179:
	v_lshlrev_b32_e32 v17, 1, v35
	v_readfirstlane_b32 s2, v2
	v_readfirstlane_b32 s3, v3
	s_waitcnt lgkmcnt(14)
	s_nop 3
	global_store_short v17, v36, s[2:3]
	s_or_b64 exec, exec, s[0:1]
	v_cmp_lt_u32_e32 vcc, v33, v14
	s_and_saveexec_b64 s[0:1], vcc
	s_cbranch_execz .LBB2525_117
.LBB2525_180:
	v_lshlrev_b32_e32 v17, 1, v33
	v_readfirstlane_b32 s2, v2
	v_readfirstlane_b32 s3, v3
	s_waitcnt lgkmcnt(13)
	s_nop 3
	global_store_short v17, v34, s[2:3]
	s_or_b64 exec, exec, s[0:1]
	v_cmp_lt_u32_e32 vcc, v30, v14
	s_and_saveexec_b64 s[0:1], vcc
	s_cbranch_execz .LBB2525_118
.LBB2525_181:
	v_lshlrev_b32_e32 v17, 1, v30
	v_readfirstlane_b32 s2, v2
	v_readfirstlane_b32 s3, v3
	s_waitcnt lgkmcnt(12)
	s_nop 3
	global_store_short v17, v31, s[2:3]
	s_or_b64 exec, exec, s[0:1]
	v_cmp_lt_u32_e32 vcc, v29, v14
	s_and_saveexec_b64 s[0:1], vcc
	s_cbranch_execz .LBB2525_119
.LBB2525_182:
	v_lshlrev_b32_e32 v17, 1, v29
	v_readfirstlane_b32 s2, v2
	v_readfirstlane_b32 s3, v3
	s_waitcnt lgkmcnt(11)
	s_nop 3
	global_store_short v17, v32, s[2:3]
	s_or_b64 exec, exec, s[0:1]
	v_cmp_lt_u32_e32 vcc, v27, v14
	s_and_saveexec_b64 s[0:1], vcc
	s_cbranch_execz .LBB2525_120
.LBB2525_183:
	v_lshlrev_b32_e32 v17, 1, v27
	v_readfirstlane_b32 s2, v2
	v_readfirstlane_b32 s3, v3
	s_waitcnt lgkmcnt(10)
	s_nop 3
	global_store_short v17, v28, s[2:3]
	s_or_b64 exec, exec, s[0:1]
	v_cmp_lt_u32_e32 vcc, v25, v14
	s_and_saveexec_b64 s[0:1], vcc
	s_cbranch_execz .LBB2525_121
.LBB2525_184:
	v_lshlrev_b32_e32 v17, 1, v25
	v_readfirstlane_b32 s2, v2
	v_readfirstlane_b32 s3, v3
	s_waitcnt lgkmcnt(9)
	s_nop 3
	global_store_short v17, v26, s[2:3]
	s_or_b64 exec, exec, s[0:1]
	v_cmp_lt_u32_e32 vcc, v23, v14
	s_and_saveexec_b64 s[0:1], vcc
	s_cbranch_execz .LBB2525_122
.LBB2525_185:
	v_lshlrev_b32_e32 v17, 1, v23
	v_readfirstlane_b32 s2, v2
	v_readfirstlane_b32 s3, v3
	s_waitcnt lgkmcnt(8)
	s_nop 3
	global_store_short v17, v24, s[2:3]
	s_or_b64 exec, exec, s[0:1]
	v_cmp_lt_u32_e32 vcc, v21, v14
	s_and_saveexec_b64 s[0:1], vcc
	s_cbranch_execz .LBB2525_123
.LBB2525_186:
	v_lshlrev_b32_e32 v17, 1, v21
	v_readfirstlane_b32 s2, v2
	v_readfirstlane_b32 s3, v3
	s_waitcnt lgkmcnt(7)
	s_nop 3
	global_store_short v17, v22, s[2:3]
	s_or_b64 exec, exec, s[0:1]
	v_cmp_lt_u32_e32 vcc, v19, v14
	s_and_saveexec_b64 s[0:1], vcc
	s_cbranch_execz .LBB2525_124
.LBB2525_187:
	v_lshlrev_b32_e32 v17, 1, v19
	v_readfirstlane_b32 s2, v2
	v_readfirstlane_b32 s3, v3
	s_waitcnt lgkmcnt(6)
	s_nop 3
	global_store_short v17, v20, s[2:3]
	s_or_b64 exec, exec, s[0:1]
	v_cmp_lt_u32_e32 vcc, v15, v14
	s_and_saveexec_b64 s[0:1], vcc
	s_cbranch_execz .LBB2525_125
.LBB2525_188:
	v_lshlrev_b32_e32 v17, 1, v15
	v_readfirstlane_b32 s2, v2
	v_readfirstlane_b32 s3, v3
	s_waitcnt lgkmcnt(5)
	s_nop 3
	global_store_short v17, v18, s[2:3]
	s_or_b64 exec, exec, s[0:1]
	v_cmp_lt_u32_e32 vcc, v12, v14
	s_and_saveexec_b64 s[0:1], vcc
	s_cbranch_execz .LBB2525_126
.LBB2525_189:
	v_lshlrev_b32_e32 v17, 1, v12
	v_readfirstlane_b32 s2, v2
	v_readfirstlane_b32 s3, v3
	s_waitcnt lgkmcnt(4)
	s_nop 3
	global_store_short v17, v13, s[2:3]
	s_or_b64 exec, exec, s[0:1]
	v_cmp_lt_u32_e32 vcc, v11, v14
	s_and_saveexec_b64 s[0:1], vcc
	s_cbranch_execz .LBB2525_127
.LBB2525_190:
	v_lshlrev_b32_e32 v17, 1, v11
	v_readfirstlane_b32 s2, v2
	v_readfirstlane_b32 s3, v3
	s_waitcnt lgkmcnt(3)
	s_nop 3
	global_store_short v17, v10, s[2:3]
	s_or_b64 exec, exec, s[0:1]
	v_cmp_lt_u32_e32 vcc, v9, v14
	s_and_saveexec_b64 s[0:1], vcc
	s_cbranch_execz .LBB2525_128
.LBB2525_191:
	v_lshlrev_b32_e32 v17, 1, v9
	v_readfirstlane_b32 s2, v2
	v_readfirstlane_b32 s3, v3
	s_waitcnt lgkmcnt(2)
	s_nop 3
	global_store_short v17, v8, s[2:3]
	s_or_b64 exec, exec, s[0:1]
	v_cmp_lt_u32_e32 vcc, v7, v14
	s_and_saveexec_b64 s[0:1], vcc
	s_cbranch_execnz .LBB2525_129
	s_branch .LBB2525_130
.LBB2525_192:
	v_readfirstlane_b32 s2, v2
	v_readfirstlane_b32 s3, v3
	s_waitcnt lgkmcnt(14)
	s_nop 3
	global_store_short v1, v61, s[2:3]
	s_or_b64 exec, exec, s[0:1]
	v_cmp_lt_u32_e32 vcc, v59, v62
	s_and_saveexec_b64 s[0:1], vcc
	s_cbranch_execz .LBB2525_134
.LBB2525_193:
	v_readfirstlane_b32 s2, v2
	v_readfirstlane_b32 s3, v3
	s_waitcnt lgkmcnt(14)
	s_nop 3
	global_store_short v1, v60, s[2:3] offset:512
	s_or_b64 exec, exec, s[0:1]
	v_cmp_lt_u32_e32 vcc, v57, v62
	s_and_saveexec_b64 s[0:1], vcc
	s_cbranch_execz .LBB2525_135
.LBB2525_194:
	v_readfirstlane_b32 s2, v2
	v_readfirstlane_b32 s3, v3
	s_waitcnt lgkmcnt(14)
	s_nop 3
	global_store_short v1, v58, s[2:3] offset:1024
	s_or_b64 exec, exec, s[0:1]
	v_cmp_lt_u32_e32 vcc, v55, v62
	s_and_saveexec_b64 s[0:1], vcc
	s_cbranch_execz .LBB2525_136
.LBB2525_195:
	v_readfirstlane_b32 s2, v2
	v_readfirstlane_b32 s3, v3
	s_waitcnt lgkmcnt(14)
	s_nop 3
	global_store_short v1, v56, s[2:3] offset:1536
	s_or_b64 exec, exec, s[0:1]
	v_cmp_lt_u32_e32 vcc, v53, v62
	s_and_saveexec_b64 s[0:1], vcc
	s_cbranch_execz .LBB2525_137
.LBB2525_196:
	v_readfirstlane_b32 s2, v2
	v_readfirstlane_b32 s3, v3
	s_waitcnt lgkmcnt(14)
	s_nop 3
	global_store_short v1, v54, s[2:3] offset:2048
	s_or_b64 exec, exec, s[0:1]
	v_cmp_lt_u32_e32 vcc, v52, v62
	s_and_saveexec_b64 s[0:1], vcc
	s_cbranch_execz .LBB2525_138
.LBB2525_197:
	v_readfirstlane_b32 s2, v2
	v_readfirstlane_b32 s3, v3
	s_waitcnt lgkmcnt(14)
	s_nop 3
	global_store_short v1, v51, s[2:3] offset:2560
	s_or_b64 exec, exec, s[0:1]
	v_cmp_lt_u32_e32 vcc, v50, v62
	s_and_saveexec_b64 s[0:1], vcc
	s_cbranch_execz .LBB2525_139
.LBB2525_198:
	v_readfirstlane_b32 s2, v2
	v_readfirstlane_b32 s3, v3
	s_waitcnt lgkmcnt(14)
	s_nop 3
	global_store_short v1, v49, s[2:3] offset:3072
	s_or_b64 exec, exec, s[0:1]
	v_cmp_lt_u32_e32 vcc, v48, v62
	s_and_saveexec_b64 s[0:1], vcc
	s_cbranch_execz .LBB2525_140
.LBB2525_199:
	v_readfirstlane_b32 s2, v2
	v_readfirstlane_b32 s3, v3
	s_waitcnt lgkmcnt(14)
	s_nop 3
	global_store_short v1, v46, s[2:3] offset:3584
	s_or_b64 exec, exec, s[0:1]
	v_cmp_lt_u32_e32 vcc, v45, v62
	s_and_saveexec_b64 s[0:1], vcc
	s_cbranch_execz .LBB2525_141
.LBB2525_200:
	v_lshlrev_b32_e32 v1, 1, v45
	v_readfirstlane_b32 s2, v2
	v_readfirstlane_b32 s3, v3
	s_waitcnt lgkmcnt(14)
	s_nop 3
	global_store_short v1, v47, s[2:3]
	s_or_b64 exec, exec, s[0:1]
	v_cmp_lt_u32_e32 vcc, v43, v62
	s_and_saveexec_b64 s[0:1], vcc
	s_cbranch_execz .LBB2525_142
.LBB2525_201:
	v_lshlrev_b32_e32 v1, 1, v43
	v_readfirstlane_b32 s2, v2
	v_readfirstlane_b32 s3, v3
	s_waitcnt lgkmcnt(14)
	s_nop 3
	global_store_short v1, v44, s[2:3]
	s_or_b64 exec, exec, s[0:1]
	v_cmp_lt_u32_e32 vcc, v41, v62
	s_and_saveexec_b64 s[0:1], vcc
	s_cbranch_execz .LBB2525_143
.LBB2525_202:
	v_lshlrev_b32_e32 v1, 1, v41
	v_readfirstlane_b32 s2, v2
	v_readfirstlane_b32 s3, v3
	s_waitcnt lgkmcnt(14)
	s_nop 3
	global_store_short v1, v42, s[2:3]
	s_or_b64 exec, exec, s[0:1]
	v_cmp_lt_u32_e32 vcc, v39, v62
	s_and_saveexec_b64 s[0:1], vcc
	s_cbranch_execz .LBB2525_144
.LBB2525_203:
	v_lshlrev_b32_e32 v1, 1, v39
	v_readfirstlane_b32 s2, v2
	v_readfirstlane_b32 s3, v3
	s_waitcnt lgkmcnt(14)
	s_nop 3
	global_store_short v1, v40, s[2:3]
	s_or_b64 exec, exec, s[0:1]
	v_cmp_lt_u32_e32 vcc, v37, v62
	s_and_saveexec_b64 s[0:1], vcc
	s_cbranch_execz .LBB2525_145
.LBB2525_204:
	v_lshlrev_b32_e32 v1, 1, v37
	v_readfirstlane_b32 s2, v2
	v_readfirstlane_b32 s3, v3
	s_waitcnt lgkmcnt(14)
	s_nop 3
	global_store_short v1, v38, s[2:3]
	s_or_b64 exec, exec, s[0:1]
	v_cmp_lt_u32_e32 vcc, v35, v62
	s_and_saveexec_b64 s[0:1], vcc
	s_cbranch_execz .LBB2525_146
.LBB2525_205:
	v_lshlrev_b32_e32 v1, 1, v35
	v_readfirstlane_b32 s2, v2
	v_readfirstlane_b32 s3, v3
	s_waitcnt lgkmcnt(14)
	s_nop 3
	global_store_short v1, v36, s[2:3]
	s_or_b64 exec, exec, s[0:1]
	v_cmp_lt_u32_e32 vcc, v33, v62
	s_and_saveexec_b64 s[0:1], vcc
	s_cbranch_execz .LBB2525_147
.LBB2525_206:
	v_lshlrev_b32_e32 v1, 1, v33
	v_readfirstlane_b32 s2, v2
	v_readfirstlane_b32 s3, v3
	s_waitcnt lgkmcnt(13)
	s_nop 3
	global_store_short v1, v34, s[2:3]
	s_or_b64 exec, exec, s[0:1]
	v_cmp_lt_u32_e32 vcc, v30, v62
	s_and_saveexec_b64 s[0:1], vcc
	s_cbranch_execz .LBB2525_148
.LBB2525_207:
	v_lshlrev_b32_e32 v1, 1, v30
	v_readfirstlane_b32 s2, v2
	v_readfirstlane_b32 s3, v3
	s_waitcnt lgkmcnt(12)
	s_nop 3
	global_store_short v1, v31, s[2:3]
	s_or_b64 exec, exec, s[0:1]
	v_cmp_lt_u32_e32 vcc, v29, v62
	s_and_saveexec_b64 s[0:1], vcc
	s_cbranch_execz .LBB2525_149
.LBB2525_208:
	v_lshlrev_b32_e32 v1, 1, v29
	v_readfirstlane_b32 s2, v2
	v_readfirstlane_b32 s3, v3
	s_waitcnt lgkmcnt(11)
	s_nop 3
	global_store_short v1, v32, s[2:3]
	s_or_b64 exec, exec, s[0:1]
	v_cmp_lt_u32_e32 vcc, v27, v62
	s_and_saveexec_b64 s[0:1], vcc
	s_cbranch_execz .LBB2525_150
.LBB2525_209:
	v_lshlrev_b32_e32 v1, 1, v27
	v_readfirstlane_b32 s2, v2
	v_readfirstlane_b32 s3, v3
	s_waitcnt lgkmcnt(10)
	s_nop 3
	global_store_short v1, v28, s[2:3]
	s_or_b64 exec, exec, s[0:1]
	v_cmp_lt_u32_e32 vcc, v25, v62
	s_and_saveexec_b64 s[0:1], vcc
	s_cbranch_execz .LBB2525_151
.LBB2525_210:
	v_lshlrev_b32_e32 v1, 1, v25
	v_readfirstlane_b32 s2, v2
	v_readfirstlane_b32 s3, v3
	s_waitcnt lgkmcnt(9)
	s_nop 3
	global_store_short v1, v26, s[2:3]
	s_or_b64 exec, exec, s[0:1]
	v_cmp_lt_u32_e32 vcc, v23, v62
	s_and_saveexec_b64 s[0:1], vcc
	s_cbranch_execz .LBB2525_152
.LBB2525_211:
	v_lshlrev_b32_e32 v1, 1, v23
	v_readfirstlane_b32 s2, v2
	v_readfirstlane_b32 s3, v3
	s_waitcnt lgkmcnt(8)
	s_nop 3
	global_store_short v1, v24, s[2:3]
	s_or_b64 exec, exec, s[0:1]
	v_cmp_lt_u32_e32 vcc, v21, v62
	s_and_saveexec_b64 s[0:1], vcc
	s_cbranch_execz .LBB2525_153
.LBB2525_212:
	v_lshlrev_b32_e32 v1, 1, v21
	v_readfirstlane_b32 s2, v2
	v_readfirstlane_b32 s3, v3
	s_waitcnt lgkmcnt(7)
	s_nop 3
	global_store_short v1, v22, s[2:3]
	s_or_b64 exec, exec, s[0:1]
	v_cmp_lt_u32_e32 vcc, v19, v62
	s_and_saveexec_b64 s[0:1], vcc
	s_cbranch_execz .LBB2525_154
.LBB2525_213:
	v_lshlrev_b32_e32 v1, 1, v19
	v_readfirstlane_b32 s2, v2
	v_readfirstlane_b32 s3, v3
	s_waitcnt lgkmcnt(6)
	s_nop 3
	global_store_short v1, v20, s[2:3]
	s_or_b64 exec, exec, s[0:1]
	v_cmp_lt_u32_e32 vcc, v15, v62
	s_and_saveexec_b64 s[0:1], vcc
	s_cbranch_execz .LBB2525_155
.LBB2525_214:
	v_lshlrev_b32_e32 v1, 1, v15
	v_readfirstlane_b32 s2, v2
	v_readfirstlane_b32 s3, v3
	s_waitcnt lgkmcnt(5)
	s_nop 3
	global_store_short v1, v18, s[2:3]
	s_or_b64 exec, exec, s[0:1]
	v_cmp_lt_u32_e32 vcc, v12, v62
	s_and_saveexec_b64 s[0:1], vcc
	s_cbranch_execz .LBB2525_156
.LBB2525_215:
	v_lshlrev_b32_e32 v1, 1, v12
	v_readfirstlane_b32 s2, v2
	v_readfirstlane_b32 s3, v3
	s_waitcnt lgkmcnt(4)
	s_nop 3
	global_store_short v1, v13, s[2:3]
	s_or_b64 exec, exec, s[0:1]
	v_cmp_lt_u32_e32 vcc, v11, v62
	s_and_saveexec_b64 s[0:1], vcc
	s_cbranch_execz .LBB2525_157
.LBB2525_216:
	v_lshlrev_b32_e32 v1, 1, v11
	v_readfirstlane_b32 s2, v2
	v_readfirstlane_b32 s3, v3
	s_waitcnt lgkmcnt(3)
	s_nop 3
	global_store_short v1, v10, s[2:3]
	s_or_b64 exec, exec, s[0:1]
	v_cmp_lt_u32_e32 vcc, v9, v62
	s_and_saveexec_b64 s[0:1], vcc
	s_cbranch_execz .LBB2525_158
.LBB2525_217:
	v_lshlrev_b32_e32 v1, 1, v9
	v_readfirstlane_b32 s2, v2
	v_readfirstlane_b32 s3, v3
	s_waitcnt lgkmcnt(2)
	s_nop 3
	global_store_short v1, v8, s[2:3]
	s_or_b64 exec, exec, s[0:1]
	v_cmp_lt_u32_e32 vcc, v7, v62
	s_and_saveexec_b64 s[0:1], vcc
	s_cbranch_execnz .LBB2525_159
	s_branch .LBB2525_160
	.section	.rodata,"a",@progbits
	.p2align	6, 0x0
	.amdhsa_kernel _ZN7rocprim17ROCPRIM_400000_NS6detail17trampoline_kernelINS0_14default_configENS1_25partition_config_selectorILNS1_17partition_subalgoE0EtNS0_10empty_typeEbEEZZNS1_14partition_implILS5_0ELb0ES3_jN6thrust23THRUST_200600_302600_NS6detail15normal_iteratorINSA_10device_ptrItEEEEPS6_SG_NS0_5tupleIJSF_NSA_16discard_iteratorINSA_11use_defaultEEEEEENSH_IJSG_SG_EEES6_PlJ7is_evenItEEEE10hipError_tPvRmT3_T4_T5_T6_T7_T9_mT8_P12ihipStream_tbDpT10_ENKUlT_T0_E_clISt17integral_constantIbLb0EES19_EEDaS14_S15_EUlS14_E_NS1_11comp_targetILNS1_3genE4ELNS1_11target_archE910ELNS1_3gpuE8ELNS1_3repE0EEENS1_30default_config_static_selectorELNS0_4arch9wavefront6targetE1EEEvT1_
		.amdhsa_group_segment_fixed_size 14344
		.amdhsa_private_segment_fixed_size 0
		.amdhsa_kernarg_size 128
		.amdhsa_user_sgpr_count 6
		.amdhsa_user_sgpr_private_segment_buffer 1
		.amdhsa_user_sgpr_dispatch_ptr 0
		.amdhsa_user_sgpr_queue_ptr 0
		.amdhsa_user_sgpr_kernarg_segment_ptr 1
		.amdhsa_user_sgpr_dispatch_id 0
		.amdhsa_user_sgpr_flat_scratch_init 0
		.amdhsa_user_sgpr_kernarg_preload_length 0
		.amdhsa_user_sgpr_kernarg_preload_offset 0
		.amdhsa_user_sgpr_private_segment_size 0
		.amdhsa_uses_dynamic_stack 0
		.amdhsa_system_sgpr_private_segment_wavefront_offset 0
		.amdhsa_system_sgpr_workgroup_id_x 1
		.amdhsa_system_sgpr_workgroup_id_y 0
		.amdhsa_system_sgpr_workgroup_id_z 0
		.amdhsa_system_sgpr_workgroup_info 0
		.amdhsa_system_vgpr_workitem_id 0
		.amdhsa_next_free_vgpr 114
		.amdhsa_next_free_sgpr 40
		.amdhsa_accum_offset 116
		.amdhsa_reserve_vcc 1
		.amdhsa_reserve_flat_scratch 0
		.amdhsa_float_round_mode_32 0
		.amdhsa_float_round_mode_16_64 0
		.amdhsa_float_denorm_mode_32 3
		.amdhsa_float_denorm_mode_16_64 3
		.amdhsa_dx10_clamp 1
		.amdhsa_ieee_mode 1
		.amdhsa_fp16_overflow 0
		.amdhsa_tg_split 0
		.amdhsa_exception_fp_ieee_invalid_op 0
		.amdhsa_exception_fp_denorm_src 0
		.amdhsa_exception_fp_ieee_div_zero 0
		.amdhsa_exception_fp_ieee_overflow 0
		.amdhsa_exception_fp_ieee_underflow 0
		.amdhsa_exception_fp_ieee_inexact 0
		.amdhsa_exception_int_div_zero 0
	.end_amdhsa_kernel
	.section	.text._ZN7rocprim17ROCPRIM_400000_NS6detail17trampoline_kernelINS0_14default_configENS1_25partition_config_selectorILNS1_17partition_subalgoE0EtNS0_10empty_typeEbEEZZNS1_14partition_implILS5_0ELb0ES3_jN6thrust23THRUST_200600_302600_NS6detail15normal_iteratorINSA_10device_ptrItEEEEPS6_SG_NS0_5tupleIJSF_NSA_16discard_iteratorINSA_11use_defaultEEEEEENSH_IJSG_SG_EEES6_PlJ7is_evenItEEEE10hipError_tPvRmT3_T4_T5_T6_T7_T9_mT8_P12ihipStream_tbDpT10_ENKUlT_T0_E_clISt17integral_constantIbLb0EES19_EEDaS14_S15_EUlS14_E_NS1_11comp_targetILNS1_3genE4ELNS1_11target_archE910ELNS1_3gpuE8ELNS1_3repE0EEENS1_30default_config_static_selectorELNS0_4arch9wavefront6targetE1EEEvT1_,"axG",@progbits,_ZN7rocprim17ROCPRIM_400000_NS6detail17trampoline_kernelINS0_14default_configENS1_25partition_config_selectorILNS1_17partition_subalgoE0EtNS0_10empty_typeEbEEZZNS1_14partition_implILS5_0ELb0ES3_jN6thrust23THRUST_200600_302600_NS6detail15normal_iteratorINSA_10device_ptrItEEEEPS6_SG_NS0_5tupleIJSF_NSA_16discard_iteratorINSA_11use_defaultEEEEEENSH_IJSG_SG_EEES6_PlJ7is_evenItEEEE10hipError_tPvRmT3_T4_T5_T6_T7_T9_mT8_P12ihipStream_tbDpT10_ENKUlT_T0_E_clISt17integral_constantIbLb0EES19_EEDaS14_S15_EUlS14_E_NS1_11comp_targetILNS1_3genE4ELNS1_11target_archE910ELNS1_3gpuE8ELNS1_3repE0EEENS1_30default_config_static_selectorELNS0_4arch9wavefront6targetE1EEEvT1_,comdat
.Lfunc_end2525:
	.size	_ZN7rocprim17ROCPRIM_400000_NS6detail17trampoline_kernelINS0_14default_configENS1_25partition_config_selectorILNS1_17partition_subalgoE0EtNS0_10empty_typeEbEEZZNS1_14partition_implILS5_0ELb0ES3_jN6thrust23THRUST_200600_302600_NS6detail15normal_iteratorINSA_10device_ptrItEEEEPS6_SG_NS0_5tupleIJSF_NSA_16discard_iteratorINSA_11use_defaultEEEEEENSH_IJSG_SG_EEES6_PlJ7is_evenItEEEE10hipError_tPvRmT3_T4_T5_T6_T7_T9_mT8_P12ihipStream_tbDpT10_ENKUlT_T0_E_clISt17integral_constantIbLb0EES19_EEDaS14_S15_EUlS14_E_NS1_11comp_targetILNS1_3genE4ELNS1_11target_archE910ELNS1_3gpuE8ELNS1_3repE0EEENS1_30default_config_static_selectorELNS0_4arch9wavefront6targetE1EEEvT1_, .Lfunc_end2525-_ZN7rocprim17ROCPRIM_400000_NS6detail17trampoline_kernelINS0_14default_configENS1_25partition_config_selectorILNS1_17partition_subalgoE0EtNS0_10empty_typeEbEEZZNS1_14partition_implILS5_0ELb0ES3_jN6thrust23THRUST_200600_302600_NS6detail15normal_iteratorINSA_10device_ptrItEEEEPS6_SG_NS0_5tupleIJSF_NSA_16discard_iteratorINSA_11use_defaultEEEEEENSH_IJSG_SG_EEES6_PlJ7is_evenItEEEE10hipError_tPvRmT3_T4_T5_T6_T7_T9_mT8_P12ihipStream_tbDpT10_ENKUlT_T0_E_clISt17integral_constantIbLb0EES19_EEDaS14_S15_EUlS14_E_NS1_11comp_targetILNS1_3genE4ELNS1_11target_archE910ELNS1_3gpuE8ELNS1_3repE0EEENS1_30default_config_static_selectorELNS0_4arch9wavefront6targetE1EEEvT1_
                                        ; -- End function
	.section	.AMDGPU.csdata,"",@progbits
; Kernel info:
; codeLenInByte = 10336
; NumSgprs: 44
; NumVgprs: 114
; NumAgprs: 0
; TotalNumVgprs: 114
; ScratchSize: 0
; MemoryBound: 0
; FloatMode: 240
; IeeeMode: 1
; LDSByteSize: 14344 bytes/workgroup (compile time only)
; SGPRBlocks: 5
; VGPRBlocks: 14
; NumSGPRsForWavesPerEU: 44
; NumVGPRsForWavesPerEU: 114
; AccumOffset: 116
; Occupancy: 4
; WaveLimiterHint : 1
; COMPUTE_PGM_RSRC2:SCRATCH_EN: 0
; COMPUTE_PGM_RSRC2:USER_SGPR: 6
; COMPUTE_PGM_RSRC2:TRAP_HANDLER: 0
; COMPUTE_PGM_RSRC2:TGID_X_EN: 1
; COMPUTE_PGM_RSRC2:TGID_Y_EN: 0
; COMPUTE_PGM_RSRC2:TGID_Z_EN: 0
; COMPUTE_PGM_RSRC2:TIDIG_COMP_CNT: 0
; COMPUTE_PGM_RSRC3_GFX90A:ACCUM_OFFSET: 28
; COMPUTE_PGM_RSRC3_GFX90A:TG_SPLIT: 0
	.section	.text._ZN7rocprim17ROCPRIM_400000_NS6detail17trampoline_kernelINS0_14default_configENS1_25partition_config_selectorILNS1_17partition_subalgoE0EtNS0_10empty_typeEbEEZZNS1_14partition_implILS5_0ELb0ES3_jN6thrust23THRUST_200600_302600_NS6detail15normal_iteratorINSA_10device_ptrItEEEEPS6_SG_NS0_5tupleIJSF_NSA_16discard_iteratorINSA_11use_defaultEEEEEENSH_IJSG_SG_EEES6_PlJ7is_evenItEEEE10hipError_tPvRmT3_T4_T5_T6_T7_T9_mT8_P12ihipStream_tbDpT10_ENKUlT_T0_E_clISt17integral_constantIbLb0EES19_EEDaS14_S15_EUlS14_E_NS1_11comp_targetILNS1_3genE3ELNS1_11target_archE908ELNS1_3gpuE7ELNS1_3repE0EEENS1_30default_config_static_selectorELNS0_4arch9wavefront6targetE1EEEvT1_,"axG",@progbits,_ZN7rocprim17ROCPRIM_400000_NS6detail17trampoline_kernelINS0_14default_configENS1_25partition_config_selectorILNS1_17partition_subalgoE0EtNS0_10empty_typeEbEEZZNS1_14partition_implILS5_0ELb0ES3_jN6thrust23THRUST_200600_302600_NS6detail15normal_iteratorINSA_10device_ptrItEEEEPS6_SG_NS0_5tupleIJSF_NSA_16discard_iteratorINSA_11use_defaultEEEEEENSH_IJSG_SG_EEES6_PlJ7is_evenItEEEE10hipError_tPvRmT3_T4_T5_T6_T7_T9_mT8_P12ihipStream_tbDpT10_ENKUlT_T0_E_clISt17integral_constantIbLb0EES19_EEDaS14_S15_EUlS14_E_NS1_11comp_targetILNS1_3genE3ELNS1_11target_archE908ELNS1_3gpuE7ELNS1_3repE0EEENS1_30default_config_static_selectorELNS0_4arch9wavefront6targetE1EEEvT1_,comdat
	.protected	_ZN7rocprim17ROCPRIM_400000_NS6detail17trampoline_kernelINS0_14default_configENS1_25partition_config_selectorILNS1_17partition_subalgoE0EtNS0_10empty_typeEbEEZZNS1_14partition_implILS5_0ELb0ES3_jN6thrust23THRUST_200600_302600_NS6detail15normal_iteratorINSA_10device_ptrItEEEEPS6_SG_NS0_5tupleIJSF_NSA_16discard_iteratorINSA_11use_defaultEEEEEENSH_IJSG_SG_EEES6_PlJ7is_evenItEEEE10hipError_tPvRmT3_T4_T5_T6_T7_T9_mT8_P12ihipStream_tbDpT10_ENKUlT_T0_E_clISt17integral_constantIbLb0EES19_EEDaS14_S15_EUlS14_E_NS1_11comp_targetILNS1_3genE3ELNS1_11target_archE908ELNS1_3gpuE7ELNS1_3repE0EEENS1_30default_config_static_selectorELNS0_4arch9wavefront6targetE1EEEvT1_ ; -- Begin function _ZN7rocprim17ROCPRIM_400000_NS6detail17trampoline_kernelINS0_14default_configENS1_25partition_config_selectorILNS1_17partition_subalgoE0EtNS0_10empty_typeEbEEZZNS1_14partition_implILS5_0ELb0ES3_jN6thrust23THRUST_200600_302600_NS6detail15normal_iteratorINSA_10device_ptrItEEEEPS6_SG_NS0_5tupleIJSF_NSA_16discard_iteratorINSA_11use_defaultEEEEEENSH_IJSG_SG_EEES6_PlJ7is_evenItEEEE10hipError_tPvRmT3_T4_T5_T6_T7_T9_mT8_P12ihipStream_tbDpT10_ENKUlT_T0_E_clISt17integral_constantIbLb0EES19_EEDaS14_S15_EUlS14_E_NS1_11comp_targetILNS1_3genE3ELNS1_11target_archE908ELNS1_3gpuE7ELNS1_3repE0EEENS1_30default_config_static_selectorELNS0_4arch9wavefront6targetE1EEEvT1_
	.globl	_ZN7rocprim17ROCPRIM_400000_NS6detail17trampoline_kernelINS0_14default_configENS1_25partition_config_selectorILNS1_17partition_subalgoE0EtNS0_10empty_typeEbEEZZNS1_14partition_implILS5_0ELb0ES3_jN6thrust23THRUST_200600_302600_NS6detail15normal_iteratorINSA_10device_ptrItEEEEPS6_SG_NS0_5tupleIJSF_NSA_16discard_iteratorINSA_11use_defaultEEEEEENSH_IJSG_SG_EEES6_PlJ7is_evenItEEEE10hipError_tPvRmT3_T4_T5_T6_T7_T9_mT8_P12ihipStream_tbDpT10_ENKUlT_T0_E_clISt17integral_constantIbLb0EES19_EEDaS14_S15_EUlS14_E_NS1_11comp_targetILNS1_3genE3ELNS1_11target_archE908ELNS1_3gpuE7ELNS1_3repE0EEENS1_30default_config_static_selectorELNS0_4arch9wavefront6targetE1EEEvT1_
	.p2align	8
	.type	_ZN7rocprim17ROCPRIM_400000_NS6detail17trampoline_kernelINS0_14default_configENS1_25partition_config_selectorILNS1_17partition_subalgoE0EtNS0_10empty_typeEbEEZZNS1_14partition_implILS5_0ELb0ES3_jN6thrust23THRUST_200600_302600_NS6detail15normal_iteratorINSA_10device_ptrItEEEEPS6_SG_NS0_5tupleIJSF_NSA_16discard_iteratorINSA_11use_defaultEEEEEENSH_IJSG_SG_EEES6_PlJ7is_evenItEEEE10hipError_tPvRmT3_T4_T5_T6_T7_T9_mT8_P12ihipStream_tbDpT10_ENKUlT_T0_E_clISt17integral_constantIbLb0EES19_EEDaS14_S15_EUlS14_E_NS1_11comp_targetILNS1_3genE3ELNS1_11target_archE908ELNS1_3gpuE7ELNS1_3repE0EEENS1_30default_config_static_selectorELNS0_4arch9wavefront6targetE1EEEvT1_,@function
_ZN7rocprim17ROCPRIM_400000_NS6detail17trampoline_kernelINS0_14default_configENS1_25partition_config_selectorILNS1_17partition_subalgoE0EtNS0_10empty_typeEbEEZZNS1_14partition_implILS5_0ELb0ES3_jN6thrust23THRUST_200600_302600_NS6detail15normal_iteratorINSA_10device_ptrItEEEEPS6_SG_NS0_5tupleIJSF_NSA_16discard_iteratorINSA_11use_defaultEEEEEENSH_IJSG_SG_EEES6_PlJ7is_evenItEEEE10hipError_tPvRmT3_T4_T5_T6_T7_T9_mT8_P12ihipStream_tbDpT10_ENKUlT_T0_E_clISt17integral_constantIbLb0EES19_EEDaS14_S15_EUlS14_E_NS1_11comp_targetILNS1_3genE3ELNS1_11target_archE908ELNS1_3gpuE7ELNS1_3repE0EEENS1_30default_config_static_selectorELNS0_4arch9wavefront6targetE1EEEvT1_: ; @_ZN7rocprim17ROCPRIM_400000_NS6detail17trampoline_kernelINS0_14default_configENS1_25partition_config_selectorILNS1_17partition_subalgoE0EtNS0_10empty_typeEbEEZZNS1_14partition_implILS5_0ELb0ES3_jN6thrust23THRUST_200600_302600_NS6detail15normal_iteratorINSA_10device_ptrItEEEEPS6_SG_NS0_5tupleIJSF_NSA_16discard_iteratorINSA_11use_defaultEEEEEENSH_IJSG_SG_EEES6_PlJ7is_evenItEEEE10hipError_tPvRmT3_T4_T5_T6_T7_T9_mT8_P12ihipStream_tbDpT10_ENKUlT_T0_E_clISt17integral_constantIbLb0EES19_EEDaS14_S15_EUlS14_E_NS1_11comp_targetILNS1_3genE3ELNS1_11target_archE908ELNS1_3gpuE7ELNS1_3repE0EEENS1_30default_config_static_selectorELNS0_4arch9wavefront6targetE1EEEvT1_
; %bb.0:
	.section	.rodata,"a",@progbits
	.p2align	6, 0x0
	.amdhsa_kernel _ZN7rocprim17ROCPRIM_400000_NS6detail17trampoline_kernelINS0_14default_configENS1_25partition_config_selectorILNS1_17partition_subalgoE0EtNS0_10empty_typeEbEEZZNS1_14partition_implILS5_0ELb0ES3_jN6thrust23THRUST_200600_302600_NS6detail15normal_iteratorINSA_10device_ptrItEEEEPS6_SG_NS0_5tupleIJSF_NSA_16discard_iteratorINSA_11use_defaultEEEEEENSH_IJSG_SG_EEES6_PlJ7is_evenItEEEE10hipError_tPvRmT3_T4_T5_T6_T7_T9_mT8_P12ihipStream_tbDpT10_ENKUlT_T0_E_clISt17integral_constantIbLb0EES19_EEDaS14_S15_EUlS14_E_NS1_11comp_targetILNS1_3genE3ELNS1_11target_archE908ELNS1_3gpuE7ELNS1_3repE0EEENS1_30default_config_static_selectorELNS0_4arch9wavefront6targetE1EEEvT1_
		.amdhsa_group_segment_fixed_size 0
		.amdhsa_private_segment_fixed_size 0
		.amdhsa_kernarg_size 128
		.amdhsa_user_sgpr_count 6
		.amdhsa_user_sgpr_private_segment_buffer 1
		.amdhsa_user_sgpr_dispatch_ptr 0
		.amdhsa_user_sgpr_queue_ptr 0
		.amdhsa_user_sgpr_kernarg_segment_ptr 1
		.amdhsa_user_sgpr_dispatch_id 0
		.amdhsa_user_sgpr_flat_scratch_init 0
		.amdhsa_user_sgpr_kernarg_preload_length 0
		.amdhsa_user_sgpr_kernarg_preload_offset 0
		.amdhsa_user_sgpr_private_segment_size 0
		.amdhsa_uses_dynamic_stack 0
		.amdhsa_system_sgpr_private_segment_wavefront_offset 0
		.amdhsa_system_sgpr_workgroup_id_x 1
		.amdhsa_system_sgpr_workgroup_id_y 0
		.amdhsa_system_sgpr_workgroup_id_z 0
		.amdhsa_system_sgpr_workgroup_info 0
		.amdhsa_system_vgpr_workitem_id 0
		.amdhsa_next_free_vgpr 1
		.amdhsa_next_free_sgpr 0
		.amdhsa_accum_offset 4
		.amdhsa_reserve_vcc 0
		.amdhsa_reserve_flat_scratch 0
		.amdhsa_float_round_mode_32 0
		.amdhsa_float_round_mode_16_64 0
		.amdhsa_float_denorm_mode_32 3
		.amdhsa_float_denorm_mode_16_64 3
		.amdhsa_dx10_clamp 1
		.amdhsa_ieee_mode 1
		.amdhsa_fp16_overflow 0
		.amdhsa_tg_split 0
		.amdhsa_exception_fp_ieee_invalid_op 0
		.amdhsa_exception_fp_denorm_src 0
		.amdhsa_exception_fp_ieee_div_zero 0
		.amdhsa_exception_fp_ieee_overflow 0
		.amdhsa_exception_fp_ieee_underflow 0
		.amdhsa_exception_fp_ieee_inexact 0
		.amdhsa_exception_int_div_zero 0
	.end_amdhsa_kernel
	.section	.text._ZN7rocprim17ROCPRIM_400000_NS6detail17trampoline_kernelINS0_14default_configENS1_25partition_config_selectorILNS1_17partition_subalgoE0EtNS0_10empty_typeEbEEZZNS1_14partition_implILS5_0ELb0ES3_jN6thrust23THRUST_200600_302600_NS6detail15normal_iteratorINSA_10device_ptrItEEEEPS6_SG_NS0_5tupleIJSF_NSA_16discard_iteratorINSA_11use_defaultEEEEEENSH_IJSG_SG_EEES6_PlJ7is_evenItEEEE10hipError_tPvRmT3_T4_T5_T6_T7_T9_mT8_P12ihipStream_tbDpT10_ENKUlT_T0_E_clISt17integral_constantIbLb0EES19_EEDaS14_S15_EUlS14_E_NS1_11comp_targetILNS1_3genE3ELNS1_11target_archE908ELNS1_3gpuE7ELNS1_3repE0EEENS1_30default_config_static_selectorELNS0_4arch9wavefront6targetE1EEEvT1_,"axG",@progbits,_ZN7rocprim17ROCPRIM_400000_NS6detail17trampoline_kernelINS0_14default_configENS1_25partition_config_selectorILNS1_17partition_subalgoE0EtNS0_10empty_typeEbEEZZNS1_14partition_implILS5_0ELb0ES3_jN6thrust23THRUST_200600_302600_NS6detail15normal_iteratorINSA_10device_ptrItEEEEPS6_SG_NS0_5tupleIJSF_NSA_16discard_iteratorINSA_11use_defaultEEEEEENSH_IJSG_SG_EEES6_PlJ7is_evenItEEEE10hipError_tPvRmT3_T4_T5_T6_T7_T9_mT8_P12ihipStream_tbDpT10_ENKUlT_T0_E_clISt17integral_constantIbLb0EES19_EEDaS14_S15_EUlS14_E_NS1_11comp_targetILNS1_3genE3ELNS1_11target_archE908ELNS1_3gpuE7ELNS1_3repE0EEENS1_30default_config_static_selectorELNS0_4arch9wavefront6targetE1EEEvT1_,comdat
.Lfunc_end2526:
	.size	_ZN7rocprim17ROCPRIM_400000_NS6detail17trampoline_kernelINS0_14default_configENS1_25partition_config_selectorILNS1_17partition_subalgoE0EtNS0_10empty_typeEbEEZZNS1_14partition_implILS5_0ELb0ES3_jN6thrust23THRUST_200600_302600_NS6detail15normal_iteratorINSA_10device_ptrItEEEEPS6_SG_NS0_5tupleIJSF_NSA_16discard_iteratorINSA_11use_defaultEEEEEENSH_IJSG_SG_EEES6_PlJ7is_evenItEEEE10hipError_tPvRmT3_T4_T5_T6_T7_T9_mT8_P12ihipStream_tbDpT10_ENKUlT_T0_E_clISt17integral_constantIbLb0EES19_EEDaS14_S15_EUlS14_E_NS1_11comp_targetILNS1_3genE3ELNS1_11target_archE908ELNS1_3gpuE7ELNS1_3repE0EEENS1_30default_config_static_selectorELNS0_4arch9wavefront6targetE1EEEvT1_, .Lfunc_end2526-_ZN7rocprim17ROCPRIM_400000_NS6detail17trampoline_kernelINS0_14default_configENS1_25partition_config_selectorILNS1_17partition_subalgoE0EtNS0_10empty_typeEbEEZZNS1_14partition_implILS5_0ELb0ES3_jN6thrust23THRUST_200600_302600_NS6detail15normal_iteratorINSA_10device_ptrItEEEEPS6_SG_NS0_5tupleIJSF_NSA_16discard_iteratorINSA_11use_defaultEEEEEENSH_IJSG_SG_EEES6_PlJ7is_evenItEEEE10hipError_tPvRmT3_T4_T5_T6_T7_T9_mT8_P12ihipStream_tbDpT10_ENKUlT_T0_E_clISt17integral_constantIbLb0EES19_EEDaS14_S15_EUlS14_E_NS1_11comp_targetILNS1_3genE3ELNS1_11target_archE908ELNS1_3gpuE7ELNS1_3repE0EEENS1_30default_config_static_selectorELNS0_4arch9wavefront6targetE1EEEvT1_
                                        ; -- End function
	.section	.AMDGPU.csdata,"",@progbits
; Kernel info:
; codeLenInByte = 0
; NumSgprs: 4
; NumVgprs: 0
; NumAgprs: 0
; TotalNumVgprs: 0
; ScratchSize: 0
; MemoryBound: 0
; FloatMode: 240
; IeeeMode: 1
; LDSByteSize: 0 bytes/workgroup (compile time only)
; SGPRBlocks: 0
; VGPRBlocks: 0
; NumSGPRsForWavesPerEU: 4
; NumVGPRsForWavesPerEU: 1
; AccumOffset: 4
; Occupancy: 8
; WaveLimiterHint : 0
; COMPUTE_PGM_RSRC2:SCRATCH_EN: 0
; COMPUTE_PGM_RSRC2:USER_SGPR: 6
; COMPUTE_PGM_RSRC2:TRAP_HANDLER: 0
; COMPUTE_PGM_RSRC2:TGID_X_EN: 1
; COMPUTE_PGM_RSRC2:TGID_Y_EN: 0
; COMPUTE_PGM_RSRC2:TGID_Z_EN: 0
; COMPUTE_PGM_RSRC2:TIDIG_COMP_CNT: 0
; COMPUTE_PGM_RSRC3_GFX90A:ACCUM_OFFSET: 0
; COMPUTE_PGM_RSRC3_GFX90A:TG_SPLIT: 0
	.section	.text._ZN7rocprim17ROCPRIM_400000_NS6detail17trampoline_kernelINS0_14default_configENS1_25partition_config_selectorILNS1_17partition_subalgoE0EtNS0_10empty_typeEbEEZZNS1_14partition_implILS5_0ELb0ES3_jN6thrust23THRUST_200600_302600_NS6detail15normal_iteratorINSA_10device_ptrItEEEEPS6_SG_NS0_5tupleIJSF_NSA_16discard_iteratorINSA_11use_defaultEEEEEENSH_IJSG_SG_EEES6_PlJ7is_evenItEEEE10hipError_tPvRmT3_T4_T5_T6_T7_T9_mT8_P12ihipStream_tbDpT10_ENKUlT_T0_E_clISt17integral_constantIbLb0EES19_EEDaS14_S15_EUlS14_E_NS1_11comp_targetILNS1_3genE2ELNS1_11target_archE906ELNS1_3gpuE6ELNS1_3repE0EEENS1_30default_config_static_selectorELNS0_4arch9wavefront6targetE1EEEvT1_,"axG",@progbits,_ZN7rocprim17ROCPRIM_400000_NS6detail17trampoline_kernelINS0_14default_configENS1_25partition_config_selectorILNS1_17partition_subalgoE0EtNS0_10empty_typeEbEEZZNS1_14partition_implILS5_0ELb0ES3_jN6thrust23THRUST_200600_302600_NS6detail15normal_iteratorINSA_10device_ptrItEEEEPS6_SG_NS0_5tupleIJSF_NSA_16discard_iteratorINSA_11use_defaultEEEEEENSH_IJSG_SG_EEES6_PlJ7is_evenItEEEE10hipError_tPvRmT3_T4_T5_T6_T7_T9_mT8_P12ihipStream_tbDpT10_ENKUlT_T0_E_clISt17integral_constantIbLb0EES19_EEDaS14_S15_EUlS14_E_NS1_11comp_targetILNS1_3genE2ELNS1_11target_archE906ELNS1_3gpuE6ELNS1_3repE0EEENS1_30default_config_static_selectorELNS0_4arch9wavefront6targetE1EEEvT1_,comdat
	.protected	_ZN7rocprim17ROCPRIM_400000_NS6detail17trampoline_kernelINS0_14default_configENS1_25partition_config_selectorILNS1_17partition_subalgoE0EtNS0_10empty_typeEbEEZZNS1_14partition_implILS5_0ELb0ES3_jN6thrust23THRUST_200600_302600_NS6detail15normal_iteratorINSA_10device_ptrItEEEEPS6_SG_NS0_5tupleIJSF_NSA_16discard_iteratorINSA_11use_defaultEEEEEENSH_IJSG_SG_EEES6_PlJ7is_evenItEEEE10hipError_tPvRmT3_T4_T5_T6_T7_T9_mT8_P12ihipStream_tbDpT10_ENKUlT_T0_E_clISt17integral_constantIbLb0EES19_EEDaS14_S15_EUlS14_E_NS1_11comp_targetILNS1_3genE2ELNS1_11target_archE906ELNS1_3gpuE6ELNS1_3repE0EEENS1_30default_config_static_selectorELNS0_4arch9wavefront6targetE1EEEvT1_ ; -- Begin function _ZN7rocprim17ROCPRIM_400000_NS6detail17trampoline_kernelINS0_14default_configENS1_25partition_config_selectorILNS1_17partition_subalgoE0EtNS0_10empty_typeEbEEZZNS1_14partition_implILS5_0ELb0ES3_jN6thrust23THRUST_200600_302600_NS6detail15normal_iteratorINSA_10device_ptrItEEEEPS6_SG_NS0_5tupleIJSF_NSA_16discard_iteratorINSA_11use_defaultEEEEEENSH_IJSG_SG_EEES6_PlJ7is_evenItEEEE10hipError_tPvRmT3_T4_T5_T6_T7_T9_mT8_P12ihipStream_tbDpT10_ENKUlT_T0_E_clISt17integral_constantIbLb0EES19_EEDaS14_S15_EUlS14_E_NS1_11comp_targetILNS1_3genE2ELNS1_11target_archE906ELNS1_3gpuE6ELNS1_3repE0EEENS1_30default_config_static_selectorELNS0_4arch9wavefront6targetE1EEEvT1_
	.globl	_ZN7rocprim17ROCPRIM_400000_NS6detail17trampoline_kernelINS0_14default_configENS1_25partition_config_selectorILNS1_17partition_subalgoE0EtNS0_10empty_typeEbEEZZNS1_14partition_implILS5_0ELb0ES3_jN6thrust23THRUST_200600_302600_NS6detail15normal_iteratorINSA_10device_ptrItEEEEPS6_SG_NS0_5tupleIJSF_NSA_16discard_iteratorINSA_11use_defaultEEEEEENSH_IJSG_SG_EEES6_PlJ7is_evenItEEEE10hipError_tPvRmT3_T4_T5_T6_T7_T9_mT8_P12ihipStream_tbDpT10_ENKUlT_T0_E_clISt17integral_constantIbLb0EES19_EEDaS14_S15_EUlS14_E_NS1_11comp_targetILNS1_3genE2ELNS1_11target_archE906ELNS1_3gpuE6ELNS1_3repE0EEENS1_30default_config_static_selectorELNS0_4arch9wavefront6targetE1EEEvT1_
	.p2align	8
	.type	_ZN7rocprim17ROCPRIM_400000_NS6detail17trampoline_kernelINS0_14default_configENS1_25partition_config_selectorILNS1_17partition_subalgoE0EtNS0_10empty_typeEbEEZZNS1_14partition_implILS5_0ELb0ES3_jN6thrust23THRUST_200600_302600_NS6detail15normal_iteratorINSA_10device_ptrItEEEEPS6_SG_NS0_5tupleIJSF_NSA_16discard_iteratorINSA_11use_defaultEEEEEENSH_IJSG_SG_EEES6_PlJ7is_evenItEEEE10hipError_tPvRmT3_T4_T5_T6_T7_T9_mT8_P12ihipStream_tbDpT10_ENKUlT_T0_E_clISt17integral_constantIbLb0EES19_EEDaS14_S15_EUlS14_E_NS1_11comp_targetILNS1_3genE2ELNS1_11target_archE906ELNS1_3gpuE6ELNS1_3repE0EEENS1_30default_config_static_selectorELNS0_4arch9wavefront6targetE1EEEvT1_,@function
_ZN7rocprim17ROCPRIM_400000_NS6detail17trampoline_kernelINS0_14default_configENS1_25partition_config_selectorILNS1_17partition_subalgoE0EtNS0_10empty_typeEbEEZZNS1_14partition_implILS5_0ELb0ES3_jN6thrust23THRUST_200600_302600_NS6detail15normal_iteratorINSA_10device_ptrItEEEEPS6_SG_NS0_5tupleIJSF_NSA_16discard_iteratorINSA_11use_defaultEEEEEENSH_IJSG_SG_EEES6_PlJ7is_evenItEEEE10hipError_tPvRmT3_T4_T5_T6_T7_T9_mT8_P12ihipStream_tbDpT10_ENKUlT_T0_E_clISt17integral_constantIbLb0EES19_EEDaS14_S15_EUlS14_E_NS1_11comp_targetILNS1_3genE2ELNS1_11target_archE906ELNS1_3gpuE6ELNS1_3repE0EEENS1_30default_config_static_selectorELNS0_4arch9wavefront6targetE1EEEvT1_: ; @_ZN7rocprim17ROCPRIM_400000_NS6detail17trampoline_kernelINS0_14default_configENS1_25partition_config_selectorILNS1_17partition_subalgoE0EtNS0_10empty_typeEbEEZZNS1_14partition_implILS5_0ELb0ES3_jN6thrust23THRUST_200600_302600_NS6detail15normal_iteratorINSA_10device_ptrItEEEEPS6_SG_NS0_5tupleIJSF_NSA_16discard_iteratorINSA_11use_defaultEEEEEENSH_IJSG_SG_EEES6_PlJ7is_evenItEEEE10hipError_tPvRmT3_T4_T5_T6_T7_T9_mT8_P12ihipStream_tbDpT10_ENKUlT_T0_E_clISt17integral_constantIbLb0EES19_EEDaS14_S15_EUlS14_E_NS1_11comp_targetILNS1_3genE2ELNS1_11target_archE906ELNS1_3gpuE6ELNS1_3repE0EEENS1_30default_config_static_selectorELNS0_4arch9wavefront6targetE1EEEvT1_
; %bb.0:
	.section	.rodata,"a",@progbits
	.p2align	6, 0x0
	.amdhsa_kernel _ZN7rocprim17ROCPRIM_400000_NS6detail17trampoline_kernelINS0_14default_configENS1_25partition_config_selectorILNS1_17partition_subalgoE0EtNS0_10empty_typeEbEEZZNS1_14partition_implILS5_0ELb0ES3_jN6thrust23THRUST_200600_302600_NS6detail15normal_iteratorINSA_10device_ptrItEEEEPS6_SG_NS0_5tupleIJSF_NSA_16discard_iteratorINSA_11use_defaultEEEEEENSH_IJSG_SG_EEES6_PlJ7is_evenItEEEE10hipError_tPvRmT3_T4_T5_T6_T7_T9_mT8_P12ihipStream_tbDpT10_ENKUlT_T0_E_clISt17integral_constantIbLb0EES19_EEDaS14_S15_EUlS14_E_NS1_11comp_targetILNS1_3genE2ELNS1_11target_archE906ELNS1_3gpuE6ELNS1_3repE0EEENS1_30default_config_static_selectorELNS0_4arch9wavefront6targetE1EEEvT1_
		.amdhsa_group_segment_fixed_size 0
		.amdhsa_private_segment_fixed_size 0
		.amdhsa_kernarg_size 128
		.amdhsa_user_sgpr_count 6
		.amdhsa_user_sgpr_private_segment_buffer 1
		.amdhsa_user_sgpr_dispatch_ptr 0
		.amdhsa_user_sgpr_queue_ptr 0
		.amdhsa_user_sgpr_kernarg_segment_ptr 1
		.amdhsa_user_sgpr_dispatch_id 0
		.amdhsa_user_sgpr_flat_scratch_init 0
		.amdhsa_user_sgpr_kernarg_preload_length 0
		.amdhsa_user_sgpr_kernarg_preload_offset 0
		.amdhsa_user_sgpr_private_segment_size 0
		.amdhsa_uses_dynamic_stack 0
		.amdhsa_system_sgpr_private_segment_wavefront_offset 0
		.amdhsa_system_sgpr_workgroup_id_x 1
		.amdhsa_system_sgpr_workgroup_id_y 0
		.amdhsa_system_sgpr_workgroup_id_z 0
		.amdhsa_system_sgpr_workgroup_info 0
		.amdhsa_system_vgpr_workitem_id 0
		.amdhsa_next_free_vgpr 1
		.amdhsa_next_free_sgpr 0
		.amdhsa_accum_offset 4
		.amdhsa_reserve_vcc 0
		.amdhsa_reserve_flat_scratch 0
		.amdhsa_float_round_mode_32 0
		.amdhsa_float_round_mode_16_64 0
		.amdhsa_float_denorm_mode_32 3
		.amdhsa_float_denorm_mode_16_64 3
		.amdhsa_dx10_clamp 1
		.amdhsa_ieee_mode 1
		.amdhsa_fp16_overflow 0
		.amdhsa_tg_split 0
		.amdhsa_exception_fp_ieee_invalid_op 0
		.amdhsa_exception_fp_denorm_src 0
		.amdhsa_exception_fp_ieee_div_zero 0
		.amdhsa_exception_fp_ieee_overflow 0
		.amdhsa_exception_fp_ieee_underflow 0
		.amdhsa_exception_fp_ieee_inexact 0
		.amdhsa_exception_int_div_zero 0
	.end_amdhsa_kernel
	.section	.text._ZN7rocprim17ROCPRIM_400000_NS6detail17trampoline_kernelINS0_14default_configENS1_25partition_config_selectorILNS1_17partition_subalgoE0EtNS0_10empty_typeEbEEZZNS1_14partition_implILS5_0ELb0ES3_jN6thrust23THRUST_200600_302600_NS6detail15normal_iteratorINSA_10device_ptrItEEEEPS6_SG_NS0_5tupleIJSF_NSA_16discard_iteratorINSA_11use_defaultEEEEEENSH_IJSG_SG_EEES6_PlJ7is_evenItEEEE10hipError_tPvRmT3_T4_T5_T6_T7_T9_mT8_P12ihipStream_tbDpT10_ENKUlT_T0_E_clISt17integral_constantIbLb0EES19_EEDaS14_S15_EUlS14_E_NS1_11comp_targetILNS1_3genE2ELNS1_11target_archE906ELNS1_3gpuE6ELNS1_3repE0EEENS1_30default_config_static_selectorELNS0_4arch9wavefront6targetE1EEEvT1_,"axG",@progbits,_ZN7rocprim17ROCPRIM_400000_NS6detail17trampoline_kernelINS0_14default_configENS1_25partition_config_selectorILNS1_17partition_subalgoE0EtNS0_10empty_typeEbEEZZNS1_14partition_implILS5_0ELb0ES3_jN6thrust23THRUST_200600_302600_NS6detail15normal_iteratorINSA_10device_ptrItEEEEPS6_SG_NS0_5tupleIJSF_NSA_16discard_iteratorINSA_11use_defaultEEEEEENSH_IJSG_SG_EEES6_PlJ7is_evenItEEEE10hipError_tPvRmT3_T4_T5_T6_T7_T9_mT8_P12ihipStream_tbDpT10_ENKUlT_T0_E_clISt17integral_constantIbLb0EES19_EEDaS14_S15_EUlS14_E_NS1_11comp_targetILNS1_3genE2ELNS1_11target_archE906ELNS1_3gpuE6ELNS1_3repE0EEENS1_30default_config_static_selectorELNS0_4arch9wavefront6targetE1EEEvT1_,comdat
.Lfunc_end2527:
	.size	_ZN7rocprim17ROCPRIM_400000_NS6detail17trampoline_kernelINS0_14default_configENS1_25partition_config_selectorILNS1_17partition_subalgoE0EtNS0_10empty_typeEbEEZZNS1_14partition_implILS5_0ELb0ES3_jN6thrust23THRUST_200600_302600_NS6detail15normal_iteratorINSA_10device_ptrItEEEEPS6_SG_NS0_5tupleIJSF_NSA_16discard_iteratorINSA_11use_defaultEEEEEENSH_IJSG_SG_EEES6_PlJ7is_evenItEEEE10hipError_tPvRmT3_T4_T5_T6_T7_T9_mT8_P12ihipStream_tbDpT10_ENKUlT_T0_E_clISt17integral_constantIbLb0EES19_EEDaS14_S15_EUlS14_E_NS1_11comp_targetILNS1_3genE2ELNS1_11target_archE906ELNS1_3gpuE6ELNS1_3repE0EEENS1_30default_config_static_selectorELNS0_4arch9wavefront6targetE1EEEvT1_, .Lfunc_end2527-_ZN7rocprim17ROCPRIM_400000_NS6detail17trampoline_kernelINS0_14default_configENS1_25partition_config_selectorILNS1_17partition_subalgoE0EtNS0_10empty_typeEbEEZZNS1_14partition_implILS5_0ELb0ES3_jN6thrust23THRUST_200600_302600_NS6detail15normal_iteratorINSA_10device_ptrItEEEEPS6_SG_NS0_5tupleIJSF_NSA_16discard_iteratorINSA_11use_defaultEEEEEENSH_IJSG_SG_EEES6_PlJ7is_evenItEEEE10hipError_tPvRmT3_T4_T5_T6_T7_T9_mT8_P12ihipStream_tbDpT10_ENKUlT_T0_E_clISt17integral_constantIbLb0EES19_EEDaS14_S15_EUlS14_E_NS1_11comp_targetILNS1_3genE2ELNS1_11target_archE906ELNS1_3gpuE6ELNS1_3repE0EEENS1_30default_config_static_selectorELNS0_4arch9wavefront6targetE1EEEvT1_
                                        ; -- End function
	.section	.AMDGPU.csdata,"",@progbits
; Kernel info:
; codeLenInByte = 0
; NumSgprs: 4
; NumVgprs: 0
; NumAgprs: 0
; TotalNumVgprs: 0
; ScratchSize: 0
; MemoryBound: 0
; FloatMode: 240
; IeeeMode: 1
; LDSByteSize: 0 bytes/workgroup (compile time only)
; SGPRBlocks: 0
; VGPRBlocks: 0
; NumSGPRsForWavesPerEU: 4
; NumVGPRsForWavesPerEU: 1
; AccumOffset: 4
; Occupancy: 8
; WaveLimiterHint : 0
; COMPUTE_PGM_RSRC2:SCRATCH_EN: 0
; COMPUTE_PGM_RSRC2:USER_SGPR: 6
; COMPUTE_PGM_RSRC2:TRAP_HANDLER: 0
; COMPUTE_PGM_RSRC2:TGID_X_EN: 1
; COMPUTE_PGM_RSRC2:TGID_Y_EN: 0
; COMPUTE_PGM_RSRC2:TGID_Z_EN: 0
; COMPUTE_PGM_RSRC2:TIDIG_COMP_CNT: 0
; COMPUTE_PGM_RSRC3_GFX90A:ACCUM_OFFSET: 0
; COMPUTE_PGM_RSRC3_GFX90A:TG_SPLIT: 0
	.section	.text._ZN7rocprim17ROCPRIM_400000_NS6detail17trampoline_kernelINS0_14default_configENS1_25partition_config_selectorILNS1_17partition_subalgoE0EtNS0_10empty_typeEbEEZZNS1_14partition_implILS5_0ELb0ES3_jN6thrust23THRUST_200600_302600_NS6detail15normal_iteratorINSA_10device_ptrItEEEEPS6_SG_NS0_5tupleIJSF_NSA_16discard_iteratorINSA_11use_defaultEEEEEENSH_IJSG_SG_EEES6_PlJ7is_evenItEEEE10hipError_tPvRmT3_T4_T5_T6_T7_T9_mT8_P12ihipStream_tbDpT10_ENKUlT_T0_E_clISt17integral_constantIbLb0EES19_EEDaS14_S15_EUlS14_E_NS1_11comp_targetILNS1_3genE10ELNS1_11target_archE1200ELNS1_3gpuE4ELNS1_3repE0EEENS1_30default_config_static_selectorELNS0_4arch9wavefront6targetE1EEEvT1_,"axG",@progbits,_ZN7rocprim17ROCPRIM_400000_NS6detail17trampoline_kernelINS0_14default_configENS1_25partition_config_selectorILNS1_17partition_subalgoE0EtNS0_10empty_typeEbEEZZNS1_14partition_implILS5_0ELb0ES3_jN6thrust23THRUST_200600_302600_NS6detail15normal_iteratorINSA_10device_ptrItEEEEPS6_SG_NS0_5tupleIJSF_NSA_16discard_iteratorINSA_11use_defaultEEEEEENSH_IJSG_SG_EEES6_PlJ7is_evenItEEEE10hipError_tPvRmT3_T4_T5_T6_T7_T9_mT8_P12ihipStream_tbDpT10_ENKUlT_T0_E_clISt17integral_constantIbLb0EES19_EEDaS14_S15_EUlS14_E_NS1_11comp_targetILNS1_3genE10ELNS1_11target_archE1200ELNS1_3gpuE4ELNS1_3repE0EEENS1_30default_config_static_selectorELNS0_4arch9wavefront6targetE1EEEvT1_,comdat
	.protected	_ZN7rocprim17ROCPRIM_400000_NS6detail17trampoline_kernelINS0_14default_configENS1_25partition_config_selectorILNS1_17partition_subalgoE0EtNS0_10empty_typeEbEEZZNS1_14partition_implILS5_0ELb0ES3_jN6thrust23THRUST_200600_302600_NS6detail15normal_iteratorINSA_10device_ptrItEEEEPS6_SG_NS0_5tupleIJSF_NSA_16discard_iteratorINSA_11use_defaultEEEEEENSH_IJSG_SG_EEES6_PlJ7is_evenItEEEE10hipError_tPvRmT3_T4_T5_T6_T7_T9_mT8_P12ihipStream_tbDpT10_ENKUlT_T0_E_clISt17integral_constantIbLb0EES19_EEDaS14_S15_EUlS14_E_NS1_11comp_targetILNS1_3genE10ELNS1_11target_archE1200ELNS1_3gpuE4ELNS1_3repE0EEENS1_30default_config_static_selectorELNS0_4arch9wavefront6targetE1EEEvT1_ ; -- Begin function _ZN7rocprim17ROCPRIM_400000_NS6detail17trampoline_kernelINS0_14default_configENS1_25partition_config_selectorILNS1_17partition_subalgoE0EtNS0_10empty_typeEbEEZZNS1_14partition_implILS5_0ELb0ES3_jN6thrust23THRUST_200600_302600_NS6detail15normal_iteratorINSA_10device_ptrItEEEEPS6_SG_NS0_5tupleIJSF_NSA_16discard_iteratorINSA_11use_defaultEEEEEENSH_IJSG_SG_EEES6_PlJ7is_evenItEEEE10hipError_tPvRmT3_T4_T5_T6_T7_T9_mT8_P12ihipStream_tbDpT10_ENKUlT_T0_E_clISt17integral_constantIbLb0EES19_EEDaS14_S15_EUlS14_E_NS1_11comp_targetILNS1_3genE10ELNS1_11target_archE1200ELNS1_3gpuE4ELNS1_3repE0EEENS1_30default_config_static_selectorELNS0_4arch9wavefront6targetE1EEEvT1_
	.globl	_ZN7rocprim17ROCPRIM_400000_NS6detail17trampoline_kernelINS0_14default_configENS1_25partition_config_selectorILNS1_17partition_subalgoE0EtNS0_10empty_typeEbEEZZNS1_14partition_implILS5_0ELb0ES3_jN6thrust23THRUST_200600_302600_NS6detail15normal_iteratorINSA_10device_ptrItEEEEPS6_SG_NS0_5tupleIJSF_NSA_16discard_iteratorINSA_11use_defaultEEEEEENSH_IJSG_SG_EEES6_PlJ7is_evenItEEEE10hipError_tPvRmT3_T4_T5_T6_T7_T9_mT8_P12ihipStream_tbDpT10_ENKUlT_T0_E_clISt17integral_constantIbLb0EES19_EEDaS14_S15_EUlS14_E_NS1_11comp_targetILNS1_3genE10ELNS1_11target_archE1200ELNS1_3gpuE4ELNS1_3repE0EEENS1_30default_config_static_selectorELNS0_4arch9wavefront6targetE1EEEvT1_
	.p2align	8
	.type	_ZN7rocprim17ROCPRIM_400000_NS6detail17trampoline_kernelINS0_14default_configENS1_25partition_config_selectorILNS1_17partition_subalgoE0EtNS0_10empty_typeEbEEZZNS1_14partition_implILS5_0ELb0ES3_jN6thrust23THRUST_200600_302600_NS6detail15normal_iteratorINSA_10device_ptrItEEEEPS6_SG_NS0_5tupleIJSF_NSA_16discard_iteratorINSA_11use_defaultEEEEEENSH_IJSG_SG_EEES6_PlJ7is_evenItEEEE10hipError_tPvRmT3_T4_T5_T6_T7_T9_mT8_P12ihipStream_tbDpT10_ENKUlT_T0_E_clISt17integral_constantIbLb0EES19_EEDaS14_S15_EUlS14_E_NS1_11comp_targetILNS1_3genE10ELNS1_11target_archE1200ELNS1_3gpuE4ELNS1_3repE0EEENS1_30default_config_static_selectorELNS0_4arch9wavefront6targetE1EEEvT1_,@function
_ZN7rocprim17ROCPRIM_400000_NS6detail17trampoline_kernelINS0_14default_configENS1_25partition_config_selectorILNS1_17partition_subalgoE0EtNS0_10empty_typeEbEEZZNS1_14partition_implILS5_0ELb0ES3_jN6thrust23THRUST_200600_302600_NS6detail15normal_iteratorINSA_10device_ptrItEEEEPS6_SG_NS0_5tupleIJSF_NSA_16discard_iteratorINSA_11use_defaultEEEEEENSH_IJSG_SG_EEES6_PlJ7is_evenItEEEE10hipError_tPvRmT3_T4_T5_T6_T7_T9_mT8_P12ihipStream_tbDpT10_ENKUlT_T0_E_clISt17integral_constantIbLb0EES19_EEDaS14_S15_EUlS14_E_NS1_11comp_targetILNS1_3genE10ELNS1_11target_archE1200ELNS1_3gpuE4ELNS1_3repE0EEENS1_30default_config_static_selectorELNS0_4arch9wavefront6targetE1EEEvT1_: ; @_ZN7rocprim17ROCPRIM_400000_NS6detail17trampoline_kernelINS0_14default_configENS1_25partition_config_selectorILNS1_17partition_subalgoE0EtNS0_10empty_typeEbEEZZNS1_14partition_implILS5_0ELb0ES3_jN6thrust23THRUST_200600_302600_NS6detail15normal_iteratorINSA_10device_ptrItEEEEPS6_SG_NS0_5tupleIJSF_NSA_16discard_iteratorINSA_11use_defaultEEEEEENSH_IJSG_SG_EEES6_PlJ7is_evenItEEEE10hipError_tPvRmT3_T4_T5_T6_T7_T9_mT8_P12ihipStream_tbDpT10_ENKUlT_T0_E_clISt17integral_constantIbLb0EES19_EEDaS14_S15_EUlS14_E_NS1_11comp_targetILNS1_3genE10ELNS1_11target_archE1200ELNS1_3gpuE4ELNS1_3repE0EEENS1_30default_config_static_selectorELNS0_4arch9wavefront6targetE1EEEvT1_
; %bb.0:
	.section	.rodata,"a",@progbits
	.p2align	6, 0x0
	.amdhsa_kernel _ZN7rocprim17ROCPRIM_400000_NS6detail17trampoline_kernelINS0_14default_configENS1_25partition_config_selectorILNS1_17partition_subalgoE0EtNS0_10empty_typeEbEEZZNS1_14partition_implILS5_0ELb0ES3_jN6thrust23THRUST_200600_302600_NS6detail15normal_iteratorINSA_10device_ptrItEEEEPS6_SG_NS0_5tupleIJSF_NSA_16discard_iteratorINSA_11use_defaultEEEEEENSH_IJSG_SG_EEES6_PlJ7is_evenItEEEE10hipError_tPvRmT3_T4_T5_T6_T7_T9_mT8_P12ihipStream_tbDpT10_ENKUlT_T0_E_clISt17integral_constantIbLb0EES19_EEDaS14_S15_EUlS14_E_NS1_11comp_targetILNS1_3genE10ELNS1_11target_archE1200ELNS1_3gpuE4ELNS1_3repE0EEENS1_30default_config_static_selectorELNS0_4arch9wavefront6targetE1EEEvT1_
		.amdhsa_group_segment_fixed_size 0
		.amdhsa_private_segment_fixed_size 0
		.amdhsa_kernarg_size 128
		.amdhsa_user_sgpr_count 6
		.amdhsa_user_sgpr_private_segment_buffer 1
		.amdhsa_user_sgpr_dispatch_ptr 0
		.amdhsa_user_sgpr_queue_ptr 0
		.amdhsa_user_sgpr_kernarg_segment_ptr 1
		.amdhsa_user_sgpr_dispatch_id 0
		.amdhsa_user_sgpr_flat_scratch_init 0
		.amdhsa_user_sgpr_kernarg_preload_length 0
		.amdhsa_user_sgpr_kernarg_preload_offset 0
		.amdhsa_user_sgpr_private_segment_size 0
		.amdhsa_uses_dynamic_stack 0
		.amdhsa_system_sgpr_private_segment_wavefront_offset 0
		.amdhsa_system_sgpr_workgroup_id_x 1
		.amdhsa_system_sgpr_workgroup_id_y 0
		.amdhsa_system_sgpr_workgroup_id_z 0
		.amdhsa_system_sgpr_workgroup_info 0
		.amdhsa_system_vgpr_workitem_id 0
		.amdhsa_next_free_vgpr 1
		.amdhsa_next_free_sgpr 0
		.amdhsa_accum_offset 4
		.amdhsa_reserve_vcc 0
		.amdhsa_reserve_flat_scratch 0
		.amdhsa_float_round_mode_32 0
		.amdhsa_float_round_mode_16_64 0
		.amdhsa_float_denorm_mode_32 3
		.amdhsa_float_denorm_mode_16_64 3
		.amdhsa_dx10_clamp 1
		.amdhsa_ieee_mode 1
		.amdhsa_fp16_overflow 0
		.amdhsa_tg_split 0
		.amdhsa_exception_fp_ieee_invalid_op 0
		.amdhsa_exception_fp_denorm_src 0
		.amdhsa_exception_fp_ieee_div_zero 0
		.amdhsa_exception_fp_ieee_overflow 0
		.amdhsa_exception_fp_ieee_underflow 0
		.amdhsa_exception_fp_ieee_inexact 0
		.amdhsa_exception_int_div_zero 0
	.end_amdhsa_kernel
	.section	.text._ZN7rocprim17ROCPRIM_400000_NS6detail17trampoline_kernelINS0_14default_configENS1_25partition_config_selectorILNS1_17partition_subalgoE0EtNS0_10empty_typeEbEEZZNS1_14partition_implILS5_0ELb0ES3_jN6thrust23THRUST_200600_302600_NS6detail15normal_iteratorINSA_10device_ptrItEEEEPS6_SG_NS0_5tupleIJSF_NSA_16discard_iteratorINSA_11use_defaultEEEEEENSH_IJSG_SG_EEES6_PlJ7is_evenItEEEE10hipError_tPvRmT3_T4_T5_T6_T7_T9_mT8_P12ihipStream_tbDpT10_ENKUlT_T0_E_clISt17integral_constantIbLb0EES19_EEDaS14_S15_EUlS14_E_NS1_11comp_targetILNS1_3genE10ELNS1_11target_archE1200ELNS1_3gpuE4ELNS1_3repE0EEENS1_30default_config_static_selectorELNS0_4arch9wavefront6targetE1EEEvT1_,"axG",@progbits,_ZN7rocprim17ROCPRIM_400000_NS6detail17trampoline_kernelINS0_14default_configENS1_25partition_config_selectorILNS1_17partition_subalgoE0EtNS0_10empty_typeEbEEZZNS1_14partition_implILS5_0ELb0ES3_jN6thrust23THRUST_200600_302600_NS6detail15normal_iteratorINSA_10device_ptrItEEEEPS6_SG_NS0_5tupleIJSF_NSA_16discard_iteratorINSA_11use_defaultEEEEEENSH_IJSG_SG_EEES6_PlJ7is_evenItEEEE10hipError_tPvRmT3_T4_T5_T6_T7_T9_mT8_P12ihipStream_tbDpT10_ENKUlT_T0_E_clISt17integral_constantIbLb0EES19_EEDaS14_S15_EUlS14_E_NS1_11comp_targetILNS1_3genE10ELNS1_11target_archE1200ELNS1_3gpuE4ELNS1_3repE0EEENS1_30default_config_static_selectorELNS0_4arch9wavefront6targetE1EEEvT1_,comdat
.Lfunc_end2528:
	.size	_ZN7rocprim17ROCPRIM_400000_NS6detail17trampoline_kernelINS0_14default_configENS1_25partition_config_selectorILNS1_17partition_subalgoE0EtNS0_10empty_typeEbEEZZNS1_14partition_implILS5_0ELb0ES3_jN6thrust23THRUST_200600_302600_NS6detail15normal_iteratorINSA_10device_ptrItEEEEPS6_SG_NS0_5tupleIJSF_NSA_16discard_iteratorINSA_11use_defaultEEEEEENSH_IJSG_SG_EEES6_PlJ7is_evenItEEEE10hipError_tPvRmT3_T4_T5_T6_T7_T9_mT8_P12ihipStream_tbDpT10_ENKUlT_T0_E_clISt17integral_constantIbLb0EES19_EEDaS14_S15_EUlS14_E_NS1_11comp_targetILNS1_3genE10ELNS1_11target_archE1200ELNS1_3gpuE4ELNS1_3repE0EEENS1_30default_config_static_selectorELNS0_4arch9wavefront6targetE1EEEvT1_, .Lfunc_end2528-_ZN7rocprim17ROCPRIM_400000_NS6detail17trampoline_kernelINS0_14default_configENS1_25partition_config_selectorILNS1_17partition_subalgoE0EtNS0_10empty_typeEbEEZZNS1_14partition_implILS5_0ELb0ES3_jN6thrust23THRUST_200600_302600_NS6detail15normal_iteratorINSA_10device_ptrItEEEEPS6_SG_NS0_5tupleIJSF_NSA_16discard_iteratorINSA_11use_defaultEEEEEENSH_IJSG_SG_EEES6_PlJ7is_evenItEEEE10hipError_tPvRmT3_T4_T5_T6_T7_T9_mT8_P12ihipStream_tbDpT10_ENKUlT_T0_E_clISt17integral_constantIbLb0EES19_EEDaS14_S15_EUlS14_E_NS1_11comp_targetILNS1_3genE10ELNS1_11target_archE1200ELNS1_3gpuE4ELNS1_3repE0EEENS1_30default_config_static_selectorELNS0_4arch9wavefront6targetE1EEEvT1_
                                        ; -- End function
	.section	.AMDGPU.csdata,"",@progbits
; Kernel info:
; codeLenInByte = 0
; NumSgprs: 4
; NumVgprs: 0
; NumAgprs: 0
; TotalNumVgprs: 0
; ScratchSize: 0
; MemoryBound: 0
; FloatMode: 240
; IeeeMode: 1
; LDSByteSize: 0 bytes/workgroup (compile time only)
; SGPRBlocks: 0
; VGPRBlocks: 0
; NumSGPRsForWavesPerEU: 4
; NumVGPRsForWavesPerEU: 1
; AccumOffset: 4
; Occupancy: 8
; WaveLimiterHint : 0
; COMPUTE_PGM_RSRC2:SCRATCH_EN: 0
; COMPUTE_PGM_RSRC2:USER_SGPR: 6
; COMPUTE_PGM_RSRC2:TRAP_HANDLER: 0
; COMPUTE_PGM_RSRC2:TGID_X_EN: 1
; COMPUTE_PGM_RSRC2:TGID_Y_EN: 0
; COMPUTE_PGM_RSRC2:TGID_Z_EN: 0
; COMPUTE_PGM_RSRC2:TIDIG_COMP_CNT: 0
; COMPUTE_PGM_RSRC3_GFX90A:ACCUM_OFFSET: 0
; COMPUTE_PGM_RSRC3_GFX90A:TG_SPLIT: 0
	.section	.text._ZN7rocprim17ROCPRIM_400000_NS6detail17trampoline_kernelINS0_14default_configENS1_25partition_config_selectorILNS1_17partition_subalgoE0EtNS0_10empty_typeEbEEZZNS1_14partition_implILS5_0ELb0ES3_jN6thrust23THRUST_200600_302600_NS6detail15normal_iteratorINSA_10device_ptrItEEEEPS6_SG_NS0_5tupleIJSF_NSA_16discard_iteratorINSA_11use_defaultEEEEEENSH_IJSG_SG_EEES6_PlJ7is_evenItEEEE10hipError_tPvRmT3_T4_T5_T6_T7_T9_mT8_P12ihipStream_tbDpT10_ENKUlT_T0_E_clISt17integral_constantIbLb0EES19_EEDaS14_S15_EUlS14_E_NS1_11comp_targetILNS1_3genE9ELNS1_11target_archE1100ELNS1_3gpuE3ELNS1_3repE0EEENS1_30default_config_static_selectorELNS0_4arch9wavefront6targetE1EEEvT1_,"axG",@progbits,_ZN7rocprim17ROCPRIM_400000_NS6detail17trampoline_kernelINS0_14default_configENS1_25partition_config_selectorILNS1_17partition_subalgoE0EtNS0_10empty_typeEbEEZZNS1_14partition_implILS5_0ELb0ES3_jN6thrust23THRUST_200600_302600_NS6detail15normal_iteratorINSA_10device_ptrItEEEEPS6_SG_NS0_5tupleIJSF_NSA_16discard_iteratorINSA_11use_defaultEEEEEENSH_IJSG_SG_EEES6_PlJ7is_evenItEEEE10hipError_tPvRmT3_T4_T5_T6_T7_T9_mT8_P12ihipStream_tbDpT10_ENKUlT_T0_E_clISt17integral_constantIbLb0EES19_EEDaS14_S15_EUlS14_E_NS1_11comp_targetILNS1_3genE9ELNS1_11target_archE1100ELNS1_3gpuE3ELNS1_3repE0EEENS1_30default_config_static_selectorELNS0_4arch9wavefront6targetE1EEEvT1_,comdat
	.protected	_ZN7rocprim17ROCPRIM_400000_NS6detail17trampoline_kernelINS0_14default_configENS1_25partition_config_selectorILNS1_17partition_subalgoE0EtNS0_10empty_typeEbEEZZNS1_14partition_implILS5_0ELb0ES3_jN6thrust23THRUST_200600_302600_NS6detail15normal_iteratorINSA_10device_ptrItEEEEPS6_SG_NS0_5tupleIJSF_NSA_16discard_iteratorINSA_11use_defaultEEEEEENSH_IJSG_SG_EEES6_PlJ7is_evenItEEEE10hipError_tPvRmT3_T4_T5_T6_T7_T9_mT8_P12ihipStream_tbDpT10_ENKUlT_T0_E_clISt17integral_constantIbLb0EES19_EEDaS14_S15_EUlS14_E_NS1_11comp_targetILNS1_3genE9ELNS1_11target_archE1100ELNS1_3gpuE3ELNS1_3repE0EEENS1_30default_config_static_selectorELNS0_4arch9wavefront6targetE1EEEvT1_ ; -- Begin function _ZN7rocprim17ROCPRIM_400000_NS6detail17trampoline_kernelINS0_14default_configENS1_25partition_config_selectorILNS1_17partition_subalgoE0EtNS0_10empty_typeEbEEZZNS1_14partition_implILS5_0ELb0ES3_jN6thrust23THRUST_200600_302600_NS6detail15normal_iteratorINSA_10device_ptrItEEEEPS6_SG_NS0_5tupleIJSF_NSA_16discard_iteratorINSA_11use_defaultEEEEEENSH_IJSG_SG_EEES6_PlJ7is_evenItEEEE10hipError_tPvRmT3_T4_T5_T6_T7_T9_mT8_P12ihipStream_tbDpT10_ENKUlT_T0_E_clISt17integral_constantIbLb0EES19_EEDaS14_S15_EUlS14_E_NS1_11comp_targetILNS1_3genE9ELNS1_11target_archE1100ELNS1_3gpuE3ELNS1_3repE0EEENS1_30default_config_static_selectorELNS0_4arch9wavefront6targetE1EEEvT1_
	.globl	_ZN7rocprim17ROCPRIM_400000_NS6detail17trampoline_kernelINS0_14default_configENS1_25partition_config_selectorILNS1_17partition_subalgoE0EtNS0_10empty_typeEbEEZZNS1_14partition_implILS5_0ELb0ES3_jN6thrust23THRUST_200600_302600_NS6detail15normal_iteratorINSA_10device_ptrItEEEEPS6_SG_NS0_5tupleIJSF_NSA_16discard_iteratorINSA_11use_defaultEEEEEENSH_IJSG_SG_EEES6_PlJ7is_evenItEEEE10hipError_tPvRmT3_T4_T5_T6_T7_T9_mT8_P12ihipStream_tbDpT10_ENKUlT_T0_E_clISt17integral_constantIbLb0EES19_EEDaS14_S15_EUlS14_E_NS1_11comp_targetILNS1_3genE9ELNS1_11target_archE1100ELNS1_3gpuE3ELNS1_3repE0EEENS1_30default_config_static_selectorELNS0_4arch9wavefront6targetE1EEEvT1_
	.p2align	8
	.type	_ZN7rocprim17ROCPRIM_400000_NS6detail17trampoline_kernelINS0_14default_configENS1_25partition_config_selectorILNS1_17partition_subalgoE0EtNS0_10empty_typeEbEEZZNS1_14partition_implILS5_0ELb0ES3_jN6thrust23THRUST_200600_302600_NS6detail15normal_iteratorINSA_10device_ptrItEEEEPS6_SG_NS0_5tupleIJSF_NSA_16discard_iteratorINSA_11use_defaultEEEEEENSH_IJSG_SG_EEES6_PlJ7is_evenItEEEE10hipError_tPvRmT3_T4_T5_T6_T7_T9_mT8_P12ihipStream_tbDpT10_ENKUlT_T0_E_clISt17integral_constantIbLb0EES19_EEDaS14_S15_EUlS14_E_NS1_11comp_targetILNS1_3genE9ELNS1_11target_archE1100ELNS1_3gpuE3ELNS1_3repE0EEENS1_30default_config_static_selectorELNS0_4arch9wavefront6targetE1EEEvT1_,@function
_ZN7rocprim17ROCPRIM_400000_NS6detail17trampoline_kernelINS0_14default_configENS1_25partition_config_selectorILNS1_17partition_subalgoE0EtNS0_10empty_typeEbEEZZNS1_14partition_implILS5_0ELb0ES3_jN6thrust23THRUST_200600_302600_NS6detail15normal_iteratorINSA_10device_ptrItEEEEPS6_SG_NS0_5tupleIJSF_NSA_16discard_iteratorINSA_11use_defaultEEEEEENSH_IJSG_SG_EEES6_PlJ7is_evenItEEEE10hipError_tPvRmT3_T4_T5_T6_T7_T9_mT8_P12ihipStream_tbDpT10_ENKUlT_T0_E_clISt17integral_constantIbLb0EES19_EEDaS14_S15_EUlS14_E_NS1_11comp_targetILNS1_3genE9ELNS1_11target_archE1100ELNS1_3gpuE3ELNS1_3repE0EEENS1_30default_config_static_selectorELNS0_4arch9wavefront6targetE1EEEvT1_: ; @_ZN7rocprim17ROCPRIM_400000_NS6detail17trampoline_kernelINS0_14default_configENS1_25partition_config_selectorILNS1_17partition_subalgoE0EtNS0_10empty_typeEbEEZZNS1_14partition_implILS5_0ELb0ES3_jN6thrust23THRUST_200600_302600_NS6detail15normal_iteratorINSA_10device_ptrItEEEEPS6_SG_NS0_5tupleIJSF_NSA_16discard_iteratorINSA_11use_defaultEEEEEENSH_IJSG_SG_EEES6_PlJ7is_evenItEEEE10hipError_tPvRmT3_T4_T5_T6_T7_T9_mT8_P12ihipStream_tbDpT10_ENKUlT_T0_E_clISt17integral_constantIbLb0EES19_EEDaS14_S15_EUlS14_E_NS1_11comp_targetILNS1_3genE9ELNS1_11target_archE1100ELNS1_3gpuE3ELNS1_3repE0EEENS1_30default_config_static_selectorELNS0_4arch9wavefront6targetE1EEEvT1_
; %bb.0:
	.section	.rodata,"a",@progbits
	.p2align	6, 0x0
	.amdhsa_kernel _ZN7rocprim17ROCPRIM_400000_NS6detail17trampoline_kernelINS0_14default_configENS1_25partition_config_selectorILNS1_17partition_subalgoE0EtNS0_10empty_typeEbEEZZNS1_14partition_implILS5_0ELb0ES3_jN6thrust23THRUST_200600_302600_NS6detail15normal_iteratorINSA_10device_ptrItEEEEPS6_SG_NS0_5tupleIJSF_NSA_16discard_iteratorINSA_11use_defaultEEEEEENSH_IJSG_SG_EEES6_PlJ7is_evenItEEEE10hipError_tPvRmT3_T4_T5_T6_T7_T9_mT8_P12ihipStream_tbDpT10_ENKUlT_T0_E_clISt17integral_constantIbLb0EES19_EEDaS14_S15_EUlS14_E_NS1_11comp_targetILNS1_3genE9ELNS1_11target_archE1100ELNS1_3gpuE3ELNS1_3repE0EEENS1_30default_config_static_selectorELNS0_4arch9wavefront6targetE1EEEvT1_
		.amdhsa_group_segment_fixed_size 0
		.amdhsa_private_segment_fixed_size 0
		.amdhsa_kernarg_size 128
		.amdhsa_user_sgpr_count 6
		.amdhsa_user_sgpr_private_segment_buffer 1
		.amdhsa_user_sgpr_dispatch_ptr 0
		.amdhsa_user_sgpr_queue_ptr 0
		.amdhsa_user_sgpr_kernarg_segment_ptr 1
		.amdhsa_user_sgpr_dispatch_id 0
		.amdhsa_user_sgpr_flat_scratch_init 0
		.amdhsa_user_sgpr_kernarg_preload_length 0
		.amdhsa_user_sgpr_kernarg_preload_offset 0
		.amdhsa_user_sgpr_private_segment_size 0
		.amdhsa_uses_dynamic_stack 0
		.amdhsa_system_sgpr_private_segment_wavefront_offset 0
		.amdhsa_system_sgpr_workgroup_id_x 1
		.amdhsa_system_sgpr_workgroup_id_y 0
		.amdhsa_system_sgpr_workgroup_id_z 0
		.amdhsa_system_sgpr_workgroup_info 0
		.amdhsa_system_vgpr_workitem_id 0
		.amdhsa_next_free_vgpr 1
		.amdhsa_next_free_sgpr 0
		.amdhsa_accum_offset 4
		.amdhsa_reserve_vcc 0
		.amdhsa_reserve_flat_scratch 0
		.amdhsa_float_round_mode_32 0
		.amdhsa_float_round_mode_16_64 0
		.amdhsa_float_denorm_mode_32 3
		.amdhsa_float_denorm_mode_16_64 3
		.amdhsa_dx10_clamp 1
		.amdhsa_ieee_mode 1
		.amdhsa_fp16_overflow 0
		.amdhsa_tg_split 0
		.amdhsa_exception_fp_ieee_invalid_op 0
		.amdhsa_exception_fp_denorm_src 0
		.amdhsa_exception_fp_ieee_div_zero 0
		.amdhsa_exception_fp_ieee_overflow 0
		.amdhsa_exception_fp_ieee_underflow 0
		.amdhsa_exception_fp_ieee_inexact 0
		.amdhsa_exception_int_div_zero 0
	.end_amdhsa_kernel
	.section	.text._ZN7rocprim17ROCPRIM_400000_NS6detail17trampoline_kernelINS0_14default_configENS1_25partition_config_selectorILNS1_17partition_subalgoE0EtNS0_10empty_typeEbEEZZNS1_14partition_implILS5_0ELb0ES3_jN6thrust23THRUST_200600_302600_NS6detail15normal_iteratorINSA_10device_ptrItEEEEPS6_SG_NS0_5tupleIJSF_NSA_16discard_iteratorINSA_11use_defaultEEEEEENSH_IJSG_SG_EEES6_PlJ7is_evenItEEEE10hipError_tPvRmT3_T4_T5_T6_T7_T9_mT8_P12ihipStream_tbDpT10_ENKUlT_T0_E_clISt17integral_constantIbLb0EES19_EEDaS14_S15_EUlS14_E_NS1_11comp_targetILNS1_3genE9ELNS1_11target_archE1100ELNS1_3gpuE3ELNS1_3repE0EEENS1_30default_config_static_selectorELNS0_4arch9wavefront6targetE1EEEvT1_,"axG",@progbits,_ZN7rocprim17ROCPRIM_400000_NS6detail17trampoline_kernelINS0_14default_configENS1_25partition_config_selectorILNS1_17partition_subalgoE0EtNS0_10empty_typeEbEEZZNS1_14partition_implILS5_0ELb0ES3_jN6thrust23THRUST_200600_302600_NS6detail15normal_iteratorINSA_10device_ptrItEEEEPS6_SG_NS0_5tupleIJSF_NSA_16discard_iteratorINSA_11use_defaultEEEEEENSH_IJSG_SG_EEES6_PlJ7is_evenItEEEE10hipError_tPvRmT3_T4_T5_T6_T7_T9_mT8_P12ihipStream_tbDpT10_ENKUlT_T0_E_clISt17integral_constantIbLb0EES19_EEDaS14_S15_EUlS14_E_NS1_11comp_targetILNS1_3genE9ELNS1_11target_archE1100ELNS1_3gpuE3ELNS1_3repE0EEENS1_30default_config_static_selectorELNS0_4arch9wavefront6targetE1EEEvT1_,comdat
.Lfunc_end2529:
	.size	_ZN7rocprim17ROCPRIM_400000_NS6detail17trampoline_kernelINS0_14default_configENS1_25partition_config_selectorILNS1_17partition_subalgoE0EtNS0_10empty_typeEbEEZZNS1_14partition_implILS5_0ELb0ES3_jN6thrust23THRUST_200600_302600_NS6detail15normal_iteratorINSA_10device_ptrItEEEEPS6_SG_NS0_5tupleIJSF_NSA_16discard_iteratorINSA_11use_defaultEEEEEENSH_IJSG_SG_EEES6_PlJ7is_evenItEEEE10hipError_tPvRmT3_T4_T5_T6_T7_T9_mT8_P12ihipStream_tbDpT10_ENKUlT_T0_E_clISt17integral_constantIbLb0EES19_EEDaS14_S15_EUlS14_E_NS1_11comp_targetILNS1_3genE9ELNS1_11target_archE1100ELNS1_3gpuE3ELNS1_3repE0EEENS1_30default_config_static_selectorELNS0_4arch9wavefront6targetE1EEEvT1_, .Lfunc_end2529-_ZN7rocprim17ROCPRIM_400000_NS6detail17trampoline_kernelINS0_14default_configENS1_25partition_config_selectorILNS1_17partition_subalgoE0EtNS0_10empty_typeEbEEZZNS1_14partition_implILS5_0ELb0ES3_jN6thrust23THRUST_200600_302600_NS6detail15normal_iteratorINSA_10device_ptrItEEEEPS6_SG_NS0_5tupleIJSF_NSA_16discard_iteratorINSA_11use_defaultEEEEEENSH_IJSG_SG_EEES6_PlJ7is_evenItEEEE10hipError_tPvRmT3_T4_T5_T6_T7_T9_mT8_P12ihipStream_tbDpT10_ENKUlT_T0_E_clISt17integral_constantIbLb0EES19_EEDaS14_S15_EUlS14_E_NS1_11comp_targetILNS1_3genE9ELNS1_11target_archE1100ELNS1_3gpuE3ELNS1_3repE0EEENS1_30default_config_static_selectorELNS0_4arch9wavefront6targetE1EEEvT1_
                                        ; -- End function
	.section	.AMDGPU.csdata,"",@progbits
; Kernel info:
; codeLenInByte = 0
; NumSgprs: 4
; NumVgprs: 0
; NumAgprs: 0
; TotalNumVgprs: 0
; ScratchSize: 0
; MemoryBound: 0
; FloatMode: 240
; IeeeMode: 1
; LDSByteSize: 0 bytes/workgroup (compile time only)
; SGPRBlocks: 0
; VGPRBlocks: 0
; NumSGPRsForWavesPerEU: 4
; NumVGPRsForWavesPerEU: 1
; AccumOffset: 4
; Occupancy: 8
; WaveLimiterHint : 0
; COMPUTE_PGM_RSRC2:SCRATCH_EN: 0
; COMPUTE_PGM_RSRC2:USER_SGPR: 6
; COMPUTE_PGM_RSRC2:TRAP_HANDLER: 0
; COMPUTE_PGM_RSRC2:TGID_X_EN: 1
; COMPUTE_PGM_RSRC2:TGID_Y_EN: 0
; COMPUTE_PGM_RSRC2:TGID_Z_EN: 0
; COMPUTE_PGM_RSRC2:TIDIG_COMP_CNT: 0
; COMPUTE_PGM_RSRC3_GFX90A:ACCUM_OFFSET: 0
; COMPUTE_PGM_RSRC3_GFX90A:TG_SPLIT: 0
	.section	.text._ZN7rocprim17ROCPRIM_400000_NS6detail17trampoline_kernelINS0_14default_configENS1_25partition_config_selectorILNS1_17partition_subalgoE0EtNS0_10empty_typeEbEEZZNS1_14partition_implILS5_0ELb0ES3_jN6thrust23THRUST_200600_302600_NS6detail15normal_iteratorINSA_10device_ptrItEEEEPS6_SG_NS0_5tupleIJSF_NSA_16discard_iteratorINSA_11use_defaultEEEEEENSH_IJSG_SG_EEES6_PlJ7is_evenItEEEE10hipError_tPvRmT3_T4_T5_T6_T7_T9_mT8_P12ihipStream_tbDpT10_ENKUlT_T0_E_clISt17integral_constantIbLb0EES19_EEDaS14_S15_EUlS14_E_NS1_11comp_targetILNS1_3genE8ELNS1_11target_archE1030ELNS1_3gpuE2ELNS1_3repE0EEENS1_30default_config_static_selectorELNS0_4arch9wavefront6targetE1EEEvT1_,"axG",@progbits,_ZN7rocprim17ROCPRIM_400000_NS6detail17trampoline_kernelINS0_14default_configENS1_25partition_config_selectorILNS1_17partition_subalgoE0EtNS0_10empty_typeEbEEZZNS1_14partition_implILS5_0ELb0ES3_jN6thrust23THRUST_200600_302600_NS6detail15normal_iteratorINSA_10device_ptrItEEEEPS6_SG_NS0_5tupleIJSF_NSA_16discard_iteratorINSA_11use_defaultEEEEEENSH_IJSG_SG_EEES6_PlJ7is_evenItEEEE10hipError_tPvRmT3_T4_T5_T6_T7_T9_mT8_P12ihipStream_tbDpT10_ENKUlT_T0_E_clISt17integral_constantIbLb0EES19_EEDaS14_S15_EUlS14_E_NS1_11comp_targetILNS1_3genE8ELNS1_11target_archE1030ELNS1_3gpuE2ELNS1_3repE0EEENS1_30default_config_static_selectorELNS0_4arch9wavefront6targetE1EEEvT1_,comdat
	.protected	_ZN7rocprim17ROCPRIM_400000_NS6detail17trampoline_kernelINS0_14default_configENS1_25partition_config_selectorILNS1_17partition_subalgoE0EtNS0_10empty_typeEbEEZZNS1_14partition_implILS5_0ELb0ES3_jN6thrust23THRUST_200600_302600_NS6detail15normal_iteratorINSA_10device_ptrItEEEEPS6_SG_NS0_5tupleIJSF_NSA_16discard_iteratorINSA_11use_defaultEEEEEENSH_IJSG_SG_EEES6_PlJ7is_evenItEEEE10hipError_tPvRmT3_T4_T5_T6_T7_T9_mT8_P12ihipStream_tbDpT10_ENKUlT_T0_E_clISt17integral_constantIbLb0EES19_EEDaS14_S15_EUlS14_E_NS1_11comp_targetILNS1_3genE8ELNS1_11target_archE1030ELNS1_3gpuE2ELNS1_3repE0EEENS1_30default_config_static_selectorELNS0_4arch9wavefront6targetE1EEEvT1_ ; -- Begin function _ZN7rocprim17ROCPRIM_400000_NS6detail17trampoline_kernelINS0_14default_configENS1_25partition_config_selectorILNS1_17partition_subalgoE0EtNS0_10empty_typeEbEEZZNS1_14partition_implILS5_0ELb0ES3_jN6thrust23THRUST_200600_302600_NS6detail15normal_iteratorINSA_10device_ptrItEEEEPS6_SG_NS0_5tupleIJSF_NSA_16discard_iteratorINSA_11use_defaultEEEEEENSH_IJSG_SG_EEES6_PlJ7is_evenItEEEE10hipError_tPvRmT3_T4_T5_T6_T7_T9_mT8_P12ihipStream_tbDpT10_ENKUlT_T0_E_clISt17integral_constantIbLb0EES19_EEDaS14_S15_EUlS14_E_NS1_11comp_targetILNS1_3genE8ELNS1_11target_archE1030ELNS1_3gpuE2ELNS1_3repE0EEENS1_30default_config_static_selectorELNS0_4arch9wavefront6targetE1EEEvT1_
	.globl	_ZN7rocprim17ROCPRIM_400000_NS6detail17trampoline_kernelINS0_14default_configENS1_25partition_config_selectorILNS1_17partition_subalgoE0EtNS0_10empty_typeEbEEZZNS1_14partition_implILS5_0ELb0ES3_jN6thrust23THRUST_200600_302600_NS6detail15normal_iteratorINSA_10device_ptrItEEEEPS6_SG_NS0_5tupleIJSF_NSA_16discard_iteratorINSA_11use_defaultEEEEEENSH_IJSG_SG_EEES6_PlJ7is_evenItEEEE10hipError_tPvRmT3_T4_T5_T6_T7_T9_mT8_P12ihipStream_tbDpT10_ENKUlT_T0_E_clISt17integral_constantIbLb0EES19_EEDaS14_S15_EUlS14_E_NS1_11comp_targetILNS1_3genE8ELNS1_11target_archE1030ELNS1_3gpuE2ELNS1_3repE0EEENS1_30default_config_static_selectorELNS0_4arch9wavefront6targetE1EEEvT1_
	.p2align	8
	.type	_ZN7rocprim17ROCPRIM_400000_NS6detail17trampoline_kernelINS0_14default_configENS1_25partition_config_selectorILNS1_17partition_subalgoE0EtNS0_10empty_typeEbEEZZNS1_14partition_implILS5_0ELb0ES3_jN6thrust23THRUST_200600_302600_NS6detail15normal_iteratorINSA_10device_ptrItEEEEPS6_SG_NS0_5tupleIJSF_NSA_16discard_iteratorINSA_11use_defaultEEEEEENSH_IJSG_SG_EEES6_PlJ7is_evenItEEEE10hipError_tPvRmT3_T4_T5_T6_T7_T9_mT8_P12ihipStream_tbDpT10_ENKUlT_T0_E_clISt17integral_constantIbLb0EES19_EEDaS14_S15_EUlS14_E_NS1_11comp_targetILNS1_3genE8ELNS1_11target_archE1030ELNS1_3gpuE2ELNS1_3repE0EEENS1_30default_config_static_selectorELNS0_4arch9wavefront6targetE1EEEvT1_,@function
_ZN7rocprim17ROCPRIM_400000_NS6detail17trampoline_kernelINS0_14default_configENS1_25partition_config_selectorILNS1_17partition_subalgoE0EtNS0_10empty_typeEbEEZZNS1_14partition_implILS5_0ELb0ES3_jN6thrust23THRUST_200600_302600_NS6detail15normal_iteratorINSA_10device_ptrItEEEEPS6_SG_NS0_5tupleIJSF_NSA_16discard_iteratorINSA_11use_defaultEEEEEENSH_IJSG_SG_EEES6_PlJ7is_evenItEEEE10hipError_tPvRmT3_T4_T5_T6_T7_T9_mT8_P12ihipStream_tbDpT10_ENKUlT_T0_E_clISt17integral_constantIbLb0EES19_EEDaS14_S15_EUlS14_E_NS1_11comp_targetILNS1_3genE8ELNS1_11target_archE1030ELNS1_3gpuE2ELNS1_3repE0EEENS1_30default_config_static_selectorELNS0_4arch9wavefront6targetE1EEEvT1_: ; @_ZN7rocprim17ROCPRIM_400000_NS6detail17trampoline_kernelINS0_14default_configENS1_25partition_config_selectorILNS1_17partition_subalgoE0EtNS0_10empty_typeEbEEZZNS1_14partition_implILS5_0ELb0ES3_jN6thrust23THRUST_200600_302600_NS6detail15normal_iteratorINSA_10device_ptrItEEEEPS6_SG_NS0_5tupleIJSF_NSA_16discard_iteratorINSA_11use_defaultEEEEEENSH_IJSG_SG_EEES6_PlJ7is_evenItEEEE10hipError_tPvRmT3_T4_T5_T6_T7_T9_mT8_P12ihipStream_tbDpT10_ENKUlT_T0_E_clISt17integral_constantIbLb0EES19_EEDaS14_S15_EUlS14_E_NS1_11comp_targetILNS1_3genE8ELNS1_11target_archE1030ELNS1_3gpuE2ELNS1_3repE0EEENS1_30default_config_static_selectorELNS0_4arch9wavefront6targetE1EEEvT1_
; %bb.0:
	.section	.rodata,"a",@progbits
	.p2align	6, 0x0
	.amdhsa_kernel _ZN7rocprim17ROCPRIM_400000_NS6detail17trampoline_kernelINS0_14default_configENS1_25partition_config_selectorILNS1_17partition_subalgoE0EtNS0_10empty_typeEbEEZZNS1_14partition_implILS5_0ELb0ES3_jN6thrust23THRUST_200600_302600_NS6detail15normal_iteratorINSA_10device_ptrItEEEEPS6_SG_NS0_5tupleIJSF_NSA_16discard_iteratorINSA_11use_defaultEEEEEENSH_IJSG_SG_EEES6_PlJ7is_evenItEEEE10hipError_tPvRmT3_T4_T5_T6_T7_T9_mT8_P12ihipStream_tbDpT10_ENKUlT_T0_E_clISt17integral_constantIbLb0EES19_EEDaS14_S15_EUlS14_E_NS1_11comp_targetILNS1_3genE8ELNS1_11target_archE1030ELNS1_3gpuE2ELNS1_3repE0EEENS1_30default_config_static_selectorELNS0_4arch9wavefront6targetE1EEEvT1_
		.amdhsa_group_segment_fixed_size 0
		.amdhsa_private_segment_fixed_size 0
		.amdhsa_kernarg_size 128
		.amdhsa_user_sgpr_count 6
		.amdhsa_user_sgpr_private_segment_buffer 1
		.amdhsa_user_sgpr_dispatch_ptr 0
		.amdhsa_user_sgpr_queue_ptr 0
		.amdhsa_user_sgpr_kernarg_segment_ptr 1
		.amdhsa_user_sgpr_dispatch_id 0
		.amdhsa_user_sgpr_flat_scratch_init 0
		.amdhsa_user_sgpr_kernarg_preload_length 0
		.amdhsa_user_sgpr_kernarg_preload_offset 0
		.amdhsa_user_sgpr_private_segment_size 0
		.amdhsa_uses_dynamic_stack 0
		.amdhsa_system_sgpr_private_segment_wavefront_offset 0
		.amdhsa_system_sgpr_workgroup_id_x 1
		.amdhsa_system_sgpr_workgroup_id_y 0
		.amdhsa_system_sgpr_workgroup_id_z 0
		.amdhsa_system_sgpr_workgroup_info 0
		.amdhsa_system_vgpr_workitem_id 0
		.amdhsa_next_free_vgpr 1
		.amdhsa_next_free_sgpr 0
		.amdhsa_accum_offset 4
		.amdhsa_reserve_vcc 0
		.amdhsa_reserve_flat_scratch 0
		.amdhsa_float_round_mode_32 0
		.amdhsa_float_round_mode_16_64 0
		.amdhsa_float_denorm_mode_32 3
		.amdhsa_float_denorm_mode_16_64 3
		.amdhsa_dx10_clamp 1
		.amdhsa_ieee_mode 1
		.amdhsa_fp16_overflow 0
		.amdhsa_tg_split 0
		.amdhsa_exception_fp_ieee_invalid_op 0
		.amdhsa_exception_fp_denorm_src 0
		.amdhsa_exception_fp_ieee_div_zero 0
		.amdhsa_exception_fp_ieee_overflow 0
		.amdhsa_exception_fp_ieee_underflow 0
		.amdhsa_exception_fp_ieee_inexact 0
		.amdhsa_exception_int_div_zero 0
	.end_amdhsa_kernel
	.section	.text._ZN7rocprim17ROCPRIM_400000_NS6detail17trampoline_kernelINS0_14default_configENS1_25partition_config_selectorILNS1_17partition_subalgoE0EtNS0_10empty_typeEbEEZZNS1_14partition_implILS5_0ELb0ES3_jN6thrust23THRUST_200600_302600_NS6detail15normal_iteratorINSA_10device_ptrItEEEEPS6_SG_NS0_5tupleIJSF_NSA_16discard_iteratorINSA_11use_defaultEEEEEENSH_IJSG_SG_EEES6_PlJ7is_evenItEEEE10hipError_tPvRmT3_T4_T5_T6_T7_T9_mT8_P12ihipStream_tbDpT10_ENKUlT_T0_E_clISt17integral_constantIbLb0EES19_EEDaS14_S15_EUlS14_E_NS1_11comp_targetILNS1_3genE8ELNS1_11target_archE1030ELNS1_3gpuE2ELNS1_3repE0EEENS1_30default_config_static_selectorELNS0_4arch9wavefront6targetE1EEEvT1_,"axG",@progbits,_ZN7rocprim17ROCPRIM_400000_NS6detail17trampoline_kernelINS0_14default_configENS1_25partition_config_selectorILNS1_17partition_subalgoE0EtNS0_10empty_typeEbEEZZNS1_14partition_implILS5_0ELb0ES3_jN6thrust23THRUST_200600_302600_NS6detail15normal_iteratorINSA_10device_ptrItEEEEPS6_SG_NS0_5tupleIJSF_NSA_16discard_iteratorINSA_11use_defaultEEEEEENSH_IJSG_SG_EEES6_PlJ7is_evenItEEEE10hipError_tPvRmT3_T4_T5_T6_T7_T9_mT8_P12ihipStream_tbDpT10_ENKUlT_T0_E_clISt17integral_constantIbLb0EES19_EEDaS14_S15_EUlS14_E_NS1_11comp_targetILNS1_3genE8ELNS1_11target_archE1030ELNS1_3gpuE2ELNS1_3repE0EEENS1_30default_config_static_selectorELNS0_4arch9wavefront6targetE1EEEvT1_,comdat
.Lfunc_end2530:
	.size	_ZN7rocprim17ROCPRIM_400000_NS6detail17trampoline_kernelINS0_14default_configENS1_25partition_config_selectorILNS1_17partition_subalgoE0EtNS0_10empty_typeEbEEZZNS1_14partition_implILS5_0ELb0ES3_jN6thrust23THRUST_200600_302600_NS6detail15normal_iteratorINSA_10device_ptrItEEEEPS6_SG_NS0_5tupleIJSF_NSA_16discard_iteratorINSA_11use_defaultEEEEEENSH_IJSG_SG_EEES6_PlJ7is_evenItEEEE10hipError_tPvRmT3_T4_T5_T6_T7_T9_mT8_P12ihipStream_tbDpT10_ENKUlT_T0_E_clISt17integral_constantIbLb0EES19_EEDaS14_S15_EUlS14_E_NS1_11comp_targetILNS1_3genE8ELNS1_11target_archE1030ELNS1_3gpuE2ELNS1_3repE0EEENS1_30default_config_static_selectorELNS0_4arch9wavefront6targetE1EEEvT1_, .Lfunc_end2530-_ZN7rocprim17ROCPRIM_400000_NS6detail17trampoline_kernelINS0_14default_configENS1_25partition_config_selectorILNS1_17partition_subalgoE0EtNS0_10empty_typeEbEEZZNS1_14partition_implILS5_0ELb0ES3_jN6thrust23THRUST_200600_302600_NS6detail15normal_iteratorINSA_10device_ptrItEEEEPS6_SG_NS0_5tupleIJSF_NSA_16discard_iteratorINSA_11use_defaultEEEEEENSH_IJSG_SG_EEES6_PlJ7is_evenItEEEE10hipError_tPvRmT3_T4_T5_T6_T7_T9_mT8_P12ihipStream_tbDpT10_ENKUlT_T0_E_clISt17integral_constantIbLb0EES19_EEDaS14_S15_EUlS14_E_NS1_11comp_targetILNS1_3genE8ELNS1_11target_archE1030ELNS1_3gpuE2ELNS1_3repE0EEENS1_30default_config_static_selectorELNS0_4arch9wavefront6targetE1EEEvT1_
                                        ; -- End function
	.section	.AMDGPU.csdata,"",@progbits
; Kernel info:
; codeLenInByte = 0
; NumSgprs: 4
; NumVgprs: 0
; NumAgprs: 0
; TotalNumVgprs: 0
; ScratchSize: 0
; MemoryBound: 0
; FloatMode: 240
; IeeeMode: 1
; LDSByteSize: 0 bytes/workgroup (compile time only)
; SGPRBlocks: 0
; VGPRBlocks: 0
; NumSGPRsForWavesPerEU: 4
; NumVGPRsForWavesPerEU: 1
; AccumOffset: 4
; Occupancy: 8
; WaveLimiterHint : 0
; COMPUTE_PGM_RSRC2:SCRATCH_EN: 0
; COMPUTE_PGM_RSRC2:USER_SGPR: 6
; COMPUTE_PGM_RSRC2:TRAP_HANDLER: 0
; COMPUTE_PGM_RSRC2:TGID_X_EN: 1
; COMPUTE_PGM_RSRC2:TGID_Y_EN: 0
; COMPUTE_PGM_RSRC2:TGID_Z_EN: 0
; COMPUTE_PGM_RSRC2:TIDIG_COMP_CNT: 0
; COMPUTE_PGM_RSRC3_GFX90A:ACCUM_OFFSET: 0
; COMPUTE_PGM_RSRC3_GFX90A:TG_SPLIT: 0
	.section	.text._ZN7rocprim17ROCPRIM_400000_NS6detail17trampoline_kernelINS0_14default_configENS1_25partition_config_selectorILNS1_17partition_subalgoE0EtNS0_10empty_typeEbEEZZNS1_14partition_implILS5_0ELb0ES3_jN6thrust23THRUST_200600_302600_NS6detail15normal_iteratorINSA_10device_ptrItEEEEPS6_SG_NS0_5tupleIJSF_NSA_16discard_iteratorINSA_11use_defaultEEEEEENSH_IJSG_SG_EEES6_PlJ7is_evenItEEEE10hipError_tPvRmT3_T4_T5_T6_T7_T9_mT8_P12ihipStream_tbDpT10_ENKUlT_T0_E_clISt17integral_constantIbLb1EES19_EEDaS14_S15_EUlS14_E_NS1_11comp_targetILNS1_3genE0ELNS1_11target_archE4294967295ELNS1_3gpuE0ELNS1_3repE0EEENS1_30default_config_static_selectorELNS0_4arch9wavefront6targetE1EEEvT1_,"axG",@progbits,_ZN7rocprim17ROCPRIM_400000_NS6detail17trampoline_kernelINS0_14default_configENS1_25partition_config_selectorILNS1_17partition_subalgoE0EtNS0_10empty_typeEbEEZZNS1_14partition_implILS5_0ELb0ES3_jN6thrust23THRUST_200600_302600_NS6detail15normal_iteratorINSA_10device_ptrItEEEEPS6_SG_NS0_5tupleIJSF_NSA_16discard_iteratorINSA_11use_defaultEEEEEENSH_IJSG_SG_EEES6_PlJ7is_evenItEEEE10hipError_tPvRmT3_T4_T5_T6_T7_T9_mT8_P12ihipStream_tbDpT10_ENKUlT_T0_E_clISt17integral_constantIbLb1EES19_EEDaS14_S15_EUlS14_E_NS1_11comp_targetILNS1_3genE0ELNS1_11target_archE4294967295ELNS1_3gpuE0ELNS1_3repE0EEENS1_30default_config_static_selectorELNS0_4arch9wavefront6targetE1EEEvT1_,comdat
	.protected	_ZN7rocprim17ROCPRIM_400000_NS6detail17trampoline_kernelINS0_14default_configENS1_25partition_config_selectorILNS1_17partition_subalgoE0EtNS0_10empty_typeEbEEZZNS1_14partition_implILS5_0ELb0ES3_jN6thrust23THRUST_200600_302600_NS6detail15normal_iteratorINSA_10device_ptrItEEEEPS6_SG_NS0_5tupleIJSF_NSA_16discard_iteratorINSA_11use_defaultEEEEEENSH_IJSG_SG_EEES6_PlJ7is_evenItEEEE10hipError_tPvRmT3_T4_T5_T6_T7_T9_mT8_P12ihipStream_tbDpT10_ENKUlT_T0_E_clISt17integral_constantIbLb1EES19_EEDaS14_S15_EUlS14_E_NS1_11comp_targetILNS1_3genE0ELNS1_11target_archE4294967295ELNS1_3gpuE0ELNS1_3repE0EEENS1_30default_config_static_selectorELNS0_4arch9wavefront6targetE1EEEvT1_ ; -- Begin function _ZN7rocprim17ROCPRIM_400000_NS6detail17trampoline_kernelINS0_14default_configENS1_25partition_config_selectorILNS1_17partition_subalgoE0EtNS0_10empty_typeEbEEZZNS1_14partition_implILS5_0ELb0ES3_jN6thrust23THRUST_200600_302600_NS6detail15normal_iteratorINSA_10device_ptrItEEEEPS6_SG_NS0_5tupleIJSF_NSA_16discard_iteratorINSA_11use_defaultEEEEEENSH_IJSG_SG_EEES6_PlJ7is_evenItEEEE10hipError_tPvRmT3_T4_T5_T6_T7_T9_mT8_P12ihipStream_tbDpT10_ENKUlT_T0_E_clISt17integral_constantIbLb1EES19_EEDaS14_S15_EUlS14_E_NS1_11comp_targetILNS1_3genE0ELNS1_11target_archE4294967295ELNS1_3gpuE0ELNS1_3repE0EEENS1_30default_config_static_selectorELNS0_4arch9wavefront6targetE1EEEvT1_
	.globl	_ZN7rocprim17ROCPRIM_400000_NS6detail17trampoline_kernelINS0_14default_configENS1_25partition_config_selectorILNS1_17partition_subalgoE0EtNS0_10empty_typeEbEEZZNS1_14partition_implILS5_0ELb0ES3_jN6thrust23THRUST_200600_302600_NS6detail15normal_iteratorINSA_10device_ptrItEEEEPS6_SG_NS0_5tupleIJSF_NSA_16discard_iteratorINSA_11use_defaultEEEEEENSH_IJSG_SG_EEES6_PlJ7is_evenItEEEE10hipError_tPvRmT3_T4_T5_T6_T7_T9_mT8_P12ihipStream_tbDpT10_ENKUlT_T0_E_clISt17integral_constantIbLb1EES19_EEDaS14_S15_EUlS14_E_NS1_11comp_targetILNS1_3genE0ELNS1_11target_archE4294967295ELNS1_3gpuE0ELNS1_3repE0EEENS1_30default_config_static_selectorELNS0_4arch9wavefront6targetE1EEEvT1_
	.p2align	8
	.type	_ZN7rocprim17ROCPRIM_400000_NS6detail17trampoline_kernelINS0_14default_configENS1_25partition_config_selectorILNS1_17partition_subalgoE0EtNS0_10empty_typeEbEEZZNS1_14partition_implILS5_0ELb0ES3_jN6thrust23THRUST_200600_302600_NS6detail15normal_iteratorINSA_10device_ptrItEEEEPS6_SG_NS0_5tupleIJSF_NSA_16discard_iteratorINSA_11use_defaultEEEEEENSH_IJSG_SG_EEES6_PlJ7is_evenItEEEE10hipError_tPvRmT3_T4_T5_T6_T7_T9_mT8_P12ihipStream_tbDpT10_ENKUlT_T0_E_clISt17integral_constantIbLb1EES19_EEDaS14_S15_EUlS14_E_NS1_11comp_targetILNS1_3genE0ELNS1_11target_archE4294967295ELNS1_3gpuE0ELNS1_3repE0EEENS1_30default_config_static_selectorELNS0_4arch9wavefront6targetE1EEEvT1_,@function
_ZN7rocprim17ROCPRIM_400000_NS6detail17trampoline_kernelINS0_14default_configENS1_25partition_config_selectorILNS1_17partition_subalgoE0EtNS0_10empty_typeEbEEZZNS1_14partition_implILS5_0ELb0ES3_jN6thrust23THRUST_200600_302600_NS6detail15normal_iteratorINSA_10device_ptrItEEEEPS6_SG_NS0_5tupleIJSF_NSA_16discard_iteratorINSA_11use_defaultEEEEEENSH_IJSG_SG_EEES6_PlJ7is_evenItEEEE10hipError_tPvRmT3_T4_T5_T6_T7_T9_mT8_P12ihipStream_tbDpT10_ENKUlT_T0_E_clISt17integral_constantIbLb1EES19_EEDaS14_S15_EUlS14_E_NS1_11comp_targetILNS1_3genE0ELNS1_11target_archE4294967295ELNS1_3gpuE0ELNS1_3repE0EEENS1_30default_config_static_selectorELNS0_4arch9wavefront6targetE1EEEvT1_: ; @_ZN7rocprim17ROCPRIM_400000_NS6detail17trampoline_kernelINS0_14default_configENS1_25partition_config_selectorILNS1_17partition_subalgoE0EtNS0_10empty_typeEbEEZZNS1_14partition_implILS5_0ELb0ES3_jN6thrust23THRUST_200600_302600_NS6detail15normal_iteratorINSA_10device_ptrItEEEEPS6_SG_NS0_5tupleIJSF_NSA_16discard_iteratorINSA_11use_defaultEEEEEENSH_IJSG_SG_EEES6_PlJ7is_evenItEEEE10hipError_tPvRmT3_T4_T5_T6_T7_T9_mT8_P12ihipStream_tbDpT10_ENKUlT_T0_E_clISt17integral_constantIbLb1EES19_EEDaS14_S15_EUlS14_E_NS1_11comp_targetILNS1_3genE0ELNS1_11target_archE4294967295ELNS1_3gpuE0ELNS1_3repE0EEENS1_30default_config_static_selectorELNS0_4arch9wavefront6targetE1EEEvT1_
; %bb.0:
	.section	.rodata,"a",@progbits
	.p2align	6, 0x0
	.amdhsa_kernel _ZN7rocprim17ROCPRIM_400000_NS6detail17trampoline_kernelINS0_14default_configENS1_25partition_config_selectorILNS1_17partition_subalgoE0EtNS0_10empty_typeEbEEZZNS1_14partition_implILS5_0ELb0ES3_jN6thrust23THRUST_200600_302600_NS6detail15normal_iteratorINSA_10device_ptrItEEEEPS6_SG_NS0_5tupleIJSF_NSA_16discard_iteratorINSA_11use_defaultEEEEEENSH_IJSG_SG_EEES6_PlJ7is_evenItEEEE10hipError_tPvRmT3_T4_T5_T6_T7_T9_mT8_P12ihipStream_tbDpT10_ENKUlT_T0_E_clISt17integral_constantIbLb1EES19_EEDaS14_S15_EUlS14_E_NS1_11comp_targetILNS1_3genE0ELNS1_11target_archE4294967295ELNS1_3gpuE0ELNS1_3repE0EEENS1_30default_config_static_selectorELNS0_4arch9wavefront6targetE1EEEvT1_
		.amdhsa_group_segment_fixed_size 0
		.amdhsa_private_segment_fixed_size 0
		.amdhsa_kernarg_size 144
		.amdhsa_user_sgpr_count 6
		.amdhsa_user_sgpr_private_segment_buffer 1
		.amdhsa_user_sgpr_dispatch_ptr 0
		.amdhsa_user_sgpr_queue_ptr 0
		.amdhsa_user_sgpr_kernarg_segment_ptr 1
		.amdhsa_user_sgpr_dispatch_id 0
		.amdhsa_user_sgpr_flat_scratch_init 0
		.amdhsa_user_sgpr_kernarg_preload_length 0
		.amdhsa_user_sgpr_kernarg_preload_offset 0
		.amdhsa_user_sgpr_private_segment_size 0
		.amdhsa_uses_dynamic_stack 0
		.amdhsa_system_sgpr_private_segment_wavefront_offset 0
		.amdhsa_system_sgpr_workgroup_id_x 1
		.amdhsa_system_sgpr_workgroup_id_y 0
		.amdhsa_system_sgpr_workgroup_id_z 0
		.amdhsa_system_sgpr_workgroup_info 0
		.amdhsa_system_vgpr_workitem_id 0
		.amdhsa_next_free_vgpr 1
		.amdhsa_next_free_sgpr 0
		.amdhsa_accum_offset 4
		.amdhsa_reserve_vcc 0
		.amdhsa_reserve_flat_scratch 0
		.amdhsa_float_round_mode_32 0
		.amdhsa_float_round_mode_16_64 0
		.amdhsa_float_denorm_mode_32 3
		.amdhsa_float_denorm_mode_16_64 3
		.amdhsa_dx10_clamp 1
		.amdhsa_ieee_mode 1
		.amdhsa_fp16_overflow 0
		.amdhsa_tg_split 0
		.amdhsa_exception_fp_ieee_invalid_op 0
		.amdhsa_exception_fp_denorm_src 0
		.amdhsa_exception_fp_ieee_div_zero 0
		.amdhsa_exception_fp_ieee_overflow 0
		.amdhsa_exception_fp_ieee_underflow 0
		.amdhsa_exception_fp_ieee_inexact 0
		.amdhsa_exception_int_div_zero 0
	.end_amdhsa_kernel
	.section	.text._ZN7rocprim17ROCPRIM_400000_NS6detail17trampoline_kernelINS0_14default_configENS1_25partition_config_selectorILNS1_17partition_subalgoE0EtNS0_10empty_typeEbEEZZNS1_14partition_implILS5_0ELb0ES3_jN6thrust23THRUST_200600_302600_NS6detail15normal_iteratorINSA_10device_ptrItEEEEPS6_SG_NS0_5tupleIJSF_NSA_16discard_iteratorINSA_11use_defaultEEEEEENSH_IJSG_SG_EEES6_PlJ7is_evenItEEEE10hipError_tPvRmT3_T4_T5_T6_T7_T9_mT8_P12ihipStream_tbDpT10_ENKUlT_T0_E_clISt17integral_constantIbLb1EES19_EEDaS14_S15_EUlS14_E_NS1_11comp_targetILNS1_3genE0ELNS1_11target_archE4294967295ELNS1_3gpuE0ELNS1_3repE0EEENS1_30default_config_static_selectorELNS0_4arch9wavefront6targetE1EEEvT1_,"axG",@progbits,_ZN7rocprim17ROCPRIM_400000_NS6detail17trampoline_kernelINS0_14default_configENS1_25partition_config_selectorILNS1_17partition_subalgoE0EtNS0_10empty_typeEbEEZZNS1_14partition_implILS5_0ELb0ES3_jN6thrust23THRUST_200600_302600_NS6detail15normal_iteratorINSA_10device_ptrItEEEEPS6_SG_NS0_5tupleIJSF_NSA_16discard_iteratorINSA_11use_defaultEEEEEENSH_IJSG_SG_EEES6_PlJ7is_evenItEEEE10hipError_tPvRmT3_T4_T5_T6_T7_T9_mT8_P12ihipStream_tbDpT10_ENKUlT_T0_E_clISt17integral_constantIbLb1EES19_EEDaS14_S15_EUlS14_E_NS1_11comp_targetILNS1_3genE0ELNS1_11target_archE4294967295ELNS1_3gpuE0ELNS1_3repE0EEENS1_30default_config_static_selectorELNS0_4arch9wavefront6targetE1EEEvT1_,comdat
.Lfunc_end2531:
	.size	_ZN7rocprim17ROCPRIM_400000_NS6detail17trampoline_kernelINS0_14default_configENS1_25partition_config_selectorILNS1_17partition_subalgoE0EtNS0_10empty_typeEbEEZZNS1_14partition_implILS5_0ELb0ES3_jN6thrust23THRUST_200600_302600_NS6detail15normal_iteratorINSA_10device_ptrItEEEEPS6_SG_NS0_5tupleIJSF_NSA_16discard_iteratorINSA_11use_defaultEEEEEENSH_IJSG_SG_EEES6_PlJ7is_evenItEEEE10hipError_tPvRmT3_T4_T5_T6_T7_T9_mT8_P12ihipStream_tbDpT10_ENKUlT_T0_E_clISt17integral_constantIbLb1EES19_EEDaS14_S15_EUlS14_E_NS1_11comp_targetILNS1_3genE0ELNS1_11target_archE4294967295ELNS1_3gpuE0ELNS1_3repE0EEENS1_30default_config_static_selectorELNS0_4arch9wavefront6targetE1EEEvT1_, .Lfunc_end2531-_ZN7rocprim17ROCPRIM_400000_NS6detail17trampoline_kernelINS0_14default_configENS1_25partition_config_selectorILNS1_17partition_subalgoE0EtNS0_10empty_typeEbEEZZNS1_14partition_implILS5_0ELb0ES3_jN6thrust23THRUST_200600_302600_NS6detail15normal_iteratorINSA_10device_ptrItEEEEPS6_SG_NS0_5tupleIJSF_NSA_16discard_iteratorINSA_11use_defaultEEEEEENSH_IJSG_SG_EEES6_PlJ7is_evenItEEEE10hipError_tPvRmT3_T4_T5_T6_T7_T9_mT8_P12ihipStream_tbDpT10_ENKUlT_T0_E_clISt17integral_constantIbLb1EES19_EEDaS14_S15_EUlS14_E_NS1_11comp_targetILNS1_3genE0ELNS1_11target_archE4294967295ELNS1_3gpuE0ELNS1_3repE0EEENS1_30default_config_static_selectorELNS0_4arch9wavefront6targetE1EEEvT1_
                                        ; -- End function
	.section	.AMDGPU.csdata,"",@progbits
; Kernel info:
; codeLenInByte = 0
; NumSgprs: 4
; NumVgprs: 0
; NumAgprs: 0
; TotalNumVgprs: 0
; ScratchSize: 0
; MemoryBound: 0
; FloatMode: 240
; IeeeMode: 1
; LDSByteSize: 0 bytes/workgroup (compile time only)
; SGPRBlocks: 0
; VGPRBlocks: 0
; NumSGPRsForWavesPerEU: 4
; NumVGPRsForWavesPerEU: 1
; AccumOffset: 4
; Occupancy: 8
; WaveLimiterHint : 0
; COMPUTE_PGM_RSRC2:SCRATCH_EN: 0
; COMPUTE_PGM_RSRC2:USER_SGPR: 6
; COMPUTE_PGM_RSRC2:TRAP_HANDLER: 0
; COMPUTE_PGM_RSRC2:TGID_X_EN: 1
; COMPUTE_PGM_RSRC2:TGID_Y_EN: 0
; COMPUTE_PGM_RSRC2:TGID_Z_EN: 0
; COMPUTE_PGM_RSRC2:TIDIG_COMP_CNT: 0
; COMPUTE_PGM_RSRC3_GFX90A:ACCUM_OFFSET: 0
; COMPUTE_PGM_RSRC3_GFX90A:TG_SPLIT: 0
	.section	.text._ZN7rocprim17ROCPRIM_400000_NS6detail17trampoline_kernelINS0_14default_configENS1_25partition_config_selectorILNS1_17partition_subalgoE0EtNS0_10empty_typeEbEEZZNS1_14partition_implILS5_0ELb0ES3_jN6thrust23THRUST_200600_302600_NS6detail15normal_iteratorINSA_10device_ptrItEEEEPS6_SG_NS0_5tupleIJSF_NSA_16discard_iteratorINSA_11use_defaultEEEEEENSH_IJSG_SG_EEES6_PlJ7is_evenItEEEE10hipError_tPvRmT3_T4_T5_T6_T7_T9_mT8_P12ihipStream_tbDpT10_ENKUlT_T0_E_clISt17integral_constantIbLb1EES19_EEDaS14_S15_EUlS14_E_NS1_11comp_targetILNS1_3genE5ELNS1_11target_archE942ELNS1_3gpuE9ELNS1_3repE0EEENS1_30default_config_static_selectorELNS0_4arch9wavefront6targetE1EEEvT1_,"axG",@progbits,_ZN7rocprim17ROCPRIM_400000_NS6detail17trampoline_kernelINS0_14default_configENS1_25partition_config_selectorILNS1_17partition_subalgoE0EtNS0_10empty_typeEbEEZZNS1_14partition_implILS5_0ELb0ES3_jN6thrust23THRUST_200600_302600_NS6detail15normal_iteratorINSA_10device_ptrItEEEEPS6_SG_NS0_5tupleIJSF_NSA_16discard_iteratorINSA_11use_defaultEEEEEENSH_IJSG_SG_EEES6_PlJ7is_evenItEEEE10hipError_tPvRmT3_T4_T5_T6_T7_T9_mT8_P12ihipStream_tbDpT10_ENKUlT_T0_E_clISt17integral_constantIbLb1EES19_EEDaS14_S15_EUlS14_E_NS1_11comp_targetILNS1_3genE5ELNS1_11target_archE942ELNS1_3gpuE9ELNS1_3repE0EEENS1_30default_config_static_selectorELNS0_4arch9wavefront6targetE1EEEvT1_,comdat
	.protected	_ZN7rocprim17ROCPRIM_400000_NS6detail17trampoline_kernelINS0_14default_configENS1_25partition_config_selectorILNS1_17partition_subalgoE0EtNS0_10empty_typeEbEEZZNS1_14partition_implILS5_0ELb0ES3_jN6thrust23THRUST_200600_302600_NS6detail15normal_iteratorINSA_10device_ptrItEEEEPS6_SG_NS0_5tupleIJSF_NSA_16discard_iteratorINSA_11use_defaultEEEEEENSH_IJSG_SG_EEES6_PlJ7is_evenItEEEE10hipError_tPvRmT3_T4_T5_T6_T7_T9_mT8_P12ihipStream_tbDpT10_ENKUlT_T0_E_clISt17integral_constantIbLb1EES19_EEDaS14_S15_EUlS14_E_NS1_11comp_targetILNS1_3genE5ELNS1_11target_archE942ELNS1_3gpuE9ELNS1_3repE0EEENS1_30default_config_static_selectorELNS0_4arch9wavefront6targetE1EEEvT1_ ; -- Begin function _ZN7rocprim17ROCPRIM_400000_NS6detail17trampoline_kernelINS0_14default_configENS1_25partition_config_selectorILNS1_17partition_subalgoE0EtNS0_10empty_typeEbEEZZNS1_14partition_implILS5_0ELb0ES3_jN6thrust23THRUST_200600_302600_NS6detail15normal_iteratorINSA_10device_ptrItEEEEPS6_SG_NS0_5tupleIJSF_NSA_16discard_iteratorINSA_11use_defaultEEEEEENSH_IJSG_SG_EEES6_PlJ7is_evenItEEEE10hipError_tPvRmT3_T4_T5_T6_T7_T9_mT8_P12ihipStream_tbDpT10_ENKUlT_T0_E_clISt17integral_constantIbLb1EES19_EEDaS14_S15_EUlS14_E_NS1_11comp_targetILNS1_3genE5ELNS1_11target_archE942ELNS1_3gpuE9ELNS1_3repE0EEENS1_30default_config_static_selectorELNS0_4arch9wavefront6targetE1EEEvT1_
	.globl	_ZN7rocprim17ROCPRIM_400000_NS6detail17trampoline_kernelINS0_14default_configENS1_25partition_config_selectorILNS1_17partition_subalgoE0EtNS0_10empty_typeEbEEZZNS1_14partition_implILS5_0ELb0ES3_jN6thrust23THRUST_200600_302600_NS6detail15normal_iteratorINSA_10device_ptrItEEEEPS6_SG_NS0_5tupleIJSF_NSA_16discard_iteratorINSA_11use_defaultEEEEEENSH_IJSG_SG_EEES6_PlJ7is_evenItEEEE10hipError_tPvRmT3_T4_T5_T6_T7_T9_mT8_P12ihipStream_tbDpT10_ENKUlT_T0_E_clISt17integral_constantIbLb1EES19_EEDaS14_S15_EUlS14_E_NS1_11comp_targetILNS1_3genE5ELNS1_11target_archE942ELNS1_3gpuE9ELNS1_3repE0EEENS1_30default_config_static_selectorELNS0_4arch9wavefront6targetE1EEEvT1_
	.p2align	8
	.type	_ZN7rocprim17ROCPRIM_400000_NS6detail17trampoline_kernelINS0_14default_configENS1_25partition_config_selectorILNS1_17partition_subalgoE0EtNS0_10empty_typeEbEEZZNS1_14partition_implILS5_0ELb0ES3_jN6thrust23THRUST_200600_302600_NS6detail15normal_iteratorINSA_10device_ptrItEEEEPS6_SG_NS0_5tupleIJSF_NSA_16discard_iteratorINSA_11use_defaultEEEEEENSH_IJSG_SG_EEES6_PlJ7is_evenItEEEE10hipError_tPvRmT3_T4_T5_T6_T7_T9_mT8_P12ihipStream_tbDpT10_ENKUlT_T0_E_clISt17integral_constantIbLb1EES19_EEDaS14_S15_EUlS14_E_NS1_11comp_targetILNS1_3genE5ELNS1_11target_archE942ELNS1_3gpuE9ELNS1_3repE0EEENS1_30default_config_static_selectorELNS0_4arch9wavefront6targetE1EEEvT1_,@function
_ZN7rocprim17ROCPRIM_400000_NS6detail17trampoline_kernelINS0_14default_configENS1_25partition_config_selectorILNS1_17partition_subalgoE0EtNS0_10empty_typeEbEEZZNS1_14partition_implILS5_0ELb0ES3_jN6thrust23THRUST_200600_302600_NS6detail15normal_iteratorINSA_10device_ptrItEEEEPS6_SG_NS0_5tupleIJSF_NSA_16discard_iteratorINSA_11use_defaultEEEEEENSH_IJSG_SG_EEES6_PlJ7is_evenItEEEE10hipError_tPvRmT3_T4_T5_T6_T7_T9_mT8_P12ihipStream_tbDpT10_ENKUlT_T0_E_clISt17integral_constantIbLb1EES19_EEDaS14_S15_EUlS14_E_NS1_11comp_targetILNS1_3genE5ELNS1_11target_archE942ELNS1_3gpuE9ELNS1_3repE0EEENS1_30default_config_static_selectorELNS0_4arch9wavefront6targetE1EEEvT1_: ; @_ZN7rocprim17ROCPRIM_400000_NS6detail17trampoline_kernelINS0_14default_configENS1_25partition_config_selectorILNS1_17partition_subalgoE0EtNS0_10empty_typeEbEEZZNS1_14partition_implILS5_0ELb0ES3_jN6thrust23THRUST_200600_302600_NS6detail15normal_iteratorINSA_10device_ptrItEEEEPS6_SG_NS0_5tupleIJSF_NSA_16discard_iteratorINSA_11use_defaultEEEEEENSH_IJSG_SG_EEES6_PlJ7is_evenItEEEE10hipError_tPvRmT3_T4_T5_T6_T7_T9_mT8_P12ihipStream_tbDpT10_ENKUlT_T0_E_clISt17integral_constantIbLb1EES19_EEDaS14_S15_EUlS14_E_NS1_11comp_targetILNS1_3genE5ELNS1_11target_archE942ELNS1_3gpuE9ELNS1_3repE0EEENS1_30default_config_static_selectorELNS0_4arch9wavefront6targetE1EEEvT1_
; %bb.0:
	.section	.rodata,"a",@progbits
	.p2align	6, 0x0
	.amdhsa_kernel _ZN7rocprim17ROCPRIM_400000_NS6detail17trampoline_kernelINS0_14default_configENS1_25partition_config_selectorILNS1_17partition_subalgoE0EtNS0_10empty_typeEbEEZZNS1_14partition_implILS5_0ELb0ES3_jN6thrust23THRUST_200600_302600_NS6detail15normal_iteratorINSA_10device_ptrItEEEEPS6_SG_NS0_5tupleIJSF_NSA_16discard_iteratorINSA_11use_defaultEEEEEENSH_IJSG_SG_EEES6_PlJ7is_evenItEEEE10hipError_tPvRmT3_T4_T5_T6_T7_T9_mT8_P12ihipStream_tbDpT10_ENKUlT_T0_E_clISt17integral_constantIbLb1EES19_EEDaS14_S15_EUlS14_E_NS1_11comp_targetILNS1_3genE5ELNS1_11target_archE942ELNS1_3gpuE9ELNS1_3repE0EEENS1_30default_config_static_selectorELNS0_4arch9wavefront6targetE1EEEvT1_
		.amdhsa_group_segment_fixed_size 0
		.amdhsa_private_segment_fixed_size 0
		.amdhsa_kernarg_size 144
		.amdhsa_user_sgpr_count 6
		.amdhsa_user_sgpr_private_segment_buffer 1
		.amdhsa_user_sgpr_dispatch_ptr 0
		.amdhsa_user_sgpr_queue_ptr 0
		.amdhsa_user_sgpr_kernarg_segment_ptr 1
		.amdhsa_user_sgpr_dispatch_id 0
		.amdhsa_user_sgpr_flat_scratch_init 0
		.amdhsa_user_sgpr_kernarg_preload_length 0
		.amdhsa_user_sgpr_kernarg_preload_offset 0
		.amdhsa_user_sgpr_private_segment_size 0
		.amdhsa_uses_dynamic_stack 0
		.amdhsa_system_sgpr_private_segment_wavefront_offset 0
		.amdhsa_system_sgpr_workgroup_id_x 1
		.amdhsa_system_sgpr_workgroup_id_y 0
		.amdhsa_system_sgpr_workgroup_id_z 0
		.amdhsa_system_sgpr_workgroup_info 0
		.amdhsa_system_vgpr_workitem_id 0
		.amdhsa_next_free_vgpr 1
		.amdhsa_next_free_sgpr 0
		.amdhsa_accum_offset 4
		.amdhsa_reserve_vcc 0
		.amdhsa_reserve_flat_scratch 0
		.amdhsa_float_round_mode_32 0
		.amdhsa_float_round_mode_16_64 0
		.amdhsa_float_denorm_mode_32 3
		.amdhsa_float_denorm_mode_16_64 3
		.amdhsa_dx10_clamp 1
		.amdhsa_ieee_mode 1
		.amdhsa_fp16_overflow 0
		.amdhsa_tg_split 0
		.amdhsa_exception_fp_ieee_invalid_op 0
		.amdhsa_exception_fp_denorm_src 0
		.amdhsa_exception_fp_ieee_div_zero 0
		.amdhsa_exception_fp_ieee_overflow 0
		.amdhsa_exception_fp_ieee_underflow 0
		.amdhsa_exception_fp_ieee_inexact 0
		.amdhsa_exception_int_div_zero 0
	.end_amdhsa_kernel
	.section	.text._ZN7rocprim17ROCPRIM_400000_NS6detail17trampoline_kernelINS0_14default_configENS1_25partition_config_selectorILNS1_17partition_subalgoE0EtNS0_10empty_typeEbEEZZNS1_14partition_implILS5_0ELb0ES3_jN6thrust23THRUST_200600_302600_NS6detail15normal_iteratorINSA_10device_ptrItEEEEPS6_SG_NS0_5tupleIJSF_NSA_16discard_iteratorINSA_11use_defaultEEEEEENSH_IJSG_SG_EEES6_PlJ7is_evenItEEEE10hipError_tPvRmT3_T4_T5_T6_T7_T9_mT8_P12ihipStream_tbDpT10_ENKUlT_T0_E_clISt17integral_constantIbLb1EES19_EEDaS14_S15_EUlS14_E_NS1_11comp_targetILNS1_3genE5ELNS1_11target_archE942ELNS1_3gpuE9ELNS1_3repE0EEENS1_30default_config_static_selectorELNS0_4arch9wavefront6targetE1EEEvT1_,"axG",@progbits,_ZN7rocprim17ROCPRIM_400000_NS6detail17trampoline_kernelINS0_14default_configENS1_25partition_config_selectorILNS1_17partition_subalgoE0EtNS0_10empty_typeEbEEZZNS1_14partition_implILS5_0ELb0ES3_jN6thrust23THRUST_200600_302600_NS6detail15normal_iteratorINSA_10device_ptrItEEEEPS6_SG_NS0_5tupleIJSF_NSA_16discard_iteratorINSA_11use_defaultEEEEEENSH_IJSG_SG_EEES6_PlJ7is_evenItEEEE10hipError_tPvRmT3_T4_T5_T6_T7_T9_mT8_P12ihipStream_tbDpT10_ENKUlT_T0_E_clISt17integral_constantIbLb1EES19_EEDaS14_S15_EUlS14_E_NS1_11comp_targetILNS1_3genE5ELNS1_11target_archE942ELNS1_3gpuE9ELNS1_3repE0EEENS1_30default_config_static_selectorELNS0_4arch9wavefront6targetE1EEEvT1_,comdat
.Lfunc_end2532:
	.size	_ZN7rocprim17ROCPRIM_400000_NS6detail17trampoline_kernelINS0_14default_configENS1_25partition_config_selectorILNS1_17partition_subalgoE0EtNS0_10empty_typeEbEEZZNS1_14partition_implILS5_0ELb0ES3_jN6thrust23THRUST_200600_302600_NS6detail15normal_iteratorINSA_10device_ptrItEEEEPS6_SG_NS0_5tupleIJSF_NSA_16discard_iteratorINSA_11use_defaultEEEEEENSH_IJSG_SG_EEES6_PlJ7is_evenItEEEE10hipError_tPvRmT3_T4_T5_T6_T7_T9_mT8_P12ihipStream_tbDpT10_ENKUlT_T0_E_clISt17integral_constantIbLb1EES19_EEDaS14_S15_EUlS14_E_NS1_11comp_targetILNS1_3genE5ELNS1_11target_archE942ELNS1_3gpuE9ELNS1_3repE0EEENS1_30default_config_static_selectorELNS0_4arch9wavefront6targetE1EEEvT1_, .Lfunc_end2532-_ZN7rocprim17ROCPRIM_400000_NS6detail17trampoline_kernelINS0_14default_configENS1_25partition_config_selectorILNS1_17partition_subalgoE0EtNS0_10empty_typeEbEEZZNS1_14partition_implILS5_0ELb0ES3_jN6thrust23THRUST_200600_302600_NS6detail15normal_iteratorINSA_10device_ptrItEEEEPS6_SG_NS0_5tupleIJSF_NSA_16discard_iteratorINSA_11use_defaultEEEEEENSH_IJSG_SG_EEES6_PlJ7is_evenItEEEE10hipError_tPvRmT3_T4_T5_T6_T7_T9_mT8_P12ihipStream_tbDpT10_ENKUlT_T0_E_clISt17integral_constantIbLb1EES19_EEDaS14_S15_EUlS14_E_NS1_11comp_targetILNS1_3genE5ELNS1_11target_archE942ELNS1_3gpuE9ELNS1_3repE0EEENS1_30default_config_static_selectorELNS0_4arch9wavefront6targetE1EEEvT1_
                                        ; -- End function
	.section	.AMDGPU.csdata,"",@progbits
; Kernel info:
; codeLenInByte = 0
; NumSgprs: 4
; NumVgprs: 0
; NumAgprs: 0
; TotalNumVgprs: 0
; ScratchSize: 0
; MemoryBound: 0
; FloatMode: 240
; IeeeMode: 1
; LDSByteSize: 0 bytes/workgroup (compile time only)
; SGPRBlocks: 0
; VGPRBlocks: 0
; NumSGPRsForWavesPerEU: 4
; NumVGPRsForWavesPerEU: 1
; AccumOffset: 4
; Occupancy: 8
; WaveLimiterHint : 0
; COMPUTE_PGM_RSRC2:SCRATCH_EN: 0
; COMPUTE_PGM_RSRC2:USER_SGPR: 6
; COMPUTE_PGM_RSRC2:TRAP_HANDLER: 0
; COMPUTE_PGM_RSRC2:TGID_X_EN: 1
; COMPUTE_PGM_RSRC2:TGID_Y_EN: 0
; COMPUTE_PGM_RSRC2:TGID_Z_EN: 0
; COMPUTE_PGM_RSRC2:TIDIG_COMP_CNT: 0
; COMPUTE_PGM_RSRC3_GFX90A:ACCUM_OFFSET: 0
; COMPUTE_PGM_RSRC3_GFX90A:TG_SPLIT: 0
	.section	.text._ZN7rocprim17ROCPRIM_400000_NS6detail17trampoline_kernelINS0_14default_configENS1_25partition_config_selectorILNS1_17partition_subalgoE0EtNS0_10empty_typeEbEEZZNS1_14partition_implILS5_0ELb0ES3_jN6thrust23THRUST_200600_302600_NS6detail15normal_iteratorINSA_10device_ptrItEEEEPS6_SG_NS0_5tupleIJSF_NSA_16discard_iteratorINSA_11use_defaultEEEEEENSH_IJSG_SG_EEES6_PlJ7is_evenItEEEE10hipError_tPvRmT3_T4_T5_T6_T7_T9_mT8_P12ihipStream_tbDpT10_ENKUlT_T0_E_clISt17integral_constantIbLb1EES19_EEDaS14_S15_EUlS14_E_NS1_11comp_targetILNS1_3genE4ELNS1_11target_archE910ELNS1_3gpuE8ELNS1_3repE0EEENS1_30default_config_static_selectorELNS0_4arch9wavefront6targetE1EEEvT1_,"axG",@progbits,_ZN7rocprim17ROCPRIM_400000_NS6detail17trampoline_kernelINS0_14default_configENS1_25partition_config_selectorILNS1_17partition_subalgoE0EtNS0_10empty_typeEbEEZZNS1_14partition_implILS5_0ELb0ES3_jN6thrust23THRUST_200600_302600_NS6detail15normal_iteratorINSA_10device_ptrItEEEEPS6_SG_NS0_5tupleIJSF_NSA_16discard_iteratorINSA_11use_defaultEEEEEENSH_IJSG_SG_EEES6_PlJ7is_evenItEEEE10hipError_tPvRmT3_T4_T5_T6_T7_T9_mT8_P12ihipStream_tbDpT10_ENKUlT_T0_E_clISt17integral_constantIbLb1EES19_EEDaS14_S15_EUlS14_E_NS1_11comp_targetILNS1_3genE4ELNS1_11target_archE910ELNS1_3gpuE8ELNS1_3repE0EEENS1_30default_config_static_selectorELNS0_4arch9wavefront6targetE1EEEvT1_,comdat
	.protected	_ZN7rocprim17ROCPRIM_400000_NS6detail17trampoline_kernelINS0_14default_configENS1_25partition_config_selectorILNS1_17partition_subalgoE0EtNS0_10empty_typeEbEEZZNS1_14partition_implILS5_0ELb0ES3_jN6thrust23THRUST_200600_302600_NS6detail15normal_iteratorINSA_10device_ptrItEEEEPS6_SG_NS0_5tupleIJSF_NSA_16discard_iteratorINSA_11use_defaultEEEEEENSH_IJSG_SG_EEES6_PlJ7is_evenItEEEE10hipError_tPvRmT3_T4_T5_T6_T7_T9_mT8_P12ihipStream_tbDpT10_ENKUlT_T0_E_clISt17integral_constantIbLb1EES19_EEDaS14_S15_EUlS14_E_NS1_11comp_targetILNS1_3genE4ELNS1_11target_archE910ELNS1_3gpuE8ELNS1_3repE0EEENS1_30default_config_static_selectorELNS0_4arch9wavefront6targetE1EEEvT1_ ; -- Begin function _ZN7rocprim17ROCPRIM_400000_NS6detail17trampoline_kernelINS0_14default_configENS1_25partition_config_selectorILNS1_17partition_subalgoE0EtNS0_10empty_typeEbEEZZNS1_14partition_implILS5_0ELb0ES3_jN6thrust23THRUST_200600_302600_NS6detail15normal_iteratorINSA_10device_ptrItEEEEPS6_SG_NS0_5tupleIJSF_NSA_16discard_iteratorINSA_11use_defaultEEEEEENSH_IJSG_SG_EEES6_PlJ7is_evenItEEEE10hipError_tPvRmT3_T4_T5_T6_T7_T9_mT8_P12ihipStream_tbDpT10_ENKUlT_T0_E_clISt17integral_constantIbLb1EES19_EEDaS14_S15_EUlS14_E_NS1_11comp_targetILNS1_3genE4ELNS1_11target_archE910ELNS1_3gpuE8ELNS1_3repE0EEENS1_30default_config_static_selectorELNS0_4arch9wavefront6targetE1EEEvT1_
	.globl	_ZN7rocprim17ROCPRIM_400000_NS6detail17trampoline_kernelINS0_14default_configENS1_25partition_config_selectorILNS1_17partition_subalgoE0EtNS0_10empty_typeEbEEZZNS1_14partition_implILS5_0ELb0ES3_jN6thrust23THRUST_200600_302600_NS6detail15normal_iteratorINSA_10device_ptrItEEEEPS6_SG_NS0_5tupleIJSF_NSA_16discard_iteratorINSA_11use_defaultEEEEEENSH_IJSG_SG_EEES6_PlJ7is_evenItEEEE10hipError_tPvRmT3_T4_T5_T6_T7_T9_mT8_P12ihipStream_tbDpT10_ENKUlT_T0_E_clISt17integral_constantIbLb1EES19_EEDaS14_S15_EUlS14_E_NS1_11comp_targetILNS1_3genE4ELNS1_11target_archE910ELNS1_3gpuE8ELNS1_3repE0EEENS1_30default_config_static_selectorELNS0_4arch9wavefront6targetE1EEEvT1_
	.p2align	8
	.type	_ZN7rocprim17ROCPRIM_400000_NS6detail17trampoline_kernelINS0_14default_configENS1_25partition_config_selectorILNS1_17partition_subalgoE0EtNS0_10empty_typeEbEEZZNS1_14partition_implILS5_0ELb0ES3_jN6thrust23THRUST_200600_302600_NS6detail15normal_iteratorINSA_10device_ptrItEEEEPS6_SG_NS0_5tupleIJSF_NSA_16discard_iteratorINSA_11use_defaultEEEEEENSH_IJSG_SG_EEES6_PlJ7is_evenItEEEE10hipError_tPvRmT3_T4_T5_T6_T7_T9_mT8_P12ihipStream_tbDpT10_ENKUlT_T0_E_clISt17integral_constantIbLb1EES19_EEDaS14_S15_EUlS14_E_NS1_11comp_targetILNS1_3genE4ELNS1_11target_archE910ELNS1_3gpuE8ELNS1_3repE0EEENS1_30default_config_static_selectorELNS0_4arch9wavefront6targetE1EEEvT1_,@function
_ZN7rocprim17ROCPRIM_400000_NS6detail17trampoline_kernelINS0_14default_configENS1_25partition_config_selectorILNS1_17partition_subalgoE0EtNS0_10empty_typeEbEEZZNS1_14partition_implILS5_0ELb0ES3_jN6thrust23THRUST_200600_302600_NS6detail15normal_iteratorINSA_10device_ptrItEEEEPS6_SG_NS0_5tupleIJSF_NSA_16discard_iteratorINSA_11use_defaultEEEEEENSH_IJSG_SG_EEES6_PlJ7is_evenItEEEE10hipError_tPvRmT3_T4_T5_T6_T7_T9_mT8_P12ihipStream_tbDpT10_ENKUlT_T0_E_clISt17integral_constantIbLb1EES19_EEDaS14_S15_EUlS14_E_NS1_11comp_targetILNS1_3genE4ELNS1_11target_archE910ELNS1_3gpuE8ELNS1_3repE0EEENS1_30default_config_static_selectorELNS0_4arch9wavefront6targetE1EEEvT1_: ; @_ZN7rocprim17ROCPRIM_400000_NS6detail17trampoline_kernelINS0_14default_configENS1_25partition_config_selectorILNS1_17partition_subalgoE0EtNS0_10empty_typeEbEEZZNS1_14partition_implILS5_0ELb0ES3_jN6thrust23THRUST_200600_302600_NS6detail15normal_iteratorINSA_10device_ptrItEEEEPS6_SG_NS0_5tupleIJSF_NSA_16discard_iteratorINSA_11use_defaultEEEEEENSH_IJSG_SG_EEES6_PlJ7is_evenItEEEE10hipError_tPvRmT3_T4_T5_T6_T7_T9_mT8_P12ihipStream_tbDpT10_ENKUlT_T0_E_clISt17integral_constantIbLb1EES19_EEDaS14_S15_EUlS14_E_NS1_11comp_targetILNS1_3genE4ELNS1_11target_archE910ELNS1_3gpuE8ELNS1_3repE0EEENS1_30default_config_static_selectorELNS0_4arch9wavefront6targetE1EEEvT1_
; %bb.0:
	s_load_dwordx2 s[24:25], s[4:5], 0x28
	s_load_dwordx4 s[20:23], s[4:5], 0x50
	s_load_dwordx2 s[2:3], s[4:5], 0x60
	s_load_dwordx2 s[26:27], s[4:5], 0x70
	v_cmp_eq_u32_e64 s[0:1], 0, v0
	s_and_saveexec_b64 s[6:7], s[0:1]
	s_cbranch_execz .LBB2533_4
; %bb.1:
	s_mov_b64 s[10:11], exec
	v_mbcnt_lo_u32_b32 v1, s10, 0
	v_mbcnt_hi_u32_b32 v1, s11, v1
	v_cmp_eq_u32_e32 vcc, 0, v1
                                        ; implicit-def: $vgpr2
	s_and_saveexec_b64 s[8:9], vcc
	s_cbranch_execz .LBB2533_3
; %bb.2:
	s_load_dwordx2 s[12:13], s[4:5], 0x80
	s_bcnt1_i32_b64 s10, s[10:11]
	v_mov_b32_e32 v2, 0
	v_mov_b32_e32 v3, s10
	s_waitcnt lgkmcnt(0)
	global_atomic_add v2, v2, v3, s[12:13] glc
.LBB2533_3:
	s_or_b64 exec, exec, s[8:9]
	s_waitcnt vmcnt(0)
	v_readfirstlane_b32 s8, v2
	v_add_u32_e32 v1, s8, v1
	v_mov_b32_e32 v2, 0
	ds_write_b32 v2, v1
.LBB2533_4:
	s_or_b64 exec, exec, s[6:7]
	v_mov_b32_e32 v3, 0
	s_load_dwordx4 s[8:11], s[4:5], 0x8
	s_load_dword s6, s[4:5], 0x78
	s_waitcnt lgkmcnt(0)
	s_barrier
	ds_read_b32 v1, v3
	s_waitcnt lgkmcnt(0)
	s_barrier
	global_load_dwordx2 v[14:15], v3, s[22:23]
	v_mov_b32_e32 v5, s3
	s_lshl_b64 s[4:5], s[10:11], 1
	s_movk_i32 s3, 0x1c00
	s_add_u32 s7, s8, s4
	v_mul_lo_u32 v2, v1, s3
	s_mul_i32 s3, s6, 0x1c00
	s_addc_u32 s8, s9, s5
	s_add_i32 s5, s3, s10
	s_add_i32 s4, s6, -1
	s_sub_i32 s33, s2, s5
	v_mov_b32_e32 v4, s2
	s_add_u32 s2, s10, s3
	v_readfirstlane_b32 s36, v1
	s_addc_u32 s3, s11, 0
	s_cmp_eq_u32 s36, s4
	s_cselect_b64 s[22:23], -1, 0
	s_cmp_lg_u32 s36, s4
	v_cmp_lt_u64_e32 vcc, s[2:3], v[4:5]
	s_cselect_b64 s[2:3], -1, 0
	v_lshlrev_b64 v[2:3], 1, v[2:3]
	s_or_b64 s[4:5], vcc, s[2:3]
	v_mov_b32_e32 v1, s8
	v_add_co_u32_e32 v2, vcc, s7, v2
	v_addc_co_u32_e32 v3, vcc, v1, v3, vcc
	s_mov_b64 s[2:3], -1
	s_and_b64 vcc, exec, s[4:5]
	v_lshlrev_b32_e32 v1, 1, v0
	s_cbranch_vccz .LBB2533_6
; %bb.5:
	v_add_co_u32_e32 v4, vcc, v2, v1
	v_addc_co_u32_e32 v5, vcc, 0, v3, vcc
	v_add_co_u32_e32 v6, vcc, 0x1000, v4
	v_addc_co_u32_e32 v7, vcc, 0, v5, vcc
	flat_load_ushort v8, v[4:5]
	flat_load_ushort v9, v[4:5] offset:512
	flat_load_ushort v10, v[4:5] offset:1024
	;; [unrolled: 1-line block ×7, first 2 shown]
	flat_load_ushort v18, v[6:7]
	flat_load_ushort v19, v[6:7] offset:512
	flat_load_ushort v20, v[6:7] offset:1024
	;; [unrolled: 1-line block ×7, first 2 shown]
	v_add_co_u32_e32 v6, vcc, 0x2000, v4
	v_addc_co_u32_e32 v7, vcc, 0, v5, vcc
	v_add_co_u32_e32 v4, vcc, 0x3000, v4
	v_addc_co_u32_e32 v5, vcc, 0, v5, vcc
	flat_load_ushort v26, v[6:7]
	flat_load_ushort v27, v[6:7] offset:512
	flat_load_ushort v28, v[6:7] offset:1024
	;; [unrolled: 1-line block ×7, first 2 shown]
	s_nop 0
	flat_load_ushort v6, v[4:5]
	flat_load_ushort v7, v[4:5] offset:512
	flat_load_ushort v34, v[4:5] offset:1024
	;; [unrolled: 1-line block ×3, first 2 shown]
	s_mov_b64 s[2:3], 0
	s_waitcnt vmcnt(0) lgkmcnt(0)
	ds_write_b16 v1, v8
	ds_write_b16 v1, v9 offset:512
	ds_write_b16 v1, v10 offset:1024
	;; [unrolled: 1-line block ×27, first 2 shown]
	s_waitcnt lgkmcnt(0)
	s_barrier
.LBB2533_6:
	s_andn2_b64 vcc, exec, s[2:3]
	s_addk_i32 s33, 0x1c00
	s_cbranch_vccnz .LBB2533_64
; %bb.7:
	v_cmp_gt_u32_e32 vcc, s33, v0
                                        ; implicit-def: $vgpr4
	s_and_saveexec_b64 s[2:3], vcc
	s_cbranch_execz .LBB2533_9
; %bb.8:
	v_add_co_u32_e32 v4, vcc, v2, v1
	v_addc_co_u32_e32 v5, vcc, 0, v3, vcc
	flat_load_ushort v4, v[4:5]
.LBB2533_9:
	s_or_b64 exec, exec, s[2:3]
	v_or_b32_e32 v5, 0x100, v0
	v_cmp_gt_u32_e32 vcc, s33, v5
                                        ; implicit-def: $vgpr5
	s_and_saveexec_b64 s[2:3], vcc
	s_cbranch_execz .LBB2533_11
; %bb.10:
	v_add_co_u32_e32 v6, vcc, v2, v1
	v_addc_co_u32_e32 v7, vcc, 0, v3, vcc
	flat_load_ushort v5, v[6:7] offset:512
.LBB2533_11:
	s_or_b64 exec, exec, s[2:3]
	v_or_b32_e32 v6, 0x200, v0
	v_cmp_gt_u32_e32 vcc, s33, v6
                                        ; implicit-def: $vgpr6
	s_and_saveexec_b64 s[2:3], vcc
	s_cbranch_execz .LBB2533_13
; %bb.12:
	v_add_co_u32_e32 v6, vcc, v2, v1
	v_addc_co_u32_e32 v7, vcc, 0, v3, vcc
	flat_load_ushort v6, v[6:7] offset:1024
.LBB2533_13:
	s_or_b64 exec, exec, s[2:3]
	v_or_b32_e32 v7, 0x300, v0
	v_cmp_gt_u32_e32 vcc, s33, v7
                                        ; implicit-def: $vgpr7
	s_and_saveexec_b64 s[2:3], vcc
	s_cbranch_execz .LBB2533_15
; %bb.14:
	v_add_co_u32_e32 v8, vcc, v2, v1
	v_addc_co_u32_e32 v9, vcc, 0, v3, vcc
	flat_load_ushort v7, v[8:9] offset:1536
.LBB2533_15:
	s_or_b64 exec, exec, s[2:3]
	v_or_b32_e32 v8, 0x400, v0
	v_cmp_gt_u32_e32 vcc, s33, v8
                                        ; implicit-def: $vgpr8
	s_and_saveexec_b64 s[2:3], vcc
	s_cbranch_execz .LBB2533_17
; %bb.16:
	v_add_co_u32_e32 v8, vcc, v2, v1
	v_addc_co_u32_e32 v9, vcc, 0, v3, vcc
	flat_load_ushort v8, v[8:9] offset:2048
.LBB2533_17:
	s_or_b64 exec, exec, s[2:3]
	v_or_b32_e32 v9, 0x500, v0
	v_cmp_gt_u32_e32 vcc, s33, v9
                                        ; implicit-def: $vgpr9
	s_and_saveexec_b64 s[2:3], vcc
	s_cbranch_execz .LBB2533_19
; %bb.18:
	v_add_co_u32_e32 v10, vcc, v2, v1
	v_addc_co_u32_e32 v11, vcc, 0, v3, vcc
	flat_load_ushort v9, v[10:11] offset:2560
.LBB2533_19:
	s_or_b64 exec, exec, s[2:3]
	v_or_b32_e32 v10, 0x600, v0
	v_cmp_gt_u32_e32 vcc, s33, v10
                                        ; implicit-def: $vgpr10
	s_and_saveexec_b64 s[2:3], vcc
	s_cbranch_execz .LBB2533_21
; %bb.20:
	v_add_co_u32_e32 v10, vcc, v2, v1
	v_addc_co_u32_e32 v11, vcc, 0, v3, vcc
	flat_load_ushort v10, v[10:11] offset:3072
.LBB2533_21:
	s_or_b64 exec, exec, s[2:3]
	v_or_b32_e32 v11, 0x700, v0
	v_cmp_gt_u32_e32 vcc, s33, v11
                                        ; implicit-def: $vgpr11
	s_and_saveexec_b64 s[2:3], vcc
	s_cbranch_execz .LBB2533_23
; %bb.22:
	v_add_co_u32_e32 v12, vcc, v2, v1
	v_addc_co_u32_e32 v13, vcc, 0, v3, vcc
	flat_load_ushort v11, v[12:13] offset:3584
.LBB2533_23:
	s_or_b64 exec, exec, s[2:3]
	v_or_b32_e32 v13, 0x800, v0
	v_cmp_gt_u32_e32 vcc, s33, v13
                                        ; implicit-def: $vgpr12
	s_and_saveexec_b64 s[2:3], vcc
	s_cbranch_execz .LBB2533_25
; %bb.24:
	v_lshlrev_b32_e32 v12, 1, v13
	v_add_co_u32_e32 v12, vcc, v2, v12
	v_addc_co_u32_e32 v13, vcc, 0, v3, vcc
	flat_load_ushort v12, v[12:13]
.LBB2533_25:
	s_or_b64 exec, exec, s[2:3]
	v_or_b32_e32 v16, 0x900, v0
	v_cmp_gt_u32_e32 vcc, s33, v16
                                        ; implicit-def: $vgpr13
	s_and_saveexec_b64 s[2:3], vcc
	s_cbranch_execz .LBB2533_27
; %bb.26:
	v_lshlrev_b32_e32 v13, 1, v16
	v_add_co_u32_e32 v16, vcc, v2, v13
	v_addc_co_u32_e32 v17, vcc, 0, v3, vcc
	flat_load_ushort v13, v[16:17]
.LBB2533_27:
	s_or_b64 exec, exec, s[2:3]
	v_or_b32_e32 v17, 0xa00, v0
	v_cmp_gt_u32_e32 vcc, s33, v17
                                        ; implicit-def: $vgpr16
	s_and_saveexec_b64 s[2:3], vcc
	s_cbranch_execz .LBB2533_29
; %bb.28:
	v_lshlrev_b32_e32 v16, 1, v17
	v_add_co_u32_e32 v16, vcc, v2, v16
	v_addc_co_u32_e32 v17, vcc, 0, v3, vcc
	flat_load_ushort v16, v[16:17]
.LBB2533_29:
	s_or_b64 exec, exec, s[2:3]
	v_or_b32_e32 v18, 0xb00, v0
	v_cmp_gt_u32_e32 vcc, s33, v18
                                        ; implicit-def: $vgpr17
	s_and_saveexec_b64 s[2:3], vcc
	s_cbranch_execz .LBB2533_31
; %bb.30:
	v_lshlrev_b32_e32 v17, 1, v18
	v_add_co_u32_e32 v18, vcc, v2, v17
	v_addc_co_u32_e32 v19, vcc, 0, v3, vcc
	flat_load_ushort v17, v[18:19]
.LBB2533_31:
	s_or_b64 exec, exec, s[2:3]
	v_or_b32_e32 v19, 0xc00, v0
	v_cmp_gt_u32_e32 vcc, s33, v19
                                        ; implicit-def: $vgpr18
	s_and_saveexec_b64 s[2:3], vcc
	s_cbranch_execz .LBB2533_33
; %bb.32:
	v_lshlrev_b32_e32 v18, 1, v19
	v_add_co_u32_e32 v18, vcc, v2, v18
	v_addc_co_u32_e32 v19, vcc, 0, v3, vcc
	flat_load_ushort v18, v[18:19]
.LBB2533_33:
	s_or_b64 exec, exec, s[2:3]
	v_or_b32_e32 v20, 0xd00, v0
	v_cmp_gt_u32_e32 vcc, s33, v20
                                        ; implicit-def: $vgpr19
	s_and_saveexec_b64 s[2:3], vcc
	s_cbranch_execz .LBB2533_35
; %bb.34:
	v_lshlrev_b32_e32 v19, 1, v20
	v_add_co_u32_e32 v20, vcc, v2, v19
	v_addc_co_u32_e32 v21, vcc, 0, v3, vcc
	flat_load_ushort v19, v[20:21]
.LBB2533_35:
	s_or_b64 exec, exec, s[2:3]
	v_or_b32_e32 v21, 0xe00, v0
	v_cmp_gt_u32_e32 vcc, s33, v21
                                        ; implicit-def: $vgpr20
	s_and_saveexec_b64 s[2:3], vcc
	s_cbranch_execz .LBB2533_37
; %bb.36:
	v_lshlrev_b32_e32 v20, 1, v21
	v_add_co_u32_e32 v20, vcc, v2, v20
	v_addc_co_u32_e32 v21, vcc, 0, v3, vcc
	flat_load_ushort v20, v[20:21]
.LBB2533_37:
	s_or_b64 exec, exec, s[2:3]
	v_or_b32_e32 v22, 0xf00, v0
	v_cmp_gt_u32_e32 vcc, s33, v22
                                        ; implicit-def: $vgpr21
	s_and_saveexec_b64 s[2:3], vcc
	s_cbranch_execz .LBB2533_39
; %bb.38:
	v_lshlrev_b32_e32 v21, 1, v22
	v_add_co_u32_e32 v22, vcc, v2, v21
	v_addc_co_u32_e32 v23, vcc, 0, v3, vcc
	flat_load_ushort v21, v[22:23]
.LBB2533_39:
	s_or_b64 exec, exec, s[2:3]
	v_or_b32_e32 v23, 0x1000, v0
	v_cmp_gt_u32_e32 vcc, s33, v23
                                        ; implicit-def: $vgpr22
	s_and_saveexec_b64 s[2:3], vcc
	s_cbranch_execz .LBB2533_41
; %bb.40:
	v_lshlrev_b32_e32 v22, 1, v23
	v_add_co_u32_e32 v22, vcc, v2, v22
	v_addc_co_u32_e32 v23, vcc, 0, v3, vcc
	flat_load_ushort v22, v[22:23]
.LBB2533_41:
	s_or_b64 exec, exec, s[2:3]
	v_or_b32_e32 v24, 0x1100, v0
	v_cmp_gt_u32_e32 vcc, s33, v24
                                        ; implicit-def: $vgpr23
	s_and_saveexec_b64 s[2:3], vcc
	s_cbranch_execz .LBB2533_43
; %bb.42:
	v_lshlrev_b32_e32 v23, 1, v24
	v_add_co_u32_e32 v24, vcc, v2, v23
	v_addc_co_u32_e32 v25, vcc, 0, v3, vcc
	flat_load_ushort v23, v[24:25]
.LBB2533_43:
	s_or_b64 exec, exec, s[2:3]
	v_or_b32_e32 v25, 0x1200, v0
	v_cmp_gt_u32_e32 vcc, s33, v25
                                        ; implicit-def: $vgpr24
	s_and_saveexec_b64 s[2:3], vcc
	s_cbranch_execz .LBB2533_45
; %bb.44:
	v_lshlrev_b32_e32 v24, 1, v25
	v_add_co_u32_e32 v24, vcc, v2, v24
	v_addc_co_u32_e32 v25, vcc, 0, v3, vcc
	flat_load_ushort v24, v[24:25]
.LBB2533_45:
	s_or_b64 exec, exec, s[2:3]
	v_or_b32_e32 v26, 0x1300, v0
	v_cmp_gt_u32_e32 vcc, s33, v26
                                        ; implicit-def: $vgpr25
	s_and_saveexec_b64 s[2:3], vcc
	s_cbranch_execz .LBB2533_47
; %bb.46:
	v_lshlrev_b32_e32 v25, 1, v26
	v_add_co_u32_e32 v26, vcc, v2, v25
	v_addc_co_u32_e32 v27, vcc, 0, v3, vcc
	flat_load_ushort v25, v[26:27]
.LBB2533_47:
	s_or_b64 exec, exec, s[2:3]
	v_or_b32_e32 v27, 0x1400, v0
	v_cmp_gt_u32_e32 vcc, s33, v27
                                        ; implicit-def: $vgpr26
	s_and_saveexec_b64 s[2:3], vcc
	s_cbranch_execz .LBB2533_49
; %bb.48:
	v_lshlrev_b32_e32 v26, 1, v27
	v_add_co_u32_e32 v26, vcc, v2, v26
	v_addc_co_u32_e32 v27, vcc, 0, v3, vcc
	flat_load_ushort v26, v[26:27]
.LBB2533_49:
	s_or_b64 exec, exec, s[2:3]
	v_or_b32_e32 v28, 0x1500, v0
	v_cmp_gt_u32_e32 vcc, s33, v28
                                        ; implicit-def: $vgpr27
	s_and_saveexec_b64 s[2:3], vcc
	s_cbranch_execz .LBB2533_51
; %bb.50:
	v_lshlrev_b32_e32 v27, 1, v28
	v_add_co_u32_e32 v28, vcc, v2, v27
	v_addc_co_u32_e32 v29, vcc, 0, v3, vcc
	flat_load_ushort v27, v[28:29]
.LBB2533_51:
	s_or_b64 exec, exec, s[2:3]
	v_or_b32_e32 v29, 0x1600, v0
	v_cmp_gt_u32_e32 vcc, s33, v29
                                        ; implicit-def: $vgpr28
	s_and_saveexec_b64 s[2:3], vcc
	s_cbranch_execz .LBB2533_53
; %bb.52:
	v_lshlrev_b32_e32 v28, 1, v29
	v_add_co_u32_e32 v28, vcc, v2, v28
	v_addc_co_u32_e32 v29, vcc, 0, v3, vcc
	flat_load_ushort v28, v[28:29]
.LBB2533_53:
	s_or_b64 exec, exec, s[2:3]
	v_or_b32_e32 v30, 0x1700, v0
	v_cmp_gt_u32_e32 vcc, s33, v30
                                        ; implicit-def: $vgpr29
	s_and_saveexec_b64 s[2:3], vcc
	s_cbranch_execz .LBB2533_55
; %bb.54:
	v_lshlrev_b32_e32 v29, 1, v30
	v_add_co_u32_e32 v30, vcc, v2, v29
	v_addc_co_u32_e32 v31, vcc, 0, v3, vcc
	flat_load_ushort v29, v[30:31]
.LBB2533_55:
	s_or_b64 exec, exec, s[2:3]
	v_or_b32_e32 v31, 0x1800, v0
	v_cmp_gt_u32_e32 vcc, s33, v31
                                        ; implicit-def: $vgpr30
	s_and_saveexec_b64 s[2:3], vcc
	s_cbranch_execz .LBB2533_57
; %bb.56:
	v_lshlrev_b32_e32 v30, 1, v31
	v_add_co_u32_e32 v30, vcc, v2, v30
	v_addc_co_u32_e32 v31, vcc, 0, v3, vcc
	flat_load_ushort v30, v[30:31]
.LBB2533_57:
	s_or_b64 exec, exec, s[2:3]
	v_or_b32_e32 v32, 0x1900, v0
	v_cmp_gt_u32_e32 vcc, s33, v32
                                        ; implicit-def: $vgpr31
	s_and_saveexec_b64 s[2:3], vcc
	s_cbranch_execz .LBB2533_59
; %bb.58:
	v_lshlrev_b32_e32 v31, 1, v32
	v_add_co_u32_e32 v32, vcc, v2, v31
	v_addc_co_u32_e32 v33, vcc, 0, v3, vcc
	flat_load_ushort v31, v[32:33]
.LBB2533_59:
	s_or_b64 exec, exec, s[2:3]
	v_or_b32_e32 v33, 0x1a00, v0
	v_cmp_gt_u32_e32 vcc, s33, v33
                                        ; implicit-def: $vgpr32
	s_and_saveexec_b64 s[2:3], vcc
	s_cbranch_execz .LBB2533_61
; %bb.60:
	v_lshlrev_b32_e32 v32, 1, v33
	v_add_co_u32_e32 v32, vcc, v2, v32
	v_addc_co_u32_e32 v33, vcc, 0, v3, vcc
	flat_load_ushort v32, v[32:33]
.LBB2533_61:
	s_or_b64 exec, exec, s[2:3]
	v_or_b32_e32 v34, 0x1b00, v0
	v_cmp_gt_u32_e32 vcc, s33, v34
                                        ; implicit-def: $vgpr33
	s_and_saveexec_b64 s[2:3], vcc
	s_cbranch_execz .LBB2533_63
; %bb.62:
	v_lshlrev_b32_e32 v33, 1, v34
	v_add_co_u32_e32 v2, vcc, v2, v33
	v_addc_co_u32_e32 v3, vcc, 0, v3, vcc
	flat_load_ushort v33, v[2:3]
.LBB2533_63:
	s_or_b64 exec, exec, s[2:3]
	s_waitcnt vmcnt(0) lgkmcnt(0)
	ds_write_b16 v1, v4
	ds_write_b16 v1, v5 offset:512
	ds_write_b16 v1, v6 offset:1024
	;; [unrolled: 1-line block ×27, first 2 shown]
	s_waitcnt lgkmcnt(0)
	s_barrier
.LBB2533_64:
	v_mul_u32_u24_e32 v41, 28, v0
	v_lshlrev_b32_e32 v6, 1, v41
	ds_read_b64 v[16:17], v6 offset:48
	ds_read2_b64 v[2:5], v6 offset0:4 offset1:5
	ds_read2_b64 v[10:13], v6 offset1:1
	ds_read2_b64 v[6:9], v6 offset0:2 offset1:3
	v_cndmask_b32_e64 v18, 0, 1, s[4:5]
	s_waitcnt lgkmcnt(3)
	v_lshrrev_b32_e32 v29, 16, v16
	v_lshrrev_b32_e32 v28, 16, v17
	s_waitcnt lgkmcnt(2)
	v_lshrrev_b32_e32 v33, 16, v2
	v_lshrrev_b32_e32 v32, 16, v3
	v_lshrrev_b32_e32 v31, 16, v4
	v_lshrrev_b32_e32 v30, 16, v5
	s_waitcnt lgkmcnt(1)
	v_lshrrev_b32_e32 v42, 16, v10
	v_lshrrev_b32_e32 v40, 16, v11
	;; [unrolled: 5-line block ×3, first 2 shown]
	v_lshrrev_b32_e32 v35, 16, v8
	v_lshrrev_b32_e32 v34, 16, v9
	v_cmp_ne_u32_e64 s[2:3], 1, v18
	s_andn2_b64 vcc, exec, s[4:5]
	v_xor_b32_e32 v88, -1, v10
	v_xor_b32_e32 v87, -1, v42
	;; [unrolled: 1-line block ×28, first 2 shown]
	s_barrier
	s_cbranch_vccnz .LBB2533_66
; %bb.65:
	v_and_b32_e32 v70, 1, v88
	v_and_b32_e32 v69, 1, v87
	;; [unrolled: 1-line block ×28, first 2 shown]
	s_cbranch_execz .LBB2533_67
	s_branch .LBB2533_68
.LBB2533_66:
                                        ; implicit-def: $vgpr70
                                        ; implicit-def: $vgpr69
                                        ; implicit-def: $vgpr68
                                        ; implicit-def: $vgpr67
                                        ; implicit-def: $vgpr66
                                        ; implicit-def: $vgpr65
                                        ; implicit-def: $vgpr64
                                        ; implicit-def: $vgpr63
                                        ; implicit-def: $vgpr62
                                        ; implicit-def: $vgpr61
                                        ; implicit-def: $vgpr60
                                        ; implicit-def: $vgpr59
                                        ; implicit-def: $vgpr58
                                        ; implicit-def: $vgpr57
                                        ; implicit-def: $vgpr56
                                        ; implicit-def: $vgpr55
                                        ; implicit-def: $vgpr54
                                        ; implicit-def: $vgpr53
                                        ; implicit-def: $vgpr52
                                        ; implicit-def: $vgpr51
                                        ; implicit-def: $vgpr50
                                        ; implicit-def: $vgpr49
                                        ; implicit-def: $vgpr48
                                        ; implicit-def: $vgpr47
                                        ; implicit-def: $vgpr46
                                        ; implicit-def: $vgpr45
                                        ; implicit-def: $vgpr43
                                        ; implicit-def: $vgpr44
.LBB2533_67:
	v_or_b32_e32 v52, 1, v41
	v_cmp_gt_u32_e32 vcc, s33, v41
	v_or_b32_e32 v53, 2, v41
	v_cndmask_b32_e64 v61, 0, 1, vcc
	v_cmp_gt_u32_e32 vcc, s33, v52
	v_or_b32_e32 v54, 3, v41
	v_cndmask_b32_e64 v52, 0, 1, vcc
	v_cmp_gt_u32_e32 vcc, s33, v53
	v_add_u32_e32 v55, 4, v41
	v_and_b32_e32 v69, v52, v87
	v_cndmask_b32_e64 v52, 0, 1, vcc
	v_cmp_gt_u32_e32 vcc, s33, v54
	v_add_u32_e32 v56, 5, v41
	v_and_b32_e32 v68, v52, v86
	v_cndmask_b32_e64 v52, 0, 1, vcc
	v_cmp_gt_u32_e32 vcc, s33, v55
	v_add_u32_e32 v57, 6, v41
	v_and_b32_e32 v67, v52, v85
	v_cndmask_b32_e64 v52, 0, 1, vcc
	v_cmp_gt_u32_e32 vcc, s33, v56
	v_add_u32_e32 v58, 7, v41
	v_and_b32_e32 v66, v52, v84
	v_cndmask_b32_e64 v52, 0, 1, vcc
	v_cmp_gt_u32_e32 vcc, s33, v57
	v_add_u32_e32 v59, 8, v41
	v_and_b32_e32 v65, v52, v83
	v_cndmask_b32_e64 v52, 0, 1, vcc
	v_cmp_gt_u32_e32 vcc, s33, v58
	v_add_u32_e32 v60, 9, v41
	v_and_b32_e32 v64, v52, v82
	v_cndmask_b32_e64 v52, 0, 1, vcc
	v_cmp_gt_u32_e32 vcc, s33, v59
	v_add_u32_e32 v89, 10, v41
	v_and_b32_e32 v63, v52, v81
	v_cndmask_b32_e64 v52, 0, 1, vcc
	v_cmp_gt_u32_e32 vcc, s33, v60
	v_add_u32_e32 v90, 11, v41
	v_and_b32_e32 v62, v52, v80
	v_cndmask_b32_e64 v52, 0, 1, vcc
	v_cmp_gt_u32_e32 vcc, s33, v89
	v_add_u32_e32 v91, 12, v41
	v_and_b32_e32 v70, v61, v88
	v_and_b32_e32 v61, v52, v79
	v_cndmask_b32_e64 v52, 0, 1, vcc
	v_cmp_gt_u32_e32 vcc, s33, v90
	v_add_u32_e32 v92, 13, v41
	v_and_b32_e32 v60, v52, v78
	v_cndmask_b32_e64 v52, 0, 1, vcc
	v_cmp_gt_u32_e32 vcc, s33, v91
	v_add_u32_e32 v93, 14, v41
	;; [unrolled: 4-line block ×15, first 2 shown]
	v_and_b32_e32 v46, v22, v21
	v_cndmask_b32_e64 v21, 0, 1, vcc
	v_cmp_gt_u32_e32 vcc, s33, v43
	v_and_b32_e32 v45, v21, v20
	v_cndmask_b32_e64 v20, 0, 1, vcc
	v_cmp_gt_u32_e32 vcc, s33, v44
	v_and_b32_e32 v43, v20, v19
	v_cndmask_b32_e64 v19, 0, 1, vcc
	v_and_b32_e32 v44, v19, v18
.LBB2533_68:
	v_and_b32_e32 v95, 0xff, v46
	v_and_b32_e32 v96, 0xff, v45
	v_add_u32_sdwa v18, v43, v44 dst_sel:DWORD dst_unused:UNUSED_PAD src0_sel:BYTE_0 src1_sel:BYTE_0
	v_and_b32_e32 v93, 0xff, v48
	v_and_b32_e32 v94, 0xff, v47
	v_add3_u32 v18, v18, v96, v95
	v_and_b32_e32 v91, 0xff, v50
	v_and_b32_e32 v92, 0xff, v49
	v_add3_u32 v18, v18, v94, v93
	;; [unrolled: 3-line block ×12, first 2 shown]
	v_add3_u32 v99, v18, v72, v71
	v_mbcnt_lo_u32_b32 v18, -1, 0
	v_mbcnt_hi_u32_b32 v97, -1, v18
	v_and_b32_e32 v18, 15, v97
	v_cmp_eq_u32_e64 s[16:17], 0, v18
	v_cmp_lt_u32_e64 s[14:15], 1, v18
	v_cmp_lt_u32_e64 s[12:13], 3, v18
	;; [unrolled: 1-line block ×3, first 2 shown]
	v_and_b32_e32 v18, 16, v97
	v_cmp_eq_u32_e64 s[8:9], 0, v18
	v_or_b32_e32 v18, 63, v0
	s_cmp_lg_u32 s36, 0
	v_cmp_lt_u32_e64 s[4:5], 31, v97
	v_lshrrev_b32_e32 v98, 6, v0
	v_cmp_eq_u32_e64 s[6:7], v18, v0
	s_cbranch_scc0 .LBB2533_99
; %bb.69:
	v_mov_b32_dpp v18, v99 row_shr:1 row_mask:0xf bank_mask:0xf
	v_cndmask_b32_e64 v18, v18, 0, s[16:17]
	v_add_u32_e32 v18, v18, v99
	s_nop 1
	v_mov_b32_dpp v19, v18 row_shr:2 row_mask:0xf bank_mask:0xf
	v_cndmask_b32_e64 v19, 0, v19, s[14:15]
	v_add_u32_e32 v18, v18, v19
	s_nop 1
	;; [unrolled: 4-line block ×4, first 2 shown]
	v_mov_b32_dpp v19, v18 row_bcast:15 row_mask:0xf bank_mask:0xf
	v_cndmask_b32_e64 v19, v19, 0, s[8:9]
	v_add_u32_e32 v18, v18, v19
	s_nop 1
	v_mov_b32_dpp v19, v18 row_bcast:31 row_mask:0xf bank_mask:0xf
	v_cndmask_b32_e64 v19, 0, v19, s[4:5]
	v_add_u32_e32 v18, v18, v19
	s_and_saveexec_b64 s[18:19], s[6:7]
	s_cbranch_execz .LBB2533_71
; %bb.70:
	v_lshlrev_b32_e32 v19, 2, v98
	ds_write_b32 v19, v18
.LBB2533_71:
	s_or_b64 exec, exec, s[18:19]
	v_cmp_gt_u32_e32 vcc, 4, v0
	s_waitcnt lgkmcnt(0)
	s_barrier
	s_and_saveexec_b64 s[18:19], vcc
	s_cbranch_execz .LBB2533_73
; %bb.72:
	v_lshlrev_b32_e32 v19, 2, v0
	ds_read_b32 v20, v19
	v_and_b32_e32 v21, 3, v97
	v_cmp_ne_u32_e32 vcc, 0, v21
	s_waitcnt lgkmcnt(0)
	v_mov_b32_dpp v22, v20 row_shr:1 row_mask:0xf bank_mask:0xf
	v_cndmask_b32_e32 v22, 0, v22, vcc
	v_add_u32_e32 v20, v22, v20
	v_cmp_lt_u32_e32 vcc, 1, v21
	s_nop 0
	v_mov_b32_dpp v22, v20 row_shr:2 row_mask:0xf bank_mask:0xf
	v_cndmask_b32_e32 v21, 0, v22, vcc
	v_add_u32_e32 v20, v20, v21
	ds_write_b32 v19, v20
.LBB2533_73:
	s_or_b64 exec, exec, s[18:19]
	v_cmp_gt_u32_e32 vcc, 64, v0
	v_cmp_lt_u32_e64 s[18:19], 63, v0
	s_waitcnt lgkmcnt(0)
	s_barrier
	s_waitcnt lgkmcnt(0)
                                        ; implicit-def: $vgpr100
	s_and_saveexec_b64 s[28:29], s[18:19]
	s_cbranch_execz .LBB2533_75
; %bb.74:
	v_lshl_add_u32 v19, v98, 2, -4
	ds_read_b32 v100, v19
	s_waitcnt lgkmcnt(0)
	v_add_u32_e32 v18, v100, v18
.LBB2533_75:
	s_or_b64 exec, exec, s[28:29]
	v_add_u32_e32 v19, -1, v97
	v_and_b32_e32 v20, 64, v97
	v_cmp_lt_i32_e64 s[18:19], v19, v20
	v_cndmask_b32_e64 v19, v19, v97, s[18:19]
	v_lshlrev_b32_e32 v19, 2, v19
	ds_bpermute_b32 v101, v19, v18
	v_cmp_eq_u32_e64 s[18:19], 0, v97
	s_and_saveexec_b64 s[28:29], vcc
	s_cbranch_execz .LBB2533_98
; %bb.76:
	v_mov_b32_e32 v27, 0
	ds_read_b32 v18, v27 offset:12
	s_and_saveexec_b64 s[30:31], s[18:19]
	s_cbranch_execz .LBB2533_78
; %bb.77:
	s_add_i32 s34, s36, 64
	s_mov_b32 s35, 0
	s_lshl_b64 s[34:35], s[34:35], 3
	s_add_u32 s34, s26, s34
	v_mov_b32_e32 v19, 1
	s_addc_u32 s35, s27, s35
	s_waitcnt lgkmcnt(0)
	global_store_dwordx2 v27, v[18:19], s[34:35]
.LBB2533_78:
	s_or_b64 exec, exec, s[30:31]
	v_xad_u32 v20, v97, -1, s36
	v_add_u32_e32 v26, 64, v20
	v_lshlrev_b64 v[22:23], 3, v[26:27]
	v_mov_b32_e32 v19, s27
	v_add_co_u32_e32 v22, vcc, s26, v22
	v_addc_co_u32_e32 v23, vcc, v19, v23, vcc
	global_load_dwordx2 v[24:25], v[22:23], off glc
	s_waitcnt vmcnt(0)
	v_cmp_eq_u16_sdwa s[34:35], v25, v27 src0_sel:BYTE_0 src1_sel:DWORD
	s_and_saveexec_b64 s[30:31], s[34:35]
	s_cbranch_execz .LBB2533_84
; %bb.79:
	s_mov_b32 s37, 1
	s_mov_b64 s[34:35], 0
	v_mov_b32_e32 v19, 0
.LBB2533_80:                            ; =>This Loop Header: Depth=1
                                        ;     Child Loop BB2533_81 Depth 2
	s_max_u32 s38, s37, 1
.LBB2533_81:                            ;   Parent Loop BB2533_80 Depth=1
                                        ; =>  This Inner Loop Header: Depth=2
	s_add_i32 s38, s38, -1
	s_cmp_eq_u32 s38, 0
	s_sleep 1
	s_cbranch_scc0 .LBB2533_81
; %bb.82:                               ;   in Loop: Header=BB2533_80 Depth=1
	global_load_dwordx2 v[24:25], v[22:23], off glc
	s_cmp_lt_u32 s37, 32
	s_cselect_b64 s[38:39], -1, 0
	s_cmp_lg_u64 s[38:39], 0
	s_addc_u32 s37, s37, 0
	s_waitcnt vmcnt(0)
	v_cmp_ne_u16_sdwa s[38:39], v25, v19 src0_sel:BYTE_0 src1_sel:DWORD
	s_or_b64 s[34:35], s[38:39], s[34:35]
	s_andn2_b64 exec, exec, s[34:35]
	s_cbranch_execnz .LBB2533_80
; %bb.83:
	s_or_b64 exec, exec, s[34:35]
.LBB2533_84:
	s_or_b64 exec, exec, s[30:31]
	v_and_b32_e32 v103, 63, v97
	v_mov_b32_e32 v102, 2
	v_cmp_ne_u32_e32 vcc, 63, v103
	v_cmp_eq_u16_sdwa s[30:31], v25, v102 src0_sel:BYTE_0 src1_sel:DWORD
	v_lshlrev_b64 v[22:23], v97, -1
	v_addc_co_u32_e32 v26, vcc, 0, v97, vcc
	v_and_b32_e32 v19, s31, v23
	v_lshlrev_b32_e32 v104, 2, v26
	v_or_b32_e32 v19, 0x80000000, v19
	ds_bpermute_b32 v26, v104, v24
	v_and_b32_e32 v21, s30, v22
	v_ffbl_b32_e32 v19, v19
	v_add_u32_e32 v19, 32, v19
	v_ffbl_b32_e32 v21, v21
	v_min_u32_e32 v19, v21, v19
	v_cmp_lt_u32_e32 vcc, v103, v19
	s_waitcnt lgkmcnt(0)
	v_cndmask_b32_e32 v21, 0, v26, vcc
	v_cmp_gt_u32_e32 vcc, 62, v103
	v_add_u32_e32 v21, v21, v24
	v_cndmask_b32_e64 v24, 0, 1, vcc
	v_lshlrev_b32_e32 v24, 1, v24
	v_add_lshl_u32 v105, v24, v97, 2
	ds_bpermute_b32 v24, v105, v21
	v_add_u32_e32 v106, 2, v103
	v_cmp_le_u32_e32 vcc, v106, v19
	v_add_u32_e32 v108, 4, v103
	v_add_u32_e32 v110, 8, v103
	s_waitcnt lgkmcnt(0)
	v_cndmask_b32_e32 v24, 0, v24, vcc
	v_cmp_gt_u32_e32 vcc, 60, v103
	v_add_u32_e32 v21, v21, v24
	v_cndmask_b32_e64 v24, 0, 1, vcc
	v_lshlrev_b32_e32 v24, 2, v24
	v_add_lshl_u32 v107, v24, v97, 2
	ds_bpermute_b32 v24, v107, v21
	v_cmp_le_u32_e32 vcc, v108, v19
	v_add_u32_e32 v112, 16, v103
	v_add_u32_e32 v114, 32, v103
	s_waitcnt lgkmcnt(0)
	v_cndmask_b32_e32 v24, 0, v24, vcc
	v_cmp_gt_u32_e32 vcc, 56, v103
	v_add_u32_e32 v21, v21, v24
	v_cndmask_b32_e64 v24, 0, 1, vcc
	v_lshlrev_b32_e32 v24, 3, v24
	v_add_lshl_u32 v109, v24, v97, 2
	ds_bpermute_b32 v24, v109, v21
	v_cmp_le_u32_e32 vcc, v110, v19
	s_waitcnt lgkmcnt(0)
	v_cndmask_b32_e32 v24, 0, v24, vcc
	v_cmp_gt_u32_e32 vcc, 48, v103
	v_add_u32_e32 v21, v21, v24
	v_cndmask_b32_e64 v24, 0, 1, vcc
	v_lshlrev_b32_e32 v24, 4, v24
	v_add_lshl_u32 v111, v24, v97, 2
	ds_bpermute_b32 v24, v111, v21
	v_cmp_le_u32_e32 vcc, v112, v19
	;; [unrolled: 9-line block ×3, first 2 shown]
	s_waitcnt lgkmcnt(0)
	v_cndmask_b32_e32 v19, 0, v24, vcc
	v_add_u32_e32 v24, v21, v19
	v_mov_b32_e32 v21, 0
	s_branch .LBB2533_86
.LBB2533_85:                            ;   in Loop: Header=BB2533_86 Depth=1
	s_or_b64 exec, exec, s[30:31]
	v_cmp_eq_u16_sdwa s[30:31], v25, v102 src0_sel:BYTE_0 src1_sel:DWORD
	v_and_b32_e32 v26, s31, v23
	v_or_b32_e32 v26, 0x80000000, v26
	ds_bpermute_b32 v115, v104, v24
	v_and_b32_e32 v27, s30, v22
	v_ffbl_b32_e32 v26, v26
	v_add_u32_e32 v26, 32, v26
	v_ffbl_b32_e32 v27, v27
	v_min_u32_e32 v26, v27, v26
	v_cmp_lt_u32_e32 vcc, v103, v26
	s_waitcnt lgkmcnt(0)
	v_cndmask_b32_e32 v27, 0, v115, vcc
	v_add_u32_e32 v24, v27, v24
	ds_bpermute_b32 v27, v105, v24
	v_cmp_le_u32_e32 vcc, v106, v26
	v_subrev_u32_e32 v20, 64, v20
	s_waitcnt lgkmcnt(0)
	v_cndmask_b32_e32 v27, 0, v27, vcc
	v_add_u32_e32 v24, v24, v27
	ds_bpermute_b32 v27, v107, v24
	v_cmp_le_u32_e32 vcc, v108, v26
	s_waitcnt lgkmcnt(0)
	v_cndmask_b32_e32 v27, 0, v27, vcc
	v_add_u32_e32 v24, v24, v27
	ds_bpermute_b32 v27, v109, v24
	v_cmp_le_u32_e32 vcc, v110, v26
	;; [unrolled: 5-line block ×4, first 2 shown]
	s_waitcnt lgkmcnt(0)
	v_cndmask_b32_e32 v26, 0, v27, vcc
	v_add3_u32 v24, v26, v19, v24
.LBB2533_86:                            ; =>This Loop Header: Depth=1
                                        ;     Child Loop BB2533_89 Depth 2
                                        ;       Child Loop BB2533_90 Depth 3
	v_cmp_ne_u16_sdwa s[30:31], v25, v102 src0_sel:BYTE_0 src1_sel:DWORD
	v_cndmask_b32_e64 v19, 0, 1, s[30:31]
	;;#ASMSTART
	;;#ASMEND
	v_cmp_ne_u32_e32 vcc, 0, v19
	s_cmp_lg_u64 vcc, exec
	v_mov_b32_e32 v19, v24
	s_cbranch_scc1 .LBB2533_93
; %bb.87:                               ;   in Loop: Header=BB2533_86 Depth=1
	v_lshlrev_b64 v[24:25], 3, v[20:21]
	v_mov_b32_e32 v27, s27
	v_add_co_u32_e32 v26, vcc, s26, v24
	v_addc_co_u32_e32 v27, vcc, v27, v25, vcc
	global_load_dwordx2 v[24:25], v[26:27], off glc
	s_waitcnt vmcnt(0)
	v_cmp_eq_u16_sdwa s[34:35], v25, v21 src0_sel:BYTE_0 src1_sel:DWORD
	s_and_saveexec_b64 s[30:31], s[34:35]
	s_cbranch_execz .LBB2533_85
; %bb.88:                               ;   in Loop: Header=BB2533_86 Depth=1
	s_mov_b32 s37, 1
	s_mov_b64 s[34:35], 0
.LBB2533_89:                            ;   Parent Loop BB2533_86 Depth=1
                                        ; =>  This Loop Header: Depth=2
                                        ;       Child Loop BB2533_90 Depth 3
	s_max_u32 s38, s37, 1
.LBB2533_90:                            ;   Parent Loop BB2533_86 Depth=1
                                        ;     Parent Loop BB2533_89 Depth=2
                                        ; =>    This Inner Loop Header: Depth=3
	s_add_i32 s38, s38, -1
	s_cmp_eq_u32 s38, 0
	s_sleep 1
	s_cbranch_scc0 .LBB2533_90
; %bb.91:                               ;   in Loop: Header=BB2533_89 Depth=2
	global_load_dwordx2 v[24:25], v[26:27], off glc
	s_cmp_lt_u32 s37, 32
	s_cselect_b64 s[38:39], -1, 0
	s_cmp_lg_u64 s[38:39], 0
	s_addc_u32 s37, s37, 0
	s_waitcnt vmcnt(0)
	v_cmp_ne_u16_sdwa s[38:39], v25, v21 src0_sel:BYTE_0 src1_sel:DWORD
	s_or_b64 s[34:35], s[38:39], s[34:35]
	s_andn2_b64 exec, exec, s[34:35]
	s_cbranch_execnz .LBB2533_89
; %bb.92:                               ;   in Loop: Header=BB2533_86 Depth=1
	s_or_b64 exec, exec, s[34:35]
	s_branch .LBB2533_85
.LBB2533_93:                            ;   in Loop: Header=BB2533_86 Depth=1
                                        ; implicit-def: $vgpr24
                                        ; implicit-def: $vgpr25
	s_cbranch_execz .LBB2533_86
; %bb.94:
	s_and_saveexec_b64 s[30:31], s[18:19]
	s_cbranch_execz .LBB2533_96
; %bb.95:
	s_add_i32 s34, s36, 64
	s_mov_b32 s35, 0
	s_lshl_b64 s[34:35], s[34:35], 3
	s_add_u32 s34, s26, s34
	v_add_u32_e32 v20, v19, v18
	v_mov_b32_e32 v21, 2
	s_addc_u32 s35, s27, s35
	v_mov_b32_e32 v22, 0
	global_store_dwordx2 v22, v[20:21], s[34:35]
	ds_write_b64 v22, v[18:19] offset:14336
.LBB2533_96:
	s_or_b64 exec, exec, s[30:31]
	s_and_b64 exec, exec, s[0:1]
	s_cbranch_execz .LBB2533_98
; %bb.97:
	v_mov_b32_e32 v18, 0
	ds_write_b32 v18, v19 offset:12
.LBB2533_98:
	s_or_b64 exec, exec, s[28:29]
	v_mov_b32_e32 v18, 0
	s_waitcnt lgkmcnt(0)
	s_barrier
	ds_read_b32 v20, v18 offset:12
	s_waitcnt lgkmcnt(0)
	s_barrier
	ds_read_b64 v[18:19], v18 offset:14336
	v_cndmask_b32_e64 v21, v101, v100, s[18:19]
	v_cndmask_b32_e64 v21, v21, 0, s[0:1]
	v_add_u32_e32 v21, v20, v21
	s_waitcnt lgkmcnt(0)
	v_mov_b32_e32 v20, v19
	s_branch .LBB2533_109
.LBB2533_99:
                                        ; implicit-def: $vgpr20
                                        ; implicit-def: $vgpr18
                                        ; implicit-def: $vgpr21
	s_cbranch_execz .LBB2533_109
; %bb.100:
	s_nop 0
	v_mov_b32_dpp v18, v99 row_shr:1 row_mask:0xf bank_mask:0xf
	v_cndmask_b32_e64 v18, v18, 0, s[16:17]
	v_add_u32_e32 v18, v18, v99
	s_nop 1
	v_mov_b32_dpp v19, v18 row_shr:2 row_mask:0xf bank_mask:0xf
	v_cndmask_b32_e64 v19, 0, v19, s[14:15]
	v_add_u32_e32 v18, v18, v19
	;; [unrolled: 4-line block ×4, first 2 shown]
	s_nop 1
	v_mov_b32_dpp v19, v18 row_bcast:15 row_mask:0xf bank_mask:0xf
	v_cndmask_b32_e64 v19, v19, 0, s[8:9]
	v_add_u32_e32 v18, v18, v19
	s_nop 1
	v_mov_b32_dpp v19, v18 row_bcast:31 row_mask:0xf bank_mask:0xf
	v_cndmask_b32_e64 v19, 0, v19, s[4:5]
	v_add_u32_e32 v18, v18, v19
	s_and_saveexec_b64 s[4:5], s[6:7]
	s_cbranch_execz .LBB2533_102
; %bb.101:
	v_lshlrev_b32_e32 v19, 2, v98
	ds_write_b32 v19, v18
.LBB2533_102:
	s_or_b64 exec, exec, s[4:5]
	v_cmp_gt_u32_e32 vcc, 4, v0
	s_waitcnt lgkmcnt(0)
	s_barrier
	s_and_saveexec_b64 s[4:5], vcc
	s_cbranch_execz .LBB2533_104
; %bb.103:
	v_lshlrev_b32_e32 v19, 2, v0
	ds_read_b32 v20, v19
	v_and_b32_e32 v21, 3, v97
	v_cmp_ne_u32_e32 vcc, 0, v21
	s_waitcnt lgkmcnt(0)
	v_mov_b32_dpp v22, v20 row_shr:1 row_mask:0xf bank_mask:0xf
	v_cndmask_b32_e32 v22, 0, v22, vcc
	v_add_u32_e32 v20, v22, v20
	v_cmp_lt_u32_e32 vcc, 1, v21
	s_nop 0
	v_mov_b32_dpp v22, v20 row_shr:2 row_mask:0xf bank_mask:0xf
	v_cndmask_b32_e32 v21, 0, v22, vcc
	v_add_u32_e32 v20, v20, v21
	ds_write_b32 v19, v20
.LBB2533_104:
	s_or_b64 exec, exec, s[4:5]
	v_cmp_lt_u32_e32 vcc, 63, v0
	v_mov_b32_e32 v19, 0
	v_mov_b32_e32 v20, 0
	s_waitcnt lgkmcnt(0)
	s_barrier
	s_and_saveexec_b64 s[4:5], vcc
	s_cbranch_execz .LBB2533_106
; %bb.105:
	v_lshl_add_u32 v20, v98, 2, -4
	ds_read_b32 v20, v20
.LBB2533_106:
	s_or_b64 exec, exec, s[4:5]
	v_add_u32_e32 v21, -1, v97
	v_and_b32_e32 v22, 64, v97
	v_cmp_lt_i32_e32 vcc, v21, v22
	v_cndmask_b32_e32 v21, v21, v97, vcc
	s_waitcnt lgkmcnt(0)
	v_add_u32_e32 v18, v20, v18
	v_lshlrev_b32_e32 v21, 2, v21
	ds_bpermute_b32 v21, v21, v18
	ds_read_b32 v18, v19 offset:12
	s_and_saveexec_b64 s[4:5], s[0:1]
	s_cbranch_execz .LBB2533_108
; %bb.107:
	v_mov_b32_e32 v22, 0
	v_mov_b32_e32 v19, 2
	s_waitcnt lgkmcnt(0)
	global_store_dwordx2 v22, v[18:19], s[26:27] offset:512
.LBB2533_108:
	s_or_b64 exec, exec, s[4:5]
	v_cmp_eq_u32_e32 vcc, 0, v97
	s_waitcnt lgkmcnt(1)
	v_cndmask_b32_e32 v19, v21, v20, vcc
	v_mov_b32_e32 v20, 0
	v_cndmask_b32_e64 v21, v19, 0, s[0:1]
	s_waitcnt lgkmcnt(0)
	s_barrier
.LBB2533_109:
	v_add_u32_e32 v19, v21, v71
	v_add_u32_e32 v22, v19, v72
	;; [unrolled: 1-line block ×20, first 2 shown]
	v_sub_u32_e32 v21, v21, v20
	v_and_b32_e32 v70, 1, v70
	v_add_u32_e32 v83, v82, v90
	v_sub_u32_e32 v90, v41, v21
	v_cmp_eq_u32_e32 vcc, 1, v70
	v_cndmask_b32_e32 v21, v90, v21, vcc
	v_lshlrev_b32_e32 v21, 1, v21
	ds_write_b16 v21, v10
	v_sub_u32_e32 v10, v19, v20
	v_sub_u32_e32 v19, v41, v10
	v_and_b32_e32 v21, 1, v69
	v_add_u32_e32 v19, 1, v19
	v_cmp_eq_u32_e32 vcc, 1, v21
	v_cndmask_b32_e32 v10, v19, v10, vcc
	v_lshlrev_b32_e32 v10, 1, v10
	ds_write_b16 v10, v42
	v_sub_u32_e32 v10, v22, v20
	v_sub_u32_e32 v19, v41, v10
	v_and_b32_e32 v21, 1, v68
	v_add_u32_e32 v19, 2, v19
	;; [unrolled: 8-line block ×20, first 2 shown]
	v_cmp_eq_u32_e32 vcc, 1, v6
	v_cndmask_b32_e32 v2, v3, v2, vcc
	v_add_u32_e32 v84, v83, v91
	v_lshlrev_b32_e32 v2, 1, v2
	ds_write_b16 v2, v4
	v_sub_u32_e32 v2, v84, v20
	v_sub_u32_e32 v3, v41, v2
	v_and_b32_e32 v4, 1, v49
	v_add_u32_e32 v3, 21, v3
	v_cmp_eq_u32_e32 vcc, 1, v4
	v_cndmask_b32_e32 v2, v3, v2, vcc
	v_add_u32_e32 v85, v84, v92
	v_lshlrev_b32_e32 v2, 1, v2
	ds_write_b16 v2, v31
	v_sub_u32_e32 v2, v85, v20
	v_sub_u32_e32 v3, v41, v2
	v_and_b32_e32 v4, 1, v48
	v_add_u32_e32 v3, 22, v3
	;; [unrolled: 9-line block ×6, first 2 shown]
	v_cmp_eq_u32_e32 vcc, 1, v4
	v_cndmask_b32_e32 v2, v3, v2, vcc
	v_lshlrev_b32_e32 v2, 1, v2
	ds_write_b16 v2, v17
	v_sub_u32_sdwa v2, v43, v20 dst_sel:DWORD dst_unused:UNUSED_PAD src0_sel:BYTE_0 src1_sel:DWORD
	v_add_u32_e32 v2, v89, v2
	v_sub_u32_e32 v3, v41, v2
	v_and_b32_e32 v4, 1, v44
	v_add_u32_e32 v3, 27, v3
	v_cmp_eq_u32_e32 vcc, 1, v4
	v_cndmask_b32_e32 v2, v3, v2, vcc
	v_lshlrev_b32_e32 v2, 1, v2
	ds_write_b16 v2, v28
	s_waitcnt lgkmcnt(0)
	s_barrier
	ds_read_u16 v65, v1
	ds_read_u16 v64, v1 offset:512
	ds_read_u16 v62, v1 offset:1024
	ds_read_u16 v60, v1 offset:1536
	ds_read_u16 v58, v1 offset:2048
	ds_read_u16 v55, v1 offset:2560
	ds_read_u16 v53, v1 offset:3072
	ds_read_u16 v50, v1 offset:3584
	ds_read_u16 v51, v1 offset:4096
	ds_read_u16 v48, v1 offset:4608
	ds_read_u16 v46, v1 offset:5120
	ds_read_u16 v44, v1 offset:5632
	ds_read_u16 v42, v1 offset:6144
	ds_read_u16 v40, v1 offset:6656
	ds_read_u16 v38, v1 offset:7168
	ds_read_u16 v35, v1 offset:7680
	ds_read_u16 v36, v1 offset:8192
	ds_read_u16 v32, v1 offset:8704
	ds_read_u16 v30, v1 offset:9216
	ds_read_u16 v28, v1 offset:9728
	ds_read_u16 v26, v1 offset:10240
	ds_read_u16 v24, v1 offset:10752
	ds_read_u16 v22, v1 offset:11264
	ds_read_u16 v17, v1 offset:11776
	ds_read_u16 v12, v1 offset:12288
	ds_read_u16 v10, v1 offset:12800
	ds_read_u16 v8, v1 offset:13312
	ds_read_u16 v6, v1 offset:13824
	v_or_b32_e32 v63, 0x100, v0
	v_or_b32_e32 v61, 0x200, v0
	;; [unrolled: 1-line block ×27, first 2 shown]
	s_and_b64 vcc, exec, s[2:3]
	s_waitcnt vmcnt(0)
	v_lshlrev_b64 v[4:5], 1, v[14:15]
	s_cbranch_vccnz .LBB2533_139
; %bb.110:
	v_mov_b32_e32 v21, 0
	v_mov_b32_e32 v2, s25
	v_add_co_u32_e32 v66, vcc, s24, v4
	v_addc_co_u32_e32 v67, vcc, v2, v5, vcc
	v_lshlrev_b64 v[2:3], 1, v[20:21]
	v_add_co_u32_e32 v2, vcc, v66, v2
	v_addc_co_u32_e32 v3, vcc, v67, v3, vcc
	v_cmp_lt_u32_e32 vcc, v0, v18
	s_and_saveexec_b64 s[2:3], vcc
	s_cbranch_execnz .LBB2533_174
; %bb.111:
	s_or_b64 exec, exec, s[2:3]
	v_cmp_lt_u32_e32 vcc, v63, v18
	s_and_saveexec_b64 s[2:3], vcc
	s_cbranch_execnz .LBB2533_175
.LBB2533_112:
	s_or_b64 exec, exec, s[2:3]
	v_cmp_lt_u32_e32 vcc, v61, v18
	s_and_saveexec_b64 s[2:3], vcc
	s_cbranch_execnz .LBB2533_176
.LBB2533_113:
	s_or_b64 exec, exec, s[2:3]
	v_cmp_lt_u32_e32 vcc, v59, v18
	s_and_saveexec_b64 s[2:3], vcc
	s_cbranch_execnz .LBB2533_177
.LBB2533_114:
	s_or_b64 exec, exec, s[2:3]
	v_cmp_lt_u32_e32 vcc, v57, v18
	s_and_saveexec_b64 s[2:3], vcc
	s_cbranch_execnz .LBB2533_178
.LBB2533_115:
	s_or_b64 exec, exec, s[2:3]
	v_cmp_lt_u32_e32 vcc, v56, v18
	s_and_saveexec_b64 s[2:3], vcc
	s_cbranch_execnz .LBB2533_179
.LBB2533_116:
	s_or_b64 exec, exec, s[2:3]
	v_cmp_lt_u32_e32 vcc, v54, v18
	s_and_saveexec_b64 s[2:3], vcc
	s_cbranch_execnz .LBB2533_180
.LBB2533_117:
	s_or_b64 exec, exec, s[2:3]
	v_cmp_lt_u32_e32 vcc, v52, v18
	s_and_saveexec_b64 s[2:3], vcc
	s_cbranch_execnz .LBB2533_181
.LBB2533_118:
	s_or_b64 exec, exec, s[2:3]
	v_cmp_lt_u32_e32 vcc, v49, v18
	s_and_saveexec_b64 s[2:3], vcc
	s_cbranch_execnz .LBB2533_182
.LBB2533_119:
	s_or_b64 exec, exec, s[2:3]
	v_cmp_lt_u32_e32 vcc, v47, v18
	s_and_saveexec_b64 s[2:3], vcc
	s_cbranch_execnz .LBB2533_183
.LBB2533_120:
	s_or_b64 exec, exec, s[2:3]
	v_cmp_lt_u32_e32 vcc, v45, v18
	s_and_saveexec_b64 s[2:3], vcc
	s_cbranch_execnz .LBB2533_184
.LBB2533_121:
	s_or_b64 exec, exec, s[2:3]
	v_cmp_lt_u32_e32 vcc, v43, v18
	s_and_saveexec_b64 s[2:3], vcc
	s_cbranch_execnz .LBB2533_185
.LBB2533_122:
	s_or_b64 exec, exec, s[2:3]
	v_cmp_lt_u32_e32 vcc, v41, v18
	s_and_saveexec_b64 s[2:3], vcc
	s_cbranch_execnz .LBB2533_186
.LBB2533_123:
	s_or_b64 exec, exec, s[2:3]
	v_cmp_lt_u32_e32 vcc, v39, v18
	s_and_saveexec_b64 s[2:3], vcc
	s_cbranch_execnz .LBB2533_187
.LBB2533_124:
	s_or_b64 exec, exec, s[2:3]
	v_cmp_lt_u32_e32 vcc, v37, v18
	s_and_saveexec_b64 s[2:3], vcc
	s_cbranch_execnz .LBB2533_188
.LBB2533_125:
	s_or_b64 exec, exec, s[2:3]
	v_cmp_lt_u32_e32 vcc, v34, v18
	s_and_saveexec_b64 s[2:3], vcc
	s_cbranch_execnz .LBB2533_189
.LBB2533_126:
	s_or_b64 exec, exec, s[2:3]
	v_cmp_lt_u32_e32 vcc, v33, v18
	s_and_saveexec_b64 s[2:3], vcc
	s_cbranch_execnz .LBB2533_190
.LBB2533_127:
	s_or_b64 exec, exec, s[2:3]
	v_cmp_lt_u32_e32 vcc, v31, v18
	s_and_saveexec_b64 s[2:3], vcc
	s_cbranch_execnz .LBB2533_191
.LBB2533_128:
	s_or_b64 exec, exec, s[2:3]
	v_cmp_lt_u32_e32 vcc, v29, v18
	s_and_saveexec_b64 s[2:3], vcc
	s_cbranch_execnz .LBB2533_192
.LBB2533_129:
	s_or_b64 exec, exec, s[2:3]
	v_cmp_lt_u32_e32 vcc, v27, v18
	s_and_saveexec_b64 s[2:3], vcc
	s_cbranch_execnz .LBB2533_193
.LBB2533_130:
	s_or_b64 exec, exec, s[2:3]
	v_cmp_lt_u32_e32 vcc, v25, v18
	s_and_saveexec_b64 s[2:3], vcc
	s_cbranch_execnz .LBB2533_194
.LBB2533_131:
	s_or_b64 exec, exec, s[2:3]
	v_cmp_lt_u32_e32 vcc, v23, v18
	s_and_saveexec_b64 s[2:3], vcc
	s_cbranch_execnz .LBB2533_195
.LBB2533_132:
	s_or_b64 exec, exec, s[2:3]
	v_cmp_lt_u32_e32 vcc, v19, v18
	s_and_saveexec_b64 s[2:3], vcc
	s_cbranch_execnz .LBB2533_196
.LBB2533_133:
	s_or_b64 exec, exec, s[2:3]
	v_cmp_lt_u32_e32 vcc, v16, v18
	s_and_saveexec_b64 s[2:3], vcc
	s_cbranch_execnz .LBB2533_197
.LBB2533_134:
	s_or_b64 exec, exec, s[2:3]
	v_cmp_lt_u32_e32 vcc, v13, v18
	s_and_saveexec_b64 s[2:3], vcc
	s_cbranch_execnz .LBB2533_198
.LBB2533_135:
	s_or_b64 exec, exec, s[2:3]
	v_cmp_lt_u32_e32 vcc, v11, v18
	s_and_saveexec_b64 s[2:3], vcc
	s_cbranch_execnz .LBB2533_199
.LBB2533_136:
	s_or_b64 exec, exec, s[2:3]
	v_cmp_lt_u32_e32 vcc, v9, v18
	s_and_saveexec_b64 s[2:3], vcc
	s_cbranch_execz .LBB2533_138
.LBB2533_137:
	v_lshlrev_b32_e32 v21, 1, v9
	v_readfirstlane_b32 s4, v2
	v_readfirstlane_b32 s5, v3
	s_waitcnt lgkmcnt(1)
	s_nop 3
	global_store_short v21, v8, s[4:5]
.LBB2533_138:
	s_or_b64 exec, exec, s[2:3]
	v_cmp_lt_u32_e64 s[2:3], v7, v18
	s_branch .LBB2533_169
.LBB2533_139:
	s_mov_b64 s[2:3], 0
                                        ; implicit-def: $vgpr2_vgpr3
	s_cbranch_execz .LBB2533_169
; %bb.140:
	v_mov_b32_e32 v21, 0
	v_mov_b32_e32 v2, s25
	v_add_co_u32_e32 v4, vcc, s24, v4
	v_addc_co_u32_e32 v5, vcc, v2, v5, vcc
	v_lshlrev_b64 v[2:3], 1, v[20:21]
	v_add_co_u32_e32 v2, vcc, v4, v2
	v_min_u32_e32 v66, s33, v18
	v_addc_co_u32_e32 v3, vcc, v5, v3, vcc
	v_cmp_gt_u32_e32 vcc, v66, v0
	s_and_saveexec_b64 s[2:3], vcc
	s_cbranch_execnz .LBB2533_200
; %bb.141:
	s_or_b64 exec, exec, s[2:3]
	v_cmp_lt_u32_e32 vcc, v63, v66
	s_and_saveexec_b64 s[2:3], vcc
	s_cbranch_execnz .LBB2533_201
.LBB2533_142:
	s_or_b64 exec, exec, s[2:3]
	v_cmp_lt_u32_e32 vcc, v61, v66
	s_and_saveexec_b64 s[2:3], vcc
	s_cbranch_execnz .LBB2533_202
.LBB2533_143:
	s_or_b64 exec, exec, s[2:3]
	v_cmp_lt_u32_e32 vcc, v59, v66
	s_and_saveexec_b64 s[2:3], vcc
	s_cbranch_execnz .LBB2533_203
.LBB2533_144:
	s_or_b64 exec, exec, s[2:3]
	v_cmp_lt_u32_e32 vcc, v57, v66
	s_and_saveexec_b64 s[2:3], vcc
	s_cbranch_execnz .LBB2533_204
.LBB2533_145:
	s_or_b64 exec, exec, s[2:3]
	v_cmp_lt_u32_e32 vcc, v56, v66
	s_and_saveexec_b64 s[2:3], vcc
	s_cbranch_execnz .LBB2533_205
.LBB2533_146:
	s_or_b64 exec, exec, s[2:3]
	v_cmp_lt_u32_e32 vcc, v54, v66
	s_and_saveexec_b64 s[2:3], vcc
	s_cbranch_execnz .LBB2533_206
.LBB2533_147:
	s_or_b64 exec, exec, s[2:3]
	v_cmp_lt_u32_e32 vcc, v52, v66
	s_and_saveexec_b64 s[2:3], vcc
	s_cbranch_execnz .LBB2533_207
.LBB2533_148:
	s_or_b64 exec, exec, s[2:3]
	v_cmp_lt_u32_e32 vcc, v49, v66
	s_and_saveexec_b64 s[2:3], vcc
	s_cbranch_execnz .LBB2533_208
.LBB2533_149:
	s_or_b64 exec, exec, s[2:3]
	v_cmp_lt_u32_e32 vcc, v47, v66
	s_and_saveexec_b64 s[2:3], vcc
	s_cbranch_execnz .LBB2533_209
.LBB2533_150:
	s_or_b64 exec, exec, s[2:3]
	v_cmp_lt_u32_e32 vcc, v45, v66
	s_and_saveexec_b64 s[2:3], vcc
	s_cbranch_execnz .LBB2533_210
.LBB2533_151:
	s_or_b64 exec, exec, s[2:3]
	v_cmp_lt_u32_e32 vcc, v43, v66
	s_and_saveexec_b64 s[2:3], vcc
	s_cbranch_execnz .LBB2533_211
.LBB2533_152:
	s_or_b64 exec, exec, s[2:3]
	v_cmp_lt_u32_e32 vcc, v41, v66
	s_and_saveexec_b64 s[2:3], vcc
	s_cbranch_execnz .LBB2533_212
.LBB2533_153:
	s_or_b64 exec, exec, s[2:3]
	v_cmp_lt_u32_e32 vcc, v39, v66
	s_and_saveexec_b64 s[2:3], vcc
	s_cbranch_execnz .LBB2533_213
.LBB2533_154:
	s_or_b64 exec, exec, s[2:3]
	v_cmp_lt_u32_e32 vcc, v37, v66
	s_and_saveexec_b64 s[2:3], vcc
	s_cbranch_execnz .LBB2533_214
.LBB2533_155:
	s_or_b64 exec, exec, s[2:3]
	v_cmp_lt_u32_e32 vcc, v34, v66
	s_and_saveexec_b64 s[2:3], vcc
	s_cbranch_execnz .LBB2533_215
.LBB2533_156:
	s_or_b64 exec, exec, s[2:3]
	v_cmp_lt_u32_e32 vcc, v33, v66
	s_and_saveexec_b64 s[2:3], vcc
	s_cbranch_execnz .LBB2533_216
.LBB2533_157:
	s_or_b64 exec, exec, s[2:3]
	v_cmp_lt_u32_e32 vcc, v31, v66
	s_and_saveexec_b64 s[2:3], vcc
	s_cbranch_execnz .LBB2533_217
.LBB2533_158:
	s_or_b64 exec, exec, s[2:3]
	v_cmp_lt_u32_e32 vcc, v29, v66
	s_and_saveexec_b64 s[2:3], vcc
	s_cbranch_execnz .LBB2533_218
.LBB2533_159:
	s_or_b64 exec, exec, s[2:3]
	v_cmp_lt_u32_e32 vcc, v27, v66
	s_and_saveexec_b64 s[2:3], vcc
	s_cbranch_execnz .LBB2533_219
.LBB2533_160:
	s_or_b64 exec, exec, s[2:3]
	v_cmp_lt_u32_e32 vcc, v25, v66
	s_and_saveexec_b64 s[2:3], vcc
	s_cbranch_execnz .LBB2533_220
.LBB2533_161:
	s_or_b64 exec, exec, s[2:3]
	v_cmp_lt_u32_e32 vcc, v23, v66
	s_and_saveexec_b64 s[2:3], vcc
	s_cbranch_execnz .LBB2533_221
.LBB2533_162:
	s_or_b64 exec, exec, s[2:3]
	v_cmp_lt_u32_e32 vcc, v19, v66
	s_and_saveexec_b64 s[2:3], vcc
	s_cbranch_execnz .LBB2533_222
.LBB2533_163:
	s_or_b64 exec, exec, s[2:3]
	v_cmp_lt_u32_e32 vcc, v16, v66
	s_and_saveexec_b64 s[2:3], vcc
	s_cbranch_execnz .LBB2533_223
.LBB2533_164:
	s_or_b64 exec, exec, s[2:3]
	v_cmp_lt_u32_e32 vcc, v13, v66
	s_and_saveexec_b64 s[2:3], vcc
	s_cbranch_execnz .LBB2533_224
.LBB2533_165:
	s_or_b64 exec, exec, s[2:3]
	v_cmp_lt_u32_e32 vcc, v11, v66
	s_and_saveexec_b64 s[2:3], vcc
	s_cbranch_execnz .LBB2533_225
.LBB2533_166:
	s_or_b64 exec, exec, s[2:3]
	v_cmp_lt_u32_e32 vcc, v9, v66
	s_and_saveexec_b64 s[2:3], vcc
	s_cbranch_execz .LBB2533_168
.LBB2533_167:
	v_lshlrev_b32_e32 v0, 1, v9
	v_readfirstlane_b32 s4, v2
	v_readfirstlane_b32 s5, v3
	s_waitcnt lgkmcnt(1)
	s_nop 3
	global_store_short v0, v8, s[4:5]
.LBB2533_168:
	s_or_b64 exec, exec, s[2:3]
	v_cmp_lt_u32_e64 s[2:3], v7, v66
.LBB2533_169:
	s_and_saveexec_b64 s[4:5], s[2:3]
	s_cbranch_execnz .LBB2533_172
; %bb.170:
	s_or_b64 exec, exec, s[4:5]
	s_and_b64 s[0:1], s[0:1], s[22:23]
	s_and_saveexec_b64 s[2:3], s[0:1]
	s_cbranch_execnz .LBB2533_173
.LBB2533_171:
	s_endpgm
.LBB2533_172:
	v_lshlrev_b32_e32 v0, 1, v7
	v_readfirstlane_b32 s2, v2
	v_readfirstlane_b32 s3, v3
	s_waitcnt lgkmcnt(0)
	s_nop 3
	global_store_short v0, v6, s[2:3]
	s_or_b64 exec, exec, s[4:5]
	s_and_b64 s[0:1], s[0:1], s[22:23]
	s_and_saveexec_b64 s[2:3], s[0:1]
	s_cbranch_execz .LBB2533_171
.LBB2533_173:
	v_add_co_u32_e32 v0, vcc, v14, v18
	v_addc_co_u32_e32 v1, vcc, 0, v15, vcc
	v_add_co_u32_e32 v0, vcc, v0, v20
	v_mov_b32_e32 v2, 0
	v_addc_co_u32_e32 v1, vcc, 0, v1, vcc
	global_store_dwordx2 v2, v[0:1], s[20:21]
	s_endpgm
.LBB2533_174:
	v_readfirstlane_b32 s4, v2
	v_readfirstlane_b32 s5, v3
	s_waitcnt lgkmcnt(14)
	s_nop 3
	global_store_short v1, v65, s[4:5]
	s_or_b64 exec, exec, s[2:3]
	v_cmp_lt_u32_e32 vcc, v63, v18
	s_and_saveexec_b64 s[2:3], vcc
	s_cbranch_execz .LBB2533_112
.LBB2533_175:
	v_readfirstlane_b32 s4, v2
	v_readfirstlane_b32 s5, v3
	s_waitcnt lgkmcnt(14)
	s_nop 3
	global_store_short v1, v64, s[4:5] offset:512
	s_or_b64 exec, exec, s[2:3]
	v_cmp_lt_u32_e32 vcc, v61, v18
	s_and_saveexec_b64 s[2:3], vcc
	s_cbranch_execz .LBB2533_113
.LBB2533_176:
	v_readfirstlane_b32 s4, v2
	v_readfirstlane_b32 s5, v3
	s_waitcnt lgkmcnt(14)
	s_nop 3
	global_store_short v1, v62, s[4:5] offset:1024
	s_or_b64 exec, exec, s[2:3]
	v_cmp_lt_u32_e32 vcc, v59, v18
	s_and_saveexec_b64 s[2:3], vcc
	s_cbranch_execz .LBB2533_114
.LBB2533_177:
	v_readfirstlane_b32 s4, v2
	v_readfirstlane_b32 s5, v3
	s_waitcnt lgkmcnt(14)
	s_nop 3
	global_store_short v1, v60, s[4:5] offset:1536
	s_or_b64 exec, exec, s[2:3]
	v_cmp_lt_u32_e32 vcc, v57, v18
	s_and_saveexec_b64 s[2:3], vcc
	s_cbranch_execz .LBB2533_115
.LBB2533_178:
	v_readfirstlane_b32 s4, v2
	v_readfirstlane_b32 s5, v3
	s_waitcnt lgkmcnt(14)
	s_nop 3
	global_store_short v1, v58, s[4:5] offset:2048
	s_or_b64 exec, exec, s[2:3]
	v_cmp_lt_u32_e32 vcc, v56, v18
	s_and_saveexec_b64 s[2:3], vcc
	s_cbranch_execz .LBB2533_116
.LBB2533_179:
	v_readfirstlane_b32 s4, v2
	v_readfirstlane_b32 s5, v3
	s_waitcnt lgkmcnt(14)
	s_nop 3
	global_store_short v1, v55, s[4:5] offset:2560
	s_or_b64 exec, exec, s[2:3]
	v_cmp_lt_u32_e32 vcc, v54, v18
	s_and_saveexec_b64 s[2:3], vcc
	s_cbranch_execz .LBB2533_117
.LBB2533_180:
	v_readfirstlane_b32 s4, v2
	v_readfirstlane_b32 s5, v3
	s_waitcnt lgkmcnt(14)
	s_nop 3
	global_store_short v1, v53, s[4:5] offset:3072
	s_or_b64 exec, exec, s[2:3]
	v_cmp_lt_u32_e32 vcc, v52, v18
	s_and_saveexec_b64 s[2:3], vcc
	s_cbranch_execz .LBB2533_118
.LBB2533_181:
	v_readfirstlane_b32 s4, v2
	v_readfirstlane_b32 s5, v3
	s_waitcnt lgkmcnt(14)
	s_nop 3
	global_store_short v1, v50, s[4:5] offset:3584
	s_or_b64 exec, exec, s[2:3]
	v_cmp_lt_u32_e32 vcc, v49, v18
	s_and_saveexec_b64 s[2:3], vcc
	s_cbranch_execz .LBB2533_119
.LBB2533_182:
	v_lshlrev_b32_e32 v21, 1, v49
	v_readfirstlane_b32 s4, v2
	v_readfirstlane_b32 s5, v3
	s_waitcnt lgkmcnt(14)
	s_nop 3
	global_store_short v21, v51, s[4:5]
	s_or_b64 exec, exec, s[2:3]
	v_cmp_lt_u32_e32 vcc, v47, v18
	s_and_saveexec_b64 s[2:3], vcc
	s_cbranch_execz .LBB2533_120
.LBB2533_183:
	v_lshlrev_b32_e32 v21, 1, v47
	v_readfirstlane_b32 s4, v2
	v_readfirstlane_b32 s5, v3
	s_waitcnt lgkmcnt(14)
	s_nop 3
	global_store_short v21, v48, s[4:5]
	s_or_b64 exec, exec, s[2:3]
	v_cmp_lt_u32_e32 vcc, v45, v18
	s_and_saveexec_b64 s[2:3], vcc
	s_cbranch_execz .LBB2533_121
.LBB2533_184:
	v_lshlrev_b32_e32 v21, 1, v45
	v_readfirstlane_b32 s4, v2
	v_readfirstlane_b32 s5, v3
	s_waitcnt lgkmcnt(14)
	s_nop 3
	global_store_short v21, v46, s[4:5]
	s_or_b64 exec, exec, s[2:3]
	v_cmp_lt_u32_e32 vcc, v43, v18
	s_and_saveexec_b64 s[2:3], vcc
	s_cbranch_execz .LBB2533_122
.LBB2533_185:
	v_lshlrev_b32_e32 v21, 1, v43
	v_readfirstlane_b32 s4, v2
	v_readfirstlane_b32 s5, v3
	s_waitcnt lgkmcnt(14)
	s_nop 3
	global_store_short v21, v44, s[4:5]
	s_or_b64 exec, exec, s[2:3]
	v_cmp_lt_u32_e32 vcc, v41, v18
	s_and_saveexec_b64 s[2:3], vcc
	s_cbranch_execz .LBB2533_123
.LBB2533_186:
	v_lshlrev_b32_e32 v21, 1, v41
	v_readfirstlane_b32 s4, v2
	v_readfirstlane_b32 s5, v3
	s_waitcnt lgkmcnt(14)
	s_nop 3
	global_store_short v21, v42, s[4:5]
	s_or_b64 exec, exec, s[2:3]
	v_cmp_lt_u32_e32 vcc, v39, v18
	s_and_saveexec_b64 s[2:3], vcc
	s_cbranch_execz .LBB2533_124
.LBB2533_187:
	v_lshlrev_b32_e32 v21, 1, v39
	v_readfirstlane_b32 s4, v2
	v_readfirstlane_b32 s5, v3
	s_waitcnt lgkmcnt(14)
	s_nop 3
	global_store_short v21, v40, s[4:5]
	s_or_b64 exec, exec, s[2:3]
	v_cmp_lt_u32_e32 vcc, v37, v18
	s_and_saveexec_b64 s[2:3], vcc
	s_cbranch_execz .LBB2533_125
.LBB2533_188:
	v_lshlrev_b32_e32 v21, 1, v37
	v_readfirstlane_b32 s4, v2
	v_readfirstlane_b32 s5, v3
	s_waitcnt lgkmcnt(13)
	s_nop 3
	global_store_short v21, v38, s[4:5]
	s_or_b64 exec, exec, s[2:3]
	v_cmp_lt_u32_e32 vcc, v34, v18
	s_and_saveexec_b64 s[2:3], vcc
	s_cbranch_execz .LBB2533_126
.LBB2533_189:
	v_lshlrev_b32_e32 v21, 1, v34
	v_readfirstlane_b32 s4, v2
	v_readfirstlane_b32 s5, v3
	s_waitcnt lgkmcnt(12)
	s_nop 3
	global_store_short v21, v35, s[4:5]
	s_or_b64 exec, exec, s[2:3]
	v_cmp_lt_u32_e32 vcc, v33, v18
	s_and_saveexec_b64 s[2:3], vcc
	s_cbranch_execz .LBB2533_127
.LBB2533_190:
	v_lshlrev_b32_e32 v21, 1, v33
	v_readfirstlane_b32 s4, v2
	v_readfirstlane_b32 s5, v3
	s_waitcnt lgkmcnt(11)
	s_nop 3
	global_store_short v21, v36, s[4:5]
	s_or_b64 exec, exec, s[2:3]
	v_cmp_lt_u32_e32 vcc, v31, v18
	s_and_saveexec_b64 s[2:3], vcc
	s_cbranch_execz .LBB2533_128
.LBB2533_191:
	v_lshlrev_b32_e32 v21, 1, v31
	v_readfirstlane_b32 s4, v2
	v_readfirstlane_b32 s5, v3
	s_waitcnt lgkmcnt(10)
	s_nop 3
	global_store_short v21, v32, s[4:5]
	s_or_b64 exec, exec, s[2:3]
	v_cmp_lt_u32_e32 vcc, v29, v18
	s_and_saveexec_b64 s[2:3], vcc
	s_cbranch_execz .LBB2533_129
.LBB2533_192:
	v_lshlrev_b32_e32 v21, 1, v29
	v_readfirstlane_b32 s4, v2
	v_readfirstlane_b32 s5, v3
	s_waitcnt lgkmcnt(9)
	s_nop 3
	global_store_short v21, v30, s[4:5]
	s_or_b64 exec, exec, s[2:3]
	v_cmp_lt_u32_e32 vcc, v27, v18
	s_and_saveexec_b64 s[2:3], vcc
	s_cbranch_execz .LBB2533_130
.LBB2533_193:
	v_lshlrev_b32_e32 v21, 1, v27
	v_readfirstlane_b32 s4, v2
	v_readfirstlane_b32 s5, v3
	s_waitcnt lgkmcnt(8)
	s_nop 3
	global_store_short v21, v28, s[4:5]
	s_or_b64 exec, exec, s[2:3]
	v_cmp_lt_u32_e32 vcc, v25, v18
	s_and_saveexec_b64 s[2:3], vcc
	s_cbranch_execz .LBB2533_131
.LBB2533_194:
	v_lshlrev_b32_e32 v21, 1, v25
	v_readfirstlane_b32 s4, v2
	v_readfirstlane_b32 s5, v3
	s_waitcnt lgkmcnt(7)
	s_nop 3
	global_store_short v21, v26, s[4:5]
	s_or_b64 exec, exec, s[2:3]
	v_cmp_lt_u32_e32 vcc, v23, v18
	s_and_saveexec_b64 s[2:3], vcc
	s_cbranch_execz .LBB2533_132
.LBB2533_195:
	v_lshlrev_b32_e32 v21, 1, v23
	v_readfirstlane_b32 s4, v2
	v_readfirstlane_b32 s5, v3
	s_waitcnt lgkmcnt(6)
	s_nop 3
	global_store_short v21, v24, s[4:5]
	s_or_b64 exec, exec, s[2:3]
	v_cmp_lt_u32_e32 vcc, v19, v18
	s_and_saveexec_b64 s[2:3], vcc
	s_cbranch_execz .LBB2533_133
.LBB2533_196:
	v_lshlrev_b32_e32 v21, 1, v19
	v_readfirstlane_b32 s4, v2
	v_readfirstlane_b32 s5, v3
	s_waitcnt lgkmcnt(5)
	s_nop 3
	global_store_short v21, v22, s[4:5]
	s_or_b64 exec, exec, s[2:3]
	v_cmp_lt_u32_e32 vcc, v16, v18
	s_and_saveexec_b64 s[2:3], vcc
	s_cbranch_execz .LBB2533_134
.LBB2533_197:
	v_lshlrev_b32_e32 v21, 1, v16
	v_readfirstlane_b32 s4, v2
	v_readfirstlane_b32 s5, v3
	s_waitcnt lgkmcnt(4)
	s_nop 3
	global_store_short v21, v17, s[4:5]
	s_or_b64 exec, exec, s[2:3]
	v_cmp_lt_u32_e32 vcc, v13, v18
	s_and_saveexec_b64 s[2:3], vcc
	s_cbranch_execz .LBB2533_135
.LBB2533_198:
	v_lshlrev_b32_e32 v21, 1, v13
	v_readfirstlane_b32 s4, v2
	v_readfirstlane_b32 s5, v3
	s_waitcnt lgkmcnt(3)
	s_nop 3
	global_store_short v21, v12, s[4:5]
	s_or_b64 exec, exec, s[2:3]
	v_cmp_lt_u32_e32 vcc, v11, v18
	s_and_saveexec_b64 s[2:3], vcc
	s_cbranch_execz .LBB2533_136
.LBB2533_199:
	v_lshlrev_b32_e32 v21, 1, v11
	v_readfirstlane_b32 s4, v2
	v_readfirstlane_b32 s5, v3
	s_waitcnt lgkmcnt(2)
	s_nop 3
	global_store_short v21, v10, s[4:5]
	s_or_b64 exec, exec, s[2:3]
	v_cmp_lt_u32_e32 vcc, v9, v18
	s_and_saveexec_b64 s[2:3], vcc
	s_cbranch_execnz .LBB2533_137
	s_branch .LBB2533_138
.LBB2533_200:
	v_readfirstlane_b32 s4, v2
	v_readfirstlane_b32 s5, v3
	s_waitcnt lgkmcnt(14)
	s_nop 3
	global_store_short v1, v65, s[4:5]
	s_or_b64 exec, exec, s[2:3]
	v_cmp_lt_u32_e32 vcc, v63, v66
	s_and_saveexec_b64 s[2:3], vcc
	s_cbranch_execz .LBB2533_142
.LBB2533_201:
	v_readfirstlane_b32 s4, v2
	v_readfirstlane_b32 s5, v3
	s_waitcnt lgkmcnt(14)
	s_nop 3
	global_store_short v1, v64, s[4:5] offset:512
	s_or_b64 exec, exec, s[2:3]
	v_cmp_lt_u32_e32 vcc, v61, v66
	s_and_saveexec_b64 s[2:3], vcc
	s_cbranch_execz .LBB2533_143
.LBB2533_202:
	v_readfirstlane_b32 s4, v2
	v_readfirstlane_b32 s5, v3
	s_waitcnt lgkmcnt(14)
	s_nop 3
	global_store_short v1, v62, s[4:5] offset:1024
	s_or_b64 exec, exec, s[2:3]
	v_cmp_lt_u32_e32 vcc, v59, v66
	s_and_saveexec_b64 s[2:3], vcc
	s_cbranch_execz .LBB2533_144
.LBB2533_203:
	v_readfirstlane_b32 s4, v2
	v_readfirstlane_b32 s5, v3
	s_waitcnt lgkmcnt(14)
	s_nop 3
	global_store_short v1, v60, s[4:5] offset:1536
	s_or_b64 exec, exec, s[2:3]
	v_cmp_lt_u32_e32 vcc, v57, v66
	s_and_saveexec_b64 s[2:3], vcc
	s_cbranch_execz .LBB2533_145
.LBB2533_204:
	v_readfirstlane_b32 s4, v2
	v_readfirstlane_b32 s5, v3
	s_waitcnt lgkmcnt(14)
	s_nop 3
	global_store_short v1, v58, s[4:5] offset:2048
	s_or_b64 exec, exec, s[2:3]
	v_cmp_lt_u32_e32 vcc, v56, v66
	s_and_saveexec_b64 s[2:3], vcc
	s_cbranch_execz .LBB2533_146
.LBB2533_205:
	v_readfirstlane_b32 s4, v2
	v_readfirstlane_b32 s5, v3
	s_waitcnt lgkmcnt(14)
	s_nop 3
	global_store_short v1, v55, s[4:5] offset:2560
	s_or_b64 exec, exec, s[2:3]
	v_cmp_lt_u32_e32 vcc, v54, v66
	s_and_saveexec_b64 s[2:3], vcc
	s_cbranch_execz .LBB2533_147
.LBB2533_206:
	v_readfirstlane_b32 s4, v2
	v_readfirstlane_b32 s5, v3
	s_waitcnt lgkmcnt(14)
	s_nop 3
	global_store_short v1, v53, s[4:5] offset:3072
	s_or_b64 exec, exec, s[2:3]
	v_cmp_lt_u32_e32 vcc, v52, v66
	s_and_saveexec_b64 s[2:3], vcc
	s_cbranch_execz .LBB2533_148
.LBB2533_207:
	v_readfirstlane_b32 s4, v2
	v_readfirstlane_b32 s5, v3
	s_waitcnt lgkmcnt(14)
	s_nop 3
	global_store_short v1, v50, s[4:5] offset:3584
	s_or_b64 exec, exec, s[2:3]
	v_cmp_lt_u32_e32 vcc, v49, v66
	s_and_saveexec_b64 s[2:3], vcc
	s_cbranch_execz .LBB2533_149
.LBB2533_208:
	v_lshlrev_b32_e32 v0, 1, v49
	v_readfirstlane_b32 s4, v2
	v_readfirstlane_b32 s5, v3
	s_waitcnt lgkmcnt(14)
	s_nop 3
	global_store_short v0, v51, s[4:5]
	s_or_b64 exec, exec, s[2:3]
	v_cmp_lt_u32_e32 vcc, v47, v66
	s_and_saveexec_b64 s[2:3], vcc
	s_cbranch_execz .LBB2533_150
.LBB2533_209:
	v_lshlrev_b32_e32 v0, 1, v47
	v_readfirstlane_b32 s4, v2
	v_readfirstlane_b32 s5, v3
	s_waitcnt lgkmcnt(14)
	s_nop 3
	global_store_short v0, v48, s[4:5]
	s_or_b64 exec, exec, s[2:3]
	v_cmp_lt_u32_e32 vcc, v45, v66
	s_and_saveexec_b64 s[2:3], vcc
	s_cbranch_execz .LBB2533_151
.LBB2533_210:
	v_lshlrev_b32_e32 v0, 1, v45
	v_readfirstlane_b32 s4, v2
	v_readfirstlane_b32 s5, v3
	s_waitcnt lgkmcnt(14)
	s_nop 3
	global_store_short v0, v46, s[4:5]
	s_or_b64 exec, exec, s[2:3]
	v_cmp_lt_u32_e32 vcc, v43, v66
	s_and_saveexec_b64 s[2:3], vcc
	s_cbranch_execz .LBB2533_152
.LBB2533_211:
	v_lshlrev_b32_e32 v0, 1, v43
	v_readfirstlane_b32 s4, v2
	v_readfirstlane_b32 s5, v3
	s_waitcnt lgkmcnt(14)
	s_nop 3
	global_store_short v0, v44, s[4:5]
	s_or_b64 exec, exec, s[2:3]
	v_cmp_lt_u32_e32 vcc, v41, v66
	s_and_saveexec_b64 s[2:3], vcc
	s_cbranch_execz .LBB2533_153
.LBB2533_212:
	v_lshlrev_b32_e32 v0, 1, v41
	v_readfirstlane_b32 s4, v2
	v_readfirstlane_b32 s5, v3
	s_waitcnt lgkmcnt(14)
	s_nop 3
	global_store_short v0, v42, s[4:5]
	s_or_b64 exec, exec, s[2:3]
	v_cmp_lt_u32_e32 vcc, v39, v66
	s_and_saveexec_b64 s[2:3], vcc
	s_cbranch_execz .LBB2533_154
.LBB2533_213:
	v_lshlrev_b32_e32 v0, 1, v39
	v_readfirstlane_b32 s4, v2
	v_readfirstlane_b32 s5, v3
	s_waitcnt lgkmcnt(14)
	s_nop 3
	global_store_short v0, v40, s[4:5]
	s_or_b64 exec, exec, s[2:3]
	v_cmp_lt_u32_e32 vcc, v37, v66
	s_and_saveexec_b64 s[2:3], vcc
	s_cbranch_execz .LBB2533_155
.LBB2533_214:
	v_lshlrev_b32_e32 v0, 1, v37
	v_readfirstlane_b32 s4, v2
	v_readfirstlane_b32 s5, v3
	s_waitcnt lgkmcnt(13)
	s_nop 3
	global_store_short v0, v38, s[4:5]
	s_or_b64 exec, exec, s[2:3]
	v_cmp_lt_u32_e32 vcc, v34, v66
	s_and_saveexec_b64 s[2:3], vcc
	s_cbranch_execz .LBB2533_156
.LBB2533_215:
	v_lshlrev_b32_e32 v0, 1, v34
	v_readfirstlane_b32 s4, v2
	v_readfirstlane_b32 s5, v3
	s_waitcnt lgkmcnt(12)
	s_nop 3
	global_store_short v0, v35, s[4:5]
	s_or_b64 exec, exec, s[2:3]
	v_cmp_lt_u32_e32 vcc, v33, v66
	s_and_saveexec_b64 s[2:3], vcc
	s_cbranch_execz .LBB2533_157
.LBB2533_216:
	v_lshlrev_b32_e32 v0, 1, v33
	v_readfirstlane_b32 s4, v2
	v_readfirstlane_b32 s5, v3
	s_waitcnt lgkmcnt(11)
	s_nop 3
	global_store_short v0, v36, s[4:5]
	s_or_b64 exec, exec, s[2:3]
	v_cmp_lt_u32_e32 vcc, v31, v66
	s_and_saveexec_b64 s[2:3], vcc
	s_cbranch_execz .LBB2533_158
.LBB2533_217:
	v_lshlrev_b32_e32 v0, 1, v31
	v_readfirstlane_b32 s4, v2
	v_readfirstlane_b32 s5, v3
	s_waitcnt lgkmcnt(10)
	s_nop 3
	global_store_short v0, v32, s[4:5]
	s_or_b64 exec, exec, s[2:3]
	v_cmp_lt_u32_e32 vcc, v29, v66
	s_and_saveexec_b64 s[2:3], vcc
	s_cbranch_execz .LBB2533_159
.LBB2533_218:
	v_lshlrev_b32_e32 v0, 1, v29
	v_readfirstlane_b32 s4, v2
	v_readfirstlane_b32 s5, v3
	s_waitcnt lgkmcnt(9)
	s_nop 3
	global_store_short v0, v30, s[4:5]
	s_or_b64 exec, exec, s[2:3]
	v_cmp_lt_u32_e32 vcc, v27, v66
	s_and_saveexec_b64 s[2:3], vcc
	s_cbranch_execz .LBB2533_160
.LBB2533_219:
	v_lshlrev_b32_e32 v0, 1, v27
	v_readfirstlane_b32 s4, v2
	v_readfirstlane_b32 s5, v3
	s_waitcnt lgkmcnt(8)
	s_nop 3
	global_store_short v0, v28, s[4:5]
	s_or_b64 exec, exec, s[2:3]
	v_cmp_lt_u32_e32 vcc, v25, v66
	s_and_saveexec_b64 s[2:3], vcc
	s_cbranch_execz .LBB2533_161
.LBB2533_220:
	v_lshlrev_b32_e32 v0, 1, v25
	v_readfirstlane_b32 s4, v2
	v_readfirstlane_b32 s5, v3
	s_waitcnt lgkmcnt(7)
	s_nop 3
	global_store_short v0, v26, s[4:5]
	s_or_b64 exec, exec, s[2:3]
	v_cmp_lt_u32_e32 vcc, v23, v66
	s_and_saveexec_b64 s[2:3], vcc
	s_cbranch_execz .LBB2533_162
.LBB2533_221:
	v_lshlrev_b32_e32 v0, 1, v23
	v_readfirstlane_b32 s4, v2
	v_readfirstlane_b32 s5, v3
	s_waitcnt lgkmcnt(6)
	s_nop 3
	global_store_short v0, v24, s[4:5]
	s_or_b64 exec, exec, s[2:3]
	v_cmp_lt_u32_e32 vcc, v19, v66
	s_and_saveexec_b64 s[2:3], vcc
	s_cbranch_execz .LBB2533_163
.LBB2533_222:
	v_lshlrev_b32_e32 v0, 1, v19
	v_readfirstlane_b32 s4, v2
	v_readfirstlane_b32 s5, v3
	s_waitcnt lgkmcnt(5)
	s_nop 3
	global_store_short v0, v22, s[4:5]
	s_or_b64 exec, exec, s[2:3]
	v_cmp_lt_u32_e32 vcc, v16, v66
	s_and_saveexec_b64 s[2:3], vcc
	s_cbranch_execz .LBB2533_164
.LBB2533_223:
	v_lshlrev_b32_e32 v0, 1, v16
	v_readfirstlane_b32 s4, v2
	v_readfirstlane_b32 s5, v3
	s_waitcnt lgkmcnt(4)
	s_nop 3
	global_store_short v0, v17, s[4:5]
	s_or_b64 exec, exec, s[2:3]
	v_cmp_lt_u32_e32 vcc, v13, v66
	s_and_saveexec_b64 s[2:3], vcc
	s_cbranch_execz .LBB2533_165
.LBB2533_224:
	v_lshlrev_b32_e32 v0, 1, v13
	v_readfirstlane_b32 s4, v2
	v_readfirstlane_b32 s5, v3
	s_waitcnt lgkmcnt(3)
	s_nop 3
	global_store_short v0, v12, s[4:5]
	s_or_b64 exec, exec, s[2:3]
	v_cmp_lt_u32_e32 vcc, v11, v66
	s_and_saveexec_b64 s[2:3], vcc
	s_cbranch_execz .LBB2533_166
.LBB2533_225:
	v_lshlrev_b32_e32 v0, 1, v11
	v_readfirstlane_b32 s4, v2
	v_readfirstlane_b32 s5, v3
	s_waitcnt lgkmcnt(2)
	s_nop 3
	global_store_short v0, v10, s[4:5]
	s_or_b64 exec, exec, s[2:3]
	v_cmp_lt_u32_e32 vcc, v9, v66
	s_and_saveexec_b64 s[2:3], vcc
	s_cbranch_execnz .LBB2533_167
	s_branch .LBB2533_168
	.section	.rodata,"a",@progbits
	.p2align	6, 0x0
	.amdhsa_kernel _ZN7rocprim17ROCPRIM_400000_NS6detail17trampoline_kernelINS0_14default_configENS1_25partition_config_selectorILNS1_17partition_subalgoE0EtNS0_10empty_typeEbEEZZNS1_14partition_implILS5_0ELb0ES3_jN6thrust23THRUST_200600_302600_NS6detail15normal_iteratorINSA_10device_ptrItEEEEPS6_SG_NS0_5tupleIJSF_NSA_16discard_iteratorINSA_11use_defaultEEEEEENSH_IJSG_SG_EEES6_PlJ7is_evenItEEEE10hipError_tPvRmT3_T4_T5_T6_T7_T9_mT8_P12ihipStream_tbDpT10_ENKUlT_T0_E_clISt17integral_constantIbLb1EES19_EEDaS14_S15_EUlS14_E_NS1_11comp_targetILNS1_3genE4ELNS1_11target_archE910ELNS1_3gpuE8ELNS1_3repE0EEENS1_30default_config_static_selectorELNS0_4arch9wavefront6targetE1EEEvT1_
		.amdhsa_group_segment_fixed_size 14344
		.amdhsa_private_segment_fixed_size 0
		.amdhsa_kernarg_size 144
		.amdhsa_user_sgpr_count 6
		.amdhsa_user_sgpr_private_segment_buffer 1
		.amdhsa_user_sgpr_dispatch_ptr 0
		.amdhsa_user_sgpr_queue_ptr 0
		.amdhsa_user_sgpr_kernarg_segment_ptr 1
		.amdhsa_user_sgpr_dispatch_id 0
		.amdhsa_user_sgpr_flat_scratch_init 0
		.amdhsa_user_sgpr_kernarg_preload_length 0
		.amdhsa_user_sgpr_kernarg_preload_offset 0
		.amdhsa_user_sgpr_private_segment_size 0
		.amdhsa_uses_dynamic_stack 0
		.amdhsa_system_sgpr_private_segment_wavefront_offset 0
		.amdhsa_system_sgpr_workgroup_id_x 1
		.amdhsa_system_sgpr_workgroup_id_y 0
		.amdhsa_system_sgpr_workgroup_id_z 0
		.amdhsa_system_sgpr_workgroup_info 0
		.amdhsa_system_vgpr_workitem_id 0
		.amdhsa_next_free_vgpr 116
		.amdhsa_next_free_sgpr 40
		.amdhsa_accum_offset 116
		.amdhsa_reserve_vcc 1
		.amdhsa_reserve_flat_scratch 0
		.amdhsa_float_round_mode_32 0
		.amdhsa_float_round_mode_16_64 0
		.amdhsa_float_denorm_mode_32 3
		.amdhsa_float_denorm_mode_16_64 3
		.amdhsa_dx10_clamp 1
		.amdhsa_ieee_mode 1
		.amdhsa_fp16_overflow 0
		.amdhsa_tg_split 0
		.amdhsa_exception_fp_ieee_invalid_op 0
		.amdhsa_exception_fp_denorm_src 0
		.amdhsa_exception_fp_ieee_div_zero 0
		.amdhsa_exception_fp_ieee_overflow 0
		.amdhsa_exception_fp_ieee_underflow 0
		.amdhsa_exception_fp_ieee_inexact 0
		.amdhsa_exception_int_div_zero 0
	.end_amdhsa_kernel
	.section	.text._ZN7rocprim17ROCPRIM_400000_NS6detail17trampoline_kernelINS0_14default_configENS1_25partition_config_selectorILNS1_17partition_subalgoE0EtNS0_10empty_typeEbEEZZNS1_14partition_implILS5_0ELb0ES3_jN6thrust23THRUST_200600_302600_NS6detail15normal_iteratorINSA_10device_ptrItEEEEPS6_SG_NS0_5tupleIJSF_NSA_16discard_iteratorINSA_11use_defaultEEEEEENSH_IJSG_SG_EEES6_PlJ7is_evenItEEEE10hipError_tPvRmT3_T4_T5_T6_T7_T9_mT8_P12ihipStream_tbDpT10_ENKUlT_T0_E_clISt17integral_constantIbLb1EES19_EEDaS14_S15_EUlS14_E_NS1_11comp_targetILNS1_3genE4ELNS1_11target_archE910ELNS1_3gpuE8ELNS1_3repE0EEENS1_30default_config_static_selectorELNS0_4arch9wavefront6targetE1EEEvT1_,"axG",@progbits,_ZN7rocprim17ROCPRIM_400000_NS6detail17trampoline_kernelINS0_14default_configENS1_25partition_config_selectorILNS1_17partition_subalgoE0EtNS0_10empty_typeEbEEZZNS1_14partition_implILS5_0ELb0ES3_jN6thrust23THRUST_200600_302600_NS6detail15normal_iteratorINSA_10device_ptrItEEEEPS6_SG_NS0_5tupleIJSF_NSA_16discard_iteratorINSA_11use_defaultEEEEEENSH_IJSG_SG_EEES6_PlJ7is_evenItEEEE10hipError_tPvRmT3_T4_T5_T6_T7_T9_mT8_P12ihipStream_tbDpT10_ENKUlT_T0_E_clISt17integral_constantIbLb1EES19_EEDaS14_S15_EUlS14_E_NS1_11comp_targetILNS1_3genE4ELNS1_11target_archE910ELNS1_3gpuE8ELNS1_3repE0EEENS1_30default_config_static_selectorELNS0_4arch9wavefront6targetE1EEEvT1_,comdat
.Lfunc_end2533:
	.size	_ZN7rocprim17ROCPRIM_400000_NS6detail17trampoline_kernelINS0_14default_configENS1_25partition_config_selectorILNS1_17partition_subalgoE0EtNS0_10empty_typeEbEEZZNS1_14partition_implILS5_0ELb0ES3_jN6thrust23THRUST_200600_302600_NS6detail15normal_iteratorINSA_10device_ptrItEEEEPS6_SG_NS0_5tupleIJSF_NSA_16discard_iteratorINSA_11use_defaultEEEEEENSH_IJSG_SG_EEES6_PlJ7is_evenItEEEE10hipError_tPvRmT3_T4_T5_T6_T7_T9_mT8_P12ihipStream_tbDpT10_ENKUlT_T0_E_clISt17integral_constantIbLb1EES19_EEDaS14_S15_EUlS14_E_NS1_11comp_targetILNS1_3genE4ELNS1_11target_archE910ELNS1_3gpuE8ELNS1_3repE0EEENS1_30default_config_static_selectorELNS0_4arch9wavefront6targetE1EEEvT1_, .Lfunc_end2533-_ZN7rocprim17ROCPRIM_400000_NS6detail17trampoline_kernelINS0_14default_configENS1_25partition_config_selectorILNS1_17partition_subalgoE0EtNS0_10empty_typeEbEEZZNS1_14partition_implILS5_0ELb0ES3_jN6thrust23THRUST_200600_302600_NS6detail15normal_iteratorINSA_10device_ptrItEEEEPS6_SG_NS0_5tupleIJSF_NSA_16discard_iteratorINSA_11use_defaultEEEEEENSH_IJSG_SG_EEES6_PlJ7is_evenItEEEE10hipError_tPvRmT3_T4_T5_T6_T7_T9_mT8_P12ihipStream_tbDpT10_ENKUlT_T0_E_clISt17integral_constantIbLb1EES19_EEDaS14_S15_EUlS14_E_NS1_11comp_targetILNS1_3genE4ELNS1_11target_archE910ELNS1_3gpuE8ELNS1_3repE0EEENS1_30default_config_static_selectorELNS0_4arch9wavefront6targetE1EEEvT1_
                                        ; -- End function
	.section	.AMDGPU.csdata,"",@progbits
; Kernel info:
; codeLenInByte = 10436
; NumSgprs: 44
; NumVgprs: 116
; NumAgprs: 0
; TotalNumVgprs: 116
; ScratchSize: 0
; MemoryBound: 0
; FloatMode: 240
; IeeeMode: 1
; LDSByteSize: 14344 bytes/workgroup (compile time only)
; SGPRBlocks: 5
; VGPRBlocks: 14
; NumSGPRsForWavesPerEU: 44
; NumVGPRsForWavesPerEU: 116
; AccumOffset: 116
; Occupancy: 4
; WaveLimiterHint : 1
; COMPUTE_PGM_RSRC2:SCRATCH_EN: 0
; COMPUTE_PGM_RSRC2:USER_SGPR: 6
; COMPUTE_PGM_RSRC2:TRAP_HANDLER: 0
; COMPUTE_PGM_RSRC2:TGID_X_EN: 1
; COMPUTE_PGM_RSRC2:TGID_Y_EN: 0
; COMPUTE_PGM_RSRC2:TGID_Z_EN: 0
; COMPUTE_PGM_RSRC2:TIDIG_COMP_CNT: 0
; COMPUTE_PGM_RSRC3_GFX90A:ACCUM_OFFSET: 28
; COMPUTE_PGM_RSRC3_GFX90A:TG_SPLIT: 0
	.section	.text._ZN7rocprim17ROCPRIM_400000_NS6detail17trampoline_kernelINS0_14default_configENS1_25partition_config_selectorILNS1_17partition_subalgoE0EtNS0_10empty_typeEbEEZZNS1_14partition_implILS5_0ELb0ES3_jN6thrust23THRUST_200600_302600_NS6detail15normal_iteratorINSA_10device_ptrItEEEEPS6_SG_NS0_5tupleIJSF_NSA_16discard_iteratorINSA_11use_defaultEEEEEENSH_IJSG_SG_EEES6_PlJ7is_evenItEEEE10hipError_tPvRmT3_T4_T5_T6_T7_T9_mT8_P12ihipStream_tbDpT10_ENKUlT_T0_E_clISt17integral_constantIbLb1EES19_EEDaS14_S15_EUlS14_E_NS1_11comp_targetILNS1_3genE3ELNS1_11target_archE908ELNS1_3gpuE7ELNS1_3repE0EEENS1_30default_config_static_selectorELNS0_4arch9wavefront6targetE1EEEvT1_,"axG",@progbits,_ZN7rocprim17ROCPRIM_400000_NS6detail17trampoline_kernelINS0_14default_configENS1_25partition_config_selectorILNS1_17partition_subalgoE0EtNS0_10empty_typeEbEEZZNS1_14partition_implILS5_0ELb0ES3_jN6thrust23THRUST_200600_302600_NS6detail15normal_iteratorINSA_10device_ptrItEEEEPS6_SG_NS0_5tupleIJSF_NSA_16discard_iteratorINSA_11use_defaultEEEEEENSH_IJSG_SG_EEES6_PlJ7is_evenItEEEE10hipError_tPvRmT3_T4_T5_T6_T7_T9_mT8_P12ihipStream_tbDpT10_ENKUlT_T0_E_clISt17integral_constantIbLb1EES19_EEDaS14_S15_EUlS14_E_NS1_11comp_targetILNS1_3genE3ELNS1_11target_archE908ELNS1_3gpuE7ELNS1_3repE0EEENS1_30default_config_static_selectorELNS0_4arch9wavefront6targetE1EEEvT1_,comdat
	.protected	_ZN7rocprim17ROCPRIM_400000_NS6detail17trampoline_kernelINS0_14default_configENS1_25partition_config_selectorILNS1_17partition_subalgoE0EtNS0_10empty_typeEbEEZZNS1_14partition_implILS5_0ELb0ES3_jN6thrust23THRUST_200600_302600_NS6detail15normal_iteratorINSA_10device_ptrItEEEEPS6_SG_NS0_5tupleIJSF_NSA_16discard_iteratorINSA_11use_defaultEEEEEENSH_IJSG_SG_EEES6_PlJ7is_evenItEEEE10hipError_tPvRmT3_T4_T5_T6_T7_T9_mT8_P12ihipStream_tbDpT10_ENKUlT_T0_E_clISt17integral_constantIbLb1EES19_EEDaS14_S15_EUlS14_E_NS1_11comp_targetILNS1_3genE3ELNS1_11target_archE908ELNS1_3gpuE7ELNS1_3repE0EEENS1_30default_config_static_selectorELNS0_4arch9wavefront6targetE1EEEvT1_ ; -- Begin function _ZN7rocprim17ROCPRIM_400000_NS6detail17trampoline_kernelINS0_14default_configENS1_25partition_config_selectorILNS1_17partition_subalgoE0EtNS0_10empty_typeEbEEZZNS1_14partition_implILS5_0ELb0ES3_jN6thrust23THRUST_200600_302600_NS6detail15normal_iteratorINSA_10device_ptrItEEEEPS6_SG_NS0_5tupleIJSF_NSA_16discard_iteratorINSA_11use_defaultEEEEEENSH_IJSG_SG_EEES6_PlJ7is_evenItEEEE10hipError_tPvRmT3_T4_T5_T6_T7_T9_mT8_P12ihipStream_tbDpT10_ENKUlT_T0_E_clISt17integral_constantIbLb1EES19_EEDaS14_S15_EUlS14_E_NS1_11comp_targetILNS1_3genE3ELNS1_11target_archE908ELNS1_3gpuE7ELNS1_3repE0EEENS1_30default_config_static_selectorELNS0_4arch9wavefront6targetE1EEEvT1_
	.globl	_ZN7rocprim17ROCPRIM_400000_NS6detail17trampoline_kernelINS0_14default_configENS1_25partition_config_selectorILNS1_17partition_subalgoE0EtNS0_10empty_typeEbEEZZNS1_14partition_implILS5_0ELb0ES3_jN6thrust23THRUST_200600_302600_NS6detail15normal_iteratorINSA_10device_ptrItEEEEPS6_SG_NS0_5tupleIJSF_NSA_16discard_iteratorINSA_11use_defaultEEEEEENSH_IJSG_SG_EEES6_PlJ7is_evenItEEEE10hipError_tPvRmT3_T4_T5_T6_T7_T9_mT8_P12ihipStream_tbDpT10_ENKUlT_T0_E_clISt17integral_constantIbLb1EES19_EEDaS14_S15_EUlS14_E_NS1_11comp_targetILNS1_3genE3ELNS1_11target_archE908ELNS1_3gpuE7ELNS1_3repE0EEENS1_30default_config_static_selectorELNS0_4arch9wavefront6targetE1EEEvT1_
	.p2align	8
	.type	_ZN7rocprim17ROCPRIM_400000_NS6detail17trampoline_kernelINS0_14default_configENS1_25partition_config_selectorILNS1_17partition_subalgoE0EtNS0_10empty_typeEbEEZZNS1_14partition_implILS5_0ELb0ES3_jN6thrust23THRUST_200600_302600_NS6detail15normal_iteratorINSA_10device_ptrItEEEEPS6_SG_NS0_5tupleIJSF_NSA_16discard_iteratorINSA_11use_defaultEEEEEENSH_IJSG_SG_EEES6_PlJ7is_evenItEEEE10hipError_tPvRmT3_T4_T5_T6_T7_T9_mT8_P12ihipStream_tbDpT10_ENKUlT_T0_E_clISt17integral_constantIbLb1EES19_EEDaS14_S15_EUlS14_E_NS1_11comp_targetILNS1_3genE3ELNS1_11target_archE908ELNS1_3gpuE7ELNS1_3repE0EEENS1_30default_config_static_selectorELNS0_4arch9wavefront6targetE1EEEvT1_,@function
_ZN7rocprim17ROCPRIM_400000_NS6detail17trampoline_kernelINS0_14default_configENS1_25partition_config_selectorILNS1_17partition_subalgoE0EtNS0_10empty_typeEbEEZZNS1_14partition_implILS5_0ELb0ES3_jN6thrust23THRUST_200600_302600_NS6detail15normal_iteratorINSA_10device_ptrItEEEEPS6_SG_NS0_5tupleIJSF_NSA_16discard_iteratorINSA_11use_defaultEEEEEENSH_IJSG_SG_EEES6_PlJ7is_evenItEEEE10hipError_tPvRmT3_T4_T5_T6_T7_T9_mT8_P12ihipStream_tbDpT10_ENKUlT_T0_E_clISt17integral_constantIbLb1EES19_EEDaS14_S15_EUlS14_E_NS1_11comp_targetILNS1_3genE3ELNS1_11target_archE908ELNS1_3gpuE7ELNS1_3repE0EEENS1_30default_config_static_selectorELNS0_4arch9wavefront6targetE1EEEvT1_: ; @_ZN7rocprim17ROCPRIM_400000_NS6detail17trampoline_kernelINS0_14default_configENS1_25partition_config_selectorILNS1_17partition_subalgoE0EtNS0_10empty_typeEbEEZZNS1_14partition_implILS5_0ELb0ES3_jN6thrust23THRUST_200600_302600_NS6detail15normal_iteratorINSA_10device_ptrItEEEEPS6_SG_NS0_5tupleIJSF_NSA_16discard_iteratorINSA_11use_defaultEEEEEENSH_IJSG_SG_EEES6_PlJ7is_evenItEEEE10hipError_tPvRmT3_T4_T5_T6_T7_T9_mT8_P12ihipStream_tbDpT10_ENKUlT_T0_E_clISt17integral_constantIbLb1EES19_EEDaS14_S15_EUlS14_E_NS1_11comp_targetILNS1_3genE3ELNS1_11target_archE908ELNS1_3gpuE7ELNS1_3repE0EEENS1_30default_config_static_selectorELNS0_4arch9wavefront6targetE1EEEvT1_
; %bb.0:
	.section	.rodata,"a",@progbits
	.p2align	6, 0x0
	.amdhsa_kernel _ZN7rocprim17ROCPRIM_400000_NS6detail17trampoline_kernelINS0_14default_configENS1_25partition_config_selectorILNS1_17partition_subalgoE0EtNS0_10empty_typeEbEEZZNS1_14partition_implILS5_0ELb0ES3_jN6thrust23THRUST_200600_302600_NS6detail15normal_iteratorINSA_10device_ptrItEEEEPS6_SG_NS0_5tupleIJSF_NSA_16discard_iteratorINSA_11use_defaultEEEEEENSH_IJSG_SG_EEES6_PlJ7is_evenItEEEE10hipError_tPvRmT3_T4_T5_T6_T7_T9_mT8_P12ihipStream_tbDpT10_ENKUlT_T0_E_clISt17integral_constantIbLb1EES19_EEDaS14_S15_EUlS14_E_NS1_11comp_targetILNS1_3genE3ELNS1_11target_archE908ELNS1_3gpuE7ELNS1_3repE0EEENS1_30default_config_static_selectorELNS0_4arch9wavefront6targetE1EEEvT1_
		.amdhsa_group_segment_fixed_size 0
		.amdhsa_private_segment_fixed_size 0
		.amdhsa_kernarg_size 144
		.amdhsa_user_sgpr_count 6
		.amdhsa_user_sgpr_private_segment_buffer 1
		.amdhsa_user_sgpr_dispatch_ptr 0
		.amdhsa_user_sgpr_queue_ptr 0
		.amdhsa_user_sgpr_kernarg_segment_ptr 1
		.amdhsa_user_sgpr_dispatch_id 0
		.amdhsa_user_sgpr_flat_scratch_init 0
		.amdhsa_user_sgpr_kernarg_preload_length 0
		.amdhsa_user_sgpr_kernarg_preload_offset 0
		.amdhsa_user_sgpr_private_segment_size 0
		.amdhsa_uses_dynamic_stack 0
		.amdhsa_system_sgpr_private_segment_wavefront_offset 0
		.amdhsa_system_sgpr_workgroup_id_x 1
		.amdhsa_system_sgpr_workgroup_id_y 0
		.amdhsa_system_sgpr_workgroup_id_z 0
		.amdhsa_system_sgpr_workgroup_info 0
		.amdhsa_system_vgpr_workitem_id 0
		.amdhsa_next_free_vgpr 1
		.amdhsa_next_free_sgpr 0
		.amdhsa_accum_offset 4
		.amdhsa_reserve_vcc 0
		.amdhsa_reserve_flat_scratch 0
		.amdhsa_float_round_mode_32 0
		.amdhsa_float_round_mode_16_64 0
		.amdhsa_float_denorm_mode_32 3
		.amdhsa_float_denorm_mode_16_64 3
		.amdhsa_dx10_clamp 1
		.amdhsa_ieee_mode 1
		.amdhsa_fp16_overflow 0
		.amdhsa_tg_split 0
		.amdhsa_exception_fp_ieee_invalid_op 0
		.amdhsa_exception_fp_denorm_src 0
		.amdhsa_exception_fp_ieee_div_zero 0
		.amdhsa_exception_fp_ieee_overflow 0
		.amdhsa_exception_fp_ieee_underflow 0
		.amdhsa_exception_fp_ieee_inexact 0
		.amdhsa_exception_int_div_zero 0
	.end_amdhsa_kernel
	.section	.text._ZN7rocprim17ROCPRIM_400000_NS6detail17trampoline_kernelINS0_14default_configENS1_25partition_config_selectorILNS1_17partition_subalgoE0EtNS0_10empty_typeEbEEZZNS1_14partition_implILS5_0ELb0ES3_jN6thrust23THRUST_200600_302600_NS6detail15normal_iteratorINSA_10device_ptrItEEEEPS6_SG_NS0_5tupleIJSF_NSA_16discard_iteratorINSA_11use_defaultEEEEEENSH_IJSG_SG_EEES6_PlJ7is_evenItEEEE10hipError_tPvRmT3_T4_T5_T6_T7_T9_mT8_P12ihipStream_tbDpT10_ENKUlT_T0_E_clISt17integral_constantIbLb1EES19_EEDaS14_S15_EUlS14_E_NS1_11comp_targetILNS1_3genE3ELNS1_11target_archE908ELNS1_3gpuE7ELNS1_3repE0EEENS1_30default_config_static_selectorELNS0_4arch9wavefront6targetE1EEEvT1_,"axG",@progbits,_ZN7rocprim17ROCPRIM_400000_NS6detail17trampoline_kernelINS0_14default_configENS1_25partition_config_selectorILNS1_17partition_subalgoE0EtNS0_10empty_typeEbEEZZNS1_14partition_implILS5_0ELb0ES3_jN6thrust23THRUST_200600_302600_NS6detail15normal_iteratorINSA_10device_ptrItEEEEPS6_SG_NS0_5tupleIJSF_NSA_16discard_iteratorINSA_11use_defaultEEEEEENSH_IJSG_SG_EEES6_PlJ7is_evenItEEEE10hipError_tPvRmT3_T4_T5_T6_T7_T9_mT8_P12ihipStream_tbDpT10_ENKUlT_T0_E_clISt17integral_constantIbLb1EES19_EEDaS14_S15_EUlS14_E_NS1_11comp_targetILNS1_3genE3ELNS1_11target_archE908ELNS1_3gpuE7ELNS1_3repE0EEENS1_30default_config_static_selectorELNS0_4arch9wavefront6targetE1EEEvT1_,comdat
.Lfunc_end2534:
	.size	_ZN7rocprim17ROCPRIM_400000_NS6detail17trampoline_kernelINS0_14default_configENS1_25partition_config_selectorILNS1_17partition_subalgoE0EtNS0_10empty_typeEbEEZZNS1_14partition_implILS5_0ELb0ES3_jN6thrust23THRUST_200600_302600_NS6detail15normal_iteratorINSA_10device_ptrItEEEEPS6_SG_NS0_5tupleIJSF_NSA_16discard_iteratorINSA_11use_defaultEEEEEENSH_IJSG_SG_EEES6_PlJ7is_evenItEEEE10hipError_tPvRmT3_T4_T5_T6_T7_T9_mT8_P12ihipStream_tbDpT10_ENKUlT_T0_E_clISt17integral_constantIbLb1EES19_EEDaS14_S15_EUlS14_E_NS1_11comp_targetILNS1_3genE3ELNS1_11target_archE908ELNS1_3gpuE7ELNS1_3repE0EEENS1_30default_config_static_selectorELNS0_4arch9wavefront6targetE1EEEvT1_, .Lfunc_end2534-_ZN7rocprim17ROCPRIM_400000_NS6detail17trampoline_kernelINS0_14default_configENS1_25partition_config_selectorILNS1_17partition_subalgoE0EtNS0_10empty_typeEbEEZZNS1_14partition_implILS5_0ELb0ES3_jN6thrust23THRUST_200600_302600_NS6detail15normal_iteratorINSA_10device_ptrItEEEEPS6_SG_NS0_5tupleIJSF_NSA_16discard_iteratorINSA_11use_defaultEEEEEENSH_IJSG_SG_EEES6_PlJ7is_evenItEEEE10hipError_tPvRmT3_T4_T5_T6_T7_T9_mT8_P12ihipStream_tbDpT10_ENKUlT_T0_E_clISt17integral_constantIbLb1EES19_EEDaS14_S15_EUlS14_E_NS1_11comp_targetILNS1_3genE3ELNS1_11target_archE908ELNS1_3gpuE7ELNS1_3repE0EEENS1_30default_config_static_selectorELNS0_4arch9wavefront6targetE1EEEvT1_
                                        ; -- End function
	.section	.AMDGPU.csdata,"",@progbits
; Kernel info:
; codeLenInByte = 0
; NumSgprs: 4
; NumVgprs: 0
; NumAgprs: 0
; TotalNumVgprs: 0
; ScratchSize: 0
; MemoryBound: 0
; FloatMode: 240
; IeeeMode: 1
; LDSByteSize: 0 bytes/workgroup (compile time only)
; SGPRBlocks: 0
; VGPRBlocks: 0
; NumSGPRsForWavesPerEU: 4
; NumVGPRsForWavesPerEU: 1
; AccumOffset: 4
; Occupancy: 8
; WaveLimiterHint : 0
; COMPUTE_PGM_RSRC2:SCRATCH_EN: 0
; COMPUTE_PGM_RSRC2:USER_SGPR: 6
; COMPUTE_PGM_RSRC2:TRAP_HANDLER: 0
; COMPUTE_PGM_RSRC2:TGID_X_EN: 1
; COMPUTE_PGM_RSRC2:TGID_Y_EN: 0
; COMPUTE_PGM_RSRC2:TGID_Z_EN: 0
; COMPUTE_PGM_RSRC2:TIDIG_COMP_CNT: 0
; COMPUTE_PGM_RSRC3_GFX90A:ACCUM_OFFSET: 0
; COMPUTE_PGM_RSRC3_GFX90A:TG_SPLIT: 0
	.section	.text._ZN7rocprim17ROCPRIM_400000_NS6detail17trampoline_kernelINS0_14default_configENS1_25partition_config_selectorILNS1_17partition_subalgoE0EtNS0_10empty_typeEbEEZZNS1_14partition_implILS5_0ELb0ES3_jN6thrust23THRUST_200600_302600_NS6detail15normal_iteratorINSA_10device_ptrItEEEEPS6_SG_NS0_5tupleIJSF_NSA_16discard_iteratorINSA_11use_defaultEEEEEENSH_IJSG_SG_EEES6_PlJ7is_evenItEEEE10hipError_tPvRmT3_T4_T5_T6_T7_T9_mT8_P12ihipStream_tbDpT10_ENKUlT_T0_E_clISt17integral_constantIbLb1EES19_EEDaS14_S15_EUlS14_E_NS1_11comp_targetILNS1_3genE2ELNS1_11target_archE906ELNS1_3gpuE6ELNS1_3repE0EEENS1_30default_config_static_selectorELNS0_4arch9wavefront6targetE1EEEvT1_,"axG",@progbits,_ZN7rocprim17ROCPRIM_400000_NS6detail17trampoline_kernelINS0_14default_configENS1_25partition_config_selectorILNS1_17partition_subalgoE0EtNS0_10empty_typeEbEEZZNS1_14partition_implILS5_0ELb0ES3_jN6thrust23THRUST_200600_302600_NS6detail15normal_iteratorINSA_10device_ptrItEEEEPS6_SG_NS0_5tupleIJSF_NSA_16discard_iteratorINSA_11use_defaultEEEEEENSH_IJSG_SG_EEES6_PlJ7is_evenItEEEE10hipError_tPvRmT3_T4_T5_T6_T7_T9_mT8_P12ihipStream_tbDpT10_ENKUlT_T0_E_clISt17integral_constantIbLb1EES19_EEDaS14_S15_EUlS14_E_NS1_11comp_targetILNS1_3genE2ELNS1_11target_archE906ELNS1_3gpuE6ELNS1_3repE0EEENS1_30default_config_static_selectorELNS0_4arch9wavefront6targetE1EEEvT1_,comdat
	.protected	_ZN7rocprim17ROCPRIM_400000_NS6detail17trampoline_kernelINS0_14default_configENS1_25partition_config_selectorILNS1_17partition_subalgoE0EtNS0_10empty_typeEbEEZZNS1_14partition_implILS5_0ELb0ES3_jN6thrust23THRUST_200600_302600_NS6detail15normal_iteratorINSA_10device_ptrItEEEEPS6_SG_NS0_5tupleIJSF_NSA_16discard_iteratorINSA_11use_defaultEEEEEENSH_IJSG_SG_EEES6_PlJ7is_evenItEEEE10hipError_tPvRmT3_T4_T5_T6_T7_T9_mT8_P12ihipStream_tbDpT10_ENKUlT_T0_E_clISt17integral_constantIbLb1EES19_EEDaS14_S15_EUlS14_E_NS1_11comp_targetILNS1_3genE2ELNS1_11target_archE906ELNS1_3gpuE6ELNS1_3repE0EEENS1_30default_config_static_selectorELNS0_4arch9wavefront6targetE1EEEvT1_ ; -- Begin function _ZN7rocprim17ROCPRIM_400000_NS6detail17trampoline_kernelINS0_14default_configENS1_25partition_config_selectorILNS1_17partition_subalgoE0EtNS0_10empty_typeEbEEZZNS1_14partition_implILS5_0ELb0ES3_jN6thrust23THRUST_200600_302600_NS6detail15normal_iteratorINSA_10device_ptrItEEEEPS6_SG_NS0_5tupleIJSF_NSA_16discard_iteratorINSA_11use_defaultEEEEEENSH_IJSG_SG_EEES6_PlJ7is_evenItEEEE10hipError_tPvRmT3_T4_T5_T6_T7_T9_mT8_P12ihipStream_tbDpT10_ENKUlT_T0_E_clISt17integral_constantIbLb1EES19_EEDaS14_S15_EUlS14_E_NS1_11comp_targetILNS1_3genE2ELNS1_11target_archE906ELNS1_3gpuE6ELNS1_3repE0EEENS1_30default_config_static_selectorELNS0_4arch9wavefront6targetE1EEEvT1_
	.globl	_ZN7rocprim17ROCPRIM_400000_NS6detail17trampoline_kernelINS0_14default_configENS1_25partition_config_selectorILNS1_17partition_subalgoE0EtNS0_10empty_typeEbEEZZNS1_14partition_implILS5_0ELb0ES3_jN6thrust23THRUST_200600_302600_NS6detail15normal_iteratorINSA_10device_ptrItEEEEPS6_SG_NS0_5tupleIJSF_NSA_16discard_iteratorINSA_11use_defaultEEEEEENSH_IJSG_SG_EEES6_PlJ7is_evenItEEEE10hipError_tPvRmT3_T4_T5_T6_T7_T9_mT8_P12ihipStream_tbDpT10_ENKUlT_T0_E_clISt17integral_constantIbLb1EES19_EEDaS14_S15_EUlS14_E_NS1_11comp_targetILNS1_3genE2ELNS1_11target_archE906ELNS1_3gpuE6ELNS1_3repE0EEENS1_30default_config_static_selectorELNS0_4arch9wavefront6targetE1EEEvT1_
	.p2align	8
	.type	_ZN7rocprim17ROCPRIM_400000_NS6detail17trampoline_kernelINS0_14default_configENS1_25partition_config_selectorILNS1_17partition_subalgoE0EtNS0_10empty_typeEbEEZZNS1_14partition_implILS5_0ELb0ES3_jN6thrust23THRUST_200600_302600_NS6detail15normal_iteratorINSA_10device_ptrItEEEEPS6_SG_NS0_5tupleIJSF_NSA_16discard_iteratorINSA_11use_defaultEEEEEENSH_IJSG_SG_EEES6_PlJ7is_evenItEEEE10hipError_tPvRmT3_T4_T5_T6_T7_T9_mT8_P12ihipStream_tbDpT10_ENKUlT_T0_E_clISt17integral_constantIbLb1EES19_EEDaS14_S15_EUlS14_E_NS1_11comp_targetILNS1_3genE2ELNS1_11target_archE906ELNS1_3gpuE6ELNS1_3repE0EEENS1_30default_config_static_selectorELNS0_4arch9wavefront6targetE1EEEvT1_,@function
_ZN7rocprim17ROCPRIM_400000_NS6detail17trampoline_kernelINS0_14default_configENS1_25partition_config_selectorILNS1_17partition_subalgoE0EtNS0_10empty_typeEbEEZZNS1_14partition_implILS5_0ELb0ES3_jN6thrust23THRUST_200600_302600_NS6detail15normal_iteratorINSA_10device_ptrItEEEEPS6_SG_NS0_5tupleIJSF_NSA_16discard_iteratorINSA_11use_defaultEEEEEENSH_IJSG_SG_EEES6_PlJ7is_evenItEEEE10hipError_tPvRmT3_T4_T5_T6_T7_T9_mT8_P12ihipStream_tbDpT10_ENKUlT_T0_E_clISt17integral_constantIbLb1EES19_EEDaS14_S15_EUlS14_E_NS1_11comp_targetILNS1_3genE2ELNS1_11target_archE906ELNS1_3gpuE6ELNS1_3repE0EEENS1_30default_config_static_selectorELNS0_4arch9wavefront6targetE1EEEvT1_: ; @_ZN7rocprim17ROCPRIM_400000_NS6detail17trampoline_kernelINS0_14default_configENS1_25partition_config_selectorILNS1_17partition_subalgoE0EtNS0_10empty_typeEbEEZZNS1_14partition_implILS5_0ELb0ES3_jN6thrust23THRUST_200600_302600_NS6detail15normal_iteratorINSA_10device_ptrItEEEEPS6_SG_NS0_5tupleIJSF_NSA_16discard_iteratorINSA_11use_defaultEEEEEENSH_IJSG_SG_EEES6_PlJ7is_evenItEEEE10hipError_tPvRmT3_T4_T5_T6_T7_T9_mT8_P12ihipStream_tbDpT10_ENKUlT_T0_E_clISt17integral_constantIbLb1EES19_EEDaS14_S15_EUlS14_E_NS1_11comp_targetILNS1_3genE2ELNS1_11target_archE906ELNS1_3gpuE6ELNS1_3repE0EEENS1_30default_config_static_selectorELNS0_4arch9wavefront6targetE1EEEvT1_
; %bb.0:
	.section	.rodata,"a",@progbits
	.p2align	6, 0x0
	.amdhsa_kernel _ZN7rocprim17ROCPRIM_400000_NS6detail17trampoline_kernelINS0_14default_configENS1_25partition_config_selectorILNS1_17partition_subalgoE0EtNS0_10empty_typeEbEEZZNS1_14partition_implILS5_0ELb0ES3_jN6thrust23THRUST_200600_302600_NS6detail15normal_iteratorINSA_10device_ptrItEEEEPS6_SG_NS0_5tupleIJSF_NSA_16discard_iteratorINSA_11use_defaultEEEEEENSH_IJSG_SG_EEES6_PlJ7is_evenItEEEE10hipError_tPvRmT3_T4_T5_T6_T7_T9_mT8_P12ihipStream_tbDpT10_ENKUlT_T0_E_clISt17integral_constantIbLb1EES19_EEDaS14_S15_EUlS14_E_NS1_11comp_targetILNS1_3genE2ELNS1_11target_archE906ELNS1_3gpuE6ELNS1_3repE0EEENS1_30default_config_static_selectorELNS0_4arch9wavefront6targetE1EEEvT1_
		.amdhsa_group_segment_fixed_size 0
		.amdhsa_private_segment_fixed_size 0
		.amdhsa_kernarg_size 144
		.amdhsa_user_sgpr_count 6
		.amdhsa_user_sgpr_private_segment_buffer 1
		.amdhsa_user_sgpr_dispatch_ptr 0
		.amdhsa_user_sgpr_queue_ptr 0
		.amdhsa_user_sgpr_kernarg_segment_ptr 1
		.amdhsa_user_sgpr_dispatch_id 0
		.amdhsa_user_sgpr_flat_scratch_init 0
		.amdhsa_user_sgpr_kernarg_preload_length 0
		.amdhsa_user_sgpr_kernarg_preload_offset 0
		.amdhsa_user_sgpr_private_segment_size 0
		.amdhsa_uses_dynamic_stack 0
		.amdhsa_system_sgpr_private_segment_wavefront_offset 0
		.amdhsa_system_sgpr_workgroup_id_x 1
		.amdhsa_system_sgpr_workgroup_id_y 0
		.amdhsa_system_sgpr_workgroup_id_z 0
		.amdhsa_system_sgpr_workgroup_info 0
		.amdhsa_system_vgpr_workitem_id 0
		.amdhsa_next_free_vgpr 1
		.amdhsa_next_free_sgpr 0
		.amdhsa_accum_offset 4
		.amdhsa_reserve_vcc 0
		.amdhsa_reserve_flat_scratch 0
		.amdhsa_float_round_mode_32 0
		.amdhsa_float_round_mode_16_64 0
		.amdhsa_float_denorm_mode_32 3
		.amdhsa_float_denorm_mode_16_64 3
		.amdhsa_dx10_clamp 1
		.amdhsa_ieee_mode 1
		.amdhsa_fp16_overflow 0
		.amdhsa_tg_split 0
		.amdhsa_exception_fp_ieee_invalid_op 0
		.amdhsa_exception_fp_denorm_src 0
		.amdhsa_exception_fp_ieee_div_zero 0
		.amdhsa_exception_fp_ieee_overflow 0
		.amdhsa_exception_fp_ieee_underflow 0
		.amdhsa_exception_fp_ieee_inexact 0
		.amdhsa_exception_int_div_zero 0
	.end_amdhsa_kernel
	.section	.text._ZN7rocprim17ROCPRIM_400000_NS6detail17trampoline_kernelINS0_14default_configENS1_25partition_config_selectorILNS1_17partition_subalgoE0EtNS0_10empty_typeEbEEZZNS1_14partition_implILS5_0ELb0ES3_jN6thrust23THRUST_200600_302600_NS6detail15normal_iteratorINSA_10device_ptrItEEEEPS6_SG_NS0_5tupleIJSF_NSA_16discard_iteratorINSA_11use_defaultEEEEEENSH_IJSG_SG_EEES6_PlJ7is_evenItEEEE10hipError_tPvRmT3_T4_T5_T6_T7_T9_mT8_P12ihipStream_tbDpT10_ENKUlT_T0_E_clISt17integral_constantIbLb1EES19_EEDaS14_S15_EUlS14_E_NS1_11comp_targetILNS1_3genE2ELNS1_11target_archE906ELNS1_3gpuE6ELNS1_3repE0EEENS1_30default_config_static_selectorELNS0_4arch9wavefront6targetE1EEEvT1_,"axG",@progbits,_ZN7rocprim17ROCPRIM_400000_NS6detail17trampoline_kernelINS0_14default_configENS1_25partition_config_selectorILNS1_17partition_subalgoE0EtNS0_10empty_typeEbEEZZNS1_14partition_implILS5_0ELb0ES3_jN6thrust23THRUST_200600_302600_NS6detail15normal_iteratorINSA_10device_ptrItEEEEPS6_SG_NS0_5tupleIJSF_NSA_16discard_iteratorINSA_11use_defaultEEEEEENSH_IJSG_SG_EEES6_PlJ7is_evenItEEEE10hipError_tPvRmT3_T4_T5_T6_T7_T9_mT8_P12ihipStream_tbDpT10_ENKUlT_T0_E_clISt17integral_constantIbLb1EES19_EEDaS14_S15_EUlS14_E_NS1_11comp_targetILNS1_3genE2ELNS1_11target_archE906ELNS1_3gpuE6ELNS1_3repE0EEENS1_30default_config_static_selectorELNS0_4arch9wavefront6targetE1EEEvT1_,comdat
.Lfunc_end2535:
	.size	_ZN7rocprim17ROCPRIM_400000_NS6detail17trampoline_kernelINS0_14default_configENS1_25partition_config_selectorILNS1_17partition_subalgoE0EtNS0_10empty_typeEbEEZZNS1_14partition_implILS5_0ELb0ES3_jN6thrust23THRUST_200600_302600_NS6detail15normal_iteratorINSA_10device_ptrItEEEEPS6_SG_NS0_5tupleIJSF_NSA_16discard_iteratorINSA_11use_defaultEEEEEENSH_IJSG_SG_EEES6_PlJ7is_evenItEEEE10hipError_tPvRmT3_T4_T5_T6_T7_T9_mT8_P12ihipStream_tbDpT10_ENKUlT_T0_E_clISt17integral_constantIbLb1EES19_EEDaS14_S15_EUlS14_E_NS1_11comp_targetILNS1_3genE2ELNS1_11target_archE906ELNS1_3gpuE6ELNS1_3repE0EEENS1_30default_config_static_selectorELNS0_4arch9wavefront6targetE1EEEvT1_, .Lfunc_end2535-_ZN7rocprim17ROCPRIM_400000_NS6detail17trampoline_kernelINS0_14default_configENS1_25partition_config_selectorILNS1_17partition_subalgoE0EtNS0_10empty_typeEbEEZZNS1_14partition_implILS5_0ELb0ES3_jN6thrust23THRUST_200600_302600_NS6detail15normal_iteratorINSA_10device_ptrItEEEEPS6_SG_NS0_5tupleIJSF_NSA_16discard_iteratorINSA_11use_defaultEEEEEENSH_IJSG_SG_EEES6_PlJ7is_evenItEEEE10hipError_tPvRmT3_T4_T5_T6_T7_T9_mT8_P12ihipStream_tbDpT10_ENKUlT_T0_E_clISt17integral_constantIbLb1EES19_EEDaS14_S15_EUlS14_E_NS1_11comp_targetILNS1_3genE2ELNS1_11target_archE906ELNS1_3gpuE6ELNS1_3repE0EEENS1_30default_config_static_selectorELNS0_4arch9wavefront6targetE1EEEvT1_
                                        ; -- End function
	.section	.AMDGPU.csdata,"",@progbits
; Kernel info:
; codeLenInByte = 0
; NumSgprs: 4
; NumVgprs: 0
; NumAgprs: 0
; TotalNumVgprs: 0
; ScratchSize: 0
; MemoryBound: 0
; FloatMode: 240
; IeeeMode: 1
; LDSByteSize: 0 bytes/workgroup (compile time only)
; SGPRBlocks: 0
; VGPRBlocks: 0
; NumSGPRsForWavesPerEU: 4
; NumVGPRsForWavesPerEU: 1
; AccumOffset: 4
; Occupancy: 8
; WaveLimiterHint : 0
; COMPUTE_PGM_RSRC2:SCRATCH_EN: 0
; COMPUTE_PGM_RSRC2:USER_SGPR: 6
; COMPUTE_PGM_RSRC2:TRAP_HANDLER: 0
; COMPUTE_PGM_RSRC2:TGID_X_EN: 1
; COMPUTE_PGM_RSRC2:TGID_Y_EN: 0
; COMPUTE_PGM_RSRC2:TGID_Z_EN: 0
; COMPUTE_PGM_RSRC2:TIDIG_COMP_CNT: 0
; COMPUTE_PGM_RSRC3_GFX90A:ACCUM_OFFSET: 0
; COMPUTE_PGM_RSRC3_GFX90A:TG_SPLIT: 0
	.section	.text._ZN7rocprim17ROCPRIM_400000_NS6detail17trampoline_kernelINS0_14default_configENS1_25partition_config_selectorILNS1_17partition_subalgoE0EtNS0_10empty_typeEbEEZZNS1_14partition_implILS5_0ELb0ES3_jN6thrust23THRUST_200600_302600_NS6detail15normal_iteratorINSA_10device_ptrItEEEEPS6_SG_NS0_5tupleIJSF_NSA_16discard_iteratorINSA_11use_defaultEEEEEENSH_IJSG_SG_EEES6_PlJ7is_evenItEEEE10hipError_tPvRmT3_T4_T5_T6_T7_T9_mT8_P12ihipStream_tbDpT10_ENKUlT_T0_E_clISt17integral_constantIbLb1EES19_EEDaS14_S15_EUlS14_E_NS1_11comp_targetILNS1_3genE10ELNS1_11target_archE1200ELNS1_3gpuE4ELNS1_3repE0EEENS1_30default_config_static_selectorELNS0_4arch9wavefront6targetE1EEEvT1_,"axG",@progbits,_ZN7rocprim17ROCPRIM_400000_NS6detail17trampoline_kernelINS0_14default_configENS1_25partition_config_selectorILNS1_17partition_subalgoE0EtNS0_10empty_typeEbEEZZNS1_14partition_implILS5_0ELb0ES3_jN6thrust23THRUST_200600_302600_NS6detail15normal_iteratorINSA_10device_ptrItEEEEPS6_SG_NS0_5tupleIJSF_NSA_16discard_iteratorINSA_11use_defaultEEEEEENSH_IJSG_SG_EEES6_PlJ7is_evenItEEEE10hipError_tPvRmT3_T4_T5_T6_T7_T9_mT8_P12ihipStream_tbDpT10_ENKUlT_T0_E_clISt17integral_constantIbLb1EES19_EEDaS14_S15_EUlS14_E_NS1_11comp_targetILNS1_3genE10ELNS1_11target_archE1200ELNS1_3gpuE4ELNS1_3repE0EEENS1_30default_config_static_selectorELNS0_4arch9wavefront6targetE1EEEvT1_,comdat
	.protected	_ZN7rocprim17ROCPRIM_400000_NS6detail17trampoline_kernelINS0_14default_configENS1_25partition_config_selectorILNS1_17partition_subalgoE0EtNS0_10empty_typeEbEEZZNS1_14partition_implILS5_0ELb0ES3_jN6thrust23THRUST_200600_302600_NS6detail15normal_iteratorINSA_10device_ptrItEEEEPS6_SG_NS0_5tupleIJSF_NSA_16discard_iteratorINSA_11use_defaultEEEEEENSH_IJSG_SG_EEES6_PlJ7is_evenItEEEE10hipError_tPvRmT3_T4_T5_T6_T7_T9_mT8_P12ihipStream_tbDpT10_ENKUlT_T0_E_clISt17integral_constantIbLb1EES19_EEDaS14_S15_EUlS14_E_NS1_11comp_targetILNS1_3genE10ELNS1_11target_archE1200ELNS1_3gpuE4ELNS1_3repE0EEENS1_30default_config_static_selectorELNS0_4arch9wavefront6targetE1EEEvT1_ ; -- Begin function _ZN7rocprim17ROCPRIM_400000_NS6detail17trampoline_kernelINS0_14default_configENS1_25partition_config_selectorILNS1_17partition_subalgoE0EtNS0_10empty_typeEbEEZZNS1_14partition_implILS5_0ELb0ES3_jN6thrust23THRUST_200600_302600_NS6detail15normal_iteratorINSA_10device_ptrItEEEEPS6_SG_NS0_5tupleIJSF_NSA_16discard_iteratorINSA_11use_defaultEEEEEENSH_IJSG_SG_EEES6_PlJ7is_evenItEEEE10hipError_tPvRmT3_T4_T5_T6_T7_T9_mT8_P12ihipStream_tbDpT10_ENKUlT_T0_E_clISt17integral_constantIbLb1EES19_EEDaS14_S15_EUlS14_E_NS1_11comp_targetILNS1_3genE10ELNS1_11target_archE1200ELNS1_3gpuE4ELNS1_3repE0EEENS1_30default_config_static_selectorELNS0_4arch9wavefront6targetE1EEEvT1_
	.globl	_ZN7rocprim17ROCPRIM_400000_NS6detail17trampoline_kernelINS0_14default_configENS1_25partition_config_selectorILNS1_17partition_subalgoE0EtNS0_10empty_typeEbEEZZNS1_14partition_implILS5_0ELb0ES3_jN6thrust23THRUST_200600_302600_NS6detail15normal_iteratorINSA_10device_ptrItEEEEPS6_SG_NS0_5tupleIJSF_NSA_16discard_iteratorINSA_11use_defaultEEEEEENSH_IJSG_SG_EEES6_PlJ7is_evenItEEEE10hipError_tPvRmT3_T4_T5_T6_T7_T9_mT8_P12ihipStream_tbDpT10_ENKUlT_T0_E_clISt17integral_constantIbLb1EES19_EEDaS14_S15_EUlS14_E_NS1_11comp_targetILNS1_3genE10ELNS1_11target_archE1200ELNS1_3gpuE4ELNS1_3repE0EEENS1_30default_config_static_selectorELNS0_4arch9wavefront6targetE1EEEvT1_
	.p2align	8
	.type	_ZN7rocprim17ROCPRIM_400000_NS6detail17trampoline_kernelINS0_14default_configENS1_25partition_config_selectorILNS1_17partition_subalgoE0EtNS0_10empty_typeEbEEZZNS1_14partition_implILS5_0ELb0ES3_jN6thrust23THRUST_200600_302600_NS6detail15normal_iteratorINSA_10device_ptrItEEEEPS6_SG_NS0_5tupleIJSF_NSA_16discard_iteratorINSA_11use_defaultEEEEEENSH_IJSG_SG_EEES6_PlJ7is_evenItEEEE10hipError_tPvRmT3_T4_T5_T6_T7_T9_mT8_P12ihipStream_tbDpT10_ENKUlT_T0_E_clISt17integral_constantIbLb1EES19_EEDaS14_S15_EUlS14_E_NS1_11comp_targetILNS1_3genE10ELNS1_11target_archE1200ELNS1_3gpuE4ELNS1_3repE0EEENS1_30default_config_static_selectorELNS0_4arch9wavefront6targetE1EEEvT1_,@function
_ZN7rocprim17ROCPRIM_400000_NS6detail17trampoline_kernelINS0_14default_configENS1_25partition_config_selectorILNS1_17partition_subalgoE0EtNS0_10empty_typeEbEEZZNS1_14partition_implILS5_0ELb0ES3_jN6thrust23THRUST_200600_302600_NS6detail15normal_iteratorINSA_10device_ptrItEEEEPS6_SG_NS0_5tupleIJSF_NSA_16discard_iteratorINSA_11use_defaultEEEEEENSH_IJSG_SG_EEES6_PlJ7is_evenItEEEE10hipError_tPvRmT3_T4_T5_T6_T7_T9_mT8_P12ihipStream_tbDpT10_ENKUlT_T0_E_clISt17integral_constantIbLb1EES19_EEDaS14_S15_EUlS14_E_NS1_11comp_targetILNS1_3genE10ELNS1_11target_archE1200ELNS1_3gpuE4ELNS1_3repE0EEENS1_30default_config_static_selectorELNS0_4arch9wavefront6targetE1EEEvT1_: ; @_ZN7rocprim17ROCPRIM_400000_NS6detail17trampoline_kernelINS0_14default_configENS1_25partition_config_selectorILNS1_17partition_subalgoE0EtNS0_10empty_typeEbEEZZNS1_14partition_implILS5_0ELb0ES3_jN6thrust23THRUST_200600_302600_NS6detail15normal_iteratorINSA_10device_ptrItEEEEPS6_SG_NS0_5tupleIJSF_NSA_16discard_iteratorINSA_11use_defaultEEEEEENSH_IJSG_SG_EEES6_PlJ7is_evenItEEEE10hipError_tPvRmT3_T4_T5_T6_T7_T9_mT8_P12ihipStream_tbDpT10_ENKUlT_T0_E_clISt17integral_constantIbLb1EES19_EEDaS14_S15_EUlS14_E_NS1_11comp_targetILNS1_3genE10ELNS1_11target_archE1200ELNS1_3gpuE4ELNS1_3repE0EEENS1_30default_config_static_selectorELNS0_4arch9wavefront6targetE1EEEvT1_
; %bb.0:
	.section	.rodata,"a",@progbits
	.p2align	6, 0x0
	.amdhsa_kernel _ZN7rocprim17ROCPRIM_400000_NS6detail17trampoline_kernelINS0_14default_configENS1_25partition_config_selectorILNS1_17partition_subalgoE0EtNS0_10empty_typeEbEEZZNS1_14partition_implILS5_0ELb0ES3_jN6thrust23THRUST_200600_302600_NS6detail15normal_iteratorINSA_10device_ptrItEEEEPS6_SG_NS0_5tupleIJSF_NSA_16discard_iteratorINSA_11use_defaultEEEEEENSH_IJSG_SG_EEES6_PlJ7is_evenItEEEE10hipError_tPvRmT3_T4_T5_T6_T7_T9_mT8_P12ihipStream_tbDpT10_ENKUlT_T0_E_clISt17integral_constantIbLb1EES19_EEDaS14_S15_EUlS14_E_NS1_11comp_targetILNS1_3genE10ELNS1_11target_archE1200ELNS1_3gpuE4ELNS1_3repE0EEENS1_30default_config_static_selectorELNS0_4arch9wavefront6targetE1EEEvT1_
		.amdhsa_group_segment_fixed_size 0
		.amdhsa_private_segment_fixed_size 0
		.amdhsa_kernarg_size 144
		.amdhsa_user_sgpr_count 6
		.amdhsa_user_sgpr_private_segment_buffer 1
		.amdhsa_user_sgpr_dispatch_ptr 0
		.amdhsa_user_sgpr_queue_ptr 0
		.amdhsa_user_sgpr_kernarg_segment_ptr 1
		.amdhsa_user_sgpr_dispatch_id 0
		.amdhsa_user_sgpr_flat_scratch_init 0
		.amdhsa_user_sgpr_kernarg_preload_length 0
		.amdhsa_user_sgpr_kernarg_preload_offset 0
		.amdhsa_user_sgpr_private_segment_size 0
		.amdhsa_uses_dynamic_stack 0
		.amdhsa_system_sgpr_private_segment_wavefront_offset 0
		.amdhsa_system_sgpr_workgroup_id_x 1
		.amdhsa_system_sgpr_workgroup_id_y 0
		.amdhsa_system_sgpr_workgroup_id_z 0
		.amdhsa_system_sgpr_workgroup_info 0
		.amdhsa_system_vgpr_workitem_id 0
		.amdhsa_next_free_vgpr 1
		.amdhsa_next_free_sgpr 0
		.amdhsa_accum_offset 4
		.amdhsa_reserve_vcc 0
		.amdhsa_reserve_flat_scratch 0
		.amdhsa_float_round_mode_32 0
		.amdhsa_float_round_mode_16_64 0
		.amdhsa_float_denorm_mode_32 3
		.amdhsa_float_denorm_mode_16_64 3
		.amdhsa_dx10_clamp 1
		.amdhsa_ieee_mode 1
		.amdhsa_fp16_overflow 0
		.amdhsa_tg_split 0
		.amdhsa_exception_fp_ieee_invalid_op 0
		.amdhsa_exception_fp_denorm_src 0
		.amdhsa_exception_fp_ieee_div_zero 0
		.amdhsa_exception_fp_ieee_overflow 0
		.amdhsa_exception_fp_ieee_underflow 0
		.amdhsa_exception_fp_ieee_inexact 0
		.amdhsa_exception_int_div_zero 0
	.end_amdhsa_kernel
	.section	.text._ZN7rocprim17ROCPRIM_400000_NS6detail17trampoline_kernelINS0_14default_configENS1_25partition_config_selectorILNS1_17partition_subalgoE0EtNS0_10empty_typeEbEEZZNS1_14partition_implILS5_0ELb0ES3_jN6thrust23THRUST_200600_302600_NS6detail15normal_iteratorINSA_10device_ptrItEEEEPS6_SG_NS0_5tupleIJSF_NSA_16discard_iteratorINSA_11use_defaultEEEEEENSH_IJSG_SG_EEES6_PlJ7is_evenItEEEE10hipError_tPvRmT3_T4_T5_T6_T7_T9_mT8_P12ihipStream_tbDpT10_ENKUlT_T0_E_clISt17integral_constantIbLb1EES19_EEDaS14_S15_EUlS14_E_NS1_11comp_targetILNS1_3genE10ELNS1_11target_archE1200ELNS1_3gpuE4ELNS1_3repE0EEENS1_30default_config_static_selectorELNS0_4arch9wavefront6targetE1EEEvT1_,"axG",@progbits,_ZN7rocprim17ROCPRIM_400000_NS6detail17trampoline_kernelINS0_14default_configENS1_25partition_config_selectorILNS1_17partition_subalgoE0EtNS0_10empty_typeEbEEZZNS1_14partition_implILS5_0ELb0ES3_jN6thrust23THRUST_200600_302600_NS6detail15normal_iteratorINSA_10device_ptrItEEEEPS6_SG_NS0_5tupleIJSF_NSA_16discard_iteratorINSA_11use_defaultEEEEEENSH_IJSG_SG_EEES6_PlJ7is_evenItEEEE10hipError_tPvRmT3_T4_T5_T6_T7_T9_mT8_P12ihipStream_tbDpT10_ENKUlT_T0_E_clISt17integral_constantIbLb1EES19_EEDaS14_S15_EUlS14_E_NS1_11comp_targetILNS1_3genE10ELNS1_11target_archE1200ELNS1_3gpuE4ELNS1_3repE0EEENS1_30default_config_static_selectorELNS0_4arch9wavefront6targetE1EEEvT1_,comdat
.Lfunc_end2536:
	.size	_ZN7rocprim17ROCPRIM_400000_NS6detail17trampoline_kernelINS0_14default_configENS1_25partition_config_selectorILNS1_17partition_subalgoE0EtNS0_10empty_typeEbEEZZNS1_14partition_implILS5_0ELb0ES3_jN6thrust23THRUST_200600_302600_NS6detail15normal_iteratorINSA_10device_ptrItEEEEPS6_SG_NS0_5tupleIJSF_NSA_16discard_iteratorINSA_11use_defaultEEEEEENSH_IJSG_SG_EEES6_PlJ7is_evenItEEEE10hipError_tPvRmT3_T4_T5_T6_T7_T9_mT8_P12ihipStream_tbDpT10_ENKUlT_T0_E_clISt17integral_constantIbLb1EES19_EEDaS14_S15_EUlS14_E_NS1_11comp_targetILNS1_3genE10ELNS1_11target_archE1200ELNS1_3gpuE4ELNS1_3repE0EEENS1_30default_config_static_selectorELNS0_4arch9wavefront6targetE1EEEvT1_, .Lfunc_end2536-_ZN7rocprim17ROCPRIM_400000_NS6detail17trampoline_kernelINS0_14default_configENS1_25partition_config_selectorILNS1_17partition_subalgoE0EtNS0_10empty_typeEbEEZZNS1_14partition_implILS5_0ELb0ES3_jN6thrust23THRUST_200600_302600_NS6detail15normal_iteratorINSA_10device_ptrItEEEEPS6_SG_NS0_5tupleIJSF_NSA_16discard_iteratorINSA_11use_defaultEEEEEENSH_IJSG_SG_EEES6_PlJ7is_evenItEEEE10hipError_tPvRmT3_T4_T5_T6_T7_T9_mT8_P12ihipStream_tbDpT10_ENKUlT_T0_E_clISt17integral_constantIbLb1EES19_EEDaS14_S15_EUlS14_E_NS1_11comp_targetILNS1_3genE10ELNS1_11target_archE1200ELNS1_3gpuE4ELNS1_3repE0EEENS1_30default_config_static_selectorELNS0_4arch9wavefront6targetE1EEEvT1_
                                        ; -- End function
	.section	.AMDGPU.csdata,"",@progbits
; Kernel info:
; codeLenInByte = 0
; NumSgprs: 4
; NumVgprs: 0
; NumAgprs: 0
; TotalNumVgprs: 0
; ScratchSize: 0
; MemoryBound: 0
; FloatMode: 240
; IeeeMode: 1
; LDSByteSize: 0 bytes/workgroup (compile time only)
; SGPRBlocks: 0
; VGPRBlocks: 0
; NumSGPRsForWavesPerEU: 4
; NumVGPRsForWavesPerEU: 1
; AccumOffset: 4
; Occupancy: 8
; WaveLimiterHint : 0
; COMPUTE_PGM_RSRC2:SCRATCH_EN: 0
; COMPUTE_PGM_RSRC2:USER_SGPR: 6
; COMPUTE_PGM_RSRC2:TRAP_HANDLER: 0
; COMPUTE_PGM_RSRC2:TGID_X_EN: 1
; COMPUTE_PGM_RSRC2:TGID_Y_EN: 0
; COMPUTE_PGM_RSRC2:TGID_Z_EN: 0
; COMPUTE_PGM_RSRC2:TIDIG_COMP_CNT: 0
; COMPUTE_PGM_RSRC3_GFX90A:ACCUM_OFFSET: 0
; COMPUTE_PGM_RSRC3_GFX90A:TG_SPLIT: 0
	.section	.text._ZN7rocprim17ROCPRIM_400000_NS6detail17trampoline_kernelINS0_14default_configENS1_25partition_config_selectorILNS1_17partition_subalgoE0EtNS0_10empty_typeEbEEZZNS1_14partition_implILS5_0ELb0ES3_jN6thrust23THRUST_200600_302600_NS6detail15normal_iteratorINSA_10device_ptrItEEEEPS6_SG_NS0_5tupleIJSF_NSA_16discard_iteratorINSA_11use_defaultEEEEEENSH_IJSG_SG_EEES6_PlJ7is_evenItEEEE10hipError_tPvRmT3_T4_T5_T6_T7_T9_mT8_P12ihipStream_tbDpT10_ENKUlT_T0_E_clISt17integral_constantIbLb1EES19_EEDaS14_S15_EUlS14_E_NS1_11comp_targetILNS1_3genE9ELNS1_11target_archE1100ELNS1_3gpuE3ELNS1_3repE0EEENS1_30default_config_static_selectorELNS0_4arch9wavefront6targetE1EEEvT1_,"axG",@progbits,_ZN7rocprim17ROCPRIM_400000_NS6detail17trampoline_kernelINS0_14default_configENS1_25partition_config_selectorILNS1_17partition_subalgoE0EtNS0_10empty_typeEbEEZZNS1_14partition_implILS5_0ELb0ES3_jN6thrust23THRUST_200600_302600_NS6detail15normal_iteratorINSA_10device_ptrItEEEEPS6_SG_NS0_5tupleIJSF_NSA_16discard_iteratorINSA_11use_defaultEEEEEENSH_IJSG_SG_EEES6_PlJ7is_evenItEEEE10hipError_tPvRmT3_T4_T5_T6_T7_T9_mT8_P12ihipStream_tbDpT10_ENKUlT_T0_E_clISt17integral_constantIbLb1EES19_EEDaS14_S15_EUlS14_E_NS1_11comp_targetILNS1_3genE9ELNS1_11target_archE1100ELNS1_3gpuE3ELNS1_3repE0EEENS1_30default_config_static_selectorELNS0_4arch9wavefront6targetE1EEEvT1_,comdat
	.protected	_ZN7rocprim17ROCPRIM_400000_NS6detail17trampoline_kernelINS0_14default_configENS1_25partition_config_selectorILNS1_17partition_subalgoE0EtNS0_10empty_typeEbEEZZNS1_14partition_implILS5_0ELb0ES3_jN6thrust23THRUST_200600_302600_NS6detail15normal_iteratorINSA_10device_ptrItEEEEPS6_SG_NS0_5tupleIJSF_NSA_16discard_iteratorINSA_11use_defaultEEEEEENSH_IJSG_SG_EEES6_PlJ7is_evenItEEEE10hipError_tPvRmT3_T4_T5_T6_T7_T9_mT8_P12ihipStream_tbDpT10_ENKUlT_T0_E_clISt17integral_constantIbLb1EES19_EEDaS14_S15_EUlS14_E_NS1_11comp_targetILNS1_3genE9ELNS1_11target_archE1100ELNS1_3gpuE3ELNS1_3repE0EEENS1_30default_config_static_selectorELNS0_4arch9wavefront6targetE1EEEvT1_ ; -- Begin function _ZN7rocprim17ROCPRIM_400000_NS6detail17trampoline_kernelINS0_14default_configENS1_25partition_config_selectorILNS1_17partition_subalgoE0EtNS0_10empty_typeEbEEZZNS1_14partition_implILS5_0ELb0ES3_jN6thrust23THRUST_200600_302600_NS6detail15normal_iteratorINSA_10device_ptrItEEEEPS6_SG_NS0_5tupleIJSF_NSA_16discard_iteratorINSA_11use_defaultEEEEEENSH_IJSG_SG_EEES6_PlJ7is_evenItEEEE10hipError_tPvRmT3_T4_T5_T6_T7_T9_mT8_P12ihipStream_tbDpT10_ENKUlT_T0_E_clISt17integral_constantIbLb1EES19_EEDaS14_S15_EUlS14_E_NS1_11comp_targetILNS1_3genE9ELNS1_11target_archE1100ELNS1_3gpuE3ELNS1_3repE0EEENS1_30default_config_static_selectorELNS0_4arch9wavefront6targetE1EEEvT1_
	.globl	_ZN7rocprim17ROCPRIM_400000_NS6detail17trampoline_kernelINS0_14default_configENS1_25partition_config_selectorILNS1_17partition_subalgoE0EtNS0_10empty_typeEbEEZZNS1_14partition_implILS5_0ELb0ES3_jN6thrust23THRUST_200600_302600_NS6detail15normal_iteratorINSA_10device_ptrItEEEEPS6_SG_NS0_5tupleIJSF_NSA_16discard_iteratorINSA_11use_defaultEEEEEENSH_IJSG_SG_EEES6_PlJ7is_evenItEEEE10hipError_tPvRmT3_T4_T5_T6_T7_T9_mT8_P12ihipStream_tbDpT10_ENKUlT_T0_E_clISt17integral_constantIbLb1EES19_EEDaS14_S15_EUlS14_E_NS1_11comp_targetILNS1_3genE9ELNS1_11target_archE1100ELNS1_3gpuE3ELNS1_3repE0EEENS1_30default_config_static_selectorELNS0_4arch9wavefront6targetE1EEEvT1_
	.p2align	8
	.type	_ZN7rocprim17ROCPRIM_400000_NS6detail17trampoline_kernelINS0_14default_configENS1_25partition_config_selectorILNS1_17partition_subalgoE0EtNS0_10empty_typeEbEEZZNS1_14partition_implILS5_0ELb0ES3_jN6thrust23THRUST_200600_302600_NS6detail15normal_iteratorINSA_10device_ptrItEEEEPS6_SG_NS0_5tupleIJSF_NSA_16discard_iteratorINSA_11use_defaultEEEEEENSH_IJSG_SG_EEES6_PlJ7is_evenItEEEE10hipError_tPvRmT3_T4_T5_T6_T7_T9_mT8_P12ihipStream_tbDpT10_ENKUlT_T0_E_clISt17integral_constantIbLb1EES19_EEDaS14_S15_EUlS14_E_NS1_11comp_targetILNS1_3genE9ELNS1_11target_archE1100ELNS1_3gpuE3ELNS1_3repE0EEENS1_30default_config_static_selectorELNS0_4arch9wavefront6targetE1EEEvT1_,@function
_ZN7rocprim17ROCPRIM_400000_NS6detail17trampoline_kernelINS0_14default_configENS1_25partition_config_selectorILNS1_17partition_subalgoE0EtNS0_10empty_typeEbEEZZNS1_14partition_implILS5_0ELb0ES3_jN6thrust23THRUST_200600_302600_NS6detail15normal_iteratorINSA_10device_ptrItEEEEPS6_SG_NS0_5tupleIJSF_NSA_16discard_iteratorINSA_11use_defaultEEEEEENSH_IJSG_SG_EEES6_PlJ7is_evenItEEEE10hipError_tPvRmT3_T4_T5_T6_T7_T9_mT8_P12ihipStream_tbDpT10_ENKUlT_T0_E_clISt17integral_constantIbLb1EES19_EEDaS14_S15_EUlS14_E_NS1_11comp_targetILNS1_3genE9ELNS1_11target_archE1100ELNS1_3gpuE3ELNS1_3repE0EEENS1_30default_config_static_selectorELNS0_4arch9wavefront6targetE1EEEvT1_: ; @_ZN7rocprim17ROCPRIM_400000_NS6detail17trampoline_kernelINS0_14default_configENS1_25partition_config_selectorILNS1_17partition_subalgoE0EtNS0_10empty_typeEbEEZZNS1_14partition_implILS5_0ELb0ES3_jN6thrust23THRUST_200600_302600_NS6detail15normal_iteratorINSA_10device_ptrItEEEEPS6_SG_NS0_5tupleIJSF_NSA_16discard_iteratorINSA_11use_defaultEEEEEENSH_IJSG_SG_EEES6_PlJ7is_evenItEEEE10hipError_tPvRmT3_T4_T5_T6_T7_T9_mT8_P12ihipStream_tbDpT10_ENKUlT_T0_E_clISt17integral_constantIbLb1EES19_EEDaS14_S15_EUlS14_E_NS1_11comp_targetILNS1_3genE9ELNS1_11target_archE1100ELNS1_3gpuE3ELNS1_3repE0EEENS1_30default_config_static_selectorELNS0_4arch9wavefront6targetE1EEEvT1_
; %bb.0:
	.section	.rodata,"a",@progbits
	.p2align	6, 0x0
	.amdhsa_kernel _ZN7rocprim17ROCPRIM_400000_NS6detail17trampoline_kernelINS0_14default_configENS1_25partition_config_selectorILNS1_17partition_subalgoE0EtNS0_10empty_typeEbEEZZNS1_14partition_implILS5_0ELb0ES3_jN6thrust23THRUST_200600_302600_NS6detail15normal_iteratorINSA_10device_ptrItEEEEPS6_SG_NS0_5tupleIJSF_NSA_16discard_iteratorINSA_11use_defaultEEEEEENSH_IJSG_SG_EEES6_PlJ7is_evenItEEEE10hipError_tPvRmT3_T4_T5_T6_T7_T9_mT8_P12ihipStream_tbDpT10_ENKUlT_T0_E_clISt17integral_constantIbLb1EES19_EEDaS14_S15_EUlS14_E_NS1_11comp_targetILNS1_3genE9ELNS1_11target_archE1100ELNS1_3gpuE3ELNS1_3repE0EEENS1_30default_config_static_selectorELNS0_4arch9wavefront6targetE1EEEvT1_
		.amdhsa_group_segment_fixed_size 0
		.amdhsa_private_segment_fixed_size 0
		.amdhsa_kernarg_size 144
		.amdhsa_user_sgpr_count 6
		.amdhsa_user_sgpr_private_segment_buffer 1
		.amdhsa_user_sgpr_dispatch_ptr 0
		.amdhsa_user_sgpr_queue_ptr 0
		.amdhsa_user_sgpr_kernarg_segment_ptr 1
		.amdhsa_user_sgpr_dispatch_id 0
		.amdhsa_user_sgpr_flat_scratch_init 0
		.amdhsa_user_sgpr_kernarg_preload_length 0
		.amdhsa_user_sgpr_kernarg_preload_offset 0
		.amdhsa_user_sgpr_private_segment_size 0
		.amdhsa_uses_dynamic_stack 0
		.amdhsa_system_sgpr_private_segment_wavefront_offset 0
		.amdhsa_system_sgpr_workgroup_id_x 1
		.amdhsa_system_sgpr_workgroup_id_y 0
		.amdhsa_system_sgpr_workgroup_id_z 0
		.amdhsa_system_sgpr_workgroup_info 0
		.amdhsa_system_vgpr_workitem_id 0
		.amdhsa_next_free_vgpr 1
		.amdhsa_next_free_sgpr 0
		.amdhsa_accum_offset 4
		.amdhsa_reserve_vcc 0
		.amdhsa_reserve_flat_scratch 0
		.amdhsa_float_round_mode_32 0
		.amdhsa_float_round_mode_16_64 0
		.amdhsa_float_denorm_mode_32 3
		.amdhsa_float_denorm_mode_16_64 3
		.amdhsa_dx10_clamp 1
		.amdhsa_ieee_mode 1
		.amdhsa_fp16_overflow 0
		.amdhsa_tg_split 0
		.amdhsa_exception_fp_ieee_invalid_op 0
		.amdhsa_exception_fp_denorm_src 0
		.amdhsa_exception_fp_ieee_div_zero 0
		.amdhsa_exception_fp_ieee_overflow 0
		.amdhsa_exception_fp_ieee_underflow 0
		.amdhsa_exception_fp_ieee_inexact 0
		.amdhsa_exception_int_div_zero 0
	.end_amdhsa_kernel
	.section	.text._ZN7rocprim17ROCPRIM_400000_NS6detail17trampoline_kernelINS0_14default_configENS1_25partition_config_selectorILNS1_17partition_subalgoE0EtNS0_10empty_typeEbEEZZNS1_14partition_implILS5_0ELb0ES3_jN6thrust23THRUST_200600_302600_NS6detail15normal_iteratorINSA_10device_ptrItEEEEPS6_SG_NS0_5tupleIJSF_NSA_16discard_iteratorINSA_11use_defaultEEEEEENSH_IJSG_SG_EEES6_PlJ7is_evenItEEEE10hipError_tPvRmT3_T4_T5_T6_T7_T9_mT8_P12ihipStream_tbDpT10_ENKUlT_T0_E_clISt17integral_constantIbLb1EES19_EEDaS14_S15_EUlS14_E_NS1_11comp_targetILNS1_3genE9ELNS1_11target_archE1100ELNS1_3gpuE3ELNS1_3repE0EEENS1_30default_config_static_selectorELNS0_4arch9wavefront6targetE1EEEvT1_,"axG",@progbits,_ZN7rocprim17ROCPRIM_400000_NS6detail17trampoline_kernelINS0_14default_configENS1_25partition_config_selectorILNS1_17partition_subalgoE0EtNS0_10empty_typeEbEEZZNS1_14partition_implILS5_0ELb0ES3_jN6thrust23THRUST_200600_302600_NS6detail15normal_iteratorINSA_10device_ptrItEEEEPS6_SG_NS0_5tupleIJSF_NSA_16discard_iteratorINSA_11use_defaultEEEEEENSH_IJSG_SG_EEES6_PlJ7is_evenItEEEE10hipError_tPvRmT3_T4_T5_T6_T7_T9_mT8_P12ihipStream_tbDpT10_ENKUlT_T0_E_clISt17integral_constantIbLb1EES19_EEDaS14_S15_EUlS14_E_NS1_11comp_targetILNS1_3genE9ELNS1_11target_archE1100ELNS1_3gpuE3ELNS1_3repE0EEENS1_30default_config_static_selectorELNS0_4arch9wavefront6targetE1EEEvT1_,comdat
.Lfunc_end2537:
	.size	_ZN7rocprim17ROCPRIM_400000_NS6detail17trampoline_kernelINS0_14default_configENS1_25partition_config_selectorILNS1_17partition_subalgoE0EtNS0_10empty_typeEbEEZZNS1_14partition_implILS5_0ELb0ES3_jN6thrust23THRUST_200600_302600_NS6detail15normal_iteratorINSA_10device_ptrItEEEEPS6_SG_NS0_5tupleIJSF_NSA_16discard_iteratorINSA_11use_defaultEEEEEENSH_IJSG_SG_EEES6_PlJ7is_evenItEEEE10hipError_tPvRmT3_T4_T5_T6_T7_T9_mT8_P12ihipStream_tbDpT10_ENKUlT_T0_E_clISt17integral_constantIbLb1EES19_EEDaS14_S15_EUlS14_E_NS1_11comp_targetILNS1_3genE9ELNS1_11target_archE1100ELNS1_3gpuE3ELNS1_3repE0EEENS1_30default_config_static_selectorELNS0_4arch9wavefront6targetE1EEEvT1_, .Lfunc_end2537-_ZN7rocprim17ROCPRIM_400000_NS6detail17trampoline_kernelINS0_14default_configENS1_25partition_config_selectorILNS1_17partition_subalgoE0EtNS0_10empty_typeEbEEZZNS1_14partition_implILS5_0ELb0ES3_jN6thrust23THRUST_200600_302600_NS6detail15normal_iteratorINSA_10device_ptrItEEEEPS6_SG_NS0_5tupleIJSF_NSA_16discard_iteratorINSA_11use_defaultEEEEEENSH_IJSG_SG_EEES6_PlJ7is_evenItEEEE10hipError_tPvRmT3_T4_T5_T6_T7_T9_mT8_P12ihipStream_tbDpT10_ENKUlT_T0_E_clISt17integral_constantIbLb1EES19_EEDaS14_S15_EUlS14_E_NS1_11comp_targetILNS1_3genE9ELNS1_11target_archE1100ELNS1_3gpuE3ELNS1_3repE0EEENS1_30default_config_static_selectorELNS0_4arch9wavefront6targetE1EEEvT1_
                                        ; -- End function
	.section	.AMDGPU.csdata,"",@progbits
; Kernel info:
; codeLenInByte = 0
; NumSgprs: 4
; NumVgprs: 0
; NumAgprs: 0
; TotalNumVgprs: 0
; ScratchSize: 0
; MemoryBound: 0
; FloatMode: 240
; IeeeMode: 1
; LDSByteSize: 0 bytes/workgroup (compile time only)
; SGPRBlocks: 0
; VGPRBlocks: 0
; NumSGPRsForWavesPerEU: 4
; NumVGPRsForWavesPerEU: 1
; AccumOffset: 4
; Occupancy: 8
; WaveLimiterHint : 0
; COMPUTE_PGM_RSRC2:SCRATCH_EN: 0
; COMPUTE_PGM_RSRC2:USER_SGPR: 6
; COMPUTE_PGM_RSRC2:TRAP_HANDLER: 0
; COMPUTE_PGM_RSRC2:TGID_X_EN: 1
; COMPUTE_PGM_RSRC2:TGID_Y_EN: 0
; COMPUTE_PGM_RSRC2:TGID_Z_EN: 0
; COMPUTE_PGM_RSRC2:TIDIG_COMP_CNT: 0
; COMPUTE_PGM_RSRC3_GFX90A:ACCUM_OFFSET: 0
; COMPUTE_PGM_RSRC3_GFX90A:TG_SPLIT: 0
	.section	.text._ZN7rocprim17ROCPRIM_400000_NS6detail17trampoline_kernelINS0_14default_configENS1_25partition_config_selectorILNS1_17partition_subalgoE0EtNS0_10empty_typeEbEEZZNS1_14partition_implILS5_0ELb0ES3_jN6thrust23THRUST_200600_302600_NS6detail15normal_iteratorINSA_10device_ptrItEEEEPS6_SG_NS0_5tupleIJSF_NSA_16discard_iteratorINSA_11use_defaultEEEEEENSH_IJSG_SG_EEES6_PlJ7is_evenItEEEE10hipError_tPvRmT3_T4_T5_T6_T7_T9_mT8_P12ihipStream_tbDpT10_ENKUlT_T0_E_clISt17integral_constantIbLb1EES19_EEDaS14_S15_EUlS14_E_NS1_11comp_targetILNS1_3genE8ELNS1_11target_archE1030ELNS1_3gpuE2ELNS1_3repE0EEENS1_30default_config_static_selectorELNS0_4arch9wavefront6targetE1EEEvT1_,"axG",@progbits,_ZN7rocprim17ROCPRIM_400000_NS6detail17trampoline_kernelINS0_14default_configENS1_25partition_config_selectorILNS1_17partition_subalgoE0EtNS0_10empty_typeEbEEZZNS1_14partition_implILS5_0ELb0ES3_jN6thrust23THRUST_200600_302600_NS6detail15normal_iteratorINSA_10device_ptrItEEEEPS6_SG_NS0_5tupleIJSF_NSA_16discard_iteratorINSA_11use_defaultEEEEEENSH_IJSG_SG_EEES6_PlJ7is_evenItEEEE10hipError_tPvRmT3_T4_T5_T6_T7_T9_mT8_P12ihipStream_tbDpT10_ENKUlT_T0_E_clISt17integral_constantIbLb1EES19_EEDaS14_S15_EUlS14_E_NS1_11comp_targetILNS1_3genE8ELNS1_11target_archE1030ELNS1_3gpuE2ELNS1_3repE0EEENS1_30default_config_static_selectorELNS0_4arch9wavefront6targetE1EEEvT1_,comdat
	.protected	_ZN7rocprim17ROCPRIM_400000_NS6detail17trampoline_kernelINS0_14default_configENS1_25partition_config_selectorILNS1_17partition_subalgoE0EtNS0_10empty_typeEbEEZZNS1_14partition_implILS5_0ELb0ES3_jN6thrust23THRUST_200600_302600_NS6detail15normal_iteratorINSA_10device_ptrItEEEEPS6_SG_NS0_5tupleIJSF_NSA_16discard_iteratorINSA_11use_defaultEEEEEENSH_IJSG_SG_EEES6_PlJ7is_evenItEEEE10hipError_tPvRmT3_T4_T5_T6_T7_T9_mT8_P12ihipStream_tbDpT10_ENKUlT_T0_E_clISt17integral_constantIbLb1EES19_EEDaS14_S15_EUlS14_E_NS1_11comp_targetILNS1_3genE8ELNS1_11target_archE1030ELNS1_3gpuE2ELNS1_3repE0EEENS1_30default_config_static_selectorELNS0_4arch9wavefront6targetE1EEEvT1_ ; -- Begin function _ZN7rocprim17ROCPRIM_400000_NS6detail17trampoline_kernelINS0_14default_configENS1_25partition_config_selectorILNS1_17partition_subalgoE0EtNS0_10empty_typeEbEEZZNS1_14partition_implILS5_0ELb0ES3_jN6thrust23THRUST_200600_302600_NS6detail15normal_iteratorINSA_10device_ptrItEEEEPS6_SG_NS0_5tupleIJSF_NSA_16discard_iteratorINSA_11use_defaultEEEEEENSH_IJSG_SG_EEES6_PlJ7is_evenItEEEE10hipError_tPvRmT3_T4_T5_T6_T7_T9_mT8_P12ihipStream_tbDpT10_ENKUlT_T0_E_clISt17integral_constantIbLb1EES19_EEDaS14_S15_EUlS14_E_NS1_11comp_targetILNS1_3genE8ELNS1_11target_archE1030ELNS1_3gpuE2ELNS1_3repE0EEENS1_30default_config_static_selectorELNS0_4arch9wavefront6targetE1EEEvT1_
	.globl	_ZN7rocprim17ROCPRIM_400000_NS6detail17trampoline_kernelINS0_14default_configENS1_25partition_config_selectorILNS1_17partition_subalgoE0EtNS0_10empty_typeEbEEZZNS1_14partition_implILS5_0ELb0ES3_jN6thrust23THRUST_200600_302600_NS6detail15normal_iteratorINSA_10device_ptrItEEEEPS6_SG_NS0_5tupleIJSF_NSA_16discard_iteratorINSA_11use_defaultEEEEEENSH_IJSG_SG_EEES6_PlJ7is_evenItEEEE10hipError_tPvRmT3_T4_T5_T6_T7_T9_mT8_P12ihipStream_tbDpT10_ENKUlT_T0_E_clISt17integral_constantIbLb1EES19_EEDaS14_S15_EUlS14_E_NS1_11comp_targetILNS1_3genE8ELNS1_11target_archE1030ELNS1_3gpuE2ELNS1_3repE0EEENS1_30default_config_static_selectorELNS0_4arch9wavefront6targetE1EEEvT1_
	.p2align	8
	.type	_ZN7rocprim17ROCPRIM_400000_NS6detail17trampoline_kernelINS0_14default_configENS1_25partition_config_selectorILNS1_17partition_subalgoE0EtNS0_10empty_typeEbEEZZNS1_14partition_implILS5_0ELb0ES3_jN6thrust23THRUST_200600_302600_NS6detail15normal_iteratorINSA_10device_ptrItEEEEPS6_SG_NS0_5tupleIJSF_NSA_16discard_iteratorINSA_11use_defaultEEEEEENSH_IJSG_SG_EEES6_PlJ7is_evenItEEEE10hipError_tPvRmT3_T4_T5_T6_T7_T9_mT8_P12ihipStream_tbDpT10_ENKUlT_T0_E_clISt17integral_constantIbLb1EES19_EEDaS14_S15_EUlS14_E_NS1_11comp_targetILNS1_3genE8ELNS1_11target_archE1030ELNS1_3gpuE2ELNS1_3repE0EEENS1_30default_config_static_selectorELNS0_4arch9wavefront6targetE1EEEvT1_,@function
_ZN7rocprim17ROCPRIM_400000_NS6detail17trampoline_kernelINS0_14default_configENS1_25partition_config_selectorILNS1_17partition_subalgoE0EtNS0_10empty_typeEbEEZZNS1_14partition_implILS5_0ELb0ES3_jN6thrust23THRUST_200600_302600_NS6detail15normal_iteratorINSA_10device_ptrItEEEEPS6_SG_NS0_5tupleIJSF_NSA_16discard_iteratorINSA_11use_defaultEEEEEENSH_IJSG_SG_EEES6_PlJ7is_evenItEEEE10hipError_tPvRmT3_T4_T5_T6_T7_T9_mT8_P12ihipStream_tbDpT10_ENKUlT_T0_E_clISt17integral_constantIbLb1EES19_EEDaS14_S15_EUlS14_E_NS1_11comp_targetILNS1_3genE8ELNS1_11target_archE1030ELNS1_3gpuE2ELNS1_3repE0EEENS1_30default_config_static_selectorELNS0_4arch9wavefront6targetE1EEEvT1_: ; @_ZN7rocprim17ROCPRIM_400000_NS6detail17trampoline_kernelINS0_14default_configENS1_25partition_config_selectorILNS1_17partition_subalgoE0EtNS0_10empty_typeEbEEZZNS1_14partition_implILS5_0ELb0ES3_jN6thrust23THRUST_200600_302600_NS6detail15normal_iteratorINSA_10device_ptrItEEEEPS6_SG_NS0_5tupleIJSF_NSA_16discard_iteratorINSA_11use_defaultEEEEEENSH_IJSG_SG_EEES6_PlJ7is_evenItEEEE10hipError_tPvRmT3_T4_T5_T6_T7_T9_mT8_P12ihipStream_tbDpT10_ENKUlT_T0_E_clISt17integral_constantIbLb1EES19_EEDaS14_S15_EUlS14_E_NS1_11comp_targetILNS1_3genE8ELNS1_11target_archE1030ELNS1_3gpuE2ELNS1_3repE0EEENS1_30default_config_static_selectorELNS0_4arch9wavefront6targetE1EEEvT1_
; %bb.0:
	.section	.rodata,"a",@progbits
	.p2align	6, 0x0
	.amdhsa_kernel _ZN7rocprim17ROCPRIM_400000_NS6detail17trampoline_kernelINS0_14default_configENS1_25partition_config_selectorILNS1_17partition_subalgoE0EtNS0_10empty_typeEbEEZZNS1_14partition_implILS5_0ELb0ES3_jN6thrust23THRUST_200600_302600_NS6detail15normal_iteratorINSA_10device_ptrItEEEEPS6_SG_NS0_5tupleIJSF_NSA_16discard_iteratorINSA_11use_defaultEEEEEENSH_IJSG_SG_EEES6_PlJ7is_evenItEEEE10hipError_tPvRmT3_T4_T5_T6_T7_T9_mT8_P12ihipStream_tbDpT10_ENKUlT_T0_E_clISt17integral_constantIbLb1EES19_EEDaS14_S15_EUlS14_E_NS1_11comp_targetILNS1_3genE8ELNS1_11target_archE1030ELNS1_3gpuE2ELNS1_3repE0EEENS1_30default_config_static_selectorELNS0_4arch9wavefront6targetE1EEEvT1_
		.amdhsa_group_segment_fixed_size 0
		.amdhsa_private_segment_fixed_size 0
		.amdhsa_kernarg_size 144
		.amdhsa_user_sgpr_count 6
		.amdhsa_user_sgpr_private_segment_buffer 1
		.amdhsa_user_sgpr_dispatch_ptr 0
		.amdhsa_user_sgpr_queue_ptr 0
		.amdhsa_user_sgpr_kernarg_segment_ptr 1
		.amdhsa_user_sgpr_dispatch_id 0
		.amdhsa_user_sgpr_flat_scratch_init 0
		.amdhsa_user_sgpr_kernarg_preload_length 0
		.amdhsa_user_sgpr_kernarg_preload_offset 0
		.amdhsa_user_sgpr_private_segment_size 0
		.amdhsa_uses_dynamic_stack 0
		.amdhsa_system_sgpr_private_segment_wavefront_offset 0
		.amdhsa_system_sgpr_workgroup_id_x 1
		.amdhsa_system_sgpr_workgroup_id_y 0
		.amdhsa_system_sgpr_workgroup_id_z 0
		.amdhsa_system_sgpr_workgroup_info 0
		.amdhsa_system_vgpr_workitem_id 0
		.amdhsa_next_free_vgpr 1
		.amdhsa_next_free_sgpr 0
		.amdhsa_accum_offset 4
		.amdhsa_reserve_vcc 0
		.amdhsa_reserve_flat_scratch 0
		.amdhsa_float_round_mode_32 0
		.amdhsa_float_round_mode_16_64 0
		.amdhsa_float_denorm_mode_32 3
		.amdhsa_float_denorm_mode_16_64 3
		.amdhsa_dx10_clamp 1
		.amdhsa_ieee_mode 1
		.amdhsa_fp16_overflow 0
		.amdhsa_tg_split 0
		.amdhsa_exception_fp_ieee_invalid_op 0
		.amdhsa_exception_fp_denorm_src 0
		.amdhsa_exception_fp_ieee_div_zero 0
		.amdhsa_exception_fp_ieee_overflow 0
		.amdhsa_exception_fp_ieee_underflow 0
		.amdhsa_exception_fp_ieee_inexact 0
		.amdhsa_exception_int_div_zero 0
	.end_amdhsa_kernel
	.section	.text._ZN7rocprim17ROCPRIM_400000_NS6detail17trampoline_kernelINS0_14default_configENS1_25partition_config_selectorILNS1_17partition_subalgoE0EtNS0_10empty_typeEbEEZZNS1_14partition_implILS5_0ELb0ES3_jN6thrust23THRUST_200600_302600_NS6detail15normal_iteratorINSA_10device_ptrItEEEEPS6_SG_NS0_5tupleIJSF_NSA_16discard_iteratorINSA_11use_defaultEEEEEENSH_IJSG_SG_EEES6_PlJ7is_evenItEEEE10hipError_tPvRmT3_T4_T5_T6_T7_T9_mT8_P12ihipStream_tbDpT10_ENKUlT_T0_E_clISt17integral_constantIbLb1EES19_EEDaS14_S15_EUlS14_E_NS1_11comp_targetILNS1_3genE8ELNS1_11target_archE1030ELNS1_3gpuE2ELNS1_3repE0EEENS1_30default_config_static_selectorELNS0_4arch9wavefront6targetE1EEEvT1_,"axG",@progbits,_ZN7rocprim17ROCPRIM_400000_NS6detail17trampoline_kernelINS0_14default_configENS1_25partition_config_selectorILNS1_17partition_subalgoE0EtNS0_10empty_typeEbEEZZNS1_14partition_implILS5_0ELb0ES3_jN6thrust23THRUST_200600_302600_NS6detail15normal_iteratorINSA_10device_ptrItEEEEPS6_SG_NS0_5tupleIJSF_NSA_16discard_iteratorINSA_11use_defaultEEEEEENSH_IJSG_SG_EEES6_PlJ7is_evenItEEEE10hipError_tPvRmT3_T4_T5_T6_T7_T9_mT8_P12ihipStream_tbDpT10_ENKUlT_T0_E_clISt17integral_constantIbLb1EES19_EEDaS14_S15_EUlS14_E_NS1_11comp_targetILNS1_3genE8ELNS1_11target_archE1030ELNS1_3gpuE2ELNS1_3repE0EEENS1_30default_config_static_selectorELNS0_4arch9wavefront6targetE1EEEvT1_,comdat
.Lfunc_end2538:
	.size	_ZN7rocprim17ROCPRIM_400000_NS6detail17trampoline_kernelINS0_14default_configENS1_25partition_config_selectorILNS1_17partition_subalgoE0EtNS0_10empty_typeEbEEZZNS1_14partition_implILS5_0ELb0ES3_jN6thrust23THRUST_200600_302600_NS6detail15normal_iteratorINSA_10device_ptrItEEEEPS6_SG_NS0_5tupleIJSF_NSA_16discard_iteratorINSA_11use_defaultEEEEEENSH_IJSG_SG_EEES6_PlJ7is_evenItEEEE10hipError_tPvRmT3_T4_T5_T6_T7_T9_mT8_P12ihipStream_tbDpT10_ENKUlT_T0_E_clISt17integral_constantIbLb1EES19_EEDaS14_S15_EUlS14_E_NS1_11comp_targetILNS1_3genE8ELNS1_11target_archE1030ELNS1_3gpuE2ELNS1_3repE0EEENS1_30default_config_static_selectorELNS0_4arch9wavefront6targetE1EEEvT1_, .Lfunc_end2538-_ZN7rocprim17ROCPRIM_400000_NS6detail17trampoline_kernelINS0_14default_configENS1_25partition_config_selectorILNS1_17partition_subalgoE0EtNS0_10empty_typeEbEEZZNS1_14partition_implILS5_0ELb0ES3_jN6thrust23THRUST_200600_302600_NS6detail15normal_iteratorINSA_10device_ptrItEEEEPS6_SG_NS0_5tupleIJSF_NSA_16discard_iteratorINSA_11use_defaultEEEEEENSH_IJSG_SG_EEES6_PlJ7is_evenItEEEE10hipError_tPvRmT3_T4_T5_T6_T7_T9_mT8_P12ihipStream_tbDpT10_ENKUlT_T0_E_clISt17integral_constantIbLb1EES19_EEDaS14_S15_EUlS14_E_NS1_11comp_targetILNS1_3genE8ELNS1_11target_archE1030ELNS1_3gpuE2ELNS1_3repE0EEENS1_30default_config_static_selectorELNS0_4arch9wavefront6targetE1EEEvT1_
                                        ; -- End function
	.section	.AMDGPU.csdata,"",@progbits
; Kernel info:
; codeLenInByte = 0
; NumSgprs: 4
; NumVgprs: 0
; NumAgprs: 0
; TotalNumVgprs: 0
; ScratchSize: 0
; MemoryBound: 0
; FloatMode: 240
; IeeeMode: 1
; LDSByteSize: 0 bytes/workgroup (compile time only)
; SGPRBlocks: 0
; VGPRBlocks: 0
; NumSGPRsForWavesPerEU: 4
; NumVGPRsForWavesPerEU: 1
; AccumOffset: 4
; Occupancy: 8
; WaveLimiterHint : 0
; COMPUTE_PGM_RSRC2:SCRATCH_EN: 0
; COMPUTE_PGM_RSRC2:USER_SGPR: 6
; COMPUTE_PGM_RSRC2:TRAP_HANDLER: 0
; COMPUTE_PGM_RSRC2:TGID_X_EN: 1
; COMPUTE_PGM_RSRC2:TGID_Y_EN: 0
; COMPUTE_PGM_RSRC2:TGID_Z_EN: 0
; COMPUTE_PGM_RSRC2:TIDIG_COMP_CNT: 0
; COMPUTE_PGM_RSRC3_GFX90A:ACCUM_OFFSET: 0
; COMPUTE_PGM_RSRC3_GFX90A:TG_SPLIT: 0
	.section	.text._ZN7rocprim17ROCPRIM_400000_NS6detail17trampoline_kernelINS0_14default_configENS1_25partition_config_selectorILNS1_17partition_subalgoE0EtNS0_10empty_typeEbEEZZNS1_14partition_implILS5_0ELb0ES3_jN6thrust23THRUST_200600_302600_NS6detail15normal_iteratorINSA_10device_ptrItEEEEPS6_SG_NS0_5tupleIJSF_NSA_16discard_iteratorINSA_11use_defaultEEEEEENSH_IJSG_SG_EEES6_PlJ7is_evenItEEEE10hipError_tPvRmT3_T4_T5_T6_T7_T9_mT8_P12ihipStream_tbDpT10_ENKUlT_T0_E_clISt17integral_constantIbLb1EES18_IbLb0EEEEDaS14_S15_EUlS14_E_NS1_11comp_targetILNS1_3genE0ELNS1_11target_archE4294967295ELNS1_3gpuE0ELNS1_3repE0EEENS1_30default_config_static_selectorELNS0_4arch9wavefront6targetE1EEEvT1_,"axG",@progbits,_ZN7rocprim17ROCPRIM_400000_NS6detail17trampoline_kernelINS0_14default_configENS1_25partition_config_selectorILNS1_17partition_subalgoE0EtNS0_10empty_typeEbEEZZNS1_14partition_implILS5_0ELb0ES3_jN6thrust23THRUST_200600_302600_NS6detail15normal_iteratorINSA_10device_ptrItEEEEPS6_SG_NS0_5tupleIJSF_NSA_16discard_iteratorINSA_11use_defaultEEEEEENSH_IJSG_SG_EEES6_PlJ7is_evenItEEEE10hipError_tPvRmT3_T4_T5_T6_T7_T9_mT8_P12ihipStream_tbDpT10_ENKUlT_T0_E_clISt17integral_constantIbLb1EES18_IbLb0EEEEDaS14_S15_EUlS14_E_NS1_11comp_targetILNS1_3genE0ELNS1_11target_archE4294967295ELNS1_3gpuE0ELNS1_3repE0EEENS1_30default_config_static_selectorELNS0_4arch9wavefront6targetE1EEEvT1_,comdat
	.protected	_ZN7rocprim17ROCPRIM_400000_NS6detail17trampoline_kernelINS0_14default_configENS1_25partition_config_selectorILNS1_17partition_subalgoE0EtNS0_10empty_typeEbEEZZNS1_14partition_implILS5_0ELb0ES3_jN6thrust23THRUST_200600_302600_NS6detail15normal_iteratorINSA_10device_ptrItEEEEPS6_SG_NS0_5tupleIJSF_NSA_16discard_iteratorINSA_11use_defaultEEEEEENSH_IJSG_SG_EEES6_PlJ7is_evenItEEEE10hipError_tPvRmT3_T4_T5_T6_T7_T9_mT8_P12ihipStream_tbDpT10_ENKUlT_T0_E_clISt17integral_constantIbLb1EES18_IbLb0EEEEDaS14_S15_EUlS14_E_NS1_11comp_targetILNS1_3genE0ELNS1_11target_archE4294967295ELNS1_3gpuE0ELNS1_3repE0EEENS1_30default_config_static_selectorELNS0_4arch9wavefront6targetE1EEEvT1_ ; -- Begin function _ZN7rocprim17ROCPRIM_400000_NS6detail17trampoline_kernelINS0_14default_configENS1_25partition_config_selectorILNS1_17partition_subalgoE0EtNS0_10empty_typeEbEEZZNS1_14partition_implILS5_0ELb0ES3_jN6thrust23THRUST_200600_302600_NS6detail15normal_iteratorINSA_10device_ptrItEEEEPS6_SG_NS0_5tupleIJSF_NSA_16discard_iteratorINSA_11use_defaultEEEEEENSH_IJSG_SG_EEES6_PlJ7is_evenItEEEE10hipError_tPvRmT3_T4_T5_T6_T7_T9_mT8_P12ihipStream_tbDpT10_ENKUlT_T0_E_clISt17integral_constantIbLb1EES18_IbLb0EEEEDaS14_S15_EUlS14_E_NS1_11comp_targetILNS1_3genE0ELNS1_11target_archE4294967295ELNS1_3gpuE0ELNS1_3repE0EEENS1_30default_config_static_selectorELNS0_4arch9wavefront6targetE1EEEvT1_
	.globl	_ZN7rocprim17ROCPRIM_400000_NS6detail17trampoline_kernelINS0_14default_configENS1_25partition_config_selectorILNS1_17partition_subalgoE0EtNS0_10empty_typeEbEEZZNS1_14partition_implILS5_0ELb0ES3_jN6thrust23THRUST_200600_302600_NS6detail15normal_iteratorINSA_10device_ptrItEEEEPS6_SG_NS0_5tupleIJSF_NSA_16discard_iteratorINSA_11use_defaultEEEEEENSH_IJSG_SG_EEES6_PlJ7is_evenItEEEE10hipError_tPvRmT3_T4_T5_T6_T7_T9_mT8_P12ihipStream_tbDpT10_ENKUlT_T0_E_clISt17integral_constantIbLb1EES18_IbLb0EEEEDaS14_S15_EUlS14_E_NS1_11comp_targetILNS1_3genE0ELNS1_11target_archE4294967295ELNS1_3gpuE0ELNS1_3repE0EEENS1_30default_config_static_selectorELNS0_4arch9wavefront6targetE1EEEvT1_
	.p2align	8
	.type	_ZN7rocprim17ROCPRIM_400000_NS6detail17trampoline_kernelINS0_14default_configENS1_25partition_config_selectorILNS1_17partition_subalgoE0EtNS0_10empty_typeEbEEZZNS1_14partition_implILS5_0ELb0ES3_jN6thrust23THRUST_200600_302600_NS6detail15normal_iteratorINSA_10device_ptrItEEEEPS6_SG_NS0_5tupleIJSF_NSA_16discard_iteratorINSA_11use_defaultEEEEEENSH_IJSG_SG_EEES6_PlJ7is_evenItEEEE10hipError_tPvRmT3_T4_T5_T6_T7_T9_mT8_P12ihipStream_tbDpT10_ENKUlT_T0_E_clISt17integral_constantIbLb1EES18_IbLb0EEEEDaS14_S15_EUlS14_E_NS1_11comp_targetILNS1_3genE0ELNS1_11target_archE4294967295ELNS1_3gpuE0ELNS1_3repE0EEENS1_30default_config_static_selectorELNS0_4arch9wavefront6targetE1EEEvT1_,@function
_ZN7rocprim17ROCPRIM_400000_NS6detail17trampoline_kernelINS0_14default_configENS1_25partition_config_selectorILNS1_17partition_subalgoE0EtNS0_10empty_typeEbEEZZNS1_14partition_implILS5_0ELb0ES3_jN6thrust23THRUST_200600_302600_NS6detail15normal_iteratorINSA_10device_ptrItEEEEPS6_SG_NS0_5tupleIJSF_NSA_16discard_iteratorINSA_11use_defaultEEEEEENSH_IJSG_SG_EEES6_PlJ7is_evenItEEEE10hipError_tPvRmT3_T4_T5_T6_T7_T9_mT8_P12ihipStream_tbDpT10_ENKUlT_T0_E_clISt17integral_constantIbLb1EES18_IbLb0EEEEDaS14_S15_EUlS14_E_NS1_11comp_targetILNS1_3genE0ELNS1_11target_archE4294967295ELNS1_3gpuE0ELNS1_3repE0EEENS1_30default_config_static_selectorELNS0_4arch9wavefront6targetE1EEEvT1_: ; @_ZN7rocprim17ROCPRIM_400000_NS6detail17trampoline_kernelINS0_14default_configENS1_25partition_config_selectorILNS1_17partition_subalgoE0EtNS0_10empty_typeEbEEZZNS1_14partition_implILS5_0ELb0ES3_jN6thrust23THRUST_200600_302600_NS6detail15normal_iteratorINSA_10device_ptrItEEEEPS6_SG_NS0_5tupleIJSF_NSA_16discard_iteratorINSA_11use_defaultEEEEEENSH_IJSG_SG_EEES6_PlJ7is_evenItEEEE10hipError_tPvRmT3_T4_T5_T6_T7_T9_mT8_P12ihipStream_tbDpT10_ENKUlT_T0_E_clISt17integral_constantIbLb1EES18_IbLb0EEEEDaS14_S15_EUlS14_E_NS1_11comp_targetILNS1_3genE0ELNS1_11target_archE4294967295ELNS1_3gpuE0ELNS1_3repE0EEENS1_30default_config_static_selectorELNS0_4arch9wavefront6targetE1EEEvT1_
; %bb.0:
	.section	.rodata,"a",@progbits
	.p2align	6, 0x0
	.amdhsa_kernel _ZN7rocprim17ROCPRIM_400000_NS6detail17trampoline_kernelINS0_14default_configENS1_25partition_config_selectorILNS1_17partition_subalgoE0EtNS0_10empty_typeEbEEZZNS1_14partition_implILS5_0ELb0ES3_jN6thrust23THRUST_200600_302600_NS6detail15normal_iteratorINSA_10device_ptrItEEEEPS6_SG_NS0_5tupleIJSF_NSA_16discard_iteratorINSA_11use_defaultEEEEEENSH_IJSG_SG_EEES6_PlJ7is_evenItEEEE10hipError_tPvRmT3_T4_T5_T6_T7_T9_mT8_P12ihipStream_tbDpT10_ENKUlT_T0_E_clISt17integral_constantIbLb1EES18_IbLb0EEEEDaS14_S15_EUlS14_E_NS1_11comp_targetILNS1_3genE0ELNS1_11target_archE4294967295ELNS1_3gpuE0ELNS1_3repE0EEENS1_30default_config_static_selectorELNS0_4arch9wavefront6targetE1EEEvT1_
		.amdhsa_group_segment_fixed_size 0
		.amdhsa_private_segment_fixed_size 0
		.amdhsa_kernarg_size 128
		.amdhsa_user_sgpr_count 6
		.amdhsa_user_sgpr_private_segment_buffer 1
		.amdhsa_user_sgpr_dispatch_ptr 0
		.amdhsa_user_sgpr_queue_ptr 0
		.amdhsa_user_sgpr_kernarg_segment_ptr 1
		.amdhsa_user_sgpr_dispatch_id 0
		.amdhsa_user_sgpr_flat_scratch_init 0
		.amdhsa_user_sgpr_kernarg_preload_length 0
		.amdhsa_user_sgpr_kernarg_preload_offset 0
		.amdhsa_user_sgpr_private_segment_size 0
		.amdhsa_uses_dynamic_stack 0
		.amdhsa_system_sgpr_private_segment_wavefront_offset 0
		.amdhsa_system_sgpr_workgroup_id_x 1
		.amdhsa_system_sgpr_workgroup_id_y 0
		.amdhsa_system_sgpr_workgroup_id_z 0
		.amdhsa_system_sgpr_workgroup_info 0
		.amdhsa_system_vgpr_workitem_id 0
		.amdhsa_next_free_vgpr 1
		.amdhsa_next_free_sgpr 0
		.amdhsa_accum_offset 4
		.amdhsa_reserve_vcc 0
		.amdhsa_reserve_flat_scratch 0
		.amdhsa_float_round_mode_32 0
		.amdhsa_float_round_mode_16_64 0
		.amdhsa_float_denorm_mode_32 3
		.amdhsa_float_denorm_mode_16_64 3
		.amdhsa_dx10_clamp 1
		.amdhsa_ieee_mode 1
		.amdhsa_fp16_overflow 0
		.amdhsa_tg_split 0
		.amdhsa_exception_fp_ieee_invalid_op 0
		.amdhsa_exception_fp_denorm_src 0
		.amdhsa_exception_fp_ieee_div_zero 0
		.amdhsa_exception_fp_ieee_overflow 0
		.amdhsa_exception_fp_ieee_underflow 0
		.amdhsa_exception_fp_ieee_inexact 0
		.amdhsa_exception_int_div_zero 0
	.end_amdhsa_kernel
	.section	.text._ZN7rocprim17ROCPRIM_400000_NS6detail17trampoline_kernelINS0_14default_configENS1_25partition_config_selectorILNS1_17partition_subalgoE0EtNS0_10empty_typeEbEEZZNS1_14partition_implILS5_0ELb0ES3_jN6thrust23THRUST_200600_302600_NS6detail15normal_iteratorINSA_10device_ptrItEEEEPS6_SG_NS0_5tupleIJSF_NSA_16discard_iteratorINSA_11use_defaultEEEEEENSH_IJSG_SG_EEES6_PlJ7is_evenItEEEE10hipError_tPvRmT3_T4_T5_T6_T7_T9_mT8_P12ihipStream_tbDpT10_ENKUlT_T0_E_clISt17integral_constantIbLb1EES18_IbLb0EEEEDaS14_S15_EUlS14_E_NS1_11comp_targetILNS1_3genE0ELNS1_11target_archE4294967295ELNS1_3gpuE0ELNS1_3repE0EEENS1_30default_config_static_selectorELNS0_4arch9wavefront6targetE1EEEvT1_,"axG",@progbits,_ZN7rocprim17ROCPRIM_400000_NS6detail17trampoline_kernelINS0_14default_configENS1_25partition_config_selectorILNS1_17partition_subalgoE0EtNS0_10empty_typeEbEEZZNS1_14partition_implILS5_0ELb0ES3_jN6thrust23THRUST_200600_302600_NS6detail15normal_iteratorINSA_10device_ptrItEEEEPS6_SG_NS0_5tupleIJSF_NSA_16discard_iteratorINSA_11use_defaultEEEEEENSH_IJSG_SG_EEES6_PlJ7is_evenItEEEE10hipError_tPvRmT3_T4_T5_T6_T7_T9_mT8_P12ihipStream_tbDpT10_ENKUlT_T0_E_clISt17integral_constantIbLb1EES18_IbLb0EEEEDaS14_S15_EUlS14_E_NS1_11comp_targetILNS1_3genE0ELNS1_11target_archE4294967295ELNS1_3gpuE0ELNS1_3repE0EEENS1_30default_config_static_selectorELNS0_4arch9wavefront6targetE1EEEvT1_,comdat
.Lfunc_end2539:
	.size	_ZN7rocprim17ROCPRIM_400000_NS6detail17trampoline_kernelINS0_14default_configENS1_25partition_config_selectorILNS1_17partition_subalgoE0EtNS0_10empty_typeEbEEZZNS1_14partition_implILS5_0ELb0ES3_jN6thrust23THRUST_200600_302600_NS6detail15normal_iteratorINSA_10device_ptrItEEEEPS6_SG_NS0_5tupleIJSF_NSA_16discard_iteratorINSA_11use_defaultEEEEEENSH_IJSG_SG_EEES6_PlJ7is_evenItEEEE10hipError_tPvRmT3_T4_T5_T6_T7_T9_mT8_P12ihipStream_tbDpT10_ENKUlT_T0_E_clISt17integral_constantIbLb1EES18_IbLb0EEEEDaS14_S15_EUlS14_E_NS1_11comp_targetILNS1_3genE0ELNS1_11target_archE4294967295ELNS1_3gpuE0ELNS1_3repE0EEENS1_30default_config_static_selectorELNS0_4arch9wavefront6targetE1EEEvT1_, .Lfunc_end2539-_ZN7rocprim17ROCPRIM_400000_NS6detail17trampoline_kernelINS0_14default_configENS1_25partition_config_selectorILNS1_17partition_subalgoE0EtNS0_10empty_typeEbEEZZNS1_14partition_implILS5_0ELb0ES3_jN6thrust23THRUST_200600_302600_NS6detail15normal_iteratorINSA_10device_ptrItEEEEPS6_SG_NS0_5tupleIJSF_NSA_16discard_iteratorINSA_11use_defaultEEEEEENSH_IJSG_SG_EEES6_PlJ7is_evenItEEEE10hipError_tPvRmT3_T4_T5_T6_T7_T9_mT8_P12ihipStream_tbDpT10_ENKUlT_T0_E_clISt17integral_constantIbLb1EES18_IbLb0EEEEDaS14_S15_EUlS14_E_NS1_11comp_targetILNS1_3genE0ELNS1_11target_archE4294967295ELNS1_3gpuE0ELNS1_3repE0EEENS1_30default_config_static_selectorELNS0_4arch9wavefront6targetE1EEEvT1_
                                        ; -- End function
	.section	.AMDGPU.csdata,"",@progbits
; Kernel info:
; codeLenInByte = 0
; NumSgprs: 4
; NumVgprs: 0
; NumAgprs: 0
; TotalNumVgprs: 0
; ScratchSize: 0
; MemoryBound: 0
; FloatMode: 240
; IeeeMode: 1
; LDSByteSize: 0 bytes/workgroup (compile time only)
; SGPRBlocks: 0
; VGPRBlocks: 0
; NumSGPRsForWavesPerEU: 4
; NumVGPRsForWavesPerEU: 1
; AccumOffset: 4
; Occupancy: 8
; WaveLimiterHint : 0
; COMPUTE_PGM_RSRC2:SCRATCH_EN: 0
; COMPUTE_PGM_RSRC2:USER_SGPR: 6
; COMPUTE_PGM_RSRC2:TRAP_HANDLER: 0
; COMPUTE_PGM_RSRC2:TGID_X_EN: 1
; COMPUTE_PGM_RSRC2:TGID_Y_EN: 0
; COMPUTE_PGM_RSRC2:TGID_Z_EN: 0
; COMPUTE_PGM_RSRC2:TIDIG_COMP_CNT: 0
; COMPUTE_PGM_RSRC3_GFX90A:ACCUM_OFFSET: 0
; COMPUTE_PGM_RSRC3_GFX90A:TG_SPLIT: 0
	.section	.text._ZN7rocprim17ROCPRIM_400000_NS6detail17trampoline_kernelINS0_14default_configENS1_25partition_config_selectorILNS1_17partition_subalgoE0EtNS0_10empty_typeEbEEZZNS1_14partition_implILS5_0ELb0ES3_jN6thrust23THRUST_200600_302600_NS6detail15normal_iteratorINSA_10device_ptrItEEEEPS6_SG_NS0_5tupleIJSF_NSA_16discard_iteratorINSA_11use_defaultEEEEEENSH_IJSG_SG_EEES6_PlJ7is_evenItEEEE10hipError_tPvRmT3_T4_T5_T6_T7_T9_mT8_P12ihipStream_tbDpT10_ENKUlT_T0_E_clISt17integral_constantIbLb1EES18_IbLb0EEEEDaS14_S15_EUlS14_E_NS1_11comp_targetILNS1_3genE5ELNS1_11target_archE942ELNS1_3gpuE9ELNS1_3repE0EEENS1_30default_config_static_selectorELNS0_4arch9wavefront6targetE1EEEvT1_,"axG",@progbits,_ZN7rocprim17ROCPRIM_400000_NS6detail17trampoline_kernelINS0_14default_configENS1_25partition_config_selectorILNS1_17partition_subalgoE0EtNS0_10empty_typeEbEEZZNS1_14partition_implILS5_0ELb0ES3_jN6thrust23THRUST_200600_302600_NS6detail15normal_iteratorINSA_10device_ptrItEEEEPS6_SG_NS0_5tupleIJSF_NSA_16discard_iteratorINSA_11use_defaultEEEEEENSH_IJSG_SG_EEES6_PlJ7is_evenItEEEE10hipError_tPvRmT3_T4_T5_T6_T7_T9_mT8_P12ihipStream_tbDpT10_ENKUlT_T0_E_clISt17integral_constantIbLb1EES18_IbLb0EEEEDaS14_S15_EUlS14_E_NS1_11comp_targetILNS1_3genE5ELNS1_11target_archE942ELNS1_3gpuE9ELNS1_3repE0EEENS1_30default_config_static_selectorELNS0_4arch9wavefront6targetE1EEEvT1_,comdat
	.protected	_ZN7rocprim17ROCPRIM_400000_NS6detail17trampoline_kernelINS0_14default_configENS1_25partition_config_selectorILNS1_17partition_subalgoE0EtNS0_10empty_typeEbEEZZNS1_14partition_implILS5_0ELb0ES3_jN6thrust23THRUST_200600_302600_NS6detail15normal_iteratorINSA_10device_ptrItEEEEPS6_SG_NS0_5tupleIJSF_NSA_16discard_iteratorINSA_11use_defaultEEEEEENSH_IJSG_SG_EEES6_PlJ7is_evenItEEEE10hipError_tPvRmT3_T4_T5_T6_T7_T9_mT8_P12ihipStream_tbDpT10_ENKUlT_T0_E_clISt17integral_constantIbLb1EES18_IbLb0EEEEDaS14_S15_EUlS14_E_NS1_11comp_targetILNS1_3genE5ELNS1_11target_archE942ELNS1_3gpuE9ELNS1_3repE0EEENS1_30default_config_static_selectorELNS0_4arch9wavefront6targetE1EEEvT1_ ; -- Begin function _ZN7rocprim17ROCPRIM_400000_NS6detail17trampoline_kernelINS0_14default_configENS1_25partition_config_selectorILNS1_17partition_subalgoE0EtNS0_10empty_typeEbEEZZNS1_14partition_implILS5_0ELb0ES3_jN6thrust23THRUST_200600_302600_NS6detail15normal_iteratorINSA_10device_ptrItEEEEPS6_SG_NS0_5tupleIJSF_NSA_16discard_iteratorINSA_11use_defaultEEEEEENSH_IJSG_SG_EEES6_PlJ7is_evenItEEEE10hipError_tPvRmT3_T4_T5_T6_T7_T9_mT8_P12ihipStream_tbDpT10_ENKUlT_T0_E_clISt17integral_constantIbLb1EES18_IbLb0EEEEDaS14_S15_EUlS14_E_NS1_11comp_targetILNS1_3genE5ELNS1_11target_archE942ELNS1_3gpuE9ELNS1_3repE0EEENS1_30default_config_static_selectorELNS0_4arch9wavefront6targetE1EEEvT1_
	.globl	_ZN7rocprim17ROCPRIM_400000_NS6detail17trampoline_kernelINS0_14default_configENS1_25partition_config_selectorILNS1_17partition_subalgoE0EtNS0_10empty_typeEbEEZZNS1_14partition_implILS5_0ELb0ES3_jN6thrust23THRUST_200600_302600_NS6detail15normal_iteratorINSA_10device_ptrItEEEEPS6_SG_NS0_5tupleIJSF_NSA_16discard_iteratorINSA_11use_defaultEEEEEENSH_IJSG_SG_EEES6_PlJ7is_evenItEEEE10hipError_tPvRmT3_T4_T5_T6_T7_T9_mT8_P12ihipStream_tbDpT10_ENKUlT_T0_E_clISt17integral_constantIbLb1EES18_IbLb0EEEEDaS14_S15_EUlS14_E_NS1_11comp_targetILNS1_3genE5ELNS1_11target_archE942ELNS1_3gpuE9ELNS1_3repE0EEENS1_30default_config_static_selectorELNS0_4arch9wavefront6targetE1EEEvT1_
	.p2align	8
	.type	_ZN7rocprim17ROCPRIM_400000_NS6detail17trampoline_kernelINS0_14default_configENS1_25partition_config_selectorILNS1_17partition_subalgoE0EtNS0_10empty_typeEbEEZZNS1_14partition_implILS5_0ELb0ES3_jN6thrust23THRUST_200600_302600_NS6detail15normal_iteratorINSA_10device_ptrItEEEEPS6_SG_NS0_5tupleIJSF_NSA_16discard_iteratorINSA_11use_defaultEEEEEENSH_IJSG_SG_EEES6_PlJ7is_evenItEEEE10hipError_tPvRmT3_T4_T5_T6_T7_T9_mT8_P12ihipStream_tbDpT10_ENKUlT_T0_E_clISt17integral_constantIbLb1EES18_IbLb0EEEEDaS14_S15_EUlS14_E_NS1_11comp_targetILNS1_3genE5ELNS1_11target_archE942ELNS1_3gpuE9ELNS1_3repE0EEENS1_30default_config_static_selectorELNS0_4arch9wavefront6targetE1EEEvT1_,@function
_ZN7rocprim17ROCPRIM_400000_NS6detail17trampoline_kernelINS0_14default_configENS1_25partition_config_selectorILNS1_17partition_subalgoE0EtNS0_10empty_typeEbEEZZNS1_14partition_implILS5_0ELb0ES3_jN6thrust23THRUST_200600_302600_NS6detail15normal_iteratorINSA_10device_ptrItEEEEPS6_SG_NS0_5tupleIJSF_NSA_16discard_iteratorINSA_11use_defaultEEEEEENSH_IJSG_SG_EEES6_PlJ7is_evenItEEEE10hipError_tPvRmT3_T4_T5_T6_T7_T9_mT8_P12ihipStream_tbDpT10_ENKUlT_T0_E_clISt17integral_constantIbLb1EES18_IbLb0EEEEDaS14_S15_EUlS14_E_NS1_11comp_targetILNS1_3genE5ELNS1_11target_archE942ELNS1_3gpuE9ELNS1_3repE0EEENS1_30default_config_static_selectorELNS0_4arch9wavefront6targetE1EEEvT1_: ; @_ZN7rocprim17ROCPRIM_400000_NS6detail17trampoline_kernelINS0_14default_configENS1_25partition_config_selectorILNS1_17partition_subalgoE0EtNS0_10empty_typeEbEEZZNS1_14partition_implILS5_0ELb0ES3_jN6thrust23THRUST_200600_302600_NS6detail15normal_iteratorINSA_10device_ptrItEEEEPS6_SG_NS0_5tupleIJSF_NSA_16discard_iteratorINSA_11use_defaultEEEEEENSH_IJSG_SG_EEES6_PlJ7is_evenItEEEE10hipError_tPvRmT3_T4_T5_T6_T7_T9_mT8_P12ihipStream_tbDpT10_ENKUlT_T0_E_clISt17integral_constantIbLb1EES18_IbLb0EEEEDaS14_S15_EUlS14_E_NS1_11comp_targetILNS1_3genE5ELNS1_11target_archE942ELNS1_3gpuE9ELNS1_3repE0EEENS1_30default_config_static_selectorELNS0_4arch9wavefront6targetE1EEEvT1_
; %bb.0:
	.section	.rodata,"a",@progbits
	.p2align	6, 0x0
	.amdhsa_kernel _ZN7rocprim17ROCPRIM_400000_NS6detail17trampoline_kernelINS0_14default_configENS1_25partition_config_selectorILNS1_17partition_subalgoE0EtNS0_10empty_typeEbEEZZNS1_14partition_implILS5_0ELb0ES3_jN6thrust23THRUST_200600_302600_NS6detail15normal_iteratorINSA_10device_ptrItEEEEPS6_SG_NS0_5tupleIJSF_NSA_16discard_iteratorINSA_11use_defaultEEEEEENSH_IJSG_SG_EEES6_PlJ7is_evenItEEEE10hipError_tPvRmT3_T4_T5_T6_T7_T9_mT8_P12ihipStream_tbDpT10_ENKUlT_T0_E_clISt17integral_constantIbLb1EES18_IbLb0EEEEDaS14_S15_EUlS14_E_NS1_11comp_targetILNS1_3genE5ELNS1_11target_archE942ELNS1_3gpuE9ELNS1_3repE0EEENS1_30default_config_static_selectorELNS0_4arch9wavefront6targetE1EEEvT1_
		.amdhsa_group_segment_fixed_size 0
		.amdhsa_private_segment_fixed_size 0
		.amdhsa_kernarg_size 128
		.amdhsa_user_sgpr_count 6
		.amdhsa_user_sgpr_private_segment_buffer 1
		.amdhsa_user_sgpr_dispatch_ptr 0
		.amdhsa_user_sgpr_queue_ptr 0
		.amdhsa_user_sgpr_kernarg_segment_ptr 1
		.amdhsa_user_sgpr_dispatch_id 0
		.amdhsa_user_sgpr_flat_scratch_init 0
		.amdhsa_user_sgpr_kernarg_preload_length 0
		.amdhsa_user_sgpr_kernarg_preload_offset 0
		.amdhsa_user_sgpr_private_segment_size 0
		.amdhsa_uses_dynamic_stack 0
		.amdhsa_system_sgpr_private_segment_wavefront_offset 0
		.amdhsa_system_sgpr_workgroup_id_x 1
		.amdhsa_system_sgpr_workgroup_id_y 0
		.amdhsa_system_sgpr_workgroup_id_z 0
		.amdhsa_system_sgpr_workgroup_info 0
		.amdhsa_system_vgpr_workitem_id 0
		.amdhsa_next_free_vgpr 1
		.amdhsa_next_free_sgpr 0
		.amdhsa_accum_offset 4
		.amdhsa_reserve_vcc 0
		.amdhsa_reserve_flat_scratch 0
		.amdhsa_float_round_mode_32 0
		.amdhsa_float_round_mode_16_64 0
		.amdhsa_float_denorm_mode_32 3
		.amdhsa_float_denorm_mode_16_64 3
		.amdhsa_dx10_clamp 1
		.amdhsa_ieee_mode 1
		.amdhsa_fp16_overflow 0
		.amdhsa_tg_split 0
		.amdhsa_exception_fp_ieee_invalid_op 0
		.amdhsa_exception_fp_denorm_src 0
		.amdhsa_exception_fp_ieee_div_zero 0
		.amdhsa_exception_fp_ieee_overflow 0
		.amdhsa_exception_fp_ieee_underflow 0
		.amdhsa_exception_fp_ieee_inexact 0
		.amdhsa_exception_int_div_zero 0
	.end_amdhsa_kernel
	.section	.text._ZN7rocprim17ROCPRIM_400000_NS6detail17trampoline_kernelINS0_14default_configENS1_25partition_config_selectorILNS1_17partition_subalgoE0EtNS0_10empty_typeEbEEZZNS1_14partition_implILS5_0ELb0ES3_jN6thrust23THRUST_200600_302600_NS6detail15normal_iteratorINSA_10device_ptrItEEEEPS6_SG_NS0_5tupleIJSF_NSA_16discard_iteratorINSA_11use_defaultEEEEEENSH_IJSG_SG_EEES6_PlJ7is_evenItEEEE10hipError_tPvRmT3_T4_T5_T6_T7_T9_mT8_P12ihipStream_tbDpT10_ENKUlT_T0_E_clISt17integral_constantIbLb1EES18_IbLb0EEEEDaS14_S15_EUlS14_E_NS1_11comp_targetILNS1_3genE5ELNS1_11target_archE942ELNS1_3gpuE9ELNS1_3repE0EEENS1_30default_config_static_selectorELNS0_4arch9wavefront6targetE1EEEvT1_,"axG",@progbits,_ZN7rocprim17ROCPRIM_400000_NS6detail17trampoline_kernelINS0_14default_configENS1_25partition_config_selectorILNS1_17partition_subalgoE0EtNS0_10empty_typeEbEEZZNS1_14partition_implILS5_0ELb0ES3_jN6thrust23THRUST_200600_302600_NS6detail15normal_iteratorINSA_10device_ptrItEEEEPS6_SG_NS0_5tupleIJSF_NSA_16discard_iteratorINSA_11use_defaultEEEEEENSH_IJSG_SG_EEES6_PlJ7is_evenItEEEE10hipError_tPvRmT3_T4_T5_T6_T7_T9_mT8_P12ihipStream_tbDpT10_ENKUlT_T0_E_clISt17integral_constantIbLb1EES18_IbLb0EEEEDaS14_S15_EUlS14_E_NS1_11comp_targetILNS1_3genE5ELNS1_11target_archE942ELNS1_3gpuE9ELNS1_3repE0EEENS1_30default_config_static_selectorELNS0_4arch9wavefront6targetE1EEEvT1_,comdat
.Lfunc_end2540:
	.size	_ZN7rocprim17ROCPRIM_400000_NS6detail17trampoline_kernelINS0_14default_configENS1_25partition_config_selectorILNS1_17partition_subalgoE0EtNS0_10empty_typeEbEEZZNS1_14partition_implILS5_0ELb0ES3_jN6thrust23THRUST_200600_302600_NS6detail15normal_iteratorINSA_10device_ptrItEEEEPS6_SG_NS0_5tupleIJSF_NSA_16discard_iteratorINSA_11use_defaultEEEEEENSH_IJSG_SG_EEES6_PlJ7is_evenItEEEE10hipError_tPvRmT3_T4_T5_T6_T7_T9_mT8_P12ihipStream_tbDpT10_ENKUlT_T0_E_clISt17integral_constantIbLb1EES18_IbLb0EEEEDaS14_S15_EUlS14_E_NS1_11comp_targetILNS1_3genE5ELNS1_11target_archE942ELNS1_3gpuE9ELNS1_3repE0EEENS1_30default_config_static_selectorELNS0_4arch9wavefront6targetE1EEEvT1_, .Lfunc_end2540-_ZN7rocprim17ROCPRIM_400000_NS6detail17trampoline_kernelINS0_14default_configENS1_25partition_config_selectorILNS1_17partition_subalgoE0EtNS0_10empty_typeEbEEZZNS1_14partition_implILS5_0ELb0ES3_jN6thrust23THRUST_200600_302600_NS6detail15normal_iteratorINSA_10device_ptrItEEEEPS6_SG_NS0_5tupleIJSF_NSA_16discard_iteratorINSA_11use_defaultEEEEEENSH_IJSG_SG_EEES6_PlJ7is_evenItEEEE10hipError_tPvRmT3_T4_T5_T6_T7_T9_mT8_P12ihipStream_tbDpT10_ENKUlT_T0_E_clISt17integral_constantIbLb1EES18_IbLb0EEEEDaS14_S15_EUlS14_E_NS1_11comp_targetILNS1_3genE5ELNS1_11target_archE942ELNS1_3gpuE9ELNS1_3repE0EEENS1_30default_config_static_selectorELNS0_4arch9wavefront6targetE1EEEvT1_
                                        ; -- End function
	.section	.AMDGPU.csdata,"",@progbits
; Kernel info:
; codeLenInByte = 0
; NumSgprs: 4
; NumVgprs: 0
; NumAgprs: 0
; TotalNumVgprs: 0
; ScratchSize: 0
; MemoryBound: 0
; FloatMode: 240
; IeeeMode: 1
; LDSByteSize: 0 bytes/workgroup (compile time only)
; SGPRBlocks: 0
; VGPRBlocks: 0
; NumSGPRsForWavesPerEU: 4
; NumVGPRsForWavesPerEU: 1
; AccumOffset: 4
; Occupancy: 8
; WaveLimiterHint : 0
; COMPUTE_PGM_RSRC2:SCRATCH_EN: 0
; COMPUTE_PGM_RSRC2:USER_SGPR: 6
; COMPUTE_PGM_RSRC2:TRAP_HANDLER: 0
; COMPUTE_PGM_RSRC2:TGID_X_EN: 1
; COMPUTE_PGM_RSRC2:TGID_Y_EN: 0
; COMPUTE_PGM_RSRC2:TGID_Z_EN: 0
; COMPUTE_PGM_RSRC2:TIDIG_COMP_CNT: 0
; COMPUTE_PGM_RSRC3_GFX90A:ACCUM_OFFSET: 0
; COMPUTE_PGM_RSRC3_GFX90A:TG_SPLIT: 0
	.section	.text._ZN7rocprim17ROCPRIM_400000_NS6detail17trampoline_kernelINS0_14default_configENS1_25partition_config_selectorILNS1_17partition_subalgoE0EtNS0_10empty_typeEbEEZZNS1_14partition_implILS5_0ELb0ES3_jN6thrust23THRUST_200600_302600_NS6detail15normal_iteratorINSA_10device_ptrItEEEEPS6_SG_NS0_5tupleIJSF_NSA_16discard_iteratorINSA_11use_defaultEEEEEENSH_IJSG_SG_EEES6_PlJ7is_evenItEEEE10hipError_tPvRmT3_T4_T5_T6_T7_T9_mT8_P12ihipStream_tbDpT10_ENKUlT_T0_E_clISt17integral_constantIbLb1EES18_IbLb0EEEEDaS14_S15_EUlS14_E_NS1_11comp_targetILNS1_3genE4ELNS1_11target_archE910ELNS1_3gpuE8ELNS1_3repE0EEENS1_30default_config_static_selectorELNS0_4arch9wavefront6targetE1EEEvT1_,"axG",@progbits,_ZN7rocprim17ROCPRIM_400000_NS6detail17trampoline_kernelINS0_14default_configENS1_25partition_config_selectorILNS1_17partition_subalgoE0EtNS0_10empty_typeEbEEZZNS1_14partition_implILS5_0ELb0ES3_jN6thrust23THRUST_200600_302600_NS6detail15normal_iteratorINSA_10device_ptrItEEEEPS6_SG_NS0_5tupleIJSF_NSA_16discard_iteratorINSA_11use_defaultEEEEEENSH_IJSG_SG_EEES6_PlJ7is_evenItEEEE10hipError_tPvRmT3_T4_T5_T6_T7_T9_mT8_P12ihipStream_tbDpT10_ENKUlT_T0_E_clISt17integral_constantIbLb1EES18_IbLb0EEEEDaS14_S15_EUlS14_E_NS1_11comp_targetILNS1_3genE4ELNS1_11target_archE910ELNS1_3gpuE8ELNS1_3repE0EEENS1_30default_config_static_selectorELNS0_4arch9wavefront6targetE1EEEvT1_,comdat
	.protected	_ZN7rocprim17ROCPRIM_400000_NS6detail17trampoline_kernelINS0_14default_configENS1_25partition_config_selectorILNS1_17partition_subalgoE0EtNS0_10empty_typeEbEEZZNS1_14partition_implILS5_0ELb0ES3_jN6thrust23THRUST_200600_302600_NS6detail15normal_iteratorINSA_10device_ptrItEEEEPS6_SG_NS0_5tupleIJSF_NSA_16discard_iteratorINSA_11use_defaultEEEEEENSH_IJSG_SG_EEES6_PlJ7is_evenItEEEE10hipError_tPvRmT3_T4_T5_T6_T7_T9_mT8_P12ihipStream_tbDpT10_ENKUlT_T0_E_clISt17integral_constantIbLb1EES18_IbLb0EEEEDaS14_S15_EUlS14_E_NS1_11comp_targetILNS1_3genE4ELNS1_11target_archE910ELNS1_3gpuE8ELNS1_3repE0EEENS1_30default_config_static_selectorELNS0_4arch9wavefront6targetE1EEEvT1_ ; -- Begin function _ZN7rocprim17ROCPRIM_400000_NS6detail17trampoline_kernelINS0_14default_configENS1_25partition_config_selectorILNS1_17partition_subalgoE0EtNS0_10empty_typeEbEEZZNS1_14partition_implILS5_0ELb0ES3_jN6thrust23THRUST_200600_302600_NS6detail15normal_iteratorINSA_10device_ptrItEEEEPS6_SG_NS0_5tupleIJSF_NSA_16discard_iteratorINSA_11use_defaultEEEEEENSH_IJSG_SG_EEES6_PlJ7is_evenItEEEE10hipError_tPvRmT3_T4_T5_T6_T7_T9_mT8_P12ihipStream_tbDpT10_ENKUlT_T0_E_clISt17integral_constantIbLb1EES18_IbLb0EEEEDaS14_S15_EUlS14_E_NS1_11comp_targetILNS1_3genE4ELNS1_11target_archE910ELNS1_3gpuE8ELNS1_3repE0EEENS1_30default_config_static_selectorELNS0_4arch9wavefront6targetE1EEEvT1_
	.globl	_ZN7rocprim17ROCPRIM_400000_NS6detail17trampoline_kernelINS0_14default_configENS1_25partition_config_selectorILNS1_17partition_subalgoE0EtNS0_10empty_typeEbEEZZNS1_14partition_implILS5_0ELb0ES3_jN6thrust23THRUST_200600_302600_NS6detail15normal_iteratorINSA_10device_ptrItEEEEPS6_SG_NS0_5tupleIJSF_NSA_16discard_iteratorINSA_11use_defaultEEEEEENSH_IJSG_SG_EEES6_PlJ7is_evenItEEEE10hipError_tPvRmT3_T4_T5_T6_T7_T9_mT8_P12ihipStream_tbDpT10_ENKUlT_T0_E_clISt17integral_constantIbLb1EES18_IbLb0EEEEDaS14_S15_EUlS14_E_NS1_11comp_targetILNS1_3genE4ELNS1_11target_archE910ELNS1_3gpuE8ELNS1_3repE0EEENS1_30default_config_static_selectorELNS0_4arch9wavefront6targetE1EEEvT1_
	.p2align	8
	.type	_ZN7rocprim17ROCPRIM_400000_NS6detail17trampoline_kernelINS0_14default_configENS1_25partition_config_selectorILNS1_17partition_subalgoE0EtNS0_10empty_typeEbEEZZNS1_14partition_implILS5_0ELb0ES3_jN6thrust23THRUST_200600_302600_NS6detail15normal_iteratorINSA_10device_ptrItEEEEPS6_SG_NS0_5tupleIJSF_NSA_16discard_iteratorINSA_11use_defaultEEEEEENSH_IJSG_SG_EEES6_PlJ7is_evenItEEEE10hipError_tPvRmT3_T4_T5_T6_T7_T9_mT8_P12ihipStream_tbDpT10_ENKUlT_T0_E_clISt17integral_constantIbLb1EES18_IbLb0EEEEDaS14_S15_EUlS14_E_NS1_11comp_targetILNS1_3genE4ELNS1_11target_archE910ELNS1_3gpuE8ELNS1_3repE0EEENS1_30default_config_static_selectorELNS0_4arch9wavefront6targetE1EEEvT1_,@function
_ZN7rocprim17ROCPRIM_400000_NS6detail17trampoline_kernelINS0_14default_configENS1_25partition_config_selectorILNS1_17partition_subalgoE0EtNS0_10empty_typeEbEEZZNS1_14partition_implILS5_0ELb0ES3_jN6thrust23THRUST_200600_302600_NS6detail15normal_iteratorINSA_10device_ptrItEEEEPS6_SG_NS0_5tupleIJSF_NSA_16discard_iteratorINSA_11use_defaultEEEEEENSH_IJSG_SG_EEES6_PlJ7is_evenItEEEE10hipError_tPvRmT3_T4_T5_T6_T7_T9_mT8_P12ihipStream_tbDpT10_ENKUlT_T0_E_clISt17integral_constantIbLb1EES18_IbLb0EEEEDaS14_S15_EUlS14_E_NS1_11comp_targetILNS1_3genE4ELNS1_11target_archE910ELNS1_3gpuE8ELNS1_3repE0EEENS1_30default_config_static_selectorELNS0_4arch9wavefront6targetE1EEEvT1_: ; @_ZN7rocprim17ROCPRIM_400000_NS6detail17trampoline_kernelINS0_14default_configENS1_25partition_config_selectorILNS1_17partition_subalgoE0EtNS0_10empty_typeEbEEZZNS1_14partition_implILS5_0ELb0ES3_jN6thrust23THRUST_200600_302600_NS6detail15normal_iteratorINSA_10device_ptrItEEEEPS6_SG_NS0_5tupleIJSF_NSA_16discard_iteratorINSA_11use_defaultEEEEEENSH_IJSG_SG_EEES6_PlJ7is_evenItEEEE10hipError_tPvRmT3_T4_T5_T6_T7_T9_mT8_P12ihipStream_tbDpT10_ENKUlT_T0_E_clISt17integral_constantIbLb1EES18_IbLb0EEEEDaS14_S15_EUlS14_E_NS1_11comp_targetILNS1_3genE4ELNS1_11target_archE910ELNS1_3gpuE8ELNS1_3repE0EEENS1_30default_config_static_selectorELNS0_4arch9wavefront6targetE1EEEvT1_
; %bb.0:
	s_load_dwordx2 s[8:9], s[4:5], 0x60
	s_load_dwordx4 s[0:3], s[4:5], 0x8
	s_load_dwordx4 s[24:27], s[4:5], 0x50
	s_load_dword s7, s[4:5], 0x78
	v_lshlrev_b32_e32 v1, 1, v0
	s_waitcnt lgkmcnt(0)
	v_mov_b32_e32 v3, s9
	s_lshl_b64 s[10:11], s[2:3], 1
	s_add_u32 s9, s0, s10
	s_addc_u32 s10, s1, s11
	s_add_i32 s11, s7, -1
	s_mulk_i32 s7, 0x1c00
	s_add_i32 s1, s7, s2
	s_sub_i32 s33, s8, s1
	s_add_u32 s2, s2, s7
	s_addc_u32 s3, s3, 0
	s_cmp_eq_u32 s6, s11
	v_mov_b32_e32 v2, s8
	s_load_dwordx2 s[22:23], s[26:27], 0x0
	s_cselect_b64 s[26:27], -1, 0
	s_cmp_lg_u32 s6, s11
	s_mul_i32 s0, s6, 0x1c00
	s_mov_b32 s1, 0
	v_cmp_lt_u64_e32 vcc, s[2:3], v[2:3]
	s_cselect_b64 s[2:3], -1, 0
	s_or_b64 s[2:3], s[2:3], vcc
	s_lshl_b64 s[0:1], s[0:1], 1
	s_add_u32 s7, s9, s0
	s_addc_u32 s8, s10, s1
	s_mov_b64 s[0:1], -1
	s_and_b64 vcc, exec, s[2:3]
	s_cbranch_vccz .LBB2541_2
; %bb.1:
	v_mov_b32_e32 v3, s8
	v_add_co_u32_e32 v2, vcc, s7, v1
	v_addc_co_u32_e32 v3, vcc, 0, v3, vcc
	v_add_co_u32_e32 v4, vcc, 0x1000, v2
	v_addc_co_u32_e32 v5, vcc, 0, v3, vcc
	flat_load_ushort v6, v[2:3]
	flat_load_ushort v7, v[2:3] offset:512
	flat_load_ushort v8, v[2:3] offset:1024
	flat_load_ushort v9, v[2:3] offset:1536
	flat_load_ushort v10, v[2:3] offset:2048
	flat_load_ushort v11, v[2:3] offset:2560
	flat_load_ushort v12, v[2:3] offset:3072
	flat_load_ushort v13, v[2:3] offset:3584
	flat_load_ushort v14, v[4:5]
	flat_load_ushort v15, v[4:5] offset:512
	flat_load_ushort v16, v[4:5] offset:1024
	;; [unrolled: 1-line block ×7, first 2 shown]
	v_add_co_u32_e32 v4, vcc, 0x2000, v2
	v_addc_co_u32_e32 v5, vcc, 0, v3, vcc
	v_add_co_u32_e32 v2, vcc, 0x3000, v2
	v_addc_co_u32_e32 v3, vcc, 0, v3, vcc
	flat_load_ushort v22, v[4:5]
	flat_load_ushort v23, v[4:5] offset:512
	flat_load_ushort v24, v[4:5] offset:1024
	;; [unrolled: 1-line block ×7, first 2 shown]
	s_nop 0
	flat_load_ushort v4, v[2:3]
	flat_load_ushort v5, v[2:3] offset:512
	flat_load_ushort v30, v[2:3] offset:1024
	;; [unrolled: 1-line block ×3, first 2 shown]
	s_mov_b64 s[0:1], 0
	s_waitcnt vmcnt(0) lgkmcnt(0)
	ds_write_b16 v1, v6
	ds_write_b16 v1, v7 offset:512
	ds_write_b16 v1, v8 offset:1024
	;; [unrolled: 1-line block ×27, first 2 shown]
	s_waitcnt lgkmcnt(0)
	s_barrier
.LBB2541_2:
	s_andn2_b64 vcc, exec, s[0:1]
	s_addk_i32 s33, 0x1c00
	s_cbranch_vccnz .LBB2541_60
; %bb.3:
	v_cmp_gt_u32_e32 vcc, s33, v0
                                        ; implicit-def: $vgpr2
	s_and_saveexec_b64 s[0:1], vcc
	s_cbranch_execz .LBB2541_5
; %bb.4:
	v_mov_b32_e32 v3, s8
	v_add_co_u32_e32 v2, vcc, s7, v1
	v_addc_co_u32_e32 v3, vcc, 0, v3, vcc
	flat_load_ushort v2, v[2:3]
.LBB2541_5:
	s_or_b64 exec, exec, s[0:1]
	v_or_b32_e32 v3, 0x100, v0
	v_cmp_gt_u32_e32 vcc, s33, v3
                                        ; implicit-def: $vgpr3
	s_and_saveexec_b64 s[0:1], vcc
	s_cbranch_execz .LBB2541_7
; %bb.6:
	v_mov_b32_e32 v3, s8
	v_add_co_u32_e32 v4, vcc, s7, v1
	v_addc_co_u32_e32 v5, vcc, 0, v3, vcc
	flat_load_ushort v3, v[4:5] offset:512
.LBB2541_7:
	s_or_b64 exec, exec, s[0:1]
	v_or_b32_e32 v4, 0x200, v0
	v_cmp_gt_u32_e32 vcc, s33, v4
                                        ; implicit-def: $vgpr4
	s_and_saveexec_b64 s[0:1], vcc
	s_cbranch_execz .LBB2541_9
; %bb.8:
	v_mov_b32_e32 v5, s8
	v_add_co_u32_e32 v4, vcc, s7, v1
	v_addc_co_u32_e32 v5, vcc, 0, v5, vcc
	flat_load_ushort v4, v[4:5] offset:1024
.LBB2541_9:
	s_or_b64 exec, exec, s[0:1]
	v_or_b32_e32 v5, 0x300, v0
	v_cmp_gt_u32_e32 vcc, s33, v5
                                        ; implicit-def: $vgpr5
	s_and_saveexec_b64 s[0:1], vcc
	s_cbranch_execz .LBB2541_11
; %bb.10:
	v_mov_b32_e32 v5, s8
	v_add_co_u32_e32 v6, vcc, s7, v1
	v_addc_co_u32_e32 v7, vcc, 0, v5, vcc
	flat_load_ushort v5, v[6:7] offset:1536
.LBB2541_11:
	s_or_b64 exec, exec, s[0:1]
	v_or_b32_e32 v6, 0x400, v0
	v_cmp_gt_u32_e32 vcc, s33, v6
                                        ; implicit-def: $vgpr6
	s_and_saveexec_b64 s[0:1], vcc
	s_cbranch_execz .LBB2541_13
; %bb.12:
	v_mov_b32_e32 v7, s8
	v_add_co_u32_e32 v6, vcc, s7, v1
	v_addc_co_u32_e32 v7, vcc, 0, v7, vcc
	flat_load_ushort v6, v[6:7] offset:2048
.LBB2541_13:
	s_or_b64 exec, exec, s[0:1]
	v_or_b32_e32 v7, 0x500, v0
	v_cmp_gt_u32_e32 vcc, s33, v7
                                        ; implicit-def: $vgpr7
	s_and_saveexec_b64 s[0:1], vcc
	s_cbranch_execz .LBB2541_15
; %bb.14:
	v_mov_b32_e32 v7, s8
	v_add_co_u32_e32 v8, vcc, s7, v1
	v_addc_co_u32_e32 v9, vcc, 0, v7, vcc
	flat_load_ushort v7, v[8:9] offset:2560
.LBB2541_15:
	s_or_b64 exec, exec, s[0:1]
	v_or_b32_e32 v8, 0x600, v0
	v_cmp_gt_u32_e32 vcc, s33, v8
                                        ; implicit-def: $vgpr8
	s_and_saveexec_b64 s[0:1], vcc
	s_cbranch_execz .LBB2541_17
; %bb.16:
	v_mov_b32_e32 v9, s8
	v_add_co_u32_e32 v8, vcc, s7, v1
	v_addc_co_u32_e32 v9, vcc, 0, v9, vcc
	flat_load_ushort v8, v[8:9] offset:3072
.LBB2541_17:
	s_or_b64 exec, exec, s[0:1]
	v_or_b32_e32 v9, 0x700, v0
	v_cmp_gt_u32_e32 vcc, s33, v9
                                        ; implicit-def: $vgpr9
	s_and_saveexec_b64 s[0:1], vcc
	s_cbranch_execz .LBB2541_19
; %bb.18:
	v_mov_b32_e32 v9, s8
	v_add_co_u32_e32 v10, vcc, s7, v1
	v_addc_co_u32_e32 v11, vcc, 0, v9, vcc
	flat_load_ushort v9, v[10:11] offset:3584
.LBB2541_19:
	s_or_b64 exec, exec, s[0:1]
	v_or_b32_e32 v11, 0x800, v0
	v_cmp_gt_u32_e32 vcc, s33, v11
                                        ; implicit-def: $vgpr10
	s_and_saveexec_b64 s[0:1], vcc
	s_cbranch_execz .LBB2541_21
; %bb.20:
	v_lshlrev_b32_e32 v10, 1, v11
	v_mov_b32_e32 v11, s8
	v_add_co_u32_e32 v10, vcc, s7, v10
	v_addc_co_u32_e32 v11, vcc, 0, v11, vcc
	flat_load_ushort v10, v[10:11]
.LBB2541_21:
	s_or_b64 exec, exec, s[0:1]
	v_or_b32_e32 v12, 0x900, v0
	v_cmp_gt_u32_e32 vcc, s33, v12
                                        ; implicit-def: $vgpr11
	s_and_saveexec_b64 s[0:1], vcc
	s_cbranch_execz .LBB2541_23
; %bb.22:
	v_lshlrev_b32_e32 v11, 1, v12
	v_mov_b32_e32 v13, s8
	v_add_co_u32_e32 v12, vcc, s7, v11
	v_addc_co_u32_e32 v13, vcc, 0, v13, vcc
	flat_load_ushort v11, v[12:13]
.LBB2541_23:
	s_or_b64 exec, exec, s[0:1]
	v_or_b32_e32 v13, 0xa00, v0
	v_cmp_gt_u32_e32 vcc, s33, v13
                                        ; implicit-def: $vgpr12
	s_and_saveexec_b64 s[0:1], vcc
	s_cbranch_execz .LBB2541_25
; %bb.24:
	v_lshlrev_b32_e32 v12, 1, v13
	v_mov_b32_e32 v13, s8
	v_add_co_u32_e32 v12, vcc, s7, v12
	v_addc_co_u32_e32 v13, vcc, 0, v13, vcc
	flat_load_ushort v12, v[12:13]
.LBB2541_25:
	s_or_b64 exec, exec, s[0:1]
	v_or_b32_e32 v14, 0xb00, v0
	v_cmp_gt_u32_e32 vcc, s33, v14
                                        ; implicit-def: $vgpr13
	s_and_saveexec_b64 s[0:1], vcc
	s_cbranch_execz .LBB2541_27
; %bb.26:
	v_lshlrev_b32_e32 v13, 1, v14
	v_mov_b32_e32 v15, s8
	v_add_co_u32_e32 v14, vcc, s7, v13
	v_addc_co_u32_e32 v15, vcc, 0, v15, vcc
	flat_load_ushort v13, v[14:15]
.LBB2541_27:
	s_or_b64 exec, exec, s[0:1]
	v_or_b32_e32 v15, 0xc00, v0
	v_cmp_gt_u32_e32 vcc, s33, v15
                                        ; implicit-def: $vgpr14
	s_and_saveexec_b64 s[0:1], vcc
	s_cbranch_execz .LBB2541_29
; %bb.28:
	v_lshlrev_b32_e32 v14, 1, v15
	v_mov_b32_e32 v15, s8
	v_add_co_u32_e32 v14, vcc, s7, v14
	v_addc_co_u32_e32 v15, vcc, 0, v15, vcc
	flat_load_ushort v14, v[14:15]
.LBB2541_29:
	s_or_b64 exec, exec, s[0:1]
	v_or_b32_e32 v16, 0xd00, v0
	v_cmp_gt_u32_e32 vcc, s33, v16
                                        ; implicit-def: $vgpr15
	s_and_saveexec_b64 s[0:1], vcc
	s_cbranch_execz .LBB2541_31
; %bb.30:
	v_lshlrev_b32_e32 v15, 1, v16
	v_mov_b32_e32 v17, s8
	v_add_co_u32_e32 v16, vcc, s7, v15
	v_addc_co_u32_e32 v17, vcc, 0, v17, vcc
	flat_load_ushort v15, v[16:17]
.LBB2541_31:
	s_or_b64 exec, exec, s[0:1]
	v_or_b32_e32 v17, 0xe00, v0
	v_cmp_gt_u32_e32 vcc, s33, v17
                                        ; implicit-def: $vgpr16
	s_and_saveexec_b64 s[0:1], vcc
	s_cbranch_execz .LBB2541_33
; %bb.32:
	v_lshlrev_b32_e32 v16, 1, v17
	v_mov_b32_e32 v17, s8
	v_add_co_u32_e32 v16, vcc, s7, v16
	v_addc_co_u32_e32 v17, vcc, 0, v17, vcc
	flat_load_ushort v16, v[16:17]
.LBB2541_33:
	s_or_b64 exec, exec, s[0:1]
	v_or_b32_e32 v18, 0xf00, v0
	v_cmp_gt_u32_e32 vcc, s33, v18
                                        ; implicit-def: $vgpr17
	s_and_saveexec_b64 s[0:1], vcc
	s_cbranch_execz .LBB2541_35
; %bb.34:
	v_lshlrev_b32_e32 v17, 1, v18
	v_mov_b32_e32 v19, s8
	v_add_co_u32_e32 v18, vcc, s7, v17
	v_addc_co_u32_e32 v19, vcc, 0, v19, vcc
	flat_load_ushort v17, v[18:19]
.LBB2541_35:
	s_or_b64 exec, exec, s[0:1]
	v_or_b32_e32 v19, 0x1000, v0
	v_cmp_gt_u32_e32 vcc, s33, v19
                                        ; implicit-def: $vgpr18
	s_and_saveexec_b64 s[0:1], vcc
	s_cbranch_execz .LBB2541_37
; %bb.36:
	v_lshlrev_b32_e32 v18, 1, v19
	v_mov_b32_e32 v19, s8
	v_add_co_u32_e32 v18, vcc, s7, v18
	v_addc_co_u32_e32 v19, vcc, 0, v19, vcc
	flat_load_ushort v18, v[18:19]
.LBB2541_37:
	s_or_b64 exec, exec, s[0:1]
	v_or_b32_e32 v20, 0x1100, v0
	v_cmp_gt_u32_e32 vcc, s33, v20
                                        ; implicit-def: $vgpr19
	s_and_saveexec_b64 s[0:1], vcc
	s_cbranch_execz .LBB2541_39
; %bb.38:
	v_lshlrev_b32_e32 v19, 1, v20
	v_mov_b32_e32 v21, s8
	v_add_co_u32_e32 v20, vcc, s7, v19
	v_addc_co_u32_e32 v21, vcc, 0, v21, vcc
	flat_load_ushort v19, v[20:21]
.LBB2541_39:
	s_or_b64 exec, exec, s[0:1]
	v_or_b32_e32 v21, 0x1200, v0
	v_cmp_gt_u32_e32 vcc, s33, v21
                                        ; implicit-def: $vgpr20
	s_and_saveexec_b64 s[0:1], vcc
	s_cbranch_execz .LBB2541_41
; %bb.40:
	v_lshlrev_b32_e32 v20, 1, v21
	v_mov_b32_e32 v21, s8
	v_add_co_u32_e32 v20, vcc, s7, v20
	v_addc_co_u32_e32 v21, vcc, 0, v21, vcc
	flat_load_ushort v20, v[20:21]
.LBB2541_41:
	s_or_b64 exec, exec, s[0:1]
	v_or_b32_e32 v22, 0x1300, v0
	v_cmp_gt_u32_e32 vcc, s33, v22
                                        ; implicit-def: $vgpr21
	s_and_saveexec_b64 s[0:1], vcc
	s_cbranch_execz .LBB2541_43
; %bb.42:
	v_lshlrev_b32_e32 v21, 1, v22
	v_mov_b32_e32 v23, s8
	v_add_co_u32_e32 v22, vcc, s7, v21
	v_addc_co_u32_e32 v23, vcc, 0, v23, vcc
	flat_load_ushort v21, v[22:23]
.LBB2541_43:
	s_or_b64 exec, exec, s[0:1]
	v_or_b32_e32 v23, 0x1400, v0
	v_cmp_gt_u32_e32 vcc, s33, v23
                                        ; implicit-def: $vgpr22
	s_and_saveexec_b64 s[0:1], vcc
	s_cbranch_execz .LBB2541_45
; %bb.44:
	v_lshlrev_b32_e32 v22, 1, v23
	v_mov_b32_e32 v23, s8
	v_add_co_u32_e32 v22, vcc, s7, v22
	v_addc_co_u32_e32 v23, vcc, 0, v23, vcc
	flat_load_ushort v22, v[22:23]
.LBB2541_45:
	s_or_b64 exec, exec, s[0:1]
	v_or_b32_e32 v24, 0x1500, v0
	v_cmp_gt_u32_e32 vcc, s33, v24
                                        ; implicit-def: $vgpr23
	s_and_saveexec_b64 s[0:1], vcc
	s_cbranch_execz .LBB2541_47
; %bb.46:
	v_lshlrev_b32_e32 v23, 1, v24
	v_mov_b32_e32 v25, s8
	v_add_co_u32_e32 v24, vcc, s7, v23
	v_addc_co_u32_e32 v25, vcc, 0, v25, vcc
	flat_load_ushort v23, v[24:25]
.LBB2541_47:
	s_or_b64 exec, exec, s[0:1]
	v_or_b32_e32 v25, 0x1600, v0
	v_cmp_gt_u32_e32 vcc, s33, v25
                                        ; implicit-def: $vgpr24
	s_and_saveexec_b64 s[0:1], vcc
	s_cbranch_execz .LBB2541_49
; %bb.48:
	v_lshlrev_b32_e32 v24, 1, v25
	v_mov_b32_e32 v25, s8
	v_add_co_u32_e32 v24, vcc, s7, v24
	v_addc_co_u32_e32 v25, vcc, 0, v25, vcc
	flat_load_ushort v24, v[24:25]
.LBB2541_49:
	s_or_b64 exec, exec, s[0:1]
	v_or_b32_e32 v26, 0x1700, v0
	v_cmp_gt_u32_e32 vcc, s33, v26
                                        ; implicit-def: $vgpr25
	s_and_saveexec_b64 s[0:1], vcc
	s_cbranch_execz .LBB2541_51
; %bb.50:
	v_lshlrev_b32_e32 v25, 1, v26
	v_mov_b32_e32 v27, s8
	v_add_co_u32_e32 v26, vcc, s7, v25
	v_addc_co_u32_e32 v27, vcc, 0, v27, vcc
	flat_load_ushort v25, v[26:27]
.LBB2541_51:
	s_or_b64 exec, exec, s[0:1]
	v_or_b32_e32 v27, 0x1800, v0
	v_cmp_gt_u32_e32 vcc, s33, v27
                                        ; implicit-def: $vgpr26
	s_and_saveexec_b64 s[0:1], vcc
	s_cbranch_execz .LBB2541_53
; %bb.52:
	v_lshlrev_b32_e32 v26, 1, v27
	v_mov_b32_e32 v27, s8
	v_add_co_u32_e32 v26, vcc, s7, v26
	v_addc_co_u32_e32 v27, vcc, 0, v27, vcc
	flat_load_ushort v26, v[26:27]
.LBB2541_53:
	s_or_b64 exec, exec, s[0:1]
	v_or_b32_e32 v28, 0x1900, v0
	v_cmp_gt_u32_e32 vcc, s33, v28
                                        ; implicit-def: $vgpr27
	s_and_saveexec_b64 s[0:1], vcc
	s_cbranch_execz .LBB2541_55
; %bb.54:
	v_lshlrev_b32_e32 v27, 1, v28
	v_mov_b32_e32 v29, s8
	v_add_co_u32_e32 v28, vcc, s7, v27
	v_addc_co_u32_e32 v29, vcc, 0, v29, vcc
	flat_load_ushort v27, v[28:29]
.LBB2541_55:
	s_or_b64 exec, exec, s[0:1]
	v_or_b32_e32 v29, 0x1a00, v0
	v_cmp_gt_u32_e32 vcc, s33, v29
                                        ; implicit-def: $vgpr28
	s_and_saveexec_b64 s[0:1], vcc
	s_cbranch_execz .LBB2541_57
; %bb.56:
	v_lshlrev_b32_e32 v28, 1, v29
	v_mov_b32_e32 v29, s8
	v_add_co_u32_e32 v28, vcc, s7, v28
	v_addc_co_u32_e32 v29, vcc, 0, v29, vcc
	flat_load_ushort v28, v[28:29]
.LBB2541_57:
	s_or_b64 exec, exec, s[0:1]
	v_or_b32_e32 v30, 0x1b00, v0
	v_cmp_gt_u32_e32 vcc, s33, v30
                                        ; implicit-def: $vgpr29
	s_and_saveexec_b64 s[0:1], vcc
	s_cbranch_execz .LBB2541_59
; %bb.58:
	v_lshlrev_b32_e32 v29, 1, v30
	v_mov_b32_e32 v31, s8
	v_add_co_u32_e32 v30, vcc, s7, v29
	v_addc_co_u32_e32 v31, vcc, 0, v31, vcc
	flat_load_ushort v29, v[30:31]
.LBB2541_59:
	s_or_b64 exec, exec, s[0:1]
	s_waitcnt vmcnt(0) lgkmcnt(0)
	ds_write_b16 v1, v2
	ds_write_b16 v1, v3 offset:512
	ds_write_b16 v1, v4 offset:1024
	ds_write_b16 v1, v5 offset:1536
	ds_write_b16 v1, v6 offset:2048
	ds_write_b16 v1, v7 offset:2560
	ds_write_b16 v1, v8 offset:3072
	ds_write_b16 v1, v9 offset:3584
	ds_write_b16 v1, v10 offset:4096
	ds_write_b16 v1, v11 offset:4608
	ds_write_b16 v1, v12 offset:5120
	ds_write_b16 v1, v13 offset:5632
	ds_write_b16 v1, v14 offset:6144
	ds_write_b16 v1, v15 offset:6656
	ds_write_b16 v1, v16 offset:7168
	ds_write_b16 v1, v17 offset:7680
	ds_write_b16 v1, v18 offset:8192
	ds_write_b16 v1, v19 offset:8704
	ds_write_b16 v1, v20 offset:9216
	ds_write_b16 v1, v21 offset:9728
	ds_write_b16 v1, v22 offset:10240
	ds_write_b16 v1, v23 offset:10752
	ds_write_b16 v1, v24 offset:11264
	ds_write_b16 v1, v25 offset:11776
	ds_write_b16 v1, v26 offset:12288
	ds_write_b16 v1, v27 offset:12800
	ds_write_b16 v1, v28 offset:13312
	ds_write_b16 v1, v29 offset:13824
	s_waitcnt lgkmcnt(0)
	s_barrier
.LBB2541_60:
	v_mul_u32_u24_e32 v39, 28, v0
	v_lshlrev_b32_e32 v6, 1, v39
	s_waitcnt lgkmcnt(0)
	ds_read_b64 v[14:15], v6 offset:48
	ds_read2_b64 v[2:5], v6 offset0:4 offset1:5
	ds_read2_b64 v[10:13], v6 offset1:1
	ds_read2_b64 v[6:9], v6 offset0:2 offset1:3
	v_cndmask_b32_e64 v16, 0, 1, s[2:3]
	s_waitcnt lgkmcnt(3)
	v_lshrrev_b32_e32 v27, 16, v14
	v_lshrrev_b32_e32 v26, 16, v15
	s_waitcnt lgkmcnt(2)
	v_lshrrev_b32_e32 v31, 16, v2
	v_lshrrev_b32_e32 v30, 16, v3
	v_lshrrev_b32_e32 v29, 16, v4
	v_lshrrev_b32_e32 v28, 16, v5
	s_waitcnt lgkmcnt(1)
	v_lshrrev_b32_e32 v40, 16, v10
	v_lshrrev_b32_e32 v38, 16, v11
	;; [unrolled: 5-line block ×3, first 2 shown]
	v_lshrrev_b32_e32 v33, 16, v8
	v_lshrrev_b32_e32 v32, 16, v9
	v_cmp_ne_u32_e64 s[0:1], 1, v16
	s_andn2_b64 vcc, exec, s[2:3]
	v_xor_b32_e32 v86, -1, v10
	v_xor_b32_e32 v85, -1, v40
	;; [unrolled: 1-line block ×28, first 2 shown]
	s_barrier
	s_cbranch_vccnz .LBB2541_62
; %bb.61:
	v_and_b32_e32 v68, 1, v86
	v_and_b32_e32 v67, 1, v85
	;; [unrolled: 1-line block ×28, first 2 shown]
	s_load_dwordx2 s[28:29], s[4:5], 0x70
	s_cbranch_execz .LBB2541_63
	s_branch .LBB2541_64
.LBB2541_62:
                                        ; implicit-def: $vgpr68
                                        ; implicit-def: $vgpr67
                                        ; implicit-def: $vgpr66
                                        ; implicit-def: $vgpr65
                                        ; implicit-def: $vgpr64
                                        ; implicit-def: $vgpr63
                                        ; implicit-def: $vgpr62
                                        ; implicit-def: $vgpr61
                                        ; implicit-def: $vgpr60
                                        ; implicit-def: $vgpr59
                                        ; implicit-def: $vgpr58
                                        ; implicit-def: $vgpr57
                                        ; implicit-def: $vgpr56
                                        ; implicit-def: $vgpr55
                                        ; implicit-def: $vgpr54
                                        ; implicit-def: $vgpr53
                                        ; implicit-def: $vgpr52
                                        ; implicit-def: $vgpr51
                                        ; implicit-def: $vgpr50
                                        ; implicit-def: $vgpr49
                                        ; implicit-def: $vgpr48
                                        ; implicit-def: $vgpr47
                                        ; implicit-def: $vgpr46
                                        ; implicit-def: $vgpr45
                                        ; implicit-def: $vgpr44
                                        ; implicit-def: $vgpr43
                                        ; implicit-def: $vgpr41
                                        ; implicit-def: $vgpr42
	s_load_dwordx2 s[28:29], s[4:5], 0x70
.LBB2541_63:
	v_or_b32_e32 v50, 1, v39
	v_cmp_gt_u32_e32 vcc, s33, v39
	v_or_b32_e32 v51, 2, v39
	v_cndmask_b32_e64 v59, 0, 1, vcc
	v_cmp_gt_u32_e32 vcc, s33, v50
	v_or_b32_e32 v52, 3, v39
	v_cndmask_b32_e64 v50, 0, 1, vcc
	v_cmp_gt_u32_e32 vcc, s33, v51
	v_add_u32_e32 v53, 4, v39
	v_and_b32_e32 v67, v50, v85
	v_cndmask_b32_e64 v50, 0, 1, vcc
	v_cmp_gt_u32_e32 vcc, s33, v52
	v_add_u32_e32 v54, 5, v39
	v_and_b32_e32 v66, v50, v84
	;; [unrolled: 4-line block ×9, first 2 shown]
	v_and_b32_e32 v59, v50, v77
	v_cndmask_b32_e64 v50, 0, 1, vcc
	v_cmp_gt_u32_e32 vcc, s33, v88
	v_add_u32_e32 v90, 13, v39
	v_and_b32_e32 v58, v50, v76
	v_cndmask_b32_e64 v50, 0, 1, vcc
	v_cmp_gt_u32_e32 vcc, s33, v89
	v_add_u32_e32 v91, 14, v39
	;; [unrolled: 4-line block ×15, first 2 shown]
	v_and_b32_e32 v44, v20, v19
	v_cndmask_b32_e64 v19, 0, 1, vcc
	v_cmp_gt_u32_e32 vcc, s33, v41
	v_and_b32_e32 v43, v19, v18
	v_cndmask_b32_e64 v18, 0, 1, vcc
	v_cmp_gt_u32_e32 vcc, s33, v42
	v_and_b32_e32 v41, v18, v17
	v_cndmask_b32_e64 v17, 0, 1, vcc
	v_and_b32_e32 v42, v17, v16
.LBB2541_64:
	v_and_b32_e32 v93, 0xff, v44
	v_and_b32_e32 v94, 0xff, v43
	v_add_u32_sdwa v16, v41, v42 dst_sel:DWORD dst_unused:UNUSED_PAD src0_sel:BYTE_0 src1_sel:BYTE_0
	v_and_b32_e32 v91, 0xff, v46
	v_and_b32_e32 v92, 0xff, v45
	v_add3_u32 v16, v16, v94, v93
	v_and_b32_e32 v89, 0xff, v48
	v_and_b32_e32 v90, 0xff, v47
	v_add3_u32 v16, v16, v92, v91
	;; [unrolled: 3-line block ×12, first 2 shown]
	v_add3_u32 v97, v16, v70, v69
	v_mbcnt_lo_u32_b32 v16, -1, 0
	v_mbcnt_hi_u32_b32 v95, -1, v16
	v_and_b32_e32 v16, 15, v95
	v_cmp_eq_u32_e64 s[16:17], 0, v16
	v_cmp_lt_u32_e64 s[14:15], 1, v16
	v_cmp_lt_u32_e64 s[12:13], 3, v16
	v_cmp_lt_u32_e64 s[10:11], 7, v16
	v_and_b32_e32 v16, 16, v95
	v_cmp_eq_u32_e64 s[8:9], 0, v16
	v_or_b32_e32 v16, 63, v0
	s_cmp_lg_u32 s6, 0
	v_cmp_lt_u32_e64 s[2:3], 31, v95
	v_lshrrev_b32_e32 v96, 6, v0
	v_cmp_eq_u32_e64 s[20:21], v16, v0
	s_cbranch_scc0 .LBB2541_95
; %bb.65:
	v_mov_b32_dpp v16, v97 row_shr:1 row_mask:0xf bank_mask:0xf
	v_cndmask_b32_e64 v16, v16, 0, s[16:17]
	v_add_u32_e32 v16, v16, v97
	s_nop 1
	v_mov_b32_dpp v17, v16 row_shr:2 row_mask:0xf bank_mask:0xf
	v_cndmask_b32_e64 v17, 0, v17, s[14:15]
	v_add_u32_e32 v16, v16, v17
	s_nop 1
	;; [unrolled: 4-line block ×4, first 2 shown]
	v_mov_b32_dpp v17, v16 row_bcast:15 row_mask:0xf bank_mask:0xf
	v_cndmask_b32_e64 v17, v17, 0, s[8:9]
	v_add_u32_e32 v16, v16, v17
	s_nop 1
	v_mov_b32_dpp v17, v16 row_bcast:31 row_mask:0xf bank_mask:0xf
	v_cndmask_b32_e64 v17, 0, v17, s[2:3]
	v_add_u32_e32 v16, v16, v17
	s_and_saveexec_b64 s[18:19], s[20:21]
	s_cbranch_execz .LBB2541_67
; %bb.66:
	v_lshlrev_b32_e32 v17, 2, v96
	ds_write_b32 v17, v16
.LBB2541_67:
	s_or_b64 exec, exec, s[18:19]
	v_cmp_gt_u32_e32 vcc, 4, v0
	s_waitcnt lgkmcnt(0)
	s_barrier
	s_and_saveexec_b64 s[18:19], vcc
	s_cbranch_execz .LBB2541_69
; %bb.68:
	v_lshlrev_b32_e32 v17, 2, v0
	ds_read_b32 v18, v17
	v_and_b32_e32 v19, 3, v95
	v_cmp_ne_u32_e32 vcc, 0, v19
	s_waitcnt lgkmcnt(0)
	v_mov_b32_dpp v20, v18 row_shr:1 row_mask:0xf bank_mask:0xf
	v_cndmask_b32_e32 v20, 0, v20, vcc
	v_add_u32_e32 v18, v20, v18
	v_cmp_lt_u32_e32 vcc, 1, v19
	s_nop 0
	v_mov_b32_dpp v20, v18 row_shr:2 row_mask:0xf bank_mask:0xf
	v_cndmask_b32_e32 v19, 0, v20, vcc
	v_add_u32_e32 v18, v18, v19
	ds_write_b32 v17, v18
.LBB2541_69:
	s_or_b64 exec, exec, s[18:19]
	v_cmp_gt_u32_e32 vcc, 64, v0
	v_cmp_lt_u32_e64 s[18:19], 63, v0
	s_waitcnt lgkmcnt(0)
	s_barrier
	s_waitcnt lgkmcnt(0)
                                        ; implicit-def: $vgpr98
	s_and_saveexec_b64 s[30:31], s[18:19]
	s_cbranch_execz .LBB2541_71
; %bb.70:
	v_lshl_add_u32 v17, v96, 2, -4
	ds_read_b32 v98, v17
	s_waitcnt lgkmcnt(0)
	v_add_u32_e32 v16, v98, v16
.LBB2541_71:
	s_or_b64 exec, exec, s[30:31]
	v_add_u32_e32 v17, -1, v95
	v_and_b32_e32 v18, 64, v95
	v_cmp_lt_i32_e64 s[18:19], v17, v18
	v_cndmask_b32_e64 v17, v17, v95, s[18:19]
	v_lshlrev_b32_e32 v17, 2, v17
	ds_bpermute_b32 v99, v17, v16
	v_cmp_eq_u32_e64 s[18:19], 0, v95
	s_and_saveexec_b64 s[30:31], vcc
	s_cbranch_execz .LBB2541_94
; %bb.72:
	v_mov_b32_e32 v25, 0
	ds_read_b32 v16, v25 offset:12
	s_and_saveexec_b64 s[34:35], s[18:19]
	s_cbranch_execz .LBB2541_74
; %bb.73:
	s_add_i32 s36, s6, 64
	s_mov_b32 s37, 0
	s_lshl_b64 s[36:37], s[36:37], 3
	s_add_u32 s36, s28, s36
	v_mov_b32_e32 v17, 1
	s_addc_u32 s37, s29, s37
	s_waitcnt lgkmcnt(0)
	global_store_dwordx2 v25, v[16:17], s[36:37]
.LBB2541_74:
	s_or_b64 exec, exec, s[34:35]
	v_xad_u32 v18, v95, -1, s6
	v_add_u32_e32 v24, 64, v18
	v_lshlrev_b64 v[20:21], 3, v[24:25]
	v_mov_b32_e32 v17, s29
	v_add_co_u32_e32 v20, vcc, s28, v20
	v_addc_co_u32_e32 v21, vcc, v17, v21, vcc
	global_load_dwordx2 v[22:23], v[20:21], off glc
	s_waitcnt vmcnt(0)
	v_cmp_eq_u16_sdwa s[36:37], v23, v25 src0_sel:BYTE_0 src1_sel:DWORD
	s_and_saveexec_b64 s[34:35], s[36:37]
	s_cbranch_execz .LBB2541_80
; %bb.75:
	s_mov_b32 s7, 1
	s_mov_b64 s[36:37], 0
	v_mov_b32_e32 v17, 0
.LBB2541_76:                            ; =>This Loop Header: Depth=1
                                        ;     Child Loop BB2541_77 Depth 2
	s_max_u32 s38, s7, 1
.LBB2541_77:                            ;   Parent Loop BB2541_76 Depth=1
                                        ; =>  This Inner Loop Header: Depth=2
	s_add_i32 s38, s38, -1
	s_cmp_eq_u32 s38, 0
	s_sleep 1
	s_cbranch_scc0 .LBB2541_77
; %bb.78:                               ;   in Loop: Header=BB2541_76 Depth=1
	global_load_dwordx2 v[22:23], v[20:21], off glc
	s_cmp_lt_u32 s7, 32
	s_cselect_b64 s[38:39], -1, 0
	s_cmp_lg_u64 s[38:39], 0
	s_addc_u32 s7, s7, 0
	s_waitcnt vmcnt(0)
	v_cmp_ne_u16_sdwa s[38:39], v23, v17 src0_sel:BYTE_0 src1_sel:DWORD
	s_or_b64 s[36:37], s[38:39], s[36:37]
	s_andn2_b64 exec, exec, s[36:37]
	s_cbranch_execnz .LBB2541_76
; %bb.79:
	s_or_b64 exec, exec, s[36:37]
.LBB2541_80:
	s_or_b64 exec, exec, s[34:35]
	v_and_b32_e32 v101, 63, v95
	v_mov_b32_e32 v100, 2
	v_cmp_ne_u32_e32 vcc, 63, v101
	v_cmp_eq_u16_sdwa s[34:35], v23, v100 src0_sel:BYTE_0 src1_sel:DWORD
	v_lshlrev_b64 v[20:21], v95, -1
	v_addc_co_u32_e32 v24, vcc, 0, v95, vcc
	v_and_b32_e32 v17, s35, v21
	v_lshlrev_b32_e32 v102, 2, v24
	v_or_b32_e32 v17, 0x80000000, v17
	ds_bpermute_b32 v24, v102, v22
	v_and_b32_e32 v19, s34, v20
	v_ffbl_b32_e32 v17, v17
	v_add_u32_e32 v17, 32, v17
	v_ffbl_b32_e32 v19, v19
	v_min_u32_e32 v17, v19, v17
	v_cmp_lt_u32_e32 vcc, v101, v17
	s_waitcnt lgkmcnt(0)
	v_cndmask_b32_e32 v19, 0, v24, vcc
	v_cmp_gt_u32_e32 vcc, 62, v101
	v_add_u32_e32 v19, v19, v22
	v_cndmask_b32_e64 v22, 0, 1, vcc
	v_lshlrev_b32_e32 v22, 1, v22
	v_add_lshl_u32 v103, v22, v95, 2
	ds_bpermute_b32 v22, v103, v19
	v_add_u32_e32 v104, 2, v101
	v_cmp_le_u32_e32 vcc, v104, v17
	v_add_u32_e32 v106, 4, v101
	v_add_u32_e32 v108, 8, v101
	s_waitcnt lgkmcnt(0)
	v_cndmask_b32_e32 v22, 0, v22, vcc
	v_cmp_gt_u32_e32 vcc, 60, v101
	v_add_u32_e32 v19, v19, v22
	v_cndmask_b32_e64 v22, 0, 1, vcc
	v_lshlrev_b32_e32 v22, 2, v22
	v_add_lshl_u32 v105, v22, v95, 2
	ds_bpermute_b32 v22, v105, v19
	v_cmp_le_u32_e32 vcc, v106, v17
	v_add_u32_e32 v110, 16, v101
	v_add_u32_e32 v112, 32, v101
	s_waitcnt lgkmcnt(0)
	v_cndmask_b32_e32 v22, 0, v22, vcc
	v_cmp_gt_u32_e32 vcc, 56, v101
	v_add_u32_e32 v19, v19, v22
	v_cndmask_b32_e64 v22, 0, 1, vcc
	v_lshlrev_b32_e32 v22, 3, v22
	v_add_lshl_u32 v107, v22, v95, 2
	ds_bpermute_b32 v22, v107, v19
	v_cmp_le_u32_e32 vcc, v108, v17
	s_waitcnt lgkmcnt(0)
	v_cndmask_b32_e32 v22, 0, v22, vcc
	v_cmp_gt_u32_e32 vcc, 48, v101
	v_add_u32_e32 v19, v19, v22
	v_cndmask_b32_e64 v22, 0, 1, vcc
	v_lshlrev_b32_e32 v22, 4, v22
	v_add_lshl_u32 v109, v22, v95, 2
	ds_bpermute_b32 v22, v109, v19
	v_cmp_le_u32_e32 vcc, v110, v17
	;; [unrolled: 9-line block ×3, first 2 shown]
	s_waitcnt lgkmcnt(0)
	v_cndmask_b32_e32 v17, 0, v22, vcc
	v_add_u32_e32 v22, v19, v17
	v_mov_b32_e32 v19, 0
	s_branch .LBB2541_82
.LBB2541_81:                            ;   in Loop: Header=BB2541_82 Depth=1
	s_or_b64 exec, exec, s[34:35]
	v_cmp_eq_u16_sdwa s[34:35], v23, v100 src0_sel:BYTE_0 src1_sel:DWORD
	v_and_b32_e32 v24, s35, v21
	v_or_b32_e32 v24, 0x80000000, v24
	ds_bpermute_b32 v113, v102, v22
	v_and_b32_e32 v25, s34, v20
	v_ffbl_b32_e32 v24, v24
	v_add_u32_e32 v24, 32, v24
	v_ffbl_b32_e32 v25, v25
	v_min_u32_e32 v24, v25, v24
	v_cmp_lt_u32_e32 vcc, v101, v24
	s_waitcnt lgkmcnt(0)
	v_cndmask_b32_e32 v25, 0, v113, vcc
	v_add_u32_e32 v22, v25, v22
	ds_bpermute_b32 v25, v103, v22
	v_cmp_le_u32_e32 vcc, v104, v24
	v_subrev_u32_e32 v18, 64, v18
	s_waitcnt lgkmcnt(0)
	v_cndmask_b32_e32 v25, 0, v25, vcc
	v_add_u32_e32 v22, v22, v25
	ds_bpermute_b32 v25, v105, v22
	v_cmp_le_u32_e32 vcc, v106, v24
	s_waitcnt lgkmcnt(0)
	v_cndmask_b32_e32 v25, 0, v25, vcc
	v_add_u32_e32 v22, v22, v25
	ds_bpermute_b32 v25, v107, v22
	v_cmp_le_u32_e32 vcc, v108, v24
	;; [unrolled: 5-line block ×4, first 2 shown]
	s_waitcnt lgkmcnt(0)
	v_cndmask_b32_e32 v24, 0, v25, vcc
	v_add3_u32 v22, v24, v17, v22
.LBB2541_82:                            ; =>This Loop Header: Depth=1
                                        ;     Child Loop BB2541_85 Depth 2
                                        ;       Child Loop BB2541_86 Depth 3
	v_cmp_ne_u16_sdwa s[34:35], v23, v100 src0_sel:BYTE_0 src1_sel:DWORD
	v_cndmask_b32_e64 v17, 0, 1, s[34:35]
	;;#ASMSTART
	;;#ASMEND
	v_cmp_ne_u32_e32 vcc, 0, v17
	s_cmp_lg_u64 vcc, exec
	v_mov_b32_e32 v17, v22
	s_cbranch_scc1 .LBB2541_89
; %bb.83:                               ;   in Loop: Header=BB2541_82 Depth=1
	v_lshlrev_b64 v[22:23], 3, v[18:19]
	v_mov_b32_e32 v25, s29
	v_add_co_u32_e32 v24, vcc, s28, v22
	v_addc_co_u32_e32 v25, vcc, v25, v23, vcc
	global_load_dwordx2 v[22:23], v[24:25], off glc
	s_waitcnt vmcnt(0)
	v_cmp_eq_u16_sdwa s[36:37], v23, v19 src0_sel:BYTE_0 src1_sel:DWORD
	s_and_saveexec_b64 s[34:35], s[36:37]
	s_cbranch_execz .LBB2541_81
; %bb.84:                               ;   in Loop: Header=BB2541_82 Depth=1
	s_mov_b32 s7, 1
	s_mov_b64 s[36:37], 0
.LBB2541_85:                            ;   Parent Loop BB2541_82 Depth=1
                                        ; =>  This Loop Header: Depth=2
                                        ;       Child Loop BB2541_86 Depth 3
	s_max_u32 s38, s7, 1
.LBB2541_86:                            ;   Parent Loop BB2541_82 Depth=1
                                        ;     Parent Loop BB2541_85 Depth=2
                                        ; =>    This Inner Loop Header: Depth=3
	s_add_i32 s38, s38, -1
	s_cmp_eq_u32 s38, 0
	s_sleep 1
	s_cbranch_scc0 .LBB2541_86
; %bb.87:                               ;   in Loop: Header=BB2541_85 Depth=2
	global_load_dwordx2 v[22:23], v[24:25], off glc
	s_cmp_lt_u32 s7, 32
	s_cselect_b64 s[38:39], -1, 0
	s_cmp_lg_u64 s[38:39], 0
	s_addc_u32 s7, s7, 0
	s_waitcnt vmcnt(0)
	v_cmp_ne_u16_sdwa s[38:39], v23, v19 src0_sel:BYTE_0 src1_sel:DWORD
	s_or_b64 s[36:37], s[38:39], s[36:37]
	s_andn2_b64 exec, exec, s[36:37]
	s_cbranch_execnz .LBB2541_85
; %bb.88:                               ;   in Loop: Header=BB2541_82 Depth=1
	s_or_b64 exec, exec, s[36:37]
	s_branch .LBB2541_81
.LBB2541_89:                            ;   in Loop: Header=BB2541_82 Depth=1
                                        ; implicit-def: $vgpr22
                                        ; implicit-def: $vgpr23
	s_cbranch_execz .LBB2541_82
; %bb.90:
	s_and_saveexec_b64 s[34:35], s[18:19]
	s_cbranch_execz .LBB2541_92
; %bb.91:
	s_add_i32 s6, s6, 64
	s_mov_b32 s7, 0
	s_lshl_b64 s[6:7], s[6:7], 3
	s_add_u32 s6, s28, s6
	v_add_u32_e32 v18, v17, v16
	v_mov_b32_e32 v19, 2
	s_addc_u32 s7, s29, s7
	v_mov_b32_e32 v20, 0
	global_store_dwordx2 v20, v[18:19], s[6:7]
	ds_write_b64 v20, v[16:17] offset:14336
.LBB2541_92:
	s_or_b64 exec, exec, s[34:35]
	v_cmp_eq_u32_e32 vcc, 0, v0
	s_and_b64 exec, exec, vcc
	s_cbranch_execz .LBB2541_94
; %bb.93:
	v_mov_b32_e32 v16, 0
	ds_write_b32 v16, v17 offset:12
.LBB2541_94:
	s_or_b64 exec, exec, s[30:31]
	v_mov_b32_e32 v16, 0
	s_waitcnt lgkmcnt(0)
	s_barrier
	ds_read_b32 v19, v16 offset:12
	s_waitcnt lgkmcnt(0)
	s_barrier
	ds_read_b64 v[16:17], v16 offset:14336
	v_cndmask_b32_e64 v18, v99, v98, s[18:19]
	v_cmp_ne_u32_e32 vcc, 0, v0
	v_cndmask_b32_e32 v18, 0, v18, vcc
	v_add_u32_e32 v19, v19, v18
	s_waitcnt lgkmcnt(0)
	v_mov_b32_e32 v18, v17
	s_load_dwordx2 s[4:5], s[4:5], 0x28
	s_branch .LBB2541_105
.LBB2541_95:
                                        ; implicit-def: $vgpr18
                                        ; implicit-def: $vgpr16
                                        ; implicit-def: $vgpr19
	s_load_dwordx2 s[4:5], s[4:5], 0x28
	s_cbranch_execz .LBB2541_105
; %bb.96:
	v_mov_b32_dpp v16, v97 row_shr:1 row_mask:0xf bank_mask:0xf
	v_cndmask_b32_e64 v16, v16, 0, s[16:17]
	v_add_u32_e32 v16, v16, v97
	s_nop 1
	v_mov_b32_dpp v17, v16 row_shr:2 row_mask:0xf bank_mask:0xf
	v_cndmask_b32_e64 v17, 0, v17, s[14:15]
	v_add_u32_e32 v16, v16, v17
	s_nop 1
	;; [unrolled: 4-line block ×4, first 2 shown]
	v_mov_b32_dpp v17, v16 row_bcast:15 row_mask:0xf bank_mask:0xf
	v_cndmask_b32_e64 v17, v17, 0, s[8:9]
	v_add_u32_e32 v16, v16, v17
	s_nop 1
	v_mov_b32_dpp v17, v16 row_bcast:31 row_mask:0xf bank_mask:0xf
	v_cndmask_b32_e64 v17, 0, v17, s[2:3]
	v_add_u32_e32 v16, v16, v17
	s_and_saveexec_b64 s[2:3], s[20:21]
	s_cbranch_execz .LBB2541_98
; %bb.97:
	v_lshlrev_b32_e32 v17, 2, v96
	ds_write_b32 v17, v16
.LBB2541_98:
	s_or_b64 exec, exec, s[2:3]
	v_cmp_gt_u32_e32 vcc, 4, v0
	s_waitcnt lgkmcnt(0)
	s_barrier
	s_and_saveexec_b64 s[2:3], vcc
	s_cbranch_execz .LBB2541_100
; %bb.99:
	v_lshlrev_b32_e32 v17, 2, v0
	ds_read_b32 v18, v17
	v_and_b32_e32 v19, 3, v95
	v_cmp_ne_u32_e32 vcc, 0, v19
	s_waitcnt lgkmcnt(0)
	v_mov_b32_dpp v20, v18 row_shr:1 row_mask:0xf bank_mask:0xf
	v_cndmask_b32_e32 v20, 0, v20, vcc
	v_add_u32_e32 v18, v20, v18
	v_cmp_lt_u32_e32 vcc, 1, v19
	s_nop 0
	v_mov_b32_dpp v20, v18 row_shr:2 row_mask:0xf bank_mask:0xf
	v_cndmask_b32_e32 v19, 0, v20, vcc
	v_add_u32_e32 v18, v18, v19
	ds_write_b32 v17, v18
.LBB2541_100:
	s_or_b64 exec, exec, s[2:3]
	v_cmp_lt_u32_e32 vcc, 63, v0
	v_mov_b32_e32 v17, 0
	v_mov_b32_e32 v18, 0
	s_waitcnt lgkmcnt(0)
	s_barrier
	s_and_saveexec_b64 s[2:3], vcc
	s_cbranch_execz .LBB2541_102
; %bb.101:
	v_lshl_add_u32 v18, v96, 2, -4
	ds_read_b32 v18, v18
.LBB2541_102:
	s_or_b64 exec, exec, s[2:3]
	v_add_u32_e32 v19, -1, v95
	v_and_b32_e32 v20, 64, v95
	v_cmp_lt_i32_e32 vcc, v19, v20
	v_cndmask_b32_e32 v19, v19, v95, vcc
	s_waitcnt lgkmcnt(0)
	v_add_u32_e32 v16, v18, v16
	v_lshlrev_b32_e32 v19, 2, v19
	ds_bpermute_b32 v19, v19, v16
	ds_read_b32 v16, v17 offset:12
	v_cmp_eq_u32_e32 vcc, 0, v0
	s_and_saveexec_b64 s[2:3], vcc
	s_cbranch_execz .LBB2541_104
; %bb.103:
	v_mov_b32_e32 v20, 0
	v_mov_b32_e32 v17, 2
	s_waitcnt lgkmcnt(0)
	global_store_dwordx2 v20, v[16:17], s[28:29] offset:512
.LBB2541_104:
	s_or_b64 exec, exec, s[2:3]
	v_cmp_eq_u32_e64 s[2:3], 0, v95
	s_waitcnt lgkmcnt(1)
	v_cndmask_b32_e64 v17, v19, v18, s[2:3]
	v_mov_b32_e32 v18, 0
	v_cndmask_b32_e64 v19, v17, 0, vcc
	s_waitcnt lgkmcnt(0)
	s_barrier
.LBB2541_105:
	v_add_u32_e32 v17, v19, v69
	v_add_u32_e32 v20, v17, v70
	;; [unrolled: 1-line block ×20, first 2 shown]
	v_sub_u32_e32 v19, v19, v18
	v_and_b32_e32 v68, 1, v68
	v_add_u32_e32 v81, v80, v88
	v_sub_u32_e32 v88, v39, v19
	v_cmp_eq_u32_e32 vcc, 1, v68
	v_cndmask_b32_e32 v19, v88, v19, vcc
	v_lshlrev_b32_e32 v19, 1, v19
	ds_write_b16 v19, v10
	v_sub_u32_e32 v10, v17, v18
	v_sub_u32_e32 v17, v39, v10
	v_and_b32_e32 v19, 1, v67
	v_add_u32_e32 v17, 1, v17
	v_cmp_eq_u32_e32 vcc, 1, v19
	v_cndmask_b32_e32 v10, v17, v10, vcc
	v_lshlrev_b32_e32 v10, 1, v10
	ds_write_b16 v10, v40
	v_sub_u32_e32 v10, v20, v18
	v_sub_u32_e32 v17, v39, v10
	v_and_b32_e32 v19, 1, v66
	v_add_u32_e32 v17, 2, v17
	;; [unrolled: 8-line block ×20, first 2 shown]
	v_cmp_eq_u32_e32 vcc, 1, v6
	v_cndmask_b32_e32 v2, v3, v2, vcc
	v_add_u32_e32 v82, v81, v89
	v_lshlrev_b32_e32 v2, 1, v2
	ds_write_b16 v2, v4
	v_sub_u32_e32 v2, v82, v18
	v_sub_u32_e32 v3, v39, v2
	v_and_b32_e32 v4, 1, v47
	v_add_u32_e32 v3, 21, v3
	v_cmp_eq_u32_e32 vcc, 1, v4
	v_cndmask_b32_e32 v2, v3, v2, vcc
	v_add_u32_e32 v83, v82, v90
	v_lshlrev_b32_e32 v2, 1, v2
	ds_write_b16 v2, v29
	v_sub_u32_e32 v2, v83, v18
	v_sub_u32_e32 v3, v39, v2
	v_and_b32_e32 v4, 1, v46
	v_add_u32_e32 v3, 22, v3
	;; [unrolled: 9-line block ×6, first 2 shown]
	v_cmp_eq_u32_e32 vcc, 1, v4
	v_cndmask_b32_e32 v2, v3, v2, vcc
	v_lshlrev_b32_e32 v2, 1, v2
	ds_write_b16 v2, v15
	v_sub_u32_sdwa v2, v41, v18 dst_sel:DWORD dst_unused:UNUSED_PAD src0_sel:BYTE_0 src1_sel:DWORD
	v_add_u32_e32 v2, v87, v2
	v_sub_u32_e32 v3, v39, v2
	v_and_b32_e32 v4, 1, v42
	v_add_u32_e32 v3, 27, v3
	v_cmp_eq_u32_e32 vcc, 1, v4
	v_cndmask_b32_e32 v2, v3, v2, vcc
	v_lshlrev_b32_e32 v2, 1, v2
	ds_write_b16 v2, v26
	s_waitcnt lgkmcnt(0)
	s_barrier
	ds_read_u16 v61, v1
	ds_read_u16 v60, v1 offset:512
	ds_read_u16 v58, v1 offset:1024
	;; [unrolled: 1-line block ×27, first 2 shown]
	v_or_b32_e32 v59, 0x100, v0
	v_or_b32_e32 v57, 0x200, v0
	;; [unrolled: 1-line block ×26, first 2 shown]
	s_and_b64 vcc, exec, s[0:1]
	v_or_b32_e32 v5, 0x1b00, v0
	s_cbranch_vccnz .LBB2541_135
; %bb.106:
	s_lshl_b64 s[0:1], s[22:23], 1
	v_mov_b32_e32 v19, 0
	s_add_u32 s0, s4, s0
	s_addc_u32 s1, s5, s1
	v_lshlrev_b64 v[2:3], 1, v[18:19]
	v_mov_b32_e32 v19, s1
	v_add_co_u32_e32 v2, vcc, s0, v2
	v_addc_co_u32_e32 v3, vcc, v19, v3, vcc
	v_cmp_lt_u32_e32 vcc, v0, v16
	s_and_saveexec_b64 s[0:1], vcc
	s_cbranch_execnz .LBB2541_170
; %bb.107:
	s_or_b64 exec, exec, s[0:1]
	v_cmp_lt_u32_e32 vcc, v59, v16
	s_and_saveexec_b64 s[0:1], vcc
	s_cbranch_execnz .LBB2541_171
.LBB2541_108:
	s_or_b64 exec, exec, s[0:1]
	v_cmp_lt_u32_e32 vcc, v57, v16
	s_and_saveexec_b64 s[0:1], vcc
	s_cbranch_execnz .LBB2541_172
.LBB2541_109:
	s_or_b64 exec, exec, s[0:1]
	v_cmp_lt_u32_e32 vcc, v55, v16
	s_and_saveexec_b64 s[0:1], vcc
	s_cbranch_execnz .LBB2541_173
.LBB2541_110:
	s_or_b64 exec, exec, s[0:1]
	v_cmp_lt_u32_e32 vcc, v53, v16
	s_and_saveexec_b64 s[0:1], vcc
	s_cbranch_execnz .LBB2541_174
.LBB2541_111:
	s_or_b64 exec, exec, s[0:1]
	v_cmp_lt_u32_e32 vcc, v52, v16
	s_and_saveexec_b64 s[0:1], vcc
	s_cbranch_execnz .LBB2541_175
.LBB2541_112:
	s_or_b64 exec, exec, s[0:1]
	v_cmp_lt_u32_e32 vcc, v50, v16
	s_and_saveexec_b64 s[0:1], vcc
	s_cbranch_execnz .LBB2541_176
.LBB2541_113:
	s_or_b64 exec, exec, s[0:1]
	v_cmp_lt_u32_e32 vcc, v48, v16
	s_and_saveexec_b64 s[0:1], vcc
	s_cbranch_execnz .LBB2541_177
.LBB2541_114:
	s_or_b64 exec, exec, s[0:1]
	v_cmp_lt_u32_e32 vcc, v45, v16
	s_and_saveexec_b64 s[0:1], vcc
	s_cbranch_execnz .LBB2541_178
.LBB2541_115:
	s_or_b64 exec, exec, s[0:1]
	v_cmp_lt_u32_e32 vcc, v43, v16
	s_and_saveexec_b64 s[0:1], vcc
	s_cbranch_execnz .LBB2541_179
.LBB2541_116:
	s_or_b64 exec, exec, s[0:1]
	v_cmp_lt_u32_e32 vcc, v41, v16
	s_and_saveexec_b64 s[0:1], vcc
	s_cbranch_execnz .LBB2541_180
.LBB2541_117:
	s_or_b64 exec, exec, s[0:1]
	v_cmp_lt_u32_e32 vcc, v39, v16
	s_and_saveexec_b64 s[0:1], vcc
	s_cbranch_execnz .LBB2541_181
.LBB2541_118:
	s_or_b64 exec, exec, s[0:1]
	v_cmp_lt_u32_e32 vcc, v37, v16
	s_and_saveexec_b64 s[0:1], vcc
	s_cbranch_execnz .LBB2541_182
.LBB2541_119:
	s_or_b64 exec, exec, s[0:1]
	v_cmp_lt_u32_e32 vcc, v35, v16
	s_and_saveexec_b64 s[0:1], vcc
	s_cbranch_execnz .LBB2541_183
.LBB2541_120:
	s_or_b64 exec, exec, s[0:1]
	v_cmp_lt_u32_e32 vcc, v33, v16
	s_and_saveexec_b64 s[0:1], vcc
	s_cbranch_execnz .LBB2541_184
.LBB2541_121:
	s_or_b64 exec, exec, s[0:1]
	v_cmp_lt_u32_e32 vcc, v30, v16
	s_and_saveexec_b64 s[0:1], vcc
	s_cbranch_execnz .LBB2541_185
.LBB2541_122:
	s_or_b64 exec, exec, s[0:1]
	v_cmp_lt_u32_e32 vcc, v29, v16
	s_and_saveexec_b64 s[0:1], vcc
	s_cbranch_execnz .LBB2541_186
.LBB2541_123:
	s_or_b64 exec, exec, s[0:1]
	v_cmp_lt_u32_e32 vcc, v27, v16
	s_and_saveexec_b64 s[0:1], vcc
	s_cbranch_execnz .LBB2541_187
.LBB2541_124:
	s_or_b64 exec, exec, s[0:1]
	v_cmp_lt_u32_e32 vcc, v25, v16
	s_and_saveexec_b64 s[0:1], vcc
	s_cbranch_execnz .LBB2541_188
.LBB2541_125:
	s_or_b64 exec, exec, s[0:1]
	v_cmp_lt_u32_e32 vcc, v23, v16
	s_and_saveexec_b64 s[0:1], vcc
	s_cbranch_execnz .LBB2541_189
.LBB2541_126:
	s_or_b64 exec, exec, s[0:1]
	v_cmp_lt_u32_e32 vcc, v21, v16
	s_and_saveexec_b64 s[0:1], vcc
	s_cbranch_execnz .LBB2541_190
.LBB2541_127:
	s_or_b64 exec, exec, s[0:1]
	v_cmp_lt_u32_e32 vcc, v17, v16
	s_and_saveexec_b64 s[0:1], vcc
	s_cbranch_execnz .LBB2541_191
.LBB2541_128:
	s_or_b64 exec, exec, s[0:1]
	v_cmp_lt_u32_e32 vcc, v14, v16
	s_and_saveexec_b64 s[0:1], vcc
	s_cbranch_execnz .LBB2541_192
.LBB2541_129:
	s_or_b64 exec, exec, s[0:1]
	v_cmp_lt_u32_e32 vcc, v12, v16
	s_and_saveexec_b64 s[0:1], vcc
	s_cbranch_execnz .LBB2541_193
.LBB2541_130:
	s_or_b64 exec, exec, s[0:1]
	v_cmp_lt_u32_e32 vcc, v11, v16
	s_and_saveexec_b64 s[0:1], vcc
	s_cbranch_execnz .LBB2541_194
.LBB2541_131:
	s_or_b64 exec, exec, s[0:1]
	v_cmp_lt_u32_e32 vcc, v9, v16
	s_and_saveexec_b64 s[0:1], vcc
	s_cbranch_execnz .LBB2541_195
.LBB2541_132:
	s_or_b64 exec, exec, s[0:1]
	v_cmp_lt_u32_e32 vcc, v7, v16
	s_and_saveexec_b64 s[0:1], vcc
	s_cbranch_execz .LBB2541_134
.LBB2541_133:
	v_lshlrev_b32_e32 v19, 1, v7
	v_readfirstlane_b32 s2, v2
	v_readfirstlane_b32 s3, v3
	s_waitcnt lgkmcnt(1)
	s_nop 3
	global_store_short v19, v6, s[2:3]
.LBB2541_134:
	s_or_b64 exec, exec, s[0:1]
	v_cmp_lt_u32_e64 s[0:1], v5, v16
	s_branch .LBB2541_165
.LBB2541_135:
	s_mov_b64 s[0:1], 0
                                        ; implicit-def: $vgpr2_vgpr3
	s_cbranch_execz .LBB2541_165
; %bb.136:
	s_lshl_b64 s[0:1], s[22:23], 1
	v_mov_b32_e32 v19, 0
	s_add_u32 s0, s4, s0
	s_addc_u32 s1, s5, s1
	v_lshlrev_b64 v[2:3], 1, v[18:19]
	v_mov_b32_e32 v19, s1
	v_add_co_u32_e32 v2, vcc, s0, v2
	v_min_u32_e32 v62, s33, v16
	v_addc_co_u32_e32 v3, vcc, v19, v3, vcc
	v_cmp_gt_u32_e32 vcc, v62, v0
	s_and_saveexec_b64 s[0:1], vcc
	s_cbranch_execnz .LBB2541_196
; %bb.137:
	s_or_b64 exec, exec, s[0:1]
	v_cmp_lt_u32_e32 vcc, v59, v62
	s_and_saveexec_b64 s[0:1], vcc
	s_cbranch_execnz .LBB2541_197
.LBB2541_138:
	s_or_b64 exec, exec, s[0:1]
	v_cmp_lt_u32_e32 vcc, v57, v62
	s_and_saveexec_b64 s[0:1], vcc
	s_cbranch_execnz .LBB2541_198
.LBB2541_139:
	s_or_b64 exec, exec, s[0:1]
	v_cmp_lt_u32_e32 vcc, v55, v62
	s_and_saveexec_b64 s[0:1], vcc
	s_cbranch_execnz .LBB2541_199
.LBB2541_140:
	s_or_b64 exec, exec, s[0:1]
	v_cmp_lt_u32_e32 vcc, v53, v62
	s_and_saveexec_b64 s[0:1], vcc
	s_cbranch_execnz .LBB2541_200
.LBB2541_141:
	s_or_b64 exec, exec, s[0:1]
	v_cmp_lt_u32_e32 vcc, v52, v62
	s_and_saveexec_b64 s[0:1], vcc
	s_cbranch_execnz .LBB2541_201
.LBB2541_142:
	s_or_b64 exec, exec, s[0:1]
	v_cmp_lt_u32_e32 vcc, v50, v62
	s_and_saveexec_b64 s[0:1], vcc
	s_cbranch_execnz .LBB2541_202
.LBB2541_143:
	s_or_b64 exec, exec, s[0:1]
	v_cmp_lt_u32_e32 vcc, v48, v62
	s_and_saveexec_b64 s[0:1], vcc
	s_cbranch_execnz .LBB2541_203
.LBB2541_144:
	s_or_b64 exec, exec, s[0:1]
	v_cmp_lt_u32_e32 vcc, v45, v62
	s_and_saveexec_b64 s[0:1], vcc
	s_cbranch_execnz .LBB2541_204
.LBB2541_145:
	s_or_b64 exec, exec, s[0:1]
	v_cmp_lt_u32_e32 vcc, v43, v62
	s_and_saveexec_b64 s[0:1], vcc
	s_cbranch_execnz .LBB2541_205
.LBB2541_146:
	s_or_b64 exec, exec, s[0:1]
	v_cmp_lt_u32_e32 vcc, v41, v62
	s_and_saveexec_b64 s[0:1], vcc
	s_cbranch_execnz .LBB2541_206
.LBB2541_147:
	s_or_b64 exec, exec, s[0:1]
	v_cmp_lt_u32_e32 vcc, v39, v62
	s_and_saveexec_b64 s[0:1], vcc
	s_cbranch_execnz .LBB2541_207
.LBB2541_148:
	s_or_b64 exec, exec, s[0:1]
	v_cmp_lt_u32_e32 vcc, v37, v62
	s_and_saveexec_b64 s[0:1], vcc
	s_cbranch_execnz .LBB2541_208
.LBB2541_149:
	s_or_b64 exec, exec, s[0:1]
	v_cmp_lt_u32_e32 vcc, v35, v62
	s_and_saveexec_b64 s[0:1], vcc
	s_cbranch_execnz .LBB2541_209
.LBB2541_150:
	s_or_b64 exec, exec, s[0:1]
	v_cmp_lt_u32_e32 vcc, v33, v62
	s_and_saveexec_b64 s[0:1], vcc
	s_cbranch_execnz .LBB2541_210
.LBB2541_151:
	s_or_b64 exec, exec, s[0:1]
	v_cmp_lt_u32_e32 vcc, v30, v62
	s_and_saveexec_b64 s[0:1], vcc
	s_cbranch_execnz .LBB2541_211
.LBB2541_152:
	s_or_b64 exec, exec, s[0:1]
	v_cmp_lt_u32_e32 vcc, v29, v62
	s_and_saveexec_b64 s[0:1], vcc
	s_cbranch_execnz .LBB2541_212
.LBB2541_153:
	s_or_b64 exec, exec, s[0:1]
	v_cmp_lt_u32_e32 vcc, v27, v62
	s_and_saveexec_b64 s[0:1], vcc
	s_cbranch_execnz .LBB2541_213
.LBB2541_154:
	s_or_b64 exec, exec, s[0:1]
	v_cmp_lt_u32_e32 vcc, v25, v62
	s_and_saveexec_b64 s[0:1], vcc
	s_cbranch_execnz .LBB2541_214
.LBB2541_155:
	s_or_b64 exec, exec, s[0:1]
	v_cmp_lt_u32_e32 vcc, v23, v62
	s_and_saveexec_b64 s[0:1], vcc
	s_cbranch_execnz .LBB2541_215
.LBB2541_156:
	s_or_b64 exec, exec, s[0:1]
	v_cmp_lt_u32_e32 vcc, v21, v62
	s_and_saveexec_b64 s[0:1], vcc
	s_cbranch_execnz .LBB2541_216
.LBB2541_157:
	s_or_b64 exec, exec, s[0:1]
	v_cmp_lt_u32_e32 vcc, v17, v62
	s_and_saveexec_b64 s[0:1], vcc
	s_cbranch_execnz .LBB2541_217
.LBB2541_158:
	s_or_b64 exec, exec, s[0:1]
	v_cmp_lt_u32_e32 vcc, v14, v62
	s_and_saveexec_b64 s[0:1], vcc
	s_cbranch_execnz .LBB2541_218
.LBB2541_159:
	s_or_b64 exec, exec, s[0:1]
	v_cmp_lt_u32_e32 vcc, v12, v62
	s_and_saveexec_b64 s[0:1], vcc
	s_cbranch_execnz .LBB2541_219
.LBB2541_160:
	s_or_b64 exec, exec, s[0:1]
	v_cmp_lt_u32_e32 vcc, v11, v62
	s_and_saveexec_b64 s[0:1], vcc
	s_cbranch_execnz .LBB2541_220
.LBB2541_161:
	s_or_b64 exec, exec, s[0:1]
	v_cmp_lt_u32_e32 vcc, v9, v62
	s_and_saveexec_b64 s[0:1], vcc
	s_cbranch_execnz .LBB2541_221
.LBB2541_162:
	s_or_b64 exec, exec, s[0:1]
	v_cmp_lt_u32_e32 vcc, v7, v62
	s_and_saveexec_b64 s[0:1], vcc
	s_cbranch_execz .LBB2541_164
.LBB2541_163:
	v_lshlrev_b32_e32 v1, 1, v7
	v_readfirstlane_b32 s2, v2
	v_readfirstlane_b32 s3, v3
	s_waitcnt lgkmcnt(1)
	s_nop 3
	global_store_short v1, v6, s[2:3]
.LBB2541_164:
	s_or_b64 exec, exec, s[0:1]
	v_cmp_lt_u32_e64 s[0:1], v5, v62
.LBB2541_165:
	s_and_saveexec_b64 s[2:3], s[0:1]
	s_cbranch_execz .LBB2541_167
; %bb.166:
	v_lshlrev_b32_e32 v1, 1, v5
	v_readfirstlane_b32 s0, v2
	v_readfirstlane_b32 s1, v3
	s_waitcnt lgkmcnt(0)
	s_nop 3
	global_store_short v1, v4, s[0:1]
.LBB2541_167:
	s_or_b64 exec, exec, s[2:3]
	v_cmp_eq_u32_e32 vcc, 0, v0
	s_and_b64 s[0:1], vcc, s[26:27]
	s_and_saveexec_b64 s[2:3], s[0:1]
	s_cbranch_execz .LBB2541_169
; %bb.168:
	v_mov_b32_e32 v0, s23
	v_add_co_u32_e32 v1, vcc, s22, v16
	v_addc_co_u32_e32 v3, vcc, 0, v0, vcc
	v_add_co_u32_e32 v0, vcc, v1, v18
	v_mov_b32_e32 v2, 0
	v_addc_co_u32_e32 v1, vcc, 0, v3, vcc
	global_store_dwordx2 v2, v[0:1], s[24:25]
.LBB2541_169:
	s_endpgm
.LBB2541_170:
	v_readfirstlane_b32 s2, v2
	v_readfirstlane_b32 s3, v3
	s_waitcnt lgkmcnt(14)
	s_nop 3
	global_store_short v1, v61, s[2:3]
	s_or_b64 exec, exec, s[0:1]
	v_cmp_lt_u32_e32 vcc, v59, v16
	s_and_saveexec_b64 s[0:1], vcc
	s_cbranch_execz .LBB2541_108
.LBB2541_171:
	v_readfirstlane_b32 s2, v2
	v_readfirstlane_b32 s3, v3
	s_waitcnt lgkmcnt(14)
	s_nop 3
	global_store_short v1, v60, s[2:3] offset:512
	s_or_b64 exec, exec, s[0:1]
	v_cmp_lt_u32_e32 vcc, v57, v16
	s_and_saveexec_b64 s[0:1], vcc
	s_cbranch_execz .LBB2541_109
.LBB2541_172:
	v_readfirstlane_b32 s2, v2
	v_readfirstlane_b32 s3, v3
	s_waitcnt lgkmcnt(14)
	s_nop 3
	global_store_short v1, v58, s[2:3] offset:1024
	s_or_b64 exec, exec, s[0:1]
	v_cmp_lt_u32_e32 vcc, v55, v16
	s_and_saveexec_b64 s[0:1], vcc
	s_cbranch_execz .LBB2541_110
.LBB2541_173:
	v_readfirstlane_b32 s2, v2
	v_readfirstlane_b32 s3, v3
	s_waitcnt lgkmcnt(14)
	s_nop 3
	global_store_short v1, v56, s[2:3] offset:1536
	s_or_b64 exec, exec, s[0:1]
	v_cmp_lt_u32_e32 vcc, v53, v16
	s_and_saveexec_b64 s[0:1], vcc
	s_cbranch_execz .LBB2541_111
.LBB2541_174:
	v_readfirstlane_b32 s2, v2
	v_readfirstlane_b32 s3, v3
	s_waitcnt lgkmcnt(14)
	s_nop 3
	global_store_short v1, v54, s[2:3] offset:2048
	s_or_b64 exec, exec, s[0:1]
	v_cmp_lt_u32_e32 vcc, v52, v16
	s_and_saveexec_b64 s[0:1], vcc
	s_cbranch_execz .LBB2541_112
.LBB2541_175:
	v_readfirstlane_b32 s2, v2
	v_readfirstlane_b32 s3, v3
	s_waitcnt lgkmcnt(14)
	s_nop 3
	global_store_short v1, v51, s[2:3] offset:2560
	s_or_b64 exec, exec, s[0:1]
	v_cmp_lt_u32_e32 vcc, v50, v16
	s_and_saveexec_b64 s[0:1], vcc
	s_cbranch_execz .LBB2541_113
.LBB2541_176:
	v_readfirstlane_b32 s2, v2
	v_readfirstlane_b32 s3, v3
	s_waitcnt lgkmcnt(14)
	s_nop 3
	global_store_short v1, v49, s[2:3] offset:3072
	s_or_b64 exec, exec, s[0:1]
	v_cmp_lt_u32_e32 vcc, v48, v16
	s_and_saveexec_b64 s[0:1], vcc
	s_cbranch_execz .LBB2541_114
.LBB2541_177:
	v_readfirstlane_b32 s2, v2
	v_readfirstlane_b32 s3, v3
	s_waitcnt lgkmcnt(14)
	s_nop 3
	global_store_short v1, v46, s[2:3] offset:3584
	s_or_b64 exec, exec, s[0:1]
	v_cmp_lt_u32_e32 vcc, v45, v16
	s_and_saveexec_b64 s[0:1], vcc
	s_cbranch_execz .LBB2541_115
.LBB2541_178:
	v_lshlrev_b32_e32 v19, 1, v45
	v_readfirstlane_b32 s2, v2
	v_readfirstlane_b32 s3, v3
	s_waitcnt lgkmcnt(14)
	s_nop 3
	global_store_short v19, v47, s[2:3]
	s_or_b64 exec, exec, s[0:1]
	v_cmp_lt_u32_e32 vcc, v43, v16
	s_and_saveexec_b64 s[0:1], vcc
	s_cbranch_execz .LBB2541_116
.LBB2541_179:
	v_lshlrev_b32_e32 v19, 1, v43
	v_readfirstlane_b32 s2, v2
	v_readfirstlane_b32 s3, v3
	s_waitcnt lgkmcnt(14)
	s_nop 3
	global_store_short v19, v44, s[2:3]
	s_or_b64 exec, exec, s[0:1]
	v_cmp_lt_u32_e32 vcc, v41, v16
	s_and_saveexec_b64 s[0:1], vcc
	s_cbranch_execz .LBB2541_117
.LBB2541_180:
	v_lshlrev_b32_e32 v19, 1, v41
	v_readfirstlane_b32 s2, v2
	v_readfirstlane_b32 s3, v3
	s_waitcnt lgkmcnt(14)
	s_nop 3
	global_store_short v19, v42, s[2:3]
	s_or_b64 exec, exec, s[0:1]
	v_cmp_lt_u32_e32 vcc, v39, v16
	s_and_saveexec_b64 s[0:1], vcc
	s_cbranch_execz .LBB2541_118
.LBB2541_181:
	v_lshlrev_b32_e32 v19, 1, v39
	v_readfirstlane_b32 s2, v2
	v_readfirstlane_b32 s3, v3
	s_waitcnt lgkmcnt(14)
	s_nop 3
	global_store_short v19, v40, s[2:3]
	s_or_b64 exec, exec, s[0:1]
	v_cmp_lt_u32_e32 vcc, v37, v16
	s_and_saveexec_b64 s[0:1], vcc
	s_cbranch_execz .LBB2541_119
.LBB2541_182:
	v_lshlrev_b32_e32 v19, 1, v37
	v_readfirstlane_b32 s2, v2
	v_readfirstlane_b32 s3, v3
	s_waitcnt lgkmcnt(14)
	s_nop 3
	global_store_short v19, v38, s[2:3]
	s_or_b64 exec, exec, s[0:1]
	v_cmp_lt_u32_e32 vcc, v35, v16
	s_and_saveexec_b64 s[0:1], vcc
	s_cbranch_execz .LBB2541_120
.LBB2541_183:
	v_lshlrev_b32_e32 v19, 1, v35
	v_readfirstlane_b32 s2, v2
	v_readfirstlane_b32 s3, v3
	s_waitcnt lgkmcnt(14)
	s_nop 3
	global_store_short v19, v36, s[2:3]
	s_or_b64 exec, exec, s[0:1]
	v_cmp_lt_u32_e32 vcc, v33, v16
	s_and_saveexec_b64 s[0:1], vcc
	s_cbranch_execz .LBB2541_121
.LBB2541_184:
	v_lshlrev_b32_e32 v19, 1, v33
	v_readfirstlane_b32 s2, v2
	v_readfirstlane_b32 s3, v3
	s_waitcnt lgkmcnt(13)
	s_nop 3
	global_store_short v19, v34, s[2:3]
	s_or_b64 exec, exec, s[0:1]
	v_cmp_lt_u32_e32 vcc, v30, v16
	s_and_saveexec_b64 s[0:1], vcc
	s_cbranch_execz .LBB2541_122
.LBB2541_185:
	v_lshlrev_b32_e32 v19, 1, v30
	v_readfirstlane_b32 s2, v2
	v_readfirstlane_b32 s3, v3
	s_waitcnt lgkmcnt(12)
	s_nop 3
	global_store_short v19, v31, s[2:3]
	s_or_b64 exec, exec, s[0:1]
	v_cmp_lt_u32_e32 vcc, v29, v16
	s_and_saveexec_b64 s[0:1], vcc
	s_cbranch_execz .LBB2541_123
.LBB2541_186:
	v_lshlrev_b32_e32 v19, 1, v29
	v_readfirstlane_b32 s2, v2
	v_readfirstlane_b32 s3, v3
	s_waitcnt lgkmcnt(11)
	s_nop 3
	global_store_short v19, v32, s[2:3]
	s_or_b64 exec, exec, s[0:1]
	v_cmp_lt_u32_e32 vcc, v27, v16
	s_and_saveexec_b64 s[0:1], vcc
	s_cbranch_execz .LBB2541_124
.LBB2541_187:
	v_lshlrev_b32_e32 v19, 1, v27
	v_readfirstlane_b32 s2, v2
	v_readfirstlane_b32 s3, v3
	s_waitcnt lgkmcnt(10)
	s_nop 3
	global_store_short v19, v28, s[2:3]
	s_or_b64 exec, exec, s[0:1]
	v_cmp_lt_u32_e32 vcc, v25, v16
	s_and_saveexec_b64 s[0:1], vcc
	s_cbranch_execz .LBB2541_125
.LBB2541_188:
	v_lshlrev_b32_e32 v19, 1, v25
	v_readfirstlane_b32 s2, v2
	v_readfirstlane_b32 s3, v3
	s_waitcnt lgkmcnt(9)
	s_nop 3
	global_store_short v19, v26, s[2:3]
	s_or_b64 exec, exec, s[0:1]
	v_cmp_lt_u32_e32 vcc, v23, v16
	s_and_saveexec_b64 s[0:1], vcc
	s_cbranch_execz .LBB2541_126
.LBB2541_189:
	v_lshlrev_b32_e32 v19, 1, v23
	v_readfirstlane_b32 s2, v2
	v_readfirstlane_b32 s3, v3
	s_waitcnt lgkmcnt(8)
	s_nop 3
	global_store_short v19, v24, s[2:3]
	s_or_b64 exec, exec, s[0:1]
	v_cmp_lt_u32_e32 vcc, v21, v16
	s_and_saveexec_b64 s[0:1], vcc
	s_cbranch_execz .LBB2541_127
.LBB2541_190:
	v_lshlrev_b32_e32 v19, 1, v21
	v_readfirstlane_b32 s2, v2
	v_readfirstlane_b32 s3, v3
	s_waitcnt lgkmcnt(7)
	s_nop 3
	global_store_short v19, v22, s[2:3]
	s_or_b64 exec, exec, s[0:1]
	v_cmp_lt_u32_e32 vcc, v17, v16
	s_and_saveexec_b64 s[0:1], vcc
	s_cbranch_execz .LBB2541_128
.LBB2541_191:
	v_lshlrev_b32_e32 v19, 1, v17
	v_readfirstlane_b32 s2, v2
	v_readfirstlane_b32 s3, v3
	s_waitcnt lgkmcnt(6)
	s_nop 3
	global_store_short v19, v20, s[2:3]
	s_or_b64 exec, exec, s[0:1]
	v_cmp_lt_u32_e32 vcc, v14, v16
	s_and_saveexec_b64 s[0:1], vcc
	s_cbranch_execz .LBB2541_129
.LBB2541_192:
	v_lshlrev_b32_e32 v19, 1, v14
	v_readfirstlane_b32 s2, v2
	v_readfirstlane_b32 s3, v3
	s_waitcnt lgkmcnt(5)
	s_nop 3
	global_store_short v19, v15, s[2:3]
	s_or_b64 exec, exec, s[0:1]
	v_cmp_lt_u32_e32 vcc, v12, v16
	s_and_saveexec_b64 s[0:1], vcc
	s_cbranch_execz .LBB2541_130
.LBB2541_193:
	v_lshlrev_b32_e32 v19, 1, v12
	v_readfirstlane_b32 s2, v2
	v_readfirstlane_b32 s3, v3
	s_waitcnt lgkmcnt(4)
	s_nop 3
	global_store_short v19, v13, s[2:3]
	s_or_b64 exec, exec, s[0:1]
	v_cmp_lt_u32_e32 vcc, v11, v16
	s_and_saveexec_b64 s[0:1], vcc
	s_cbranch_execz .LBB2541_131
.LBB2541_194:
	v_lshlrev_b32_e32 v19, 1, v11
	v_readfirstlane_b32 s2, v2
	v_readfirstlane_b32 s3, v3
	s_waitcnt lgkmcnt(3)
	s_nop 3
	global_store_short v19, v10, s[2:3]
	s_or_b64 exec, exec, s[0:1]
	v_cmp_lt_u32_e32 vcc, v9, v16
	s_and_saveexec_b64 s[0:1], vcc
	s_cbranch_execz .LBB2541_132
.LBB2541_195:
	v_lshlrev_b32_e32 v19, 1, v9
	v_readfirstlane_b32 s2, v2
	v_readfirstlane_b32 s3, v3
	s_waitcnt lgkmcnt(2)
	s_nop 3
	global_store_short v19, v8, s[2:3]
	s_or_b64 exec, exec, s[0:1]
	v_cmp_lt_u32_e32 vcc, v7, v16
	s_and_saveexec_b64 s[0:1], vcc
	s_cbranch_execnz .LBB2541_133
	s_branch .LBB2541_134
.LBB2541_196:
	v_readfirstlane_b32 s2, v2
	v_readfirstlane_b32 s3, v3
	s_waitcnt lgkmcnt(14)
	s_nop 3
	global_store_short v1, v61, s[2:3]
	s_or_b64 exec, exec, s[0:1]
	v_cmp_lt_u32_e32 vcc, v59, v62
	s_and_saveexec_b64 s[0:1], vcc
	s_cbranch_execz .LBB2541_138
.LBB2541_197:
	v_readfirstlane_b32 s2, v2
	v_readfirstlane_b32 s3, v3
	s_waitcnt lgkmcnt(14)
	s_nop 3
	global_store_short v1, v60, s[2:3] offset:512
	s_or_b64 exec, exec, s[0:1]
	v_cmp_lt_u32_e32 vcc, v57, v62
	s_and_saveexec_b64 s[0:1], vcc
	s_cbranch_execz .LBB2541_139
.LBB2541_198:
	v_readfirstlane_b32 s2, v2
	v_readfirstlane_b32 s3, v3
	s_waitcnt lgkmcnt(14)
	s_nop 3
	global_store_short v1, v58, s[2:3] offset:1024
	s_or_b64 exec, exec, s[0:1]
	v_cmp_lt_u32_e32 vcc, v55, v62
	s_and_saveexec_b64 s[0:1], vcc
	s_cbranch_execz .LBB2541_140
.LBB2541_199:
	v_readfirstlane_b32 s2, v2
	v_readfirstlane_b32 s3, v3
	s_waitcnt lgkmcnt(14)
	s_nop 3
	global_store_short v1, v56, s[2:3] offset:1536
	s_or_b64 exec, exec, s[0:1]
	v_cmp_lt_u32_e32 vcc, v53, v62
	s_and_saveexec_b64 s[0:1], vcc
	s_cbranch_execz .LBB2541_141
.LBB2541_200:
	v_readfirstlane_b32 s2, v2
	v_readfirstlane_b32 s3, v3
	s_waitcnt lgkmcnt(14)
	s_nop 3
	global_store_short v1, v54, s[2:3] offset:2048
	s_or_b64 exec, exec, s[0:1]
	v_cmp_lt_u32_e32 vcc, v52, v62
	s_and_saveexec_b64 s[0:1], vcc
	s_cbranch_execz .LBB2541_142
.LBB2541_201:
	v_readfirstlane_b32 s2, v2
	v_readfirstlane_b32 s3, v3
	s_waitcnt lgkmcnt(14)
	s_nop 3
	global_store_short v1, v51, s[2:3] offset:2560
	s_or_b64 exec, exec, s[0:1]
	v_cmp_lt_u32_e32 vcc, v50, v62
	s_and_saveexec_b64 s[0:1], vcc
	s_cbranch_execz .LBB2541_143
.LBB2541_202:
	v_readfirstlane_b32 s2, v2
	v_readfirstlane_b32 s3, v3
	s_waitcnt lgkmcnt(14)
	s_nop 3
	global_store_short v1, v49, s[2:3] offset:3072
	s_or_b64 exec, exec, s[0:1]
	v_cmp_lt_u32_e32 vcc, v48, v62
	s_and_saveexec_b64 s[0:1], vcc
	s_cbranch_execz .LBB2541_144
.LBB2541_203:
	v_readfirstlane_b32 s2, v2
	v_readfirstlane_b32 s3, v3
	s_waitcnt lgkmcnt(14)
	s_nop 3
	global_store_short v1, v46, s[2:3] offset:3584
	s_or_b64 exec, exec, s[0:1]
	v_cmp_lt_u32_e32 vcc, v45, v62
	s_and_saveexec_b64 s[0:1], vcc
	s_cbranch_execz .LBB2541_145
.LBB2541_204:
	v_lshlrev_b32_e32 v1, 1, v45
	v_readfirstlane_b32 s2, v2
	v_readfirstlane_b32 s3, v3
	s_waitcnt lgkmcnt(14)
	s_nop 3
	global_store_short v1, v47, s[2:3]
	s_or_b64 exec, exec, s[0:1]
	v_cmp_lt_u32_e32 vcc, v43, v62
	s_and_saveexec_b64 s[0:1], vcc
	s_cbranch_execz .LBB2541_146
.LBB2541_205:
	v_lshlrev_b32_e32 v1, 1, v43
	v_readfirstlane_b32 s2, v2
	v_readfirstlane_b32 s3, v3
	s_waitcnt lgkmcnt(14)
	s_nop 3
	global_store_short v1, v44, s[2:3]
	s_or_b64 exec, exec, s[0:1]
	v_cmp_lt_u32_e32 vcc, v41, v62
	s_and_saveexec_b64 s[0:1], vcc
	s_cbranch_execz .LBB2541_147
.LBB2541_206:
	v_lshlrev_b32_e32 v1, 1, v41
	v_readfirstlane_b32 s2, v2
	v_readfirstlane_b32 s3, v3
	s_waitcnt lgkmcnt(14)
	s_nop 3
	global_store_short v1, v42, s[2:3]
	s_or_b64 exec, exec, s[0:1]
	v_cmp_lt_u32_e32 vcc, v39, v62
	s_and_saveexec_b64 s[0:1], vcc
	s_cbranch_execz .LBB2541_148
.LBB2541_207:
	v_lshlrev_b32_e32 v1, 1, v39
	v_readfirstlane_b32 s2, v2
	v_readfirstlane_b32 s3, v3
	s_waitcnt lgkmcnt(14)
	s_nop 3
	global_store_short v1, v40, s[2:3]
	s_or_b64 exec, exec, s[0:1]
	v_cmp_lt_u32_e32 vcc, v37, v62
	s_and_saveexec_b64 s[0:1], vcc
	s_cbranch_execz .LBB2541_149
.LBB2541_208:
	v_lshlrev_b32_e32 v1, 1, v37
	v_readfirstlane_b32 s2, v2
	v_readfirstlane_b32 s3, v3
	s_waitcnt lgkmcnt(14)
	s_nop 3
	global_store_short v1, v38, s[2:3]
	s_or_b64 exec, exec, s[0:1]
	v_cmp_lt_u32_e32 vcc, v35, v62
	s_and_saveexec_b64 s[0:1], vcc
	s_cbranch_execz .LBB2541_150
.LBB2541_209:
	v_lshlrev_b32_e32 v1, 1, v35
	v_readfirstlane_b32 s2, v2
	v_readfirstlane_b32 s3, v3
	s_waitcnt lgkmcnt(14)
	s_nop 3
	global_store_short v1, v36, s[2:3]
	s_or_b64 exec, exec, s[0:1]
	v_cmp_lt_u32_e32 vcc, v33, v62
	s_and_saveexec_b64 s[0:1], vcc
	s_cbranch_execz .LBB2541_151
.LBB2541_210:
	v_lshlrev_b32_e32 v1, 1, v33
	v_readfirstlane_b32 s2, v2
	v_readfirstlane_b32 s3, v3
	s_waitcnt lgkmcnt(13)
	s_nop 3
	global_store_short v1, v34, s[2:3]
	s_or_b64 exec, exec, s[0:1]
	v_cmp_lt_u32_e32 vcc, v30, v62
	s_and_saveexec_b64 s[0:1], vcc
	s_cbranch_execz .LBB2541_152
.LBB2541_211:
	v_lshlrev_b32_e32 v1, 1, v30
	v_readfirstlane_b32 s2, v2
	v_readfirstlane_b32 s3, v3
	s_waitcnt lgkmcnt(12)
	s_nop 3
	global_store_short v1, v31, s[2:3]
	s_or_b64 exec, exec, s[0:1]
	v_cmp_lt_u32_e32 vcc, v29, v62
	s_and_saveexec_b64 s[0:1], vcc
	s_cbranch_execz .LBB2541_153
.LBB2541_212:
	v_lshlrev_b32_e32 v1, 1, v29
	v_readfirstlane_b32 s2, v2
	v_readfirstlane_b32 s3, v3
	s_waitcnt lgkmcnt(11)
	s_nop 3
	global_store_short v1, v32, s[2:3]
	s_or_b64 exec, exec, s[0:1]
	v_cmp_lt_u32_e32 vcc, v27, v62
	s_and_saveexec_b64 s[0:1], vcc
	s_cbranch_execz .LBB2541_154
.LBB2541_213:
	v_lshlrev_b32_e32 v1, 1, v27
	v_readfirstlane_b32 s2, v2
	v_readfirstlane_b32 s3, v3
	s_waitcnt lgkmcnt(10)
	s_nop 3
	global_store_short v1, v28, s[2:3]
	s_or_b64 exec, exec, s[0:1]
	v_cmp_lt_u32_e32 vcc, v25, v62
	s_and_saveexec_b64 s[0:1], vcc
	s_cbranch_execz .LBB2541_155
.LBB2541_214:
	v_lshlrev_b32_e32 v1, 1, v25
	v_readfirstlane_b32 s2, v2
	v_readfirstlane_b32 s3, v3
	s_waitcnt lgkmcnt(9)
	s_nop 3
	global_store_short v1, v26, s[2:3]
	s_or_b64 exec, exec, s[0:1]
	v_cmp_lt_u32_e32 vcc, v23, v62
	s_and_saveexec_b64 s[0:1], vcc
	s_cbranch_execz .LBB2541_156
.LBB2541_215:
	v_lshlrev_b32_e32 v1, 1, v23
	v_readfirstlane_b32 s2, v2
	v_readfirstlane_b32 s3, v3
	s_waitcnt lgkmcnt(8)
	s_nop 3
	global_store_short v1, v24, s[2:3]
	s_or_b64 exec, exec, s[0:1]
	v_cmp_lt_u32_e32 vcc, v21, v62
	s_and_saveexec_b64 s[0:1], vcc
	s_cbranch_execz .LBB2541_157
.LBB2541_216:
	v_lshlrev_b32_e32 v1, 1, v21
	v_readfirstlane_b32 s2, v2
	v_readfirstlane_b32 s3, v3
	s_waitcnt lgkmcnt(7)
	s_nop 3
	global_store_short v1, v22, s[2:3]
	s_or_b64 exec, exec, s[0:1]
	v_cmp_lt_u32_e32 vcc, v17, v62
	s_and_saveexec_b64 s[0:1], vcc
	s_cbranch_execz .LBB2541_158
.LBB2541_217:
	v_lshlrev_b32_e32 v1, 1, v17
	v_readfirstlane_b32 s2, v2
	v_readfirstlane_b32 s3, v3
	s_waitcnt lgkmcnt(6)
	s_nop 3
	global_store_short v1, v20, s[2:3]
	s_or_b64 exec, exec, s[0:1]
	v_cmp_lt_u32_e32 vcc, v14, v62
	s_and_saveexec_b64 s[0:1], vcc
	s_cbranch_execz .LBB2541_159
.LBB2541_218:
	v_lshlrev_b32_e32 v1, 1, v14
	v_readfirstlane_b32 s2, v2
	v_readfirstlane_b32 s3, v3
	s_waitcnt lgkmcnt(5)
	s_nop 3
	global_store_short v1, v15, s[2:3]
	s_or_b64 exec, exec, s[0:1]
	v_cmp_lt_u32_e32 vcc, v12, v62
	s_and_saveexec_b64 s[0:1], vcc
	s_cbranch_execz .LBB2541_160
.LBB2541_219:
	v_lshlrev_b32_e32 v1, 1, v12
	v_readfirstlane_b32 s2, v2
	v_readfirstlane_b32 s3, v3
	s_waitcnt lgkmcnt(4)
	s_nop 3
	global_store_short v1, v13, s[2:3]
	s_or_b64 exec, exec, s[0:1]
	v_cmp_lt_u32_e32 vcc, v11, v62
	s_and_saveexec_b64 s[0:1], vcc
	s_cbranch_execz .LBB2541_161
.LBB2541_220:
	v_lshlrev_b32_e32 v1, 1, v11
	v_readfirstlane_b32 s2, v2
	v_readfirstlane_b32 s3, v3
	s_waitcnt lgkmcnt(3)
	s_nop 3
	global_store_short v1, v10, s[2:3]
	s_or_b64 exec, exec, s[0:1]
	v_cmp_lt_u32_e32 vcc, v9, v62
	s_and_saveexec_b64 s[0:1], vcc
	s_cbranch_execz .LBB2541_162
.LBB2541_221:
	v_lshlrev_b32_e32 v1, 1, v9
	v_readfirstlane_b32 s2, v2
	v_readfirstlane_b32 s3, v3
	s_waitcnt lgkmcnt(2)
	s_nop 3
	global_store_short v1, v8, s[2:3]
	s_or_b64 exec, exec, s[0:1]
	v_cmp_lt_u32_e32 vcc, v7, v62
	s_and_saveexec_b64 s[0:1], vcc
	s_cbranch_execnz .LBB2541_163
	s_branch .LBB2541_164
	.section	.rodata,"a",@progbits
	.p2align	6, 0x0
	.amdhsa_kernel _ZN7rocprim17ROCPRIM_400000_NS6detail17trampoline_kernelINS0_14default_configENS1_25partition_config_selectorILNS1_17partition_subalgoE0EtNS0_10empty_typeEbEEZZNS1_14partition_implILS5_0ELb0ES3_jN6thrust23THRUST_200600_302600_NS6detail15normal_iteratorINSA_10device_ptrItEEEEPS6_SG_NS0_5tupleIJSF_NSA_16discard_iteratorINSA_11use_defaultEEEEEENSH_IJSG_SG_EEES6_PlJ7is_evenItEEEE10hipError_tPvRmT3_T4_T5_T6_T7_T9_mT8_P12ihipStream_tbDpT10_ENKUlT_T0_E_clISt17integral_constantIbLb1EES18_IbLb0EEEEDaS14_S15_EUlS14_E_NS1_11comp_targetILNS1_3genE4ELNS1_11target_archE910ELNS1_3gpuE8ELNS1_3repE0EEENS1_30default_config_static_selectorELNS0_4arch9wavefront6targetE1EEEvT1_
		.amdhsa_group_segment_fixed_size 14344
		.amdhsa_private_segment_fixed_size 0
		.amdhsa_kernarg_size 128
		.amdhsa_user_sgpr_count 6
		.amdhsa_user_sgpr_private_segment_buffer 1
		.amdhsa_user_sgpr_dispatch_ptr 0
		.amdhsa_user_sgpr_queue_ptr 0
		.amdhsa_user_sgpr_kernarg_segment_ptr 1
		.amdhsa_user_sgpr_dispatch_id 0
		.amdhsa_user_sgpr_flat_scratch_init 0
		.amdhsa_user_sgpr_kernarg_preload_length 0
		.amdhsa_user_sgpr_kernarg_preload_offset 0
		.amdhsa_user_sgpr_private_segment_size 0
		.amdhsa_uses_dynamic_stack 0
		.amdhsa_system_sgpr_private_segment_wavefront_offset 0
		.amdhsa_system_sgpr_workgroup_id_x 1
		.amdhsa_system_sgpr_workgroup_id_y 0
		.amdhsa_system_sgpr_workgroup_id_z 0
		.amdhsa_system_sgpr_workgroup_info 0
		.amdhsa_system_vgpr_workitem_id 0
		.amdhsa_next_free_vgpr 114
		.amdhsa_next_free_sgpr 40
		.amdhsa_accum_offset 116
		.amdhsa_reserve_vcc 1
		.amdhsa_reserve_flat_scratch 0
		.amdhsa_float_round_mode_32 0
		.amdhsa_float_round_mode_16_64 0
		.amdhsa_float_denorm_mode_32 3
		.amdhsa_float_denorm_mode_16_64 3
		.amdhsa_dx10_clamp 1
		.amdhsa_ieee_mode 1
		.amdhsa_fp16_overflow 0
		.amdhsa_tg_split 0
		.amdhsa_exception_fp_ieee_invalid_op 0
		.amdhsa_exception_fp_denorm_src 0
		.amdhsa_exception_fp_ieee_div_zero 0
		.amdhsa_exception_fp_ieee_overflow 0
		.amdhsa_exception_fp_ieee_underflow 0
		.amdhsa_exception_fp_ieee_inexact 0
		.amdhsa_exception_int_div_zero 0
	.end_amdhsa_kernel
	.section	.text._ZN7rocprim17ROCPRIM_400000_NS6detail17trampoline_kernelINS0_14default_configENS1_25partition_config_selectorILNS1_17partition_subalgoE0EtNS0_10empty_typeEbEEZZNS1_14partition_implILS5_0ELb0ES3_jN6thrust23THRUST_200600_302600_NS6detail15normal_iteratorINSA_10device_ptrItEEEEPS6_SG_NS0_5tupleIJSF_NSA_16discard_iteratorINSA_11use_defaultEEEEEENSH_IJSG_SG_EEES6_PlJ7is_evenItEEEE10hipError_tPvRmT3_T4_T5_T6_T7_T9_mT8_P12ihipStream_tbDpT10_ENKUlT_T0_E_clISt17integral_constantIbLb1EES18_IbLb0EEEEDaS14_S15_EUlS14_E_NS1_11comp_targetILNS1_3genE4ELNS1_11target_archE910ELNS1_3gpuE8ELNS1_3repE0EEENS1_30default_config_static_selectorELNS0_4arch9wavefront6targetE1EEEvT1_,"axG",@progbits,_ZN7rocprim17ROCPRIM_400000_NS6detail17trampoline_kernelINS0_14default_configENS1_25partition_config_selectorILNS1_17partition_subalgoE0EtNS0_10empty_typeEbEEZZNS1_14partition_implILS5_0ELb0ES3_jN6thrust23THRUST_200600_302600_NS6detail15normal_iteratorINSA_10device_ptrItEEEEPS6_SG_NS0_5tupleIJSF_NSA_16discard_iteratorINSA_11use_defaultEEEEEENSH_IJSG_SG_EEES6_PlJ7is_evenItEEEE10hipError_tPvRmT3_T4_T5_T6_T7_T9_mT8_P12ihipStream_tbDpT10_ENKUlT_T0_E_clISt17integral_constantIbLb1EES18_IbLb0EEEEDaS14_S15_EUlS14_E_NS1_11comp_targetILNS1_3genE4ELNS1_11target_archE910ELNS1_3gpuE8ELNS1_3repE0EEENS1_30default_config_static_selectorELNS0_4arch9wavefront6targetE1EEEvT1_,comdat
.Lfunc_end2541:
	.size	_ZN7rocprim17ROCPRIM_400000_NS6detail17trampoline_kernelINS0_14default_configENS1_25partition_config_selectorILNS1_17partition_subalgoE0EtNS0_10empty_typeEbEEZZNS1_14partition_implILS5_0ELb0ES3_jN6thrust23THRUST_200600_302600_NS6detail15normal_iteratorINSA_10device_ptrItEEEEPS6_SG_NS0_5tupleIJSF_NSA_16discard_iteratorINSA_11use_defaultEEEEEENSH_IJSG_SG_EEES6_PlJ7is_evenItEEEE10hipError_tPvRmT3_T4_T5_T6_T7_T9_mT8_P12ihipStream_tbDpT10_ENKUlT_T0_E_clISt17integral_constantIbLb1EES18_IbLb0EEEEDaS14_S15_EUlS14_E_NS1_11comp_targetILNS1_3genE4ELNS1_11target_archE910ELNS1_3gpuE8ELNS1_3repE0EEENS1_30default_config_static_selectorELNS0_4arch9wavefront6targetE1EEEvT1_, .Lfunc_end2541-_ZN7rocprim17ROCPRIM_400000_NS6detail17trampoline_kernelINS0_14default_configENS1_25partition_config_selectorILNS1_17partition_subalgoE0EtNS0_10empty_typeEbEEZZNS1_14partition_implILS5_0ELb0ES3_jN6thrust23THRUST_200600_302600_NS6detail15normal_iteratorINSA_10device_ptrItEEEEPS6_SG_NS0_5tupleIJSF_NSA_16discard_iteratorINSA_11use_defaultEEEEEENSH_IJSG_SG_EEES6_PlJ7is_evenItEEEE10hipError_tPvRmT3_T4_T5_T6_T7_T9_mT8_P12ihipStream_tbDpT10_ENKUlT_T0_E_clISt17integral_constantIbLb1EES18_IbLb0EEEEDaS14_S15_EUlS14_E_NS1_11comp_targetILNS1_3genE4ELNS1_11target_archE910ELNS1_3gpuE8ELNS1_3repE0EEENS1_30default_config_static_selectorELNS0_4arch9wavefront6targetE1EEEvT1_
                                        ; -- End function
	.section	.AMDGPU.csdata,"",@progbits
; Kernel info:
; codeLenInByte = 10416
; NumSgprs: 44
; NumVgprs: 114
; NumAgprs: 0
; TotalNumVgprs: 114
; ScratchSize: 0
; MemoryBound: 0
; FloatMode: 240
; IeeeMode: 1
; LDSByteSize: 14344 bytes/workgroup (compile time only)
; SGPRBlocks: 5
; VGPRBlocks: 14
; NumSGPRsForWavesPerEU: 44
; NumVGPRsForWavesPerEU: 114
; AccumOffset: 116
; Occupancy: 4
; WaveLimiterHint : 1
; COMPUTE_PGM_RSRC2:SCRATCH_EN: 0
; COMPUTE_PGM_RSRC2:USER_SGPR: 6
; COMPUTE_PGM_RSRC2:TRAP_HANDLER: 0
; COMPUTE_PGM_RSRC2:TGID_X_EN: 1
; COMPUTE_PGM_RSRC2:TGID_Y_EN: 0
; COMPUTE_PGM_RSRC2:TGID_Z_EN: 0
; COMPUTE_PGM_RSRC2:TIDIG_COMP_CNT: 0
; COMPUTE_PGM_RSRC3_GFX90A:ACCUM_OFFSET: 28
; COMPUTE_PGM_RSRC3_GFX90A:TG_SPLIT: 0
	.section	.text._ZN7rocprim17ROCPRIM_400000_NS6detail17trampoline_kernelINS0_14default_configENS1_25partition_config_selectorILNS1_17partition_subalgoE0EtNS0_10empty_typeEbEEZZNS1_14partition_implILS5_0ELb0ES3_jN6thrust23THRUST_200600_302600_NS6detail15normal_iteratorINSA_10device_ptrItEEEEPS6_SG_NS0_5tupleIJSF_NSA_16discard_iteratorINSA_11use_defaultEEEEEENSH_IJSG_SG_EEES6_PlJ7is_evenItEEEE10hipError_tPvRmT3_T4_T5_T6_T7_T9_mT8_P12ihipStream_tbDpT10_ENKUlT_T0_E_clISt17integral_constantIbLb1EES18_IbLb0EEEEDaS14_S15_EUlS14_E_NS1_11comp_targetILNS1_3genE3ELNS1_11target_archE908ELNS1_3gpuE7ELNS1_3repE0EEENS1_30default_config_static_selectorELNS0_4arch9wavefront6targetE1EEEvT1_,"axG",@progbits,_ZN7rocprim17ROCPRIM_400000_NS6detail17trampoline_kernelINS0_14default_configENS1_25partition_config_selectorILNS1_17partition_subalgoE0EtNS0_10empty_typeEbEEZZNS1_14partition_implILS5_0ELb0ES3_jN6thrust23THRUST_200600_302600_NS6detail15normal_iteratorINSA_10device_ptrItEEEEPS6_SG_NS0_5tupleIJSF_NSA_16discard_iteratorINSA_11use_defaultEEEEEENSH_IJSG_SG_EEES6_PlJ7is_evenItEEEE10hipError_tPvRmT3_T4_T5_T6_T7_T9_mT8_P12ihipStream_tbDpT10_ENKUlT_T0_E_clISt17integral_constantIbLb1EES18_IbLb0EEEEDaS14_S15_EUlS14_E_NS1_11comp_targetILNS1_3genE3ELNS1_11target_archE908ELNS1_3gpuE7ELNS1_3repE0EEENS1_30default_config_static_selectorELNS0_4arch9wavefront6targetE1EEEvT1_,comdat
	.protected	_ZN7rocprim17ROCPRIM_400000_NS6detail17trampoline_kernelINS0_14default_configENS1_25partition_config_selectorILNS1_17partition_subalgoE0EtNS0_10empty_typeEbEEZZNS1_14partition_implILS5_0ELb0ES3_jN6thrust23THRUST_200600_302600_NS6detail15normal_iteratorINSA_10device_ptrItEEEEPS6_SG_NS0_5tupleIJSF_NSA_16discard_iteratorINSA_11use_defaultEEEEEENSH_IJSG_SG_EEES6_PlJ7is_evenItEEEE10hipError_tPvRmT3_T4_T5_T6_T7_T9_mT8_P12ihipStream_tbDpT10_ENKUlT_T0_E_clISt17integral_constantIbLb1EES18_IbLb0EEEEDaS14_S15_EUlS14_E_NS1_11comp_targetILNS1_3genE3ELNS1_11target_archE908ELNS1_3gpuE7ELNS1_3repE0EEENS1_30default_config_static_selectorELNS0_4arch9wavefront6targetE1EEEvT1_ ; -- Begin function _ZN7rocprim17ROCPRIM_400000_NS6detail17trampoline_kernelINS0_14default_configENS1_25partition_config_selectorILNS1_17partition_subalgoE0EtNS0_10empty_typeEbEEZZNS1_14partition_implILS5_0ELb0ES3_jN6thrust23THRUST_200600_302600_NS6detail15normal_iteratorINSA_10device_ptrItEEEEPS6_SG_NS0_5tupleIJSF_NSA_16discard_iteratorINSA_11use_defaultEEEEEENSH_IJSG_SG_EEES6_PlJ7is_evenItEEEE10hipError_tPvRmT3_T4_T5_T6_T7_T9_mT8_P12ihipStream_tbDpT10_ENKUlT_T0_E_clISt17integral_constantIbLb1EES18_IbLb0EEEEDaS14_S15_EUlS14_E_NS1_11comp_targetILNS1_3genE3ELNS1_11target_archE908ELNS1_3gpuE7ELNS1_3repE0EEENS1_30default_config_static_selectorELNS0_4arch9wavefront6targetE1EEEvT1_
	.globl	_ZN7rocprim17ROCPRIM_400000_NS6detail17trampoline_kernelINS0_14default_configENS1_25partition_config_selectorILNS1_17partition_subalgoE0EtNS0_10empty_typeEbEEZZNS1_14partition_implILS5_0ELb0ES3_jN6thrust23THRUST_200600_302600_NS6detail15normal_iteratorINSA_10device_ptrItEEEEPS6_SG_NS0_5tupleIJSF_NSA_16discard_iteratorINSA_11use_defaultEEEEEENSH_IJSG_SG_EEES6_PlJ7is_evenItEEEE10hipError_tPvRmT3_T4_T5_T6_T7_T9_mT8_P12ihipStream_tbDpT10_ENKUlT_T0_E_clISt17integral_constantIbLb1EES18_IbLb0EEEEDaS14_S15_EUlS14_E_NS1_11comp_targetILNS1_3genE3ELNS1_11target_archE908ELNS1_3gpuE7ELNS1_3repE0EEENS1_30default_config_static_selectorELNS0_4arch9wavefront6targetE1EEEvT1_
	.p2align	8
	.type	_ZN7rocprim17ROCPRIM_400000_NS6detail17trampoline_kernelINS0_14default_configENS1_25partition_config_selectorILNS1_17partition_subalgoE0EtNS0_10empty_typeEbEEZZNS1_14partition_implILS5_0ELb0ES3_jN6thrust23THRUST_200600_302600_NS6detail15normal_iteratorINSA_10device_ptrItEEEEPS6_SG_NS0_5tupleIJSF_NSA_16discard_iteratorINSA_11use_defaultEEEEEENSH_IJSG_SG_EEES6_PlJ7is_evenItEEEE10hipError_tPvRmT3_T4_T5_T6_T7_T9_mT8_P12ihipStream_tbDpT10_ENKUlT_T0_E_clISt17integral_constantIbLb1EES18_IbLb0EEEEDaS14_S15_EUlS14_E_NS1_11comp_targetILNS1_3genE3ELNS1_11target_archE908ELNS1_3gpuE7ELNS1_3repE0EEENS1_30default_config_static_selectorELNS0_4arch9wavefront6targetE1EEEvT1_,@function
_ZN7rocprim17ROCPRIM_400000_NS6detail17trampoline_kernelINS0_14default_configENS1_25partition_config_selectorILNS1_17partition_subalgoE0EtNS0_10empty_typeEbEEZZNS1_14partition_implILS5_0ELb0ES3_jN6thrust23THRUST_200600_302600_NS6detail15normal_iteratorINSA_10device_ptrItEEEEPS6_SG_NS0_5tupleIJSF_NSA_16discard_iteratorINSA_11use_defaultEEEEEENSH_IJSG_SG_EEES6_PlJ7is_evenItEEEE10hipError_tPvRmT3_T4_T5_T6_T7_T9_mT8_P12ihipStream_tbDpT10_ENKUlT_T0_E_clISt17integral_constantIbLb1EES18_IbLb0EEEEDaS14_S15_EUlS14_E_NS1_11comp_targetILNS1_3genE3ELNS1_11target_archE908ELNS1_3gpuE7ELNS1_3repE0EEENS1_30default_config_static_selectorELNS0_4arch9wavefront6targetE1EEEvT1_: ; @_ZN7rocprim17ROCPRIM_400000_NS6detail17trampoline_kernelINS0_14default_configENS1_25partition_config_selectorILNS1_17partition_subalgoE0EtNS0_10empty_typeEbEEZZNS1_14partition_implILS5_0ELb0ES3_jN6thrust23THRUST_200600_302600_NS6detail15normal_iteratorINSA_10device_ptrItEEEEPS6_SG_NS0_5tupleIJSF_NSA_16discard_iteratorINSA_11use_defaultEEEEEENSH_IJSG_SG_EEES6_PlJ7is_evenItEEEE10hipError_tPvRmT3_T4_T5_T6_T7_T9_mT8_P12ihipStream_tbDpT10_ENKUlT_T0_E_clISt17integral_constantIbLb1EES18_IbLb0EEEEDaS14_S15_EUlS14_E_NS1_11comp_targetILNS1_3genE3ELNS1_11target_archE908ELNS1_3gpuE7ELNS1_3repE0EEENS1_30default_config_static_selectorELNS0_4arch9wavefront6targetE1EEEvT1_
; %bb.0:
	.section	.rodata,"a",@progbits
	.p2align	6, 0x0
	.amdhsa_kernel _ZN7rocprim17ROCPRIM_400000_NS6detail17trampoline_kernelINS0_14default_configENS1_25partition_config_selectorILNS1_17partition_subalgoE0EtNS0_10empty_typeEbEEZZNS1_14partition_implILS5_0ELb0ES3_jN6thrust23THRUST_200600_302600_NS6detail15normal_iteratorINSA_10device_ptrItEEEEPS6_SG_NS0_5tupleIJSF_NSA_16discard_iteratorINSA_11use_defaultEEEEEENSH_IJSG_SG_EEES6_PlJ7is_evenItEEEE10hipError_tPvRmT3_T4_T5_T6_T7_T9_mT8_P12ihipStream_tbDpT10_ENKUlT_T0_E_clISt17integral_constantIbLb1EES18_IbLb0EEEEDaS14_S15_EUlS14_E_NS1_11comp_targetILNS1_3genE3ELNS1_11target_archE908ELNS1_3gpuE7ELNS1_3repE0EEENS1_30default_config_static_selectorELNS0_4arch9wavefront6targetE1EEEvT1_
		.amdhsa_group_segment_fixed_size 0
		.amdhsa_private_segment_fixed_size 0
		.amdhsa_kernarg_size 128
		.amdhsa_user_sgpr_count 6
		.amdhsa_user_sgpr_private_segment_buffer 1
		.amdhsa_user_sgpr_dispatch_ptr 0
		.amdhsa_user_sgpr_queue_ptr 0
		.amdhsa_user_sgpr_kernarg_segment_ptr 1
		.amdhsa_user_sgpr_dispatch_id 0
		.amdhsa_user_sgpr_flat_scratch_init 0
		.amdhsa_user_sgpr_kernarg_preload_length 0
		.amdhsa_user_sgpr_kernarg_preload_offset 0
		.amdhsa_user_sgpr_private_segment_size 0
		.amdhsa_uses_dynamic_stack 0
		.amdhsa_system_sgpr_private_segment_wavefront_offset 0
		.amdhsa_system_sgpr_workgroup_id_x 1
		.amdhsa_system_sgpr_workgroup_id_y 0
		.amdhsa_system_sgpr_workgroup_id_z 0
		.amdhsa_system_sgpr_workgroup_info 0
		.amdhsa_system_vgpr_workitem_id 0
		.amdhsa_next_free_vgpr 1
		.amdhsa_next_free_sgpr 0
		.amdhsa_accum_offset 4
		.amdhsa_reserve_vcc 0
		.amdhsa_reserve_flat_scratch 0
		.amdhsa_float_round_mode_32 0
		.amdhsa_float_round_mode_16_64 0
		.amdhsa_float_denorm_mode_32 3
		.amdhsa_float_denorm_mode_16_64 3
		.amdhsa_dx10_clamp 1
		.amdhsa_ieee_mode 1
		.amdhsa_fp16_overflow 0
		.amdhsa_tg_split 0
		.amdhsa_exception_fp_ieee_invalid_op 0
		.amdhsa_exception_fp_denorm_src 0
		.amdhsa_exception_fp_ieee_div_zero 0
		.amdhsa_exception_fp_ieee_overflow 0
		.amdhsa_exception_fp_ieee_underflow 0
		.amdhsa_exception_fp_ieee_inexact 0
		.amdhsa_exception_int_div_zero 0
	.end_amdhsa_kernel
	.section	.text._ZN7rocprim17ROCPRIM_400000_NS6detail17trampoline_kernelINS0_14default_configENS1_25partition_config_selectorILNS1_17partition_subalgoE0EtNS0_10empty_typeEbEEZZNS1_14partition_implILS5_0ELb0ES3_jN6thrust23THRUST_200600_302600_NS6detail15normal_iteratorINSA_10device_ptrItEEEEPS6_SG_NS0_5tupleIJSF_NSA_16discard_iteratorINSA_11use_defaultEEEEEENSH_IJSG_SG_EEES6_PlJ7is_evenItEEEE10hipError_tPvRmT3_T4_T5_T6_T7_T9_mT8_P12ihipStream_tbDpT10_ENKUlT_T0_E_clISt17integral_constantIbLb1EES18_IbLb0EEEEDaS14_S15_EUlS14_E_NS1_11comp_targetILNS1_3genE3ELNS1_11target_archE908ELNS1_3gpuE7ELNS1_3repE0EEENS1_30default_config_static_selectorELNS0_4arch9wavefront6targetE1EEEvT1_,"axG",@progbits,_ZN7rocprim17ROCPRIM_400000_NS6detail17trampoline_kernelINS0_14default_configENS1_25partition_config_selectorILNS1_17partition_subalgoE0EtNS0_10empty_typeEbEEZZNS1_14partition_implILS5_0ELb0ES3_jN6thrust23THRUST_200600_302600_NS6detail15normal_iteratorINSA_10device_ptrItEEEEPS6_SG_NS0_5tupleIJSF_NSA_16discard_iteratorINSA_11use_defaultEEEEEENSH_IJSG_SG_EEES6_PlJ7is_evenItEEEE10hipError_tPvRmT3_T4_T5_T6_T7_T9_mT8_P12ihipStream_tbDpT10_ENKUlT_T0_E_clISt17integral_constantIbLb1EES18_IbLb0EEEEDaS14_S15_EUlS14_E_NS1_11comp_targetILNS1_3genE3ELNS1_11target_archE908ELNS1_3gpuE7ELNS1_3repE0EEENS1_30default_config_static_selectorELNS0_4arch9wavefront6targetE1EEEvT1_,comdat
.Lfunc_end2542:
	.size	_ZN7rocprim17ROCPRIM_400000_NS6detail17trampoline_kernelINS0_14default_configENS1_25partition_config_selectorILNS1_17partition_subalgoE0EtNS0_10empty_typeEbEEZZNS1_14partition_implILS5_0ELb0ES3_jN6thrust23THRUST_200600_302600_NS6detail15normal_iteratorINSA_10device_ptrItEEEEPS6_SG_NS0_5tupleIJSF_NSA_16discard_iteratorINSA_11use_defaultEEEEEENSH_IJSG_SG_EEES6_PlJ7is_evenItEEEE10hipError_tPvRmT3_T4_T5_T6_T7_T9_mT8_P12ihipStream_tbDpT10_ENKUlT_T0_E_clISt17integral_constantIbLb1EES18_IbLb0EEEEDaS14_S15_EUlS14_E_NS1_11comp_targetILNS1_3genE3ELNS1_11target_archE908ELNS1_3gpuE7ELNS1_3repE0EEENS1_30default_config_static_selectorELNS0_4arch9wavefront6targetE1EEEvT1_, .Lfunc_end2542-_ZN7rocprim17ROCPRIM_400000_NS6detail17trampoline_kernelINS0_14default_configENS1_25partition_config_selectorILNS1_17partition_subalgoE0EtNS0_10empty_typeEbEEZZNS1_14partition_implILS5_0ELb0ES3_jN6thrust23THRUST_200600_302600_NS6detail15normal_iteratorINSA_10device_ptrItEEEEPS6_SG_NS0_5tupleIJSF_NSA_16discard_iteratorINSA_11use_defaultEEEEEENSH_IJSG_SG_EEES6_PlJ7is_evenItEEEE10hipError_tPvRmT3_T4_T5_T6_T7_T9_mT8_P12ihipStream_tbDpT10_ENKUlT_T0_E_clISt17integral_constantIbLb1EES18_IbLb0EEEEDaS14_S15_EUlS14_E_NS1_11comp_targetILNS1_3genE3ELNS1_11target_archE908ELNS1_3gpuE7ELNS1_3repE0EEENS1_30default_config_static_selectorELNS0_4arch9wavefront6targetE1EEEvT1_
                                        ; -- End function
	.section	.AMDGPU.csdata,"",@progbits
; Kernel info:
; codeLenInByte = 0
; NumSgprs: 4
; NumVgprs: 0
; NumAgprs: 0
; TotalNumVgprs: 0
; ScratchSize: 0
; MemoryBound: 0
; FloatMode: 240
; IeeeMode: 1
; LDSByteSize: 0 bytes/workgroup (compile time only)
; SGPRBlocks: 0
; VGPRBlocks: 0
; NumSGPRsForWavesPerEU: 4
; NumVGPRsForWavesPerEU: 1
; AccumOffset: 4
; Occupancy: 8
; WaveLimiterHint : 0
; COMPUTE_PGM_RSRC2:SCRATCH_EN: 0
; COMPUTE_PGM_RSRC2:USER_SGPR: 6
; COMPUTE_PGM_RSRC2:TRAP_HANDLER: 0
; COMPUTE_PGM_RSRC2:TGID_X_EN: 1
; COMPUTE_PGM_RSRC2:TGID_Y_EN: 0
; COMPUTE_PGM_RSRC2:TGID_Z_EN: 0
; COMPUTE_PGM_RSRC2:TIDIG_COMP_CNT: 0
; COMPUTE_PGM_RSRC3_GFX90A:ACCUM_OFFSET: 0
; COMPUTE_PGM_RSRC3_GFX90A:TG_SPLIT: 0
	.section	.text._ZN7rocprim17ROCPRIM_400000_NS6detail17trampoline_kernelINS0_14default_configENS1_25partition_config_selectorILNS1_17partition_subalgoE0EtNS0_10empty_typeEbEEZZNS1_14partition_implILS5_0ELb0ES3_jN6thrust23THRUST_200600_302600_NS6detail15normal_iteratorINSA_10device_ptrItEEEEPS6_SG_NS0_5tupleIJSF_NSA_16discard_iteratorINSA_11use_defaultEEEEEENSH_IJSG_SG_EEES6_PlJ7is_evenItEEEE10hipError_tPvRmT3_T4_T5_T6_T7_T9_mT8_P12ihipStream_tbDpT10_ENKUlT_T0_E_clISt17integral_constantIbLb1EES18_IbLb0EEEEDaS14_S15_EUlS14_E_NS1_11comp_targetILNS1_3genE2ELNS1_11target_archE906ELNS1_3gpuE6ELNS1_3repE0EEENS1_30default_config_static_selectorELNS0_4arch9wavefront6targetE1EEEvT1_,"axG",@progbits,_ZN7rocprim17ROCPRIM_400000_NS6detail17trampoline_kernelINS0_14default_configENS1_25partition_config_selectorILNS1_17partition_subalgoE0EtNS0_10empty_typeEbEEZZNS1_14partition_implILS5_0ELb0ES3_jN6thrust23THRUST_200600_302600_NS6detail15normal_iteratorINSA_10device_ptrItEEEEPS6_SG_NS0_5tupleIJSF_NSA_16discard_iteratorINSA_11use_defaultEEEEEENSH_IJSG_SG_EEES6_PlJ7is_evenItEEEE10hipError_tPvRmT3_T4_T5_T6_T7_T9_mT8_P12ihipStream_tbDpT10_ENKUlT_T0_E_clISt17integral_constantIbLb1EES18_IbLb0EEEEDaS14_S15_EUlS14_E_NS1_11comp_targetILNS1_3genE2ELNS1_11target_archE906ELNS1_3gpuE6ELNS1_3repE0EEENS1_30default_config_static_selectorELNS0_4arch9wavefront6targetE1EEEvT1_,comdat
	.protected	_ZN7rocprim17ROCPRIM_400000_NS6detail17trampoline_kernelINS0_14default_configENS1_25partition_config_selectorILNS1_17partition_subalgoE0EtNS0_10empty_typeEbEEZZNS1_14partition_implILS5_0ELb0ES3_jN6thrust23THRUST_200600_302600_NS6detail15normal_iteratorINSA_10device_ptrItEEEEPS6_SG_NS0_5tupleIJSF_NSA_16discard_iteratorINSA_11use_defaultEEEEEENSH_IJSG_SG_EEES6_PlJ7is_evenItEEEE10hipError_tPvRmT3_T4_T5_T6_T7_T9_mT8_P12ihipStream_tbDpT10_ENKUlT_T0_E_clISt17integral_constantIbLb1EES18_IbLb0EEEEDaS14_S15_EUlS14_E_NS1_11comp_targetILNS1_3genE2ELNS1_11target_archE906ELNS1_3gpuE6ELNS1_3repE0EEENS1_30default_config_static_selectorELNS0_4arch9wavefront6targetE1EEEvT1_ ; -- Begin function _ZN7rocprim17ROCPRIM_400000_NS6detail17trampoline_kernelINS0_14default_configENS1_25partition_config_selectorILNS1_17partition_subalgoE0EtNS0_10empty_typeEbEEZZNS1_14partition_implILS5_0ELb0ES3_jN6thrust23THRUST_200600_302600_NS6detail15normal_iteratorINSA_10device_ptrItEEEEPS6_SG_NS0_5tupleIJSF_NSA_16discard_iteratorINSA_11use_defaultEEEEEENSH_IJSG_SG_EEES6_PlJ7is_evenItEEEE10hipError_tPvRmT3_T4_T5_T6_T7_T9_mT8_P12ihipStream_tbDpT10_ENKUlT_T0_E_clISt17integral_constantIbLb1EES18_IbLb0EEEEDaS14_S15_EUlS14_E_NS1_11comp_targetILNS1_3genE2ELNS1_11target_archE906ELNS1_3gpuE6ELNS1_3repE0EEENS1_30default_config_static_selectorELNS0_4arch9wavefront6targetE1EEEvT1_
	.globl	_ZN7rocprim17ROCPRIM_400000_NS6detail17trampoline_kernelINS0_14default_configENS1_25partition_config_selectorILNS1_17partition_subalgoE0EtNS0_10empty_typeEbEEZZNS1_14partition_implILS5_0ELb0ES3_jN6thrust23THRUST_200600_302600_NS6detail15normal_iteratorINSA_10device_ptrItEEEEPS6_SG_NS0_5tupleIJSF_NSA_16discard_iteratorINSA_11use_defaultEEEEEENSH_IJSG_SG_EEES6_PlJ7is_evenItEEEE10hipError_tPvRmT3_T4_T5_T6_T7_T9_mT8_P12ihipStream_tbDpT10_ENKUlT_T0_E_clISt17integral_constantIbLb1EES18_IbLb0EEEEDaS14_S15_EUlS14_E_NS1_11comp_targetILNS1_3genE2ELNS1_11target_archE906ELNS1_3gpuE6ELNS1_3repE0EEENS1_30default_config_static_selectorELNS0_4arch9wavefront6targetE1EEEvT1_
	.p2align	8
	.type	_ZN7rocprim17ROCPRIM_400000_NS6detail17trampoline_kernelINS0_14default_configENS1_25partition_config_selectorILNS1_17partition_subalgoE0EtNS0_10empty_typeEbEEZZNS1_14partition_implILS5_0ELb0ES3_jN6thrust23THRUST_200600_302600_NS6detail15normal_iteratorINSA_10device_ptrItEEEEPS6_SG_NS0_5tupleIJSF_NSA_16discard_iteratorINSA_11use_defaultEEEEEENSH_IJSG_SG_EEES6_PlJ7is_evenItEEEE10hipError_tPvRmT3_T4_T5_T6_T7_T9_mT8_P12ihipStream_tbDpT10_ENKUlT_T0_E_clISt17integral_constantIbLb1EES18_IbLb0EEEEDaS14_S15_EUlS14_E_NS1_11comp_targetILNS1_3genE2ELNS1_11target_archE906ELNS1_3gpuE6ELNS1_3repE0EEENS1_30default_config_static_selectorELNS0_4arch9wavefront6targetE1EEEvT1_,@function
_ZN7rocprim17ROCPRIM_400000_NS6detail17trampoline_kernelINS0_14default_configENS1_25partition_config_selectorILNS1_17partition_subalgoE0EtNS0_10empty_typeEbEEZZNS1_14partition_implILS5_0ELb0ES3_jN6thrust23THRUST_200600_302600_NS6detail15normal_iteratorINSA_10device_ptrItEEEEPS6_SG_NS0_5tupleIJSF_NSA_16discard_iteratorINSA_11use_defaultEEEEEENSH_IJSG_SG_EEES6_PlJ7is_evenItEEEE10hipError_tPvRmT3_T4_T5_T6_T7_T9_mT8_P12ihipStream_tbDpT10_ENKUlT_T0_E_clISt17integral_constantIbLb1EES18_IbLb0EEEEDaS14_S15_EUlS14_E_NS1_11comp_targetILNS1_3genE2ELNS1_11target_archE906ELNS1_3gpuE6ELNS1_3repE0EEENS1_30default_config_static_selectorELNS0_4arch9wavefront6targetE1EEEvT1_: ; @_ZN7rocprim17ROCPRIM_400000_NS6detail17trampoline_kernelINS0_14default_configENS1_25partition_config_selectorILNS1_17partition_subalgoE0EtNS0_10empty_typeEbEEZZNS1_14partition_implILS5_0ELb0ES3_jN6thrust23THRUST_200600_302600_NS6detail15normal_iteratorINSA_10device_ptrItEEEEPS6_SG_NS0_5tupleIJSF_NSA_16discard_iteratorINSA_11use_defaultEEEEEENSH_IJSG_SG_EEES6_PlJ7is_evenItEEEE10hipError_tPvRmT3_T4_T5_T6_T7_T9_mT8_P12ihipStream_tbDpT10_ENKUlT_T0_E_clISt17integral_constantIbLb1EES18_IbLb0EEEEDaS14_S15_EUlS14_E_NS1_11comp_targetILNS1_3genE2ELNS1_11target_archE906ELNS1_3gpuE6ELNS1_3repE0EEENS1_30default_config_static_selectorELNS0_4arch9wavefront6targetE1EEEvT1_
; %bb.0:
	.section	.rodata,"a",@progbits
	.p2align	6, 0x0
	.amdhsa_kernel _ZN7rocprim17ROCPRIM_400000_NS6detail17trampoline_kernelINS0_14default_configENS1_25partition_config_selectorILNS1_17partition_subalgoE0EtNS0_10empty_typeEbEEZZNS1_14partition_implILS5_0ELb0ES3_jN6thrust23THRUST_200600_302600_NS6detail15normal_iteratorINSA_10device_ptrItEEEEPS6_SG_NS0_5tupleIJSF_NSA_16discard_iteratorINSA_11use_defaultEEEEEENSH_IJSG_SG_EEES6_PlJ7is_evenItEEEE10hipError_tPvRmT3_T4_T5_T6_T7_T9_mT8_P12ihipStream_tbDpT10_ENKUlT_T0_E_clISt17integral_constantIbLb1EES18_IbLb0EEEEDaS14_S15_EUlS14_E_NS1_11comp_targetILNS1_3genE2ELNS1_11target_archE906ELNS1_3gpuE6ELNS1_3repE0EEENS1_30default_config_static_selectorELNS0_4arch9wavefront6targetE1EEEvT1_
		.amdhsa_group_segment_fixed_size 0
		.amdhsa_private_segment_fixed_size 0
		.amdhsa_kernarg_size 128
		.amdhsa_user_sgpr_count 6
		.amdhsa_user_sgpr_private_segment_buffer 1
		.amdhsa_user_sgpr_dispatch_ptr 0
		.amdhsa_user_sgpr_queue_ptr 0
		.amdhsa_user_sgpr_kernarg_segment_ptr 1
		.amdhsa_user_sgpr_dispatch_id 0
		.amdhsa_user_sgpr_flat_scratch_init 0
		.amdhsa_user_sgpr_kernarg_preload_length 0
		.amdhsa_user_sgpr_kernarg_preload_offset 0
		.amdhsa_user_sgpr_private_segment_size 0
		.amdhsa_uses_dynamic_stack 0
		.amdhsa_system_sgpr_private_segment_wavefront_offset 0
		.amdhsa_system_sgpr_workgroup_id_x 1
		.amdhsa_system_sgpr_workgroup_id_y 0
		.amdhsa_system_sgpr_workgroup_id_z 0
		.amdhsa_system_sgpr_workgroup_info 0
		.amdhsa_system_vgpr_workitem_id 0
		.amdhsa_next_free_vgpr 1
		.amdhsa_next_free_sgpr 0
		.amdhsa_accum_offset 4
		.amdhsa_reserve_vcc 0
		.amdhsa_reserve_flat_scratch 0
		.amdhsa_float_round_mode_32 0
		.amdhsa_float_round_mode_16_64 0
		.amdhsa_float_denorm_mode_32 3
		.amdhsa_float_denorm_mode_16_64 3
		.amdhsa_dx10_clamp 1
		.amdhsa_ieee_mode 1
		.amdhsa_fp16_overflow 0
		.amdhsa_tg_split 0
		.amdhsa_exception_fp_ieee_invalid_op 0
		.amdhsa_exception_fp_denorm_src 0
		.amdhsa_exception_fp_ieee_div_zero 0
		.amdhsa_exception_fp_ieee_overflow 0
		.amdhsa_exception_fp_ieee_underflow 0
		.amdhsa_exception_fp_ieee_inexact 0
		.amdhsa_exception_int_div_zero 0
	.end_amdhsa_kernel
	.section	.text._ZN7rocprim17ROCPRIM_400000_NS6detail17trampoline_kernelINS0_14default_configENS1_25partition_config_selectorILNS1_17partition_subalgoE0EtNS0_10empty_typeEbEEZZNS1_14partition_implILS5_0ELb0ES3_jN6thrust23THRUST_200600_302600_NS6detail15normal_iteratorINSA_10device_ptrItEEEEPS6_SG_NS0_5tupleIJSF_NSA_16discard_iteratorINSA_11use_defaultEEEEEENSH_IJSG_SG_EEES6_PlJ7is_evenItEEEE10hipError_tPvRmT3_T4_T5_T6_T7_T9_mT8_P12ihipStream_tbDpT10_ENKUlT_T0_E_clISt17integral_constantIbLb1EES18_IbLb0EEEEDaS14_S15_EUlS14_E_NS1_11comp_targetILNS1_3genE2ELNS1_11target_archE906ELNS1_3gpuE6ELNS1_3repE0EEENS1_30default_config_static_selectorELNS0_4arch9wavefront6targetE1EEEvT1_,"axG",@progbits,_ZN7rocprim17ROCPRIM_400000_NS6detail17trampoline_kernelINS0_14default_configENS1_25partition_config_selectorILNS1_17partition_subalgoE0EtNS0_10empty_typeEbEEZZNS1_14partition_implILS5_0ELb0ES3_jN6thrust23THRUST_200600_302600_NS6detail15normal_iteratorINSA_10device_ptrItEEEEPS6_SG_NS0_5tupleIJSF_NSA_16discard_iteratorINSA_11use_defaultEEEEEENSH_IJSG_SG_EEES6_PlJ7is_evenItEEEE10hipError_tPvRmT3_T4_T5_T6_T7_T9_mT8_P12ihipStream_tbDpT10_ENKUlT_T0_E_clISt17integral_constantIbLb1EES18_IbLb0EEEEDaS14_S15_EUlS14_E_NS1_11comp_targetILNS1_3genE2ELNS1_11target_archE906ELNS1_3gpuE6ELNS1_3repE0EEENS1_30default_config_static_selectorELNS0_4arch9wavefront6targetE1EEEvT1_,comdat
.Lfunc_end2543:
	.size	_ZN7rocprim17ROCPRIM_400000_NS6detail17trampoline_kernelINS0_14default_configENS1_25partition_config_selectorILNS1_17partition_subalgoE0EtNS0_10empty_typeEbEEZZNS1_14partition_implILS5_0ELb0ES3_jN6thrust23THRUST_200600_302600_NS6detail15normal_iteratorINSA_10device_ptrItEEEEPS6_SG_NS0_5tupleIJSF_NSA_16discard_iteratorINSA_11use_defaultEEEEEENSH_IJSG_SG_EEES6_PlJ7is_evenItEEEE10hipError_tPvRmT3_T4_T5_T6_T7_T9_mT8_P12ihipStream_tbDpT10_ENKUlT_T0_E_clISt17integral_constantIbLb1EES18_IbLb0EEEEDaS14_S15_EUlS14_E_NS1_11comp_targetILNS1_3genE2ELNS1_11target_archE906ELNS1_3gpuE6ELNS1_3repE0EEENS1_30default_config_static_selectorELNS0_4arch9wavefront6targetE1EEEvT1_, .Lfunc_end2543-_ZN7rocprim17ROCPRIM_400000_NS6detail17trampoline_kernelINS0_14default_configENS1_25partition_config_selectorILNS1_17partition_subalgoE0EtNS0_10empty_typeEbEEZZNS1_14partition_implILS5_0ELb0ES3_jN6thrust23THRUST_200600_302600_NS6detail15normal_iteratorINSA_10device_ptrItEEEEPS6_SG_NS0_5tupleIJSF_NSA_16discard_iteratorINSA_11use_defaultEEEEEENSH_IJSG_SG_EEES6_PlJ7is_evenItEEEE10hipError_tPvRmT3_T4_T5_T6_T7_T9_mT8_P12ihipStream_tbDpT10_ENKUlT_T0_E_clISt17integral_constantIbLb1EES18_IbLb0EEEEDaS14_S15_EUlS14_E_NS1_11comp_targetILNS1_3genE2ELNS1_11target_archE906ELNS1_3gpuE6ELNS1_3repE0EEENS1_30default_config_static_selectorELNS0_4arch9wavefront6targetE1EEEvT1_
                                        ; -- End function
	.section	.AMDGPU.csdata,"",@progbits
; Kernel info:
; codeLenInByte = 0
; NumSgprs: 4
; NumVgprs: 0
; NumAgprs: 0
; TotalNumVgprs: 0
; ScratchSize: 0
; MemoryBound: 0
; FloatMode: 240
; IeeeMode: 1
; LDSByteSize: 0 bytes/workgroup (compile time only)
; SGPRBlocks: 0
; VGPRBlocks: 0
; NumSGPRsForWavesPerEU: 4
; NumVGPRsForWavesPerEU: 1
; AccumOffset: 4
; Occupancy: 8
; WaveLimiterHint : 0
; COMPUTE_PGM_RSRC2:SCRATCH_EN: 0
; COMPUTE_PGM_RSRC2:USER_SGPR: 6
; COMPUTE_PGM_RSRC2:TRAP_HANDLER: 0
; COMPUTE_PGM_RSRC2:TGID_X_EN: 1
; COMPUTE_PGM_RSRC2:TGID_Y_EN: 0
; COMPUTE_PGM_RSRC2:TGID_Z_EN: 0
; COMPUTE_PGM_RSRC2:TIDIG_COMP_CNT: 0
; COMPUTE_PGM_RSRC3_GFX90A:ACCUM_OFFSET: 0
; COMPUTE_PGM_RSRC3_GFX90A:TG_SPLIT: 0
	.section	.text._ZN7rocprim17ROCPRIM_400000_NS6detail17trampoline_kernelINS0_14default_configENS1_25partition_config_selectorILNS1_17partition_subalgoE0EtNS0_10empty_typeEbEEZZNS1_14partition_implILS5_0ELb0ES3_jN6thrust23THRUST_200600_302600_NS6detail15normal_iteratorINSA_10device_ptrItEEEEPS6_SG_NS0_5tupleIJSF_NSA_16discard_iteratorINSA_11use_defaultEEEEEENSH_IJSG_SG_EEES6_PlJ7is_evenItEEEE10hipError_tPvRmT3_T4_T5_T6_T7_T9_mT8_P12ihipStream_tbDpT10_ENKUlT_T0_E_clISt17integral_constantIbLb1EES18_IbLb0EEEEDaS14_S15_EUlS14_E_NS1_11comp_targetILNS1_3genE10ELNS1_11target_archE1200ELNS1_3gpuE4ELNS1_3repE0EEENS1_30default_config_static_selectorELNS0_4arch9wavefront6targetE1EEEvT1_,"axG",@progbits,_ZN7rocprim17ROCPRIM_400000_NS6detail17trampoline_kernelINS0_14default_configENS1_25partition_config_selectorILNS1_17partition_subalgoE0EtNS0_10empty_typeEbEEZZNS1_14partition_implILS5_0ELb0ES3_jN6thrust23THRUST_200600_302600_NS6detail15normal_iteratorINSA_10device_ptrItEEEEPS6_SG_NS0_5tupleIJSF_NSA_16discard_iteratorINSA_11use_defaultEEEEEENSH_IJSG_SG_EEES6_PlJ7is_evenItEEEE10hipError_tPvRmT3_T4_T5_T6_T7_T9_mT8_P12ihipStream_tbDpT10_ENKUlT_T0_E_clISt17integral_constantIbLb1EES18_IbLb0EEEEDaS14_S15_EUlS14_E_NS1_11comp_targetILNS1_3genE10ELNS1_11target_archE1200ELNS1_3gpuE4ELNS1_3repE0EEENS1_30default_config_static_selectorELNS0_4arch9wavefront6targetE1EEEvT1_,comdat
	.protected	_ZN7rocprim17ROCPRIM_400000_NS6detail17trampoline_kernelINS0_14default_configENS1_25partition_config_selectorILNS1_17partition_subalgoE0EtNS0_10empty_typeEbEEZZNS1_14partition_implILS5_0ELb0ES3_jN6thrust23THRUST_200600_302600_NS6detail15normal_iteratorINSA_10device_ptrItEEEEPS6_SG_NS0_5tupleIJSF_NSA_16discard_iteratorINSA_11use_defaultEEEEEENSH_IJSG_SG_EEES6_PlJ7is_evenItEEEE10hipError_tPvRmT3_T4_T5_T6_T7_T9_mT8_P12ihipStream_tbDpT10_ENKUlT_T0_E_clISt17integral_constantIbLb1EES18_IbLb0EEEEDaS14_S15_EUlS14_E_NS1_11comp_targetILNS1_3genE10ELNS1_11target_archE1200ELNS1_3gpuE4ELNS1_3repE0EEENS1_30default_config_static_selectorELNS0_4arch9wavefront6targetE1EEEvT1_ ; -- Begin function _ZN7rocprim17ROCPRIM_400000_NS6detail17trampoline_kernelINS0_14default_configENS1_25partition_config_selectorILNS1_17partition_subalgoE0EtNS0_10empty_typeEbEEZZNS1_14partition_implILS5_0ELb0ES3_jN6thrust23THRUST_200600_302600_NS6detail15normal_iteratorINSA_10device_ptrItEEEEPS6_SG_NS0_5tupleIJSF_NSA_16discard_iteratorINSA_11use_defaultEEEEEENSH_IJSG_SG_EEES6_PlJ7is_evenItEEEE10hipError_tPvRmT3_T4_T5_T6_T7_T9_mT8_P12ihipStream_tbDpT10_ENKUlT_T0_E_clISt17integral_constantIbLb1EES18_IbLb0EEEEDaS14_S15_EUlS14_E_NS1_11comp_targetILNS1_3genE10ELNS1_11target_archE1200ELNS1_3gpuE4ELNS1_3repE0EEENS1_30default_config_static_selectorELNS0_4arch9wavefront6targetE1EEEvT1_
	.globl	_ZN7rocprim17ROCPRIM_400000_NS6detail17trampoline_kernelINS0_14default_configENS1_25partition_config_selectorILNS1_17partition_subalgoE0EtNS0_10empty_typeEbEEZZNS1_14partition_implILS5_0ELb0ES3_jN6thrust23THRUST_200600_302600_NS6detail15normal_iteratorINSA_10device_ptrItEEEEPS6_SG_NS0_5tupleIJSF_NSA_16discard_iteratorINSA_11use_defaultEEEEEENSH_IJSG_SG_EEES6_PlJ7is_evenItEEEE10hipError_tPvRmT3_T4_T5_T6_T7_T9_mT8_P12ihipStream_tbDpT10_ENKUlT_T0_E_clISt17integral_constantIbLb1EES18_IbLb0EEEEDaS14_S15_EUlS14_E_NS1_11comp_targetILNS1_3genE10ELNS1_11target_archE1200ELNS1_3gpuE4ELNS1_3repE0EEENS1_30default_config_static_selectorELNS0_4arch9wavefront6targetE1EEEvT1_
	.p2align	8
	.type	_ZN7rocprim17ROCPRIM_400000_NS6detail17trampoline_kernelINS0_14default_configENS1_25partition_config_selectorILNS1_17partition_subalgoE0EtNS0_10empty_typeEbEEZZNS1_14partition_implILS5_0ELb0ES3_jN6thrust23THRUST_200600_302600_NS6detail15normal_iteratorINSA_10device_ptrItEEEEPS6_SG_NS0_5tupleIJSF_NSA_16discard_iteratorINSA_11use_defaultEEEEEENSH_IJSG_SG_EEES6_PlJ7is_evenItEEEE10hipError_tPvRmT3_T4_T5_T6_T7_T9_mT8_P12ihipStream_tbDpT10_ENKUlT_T0_E_clISt17integral_constantIbLb1EES18_IbLb0EEEEDaS14_S15_EUlS14_E_NS1_11comp_targetILNS1_3genE10ELNS1_11target_archE1200ELNS1_3gpuE4ELNS1_3repE0EEENS1_30default_config_static_selectorELNS0_4arch9wavefront6targetE1EEEvT1_,@function
_ZN7rocprim17ROCPRIM_400000_NS6detail17trampoline_kernelINS0_14default_configENS1_25partition_config_selectorILNS1_17partition_subalgoE0EtNS0_10empty_typeEbEEZZNS1_14partition_implILS5_0ELb0ES3_jN6thrust23THRUST_200600_302600_NS6detail15normal_iteratorINSA_10device_ptrItEEEEPS6_SG_NS0_5tupleIJSF_NSA_16discard_iteratorINSA_11use_defaultEEEEEENSH_IJSG_SG_EEES6_PlJ7is_evenItEEEE10hipError_tPvRmT3_T4_T5_T6_T7_T9_mT8_P12ihipStream_tbDpT10_ENKUlT_T0_E_clISt17integral_constantIbLb1EES18_IbLb0EEEEDaS14_S15_EUlS14_E_NS1_11comp_targetILNS1_3genE10ELNS1_11target_archE1200ELNS1_3gpuE4ELNS1_3repE0EEENS1_30default_config_static_selectorELNS0_4arch9wavefront6targetE1EEEvT1_: ; @_ZN7rocprim17ROCPRIM_400000_NS6detail17trampoline_kernelINS0_14default_configENS1_25partition_config_selectorILNS1_17partition_subalgoE0EtNS0_10empty_typeEbEEZZNS1_14partition_implILS5_0ELb0ES3_jN6thrust23THRUST_200600_302600_NS6detail15normal_iteratorINSA_10device_ptrItEEEEPS6_SG_NS0_5tupleIJSF_NSA_16discard_iteratorINSA_11use_defaultEEEEEENSH_IJSG_SG_EEES6_PlJ7is_evenItEEEE10hipError_tPvRmT3_T4_T5_T6_T7_T9_mT8_P12ihipStream_tbDpT10_ENKUlT_T0_E_clISt17integral_constantIbLb1EES18_IbLb0EEEEDaS14_S15_EUlS14_E_NS1_11comp_targetILNS1_3genE10ELNS1_11target_archE1200ELNS1_3gpuE4ELNS1_3repE0EEENS1_30default_config_static_selectorELNS0_4arch9wavefront6targetE1EEEvT1_
; %bb.0:
	.section	.rodata,"a",@progbits
	.p2align	6, 0x0
	.amdhsa_kernel _ZN7rocprim17ROCPRIM_400000_NS6detail17trampoline_kernelINS0_14default_configENS1_25partition_config_selectorILNS1_17partition_subalgoE0EtNS0_10empty_typeEbEEZZNS1_14partition_implILS5_0ELb0ES3_jN6thrust23THRUST_200600_302600_NS6detail15normal_iteratorINSA_10device_ptrItEEEEPS6_SG_NS0_5tupleIJSF_NSA_16discard_iteratorINSA_11use_defaultEEEEEENSH_IJSG_SG_EEES6_PlJ7is_evenItEEEE10hipError_tPvRmT3_T4_T5_T6_T7_T9_mT8_P12ihipStream_tbDpT10_ENKUlT_T0_E_clISt17integral_constantIbLb1EES18_IbLb0EEEEDaS14_S15_EUlS14_E_NS1_11comp_targetILNS1_3genE10ELNS1_11target_archE1200ELNS1_3gpuE4ELNS1_3repE0EEENS1_30default_config_static_selectorELNS0_4arch9wavefront6targetE1EEEvT1_
		.amdhsa_group_segment_fixed_size 0
		.amdhsa_private_segment_fixed_size 0
		.amdhsa_kernarg_size 128
		.amdhsa_user_sgpr_count 6
		.amdhsa_user_sgpr_private_segment_buffer 1
		.amdhsa_user_sgpr_dispatch_ptr 0
		.amdhsa_user_sgpr_queue_ptr 0
		.amdhsa_user_sgpr_kernarg_segment_ptr 1
		.amdhsa_user_sgpr_dispatch_id 0
		.amdhsa_user_sgpr_flat_scratch_init 0
		.amdhsa_user_sgpr_kernarg_preload_length 0
		.amdhsa_user_sgpr_kernarg_preload_offset 0
		.amdhsa_user_sgpr_private_segment_size 0
		.amdhsa_uses_dynamic_stack 0
		.amdhsa_system_sgpr_private_segment_wavefront_offset 0
		.amdhsa_system_sgpr_workgroup_id_x 1
		.amdhsa_system_sgpr_workgroup_id_y 0
		.amdhsa_system_sgpr_workgroup_id_z 0
		.amdhsa_system_sgpr_workgroup_info 0
		.amdhsa_system_vgpr_workitem_id 0
		.amdhsa_next_free_vgpr 1
		.amdhsa_next_free_sgpr 0
		.amdhsa_accum_offset 4
		.amdhsa_reserve_vcc 0
		.amdhsa_reserve_flat_scratch 0
		.amdhsa_float_round_mode_32 0
		.amdhsa_float_round_mode_16_64 0
		.amdhsa_float_denorm_mode_32 3
		.amdhsa_float_denorm_mode_16_64 3
		.amdhsa_dx10_clamp 1
		.amdhsa_ieee_mode 1
		.amdhsa_fp16_overflow 0
		.amdhsa_tg_split 0
		.amdhsa_exception_fp_ieee_invalid_op 0
		.amdhsa_exception_fp_denorm_src 0
		.amdhsa_exception_fp_ieee_div_zero 0
		.amdhsa_exception_fp_ieee_overflow 0
		.amdhsa_exception_fp_ieee_underflow 0
		.amdhsa_exception_fp_ieee_inexact 0
		.amdhsa_exception_int_div_zero 0
	.end_amdhsa_kernel
	.section	.text._ZN7rocprim17ROCPRIM_400000_NS6detail17trampoline_kernelINS0_14default_configENS1_25partition_config_selectorILNS1_17partition_subalgoE0EtNS0_10empty_typeEbEEZZNS1_14partition_implILS5_0ELb0ES3_jN6thrust23THRUST_200600_302600_NS6detail15normal_iteratorINSA_10device_ptrItEEEEPS6_SG_NS0_5tupleIJSF_NSA_16discard_iteratorINSA_11use_defaultEEEEEENSH_IJSG_SG_EEES6_PlJ7is_evenItEEEE10hipError_tPvRmT3_T4_T5_T6_T7_T9_mT8_P12ihipStream_tbDpT10_ENKUlT_T0_E_clISt17integral_constantIbLb1EES18_IbLb0EEEEDaS14_S15_EUlS14_E_NS1_11comp_targetILNS1_3genE10ELNS1_11target_archE1200ELNS1_3gpuE4ELNS1_3repE0EEENS1_30default_config_static_selectorELNS0_4arch9wavefront6targetE1EEEvT1_,"axG",@progbits,_ZN7rocprim17ROCPRIM_400000_NS6detail17trampoline_kernelINS0_14default_configENS1_25partition_config_selectorILNS1_17partition_subalgoE0EtNS0_10empty_typeEbEEZZNS1_14partition_implILS5_0ELb0ES3_jN6thrust23THRUST_200600_302600_NS6detail15normal_iteratorINSA_10device_ptrItEEEEPS6_SG_NS0_5tupleIJSF_NSA_16discard_iteratorINSA_11use_defaultEEEEEENSH_IJSG_SG_EEES6_PlJ7is_evenItEEEE10hipError_tPvRmT3_T4_T5_T6_T7_T9_mT8_P12ihipStream_tbDpT10_ENKUlT_T0_E_clISt17integral_constantIbLb1EES18_IbLb0EEEEDaS14_S15_EUlS14_E_NS1_11comp_targetILNS1_3genE10ELNS1_11target_archE1200ELNS1_3gpuE4ELNS1_3repE0EEENS1_30default_config_static_selectorELNS0_4arch9wavefront6targetE1EEEvT1_,comdat
.Lfunc_end2544:
	.size	_ZN7rocprim17ROCPRIM_400000_NS6detail17trampoline_kernelINS0_14default_configENS1_25partition_config_selectorILNS1_17partition_subalgoE0EtNS0_10empty_typeEbEEZZNS1_14partition_implILS5_0ELb0ES3_jN6thrust23THRUST_200600_302600_NS6detail15normal_iteratorINSA_10device_ptrItEEEEPS6_SG_NS0_5tupleIJSF_NSA_16discard_iteratorINSA_11use_defaultEEEEEENSH_IJSG_SG_EEES6_PlJ7is_evenItEEEE10hipError_tPvRmT3_T4_T5_T6_T7_T9_mT8_P12ihipStream_tbDpT10_ENKUlT_T0_E_clISt17integral_constantIbLb1EES18_IbLb0EEEEDaS14_S15_EUlS14_E_NS1_11comp_targetILNS1_3genE10ELNS1_11target_archE1200ELNS1_3gpuE4ELNS1_3repE0EEENS1_30default_config_static_selectorELNS0_4arch9wavefront6targetE1EEEvT1_, .Lfunc_end2544-_ZN7rocprim17ROCPRIM_400000_NS6detail17trampoline_kernelINS0_14default_configENS1_25partition_config_selectorILNS1_17partition_subalgoE0EtNS0_10empty_typeEbEEZZNS1_14partition_implILS5_0ELb0ES3_jN6thrust23THRUST_200600_302600_NS6detail15normal_iteratorINSA_10device_ptrItEEEEPS6_SG_NS0_5tupleIJSF_NSA_16discard_iteratorINSA_11use_defaultEEEEEENSH_IJSG_SG_EEES6_PlJ7is_evenItEEEE10hipError_tPvRmT3_T4_T5_T6_T7_T9_mT8_P12ihipStream_tbDpT10_ENKUlT_T0_E_clISt17integral_constantIbLb1EES18_IbLb0EEEEDaS14_S15_EUlS14_E_NS1_11comp_targetILNS1_3genE10ELNS1_11target_archE1200ELNS1_3gpuE4ELNS1_3repE0EEENS1_30default_config_static_selectorELNS0_4arch9wavefront6targetE1EEEvT1_
                                        ; -- End function
	.section	.AMDGPU.csdata,"",@progbits
; Kernel info:
; codeLenInByte = 0
; NumSgprs: 4
; NumVgprs: 0
; NumAgprs: 0
; TotalNumVgprs: 0
; ScratchSize: 0
; MemoryBound: 0
; FloatMode: 240
; IeeeMode: 1
; LDSByteSize: 0 bytes/workgroup (compile time only)
; SGPRBlocks: 0
; VGPRBlocks: 0
; NumSGPRsForWavesPerEU: 4
; NumVGPRsForWavesPerEU: 1
; AccumOffset: 4
; Occupancy: 8
; WaveLimiterHint : 0
; COMPUTE_PGM_RSRC2:SCRATCH_EN: 0
; COMPUTE_PGM_RSRC2:USER_SGPR: 6
; COMPUTE_PGM_RSRC2:TRAP_HANDLER: 0
; COMPUTE_PGM_RSRC2:TGID_X_EN: 1
; COMPUTE_PGM_RSRC2:TGID_Y_EN: 0
; COMPUTE_PGM_RSRC2:TGID_Z_EN: 0
; COMPUTE_PGM_RSRC2:TIDIG_COMP_CNT: 0
; COMPUTE_PGM_RSRC3_GFX90A:ACCUM_OFFSET: 0
; COMPUTE_PGM_RSRC3_GFX90A:TG_SPLIT: 0
	.section	.text._ZN7rocprim17ROCPRIM_400000_NS6detail17trampoline_kernelINS0_14default_configENS1_25partition_config_selectorILNS1_17partition_subalgoE0EtNS0_10empty_typeEbEEZZNS1_14partition_implILS5_0ELb0ES3_jN6thrust23THRUST_200600_302600_NS6detail15normal_iteratorINSA_10device_ptrItEEEEPS6_SG_NS0_5tupleIJSF_NSA_16discard_iteratorINSA_11use_defaultEEEEEENSH_IJSG_SG_EEES6_PlJ7is_evenItEEEE10hipError_tPvRmT3_T4_T5_T6_T7_T9_mT8_P12ihipStream_tbDpT10_ENKUlT_T0_E_clISt17integral_constantIbLb1EES18_IbLb0EEEEDaS14_S15_EUlS14_E_NS1_11comp_targetILNS1_3genE9ELNS1_11target_archE1100ELNS1_3gpuE3ELNS1_3repE0EEENS1_30default_config_static_selectorELNS0_4arch9wavefront6targetE1EEEvT1_,"axG",@progbits,_ZN7rocprim17ROCPRIM_400000_NS6detail17trampoline_kernelINS0_14default_configENS1_25partition_config_selectorILNS1_17partition_subalgoE0EtNS0_10empty_typeEbEEZZNS1_14partition_implILS5_0ELb0ES3_jN6thrust23THRUST_200600_302600_NS6detail15normal_iteratorINSA_10device_ptrItEEEEPS6_SG_NS0_5tupleIJSF_NSA_16discard_iteratorINSA_11use_defaultEEEEEENSH_IJSG_SG_EEES6_PlJ7is_evenItEEEE10hipError_tPvRmT3_T4_T5_T6_T7_T9_mT8_P12ihipStream_tbDpT10_ENKUlT_T0_E_clISt17integral_constantIbLb1EES18_IbLb0EEEEDaS14_S15_EUlS14_E_NS1_11comp_targetILNS1_3genE9ELNS1_11target_archE1100ELNS1_3gpuE3ELNS1_3repE0EEENS1_30default_config_static_selectorELNS0_4arch9wavefront6targetE1EEEvT1_,comdat
	.protected	_ZN7rocprim17ROCPRIM_400000_NS6detail17trampoline_kernelINS0_14default_configENS1_25partition_config_selectorILNS1_17partition_subalgoE0EtNS0_10empty_typeEbEEZZNS1_14partition_implILS5_0ELb0ES3_jN6thrust23THRUST_200600_302600_NS6detail15normal_iteratorINSA_10device_ptrItEEEEPS6_SG_NS0_5tupleIJSF_NSA_16discard_iteratorINSA_11use_defaultEEEEEENSH_IJSG_SG_EEES6_PlJ7is_evenItEEEE10hipError_tPvRmT3_T4_T5_T6_T7_T9_mT8_P12ihipStream_tbDpT10_ENKUlT_T0_E_clISt17integral_constantIbLb1EES18_IbLb0EEEEDaS14_S15_EUlS14_E_NS1_11comp_targetILNS1_3genE9ELNS1_11target_archE1100ELNS1_3gpuE3ELNS1_3repE0EEENS1_30default_config_static_selectorELNS0_4arch9wavefront6targetE1EEEvT1_ ; -- Begin function _ZN7rocprim17ROCPRIM_400000_NS6detail17trampoline_kernelINS0_14default_configENS1_25partition_config_selectorILNS1_17partition_subalgoE0EtNS0_10empty_typeEbEEZZNS1_14partition_implILS5_0ELb0ES3_jN6thrust23THRUST_200600_302600_NS6detail15normal_iteratorINSA_10device_ptrItEEEEPS6_SG_NS0_5tupleIJSF_NSA_16discard_iteratorINSA_11use_defaultEEEEEENSH_IJSG_SG_EEES6_PlJ7is_evenItEEEE10hipError_tPvRmT3_T4_T5_T6_T7_T9_mT8_P12ihipStream_tbDpT10_ENKUlT_T0_E_clISt17integral_constantIbLb1EES18_IbLb0EEEEDaS14_S15_EUlS14_E_NS1_11comp_targetILNS1_3genE9ELNS1_11target_archE1100ELNS1_3gpuE3ELNS1_3repE0EEENS1_30default_config_static_selectorELNS0_4arch9wavefront6targetE1EEEvT1_
	.globl	_ZN7rocprim17ROCPRIM_400000_NS6detail17trampoline_kernelINS0_14default_configENS1_25partition_config_selectorILNS1_17partition_subalgoE0EtNS0_10empty_typeEbEEZZNS1_14partition_implILS5_0ELb0ES3_jN6thrust23THRUST_200600_302600_NS6detail15normal_iteratorINSA_10device_ptrItEEEEPS6_SG_NS0_5tupleIJSF_NSA_16discard_iteratorINSA_11use_defaultEEEEEENSH_IJSG_SG_EEES6_PlJ7is_evenItEEEE10hipError_tPvRmT3_T4_T5_T6_T7_T9_mT8_P12ihipStream_tbDpT10_ENKUlT_T0_E_clISt17integral_constantIbLb1EES18_IbLb0EEEEDaS14_S15_EUlS14_E_NS1_11comp_targetILNS1_3genE9ELNS1_11target_archE1100ELNS1_3gpuE3ELNS1_3repE0EEENS1_30default_config_static_selectorELNS0_4arch9wavefront6targetE1EEEvT1_
	.p2align	8
	.type	_ZN7rocprim17ROCPRIM_400000_NS6detail17trampoline_kernelINS0_14default_configENS1_25partition_config_selectorILNS1_17partition_subalgoE0EtNS0_10empty_typeEbEEZZNS1_14partition_implILS5_0ELb0ES3_jN6thrust23THRUST_200600_302600_NS6detail15normal_iteratorINSA_10device_ptrItEEEEPS6_SG_NS0_5tupleIJSF_NSA_16discard_iteratorINSA_11use_defaultEEEEEENSH_IJSG_SG_EEES6_PlJ7is_evenItEEEE10hipError_tPvRmT3_T4_T5_T6_T7_T9_mT8_P12ihipStream_tbDpT10_ENKUlT_T0_E_clISt17integral_constantIbLb1EES18_IbLb0EEEEDaS14_S15_EUlS14_E_NS1_11comp_targetILNS1_3genE9ELNS1_11target_archE1100ELNS1_3gpuE3ELNS1_3repE0EEENS1_30default_config_static_selectorELNS0_4arch9wavefront6targetE1EEEvT1_,@function
_ZN7rocprim17ROCPRIM_400000_NS6detail17trampoline_kernelINS0_14default_configENS1_25partition_config_selectorILNS1_17partition_subalgoE0EtNS0_10empty_typeEbEEZZNS1_14partition_implILS5_0ELb0ES3_jN6thrust23THRUST_200600_302600_NS6detail15normal_iteratorINSA_10device_ptrItEEEEPS6_SG_NS0_5tupleIJSF_NSA_16discard_iteratorINSA_11use_defaultEEEEEENSH_IJSG_SG_EEES6_PlJ7is_evenItEEEE10hipError_tPvRmT3_T4_T5_T6_T7_T9_mT8_P12ihipStream_tbDpT10_ENKUlT_T0_E_clISt17integral_constantIbLb1EES18_IbLb0EEEEDaS14_S15_EUlS14_E_NS1_11comp_targetILNS1_3genE9ELNS1_11target_archE1100ELNS1_3gpuE3ELNS1_3repE0EEENS1_30default_config_static_selectorELNS0_4arch9wavefront6targetE1EEEvT1_: ; @_ZN7rocprim17ROCPRIM_400000_NS6detail17trampoline_kernelINS0_14default_configENS1_25partition_config_selectorILNS1_17partition_subalgoE0EtNS0_10empty_typeEbEEZZNS1_14partition_implILS5_0ELb0ES3_jN6thrust23THRUST_200600_302600_NS6detail15normal_iteratorINSA_10device_ptrItEEEEPS6_SG_NS0_5tupleIJSF_NSA_16discard_iteratorINSA_11use_defaultEEEEEENSH_IJSG_SG_EEES6_PlJ7is_evenItEEEE10hipError_tPvRmT3_T4_T5_T6_T7_T9_mT8_P12ihipStream_tbDpT10_ENKUlT_T0_E_clISt17integral_constantIbLb1EES18_IbLb0EEEEDaS14_S15_EUlS14_E_NS1_11comp_targetILNS1_3genE9ELNS1_11target_archE1100ELNS1_3gpuE3ELNS1_3repE0EEENS1_30default_config_static_selectorELNS0_4arch9wavefront6targetE1EEEvT1_
; %bb.0:
	.section	.rodata,"a",@progbits
	.p2align	6, 0x0
	.amdhsa_kernel _ZN7rocprim17ROCPRIM_400000_NS6detail17trampoline_kernelINS0_14default_configENS1_25partition_config_selectorILNS1_17partition_subalgoE0EtNS0_10empty_typeEbEEZZNS1_14partition_implILS5_0ELb0ES3_jN6thrust23THRUST_200600_302600_NS6detail15normal_iteratorINSA_10device_ptrItEEEEPS6_SG_NS0_5tupleIJSF_NSA_16discard_iteratorINSA_11use_defaultEEEEEENSH_IJSG_SG_EEES6_PlJ7is_evenItEEEE10hipError_tPvRmT3_T4_T5_T6_T7_T9_mT8_P12ihipStream_tbDpT10_ENKUlT_T0_E_clISt17integral_constantIbLb1EES18_IbLb0EEEEDaS14_S15_EUlS14_E_NS1_11comp_targetILNS1_3genE9ELNS1_11target_archE1100ELNS1_3gpuE3ELNS1_3repE0EEENS1_30default_config_static_selectorELNS0_4arch9wavefront6targetE1EEEvT1_
		.amdhsa_group_segment_fixed_size 0
		.amdhsa_private_segment_fixed_size 0
		.amdhsa_kernarg_size 128
		.amdhsa_user_sgpr_count 6
		.amdhsa_user_sgpr_private_segment_buffer 1
		.amdhsa_user_sgpr_dispatch_ptr 0
		.amdhsa_user_sgpr_queue_ptr 0
		.amdhsa_user_sgpr_kernarg_segment_ptr 1
		.amdhsa_user_sgpr_dispatch_id 0
		.amdhsa_user_sgpr_flat_scratch_init 0
		.amdhsa_user_sgpr_kernarg_preload_length 0
		.amdhsa_user_sgpr_kernarg_preload_offset 0
		.amdhsa_user_sgpr_private_segment_size 0
		.amdhsa_uses_dynamic_stack 0
		.amdhsa_system_sgpr_private_segment_wavefront_offset 0
		.amdhsa_system_sgpr_workgroup_id_x 1
		.amdhsa_system_sgpr_workgroup_id_y 0
		.amdhsa_system_sgpr_workgroup_id_z 0
		.amdhsa_system_sgpr_workgroup_info 0
		.amdhsa_system_vgpr_workitem_id 0
		.amdhsa_next_free_vgpr 1
		.amdhsa_next_free_sgpr 0
		.amdhsa_accum_offset 4
		.amdhsa_reserve_vcc 0
		.amdhsa_reserve_flat_scratch 0
		.amdhsa_float_round_mode_32 0
		.amdhsa_float_round_mode_16_64 0
		.amdhsa_float_denorm_mode_32 3
		.amdhsa_float_denorm_mode_16_64 3
		.amdhsa_dx10_clamp 1
		.amdhsa_ieee_mode 1
		.amdhsa_fp16_overflow 0
		.amdhsa_tg_split 0
		.amdhsa_exception_fp_ieee_invalid_op 0
		.amdhsa_exception_fp_denorm_src 0
		.amdhsa_exception_fp_ieee_div_zero 0
		.amdhsa_exception_fp_ieee_overflow 0
		.amdhsa_exception_fp_ieee_underflow 0
		.amdhsa_exception_fp_ieee_inexact 0
		.amdhsa_exception_int_div_zero 0
	.end_amdhsa_kernel
	.section	.text._ZN7rocprim17ROCPRIM_400000_NS6detail17trampoline_kernelINS0_14default_configENS1_25partition_config_selectorILNS1_17partition_subalgoE0EtNS0_10empty_typeEbEEZZNS1_14partition_implILS5_0ELb0ES3_jN6thrust23THRUST_200600_302600_NS6detail15normal_iteratorINSA_10device_ptrItEEEEPS6_SG_NS0_5tupleIJSF_NSA_16discard_iteratorINSA_11use_defaultEEEEEENSH_IJSG_SG_EEES6_PlJ7is_evenItEEEE10hipError_tPvRmT3_T4_T5_T6_T7_T9_mT8_P12ihipStream_tbDpT10_ENKUlT_T0_E_clISt17integral_constantIbLb1EES18_IbLb0EEEEDaS14_S15_EUlS14_E_NS1_11comp_targetILNS1_3genE9ELNS1_11target_archE1100ELNS1_3gpuE3ELNS1_3repE0EEENS1_30default_config_static_selectorELNS0_4arch9wavefront6targetE1EEEvT1_,"axG",@progbits,_ZN7rocprim17ROCPRIM_400000_NS6detail17trampoline_kernelINS0_14default_configENS1_25partition_config_selectorILNS1_17partition_subalgoE0EtNS0_10empty_typeEbEEZZNS1_14partition_implILS5_0ELb0ES3_jN6thrust23THRUST_200600_302600_NS6detail15normal_iteratorINSA_10device_ptrItEEEEPS6_SG_NS0_5tupleIJSF_NSA_16discard_iteratorINSA_11use_defaultEEEEEENSH_IJSG_SG_EEES6_PlJ7is_evenItEEEE10hipError_tPvRmT3_T4_T5_T6_T7_T9_mT8_P12ihipStream_tbDpT10_ENKUlT_T0_E_clISt17integral_constantIbLb1EES18_IbLb0EEEEDaS14_S15_EUlS14_E_NS1_11comp_targetILNS1_3genE9ELNS1_11target_archE1100ELNS1_3gpuE3ELNS1_3repE0EEENS1_30default_config_static_selectorELNS0_4arch9wavefront6targetE1EEEvT1_,comdat
.Lfunc_end2545:
	.size	_ZN7rocprim17ROCPRIM_400000_NS6detail17trampoline_kernelINS0_14default_configENS1_25partition_config_selectorILNS1_17partition_subalgoE0EtNS0_10empty_typeEbEEZZNS1_14partition_implILS5_0ELb0ES3_jN6thrust23THRUST_200600_302600_NS6detail15normal_iteratorINSA_10device_ptrItEEEEPS6_SG_NS0_5tupleIJSF_NSA_16discard_iteratorINSA_11use_defaultEEEEEENSH_IJSG_SG_EEES6_PlJ7is_evenItEEEE10hipError_tPvRmT3_T4_T5_T6_T7_T9_mT8_P12ihipStream_tbDpT10_ENKUlT_T0_E_clISt17integral_constantIbLb1EES18_IbLb0EEEEDaS14_S15_EUlS14_E_NS1_11comp_targetILNS1_3genE9ELNS1_11target_archE1100ELNS1_3gpuE3ELNS1_3repE0EEENS1_30default_config_static_selectorELNS0_4arch9wavefront6targetE1EEEvT1_, .Lfunc_end2545-_ZN7rocprim17ROCPRIM_400000_NS6detail17trampoline_kernelINS0_14default_configENS1_25partition_config_selectorILNS1_17partition_subalgoE0EtNS0_10empty_typeEbEEZZNS1_14partition_implILS5_0ELb0ES3_jN6thrust23THRUST_200600_302600_NS6detail15normal_iteratorINSA_10device_ptrItEEEEPS6_SG_NS0_5tupleIJSF_NSA_16discard_iteratorINSA_11use_defaultEEEEEENSH_IJSG_SG_EEES6_PlJ7is_evenItEEEE10hipError_tPvRmT3_T4_T5_T6_T7_T9_mT8_P12ihipStream_tbDpT10_ENKUlT_T0_E_clISt17integral_constantIbLb1EES18_IbLb0EEEEDaS14_S15_EUlS14_E_NS1_11comp_targetILNS1_3genE9ELNS1_11target_archE1100ELNS1_3gpuE3ELNS1_3repE0EEENS1_30default_config_static_selectorELNS0_4arch9wavefront6targetE1EEEvT1_
                                        ; -- End function
	.section	.AMDGPU.csdata,"",@progbits
; Kernel info:
; codeLenInByte = 0
; NumSgprs: 4
; NumVgprs: 0
; NumAgprs: 0
; TotalNumVgprs: 0
; ScratchSize: 0
; MemoryBound: 0
; FloatMode: 240
; IeeeMode: 1
; LDSByteSize: 0 bytes/workgroup (compile time only)
; SGPRBlocks: 0
; VGPRBlocks: 0
; NumSGPRsForWavesPerEU: 4
; NumVGPRsForWavesPerEU: 1
; AccumOffset: 4
; Occupancy: 8
; WaveLimiterHint : 0
; COMPUTE_PGM_RSRC2:SCRATCH_EN: 0
; COMPUTE_PGM_RSRC2:USER_SGPR: 6
; COMPUTE_PGM_RSRC2:TRAP_HANDLER: 0
; COMPUTE_PGM_RSRC2:TGID_X_EN: 1
; COMPUTE_PGM_RSRC2:TGID_Y_EN: 0
; COMPUTE_PGM_RSRC2:TGID_Z_EN: 0
; COMPUTE_PGM_RSRC2:TIDIG_COMP_CNT: 0
; COMPUTE_PGM_RSRC3_GFX90A:ACCUM_OFFSET: 0
; COMPUTE_PGM_RSRC3_GFX90A:TG_SPLIT: 0
	.section	.text._ZN7rocprim17ROCPRIM_400000_NS6detail17trampoline_kernelINS0_14default_configENS1_25partition_config_selectorILNS1_17partition_subalgoE0EtNS0_10empty_typeEbEEZZNS1_14partition_implILS5_0ELb0ES3_jN6thrust23THRUST_200600_302600_NS6detail15normal_iteratorINSA_10device_ptrItEEEEPS6_SG_NS0_5tupleIJSF_NSA_16discard_iteratorINSA_11use_defaultEEEEEENSH_IJSG_SG_EEES6_PlJ7is_evenItEEEE10hipError_tPvRmT3_T4_T5_T6_T7_T9_mT8_P12ihipStream_tbDpT10_ENKUlT_T0_E_clISt17integral_constantIbLb1EES18_IbLb0EEEEDaS14_S15_EUlS14_E_NS1_11comp_targetILNS1_3genE8ELNS1_11target_archE1030ELNS1_3gpuE2ELNS1_3repE0EEENS1_30default_config_static_selectorELNS0_4arch9wavefront6targetE1EEEvT1_,"axG",@progbits,_ZN7rocprim17ROCPRIM_400000_NS6detail17trampoline_kernelINS0_14default_configENS1_25partition_config_selectorILNS1_17partition_subalgoE0EtNS0_10empty_typeEbEEZZNS1_14partition_implILS5_0ELb0ES3_jN6thrust23THRUST_200600_302600_NS6detail15normal_iteratorINSA_10device_ptrItEEEEPS6_SG_NS0_5tupleIJSF_NSA_16discard_iteratorINSA_11use_defaultEEEEEENSH_IJSG_SG_EEES6_PlJ7is_evenItEEEE10hipError_tPvRmT3_T4_T5_T6_T7_T9_mT8_P12ihipStream_tbDpT10_ENKUlT_T0_E_clISt17integral_constantIbLb1EES18_IbLb0EEEEDaS14_S15_EUlS14_E_NS1_11comp_targetILNS1_3genE8ELNS1_11target_archE1030ELNS1_3gpuE2ELNS1_3repE0EEENS1_30default_config_static_selectorELNS0_4arch9wavefront6targetE1EEEvT1_,comdat
	.protected	_ZN7rocprim17ROCPRIM_400000_NS6detail17trampoline_kernelINS0_14default_configENS1_25partition_config_selectorILNS1_17partition_subalgoE0EtNS0_10empty_typeEbEEZZNS1_14partition_implILS5_0ELb0ES3_jN6thrust23THRUST_200600_302600_NS6detail15normal_iteratorINSA_10device_ptrItEEEEPS6_SG_NS0_5tupleIJSF_NSA_16discard_iteratorINSA_11use_defaultEEEEEENSH_IJSG_SG_EEES6_PlJ7is_evenItEEEE10hipError_tPvRmT3_T4_T5_T6_T7_T9_mT8_P12ihipStream_tbDpT10_ENKUlT_T0_E_clISt17integral_constantIbLb1EES18_IbLb0EEEEDaS14_S15_EUlS14_E_NS1_11comp_targetILNS1_3genE8ELNS1_11target_archE1030ELNS1_3gpuE2ELNS1_3repE0EEENS1_30default_config_static_selectorELNS0_4arch9wavefront6targetE1EEEvT1_ ; -- Begin function _ZN7rocprim17ROCPRIM_400000_NS6detail17trampoline_kernelINS0_14default_configENS1_25partition_config_selectorILNS1_17partition_subalgoE0EtNS0_10empty_typeEbEEZZNS1_14partition_implILS5_0ELb0ES3_jN6thrust23THRUST_200600_302600_NS6detail15normal_iteratorINSA_10device_ptrItEEEEPS6_SG_NS0_5tupleIJSF_NSA_16discard_iteratorINSA_11use_defaultEEEEEENSH_IJSG_SG_EEES6_PlJ7is_evenItEEEE10hipError_tPvRmT3_T4_T5_T6_T7_T9_mT8_P12ihipStream_tbDpT10_ENKUlT_T0_E_clISt17integral_constantIbLb1EES18_IbLb0EEEEDaS14_S15_EUlS14_E_NS1_11comp_targetILNS1_3genE8ELNS1_11target_archE1030ELNS1_3gpuE2ELNS1_3repE0EEENS1_30default_config_static_selectorELNS0_4arch9wavefront6targetE1EEEvT1_
	.globl	_ZN7rocprim17ROCPRIM_400000_NS6detail17trampoline_kernelINS0_14default_configENS1_25partition_config_selectorILNS1_17partition_subalgoE0EtNS0_10empty_typeEbEEZZNS1_14partition_implILS5_0ELb0ES3_jN6thrust23THRUST_200600_302600_NS6detail15normal_iteratorINSA_10device_ptrItEEEEPS6_SG_NS0_5tupleIJSF_NSA_16discard_iteratorINSA_11use_defaultEEEEEENSH_IJSG_SG_EEES6_PlJ7is_evenItEEEE10hipError_tPvRmT3_T4_T5_T6_T7_T9_mT8_P12ihipStream_tbDpT10_ENKUlT_T0_E_clISt17integral_constantIbLb1EES18_IbLb0EEEEDaS14_S15_EUlS14_E_NS1_11comp_targetILNS1_3genE8ELNS1_11target_archE1030ELNS1_3gpuE2ELNS1_3repE0EEENS1_30default_config_static_selectorELNS0_4arch9wavefront6targetE1EEEvT1_
	.p2align	8
	.type	_ZN7rocprim17ROCPRIM_400000_NS6detail17trampoline_kernelINS0_14default_configENS1_25partition_config_selectorILNS1_17partition_subalgoE0EtNS0_10empty_typeEbEEZZNS1_14partition_implILS5_0ELb0ES3_jN6thrust23THRUST_200600_302600_NS6detail15normal_iteratorINSA_10device_ptrItEEEEPS6_SG_NS0_5tupleIJSF_NSA_16discard_iteratorINSA_11use_defaultEEEEEENSH_IJSG_SG_EEES6_PlJ7is_evenItEEEE10hipError_tPvRmT3_T4_T5_T6_T7_T9_mT8_P12ihipStream_tbDpT10_ENKUlT_T0_E_clISt17integral_constantIbLb1EES18_IbLb0EEEEDaS14_S15_EUlS14_E_NS1_11comp_targetILNS1_3genE8ELNS1_11target_archE1030ELNS1_3gpuE2ELNS1_3repE0EEENS1_30default_config_static_selectorELNS0_4arch9wavefront6targetE1EEEvT1_,@function
_ZN7rocprim17ROCPRIM_400000_NS6detail17trampoline_kernelINS0_14default_configENS1_25partition_config_selectorILNS1_17partition_subalgoE0EtNS0_10empty_typeEbEEZZNS1_14partition_implILS5_0ELb0ES3_jN6thrust23THRUST_200600_302600_NS6detail15normal_iteratorINSA_10device_ptrItEEEEPS6_SG_NS0_5tupleIJSF_NSA_16discard_iteratorINSA_11use_defaultEEEEEENSH_IJSG_SG_EEES6_PlJ7is_evenItEEEE10hipError_tPvRmT3_T4_T5_T6_T7_T9_mT8_P12ihipStream_tbDpT10_ENKUlT_T0_E_clISt17integral_constantIbLb1EES18_IbLb0EEEEDaS14_S15_EUlS14_E_NS1_11comp_targetILNS1_3genE8ELNS1_11target_archE1030ELNS1_3gpuE2ELNS1_3repE0EEENS1_30default_config_static_selectorELNS0_4arch9wavefront6targetE1EEEvT1_: ; @_ZN7rocprim17ROCPRIM_400000_NS6detail17trampoline_kernelINS0_14default_configENS1_25partition_config_selectorILNS1_17partition_subalgoE0EtNS0_10empty_typeEbEEZZNS1_14partition_implILS5_0ELb0ES3_jN6thrust23THRUST_200600_302600_NS6detail15normal_iteratorINSA_10device_ptrItEEEEPS6_SG_NS0_5tupleIJSF_NSA_16discard_iteratorINSA_11use_defaultEEEEEENSH_IJSG_SG_EEES6_PlJ7is_evenItEEEE10hipError_tPvRmT3_T4_T5_T6_T7_T9_mT8_P12ihipStream_tbDpT10_ENKUlT_T0_E_clISt17integral_constantIbLb1EES18_IbLb0EEEEDaS14_S15_EUlS14_E_NS1_11comp_targetILNS1_3genE8ELNS1_11target_archE1030ELNS1_3gpuE2ELNS1_3repE0EEENS1_30default_config_static_selectorELNS0_4arch9wavefront6targetE1EEEvT1_
; %bb.0:
	.section	.rodata,"a",@progbits
	.p2align	6, 0x0
	.amdhsa_kernel _ZN7rocprim17ROCPRIM_400000_NS6detail17trampoline_kernelINS0_14default_configENS1_25partition_config_selectorILNS1_17partition_subalgoE0EtNS0_10empty_typeEbEEZZNS1_14partition_implILS5_0ELb0ES3_jN6thrust23THRUST_200600_302600_NS6detail15normal_iteratorINSA_10device_ptrItEEEEPS6_SG_NS0_5tupleIJSF_NSA_16discard_iteratorINSA_11use_defaultEEEEEENSH_IJSG_SG_EEES6_PlJ7is_evenItEEEE10hipError_tPvRmT3_T4_T5_T6_T7_T9_mT8_P12ihipStream_tbDpT10_ENKUlT_T0_E_clISt17integral_constantIbLb1EES18_IbLb0EEEEDaS14_S15_EUlS14_E_NS1_11comp_targetILNS1_3genE8ELNS1_11target_archE1030ELNS1_3gpuE2ELNS1_3repE0EEENS1_30default_config_static_selectorELNS0_4arch9wavefront6targetE1EEEvT1_
		.amdhsa_group_segment_fixed_size 0
		.amdhsa_private_segment_fixed_size 0
		.amdhsa_kernarg_size 128
		.amdhsa_user_sgpr_count 6
		.amdhsa_user_sgpr_private_segment_buffer 1
		.amdhsa_user_sgpr_dispatch_ptr 0
		.amdhsa_user_sgpr_queue_ptr 0
		.amdhsa_user_sgpr_kernarg_segment_ptr 1
		.amdhsa_user_sgpr_dispatch_id 0
		.amdhsa_user_sgpr_flat_scratch_init 0
		.amdhsa_user_sgpr_kernarg_preload_length 0
		.amdhsa_user_sgpr_kernarg_preload_offset 0
		.amdhsa_user_sgpr_private_segment_size 0
		.amdhsa_uses_dynamic_stack 0
		.amdhsa_system_sgpr_private_segment_wavefront_offset 0
		.amdhsa_system_sgpr_workgroup_id_x 1
		.amdhsa_system_sgpr_workgroup_id_y 0
		.amdhsa_system_sgpr_workgroup_id_z 0
		.amdhsa_system_sgpr_workgroup_info 0
		.amdhsa_system_vgpr_workitem_id 0
		.amdhsa_next_free_vgpr 1
		.amdhsa_next_free_sgpr 0
		.amdhsa_accum_offset 4
		.amdhsa_reserve_vcc 0
		.amdhsa_reserve_flat_scratch 0
		.amdhsa_float_round_mode_32 0
		.amdhsa_float_round_mode_16_64 0
		.amdhsa_float_denorm_mode_32 3
		.amdhsa_float_denorm_mode_16_64 3
		.amdhsa_dx10_clamp 1
		.amdhsa_ieee_mode 1
		.amdhsa_fp16_overflow 0
		.amdhsa_tg_split 0
		.amdhsa_exception_fp_ieee_invalid_op 0
		.amdhsa_exception_fp_denorm_src 0
		.amdhsa_exception_fp_ieee_div_zero 0
		.amdhsa_exception_fp_ieee_overflow 0
		.amdhsa_exception_fp_ieee_underflow 0
		.amdhsa_exception_fp_ieee_inexact 0
		.amdhsa_exception_int_div_zero 0
	.end_amdhsa_kernel
	.section	.text._ZN7rocprim17ROCPRIM_400000_NS6detail17trampoline_kernelINS0_14default_configENS1_25partition_config_selectorILNS1_17partition_subalgoE0EtNS0_10empty_typeEbEEZZNS1_14partition_implILS5_0ELb0ES3_jN6thrust23THRUST_200600_302600_NS6detail15normal_iteratorINSA_10device_ptrItEEEEPS6_SG_NS0_5tupleIJSF_NSA_16discard_iteratorINSA_11use_defaultEEEEEENSH_IJSG_SG_EEES6_PlJ7is_evenItEEEE10hipError_tPvRmT3_T4_T5_T6_T7_T9_mT8_P12ihipStream_tbDpT10_ENKUlT_T0_E_clISt17integral_constantIbLb1EES18_IbLb0EEEEDaS14_S15_EUlS14_E_NS1_11comp_targetILNS1_3genE8ELNS1_11target_archE1030ELNS1_3gpuE2ELNS1_3repE0EEENS1_30default_config_static_selectorELNS0_4arch9wavefront6targetE1EEEvT1_,"axG",@progbits,_ZN7rocprim17ROCPRIM_400000_NS6detail17trampoline_kernelINS0_14default_configENS1_25partition_config_selectorILNS1_17partition_subalgoE0EtNS0_10empty_typeEbEEZZNS1_14partition_implILS5_0ELb0ES3_jN6thrust23THRUST_200600_302600_NS6detail15normal_iteratorINSA_10device_ptrItEEEEPS6_SG_NS0_5tupleIJSF_NSA_16discard_iteratorINSA_11use_defaultEEEEEENSH_IJSG_SG_EEES6_PlJ7is_evenItEEEE10hipError_tPvRmT3_T4_T5_T6_T7_T9_mT8_P12ihipStream_tbDpT10_ENKUlT_T0_E_clISt17integral_constantIbLb1EES18_IbLb0EEEEDaS14_S15_EUlS14_E_NS1_11comp_targetILNS1_3genE8ELNS1_11target_archE1030ELNS1_3gpuE2ELNS1_3repE0EEENS1_30default_config_static_selectorELNS0_4arch9wavefront6targetE1EEEvT1_,comdat
.Lfunc_end2546:
	.size	_ZN7rocprim17ROCPRIM_400000_NS6detail17trampoline_kernelINS0_14default_configENS1_25partition_config_selectorILNS1_17partition_subalgoE0EtNS0_10empty_typeEbEEZZNS1_14partition_implILS5_0ELb0ES3_jN6thrust23THRUST_200600_302600_NS6detail15normal_iteratorINSA_10device_ptrItEEEEPS6_SG_NS0_5tupleIJSF_NSA_16discard_iteratorINSA_11use_defaultEEEEEENSH_IJSG_SG_EEES6_PlJ7is_evenItEEEE10hipError_tPvRmT3_T4_T5_T6_T7_T9_mT8_P12ihipStream_tbDpT10_ENKUlT_T0_E_clISt17integral_constantIbLb1EES18_IbLb0EEEEDaS14_S15_EUlS14_E_NS1_11comp_targetILNS1_3genE8ELNS1_11target_archE1030ELNS1_3gpuE2ELNS1_3repE0EEENS1_30default_config_static_selectorELNS0_4arch9wavefront6targetE1EEEvT1_, .Lfunc_end2546-_ZN7rocprim17ROCPRIM_400000_NS6detail17trampoline_kernelINS0_14default_configENS1_25partition_config_selectorILNS1_17partition_subalgoE0EtNS0_10empty_typeEbEEZZNS1_14partition_implILS5_0ELb0ES3_jN6thrust23THRUST_200600_302600_NS6detail15normal_iteratorINSA_10device_ptrItEEEEPS6_SG_NS0_5tupleIJSF_NSA_16discard_iteratorINSA_11use_defaultEEEEEENSH_IJSG_SG_EEES6_PlJ7is_evenItEEEE10hipError_tPvRmT3_T4_T5_T6_T7_T9_mT8_P12ihipStream_tbDpT10_ENKUlT_T0_E_clISt17integral_constantIbLb1EES18_IbLb0EEEEDaS14_S15_EUlS14_E_NS1_11comp_targetILNS1_3genE8ELNS1_11target_archE1030ELNS1_3gpuE2ELNS1_3repE0EEENS1_30default_config_static_selectorELNS0_4arch9wavefront6targetE1EEEvT1_
                                        ; -- End function
	.section	.AMDGPU.csdata,"",@progbits
; Kernel info:
; codeLenInByte = 0
; NumSgprs: 4
; NumVgprs: 0
; NumAgprs: 0
; TotalNumVgprs: 0
; ScratchSize: 0
; MemoryBound: 0
; FloatMode: 240
; IeeeMode: 1
; LDSByteSize: 0 bytes/workgroup (compile time only)
; SGPRBlocks: 0
; VGPRBlocks: 0
; NumSGPRsForWavesPerEU: 4
; NumVGPRsForWavesPerEU: 1
; AccumOffset: 4
; Occupancy: 8
; WaveLimiterHint : 0
; COMPUTE_PGM_RSRC2:SCRATCH_EN: 0
; COMPUTE_PGM_RSRC2:USER_SGPR: 6
; COMPUTE_PGM_RSRC2:TRAP_HANDLER: 0
; COMPUTE_PGM_RSRC2:TGID_X_EN: 1
; COMPUTE_PGM_RSRC2:TGID_Y_EN: 0
; COMPUTE_PGM_RSRC2:TGID_Z_EN: 0
; COMPUTE_PGM_RSRC2:TIDIG_COMP_CNT: 0
; COMPUTE_PGM_RSRC3_GFX90A:ACCUM_OFFSET: 0
; COMPUTE_PGM_RSRC3_GFX90A:TG_SPLIT: 0
	.section	.text._ZN7rocprim17ROCPRIM_400000_NS6detail17trampoline_kernelINS0_14default_configENS1_25partition_config_selectorILNS1_17partition_subalgoE0EtNS0_10empty_typeEbEEZZNS1_14partition_implILS5_0ELb0ES3_jN6thrust23THRUST_200600_302600_NS6detail15normal_iteratorINSA_10device_ptrItEEEEPS6_SG_NS0_5tupleIJSF_NSA_16discard_iteratorINSA_11use_defaultEEEEEENSH_IJSG_SG_EEES6_PlJ7is_evenItEEEE10hipError_tPvRmT3_T4_T5_T6_T7_T9_mT8_P12ihipStream_tbDpT10_ENKUlT_T0_E_clISt17integral_constantIbLb0EES18_IbLb1EEEEDaS14_S15_EUlS14_E_NS1_11comp_targetILNS1_3genE0ELNS1_11target_archE4294967295ELNS1_3gpuE0ELNS1_3repE0EEENS1_30default_config_static_selectorELNS0_4arch9wavefront6targetE1EEEvT1_,"axG",@progbits,_ZN7rocprim17ROCPRIM_400000_NS6detail17trampoline_kernelINS0_14default_configENS1_25partition_config_selectorILNS1_17partition_subalgoE0EtNS0_10empty_typeEbEEZZNS1_14partition_implILS5_0ELb0ES3_jN6thrust23THRUST_200600_302600_NS6detail15normal_iteratorINSA_10device_ptrItEEEEPS6_SG_NS0_5tupleIJSF_NSA_16discard_iteratorINSA_11use_defaultEEEEEENSH_IJSG_SG_EEES6_PlJ7is_evenItEEEE10hipError_tPvRmT3_T4_T5_T6_T7_T9_mT8_P12ihipStream_tbDpT10_ENKUlT_T0_E_clISt17integral_constantIbLb0EES18_IbLb1EEEEDaS14_S15_EUlS14_E_NS1_11comp_targetILNS1_3genE0ELNS1_11target_archE4294967295ELNS1_3gpuE0ELNS1_3repE0EEENS1_30default_config_static_selectorELNS0_4arch9wavefront6targetE1EEEvT1_,comdat
	.protected	_ZN7rocprim17ROCPRIM_400000_NS6detail17trampoline_kernelINS0_14default_configENS1_25partition_config_selectorILNS1_17partition_subalgoE0EtNS0_10empty_typeEbEEZZNS1_14partition_implILS5_0ELb0ES3_jN6thrust23THRUST_200600_302600_NS6detail15normal_iteratorINSA_10device_ptrItEEEEPS6_SG_NS0_5tupleIJSF_NSA_16discard_iteratorINSA_11use_defaultEEEEEENSH_IJSG_SG_EEES6_PlJ7is_evenItEEEE10hipError_tPvRmT3_T4_T5_T6_T7_T9_mT8_P12ihipStream_tbDpT10_ENKUlT_T0_E_clISt17integral_constantIbLb0EES18_IbLb1EEEEDaS14_S15_EUlS14_E_NS1_11comp_targetILNS1_3genE0ELNS1_11target_archE4294967295ELNS1_3gpuE0ELNS1_3repE0EEENS1_30default_config_static_selectorELNS0_4arch9wavefront6targetE1EEEvT1_ ; -- Begin function _ZN7rocprim17ROCPRIM_400000_NS6detail17trampoline_kernelINS0_14default_configENS1_25partition_config_selectorILNS1_17partition_subalgoE0EtNS0_10empty_typeEbEEZZNS1_14partition_implILS5_0ELb0ES3_jN6thrust23THRUST_200600_302600_NS6detail15normal_iteratorINSA_10device_ptrItEEEEPS6_SG_NS0_5tupleIJSF_NSA_16discard_iteratorINSA_11use_defaultEEEEEENSH_IJSG_SG_EEES6_PlJ7is_evenItEEEE10hipError_tPvRmT3_T4_T5_T6_T7_T9_mT8_P12ihipStream_tbDpT10_ENKUlT_T0_E_clISt17integral_constantIbLb0EES18_IbLb1EEEEDaS14_S15_EUlS14_E_NS1_11comp_targetILNS1_3genE0ELNS1_11target_archE4294967295ELNS1_3gpuE0ELNS1_3repE0EEENS1_30default_config_static_selectorELNS0_4arch9wavefront6targetE1EEEvT1_
	.globl	_ZN7rocprim17ROCPRIM_400000_NS6detail17trampoline_kernelINS0_14default_configENS1_25partition_config_selectorILNS1_17partition_subalgoE0EtNS0_10empty_typeEbEEZZNS1_14partition_implILS5_0ELb0ES3_jN6thrust23THRUST_200600_302600_NS6detail15normal_iteratorINSA_10device_ptrItEEEEPS6_SG_NS0_5tupleIJSF_NSA_16discard_iteratorINSA_11use_defaultEEEEEENSH_IJSG_SG_EEES6_PlJ7is_evenItEEEE10hipError_tPvRmT3_T4_T5_T6_T7_T9_mT8_P12ihipStream_tbDpT10_ENKUlT_T0_E_clISt17integral_constantIbLb0EES18_IbLb1EEEEDaS14_S15_EUlS14_E_NS1_11comp_targetILNS1_3genE0ELNS1_11target_archE4294967295ELNS1_3gpuE0ELNS1_3repE0EEENS1_30default_config_static_selectorELNS0_4arch9wavefront6targetE1EEEvT1_
	.p2align	8
	.type	_ZN7rocprim17ROCPRIM_400000_NS6detail17trampoline_kernelINS0_14default_configENS1_25partition_config_selectorILNS1_17partition_subalgoE0EtNS0_10empty_typeEbEEZZNS1_14partition_implILS5_0ELb0ES3_jN6thrust23THRUST_200600_302600_NS6detail15normal_iteratorINSA_10device_ptrItEEEEPS6_SG_NS0_5tupleIJSF_NSA_16discard_iteratorINSA_11use_defaultEEEEEENSH_IJSG_SG_EEES6_PlJ7is_evenItEEEE10hipError_tPvRmT3_T4_T5_T6_T7_T9_mT8_P12ihipStream_tbDpT10_ENKUlT_T0_E_clISt17integral_constantIbLb0EES18_IbLb1EEEEDaS14_S15_EUlS14_E_NS1_11comp_targetILNS1_3genE0ELNS1_11target_archE4294967295ELNS1_3gpuE0ELNS1_3repE0EEENS1_30default_config_static_selectorELNS0_4arch9wavefront6targetE1EEEvT1_,@function
_ZN7rocprim17ROCPRIM_400000_NS6detail17trampoline_kernelINS0_14default_configENS1_25partition_config_selectorILNS1_17partition_subalgoE0EtNS0_10empty_typeEbEEZZNS1_14partition_implILS5_0ELb0ES3_jN6thrust23THRUST_200600_302600_NS6detail15normal_iteratorINSA_10device_ptrItEEEEPS6_SG_NS0_5tupleIJSF_NSA_16discard_iteratorINSA_11use_defaultEEEEEENSH_IJSG_SG_EEES6_PlJ7is_evenItEEEE10hipError_tPvRmT3_T4_T5_T6_T7_T9_mT8_P12ihipStream_tbDpT10_ENKUlT_T0_E_clISt17integral_constantIbLb0EES18_IbLb1EEEEDaS14_S15_EUlS14_E_NS1_11comp_targetILNS1_3genE0ELNS1_11target_archE4294967295ELNS1_3gpuE0ELNS1_3repE0EEENS1_30default_config_static_selectorELNS0_4arch9wavefront6targetE1EEEvT1_: ; @_ZN7rocprim17ROCPRIM_400000_NS6detail17trampoline_kernelINS0_14default_configENS1_25partition_config_selectorILNS1_17partition_subalgoE0EtNS0_10empty_typeEbEEZZNS1_14partition_implILS5_0ELb0ES3_jN6thrust23THRUST_200600_302600_NS6detail15normal_iteratorINSA_10device_ptrItEEEEPS6_SG_NS0_5tupleIJSF_NSA_16discard_iteratorINSA_11use_defaultEEEEEENSH_IJSG_SG_EEES6_PlJ7is_evenItEEEE10hipError_tPvRmT3_T4_T5_T6_T7_T9_mT8_P12ihipStream_tbDpT10_ENKUlT_T0_E_clISt17integral_constantIbLb0EES18_IbLb1EEEEDaS14_S15_EUlS14_E_NS1_11comp_targetILNS1_3genE0ELNS1_11target_archE4294967295ELNS1_3gpuE0ELNS1_3repE0EEENS1_30default_config_static_selectorELNS0_4arch9wavefront6targetE1EEEvT1_
; %bb.0:
	.section	.rodata,"a",@progbits
	.p2align	6, 0x0
	.amdhsa_kernel _ZN7rocprim17ROCPRIM_400000_NS6detail17trampoline_kernelINS0_14default_configENS1_25partition_config_selectorILNS1_17partition_subalgoE0EtNS0_10empty_typeEbEEZZNS1_14partition_implILS5_0ELb0ES3_jN6thrust23THRUST_200600_302600_NS6detail15normal_iteratorINSA_10device_ptrItEEEEPS6_SG_NS0_5tupleIJSF_NSA_16discard_iteratorINSA_11use_defaultEEEEEENSH_IJSG_SG_EEES6_PlJ7is_evenItEEEE10hipError_tPvRmT3_T4_T5_T6_T7_T9_mT8_P12ihipStream_tbDpT10_ENKUlT_T0_E_clISt17integral_constantIbLb0EES18_IbLb1EEEEDaS14_S15_EUlS14_E_NS1_11comp_targetILNS1_3genE0ELNS1_11target_archE4294967295ELNS1_3gpuE0ELNS1_3repE0EEENS1_30default_config_static_selectorELNS0_4arch9wavefront6targetE1EEEvT1_
		.amdhsa_group_segment_fixed_size 0
		.amdhsa_private_segment_fixed_size 0
		.amdhsa_kernarg_size 144
		.amdhsa_user_sgpr_count 6
		.amdhsa_user_sgpr_private_segment_buffer 1
		.amdhsa_user_sgpr_dispatch_ptr 0
		.amdhsa_user_sgpr_queue_ptr 0
		.amdhsa_user_sgpr_kernarg_segment_ptr 1
		.amdhsa_user_sgpr_dispatch_id 0
		.amdhsa_user_sgpr_flat_scratch_init 0
		.amdhsa_user_sgpr_kernarg_preload_length 0
		.amdhsa_user_sgpr_kernarg_preload_offset 0
		.amdhsa_user_sgpr_private_segment_size 0
		.amdhsa_uses_dynamic_stack 0
		.amdhsa_system_sgpr_private_segment_wavefront_offset 0
		.amdhsa_system_sgpr_workgroup_id_x 1
		.amdhsa_system_sgpr_workgroup_id_y 0
		.amdhsa_system_sgpr_workgroup_id_z 0
		.amdhsa_system_sgpr_workgroup_info 0
		.amdhsa_system_vgpr_workitem_id 0
		.amdhsa_next_free_vgpr 1
		.amdhsa_next_free_sgpr 0
		.amdhsa_accum_offset 4
		.amdhsa_reserve_vcc 0
		.amdhsa_reserve_flat_scratch 0
		.amdhsa_float_round_mode_32 0
		.amdhsa_float_round_mode_16_64 0
		.amdhsa_float_denorm_mode_32 3
		.amdhsa_float_denorm_mode_16_64 3
		.amdhsa_dx10_clamp 1
		.amdhsa_ieee_mode 1
		.amdhsa_fp16_overflow 0
		.amdhsa_tg_split 0
		.amdhsa_exception_fp_ieee_invalid_op 0
		.amdhsa_exception_fp_denorm_src 0
		.amdhsa_exception_fp_ieee_div_zero 0
		.amdhsa_exception_fp_ieee_overflow 0
		.amdhsa_exception_fp_ieee_underflow 0
		.amdhsa_exception_fp_ieee_inexact 0
		.amdhsa_exception_int_div_zero 0
	.end_amdhsa_kernel
	.section	.text._ZN7rocprim17ROCPRIM_400000_NS6detail17trampoline_kernelINS0_14default_configENS1_25partition_config_selectorILNS1_17partition_subalgoE0EtNS0_10empty_typeEbEEZZNS1_14partition_implILS5_0ELb0ES3_jN6thrust23THRUST_200600_302600_NS6detail15normal_iteratorINSA_10device_ptrItEEEEPS6_SG_NS0_5tupleIJSF_NSA_16discard_iteratorINSA_11use_defaultEEEEEENSH_IJSG_SG_EEES6_PlJ7is_evenItEEEE10hipError_tPvRmT3_T4_T5_T6_T7_T9_mT8_P12ihipStream_tbDpT10_ENKUlT_T0_E_clISt17integral_constantIbLb0EES18_IbLb1EEEEDaS14_S15_EUlS14_E_NS1_11comp_targetILNS1_3genE0ELNS1_11target_archE4294967295ELNS1_3gpuE0ELNS1_3repE0EEENS1_30default_config_static_selectorELNS0_4arch9wavefront6targetE1EEEvT1_,"axG",@progbits,_ZN7rocprim17ROCPRIM_400000_NS6detail17trampoline_kernelINS0_14default_configENS1_25partition_config_selectorILNS1_17partition_subalgoE0EtNS0_10empty_typeEbEEZZNS1_14partition_implILS5_0ELb0ES3_jN6thrust23THRUST_200600_302600_NS6detail15normal_iteratorINSA_10device_ptrItEEEEPS6_SG_NS0_5tupleIJSF_NSA_16discard_iteratorINSA_11use_defaultEEEEEENSH_IJSG_SG_EEES6_PlJ7is_evenItEEEE10hipError_tPvRmT3_T4_T5_T6_T7_T9_mT8_P12ihipStream_tbDpT10_ENKUlT_T0_E_clISt17integral_constantIbLb0EES18_IbLb1EEEEDaS14_S15_EUlS14_E_NS1_11comp_targetILNS1_3genE0ELNS1_11target_archE4294967295ELNS1_3gpuE0ELNS1_3repE0EEENS1_30default_config_static_selectorELNS0_4arch9wavefront6targetE1EEEvT1_,comdat
.Lfunc_end2547:
	.size	_ZN7rocprim17ROCPRIM_400000_NS6detail17trampoline_kernelINS0_14default_configENS1_25partition_config_selectorILNS1_17partition_subalgoE0EtNS0_10empty_typeEbEEZZNS1_14partition_implILS5_0ELb0ES3_jN6thrust23THRUST_200600_302600_NS6detail15normal_iteratorINSA_10device_ptrItEEEEPS6_SG_NS0_5tupleIJSF_NSA_16discard_iteratorINSA_11use_defaultEEEEEENSH_IJSG_SG_EEES6_PlJ7is_evenItEEEE10hipError_tPvRmT3_T4_T5_T6_T7_T9_mT8_P12ihipStream_tbDpT10_ENKUlT_T0_E_clISt17integral_constantIbLb0EES18_IbLb1EEEEDaS14_S15_EUlS14_E_NS1_11comp_targetILNS1_3genE0ELNS1_11target_archE4294967295ELNS1_3gpuE0ELNS1_3repE0EEENS1_30default_config_static_selectorELNS0_4arch9wavefront6targetE1EEEvT1_, .Lfunc_end2547-_ZN7rocprim17ROCPRIM_400000_NS6detail17trampoline_kernelINS0_14default_configENS1_25partition_config_selectorILNS1_17partition_subalgoE0EtNS0_10empty_typeEbEEZZNS1_14partition_implILS5_0ELb0ES3_jN6thrust23THRUST_200600_302600_NS6detail15normal_iteratorINSA_10device_ptrItEEEEPS6_SG_NS0_5tupleIJSF_NSA_16discard_iteratorINSA_11use_defaultEEEEEENSH_IJSG_SG_EEES6_PlJ7is_evenItEEEE10hipError_tPvRmT3_T4_T5_T6_T7_T9_mT8_P12ihipStream_tbDpT10_ENKUlT_T0_E_clISt17integral_constantIbLb0EES18_IbLb1EEEEDaS14_S15_EUlS14_E_NS1_11comp_targetILNS1_3genE0ELNS1_11target_archE4294967295ELNS1_3gpuE0ELNS1_3repE0EEENS1_30default_config_static_selectorELNS0_4arch9wavefront6targetE1EEEvT1_
                                        ; -- End function
	.section	.AMDGPU.csdata,"",@progbits
; Kernel info:
; codeLenInByte = 0
; NumSgprs: 4
; NumVgprs: 0
; NumAgprs: 0
; TotalNumVgprs: 0
; ScratchSize: 0
; MemoryBound: 0
; FloatMode: 240
; IeeeMode: 1
; LDSByteSize: 0 bytes/workgroup (compile time only)
; SGPRBlocks: 0
; VGPRBlocks: 0
; NumSGPRsForWavesPerEU: 4
; NumVGPRsForWavesPerEU: 1
; AccumOffset: 4
; Occupancy: 8
; WaveLimiterHint : 0
; COMPUTE_PGM_RSRC2:SCRATCH_EN: 0
; COMPUTE_PGM_RSRC2:USER_SGPR: 6
; COMPUTE_PGM_RSRC2:TRAP_HANDLER: 0
; COMPUTE_PGM_RSRC2:TGID_X_EN: 1
; COMPUTE_PGM_RSRC2:TGID_Y_EN: 0
; COMPUTE_PGM_RSRC2:TGID_Z_EN: 0
; COMPUTE_PGM_RSRC2:TIDIG_COMP_CNT: 0
; COMPUTE_PGM_RSRC3_GFX90A:ACCUM_OFFSET: 0
; COMPUTE_PGM_RSRC3_GFX90A:TG_SPLIT: 0
	.section	.text._ZN7rocprim17ROCPRIM_400000_NS6detail17trampoline_kernelINS0_14default_configENS1_25partition_config_selectorILNS1_17partition_subalgoE0EtNS0_10empty_typeEbEEZZNS1_14partition_implILS5_0ELb0ES3_jN6thrust23THRUST_200600_302600_NS6detail15normal_iteratorINSA_10device_ptrItEEEEPS6_SG_NS0_5tupleIJSF_NSA_16discard_iteratorINSA_11use_defaultEEEEEENSH_IJSG_SG_EEES6_PlJ7is_evenItEEEE10hipError_tPvRmT3_T4_T5_T6_T7_T9_mT8_P12ihipStream_tbDpT10_ENKUlT_T0_E_clISt17integral_constantIbLb0EES18_IbLb1EEEEDaS14_S15_EUlS14_E_NS1_11comp_targetILNS1_3genE5ELNS1_11target_archE942ELNS1_3gpuE9ELNS1_3repE0EEENS1_30default_config_static_selectorELNS0_4arch9wavefront6targetE1EEEvT1_,"axG",@progbits,_ZN7rocprim17ROCPRIM_400000_NS6detail17trampoline_kernelINS0_14default_configENS1_25partition_config_selectorILNS1_17partition_subalgoE0EtNS0_10empty_typeEbEEZZNS1_14partition_implILS5_0ELb0ES3_jN6thrust23THRUST_200600_302600_NS6detail15normal_iteratorINSA_10device_ptrItEEEEPS6_SG_NS0_5tupleIJSF_NSA_16discard_iteratorINSA_11use_defaultEEEEEENSH_IJSG_SG_EEES6_PlJ7is_evenItEEEE10hipError_tPvRmT3_T4_T5_T6_T7_T9_mT8_P12ihipStream_tbDpT10_ENKUlT_T0_E_clISt17integral_constantIbLb0EES18_IbLb1EEEEDaS14_S15_EUlS14_E_NS1_11comp_targetILNS1_3genE5ELNS1_11target_archE942ELNS1_3gpuE9ELNS1_3repE0EEENS1_30default_config_static_selectorELNS0_4arch9wavefront6targetE1EEEvT1_,comdat
	.protected	_ZN7rocprim17ROCPRIM_400000_NS6detail17trampoline_kernelINS0_14default_configENS1_25partition_config_selectorILNS1_17partition_subalgoE0EtNS0_10empty_typeEbEEZZNS1_14partition_implILS5_0ELb0ES3_jN6thrust23THRUST_200600_302600_NS6detail15normal_iteratorINSA_10device_ptrItEEEEPS6_SG_NS0_5tupleIJSF_NSA_16discard_iteratorINSA_11use_defaultEEEEEENSH_IJSG_SG_EEES6_PlJ7is_evenItEEEE10hipError_tPvRmT3_T4_T5_T6_T7_T9_mT8_P12ihipStream_tbDpT10_ENKUlT_T0_E_clISt17integral_constantIbLb0EES18_IbLb1EEEEDaS14_S15_EUlS14_E_NS1_11comp_targetILNS1_3genE5ELNS1_11target_archE942ELNS1_3gpuE9ELNS1_3repE0EEENS1_30default_config_static_selectorELNS0_4arch9wavefront6targetE1EEEvT1_ ; -- Begin function _ZN7rocprim17ROCPRIM_400000_NS6detail17trampoline_kernelINS0_14default_configENS1_25partition_config_selectorILNS1_17partition_subalgoE0EtNS0_10empty_typeEbEEZZNS1_14partition_implILS5_0ELb0ES3_jN6thrust23THRUST_200600_302600_NS6detail15normal_iteratorINSA_10device_ptrItEEEEPS6_SG_NS0_5tupleIJSF_NSA_16discard_iteratorINSA_11use_defaultEEEEEENSH_IJSG_SG_EEES6_PlJ7is_evenItEEEE10hipError_tPvRmT3_T4_T5_T6_T7_T9_mT8_P12ihipStream_tbDpT10_ENKUlT_T0_E_clISt17integral_constantIbLb0EES18_IbLb1EEEEDaS14_S15_EUlS14_E_NS1_11comp_targetILNS1_3genE5ELNS1_11target_archE942ELNS1_3gpuE9ELNS1_3repE0EEENS1_30default_config_static_selectorELNS0_4arch9wavefront6targetE1EEEvT1_
	.globl	_ZN7rocprim17ROCPRIM_400000_NS6detail17trampoline_kernelINS0_14default_configENS1_25partition_config_selectorILNS1_17partition_subalgoE0EtNS0_10empty_typeEbEEZZNS1_14partition_implILS5_0ELb0ES3_jN6thrust23THRUST_200600_302600_NS6detail15normal_iteratorINSA_10device_ptrItEEEEPS6_SG_NS0_5tupleIJSF_NSA_16discard_iteratorINSA_11use_defaultEEEEEENSH_IJSG_SG_EEES6_PlJ7is_evenItEEEE10hipError_tPvRmT3_T4_T5_T6_T7_T9_mT8_P12ihipStream_tbDpT10_ENKUlT_T0_E_clISt17integral_constantIbLb0EES18_IbLb1EEEEDaS14_S15_EUlS14_E_NS1_11comp_targetILNS1_3genE5ELNS1_11target_archE942ELNS1_3gpuE9ELNS1_3repE0EEENS1_30default_config_static_selectorELNS0_4arch9wavefront6targetE1EEEvT1_
	.p2align	8
	.type	_ZN7rocprim17ROCPRIM_400000_NS6detail17trampoline_kernelINS0_14default_configENS1_25partition_config_selectorILNS1_17partition_subalgoE0EtNS0_10empty_typeEbEEZZNS1_14partition_implILS5_0ELb0ES3_jN6thrust23THRUST_200600_302600_NS6detail15normal_iteratorINSA_10device_ptrItEEEEPS6_SG_NS0_5tupleIJSF_NSA_16discard_iteratorINSA_11use_defaultEEEEEENSH_IJSG_SG_EEES6_PlJ7is_evenItEEEE10hipError_tPvRmT3_T4_T5_T6_T7_T9_mT8_P12ihipStream_tbDpT10_ENKUlT_T0_E_clISt17integral_constantIbLb0EES18_IbLb1EEEEDaS14_S15_EUlS14_E_NS1_11comp_targetILNS1_3genE5ELNS1_11target_archE942ELNS1_3gpuE9ELNS1_3repE0EEENS1_30default_config_static_selectorELNS0_4arch9wavefront6targetE1EEEvT1_,@function
_ZN7rocprim17ROCPRIM_400000_NS6detail17trampoline_kernelINS0_14default_configENS1_25partition_config_selectorILNS1_17partition_subalgoE0EtNS0_10empty_typeEbEEZZNS1_14partition_implILS5_0ELb0ES3_jN6thrust23THRUST_200600_302600_NS6detail15normal_iteratorINSA_10device_ptrItEEEEPS6_SG_NS0_5tupleIJSF_NSA_16discard_iteratorINSA_11use_defaultEEEEEENSH_IJSG_SG_EEES6_PlJ7is_evenItEEEE10hipError_tPvRmT3_T4_T5_T6_T7_T9_mT8_P12ihipStream_tbDpT10_ENKUlT_T0_E_clISt17integral_constantIbLb0EES18_IbLb1EEEEDaS14_S15_EUlS14_E_NS1_11comp_targetILNS1_3genE5ELNS1_11target_archE942ELNS1_3gpuE9ELNS1_3repE0EEENS1_30default_config_static_selectorELNS0_4arch9wavefront6targetE1EEEvT1_: ; @_ZN7rocprim17ROCPRIM_400000_NS6detail17trampoline_kernelINS0_14default_configENS1_25partition_config_selectorILNS1_17partition_subalgoE0EtNS0_10empty_typeEbEEZZNS1_14partition_implILS5_0ELb0ES3_jN6thrust23THRUST_200600_302600_NS6detail15normal_iteratorINSA_10device_ptrItEEEEPS6_SG_NS0_5tupleIJSF_NSA_16discard_iteratorINSA_11use_defaultEEEEEENSH_IJSG_SG_EEES6_PlJ7is_evenItEEEE10hipError_tPvRmT3_T4_T5_T6_T7_T9_mT8_P12ihipStream_tbDpT10_ENKUlT_T0_E_clISt17integral_constantIbLb0EES18_IbLb1EEEEDaS14_S15_EUlS14_E_NS1_11comp_targetILNS1_3genE5ELNS1_11target_archE942ELNS1_3gpuE9ELNS1_3repE0EEENS1_30default_config_static_selectorELNS0_4arch9wavefront6targetE1EEEvT1_
; %bb.0:
	.section	.rodata,"a",@progbits
	.p2align	6, 0x0
	.amdhsa_kernel _ZN7rocprim17ROCPRIM_400000_NS6detail17trampoline_kernelINS0_14default_configENS1_25partition_config_selectorILNS1_17partition_subalgoE0EtNS0_10empty_typeEbEEZZNS1_14partition_implILS5_0ELb0ES3_jN6thrust23THRUST_200600_302600_NS6detail15normal_iteratorINSA_10device_ptrItEEEEPS6_SG_NS0_5tupleIJSF_NSA_16discard_iteratorINSA_11use_defaultEEEEEENSH_IJSG_SG_EEES6_PlJ7is_evenItEEEE10hipError_tPvRmT3_T4_T5_T6_T7_T9_mT8_P12ihipStream_tbDpT10_ENKUlT_T0_E_clISt17integral_constantIbLb0EES18_IbLb1EEEEDaS14_S15_EUlS14_E_NS1_11comp_targetILNS1_3genE5ELNS1_11target_archE942ELNS1_3gpuE9ELNS1_3repE0EEENS1_30default_config_static_selectorELNS0_4arch9wavefront6targetE1EEEvT1_
		.amdhsa_group_segment_fixed_size 0
		.amdhsa_private_segment_fixed_size 0
		.amdhsa_kernarg_size 144
		.amdhsa_user_sgpr_count 6
		.amdhsa_user_sgpr_private_segment_buffer 1
		.amdhsa_user_sgpr_dispatch_ptr 0
		.amdhsa_user_sgpr_queue_ptr 0
		.amdhsa_user_sgpr_kernarg_segment_ptr 1
		.amdhsa_user_sgpr_dispatch_id 0
		.amdhsa_user_sgpr_flat_scratch_init 0
		.amdhsa_user_sgpr_kernarg_preload_length 0
		.amdhsa_user_sgpr_kernarg_preload_offset 0
		.amdhsa_user_sgpr_private_segment_size 0
		.amdhsa_uses_dynamic_stack 0
		.amdhsa_system_sgpr_private_segment_wavefront_offset 0
		.amdhsa_system_sgpr_workgroup_id_x 1
		.amdhsa_system_sgpr_workgroup_id_y 0
		.amdhsa_system_sgpr_workgroup_id_z 0
		.amdhsa_system_sgpr_workgroup_info 0
		.amdhsa_system_vgpr_workitem_id 0
		.amdhsa_next_free_vgpr 1
		.amdhsa_next_free_sgpr 0
		.amdhsa_accum_offset 4
		.amdhsa_reserve_vcc 0
		.amdhsa_reserve_flat_scratch 0
		.amdhsa_float_round_mode_32 0
		.amdhsa_float_round_mode_16_64 0
		.amdhsa_float_denorm_mode_32 3
		.amdhsa_float_denorm_mode_16_64 3
		.amdhsa_dx10_clamp 1
		.amdhsa_ieee_mode 1
		.amdhsa_fp16_overflow 0
		.amdhsa_tg_split 0
		.amdhsa_exception_fp_ieee_invalid_op 0
		.amdhsa_exception_fp_denorm_src 0
		.amdhsa_exception_fp_ieee_div_zero 0
		.amdhsa_exception_fp_ieee_overflow 0
		.amdhsa_exception_fp_ieee_underflow 0
		.amdhsa_exception_fp_ieee_inexact 0
		.amdhsa_exception_int_div_zero 0
	.end_amdhsa_kernel
	.section	.text._ZN7rocprim17ROCPRIM_400000_NS6detail17trampoline_kernelINS0_14default_configENS1_25partition_config_selectorILNS1_17partition_subalgoE0EtNS0_10empty_typeEbEEZZNS1_14partition_implILS5_0ELb0ES3_jN6thrust23THRUST_200600_302600_NS6detail15normal_iteratorINSA_10device_ptrItEEEEPS6_SG_NS0_5tupleIJSF_NSA_16discard_iteratorINSA_11use_defaultEEEEEENSH_IJSG_SG_EEES6_PlJ7is_evenItEEEE10hipError_tPvRmT3_T4_T5_T6_T7_T9_mT8_P12ihipStream_tbDpT10_ENKUlT_T0_E_clISt17integral_constantIbLb0EES18_IbLb1EEEEDaS14_S15_EUlS14_E_NS1_11comp_targetILNS1_3genE5ELNS1_11target_archE942ELNS1_3gpuE9ELNS1_3repE0EEENS1_30default_config_static_selectorELNS0_4arch9wavefront6targetE1EEEvT1_,"axG",@progbits,_ZN7rocprim17ROCPRIM_400000_NS6detail17trampoline_kernelINS0_14default_configENS1_25partition_config_selectorILNS1_17partition_subalgoE0EtNS0_10empty_typeEbEEZZNS1_14partition_implILS5_0ELb0ES3_jN6thrust23THRUST_200600_302600_NS6detail15normal_iteratorINSA_10device_ptrItEEEEPS6_SG_NS0_5tupleIJSF_NSA_16discard_iteratorINSA_11use_defaultEEEEEENSH_IJSG_SG_EEES6_PlJ7is_evenItEEEE10hipError_tPvRmT3_T4_T5_T6_T7_T9_mT8_P12ihipStream_tbDpT10_ENKUlT_T0_E_clISt17integral_constantIbLb0EES18_IbLb1EEEEDaS14_S15_EUlS14_E_NS1_11comp_targetILNS1_3genE5ELNS1_11target_archE942ELNS1_3gpuE9ELNS1_3repE0EEENS1_30default_config_static_selectorELNS0_4arch9wavefront6targetE1EEEvT1_,comdat
.Lfunc_end2548:
	.size	_ZN7rocprim17ROCPRIM_400000_NS6detail17trampoline_kernelINS0_14default_configENS1_25partition_config_selectorILNS1_17partition_subalgoE0EtNS0_10empty_typeEbEEZZNS1_14partition_implILS5_0ELb0ES3_jN6thrust23THRUST_200600_302600_NS6detail15normal_iteratorINSA_10device_ptrItEEEEPS6_SG_NS0_5tupleIJSF_NSA_16discard_iteratorINSA_11use_defaultEEEEEENSH_IJSG_SG_EEES6_PlJ7is_evenItEEEE10hipError_tPvRmT3_T4_T5_T6_T7_T9_mT8_P12ihipStream_tbDpT10_ENKUlT_T0_E_clISt17integral_constantIbLb0EES18_IbLb1EEEEDaS14_S15_EUlS14_E_NS1_11comp_targetILNS1_3genE5ELNS1_11target_archE942ELNS1_3gpuE9ELNS1_3repE0EEENS1_30default_config_static_selectorELNS0_4arch9wavefront6targetE1EEEvT1_, .Lfunc_end2548-_ZN7rocprim17ROCPRIM_400000_NS6detail17trampoline_kernelINS0_14default_configENS1_25partition_config_selectorILNS1_17partition_subalgoE0EtNS0_10empty_typeEbEEZZNS1_14partition_implILS5_0ELb0ES3_jN6thrust23THRUST_200600_302600_NS6detail15normal_iteratorINSA_10device_ptrItEEEEPS6_SG_NS0_5tupleIJSF_NSA_16discard_iteratorINSA_11use_defaultEEEEEENSH_IJSG_SG_EEES6_PlJ7is_evenItEEEE10hipError_tPvRmT3_T4_T5_T6_T7_T9_mT8_P12ihipStream_tbDpT10_ENKUlT_T0_E_clISt17integral_constantIbLb0EES18_IbLb1EEEEDaS14_S15_EUlS14_E_NS1_11comp_targetILNS1_3genE5ELNS1_11target_archE942ELNS1_3gpuE9ELNS1_3repE0EEENS1_30default_config_static_selectorELNS0_4arch9wavefront6targetE1EEEvT1_
                                        ; -- End function
	.section	.AMDGPU.csdata,"",@progbits
; Kernel info:
; codeLenInByte = 0
; NumSgprs: 4
; NumVgprs: 0
; NumAgprs: 0
; TotalNumVgprs: 0
; ScratchSize: 0
; MemoryBound: 0
; FloatMode: 240
; IeeeMode: 1
; LDSByteSize: 0 bytes/workgroup (compile time only)
; SGPRBlocks: 0
; VGPRBlocks: 0
; NumSGPRsForWavesPerEU: 4
; NumVGPRsForWavesPerEU: 1
; AccumOffset: 4
; Occupancy: 8
; WaveLimiterHint : 0
; COMPUTE_PGM_RSRC2:SCRATCH_EN: 0
; COMPUTE_PGM_RSRC2:USER_SGPR: 6
; COMPUTE_PGM_RSRC2:TRAP_HANDLER: 0
; COMPUTE_PGM_RSRC2:TGID_X_EN: 1
; COMPUTE_PGM_RSRC2:TGID_Y_EN: 0
; COMPUTE_PGM_RSRC2:TGID_Z_EN: 0
; COMPUTE_PGM_RSRC2:TIDIG_COMP_CNT: 0
; COMPUTE_PGM_RSRC3_GFX90A:ACCUM_OFFSET: 0
; COMPUTE_PGM_RSRC3_GFX90A:TG_SPLIT: 0
	.section	.text._ZN7rocprim17ROCPRIM_400000_NS6detail17trampoline_kernelINS0_14default_configENS1_25partition_config_selectorILNS1_17partition_subalgoE0EtNS0_10empty_typeEbEEZZNS1_14partition_implILS5_0ELb0ES3_jN6thrust23THRUST_200600_302600_NS6detail15normal_iteratorINSA_10device_ptrItEEEEPS6_SG_NS0_5tupleIJSF_NSA_16discard_iteratorINSA_11use_defaultEEEEEENSH_IJSG_SG_EEES6_PlJ7is_evenItEEEE10hipError_tPvRmT3_T4_T5_T6_T7_T9_mT8_P12ihipStream_tbDpT10_ENKUlT_T0_E_clISt17integral_constantIbLb0EES18_IbLb1EEEEDaS14_S15_EUlS14_E_NS1_11comp_targetILNS1_3genE4ELNS1_11target_archE910ELNS1_3gpuE8ELNS1_3repE0EEENS1_30default_config_static_selectorELNS0_4arch9wavefront6targetE1EEEvT1_,"axG",@progbits,_ZN7rocprim17ROCPRIM_400000_NS6detail17trampoline_kernelINS0_14default_configENS1_25partition_config_selectorILNS1_17partition_subalgoE0EtNS0_10empty_typeEbEEZZNS1_14partition_implILS5_0ELb0ES3_jN6thrust23THRUST_200600_302600_NS6detail15normal_iteratorINSA_10device_ptrItEEEEPS6_SG_NS0_5tupleIJSF_NSA_16discard_iteratorINSA_11use_defaultEEEEEENSH_IJSG_SG_EEES6_PlJ7is_evenItEEEE10hipError_tPvRmT3_T4_T5_T6_T7_T9_mT8_P12ihipStream_tbDpT10_ENKUlT_T0_E_clISt17integral_constantIbLb0EES18_IbLb1EEEEDaS14_S15_EUlS14_E_NS1_11comp_targetILNS1_3genE4ELNS1_11target_archE910ELNS1_3gpuE8ELNS1_3repE0EEENS1_30default_config_static_selectorELNS0_4arch9wavefront6targetE1EEEvT1_,comdat
	.protected	_ZN7rocprim17ROCPRIM_400000_NS6detail17trampoline_kernelINS0_14default_configENS1_25partition_config_selectorILNS1_17partition_subalgoE0EtNS0_10empty_typeEbEEZZNS1_14partition_implILS5_0ELb0ES3_jN6thrust23THRUST_200600_302600_NS6detail15normal_iteratorINSA_10device_ptrItEEEEPS6_SG_NS0_5tupleIJSF_NSA_16discard_iteratorINSA_11use_defaultEEEEEENSH_IJSG_SG_EEES6_PlJ7is_evenItEEEE10hipError_tPvRmT3_T4_T5_T6_T7_T9_mT8_P12ihipStream_tbDpT10_ENKUlT_T0_E_clISt17integral_constantIbLb0EES18_IbLb1EEEEDaS14_S15_EUlS14_E_NS1_11comp_targetILNS1_3genE4ELNS1_11target_archE910ELNS1_3gpuE8ELNS1_3repE0EEENS1_30default_config_static_selectorELNS0_4arch9wavefront6targetE1EEEvT1_ ; -- Begin function _ZN7rocprim17ROCPRIM_400000_NS6detail17trampoline_kernelINS0_14default_configENS1_25partition_config_selectorILNS1_17partition_subalgoE0EtNS0_10empty_typeEbEEZZNS1_14partition_implILS5_0ELb0ES3_jN6thrust23THRUST_200600_302600_NS6detail15normal_iteratorINSA_10device_ptrItEEEEPS6_SG_NS0_5tupleIJSF_NSA_16discard_iteratorINSA_11use_defaultEEEEEENSH_IJSG_SG_EEES6_PlJ7is_evenItEEEE10hipError_tPvRmT3_T4_T5_T6_T7_T9_mT8_P12ihipStream_tbDpT10_ENKUlT_T0_E_clISt17integral_constantIbLb0EES18_IbLb1EEEEDaS14_S15_EUlS14_E_NS1_11comp_targetILNS1_3genE4ELNS1_11target_archE910ELNS1_3gpuE8ELNS1_3repE0EEENS1_30default_config_static_selectorELNS0_4arch9wavefront6targetE1EEEvT1_
	.globl	_ZN7rocprim17ROCPRIM_400000_NS6detail17trampoline_kernelINS0_14default_configENS1_25partition_config_selectorILNS1_17partition_subalgoE0EtNS0_10empty_typeEbEEZZNS1_14partition_implILS5_0ELb0ES3_jN6thrust23THRUST_200600_302600_NS6detail15normal_iteratorINSA_10device_ptrItEEEEPS6_SG_NS0_5tupleIJSF_NSA_16discard_iteratorINSA_11use_defaultEEEEEENSH_IJSG_SG_EEES6_PlJ7is_evenItEEEE10hipError_tPvRmT3_T4_T5_T6_T7_T9_mT8_P12ihipStream_tbDpT10_ENKUlT_T0_E_clISt17integral_constantIbLb0EES18_IbLb1EEEEDaS14_S15_EUlS14_E_NS1_11comp_targetILNS1_3genE4ELNS1_11target_archE910ELNS1_3gpuE8ELNS1_3repE0EEENS1_30default_config_static_selectorELNS0_4arch9wavefront6targetE1EEEvT1_
	.p2align	8
	.type	_ZN7rocprim17ROCPRIM_400000_NS6detail17trampoline_kernelINS0_14default_configENS1_25partition_config_selectorILNS1_17partition_subalgoE0EtNS0_10empty_typeEbEEZZNS1_14partition_implILS5_0ELb0ES3_jN6thrust23THRUST_200600_302600_NS6detail15normal_iteratorINSA_10device_ptrItEEEEPS6_SG_NS0_5tupleIJSF_NSA_16discard_iteratorINSA_11use_defaultEEEEEENSH_IJSG_SG_EEES6_PlJ7is_evenItEEEE10hipError_tPvRmT3_T4_T5_T6_T7_T9_mT8_P12ihipStream_tbDpT10_ENKUlT_T0_E_clISt17integral_constantIbLb0EES18_IbLb1EEEEDaS14_S15_EUlS14_E_NS1_11comp_targetILNS1_3genE4ELNS1_11target_archE910ELNS1_3gpuE8ELNS1_3repE0EEENS1_30default_config_static_selectorELNS0_4arch9wavefront6targetE1EEEvT1_,@function
_ZN7rocprim17ROCPRIM_400000_NS6detail17trampoline_kernelINS0_14default_configENS1_25partition_config_selectorILNS1_17partition_subalgoE0EtNS0_10empty_typeEbEEZZNS1_14partition_implILS5_0ELb0ES3_jN6thrust23THRUST_200600_302600_NS6detail15normal_iteratorINSA_10device_ptrItEEEEPS6_SG_NS0_5tupleIJSF_NSA_16discard_iteratorINSA_11use_defaultEEEEEENSH_IJSG_SG_EEES6_PlJ7is_evenItEEEE10hipError_tPvRmT3_T4_T5_T6_T7_T9_mT8_P12ihipStream_tbDpT10_ENKUlT_T0_E_clISt17integral_constantIbLb0EES18_IbLb1EEEEDaS14_S15_EUlS14_E_NS1_11comp_targetILNS1_3genE4ELNS1_11target_archE910ELNS1_3gpuE8ELNS1_3repE0EEENS1_30default_config_static_selectorELNS0_4arch9wavefront6targetE1EEEvT1_: ; @_ZN7rocprim17ROCPRIM_400000_NS6detail17trampoline_kernelINS0_14default_configENS1_25partition_config_selectorILNS1_17partition_subalgoE0EtNS0_10empty_typeEbEEZZNS1_14partition_implILS5_0ELb0ES3_jN6thrust23THRUST_200600_302600_NS6detail15normal_iteratorINSA_10device_ptrItEEEEPS6_SG_NS0_5tupleIJSF_NSA_16discard_iteratorINSA_11use_defaultEEEEEENSH_IJSG_SG_EEES6_PlJ7is_evenItEEEE10hipError_tPvRmT3_T4_T5_T6_T7_T9_mT8_P12ihipStream_tbDpT10_ENKUlT_T0_E_clISt17integral_constantIbLb0EES18_IbLb1EEEEDaS14_S15_EUlS14_E_NS1_11comp_targetILNS1_3genE4ELNS1_11target_archE910ELNS1_3gpuE8ELNS1_3repE0EEENS1_30default_config_static_selectorELNS0_4arch9wavefront6targetE1EEEvT1_
; %bb.0:
	s_load_dwordx2 s[24:25], s[4:5], 0x28
	s_load_dwordx4 s[20:23], s[4:5], 0x50
	s_load_dwordx2 s[2:3], s[4:5], 0x60
	s_load_dwordx2 s[26:27], s[4:5], 0x70
	v_cmp_eq_u32_e64 s[0:1], 0, v0
	s_and_saveexec_b64 s[6:7], s[0:1]
	s_cbranch_execz .LBB2549_4
; %bb.1:
	s_mov_b64 s[10:11], exec
	v_mbcnt_lo_u32_b32 v1, s10, 0
	v_mbcnt_hi_u32_b32 v1, s11, v1
	v_cmp_eq_u32_e32 vcc, 0, v1
                                        ; implicit-def: $vgpr2
	s_and_saveexec_b64 s[8:9], vcc
	s_cbranch_execz .LBB2549_3
; %bb.2:
	s_load_dwordx2 s[12:13], s[4:5], 0x80
	s_bcnt1_i32_b64 s10, s[10:11]
	v_mov_b32_e32 v2, 0
	v_mov_b32_e32 v3, s10
	s_waitcnt lgkmcnt(0)
	global_atomic_add v2, v2, v3, s[12:13] glc
.LBB2549_3:
	s_or_b64 exec, exec, s[8:9]
	s_waitcnt vmcnt(0)
	v_readfirstlane_b32 s8, v2
	v_add_u32_e32 v1, s8, v1
	v_mov_b32_e32 v2, 0
	ds_write_b32 v2, v1
.LBB2549_4:
	s_or_b64 exec, exec, s[6:7]
	v_mov_b32_e32 v3, 0
	s_load_dwordx4 s[8:11], s[4:5], 0x8
	s_load_dword s6, s[4:5], 0x78
	s_waitcnt lgkmcnt(0)
	s_barrier
	ds_read_b32 v1, v3
	s_waitcnt lgkmcnt(0)
	s_barrier
	global_load_dwordx2 v[14:15], v3, s[22:23]
	v_mov_b32_e32 v5, s3
	s_lshl_b64 s[4:5], s[10:11], 1
	s_movk_i32 s3, 0x1c00
	s_add_u32 s7, s8, s4
	v_mul_lo_u32 v2, v1, s3
	s_mul_i32 s3, s6, 0x1c00
	s_addc_u32 s8, s9, s5
	s_add_i32 s5, s3, s10
	s_add_i32 s4, s6, -1
	s_sub_i32 s33, s2, s5
	v_mov_b32_e32 v4, s2
	s_add_u32 s2, s10, s3
	v_readfirstlane_b32 s36, v1
	s_addc_u32 s3, s11, 0
	s_cmp_eq_u32 s36, s4
	s_cselect_b64 s[22:23], -1, 0
	s_cmp_lg_u32 s36, s4
	v_cmp_lt_u64_e32 vcc, s[2:3], v[4:5]
	s_cselect_b64 s[2:3], -1, 0
	v_lshlrev_b64 v[2:3], 1, v[2:3]
	s_or_b64 s[4:5], vcc, s[2:3]
	v_mov_b32_e32 v1, s8
	v_add_co_u32_e32 v2, vcc, s7, v2
	v_addc_co_u32_e32 v3, vcc, v1, v3, vcc
	s_mov_b64 s[2:3], -1
	s_and_b64 vcc, exec, s[4:5]
	v_lshlrev_b32_e32 v1, 1, v0
	s_cbranch_vccz .LBB2549_6
; %bb.5:
	v_add_co_u32_e32 v4, vcc, v2, v1
	v_addc_co_u32_e32 v5, vcc, 0, v3, vcc
	v_add_co_u32_e32 v6, vcc, 0x1000, v4
	v_addc_co_u32_e32 v7, vcc, 0, v5, vcc
	flat_load_ushort v8, v[4:5]
	flat_load_ushort v9, v[4:5] offset:512
	flat_load_ushort v10, v[4:5] offset:1024
	;; [unrolled: 1-line block ×7, first 2 shown]
	flat_load_ushort v18, v[6:7]
	flat_load_ushort v19, v[6:7] offset:512
	flat_load_ushort v20, v[6:7] offset:1024
	;; [unrolled: 1-line block ×7, first 2 shown]
	v_add_co_u32_e32 v6, vcc, 0x2000, v4
	v_addc_co_u32_e32 v7, vcc, 0, v5, vcc
	v_add_co_u32_e32 v4, vcc, 0x3000, v4
	v_addc_co_u32_e32 v5, vcc, 0, v5, vcc
	flat_load_ushort v26, v[6:7]
	flat_load_ushort v27, v[6:7] offset:512
	flat_load_ushort v28, v[6:7] offset:1024
	flat_load_ushort v29, v[6:7] offset:1536
	flat_load_ushort v30, v[6:7] offset:2048
	flat_load_ushort v31, v[6:7] offset:2560
	flat_load_ushort v32, v[6:7] offset:3072
	flat_load_ushort v33, v[6:7] offset:3584
	s_nop 0
	flat_load_ushort v6, v[4:5]
	flat_load_ushort v7, v[4:5] offset:512
	flat_load_ushort v34, v[4:5] offset:1024
	;; [unrolled: 1-line block ×3, first 2 shown]
	s_mov_b64 s[2:3], 0
	s_waitcnt vmcnt(0) lgkmcnt(0)
	ds_write_b16 v1, v8
	ds_write_b16 v1, v9 offset:512
	ds_write_b16 v1, v10 offset:1024
	;; [unrolled: 1-line block ×27, first 2 shown]
	s_waitcnt lgkmcnt(0)
	s_barrier
.LBB2549_6:
	s_andn2_b64 vcc, exec, s[2:3]
	s_addk_i32 s33, 0x1c00
	s_cbranch_vccnz .LBB2549_64
; %bb.7:
	v_cmp_gt_u32_e32 vcc, s33, v0
                                        ; implicit-def: $vgpr4
	s_and_saveexec_b64 s[2:3], vcc
	s_cbranch_execz .LBB2549_9
; %bb.8:
	v_add_co_u32_e32 v4, vcc, v2, v1
	v_addc_co_u32_e32 v5, vcc, 0, v3, vcc
	flat_load_ushort v4, v[4:5]
.LBB2549_9:
	s_or_b64 exec, exec, s[2:3]
	v_or_b32_e32 v5, 0x100, v0
	v_cmp_gt_u32_e32 vcc, s33, v5
                                        ; implicit-def: $vgpr5
	s_and_saveexec_b64 s[2:3], vcc
	s_cbranch_execz .LBB2549_11
; %bb.10:
	v_add_co_u32_e32 v6, vcc, v2, v1
	v_addc_co_u32_e32 v7, vcc, 0, v3, vcc
	flat_load_ushort v5, v[6:7] offset:512
.LBB2549_11:
	s_or_b64 exec, exec, s[2:3]
	v_or_b32_e32 v6, 0x200, v0
	v_cmp_gt_u32_e32 vcc, s33, v6
                                        ; implicit-def: $vgpr6
	s_and_saveexec_b64 s[2:3], vcc
	s_cbranch_execz .LBB2549_13
; %bb.12:
	v_add_co_u32_e32 v6, vcc, v2, v1
	v_addc_co_u32_e32 v7, vcc, 0, v3, vcc
	flat_load_ushort v6, v[6:7] offset:1024
.LBB2549_13:
	s_or_b64 exec, exec, s[2:3]
	v_or_b32_e32 v7, 0x300, v0
	v_cmp_gt_u32_e32 vcc, s33, v7
                                        ; implicit-def: $vgpr7
	s_and_saveexec_b64 s[2:3], vcc
	s_cbranch_execz .LBB2549_15
; %bb.14:
	v_add_co_u32_e32 v8, vcc, v2, v1
	v_addc_co_u32_e32 v9, vcc, 0, v3, vcc
	flat_load_ushort v7, v[8:9] offset:1536
.LBB2549_15:
	s_or_b64 exec, exec, s[2:3]
	v_or_b32_e32 v8, 0x400, v0
	v_cmp_gt_u32_e32 vcc, s33, v8
                                        ; implicit-def: $vgpr8
	s_and_saveexec_b64 s[2:3], vcc
	s_cbranch_execz .LBB2549_17
; %bb.16:
	v_add_co_u32_e32 v8, vcc, v2, v1
	v_addc_co_u32_e32 v9, vcc, 0, v3, vcc
	flat_load_ushort v8, v[8:9] offset:2048
.LBB2549_17:
	s_or_b64 exec, exec, s[2:3]
	v_or_b32_e32 v9, 0x500, v0
	v_cmp_gt_u32_e32 vcc, s33, v9
                                        ; implicit-def: $vgpr9
	s_and_saveexec_b64 s[2:3], vcc
	s_cbranch_execz .LBB2549_19
; %bb.18:
	v_add_co_u32_e32 v10, vcc, v2, v1
	v_addc_co_u32_e32 v11, vcc, 0, v3, vcc
	flat_load_ushort v9, v[10:11] offset:2560
.LBB2549_19:
	s_or_b64 exec, exec, s[2:3]
	v_or_b32_e32 v10, 0x600, v0
	v_cmp_gt_u32_e32 vcc, s33, v10
                                        ; implicit-def: $vgpr10
	s_and_saveexec_b64 s[2:3], vcc
	s_cbranch_execz .LBB2549_21
; %bb.20:
	v_add_co_u32_e32 v10, vcc, v2, v1
	v_addc_co_u32_e32 v11, vcc, 0, v3, vcc
	flat_load_ushort v10, v[10:11] offset:3072
.LBB2549_21:
	s_or_b64 exec, exec, s[2:3]
	v_or_b32_e32 v11, 0x700, v0
	v_cmp_gt_u32_e32 vcc, s33, v11
                                        ; implicit-def: $vgpr11
	s_and_saveexec_b64 s[2:3], vcc
	s_cbranch_execz .LBB2549_23
; %bb.22:
	v_add_co_u32_e32 v12, vcc, v2, v1
	v_addc_co_u32_e32 v13, vcc, 0, v3, vcc
	flat_load_ushort v11, v[12:13] offset:3584
.LBB2549_23:
	s_or_b64 exec, exec, s[2:3]
	v_or_b32_e32 v13, 0x800, v0
	v_cmp_gt_u32_e32 vcc, s33, v13
                                        ; implicit-def: $vgpr12
	s_and_saveexec_b64 s[2:3], vcc
	s_cbranch_execz .LBB2549_25
; %bb.24:
	v_lshlrev_b32_e32 v12, 1, v13
	v_add_co_u32_e32 v12, vcc, v2, v12
	v_addc_co_u32_e32 v13, vcc, 0, v3, vcc
	flat_load_ushort v12, v[12:13]
.LBB2549_25:
	s_or_b64 exec, exec, s[2:3]
	v_or_b32_e32 v16, 0x900, v0
	v_cmp_gt_u32_e32 vcc, s33, v16
                                        ; implicit-def: $vgpr13
	s_and_saveexec_b64 s[2:3], vcc
	s_cbranch_execz .LBB2549_27
; %bb.26:
	v_lshlrev_b32_e32 v13, 1, v16
	v_add_co_u32_e32 v16, vcc, v2, v13
	v_addc_co_u32_e32 v17, vcc, 0, v3, vcc
	flat_load_ushort v13, v[16:17]
.LBB2549_27:
	s_or_b64 exec, exec, s[2:3]
	v_or_b32_e32 v17, 0xa00, v0
	v_cmp_gt_u32_e32 vcc, s33, v17
                                        ; implicit-def: $vgpr16
	s_and_saveexec_b64 s[2:3], vcc
	s_cbranch_execz .LBB2549_29
; %bb.28:
	v_lshlrev_b32_e32 v16, 1, v17
	v_add_co_u32_e32 v16, vcc, v2, v16
	v_addc_co_u32_e32 v17, vcc, 0, v3, vcc
	flat_load_ushort v16, v[16:17]
.LBB2549_29:
	s_or_b64 exec, exec, s[2:3]
	v_or_b32_e32 v18, 0xb00, v0
	v_cmp_gt_u32_e32 vcc, s33, v18
                                        ; implicit-def: $vgpr17
	s_and_saveexec_b64 s[2:3], vcc
	s_cbranch_execz .LBB2549_31
; %bb.30:
	v_lshlrev_b32_e32 v17, 1, v18
	v_add_co_u32_e32 v18, vcc, v2, v17
	v_addc_co_u32_e32 v19, vcc, 0, v3, vcc
	flat_load_ushort v17, v[18:19]
.LBB2549_31:
	s_or_b64 exec, exec, s[2:3]
	v_or_b32_e32 v19, 0xc00, v0
	v_cmp_gt_u32_e32 vcc, s33, v19
                                        ; implicit-def: $vgpr18
	s_and_saveexec_b64 s[2:3], vcc
	s_cbranch_execz .LBB2549_33
; %bb.32:
	v_lshlrev_b32_e32 v18, 1, v19
	v_add_co_u32_e32 v18, vcc, v2, v18
	v_addc_co_u32_e32 v19, vcc, 0, v3, vcc
	flat_load_ushort v18, v[18:19]
.LBB2549_33:
	s_or_b64 exec, exec, s[2:3]
	v_or_b32_e32 v20, 0xd00, v0
	v_cmp_gt_u32_e32 vcc, s33, v20
                                        ; implicit-def: $vgpr19
	s_and_saveexec_b64 s[2:3], vcc
	s_cbranch_execz .LBB2549_35
; %bb.34:
	v_lshlrev_b32_e32 v19, 1, v20
	v_add_co_u32_e32 v20, vcc, v2, v19
	v_addc_co_u32_e32 v21, vcc, 0, v3, vcc
	flat_load_ushort v19, v[20:21]
.LBB2549_35:
	s_or_b64 exec, exec, s[2:3]
	v_or_b32_e32 v21, 0xe00, v0
	v_cmp_gt_u32_e32 vcc, s33, v21
                                        ; implicit-def: $vgpr20
	s_and_saveexec_b64 s[2:3], vcc
	s_cbranch_execz .LBB2549_37
; %bb.36:
	v_lshlrev_b32_e32 v20, 1, v21
	v_add_co_u32_e32 v20, vcc, v2, v20
	v_addc_co_u32_e32 v21, vcc, 0, v3, vcc
	flat_load_ushort v20, v[20:21]
.LBB2549_37:
	s_or_b64 exec, exec, s[2:3]
	v_or_b32_e32 v22, 0xf00, v0
	v_cmp_gt_u32_e32 vcc, s33, v22
                                        ; implicit-def: $vgpr21
	s_and_saveexec_b64 s[2:3], vcc
	s_cbranch_execz .LBB2549_39
; %bb.38:
	v_lshlrev_b32_e32 v21, 1, v22
	v_add_co_u32_e32 v22, vcc, v2, v21
	v_addc_co_u32_e32 v23, vcc, 0, v3, vcc
	flat_load_ushort v21, v[22:23]
.LBB2549_39:
	s_or_b64 exec, exec, s[2:3]
	v_or_b32_e32 v23, 0x1000, v0
	v_cmp_gt_u32_e32 vcc, s33, v23
                                        ; implicit-def: $vgpr22
	s_and_saveexec_b64 s[2:3], vcc
	s_cbranch_execz .LBB2549_41
; %bb.40:
	v_lshlrev_b32_e32 v22, 1, v23
	v_add_co_u32_e32 v22, vcc, v2, v22
	v_addc_co_u32_e32 v23, vcc, 0, v3, vcc
	flat_load_ushort v22, v[22:23]
.LBB2549_41:
	s_or_b64 exec, exec, s[2:3]
	v_or_b32_e32 v24, 0x1100, v0
	v_cmp_gt_u32_e32 vcc, s33, v24
                                        ; implicit-def: $vgpr23
	s_and_saveexec_b64 s[2:3], vcc
	s_cbranch_execz .LBB2549_43
; %bb.42:
	v_lshlrev_b32_e32 v23, 1, v24
	v_add_co_u32_e32 v24, vcc, v2, v23
	v_addc_co_u32_e32 v25, vcc, 0, v3, vcc
	flat_load_ushort v23, v[24:25]
.LBB2549_43:
	s_or_b64 exec, exec, s[2:3]
	v_or_b32_e32 v25, 0x1200, v0
	v_cmp_gt_u32_e32 vcc, s33, v25
                                        ; implicit-def: $vgpr24
	s_and_saveexec_b64 s[2:3], vcc
	s_cbranch_execz .LBB2549_45
; %bb.44:
	v_lshlrev_b32_e32 v24, 1, v25
	v_add_co_u32_e32 v24, vcc, v2, v24
	v_addc_co_u32_e32 v25, vcc, 0, v3, vcc
	flat_load_ushort v24, v[24:25]
.LBB2549_45:
	s_or_b64 exec, exec, s[2:3]
	v_or_b32_e32 v26, 0x1300, v0
	v_cmp_gt_u32_e32 vcc, s33, v26
                                        ; implicit-def: $vgpr25
	s_and_saveexec_b64 s[2:3], vcc
	s_cbranch_execz .LBB2549_47
; %bb.46:
	v_lshlrev_b32_e32 v25, 1, v26
	v_add_co_u32_e32 v26, vcc, v2, v25
	v_addc_co_u32_e32 v27, vcc, 0, v3, vcc
	flat_load_ushort v25, v[26:27]
.LBB2549_47:
	s_or_b64 exec, exec, s[2:3]
	v_or_b32_e32 v27, 0x1400, v0
	v_cmp_gt_u32_e32 vcc, s33, v27
                                        ; implicit-def: $vgpr26
	s_and_saveexec_b64 s[2:3], vcc
	s_cbranch_execz .LBB2549_49
; %bb.48:
	v_lshlrev_b32_e32 v26, 1, v27
	v_add_co_u32_e32 v26, vcc, v2, v26
	v_addc_co_u32_e32 v27, vcc, 0, v3, vcc
	flat_load_ushort v26, v[26:27]
.LBB2549_49:
	s_or_b64 exec, exec, s[2:3]
	v_or_b32_e32 v28, 0x1500, v0
	v_cmp_gt_u32_e32 vcc, s33, v28
                                        ; implicit-def: $vgpr27
	s_and_saveexec_b64 s[2:3], vcc
	s_cbranch_execz .LBB2549_51
; %bb.50:
	v_lshlrev_b32_e32 v27, 1, v28
	v_add_co_u32_e32 v28, vcc, v2, v27
	v_addc_co_u32_e32 v29, vcc, 0, v3, vcc
	flat_load_ushort v27, v[28:29]
.LBB2549_51:
	s_or_b64 exec, exec, s[2:3]
	v_or_b32_e32 v29, 0x1600, v0
	v_cmp_gt_u32_e32 vcc, s33, v29
                                        ; implicit-def: $vgpr28
	s_and_saveexec_b64 s[2:3], vcc
	s_cbranch_execz .LBB2549_53
; %bb.52:
	v_lshlrev_b32_e32 v28, 1, v29
	v_add_co_u32_e32 v28, vcc, v2, v28
	v_addc_co_u32_e32 v29, vcc, 0, v3, vcc
	flat_load_ushort v28, v[28:29]
.LBB2549_53:
	s_or_b64 exec, exec, s[2:3]
	v_or_b32_e32 v30, 0x1700, v0
	v_cmp_gt_u32_e32 vcc, s33, v30
                                        ; implicit-def: $vgpr29
	s_and_saveexec_b64 s[2:3], vcc
	s_cbranch_execz .LBB2549_55
; %bb.54:
	v_lshlrev_b32_e32 v29, 1, v30
	v_add_co_u32_e32 v30, vcc, v2, v29
	v_addc_co_u32_e32 v31, vcc, 0, v3, vcc
	flat_load_ushort v29, v[30:31]
.LBB2549_55:
	s_or_b64 exec, exec, s[2:3]
	v_or_b32_e32 v31, 0x1800, v0
	v_cmp_gt_u32_e32 vcc, s33, v31
                                        ; implicit-def: $vgpr30
	s_and_saveexec_b64 s[2:3], vcc
	s_cbranch_execz .LBB2549_57
; %bb.56:
	v_lshlrev_b32_e32 v30, 1, v31
	v_add_co_u32_e32 v30, vcc, v2, v30
	v_addc_co_u32_e32 v31, vcc, 0, v3, vcc
	flat_load_ushort v30, v[30:31]
.LBB2549_57:
	s_or_b64 exec, exec, s[2:3]
	v_or_b32_e32 v32, 0x1900, v0
	v_cmp_gt_u32_e32 vcc, s33, v32
                                        ; implicit-def: $vgpr31
	s_and_saveexec_b64 s[2:3], vcc
	s_cbranch_execz .LBB2549_59
; %bb.58:
	v_lshlrev_b32_e32 v31, 1, v32
	v_add_co_u32_e32 v32, vcc, v2, v31
	v_addc_co_u32_e32 v33, vcc, 0, v3, vcc
	flat_load_ushort v31, v[32:33]
.LBB2549_59:
	s_or_b64 exec, exec, s[2:3]
	v_or_b32_e32 v33, 0x1a00, v0
	v_cmp_gt_u32_e32 vcc, s33, v33
                                        ; implicit-def: $vgpr32
	s_and_saveexec_b64 s[2:3], vcc
	s_cbranch_execz .LBB2549_61
; %bb.60:
	v_lshlrev_b32_e32 v32, 1, v33
	v_add_co_u32_e32 v32, vcc, v2, v32
	v_addc_co_u32_e32 v33, vcc, 0, v3, vcc
	flat_load_ushort v32, v[32:33]
.LBB2549_61:
	s_or_b64 exec, exec, s[2:3]
	v_or_b32_e32 v34, 0x1b00, v0
	v_cmp_gt_u32_e32 vcc, s33, v34
                                        ; implicit-def: $vgpr33
	s_and_saveexec_b64 s[2:3], vcc
	s_cbranch_execz .LBB2549_63
; %bb.62:
	v_lshlrev_b32_e32 v33, 1, v34
	v_add_co_u32_e32 v2, vcc, v2, v33
	v_addc_co_u32_e32 v3, vcc, 0, v3, vcc
	flat_load_ushort v33, v[2:3]
.LBB2549_63:
	s_or_b64 exec, exec, s[2:3]
	s_waitcnt vmcnt(0) lgkmcnt(0)
	ds_write_b16 v1, v4
	ds_write_b16 v1, v5 offset:512
	ds_write_b16 v1, v6 offset:1024
	;; [unrolled: 1-line block ×27, first 2 shown]
	s_waitcnt lgkmcnt(0)
	s_barrier
.LBB2549_64:
	v_mul_u32_u24_e32 v41, 28, v0
	v_lshlrev_b32_e32 v6, 1, v41
	ds_read_b64 v[20:21], v6 offset:48
	ds_read2_b64 v[2:5], v6 offset0:4 offset1:5
	ds_read2_b64 v[10:13], v6 offset1:1
	ds_read2_b64 v[6:9], v6 offset0:2 offset1:3
	v_cndmask_b32_e64 v16, 0, 1, s[4:5]
	s_waitcnt lgkmcnt(3)
	v_lshrrev_b32_e32 v29, 16, v20
	v_lshrrev_b32_e32 v28, 16, v21
	s_waitcnt lgkmcnt(2)
	v_lshrrev_b32_e32 v33, 16, v2
	v_lshrrev_b32_e32 v32, 16, v3
	v_lshrrev_b32_e32 v31, 16, v4
	v_lshrrev_b32_e32 v30, 16, v5
	s_waitcnt lgkmcnt(1)
	v_lshrrev_b32_e32 v42, 16, v10
	v_lshrrev_b32_e32 v40, 16, v11
	;; [unrolled: 5-line block ×3, first 2 shown]
	v_lshrrev_b32_e32 v35, 16, v8
	v_lshrrev_b32_e32 v34, 16, v9
	v_cmp_ne_u32_e64 s[2:3], 1, v16
	s_andn2_b64 vcc, exec, s[4:5]
	v_xor_b32_e32 v88, -1, v10
	v_xor_b32_e32 v87, -1, v42
	;; [unrolled: 1-line block ×28, first 2 shown]
	s_barrier
	s_cbranch_vccnz .LBB2549_66
; %bb.65:
	v_and_b32_e32 v70, 1, v88
	v_and_b32_e32 v69, 1, v87
	;; [unrolled: 1-line block ×28, first 2 shown]
	s_cbranch_execz .LBB2549_67
	s_branch .LBB2549_68
.LBB2549_66:
                                        ; implicit-def: $vgpr70
                                        ; implicit-def: $vgpr69
                                        ; implicit-def: $vgpr68
                                        ; implicit-def: $vgpr67
                                        ; implicit-def: $vgpr66
                                        ; implicit-def: $vgpr65
                                        ; implicit-def: $vgpr64
                                        ; implicit-def: $vgpr63
                                        ; implicit-def: $vgpr62
                                        ; implicit-def: $vgpr61
                                        ; implicit-def: $vgpr60
                                        ; implicit-def: $vgpr59
                                        ; implicit-def: $vgpr58
                                        ; implicit-def: $vgpr57
                                        ; implicit-def: $vgpr56
                                        ; implicit-def: $vgpr55
                                        ; implicit-def: $vgpr54
                                        ; implicit-def: $vgpr53
                                        ; implicit-def: $vgpr52
                                        ; implicit-def: $vgpr51
                                        ; implicit-def: $vgpr50
                                        ; implicit-def: $vgpr49
                                        ; implicit-def: $vgpr48
                                        ; implicit-def: $vgpr47
                                        ; implicit-def: $vgpr46
                                        ; implicit-def: $vgpr45
                                        ; implicit-def: $vgpr43
                                        ; implicit-def: $vgpr44
.LBB2549_67:
	v_or_b32_e32 v52, 1, v41
	v_cmp_gt_u32_e32 vcc, s33, v41
	v_or_b32_e32 v53, 2, v41
	v_cndmask_b32_e64 v61, 0, 1, vcc
	v_cmp_gt_u32_e32 vcc, s33, v52
	v_or_b32_e32 v54, 3, v41
	v_cndmask_b32_e64 v52, 0, 1, vcc
	v_cmp_gt_u32_e32 vcc, s33, v53
	v_add_u32_e32 v55, 4, v41
	v_and_b32_e32 v69, v52, v87
	v_cndmask_b32_e64 v52, 0, 1, vcc
	v_cmp_gt_u32_e32 vcc, s33, v54
	v_add_u32_e32 v56, 5, v41
	v_and_b32_e32 v68, v52, v86
	v_cndmask_b32_e64 v52, 0, 1, vcc
	v_cmp_gt_u32_e32 vcc, s33, v55
	v_add_u32_e32 v57, 6, v41
	v_and_b32_e32 v67, v52, v85
	v_cndmask_b32_e64 v52, 0, 1, vcc
	v_cmp_gt_u32_e32 vcc, s33, v56
	v_add_u32_e32 v58, 7, v41
	v_and_b32_e32 v66, v52, v84
	v_cndmask_b32_e64 v52, 0, 1, vcc
	v_cmp_gt_u32_e32 vcc, s33, v57
	v_add_u32_e32 v59, 8, v41
	v_and_b32_e32 v65, v52, v83
	v_cndmask_b32_e64 v52, 0, 1, vcc
	v_cmp_gt_u32_e32 vcc, s33, v58
	v_add_u32_e32 v60, 9, v41
	v_and_b32_e32 v64, v52, v82
	v_cndmask_b32_e64 v52, 0, 1, vcc
	v_cmp_gt_u32_e32 vcc, s33, v59
	v_add_u32_e32 v89, 10, v41
	v_and_b32_e32 v63, v52, v81
	v_cndmask_b32_e64 v52, 0, 1, vcc
	v_cmp_gt_u32_e32 vcc, s33, v60
	v_add_u32_e32 v90, 11, v41
	v_and_b32_e32 v62, v52, v80
	v_cndmask_b32_e64 v52, 0, 1, vcc
	v_cmp_gt_u32_e32 vcc, s33, v89
	v_add_u32_e32 v91, 12, v41
	v_and_b32_e32 v70, v61, v88
	v_and_b32_e32 v61, v52, v79
	v_cndmask_b32_e64 v52, 0, 1, vcc
	v_cmp_gt_u32_e32 vcc, s33, v90
	v_add_u32_e32 v92, 13, v41
	v_and_b32_e32 v60, v52, v78
	v_cndmask_b32_e64 v52, 0, 1, vcc
	v_cmp_gt_u32_e32 vcc, s33, v91
	v_add_u32_e32 v93, 14, v41
	;; [unrolled: 4-line block ×15, first 2 shown]
	v_and_b32_e32 v46, v22, v19
	v_cndmask_b32_e64 v19, 0, 1, vcc
	v_cmp_gt_u32_e32 vcc, s33, v43
	v_and_b32_e32 v45, v19, v18
	v_cndmask_b32_e64 v18, 0, 1, vcc
	v_cmp_gt_u32_e32 vcc, s33, v44
	v_and_b32_e32 v43, v18, v17
	v_cndmask_b32_e64 v17, 0, 1, vcc
	v_and_b32_e32 v44, v17, v16
.LBB2549_68:
	v_and_b32_e32 v95, 0xff, v46
	v_and_b32_e32 v96, 0xff, v45
	v_add_u32_sdwa v16, v43, v44 dst_sel:DWORD dst_unused:UNUSED_PAD src0_sel:BYTE_0 src1_sel:BYTE_0
	v_and_b32_e32 v93, 0xff, v48
	v_and_b32_e32 v94, 0xff, v47
	v_add3_u32 v16, v16, v96, v95
	v_and_b32_e32 v91, 0xff, v50
	v_and_b32_e32 v92, 0xff, v49
	v_add3_u32 v16, v16, v94, v93
	v_and_b32_e32 v89, 0xff, v52
	v_and_b32_e32 v90, 0xff, v51
	v_add3_u32 v16, v16, v92, v91
	v_and_b32_e32 v87, 0xff, v54
	v_and_b32_e32 v88, 0xff, v53
	v_add3_u32 v16, v16, v90, v89
	v_and_b32_e32 v85, 0xff, v56
	v_and_b32_e32 v86, 0xff, v55
	v_add3_u32 v16, v16, v88, v87
	v_and_b32_e32 v83, 0xff, v58
	v_and_b32_e32 v84, 0xff, v57
	v_add3_u32 v16, v16, v86, v85
	v_and_b32_e32 v81, 0xff, v60
	v_and_b32_e32 v82, 0xff, v59
	v_add3_u32 v16, v16, v84, v83
	v_and_b32_e32 v79, 0xff, v62
	v_and_b32_e32 v80, 0xff, v61
	v_add3_u32 v16, v16, v82, v81
	v_and_b32_e32 v77, 0xff, v64
	v_and_b32_e32 v78, 0xff, v63
	v_add3_u32 v16, v16, v80, v79
	v_and_b32_e32 v75, 0xff, v66
	v_and_b32_e32 v76, 0xff, v65
	v_add3_u32 v16, v16, v78, v77
	v_and_b32_e32 v73, 0xff, v68
	v_and_b32_e32 v74, 0xff, v67
	v_add3_u32 v16, v16, v76, v75
	v_and_b32_e32 v71, 0xff, v70
	v_and_b32_e32 v72, 0xff, v69
	v_add3_u32 v16, v16, v74, v73
	v_add3_u32 v99, v16, v72, v71
	v_mbcnt_lo_u32_b32 v16, -1, 0
	v_mbcnt_hi_u32_b32 v97, -1, v16
	v_and_b32_e32 v16, 15, v97
	v_cmp_eq_u32_e64 s[16:17], 0, v16
	v_cmp_lt_u32_e64 s[14:15], 1, v16
	v_cmp_lt_u32_e64 s[12:13], 3, v16
	;; [unrolled: 1-line block ×3, first 2 shown]
	v_and_b32_e32 v16, 16, v97
	v_cmp_eq_u32_e64 s[8:9], 0, v16
	v_or_b32_e32 v16, 63, v0
	s_cmp_lg_u32 s36, 0
	v_cmp_lt_u32_e64 s[4:5], 31, v97
	v_lshrrev_b32_e32 v98, 6, v0
	v_cmp_eq_u32_e64 s[6:7], v16, v0
	s_cbranch_scc0 .LBB2549_95
; %bb.69:
	v_mov_b32_dpp v16, v99 row_shr:1 row_mask:0xf bank_mask:0xf
	v_cndmask_b32_e64 v16, v16, 0, s[16:17]
	v_add_u32_e32 v16, v16, v99
	s_nop 1
	v_mov_b32_dpp v17, v16 row_shr:2 row_mask:0xf bank_mask:0xf
	v_cndmask_b32_e64 v17, 0, v17, s[14:15]
	v_add_u32_e32 v16, v16, v17
	s_nop 1
	v_mov_b32_dpp v17, v16 row_shr:4 row_mask:0xf bank_mask:0xf
	v_cndmask_b32_e64 v17, 0, v17, s[12:13]
	v_add_u32_e32 v16, v16, v17
	s_nop 1
	v_mov_b32_dpp v17, v16 row_shr:8 row_mask:0xf bank_mask:0xf
	v_cndmask_b32_e64 v17, 0, v17, s[10:11]
	v_add_u32_e32 v16, v16, v17
	s_nop 1
	v_mov_b32_dpp v17, v16 row_bcast:15 row_mask:0xf bank_mask:0xf
	v_cndmask_b32_e64 v17, v17, 0, s[8:9]
	v_add_u32_e32 v16, v16, v17
	s_nop 1
	v_mov_b32_dpp v17, v16 row_bcast:31 row_mask:0xf bank_mask:0xf
	v_cndmask_b32_e64 v17, 0, v17, s[4:5]
	v_add_u32_e32 v16, v16, v17
	s_and_saveexec_b64 s[18:19], s[6:7]
	s_cbranch_execz .LBB2549_71
; %bb.70:
	v_lshlrev_b32_e32 v17, 2, v98
	ds_write_b32 v17, v16
.LBB2549_71:
	s_or_b64 exec, exec, s[18:19]
	v_cmp_gt_u32_e32 vcc, 4, v0
	s_waitcnt lgkmcnt(0)
	s_barrier
	s_and_saveexec_b64 s[18:19], vcc
	s_cbranch_execz .LBB2549_73
; %bb.72:
	v_lshlrev_b32_e32 v17, 2, v0
	ds_read_b32 v18, v17
	v_and_b32_e32 v19, 3, v97
	v_cmp_ne_u32_e32 vcc, 0, v19
	s_waitcnt lgkmcnt(0)
	v_mov_b32_dpp v22, v18 row_shr:1 row_mask:0xf bank_mask:0xf
	v_cndmask_b32_e32 v22, 0, v22, vcc
	v_add_u32_e32 v18, v22, v18
	v_cmp_lt_u32_e32 vcc, 1, v19
	s_nop 0
	v_mov_b32_dpp v22, v18 row_shr:2 row_mask:0xf bank_mask:0xf
	v_cndmask_b32_e32 v19, 0, v22, vcc
	v_add_u32_e32 v18, v18, v19
	ds_write_b32 v17, v18
.LBB2549_73:
	s_or_b64 exec, exec, s[18:19]
	v_cmp_gt_u32_e32 vcc, 64, v0
	v_cmp_lt_u32_e64 s[18:19], 63, v0
	s_waitcnt lgkmcnt(0)
	s_barrier
	s_waitcnt lgkmcnt(0)
                                        ; implicit-def: $vgpr100
	s_and_saveexec_b64 s[28:29], s[18:19]
	s_cbranch_execz .LBB2549_75
; %bb.74:
	v_lshl_add_u32 v17, v98, 2, -4
	ds_read_b32 v100, v17
	s_waitcnt lgkmcnt(0)
	v_add_u32_e32 v16, v100, v16
.LBB2549_75:
	s_or_b64 exec, exec, s[28:29]
	v_add_u32_e32 v17, -1, v97
	v_and_b32_e32 v18, 64, v97
	v_cmp_lt_i32_e64 s[18:19], v17, v18
	v_cndmask_b32_e64 v17, v17, v97, s[18:19]
	v_lshlrev_b32_e32 v17, 2, v17
	ds_bpermute_b32 v101, v17, v16
	v_cmp_eq_u32_e64 s[18:19], 0, v97
	s_and_saveexec_b64 s[28:29], vcc
	s_cbranch_execz .LBB2549_94
; %bb.76:
	v_mov_b32_e32 v25, 0
	ds_read_b32 v16, v25 offset:12
	s_and_saveexec_b64 s[30:31], s[18:19]
	s_cbranch_execz .LBB2549_78
; %bb.77:
	s_add_i32 s34, s36, 64
	s_mov_b32 s35, 0
	s_lshl_b64 s[34:35], s[34:35], 3
	s_add_u32 s34, s26, s34
	v_mov_b32_e32 v17, 1
	s_addc_u32 s35, s27, s35
	s_waitcnt lgkmcnt(0)
	global_store_dwordx2 v25, v[16:17], s[34:35]
.LBB2549_78:
	s_or_b64 exec, exec, s[30:31]
	v_xad_u32 v18, v97, -1, s36
	v_add_u32_e32 v24, 64, v18
	v_lshlrev_b64 v[22:23], 3, v[24:25]
	v_mov_b32_e32 v17, s27
	v_add_co_u32_e32 v26, vcc, s26, v22
	v_addc_co_u32_e32 v27, vcc, v17, v23, vcc
	global_load_dwordx2 v[22:23], v[26:27], off glc
	s_waitcnt vmcnt(0)
	v_cmp_eq_u16_sdwa s[34:35], v23, v25 src0_sel:BYTE_0 src1_sel:DWORD
	s_and_saveexec_b64 s[30:31], s[34:35]
	s_cbranch_execz .LBB2549_82
; %bb.79:
	s_mov_b64 s[34:35], 0
	v_mov_b32_e32 v17, 0
.LBB2549_80:                            ; =>This Inner Loop Header: Depth=1
	global_load_dwordx2 v[22:23], v[26:27], off glc
	s_waitcnt vmcnt(0)
	v_cmp_ne_u16_sdwa s[38:39], v23, v17 src0_sel:BYTE_0 src1_sel:DWORD
	s_or_b64 s[34:35], s[38:39], s[34:35]
	s_andn2_b64 exec, exec, s[34:35]
	s_cbranch_execnz .LBB2549_80
; %bb.81:
	s_or_b64 exec, exec, s[34:35]
.LBB2549_82:
	s_or_b64 exec, exec, s[30:31]
	v_and_b32_e32 v103, 63, v97
	v_mov_b32_e32 v102, 2
	v_cmp_ne_u32_e32 vcc, 63, v103
	v_cmp_eq_u16_sdwa s[30:31], v23, v102 src0_sel:BYTE_0 src1_sel:DWORD
	v_lshlrev_b64 v[24:25], v97, -1
	v_addc_co_u32_e32 v26, vcc, 0, v97, vcc
	v_and_b32_e32 v17, s31, v25
	v_lshlrev_b32_e32 v104, 2, v26
	v_or_b32_e32 v17, 0x80000000, v17
	ds_bpermute_b32 v26, v104, v22
	v_and_b32_e32 v19, s30, v24
	v_ffbl_b32_e32 v17, v17
	v_add_u32_e32 v17, 32, v17
	v_ffbl_b32_e32 v19, v19
	v_min_u32_e32 v17, v19, v17
	v_cmp_lt_u32_e32 vcc, v103, v17
	s_waitcnt lgkmcnt(0)
	v_cndmask_b32_e32 v19, 0, v26, vcc
	v_cmp_gt_u32_e32 vcc, 62, v103
	v_add_u32_e32 v19, v19, v22
	v_cndmask_b32_e64 v22, 0, 1, vcc
	v_lshlrev_b32_e32 v22, 1, v22
	v_add_lshl_u32 v105, v22, v97, 2
	ds_bpermute_b32 v22, v105, v19
	v_add_u32_e32 v106, 2, v103
	v_cmp_le_u32_e32 vcc, v106, v17
	v_add_u32_e32 v108, 4, v103
	v_add_u32_e32 v110, 8, v103
	s_waitcnt lgkmcnt(0)
	v_cndmask_b32_e32 v22, 0, v22, vcc
	v_cmp_gt_u32_e32 vcc, 60, v103
	v_add_u32_e32 v19, v19, v22
	v_cndmask_b32_e64 v22, 0, 1, vcc
	v_lshlrev_b32_e32 v22, 2, v22
	v_add_lshl_u32 v107, v22, v97, 2
	ds_bpermute_b32 v22, v107, v19
	v_cmp_le_u32_e32 vcc, v108, v17
	v_add_u32_e32 v112, 16, v103
	v_add_u32_e32 v114, 32, v103
	s_waitcnt lgkmcnt(0)
	v_cndmask_b32_e32 v22, 0, v22, vcc
	v_cmp_gt_u32_e32 vcc, 56, v103
	v_add_u32_e32 v19, v19, v22
	v_cndmask_b32_e64 v22, 0, 1, vcc
	v_lshlrev_b32_e32 v22, 3, v22
	v_add_lshl_u32 v109, v22, v97, 2
	ds_bpermute_b32 v22, v109, v19
	v_cmp_le_u32_e32 vcc, v110, v17
	s_waitcnt lgkmcnt(0)
	v_cndmask_b32_e32 v22, 0, v22, vcc
	v_cmp_gt_u32_e32 vcc, 48, v103
	v_add_u32_e32 v19, v19, v22
	v_cndmask_b32_e64 v22, 0, 1, vcc
	v_lshlrev_b32_e32 v22, 4, v22
	v_add_lshl_u32 v111, v22, v97, 2
	ds_bpermute_b32 v22, v111, v19
	v_cmp_le_u32_e32 vcc, v112, v17
	;; [unrolled: 9-line block ×3, first 2 shown]
	s_waitcnt lgkmcnt(0)
	v_cndmask_b32_e32 v17, 0, v22, vcc
	v_add_u32_e32 v22, v19, v17
	v_mov_b32_e32 v19, 0
	s_branch .LBB2549_84
.LBB2549_83:                            ;   in Loop: Header=BB2549_84 Depth=1
	s_or_b64 exec, exec, s[30:31]
	v_cmp_eq_u16_sdwa s[30:31], v23, v102 src0_sel:BYTE_0 src1_sel:DWORD
	v_and_b32_e32 v26, s31, v25
	v_or_b32_e32 v26, 0x80000000, v26
	ds_bpermute_b32 v115, v104, v22
	v_and_b32_e32 v27, s30, v24
	v_ffbl_b32_e32 v26, v26
	v_add_u32_e32 v26, 32, v26
	v_ffbl_b32_e32 v27, v27
	v_min_u32_e32 v26, v27, v26
	v_cmp_lt_u32_e32 vcc, v103, v26
	s_waitcnt lgkmcnt(0)
	v_cndmask_b32_e32 v27, 0, v115, vcc
	v_add_u32_e32 v22, v27, v22
	ds_bpermute_b32 v27, v105, v22
	v_cmp_le_u32_e32 vcc, v106, v26
	v_subrev_u32_e32 v18, 64, v18
	s_waitcnt lgkmcnt(0)
	v_cndmask_b32_e32 v27, 0, v27, vcc
	v_add_u32_e32 v22, v22, v27
	ds_bpermute_b32 v27, v107, v22
	v_cmp_le_u32_e32 vcc, v108, v26
	s_waitcnt lgkmcnt(0)
	v_cndmask_b32_e32 v27, 0, v27, vcc
	v_add_u32_e32 v22, v22, v27
	ds_bpermute_b32 v27, v109, v22
	v_cmp_le_u32_e32 vcc, v110, v26
	;; [unrolled: 5-line block ×4, first 2 shown]
	s_waitcnt lgkmcnt(0)
	v_cndmask_b32_e32 v26, 0, v27, vcc
	v_add3_u32 v22, v26, v17, v22
.LBB2549_84:                            ; =>This Loop Header: Depth=1
                                        ;     Child Loop BB2549_87 Depth 2
	v_cmp_ne_u16_sdwa s[30:31], v23, v102 src0_sel:BYTE_0 src1_sel:DWORD
	v_cndmask_b32_e64 v17, 0, 1, s[30:31]
	;;#ASMSTART
	;;#ASMEND
	v_cmp_ne_u32_e32 vcc, 0, v17
	s_cmp_lg_u64 vcc, exec
	v_mov_b32_e32 v17, v22
	s_cbranch_scc1 .LBB2549_89
; %bb.85:                               ;   in Loop: Header=BB2549_84 Depth=1
	v_lshlrev_b64 v[22:23], 3, v[18:19]
	v_mov_b32_e32 v27, s27
	v_add_co_u32_e32 v26, vcc, s26, v22
	v_addc_co_u32_e32 v27, vcc, v27, v23, vcc
	global_load_dwordx2 v[22:23], v[26:27], off glc
	s_waitcnt vmcnt(0)
	v_cmp_eq_u16_sdwa s[34:35], v23, v19 src0_sel:BYTE_0 src1_sel:DWORD
	s_and_saveexec_b64 s[30:31], s[34:35]
	s_cbranch_execz .LBB2549_83
; %bb.86:                               ;   in Loop: Header=BB2549_84 Depth=1
	s_mov_b64 s[34:35], 0
.LBB2549_87:                            ;   Parent Loop BB2549_84 Depth=1
                                        ; =>  This Inner Loop Header: Depth=2
	global_load_dwordx2 v[22:23], v[26:27], off glc
	s_waitcnt vmcnt(0)
	v_cmp_ne_u16_sdwa s[38:39], v23, v19 src0_sel:BYTE_0 src1_sel:DWORD
	s_or_b64 s[34:35], s[38:39], s[34:35]
	s_andn2_b64 exec, exec, s[34:35]
	s_cbranch_execnz .LBB2549_87
; %bb.88:                               ;   in Loop: Header=BB2549_84 Depth=1
	s_or_b64 exec, exec, s[34:35]
	s_branch .LBB2549_83
.LBB2549_89:                            ;   in Loop: Header=BB2549_84 Depth=1
                                        ; implicit-def: $vgpr22
                                        ; implicit-def: $vgpr23
	s_cbranch_execz .LBB2549_84
; %bb.90:
	s_and_saveexec_b64 s[30:31], s[18:19]
	s_cbranch_execz .LBB2549_92
; %bb.91:
	s_add_i32 s34, s36, 64
	s_mov_b32 s35, 0
	s_lshl_b64 s[34:35], s[34:35], 3
	s_add_u32 s34, s26, s34
	v_add_u32_e32 v18, v17, v16
	v_mov_b32_e32 v19, 2
	s_addc_u32 s35, s27, s35
	v_mov_b32_e32 v22, 0
	global_store_dwordx2 v22, v[18:19], s[34:35]
	ds_write_b64 v22, v[16:17] offset:14336
.LBB2549_92:
	s_or_b64 exec, exec, s[30:31]
	s_and_b64 exec, exec, s[0:1]
	s_cbranch_execz .LBB2549_94
; %bb.93:
	v_mov_b32_e32 v16, 0
	ds_write_b32 v16, v17 offset:12
.LBB2549_94:
	s_or_b64 exec, exec, s[28:29]
	v_mov_b32_e32 v16, 0
	s_waitcnt lgkmcnt(0)
	s_barrier
	ds_read_b32 v18, v16 offset:12
	s_waitcnt lgkmcnt(0)
	s_barrier
	ds_read_b64 v[16:17], v16 offset:14336
	v_cndmask_b32_e64 v19, v101, v100, s[18:19]
	v_cndmask_b32_e64 v19, v19, 0, s[0:1]
	v_add_u32_e32 v19, v18, v19
	s_waitcnt lgkmcnt(0)
	v_mov_b32_e32 v18, v17
	s_branch .LBB2549_105
.LBB2549_95:
                                        ; implicit-def: $vgpr18
                                        ; implicit-def: $vgpr16
                                        ; implicit-def: $vgpr19
	s_cbranch_execz .LBB2549_105
; %bb.96:
	s_nop 0
	v_mov_b32_dpp v16, v99 row_shr:1 row_mask:0xf bank_mask:0xf
	v_cndmask_b32_e64 v16, v16, 0, s[16:17]
	v_add_u32_e32 v16, v16, v99
	s_nop 1
	v_mov_b32_dpp v17, v16 row_shr:2 row_mask:0xf bank_mask:0xf
	v_cndmask_b32_e64 v17, 0, v17, s[14:15]
	v_add_u32_e32 v16, v16, v17
	;; [unrolled: 4-line block ×4, first 2 shown]
	s_nop 1
	v_mov_b32_dpp v17, v16 row_bcast:15 row_mask:0xf bank_mask:0xf
	v_cndmask_b32_e64 v17, v17, 0, s[8:9]
	v_add_u32_e32 v16, v16, v17
	s_nop 1
	v_mov_b32_dpp v17, v16 row_bcast:31 row_mask:0xf bank_mask:0xf
	v_cndmask_b32_e64 v17, 0, v17, s[4:5]
	v_add_u32_e32 v16, v16, v17
	s_and_saveexec_b64 s[4:5], s[6:7]
	s_cbranch_execz .LBB2549_98
; %bb.97:
	v_lshlrev_b32_e32 v17, 2, v98
	ds_write_b32 v17, v16
.LBB2549_98:
	s_or_b64 exec, exec, s[4:5]
	v_cmp_gt_u32_e32 vcc, 4, v0
	s_waitcnt lgkmcnt(0)
	s_barrier
	s_and_saveexec_b64 s[4:5], vcc
	s_cbranch_execz .LBB2549_100
; %bb.99:
	v_lshlrev_b32_e32 v17, 2, v0
	ds_read_b32 v18, v17
	v_and_b32_e32 v19, 3, v97
	v_cmp_ne_u32_e32 vcc, 0, v19
	s_waitcnt lgkmcnt(0)
	v_mov_b32_dpp v22, v18 row_shr:1 row_mask:0xf bank_mask:0xf
	v_cndmask_b32_e32 v22, 0, v22, vcc
	v_add_u32_e32 v18, v22, v18
	v_cmp_lt_u32_e32 vcc, 1, v19
	s_nop 0
	v_mov_b32_dpp v22, v18 row_shr:2 row_mask:0xf bank_mask:0xf
	v_cndmask_b32_e32 v19, 0, v22, vcc
	v_add_u32_e32 v18, v18, v19
	ds_write_b32 v17, v18
.LBB2549_100:
	s_or_b64 exec, exec, s[4:5]
	v_cmp_lt_u32_e32 vcc, 63, v0
	v_mov_b32_e32 v17, 0
	v_mov_b32_e32 v18, 0
	s_waitcnt lgkmcnt(0)
	s_barrier
	s_and_saveexec_b64 s[4:5], vcc
	s_cbranch_execz .LBB2549_102
; %bb.101:
	v_lshl_add_u32 v18, v98, 2, -4
	ds_read_b32 v18, v18
.LBB2549_102:
	s_or_b64 exec, exec, s[4:5]
	v_add_u32_e32 v19, -1, v97
	v_and_b32_e32 v22, 64, v97
	v_cmp_lt_i32_e32 vcc, v19, v22
	v_cndmask_b32_e32 v19, v19, v97, vcc
	s_waitcnt lgkmcnt(0)
	v_add_u32_e32 v16, v18, v16
	v_lshlrev_b32_e32 v19, 2, v19
	ds_bpermute_b32 v19, v19, v16
	ds_read_b32 v16, v17 offset:12
	s_and_saveexec_b64 s[4:5], s[0:1]
	s_cbranch_execz .LBB2549_104
; %bb.103:
	v_mov_b32_e32 v22, 0
	v_mov_b32_e32 v17, 2
	s_waitcnt lgkmcnt(0)
	global_store_dwordx2 v22, v[16:17], s[26:27] offset:512
.LBB2549_104:
	s_or_b64 exec, exec, s[4:5]
	v_cmp_eq_u32_e32 vcc, 0, v97
	s_waitcnt lgkmcnt(1)
	v_cndmask_b32_e32 v17, v19, v18, vcc
	v_mov_b32_e32 v18, 0
	v_cndmask_b32_e64 v19, v17, 0, s[0:1]
	s_waitcnt lgkmcnt(0)
	s_barrier
.LBB2549_105:
	v_add_u32_e32 v17, v19, v71
	v_add_u32_e32 v22, v17, v72
	;; [unrolled: 1-line block ×20, first 2 shown]
	v_sub_u32_e32 v19, v19, v18
	v_and_b32_e32 v70, 1, v70
	v_add_u32_e32 v83, v82, v90
	v_sub_u32_e32 v90, v41, v19
	v_cmp_eq_u32_e32 vcc, 1, v70
	v_cndmask_b32_e32 v19, v90, v19, vcc
	v_lshlrev_b32_e32 v19, 1, v19
	ds_write_b16 v19, v10
	v_sub_u32_e32 v10, v17, v18
	v_sub_u32_e32 v17, v41, v10
	v_and_b32_e32 v19, 1, v69
	v_add_u32_e32 v17, 1, v17
	v_cmp_eq_u32_e32 vcc, 1, v19
	v_cndmask_b32_e32 v10, v17, v10, vcc
	v_lshlrev_b32_e32 v10, 1, v10
	ds_write_b16 v10, v42
	v_sub_u32_e32 v10, v22, v18
	v_sub_u32_e32 v17, v41, v10
	v_and_b32_e32 v19, 1, v68
	v_add_u32_e32 v17, 2, v17
	v_cmp_eq_u32_e32 vcc, 1, v19
	v_cndmask_b32_e32 v10, v17, v10, vcc
	v_lshlrev_b32_e32 v10, 1, v10
	ds_write_b16 v10, v11
	v_sub_u32_e32 v10, v23, v18
	v_sub_u32_e32 v11, v41, v10
	v_and_b32_e32 v17, 1, v67
	v_add_u32_e32 v11, 3, v11
	v_cmp_eq_u32_e32 vcc, 1, v17
	v_cndmask_b32_e32 v10, v11, v10, vcc
	v_lshlrev_b32_e32 v10, 1, v10
	ds_write_b16 v10, v40
	v_sub_u32_e32 v10, v24, v18
	v_sub_u32_e32 v11, v41, v10
	v_and_b32_e32 v17, 1, v66
	v_add_u32_e32 v11, 4, v11
	v_cmp_eq_u32_e32 vcc, 1, v17
	v_cndmask_b32_e32 v10, v11, v10, vcc
	v_lshlrev_b32_e32 v10, 1, v10
	ds_write_b16 v10, v12
	v_sub_u32_e32 v10, v25, v18
	v_sub_u32_e32 v11, v41, v10
	v_and_b32_e32 v12, 1, v65
	v_add_u32_e32 v11, 5, v11
	v_cmp_eq_u32_e32 vcc, 1, v12
	v_cndmask_b32_e32 v10, v11, v10, vcc
	v_lshlrev_b32_e32 v10, 1, v10
	ds_write_b16 v10, v39
	v_sub_u32_e32 v10, v26, v18
	v_sub_u32_e32 v11, v41, v10
	v_and_b32_e32 v12, 1, v64
	v_add_u32_e32 v11, 6, v11
	v_cmp_eq_u32_e32 vcc, 1, v12
	v_cndmask_b32_e32 v10, v11, v10, vcc
	v_lshlrev_b32_e32 v10, 1, v10
	ds_write_b16 v10, v13
	v_sub_u32_e32 v10, v27, v18
	v_sub_u32_e32 v11, v41, v10
	v_and_b32_e32 v12, 1, v63
	v_add_u32_e32 v11, 7, v11
	v_cmp_eq_u32_e32 vcc, 1, v12
	v_cndmask_b32_e32 v10, v11, v10, vcc
	v_lshlrev_b32_e32 v10, 1, v10
	ds_write_b16 v10, v38
	v_sub_u32_e32 v10, v71, v18
	v_sub_u32_e32 v11, v41, v10
	v_and_b32_e32 v12, 1, v62
	v_add_u32_e32 v11, 8, v11
	v_cmp_eq_u32_e32 vcc, 1, v12
	v_cndmask_b32_e32 v10, v11, v10, vcc
	v_lshlrev_b32_e32 v10, 1, v10
	ds_write_b16 v10, v6
	v_sub_u32_e32 v6, v72, v18
	v_sub_u32_e32 v10, v41, v6
	v_and_b32_e32 v11, 1, v61
	v_add_u32_e32 v10, 9, v10
	v_cmp_eq_u32_e32 vcc, 1, v11
	v_cndmask_b32_e32 v6, v10, v6, vcc
	v_lshlrev_b32_e32 v6, 1, v6
	ds_write_b16 v6, v37
	v_sub_u32_e32 v6, v73, v18
	v_sub_u32_e32 v10, v41, v6
	v_and_b32_e32 v11, 1, v60
	v_add_u32_e32 v10, 10, v10
	v_cmp_eq_u32_e32 vcc, 1, v11
	v_cndmask_b32_e32 v6, v10, v6, vcc
	v_lshlrev_b32_e32 v6, 1, v6
	ds_write_b16 v6, v7
	v_sub_u32_e32 v6, v74, v18
	v_sub_u32_e32 v7, v41, v6
	v_and_b32_e32 v10, 1, v59
	v_add_u32_e32 v7, 11, v7
	v_cmp_eq_u32_e32 vcc, 1, v10
	v_cndmask_b32_e32 v6, v7, v6, vcc
	v_lshlrev_b32_e32 v6, 1, v6
	ds_write_b16 v6, v36
	v_sub_u32_e32 v6, v75, v18
	v_sub_u32_e32 v7, v41, v6
	v_and_b32_e32 v10, 1, v58
	v_add_u32_e32 v7, 12, v7
	v_cmp_eq_u32_e32 vcc, 1, v10
	v_cndmask_b32_e32 v6, v7, v6, vcc
	v_lshlrev_b32_e32 v6, 1, v6
	ds_write_b16 v6, v8
	v_sub_u32_e32 v6, v76, v18
	v_sub_u32_e32 v7, v41, v6
	v_and_b32_e32 v8, 1, v57
	v_add_u32_e32 v7, 13, v7
	v_cmp_eq_u32_e32 vcc, 1, v8
	v_cndmask_b32_e32 v6, v7, v6, vcc
	v_lshlrev_b32_e32 v6, 1, v6
	ds_write_b16 v6, v35
	v_sub_u32_e32 v6, v77, v18
	v_sub_u32_e32 v7, v41, v6
	v_and_b32_e32 v8, 1, v56
	v_add_u32_e32 v7, 14, v7
	v_cmp_eq_u32_e32 vcc, 1, v8
	v_cndmask_b32_e32 v6, v7, v6, vcc
	v_lshlrev_b32_e32 v6, 1, v6
	ds_write_b16 v6, v9
	v_sub_u32_e32 v6, v78, v18
	v_sub_u32_e32 v7, v41, v6
	v_and_b32_e32 v8, 1, v55
	v_add_u32_e32 v7, 15, v7
	v_cmp_eq_u32_e32 vcc, 1, v8
	v_cndmask_b32_e32 v6, v7, v6, vcc
	v_lshlrev_b32_e32 v6, 1, v6
	ds_write_b16 v6, v34
	v_sub_u32_e32 v6, v79, v18
	v_sub_u32_e32 v7, v41, v6
	v_and_b32_e32 v8, 1, v54
	v_add_u32_e32 v7, 16, v7
	v_cmp_eq_u32_e32 vcc, 1, v8
	v_cndmask_b32_e32 v6, v7, v6, vcc
	v_lshlrev_b32_e32 v6, 1, v6
	ds_write_b16 v6, v2
	v_sub_u32_e32 v2, v80, v18
	v_sub_u32_e32 v6, v41, v2
	v_and_b32_e32 v7, 1, v53
	v_add_u32_e32 v6, 17, v6
	v_cmp_eq_u32_e32 vcc, 1, v7
	v_cndmask_b32_e32 v2, v6, v2, vcc
	v_lshlrev_b32_e32 v2, 1, v2
	ds_write_b16 v2, v33
	v_sub_u32_e32 v2, v81, v18
	v_sub_u32_e32 v6, v41, v2
	v_and_b32_e32 v7, 1, v52
	v_add_u32_e32 v6, 18, v6
	v_cmp_eq_u32_e32 vcc, 1, v7
	v_cndmask_b32_e32 v2, v6, v2, vcc
	v_lshlrev_b32_e32 v2, 1, v2
	ds_write_b16 v2, v3
	v_sub_u32_e32 v2, v82, v18
	v_sub_u32_e32 v3, v41, v2
	v_and_b32_e32 v6, 1, v51
	v_add_u32_e32 v3, 19, v3
	v_cmp_eq_u32_e32 vcc, 1, v6
	v_cndmask_b32_e32 v2, v3, v2, vcc
	v_lshlrev_b32_e32 v2, 1, v2
	ds_write_b16 v2, v32
	v_sub_u32_e32 v2, v83, v18
	v_sub_u32_e32 v3, v41, v2
	v_and_b32_e32 v6, 1, v50
	v_add_u32_e32 v3, 20, v3
	v_cmp_eq_u32_e32 vcc, 1, v6
	v_cndmask_b32_e32 v2, v3, v2, vcc
	v_add_u32_e32 v84, v83, v91
	v_lshlrev_b32_e32 v2, 1, v2
	ds_write_b16 v2, v4
	v_sub_u32_e32 v2, v84, v18
	v_sub_u32_e32 v3, v41, v2
	v_and_b32_e32 v4, 1, v49
	v_add_u32_e32 v3, 21, v3
	v_cmp_eq_u32_e32 vcc, 1, v4
	v_cndmask_b32_e32 v2, v3, v2, vcc
	v_add_u32_e32 v85, v84, v92
	v_lshlrev_b32_e32 v2, 1, v2
	ds_write_b16 v2, v31
	v_sub_u32_e32 v2, v85, v18
	v_sub_u32_e32 v3, v41, v2
	v_and_b32_e32 v4, 1, v48
	v_add_u32_e32 v3, 22, v3
	;; [unrolled: 9-line block ×6, first 2 shown]
	v_cmp_eq_u32_e32 vcc, 1, v4
	v_cndmask_b32_e32 v2, v3, v2, vcc
	v_lshlrev_b32_e32 v2, 1, v2
	ds_write_b16 v2, v21
	v_sub_u32_sdwa v2, v43, v18 dst_sel:DWORD dst_unused:UNUSED_PAD src0_sel:BYTE_0 src1_sel:DWORD
	v_add_u32_e32 v2, v89, v2
	v_sub_u32_e32 v3, v41, v2
	v_and_b32_e32 v4, 1, v44
	v_add_u32_e32 v3, 27, v3
	v_cmp_eq_u32_e32 vcc, 1, v4
	v_cndmask_b32_e32 v2, v3, v2, vcc
	v_lshlrev_b32_e32 v2, 1, v2
	ds_write_b16 v2, v28
	s_waitcnt lgkmcnt(0)
	s_barrier
	ds_read_u16 v65, v1
	ds_read_u16 v64, v1 offset:512
	ds_read_u16 v62, v1 offset:1024
	;; [unrolled: 1-line block ×27, first 2 shown]
	v_or_b32_e32 v63, 0x100, v0
	v_or_b32_e32 v61, 0x200, v0
	v_or_b32_e32 v59, 0x300, v0
	v_or_b32_e32 v57, 0x400, v0
	v_or_b32_e32 v56, 0x500, v0
	v_or_b32_e32 v54, 0x600, v0
	v_or_b32_e32 v52, 0x700, v0
	v_or_b32_e32 v49, 0x800, v0
	v_or_b32_e32 v47, 0x900, v0
	v_or_b32_e32 v45, 0xa00, v0
	v_or_b32_e32 v43, 0xb00, v0
	v_or_b32_e32 v41, 0xc00, v0
	v_or_b32_e32 v39, 0xd00, v0
	v_or_b32_e32 v37, 0xe00, v0
	v_or_b32_e32 v34, 0xf00, v0
	v_or_b32_e32 v33, 0x1000, v0
	v_or_b32_e32 v31, 0x1100, v0
	v_or_b32_e32 v29, 0x1200, v0
	v_or_b32_e32 v27, 0x1300, v0
	v_or_b32_e32 v25, 0x1400, v0
	v_or_b32_e32 v23, 0x1500, v0
	v_or_b32_e32 v21, 0x1600, v0
	v_or_b32_e32 v17, 0x1700, v0
	v_or_b32_e32 v13, 0x1800, v0
	v_or_b32_e32 v11, 0x1900, v0
	v_or_b32_e32 v9, 0x1a00, v0
	v_or_b32_e32 v7, 0x1b00, v0
	s_and_b64 vcc, exec, s[2:3]
	s_waitcnt vmcnt(0)
	v_lshlrev_b64 v[4:5], 1, v[14:15]
	s_cbranch_vccnz .LBB2549_135
; %bb.106:
	v_mov_b32_e32 v19, 0
	v_mov_b32_e32 v2, s25
	v_add_co_u32_e32 v66, vcc, s24, v4
	v_addc_co_u32_e32 v67, vcc, v2, v5, vcc
	v_lshlrev_b64 v[2:3], 1, v[18:19]
	v_add_co_u32_e32 v2, vcc, v66, v2
	v_addc_co_u32_e32 v3, vcc, v67, v3, vcc
	v_cmp_lt_u32_e32 vcc, v0, v16
	s_and_saveexec_b64 s[2:3], vcc
	s_cbranch_execnz .LBB2549_170
; %bb.107:
	s_or_b64 exec, exec, s[2:3]
	v_cmp_lt_u32_e32 vcc, v63, v16
	s_and_saveexec_b64 s[2:3], vcc
	s_cbranch_execnz .LBB2549_171
.LBB2549_108:
	s_or_b64 exec, exec, s[2:3]
	v_cmp_lt_u32_e32 vcc, v61, v16
	s_and_saveexec_b64 s[2:3], vcc
	s_cbranch_execnz .LBB2549_172
.LBB2549_109:
	s_or_b64 exec, exec, s[2:3]
	v_cmp_lt_u32_e32 vcc, v59, v16
	s_and_saveexec_b64 s[2:3], vcc
	s_cbranch_execnz .LBB2549_173
.LBB2549_110:
	s_or_b64 exec, exec, s[2:3]
	v_cmp_lt_u32_e32 vcc, v57, v16
	s_and_saveexec_b64 s[2:3], vcc
	s_cbranch_execnz .LBB2549_174
.LBB2549_111:
	s_or_b64 exec, exec, s[2:3]
	v_cmp_lt_u32_e32 vcc, v56, v16
	s_and_saveexec_b64 s[2:3], vcc
	s_cbranch_execnz .LBB2549_175
.LBB2549_112:
	s_or_b64 exec, exec, s[2:3]
	v_cmp_lt_u32_e32 vcc, v54, v16
	s_and_saveexec_b64 s[2:3], vcc
	s_cbranch_execnz .LBB2549_176
.LBB2549_113:
	s_or_b64 exec, exec, s[2:3]
	v_cmp_lt_u32_e32 vcc, v52, v16
	s_and_saveexec_b64 s[2:3], vcc
	s_cbranch_execnz .LBB2549_177
.LBB2549_114:
	s_or_b64 exec, exec, s[2:3]
	v_cmp_lt_u32_e32 vcc, v49, v16
	s_and_saveexec_b64 s[2:3], vcc
	s_cbranch_execnz .LBB2549_178
.LBB2549_115:
	s_or_b64 exec, exec, s[2:3]
	v_cmp_lt_u32_e32 vcc, v47, v16
	s_and_saveexec_b64 s[2:3], vcc
	s_cbranch_execnz .LBB2549_179
.LBB2549_116:
	s_or_b64 exec, exec, s[2:3]
	v_cmp_lt_u32_e32 vcc, v45, v16
	s_and_saveexec_b64 s[2:3], vcc
	s_cbranch_execnz .LBB2549_180
.LBB2549_117:
	s_or_b64 exec, exec, s[2:3]
	v_cmp_lt_u32_e32 vcc, v43, v16
	s_and_saveexec_b64 s[2:3], vcc
	s_cbranch_execnz .LBB2549_181
.LBB2549_118:
	s_or_b64 exec, exec, s[2:3]
	v_cmp_lt_u32_e32 vcc, v41, v16
	s_and_saveexec_b64 s[2:3], vcc
	s_cbranch_execnz .LBB2549_182
.LBB2549_119:
	s_or_b64 exec, exec, s[2:3]
	v_cmp_lt_u32_e32 vcc, v39, v16
	s_and_saveexec_b64 s[2:3], vcc
	s_cbranch_execnz .LBB2549_183
.LBB2549_120:
	s_or_b64 exec, exec, s[2:3]
	v_cmp_lt_u32_e32 vcc, v37, v16
	s_and_saveexec_b64 s[2:3], vcc
	s_cbranch_execnz .LBB2549_184
.LBB2549_121:
	s_or_b64 exec, exec, s[2:3]
	v_cmp_lt_u32_e32 vcc, v34, v16
	s_and_saveexec_b64 s[2:3], vcc
	s_cbranch_execnz .LBB2549_185
.LBB2549_122:
	s_or_b64 exec, exec, s[2:3]
	v_cmp_lt_u32_e32 vcc, v33, v16
	s_and_saveexec_b64 s[2:3], vcc
	s_cbranch_execnz .LBB2549_186
.LBB2549_123:
	s_or_b64 exec, exec, s[2:3]
	v_cmp_lt_u32_e32 vcc, v31, v16
	s_and_saveexec_b64 s[2:3], vcc
	s_cbranch_execnz .LBB2549_187
.LBB2549_124:
	s_or_b64 exec, exec, s[2:3]
	v_cmp_lt_u32_e32 vcc, v29, v16
	s_and_saveexec_b64 s[2:3], vcc
	s_cbranch_execnz .LBB2549_188
.LBB2549_125:
	s_or_b64 exec, exec, s[2:3]
	v_cmp_lt_u32_e32 vcc, v27, v16
	s_and_saveexec_b64 s[2:3], vcc
	s_cbranch_execnz .LBB2549_189
.LBB2549_126:
	s_or_b64 exec, exec, s[2:3]
	v_cmp_lt_u32_e32 vcc, v25, v16
	s_and_saveexec_b64 s[2:3], vcc
	s_cbranch_execnz .LBB2549_190
.LBB2549_127:
	s_or_b64 exec, exec, s[2:3]
	v_cmp_lt_u32_e32 vcc, v23, v16
	s_and_saveexec_b64 s[2:3], vcc
	s_cbranch_execnz .LBB2549_191
.LBB2549_128:
	s_or_b64 exec, exec, s[2:3]
	v_cmp_lt_u32_e32 vcc, v21, v16
	s_and_saveexec_b64 s[2:3], vcc
	s_cbranch_execnz .LBB2549_192
.LBB2549_129:
	s_or_b64 exec, exec, s[2:3]
	v_cmp_lt_u32_e32 vcc, v17, v16
	s_and_saveexec_b64 s[2:3], vcc
	s_cbranch_execnz .LBB2549_193
.LBB2549_130:
	s_or_b64 exec, exec, s[2:3]
	v_cmp_lt_u32_e32 vcc, v13, v16
	s_and_saveexec_b64 s[2:3], vcc
	s_cbranch_execnz .LBB2549_194
.LBB2549_131:
	s_or_b64 exec, exec, s[2:3]
	v_cmp_lt_u32_e32 vcc, v11, v16
	s_and_saveexec_b64 s[2:3], vcc
	s_cbranch_execnz .LBB2549_195
.LBB2549_132:
	s_or_b64 exec, exec, s[2:3]
	v_cmp_lt_u32_e32 vcc, v9, v16
	s_and_saveexec_b64 s[2:3], vcc
	s_cbranch_execz .LBB2549_134
.LBB2549_133:
	v_lshlrev_b32_e32 v19, 1, v9
	v_readfirstlane_b32 s4, v2
	v_readfirstlane_b32 s5, v3
	s_waitcnt lgkmcnt(1)
	s_nop 3
	global_store_short v19, v8, s[4:5]
.LBB2549_134:
	s_or_b64 exec, exec, s[2:3]
	v_cmp_lt_u32_e64 s[2:3], v7, v16
	s_branch .LBB2549_165
.LBB2549_135:
	s_mov_b64 s[2:3], 0
                                        ; implicit-def: $vgpr2_vgpr3
	s_cbranch_execz .LBB2549_165
; %bb.136:
	v_mov_b32_e32 v19, 0
	v_mov_b32_e32 v2, s25
	v_add_co_u32_e32 v4, vcc, s24, v4
	v_addc_co_u32_e32 v5, vcc, v2, v5, vcc
	v_lshlrev_b64 v[2:3], 1, v[18:19]
	v_add_co_u32_e32 v2, vcc, v4, v2
	v_min_u32_e32 v66, s33, v16
	v_addc_co_u32_e32 v3, vcc, v5, v3, vcc
	v_cmp_gt_u32_e32 vcc, v66, v0
	s_and_saveexec_b64 s[2:3], vcc
	s_cbranch_execnz .LBB2549_196
; %bb.137:
	s_or_b64 exec, exec, s[2:3]
	v_cmp_lt_u32_e32 vcc, v63, v66
	s_and_saveexec_b64 s[2:3], vcc
	s_cbranch_execnz .LBB2549_197
.LBB2549_138:
	s_or_b64 exec, exec, s[2:3]
	v_cmp_lt_u32_e32 vcc, v61, v66
	s_and_saveexec_b64 s[2:3], vcc
	s_cbranch_execnz .LBB2549_198
.LBB2549_139:
	s_or_b64 exec, exec, s[2:3]
	v_cmp_lt_u32_e32 vcc, v59, v66
	s_and_saveexec_b64 s[2:3], vcc
	s_cbranch_execnz .LBB2549_199
.LBB2549_140:
	s_or_b64 exec, exec, s[2:3]
	v_cmp_lt_u32_e32 vcc, v57, v66
	s_and_saveexec_b64 s[2:3], vcc
	s_cbranch_execnz .LBB2549_200
.LBB2549_141:
	s_or_b64 exec, exec, s[2:3]
	v_cmp_lt_u32_e32 vcc, v56, v66
	s_and_saveexec_b64 s[2:3], vcc
	s_cbranch_execnz .LBB2549_201
.LBB2549_142:
	s_or_b64 exec, exec, s[2:3]
	v_cmp_lt_u32_e32 vcc, v54, v66
	s_and_saveexec_b64 s[2:3], vcc
	s_cbranch_execnz .LBB2549_202
.LBB2549_143:
	s_or_b64 exec, exec, s[2:3]
	v_cmp_lt_u32_e32 vcc, v52, v66
	s_and_saveexec_b64 s[2:3], vcc
	s_cbranch_execnz .LBB2549_203
.LBB2549_144:
	s_or_b64 exec, exec, s[2:3]
	v_cmp_lt_u32_e32 vcc, v49, v66
	s_and_saveexec_b64 s[2:3], vcc
	s_cbranch_execnz .LBB2549_204
.LBB2549_145:
	s_or_b64 exec, exec, s[2:3]
	v_cmp_lt_u32_e32 vcc, v47, v66
	s_and_saveexec_b64 s[2:3], vcc
	s_cbranch_execnz .LBB2549_205
.LBB2549_146:
	s_or_b64 exec, exec, s[2:3]
	v_cmp_lt_u32_e32 vcc, v45, v66
	s_and_saveexec_b64 s[2:3], vcc
	s_cbranch_execnz .LBB2549_206
.LBB2549_147:
	s_or_b64 exec, exec, s[2:3]
	v_cmp_lt_u32_e32 vcc, v43, v66
	s_and_saveexec_b64 s[2:3], vcc
	s_cbranch_execnz .LBB2549_207
.LBB2549_148:
	s_or_b64 exec, exec, s[2:3]
	v_cmp_lt_u32_e32 vcc, v41, v66
	s_and_saveexec_b64 s[2:3], vcc
	s_cbranch_execnz .LBB2549_208
.LBB2549_149:
	s_or_b64 exec, exec, s[2:3]
	v_cmp_lt_u32_e32 vcc, v39, v66
	s_and_saveexec_b64 s[2:3], vcc
	s_cbranch_execnz .LBB2549_209
.LBB2549_150:
	s_or_b64 exec, exec, s[2:3]
	v_cmp_lt_u32_e32 vcc, v37, v66
	s_and_saveexec_b64 s[2:3], vcc
	s_cbranch_execnz .LBB2549_210
.LBB2549_151:
	s_or_b64 exec, exec, s[2:3]
	v_cmp_lt_u32_e32 vcc, v34, v66
	s_and_saveexec_b64 s[2:3], vcc
	s_cbranch_execnz .LBB2549_211
.LBB2549_152:
	s_or_b64 exec, exec, s[2:3]
	v_cmp_lt_u32_e32 vcc, v33, v66
	s_and_saveexec_b64 s[2:3], vcc
	s_cbranch_execnz .LBB2549_212
.LBB2549_153:
	s_or_b64 exec, exec, s[2:3]
	v_cmp_lt_u32_e32 vcc, v31, v66
	s_and_saveexec_b64 s[2:3], vcc
	s_cbranch_execnz .LBB2549_213
.LBB2549_154:
	s_or_b64 exec, exec, s[2:3]
	v_cmp_lt_u32_e32 vcc, v29, v66
	s_and_saveexec_b64 s[2:3], vcc
	s_cbranch_execnz .LBB2549_214
.LBB2549_155:
	s_or_b64 exec, exec, s[2:3]
	v_cmp_lt_u32_e32 vcc, v27, v66
	s_and_saveexec_b64 s[2:3], vcc
	s_cbranch_execnz .LBB2549_215
.LBB2549_156:
	s_or_b64 exec, exec, s[2:3]
	v_cmp_lt_u32_e32 vcc, v25, v66
	s_and_saveexec_b64 s[2:3], vcc
	s_cbranch_execnz .LBB2549_216
.LBB2549_157:
	s_or_b64 exec, exec, s[2:3]
	v_cmp_lt_u32_e32 vcc, v23, v66
	s_and_saveexec_b64 s[2:3], vcc
	s_cbranch_execnz .LBB2549_217
.LBB2549_158:
	s_or_b64 exec, exec, s[2:3]
	v_cmp_lt_u32_e32 vcc, v21, v66
	s_and_saveexec_b64 s[2:3], vcc
	s_cbranch_execnz .LBB2549_218
.LBB2549_159:
	s_or_b64 exec, exec, s[2:3]
	v_cmp_lt_u32_e32 vcc, v17, v66
	s_and_saveexec_b64 s[2:3], vcc
	s_cbranch_execnz .LBB2549_219
.LBB2549_160:
	s_or_b64 exec, exec, s[2:3]
	v_cmp_lt_u32_e32 vcc, v13, v66
	s_and_saveexec_b64 s[2:3], vcc
	s_cbranch_execnz .LBB2549_220
.LBB2549_161:
	s_or_b64 exec, exec, s[2:3]
	v_cmp_lt_u32_e32 vcc, v11, v66
	s_and_saveexec_b64 s[2:3], vcc
	s_cbranch_execnz .LBB2549_221
.LBB2549_162:
	s_or_b64 exec, exec, s[2:3]
	v_cmp_lt_u32_e32 vcc, v9, v66
	s_and_saveexec_b64 s[2:3], vcc
	s_cbranch_execz .LBB2549_164
.LBB2549_163:
	v_lshlrev_b32_e32 v0, 1, v9
	v_readfirstlane_b32 s4, v2
	v_readfirstlane_b32 s5, v3
	s_waitcnt lgkmcnt(1)
	s_nop 3
	global_store_short v0, v8, s[4:5]
.LBB2549_164:
	s_or_b64 exec, exec, s[2:3]
	v_cmp_lt_u32_e64 s[2:3], v7, v66
.LBB2549_165:
	s_and_saveexec_b64 s[4:5], s[2:3]
	s_cbranch_execnz .LBB2549_168
; %bb.166:
	s_or_b64 exec, exec, s[4:5]
	s_and_b64 s[0:1], s[0:1], s[22:23]
	s_and_saveexec_b64 s[2:3], s[0:1]
	s_cbranch_execnz .LBB2549_169
.LBB2549_167:
	s_endpgm
.LBB2549_168:
	v_lshlrev_b32_e32 v0, 1, v7
	v_readfirstlane_b32 s2, v2
	v_readfirstlane_b32 s3, v3
	s_waitcnt lgkmcnt(0)
	s_nop 3
	global_store_short v0, v6, s[2:3]
	s_or_b64 exec, exec, s[4:5]
	s_and_b64 s[0:1], s[0:1], s[22:23]
	s_and_saveexec_b64 s[2:3], s[0:1]
	s_cbranch_execz .LBB2549_167
.LBB2549_169:
	v_add_co_u32_e32 v0, vcc, v14, v16
	v_addc_co_u32_e32 v1, vcc, 0, v15, vcc
	v_add_co_u32_e32 v0, vcc, v0, v18
	v_mov_b32_e32 v2, 0
	v_addc_co_u32_e32 v1, vcc, 0, v1, vcc
	global_store_dwordx2 v2, v[0:1], s[20:21]
	s_endpgm
.LBB2549_170:
	v_readfirstlane_b32 s4, v2
	v_readfirstlane_b32 s5, v3
	s_waitcnt lgkmcnt(14)
	s_nop 3
	global_store_short v1, v65, s[4:5]
	s_or_b64 exec, exec, s[2:3]
	v_cmp_lt_u32_e32 vcc, v63, v16
	s_and_saveexec_b64 s[2:3], vcc
	s_cbranch_execz .LBB2549_108
.LBB2549_171:
	v_readfirstlane_b32 s4, v2
	v_readfirstlane_b32 s5, v3
	s_waitcnt lgkmcnt(14)
	s_nop 3
	global_store_short v1, v64, s[4:5] offset:512
	s_or_b64 exec, exec, s[2:3]
	v_cmp_lt_u32_e32 vcc, v61, v16
	s_and_saveexec_b64 s[2:3], vcc
	s_cbranch_execz .LBB2549_109
.LBB2549_172:
	v_readfirstlane_b32 s4, v2
	v_readfirstlane_b32 s5, v3
	s_waitcnt lgkmcnt(14)
	s_nop 3
	global_store_short v1, v62, s[4:5] offset:1024
	s_or_b64 exec, exec, s[2:3]
	v_cmp_lt_u32_e32 vcc, v59, v16
	s_and_saveexec_b64 s[2:3], vcc
	s_cbranch_execz .LBB2549_110
.LBB2549_173:
	v_readfirstlane_b32 s4, v2
	v_readfirstlane_b32 s5, v3
	s_waitcnt lgkmcnt(14)
	s_nop 3
	global_store_short v1, v60, s[4:5] offset:1536
	s_or_b64 exec, exec, s[2:3]
	v_cmp_lt_u32_e32 vcc, v57, v16
	s_and_saveexec_b64 s[2:3], vcc
	s_cbranch_execz .LBB2549_111
.LBB2549_174:
	v_readfirstlane_b32 s4, v2
	v_readfirstlane_b32 s5, v3
	s_waitcnt lgkmcnt(14)
	s_nop 3
	global_store_short v1, v58, s[4:5] offset:2048
	s_or_b64 exec, exec, s[2:3]
	v_cmp_lt_u32_e32 vcc, v56, v16
	s_and_saveexec_b64 s[2:3], vcc
	s_cbranch_execz .LBB2549_112
.LBB2549_175:
	v_readfirstlane_b32 s4, v2
	v_readfirstlane_b32 s5, v3
	s_waitcnt lgkmcnt(14)
	s_nop 3
	global_store_short v1, v55, s[4:5] offset:2560
	s_or_b64 exec, exec, s[2:3]
	v_cmp_lt_u32_e32 vcc, v54, v16
	s_and_saveexec_b64 s[2:3], vcc
	s_cbranch_execz .LBB2549_113
.LBB2549_176:
	v_readfirstlane_b32 s4, v2
	v_readfirstlane_b32 s5, v3
	s_waitcnt lgkmcnt(14)
	s_nop 3
	global_store_short v1, v53, s[4:5] offset:3072
	s_or_b64 exec, exec, s[2:3]
	v_cmp_lt_u32_e32 vcc, v52, v16
	s_and_saveexec_b64 s[2:3], vcc
	s_cbranch_execz .LBB2549_114
.LBB2549_177:
	v_readfirstlane_b32 s4, v2
	v_readfirstlane_b32 s5, v3
	s_waitcnt lgkmcnt(14)
	s_nop 3
	global_store_short v1, v50, s[4:5] offset:3584
	s_or_b64 exec, exec, s[2:3]
	v_cmp_lt_u32_e32 vcc, v49, v16
	s_and_saveexec_b64 s[2:3], vcc
	s_cbranch_execz .LBB2549_115
.LBB2549_178:
	v_lshlrev_b32_e32 v19, 1, v49
	v_readfirstlane_b32 s4, v2
	v_readfirstlane_b32 s5, v3
	s_waitcnt lgkmcnt(14)
	s_nop 3
	global_store_short v19, v51, s[4:5]
	s_or_b64 exec, exec, s[2:3]
	v_cmp_lt_u32_e32 vcc, v47, v16
	s_and_saveexec_b64 s[2:3], vcc
	s_cbranch_execz .LBB2549_116
.LBB2549_179:
	v_lshlrev_b32_e32 v19, 1, v47
	v_readfirstlane_b32 s4, v2
	v_readfirstlane_b32 s5, v3
	s_waitcnt lgkmcnt(14)
	s_nop 3
	global_store_short v19, v48, s[4:5]
	s_or_b64 exec, exec, s[2:3]
	v_cmp_lt_u32_e32 vcc, v45, v16
	s_and_saveexec_b64 s[2:3], vcc
	s_cbranch_execz .LBB2549_117
.LBB2549_180:
	v_lshlrev_b32_e32 v19, 1, v45
	v_readfirstlane_b32 s4, v2
	v_readfirstlane_b32 s5, v3
	s_waitcnt lgkmcnt(14)
	s_nop 3
	global_store_short v19, v46, s[4:5]
	s_or_b64 exec, exec, s[2:3]
	v_cmp_lt_u32_e32 vcc, v43, v16
	s_and_saveexec_b64 s[2:3], vcc
	s_cbranch_execz .LBB2549_118
.LBB2549_181:
	v_lshlrev_b32_e32 v19, 1, v43
	v_readfirstlane_b32 s4, v2
	v_readfirstlane_b32 s5, v3
	s_waitcnt lgkmcnt(14)
	s_nop 3
	global_store_short v19, v44, s[4:5]
	s_or_b64 exec, exec, s[2:3]
	v_cmp_lt_u32_e32 vcc, v41, v16
	s_and_saveexec_b64 s[2:3], vcc
	s_cbranch_execz .LBB2549_119
.LBB2549_182:
	v_lshlrev_b32_e32 v19, 1, v41
	v_readfirstlane_b32 s4, v2
	v_readfirstlane_b32 s5, v3
	s_waitcnt lgkmcnt(14)
	s_nop 3
	global_store_short v19, v42, s[4:5]
	s_or_b64 exec, exec, s[2:3]
	v_cmp_lt_u32_e32 vcc, v39, v16
	s_and_saveexec_b64 s[2:3], vcc
	s_cbranch_execz .LBB2549_120
.LBB2549_183:
	v_lshlrev_b32_e32 v19, 1, v39
	v_readfirstlane_b32 s4, v2
	v_readfirstlane_b32 s5, v3
	s_waitcnt lgkmcnt(14)
	s_nop 3
	global_store_short v19, v40, s[4:5]
	s_or_b64 exec, exec, s[2:3]
	v_cmp_lt_u32_e32 vcc, v37, v16
	s_and_saveexec_b64 s[2:3], vcc
	s_cbranch_execz .LBB2549_121
.LBB2549_184:
	v_lshlrev_b32_e32 v19, 1, v37
	v_readfirstlane_b32 s4, v2
	v_readfirstlane_b32 s5, v3
	s_waitcnt lgkmcnt(13)
	s_nop 3
	global_store_short v19, v38, s[4:5]
	s_or_b64 exec, exec, s[2:3]
	v_cmp_lt_u32_e32 vcc, v34, v16
	s_and_saveexec_b64 s[2:3], vcc
	s_cbranch_execz .LBB2549_122
.LBB2549_185:
	v_lshlrev_b32_e32 v19, 1, v34
	v_readfirstlane_b32 s4, v2
	v_readfirstlane_b32 s5, v3
	s_waitcnt lgkmcnt(12)
	s_nop 3
	global_store_short v19, v35, s[4:5]
	s_or_b64 exec, exec, s[2:3]
	v_cmp_lt_u32_e32 vcc, v33, v16
	s_and_saveexec_b64 s[2:3], vcc
	s_cbranch_execz .LBB2549_123
.LBB2549_186:
	v_lshlrev_b32_e32 v19, 1, v33
	v_readfirstlane_b32 s4, v2
	v_readfirstlane_b32 s5, v3
	s_waitcnt lgkmcnt(11)
	s_nop 3
	global_store_short v19, v36, s[4:5]
	s_or_b64 exec, exec, s[2:3]
	v_cmp_lt_u32_e32 vcc, v31, v16
	s_and_saveexec_b64 s[2:3], vcc
	s_cbranch_execz .LBB2549_124
.LBB2549_187:
	v_lshlrev_b32_e32 v19, 1, v31
	v_readfirstlane_b32 s4, v2
	v_readfirstlane_b32 s5, v3
	s_waitcnt lgkmcnt(10)
	s_nop 3
	global_store_short v19, v32, s[4:5]
	s_or_b64 exec, exec, s[2:3]
	v_cmp_lt_u32_e32 vcc, v29, v16
	s_and_saveexec_b64 s[2:3], vcc
	s_cbranch_execz .LBB2549_125
.LBB2549_188:
	v_lshlrev_b32_e32 v19, 1, v29
	v_readfirstlane_b32 s4, v2
	v_readfirstlane_b32 s5, v3
	s_waitcnt lgkmcnt(9)
	s_nop 3
	global_store_short v19, v30, s[4:5]
	s_or_b64 exec, exec, s[2:3]
	v_cmp_lt_u32_e32 vcc, v27, v16
	s_and_saveexec_b64 s[2:3], vcc
	s_cbranch_execz .LBB2549_126
.LBB2549_189:
	v_lshlrev_b32_e32 v19, 1, v27
	v_readfirstlane_b32 s4, v2
	v_readfirstlane_b32 s5, v3
	s_waitcnt lgkmcnt(8)
	s_nop 3
	global_store_short v19, v28, s[4:5]
	s_or_b64 exec, exec, s[2:3]
	v_cmp_lt_u32_e32 vcc, v25, v16
	s_and_saveexec_b64 s[2:3], vcc
	s_cbranch_execz .LBB2549_127
.LBB2549_190:
	v_lshlrev_b32_e32 v19, 1, v25
	v_readfirstlane_b32 s4, v2
	v_readfirstlane_b32 s5, v3
	s_waitcnt lgkmcnt(7)
	s_nop 3
	global_store_short v19, v26, s[4:5]
	s_or_b64 exec, exec, s[2:3]
	v_cmp_lt_u32_e32 vcc, v23, v16
	s_and_saveexec_b64 s[2:3], vcc
	s_cbranch_execz .LBB2549_128
.LBB2549_191:
	v_lshlrev_b32_e32 v19, 1, v23
	v_readfirstlane_b32 s4, v2
	v_readfirstlane_b32 s5, v3
	s_waitcnt lgkmcnt(6)
	s_nop 3
	global_store_short v19, v24, s[4:5]
	s_or_b64 exec, exec, s[2:3]
	v_cmp_lt_u32_e32 vcc, v21, v16
	s_and_saveexec_b64 s[2:3], vcc
	s_cbranch_execz .LBB2549_129
.LBB2549_192:
	v_lshlrev_b32_e32 v19, 1, v21
	v_readfirstlane_b32 s4, v2
	v_readfirstlane_b32 s5, v3
	s_waitcnt lgkmcnt(5)
	s_nop 3
	global_store_short v19, v22, s[4:5]
	s_or_b64 exec, exec, s[2:3]
	v_cmp_lt_u32_e32 vcc, v17, v16
	s_and_saveexec_b64 s[2:3], vcc
	s_cbranch_execz .LBB2549_130
.LBB2549_193:
	v_lshlrev_b32_e32 v19, 1, v17
	v_readfirstlane_b32 s4, v2
	v_readfirstlane_b32 s5, v3
	s_waitcnt lgkmcnt(4)
	s_nop 3
	global_store_short v19, v20, s[4:5]
	s_or_b64 exec, exec, s[2:3]
	v_cmp_lt_u32_e32 vcc, v13, v16
	s_and_saveexec_b64 s[2:3], vcc
	s_cbranch_execz .LBB2549_131
.LBB2549_194:
	v_lshlrev_b32_e32 v19, 1, v13
	v_readfirstlane_b32 s4, v2
	v_readfirstlane_b32 s5, v3
	s_waitcnt lgkmcnt(3)
	s_nop 3
	global_store_short v19, v12, s[4:5]
	s_or_b64 exec, exec, s[2:3]
	v_cmp_lt_u32_e32 vcc, v11, v16
	s_and_saveexec_b64 s[2:3], vcc
	s_cbranch_execz .LBB2549_132
.LBB2549_195:
	v_lshlrev_b32_e32 v19, 1, v11
	v_readfirstlane_b32 s4, v2
	v_readfirstlane_b32 s5, v3
	s_waitcnt lgkmcnt(2)
	s_nop 3
	global_store_short v19, v10, s[4:5]
	s_or_b64 exec, exec, s[2:3]
	v_cmp_lt_u32_e32 vcc, v9, v16
	s_and_saveexec_b64 s[2:3], vcc
	s_cbranch_execnz .LBB2549_133
	s_branch .LBB2549_134
.LBB2549_196:
	v_readfirstlane_b32 s4, v2
	v_readfirstlane_b32 s5, v3
	s_waitcnt lgkmcnt(14)
	s_nop 3
	global_store_short v1, v65, s[4:5]
	s_or_b64 exec, exec, s[2:3]
	v_cmp_lt_u32_e32 vcc, v63, v66
	s_and_saveexec_b64 s[2:3], vcc
	s_cbranch_execz .LBB2549_138
.LBB2549_197:
	v_readfirstlane_b32 s4, v2
	v_readfirstlane_b32 s5, v3
	s_waitcnt lgkmcnt(14)
	s_nop 3
	global_store_short v1, v64, s[4:5] offset:512
	s_or_b64 exec, exec, s[2:3]
	v_cmp_lt_u32_e32 vcc, v61, v66
	s_and_saveexec_b64 s[2:3], vcc
	s_cbranch_execz .LBB2549_139
.LBB2549_198:
	v_readfirstlane_b32 s4, v2
	v_readfirstlane_b32 s5, v3
	s_waitcnt lgkmcnt(14)
	s_nop 3
	global_store_short v1, v62, s[4:5] offset:1024
	s_or_b64 exec, exec, s[2:3]
	v_cmp_lt_u32_e32 vcc, v59, v66
	s_and_saveexec_b64 s[2:3], vcc
	s_cbranch_execz .LBB2549_140
.LBB2549_199:
	v_readfirstlane_b32 s4, v2
	v_readfirstlane_b32 s5, v3
	s_waitcnt lgkmcnt(14)
	s_nop 3
	global_store_short v1, v60, s[4:5] offset:1536
	s_or_b64 exec, exec, s[2:3]
	v_cmp_lt_u32_e32 vcc, v57, v66
	s_and_saveexec_b64 s[2:3], vcc
	s_cbranch_execz .LBB2549_141
.LBB2549_200:
	v_readfirstlane_b32 s4, v2
	v_readfirstlane_b32 s5, v3
	s_waitcnt lgkmcnt(14)
	s_nop 3
	global_store_short v1, v58, s[4:5] offset:2048
	s_or_b64 exec, exec, s[2:3]
	v_cmp_lt_u32_e32 vcc, v56, v66
	s_and_saveexec_b64 s[2:3], vcc
	s_cbranch_execz .LBB2549_142
.LBB2549_201:
	v_readfirstlane_b32 s4, v2
	v_readfirstlane_b32 s5, v3
	s_waitcnt lgkmcnt(14)
	s_nop 3
	global_store_short v1, v55, s[4:5] offset:2560
	s_or_b64 exec, exec, s[2:3]
	v_cmp_lt_u32_e32 vcc, v54, v66
	s_and_saveexec_b64 s[2:3], vcc
	s_cbranch_execz .LBB2549_143
.LBB2549_202:
	v_readfirstlane_b32 s4, v2
	v_readfirstlane_b32 s5, v3
	s_waitcnt lgkmcnt(14)
	s_nop 3
	global_store_short v1, v53, s[4:5] offset:3072
	s_or_b64 exec, exec, s[2:3]
	v_cmp_lt_u32_e32 vcc, v52, v66
	s_and_saveexec_b64 s[2:3], vcc
	s_cbranch_execz .LBB2549_144
.LBB2549_203:
	v_readfirstlane_b32 s4, v2
	v_readfirstlane_b32 s5, v3
	s_waitcnt lgkmcnt(14)
	s_nop 3
	global_store_short v1, v50, s[4:5] offset:3584
	s_or_b64 exec, exec, s[2:3]
	v_cmp_lt_u32_e32 vcc, v49, v66
	s_and_saveexec_b64 s[2:3], vcc
	s_cbranch_execz .LBB2549_145
.LBB2549_204:
	v_lshlrev_b32_e32 v0, 1, v49
	v_readfirstlane_b32 s4, v2
	v_readfirstlane_b32 s5, v3
	s_waitcnt lgkmcnt(14)
	s_nop 3
	global_store_short v0, v51, s[4:5]
	s_or_b64 exec, exec, s[2:3]
	v_cmp_lt_u32_e32 vcc, v47, v66
	s_and_saveexec_b64 s[2:3], vcc
	s_cbranch_execz .LBB2549_146
.LBB2549_205:
	v_lshlrev_b32_e32 v0, 1, v47
	v_readfirstlane_b32 s4, v2
	v_readfirstlane_b32 s5, v3
	s_waitcnt lgkmcnt(14)
	s_nop 3
	global_store_short v0, v48, s[4:5]
	s_or_b64 exec, exec, s[2:3]
	v_cmp_lt_u32_e32 vcc, v45, v66
	s_and_saveexec_b64 s[2:3], vcc
	s_cbranch_execz .LBB2549_147
.LBB2549_206:
	v_lshlrev_b32_e32 v0, 1, v45
	v_readfirstlane_b32 s4, v2
	v_readfirstlane_b32 s5, v3
	s_waitcnt lgkmcnt(14)
	s_nop 3
	global_store_short v0, v46, s[4:5]
	s_or_b64 exec, exec, s[2:3]
	v_cmp_lt_u32_e32 vcc, v43, v66
	s_and_saveexec_b64 s[2:3], vcc
	s_cbranch_execz .LBB2549_148
.LBB2549_207:
	v_lshlrev_b32_e32 v0, 1, v43
	v_readfirstlane_b32 s4, v2
	v_readfirstlane_b32 s5, v3
	s_waitcnt lgkmcnt(14)
	s_nop 3
	global_store_short v0, v44, s[4:5]
	s_or_b64 exec, exec, s[2:3]
	v_cmp_lt_u32_e32 vcc, v41, v66
	s_and_saveexec_b64 s[2:3], vcc
	s_cbranch_execz .LBB2549_149
.LBB2549_208:
	v_lshlrev_b32_e32 v0, 1, v41
	v_readfirstlane_b32 s4, v2
	v_readfirstlane_b32 s5, v3
	s_waitcnt lgkmcnt(14)
	s_nop 3
	global_store_short v0, v42, s[4:5]
	s_or_b64 exec, exec, s[2:3]
	v_cmp_lt_u32_e32 vcc, v39, v66
	s_and_saveexec_b64 s[2:3], vcc
	s_cbranch_execz .LBB2549_150
.LBB2549_209:
	v_lshlrev_b32_e32 v0, 1, v39
	v_readfirstlane_b32 s4, v2
	v_readfirstlane_b32 s5, v3
	s_waitcnt lgkmcnt(14)
	s_nop 3
	global_store_short v0, v40, s[4:5]
	s_or_b64 exec, exec, s[2:3]
	v_cmp_lt_u32_e32 vcc, v37, v66
	s_and_saveexec_b64 s[2:3], vcc
	s_cbranch_execz .LBB2549_151
.LBB2549_210:
	v_lshlrev_b32_e32 v0, 1, v37
	v_readfirstlane_b32 s4, v2
	v_readfirstlane_b32 s5, v3
	s_waitcnt lgkmcnt(13)
	s_nop 3
	global_store_short v0, v38, s[4:5]
	s_or_b64 exec, exec, s[2:3]
	v_cmp_lt_u32_e32 vcc, v34, v66
	s_and_saveexec_b64 s[2:3], vcc
	s_cbranch_execz .LBB2549_152
.LBB2549_211:
	v_lshlrev_b32_e32 v0, 1, v34
	v_readfirstlane_b32 s4, v2
	v_readfirstlane_b32 s5, v3
	s_waitcnt lgkmcnt(12)
	s_nop 3
	global_store_short v0, v35, s[4:5]
	s_or_b64 exec, exec, s[2:3]
	v_cmp_lt_u32_e32 vcc, v33, v66
	s_and_saveexec_b64 s[2:3], vcc
	s_cbranch_execz .LBB2549_153
.LBB2549_212:
	v_lshlrev_b32_e32 v0, 1, v33
	v_readfirstlane_b32 s4, v2
	v_readfirstlane_b32 s5, v3
	s_waitcnt lgkmcnt(11)
	s_nop 3
	global_store_short v0, v36, s[4:5]
	s_or_b64 exec, exec, s[2:3]
	v_cmp_lt_u32_e32 vcc, v31, v66
	s_and_saveexec_b64 s[2:3], vcc
	s_cbranch_execz .LBB2549_154
.LBB2549_213:
	v_lshlrev_b32_e32 v0, 1, v31
	v_readfirstlane_b32 s4, v2
	v_readfirstlane_b32 s5, v3
	s_waitcnt lgkmcnt(10)
	s_nop 3
	global_store_short v0, v32, s[4:5]
	s_or_b64 exec, exec, s[2:3]
	v_cmp_lt_u32_e32 vcc, v29, v66
	s_and_saveexec_b64 s[2:3], vcc
	s_cbranch_execz .LBB2549_155
.LBB2549_214:
	v_lshlrev_b32_e32 v0, 1, v29
	v_readfirstlane_b32 s4, v2
	v_readfirstlane_b32 s5, v3
	s_waitcnt lgkmcnt(9)
	s_nop 3
	global_store_short v0, v30, s[4:5]
	s_or_b64 exec, exec, s[2:3]
	v_cmp_lt_u32_e32 vcc, v27, v66
	s_and_saveexec_b64 s[2:3], vcc
	s_cbranch_execz .LBB2549_156
.LBB2549_215:
	v_lshlrev_b32_e32 v0, 1, v27
	v_readfirstlane_b32 s4, v2
	v_readfirstlane_b32 s5, v3
	s_waitcnt lgkmcnt(8)
	s_nop 3
	global_store_short v0, v28, s[4:5]
	s_or_b64 exec, exec, s[2:3]
	v_cmp_lt_u32_e32 vcc, v25, v66
	s_and_saveexec_b64 s[2:3], vcc
	s_cbranch_execz .LBB2549_157
.LBB2549_216:
	v_lshlrev_b32_e32 v0, 1, v25
	v_readfirstlane_b32 s4, v2
	v_readfirstlane_b32 s5, v3
	s_waitcnt lgkmcnt(7)
	s_nop 3
	global_store_short v0, v26, s[4:5]
	s_or_b64 exec, exec, s[2:3]
	v_cmp_lt_u32_e32 vcc, v23, v66
	s_and_saveexec_b64 s[2:3], vcc
	s_cbranch_execz .LBB2549_158
.LBB2549_217:
	v_lshlrev_b32_e32 v0, 1, v23
	v_readfirstlane_b32 s4, v2
	v_readfirstlane_b32 s5, v3
	s_waitcnt lgkmcnt(6)
	s_nop 3
	global_store_short v0, v24, s[4:5]
	s_or_b64 exec, exec, s[2:3]
	v_cmp_lt_u32_e32 vcc, v21, v66
	s_and_saveexec_b64 s[2:3], vcc
	s_cbranch_execz .LBB2549_159
.LBB2549_218:
	v_lshlrev_b32_e32 v0, 1, v21
	v_readfirstlane_b32 s4, v2
	v_readfirstlane_b32 s5, v3
	s_waitcnt lgkmcnt(5)
	s_nop 3
	global_store_short v0, v22, s[4:5]
	s_or_b64 exec, exec, s[2:3]
	v_cmp_lt_u32_e32 vcc, v17, v66
	s_and_saveexec_b64 s[2:3], vcc
	s_cbranch_execz .LBB2549_160
.LBB2549_219:
	v_lshlrev_b32_e32 v0, 1, v17
	v_readfirstlane_b32 s4, v2
	v_readfirstlane_b32 s5, v3
	s_waitcnt lgkmcnt(4)
	s_nop 3
	global_store_short v0, v20, s[4:5]
	s_or_b64 exec, exec, s[2:3]
	v_cmp_lt_u32_e32 vcc, v13, v66
	s_and_saveexec_b64 s[2:3], vcc
	s_cbranch_execz .LBB2549_161
.LBB2549_220:
	v_lshlrev_b32_e32 v0, 1, v13
	v_readfirstlane_b32 s4, v2
	v_readfirstlane_b32 s5, v3
	s_waitcnt lgkmcnt(3)
	s_nop 3
	global_store_short v0, v12, s[4:5]
	s_or_b64 exec, exec, s[2:3]
	v_cmp_lt_u32_e32 vcc, v11, v66
	s_and_saveexec_b64 s[2:3], vcc
	s_cbranch_execz .LBB2549_162
.LBB2549_221:
	v_lshlrev_b32_e32 v0, 1, v11
	v_readfirstlane_b32 s4, v2
	v_readfirstlane_b32 s5, v3
	s_waitcnt lgkmcnt(2)
	s_nop 3
	global_store_short v0, v10, s[4:5]
	s_or_b64 exec, exec, s[2:3]
	v_cmp_lt_u32_e32 vcc, v9, v66
	s_and_saveexec_b64 s[2:3], vcc
	s_cbranch_execnz .LBB2549_163
	s_branch .LBB2549_164
	.section	.rodata,"a",@progbits
	.p2align	6, 0x0
	.amdhsa_kernel _ZN7rocprim17ROCPRIM_400000_NS6detail17trampoline_kernelINS0_14default_configENS1_25partition_config_selectorILNS1_17partition_subalgoE0EtNS0_10empty_typeEbEEZZNS1_14partition_implILS5_0ELb0ES3_jN6thrust23THRUST_200600_302600_NS6detail15normal_iteratorINSA_10device_ptrItEEEEPS6_SG_NS0_5tupleIJSF_NSA_16discard_iteratorINSA_11use_defaultEEEEEENSH_IJSG_SG_EEES6_PlJ7is_evenItEEEE10hipError_tPvRmT3_T4_T5_T6_T7_T9_mT8_P12ihipStream_tbDpT10_ENKUlT_T0_E_clISt17integral_constantIbLb0EES18_IbLb1EEEEDaS14_S15_EUlS14_E_NS1_11comp_targetILNS1_3genE4ELNS1_11target_archE910ELNS1_3gpuE8ELNS1_3repE0EEENS1_30default_config_static_selectorELNS0_4arch9wavefront6targetE1EEEvT1_
		.amdhsa_group_segment_fixed_size 14344
		.amdhsa_private_segment_fixed_size 0
		.amdhsa_kernarg_size 144
		.amdhsa_user_sgpr_count 6
		.amdhsa_user_sgpr_private_segment_buffer 1
		.amdhsa_user_sgpr_dispatch_ptr 0
		.amdhsa_user_sgpr_queue_ptr 0
		.amdhsa_user_sgpr_kernarg_segment_ptr 1
		.amdhsa_user_sgpr_dispatch_id 0
		.amdhsa_user_sgpr_flat_scratch_init 0
		.amdhsa_user_sgpr_kernarg_preload_length 0
		.amdhsa_user_sgpr_kernarg_preload_offset 0
		.amdhsa_user_sgpr_private_segment_size 0
		.amdhsa_uses_dynamic_stack 0
		.amdhsa_system_sgpr_private_segment_wavefront_offset 0
		.amdhsa_system_sgpr_workgroup_id_x 1
		.amdhsa_system_sgpr_workgroup_id_y 0
		.amdhsa_system_sgpr_workgroup_id_z 0
		.amdhsa_system_sgpr_workgroup_info 0
		.amdhsa_system_vgpr_workitem_id 0
		.amdhsa_next_free_vgpr 116
		.amdhsa_next_free_sgpr 40
		.amdhsa_accum_offset 116
		.amdhsa_reserve_vcc 1
		.amdhsa_reserve_flat_scratch 0
		.amdhsa_float_round_mode_32 0
		.amdhsa_float_round_mode_16_64 0
		.amdhsa_float_denorm_mode_32 3
		.amdhsa_float_denorm_mode_16_64 3
		.amdhsa_dx10_clamp 1
		.amdhsa_ieee_mode 1
		.amdhsa_fp16_overflow 0
		.amdhsa_tg_split 0
		.amdhsa_exception_fp_ieee_invalid_op 0
		.amdhsa_exception_fp_denorm_src 0
		.amdhsa_exception_fp_ieee_div_zero 0
		.amdhsa_exception_fp_ieee_overflow 0
		.amdhsa_exception_fp_ieee_underflow 0
		.amdhsa_exception_fp_ieee_inexact 0
		.amdhsa_exception_int_div_zero 0
	.end_amdhsa_kernel
	.section	.text._ZN7rocprim17ROCPRIM_400000_NS6detail17trampoline_kernelINS0_14default_configENS1_25partition_config_selectorILNS1_17partition_subalgoE0EtNS0_10empty_typeEbEEZZNS1_14partition_implILS5_0ELb0ES3_jN6thrust23THRUST_200600_302600_NS6detail15normal_iteratorINSA_10device_ptrItEEEEPS6_SG_NS0_5tupleIJSF_NSA_16discard_iteratorINSA_11use_defaultEEEEEENSH_IJSG_SG_EEES6_PlJ7is_evenItEEEE10hipError_tPvRmT3_T4_T5_T6_T7_T9_mT8_P12ihipStream_tbDpT10_ENKUlT_T0_E_clISt17integral_constantIbLb0EES18_IbLb1EEEEDaS14_S15_EUlS14_E_NS1_11comp_targetILNS1_3genE4ELNS1_11target_archE910ELNS1_3gpuE8ELNS1_3repE0EEENS1_30default_config_static_selectorELNS0_4arch9wavefront6targetE1EEEvT1_,"axG",@progbits,_ZN7rocprim17ROCPRIM_400000_NS6detail17trampoline_kernelINS0_14default_configENS1_25partition_config_selectorILNS1_17partition_subalgoE0EtNS0_10empty_typeEbEEZZNS1_14partition_implILS5_0ELb0ES3_jN6thrust23THRUST_200600_302600_NS6detail15normal_iteratorINSA_10device_ptrItEEEEPS6_SG_NS0_5tupleIJSF_NSA_16discard_iteratorINSA_11use_defaultEEEEEENSH_IJSG_SG_EEES6_PlJ7is_evenItEEEE10hipError_tPvRmT3_T4_T5_T6_T7_T9_mT8_P12ihipStream_tbDpT10_ENKUlT_T0_E_clISt17integral_constantIbLb0EES18_IbLb1EEEEDaS14_S15_EUlS14_E_NS1_11comp_targetILNS1_3genE4ELNS1_11target_archE910ELNS1_3gpuE8ELNS1_3repE0EEENS1_30default_config_static_selectorELNS0_4arch9wavefront6targetE1EEEvT1_,comdat
.Lfunc_end2549:
	.size	_ZN7rocprim17ROCPRIM_400000_NS6detail17trampoline_kernelINS0_14default_configENS1_25partition_config_selectorILNS1_17partition_subalgoE0EtNS0_10empty_typeEbEEZZNS1_14partition_implILS5_0ELb0ES3_jN6thrust23THRUST_200600_302600_NS6detail15normal_iteratorINSA_10device_ptrItEEEEPS6_SG_NS0_5tupleIJSF_NSA_16discard_iteratorINSA_11use_defaultEEEEEENSH_IJSG_SG_EEES6_PlJ7is_evenItEEEE10hipError_tPvRmT3_T4_T5_T6_T7_T9_mT8_P12ihipStream_tbDpT10_ENKUlT_T0_E_clISt17integral_constantIbLb0EES18_IbLb1EEEEDaS14_S15_EUlS14_E_NS1_11comp_targetILNS1_3genE4ELNS1_11target_archE910ELNS1_3gpuE8ELNS1_3repE0EEENS1_30default_config_static_selectorELNS0_4arch9wavefront6targetE1EEEvT1_, .Lfunc_end2549-_ZN7rocprim17ROCPRIM_400000_NS6detail17trampoline_kernelINS0_14default_configENS1_25partition_config_selectorILNS1_17partition_subalgoE0EtNS0_10empty_typeEbEEZZNS1_14partition_implILS5_0ELb0ES3_jN6thrust23THRUST_200600_302600_NS6detail15normal_iteratorINSA_10device_ptrItEEEEPS6_SG_NS0_5tupleIJSF_NSA_16discard_iteratorINSA_11use_defaultEEEEEENSH_IJSG_SG_EEES6_PlJ7is_evenItEEEE10hipError_tPvRmT3_T4_T5_T6_T7_T9_mT8_P12ihipStream_tbDpT10_ENKUlT_T0_E_clISt17integral_constantIbLb0EES18_IbLb1EEEEDaS14_S15_EUlS14_E_NS1_11comp_targetILNS1_3genE4ELNS1_11target_archE910ELNS1_3gpuE8ELNS1_3repE0EEENS1_30default_config_static_selectorELNS0_4arch9wavefront6targetE1EEEvT1_
                                        ; -- End function
	.section	.AMDGPU.csdata,"",@progbits
; Kernel info:
; codeLenInByte = 10356
; NumSgprs: 44
; NumVgprs: 116
; NumAgprs: 0
; TotalNumVgprs: 116
; ScratchSize: 0
; MemoryBound: 0
; FloatMode: 240
; IeeeMode: 1
; LDSByteSize: 14344 bytes/workgroup (compile time only)
; SGPRBlocks: 5
; VGPRBlocks: 14
; NumSGPRsForWavesPerEU: 44
; NumVGPRsForWavesPerEU: 116
; AccumOffset: 116
; Occupancy: 4
; WaveLimiterHint : 1
; COMPUTE_PGM_RSRC2:SCRATCH_EN: 0
; COMPUTE_PGM_RSRC2:USER_SGPR: 6
; COMPUTE_PGM_RSRC2:TRAP_HANDLER: 0
; COMPUTE_PGM_RSRC2:TGID_X_EN: 1
; COMPUTE_PGM_RSRC2:TGID_Y_EN: 0
; COMPUTE_PGM_RSRC2:TGID_Z_EN: 0
; COMPUTE_PGM_RSRC2:TIDIG_COMP_CNT: 0
; COMPUTE_PGM_RSRC3_GFX90A:ACCUM_OFFSET: 28
; COMPUTE_PGM_RSRC3_GFX90A:TG_SPLIT: 0
	.section	.text._ZN7rocprim17ROCPRIM_400000_NS6detail17trampoline_kernelINS0_14default_configENS1_25partition_config_selectorILNS1_17partition_subalgoE0EtNS0_10empty_typeEbEEZZNS1_14partition_implILS5_0ELb0ES3_jN6thrust23THRUST_200600_302600_NS6detail15normal_iteratorINSA_10device_ptrItEEEEPS6_SG_NS0_5tupleIJSF_NSA_16discard_iteratorINSA_11use_defaultEEEEEENSH_IJSG_SG_EEES6_PlJ7is_evenItEEEE10hipError_tPvRmT3_T4_T5_T6_T7_T9_mT8_P12ihipStream_tbDpT10_ENKUlT_T0_E_clISt17integral_constantIbLb0EES18_IbLb1EEEEDaS14_S15_EUlS14_E_NS1_11comp_targetILNS1_3genE3ELNS1_11target_archE908ELNS1_3gpuE7ELNS1_3repE0EEENS1_30default_config_static_selectorELNS0_4arch9wavefront6targetE1EEEvT1_,"axG",@progbits,_ZN7rocprim17ROCPRIM_400000_NS6detail17trampoline_kernelINS0_14default_configENS1_25partition_config_selectorILNS1_17partition_subalgoE0EtNS0_10empty_typeEbEEZZNS1_14partition_implILS5_0ELb0ES3_jN6thrust23THRUST_200600_302600_NS6detail15normal_iteratorINSA_10device_ptrItEEEEPS6_SG_NS0_5tupleIJSF_NSA_16discard_iteratorINSA_11use_defaultEEEEEENSH_IJSG_SG_EEES6_PlJ7is_evenItEEEE10hipError_tPvRmT3_T4_T5_T6_T7_T9_mT8_P12ihipStream_tbDpT10_ENKUlT_T0_E_clISt17integral_constantIbLb0EES18_IbLb1EEEEDaS14_S15_EUlS14_E_NS1_11comp_targetILNS1_3genE3ELNS1_11target_archE908ELNS1_3gpuE7ELNS1_3repE0EEENS1_30default_config_static_selectorELNS0_4arch9wavefront6targetE1EEEvT1_,comdat
	.protected	_ZN7rocprim17ROCPRIM_400000_NS6detail17trampoline_kernelINS0_14default_configENS1_25partition_config_selectorILNS1_17partition_subalgoE0EtNS0_10empty_typeEbEEZZNS1_14partition_implILS5_0ELb0ES3_jN6thrust23THRUST_200600_302600_NS6detail15normal_iteratorINSA_10device_ptrItEEEEPS6_SG_NS0_5tupleIJSF_NSA_16discard_iteratorINSA_11use_defaultEEEEEENSH_IJSG_SG_EEES6_PlJ7is_evenItEEEE10hipError_tPvRmT3_T4_T5_T6_T7_T9_mT8_P12ihipStream_tbDpT10_ENKUlT_T0_E_clISt17integral_constantIbLb0EES18_IbLb1EEEEDaS14_S15_EUlS14_E_NS1_11comp_targetILNS1_3genE3ELNS1_11target_archE908ELNS1_3gpuE7ELNS1_3repE0EEENS1_30default_config_static_selectorELNS0_4arch9wavefront6targetE1EEEvT1_ ; -- Begin function _ZN7rocprim17ROCPRIM_400000_NS6detail17trampoline_kernelINS0_14default_configENS1_25partition_config_selectorILNS1_17partition_subalgoE0EtNS0_10empty_typeEbEEZZNS1_14partition_implILS5_0ELb0ES3_jN6thrust23THRUST_200600_302600_NS6detail15normal_iteratorINSA_10device_ptrItEEEEPS6_SG_NS0_5tupleIJSF_NSA_16discard_iteratorINSA_11use_defaultEEEEEENSH_IJSG_SG_EEES6_PlJ7is_evenItEEEE10hipError_tPvRmT3_T4_T5_T6_T7_T9_mT8_P12ihipStream_tbDpT10_ENKUlT_T0_E_clISt17integral_constantIbLb0EES18_IbLb1EEEEDaS14_S15_EUlS14_E_NS1_11comp_targetILNS1_3genE3ELNS1_11target_archE908ELNS1_3gpuE7ELNS1_3repE0EEENS1_30default_config_static_selectorELNS0_4arch9wavefront6targetE1EEEvT1_
	.globl	_ZN7rocprim17ROCPRIM_400000_NS6detail17trampoline_kernelINS0_14default_configENS1_25partition_config_selectorILNS1_17partition_subalgoE0EtNS0_10empty_typeEbEEZZNS1_14partition_implILS5_0ELb0ES3_jN6thrust23THRUST_200600_302600_NS6detail15normal_iteratorINSA_10device_ptrItEEEEPS6_SG_NS0_5tupleIJSF_NSA_16discard_iteratorINSA_11use_defaultEEEEEENSH_IJSG_SG_EEES6_PlJ7is_evenItEEEE10hipError_tPvRmT3_T4_T5_T6_T7_T9_mT8_P12ihipStream_tbDpT10_ENKUlT_T0_E_clISt17integral_constantIbLb0EES18_IbLb1EEEEDaS14_S15_EUlS14_E_NS1_11comp_targetILNS1_3genE3ELNS1_11target_archE908ELNS1_3gpuE7ELNS1_3repE0EEENS1_30default_config_static_selectorELNS0_4arch9wavefront6targetE1EEEvT1_
	.p2align	8
	.type	_ZN7rocprim17ROCPRIM_400000_NS6detail17trampoline_kernelINS0_14default_configENS1_25partition_config_selectorILNS1_17partition_subalgoE0EtNS0_10empty_typeEbEEZZNS1_14partition_implILS5_0ELb0ES3_jN6thrust23THRUST_200600_302600_NS6detail15normal_iteratorINSA_10device_ptrItEEEEPS6_SG_NS0_5tupleIJSF_NSA_16discard_iteratorINSA_11use_defaultEEEEEENSH_IJSG_SG_EEES6_PlJ7is_evenItEEEE10hipError_tPvRmT3_T4_T5_T6_T7_T9_mT8_P12ihipStream_tbDpT10_ENKUlT_T0_E_clISt17integral_constantIbLb0EES18_IbLb1EEEEDaS14_S15_EUlS14_E_NS1_11comp_targetILNS1_3genE3ELNS1_11target_archE908ELNS1_3gpuE7ELNS1_3repE0EEENS1_30default_config_static_selectorELNS0_4arch9wavefront6targetE1EEEvT1_,@function
_ZN7rocprim17ROCPRIM_400000_NS6detail17trampoline_kernelINS0_14default_configENS1_25partition_config_selectorILNS1_17partition_subalgoE0EtNS0_10empty_typeEbEEZZNS1_14partition_implILS5_0ELb0ES3_jN6thrust23THRUST_200600_302600_NS6detail15normal_iteratorINSA_10device_ptrItEEEEPS6_SG_NS0_5tupleIJSF_NSA_16discard_iteratorINSA_11use_defaultEEEEEENSH_IJSG_SG_EEES6_PlJ7is_evenItEEEE10hipError_tPvRmT3_T4_T5_T6_T7_T9_mT8_P12ihipStream_tbDpT10_ENKUlT_T0_E_clISt17integral_constantIbLb0EES18_IbLb1EEEEDaS14_S15_EUlS14_E_NS1_11comp_targetILNS1_3genE3ELNS1_11target_archE908ELNS1_3gpuE7ELNS1_3repE0EEENS1_30default_config_static_selectorELNS0_4arch9wavefront6targetE1EEEvT1_: ; @_ZN7rocprim17ROCPRIM_400000_NS6detail17trampoline_kernelINS0_14default_configENS1_25partition_config_selectorILNS1_17partition_subalgoE0EtNS0_10empty_typeEbEEZZNS1_14partition_implILS5_0ELb0ES3_jN6thrust23THRUST_200600_302600_NS6detail15normal_iteratorINSA_10device_ptrItEEEEPS6_SG_NS0_5tupleIJSF_NSA_16discard_iteratorINSA_11use_defaultEEEEEENSH_IJSG_SG_EEES6_PlJ7is_evenItEEEE10hipError_tPvRmT3_T4_T5_T6_T7_T9_mT8_P12ihipStream_tbDpT10_ENKUlT_T0_E_clISt17integral_constantIbLb0EES18_IbLb1EEEEDaS14_S15_EUlS14_E_NS1_11comp_targetILNS1_3genE3ELNS1_11target_archE908ELNS1_3gpuE7ELNS1_3repE0EEENS1_30default_config_static_selectorELNS0_4arch9wavefront6targetE1EEEvT1_
; %bb.0:
	.section	.rodata,"a",@progbits
	.p2align	6, 0x0
	.amdhsa_kernel _ZN7rocprim17ROCPRIM_400000_NS6detail17trampoline_kernelINS0_14default_configENS1_25partition_config_selectorILNS1_17partition_subalgoE0EtNS0_10empty_typeEbEEZZNS1_14partition_implILS5_0ELb0ES3_jN6thrust23THRUST_200600_302600_NS6detail15normal_iteratorINSA_10device_ptrItEEEEPS6_SG_NS0_5tupleIJSF_NSA_16discard_iteratorINSA_11use_defaultEEEEEENSH_IJSG_SG_EEES6_PlJ7is_evenItEEEE10hipError_tPvRmT3_T4_T5_T6_T7_T9_mT8_P12ihipStream_tbDpT10_ENKUlT_T0_E_clISt17integral_constantIbLb0EES18_IbLb1EEEEDaS14_S15_EUlS14_E_NS1_11comp_targetILNS1_3genE3ELNS1_11target_archE908ELNS1_3gpuE7ELNS1_3repE0EEENS1_30default_config_static_selectorELNS0_4arch9wavefront6targetE1EEEvT1_
		.amdhsa_group_segment_fixed_size 0
		.amdhsa_private_segment_fixed_size 0
		.amdhsa_kernarg_size 144
		.amdhsa_user_sgpr_count 6
		.amdhsa_user_sgpr_private_segment_buffer 1
		.amdhsa_user_sgpr_dispatch_ptr 0
		.amdhsa_user_sgpr_queue_ptr 0
		.amdhsa_user_sgpr_kernarg_segment_ptr 1
		.amdhsa_user_sgpr_dispatch_id 0
		.amdhsa_user_sgpr_flat_scratch_init 0
		.amdhsa_user_sgpr_kernarg_preload_length 0
		.amdhsa_user_sgpr_kernarg_preload_offset 0
		.amdhsa_user_sgpr_private_segment_size 0
		.amdhsa_uses_dynamic_stack 0
		.amdhsa_system_sgpr_private_segment_wavefront_offset 0
		.amdhsa_system_sgpr_workgroup_id_x 1
		.amdhsa_system_sgpr_workgroup_id_y 0
		.amdhsa_system_sgpr_workgroup_id_z 0
		.amdhsa_system_sgpr_workgroup_info 0
		.amdhsa_system_vgpr_workitem_id 0
		.amdhsa_next_free_vgpr 1
		.amdhsa_next_free_sgpr 0
		.amdhsa_accum_offset 4
		.amdhsa_reserve_vcc 0
		.amdhsa_reserve_flat_scratch 0
		.amdhsa_float_round_mode_32 0
		.amdhsa_float_round_mode_16_64 0
		.amdhsa_float_denorm_mode_32 3
		.amdhsa_float_denorm_mode_16_64 3
		.amdhsa_dx10_clamp 1
		.amdhsa_ieee_mode 1
		.amdhsa_fp16_overflow 0
		.amdhsa_tg_split 0
		.amdhsa_exception_fp_ieee_invalid_op 0
		.amdhsa_exception_fp_denorm_src 0
		.amdhsa_exception_fp_ieee_div_zero 0
		.amdhsa_exception_fp_ieee_overflow 0
		.amdhsa_exception_fp_ieee_underflow 0
		.amdhsa_exception_fp_ieee_inexact 0
		.amdhsa_exception_int_div_zero 0
	.end_amdhsa_kernel
	.section	.text._ZN7rocprim17ROCPRIM_400000_NS6detail17trampoline_kernelINS0_14default_configENS1_25partition_config_selectorILNS1_17partition_subalgoE0EtNS0_10empty_typeEbEEZZNS1_14partition_implILS5_0ELb0ES3_jN6thrust23THRUST_200600_302600_NS6detail15normal_iteratorINSA_10device_ptrItEEEEPS6_SG_NS0_5tupleIJSF_NSA_16discard_iteratorINSA_11use_defaultEEEEEENSH_IJSG_SG_EEES6_PlJ7is_evenItEEEE10hipError_tPvRmT3_T4_T5_T6_T7_T9_mT8_P12ihipStream_tbDpT10_ENKUlT_T0_E_clISt17integral_constantIbLb0EES18_IbLb1EEEEDaS14_S15_EUlS14_E_NS1_11comp_targetILNS1_3genE3ELNS1_11target_archE908ELNS1_3gpuE7ELNS1_3repE0EEENS1_30default_config_static_selectorELNS0_4arch9wavefront6targetE1EEEvT1_,"axG",@progbits,_ZN7rocprim17ROCPRIM_400000_NS6detail17trampoline_kernelINS0_14default_configENS1_25partition_config_selectorILNS1_17partition_subalgoE0EtNS0_10empty_typeEbEEZZNS1_14partition_implILS5_0ELb0ES3_jN6thrust23THRUST_200600_302600_NS6detail15normal_iteratorINSA_10device_ptrItEEEEPS6_SG_NS0_5tupleIJSF_NSA_16discard_iteratorINSA_11use_defaultEEEEEENSH_IJSG_SG_EEES6_PlJ7is_evenItEEEE10hipError_tPvRmT3_T4_T5_T6_T7_T9_mT8_P12ihipStream_tbDpT10_ENKUlT_T0_E_clISt17integral_constantIbLb0EES18_IbLb1EEEEDaS14_S15_EUlS14_E_NS1_11comp_targetILNS1_3genE3ELNS1_11target_archE908ELNS1_3gpuE7ELNS1_3repE0EEENS1_30default_config_static_selectorELNS0_4arch9wavefront6targetE1EEEvT1_,comdat
.Lfunc_end2550:
	.size	_ZN7rocprim17ROCPRIM_400000_NS6detail17trampoline_kernelINS0_14default_configENS1_25partition_config_selectorILNS1_17partition_subalgoE0EtNS0_10empty_typeEbEEZZNS1_14partition_implILS5_0ELb0ES3_jN6thrust23THRUST_200600_302600_NS6detail15normal_iteratorINSA_10device_ptrItEEEEPS6_SG_NS0_5tupleIJSF_NSA_16discard_iteratorINSA_11use_defaultEEEEEENSH_IJSG_SG_EEES6_PlJ7is_evenItEEEE10hipError_tPvRmT3_T4_T5_T6_T7_T9_mT8_P12ihipStream_tbDpT10_ENKUlT_T0_E_clISt17integral_constantIbLb0EES18_IbLb1EEEEDaS14_S15_EUlS14_E_NS1_11comp_targetILNS1_3genE3ELNS1_11target_archE908ELNS1_3gpuE7ELNS1_3repE0EEENS1_30default_config_static_selectorELNS0_4arch9wavefront6targetE1EEEvT1_, .Lfunc_end2550-_ZN7rocprim17ROCPRIM_400000_NS6detail17trampoline_kernelINS0_14default_configENS1_25partition_config_selectorILNS1_17partition_subalgoE0EtNS0_10empty_typeEbEEZZNS1_14partition_implILS5_0ELb0ES3_jN6thrust23THRUST_200600_302600_NS6detail15normal_iteratorINSA_10device_ptrItEEEEPS6_SG_NS0_5tupleIJSF_NSA_16discard_iteratorINSA_11use_defaultEEEEEENSH_IJSG_SG_EEES6_PlJ7is_evenItEEEE10hipError_tPvRmT3_T4_T5_T6_T7_T9_mT8_P12ihipStream_tbDpT10_ENKUlT_T0_E_clISt17integral_constantIbLb0EES18_IbLb1EEEEDaS14_S15_EUlS14_E_NS1_11comp_targetILNS1_3genE3ELNS1_11target_archE908ELNS1_3gpuE7ELNS1_3repE0EEENS1_30default_config_static_selectorELNS0_4arch9wavefront6targetE1EEEvT1_
                                        ; -- End function
	.section	.AMDGPU.csdata,"",@progbits
; Kernel info:
; codeLenInByte = 0
; NumSgprs: 4
; NumVgprs: 0
; NumAgprs: 0
; TotalNumVgprs: 0
; ScratchSize: 0
; MemoryBound: 0
; FloatMode: 240
; IeeeMode: 1
; LDSByteSize: 0 bytes/workgroup (compile time only)
; SGPRBlocks: 0
; VGPRBlocks: 0
; NumSGPRsForWavesPerEU: 4
; NumVGPRsForWavesPerEU: 1
; AccumOffset: 4
; Occupancy: 8
; WaveLimiterHint : 0
; COMPUTE_PGM_RSRC2:SCRATCH_EN: 0
; COMPUTE_PGM_RSRC2:USER_SGPR: 6
; COMPUTE_PGM_RSRC2:TRAP_HANDLER: 0
; COMPUTE_PGM_RSRC2:TGID_X_EN: 1
; COMPUTE_PGM_RSRC2:TGID_Y_EN: 0
; COMPUTE_PGM_RSRC2:TGID_Z_EN: 0
; COMPUTE_PGM_RSRC2:TIDIG_COMP_CNT: 0
; COMPUTE_PGM_RSRC3_GFX90A:ACCUM_OFFSET: 0
; COMPUTE_PGM_RSRC3_GFX90A:TG_SPLIT: 0
	.section	.text._ZN7rocprim17ROCPRIM_400000_NS6detail17trampoline_kernelINS0_14default_configENS1_25partition_config_selectorILNS1_17partition_subalgoE0EtNS0_10empty_typeEbEEZZNS1_14partition_implILS5_0ELb0ES3_jN6thrust23THRUST_200600_302600_NS6detail15normal_iteratorINSA_10device_ptrItEEEEPS6_SG_NS0_5tupleIJSF_NSA_16discard_iteratorINSA_11use_defaultEEEEEENSH_IJSG_SG_EEES6_PlJ7is_evenItEEEE10hipError_tPvRmT3_T4_T5_T6_T7_T9_mT8_P12ihipStream_tbDpT10_ENKUlT_T0_E_clISt17integral_constantIbLb0EES18_IbLb1EEEEDaS14_S15_EUlS14_E_NS1_11comp_targetILNS1_3genE2ELNS1_11target_archE906ELNS1_3gpuE6ELNS1_3repE0EEENS1_30default_config_static_selectorELNS0_4arch9wavefront6targetE1EEEvT1_,"axG",@progbits,_ZN7rocprim17ROCPRIM_400000_NS6detail17trampoline_kernelINS0_14default_configENS1_25partition_config_selectorILNS1_17partition_subalgoE0EtNS0_10empty_typeEbEEZZNS1_14partition_implILS5_0ELb0ES3_jN6thrust23THRUST_200600_302600_NS6detail15normal_iteratorINSA_10device_ptrItEEEEPS6_SG_NS0_5tupleIJSF_NSA_16discard_iteratorINSA_11use_defaultEEEEEENSH_IJSG_SG_EEES6_PlJ7is_evenItEEEE10hipError_tPvRmT3_T4_T5_T6_T7_T9_mT8_P12ihipStream_tbDpT10_ENKUlT_T0_E_clISt17integral_constantIbLb0EES18_IbLb1EEEEDaS14_S15_EUlS14_E_NS1_11comp_targetILNS1_3genE2ELNS1_11target_archE906ELNS1_3gpuE6ELNS1_3repE0EEENS1_30default_config_static_selectorELNS0_4arch9wavefront6targetE1EEEvT1_,comdat
	.protected	_ZN7rocprim17ROCPRIM_400000_NS6detail17trampoline_kernelINS0_14default_configENS1_25partition_config_selectorILNS1_17partition_subalgoE0EtNS0_10empty_typeEbEEZZNS1_14partition_implILS5_0ELb0ES3_jN6thrust23THRUST_200600_302600_NS6detail15normal_iteratorINSA_10device_ptrItEEEEPS6_SG_NS0_5tupleIJSF_NSA_16discard_iteratorINSA_11use_defaultEEEEEENSH_IJSG_SG_EEES6_PlJ7is_evenItEEEE10hipError_tPvRmT3_T4_T5_T6_T7_T9_mT8_P12ihipStream_tbDpT10_ENKUlT_T0_E_clISt17integral_constantIbLb0EES18_IbLb1EEEEDaS14_S15_EUlS14_E_NS1_11comp_targetILNS1_3genE2ELNS1_11target_archE906ELNS1_3gpuE6ELNS1_3repE0EEENS1_30default_config_static_selectorELNS0_4arch9wavefront6targetE1EEEvT1_ ; -- Begin function _ZN7rocprim17ROCPRIM_400000_NS6detail17trampoline_kernelINS0_14default_configENS1_25partition_config_selectorILNS1_17partition_subalgoE0EtNS0_10empty_typeEbEEZZNS1_14partition_implILS5_0ELb0ES3_jN6thrust23THRUST_200600_302600_NS6detail15normal_iteratorINSA_10device_ptrItEEEEPS6_SG_NS0_5tupleIJSF_NSA_16discard_iteratorINSA_11use_defaultEEEEEENSH_IJSG_SG_EEES6_PlJ7is_evenItEEEE10hipError_tPvRmT3_T4_T5_T6_T7_T9_mT8_P12ihipStream_tbDpT10_ENKUlT_T0_E_clISt17integral_constantIbLb0EES18_IbLb1EEEEDaS14_S15_EUlS14_E_NS1_11comp_targetILNS1_3genE2ELNS1_11target_archE906ELNS1_3gpuE6ELNS1_3repE0EEENS1_30default_config_static_selectorELNS0_4arch9wavefront6targetE1EEEvT1_
	.globl	_ZN7rocprim17ROCPRIM_400000_NS6detail17trampoline_kernelINS0_14default_configENS1_25partition_config_selectorILNS1_17partition_subalgoE0EtNS0_10empty_typeEbEEZZNS1_14partition_implILS5_0ELb0ES3_jN6thrust23THRUST_200600_302600_NS6detail15normal_iteratorINSA_10device_ptrItEEEEPS6_SG_NS0_5tupleIJSF_NSA_16discard_iteratorINSA_11use_defaultEEEEEENSH_IJSG_SG_EEES6_PlJ7is_evenItEEEE10hipError_tPvRmT3_T4_T5_T6_T7_T9_mT8_P12ihipStream_tbDpT10_ENKUlT_T0_E_clISt17integral_constantIbLb0EES18_IbLb1EEEEDaS14_S15_EUlS14_E_NS1_11comp_targetILNS1_3genE2ELNS1_11target_archE906ELNS1_3gpuE6ELNS1_3repE0EEENS1_30default_config_static_selectorELNS0_4arch9wavefront6targetE1EEEvT1_
	.p2align	8
	.type	_ZN7rocprim17ROCPRIM_400000_NS6detail17trampoline_kernelINS0_14default_configENS1_25partition_config_selectorILNS1_17partition_subalgoE0EtNS0_10empty_typeEbEEZZNS1_14partition_implILS5_0ELb0ES3_jN6thrust23THRUST_200600_302600_NS6detail15normal_iteratorINSA_10device_ptrItEEEEPS6_SG_NS0_5tupleIJSF_NSA_16discard_iteratorINSA_11use_defaultEEEEEENSH_IJSG_SG_EEES6_PlJ7is_evenItEEEE10hipError_tPvRmT3_T4_T5_T6_T7_T9_mT8_P12ihipStream_tbDpT10_ENKUlT_T0_E_clISt17integral_constantIbLb0EES18_IbLb1EEEEDaS14_S15_EUlS14_E_NS1_11comp_targetILNS1_3genE2ELNS1_11target_archE906ELNS1_3gpuE6ELNS1_3repE0EEENS1_30default_config_static_selectorELNS0_4arch9wavefront6targetE1EEEvT1_,@function
_ZN7rocprim17ROCPRIM_400000_NS6detail17trampoline_kernelINS0_14default_configENS1_25partition_config_selectorILNS1_17partition_subalgoE0EtNS0_10empty_typeEbEEZZNS1_14partition_implILS5_0ELb0ES3_jN6thrust23THRUST_200600_302600_NS6detail15normal_iteratorINSA_10device_ptrItEEEEPS6_SG_NS0_5tupleIJSF_NSA_16discard_iteratorINSA_11use_defaultEEEEEENSH_IJSG_SG_EEES6_PlJ7is_evenItEEEE10hipError_tPvRmT3_T4_T5_T6_T7_T9_mT8_P12ihipStream_tbDpT10_ENKUlT_T0_E_clISt17integral_constantIbLb0EES18_IbLb1EEEEDaS14_S15_EUlS14_E_NS1_11comp_targetILNS1_3genE2ELNS1_11target_archE906ELNS1_3gpuE6ELNS1_3repE0EEENS1_30default_config_static_selectorELNS0_4arch9wavefront6targetE1EEEvT1_: ; @_ZN7rocprim17ROCPRIM_400000_NS6detail17trampoline_kernelINS0_14default_configENS1_25partition_config_selectorILNS1_17partition_subalgoE0EtNS0_10empty_typeEbEEZZNS1_14partition_implILS5_0ELb0ES3_jN6thrust23THRUST_200600_302600_NS6detail15normal_iteratorINSA_10device_ptrItEEEEPS6_SG_NS0_5tupleIJSF_NSA_16discard_iteratorINSA_11use_defaultEEEEEENSH_IJSG_SG_EEES6_PlJ7is_evenItEEEE10hipError_tPvRmT3_T4_T5_T6_T7_T9_mT8_P12ihipStream_tbDpT10_ENKUlT_T0_E_clISt17integral_constantIbLb0EES18_IbLb1EEEEDaS14_S15_EUlS14_E_NS1_11comp_targetILNS1_3genE2ELNS1_11target_archE906ELNS1_3gpuE6ELNS1_3repE0EEENS1_30default_config_static_selectorELNS0_4arch9wavefront6targetE1EEEvT1_
; %bb.0:
	.section	.rodata,"a",@progbits
	.p2align	6, 0x0
	.amdhsa_kernel _ZN7rocprim17ROCPRIM_400000_NS6detail17trampoline_kernelINS0_14default_configENS1_25partition_config_selectorILNS1_17partition_subalgoE0EtNS0_10empty_typeEbEEZZNS1_14partition_implILS5_0ELb0ES3_jN6thrust23THRUST_200600_302600_NS6detail15normal_iteratorINSA_10device_ptrItEEEEPS6_SG_NS0_5tupleIJSF_NSA_16discard_iteratorINSA_11use_defaultEEEEEENSH_IJSG_SG_EEES6_PlJ7is_evenItEEEE10hipError_tPvRmT3_T4_T5_T6_T7_T9_mT8_P12ihipStream_tbDpT10_ENKUlT_T0_E_clISt17integral_constantIbLb0EES18_IbLb1EEEEDaS14_S15_EUlS14_E_NS1_11comp_targetILNS1_3genE2ELNS1_11target_archE906ELNS1_3gpuE6ELNS1_3repE0EEENS1_30default_config_static_selectorELNS0_4arch9wavefront6targetE1EEEvT1_
		.amdhsa_group_segment_fixed_size 0
		.amdhsa_private_segment_fixed_size 0
		.amdhsa_kernarg_size 144
		.amdhsa_user_sgpr_count 6
		.amdhsa_user_sgpr_private_segment_buffer 1
		.amdhsa_user_sgpr_dispatch_ptr 0
		.amdhsa_user_sgpr_queue_ptr 0
		.amdhsa_user_sgpr_kernarg_segment_ptr 1
		.amdhsa_user_sgpr_dispatch_id 0
		.amdhsa_user_sgpr_flat_scratch_init 0
		.amdhsa_user_sgpr_kernarg_preload_length 0
		.amdhsa_user_sgpr_kernarg_preload_offset 0
		.amdhsa_user_sgpr_private_segment_size 0
		.amdhsa_uses_dynamic_stack 0
		.amdhsa_system_sgpr_private_segment_wavefront_offset 0
		.amdhsa_system_sgpr_workgroup_id_x 1
		.amdhsa_system_sgpr_workgroup_id_y 0
		.amdhsa_system_sgpr_workgroup_id_z 0
		.amdhsa_system_sgpr_workgroup_info 0
		.amdhsa_system_vgpr_workitem_id 0
		.amdhsa_next_free_vgpr 1
		.amdhsa_next_free_sgpr 0
		.amdhsa_accum_offset 4
		.amdhsa_reserve_vcc 0
		.amdhsa_reserve_flat_scratch 0
		.amdhsa_float_round_mode_32 0
		.amdhsa_float_round_mode_16_64 0
		.amdhsa_float_denorm_mode_32 3
		.amdhsa_float_denorm_mode_16_64 3
		.amdhsa_dx10_clamp 1
		.amdhsa_ieee_mode 1
		.amdhsa_fp16_overflow 0
		.amdhsa_tg_split 0
		.amdhsa_exception_fp_ieee_invalid_op 0
		.amdhsa_exception_fp_denorm_src 0
		.amdhsa_exception_fp_ieee_div_zero 0
		.amdhsa_exception_fp_ieee_overflow 0
		.amdhsa_exception_fp_ieee_underflow 0
		.amdhsa_exception_fp_ieee_inexact 0
		.amdhsa_exception_int_div_zero 0
	.end_amdhsa_kernel
	.section	.text._ZN7rocprim17ROCPRIM_400000_NS6detail17trampoline_kernelINS0_14default_configENS1_25partition_config_selectorILNS1_17partition_subalgoE0EtNS0_10empty_typeEbEEZZNS1_14partition_implILS5_0ELb0ES3_jN6thrust23THRUST_200600_302600_NS6detail15normal_iteratorINSA_10device_ptrItEEEEPS6_SG_NS0_5tupleIJSF_NSA_16discard_iteratorINSA_11use_defaultEEEEEENSH_IJSG_SG_EEES6_PlJ7is_evenItEEEE10hipError_tPvRmT3_T4_T5_T6_T7_T9_mT8_P12ihipStream_tbDpT10_ENKUlT_T0_E_clISt17integral_constantIbLb0EES18_IbLb1EEEEDaS14_S15_EUlS14_E_NS1_11comp_targetILNS1_3genE2ELNS1_11target_archE906ELNS1_3gpuE6ELNS1_3repE0EEENS1_30default_config_static_selectorELNS0_4arch9wavefront6targetE1EEEvT1_,"axG",@progbits,_ZN7rocprim17ROCPRIM_400000_NS6detail17trampoline_kernelINS0_14default_configENS1_25partition_config_selectorILNS1_17partition_subalgoE0EtNS0_10empty_typeEbEEZZNS1_14partition_implILS5_0ELb0ES3_jN6thrust23THRUST_200600_302600_NS6detail15normal_iteratorINSA_10device_ptrItEEEEPS6_SG_NS0_5tupleIJSF_NSA_16discard_iteratorINSA_11use_defaultEEEEEENSH_IJSG_SG_EEES6_PlJ7is_evenItEEEE10hipError_tPvRmT3_T4_T5_T6_T7_T9_mT8_P12ihipStream_tbDpT10_ENKUlT_T0_E_clISt17integral_constantIbLb0EES18_IbLb1EEEEDaS14_S15_EUlS14_E_NS1_11comp_targetILNS1_3genE2ELNS1_11target_archE906ELNS1_3gpuE6ELNS1_3repE0EEENS1_30default_config_static_selectorELNS0_4arch9wavefront6targetE1EEEvT1_,comdat
.Lfunc_end2551:
	.size	_ZN7rocprim17ROCPRIM_400000_NS6detail17trampoline_kernelINS0_14default_configENS1_25partition_config_selectorILNS1_17partition_subalgoE0EtNS0_10empty_typeEbEEZZNS1_14partition_implILS5_0ELb0ES3_jN6thrust23THRUST_200600_302600_NS6detail15normal_iteratorINSA_10device_ptrItEEEEPS6_SG_NS0_5tupleIJSF_NSA_16discard_iteratorINSA_11use_defaultEEEEEENSH_IJSG_SG_EEES6_PlJ7is_evenItEEEE10hipError_tPvRmT3_T4_T5_T6_T7_T9_mT8_P12ihipStream_tbDpT10_ENKUlT_T0_E_clISt17integral_constantIbLb0EES18_IbLb1EEEEDaS14_S15_EUlS14_E_NS1_11comp_targetILNS1_3genE2ELNS1_11target_archE906ELNS1_3gpuE6ELNS1_3repE0EEENS1_30default_config_static_selectorELNS0_4arch9wavefront6targetE1EEEvT1_, .Lfunc_end2551-_ZN7rocprim17ROCPRIM_400000_NS6detail17trampoline_kernelINS0_14default_configENS1_25partition_config_selectorILNS1_17partition_subalgoE0EtNS0_10empty_typeEbEEZZNS1_14partition_implILS5_0ELb0ES3_jN6thrust23THRUST_200600_302600_NS6detail15normal_iteratorINSA_10device_ptrItEEEEPS6_SG_NS0_5tupleIJSF_NSA_16discard_iteratorINSA_11use_defaultEEEEEENSH_IJSG_SG_EEES6_PlJ7is_evenItEEEE10hipError_tPvRmT3_T4_T5_T6_T7_T9_mT8_P12ihipStream_tbDpT10_ENKUlT_T0_E_clISt17integral_constantIbLb0EES18_IbLb1EEEEDaS14_S15_EUlS14_E_NS1_11comp_targetILNS1_3genE2ELNS1_11target_archE906ELNS1_3gpuE6ELNS1_3repE0EEENS1_30default_config_static_selectorELNS0_4arch9wavefront6targetE1EEEvT1_
                                        ; -- End function
	.section	.AMDGPU.csdata,"",@progbits
; Kernel info:
; codeLenInByte = 0
; NumSgprs: 4
; NumVgprs: 0
; NumAgprs: 0
; TotalNumVgprs: 0
; ScratchSize: 0
; MemoryBound: 0
; FloatMode: 240
; IeeeMode: 1
; LDSByteSize: 0 bytes/workgroup (compile time only)
; SGPRBlocks: 0
; VGPRBlocks: 0
; NumSGPRsForWavesPerEU: 4
; NumVGPRsForWavesPerEU: 1
; AccumOffset: 4
; Occupancy: 8
; WaveLimiterHint : 0
; COMPUTE_PGM_RSRC2:SCRATCH_EN: 0
; COMPUTE_PGM_RSRC2:USER_SGPR: 6
; COMPUTE_PGM_RSRC2:TRAP_HANDLER: 0
; COMPUTE_PGM_RSRC2:TGID_X_EN: 1
; COMPUTE_PGM_RSRC2:TGID_Y_EN: 0
; COMPUTE_PGM_RSRC2:TGID_Z_EN: 0
; COMPUTE_PGM_RSRC2:TIDIG_COMP_CNT: 0
; COMPUTE_PGM_RSRC3_GFX90A:ACCUM_OFFSET: 0
; COMPUTE_PGM_RSRC3_GFX90A:TG_SPLIT: 0
	.section	.text._ZN7rocprim17ROCPRIM_400000_NS6detail17trampoline_kernelINS0_14default_configENS1_25partition_config_selectorILNS1_17partition_subalgoE0EtNS0_10empty_typeEbEEZZNS1_14partition_implILS5_0ELb0ES3_jN6thrust23THRUST_200600_302600_NS6detail15normal_iteratorINSA_10device_ptrItEEEEPS6_SG_NS0_5tupleIJSF_NSA_16discard_iteratorINSA_11use_defaultEEEEEENSH_IJSG_SG_EEES6_PlJ7is_evenItEEEE10hipError_tPvRmT3_T4_T5_T6_T7_T9_mT8_P12ihipStream_tbDpT10_ENKUlT_T0_E_clISt17integral_constantIbLb0EES18_IbLb1EEEEDaS14_S15_EUlS14_E_NS1_11comp_targetILNS1_3genE10ELNS1_11target_archE1200ELNS1_3gpuE4ELNS1_3repE0EEENS1_30default_config_static_selectorELNS0_4arch9wavefront6targetE1EEEvT1_,"axG",@progbits,_ZN7rocprim17ROCPRIM_400000_NS6detail17trampoline_kernelINS0_14default_configENS1_25partition_config_selectorILNS1_17partition_subalgoE0EtNS0_10empty_typeEbEEZZNS1_14partition_implILS5_0ELb0ES3_jN6thrust23THRUST_200600_302600_NS6detail15normal_iteratorINSA_10device_ptrItEEEEPS6_SG_NS0_5tupleIJSF_NSA_16discard_iteratorINSA_11use_defaultEEEEEENSH_IJSG_SG_EEES6_PlJ7is_evenItEEEE10hipError_tPvRmT3_T4_T5_T6_T7_T9_mT8_P12ihipStream_tbDpT10_ENKUlT_T0_E_clISt17integral_constantIbLb0EES18_IbLb1EEEEDaS14_S15_EUlS14_E_NS1_11comp_targetILNS1_3genE10ELNS1_11target_archE1200ELNS1_3gpuE4ELNS1_3repE0EEENS1_30default_config_static_selectorELNS0_4arch9wavefront6targetE1EEEvT1_,comdat
	.protected	_ZN7rocprim17ROCPRIM_400000_NS6detail17trampoline_kernelINS0_14default_configENS1_25partition_config_selectorILNS1_17partition_subalgoE0EtNS0_10empty_typeEbEEZZNS1_14partition_implILS5_0ELb0ES3_jN6thrust23THRUST_200600_302600_NS6detail15normal_iteratorINSA_10device_ptrItEEEEPS6_SG_NS0_5tupleIJSF_NSA_16discard_iteratorINSA_11use_defaultEEEEEENSH_IJSG_SG_EEES6_PlJ7is_evenItEEEE10hipError_tPvRmT3_T4_T5_T6_T7_T9_mT8_P12ihipStream_tbDpT10_ENKUlT_T0_E_clISt17integral_constantIbLb0EES18_IbLb1EEEEDaS14_S15_EUlS14_E_NS1_11comp_targetILNS1_3genE10ELNS1_11target_archE1200ELNS1_3gpuE4ELNS1_3repE0EEENS1_30default_config_static_selectorELNS0_4arch9wavefront6targetE1EEEvT1_ ; -- Begin function _ZN7rocprim17ROCPRIM_400000_NS6detail17trampoline_kernelINS0_14default_configENS1_25partition_config_selectorILNS1_17partition_subalgoE0EtNS0_10empty_typeEbEEZZNS1_14partition_implILS5_0ELb0ES3_jN6thrust23THRUST_200600_302600_NS6detail15normal_iteratorINSA_10device_ptrItEEEEPS6_SG_NS0_5tupleIJSF_NSA_16discard_iteratorINSA_11use_defaultEEEEEENSH_IJSG_SG_EEES6_PlJ7is_evenItEEEE10hipError_tPvRmT3_T4_T5_T6_T7_T9_mT8_P12ihipStream_tbDpT10_ENKUlT_T0_E_clISt17integral_constantIbLb0EES18_IbLb1EEEEDaS14_S15_EUlS14_E_NS1_11comp_targetILNS1_3genE10ELNS1_11target_archE1200ELNS1_3gpuE4ELNS1_3repE0EEENS1_30default_config_static_selectorELNS0_4arch9wavefront6targetE1EEEvT1_
	.globl	_ZN7rocprim17ROCPRIM_400000_NS6detail17trampoline_kernelINS0_14default_configENS1_25partition_config_selectorILNS1_17partition_subalgoE0EtNS0_10empty_typeEbEEZZNS1_14partition_implILS5_0ELb0ES3_jN6thrust23THRUST_200600_302600_NS6detail15normal_iteratorINSA_10device_ptrItEEEEPS6_SG_NS0_5tupleIJSF_NSA_16discard_iteratorINSA_11use_defaultEEEEEENSH_IJSG_SG_EEES6_PlJ7is_evenItEEEE10hipError_tPvRmT3_T4_T5_T6_T7_T9_mT8_P12ihipStream_tbDpT10_ENKUlT_T0_E_clISt17integral_constantIbLb0EES18_IbLb1EEEEDaS14_S15_EUlS14_E_NS1_11comp_targetILNS1_3genE10ELNS1_11target_archE1200ELNS1_3gpuE4ELNS1_3repE0EEENS1_30default_config_static_selectorELNS0_4arch9wavefront6targetE1EEEvT1_
	.p2align	8
	.type	_ZN7rocprim17ROCPRIM_400000_NS6detail17trampoline_kernelINS0_14default_configENS1_25partition_config_selectorILNS1_17partition_subalgoE0EtNS0_10empty_typeEbEEZZNS1_14partition_implILS5_0ELb0ES3_jN6thrust23THRUST_200600_302600_NS6detail15normal_iteratorINSA_10device_ptrItEEEEPS6_SG_NS0_5tupleIJSF_NSA_16discard_iteratorINSA_11use_defaultEEEEEENSH_IJSG_SG_EEES6_PlJ7is_evenItEEEE10hipError_tPvRmT3_T4_T5_T6_T7_T9_mT8_P12ihipStream_tbDpT10_ENKUlT_T0_E_clISt17integral_constantIbLb0EES18_IbLb1EEEEDaS14_S15_EUlS14_E_NS1_11comp_targetILNS1_3genE10ELNS1_11target_archE1200ELNS1_3gpuE4ELNS1_3repE0EEENS1_30default_config_static_selectorELNS0_4arch9wavefront6targetE1EEEvT1_,@function
_ZN7rocprim17ROCPRIM_400000_NS6detail17trampoline_kernelINS0_14default_configENS1_25partition_config_selectorILNS1_17partition_subalgoE0EtNS0_10empty_typeEbEEZZNS1_14partition_implILS5_0ELb0ES3_jN6thrust23THRUST_200600_302600_NS6detail15normal_iteratorINSA_10device_ptrItEEEEPS6_SG_NS0_5tupleIJSF_NSA_16discard_iteratorINSA_11use_defaultEEEEEENSH_IJSG_SG_EEES6_PlJ7is_evenItEEEE10hipError_tPvRmT3_T4_T5_T6_T7_T9_mT8_P12ihipStream_tbDpT10_ENKUlT_T0_E_clISt17integral_constantIbLb0EES18_IbLb1EEEEDaS14_S15_EUlS14_E_NS1_11comp_targetILNS1_3genE10ELNS1_11target_archE1200ELNS1_3gpuE4ELNS1_3repE0EEENS1_30default_config_static_selectorELNS0_4arch9wavefront6targetE1EEEvT1_: ; @_ZN7rocprim17ROCPRIM_400000_NS6detail17trampoline_kernelINS0_14default_configENS1_25partition_config_selectorILNS1_17partition_subalgoE0EtNS0_10empty_typeEbEEZZNS1_14partition_implILS5_0ELb0ES3_jN6thrust23THRUST_200600_302600_NS6detail15normal_iteratorINSA_10device_ptrItEEEEPS6_SG_NS0_5tupleIJSF_NSA_16discard_iteratorINSA_11use_defaultEEEEEENSH_IJSG_SG_EEES6_PlJ7is_evenItEEEE10hipError_tPvRmT3_T4_T5_T6_T7_T9_mT8_P12ihipStream_tbDpT10_ENKUlT_T0_E_clISt17integral_constantIbLb0EES18_IbLb1EEEEDaS14_S15_EUlS14_E_NS1_11comp_targetILNS1_3genE10ELNS1_11target_archE1200ELNS1_3gpuE4ELNS1_3repE0EEENS1_30default_config_static_selectorELNS0_4arch9wavefront6targetE1EEEvT1_
; %bb.0:
	.section	.rodata,"a",@progbits
	.p2align	6, 0x0
	.amdhsa_kernel _ZN7rocprim17ROCPRIM_400000_NS6detail17trampoline_kernelINS0_14default_configENS1_25partition_config_selectorILNS1_17partition_subalgoE0EtNS0_10empty_typeEbEEZZNS1_14partition_implILS5_0ELb0ES3_jN6thrust23THRUST_200600_302600_NS6detail15normal_iteratorINSA_10device_ptrItEEEEPS6_SG_NS0_5tupleIJSF_NSA_16discard_iteratorINSA_11use_defaultEEEEEENSH_IJSG_SG_EEES6_PlJ7is_evenItEEEE10hipError_tPvRmT3_T4_T5_T6_T7_T9_mT8_P12ihipStream_tbDpT10_ENKUlT_T0_E_clISt17integral_constantIbLb0EES18_IbLb1EEEEDaS14_S15_EUlS14_E_NS1_11comp_targetILNS1_3genE10ELNS1_11target_archE1200ELNS1_3gpuE4ELNS1_3repE0EEENS1_30default_config_static_selectorELNS0_4arch9wavefront6targetE1EEEvT1_
		.amdhsa_group_segment_fixed_size 0
		.amdhsa_private_segment_fixed_size 0
		.amdhsa_kernarg_size 144
		.amdhsa_user_sgpr_count 6
		.amdhsa_user_sgpr_private_segment_buffer 1
		.amdhsa_user_sgpr_dispatch_ptr 0
		.amdhsa_user_sgpr_queue_ptr 0
		.amdhsa_user_sgpr_kernarg_segment_ptr 1
		.amdhsa_user_sgpr_dispatch_id 0
		.amdhsa_user_sgpr_flat_scratch_init 0
		.amdhsa_user_sgpr_kernarg_preload_length 0
		.amdhsa_user_sgpr_kernarg_preload_offset 0
		.amdhsa_user_sgpr_private_segment_size 0
		.amdhsa_uses_dynamic_stack 0
		.amdhsa_system_sgpr_private_segment_wavefront_offset 0
		.amdhsa_system_sgpr_workgroup_id_x 1
		.amdhsa_system_sgpr_workgroup_id_y 0
		.amdhsa_system_sgpr_workgroup_id_z 0
		.amdhsa_system_sgpr_workgroup_info 0
		.amdhsa_system_vgpr_workitem_id 0
		.amdhsa_next_free_vgpr 1
		.amdhsa_next_free_sgpr 0
		.amdhsa_accum_offset 4
		.amdhsa_reserve_vcc 0
		.amdhsa_reserve_flat_scratch 0
		.amdhsa_float_round_mode_32 0
		.amdhsa_float_round_mode_16_64 0
		.amdhsa_float_denorm_mode_32 3
		.amdhsa_float_denorm_mode_16_64 3
		.amdhsa_dx10_clamp 1
		.amdhsa_ieee_mode 1
		.amdhsa_fp16_overflow 0
		.amdhsa_tg_split 0
		.amdhsa_exception_fp_ieee_invalid_op 0
		.amdhsa_exception_fp_denorm_src 0
		.amdhsa_exception_fp_ieee_div_zero 0
		.amdhsa_exception_fp_ieee_overflow 0
		.amdhsa_exception_fp_ieee_underflow 0
		.amdhsa_exception_fp_ieee_inexact 0
		.amdhsa_exception_int_div_zero 0
	.end_amdhsa_kernel
	.section	.text._ZN7rocprim17ROCPRIM_400000_NS6detail17trampoline_kernelINS0_14default_configENS1_25partition_config_selectorILNS1_17partition_subalgoE0EtNS0_10empty_typeEbEEZZNS1_14partition_implILS5_0ELb0ES3_jN6thrust23THRUST_200600_302600_NS6detail15normal_iteratorINSA_10device_ptrItEEEEPS6_SG_NS0_5tupleIJSF_NSA_16discard_iteratorINSA_11use_defaultEEEEEENSH_IJSG_SG_EEES6_PlJ7is_evenItEEEE10hipError_tPvRmT3_T4_T5_T6_T7_T9_mT8_P12ihipStream_tbDpT10_ENKUlT_T0_E_clISt17integral_constantIbLb0EES18_IbLb1EEEEDaS14_S15_EUlS14_E_NS1_11comp_targetILNS1_3genE10ELNS1_11target_archE1200ELNS1_3gpuE4ELNS1_3repE0EEENS1_30default_config_static_selectorELNS0_4arch9wavefront6targetE1EEEvT1_,"axG",@progbits,_ZN7rocprim17ROCPRIM_400000_NS6detail17trampoline_kernelINS0_14default_configENS1_25partition_config_selectorILNS1_17partition_subalgoE0EtNS0_10empty_typeEbEEZZNS1_14partition_implILS5_0ELb0ES3_jN6thrust23THRUST_200600_302600_NS6detail15normal_iteratorINSA_10device_ptrItEEEEPS6_SG_NS0_5tupleIJSF_NSA_16discard_iteratorINSA_11use_defaultEEEEEENSH_IJSG_SG_EEES6_PlJ7is_evenItEEEE10hipError_tPvRmT3_T4_T5_T6_T7_T9_mT8_P12ihipStream_tbDpT10_ENKUlT_T0_E_clISt17integral_constantIbLb0EES18_IbLb1EEEEDaS14_S15_EUlS14_E_NS1_11comp_targetILNS1_3genE10ELNS1_11target_archE1200ELNS1_3gpuE4ELNS1_3repE0EEENS1_30default_config_static_selectorELNS0_4arch9wavefront6targetE1EEEvT1_,comdat
.Lfunc_end2552:
	.size	_ZN7rocprim17ROCPRIM_400000_NS6detail17trampoline_kernelINS0_14default_configENS1_25partition_config_selectorILNS1_17partition_subalgoE0EtNS0_10empty_typeEbEEZZNS1_14partition_implILS5_0ELb0ES3_jN6thrust23THRUST_200600_302600_NS6detail15normal_iteratorINSA_10device_ptrItEEEEPS6_SG_NS0_5tupleIJSF_NSA_16discard_iteratorINSA_11use_defaultEEEEEENSH_IJSG_SG_EEES6_PlJ7is_evenItEEEE10hipError_tPvRmT3_T4_T5_T6_T7_T9_mT8_P12ihipStream_tbDpT10_ENKUlT_T0_E_clISt17integral_constantIbLb0EES18_IbLb1EEEEDaS14_S15_EUlS14_E_NS1_11comp_targetILNS1_3genE10ELNS1_11target_archE1200ELNS1_3gpuE4ELNS1_3repE0EEENS1_30default_config_static_selectorELNS0_4arch9wavefront6targetE1EEEvT1_, .Lfunc_end2552-_ZN7rocprim17ROCPRIM_400000_NS6detail17trampoline_kernelINS0_14default_configENS1_25partition_config_selectorILNS1_17partition_subalgoE0EtNS0_10empty_typeEbEEZZNS1_14partition_implILS5_0ELb0ES3_jN6thrust23THRUST_200600_302600_NS6detail15normal_iteratorINSA_10device_ptrItEEEEPS6_SG_NS0_5tupleIJSF_NSA_16discard_iteratorINSA_11use_defaultEEEEEENSH_IJSG_SG_EEES6_PlJ7is_evenItEEEE10hipError_tPvRmT3_T4_T5_T6_T7_T9_mT8_P12ihipStream_tbDpT10_ENKUlT_T0_E_clISt17integral_constantIbLb0EES18_IbLb1EEEEDaS14_S15_EUlS14_E_NS1_11comp_targetILNS1_3genE10ELNS1_11target_archE1200ELNS1_3gpuE4ELNS1_3repE0EEENS1_30default_config_static_selectorELNS0_4arch9wavefront6targetE1EEEvT1_
                                        ; -- End function
	.section	.AMDGPU.csdata,"",@progbits
; Kernel info:
; codeLenInByte = 0
; NumSgprs: 4
; NumVgprs: 0
; NumAgprs: 0
; TotalNumVgprs: 0
; ScratchSize: 0
; MemoryBound: 0
; FloatMode: 240
; IeeeMode: 1
; LDSByteSize: 0 bytes/workgroup (compile time only)
; SGPRBlocks: 0
; VGPRBlocks: 0
; NumSGPRsForWavesPerEU: 4
; NumVGPRsForWavesPerEU: 1
; AccumOffset: 4
; Occupancy: 8
; WaveLimiterHint : 0
; COMPUTE_PGM_RSRC2:SCRATCH_EN: 0
; COMPUTE_PGM_RSRC2:USER_SGPR: 6
; COMPUTE_PGM_RSRC2:TRAP_HANDLER: 0
; COMPUTE_PGM_RSRC2:TGID_X_EN: 1
; COMPUTE_PGM_RSRC2:TGID_Y_EN: 0
; COMPUTE_PGM_RSRC2:TGID_Z_EN: 0
; COMPUTE_PGM_RSRC2:TIDIG_COMP_CNT: 0
; COMPUTE_PGM_RSRC3_GFX90A:ACCUM_OFFSET: 0
; COMPUTE_PGM_RSRC3_GFX90A:TG_SPLIT: 0
	.section	.text._ZN7rocprim17ROCPRIM_400000_NS6detail17trampoline_kernelINS0_14default_configENS1_25partition_config_selectorILNS1_17partition_subalgoE0EtNS0_10empty_typeEbEEZZNS1_14partition_implILS5_0ELb0ES3_jN6thrust23THRUST_200600_302600_NS6detail15normal_iteratorINSA_10device_ptrItEEEEPS6_SG_NS0_5tupleIJSF_NSA_16discard_iteratorINSA_11use_defaultEEEEEENSH_IJSG_SG_EEES6_PlJ7is_evenItEEEE10hipError_tPvRmT3_T4_T5_T6_T7_T9_mT8_P12ihipStream_tbDpT10_ENKUlT_T0_E_clISt17integral_constantIbLb0EES18_IbLb1EEEEDaS14_S15_EUlS14_E_NS1_11comp_targetILNS1_3genE9ELNS1_11target_archE1100ELNS1_3gpuE3ELNS1_3repE0EEENS1_30default_config_static_selectorELNS0_4arch9wavefront6targetE1EEEvT1_,"axG",@progbits,_ZN7rocprim17ROCPRIM_400000_NS6detail17trampoline_kernelINS0_14default_configENS1_25partition_config_selectorILNS1_17partition_subalgoE0EtNS0_10empty_typeEbEEZZNS1_14partition_implILS5_0ELb0ES3_jN6thrust23THRUST_200600_302600_NS6detail15normal_iteratorINSA_10device_ptrItEEEEPS6_SG_NS0_5tupleIJSF_NSA_16discard_iteratorINSA_11use_defaultEEEEEENSH_IJSG_SG_EEES6_PlJ7is_evenItEEEE10hipError_tPvRmT3_T4_T5_T6_T7_T9_mT8_P12ihipStream_tbDpT10_ENKUlT_T0_E_clISt17integral_constantIbLb0EES18_IbLb1EEEEDaS14_S15_EUlS14_E_NS1_11comp_targetILNS1_3genE9ELNS1_11target_archE1100ELNS1_3gpuE3ELNS1_3repE0EEENS1_30default_config_static_selectorELNS0_4arch9wavefront6targetE1EEEvT1_,comdat
	.protected	_ZN7rocprim17ROCPRIM_400000_NS6detail17trampoline_kernelINS0_14default_configENS1_25partition_config_selectorILNS1_17partition_subalgoE0EtNS0_10empty_typeEbEEZZNS1_14partition_implILS5_0ELb0ES3_jN6thrust23THRUST_200600_302600_NS6detail15normal_iteratorINSA_10device_ptrItEEEEPS6_SG_NS0_5tupleIJSF_NSA_16discard_iteratorINSA_11use_defaultEEEEEENSH_IJSG_SG_EEES6_PlJ7is_evenItEEEE10hipError_tPvRmT3_T4_T5_T6_T7_T9_mT8_P12ihipStream_tbDpT10_ENKUlT_T0_E_clISt17integral_constantIbLb0EES18_IbLb1EEEEDaS14_S15_EUlS14_E_NS1_11comp_targetILNS1_3genE9ELNS1_11target_archE1100ELNS1_3gpuE3ELNS1_3repE0EEENS1_30default_config_static_selectorELNS0_4arch9wavefront6targetE1EEEvT1_ ; -- Begin function _ZN7rocprim17ROCPRIM_400000_NS6detail17trampoline_kernelINS0_14default_configENS1_25partition_config_selectorILNS1_17partition_subalgoE0EtNS0_10empty_typeEbEEZZNS1_14partition_implILS5_0ELb0ES3_jN6thrust23THRUST_200600_302600_NS6detail15normal_iteratorINSA_10device_ptrItEEEEPS6_SG_NS0_5tupleIJSF_NSA_16discard_iteratorINSA_11use_defaultEEEEEENSH_IJSG_SG_EEES6_PlJ7is_evenItEEEE10hipError_tPvRmT3_T4_T5_T6_T7_T9_mT8_P12ihipStream_tbDpT10_ENKUlT_T0_E_clISt17integral_constantIbLb0EES18_IbLb1EEEEDaS14_S15_EUlS14_E_NS1_11comp_targetILNS1_3genE9ELNS1_11target_archE1100ELNS1_3gpuE3ELNS1_3repE0EEENS1_30default_config_static_selectorELNS0_4arch9wavefront6targetE1EEEvT1_
	.globl	_ZN7rocprim17ROCPRIM_400000_NS6detail17trampoline_kernelINS0_14default_configENS1_25partition_config_selectorILNS1_17partition_subalgoE0EtNS0_10empty_typeEbEEZZNS1_14partition_implILS5_0ELb0ES3_jN6thrust23THRUST_200600_302600_NS6detail15normal_iteratorINSA_10device_ptrItEEEEPS6_SG_NS0_5tupleIJSF_NSA_16discard_iteratorINSA_11use_defaultEEEEEENSH_IJSG_SG_EEES6_PlJ7is_evenItEEEE10hipError_tPvRmT3_T4_T5_T6_T7_T9_mT8_P12ihipStream_tbDpT10_ENKUlT_T0_E_clISt17integral_constantIbLb0EES18_IbLb1EEEEDaS14_S15_EUlS14_E_NS1_11comp_targetILNS1_3genE9ELNS1_11target_archE1100ELNS1_3gpuE3ELNS1_3repE0EEENS1_30default_config_static_selectorELNS0_4arch9wavefront6targetE1EEEvT1_
	.p2align	8
	.type	_ZN7rocprim17ROCPRIM_400000_NS6detail17trampoline_kernelINS0_14default_configENS1_25partition_config_selectorILNS1_17partition_subalgoE0EtNS0_10empty_typeEbEEZZNS1_14partition_implILS5_0ELb0ES3_jN6thrust23THRUST_200600_302600_NS6detail15normal_iteratorINSA_10device_ptrItEEEEPS6_SG_NS0_5tupleIJSF_NSA_16discard_iteratorINSA_11use_defaultEEEEEENSH_IJSG_SG_EEES6_PlJ7is_evenItEEEE10hipError_tPvRmT3_T4_T5_T6_T7_T9_mT8_P12ihipStream_tbDpT10_ENKUlT_T0_E_clISt17integral_constantIbLb0EES18_IbLb1EEEEDaS14_S15_EUlS14_E_NS1_11comp_targetILNS1_3genE9ELNS1_11target_archE1100ELNS1_3gpuE3ELNS1_3repE0EEENS1_30default_config_static_selectorELNS0_4arch9wavefront6targetE1EEEvT1_,@function
_ZN7rocprim17ROCPRIM_400000_NS6detail17trampoline_kernelINS0_14default_configENS1_25partition_config_selectorILNS1_17partition_subalgoE0EtNS0_10empty_typeEbEEZZNS1_14partition_implILS5_0ELb0ES3_jN6thrust23THRUST_200600_302600_NS6detail15normal_iteratorINSA_10device_ptrItEEEEPS6_SG_NS0_5tupleIJSF_NSA_16discard_iteratorINSA_11use_defaultEEEEEENSH_IJSG_SG_EEES6_PlJ7is_evenItEEEE10hipError_tPvRmT3_T4_T5_T6_T7_T9_mT8_P12ihipStream_tbDpT10_ENKUlT_T0_E_clISt17integral_constantIbLb0EES18_IbLb1EEEEDaS14_S15_EUlS14_E_NS1_11comp_targetILNS1_3genE9ELNS1_11target_archE1100ELNS1_3gpuE3ELNS1_3repE0EEENS1_30default_config_static_selectorELNS0_4arch9wavefront6targetE1EEEvT1_: ; @_ZN7rocprim17ROCPRIM_400000_NS6detail17trampoline_kernelINS0_14default_configENS1_25partition_config_selectorILNS1_17partition_subalgoE0EtNS0_10empty_typeEbEEZZNS1_14partition_implILS5_0ELb0ES3_jN6thrust23THRUST_200600_302600_NS6detail15normal_iteratorINSA_10device_ptrItEEEEPS6_SG_NS0_5tupleIJSF_NSA_16discard_iteratorINSA_11use_defaultEEEEEENSH_IJSG_SG_EEES6_PlJ7is_evenItEEEE10hipError_tPvRmT3_T4_T5_T6_T7_T9_mT8_P12ihipStream_tbDpT10_ENKUlT_T0_E_clISt17integral_constantIbLb0EES18_IbLb1EEEEDaS14_S15_EUlS14_E_NS1_11comp_targetILNS1_3genE9ELNS1_11target_archE1100ELNS1_3gpuE3ELNS1_3repE0EEENS1_30default_config_static_selectorELNS0_4arch9wavefront6targetE1EEEvT1_
; %bb.0:
	.section	.rodata,"a",@progbits
	.p2align	6, 0x0
	.amdhsa_kernel _ZN7rocprim17ROCPRIM_400000_NS6detail17trampoline_kernelINS0_14default_configENS1_25partition_config_selectorILNS1_17partition_subalgoE0EtNS0_10empty_typeEbEEZZNS1_14partition_implILS5_0ELb0ES3_jN6thrust23THRUST_200600_302600_NS6detail15normal_iteratorINSA_10device_ptrItEEEEPS6_SG_NS0_5tupleIJSF_NSA_16discard_iteratorINSA_11use_defaultEEEEEENSH_IJSG_SG_EEES6_PlJ7is_evenItEEEE10hipError_tPvRmT3_T4_T5_T6_T7_T9_mT8_P12ihipStream_tbDpT10_ENKUlT_T0_E_clISt17integral_constantIbLb0EES18_IbLb1EEEEDaS14_S15_EUlS14_E_NS1_11comp_targetILNS1_3genE9ELNS1_11target_archE1100ELNS1_3gpuE3ELNS1_3repE0EEENS1_30default_config_static_selectorELNS0_4arch9wavefront6targetE1EEEvT1_
		.amdhsa_group_segment_fixed_size 0
		.amdhsa_private_segment_fixed_size 0
		.amdhsa_kernarg_size 144
		.amdhsa_user_sgpr_count 6
		.amdhsa_user_sgpr_private_segment_buffer 1
		.amdhsa_user_sgpr_dispatch_ptr 0
		.amdhsa_user_sgpr_queue_ptr 0
		.amdhsa_user_sgpr_kernarg_segment_ptr 1
		.amdhsa_user_sgpr_dispatch_id 0
		.amdhsa_user_sgpr_flat_scratch_init 0
		.amdhsa_user_sgpr_kernarg_preload_length 0
		.amdhsa_user_sgpr_kernarg_preload_offset 0
		.amdhsa_user_sgpr_private_segment_size 0
		.amdhsa_uses_dynamic_stack 0
		.amdhsa_system_sgpr_private_segment_wavefront_offset 0
		.amdhsa_system_sgpr_workgroup_id_x 1
		.amdhsa_system_sgpr_workgroup_id_y 0
		.amdhsa_system_sgpr_workgroup_id_z 0
		.amdhsa_system_sgpr_workgroup_info 0
		.amdhsa_system_vgpr_workitem_id 0
		.amdhsa_next_free_vgpr 1
		.amdhsa_next_free_sgpr 0
		.amdhsa_accum_offset 4
		.amdhsa_reserve_vcc 0
		.amdhsa_reserve_flat_scratch 0
		.amdhsa_float_round_mode_32 0
		.amdhsa_float_round_mode_16_64 0
		.amdhsa_float_denorm_mode_32 3
		.amdhsa_float_denorm_mode_16_64 3
		.amdhsa_dx10_clamp 1
		.amdhsa_ieee_mode 1
		.amdhsa_fp16_overflow 0
		.amdhsa_tg_split 0
		.amdhsa_exception_fp_ieee_invalid_op 0
		.amdhsa_exception_fp_denorm_src 0
		.amdhsa_exception_fp_ieee_div_zero 0
		.amdhsa_exception_fp_ieee_overflow 0
		.amdhsa_exception_fp_ieee_underflow 0
		.amdhsa_exception_fp_ieee_inexact 0
		.amdhsa_exception_int_div_zero 0
	.end_amdhsa_kernel
	.section	.text._ZN7rocprim17ROCPRIM_400000_NS6detail17trampoline_kernelINS0_14default_configENS1_25partition_config_selectorILNS1_17partition_subalgoE0EtNS0_10empty_typeEbEEZZNS1_14partition_implILS5_0ELb0ES3_jN6thrust23THRUST_200600_302600_NS6detail15normal_iteratorINSA_10device_ptrItEEEEPS6_SG_NS0_5tupleIJSF_NSA_16discard_iteratorINSA_11use_defaultEEEEEENSH_IJSG_SG_EEES6_PlJ7is_evenItEEEE10hipError_tPvRmT3_T4_T5_T6_T7_T9_mT8_P12ihipStream_tbDpT10_ENKUlT_T0_E_clISt17integral_constantIbLb0EES18_IbLb1EEEEDaS14_S15_EUlS14_E_NS1_11comp_targetILNS1_3genE9ELNS1_11target_archE1100ELNS1_3gpuE3ELNS1_3repE0EEENS1_30default_config_static_selectorELNS0_4arch9wavefront6targetE1EEEvT1_,"axG",@progbits,_ZN7rocprim17ROCPRIM_400000_NS6detail17trampoline_kernelINS0_14default_configENS1_25partition_config_selectorILNS1_17partition_subalgoE0EtNS0_10empty_typeEbEEZZNS1_14partition_implILS5_0ELb0ES3_jN6thrust23THRUST_200600_302600_NS6detail15normal_iteratorINSA_10device_ptrItEEEEPS6_SG_NS0_5tupleIJSF_NSA_16discard_iteratorINSA_11use_defaultEEEEEENSH_IJSG_SG_EEES6_PlJ7is_evenItEEEE10hipError_tPvRmT3_T4_T5_T6_T7_T9_mT8_P12ihipStream_tbDpT10_ENKUlT_T0_E_clISt17integral_constantIbLb0EES18_IbLb1EEEEDaS14_S15_EUlS14_E_NS1_11comp_targetILNS1_3genE9ELNS1_11target_archE1100ELNS1_3gpuE3ELNS1_3repE0EEENS1_30default_config_static_selectorELNS0_4arch9wavefront6targetE1EEEvT1_,comdat
.Lfunc_end2553:
	.size	_ZN7rocprim17ROCPRIM_400000_NS6detail17trampoline_kernelINS0_14default_configENS1_25partition_config_selectorILNS1_17partition_subalgoE0EtNS0_10empty_typeEbEEZZNS1_14partition_implILS5_0ELb0ES3_jN6thrust23THRUST_200600_302600_NS6detail15normal_iteratorINSA_10device_ptrItEEEEPS6_SG_NS0_5tupleIJSF_NSA_16discard_iteratorINSA_11use_defaultEEEEEENSH_IJSG_SG_EEES6_PlJ7is_evenItEEEE10hipError_tPvRmT3_T4_T5_T6_T7_T9_mT8_P12ihipStream_tbDpT10_ENKUlT_T0_E_clISt17integral_constantIbLb0EES18_IbLb1EEEEDaS14_S15_EUlS14_E_NS1_11comp_targetILNS1_3genE9ELNS1_11target_archE1100ELNS1_3gpuE3ELNS1_3repE0EEENS1_30default_config_static_selectorELNS0_4arch9wavefront6targetE1EEEvT1_, .Lfunc_end2553-_ZN7rocprim17ROCPRIM_400000_NS6detail17trampoline_kernelINS0_14default_configENS1_25partition_config_selectorILNS1_17partition_subalgoE0EtNS0_10empty_typeEbEEZZNS1_14partition_implILS5_0ELb0ES3_jN6thrust23THRUST_200600_302600_NS6detail15normal_iteratorINSA_10device_ptrItEEEEPS6_SG_NS0_5tupleIJSF_NSA_16discard_iteratorINSA_11use_defaultEEEEEENSH_IJSG_SG_EEES6_PlJ7is_evenItEEEE10hipError_tPvRmT3_T4_T5_T6_T7_T9_mT8_P12ihipStream_tbDpT10_ENKUlT_T0_E_clISt17integral_constantIbLb0EES18_IbLb1EEEEDaS14_S15_EUlS14_E_NS1_11comp_targetILNS1_3genE9ELNS1_11target_archE1100ELNS1_3gpuE3ELNS1_3repE0EEENS1_30default_config_static_selectorELNS0_4arch9wavefront6targetE1EEEvT1_
                                        ; -- End function
	.section	.AMDGPU.csdata,"",@progbits
; Kernel info:
; codeLenInByte = 0
; NumSgprs: 4
; NumVgprs: 0
; NumAgprs: 0
; TotalNumVgprs: 0
; ScratchSize: 0
; MemoryBound: 0
; FloatMode: 240
; IeeeMode: 1
; LDSByteSize: 0 bytes/workgroup (compile time only)
; SGPRBlocks: 0
; VGPRBlocks: 0
; NumSGPRsForWavesPerEU: 4
; NumVGPRsForWavesPerEU: 1
; AccumOffset: 4
; Occupancy: 8
; WaveLimiterHint : 0
; COMPUTE_PGM_RSRC2:SCRATCH_EN: 0
; COMPUTE_PGM_RSRC2:USER_SGPR: 6
; COMPUTE_PGM_RSRC2:TRAP_HANDLER: 0
; COMPUTE_PGM_RSRC2:TGID_X_EN: 1
; COMPUTE_PGM_RSRC2:TGID_Y_EN: 0
; COMPUTE_PGM_RSRC2:TGID_Z_EN: 0
; COMPUTE_PGM_RSRC2:TIDIG_COMP_CNT: 0
; COMPUTE_PGM_RSRC3_GFX90A:ACCUM_OFFSET: 0
; COMPUTE_PGM_RSRC3_GFX90A:TG_SPLIT: 0
	.section	.text._ZN7rocprim17ROCPRIM_400000_NS6detail17trampoline_kernelINS0_14default_configENS1_25partition_config_selectorILNS1_17partition_subalgoE0EtNS0_10empty_typeEbEEZZNS1_14partition_implILS5_0ELb0ES3_jN6thrust23THRUST_200600_302600_NS6detail15normal_iteratorINSA_10device_ptrItEEEEPS6_SG_NS0_5tupleIJSF_NSA_16discard_iteratorINSA_11use_defaultEEEEEENSH_IJSG_SG_EEES6_PlJ7is_evenItEEEE10hipError_tPvRmT3_T4_T5_T6_T7_T9_mT8_P12ihipStream_tbDpT10_ENKUlT_T0_E_clISt17integral_constantIbLb0EES18_IbLb1EEEEDaS14_S15_EUlS14_E_NS1_11comp_targetILNS1_3genE8ELNS1_11target_archE1030ELNS1_3gpuE2ELNS1_3repE0EEENS1_30default_config_static_selectorELNS0_4arch9wavefront6targetE1EEEvT1_,"axG",@progbits,_ZN7rocprim17ROCPRIM_400000_NS6detail17trampoline_kernelINS0_14default_configENS1_25partition_config_selectorILNS1_17partition_subalgoE0EtNS0_10empty_typeEbEEZZNS1_14partition_implILS5_0ELb0ES3_jN6thrust23THRUST_200600_302600_NS6detail15normal_iteratorINSA_10device_ptrItEEEEPS6_SG_NS0_5tupleIJSF_NSA_16discard_iteratorINSA_11use_defaultEEEEEENSH_IJSG_SG_EEES6_PlJ7is_evenItEEEE10hipError_tPvRmT3_T4_T5_T6_T7_T9_mT8_P12ihipStream_tbDpT10_ENKUlT_T0_E_clISt17integral_constantIbLb0EES18_IbLb1EEEEDaS14_S15_EUlS14_E_NS1_11comp_targetILNS1_3genE8ELNS1_11target_archE1030ELNS1_3gpuE2ELNS1_3repE0EEENS1_30default_config_static_selectorELNS0_4arch9wavefront6targetE1EEEvT1_,comdat
	.protected	_ZN7rocprim17ROCPRIM_400000_NS6detail17trampoline_kernelINS0_14default_configENS1_25partition_config_selectorILNS1_17partition_subalgoE0EtNS0_10empty_typeEbEEZZNS1_14partition_implILS5_0ELb0ES3_jN6thrust23THRUST_200600_302600_NS6detail15normal_iteratorINSA_10device_ptrItEEEEPS6_SG_NS0_5tupleIJSF_NSA_16discard_iteratorINSA_11use_defaultEEEEEENSH_IJSG_SG_EEES6_PlJ7is_evenItEEEE10hipError_tPvRmT3_T4_T5_T6_T7_T9_mT8_P12ihipStream_tbDpT10_ENKUlT_T0_E_clISt17integral_constantIbLb0EES18_IbLb1EEEEDaS14_S15_EUlS14_E_NS1_11comp_targetILNS1_3genE8ELNS1_11target_archE1030ELNS1_3gpuE2ELNS1_3repE0EEENS1_30default_config_static_selectorELNS0_4arch9wavefront6targetE1EEEvT1_ ; -- Begin function _ZN7rocprim17ROCPRIM_400000_NS6detail17trampoline_kernelINS0_14default_configENS1_25partition_config_selectorILNS1_17partition_subalgoE0EtNS0_10empty_typeEbEEZZNS1_14partition_implILS5_0ELb0ES3_jN6thrust23THRUST_200600_302600_NS6detail15normal_iteratorINSA_10device_ptrItEEEEPS6_SG_NS0_5tupleIJSF_NSA_16discard_iteratorINSA_11use_defaultEEEEEENSH_IJSG_SG_EEES6_PlJ7is_evenItEEEE10hipError_tPvRmT3_T4_T5_T6_T7_T9_mT8_P12ihipStream_tbDpT10_ENKUlT_T0_E_clISt17integral_constantIbLb0EES18_IbLb1EEEEDaS14_S15_EUlS14_E_NS1_11comp_targetILNS1_3genE8ELNS1_11target_archE1030ELNS1_3gpuE2ELNS1_3repE0EEENS1_30default_config_static_selectorELNS0_4arch9wavefront6targetE1EEEvT1_
	.globl	_ZN7rocprim17ROCPRIM_400000_NS6detail17trampoline_kernelINS0_14default_configENS1_25partition_config_selectorILNS1_17partition_subalgoE0EtNS0_10empty_typeEbEEZZNS1_14partition_implILS5_0ELb0ES3_jN6thrust23THRUST_200600_302600_NS6detail15normal_iteratorINSA_10device_ptrItEEEEPS6_SG_NS0_5tupleIJSF_NSA_16discard_iteratorINSA_11use_defaultEEEEEENSH_IJSG_SG_EEES6_PlJ7is_evenItEEEE10hipError_tPvRmT3_T4_T5_T6_T7_T9_mT8_P12ihipStream_tbDpT10_ENKUlT_T0_E_clISt17integral_constantIbLb0EES18_IbLb1EEEEDaS14_S15_EUlS14_E_NS1_11comp_targetILNS1_3genE8ELNS1_11target_archE1030ELNS1_3gpuE2ELNS1_3repE0EEENS1_30default_config_static_selectorELNS0_4arch9wavefront6targetE1EEEvT1_
	.p2align	8
	.type	_ZN7rocprim17ROCPRIM_400000_NS6detail17trampoline_kernelINS0_14default_configENS1_25partition_config_selectorILNS1_17partition_subalgoE0EtNS0_10empty_typeEbEEZZNS1_14partition_implILS5_0ELb0ES3_jN6thrust23THRUST_200600_302600_NS6detail15normal_iteratorINSA_10device_ptrItEEEEPS6_SG_NS0_5tupleIJSF_NSA_16discard_iteratorINSA_11use_defaultEEEEEENSH_IJSG_SG_EEES6_PlJ7is_evenItEEEE10hipError_tPvRmT3_T4_T5_T6_T7_T9_mT8_P12ihipStream_tbDpT10_ENKUlT_T0_E_clISt17integral_constantIbLb0EES18_IbLb1EEEEDaS14_S15_EUlS14_E_NS1_11comp_targetILNS1_3genE8ELNS1_11target_archE1030ELNS1_3gpuE2ELNS1_3repE0EEENS1_30default_config_static_selectorELNS0_4arch9wavefront6targetE1EEEvT1_,@function
_ZN7rocprim17ROCPRIM_400000_NS6detail17trampoline_kernelINS0_14default_configENS1_25partition_config_selectorILNS1_17partition_subalgoE0EtNS0_10empty_typeEbEEZZNS1_14partition_implILS5_0ELb0ES3_jN6thrust23THRUST_200600_302600_NS6detail15normal_iteratorINSA_10device_ptrItEEEEPS6_SG_NS0_5tupleIJSF_NSA_16discard_iteratorINSA_11use_defaultEEEEEENSH_IJSG_SG_EEES6_PlJ7is_evenItEEEE10hipError_tPvRmT3_T4_T5_T6_T7_T9_mT8_P12ihipStream_tbDpT10_ENKUlT_T0_E_clISt17integral_constantIbLb0EES18_IbLb1EEEEDaS14_S15_EUlS14_E_NS1_11comp_targetILNS1_3genE8ELNS1_11target_archE1030ELNS1_3gpuE2ELNS1_3repE0EEENS1_30default_config_static_selectorELNS0_4arch9wavefront6targetE1EEEvT1_: ; @_ZN7rocprim17ROCPRIM_400000_NS6detail17trampoline_kernelINS0_14default_configENS1_25partition_config_selectorILNS1_17partition_subalgoE0EtNS0_10empty_typeEbEEZZNS1_14partition_implILS5_0ELb0ES3_jN6thrust23THRUST_200600_302600_NS6detail15normal_iteratorINSA_10device_ptrItEEEEPS6_SG_NS0_5tupleIJSF_NSA_16discard_iteratorINSA_11use_defaultEEEEEENSH_IJSG_SG_EEES6_PlJ7is_evenItEEEE10hipError_tPvRmT3_T4_T5_T6_T7_T9_mT8_P12ihipStream_tbDpT10_ENKUlT_T0_E_clISt17integral_constantIbLb0EES18_IbLb1EEEEDaS14_S15_EUlS14_E_NS1_11comp_targetILNS1_3genE8ELNS1_11target_archE1030ELNS1_3gpuE2ELNS1_3repE0EEENS1_30default_config_static_selectorELNS0_4arch9wavefront6targetE1EEEvT1_
; %bb.0:
	.section	.rodata,"a",@progbits
	.p2align	6, 0x0
	.amdhsa_kernel _ZN7rocprim17ROCPRIM_400000_NS6detail17trampoline_kernelINS0_14default_configENS1_25partition_config_selectorILNS1_17partition_subalgoE0EtNS0_10empty_typeEbEEZZNS1_14partition_implILS5_0ELb0ES3_jN6thrust23THRUST_200600_302600_NS6detail15normal_iteratorINSA_10device_ptrItEEEEPS6_SG_NS0_5tupleIJSF_NSA_16discard_iteratorINSA_11use_defaultEEEEEENSH_IJSG_SG_EEES6_PlJ7is_evenItEEEE10hipError_tPvRmT3_T4_T5_T6_T7_T9_mT8_P12ihipStream_tbDpT10_ENKUlT_T0_E_clISt17integral_constantIbLb0EES18_IbLb1EEEEDaS14_S15_EUlS14_E_NS1_11comp_targetILNS1_3genE8ELNS1_11target_archE1030ELNS1_3gpuE2ELNS1_3repE0EEENS1_30default_config_static_selectorELNS0_4arch9wavefront6targetE1EEEvT1_
		.amdhsa_group_segment_fixed_size 0
		.amdhsa_private_segment_fixed_size 0
		.amdhsa_kernarg_size 144
		.amdhsa_user_sgpr_count 6
		.amdhsa_user_sgpr_private_segment_buffer 1
		.amdhsa_user_sgpr_dispatch_ptr 0
		.amdhsa_user_sgpr_queue_ptr 0
		.amdhsa_user_sgpr_kernarg_segment_ptr 1
		.amdhsa_user_sgpr_dispatch_id 0
		.amdhsa_user_sgpr_flat_scratch_init 0
		.amdhsa_user_sgpr_kernarg_preload_length 0
		.amdhsa_user_sgpr_kernarg_preload_offset 0
		.amdhsa_user_sgpr_private_segment_size 0
		.amdhsa_uses_dynamic_stack 0
		.amdhsa_system_sgpr_private_segment_wavefront_offset 0
		.amdhsa_system_sgpr_workgroup_id_x 1
		.amdhsa_system_sgpr_workgroup_id_y 0
		.amdhsa_system_sgpr_workgroup_id_z 0
		.amdhsa_system_sgpr_workgroup_info 0
		.amdhsa_system_vgpr_workitem_id 0
		.amdhsa_next_free_vgpr 1
		.amdhsa_next_free_sgpr 0
		.amdhsa_accum_offset 4
		.amdhsa_reserve_vcc 0
		.amdhsa_reserve_flat_scratch 0
		.amdhsa_float_round_mode_32 0
		.amdhsa_float_round_mode_16_64 0
		.amdhsa_float_denorm_mode_32 3
		.amdhsa_float_denorm_mode_16_64 3
		.amdhsa_dx10_clamp 1
		.amdhsa_ieee_mode 1
		.amdhsa_fp16_overflow 0
		.amdhsa_tg_split 0
		.amdhsa_exception_fp_ieee_invalid_op 0
		.amdhsa_exception_fp_denorm_src 0
		.amdhsa_exception_fp_ieee_div_zero 0
		.amdhsa_exception_fp_ieee_overflow 0
		.amdhsa_exception_fp_ieee_underflow 0
		.amdhsa_exception_fp_ieee_inexact 0
		.amdhsa_exception_int_div_zero 0
	.end_amdhsa_kernel
	.section	.text._ZN7rocprim17ROCPRIM_400000_NS6detail17trampoline_kernelINS0_14default_configENS1_25partition_config_selectorILNS1_17partition_subalgoE0EtNS0_10empty_typeEbEEZZNS1_14partition_implILS5_0ELb0ES3_jN6thrust23THRUST_200600_302600_NS6detail15normal_iteratorINSA_10device_ptrItEEEEPS6_SG_NS0_5tupleIJSF_NSA_16discard_iteratorINSA_11use_defaultEEEEEENSH_IJSG_SG_EEES6_PlJ7is_evenItEEEE10hipError_tPvRmT3_T4_T5_T6_T7_T9_mT8_P12ihipStream_tbDpT10_ENKUlT_T0_E_clISt17integral_constantIbLb0EES18_IbLb1EEEEDaS14_S15_EUlS14_E_NS1_11comp_targetILNS1_3genE8ELNS1_11target_archE1030ELNS1_3gpuE2ELNS1_3repE0EEENS1_30default_config_static_selectorELNS0_4arch9wavefront6targetE1EEEvT1_,"axG",@progbits,_ZN7rocprim17ROCPRIM_400000_NS6detail17trampoline_kernelINS0_14default_configENS1_25partition_config_selectorILNS1_17partition_subalgoE0EtNS0_10empty_typeEbEEZZNS1_14partition_implILS5_0ELb0ES3_jN6thrust23THRUST_200600_302600_NS6detail15normal_iteratorINSA_10device_ptrItEEEEPS6_SG_NS0_5tupleIJSF_NSA_16discard_iteratorINSA_11use_defaultEEEEEENSH_IJSG_SG_EEES6_PlJ7is_evenItEEEE10hipError_tPvRmT3_T4_T5_T6_T7_T9_mT8_P12ihipStream_tbDpT10_ENKUlT_T0_E_clISt17integral_constantIbLb0EES18_IbLb1EEEEDaS14_S15_EUlS14_E_NS1_11comp_targetILNS1_3genE8ELNS1_11target_archE1030ELNS1_3gpuE2ELNS1_3repE0EEENS1_30default_config_static_selectorELNS0_4arch9wavefront6targetE1EEEvT1_,comdat
.Lfunc_end2554:
	.size	_ZN7rocprim17ROCPRIM_400000_NS6detail17trampoline_kernelINS0_14default_configENS1_25partition_config_selectorILNS1_17partition_subalgoE0EtNS0_10empty_typeEbEEZZNS1_14partition_implILS5_0ELb0ES3_jN6thrust23THRUST_200600_302600_NS6detail15normal_iteratorINSA_10device_ptrItEEEEPS6_SG_NS0_5tupleIJSF_NSA_16discard_iteratorINSA_11use_defaultEEEEEENSH_IJSG_SG_EEES6_PlJ7is_evenItEEEE10hipError_tPvRmT3_T4_T5_T6_T7_T9_mT8_P12ihipStream_tbDpT10_ENKUlT_T0_E_clISt17integral_constantIbLb0EES18_IbLb1EEEEDaS14_S15_EUlS14_E_NS1_11comp_targetILNS1_3genE8ELNS1_11target_archE1030ELNS1_3gpuE2ELNS1_3repE0EEENS1_30default_config_static_selectorELNS0_4arch9wavefront6targetE1EEEvT1_, .Lfunc_end2554-_ZN7rocprim17ROCPRIM_400000_NS6detail17trampoline_kernelINS0_14default_configENS1_25partition_config_selectorILNS1_17partition_subalgoE0EtNS0_10empty_typeEbEEZZNS1_14partition_implILS5_0ELb0ES3_jN6thrust23THRUST_200600_302600_NS6detail15normal_iteratorINSA_10device_ptrItEEEEPS6_SG_NS0_5tupleIJSF_NSA_16discard_iteratorINSA_11use_defaultEEEEEENSH_IJSG_SG_EEES6_PlJ7is_evenItEEEE10hipError_tPvRmT3_T4_T5_T6_T7_T9_mT8_P12ihipStream_tbDpT10_ENKUlT_T0_E_clISt17integral_constantIbLb0EES18_IbLb1EEEEDaS14_S15_EUlS14_E_NS1_11comp_targetILNS1_3genE8ELNS1_11target_archE1030ELNS1_3gpuE2ELNS1_3repE0EEENS1_30default_config_static_selectorELNS0_4arch9wavefront6targetE1EEEvT1_
                                        ; -- End function
	.section	.AMDGPU.csdata,"",@progbits
; Kernel info:
; codeLenInByte = 0
; NumSgprs: 4
; NumVgprs: 0
; NumAgprs: 0
; TotalNumVgprs: 0
; ScratchSize: 0
; MemoryBound: 0
; FloatMode: 240
; IeeeMode: 1
; LDSByteSize: 0 bytes/workgroup (compile time only)
; SGPRBlocks: 0
; VGPRBlocks: 0
; NumSGPRsForWavesPerEU: 4
; NumVGPRsForWavesPerEU: 1
; AccumOffset: 4
; Occupancy: 8
; WaveLimiterHint : 0
; COMPUTE_PGM_RSRC2:SCRATCH_EN: 0
; COMPUTE_PGM_RSRC2:USER_SGPR: 6
; COMPUTE_PGM_RSRC2:TRAP_HANDLER: 0
; COMPUTE_PGM_RSRC2:TGID_X_EN: 1
; COMPUTE_PGM_RSRC2:TGID_Y_EN: 0
; COMPUTE_PGM_RSRC2:TGID_Z_EN: 0
; COMPUTE_PGM_RSRC2:TIDIG_COMP_CNT: 0
; COMPUTE_PGM_RSRC3_GFX90A:ACCUM_OFFSET: 0
; COMPUTE_PGM_RSRC3_GFX90A:TG_SPLIT: 0
	.section	.text._ZN7rocprim17ROCPRIM_400000_NS6detail17trampoline_kernelINS0_14default_configENS1_25partition_config_selectorILNS1_17partition_subalgoE0EtNS0_10empty_typeEbEEZZNS1_14partition_implILS5_0ELb0ES3_jN6thrust23THRUST_200600_302600_NS6detail15normal_iteratorINSA_10device_ptrItEEEEPS6_SG_NS0_5tupleIJNSA_16discard_iteratorINSA_11use_defaultEEESF_EEENSH_IJSG_SG_EEES6_PlJ7is_evenItEEEE10hipError_tPvRmT3_T4_T5_T6_T7_T9_mT8_P12ihipStream_tbDpT10_ENKUlT_T0_E_clISt17integral_constantIbLb0EES19_EEDaS14_S15_EUlS14_E_NS1_11comp_targetILNS1_3genE0ELNS1_11target_archE4294967295ELNS1_3gpuE0ELNS1_3repE0EEENS1_30default_config_static_selectorELNS0_4arch9wavefront6targetE1EEEvT1_,"axG",@progbits,_ZN7rocprim17ROCPRIM_400000_NS6detail17trampoline_kernelINS0_14default_configENS1_25partition_config_selectorILNS1_17partition_subalgoE0EtNS0_10empty_typeEbEEZZNS1_14partition_implILS5_0ELb0ES3_jN6thrust23THRUST_200600_302600_NS6detail15normal_iteratorINSA_10device_ptrItEEEEPS6_SG_NS0_5tupleIJNSA_16discard_iteratorINSA_11use_defaultEEESF_EEENSH_IJSG_SG_EEES6_PlJ7is_evenItEEEE10hipError_tPvRmT3_T4_T5_T6_T7_T9_mT8_P12ihipStream_tbDpT10_ENKUlT_T0_E_clISt17integral_constantIbLb0EES19_EEDaS14_S15_EUlS14_E_NS1_11comp_targetILNS1_3genE0ELNS1_11target_archE4294967295ELNS1_3gpuE0ELNS1_3repE0EEENS1_30default_config_static_selectorELNS0_4arch9wavefront6targetE1EEEvT1_,comdat
	.protected	_ZN7rocprim17ROCPRIM_400000_NS6detail17trampoline_kernelINS0_14default_configENS1_25partition_config_selectorILNS1_17partition_subalgoE0EtNS0_10empty_typeEbEEZZNS1_14partition_implILS5_0ELb0ES3_jN6thrust23THRUST_200600_302600_NS6detail15normal_iteratorINSA_10device_ptrItEEEEPS6_SG_NS0_5tupleIJNSA_16discard_iteratorINSA_11use_defaultEEESF_EEENSH_IJSG_SG_EEES6_PlJ7is_evenItEEEE10hipError_tPvRmT3_T4_T5_T6_T7_T9_mT8_P12ihipStream_tbDpT10_ENKUlT_T0_E_clISt17integral_constantIbLb0EES19_EEDaS14_S15_EUlS14_E_NS1_11comp_targetILNS1_3genE0ELNS1_11target_archE4294967295ELNS1_3gpuE0ELNS1_3repE0EEENS1_30default_config_static_selectorELNS0_4arch9wavefront6targetE1EEEvT1_ ; -- Begin function _ZN7rocprim17ROCPRIM_400000_NS6detail17trampoline_kernelINS0_14default_configENS1_25partition_config_selectorILNS1_17partition_subalgoE0EtNS0_10empty_typeEbEEZZNS1_14partition_implILS5_0ELb0ES3_jN6thrust23THRUST_200600_302600_NS6detail15normal_iteratorINSA_10device_ptrItEEEEPS6_SG_NS0_5tupleIJNSA_16discard_iteratorINSA_11use_defaultEEESF_EEENSH_IJSG_SG_EEES6_PlJ7is_evenItEEEE10hipError_tPvRmT3_T4_T5_T6_T7_T9_mT8_P12ihipStream_tbDpT10_ENKUlT_T0_E_clISt17integral_constantIbLb0EES19_EEDaS14_S15_EUlS14_E_NS1_11comp_targetILNS1_3genE0ELNS1_11target_archE4294967295ELNS1_3gpuE0ELNS1_3repE0EEENS1_30default_config_static_selectorELNS0_4arch9wavefront6targetE1EEEvT1_
	.globl	_ZN7rocprim17ROCPRIM_400000_NS6detail17trampoline_kernelINS0_14default_configENS1_25partition_config_selectorILNS1_17partition_subalgoE0EtNS0_10empty_typeEbEEZZNS1_14partition_implILS5_0ELb0ES3_jN6thrust23THRUST_200600_302600_NS6detail15normal_iteratorINSA_10device_ptrItEEEEPS6_SG_NS0_5tupleIJNSA_16discard_iteratorINSA_11use_defaultEEESF_EEENSH_IJSG_SG_EEES6_PlJ7is_evenItEEEE10hipError_tPvRmT3_T4_T5_T6_T7_T9_mT8_P12ihipStream_tbDpT10_ENKUlT_T0_E_clISt17integral_constantIbLb0EES19_EEDaS14_S15_EUlS14_E_NS1_11comp_targetILNS1_3genE0ELNS1_11target_archE4294967295ELNS1_3gpuE0ELNS1_3repE0EEENS1_30default_config_static_selectorELNS0_4arch9wavefront6targetE1EEEvT1_
	.p2align	8
	.type	_ZN7rocprim17ROCPRIM_400000_NS6detail17trampoline_kernelINS0_14default_configENS1_25partition_config_selectorILNS1_17partition_subalgoE0EtNS0_10empty_typeEbEEZZNS1_14partition_implILS5_0ELb0ES3_jN6thrust23THRUST_200600_302600_NS6detail15normal_iteratorINSA_10device_ptrItEEEEPS6_SG_NS0_5tupleIJNSA_16discard_iteratorINSA_11use_defaultEEESF_EEENSH_IJSG_SG_EEES6_PlJ7is_evenItEEEE10hipError_tPvRmT3_T4_T5_T6_T7_T9_mT8_P12ihipStream_tbDpT10_ENKUlT_T0_E_clISt17integral_constantIbLb0EES19_EEDaS14_S15_EUlS14_E_NS1_11comp_targetILNS1_3genE0ELNS1_11target_archE4294967295ELNS1_3gpuE0ELNS1_3repE0EEENS1_30default_config_static_selectorELNS0_4arch9wavefront6targetE1EEEvT1_,@function
_ZN7rocprim17ROCPRIM_400000_NS6detail17trampoline_kernelINS0_14default_configENS1_25partition_config_selectorILNS1_17partition_subalgoE0EtNS0_10empty_typeEbEEZZNS1_14partition_implILS5_0ELb0ES3_jN6thrust23THRUST_200600_302600_NS6detail15normal_iteratorINSA_10device_ptrItEEEEPS6_SG_NS0_5tupleIJNSA_16discard_iteratorINSA_11use_defaultEEESF_EEENSH_IJSG_SG_EEES6_PlJ7is_evenItEEEE10hipError_tPvRmT3_T4_T5_T6_T7_T9_mT8_P12ihipStream_tbDpT10_ENKUlT_T0_E_clISt17integral_constantIbLb0EES19_EEDaS14_S15_EUlS14_E_NS1_11comp_targetILNS1_3genE0ELNS1_11target_archE4294967295ELNS1_3gpuE0ELNS1_3repE0EEENS1_30default_config_static_selectorELNS0_4arch9wavefront6targetE1EEEvT1_: ; @_ZN7rocprim17ROCPRIM_400000_NS6detail17trampoline_kernelINS0_14default_configENS1_25partition_config_selectorILNS1_17partition_subalgoE0EtNS0_10empty_typeEbEEZZNS1_14partition_implILS5_0ELb0ES3_jN6thrust23THRUST_200600_302600_NS6detail15normal_iteratorINSA_10device_ptrItEEEEPS6_SG_NS0_5tupleIJNSA_16discard_iteratorINSA_11use_defaultEEESF_EEENSH_IJSG_SG_EEES6_PlJ7is_evenItEEEE10hipError_tPvRmT3_T4_T5_T6_T7_T9_mT8_P12ihipStream_tbDpT10_ENKUlT_T0_E_clISt17integral_constantIbLb0EES19_EEDaS14_S15_EUlS14_E_NS1_11comp_targetILNS1_3genE0ELNS1_11target_archE4294967295ELNS1_3gpuE0ELNS1_3repE0EEENS1_30default_config_static_selectorELNS0_4arch9wavefront6targetE1EEEvT1_
; %bb.0:
	.section	.rodata,"a",@progbits
	.p2align	6, 0x0
	.amdhsa_kernel _ZN7rocprim17ROCPRIM_400000_NS6detail17trampoline_kernelINS0_14default_configENS1_25partition_config_selectorILNS1_17partition_subalgoE0EtNS0_10empty_typeEbEEZZNS1_14partition_implILS5_0ELb0ES3_jN6thrust23THRUST_200600_302600_NS6detail15normal_iteratorINSA_10device_ptrItEEEEPS6_SG_NS0_5tupleIJNSA_16discard_iteratorINSA_11use_defaultEEESF_EEENSH_IJSG_SG_EEES6_PlJ7is_evenItEEEE10hipError_tPvRmT3_T4_T5_T6_T7_T9_mT8_P12ihipStream_tbDpT10_ENKUlT_T0_E_clISt17integral_constantIbLb0EES19_EEDaS14_S15_EUlS14_E_NS1_11comp_targetILNS1_3genE0ELNS1_11target_archE4294967295ELNS1_3gpuE0ELNS1_3repE0EEENS1_30default_config_static_selectorELNS0_4arch9wavefront6targetE1EEEvT1_
		.amdhsa_group_segment_fixed_size 0
		.amdhsa_private_segment_fixed_size 0
		.amdhsa_kernarg_size 128
		.amdhsa_user_sgpr_count 6
		.amdhsa_user_sgpr_private_segment_buffer 1
		.amdhsa_user_sgpr_dispatch_ptr 0
		.amdhsa_user_sgpr_queue_ptr 0
		.amdhsa_user_sgpr_kernarg_segment_ptr 1
		.amdhsa_user_sgpr_dispatch_id 0
		.amdhsa_user_sgpr_flat_scratch_init 0
		.amdhsa_user_sgpr_kernarg_preload_length 0
		.amdhsa_user_sgpr_kernarg_preload_offset 0
		.amdhsa_user_sgpr_private_segment_size 0
		.amdhsa_uses_dynamic_stack 0
		.amdhsa_system_sgpr_private_segment_wavefront_offset 0
		.amdhsa_system_sgpr_workgroup_id_x 1
		.amdhsa_system_sgpr_workgroup_id_y 0
		.amdhsa_system_sgpr_workgroup_id_z 0
		.amdhsa_system_sgpr_workgroup_info 0
		.amdhsa_system_vgpr_workitem_id 0
		.amdhsa_next_free_vgpr 1
		.amdhsa_next_free_sgpr 0
		.amdhsa_accum_offset 4
		.amdhsa_reserve_vcc 0
		.amdhsa_reserve_flat_scratch 0
		.amdhsa_float_round_mode_32 0
		.amdhsa_float_round_mode_16_64 0
		.amdhsa_float_denorm_mode_32 3
		.amdhsa_float_denorm_mode_16_64 3
		.amdhsa_dx10_clamp 1
		.amdhsa_ieee_mode 1
		.amdhsa_fp16_overflow 0
		.amdhsa_tg_split 0
		.amdhsa_exception_fp_ieee_invalid_op 0
		.amdhsa_exception_fp_denorm_src 0
		.amdhsa_exception_fp_ieee_div_zero 0
		.amdhsa_exception_fp_ieee_overflow 0
		.amdhsa_exception_fp_ieee_underflow 0
		.amdhsa_exception_fp_ieee_inexact 0
		.amdhsa_exception_int_div_zero 0
	.end_amdhsa_kernel
	.section	.text._ZN7rocprim17ROCPRIM_400000_NS6detail17trampoline_kernelINS0_14default_configENS1_25partition_config_selectorILNS1_17partition_subalgoE0EtNS0_10empty_typeEbEEZZNS1_14partition_implILS5_0ELb0ES3_jN6thrust23THRUST_200600_302600_NS6detail15normal_iteratorINSA_10device_ptrItEEEEPS6_SG_NS0_5tupleIJNSA_16discard_iteratorINSA_11use_defaultEEESF_EEENSH_IJSG_SG_EEES6_PlJ7is_evenItEEEE10hipError_tPvRmT3_T4_T5_T6_T7_T9_mT8_P12ihipStream_tbDpT10_ENKUlT_T0_E_clISt17integral_constantIbLb0EES19_EEDaS14_S15_EUlS14_E_NS1_11comp_targetILNS1_3genE0ELNS1_11target_archE4294967295ELNS1_3gpuE0ELNS1_3repE0EEENS1_30default_config_static_selectorELNS0_4arch9wavefront6targetE1EEEvT1_,"axG",@progbits,_ZN7rocprim17ROCPRIM_400000_NS6detail17trampoline_kernelINS0_14default_configENS1_25partition_config_selectorILNS1_17partition_subalgoE0EtNS0_10empty_typeEbEEZZNS1_14partition_implILS5_0ELb0ES3_jN6thrust23THRUST_200600_302600_NS6detail15normal_iteratorINSA_10device_ptrItEEEEPS6_SG_NS0_5tupleIJNSA_16discard_iteratorINSA_11use_defaultEEESF_EEENSH_IJSG_SG_EEES6_PlJ7is_evenItEEEE10hipError_tPvRmT3_T4_T5_T6_T7_T9_mT8_P12ihipStream_tbDpT10_ENKUlT_T0_E_clISt17integral_constantIbLb0EES19_EEDaS14_S15_EUlS14_E_NS1_11comp_targetILNS1_3genE0ELNS1_11target_archE4294967295ELNS1_3gpuE0ELNS1_3repE0EEENS1_30default_config_static_selectorELNS0_4arch9wavefront6targetE1EEEvT1_,comdat
.Lfunc_end2555:
	.size	_ZN7rocprim17ROCPRIM_400000_NS6detail17trampoline_kernelINS0_14default_configENS1_25partition_config_selectorILNS1_17partition_subalgoE0EtNS0_10empty_typeEbEEZZNS1_14partition_implILS5_0ELb0ES3_jN6thrust23THRUST_200600_302600_NS6detail15normal_iteratorINSA_10device_ptrItEEEEPS6_SG_NS0_5tupleIJNSA_16discard_iteratorINSA_11use_defaultEEESF_EEENSH_IJSG_SG_EEES6_PlJ7is_evenItEEEE10hipError_tPvRmT3_T4_T5_T6_T7_T9_mT8_P12ihipStream_tbDpT10_ENKUlT_T0_E_clISt17integral_constantIbLb0EES19_EEDaS14_S15_EUlS14_E_NS1_11comp_targetILNS1_3genE0ELNS1_11target_archE4294967295ELNS1_3gpuE0ELNS1_3repE0EEENS1_30default_config_static_selectorELNS0_4arch9wavefront6targetE1EEEvT1_, .Lfunc_end2555-_ZN7rocprim17ROCPRIM_400000_NS6detail17trampoline_kernelINS0_14default_configENS1_25partition_config_selectorILNS1_17partition_subalgoE0EtNS0_10empty_typeEbEEZZNS1_14partition_implILS5_0ELb0ES3_jN6thrust23THRUST_200600_302600_NS6detail15normal_iteratorINSA_10device_ptrItEEEEPS6_SG_NS0_5tupleIJNSA_16discard_iteratorINSA_11use_defaultEEESF_EEENSH_IJSG_SG_EEES6_PlJ7is_evenItEEEE10hipError_tPvRmT3_T4_T5_T6_T7_T9_mT8_P12ihipStream_tbDpT10_ENKUlT_T0_E_clISt17integral_constantIbLb0EES19_EEDaS14_S15_EUlS14_E_NS1_11comp_targetILNS1_3genE0ELNS1_11target_archE4294967295ELNS1_3gpuE0ELNS1_3repE0EEENS1_30default_config_static_selectorELNS0_4arch9wavefront6targetE1EEEvT1_
                                        ; -- End function
	.section	.AMDGPU.csdata,"",@progbits
; Kernel info:
; codeLenInByte = 0
; NumSgprs: 4
; NumVgprs: 0
; NumAgprs: 0
; TotalNumVgprs: 0
; ScratchSize: 0
; MemoryBound: 0
; FloatMode: 240
; IeeeMode: 1
; LDSByteSize: 0 bytes/workgroup (compile time only)
; SGPRBlocks: 0
; VGPRBlocks: 0
; NumSGPRsForWavesPerEU: 4
; NumVGPRsForWavesPerEU: 1
; AccumOffset: 4
; Occupancy: 8
; WaveLimiterHint : 0
; COMPUTE_PGM_RSRC2:SCRATCH_EN: 0
; COMPUTE_PGM_RSRC2:USER_SGPR: 6
; COMPUTE_PGM_RSRC2:TRAP_HANDLER: 0
; COMPUTE_PGM_RSRC2:TGID_X_EN: 1
; COMPUTE_PGM_RSRC2:TGID_Y_EN: 0
; COMPUTE_PGM_RSRC2:TGID_Z_EN: 0
; COMPUTE_PGM_RSRC2:TIDIG_COMP_CNT: 0
; COMPUTE_PGM_RSRC3_GFX90A:ACCUM_OFFSET: 0
; COMPUTE_PGM_RSRC3_GFX90A:TG_SPLIT: 0
	.section	.text._ZN7rocprim17ROCPRIM_400000_NS6detail17trampoline_kernelINS0_14default_configENS1_25partition_config_selectorILNS1_17partition_subalgoE0EtNS0_10empty_typeEbEEZZNS1_14partition_implILS5_0ELb0ES3_jN6thrust23THRUST_200600_302600_NS6detail15normal_iteratorINSA_10device_ptrItEEEEPS6_SG_NS0_5tupleIJNSA_16discard_iteratorINSA_11use_defaultEEESF_EEENSH_IJSG_SG_EEES6_PlJ7is_evenItEEEE10hipError_tPvRmT3_T4_T5_T6_T7_T9_mT8_P12ihipStream_tbDpT10_ENKUlT_T0_E_clISt17integral_constantIbLb0EES19_EEDaS14_S15_EUlS14_E_NS1_11comp_targetILNS1_3genE5ELNS1_11target_archE942ELNS1_3gpuE9ELNS1_3repE0EEENS1_30default_config_static_selectorELNS0_4arch9wavefront6targetE1EEEvT1_,"axG",@progbits,_ZN7rocprim17ROCPRIM_400000_NS6detail17trampoline_kernelINS0_14default_configENS1_25partition_config_selectorILNS1_17partition_subalgoE0EtNS0_10empty_typeEbEEZZNS1_14partition_implILS5_0ELb0ES3_jN6thrust23THRUST_200600_302600_NS6detail15normal_iteratorINSA_10device_ptrItEEEEPS6_SG_NS0_5tupleIJNSA_16discard_iteratorINSA_11use_defaultEEESF_EEENSH_IJSG_SG_EEES6_PlJ7is_evenItEEEE10hipError_tPvRmT3_T4_T5_T6_T7_T9_mT8_P12ihipStream_tbDpT10_ENKUlT_T0_E_clISt17integral_constantIbLb0EES19_EEDaS14_S15_EUlS14_E_NS1_11comp_targetILNS1_3genE5ELNS1_11target_archE942ELNS1_3gpuE9ELNS1_3repE0EEENS1_30default_config_static_selectorELNS0_4arch9wavefront6targetE1EEEvT1_,comdat
	.protected	_ZN7rocprim17ROCPRIM_400000_NS6detail17trampoline_kernelINS0_14default_configENS1_25partition_config_selectorILNS1_17partition_subalgoE0EtNS0_10empty_typeEbEEZZNS1_14partition_implILS5_0ELb0ES3_jN6thrust23THRUST_200600_302600_NS6detail15normal_iteratorINSA_10device_ptrItEEEEPS6_SG_NS0_5tupleIJNSA_16discard_iteratorINSA_11use_defaultEEESF_EEENSH_IJSG_SG_EEES6_PlJ7is_evenItEEEE10hipError_tPvRmT3_T4_T5_T6_T7_T9_mT8_P12ihipStream_tbDpT10_ENKUlT_T0_E_clISt17integral_constantIbLb0EES19_EEDaS14_S15_EUlS14_E_NS1_11comp_targetILNS1_3genE5ELNS1_11target_archE942ELNS1_3gpuE9ELNS1_3repE0EEENS1_30default_config_static_selectorELNS0_4arch9wavefront6targetE1EEEvT1_ ; -- Begin function _ZN7rocprim17ROCPRIM_400000_NS6detail17trampoline_kernelINS0_14default_configENS1_25partition_config_selectorILNS1_17partition_subalgoE0EtNS0_10empty_typeEbEEZZNS1_14partition_implILS5_0ELb0ES3_jN6thrust23THRUST_200600_302600_NS6detail15normal_iteratorINSA_10device_ptrItEEEEPS6_SG_NS0_5tupleIJNSA_16discard_iteratorINSA_11use_defaultEEESF_EEENSH_IJSG_SG_EEES6_PlJ7is_evenItEEEE10hipError_tPvRmT3_T4_T5_T6_T7_T9_mT8_P12ihipStream_tbDpT10_ENKUlT_T0_E_clISt17integral_constantIbLb0EES19_EEDaS14_S15_EUlS14_E_NS1_11comp_targetILNS1_3genE5ELNS1_11target_archE942ELNS1_3gpuE9ELNS1_3repE0EEENS1_30default_config_static_selectorELNS0_4arch9wavefront6targetE1EEEvT1_
	.globl	_ZN7rocprim17ROCPRIM_400000_NS6detail17trampoline_kernelINS0_14default_configENS1_25partition_config_selectorILNS1_17partition_subalgoE0EtNS0_10empty_typeEbEEZZNS1_14partition_implILS5_0ELb0ES3_jN6thrust23THRUST_200600_302600_NS6detail15normal_iteratorINSA_10device_ptrItEEEEPS6_SG_NS0_5tupleIJNSA_16discard_iteratorINSA_11use_defaultEEESF_EEENSH_IJSG_SG_EEES6_PlJ7is_evenItEEEE10hipError_tPvRmT3_T4_T5_T6_T7_T9_mT8_P12ihipStream_tbDpT10_ENKUlT_T0_E_clISt17integral_constantIbLb0EES19_EEDaS14_S15_EUlS14_E_NS1_11comp_targetILNS1_3genE5ELNS1_11target_archE942ELNS1_3gpuE9ELNS1_3repE0EEENS1_30default_config_static_selectorELNS0_4arch9wavefront6targetE1EEEvT1_
	.p2align	8
	.type	_ZN7rocprim17ROCPRIM_400000_NS6detail17trampoline_kernelINS0_14default_configENS1_25partition_config_selectorILNS1_17partition_subalgoE0EtNS0_10empty_typeEbEEZZNS1_14partition_implILS5_0ELb0ES3_jN6thrust23THRUST_200600_302600_NS6detail15normal_iteratorINSA_10device_ptrItEEEEPS6_SG_NS0_5tupleIJNSA_16discard_iteratorINSA_11use_defaultEEESF_EEENSH_IJSG_SG_EEES6_PlJ7is_evenItEEEE10hipError_tPvRmT3_T4_T5_T6_T7_T9_mT8_P12ihipStream_tbDpT10_ENKUlT_T0_E_clISt17integral_constantIbLb0EES19_EEDaS14_S15_EUlS14_E_NS1_11comp_targetILNS1_3genE5ELNS1_11target_archE942ELNS1_3gpuE9ELNS1_3repE0EEENS1_30default_config_static_selectorELNS0_4arch9wavefront6targetE1EEEvT1_,@function
_ZN7rocprim17ROCPRIM_400000_NS6detail17trampoline_kernelINS0_14default_configENS1_25partition_config_selectorILNS1_17partition_subalgoE0EtNS0_10empty_typeEbEEZZNS1_14partition_implILS5_0ELb0ES3_jN6thrust23THRUST_200600_302600_NS6detail15normal_iteratorINSA_10device_ptrItEEEEPS6_SG_NS0_5tupleIJNSA_16discard_iteratorINSA_11use_defaultEEESF_EEENSH_IJSG_SG_EEES6_PlJ7is_evenItEEEE10hipError_tPvRmT3_T4_T5_T6_T7_T9_mT8_P12ihipStream_tbDpT10_ENKUlT_T0_E_clISt17integral_constantIbLb0EES19_EEDaS14_S15_EUlS14_E_NS1_11comp_targetILNS1_3genE5ELNS1_11target_archE942ELNS1_3gpuE9ELNS1_3repE0EEENS1_30default_config_static_selectorELNS0_4arch9wavefront6targetE1EEEvT1_: ; @_ZN7rocprim17ROCPRIM_400000_NS6detail17trampoline_kernelINS0_14default_configENS1_25partition_config_selectorILNS1_17partition_subalgoE0EtNS0_10empty_typeEbEEZZNS1_14partition_implILS5_0ELb0ES3_jN6thrust23THRUST_200600_302600_NS6detail15normal_iteratorINSA_10device_ptrItEEEEPS6_SG_NS0_5tupleIJNSA_16discard_iteratorINSA_11use_defaultEEESF_EEENSH_IJSG_SG_EEES6_PlJ7is_evenItEEEE10hipError_tPvRmT3_T4_T5_T6_T7_T9_mT8_P12ihipStream_tbDpT10_ENKUlT_T0_E_clISt17integral_constantIbLb0EES19_EEDaS14_S15_EUlS14_E_NS1_11comp_targetILNS1_3genE5ELNS1_11target_archE942ELNS1_3gpuE9ELNS1_3repE0EEENS1_30default_config_static_selectorELNS0_4arch9wavefront6targetE1EEEvT1_
; %bb.0:
	.section	.rodata,"a",@progbits
	.p2align	6, 0x0
	.amdhsa_kernel _ZN7rocprim17ROCPRIM_400000_NS6detail17trampoline_kernelINS0_14default_configENS1_25partition_config_selectorILNS1_17partition_subalgoE0EtNS0_10empty_typeEbEEZZNS1_14partition_implILS5_0ELb0ES3_jN6thrust23THRUST_200600_302600_NS6detail15normal_iteratorINSA_10device_ptrItEEEEPS6_SG_NS0_5tupleIJNSA_16discard_iteratorINSA_11use_defaultEEESF_EEENSH_IJSG_SG_EEES6_PlJ7is_evenItEEEE10hipError_tPvRmT3_T4_T5_T6_T7_T9_mT8_P12ihipStream_tbDpT10_ENKUlT_T0_E_clISt17integral_constantIbLb0EES19_EEDaS14_S15_EUlS14_E_NS1_11comp_targetILNS1_3genE5ELNS1_11target_archE942ELNS1_3gpuE9ELNS1_3repE0EEENS1_30default_config_static_selectorELNS0_4arch9wavefront6targetE1EEEvT1_
		.amdhsa_group_segment_fixed_size 0
		.amdhsa_private_segment_fixed_size 0
		.amdhsa_kernarg_size 128
		.amdhsa_user_sgpr_count 6
		.amdhsa_user_sgpr_private_segment_buffer 1
		.amdhsa_user_sgpr_dispatch_ptr 0
		.amdhsa_user_sgpr_queue_ptr 0
		.amdhsa_user_sgpr_kernarg_segment_ptr 1
		.amdhsa_user_sgpr_dispatch_id 0
		.amdhsa_user_sgpr_flat_scratch_init 0
		.amdhsa_user_sgpr_kernarg_preload_length 0
		.amdhsa_user_sgpr_kernarg_preload_offset 0
		.amdhsa_user_sgpr_private_segment_size 0
		.amdhsa_uses_dynamic_stack 0
		.amdhsa_system_sgpr_private_segment_wavefront_offset 0
		.amdhsa_system_sgpr_workgroup_id_x 1
		.amdhsa_system_sgpr_workgroup_id_y 0
		.amdhsa_system_sgpr_workgroup_id_z 0
		.amdhsa_system_sgpr_workgroup_info 0
		.amdhsa_system_vgpr_workitem_id 0
		.amdhsa_next_free_vgpr 1
		.amdhsa_next_free_sgpr 0
		.amdhsa_accum_offset 4
		.amdhsa_reserve_vcc 0
		.amdhsa_reserve_flat_scratch 0
		.amdhsa_float_round_mode_32 0
		.amdhsa_float_round_mode_16_64 0
		.amdhsa_float_denorm_mode_32 3
		.amdhsa_float_denorm_mode_16_64 3
		.amdhsa_dx10_clamp 1
		.amdhsa_ieee_mode 1
		.amdhsa_fp16_overflow 0
		.amdhsa_tg_split 0
		.amdhsa_exception_fp_ieee_invalid_op 0
		.amdhsa_exception_fp_denorm_src 0
		.amdhsa_exception_fp_ieee_div_zero 0
		.amdhsa_exception_fp_ieee_overflow 0
		.amdhsa_exception_fp_ieee_underflow 0
		.amdhsa_exception_fp_ieee_inexact 0
		.amdhsa_exception_int_div_zero 0
	.end_amdhsa_kernel
	.section	.text._ZN7rocprim17ROCPRIM_400000_NS6detail17trampoline_kernelINS0_14default_configENS1_25partition_config_selectorILNS1_17partition_subalgoE0EtNS0_10empty_typeEbEEZZNS1_14partition_implILS5_0ELb0ES3_jN6thrust23THRUST_200600_302600_NS6detail15normal_iteratorINSA_10device_ptrItEEEEPS6_SG_NS0_5tupleIJNSA_16discard_iteratorINSA_11use_defaultEEESF_EEENSH_IJSG_SG_EEES6_PlJ7is_evenItEEEE10hipError_tPvRmT3_T4_T5_T6_T7_T9_mT8_P12ihipStream_tbDpT10_ENKUlT_T0_E_clISt17integral_constantIbLb0EES19_EEDaS14_S15_EUlS14_E_NS1_11comp_targetILNS1_3genE5ELNS1_11target_archE942ELNS1_3gpuE9ELNS1_3repE0EEENS1_30default_config_static_selectorELNS0_4arch9wavefront6targetE1EEEvT1_,"axG",@progbits,_ZN7rocprim17ROCPRIM_400000_NS6detail17trampoline_kernelINS0_14default_configENS1_25partition_config_selectorILNS1_17partition_subalgoE0EtNS0_10empty_typeEbEEZZNS1_14partition_implILS5_0ELb0ES3_jN6thrust23THRUST_200600_302600_NS6detail15normal_iteratorINSA_10device_ptrItEEEEPS6_SG_NS0_5tupleIJNSA_16discard_iteratorINSA_11use_defaultEEESF_EEENSH_IJSG_SG_EEES6_PlJ7is_evenItEEEE10hipError_tPvRmT3_T4_T5_T6_T7_T9_mT8_P12ihipStream_tbDpT10_ENKUlT_T0_E_clISt17integral_constantIbLb0EES19_EEDaS14_S15_EUlS14_E_NS1_11comp_targetILNS1_3genE5ELNS1_11target_archE942ELNS1_3gpuE9ELNS1_3repE0EEENS1_30default_config_static_selectorELNS0_4arch9wavefront6targetE1EEEvT1_,comdat
.Lfunc_end2556:
	.size	_ZN7rocprim17ROCPRIM_400000_NS6detail17trampoline_kernelINS0_14default_configENS1_25partition_config_selectorILNS1_17partition_subalgoE0EtNS0_10empty_typeEbEEZZNS1_14partition_implILS5_0ELb0ES3_jN6thrust23THRUST_200600_302600_NS6detail15normal_iteratorINSA_10device_ptrItEEEEPS6_SG_NS0_5tupleIJNSA_16discard_iteratorINSA_11use_defaultEEESF_EEENSH_IJSG_SG_EEES6_PlJ7is_evenItEEEE10hipError_tPvRmT3_T4_T5_T6_T7_T9_mT8_P12ihipStream_tbDpT10_ENKUlT_T0_E_clISt17integral_constantIbLb0EES19_EEDaS14_S15_EUlS14_E_NS1_11comp_targetILNS1_3genE5ELNS1_11target_archE942ELNS1_3gpuE9ELNS1_3repE0EEENS1_30default_config_static_selectorELNS0_4arch9wavefront6targetE1EEEvT1_, .Lfunc_end2556-_ZN7rocprim17ROCPRIM_400000_NS6detail17trampoline_kernelINS0_14default_configENS1_25partition_config_selectorILNS1_17partition_subalgoE0EtNS0_10empty_typeEbEEZZNS1_14partition_implILS5_0ELb0ES3_jN6thrust23THRUST_200600_302600_NS6detail15normal_iteratorINSA_10device_ptrItEEEEPS6_SG_NS0_5tupleIJNSA_16discard_iteratorINSA_11use_defaultEEESF_EEENSH_IJSG_SG_EEES6_PlJ7is_evenItEEEE10hipError_tPvRmT3_T4_T5_T6_T7_T9_mT8_P12ihipStream_tbDpT10_ENKUlT_T0_E_clISt17integral_constantIbLb0EES19_EEDaS14_S15_EUlS14_E_NS1_11comp_targetILNS1_3genE5ELNS1_11target_archE942ELNS1_3gpuE9ELNS1_3repE0EEENS1_30default_config_static_selectorELNS0_4arch9wavefront6targetE1EEEvT1_
                                        ; -- End function
	.section	.AMDGPU.csdata,"",@progbits
; Kernel info:
; codeLenInByte = 0
; NumSgprs: 4
; NumVgprs: 0
; NumAgprs: 0
; TotalNumVgprs: 0
; ScratchSize: 0
; MemoryBound: 0
; FloatMode: 240
; IeeeMode: 1
; LDSByteSize: 0 bytes/workgroup (compile time only)
; SGPRBlocks: 0
; VGPRBlocks: 0
; NumSGPRsForWavesPerEU: 4
; NumVGPRsForWavesPerEU: 1
; AccumOffset: 4
; Occupancy: 8
; WaveLimiterHint : 0
; COMPUTE_PGM_RSRC2:SCRATCH_EN: 0
; COMPUTE_PGM_RSRC2:USER_SGPR: 6
; COMPUTE_PGM_RSRC2:TRAP_HANDLER: 0
; COMPUTE_PGM_RSRC2:TGID_X_EN: 1
; COMPUTE_PGM_RSRC2:TGID_Y_EN: 0
; COMPUTE_PGM_RSRC2:TGID_Z_EN: 0
; COMPUTE_PGM_RSRC2:TIDIG_COMP_CNT: 0
; COMPUTE_PGM_RSRC3_GFX90A:ACCUM_OFFSET: 0
; COMPUTE_PGM_RSRC3_GFX90A:TG_SPLIT: 0
	.section	.text._ZN7rocprim17ROCPRIM_400000_NS6detail17trampoline_kernelINS0_14default_configENS1_25partition_config_selectorILNS1_17partition_subalgoE0EtNS0_10empty_typeEbEEZZNS1_14partition_implILS5_0ELb0ES3_jN6thrust23THRUST_200600_302600_NS6detail15normal_iteratorINSA_10device_ptrItEEEEPS6_SG_NS0_5tupleIJNSA_16discard_iteratorINSA_11use_defaultEEESF_EEENSH_IJSG_SG_EEES6_PlJ7is_evenItEEEE10hipError_tPvRmT3_T4_T5_T6_T7_T9_mT8_P12ihipStream_tbDpT10_ENKUlT_T0_E_clISt17integral_constantIbLb0EES19_EEDaS14_S15_EUlS14_E_NS1_11comp_targetILNS1_3genE4ELNS1_11target_archE910ELNS1_3gpuE8ELNS1_3repE0EEENS1_30default_config_static_selectorELNS0_4arch9wavefront6targetE1EEEvT1_,"axG",@progbits,_ZN7rocprim17ROCPRIM_400000_NS6detail17trampoline_kernelINS0_14default_configENS1_25partition_config_selectorILNS1_17partition_subalgoE0EtNS0_10empty_typeEbEEZZNS1_14partition_implILS5_0ELb0ES3_jN6thrust23THRUST_200600_302600_NS6detail15normal_iteratorINSA_10device_ptrItEEEEPS6_SG_NS0_5tupleIJNSA_16discard_iteratorINSA_11use_defaultEEESF_EEENSH_IJSG_SG_EEES6_PlJ7is_evenItEEEE10hipError_tPvRmT3_T4_T5_T6_T7_T9_mT8_P12ihipStream_tbDpT10_ENKUlT_T0_E_clISt17integral_constantIbLb0EES19_EEDaS14_S15_EUlS14_E_NS1_11comp_targetILNS1_3genE4ELNS1_11target_archE910ELNS1_3gpuE8ELNS1_3repE0EEENS1_30default_config_static_selectorELNS0_4arch9wavefront6targetE1EEEvT1_,comdat
	.protected	_ZN7rocprim17ROCPRIM_400000_NS6detail17trampoline_kernelINS0_14default_configENS1_25partition_config_selectorILNS1_17partition_subalgoE0EtNS0_10empty_typeEbEEZZNS1_14partition_implILS5_0ELb0ES3_jN6thrust23THRUST_200600_302600_NS6detail15normal_iteratorINSA_10device_ptrItEEEEPS6_SG_NS0_5tupleIJNSA_16discard_iteratorINSA_11use_defaultEEESF_EEENSH_IJSG_SG_EEES6_PlJ7is_evenItEEEE10hipError_tPvRmT3_T4_T5_T6_T7_T9_mT8_P12ihipStream_tbDpT10_ENKUlT_T0_E_clISt17integral_constantIbLb0EES19_EEDaS14_S15_EUlS14_E_NS1_11comp_targetILNS1_3genE4ELNS1_11target_archE910ELNS1_3gpuE8ELNS1_3repE0EEENS1_30default_config_static_selectorELNS0_4arch9wavefront6targetE1EEEvT1_ ; -- Begin function _ZN7rocprim17ROCPRIM_400000_NS6detail17trampoline_kernelINS0_14default_configENS1_25partition_config_selectorILNS1_17partition_subalgoE0EtNS0_10empty_typeEbEEZZNS1_14partition_implILS5_0ELb0ES3_jN6thrust23THRUST_200600_302600_NS6detail15normal_iteratorINSA_10device_ptrItEEEEPS6_SG_NS0_5tupleIJNSA_16discard_iteratorINSA_11use_defaultEEESF_EEENSH_IJSG_SG_EEES6_PlJ7is_evenItEEEE10hipError_tPvRmT3_T4_T5_T6_T7_T9_mT8_P12ihipStream_tbDpT10_ENKUlT_T0_E_clISt17integral_constantIbLb0EES19_EEDaS14_S15_EUlS14_E_NS1_11comp_targetILNS1_3genE4ELNS1_11target_archE910ELNS1_3gpuE8ELNS1_3repE0EEENS1_30default_config_static_selectorELNS0_4arch9wavefront6targetE1EEEvT1_
	.globl	_ZN7rocprim17ROCPRIM_400000_NS6detail17trampoline_kernelINS0_14default_configENS1_25partition_config_selectorILNS1_17partition_subalgoE0EtNS0_10empty_typeEbEEZZNS1_14partition_implILS5_0ELb0ES3_jN6thrust23THRUST_200600_302600_NS6detail15normal_iteratorINSA_10device_ptrItEEEEPS6_SG_NS0_5tupleIJNSA_16discard_iteratorINSA_11use_defaultEEESF_EEENSH_IJSG_SG_EEES6_PlJ7is_evenItEEEE10hipError_tPvRmT3_T4_T5_T6_T7_T9_mT8_P12ihipStream_tbDpT10_ENKUlT_T0_E_clISt17integral_constantIbLb0EES19_EEDaS14_S15_EUlS14_E_NS1_11comp_targetILNS1_3genE4ELNS1_11target_archE910ELNS1_3gpuE8ELNS1_3repE0EEENS1_30default_config_static_selectorELNS0_4arch9wavefront6targetE1EEEvT1_
	.p2align	8
	.type	_ZN7rocprim17ROCPRIM_400000_NS6detail17trampoline_kernelINS0_14default_configENS1_25partition_config_selectorILNS1_17partition_subalgoE0EtNS0_10empty_typeEbEEZZNS1_14partition_implILS5_0ELb0ES3_jN6thrust23THRUST_200600_302600_NS6detail15normal_iteratorINSA_10device_ptrItEEEEPS6_SG_NS0_5tupleIJNSA_16discard_iteratorINSA_11use_defaultEEESF_EEENSH_IJSG_SG_EEES6_PlJ7is_evenItEEEE10hipError_tPvRmT3_T4_T5_T6_T7_T9_mT8_P12ihipStream_tbDpT10_ENKUlT_T0_E_clISt17integral_constantIbLb0EES19_EEDaS14_S15_EUlS14_E_NS1_11comp_targetILNS1_3genE4ELNS1_11target_archE910ELNS1_3gpuE8ELNS1_3repE0EEENS1_30default_config_static_selectorELNS0_4arch9wavefront6targetE1EEEvT1_,@function
_ZN7rocprim17ROCPRIM_400000_NS6detail17trampoline_kernelINS0_14default_configENS1_25partition_config_selectorILNS1_17partition_subalgoE0EtNS0_10empty_typeEbEEZZNS1_14partition_implILS5_0ELb0ES3_jN6thrust23THRUST_200600_302600_NS6detail15normal_iteratorINSA_10device_ptrItEEEEPS6_SG_NS0_5tupleIJNSA_16discard_iteratorINSA_11use_defaultEEESF_EEENSH_IJSG_SG_EEES6_PlJ7is_evenItEEEE10hipError_tPvRmT3_T4_T5_T6_T7_T9_mT8_P12ihipStream_tbDpT10_ENKUlT_T0_E_clISt17integral_constantIbLb0EES19_EEDaS14_S15_EUlS14_E_NS1_11comp_targetILNS1_3genE4ELNS1_11target_archE910ELNS1_3gpuE8ELNS1_3repE0EEENS1_30default_config_static_selectorELNS0_4arch9wavefront6targetE1EEEvT1_: ; @_ZN7rocprim17ROCPRIM_400000_NS6detail17trampoline_kernelINS0_14default_configENS1_25partition_config_selectorILNS1_17partition_subalgoE0EtNS0_10empty_typeEbEEZZNS1_14partition_implILS5_0ELb0ES3_jN6thrust23THRUST_200600_302600_NS6detail15normal_iteratorINSA_10device_ptrItEEEEPS6_SG_NS0_5tupleIJNSA_16discard_iteratorINSA_11use_defaultEEESF_EEENSH_IJSG_SG_EEES6_PlJ7is_evenItEEEE10hipError_tPvRmT3_T4_T5_T6_T7_T9_mT8_P12ihipStream_tbDpT10_ENKUlT_T0_E_clISt17integral_constantIbLb0EES19_EEDaS14_S15_EUlS14_E_NS1_11comp_targetILNS1_3genE4ELNS1_11target_archE910ELNS1_3gpuE8ELNS1_3repE0EEENS1_30default_config_static_selectorELNS0_4arch9wavefront6targetE1EEEvT1_
; %bb.0:
	s_load_dwordx2 s[0:1], s[4:5], 0x60
	s_load_dwordx4 s[20:23], s[4:5], 0x8
	s_load_dwordx4 s[24:27], s[4:5], 0x50
	s_load_dword s7, s[4:5], 0x78
	s_mul_i32 s8, s6, 0x1c00
	s_waitcnt lgkmcnt(0)
	v_mov_b32_e32 v3, s1
	s_lshl_b64 s[2:3], s[22:23], 1
	s_add_u32 s10, s20, s2
	s_mul_i32 s1, s7, 0x1c00
	s_addc_u32 s11, s21, s3
	s_add_i32 s3, s1, s22
	s_sub_i32 s33, s0, s3
	s_add_i32 s2, s7, -1
	s_addk_i32 s33, 0x1c00
	v_mov_b32_e32 v2, s0
	s_add_u32 s0, s22, s1
	s_addc_u32 s1, s23, 0
	s_cmp_eq_u32 s6, s2
	s_load_dwordx2 s[28:29], s[26:27], 0x0
	s_cselect_b64 s[26:27], -1, 0
	s_cmp_lg_u32 s6, s2
	s_mov_b32 s9, 0
	v_cmp_lt_u64_e32 vcc, s[0:1], v[2:3]
	s_cselect_b64 s[0:1], -1, 0
	s_or_b64 s[2:3], s[0:1], vcc
	s_lshl_b64 s[30:31], s[8:9], 1
	s_add_u32 s7, s10, s30
	s_addc_u32 s10, s11, s31
	s_mov_b64 s[0:1], -1
	s_and_b64 vcc, exec, s[2:3]
	v_lshlrev_b32_e32 v26, 1, v0
	s_cbranch_vccz .LBB2557_2
; %bb.1:
	v_mov_b32_e32 v1, s10
	v_add_co_u32_e32 v2, vcc, s7, v26
	v_addc_co_u32_e32 v3, vcc, 0, v1, vcc
	v_add_co_u32_e32 v4, vcc, 0x1000, v2
	v_addc_co_u32_e32 v5, vcc, 0, v3, vcc
	flat_load_ushort v1, v[2:3]
	flat_load_ushort v6, v[2:3] offset:512
	flat_load_ushort v7, v[2:3] offset:1024
	;; [unrolled: 1-line block ×7, first 2 shown]
	flat_load_ushort v13, v[4:5]
	flat_load_ushort v14, v[4:5] offset:512
	flat_load_ushort v15, v[4:5] offset:1024
	;; [unrolled: 1-line block ×7, first 2 shown]
	v_add_co_u32_e32 v4, vcc, 0x2000, v2
	v_addc_co_u32_e32 v5, vcc, 0, v3, vcc
	v_add_co_u32_e32 v2, vcc, 0x3000, v2
	v_addc_co_u32_e32 v3, vcc, 0, v3, vcc
	flat_load_ushort v21, v[4:5]
	flat_load_ushort v22, v[4:5] offset:512
	flat_load_ushort v23, v[4:5] offset:1024
	flat_load_ushort v24, v[4:5] offset:1536
	flat_load_ushort v25, v[4:5] offset:2048
	flat_load_ushort v27, v[4:5] offset:2560
	flat_load_ushort v28, v[4:5] offset:3072
	flat_load_ushort v29, v[4:5] offset:3584
	s_nop 0
	flat_load_ushort v4, v[2:3]
	flat_load_ushort v5, v[2:3] offset:512
	flat_load_ushort v30, v[2:3] offset:1024
	;; [unrolled: 1-line block ×3, first 2 shown]
	s_mov_b64 s[0:1], 0
	s_waitcnt vmcnt(0) lgkmcnt(0)
	ds_write_b16 v26, v1
	ds_write_b16 v26, v6 offset:512
	ds_write_b16 v26, v7 offset:1024
	;; [unrolled: 1-line block ×27, first 2 shown]
	s_waitcnt lgkmcnt(0)
	s_barrier
.LBB2557_2:
	s_andn2_b64 vcc, exec, s[0:1]
	v_cmp_gt_u32_e64 s[0:1], s33, v0
	s_cbranch_vccnz .LBB2557_60
; %bb.3:
                                        ; implicit-def: $vgpr1
	s_and_saveexec_b64 s[8:9], s[0:1]
	s_cbranch_execz .LBB2557_5
; %bb.4:
	v_mov_b32_e32 v1, s10
	v_add_co_u32_e32 v2, vcc, s7, v26
	v_addc_co_u32_e32 v3, vcc, 0, v1, vcc
	flat_load_ushort v1, v[2:3]
.LBB2557_5:
	s_or_b64 exec, exec, s[8:9]
	v_or_b32_e32 v2, 0x100, v0
	v_cmp_gt_u32_e32 vcc, s33, v2
                                        ; implicit-def: $vgpr2
	s_and_saveexec_b64 s[0:1], vcc
	s_cbranch_execz .LBB2557_7
; %bb.6:
	v_mov_b32_e32 v3, s10
	v_add_co_u32_e32 v2, vcc, s7, v26
	v_addc_co_u32_e32 v3, vcc, 0, v3, vcc
	flat_load_ushort v2, v[2:3] offset:512
.LBB2557_7:
	s_or_b64 exec, exec, s[0:1]
	v_or_b32_e32 v3, 0x200, v0
	v_cmp_gt_u32_e32 vcc, s33, v3
                                        ; implicit-def: $vgpr3
	s_and_saveexec_b64 s[0:1], vcc
	s_cbranch_execz .LBB2557_9
; %bb.8:
	v_mov_b32_e32 v3, s10
	v_add_co_u32_e32 v4, vcc, s7, v26
	v_addc_co_u32_e32 v5, vcc, 0, v3, vcc
	flat_load_ushort v3, v[4:5] offset:1024
.LBB2557_9:
	s_or_b64 exec, exec, s[0:1]
	v_or_b32_e32 v4, 0x300, v0
	v_cmp_gt_u32_e32 vcc, s33, v4
                                        ; implicit-def: $vgpr4
	s_and_saveexec_b64 s[0:1], vcc
	s_cbranch_execz .LBB2557_11
; %bb.10:
	v_mov_b32_e32 v5, s10
	v_add_co_u32_e32 v4, vcc, s7, v26
	v_addc_co_u32_e32 v5, vcc, 0, v5, vcc
	flat_load_ushort v4, v[4:5] offset:1536
.LBB2557_11:
	s_or_b64 exec, exec, s[0:1]
	v_or_b32_e32 v5, 0x400, v0
	v_cmp_gt_u32_e32 vcc, s33, v5
                                        ; implicit-def: $vgpr5
	s_and_saveexec_b64 s[0:1], vcc
	s_cbranch_execz .LBB2557_13
; %bb.12:
	v_mov_b32_e32 v5, s10
	v_add_co_u32_e32 v6, vcc, s7, v26
	v_addc_co_u32_e32 v7, vcc, 0, v5, vcc
	flat_load_ushort v5, v[6:7] offset:2048
.LBB2557_13:
	s_or_b64 exec, exec, s[0:1]
	v_or_b32_e32 v6, 0x500, v0
	v_cmp_gt_u32_e32 vcc, s33, v6
                                        ; implicit-def: $vgpr6
	s_and_saveexec_b64 s[0:1], vcc
	s_cbranch_execz .LBB2557_15
; %bb.14:
	v_mov_b32_e32 v7, s10
	v_add_co_u32_e32 v6, vcc, s7, v26
	v_addc_co_u32_e32 v7, vcc, 0, v7, vcc
	flat_load_ushort v6, v[6:7] offset:2560
.LBB2557_15:
	s_or_b64 exec, exec, s[0:1]
	v_or_b32_e32 v7, 0x600, v0
	v_cmp_gt_u32_e32 vcc, s33, v7
                                        ; implicit-def: $vgpr7
	s_and_saveexec_b64 s[0:1], vcc
	s_cbranch_execz .LBB2557_17
; %bb.16:
	v_mov_b32_e32 v7, s10
	v_add_co_u32_e32 v8, vcc, s7, v26
	v_addc_co_u32_e32 v9, vcc, 0, v7, vcc
	flat_load_ushort v7, v[8:9] offset:3072
.LBB2557_17:
	s_or_b64 exec, exec, s[0:1]
	v_or_b32_e32 v8, 0x700, v0
	v_cmp_gt_u32_e32 vcc, s33, v8
                                        ; implicit-def: $vgpr8
	s_and_saveexec_b64 s[0:1], vcc
	s_cbranch_execz .LBB2557_19
; %bb.18:
	v_mov_b32_e32 v9, s10
	v_add_co_u32_e32 v8, vcc, s7, v26
	v_addc_co_u32_e32 v9, vcc, 0, v9, vcc
	flat_load_ushort v8, v[8:9] offset:3584
.LBB2557_19:
	s_or_b64 exec, exec, s[0:1]
	v_or_b32_e32 v10, 0x800, v0
	v_cmp_gt_u32_e32 vcc, s33, v10
                                        ; implicit-def: $vgpr9
	s_and_saveexec_b64 s[0:1], vcc
	s_cbranch_execz .LBB2557_21
; %bb.20:
	v_lshlrev_b32_e32 v9, 1, v10
	v_mov_b32_e32 v11, s10
	v_add_co_u32_e32 v10, vcc, s7, v9
	v_addc_co_u32_e32 v11, vcc, 0, v11, vcc
	flat_load_ushort v9, v[10:11]
.LBB2557_21:
	s_or_b64 exec, exec, s[0:1]
	v_or_b32_e32 v11, 0x900, v0
	v_cmp_gt_u32_e32 vcc, s33, v11
                                        ; implicit-def: $vgpr10
	s_and_saveexec_b64 s[0:1], vcc
	s_cbranch_execz .LBB2557_23
; %bb.22:
	v_lshlrev_b32_e32 v10, 1, v11
	v_mov_b32_e32 v11, s10
	v_add_co_u32_e32 v10, vcc, s7, v10
	v_addc_co_u32_e32 v11, vcc, 0, v11, vcc
	flat_load_ushort v10, v[10:11]
.LBB2557_23:
	s_or_b64 exec, exec, s[0:1]
	v_or_b32_e32 v12, 0xa00, v0
	v_cmp_gt_u32_e32 vcc, s33, v12
                                        ; implicit-def: $vgpr11
	s_and_saveexec_b64 s[0:1], vcc
	s_cbranch_execz .LBB2557_25
; %bb.24:
	v_lshlrev_b32_e32 v11, 1, v12
	v_mov_b32_e32 v13, s10
	v_add_co_u32_e32 v12, vcc, s7, v11
	v_addc_co_u32_e32 v13, vcc, 0, v13, vcc
	flat_load_ushort v11, v[12:13]
.LBB2557_25:
	s_or_b64 exec, exec, s[0:1]
	v_or_b32_e32 v13, 0xb00, v0
	v_cmp_gt_u32_e32 vcc, s33, v13
                                        ; implicit-def: $vgpr12
	s_and_saveexec_b64 s[0:1], vcc
	s_cbranch_execz .LBB2557_27
; %bb.26:
	v_lshlrev_b32_e32 v12, 1, v13
	v_mov_b32_e32 v13, s10
	v_add_co_u32_e32 v12, vcc, s7, v12
	v_addc_co_u32_e32 v13, vcc, 0, v13, vcc
	flat_load_ushort v12, v[12:13]
.LBB2557_27:
	s_or_b64 exec, exec, s[0:1]
	v_or_b32_e32 v14, 0xc00, v0
	v_cmp_gt_u32_e32 vcc, s33, v14
                                        ; implicit-def: $vgpr13
	s_and_saveexec_b64 s[0:1], vcc
	s_cbranch_execz .LBB2557_29
; %bb.28:
	v_lshlrev_b32_e32 v13, 1, v14
	v_mov_b32_e32 v15, s10
	v_add_co_u32_e32 v14, vcc, s7, v13
	v_addc_co_u32_e32 v15, vcc, 0, v15, vcc
	flat_load_ushort v13, v[14:15]
.LBB2557_29:
	s_or_b64 exec, exec, s[0:1]
	v_or_b32_e32 v15, 0xd00, v0
	v_cmp_gt_u32_e32 vcc, s33, v15
                                        ; implicit-def: $vgpr14
	s_and_saveexec_b64 s[0:1], vcc
	s_cbranch_execz .LBB2557_31
; %bb.30:
	v_lshlrev_b32_e32 v14, 1, v15
	v_mov_b32_e32 v15, s10
	v_add_co_u32_e32 v14, vcc, s7, v14
	v_addc_co_u32_e32 v15, vcc, 0, v15, vcc
	flat_load_ushort v14, v[14:15]
.LBB2557_31:
	s_or_b64 exec, exec, s[0:1]
	v_or_b32_e32 v16, 0xe00, v0
	v_cmp_gt_u32_e32 vcc, s33, v16
                                        ; implicit-def: $vgpr15
	s_and_saveexec_b64 s[0:1], vcc
	s_cbranch_execz .LBB2557_33
; %bb.32:
	v_lshlrev_b32_e32 v15, 1, v16
	v_mov_b32_e32 v17, s10
	v_add_co_u32_e32 v16, vcc, s7, v15
	v_addc_co_u32_e32 v17, vcc, 0, v17, vcc
	flat_load_ushort v15, v[16:17]
.LBB2557_33:
	s_or_b64 exec, exec, s[0:1]
	v_or_b32_e32 v17, 0xf00, v0
	v_cmp_gt_u32_e32 vcc, s33, v17
                                        ; implicit-def: $vgpr16
	s_and_saveexec_b64 s[0:1], vcc
	s_cbranch_execz .LBB2557_35
; %bb.34:
	v_lshlrev_b32_e32 v16, 1, v17
	v_mov_b32_e32 v17, s10
	v_add_co_u32_e32 v16, vcc, s7, v16
	v_addc_co_u32_e32 v17, vcc, 0, v17, vcc
	flat_load_ushort v16, v[16:17]
.LBB2557_35:
	s_or_b64 exec, exec, s[0:1]
	v_or_b32_e32 v18, 0x1000, v0
	v_cmp_gt_u32_e32 vcc, s33, v18
                                        ; implicit-def: $vgpr17
	s_and_saveexec_b64 s[0:1], vcc
	s_cbranch_execz .LBB2557_37
; %bb.36:
	v_lshlrev_b32_e32 v17, 1, v18
	v_mov_b32_e32 v19, s10
	v_add_co_u32_e32 v18, vcc, s7, v17
	v_addc_co_u32_e32 v19, vcc, 0, v19, vcc
	flat_load_ushort v17, v[18:19]
.LBB2557_37:
	s_or_b64 exec, exec, s[0:1]
	v_or_b32_e32 v19, 0x1100, v0
	v_cmp_gt_u32_e32 vcc, s33, v19
                                        ; implicit-def: $vgpr18
	s_and_saveexec_b64 s[0:1], vcc
	s_cbranch_execz .LBB2557_39
; %bb.38:
	v_lshlrev_b32_e32 v18, 1, v19
	v_mov_b32_e32 v19, s10
	v_add_co_u32_e32 v18, vcc, s7, v18
	v_addc_co_u32_e32 v19, vcc, 0, v19, vcc
	flat_load_ushort v18, v[18:19]
.LBB2557_39:
	s_or_b64 exec, exec, s[0:1]
	v_or_b32_e32 v20, 0x1200, v0
	v_cmp_gt_u32_e32 vcc, s33, v20
                                        ; implicit-def: $vgpr19
	s_and_saveexec_b64 s[0:1], vcc
	s_cbranch_execz .LBB2557_41
; %bb.40:
	v_lshlrev_b32_e32 v19, 1, v20
	v_mov_b32_e32 v21, s10
	v_add_co_u32_e32 v20, vcc, s7, v19
	v_addc_co_u32_e32 v21, vcc, 0, v21, vcc
	flat_load_ushort v19, v[20:21]
.LBB2557_41:
	s_or_b64 exec, exec, s[0:1]
	v_or_b32_e32 v21, 0x1300, v0
	v_cmp_gt_u32_e32 vcc, s33, v21
                                        ; implicit-def: $vgpr20
	s_and_saveexec_b64 s[0:1], vcc
	s_cbranch_execz .LBB2557_43
; %bb.42:
	v_lshlrev_b32_e32 v20, 1, v21
	v_mov_b32_e32 v21, s10
	v_add_co_u32_e32 v20, vcc, s7, v20
	v_addc_co_u32_e32 v21, vcc, 0, v21, vcc
	flat_load_ushort v20, v[20:21]
.LBB2557_43:
	s_or_b64 exec, exec, s[0:1]
	v_or_b32_e32 v22, 0x1400, v0
	v_cmp_gt_u32_e32 vcc, s33, v22
                                        ; implicit-def: $vgpr21
	s_and_saveexec_b64 s[0:1], vcc
	s_cbranch_execz .LBB2557_45
; %bb.44:
	v_lshlrev_b32_e32 v21, 1, v22
	v_mov_b32_e32 v23, s10
	v_add_co_u32_e32 v22, vcc, s7, v21
	v_addc_co_u32_e32 v23, vcc, 0, v23, vcc
	flat_load_ushort v21, v[22:23]
.LBB2557_45:
	s_or_b64 exec, exec, s[0:1]
	v_or_b32_e32 v23, 0x1500, v0
	v_cmp_gt_u32_e32 vcc, s33, v23
                                        ; implicit-def: $vgpr22
	s_and_saveexec_b64 s[0:1], vcc
	s_cbranch_execz .LBB2557_47
; %bb.46:
	v_lshlrev_b32_e32 v22, 1, v23
	v_mov_b32_e32 v23, s10
	v_add_co_u32_e32 v22, vcc, s7, v22
	v_addc_co_u32_e32 v23, vcc, 0, v23, vcc
	flat_load_ushort v22, v[22:23]
.LBB2557_47:
	s_or_b64 exec, exec, s[0:1]
	v_or_b32_e32 v24, 0x1600, v0
	v_cmp_gt_u32_e32 vcc, s33, v24
                                        ; implicit-def: $vgpr23
	s_and_saveexec_b64 s[0:1], vcc
	s_cbranch_execz .LBB2557_49
; %bb.48:
	v_lshlrev_b32_e32 v23, 1, v24
	v_mov_b32_e32 v25, s10
	v_add_co_u32_e32 v24, vcc, s7, v23
	v_addc_co_u32_e32 v25, vcc, 0, v25, vcc
	flat_load_ushort v23, v[24:25]
.LBB2557_49:
	s_or_b64 exec, exec, s[0:1]
	v_or_b32_e32 v25, 0x1700, v0
	v_cmp_gt_u32_e32 vcc, s33, v25
                                        ; implicit-def: $vgpr24
	s_and_saveexec_b64 s[0:1], vcc
	s_cbranch_execz .LBB2557_51
; %bb.50:
	v_lshlrev_b32_e32 v24, 1, v25
	v_mov_b32_e32 v25, s10
	v_add_co_u32_e32 v24, vcc, s7, v24
	v_addc_co_u32_e32 v25, vcc, 0, v25, vcc
	flat_load_ushort v24, v[24:25]
.LBB2557_51:
	s_or_b64 exec, exec, s[0:1]
	v_or_b32_e32 v27, 0x1800, v0
	v_cmp_gt_u32_e32 vcc, s33, v27
                                        ; implicit-def: $vgpr25
	s_and_saveexec_b64 s[0:1], vcc
	s_cbranch_execz .LBB2557_53
; %bb.52:
	v_lshlrev_b32_e32 v25, 1, v27
	v_mov_b32_e32 v27, s10
	v_add_co_u32_e32 v28, vcc, s7, v25
	v_addc_co_u32_e32 v29, vcc, 0, v27, vcc
	flat_load_ushort v25, v[28:29]
.LBB2557_53:
	s_or_b64 exec, exec, s[0:1]
	v_or_b32_e32 v28, 0x1900, v0
	v_cmp_gt_u32_e32 vcc, s33, v28
                                        ; implicit-def: $vgpr27
	s_and_saveexec_b64 s[0:1], vcc
	s_cbranch_execz .LBB2557_55
; %bb.54:
	v_lshlrev_b32_e32 v27, 1, v28
	v_mov_b32_e32 v29, s10
	v_add_co_u32_e32 v28, vcc, s7, v27
	v_addc_co_u32_e32 v29, vcc, 0, v29, vcc
	flat_load_ushort v27, v[28:29]
.LBB2557_55:
	s_or_b64 exec, exec, s[0:1]
	v_or_b32_e32 v29, 0x1a00, v0
	v_cmp_gt_u32_e32 vcc, s33, v29
                                        ; implicit-def: $vgpr28
	s_and_saveexec_b64 s[0:1], vcc
	s_cbranch_execz .LBB2557_57
; %bb.56:
	v_lshlrev_b32_e32 v28, 1, v29
	v_mov_b32_e32 v29, s10
	v_add_co_u32_e32 v28, vcc, s7, v28
	v_addc_co_u32_e32 v29, vcc, 0, v29, vcc
	flat_load_ushort v28, v[28:29]
.LBB2557_57:
	s_or_b64 exec, exec, s[0:1]
	v_or_b32_e32 v30, 0x1b00, v0
	v_cmp_gt_u32_e32 vcc, s33, v30
                                        ; implicit-def: $vgpr29
	s_and_saveexec_b64 s[0:1], vcc
	s_cbranch_execz .LBB2557_59
; %bb.58:
	v_lshlrev_b32_e32 v29, 1, v30
	v_mov_b32_e32 v31, s10
	v_add_co_u32_e32 v30, vcc, s7, v29
	v_addc_co_u32_e32 v31, vcc, 0, v31, vcc
	flat_load_ushort v29, v[30:31]
.LBB2557_59:
	s_or_b64 exec, exec, s[0:1]
	s_waitcnt vmcnt(0) lgkmcnt(0)
	ds_write_b16 v26, v1
	ds_write_b16 v26, v2 offset:512
	ds_write_b16 v26, v3 offset:1024
	;; [unrolled: 1-line block ×27, first 2 shown]
	s_waitcnt lgkmcnt(0)
	s_barrier
.LBB2557_60:
	v_mul_u32_u24_e32 v39, 28, v0
	v_lshlrev_b32_e32 v6, 1, v39
	s_waitcnt lgkmcnt(0)
	ds_read_b64 v[16:17], v6 offset:48
	ds_read2_b64 v[2:5], v6 offset0:4 offset1:5
	ds_read2_b64 v[10:13], v6 offset1:1
	ds_read2_b64 v[6:9], v6 offset0:2 offset1:3
	v_cndmask_b32_e64 v14, 0, 1, s[2:3]
	s_waitcnt lgkmcnt(3)
	v_lshrrev_b32_e32 v27, 16, v16
	v_lshrrev_b32_e32 v1, 16, v17
	s_waitcnt lgkmcnt(2)
	v_lshrrev_b32_e32 v31, 16, v2
	v_lshrrev_b32_e32 v30, 16, v3
	v_lshrrev_b32_e32 v29, 16, v4
	v_lshrrev_b32_e32 v28, 16, v5
	s_waitcnt lgkmcnt(1)
	v_lshrrev_b32_e32 v40, 16, v10
	v_lshrrev_b32_e32 v38, 16, v11
	;; [unrolled: 5-line block ×3, first 2 shown]
	v_lshrrev_b32_e32 v33, 16, v8
	v_lshrrev_b32_e32 v32, 16, v9
	v_cmp_ne_u32_e64 s[0:1], 1, v14
	s_andn2_b64 vcc, exec, s[2:3]
	v_xor_b32_e32 v86, -1, v10
	v_xor_b32_e32 v85, -1, v40
	v_xor_b32_e32 v84, -1, v11
	v_xor_b32_e32 v83, -1, v38
	v_xor_b32_e32 v82, -1, v12
	v_xor_b32_e32 v81, -1, v37
	v_xor_b32_e32 v80, -1, v13
	v_xor_b32_e32 v79, -1, v36
	v_xor_b32_e32 v78, -1, v6
	v_xor_b32_e32 v77, -1, v35
	v_xor_b32_e32 v76, -1, v7
	v_xor_b32_e32 v75, -1, v34
	v_xor_b32_e32 v74, -1, v8
	v_xor_b32_e32 v73, -1, v33
	v_xor_b32_e32 v72, -1, v9
	v_xor_b32_e32 v71, -1, v32
	v_xor_b32_e32 v70, -1, v2
	v_xor_b32_e32 v69, -1, v31
	v_xor_b32_e32 v25, -1, v3
	v_xor_b32_e32 v24, -1, v30
	v_xor_b32_e32 v23, -1, v4
	v_xor_b32_e32 v22, -1, v29
	v_xor_b32_e32 v21, -1, v5
	v_xor_b32_e32 v20, -1, v28
	v_xor_b32_e32 v19, -1, v16
	v_xor_b32_e32 v18, -1, v27
	v_xor_b32_e32 v15, -1, v17
	v_xor_b32_e32 v14, -1, v1
	s_barrier
	s_cbranch_vccnz .LBB2557_62
; %bb.61:
	v_and_b32_e32 v68, 1, v86
	v_and_b32_e32 v67, 1, v85
	;; [unrolled: 1-line block ×28, first 2 shown]
	s_load_dwordx2 s[34:35], s[4:5], 0x70
	s_cbranch_execz .LBB2557_63
	s_branch .LBB2557_64
.LBB2557_62:
                                        ; implicit-def: $vgpr68
                                        ; implicit-def: $vgpr67
                                        ; implicit-def: $vgpr66
                                        ; implicit-def: $vgpr65
                                        ; implicit-def: $vgpr64
                                        ; implicit-def: $vgpr63
                                        ; implicit-def: $vgpr62
                                        ; implicit-def: $vgpr61
                                        ; implicit-def: $vgpr60
                                        ; implicit-def: $vgpr59
                                        ; implicit-def: $vgpr58
                                        ; implicit-def: $vgpr57
                                        ; implicit-def: $vgpr56
                                        ; implicit-def: $vgpr55
                                        ; implicit-def: $vgpr54
                                        ; implicit-def: $vgpr53
                                        ; implicit-def: $vgpr52
                                        ; implicit-def: $vgpr51
                                        ; implicit-def: $vgpr50
                                        ; implicit-def: $vgpr49
                                        ; implicit-def: $vgpr48
                                        ; implicit-def: $vgpr47
                                        ; implicit-def: $vgpr46
                                        ; implicit-def: $vgpr45
                                        ; implicit-def: $vgpr44
                                        ; implicit-def: $vgpr43
                                        ; implicit-def: $vgpr41
                                        ; implicit-def: $vgpr42
	s_load_dwordx2 s[34:35], s[4:5], 0x70
.LBB2557_63:
	v_or_b32_e32 v50, 1, v39
	v_cmp_gt_u32_e32 vcc, s33, v39
	v_or_b32_e32 v51, 2, v39
	v_cndmask_b32_e64 v59, 0, 1, vcc
	v_cmp_gt_u32_e32 vcc, s33, v50
	v_or_b32_e32 v52, 3, v39
	v_cndmask_b32_e64 v50, 0, 1, vcc
	v_cmp_gt_u32_e32 vcc, s33, v51
	v_add_u32_e32 v53, 4, v39
	v_and_b32_e32 v67, v50, v85
	v_cndmask_b32_e64 v50, 0, 1, vcc
	v_cmp_gt_u32_e32 vcc, s33, v52
	v_add_u32_e32 v54, 5, v39
	v_and_b32_e32 v66, v50, v84
	;; [unrolled: 4-line block ×9, first 2 shown]
	v_and_b32_e32 v59, v50, v77
	v_cndmask_b32_e64 v50, 0, 1, vcc
	v_cmp_gt_u32_e32 vcc, s33, v88
	v_add_u32_e32 v90, 13, v39
	v_and_b32_e32 v58, v50, v76
	v_cndmask_b32_e64 v50, 0, 1, vcc
	v_cmp_gt_u32_e32 vcc, s33, v89
	v_add_u32_e32 v91, 14, v39
	;; [unrolled: 4-line block ×15, first 2 shown]
	v_and_b32_e32 v44, v20, v19
	v_cndmask_b32_e64 v19, 0, 1, vcc
	v_cmp_gt_u32_e32 vcc, s33, v41
	v_and_b32_e32 v43, v19, v18
	v_cndmask_b32_e64 v18, 0, 1, vcc
	v_cmp_gt_u32_e32 vcc, s33, v42
	v_and_b32_e32 v41, v18, v15
	v_cndmask_b32_e64 v15, 0, 1, vcc
	v_and_b32_e32 v42, v15, v14
.LBB2557_64:
	v_and_b32_e32 v93, 0xff, v44
	v_and_b32_e32 v94, 0xff, v43
	v_add_u32_sdwa v14, v41, v42 dst_sel:DWORD dst_unused:UNUSED_PAD src0_sel:BYTE_0 src1_sel:BYTE_0
	v_and_b32_e32 v91, 0xff, v46
	v_and_b32_e32 v92, 0xff, v45
	v_add3_u32 v14, v14, v94, v93
	v_and_b32_e32 v89, 0xff, v48
	v_and_b32_e32 v90, 0xff, v47
	v_add3_u32 v14, v14, v92, v91
	v_and_b32_e32 v87, 0xff, v50
	v_and_b32_e32 v88, 0xff, v49
	v_add3_u32 v14, v14, v90, v89
	v_and_b32_e32 v85, 0xff, v52
	v_and_b32_e32 v86, 0xff, v51
	v_add3_u32 v14, v14, v88, v87
	v_and_b32_e32 v83, 0xff, v54
	v_and_b32_e32 v84, 0xff, v53
	v_add3_u32 v14, v14, v86, v85
	v_and_b32_e32 v81, 0xff, v56
	v_and_b32_e32 v82, 0xff, v55
	v_add3_u32 v14, v14, v84, v83
	v_and_b32_e32 v79, 0xff, v58
	v_and_b32_e32 v80, 0xff, v57
	v_add3_u32 v14, v14, v82, v81
	v_and_b32_e32 v77, 0xff, v60
	v_and_b32_e32 v78, 0xff, v59
	v_add3_u32 v14, v14, v80, v79
	v_and_b32_e32 v75, 0xff, v62
	v_and_b32_e32 v76, 0xff, v61
	v_add3_u32 v14, v14, v78, v77
	v_and_b32_e32 v73, 0xff, v64
	v_and_b32_e32 v74, 0xff, v63
	v_add3_u32 v14, v14, v76, v75
	v_and_b32_e32 v71, 0xff, v66
	v_and_b32_e32 v72, 0xff, v65
	v_add3_u32 v14, v14, v74, v73
	v_and_b32_e32 v69, 0xff, v68
	v_and_b32_e32 v70, 0xff, v67
	v_add3_u32 v14, v14, v72, v71
	v_add3_u32 v97, v14, v70, v69
	v_mbcnt_lo_u32_b32 v14, -1, 0
	v_mbcnt_hi_u32_b32 v95, -1, v14
	v_and_b32_e32 v14, 15, v95
	v_cmp_eq_u32_e64 s[16:17], 0, v14
	v_cmp_lt_u32_e64 s[14:15], 1, v14
	v_cmp_lt_u32_e64 s[12:13], 3, v14
	;; [unrolled: 1-line block ×3, first 2 shown]
	v_and_b32_e32 v14, 16, v95
	v_cmp_eq_u32_e64 s[8:9], 0, v14
	v_or_b32_e32 v14, 63, v0
	s_cmp_lg_u32 s6, 0
	v_cmp_lt_u32_e64 s[2:3], 31, v95
	v_lshrrev_b32_e32 v96, 6, v0
	v_cmp_eq_u32_e64 s[20:21], v14, v0
	s_cbranch_scc0 .LBB2557_91
; %bb.65:
	v_mov_b32_dpp v14, v97 row_shr:1 row_mask:0xf bank_mask:0xf
	v_cndmask_b32_e64 v14, v14, 0, s[16:17]
	v_add_u32_e32 v14, v14, v97
	s_nop 1
	v_mov_b32_dpp v15, v14 row_shr:2 row_mask:0xf bank_mask:0xf
	v_cndmask_b32_e64 v15, 0, v15, s[14:15]
	v_add_u32_e32 v14, v14, v15
	s_nop 1
	;; [unrolled: 4-line block ×4, first 2 shown]
	v_mov_b32_dpp v15, v14 row_bcast:15 row_mask:0xf bank_mask:0xf
	v_cndmask_b32_e64 v15, v15, 0, s[8:9]
	v_add_u32_e32 v14, v14, v15
	s_nop 1
	v_mov_b32_dpp v15, v14 row_bcast:31 row_mask:0xf bank_mask:0xf
	v_cndmask_b32_e64 v15, 0, v15, s[2:3]
	v_add_u32_e32 v14, v14, v15
	s_and_saveexec_b64 s[18:19], s[20:21]
	s_cbranch_execz .LBB2557_67
; %bb.66:
	v_lshlrev_b32_e32 v15, 2, v96
	ds_write_b32 v15, v14
.LBB2557_67:
	s_or_b64 exec, exec, s[18:19]
	v_cmp_gt_u32_e32 vcc, 4, v0
	s_waitcnt lgkmcnt(0)
	s_barrier
	s_and_saveexec_b64 s[18:19], vcc
	s_cbranch_execz .LBB2557_69
; %bb.68:
	v_lshlrev_b32_e32 v15, 2, v0
	ds_read_b32 v18, v15
	v_and_b32_e32 v19, 3, v95
	v_cmp_ne_u32_e32 vcc, 0, v19
	s_waitcnt lgkmcnt(0)
	v_mov_b32_dpp v20, v18 row_shr:1 row_mask:0xf bank_mask:0xf
	v_cndmask_b32_e32 v20, 0, v20, vcc
	v_add_u32_e32 v18, v20, v18
	v_cmp_lt_u32_e32 vcc, 1, v19
	s_nop 0
	v_mov_b32_dpp v20, v18 row_shr:2 row_mask:0xf bank_mask:0xf
	v_cndmask_b32_e32 v19, 0, v20, vcc
	v_add_u32_e32 v18, v18, v19
	ds_write_b32 v15, v18
.LBB2557_69:
	s_or_b64 exec, exec, s[18:19]
	v_cmp_gt_u32_e32 vcc, 64, v0
	v_cmp_lt_u32_e64 s[18:19], 63, v0
	s_waitcnt lgkmcnt(0)
	s_barrier
	s_waitcnt lgkmcnt(0)
                                        ; implicit-def: $vgpr98
	s_and_saveexec_b64 s[36:37], s[18:19]
	s_cbranch_execz .LBB2557_71
; %bb.70:
	v_lshl_add_u32 v15, v96, 2, -4
	ds_read_b32 v98, v15
	s_waitcnt lgkmcnt(0)
	v_add_u32_e32 v14, v98, v14
.LBB2557_71:
	s_or_b64 exec, exec, s[36:37]
	v_add_u32_e32 v15, -1, v95
	v_and_b32_e32 v18, 64, v95
	v_cmp_lt_i32_e64 s[18:19], v15, v18
	v_cndmask_b32_e64 v15, v15, v95, s[18:19]
	v_lshlrev_b32_e32 v15, 2, v15
	ds_bpermute_b32 v99, v15, v14
	v_cmp_eq_u32_e64 s[18:19], 0, v95
	s_and_saveexec_b64 s[36:37], vcc
	s_cbranch_execz .LBB2557_90
; %bb.72:
	v_mov_b32_e32 v23, 0
	ds_read_b32 v14, v23 offset:12
	s_and_saveexec_b64 s[38:39], s[18:19]
	s_cbranch_execz .LBB2557_74
; %bb.73:
	s_add_i32 s40, s6, 64
	s_mov_b32 s41, 0
	s_lshl_b64 s[40:41], s[40:41], 3
	s_add_u32 s40, s34, s40
	v_mov_b32_e32 v15, 1
	s_addc_u32 s41, s35, s41
	s_waitcnt lgkmcnt(0)
	global_store_dwordx2 v23, v[14:15], s[40:41]
.LBB2557_74:
	s_or_b64 exec, exec, s[38:39]
	v_xad_u32 v18, v95, -1, s6
	v_add_u32_e32 v22, 64, v18
	v_lshlrev_b64 v[20:21], 3, v[22:23]
	v_mov_b32_e32 v15, s35
	v_add_co_u32_e32 v24, vcc, s34, v20
	v_addc_co_u32_e32 v25, vcc, v15, v21, vcc
	global_load_dwordx2 v[20:21], v[24:25], off glc
	s_waitcnt vmcnt(0)
	v_cmp_eq_u16_sdwa s[40:41], v21, v23 src0_sel:BYTE_0 src1_sel:DWORD
	s_and_saveexec_b64 s[38:39], s[40:41]
	s_cbranch_execz .LBB2557_78
; %bb.75:
	s_mov_b64 s[40:41], 0
	v_mov_b32_e32 v15, 0
.LBB2557_76:                            ; =>This Inner Loop Header: Depth=1
	global_load_dwordx2 v[20:21], v[24:25], off glc
	s_waitcnt vmcnt(0)
	v_cmp_ne_u16_sdwa s[42:43], v21, v15 src0_sel:BYTE_0 src1_sel:DWORD
	s_or_b64 s[40:41], s[42:43], s[40:41]
	s_andn2_b64 exec, exec, s[40:41]
	s_cbranch_execnz .LBB2557_76
; %bb.77:
	s_or_b64 exec, exec, s[40:41]
.LBB2557_78:
	s_or_b64 exec, exec, s[38:39]
	v_and_b32_e32 v101, 63, v95
	v_mov_b32_e32 v100, 2
	v_cmp_ne_u32_e32 vcc, 63, v101
	v_cmp_eq_u16_sdwa s[38:39], v21, v100 src0_sel:BYTE_0 src1_sel:DWORD
	v_lshlrev_b64 v[22:23], v95, -1
	v_addc_co_u32_e32 v24, vcc, 0, v95, vcc
	v_and_b32_e32 v15, s39, v23
	v_lshlrev_b32_e32 v102, 2, v24
	v_or_b32_e32 v15, 0x80000000, v15
	ds_bpermute_b32 v24, v102, v20
	v_and_b32_e32 v19, s38, v22
	v_ffbl_b32_e32 v15, v15
	v_add_u32_e32 v15, 32, v15
	v_ffbl_b32_e32 v19, v19
	v_min_u32_e32 v15, v19, v15
	v_cmp_lt_u32_e32 vcc, v101, v15
	s_waitcnt lgkmcnt(0)
	v_cndmask_b32_e32 v19, 0, v24, vcc
	v_cmp_gt_u32_e32 vcc, 62, v101
	v_add_u32_e32 v19, v19, v20
	v_cndmask_b32_e64 v20, 0, 1, vcc
	v_lshlrev_b32_e32 v20, 1, v20
	v_add_lshl_u32 v103, v20, v95, 2
	ds_bpermute_b32 v20, v103, v19
	v_add_u32_e32 v104, 2, v101
	v_cmp_le_u32_e32 vcc, v104, v15
	v_add_u32_e32 v106, 4, v101
	v_add_u32_e32 v108, 8, v101
	s_waitcnt lgkmcnt(0)
	v_cndmask_b32_e32 v20, 0, v20, vcc
	v_cmp_gt_u32_e32 vcc, 60, v101
	v_add_u32_e32 v19, v19, v20
	v_cndmask_b32_e64 v20, 0, 1, vcc
	v_lshlrev_b32_e32 v20, 2, v20
	v_add_lshl_u32 v105, v20, v95, 2
	ds_bpermute_b32 v20, v105, v19
	v_cmp_le_u32_e32 vcc, v106, v15
	v_add_u32_e32 v110, 16, v101
	v_add_u32_e32 v112, 32, v101
	s_waitcnt lgkmcnt(0)
	v_cndmask_b32_e32 v20, 0, v20, vcc
	v_cmp_gt_u32_e32 vcc, 56, v101
	v_add_u32_e32 v19, v19, v20
	v_cndmask_b32_e64 v20, 0, 1, vcc
	v_lshlrev_b32_e32 v20, 3, v20
	v_add_lshl_u32 v107, v20, v95, 2
	ds_bpermute_b32 v20, v107, v19
	v_cmp_le_u32_e32 vcc, v108, v15
	s_waitcnt lgkmcnt(0)
	v_cndmask_b32_e32 v20, 0, v20, vcc
	v_cmp_gt_u32_e32 vcc, 48, v101
	v_add_u32_e32 v19, v19, v20
	v_cndmask_b32_e64 v20, 0, 1, vcc
	v_lshlrev_b32_e32 v20, 4, v20
	v_add_lshl_u32 v109, v20, v95, 2
	ds_bpermute_b32 v20, v109, v19
	v_cmp_le_u32_e32 vcc, v110, v15
	s_waitcnt lgkmcnt(0)
	v_cndmask_b32_e32 v20, 0, v20, vcc
	v_cmp_gt_u32_e32 vcc, 32, v101
	v_add_u32_e32 v19, v19, v20
	v_cndmask_b32_e64 v20, 0, 1, vcc
	v_lshlrev_b32_e32 v20, 5, v20
	v_add_lshl_u32 v111, v20, v95, 2
	ds_bpermute_b32 v20, v111, v19
	v_cmp_le_u32_e32 vcc, v112, v15
	s_waitcnt lgkmcnt(0)
	v_cndmask_b32_e32 v15, 0, v20, vcc
	v_add_u32_e32 v20, v19, v15
	v_mov_b32_e32 v19, 0
	s_branch .LBB2557_80
.LBB2557_79:                            ;   in Loop: Header=BB2557_80 Depth=1
	s_or_b64 exec, exec, s[38:39]
	v_cmp_eq_u16_sdwa s[38:39], v21, v100 src0_sel:BYTE_0 src1_sel:DWORD
	v_and_b32_e32 v24, s39, v23
	v_or_b32_e32 v24, 0x80000000, v24
	ds_bpermute_b32 v113, v102, v20
	v_and_b32_e32 v25, s38, v22
	v_ffbl_b32_e32 v24, v24
	v_add_u32_e32 v24, 32, v24
	v_ffbl_b32_e32 v25, v25
	v_min_u32_e32 v24, v25, v24
	v_cmp_lt_u32_e32 vcc, v101, v24
	s_waitcnt lgkmcnt(0)
	v_cndmask_b32_e32 v25, 0, v113, vcc
	v_add_u32_e32 v20, v25, v20
	ds_bpermute_b32 v25, v103, v20
	v_cmp_le_u32_e32 vcc, v104, v24
	v_subrev_u32_e32 v18, 64, v18
	s_waitcnt lgkmcnt(0)
	v_cndmask_b32_e32 v25, 0, v25, vcc
	v_add_u32_e32 v20, v20, v25
	ds_bpermute_b32 v25, v105, v20
	v_cmp_le_u32_e32 vcc, v106, v24
	s_waitcnt lgkmcnt(0)
	v_cndmask_b32_e32 v25, 0, v25, vcc
	v_add_u32_e32 v20, v20, v25
	ds_bpermute_b32 v25, v107, v20
	v_cmp_le_u32_e32 vcc, v108, v24
	;; [unrolled: 5-line block ×4, first 2 shown]
	s_waitcnt lgkmcnt(0)
	v_cndmask_b32_e32 v24, 0, v25, vcc
	v_add3_u32 v20, v24, v15, v20
.LBB2557_80:                            ; =>This Loop Header: Depth=1
                                        ;     Child Loop BB2557_83 Depth 2
	v_cmp_ne_u16_sdwa s[38:39], v21, v100 src0_sel:BYTE_0 src1_sel:DWORD
	v_cndmask_b32_e64 v15, 0, 1, s[38:39]
	;;#ASMSTART
	;;#ASMEND
	v_cmp_ne_u32_e32 vcc, 0, v15
	s_cmp_lg_u64 vcc, exec
	v_mov_b32_e32 v15, v20
	s_cbranch_scc1 .LBB2557_85
; %bb.81:                               ;   in Loop: Header=BB2557_80 Depth=1
	v_lshlrev_b64 v[20:21], 3, v[18:19]
	v_mov_b32_e32 v25, s35
	v_add_co_u32_e32 v24, vcc, s34, v20
	v_addc_co_u32_e32 v25, vcc, v25, v21, vcc
	global_load_dwordx2 v[20:21], v[24:25], off glc
	s_waitcnt vmcnt(0)
	v_cmp_eq_u16_sdwa s[40:41], v21, v19 src0_sel:BYTE_0 src1_sel:DWORD
	s_and_saveexec_b64 s[38:39], s[40:41]
	s_cbranch_execz .LBB2557_79
; %bb.82:                               ;   in Loop: Header=BB2557_80 Depth=1
	s_mov_b64 s[40:41], 0
.LBB2557_83:                            ;   Parent Loop BB2557_80 Depth=1
                                        ; =>  This Inner Loop Header: Depth=2
	global_load_dwordx2 v[20:21], v[24:25], off glc
	s_waitcnt vmcnt(0)
	v_cmp_ne_u16_sdwa s[42:43], v21, v19 src0_sel:BYTE_0 src1_sel:DWORD
	s_or_b64 s[40:41], s[42:43], s[40:41]
	s_andn2_b64 exec, exec, s[40:41]
	s_cbranch_execnz .LBB2557_83
; %bb.84:                               ;   in Loop: Header=BB2557_80 Depth=1
	s_or_b64 exec, exec, s[40:41]
	s_branch .LBB2557_79
.LBB2557_85:                            ;   in Loop: Header=BB2557_80 Depth=1
                                        ; implicit-def: $vgpr20
                                        ; implicit-def: $vgpr21
	s_cbranch_execz .LBB2557_80
; %bb.86:
	s_and_saveexec_b64 s[38:39], s[18:19]
	s_cbranch_execz .LBB2557_88
; %bb.87:
	s_add_i32 s6, s6, 64
	s_mov_b32 s7, 0
	s_lshl_b64 s[6:7], s[6:7], 3
	s_add_u32 s6, s34, s6
	v_add_u32_e32 v18, v15, v14
	v_mov_b32_e32 v19, 2
	s_addc_u32 s7, s35, s7
	v_mov_b32_e32 v20, 0
	global_store_dwordx2 v20, v[18:19], s[6:7]
	ds_write_b64 v20, v[14:15] offset:14336
.LBB2557_88:
	s_or_b64 exec, exec, s[38:39]
	v_cmp_eq_u32_e32 vcc, 0, v0
	s_and_b64 exec, exec, vcc
	s_cbranch_execz .LBB2557_90
; %bb.89:
	v_mov_b32_e32 v14, 0
	ds_write_b32 v14, v15 offset:12
.LBB2557_90:
	s_or_b64 exec, exec, s[36:37]
	v_mov_b32_e32 v14, 0
	s_waitcnt lgkmcnt(0)
	s_barrier
	ds_read_b32 v19, v14 offset:12
	s_waitcnt lgkmcnt(0)
	s_barrier
	ds_read_b64 v[14:15], v14 offset:14336
	v_cndmask_b32_e64 v18, v99, v98, s[18:19]
	v_cmp_ne_u32_e32 vcc, 0, v0
	v_cndmask_b32_e32 v18, 0, v18, vcc
	v_add_u32_e32 v18, v19, v18
	s_load_dwordx2 s[4:5], s[4:5], 0x38
	s_branch .LBB2557_101
.LBB2557_91:
                                        ; implicit-def: $vgpr15
                                        ; implicit-def: $vgpr18
	s_load_dwordx2 s[4:5], s[4:5], 0x38
	s_cbranch_execz .LBB2557_101
; %bb.92:
	s_waitcnt lgkmcnt(0)
	v_mov_b32_dpp v14, v97 row_shr:1 row_mask:0xf bank_mask:0xf
	v_cndmask_b32_e64 v14, v14, 0, s[16:17]
	v_add_u32_e32 v14, v14, v97
	s_nop 1
	v_mov_b32_dpp v15, v14 row_shr:2 row_mask:0xf bank_mask:0xf
	v_cndmask_b32_e64 v15, 0, v15, s[14:15]
	v_add_u32_e32 v14, v14, v15
	s_nop 1
	;; [unrolled: 4-line block ×4, first 2 shown]
	v_mov_b32_dpp v15, v14 row_bcast:15 row_mask:0xf bank_mask:0xf
	v_cndmask_b32_e64 v15, v15, 0, s[8:9]
	v_add_u32_e32 v14, v14, v15
	s_nop 1
	v_mov_b32_dpp v15, v14 row_bcast:31 row_mask:0xf bank_mask:0xf
	v_cndmask_b32_e64 v15, 0, v15, s[2:3]
	v_add_u32_e32 v14, v14, v15
	s_and_saveexec_b64 s[2:3], s[20:21]
	s_cbranch_execz .LBB2557_94
; %bb.93:
	v_lshlrev_b32_e32 v15, 2, v96
	ds_write_b32 v15, v14
.LBB2557_94:
	s_or_b64 exec, exec, s[2:3]
	v_cmp_gt_u32_e32 vcc, 4, v0
	s_waitcnt lgkmcnt(0)
	s_barrier
	s_and_saveexec_b64 s[2:3], vcc
	s_cbranch_execz .LBB2557_96
; %bb.95:
	v_lshlrev_b32_e32 v15, 2, v0
	ds_read_b32 v18, v15
	v_and_b32_e32 v19, 3, v95
	v_cmp_ne_u32_e32 vcc, 0, v19
	s_waitcnt lgkmcnt(0)
	v_mov_b32_dpp v20, v18 row_shr:1 row_mask:0xf bank_mask:0xf
	v_cndmask_b32_e32 v20, 0, v20, vcc
	v_add_u32_e32 v18, v20, v18
	v_cmp_lt_u32_e32 vcc, 1, v19
	s_nop 0
	v_mov_b32_dpp v20, v18 row_shr:2 row_mask:0xf bank_mask:0xf
	v_cndmask_b32_e32 v19, 0, v20, vcc
	v_add_u32_e32 v18, v18, v19
	ds_write_b32 v15, v18
.LBB2557_96:
	s_or_b64 exec, exec, s[2:3]
	v_cmp_lt_u32_e32 vcc, 63, v0
	v_mov_b32_e32 v15, 0
	v_mov_b32_e32 v18, 0
	s_waitcnt lgkmcnt(0)
	s_barrier
	s_and_saveexec_b64 s[2:3], vcc
	s_cbranch_execz .LBB2557_98
; %bb.97:
	v_lshl_add_u32 v18, v96, 2, -4
	ds_read_b32 v18, v18
.LBB2557_98:
	s_or_b64 exec, exec, s[2:3]
	v_add_u32_e32 v19, -1, v95
	v_and_b32_e32 v20, 64, v95
	v_cmp_lt_i32_e32 vcc, v19, v20
	v_cndmask_b32_e32 v19, v19, v95, vcc
	s_waitcnt lgkmcnt(0)
	v_add_u32_e32 v14, v18, v14
	v_lshlrev_b32_e32 v19, 2, v19
	ds_bpermute_b32 v19, v19, v14
	ds_read_b32 v14, v15 offset:12
	v_cmp_eq_u32_e32 vcc, 0, v0
	s_and_saveexec_b64 s[2:3], vcc
	s_cbranch_execz .LBB2557_100
; %bb.99:
	v_mov_b32_e32 v20, 0
	v_mov_b32_e32 v15, 2
	s_waitcnt lgkmcnt(0)
	global_store_dwordx2 v20, v[14:15], s[34:35] offset:512
.LBB2557_100:
	s_or_b64 exec, exec, s[2:3]
	v_cmp_eq_u32_e64 s[2:3], 0, v95
	s_waitcnt lgkmcnt(1)
	v_cndmask_b32_e64 v18, v19, v18, s[2:3]
	v_mov_b32_e32 v15, 0
	v_cndmask_b32_e64 v18, v18, 0, vcc
	s_waitcnt lgkmcnt(0)
	s_barrier
.LBB2557_101:
	v_add_u32_e32 v19, v18, v69
	v_add_u32_e32 v20, v19, v70
	;; [unrolled: 1-line block ×19, first 2 shown]
	s_waitcnt lgkmcnt(0)
	v_add_u32_e32 v39, v14, v39
	v_sub_u32_e32 v18, v18, v15
	v_and_b32_e32 v68, 1, v68
	v_add_u32_e32 v81, v80, v88
	v_sub_u32_e32 v88, v39, v18
	v_cmp_eq_u32_e32 vcc, 1, v68
	v_cndmask_b32_e32 v18, v88, v18, vcc
	v_lshlrev_b32_e32 v18, 1, v18
	ds_write_b16 v18, v10
	v_sub_u32_e32 v10, v19, v15
	v_sub_u32_e32 v18, v39, v10
	v_and_b32_e32 v19, 1, v67
	v_add_u32_e32 v18, 1, v18
	v_cmp_eq_u32_e32 vcc, 1, v19
	v_cndmask_b32_e32 v10, v18, v10, vcc
	v_lshlrev_b32_e32 v10, 1, v10
	ds_write_b16 v10, v40
	v_sub_u32_e32 v10, v20, v15
	v_sub_u32_e32 v18, v39, v10
	v_and_b32_e32 v19, 1, v66
	v_add_u32_e32 v18, 2, v18
	;; [unrolled: 8-line block ×20, first 2 shown]
	v_cmp_eq_u32_e32 vcc, 1, v6
	v_cndmask_b32_e32 v2, v3, v2, vcc
	v_add_u32_e32 v82, v81, v89
	v_lshlrev_b32_e32 v2, 1, v2
	ds_write_b16 v2, v4
	v_sub_u32_e32 v2, v82, v15
	v_sub_u32_e32 v3, v39, v2
	v_and_b32_e32 v4, 1, v47
	v_add_u32_e32 v3, 21, v3
	v_cmp_eq_u32_e32 vcc, 1, v4
	v_cndmask_b32_e32 v2, v3, v2, vcc
	v_add_u32_e32 v83, v82, v90
	v_lshlrev_b32_e32 v2, 1, v2
	ds_write_b16 v2, v29
	v_sub_u32_e32 v2, v83, v15
	v_sub_u32_e32 v3, v39, v2
	v_and_b32_e32 v4, 1, v46
	v_add_u32_e32 v3, 22, v3
	;; [unrolled: 9-line block ×6, first 2 shown]
	v_cmp_eq_u32_e32 vcc, 1, v4
	v_cndmask_b32_e32 v2, v3, v2, vcc
	v_lshlrev_b32_e32 v2, 1, v2
	ds_write_b16 v2, v17
	v_sub_u32_sdwa v2, v41, v15 dst_sel:DWORD dst_unused:UNUSED_PAD src0_sel:BYTE_0 src1_sel:DWORD
	v_add_u32_e32 v2, v87, v2
	v_sub_u32_e32 v3, v39, v2
	v_and_b32_e32 v4, 1, v42
	v_add_u32_e32 v3, 27, v3
	v_cmp_eq_u32_e32 vcc, 1, v4
	v_cndmask_b32_e32 v2, v3, v2, vcc
	v_lshlrev_b32_e32 v2, 1, v2
	ds_write_b16 v2, v1
	v_mov_b32_e32 v1, s29
	v_add_co_u32_e32 v2, vcc, s28, v14
	s_waitcnt lgkmcnt(0)
	s_barrier
	ds_read_u16 v62, v26
	ds_read_u16 v61, v26 offset:512
	ds_read_u16 v59, v26 offset:1024
	;; [unrolled: 1-line block ×23, first 2 shown]
	v_addc_co_u32_e32 v1, vcc, 0, v1, vcc
	v_add_co_u32_e32 v2, vcc, v2, v15
	v_addc_co_u32_e32 v3, vcc, 0, v1, vcc
	v_mov_b32_e32 v1, s23
	v_sub_co_u32_e32 v64, vcc, s22, v2
	ds_read_u16 v12, v26 offset:12288
	ds_read_u16 v10, v26 offset:12800
	;; [unrolled: 1-line block ×4, first 2 shown]
	v_subb_co_u32_e32 v65, vcc, v1, v3, vcc
	v_lshlrev_b64 v[64:65], 1, v[64:65]
	v_mov_b32_e32 v1, s5
	v_add_co_u32_e32 v4, vcc, s4, v64
	v_addc_co_u32_e32 v1, vcc, v1, v65, vcc
	v_mov_b32_e32 v15, s31
	v_add_co_u32_e32 v4, vcc, s30, v4
	v_addc_co_u32_e32 v1, vcc, v1, v15, vcc
	v_or_b32_e32 v60, 0x100, v0
	v_or_b32_e32 v58, 0x200, v0
	;; [unrolled: 1-line block ×27, first 2 shown]
	s_and_b64 vcc, exec, s[0:1]
	v_cmp_ge_u32_e64 s[0:1], v0, v14
	s_cbranch_vccnz .LBB2557_131
; %bb.102:
	s_and_saveexec_b64 s[2:3], s[0:1]
	s_cbranch_execnz .LBB2557_192
; %bb.103:
	s_or_b64 exec, exec, s[2:3]
	v_cmp_ge_u32_e32 vcc, v60, v14
	s_and_saveexec_b64 s[0:1], vcc
	s_cbranch_execnz .LBB2557_193
.LBB2557_104:
	s_or_b64 exec, exec, s[0:1]
	v_cmp_ge_u32_e32 vcc, v58, v14
	s_and_saveexec_b64 s[0:1], vcc
	s_cbranch_execnz .LBB2557_194
.LBB2557_105:
	s_or_b64 exec, exec, s[0:1]
	v_cmp_ge_u32_e32 vcc, v56, v14
	s_and_saveexec_b64 s[0:1], vcc
	s_cbranch_execnz .LBB2557_195
.LBB2557_106:
	s_or_b64 exec, exec, s[0:1]
	v_cmp_ge_u32_e32 vcc, v55, v14
	s_and_saveexec_b64 s[0:1], vcc
	s_cbranch_execnz .LBB2557_196
.LBB2557_107:
	s_or_b64 exec, exec, s[0:1]
	v_cmp_ge_u32_e32 vcc, v53, v14
	s_and_saveexec_b64 s[0:1], vcc
	s_cbranch_execnz .LBB2557_197
.LBB2557_108:
	s_or_b64 exec, exec, s[0:1]
	v_cmp_ge_u32_e32 vcc, v51, v14
	s_and_saveexec_b64 s[0:1], vcc
	s_cbranch_execnz .LBB2557_198
.LBB2557_109:
	s_or_b64 exec, exec, s[0:1]
	v_cmp_ge_u32_e32 vcc, v49, v14
	s_and_saveexec_b64 s[0:1], vcc
	s_cbranch_execnz .LBB2557_199
.LBB2557_110:
	s_or_b64 exec, exec, s[0:1]
	v_cmp_ge_u32_e32 vcc, v46, v14
	s_and_saveexec_b64 s[0:1], vcc
	s_cbranch_execnz .LBB2557_200
.LBB2557_111:
	s_or_b64 exec, exec, s[0:1]
	v_cmp_ge_u32_e32 vcc, v44, v14
	s_and_saveexec_b64 s[0:1], vcc
	s_cbranch_execnz .LBB2557_201
.LBB2557_112:
	s_or_b64 exec, exec, s[0:1]
	v_cmp_ge_u32_e32 vcc, v42, v14
	s_and_saveexec_b64 s[0:1], vcc
	s_cbranch_execnz .LBB2557_202
.LBB2557_113:
	s_or_b64 exec, exec, s[0:1]
	v_cmp_ge_u32_e32 vcc, v40, v14
	s_and_saveexec_b64 s[0:1], vcc
	s_cbranch_execnz .LBB2557_203
.LBB2557_114:
	s_or_b64 exec, exec, s[0:1]
	v_cmp_ge_u32_e32 vcc, v38, v14
	s_and_saveexec_b64 s[0:1], vcc
	s_cbranch_execnz .LBB2557_204
.LBB2557_115:
	s_or_b64 exec, exec, s[0:1]
	v_cmp_ge_u32_e32 vcc, v36, v14
	s_and_saveexec_b64 s[0:1], vcc
	s_cbranch_execnz .LBB2557_205
.LBB2557_116:
	s_or_b64 exec, exec, s[0:1]
	v_cmp_ge_u32_e32 vcc, v34, v14
	s_and_saveexec_b64 s[0:1], vcc
	s_cbranch_execnz .LBB2557_206
.LBB2557_117:
	s_or_b64 exec, exec, s[0:1]
	v_cmp_ge_u32_e32 vcc, v31, v14
	s_and_saveexec_b64 s[0:1], vcc
	s_cbranch_execnz .LBB2557_207
.LBB2557_118:
	s_or_b64 exec, exec, s[0:1]
	v_cmp_ge_u32_e32 vcc, v30, v14
	s_and_saveexec_b64 s[0:1], vcc
	s_cbranch_execnz .LBB2557_208
.LBB2557_119:
	s_or_b64 exec, exec, s[0:1]
	v_cmp_ge_u32_e32 vcc, v28, v14
	s_and_saveexec_b64 s[0:1], vcc
	s_cbranch_execnz .LBB2557_209
.LBB2557_120:
	s_or_b64 exec, exec, s[0:1]
	v_cmp_ge_u32_e32 vcc, v25, v14
	s_and_saveexec_b64 s[0:1], vcc
	s_cbranch_execnz .LBB2557_210
.LBB2557_121:
	s_or_b64 exec, exec, s[0:1]
	v_cmp_ge_u32_e32 vcc, v23, v14
	s_and_saveexec_b64 s[0:1], vcc
	s_cbranch_execnz .LBB2557_211
.LBB2557_122:
	s_or_b64 exec, exec, s[0:1]
	v_cmp_ge_u32_e32 vcc, v21, v14
	s_and_saveexec_b64 s[0:1], vcc
	s_cbranch_execnz .LBB2557_212
.LBB2557_123:
	s_or_b64 exec, exec, s[0:1]
	v_cmp_ge_u32_e32 vcc, v19, v14
	s_and_saveexec_b64 s[0:1], vcc
	s_cbranch_execnz .LBB2557_213
.LBB2557_124:
	s_or_b64 exec, exec, s[0:1]
	v_cmp_ge_u32_e32 vcc, v17, v14
	s_and_saveexec_b64 s[0:1], vcc
	s_cbranch_execnz .LBB2557_214
.LBB2557_125:
	s_or_b64 exec, exec, s[0:1]
	v_cmp_ge_u32_e32 vcc, v13, v14
	s_and_saveexec_b64 s[0:1], vcc
	s_cbranch_execnz .LBB2557_215
.LBB2557_126:
	s_or_b64 exec, exec, s[0:1]
	v_cmp_ge_u32_e32 vcc, v11, v14
	s_and_saveexec_b64 s[0:1], vcc
	s_cbranch_execnz .LBB2557_216
.LBB2557_127:
	s_or_b64 exec, exec, s[0:1]
	v_cmp_ge_u32_e32 vcc, v9, v14
	s_and_saveexec_b64 s[0:1], vcc
	s_cbranch_execnz .LBB2557_217
.LBB2557_128:
	s_or_b64 exec, exec, s[0:1]
	v_cmp_ge_u32_e32 vcc, v8, v14
	s_and_saveexec_b64 s[0:1], vcc
	s_cbranch_execz .LBB2557_130
.LBB2557_129:
	v_lshlrev_b32_e32 v15, 1, v8
	v_readfirstlane_b32 s2, v4
	v_readfirstlane_b32 s3, v1
	s_waitcnt lgkmcnt(1)
	s_nop 3
	global_store_short v15, v7, s[2:3]
.LBB2557_130:
	s_or_b64 exec, exec, s[0:1]
	v_cmp_ge_u32_e64 s[0:1], v6, v14
	s_branch .LBB2557_187
.LBB2557_131:
	s_mov_b64 s[0:1], 0
	s_cbranch_execz .LBB2557_187
; %bb.132:
	v_cmp_gt_u32_e32 vcc, s33, v0
	v_cmp_ge_u32_e64 s[0:1], v0, v14
	s_and_b64 s[2:3], vcc, s[0:1]
	s_and_saveexec_b64 s[0:1], s[2:3]
	s_cbranch_execz .LBB2557_134
; %bb.133:
	v_readfirstlane_b32 s2, v4
	v_readfirstlane_b32 s3, v1
	s_waitcnt lgkmcnt(14)
	s_nop 3
	global_store_short v26, v62, s[2:3]
.LBB2557_134:
	s_or_b64 exec, exec, s[0:1]
	v_cmp_gt_u32_e32 vcc, s33, v60
	v_cmp_ge_u32_e64 s[0:1], v60, v14
	s_and_b64 s[2:3], vcc, s[0:1]
	s_and_saveexec_b64 s[0:1], s[2:3]
	s_cbranch_execz .LBB2557_136
; %bb.135:
	v_readfirstlane_b32 s2, v4
	v_readfirstlane_b32 s3, v1
	s_waitcnt lgkmcnt(14)
	s_nop 3
	global_store_short v26, v61, s[2:3] offset:512
.LBB2557_136:
	s_or_b64 exec, exec, s[0:1]
	v_cmp_gt_u32_e32 vcc, s33, v58
	v_cmp_ge_u32_e64 s[0:1], v58, v14
	s_and_b64 s[2:3], vcc, s[0:1]
	s_and_saveexec_b64 s[0:1], s[2:3]
	s_cbranch_execz .LBB2557_138
; %bb.137:
	v_readfirstlane_b32 s2, v4
	v_readfirstlane_b32 s3, v1
	s_waitcnt lgkmcnt(14)
	s_nop 3
	global_store_short v26, v59, s[2:3] offset:1024
.LBB2557_138:
	;; [unrolled: 13-line block ×7, first 2 shown]
	s_or_b64 exec, exec, s[0:1]
	v_cmp_gt_u32_e32 vcc, s33, v46
	v_cmp_ge_u32_e64 s[0:1], v46, v14
	s_and_b64 s[2:3], vcc, s[0:1]
	s_and_saveexec_b64 s[0:1], s[2:3]
	s_cbranch_execz .LBB2557_150
; %bb.149:
	v_lshlrev_b32_e32 v15, 1, v46
	v_readfirstlane_b32 s2, v4
	v_readfirstlane_b32 s3, v1
	s_waitcnt lgkmcnt(14)
	s_nop 3
	global_store_short v15, v47, s[2:3]
.LBB2557_150:
	s_or_b64 exec, exec, s[0:1]
	v_cmp_gt_u32_e32 vcc, s33, v44
	v_cmp_ge_u32_e64 s[0:1], v44, v14
	s_and_b64 s[2:3], vcc, s[0:1]
	s_and_saveexec_b64 s[0:1], s[2:3]
	s_cbranch_execz .LBB2557_152
; %bb.151:
	v_lshlrev_b32_e32 v15, 1, v44
	v_readfirstlane_b32 s2, v4
	v_readfirstlane_b32 s3, v1
	s_waitcnt lgkmcnt(14)
	s_nop 3
	global_store_short v15, v45, s[2:3]
.LBB2557_152:
	s_or_b64 exec, exec, s[0:1]
	v_cmp_gt_u32_e32 vcc, s33, v42
	v_cmp_ge_u32_e64 s[0:1], v42, v14
	s_and_b64 s[2:3], vcc, s[0:1]
	s_and_saveexec_b64 s[0:1], s[2:3]
	s_cbranch_execz .LBB2557_154
; %bb.153:
	v_lshlrev_b32_e32 v15, 1, v42
	v_readfirstlane_b32 s2, v4
	v_readfirstlane_b32 s3, v1
	s_waitcnt lgkmcnt(14)
	s_nop 3
	global_store_short v15, v43, s[2:3]
.LBB2557_154:
	s_or_b64 exec, exec, s[0:1]
	v_cmp_gt_u32_e32 vcc, s33, v40
	v_cmp_ge_u32_e64 s[0:1], v40, v14
	s_and_b64 s[2:3], vcc, s[0:1]
	s_and_saveexec_b64 s[0:1], s[2:3]
	s_cbranch_execz .LBB2557_156
; %bb.155:
	v_lshlrev_b32_e32 v15, 1, v40
	v_readfirstlane_b32 s2, v4
	v_readfirstlane_b32 s3, v1
	s_waitcnt lgkmcnt(14)
	s_nop 3
	global_store_short v15, v41, s[2:3]
.LBB2557_156:
	s_or_b64 exec, exec, s[0:1]
	v_cmp_gt_u32_e32 vcc, s33, v38
	v_cmp_ge_u32_e64 s[0:1], v38, v14
	s_and_b64 s[2:3], vcc, s[0:1]
	s_and_saveexec_b64 s[0:1], s[2:3]
	s_cbranch_execz .LBB2557_158
; %bb.157:
	v_lshlrev_b32_e32 v15, 1, v38
	v_readfirstlane_b32 s2, v4
	v_readfirstlane_b32 s3, v1
	s_waitcnt lgkmcnt(14)
	s_nop 3
	global_store_short v15, v39, s[2:3]
.LBB2557_158:
	s_or_b64 exec, exec, s[0:1]
	v_cmp_gt_u32_e32 vcc, s33, v36
	v_cmp_ge_u32_e64 s[0:1], v36, v14
	s_and_b64 s[2:3], vcc, s[0:1]
	s_and_saveexec_b64 s[0:1], s[2:3]
	s_cbranch_execz .LBB2557_160
; %bb.159:
	v_lshlrev_b32_e32 v15, 1, v36
	v_readfirstlane_b32 s2, v4
	v_readfirstlane_b32 s3, v1
	s_waitcnt lgkmcnt(14)
	s_nop 3
	global_store_short v15, v37, s[2:3]
.LBB2557_160:
	s_or_b64 exec, exec, s[0:1]
	v_cmp_gt_u32_e32 vcc, s33, v34
	v_cmp_ge_u32_e64 s[0:1], v34, v14
	s_and_b64 s[2:3], vcc, s[0:1]
	s_and_saveexec_b64 s[0:1], s[2:3]
	s_cbranch_execz .LBB2557_162
; %bb.161:
	v_lshlrev_b32_e32 v15, 1, v34
	v_readfirstlane_b32 s2, v4
	v_readfirstlane_b32 s3, v1
	s_waitcnt lgkmcnt(13)
	s_nop 3
	global_store_short v15, v35, s[2:3]
.LBB2557_162:
	s_or_b64 exec, exec, s[0:1]
	v_cmp_gt_u32_e32 vcc, s33, v31
	v_cmp_ge_u32_e64 s[0:1], v31, v14
	s_and_b64 s[2:3], vcc, s[0:1]
	s_and_saveexec_b64 s[0:1], s[2:3]
	s_cbranch_execz .LBB2557_164
; %bb.163:
	v_lshlrev_b32_e32 v15, 1, v31
	v_readfirstlane_b32 s2, v4
	v_readfirstlane_b32 s3, v1
	s_waitcnt lgkmcnt(12)
	s_nop 3
	global_store_short v15, v33, s[2:3]
.LBB2557_164:
	s_or_b64 exec, exec, s[0:1]
	v_cmp_gt_u32_e32 vcc, s33, v30
	v_cmp_ge_u32_e64 s[0:1], v30, v14
	s_and_b64 s[2:3], vcc, s[0:1]
	s_and_saveexec_b64 s[0:1], s[2:3]
	s_cbranch_execz .LBB2557_166
; %bb.165:
	v_lshlrev_b32_e32 v15, 1, v30
	v_readfirstlane_b32 s2, v4
	v_readfirstlane_b32 s3, v1
	s_waitcnt lgkmcnt(11)
	s_nop 3
	global_store_short v15, v32, s[2:3]
.LBB2557_166:
	s_or_b64 exec, exec, s[0:1]
	v_cmp_gt_u32_e32 vcc, s33, v28
	v_cmp_ge_u32_e64 s[0:1], v28, v14
	s_and_b64 s[2:3], vcc, s[0:1]
	s_and_saveexec_b64 s[0:1], s[2:3]
	s_cbranch_execz .LBB2557_168
; %bb.167:
	v_lshlrev_b32_e32 v15, 1, v28
	v_readfirstlane_b32 s2, v4
	v_readfirstlane_b32 s3, v1
	s_waitcnt lgkmcnt(10)
	s_nop 3
	global_store_short v15, v29, s[2:3]
.LBB2557_168:
	s_or_b64 exec, exec, s[0:1]
	v_cmp_gt_u32_e32 vcc, s33, v25
	v_cmp_ge_u32_e64 s[0:1], v25, v14
	s_and_b64 s[2:3], vcc, s[0:1]
	s_and_saveexec_b64 s[0:1], s[2:3]
	s_cbranch_execz .LBB2557_170
; %bb.169:
	v_lshlrev_b32_e32 v15, 1, v25
	v_readfirstlane_b32 s2, v4
	v_readfirstlane_b32 s3, v1
	s_waitcnt lgkmcnt(9)
	s_nop 3
	global_store_short v15, v27, s[2:3]
.LBB2557_170:
	s_or_b64 exec, exec, s[0:1]
	v_cmp_gt_u32_e32 vcc, s33, v23
	v_cmp_ge_u32_e64 s[0:1], v23, v14
	s_and_b64 s[2:3], vcc, s[0:1]
	s_and_saveexec_b64 s[0:1], s[2:3]
	s_cbranch_execz .LBB2557_172
; %bb.171:
	v_lshlrev_b32_e32 v15, 1, v23
	v_readfirstlane_b32 s2, v4
	v_readfirstlane_b32 s3, v1
	s_waitcnt lgkmcnt(8)
	s_nop 3
	global_store_short v15, v24, s[2:3]
.LBB2557_172:
	s_or_b64 exec, exec, s[0:1]
	v_cmp_gt_u32_e32 vcc, s33, v21
	v_cmp_ge_u32_e64 s[0:1], v21, v14
	s_and_b64 s[2:3], vcc, s[0:1]
	s_and_saveexec_b64 s[0:1], s[2:3]
	s_cbranch_execz .LBB2557_174
; %bb.173:
	v_lshlrev_b32_e32 v15, 1, v21
	v_readfirstlane_b32 s2, v4
	v_readfirstlane_b32 s3, v1
	s_waitcnt lgkmcnt(7)
	s_nop 3
	global_store_short v15, v22, s[2:3]
.LBB2557_174:
	s_or_b64 exec, exec, s[0:1]
	v_cmp_gt_u32_e32 vcc, s33, v19
	v_cmp_ge_u32_e64 s[0:1], v19, v14
	s_and_b64 s[2:3], vcc, s[0:1]
	s_and_saveexec_b64 s[0:1], s[2:3]
	s_cbranch_execz .LBB2557_176
; %bb.175:
	v_lshlrev_b32_e32 v15, 1, v19
	v_readfirstlane_b32 s2, v4
	v_readfirstlane_b32 s3, v1
	s_waitcnt lgkmcnt(6)
	s_nop 3
	global_store_short v15, v20, s[2:3]
.LBB2557_176:
	s_or_b64 exec, exec, s[0:1]
	v_cmp_gt_u32_e32 vcc, s33, v17
	v_cmp_ge_u32_e64 s[0:1], v17, v14
	s_and_b64 s[2:3], vcc, s[0:1]
	s_and_saveexec_b64 s[0:1], s[2:3]
	s_cbranch_execz .LBB2557_178
; %bb.177:
	v_lshlrev_b32_e32 v15, 1, v17
	v_readfirstlane_b32 s2, v4
	v_readfirstlane_b32 s3, v1
	s_waitcnt lgkmcnt(5)
	s_nop 3
	global_store_short v15, v18, s[2:3]
.LBB2557_178:
	s_or_b64 exec, exec, s[0:1]
	v_cmp_gt_u32_e32 vcc, s33, v13
	v_cmp_ge_u32_e64 s[0:1], v13, v14
	s_and_b64 s[2:3], vcc, s[0:1]
	s_and_saveexec_b64 s[0:1], s[2:3]
	s_cbranch_execz .LBB2557_180
; %bb.179:
	v_lshlrev_b32_e32 v13, 1, v13
	v_readfirstlane_b32 s2, v4
	v_readfirstlane_b32 s3, v1
	s_waitcnt lgkmcnt(4)
	s_nop 3
	global_store_short v13, v16, s[2:3]
.LBB2557_180:
	s_or_b64 exec, exec, s[0:1]
	v_cmp_gt_u32_e32 vcc, s33, v11
	v_cmp_ge_u32_e64 s[0:1], v11, v14
	s_and_b64 s[2:3], vcc, s[0:1]
	s_and_saveexec_b64 s[0:1], s[2:3]
	s_cbranch_execz .LBB2557_182
; %bb.181:
	v_lshlrev_b32_e32 v11, 1, v11
	v_readfirstlane_b32 s2, v4
	v_readfirstlane_b32 s3, v1
	s_waitcnt lgkmcnt(3)
	s_nop 3
	global_store_short v11, v12, s[2:3]
.LBB2557_182:
	s_or_b64 exec, exec, s[0:1]
	v_cmp_gt_u32_e32 vcc, s33, v9
	v_cmp_ge_u32_e64 s[0:1], v9, v14
	s_and_b64 s[2:3], vcc, s[0:1]
	s_and_saveexec_b64 s[0:1], s[2:3]
	s_cbranch_execz .LBB2557_184
; %bb.183:
	v_lshlrev_b32_e32 v9, 1, v9
	v_readfirstlane_b32 s2, v4
	v_readfirstlane_b32 s3, v1
	s_waitcnt lgkmcnt(2)
	s_nop 3
	global_store_short v9, v10, s[2:3]
.LBB2557_184:
	s_or_b64 exec, exec, s[0:1]
	v_cmp_gt_u32_e32 vcc, s33, v8
	v_cmp_ge_u32_e64 s[0:1], v8, v14
	s_and_b64 s[2:3], vcc, s[0:1]
	s_and_saveexec_b64 s[0:1], s[2:3]
	s_cbranch_execz .LBB2557_186
; %bb.185:
	v_lshlrev_b32_e32 v8, 1, v8
	v_readfirstlane_b32 s2, v4
	v_readfirstlane_b32 s3, v1
	s_waitcnt lgkmcnt(1)
	s_nop 3
	global_store_short v8, v7, s[2:3]
.LBB2557_186:
	s_or_b64 exec, exec, s[0:1]
	v_cmp_gt_u32_e32 vcc, s33, v6
	v_cmp_ge_u32_e64 s[0:1], v6, v14
	s_and_b64 s[0:1], vcc, s[0:1]
.LBB2557_187:
	s_and_saveexec_b64 s[2:3], s[0:1]
	s_cbranch_execz .LBB2557_189
; %bb.188:
	v_lshlrev_b32_e32 v6, 1, v6
	v_readfirstlane_b32 s0, v4
	v_readfirstlane_b32 s1, v1
	s_waitcnt lgkmcnt(0)
	s_nop 3
	global_store_short v6, v5, s[0:1]
.LBB2557_189:
	s_or_b64 exec, exec, s[2:3]
	v_cmp_eq_u32_e32 vcc, 0, v0
	s_and_b64 s[0:1], vcc, s[26:27]
	s_and_saveexec_b64 s[2:3], s[0:1]
	s_cbranch_execz .LBB2557_191
; %bb.190:
	v_mov_b32_e32 v0, 0
	global_store_dwordx2 v0, v[2:3], s[24:25]
.LBB2557_191:
	s_endpgm
.LBB2557_192:
	v_readfirstlane_b32 s0, v4
	v_readfirstlane_b32 s1, v1
	s_waitcnt lgkmcnt(14)
	s_nop 3
	global_store_short v26, v62, s[0:1]
	s_or_b64 exec, exec, s[2:3]
	v_cmp_ge_u32_e32 vcc, v60, v14
	s_and_saveexec_b64 s[0:1], vcc
	s_cbranch_execz .LBB2557_104
.LBB2557_193:
	v_readfirstlane_b32 s2, v4
	v_readfirstlane_b32 s3, v1
	s_waitcnt lgkmcnt(14)
	s_nop 3
	global_store_short v26, v61, s[2:3] offset:512
	s_or_b64 exec, exec, s[0:1]
	v_cmp_ge_u32_e32 vcc, v58, v14
	s_and_saveexec_b64 s[0:1], vcc
	s_cbranch_execz .LBB2557_105
.LBB2557_194:
	v_readfirstlane_b32 s2, v4
	v_readfirstlane_b32 s3, v1
	s_waitcnt lgkmcnt(14)
	s_nop 3
	global_store_short v26, v59, s[2:3] offset:1024
	s_or_b64 exec, exec, s[0:1]
	v_cmp_ge_u32_e32 vcc, v56, v14
	s_and_saveexec_b64 s[0:1], vcc
	s_cbranch_execz .LBB2557_106
.LBB2557_195:
	v_readfirstlane_b32 s2, v4
	v_readfirstlane_b32 s3, v1
	s_waitcnt lgkmcnt(14)
	s_nop 3
	global_store_short v26, v57, s[2:3] offset:1536
	s_or_b64 exec, exec, s[0:1]
	v_cmp_ge_u32_e32 vcc, v55, v14
	s_and_saveexec_b64 s[0:1], vcc
	s_cbranch_execz .LBB2557_107
.LBB2557_196:
	v_readfirstlane_b32 s2, v4
	v_readfirstlane_b32 s3, v1
	s_waitcnt lgkmcnt(14)
	s_nop 3
	global_store_short v26, v54, s[2:3] offset:2048
	s_or_b64 exec, exec, s[0:1]
	v_cmp_ge_u32_e32 vcc, v53, v14
	s_and_saveexec_b64 s[0:1], vcc
	s_cbranch_execz .LBB2557_108
.LBB2557_197:
	v_readfirstlane_b32 s2, v4
	v_readfirstlane_b32 s3, v1
	s_waitcnt lgkmcnt(14)
	s_nop 3
	global_store_short v26, v52, s[2:3] offset:2560
	s_or_b64 exec, exec, s[0:1]
	v_cmp_ge_u32_e32 vcc, v51, v14
	s_and_saveexec_b64 s[0:1], vcc
	s_cbranch_execz .LBB2557_109
.LBB2557_198:
	v_readfirstlane_b32 s2, v4
	v_readfirstlane_b32 s3, v1
	s_waitcnt lgkmcnt(14)
	s_nop 3
	global_store_short v26, v50, s[2:3] offset:3072
	s_or_b64 exec, exec, s[0:1]
	v_cmp_ge_u32_e32 vcc, v49, v14
	s_and_saveexec_b64 s[0:1], vcc
	s_cbranch_execz .LBB2557_110
.LBB2557_199:
	v_readfirstlane_b32 s2, v4
	v_readfirstlane_b32 s3, v1
	s_waitcnt lgkmcnt(14)
	s_nop 3
	global_store_short v26, v48, s[2:3] offset:3584
	s_or_b64 exec, exec, s[0:1]
	v_cmp_ge_u32_e32 vcc, v46, v14
	s_and_saveexec_b64 s[0:1], vcc
	s_cbranch_execz .LBB2557_111
.LBB2557_200:
	v_lshlrev_b32_e32 v15, 1, v46
	v_readfirstlane_b32 s2, v4
	v_readfirstlane_b32 s3, v1
	s_waitcnt lgkmcnt(14)
	s_nop 3
	global_store_short v15, v47, s[2:3]
	s_or_b64 exec, exec, s[0:1]
	v_cmp_ge_u32_e32 vcc, v44, v14
	s_and_saveexec_b64 s[0:1], vcc
	s_cbranch_execz .LBB2557_112
.LBB2557_201:
	v_lshlrev_b32_e32 v15, 1, v44
	v_readfirstlane_b32 s2, v4
	v_readfirstlane_b32 s3, v1
	s_waitcnt lgkmcnt(14)
	s_nop 3
	global_store_short v15, v45, s[2:3]
	s_or_b64 exec, exec, s[0:1]
	v_cmp_ge_u32_e32 vcc, v42, v14
	s_and_saveexec_b64 s[0:1], vcc
	s_cbranch_execz .LBB2557_113
.LBB2557_202:
	v_lshlrev_b32_e32 v15, 1, v42
	v_readfirstlane_b32 s2, v4
	v_readfirstlane_b32 s3, v1
	s_waitcnt lgkmcnt(14)
	s_nop 3
	global_store_short v15, v43, s[2:3]
	s_or_b64 exec, exec, s[0:1]
	v_cmp_ge_u32_e32 vcc, v40, v14
	s_and_saveexec_b64 s[0:1], vcc
	s_cbranch_execz .LBB2557_114
.LBB2557_203:
	v_lshlrev_b32_e32 v15, 1, v40
	v_readfirstlane_b32 s2, v4
	v_readfirstlane_b32 s3, v1
	s_waitcnt lgkmcnt(14)
	s_nop 3
	global_store_short v15, v41, s[2:3]
	s_or_b64 exec, exec, s[0:1]
	v_cmp_ge_u32_e32 vcc, v38, v14
	s_and_saveexec_b64 s[0:1], vcc
	s_cbranch_execz .LBB2557_115
.LBB2557_204:
	v_lshlrev_b32_e32 v15, 1, v38
	v_readfirstlane_b32 s2, v4
	v_readfirstlane_b32 s3, v1
	s_waitcnt lgkmcnt(14)
	s_nop 3
	global_store_short v15, v39, s[2:3]
	s_or_b64 exec, exec, s[0:1]
	v_cmp_ge_u32_e32 vcc, v36, v14
	s_and_saveexec_b64 s[0:1], vcc
	s_cbranch_execz .LBB2557_116
.LBB2557_205:
	v_lshlrev_b32_e32 v15, 1, v36
	v_readfirstlane_b32 s2, v4
	v_readfirstlane_b32 s3, v1
	s_waitcnt lgkmcnt(14)
	s_nop 3
	global_store_short v15, v37, s[2:3]
	s_or_b64 exec, exec, s[0:1]
	v_cmp_ge_u32_e32 vcc, v34, v14
	s_and_saveexec_b64 s[0:1], vcc
	s_cbranch_execz .LBB2557_117
.LBB2557_206:
	v_lshlrev_b32_e32 v15, 1, v34
	v_readfirstlane_b32 s2, v4
	v_readfirstlane_b32 s3, v1
	s_waitcnt lgkmcnt(13)
	s_nop 3
	global_store_short v15, v35, s[2:3]
	s_or_b64 exec, exec, s[0:1]
	v_cmp_ge_u32_e32 vcc, v31, v14
	s_and_saveexec_b64 s[0:1], vcc
	s_cbranch_execz .LBB2557_118
.LBB2557_207:
	v_lshlrev_b32_e32 v15, 1, v31
	v_readfirstlane_b32 s2, v4
	v_readfirstlane_b32 s3, v1
	s_waitcnt lgkmcnt(12)
	s_nop 3
	global_store_short v15, v33, s[2:3]
	s_or_b64 exec, exec, s[0:1]
	v_cmp_ge_u32_e32 vcc, v30, v14
	s_and_saveexec_b64 s[0:1], vcc
	s_cbranch_execz .LBB2557_119
.LBB2557_208:
	v_lshlrev_b32_e32 v15, 1, v30
	v_readfirstlane_b32 s2, v4
	v_readfirstlane_b32 s3, v1
	s_waitcnt lgkmcnt(11)
	s_nop 3
	global_store_short v15, v32, s[2:3]
	s_or_b64 exec, exec, s[0:1]
	v_cmp_ge_u32_e32 vcc, v28, v14
	s_and_saveexec_b64 s[0:1], vcc
	s_cbranch_execz .LBB2557_120
.LBB2557_209:
	v_lshlrev_b32_e32 v15, 1, v28
	v_readfirstlane_b32 s2, v4
	v_readfirstlane_b32 s3, v1
	s_waitcnt lgkmcnt(10)
	s_nop 3
	global_store_short v15, v29, s[2:3]
	s_or_b64 exec, exec, s[0:1]
	v_cmp_ge_u32_e32 vcc, v25, v14
	s_and_saveexec_b64 s[0:1], vcc
	s_cbranch_execz .LBB2557_121
.LBB2557_210:
	v_lshlrev_b32_e32 v15, 1, v25
	v_readfirstlane_b32 s2, v4
	v_readfirstlane_b32 s3, v1
	s_waitcnt lgkmcnt(9)
	s_nop 3
	global_store_short v15, v27, s[2:3]
	s_or_b64 exec, exec, s[0:1]
	v_cmp_ge_u32_e32 vcc, v23, v14
	s_and_saveexec_b64 s[0:1], vcc
	s_cbranch_execz .LBB2557_122
.LBB2557_211:
	v_lshlrev_b32_e32 v15, 1, v23
	v_readfirstlane_b32 s2, v4
	v_readfirstlane_b32 s3, v1
	s_waitcnt lgkmcnt(8)
	s_nop 3
	global_store_short v15, v24, s[2:3]
	s_or_b64 exec, exec, s[0:1]
	v_cmp_ge_u32_e32 vcc, v21, v14
	s_and_saveexec_b64 s[0:1], vcc
	s_cbranch_execz .LBB2557_123
.LBB2557_212:
	v_lshlrev_b32_e32 v15, 1, v21
	v_readfirstlane_b32 s2, v4
	v_readfirstlane_b32 s3, v1
	s_waitcnt lgkmcnt(7)
	s_nop 3
	global_store_short v15, v22, s[2:3]
	s_or_b64 exec, exec, s[0:1]
	v_cmp_ge_u32_e32 vcc, v19, v14
	s_and_saveexec_b64 s[0:1], vcc
	s_cbranch_execz .LBB2557_124
.LBB2557_213:
	v_lshlrev_b32_e32 v15, 1, v19
	v_readfirstlane_b32 s2, v4
	v_readfirstlane_b32 s3, v1
	s_waitcnt lgkmcnt(6)
	s_nop 3
	global_store_short v15, v20, s[2:3]
	s_or_b64 exec, exec, s[0:1]
	v_cmp_ge_u32_e32 vcc, v17, v14
	s_and_saveexec_b64 s[0:1], vcc
	s_cbranch_execz .LBB2557_125
.LBB2557_214:
	v_lshlrev_b32_e32 v15, 1, v17
	v_readfirstlane_b32 s2, v4
	v_readfirstlane_b32 s3, v1
	s_waitcnt lgkmcnt(5)
	s_nop 3
	global_store_short v15, v18, s[2:3]
	s_or_b64 exec, exec, s[0:1]
	v_cmp_ge_u32_e32 vcc, v13, v14
	s_and_saveexec_b64 s[0:1], vcc
	s_cbranch_execz .LBB2557_126
.LBB2557_215:
	v_lshlrev_b32_e32 v15, 1, v13
	v_readfirstlane_b32 s2, v4
	v_readfirstlane_b32 s3, v1
	s_waitcnt lgkmcnt(4)
	s_nop 3
	global_store_short v15, v16, s[2:3]
	s_or_b64 exec, exec, s[0:1]
	v_cmp_ge_u32_e32 vcc, v11, v14
	s_and_saveexec_b64 s[0:1], vcc
	s_cbranch_execz .LBB2557_127
.LBB2557_216:
	v_lshlrev_b32_e32 v15, 1, v11
	v_readfirstlane_b32 s2, v4
	v_readfirstlane_b32 s3, v1
	s_waitcnt lgkmcnt(3)
	s_nop 3
	global_store_short v15, v12, s[2:3]
	s_or_b64 exec, exec, s[0:1]
	v_cmp_ge_u32_e32 vcc, v9, v14
	s_and_saveexec_b64 s[0:1], vcc
	s_cbranch_execz .LBB2557_128
.LBB2557_217:
	v_lshlrev_b32_e32 v15, 1, v9
	v_readfirstlane_b32 s2, v4
	v_readfirstlane_b32 s3, v1
	s_waitcnt lgkmcnt(2)
	s_nop 3
	global_store_short v15, v10, s[2:3]
	s_or_b64 exec, exec, s[0:1]
	v_cmp_ge_u32_e32 vcc, v8, v14
	s_and_saveexec_b64 s[0:1], vcc
	s_cbranch_execnz .LBB2557_129
	s_branch .LBB2557_130
	.section	.rodata,"a",@progbits
	.p2align	6, 0x0
	.amdhsa_kernel _ZN7rocprim17ROCPRIM_400000_NS6detail17trampoline_kernelINS0_14default_configENS1_25partition_config_selectorILNS1_17partition_subalgoE0EtNS0_10empty_typeEbEEZZNS1_14partition_implILS5_0ELb0ES3_jN6thrust23THRUST_200600_302600_NS6detail15normal_iteratorINSA_10device_ptrItEEEEPS6_SG_NS0_5tupleIJNSA_16discard_iteratorINSA_11use_defaultEEESF_EEENSH_IJSG_SG_EEES6_PlJ7is_evenItEEEE10hipError_tPvRmT3_T4_T5_T6_T7_T9_mT8_P12ihipStream_tbDpT10_ENKUlT_T0_E_clISt17integral_constantIbLb0EES19_EEDaS14_S15_EUlS14_E_NS1_11comp_targetILNS1_3genE4ELNS1_11target_archE910ELNS1_3gpuE8ELNS1_3repE0EEENS1_30default_config_static_selectorELNS0_4arch9wavefront6targetE1EEEvT1_
		.amdhsa_group_segment_fixed_size 14344
		.amdhsa_private_segment_fixed_size 0
		.amdhsa_kernarg_size 128
		.amdhsa_user_sgpr_count 6
		.amdhsa_user_sgpr_private_segment_buffer 1
		.amdhsa_user_sgpr_dispatch_ptr 0
		.amdhsa_user_sgpr_queue_ptr 0
		.amdhsa_user_sgpr_kernarg_segment_ptr 1
		.amdhsa_user_sgpr_dispatch_id 0
		.amdhsa_user_sgpr_flat_scratch_init 0
		.amdhsa_user_sgpr_kernarg_preload_length 0
		.amdhsa_user_sgpr_kernarg_preload_offset 0
		.amdhsa_user_sgpr_private_segment_size 0
		.amdhsa_uses_dynamic_stack 0
		.amdhsa_system_sgpr_private_segment_wavefront_offset 0
		.amdhsa_system_sgpr_workgroup_id_x 1
		.amdhsa_system_sgpr_workgroup_id_y 0
		.amdhsa_system_sgpr_workgroup_id_z 0
		.amdhsa_system_sgpr_workgroup_info 0
		.amdhsa_system_vgpr_workitem_id 0
		.amdhsa_next_free_vgpr 114
		.amdhsa_next_free_sgpr 44
		.amdhsa_accum_offset 116
		.amdhsa_reserve_vcc 1
		.amdhsa_reserve_flat_scratch 0
		.amdhsa_float_round_mode_32 0
		.amdhsa_float_round_mode_16_64 0
		.amdhsa_float_denorm_mode_32 3
		.amdhsa_float_denorm_mode_16_64 3
		.amdhsa_dx10_clamp 1
		.amdhsa_ieee_mode 1
		.amdhsa_fp16_overflow 0
		.amdhsa_tg_split 0
		.amdhsa_exception_fp_ieee_invalid_op 0
		.amdhsa_exception_fp_denorm_src 0
		.amdhsa_exception_fp_ieee_div_zero 0
		.amdhsa_exception_fp_ieee_overflow 0
		.amdhsa_exception_fp_ieee_underflow 0
		.amdhsa_exception_fp_ieee_inexact 0
		.amdhsa_exception_int_div_zero 0
	.end_amdhsa_kernel
	.section	.text._ZN7rocprim17ROCPRIM_400000_NS6detail17trampoline_kernelINS0_14default_configENS1_25partition_config_selectorILNS1_17partition_subalgoE0EtNS0_10empty_typeEbEEZZNS1_14partition_implILS5_0ELb0ES3_jN6thrust23THRUST_200600_302600_NS6detail15normal_iteratorINSA_10device_ptrItEEEEPS6_SG_NS0_5tupleIJNSA_16discard_iteratorINSA_11use_defaultEEESF_EEENSH_IJSG_SG_EEES6_PlJ7is_evenItEEEE10hipError_tPvRmT3_T4_T5_T6_T7_T9_mT8_P12ihipStream_tbDpT10_ENKUlT_T0_E_clISt17integral_constantIbLb0EES19_EEDaS14_S15_EUlS14_E_NS1_11comp_targetILNS1_3genE4ELNS1_11target_archE910ELNS1_3gpuE8ELNS1_3repE0EEENS1_30default_config_static_selectorELNS0_4arch9wavefront6targetE1EEEvT1_,"axG",@progbits,_ZN7rocprim17ROCPRIM_400000_NS6detail17trampoline_kernelINS0_14default_configENS1_25partition_config_selectorILNS1_17partition_subalgoE0EtNS0_10empty_typeEbEEZZNS1_14partition_implILS5_0ELb0ES3_jN6thrust23THRUST_200600_302600_NS6detail15normal_iteratorINSA_10device_ptrItEEEEPS6_SG_NS0_5tupleIJNSA_16discard_iteratorINSA_11use_defaultEEESF_EEENSH_IJSG_SG_EEES6_PlJ7is_evenItEEEE10hipError_tPvRmT3_T4_T5_T6_T7_T9_mT8_P12ihipStream_tbDpT10_ENKUlT_T0_E_clISt17integral_constantIbLb0EES19_EEDaS14_S15_EUlS14_E_NS1_11comp_targetILNS1_3genE4ELNS1_11target_archE910ELNS1_3gpuE8ELNS1_3repE0EEENS1_30default_config_static_selectorELNS0_4arch9wavefront6targetE1EEEvT1_,comdat
.Lfunc_end2557:
	.size	_ZN7rocprim17ROCPRIM_400000_NS6detail17trampoline_kernelINS0_14default_configENS1_25partition_config_selectorILNS1_17partition_subalgoE0EtNS0_10empty_typeEbEEZZNS1_14partition_implILS5_0ELb0ES3_jN6thrust23THRUST_200600_302600_NS6detail15normal_iteratorINSA_10device_ptrItEEEEPS6_SG_NS0_5tupleIJNSA_16discard_iteratorINSA_11use_defaultEEESF_EEENSH_IJSG_SG_EEES6_PlJ7is_evenItEEEE10hipError_tPvRmT3_T4_T5_T6_T7_T9_mT8_P12ihipStream_tbDpT10_ENKUlT_T0_E_clISt17integral_constantIbLb0EES19_EEDaS14_S15_EUlS14_E_NS1_11comp_targetILNS1_3genE4ELNS1_11target_archE910ELNS1_3gpuE8ELNS1_3repE0EEENS1_30default_config_static_selectorELNS0_4arch9wavefront6targetE1EEEvT1_, .Lfunc_end2557-_ZN7rocprim17ROCPRIM_400000_NS6detail17trampoline_kernelINS0_14default_configENS1_25partition_config_selectorILNS1_17partition_subalgoE0EtNS0_10empty_typeEbEEZZNS1_14partition_implILS5_0ELb0ES3_jN6thrust23THRUST_200600_302600_NS6detail15normal_iteratorINSA_10device_ptrItEEEEPS6_SG_NS0_5tupleIJNSA_16discard_iteratorINSA_11use_defaultEEESF_EEENSH_IJSG_SG_EEES6_PlJ7is_evenItEEEE10hipError_tPvRmT3_T4_T5_T6_T7_T9_mT8_P12ihipStream_tbDpT10_ENKUlT_T0_E_clISt17integral_constantIbLb0EES19_EEDaS14_S15_EUlS14_E_NS1_11comp_targetILNS1_3genE4ELNS1_11target_archE910ELNS1_3gpuE8ELNS1_3repE0EEENS1_30default_config_static_selectorELNS0_4arch9wavefront6targetE1EEEvT1_
                                        ; -- End function
	.section	.AMDGPU.csdata,"",@progbits
; Kernel info:
; codeLenInByte = 10228
; NumSgprs: 48
; NumVgprs: 114
; NumAgprs: 0
; TotalNumVgprs: 114
; ScratchSize: 0
; MemoryBound: 0
; FloatMode: 240
; IeeeMode: 1
; LDSByteSize: 14344 bytes/workgroup (compile time only)
; SGPRBlocks: 5
; VGPRBlocks: 14
; NumSGPRsForWavesPerEU: 48
; NumVGPRsForWavesPerEU: 114
; AccumOffset: 116
; Occupancy: 4
; WaveLimiterHint : 1
; COMPUTE_PGM_RSRC2:SCRATCH_EN: 0
; COMPUTE_PGM_RSRC2:USER_SGPR: 6
; COMPUTE_PGM_RSRC2:TRAP_HANDLER: 0
; COMPUTE_PGM_RSRC2:TGID_X_EN: 1
; COMPUTE_PGM_RSRC2:TGID_Y_EN: 0
; COMPUTE_PGM_RSRC2:TGID_Z_EN: 0
; COMPUTE_PGM_RSRC2:TIDIG_COMP_CNT: 0
; COMPUTE_PGM_RSRC3_GFX90A:ACCUM_OFFSET: 28
; COMPUTE_PGM_RSRC3_GFX90A:TG_SPLIT: 0
	.section	.text._ZN7rocprim17ROCPRIM_400000_NS6detail17trampoline_kernelINS0_14default_configENS1_25partition_config_selectorILNS1_17partition_subalgoE0EtNS0_10empty_typeEbEEZZNS1_14partition_implILS5_0ELb0ES3_jN6thrust23THRUST_200600_302600_NS6detail15normal_iteratorINSA_10device_ptrItEEEEPS6_SG_NS0_5tupleIJNSA_16discard_iteratorINSA_11use_defaultEEESF_EEENSH_IJSG_SG_EEES6_PlJ7is_evenItEEEE10hipError_tPvRmT3_T4_T5_T6_T7_T9_mT8_P12ihipStream_tbDpT10_ENKUlT_T0_E_clISt17integral_constantIbLb0EES19_EEDaS14_S15_EUlS14_E_NS1_11comp_targetILNS1_3genE3ELNS1_11target_archE908ELNS1_3gpuE7ELNS1_3repE0EEENS1_30default_config_static_selectorELNS0_4arch9wavefront6targetE1EEEvT1_,"axG",@progbits,_ZN7rocprim17ROCPRIM_400000_NS6detail17trampoline_kernelINS0_14default_configENS1_25partition_config_selectorILNS1_17partition_subalgoE0EtNS0_10empty_typeEbEEZZNS1_14partition_implILS5_0ELb0ES3_jN6thrust23THRUST_200600_302600_NS6detail15normal_iteratorINSA_10device_ptrItEEEEPS6_SG_NS0_5tupleIJNSA_16discard_iteratorINSA_11use_defaultEEESF_EEENSH_IJSG_SG_EEES6_PlJ7is_evenItEEEE10hipError_tPvRmT3_T4_T5_T6_T7_T9_mT8_P12ihipStream_tbDpT10_ENKUlT_T0_E_clISt17integral_constantIbLb0EES19_EEDaS14_S15_EUlS14_E_NS1_11comp_targetILNS1_3genE3ELNS1_11target_archE908ELNS1_3gpuE7ELNS1_3repE0EEENS1_30default_config_static_selectorELNS0_4arch9wavefront6targetE1EEEvT1_,comdat
	.protected	_ZN7rocprim17ROCPRIM_400000_NS6detail17trampoline_kernelINS0_14default_configENS1_25partition_config_selectorILNS1_17partition_subalgoE0EtNS0_10empty_typeEbEEZZNS1_14partition_implILS5_0ELb0ES3_jN6thrust23THRUST_200600_302600_NS6detail15normal_iteratorINSA_10device_ptrItEEEEPS6_SG_NS0_5tupleIJNSA_16discard_iteratorINSA_11use_defaultEEESF_EEENSH_IJSG_SG_EEES6_PlJ7is_evenItEEEE10hipError_tPvRmT3_T4_T5_T6_T7_T9_mT8_P12ihipStream_tbDpT10_ENKUlT_T0_E_clISt17integral_constantIbLb0EES19_EEDaS14_S15_EUlS14_E_NS1_11comp_targetILNS1_3genE3ELNS1_11target_archE908ELNS1_3gpuE7ELNS1_3repE0EEENS1_30default_config_static_selectorELNS0_4arch9wavefront6targetE1EEEvT1_ ; -- Begin function _ZN7rocprim17ROCPRIM_400000_NS6detail17trampoline_kernelINS0_14default_configENS1_25partition_config_selectorILNS1_17partition_subalgoE0EtNS0_10empty_typeEbEEZZNS1_14partition_implILS5_0ELb0ES3_jN6thrust23THRUST_200600_302600_NS6detail15normal_iteratorINSA_10device_ptrItEEEEPS6_SG_NS0_5tupleIJNSA_16discard_iteratorINSA_11use_defaultEEESF_EEENSH_IJSG_SG_EEES6_PlJ7is_evenItEEEE10hipError_tPvRmT3_T4_T5_T6_T7_T9_mT8_P12ihipStream_tbDpT10_ENKUlT_T0_E_clISt17integral_constantIbLb0EES19_EEDaS14_S15_EUlS14_E_NS1_11comp_targetILNS1_3genE3ELNS1_11target_archE908ELNS1_3gpuE7ELNS1_3repE0EEENS1_30default_config_static_selectorELNS0_4arch9wavefront6targetE1EEEvT1_
	.globl	_ZN7rocprim17ROCPRIM_400000_NS6detail17trampoline_kernelINS0_14default_configENS1_25partition_config_selectorILNS1_17partition_subalgoE0EtNS0_10empty_typeEbEEZZNS1_14partition_implILS5_0ELb0ES3_jN6thrust23THRUST_200600_302600_NS6detail15normal_iteratorINSA_10device_ptrItEEEEPS6_SG_NS0_5tupleIJNSA_16discard_iteratorINSA_11use_defaultEEESF_EEENSH_IJSG_SG_EEES6_PlJ7is_evenItEEEE10hipError_tPvRmT3_T4_T5_T6_T7_T9_mT8_P12ihipStream_tbDpT10_ENKUlT_T0_E_clISt17integral_constantIbLb0EES19_EEDaS14_S15_EUlS14_E_NS1_11comp_targetILNS1_3genE3ELNS1_11target_archE908ELNS1_3gpuE7ELNS1_3repE0EEENS1_30default_config_static_selectorELNS0_4arch9wavefront6targetE1EEEvT1_
	.p2align	8
	.type	_ZN7rocprim17ROCPRIM_400000_NS6detail17trampoline_kernelINS0_14default_configENS1_25partition_config_selectorILNS1_17partition_subalgoE0EtNS0_10empty_typeEbEEZZNS1_14partition_implILS5_0ELb0ES3_jN6thrust23THRUST_200600_302600_NS6detail15normal_iteratorINSA_10device_ptrItEEEEPS6_SG_NS0_5tupleIJNSA_16discard_iteratorINSA_11use_defaultEEESF_EEENSH_IJSG_SG_EEES6_PlJ7is_evenItEEEE10hipError_tPvRmT3_T4_T5_T6_T7_T9_mT8_P12ihipStream_tbDpT10_ENKUlT_T0_E_clISt17integral_constantIbLb0EES19_EEDaS14_S15_EUlS14_E_NS1_11comp_targetILNS1_3genE3ELNS1_11target_archE908ELNS1_3gpuE7ELNS1_3repE0EEENS1_30default_config_static_selectorELNS0_4arch9wavefront6targetE1EEEvT1_,@function
_ZN7rocprim17ROCPRIM_400000_NS6detail17trampoline_kernelINS0_14default_configENS1_25partition_config_selectorILNS1_17partition_subalgoE0EtNS0_10empty_typeEbEEZZNS1_14partition_implILS5_0ELb0ES3_jN6thrust23THRUST_200600_302600_NS6detail15normal_iteratorINSA_10device_ptrItEEEEPS6_SG_NS0_5tupleIJNSA_16discard_iteratorINSA_11use_defaultEEESF_EEENSH_IJSG_SG_EEES6_PlJ7is_evenItEEEE10hipError_tPvRmT3_T4_T5_T6_T7_T9_mT8_P12ihipStream_tbDpT10_ENKUlT_T0_E_clISt17integral_constantIbLb0EES19_EEDaS14_S15_EUlS14_E_NS1_11comp_targetILNS1_3genE3ELNS1_11target_archE908ELNS1_3gpuE7ELNS1_3repE0EEENS1_30default_config_static_selectorELNS0_4arch9wavefront6targetE1EEEvT1_: ; @_ZN7rocprim17ROCPRIM_400000_NS6detail17trampoline_kernelINS0_14default_configENS1_25partition_config_selectorILNS1_17partition_subalgoE0EtNS0_10empty_typeEbEEZZNS1_14partition_implILS5_0ELb0ES3_jN6thrust23THRUST_200600_302600_NS6detail15normal_iteratorINSA_10device_ptrItEEEEPS6_SG_NS0_5tupleIJNSA_16discard_iteratorINSA_11use_defaultEEESF_EEENSH_IJSG_SG_EEES6_PlJ7is_evenItEEEE10hipError_tPvRmT3_T4_T5_T6_T7_T9_mT8_P12ihipStream_tbDpT10_ENKUlT_T0_E_clISt17integral_constantIbLb0EES19_EEDaS14_S15_EUlS14_E_NS1_11comp_targetILNS1_3genE3ELNS1_11target_archE908ELNS1_3gpuE7ELNS1_3repE0EEENS1_30default_config_static_selectorELNS0_4arch9wavefront6targetE1EEEvT1_
; %bb.0:
	.section	.rodata,"a",@progbits
	.p2align	6, 0x0
	.amdhsa_kernel _ZN7rocprim17ROCPRIM_400000_NS6detail17trampoline_kernelINS0_14default_configENS1_25partition_config_selectorILNS1_17partition_subalgoE0EtNS0_10empty_typeEbEEZZNS1_14partition_implILS5_0ELb0ES3_jN6thrust23THRUST_200600_302600_NS6detail15normal_iteratorINSA_10device_ptrItEEEEPS6_SG_NS0_5tupleIJNSA_16discard_iteratorINSA_11use_defaultEEESF_EEENSH_IJSG_SG_EEES6_PlJ7is_evenItEEEE10hipError_tPvRmT3_T4_T5_T6_T7_T9_mT8_P12ihipStream_tbDpT10_ENKUlT_T0_E_clISt17integral_constantIbLb0EES19_EEDaS14_S15_EUlS14_E_NS1_11comp_targetILNS1_3genE3ELNS1_11target_archE908ELNS1_3gpuE7ELNS1_3repE0EEENS1_30default_config_static_selectorELNS0_4arch9wavefront6targetE1EEEvT1_
		.amdhsa_group_segment_fixed_size 0
		.amdhsa_private_segment_fixed_size 0
		.amdhsa_kernarg_size 128
		.amdhsa_user_sgpr_count 6
		.amdhsa_user_sgpr_private_segment_buffer 1
		.amdhsa_user_sgpr_dispatch_ptr 0
		.amdhsa_user_sgpr_queue_ptr 0
		.amdhsa_user_sgpr_kernarg_segment_ptr 1
		.amdhsa_user_sgpr_dispatch_id 0
		.amdhsa_user_sgpr_flat_scratch_init 0
		.amdhsa_user_sgpr_kernarg_preload_length 0
		.amdhsa_user_sgpr_kernarg_preload_offset 0
		.amdhsa_user_sgpr_private_segment_size 0
		.amdhsa_uses_dynamic_stack 0
		.amdhsa_system_sgpr_private_segment_wavefront_offset 0
		.amdhsa_system_sgpr_workgroup_id_x 1
		.amdhsa_system_sgpr_workgroup_id_y 0
		.amdhsa_system_sgpr_workgroup_id_z 0
		.amdhsa_system_sgpr_workgroup_info 0
		.amdhsa_system_vgpr_workitem_id 0
		.amdhsa_next_free_vgpr 1
		.amdhsa_next_free_sgpr 0
		.amdhsa_accum_offset 4
		.amdhsa_reserve_vcc 0
		.amdhsa_reserve_flat_scratch 0
		.amdhsa_float_round_mode_32 0
		.amdhsa_float_round_mode_16_64 0
		.amdhsa_float_denorm_mode_32 3
		.amdhsa_float_denorm_mode_16_64 3
		.amdhsa_dx10_clamp 1
		.amdhsa_ieee_mode 1
		.amdhsa_fp16_overflow 0
		.amdhsa_tg_split 0
		.amdhsa_exception_fp_ieee_invalid_op 0
		.amdhsa_exception_fp_denorm_src 0
		.amdhsa_exception_fp_ieee_div_zero 0
		.amdhsa_exception_fp_ieee_overflow 0
		.amdhsa_exception_fp_ieee_underflow 0
		.amdhsa_exception_fp_ieee_inexact 0
		.amdhsa_exception_int_div_zero 0
	.end_amdhsa_kernel
	.section	.text._ZN7rocprim17ROCPRIM_400000_NS6detail17trampoline_kernelINS0_14default_configENS1_25partition_config_selectorILNS1_17partition_subalgoE0EtNS0_10empty_typeEbEEZZNS1_14partition_implILS5_0ELb0ES3_jN6thrust23THRUST_200600_302600_NS6detail15normal_iteratorINSA_10device_ptrItEEEEPS6_SG_NS0_5tupleIJNSA_16discard_iteratorINSA_11use_defaultEEESF_EEENSH_IJSG_SG_EEES6_PlJ7is_evenItEEEE10hipError_tPvRmT3_T4_T5_T6_T7_T9_mT8_P12ihipStream_tbDpT10_ENKUlT_T0_E_clISt17integral_constantIbLb0EES19_EEDaS14_S15_EUlS14_E_NS1_11comp_targetILNS1_3genE3ELNS1_11target_archE908ELNS1_3gpuE7ELNS1_3repE0EEENS1_30default_config_static_selectorELNS0_4arch9wavefront6targetE1EEEvT1_,"axG",@progbits,_ZN7rocprim17ROCPRIM_400000_NS6detail17trampoline_kernelINS0_14default_configENS1_25partition_config_selectorILNS1_17partition_subalgoE0EtNS0_10empty_typeEbEEZZNS1_14partition_implILS5_0ELb0ES3_jN6thrust23THRUST_200600_302600_NS6detail15normal_iteratorINSA_10device_ptrItEEEEPS6_SG_NS0_5tupleIJNSA_16discard_iteratorINSA_11use_defaultEEESF_EEENSH_IJSG_SG_EEES6_PlJ7is_evenItEEEE10hipError_tPvRmT3_T4_T5_T6_T7_T9_mT8_P12ihipStream_tbDpT10_ENKUlT_T0_E_clISt17integral_constantIbLb0EES19_EEDaS14_S15_EUlS14_E_NS1_11comp_targetILNS1_3genE3ELNS1_11target_archE908ELNS1_3gpuE7ELNS1_3repE0EEENS1_30default_config_static_selectorELNS0_4arch9wavefront6targetE1EEEvT1_,comdat
.Lfunc_end2558:
	.size	_ZN7rocprim17ROCPRIM_400000_NS6detail17trampoline_kernelINS0_14default_configENS1_25partition_config_selectorILNS1_17partition_subalgoE0EtNS0_10empty_typeEbEEZZNS1_14partition_implILS5_0ELb0ES3_jN6thrust23THRUST_200600_302600_NS6detail15normal_iteratorINSA_10device_ptrItEEEEPS6_SG_NS0_5tupleIJNSA_16discard_iteratorINSA_11use_defaultEEESF_EEENSH_IJSG_SG_EEES6_PlJ7is_evenItEEEE10hipError_tPvRmT3_T4_T5_T6_T7_T9_mT8_P12ihipStream_tbDpT10_ENKUlT_T0_E_clISt17integral_constantIbLb0EES19_EEDaS14_S15_EUlS14_E_NS1_11comp_targetILNS1_3genE3ELNS1_11target_archE908ELNS1_3gpuE7ELNS1_3repE0EEENS1_30default_config_static_selectorELNS0_4arch9wavefront6targetE1EEEvT1_, .Lfunc_end2558-_ZN7rocprim17ROCPRIM_400000_NS6detail17trampoline_kernelINS0_14default_configENS1_25partition_config_selectorILNS1_17partition_subalgoE0EtNS0_10empty_typeEbEEZZNS1_14partition_implILS5_0ELb0ES3_jN6thrust23THRUST_200600_302600_NS6detail15normal_iteratorINSA_10device_ptrItEEEEPS6_SG_NS0_5tupleIJNSA_16discard_iteratorINSA_11use_defaultEEESF_EEENSH_IJSG_SG_EEES6_PlJ7is_evenItEEEE10hipError_tPvRmT3_T4_T5_T6_T7_T9_mT8_P12ihipStream_tbDpT10_ENKUlT_T0_E_clISt17integral_constantIbLb0EES19_EEDaS14_S15_EUlS14_E_NS1_11comp_targetILNS1_3genE3ELNS1_11target_archE908ELNS1_3gpuE7ELNS1_3repE0EEENS1_30default_config_static_selectorELNS0_4arch9wavefront6targetE1EEEvT1_
                                        ; -- End function
	.section	.AMDGPU.csdata,"",@progbits
; Kernel info:
; codeLenInByte = 0
; NumSgprs: 4
; NumVgprs: 0
; NumAgprs: 0
; TotalNumVgprs: 0
; ScratchSize: 0
; MemoryBound: 0
; FloatMode: 240
; IeeeMode: 1
; LDSByteSize: 0 bytes/workgroup (compile time only)
; SGPRBlocks: 0
; VGPRBlocks: 0
; NumSGPRsForWavesPerEU: 4
; NumVGPRsForWavesPerEU: 1
; AccumOffset: 4
; Occupancy: 8
; WaveLimiterHint : 0
; COMPUTE_PGM_RSRC2:SCRATCH_EN: 0
; COMPUTE_PGM_RSRC2:USER_SGPR: 6
; COMPUTE_PGM_RSRC2:TRAP_HANDLER: 0
; COMPUTE_PGM_RSRC2:TGID_X_EN: 1
; COMPUTE_PGM_RSRC2:TGID_Y_EN: 0
; COMPUTE_PGM_RSRC2:TGID_Z_EN: 0
; COMPUTE_PGM_RSRC2:TIDIG_COMP_CNT: 0
; COMPUTE_PGM_RSRC3_GFX90A:ACCUM_OFFSET: 0
; COMPUTE_PGM_RSRC3_GFX90A:TG_SPLIT: 0
	.section	.text._ZN7rocprim17ROCPRIM_400000_NS6detail17trampoline_kernelINS0_14default_configENS1_25partition_config_selectorILNS1_17partition_subalgoE0EtNS0_10empty_typeEbEEZZNS1_14partition_implILS5_0ELb0ES3_jN6thrust23THRUST_200600_302600_NS6detail15normal_iteratorINSA_10device_ptrItEEEEPS6_SG_NS0_5tupleIJNSA_16discard_iteratorINSA_11use_defaultEEESF_EEENSH_IJSG_SG_EEES6_PlJ7is_evenItEEEE10hipError_tPvRmT3_T4_T5_T6_T7_T9_mT8_P12ihipStream_tbDpT10_ENKUlT_T0_E_clISt17integral_constantIbLb0EES19_EEDaS14_S15_EUlS14_E_NS1_11comp_targetILNS1_3genE2ELNS1_11target_archE906ELNS1_3gpuE6ELNS1_3repE0EEENS1_30default_config_static_selectorELNS0_4arch9wavefront6targetE1EEEvT1_,"axG",@progbits,_ZN7rocprim17ROCPRIM_400000_NS6detail17trampoline_kernelINS0_14default_configENS1_25partition_config_selectorILNS1_17partition_subalgoE0EtNS0_10empty_typeEbEEZZNS1_14partition_implILS5_0ELb0ES3_jN6thrust23THRUST_200600_302600_NS6detail15normal_iteratorINSA_10device_ptrItEEEEPS6_SG_NS0_5tupleIJNSA_16discard_iteratorINSA_11use_defaultEEESF_EEENSH_IJSG_SG_EEES6_PlJ7is_evenItEEEE10hipError_tPvRmT3_T4_T5_T6_T7_T9_mT8_P12ihipStream_tbDpT10_ENKUlT_T0_E_clISt17integral_constantIbLb0EES19_EEDaS14_S15_EUlS14_E_NS1_11comp_targetILNS1_3genE2ELNS1_11target_archE906ELNS1_3gpuE6ELNS1_3repE0EEENS1_30default_config_static_selectorELNS0_4arch9wavefront6targetE1EEEvT1_,comdat
	.protected	_ZN7rocprim17ROCPRIM_400000_NS6detail17trampoline_kernelINS0_14default_configENS1_25partition_config_selectorILNS1_17partition_subalgoE0EtNS0_10empty_typeEbEEZZNS1_14partition_implILS5_0ELb0ES3_jN6thrust23THRUST_200600_302600_NS6detail15normal_iteratorINSA_10device_ptrItEEEEPS6_SG_NS0_5tupleIJNSA_16discard_iteratorINSA_11use_defaultEEESF_EEENSH_IJSG_SG_EEES6_PlJ7is_evenItEEEE10hipError_tPvRmT3_T4_T5_T6_T7_T9_mT8_P12ihipStream_tbDpT10_ENKUlT_T0_E_clISt17integral_constantIbLb0EES19_EEDaS14_S15_EUlS14_E_NS1_11comp_targetILNS1_3genE2ELNS1_11target_archE906ELNS1_3gpuE6ELNS1_3repE0EEENS1_30default_config_static_selectorELNS0_4arch9wavefront6targetE1EEEvT1_ ; -- Begin function _ZN7rocprim17ROCPRIM_400000_NS6detail17trampoline_kernelINS0_14default_configENS1_25partition_config_selectorILNS1_17partition_subalgoE0EtNS0_10empty_typeEbEEZZNS1_14partition_implILS5_0ELb0ES3_jN6thrust23THRUST_200600_302600_NS6detail15normal_iteratorINSA_10device_ptrItEEEEPS6_SG_NS0_5tupleIJNSA_16discard_iteratorINSA_11use_defaultEEESF_EEENSH_IJSG_SG_EEES6_PlJ7is_evenItEEEE10hipError_tPvRmT3_T4_T5_T6_T7_T9_mT8_P12ihipStream_tbDpT10_ENKUlT_T0_E_clISt17integral_constantIbLb0EES19_EEDaS14_S15_EUlS14_E_NS1_11comp_targetILNS1_3genE2ELNS1_11target_archE906ELNS1_3gpuE6ELNS1_3repE0EEENS1_30default_config_static_selectorELNS0_4arch9wavefront6targetE1EEEvT1_
	.globl	_ZN7rocprim17ROCPRIM_400000_NS6detail17trampoline_kernelINS0_14default_configENS1_25partition_config_selectorILNS1_17partition_subalgoE0EtNS0_10empty_typeEbEEZZNS1_14partition_implILS5_0ELb0ES3_jN6thrust23THRUST_200600_302600_NS6detail15normal_iteratorINSA_10device_ptrItEEEEPS6_SG_NS0_5tupleIJNSA_16discard_iteratorINSA_11use_defaultEEESF_EEENSH_IJSG_SG_EEES6_PlJ7is_evenItEEEE10hipError_tPvRmT3_T4_T5_T6_T7_T9_mT8_P12ihipStream_tbDpT10_ENKUlT_T0_E_clISt17integral_constantIbLb0EES19_EEDaS14_S15_EUlS14_E_NS1_11comp_targetILNS1_3genE2ELNS1_11target_archE906ELNS1_3gpuE6ELNS1_3repE0EEENS1_30default_config_static_selectorELNS0_4arch9wavefront6targetE1EEEvT1_
	.p2align	8
	.type	_ZN7rocprim17ROCPRIM_400000_NS6detail17trampoline_kernelINS0_14default_configENS1_25partition_config_selectorILNS1_17partition_subalgoE0EtNS0_10empty_typeEbEEZZNS1_14partition_implILS5_0ELb0ES3_jN6thrust23THRUST_200600_302600_NS6detail15normal_iteratorINSA_10device_ptrItEEEEPS6_SG_NS0_5tupleIJNSA_16discard_iteratorINSA_11use_defaultEEESF_EEENSH_IJSG_SG_EEES6_PlJ7is_evenItEEEE10hipError_tPvRmT3_T4_T5_T6_T7_T9_mT8_P12ihipStream_tbDpT10_ENKUlT_T0_E_clISt17integral_constantIbLb0EES19_EEDaS14_S15_EUlS14_E_NS1_11comp_targetILNS1_3genE2ELNS1_11target_archE906ELNS1_3gpuE6ELNS1_3repE0EEENS1_30default_config_static_selectorELNS0_4arch9wavefront6targetE1EEEvT1_,@function
_ZN7rocprim17ROCPRIM_400000_NS6detail17trampoline_kernelINS0_14default_configENS1_25partition_config_selectorILNS1_17partition_subalgoE0EtNS0_10empty_typeEbEEZZNS1_14partition_implILS5_0ELb0ES3_jN6thrust23THRUST_200600_302600_NS6detail15normal_iteratorINSA_10device_ptrItEEEEPS6_SG_NS0_5tupleIJNSA_16discard_iteratorINSA_11use_defaultEEESF_EEENSH_IJSG_SG_EEES6_PlJ7is_evenItEEEE10hipError_tPvRmT3_T4_T5_T6_T7_T9_mT8_P12ihipStream_tbDpT10_ENKUlT_T0_E_clISt17integral_constantIbLb0EES19_EEDaS14_S15_EUlS14_E_NS1_11comp_targetILNS1_3genE2ELNS1_11target_archE906ELNS1_3gpuE6ELNS1_3repE0EEENS1_30default_config_static_selectorELNS0_4arch9wavefront6targetE1EEEvT1_: ; @_ZN7rocprim17ROCPRIM_400000_NS6detail17trampoline_kernelINS0_14default_configENS1_25partition_config_selectorILNS1_17partition_subalgoE0EtNS0_10empty_typeEbEEZZNS1_14partition_implILS5_0ELb0ES3_jN6thrust23THRUST_200600_302600_NS6detail15normal_iteratorINSA_10device_ptrItEEEEPS6_SG_NS0_5tupleIJNSA_16discard_iteratorINSA_11use_defaultEEESF_EEENSH_IJSG_SG_EEES6_PlJ7is_evenItEEEE10hipError_tPvRmT3_T4_T5_T6_T7_T9_mT8_P12ihipStream_tbDpT10_ENKUlT_T0_E_clISt17integral_constantIbLb0EES19_EEDaS14_S15_EUlS14_E_NS1_11comp_targetILNS1_3genE2ELNS1_11target_archE906ELNS1_3gpuE6ELNS1_3repE0EEENS1_30default_config_static_selectorELNS0_4arch9wavefront6targetE1EEEvT1_
; %bb.0:
	.section	.rodata,"a",@progbits
	.p2align	6, 0x0
	.amdhsa_kernel _ZN7rocprim17ROCPRIM_400000_NS6detail17trampoline_kernelINS0_14default_configENS1_25partition_config_selectorILNS1_17partition_subalgoE0EtNS0_10empty_typeEbEEZZNS1_14partition_implILS5_0ELb0ES3_jN6thrust23THRUST_200600_302600_NS6detail15normal_iteratorINSA_10device_ptrItEEEEPS6_SG_NS0_5tupleIJNSA_16discard_iteratorINSA_11use_defaultEEESF_EEENSH_IJSG_SG_EEES6_PlJ7is_evenItEEEE10hipError_tPvRmT3_T4_T5_T6_T7_T9_mT8_P12ihipStream_tbDpT10_ENKUlT_T0_E_clISt17integral_constantIbLb0EES19_EEDaS14_S15_EUlS14_E_NS1_11comp_targetILNS1_3genE2ELNS1_11target_archE906ELNS1_3gpuE6ELNS1_3repE0EEENS1_30default_config_static_selectorELNS0_4arch9wavefront6targetE1EEEvT1_
		.amdhsa_group_segment_fixed_size 0
		.amdhsa_private_segment_fixed_size 0
		.amdhsa_kernarg_size 128
		.amdhsa_user_sgpr_count 6
		.amdhsa_user_sgpr_private_segment_buffer 1
		.amdhsa_user_sgpr_dispatch_ptr 0
		.amdhsa_user_sgpr_queue_ptr 0
		.amdhsa_user_sgpr_kernarg_segment_ptr 1
		.amdhsa_user_sgpr_dispatch_id 0
		.amdhsa_user_sgpr_flat_scratch_init 0
		.amdhsa_user_sgpr_kernarg_preload_length 0
		.amdhsa_user_sgpr_kernarg_preload_offset 0
		.amdhsa_user_sgpr_private_segment_size 0
		.amdhsa_uses_dynamic_stack 0
		.amdhsa_system_sgpr_private_segment_wavefront_offset 0
		.amdhsa_system_sgpr_workgroup_id_x 1
		.amdhsa_system_sgpr_workgroup_id_y 0
		.amdhsa_system_sgpr_workgroup_id_z 0
		.amdhsa_system_sgpr_workgroup_info 0
		.amdhsa_system_vgpr_workitem_id 0
		.amdhsa_next_free_vgpr 1
		.amdhsa_next_free_sgpr 0
		.amdhsa_accum_offset 4
		.amdhsa_reserve_vcc 0
		.amdhsa_reserve_flat_scratch 0
		.amdhsa_float_round_mode_32 0
		.amdhsa_float_round_mode_16_64 0
		.amdhsa_float_denorm_mode_32 3
		.amdhsa_float_denorm_mode_16_64 3
		.amdhsa_dx10_clamp 1
		.amdhsa_ieee_mode 1
		.amdhsa_fp16_overflow 0
		.amdhsa_tg_split 0
		.amdhsa_exception_fp_ieee_invalid_op 0
		.amdhsa_exception_fp_denorm_src 0
		.amdhsa_exception_fp_ieee_div_zero 0
		.amdhsa_exception_fp_ieee_overflow 0
		.amdhsa_exception_fp_ieee_underflow 0
		.amdhsa_exception_fp_ieee_inexact 0
		.amdhsa_exception_int_div_zero 0
	.end_amdhsa_kernel
	.section	.text._ZN7rocprim17ROCPRIM_400000_NS6detail17trampoline_kernelINS0_14default_configENS1_25partition_config_selectorILNS1_17partition_subalgoE0EtNS0_10empty_typeEbEEZZNS1_14partition_implILS5_0ELb0ES3_jN6thrust23THRUST_200600_302600_NS6detail15normal_iteratorINSA_10device_ptrItEEEEPS6_SG_NS0_5tupleIJNSA_16discard_iteratorINSA_11use_defaultEEESF_EEENSH_IJSG_SG_EEES6_PlJ7is_evenItEEEE10hipError_tPvRmT3_T4_T5_T6_T7_T9_mT8_P12ihipStream_tbDpT10_ENKUlT_T0_E_clISt17integral_constantIbLb0EES19_EEDaS14_S15_EUlS14_E_NS1_11comp_targetILNS1_3genE2ELNS1_11target_archE906ELNS1_3gpuE6ELNS1_3repE0EEENS1_30default_config_static_selectorELNS0_4arch9wavefront6targetE1EEEvT1_,"axG",@progbits,_ZN7rocprim17ROCPRIM_400000_NS6detail17trampoline_kernelINS0_14default_configENS1_25partition_config_selectorILNS1_17partition_subalgoE0EtNS0_10empty_typeEbEEZZNS1_14partition_implILS5_0ELb0ES3_jN6thrust23THRUST_200600_302600_NS6detail15normal_iteratorINSA_10device_ptrItEEEEPS6_SG_NS0_5tupleIJNSA_16discard_iteratorINSA_11use_defaultEEESF_EEENSH_IJSG_SG_EEES6_PlJ7is_evenItEEEE10hipError_tPvRmT3_T4_T5_T6_T7_T9_mT8_P12ihipStream_tbDpT10_ENKUlT_T0_E_clISt17integral_constantIbLb0EES19_EEDaS14_S15_EUlS14_E_NS1_11comp_targetILNS1_3genE2ELNS1_11target_archE906ELNS1_3gpuE6ELNS1_3repE0EEENS1_30default_config_static_selectorELNS0_4arch9wavefront6targetE1EEEvT1_,comdat
.Lfunc_end2559:
	.size	_ZN7rocprim17ROCPRIM_400000_NS6detail17trampoline_kernelINS0_14default_configENS1_25partition_config_selectorILNS1_17partition_subalgoE0EtNS0_10empty_typeEbEEZZNS1_14partition_implILS5_0ELb0ES3_jN6thrust23THRUST_200600_302600_NS6detail15normal_iteratorINSA_10device_ptrItEEEEPS6_SG_NS0_5tupleIJNSA_16discard_iteratorINSA_11use_defaultEEESF_EEENSH_IJSG_SG_EEES6_PlJ7is_evenItEEEE10hipError_tPvRmT3_T4_T5_T6_T7_T9_mT8_P12ihipStream_tbDpT10_ENKUlT_T0_E_clISt17integral_constantIbLb0EES19_EEDaS14_S15_EUlS14_E_NS1_11comp_targetILNS1_3genE2ELNS1_11target_archE906ELNS1_3gpuE6ELNS1_3repE0EEENS1_30default_config_static_selectorELNS0_4arch9wavefront6targetE1EEEvT1_, .Lfunc_end2559-_ZN7rocprim17ROCPRIM_400000_NS6detail17trampoline_kernelINS0_14default_configENS1_25partition_config_selectorILNS1_17partition_subalgoE0EtNS0_10empty_typeEbEEZZNS1_14partition_implILS5_0ELb0ES3_jN6thrust23THRUST_200600_302600_NS6detail15normal_iteratorINSA_10device_ptrItEEEEPS6_SG_NS0_5tupleIJNSA_16discard_iteratorINSA_11use_defaultEEESF_EEENSH_IJSG_SG_EEES6_PlJ7is_evenItEEEE10hipError_tPvRmT3_T4_T5_T6_T7_T9_mT8_P12ihipStream_tbDpT10_ENKUlT_T0_E_clISt17integral_constantIbLb0EES19_EEDaS14_S15_EUlS14_E_NS1_11comp_targetILNS1_3genE2ELNS1_11target_archE906ELNS1_3gpuE6ELNS1_3repE0EEENS1_30default_config_static_selectorELNS0_4arch9wavefront6targetE1EEEvT1_
                                        ; -- End function
	.section	.AMDGPU.csdata,"",@progbits
; Kernel info:
; codeLenInByte = 0
; NumSgprs: 4
; NumVgprs: 0
; NumAgprs: 0
; TotalNumVgprs: 0
; ScratchSize: 0
; MemoryBound: 0
; FloatMode: 240
; IeeeMode: 1
; LDSByteSize: 0 bytes/workgroup (compile time only)
; SGPRBlocks: 0
; VGPRBlocks: 0
; NumSGPRsForWavesPerEU: 4
; NumVGPRsForWavesPerEU: 1
; AccumOffset: 4
; Occupancy: 8
; WaveLimiterHint : 0
; COMPUTE_PGM_RSRC2:SCRATCH_EN: 0
; COMPUTE_PGM_RSRC2:USER_SGPR: 6
; COMPUTE_PGM_RSRC2:TRAP_HANDLER: 0
; COMPUTE_PGM_RSRC2:TGID_X_EN: 1
; COMPUTE_PGM_RSRC2:TGID_Y_EN: 0
; COMPUTE_PGM_RSRC2:TGID_Z_EN: 0
; COMPUTE_PGM_RSRC2:TIDIG_COMP_CNT: 0
; COMPUTE_PGM_RSRC3_GFX90A:ACCUM_OFFSET: 0
; COMPUTE_PGM_RSRC3_GFX90A:TG_SPLIT: 0
	.section	.text._ZN7rocprim17ROCPRIM_400000_NS6detail17trampoline_kernelINS0_14default_configENS1_25partition_config_selectorILNS1_17partition_subalgoE0EtNS0_10empty_typeEbEEZZNS1_14partition_implILS5_0ELb0ES3_jN6thrust23THRUST_200600_302600_NS6detail15normal_iteratorINSA_10device_ptrItEEEEPS6_SG_NS0_5tupleIJNSA_16discard_iteratorINSA_11use_defaultEEESF_EEENSH_IJSG_SG_EEES6_PlJ7is_evenItEEEE10hipError_tPvRmT3_T4_T5_T6_T7_T9_mT8_P12ihipStream_tbDpT10_ENKUlT_T0_E_clISt17integral_constantIbLb0EES19_EEDaS14_S15_EUlS14_E_NS1_11comp_targetILNS1_3genE10ELNS1_11target_archE1200ELNS1_3gpuE4ELNS1_3repE0EEENS1_30default_config_static_selectorELNS0_4arch9wavefront6targetE1EEEvT1_,"axG",@progbits,_ZN7rocprim17ROCPRIM_400000_NS6detail17trampoline_kernelINS0_14default_configENS1_25partition_config_selectorILNS1_17partition_subalgoE0EtNS0_10empty_typeEbEEZZNS1_14partition_implILS5_0ELb0ES3_jN6thrust23THRUST_200600_302600_NS6detail15normal_iteratorINSA_10device_ptrItEEEEPS6_SG_NS0_5tupleIJNSA_16discard_iteratorINSA_11use_defaultEEESF_EEENSH_IJSG_SG_EEES6_PlJ7is_evenItEEEE10hipError_tPvRmT3_T4_T5_T6_T7_T9_mT8_P12ihipStream_tbDpT10_ENKUlT_T0_E_clISt17integral_constantIbLb0EES19_EEDaS14_S15_EUlS14_E_NS1_11comp_targetILNS1_3genE10ELNS1_11target_archE1200ELNS1_3gpuE4ELNS1_3repE0EEENS1_30default_config_static_selectorELNS0_4arch9wavefront6targetE1EEEvT1_,comdat
	.protected	_ZN7rocprim17ROCPRIM_400000_NS6detail17trampoline_kernelINS0_14default_configENS1_25partition_config_selectorILNS1_17partition_subalgoE0EtNS0_10empty_typeEbEEZZNS1_14partition_implILS5_0ELb0ES3_jN6thrust23THRUST_200600_302600_NS6detail15normal_iteratorINSA_10device_ptrItEEEEPS6_SG_NS0_5tupleIJNSA_16discard_iteratorINSA_11use_defaultEEESF_EEENSH_IJSG_SG_EEES6_PlJ7is_evenItEEEE10hipError_tPvRmT3_T4_T5_T6_T7_T9_mT8_P12ihipStream_tbDpT10_ENKUlT_T0_E_clISt17integral_constantIbLb0EES19_EEDaS14_S15_EUlS14_E_NS1_11comp_targetILNS1_3genE10ELNS1_11target_archE1200ELNS1_3gpuE4ELNS1_3repE0EEENS1_30default_config_static_selectorELNS0_4arch9wavefront6targetE1EEEvT1_ ; -- Begin function _ZN7rocprim17ROCPRIM_400000_NS6detail17trampoline_kernelINS0_14default_configENS1_25partition_config_selectorILNS1_17partition_subalgoE0EtNS0_10empty_typeEbEEZZNS1_14partition_implILS5_0ELb0ES3_jN6thrust23THRUST_200600_302600_NS6detail15normal_iteratorINSA_10device_ptrItEEEEPS6_SG_NS0_5tupleIJNSA_16discard_iteratorINSA_11use_defaultEEESF_EEENSH_IJSG_SG_EEES6_PlJ7is_evenItEEEE10hipError_tPvRmT3_T4_T5_T6_T7_T9_mT8_P12ihipStream_tbDpT10_ENKUlT_T0_E_clISt17integral_constantIbLb0EES19_EEDaS14_S15_EUlS14_E_NS1_11comp_targetILNS1_3genE10ELNS1_11target_archE1200ELNS1_3gpuE4ELNS1_3repE0EEENS1_30default_config_static_selectorELNS0_4arch9wavefront6targetE1EEEvT1_
	.globl	_ZN7rocprim17ROCPRIM_400000_NS6detail17trampoline_kernelINS0_14default_configENS1_25partition_config_selectorILNS1_17partition_subalgoE0EtNS0_10empty_typeEbEEZZNS1_14partition_implILS5_0ELb0ES3_jN6thrust23THRUST_200600_302600_NS6detail15normal_iteratorINSA_10device_ptrItEEEEPS6_SG_NS0_5tupleIJNSA_16discard_iteratorINSA_11use_defaultEEESF_EEENSH_IJSG_SG_EEES6_PlJ7is_evenItEEEE10hipError_tPvRmT3_T4_T5_T6_T7_T9_mT8_P12ihipStream_tbDpT10_ENKUlT_T0_E_clISt17integral_constantIbLb0EES19_EEDaS14_S15_EUlS14_E_NS1_11comp_targetILNS1_3genE10ELNS1_11target_archE1200ELNS1_3gpuE4ELNS1_3repE0EEENS1_30default_config_static_selectorELNS0_4arch9wavefront6targetE1EEEvT1_
	.p2align	8
	.type	_ZN7rocprim17ROCPRIM_400000_NS6detail17trampoline_kernelINS0_14default_configENS1_25partition_config_selectorILNS1_17partition_subalgoE0EtNS0_10empty_typeEbEEZZNS1_14partition_implILS5_0ELb0ES3_jN6thrust23THRUST_200600_302600_NS6detail15normal_iteratorINSA_10device_ptrItEEEEPS6_SG_NS0_5tupleIJNSA_16discard_iteratorINSA_11use_defaultEEESF_EEENSH_IJSG_SG_EEES6_PlJ7is_evenItEEEE10hipError_tPvRmT3_T4_T5_T6_T7_T9_mT8_P12ihipStream_tbDpT10_ENKUlT_T0_E_clISt17integral_constantIbLb0EES19_EEDaS14_S15_EUlS14_E_NS1_11comp_targetILNS1_3genE10ELNS1_11target_archE1200ELNS1_3gpuE4ELNS1_3repE0EEENS1_30default_config_static_selectorELNS0_4arch9wavefront6targetE1EEEvT1_,@function
_ZN7rocprim17ROCPRIM_400000_NS6detail17trampoline_kernelINS0_14default_configENS1_25partition_config_selectorILNS1_17partition_subalgoE0EtNS0_10empty_typeEbEEZZNS1_14partition_implILS5_0ELb0ES3_jN6thrust23THRUST_200600_302600_NS6detail15normal_iteratorINSA_10device_ptrItEEEEPS6_SG_NS0_5tupleIJNSA_16discard_iteratorINSA_11use_defaultEEESF_EEENSH_IJSG_SG_EEES6_PlJ7is_evenItEEEE10hipError_tPvRmT3_T4_T5_T6_T7_T9_mT8_P12ihipStream_tbDpT10_ENKUlT_T0_E_clISt17integral_constantIbLb0EES19_EEDaS14_S15_EUlS14_E_NS1_11comp_targetILNS1_3genE10ELNS1_11target_archE1200ELNS1_3gpuE4ELNS1_3repE0EEENS1_30default_config_static_selectorELNS0_4arch9wavefront6targetE1EEEvT1_: ; @_ZN7rocprim17ROCPRIM_400000_NS6detail17trampoline_kernelINS0_14default_configENS1_25partition_config_selectorILNS1_17partition_subalgoE0EtNS0_10empty_typeEbEEZZNS1_14partition_implILS5_0ELb0ES3_jN6thrust23THRUST_200600_302600_NS6detail15normal_iteratorINSA_10device_ptrItEEEEPS6_SG_NS0_5tupleIJNSA_16discard_iteratorINSA_11use_defaultEEESF_EEENSH_IJSG_SG_EEES6_PlJ7is_evenItEEEE10hipError_tPvRmT3_T4_T5_T6_T7_T9_mT8_P12ihipStream_tbDpT10_ENKUlT_T0_E_clISt17integral_constantIbLb0EES19_EEDaS14_S15_EUlS14_E_NS1_11comp_targetILNS1_3genE10ELNS1_11target_archE1200ELNS1_3gpuE4ELNS1_3repE0EEENS1_30default_config_static_selectorELNS0_4arch9wavefront6targetE1EEEvT1_
; %bb.0:
	.section	.rodata,"a",@progbits
	.p2align	6, 0x0
	.amdhsa_kernel _ZN7rocprim17ROCPRIM_400000_NS6detail17trampoline_kernelINS0_14default_configENS1_25partition_config_selectorILNS1_17partition_subalgoE0EtNS0_10empty_typeEbEEZZNS1_14partition_implILS5_0ELb0ES3_jN6thrust23THRUST_200600_302600_NS6detail15normal_iteratorINSA_10device_ptrItEEEEPS6_SG_NS0_5tupleIJNSA_16discard_iteratorINSA_11use_defaultEEESF_EEENSH_IJSG_SG_EEES6_PlJ7is_evenItEEEE10hipError_tPvRmT3_T4_T5_T6_T7_T9_mT8_P12ihipStream_tbDpT10_ENKUlT_T0_E_clISt17integral_constantIbLb0EES19_EEDaS14_S15_EUlS14_E_NS1_11comp_targetILNS1_3genE10ELNS1_11target_archE1200ELNS1_3gpuE4ELNS1_3repE0EEENS1_30default_config_static_selectorELNS0_4arch9wavefront6targetE1EEEvT1_
		.amdhsa_group_segment_fixed_size 0
		.amdhsa_private_segment_fixed_size 0
		.amdhsa_kernarg_size 128
		.amdhsa_user_sgpr_count 6
		.amdhsa_user_sgpr_private_segment_buffer 1
		.amdhsa_user_sgpr_dispatch_ptr 0
		.amdhsa_user_sgpr_queue_ptr 0
		.amdhsa_user_sgpr_kernarg_segment_ptr 1
		.amdhsa_user_sgpr_dispatch_id 0
		.amdhsa_user_sgpr_flat_scratch_init 0
		.amdhsa_user_sgpr_kernarg_preload_length 0
		.amdhsa_user_sgpr_kernarg_preload_offset 0
		.amdhsa_user_sgpr_private_segment_size 0
		.amdhsa_uses_dynamic_stack 0
		.amdhsa_system_sgpr_private_segment_wavefront_offset 0
		.amdhsa_system_sgpr_workgroup_id_x 1
		.amdhsa_system_sgpr_workgroup_id_y 0
		.amdhsa_system_sgpr_workgroup_id_z 0
		.amdhsa_system_sgpr_workgroup_info 0
		.amdhsa_system_vgpr_workitem_id 0
		.amdhsa_next_free_vgpr 1
		.amdhsa_next_free_sgpr 0
		.amdhsa_accum_offset 4
		.amdhsa_reserve_vcc 0
		.amdhsa_reserve_flat_scratch 0
		.amdhsa_float_round_mode_32 0
		.amdhsa_float_round_mode_16_64 0
		.amdhsa_float_denorm_mode_32 3
		.amdhsa_float_denorm_mode_16_64 3
		.amdhsa_dx10_clamp 1
		.amdhsa_ieee_mode 1
		.amdhsa_fp16_overflow 0
		.amdhsa_tg_split 0
		.amdhsa_exception_fp_ieee_invalid_op 0
		.amdhsa_exception_fp_denorm_src 0
		.amdhsa_exception_fp_ieee_div_zero 0
		.amdhsa_exception_fp_ieee_overflow 0
		.amdhsa_exception_fp_ieee_underflow 0
		.amdhsa_exception_fp_ieee_inexact 0
		.amdhsa_exception_int_div_zero 0
	.end_amdhsa_kernel
	.section	.text._ZN7rocprim17ROCPRIM_400000_NS6detail17trampoline_kernelINS0_14default_configENS1_25partition_config_selectorILNS1_17partition_subalgoE0EtNS0_10empty_typeEbEEZZNS1_14partition_implILS5_0ELb0ES3_jN6thrust23THRUST_200600_302600_NS6detail15normal_iteratorINSA_10device_ptrItEEEEPS6_SG_NS0_5tupleIJNSA_16discard_iteratorINSA_11use_defaultEEESF_EEENSH_IJSG_SG_EEES6_PlJ7is_evenItEEEE10hipError_tPvRmT3_T4_T5_T6_T7_T9_mT8_P12ihipStream_tbDpT10_ENKUlT_T0_E_clISt17integral_constantIbLb0EES19_EEDaS14_S15_EUlS14_E_NS1_11comp_targetILNS1_3genE10ELNS1_11target_archE1200ELNS1_3gpuE4ELNS1_3repE0EEENS1_30default_config_static_selectorELNS0_4arch9wavefront6targetE1EEEvT1_,"axG",@progbits,_ZN7rocprim17ROCPRIM_400000_NS6detail17trampoline_kernelINS0_14default_configENS1_25partition_config_selectorILNS1_17partition_subalgoE0EtNS0_10empty_typeEbEEZZNS1_14partition_implILS5_0ELb0ES3_jN6thrust23THRUST_200600_302600_NS6detail15normal_iteratorINSA_10device_ptrItEEEEPS6_SG_NS0_5tupleIJNSA_16discard_iteratorINSA_11use_defaultEEESF_EEENSH_IJSG_SG_EEES6_PlJ7is_evenItEEEE10hipError_tPvRmT3_T4_T5_T6_T7_T9_mT8_P12ihipStream_tbDpT10_ENKUlT_T0_E_clISt17integral_constantIbLb0EES19_EEDaS14_S15_EUlS14_E_NS1_11comp_targetILNS1_3genE10ELNS1_11target_archE1200ELNS1_3gpuE4ELNS1_3repE0EEENS1_30default_config_static_selectorELNS0_4arch9wavefront6targetE1EEEvT1_,comdat
.Lfunc_end2560:
	.size	_ZN7rocprim17ROCPRIM_400000_NS6detail17trampoline_kernelINS0_14default_configENS1_25partition_config_selectorILNS1_17partition_subalgoE0EtNS0_10empty_typeEbEEZZNS1_14partition_implILS5_0ELb0ES3_jN6thrust23THRUST_200600_302600_NS6detail15normal_iteratorINSA_10device_ptrItEEEEPS6_SG_NS0_5tupleIJNSA_16discard_iteratorINSA_11use_defaultEEESF_EEENSH_IJSG_SG_EEES6_PlJ7is_evenItEEEE10hipError_tPvRmT3_T4_T5_T6_T7_T9_mT8_P12ihipStream_tbDpT10_ENKUlT_T0_E_clISt17integral_constantIbLb0EES19_EEDaS14_S15_EUlS14_E_NS1_11comp_targetILNS1_3genE10ELNS1_11target_archE1200ELNS1_3gpuE4ELNS1_3repE0EEENS1_30default_config_static_selectorELNS0_4arch9wavefront6targetE1EEEvT1_, .Lfunc_end2560-_ZN7rocprim17ROCPRIM_400000_NS6detail17trampoline_kernelINS0_14default_configENS1_25partition_config_selectorILNS1_17partition_subalgoE0EtNS0_10empty_typeEbEEZZNS1_14partition_implILS5_0ELb0ES3_jN6thrust23THRUST_200600_302600_NS6detail15normal_iteratorINSA_10device_ptrItEEEEPS6_SG_NS0_5tupleIJNSA_16discard_iteratorINSA_11use_defaultEEESF_EEENSH_IJSG_SG_EEES6_PlJ7is_evenItEEEE10hipError_tPvRmT3_T4_T5_T6_T7_T9_mT8_P12ihipStream_tbDpT10_ENKUlT_T0_E_clISt17integral_constantIbLb0EES19_EEDaS14_S15_EUlS14_E_NS1_11comp_targetILNS1_3genE10ELNS1_11target_archE1200ELNS1_3gpuE4ELNS1_3repE0EEENS1_30default_config_static_selectorELNS0_4arch9wavefront6targetE1EEEvT1_
                                        ; -- End function
	.section	.AMDGPU.csdata,"",@progbits
; Kernel info:
; codeLenInByte = 0
; NumSgprs: 4
; NumVgprs: 0
; NumAgprs: 0
; TotalNumVgprs: 0
; ScratchSize: 0
; MemoryBound: 0
; FloatMode: 240
; IeeeMode: 1
; LDSByteSize: 0 bytes/workgroup (compile time only)
; SGPRBlocks: 0
; VGPRBlocks: 0
; NumSGPRsForWavesPerEU: 4
; NumVGPRsForWavesPerEU: 1
; AccumOffset: 4
; Occupancy: 8
; WaveLimiterHint : 0
; COMPUTE_PGM_RSRC2:SCRATCH_EN: 0
; COMPUTE_PGM_RSRC2:USER_SGPR: 6
; COMPUTE_PGM_RSRC2:TRAP_HANDLER: 0
; COMPUTE_PGM_RSRC2:TGID_X_EN: 1
; COMPUTE_PGM_RSRC2:TGID_Y_EN: 0
; COMPUTE_PGM_RSRC2:TGID_Z_EN: 0
; COMPUTE_PGM_RSRC2:TIDIG_COMP_CNT: 0
; COMPUTE_PGM_RSRC3_GFX90A:ACCUM_OFFSET: 0
; COMPUTE_PGM_RSRC3_GFX90A:TG_SPLIT: 0
	.section	.text._ZN7rocprim17ROCPRIM_400000_NS6detail17trampoline_kernelINS0_14default_configENS1_25partition_config_selectorILNS1_17partition_subalgoE0EtNS0_10empty_typeEbEEZZNS1_14partition_implILS5_0ELb0ES3_jN6thrust23THRUST_200600_302600_NS6detail15normal_iteratorINSA_10device_ptrItEEEEPS6_SG_NS0_5tupleIJNSA_16discard_iteratorINSA_11use_defaultEEESF_EEENSH_IJSG_SG_EEES6_PlJ7is_evenItEEEE10hipError_tPvRmT3_T4_T5_T6_T7_T9_mT8_P12ihipStream_tbDpT10_ENKUlT_T0_E_clISt17integral_constantIbLb0EES19_EEDaS14_S15_EUlS14_E_NS1_11comp_targetILNS1_3genE9ELNS1_11target_archE1100ELNS1_3gpuE3ELNS1_3repE0EEENS1_30default_config_static_selectorELNS0_4arch9wavefront6targetE1EEEvT1_,"axG",@progbits,_ZN7rocprim17ROCPRIM_400000_NS6detail17trampoline_kernelINS0_14default_configENS1_25partition_config_selectorILNS1_17partition_subalgoE0EtNS0_10empty_typeEbEEZZNS1_14partition_implILS5_0ELb0ES3_jN6thrust23THRUST_200600_302600_NS6detail15normal_iteratorINSA_10device_ptrItEEEEPS6_SG_NS0_5tupleIJNSA_16discard_iteratorINSA_11use_defaultEEESF_EEENSH_IJSG_SG_EEES6_PlJ7is_evenItEEEE10hipError_tPvRmT3_T4_T5_T6_T7_T9_mT8_P12ihipStream_tbDpT10_ENKUlT_T0_E_clISt17integral_constantIbLb0EES19_EEDaS14_S15_EUlS14_E_NS1_11comp_targetILNS1_3genE9ELNS1_11target_archE1100ELNS1_3gpuE3ELNS1_3repE0EEENS1_30default_config_static_selectorELNS0_4arch9wavefront6targetE1EEEvT1_,comdat
	.protected	_ZN7rocprim17ROCPRIM_400000_NS6detail17trampoline_kernelINS0_14default_configENS1_25partition_config_selectorILNS1_17partition_subalgoE0EtNS0_10empty_typeEbEEZZNS1_14partition_implILS5_0ELb0ES3_jN6thrust23THRUST_200600_302600_NS6detail15normal_iteratorINSA_10device_ptrItEEEEPS6_SG_NS0_5tupleIJNSA_16discard_iteratorINSA_11use_defaultEEESF_EEENSH_IJSG_SG_EEES6_PlJ7is_evenItEEEE10hipError_tPvRmT3_T4_T5_T6_T7_T9_mT8_P12ihipStream_tbDpT10_ENKUlT_T0_E_clISt17integral_constantIbLb0EES19_EEDaS14_S15_EUlS14_E_NS1_11comp_targetILNS1_3genE9ELNS1_11target_archE1100ELNS1_3gpuE3ELNS1_3repE0EEENS1_30default_config_static_selectorELNS0_4arch9wavefront6targetE1EEEvT1_ ; -- Begin function _ZN7rocprim17ROCPRIM_400000_NS6detail17trampoline_kernelINS0_14default_configENS1_25partition_config_selectorILNS1_17partition_subalgoE0EtNS0_10empty_typeEbEEZZNS1_14partition_implILS5_0ELb0ES3_jN6thrust23THRUST_200600_302600_NS6detail15normal_iteratorINSA_10device_ptrItEEEEPS6_SG_NS0_5tupleIJNSA_16discard_iteratorINSA_11use_defaultEEESF_EEENSH_IJSG_SG_EEES6_PlJ7is_evenItEEEE10hipError_tPvRmT3_T4_T5_T6_T7_T9_mT8_P12ihipStream_tbDpT10_ENKUlT_T0_E_clISt17integral_constantIbLb0EES19_EEDaS14_S15_EUlS14_E_NS1_11comp_targetILNS1_3genE9ELNS1_11target_archE1100ELNS1_3gpuE3ELNS1_3repE0EEENS1_30default_config_static_selectorELNS0_4arch9wavefront6targetE1EEEvT1_
	.globl	_ZN7rocprim17ROCPRIM_400000_NS6detail17trampoline_kernelINS0_14default_configENS1_25partition_config_selectorILNS1_17partition_subalgoE0EtNS0_10empty_typeEbEEZZNS1_14partition_implILS5_0ELb0ES3_jN6thrust23THRUST_200600_302600_NS6detail15normal_iteratorINSA_10device_ptrItEEEEPS6_SG_NS0_5tupleIJNSA_16discard_iteratorINSA_11use_defaultEEESF_EEENSH_IJSG_SG_EEES6_PlJ7is_evenItEEEE10hipError_tPvRmT3_T4_T5_T6_T7_T9_mT8_P12ihipStream_tbDpT10_ENKUlT_T0_E_clISt17integral_constantIbLb0EES19_EEDaS14_S15_EUlS14_E_NS1_11comp_targetILNS1_3genE9ELNS1_11target_archE1100ELNS1_3gpuE3ELNS1_3repE0EEENS1_30default_config_static_selectorELNS0_4arch9wavefront6targetE1EEEvT1_
	.p2align	8
	.type	_ZN7rocprim17ROCPRIM_400000_NS6detail17trampoline_kernelINS0_14default_configENS1_25partition_config_selectorILNS1_17partition_subalgoE0EtNS0_10empty_typeEbEEZZNS1_14partition_implILS5_0ELb0ES3_jN6thrust23THRUST_200600_302600_NS6detail15normal_iteratorINSA_10device_ptrItEEEEPS6_SG_NS0_5tupleIJNSA_16discard_iteratorINSA_11use_defaultEEESF_EEENSH_IJSG_SG_EEES6_PlJ7is_evenItEEEE10hipError_tPvRmT3_T4_T5_T6_T7_T9_mT8_P12ihipStream_tbDpT10_ENKUlT_T0_E_clISt17integral_constantIbLb0EES19_EEDaS14_S15_EUlS14_E_NS1_11comp_targetILNS1_3genE9ELNS1_11target_archE1100ELNS1_3gpuE3ELNS1_3repE0EEENS1_30default_config_static_selectorELNS0_4arch9wavefront6targetE1EEEvT1_,@function
_ZN7rocprim17ROCPRIM_400000_NS6detail17trampoline_kernelINS0_14default_configENS1_25partition_config_selectorILNS1_17partition_subalgoE0EtNS0_10empty_typeEbEEZZNS1_14partition_implILS5_0ELb0ES3_jN6thrust23THRUST_200600_302600_NS6detail15normal_iteratorINSA_10device_ptrItEEEEPS6_SG_NS0_5tupleIJNSA_16discard_iteratorINSA_11use_defaultEEESF_EEENSH_IJSG_SG_EEES6_PlJ7is_evenItEEEE10hipError_tPvRmT3_T4_T5_T6_T7_T9_mT8_P12ihipStream_tbDpT10_ENKUlT_T0_E_clISt17integral_constantIbLb0EES19_EEDaS14_S15_EUlS14_E_NS1_11comp_targetILNS1_3genE9ELNS1_11target_archE1100ELNS1_3gpuE3ELNS1_3repE0EEENS1_30default_config_static_selectorELNS0_4arch9wavefront6targetE1EEEvT1_: ; @_ZN7rocprim17ROCPRIM_400000_NS6detail17trampoline_kernelINS0_14default_configENS1_25partition_config_selectorILNS1_17partition_subalgoE0EtNS0_10empty_typeEbEEZZNS1_14partition_implILS5_0ELb0ES3_jN6thrust23THRUST_200600_302600_NS6detail15normal_iteratorINSA_10device_ptrItEEEEPS6_SG_NS0_5tupleIJNSA_16discard_iteratorINSA_11use_defaultEEESF_EEENSH_IJSG_SG_EEES6_PlJ7is_evenItEEEE10hipError_tPvRmT3_T4_T5_T6_T7_T9_mT8_P12ihipStream_tbDpT10_ENKUlT_T0_E_clISt17integral_constantIbLb0EES19_EEDaS14_S15_EUlS14_E_NS1_11comp_targetILNS1_3genE9ELNS1_11target_archE1100ELNS1_3gpuE3ELNS1_3repE0EEENS1_30default_config_static_selectorELNS0_4arch9wavefront6targetE1EEEvT1_
; %bb.0:
	.section	.rodata,"a",@progbits
	.p2align	6, 0x0
	.amdhsa_kernel _ZN7rocprim17ROCPRIM_400000_NS6detail17trampoline_kernelINS0_14default_configENS1_25partition_config_selectorILNS1_17partition_subalgoE0EtNS0_10empty_typeEbEEZZNS1_14partition_implILS5_0ELb0ES3_jN6thrust23THRUST_200600_302600_NS6detail15normal_iteratorINSA_10device_ptrItEEEEPS6_SG_NS0_5tupleIJNSA_16discard_iteratorINSA_11use_defaultEEESF_EEENSH_IJSG_SG_EEES6_PlJ7is_evenItEEEE10hipError_tPvRmT3_T4_T5_T6_T7_T9_mT8_P12ihipStream_tbDpT10_ENKUlT_T0_E_clISt17integral_constantIbLb0EES19_EEDaS14_S15_EUlS14_E_NS1_11comp_targetILNS1_3genE9ELNS1_11target_archE1100ELNS1_3gpuE3ELNS1_3repE0EEENS1_30default_config_static_selectorELNS0_4arch9wavefront6targetE1EEEvT1_
		.amdhsa_group_segment_fixed_size 0
		.amdhsa_private_segment_fixed_size 0
		.amdhsa_kernarg_size 128
		.amdhsa_user_sgpr_count 6
		.amdhsa_user_sgpr_private_segment_buffer 1
		.amdhsa_user_sgpr_dispatch_ptr 0
		.amdhsa_user_sgpr_queue_ptr 0
		.amdhsa_user_sgpr_kernarg_segment_ptr 1
		.amdhsa_user_sgpr_dispatch_id 0
		.amdhsa_user_sgpr_flat_scratch_init 0
		.amdhsa_user_sgpr_kernarg_preload_length 0
		.amdhsa_user_sgpr_kernarg_preload_offset 0
		.amdhsa_user_sgpr_private_segment_size 0
		.amdhsa_uses_dynamic_stack 0
		.amdhsa_system_sgpr_private_segment_wavefront_offset 0
		.amdhsa_system_sgpr_workgroup_id_x 1
		.amdhsa_system_sgpr_workgroup_id_y 0
		.amdhsa_system_sgpr_workgroup_id_z 0
		.amdhsa_system_sgpr_workgroup_info 0
		.amdhsa_system_vgpr_workitem_id 0
		.amdhsa_next_free_vgpr 1
		.amdhsa_next_free_sgpr 0
		.amdhsa_accum_offset 4
		.amdhsa_reserve_vcc 0
		.amdhsa_reserve_flat_scratch 0
		.amdhsa_float_round_mode_32 0
		.amdhsa_float_round_mode_16_64 0
		.amdhsa_float_denorm_mode_32 3
		.amdhsa_float_denorm_mode_16_64 3
		.amdhsa_dx10_clamp 1
		.amdhsa_ieee_mode 1
		.amdhsa_fp16_overflow 0
		.amdhsa_tg_split 0
		.amdhsa_exception_fp_ieee_invalid_op 0
		.amdhsa_exception_fp_denorm_src 0
		.amdhsa_exception_fp_ieee_div_zero 0
		.amdhsa_exception_fp_ieee_overflow 0
		.amdhsa_exception_fp_ieee_underflow 0
		.amdhsa_exception_fp_ieee_inexact 0
		.amdhsa_exception_int_div_zero 0
	.end_amdhsa_kernel
	.section	.text._ZN7rocprim17ROCPRIM_400000_NS6detail17trampoline_kernelINS0_14default_configENS1_25partition_config_selectorILNS1_17partition_subalgoE0EtNS0_10empty_typeEbEEZZNS1_14partition_implILS5_0ELb0ES3_jN6thrust23THRUST_200600_302600_NS6detail15normal_iteratorINSA_10device_ptrItEEEEPS6_SG_NS0_5tupleIJNSA_16discard_iteratorINSA_11use_defaultEEESF_EEENSH_IJSG_SG_EEES6_PlJ7is_evenItEEEE10hipError_tPvRmT3_T4_T5_T6_T7_T9_mT8_P12ihipStream_tbDpT10_ENKUlT_T0_E_clISt17integral_constantIbLb0EES19_EEDaS14_S15_EUlS14_E_NS1_11comp_targetILNS1_3genE9ELNS1_11target_archE1100ELNS1_3gpuE3ELNS1_3repE0EEENS1_30default_config_static_selectorELNS0_4arch9wavefront6targetE1EEEvT1_,"axG",@progbits,_ZN7rocprim17ROCPRIM_400000_NS6detail17trampoline_kernelINS0_14default_configENS1_25partition_config_selectorILNS1_17partition_subalgoE0EtNS0_10empty_typeEbEEZZNS1_14partition_implILS5_0ELb0ES3_jN6thrust23THRUST_200600_302600_NS6detail15normal_iteratorINSA_10device_ptrItEEEEPS6_SG_NS0_5tupleIJNSA_16discard_iteratorINSA_11use_defaultEEESF_EEENSH_IJSG_SG_EEES6_PlJ7is_evenItEEEE10hipError_tPvRmT3_T4_T5_T6_T7_T9_mT8_P12ihipStream_tbDpT10_ENKUlT_T0_E_clISt17integral_constantIbLb0EES19_EEDaS14_S15_EUlS14_E_NS1_11comp_targetILNS1_3genE9ELNS1_11target_archE1100ELNS1_3gpuE3ELNS1_3repE0EEENS1_30default_config_static_selectorELNS0_4arch9wavefront6targetE1EEEvT1_,comdat
.Lfunc_end2561:
	.size	_ZN7rocprim17ROCPRIM_400000_NS6detail17trampoline_kernelINS0_14default_configENS1_25partition_config_selectorILNS1_17partition_subalgoE0EtNS0_10empty_typeEbEEZZNS1_14partition_implILS5_0ELb0ES3_jN6thrust23THRUST_200600_302600_NS6detail15normal_iteratorINSA_10device_ptrItEEEEPS6_SG_NS0_5tupleIJNSA_16discard_iteratorINSA_11use_defaultEEESF_EEENSH_IJSG_SG_EEES6_PlJ7is_evenItEEEE10hipError_tPvRmT3_T4_T5_T6_T7_T9_mT8_P12ihipStream_tbDpT10_ENKUlT_T0_E_clISt17integral_constantIbLb0EES19_EEDaS14_S15_EUlS14_E_NS1_11comp_targetILNS1_3genE9ELNS1_11target_archE1100ELNS1_3gpuE3ELNS1_3repE0EEENS1_30default_config_static_selectorELNS0_4arch9wavefront6targetE1EEEvT1_, .Lfunc_end2561-_ZN7rocprim17ROCPRIM_400000_NS6detail17trampoline_kernelINS0_14default_configENS1_25partition_config_selectorILNS1_17partition_subalgoE0EtNS0_10empty_typeEbEEZZNS1_14partition_implILS5_0ELb0ES3_jN6thrust23THRUST_200600_302600_NS6detail15normal_iteratorINSA_10device_ptrItEEEEPS6_SG_NS0_5tupleIJNSA_16discard_iteratorINSA_11use_defaultEEESF_EEENSH_IJSG_SG_EEES6_PlJ7is_evenItEEEE10hipError_tPvRmT3_T4_T5_T6_T7_T9_mT8_P12ihipStream_tbDpT10_ENKUlT_T0_E_clISt17integral_constantIbLb0EES19_EEDaS14_S15_EUlS14_E_NS1_11comp_targetILNS1_3genE9ELNS1_11target_archE1100ELNS1_3gpuE3ELNS1_3repE0EEENS1_30default_config_static_selectorELNS0_4arch9wavefront6targetE1EEEvT1_
                                        ; -- End function
	.section	.AMDGPU.csdata,"",@progbits
; Kernel info:
; codeLenInByte = 0
; NumSgprs: 4
; NumVgprs: 0
; NumAgprs: 0
; TotalNumVgprs: 0
; ScratchSize: 0
; MemoryBound: 0
; FloatMode: 240
; IeeeMode: 1
; LDSByteSize: 0 bytes/workgroup (compile time only)
; SGPRBlocks: 0
; VGPRBlocks: 0
; NumSGPRsForWavesPerEU: 4
; NumVGPRsForWavesPerEU: 1
; AccumOffset: 4
; Occupancy: 8
; WaveLimiterHint : 0
; COMPUTE_PGM_RSRC2:SCRATCH_EN: 0
; COMPUTE_PGM_RSRC2:USER_SGPR: 6
; COMPUTE_PGM_RSRC2:TRAP_HANDLER: 0
; COMPUTE_PGM_RSRC2:TGID_X_EN: 1
; COMPUTE_PGM_RSRC2:TGID_Y_EN: 0
; COMPUTE_PGM_RSRC2:TGID_Z_EN: 0
; COMPUTE_PGM_RSRC2:TIDIG_COMP_CNT: 0
; COMPUTE_PGM_RSRC3_GFX90A:ACCUM_OFFSET: 0
; COMPUTE_PGM_RSRC3_GFX90A:TG_SPLIT: 0
	.section	.text._ZN7rocprim17ROCPRIM_400000_NS6detail17trampoline_kernelINS0_14default_configENS1_25partition_config_selectorILNS1_17partition_subalgoE0EtNS0_10empty_typeEbEEZZNS1_14partition_implILS5_0ELb0ES3_jN6thrust23THRUST_200600_302600_NS6detail15normal_iteratorINSA_10device_ptrItEEEEPS6_SG_NS0_5tupleIJNSA_16discard_iteratorINSA_11use_defaultEEESF_EEENSH_IJSG_SG_EEES6_PlJ7is_evenItEEEE10hipError_tPvRmT3_T4_T5_T6_T7_T9_mT8_P12ihipStream_tbDpT10_ENKUlT_T0_E_clISt17integral_constantIbLb0EES19_EEDaS14_S15_EUlS14_E_NS1_11comp_targetILNS1_3genE8ELNS1_11target_archE1030ELNS1_3gpuE2ELNS1_3repE0EEENS1_30default_config_static_selectorELNS0_4arch9wavefront6targetE1EEEvT1_,"axG",@progbits,_ZN7rocprim17ROCPRIM_400000_NS6detail17trampoline_kernelINS0_14default_configENS1_25partition_config_selectorILNS1_17partition_subalgoE0EtNS0_10empty_typeEbEEZZNS1_14partition_implILS5_0ELb0ES3_jN6thrust23THRUST_200600_302600_NS6detail15normal_iteratorINSA_10device_ptrItEEEEPS6_SG_NS0_5tupleIJNSA_16discard_iteratorINSA_11use_defaultEEESF_EEENSH_IJSG_SG_EEES6_PlJ7is_evenItEEEE10hipError_tPvRmT3_T4_T5_T6_T7_T9_mT8_P12ihipStream_tbDpT10_ENKUlT_T0_E_clISt17integral_constantIbLb0EES19_EEDaS14_S15_EUlS14_E_NS1_11comp_targetILNS1_3genE8ELNS1_11target_archE1030ELNS1_3gpuE2ELNS1_3repE0EEENS1_30default_config_static_selectorELNS0_4arch9wavefront6targetE1EEEvT1_,comdat
	.protected	_ZN7rocprim17ROCPRIM_400000_NS6detail17trampoline_kernelINS0_14default_configENS1_25partition_config_selectorILNS1_17partition_subalgoE0EtNS0_10empty_typeEbEEZZNS1_14partition_implILS5_0ELb0ES3_jN6thrust23THRUST_200600_302600_NS6detail15normal_iteratorINSA_10device_ptrItEEEEPS6_SG_NS0_5tupleIJNSA_16discard_iteratorINSA_11use_defaultEEESF_EEENSH_IJSG_SG_EEES6_PlJ7is_evenItEEEE10hipError_tPvRmT3_T4_T5_T6_T7_T9_mT8_P12ihipStream_tbDpT10_ENKUlT_T0_E_clISt17integral_constantIbLb0EES19_EEDaS14_S15_EUlS14_E_NS1_11comp_targetILNS1_3genE8ELNS1_11target_archE1030ELNS1_3gpuE2ELNS1_3repE0EEENS1_30default_config_static_selectorELNS0_4arch9wavefront6targetE1EEEvT1_ ; -- Begin function _ZN7rocprim17ROCPRIM_400000_NS6detail17trampoline_kernelINS0_14default_configENS1_25partition_config_selectorILNS1_17partition_subalgoE0EtNS0_10empty_typeEbEEZZNS1_14partition_implILS5_0ELb0ES3_jN6thrust23THRUST_200600_302600_NS6detail15normal_iteratorINSA_10device_ptrItEEEEPS6_SG_NS0_5tupleIJNSA_16discard_iteratorINSA_11use_defaultEEESF_EEENSH_IJSG_SG_EEES6_PlJ7is_evenItEEEE10hipError_tPvRmT3_T4_T5_T6_T7_T9_mT8_P12ihipStream_tbDpT10_ENKUlT_T0_E_clISt17integral_constantIbLb0EES19_EEDaS14_S15_EUlS14_E_NS1_11comp_targetILNS1_3genE8ELNS1_11target_archE1030ELNS1_3gpuE2ELNS1_3repE0EEENS1_30default_config_static_selectorELNS0_4arch9wavefront6targetE1EEEvT1_
	.globl	_ZN7rocprim17ROCPRIM_400000_NS6detail17trampoline_kernelINS0_14default_configENS1_25partition_config_selectorILNS1_17partition_subalgoE0EtNS0_10empty_typeEbEEZZNS1_14partition_implILS5_0ELb0ES3_jN6thrust23THRUST_200600_302600_NS6detail15normal_iteratorINSA_10device_ptrItEEEEPS6_SG_NS0_5tupleIJNSA_16discard_iteratorINSA_11use_defaultEEESF_EEENSH_IJSG_SG_EEES6_PlJ7is_evenItEEEE10hipError_tPvRmT3_T4_T5_T6_T7_T9_mT8_P12ihipStream_tbDpT10_ENKUlT_T0_E_clISt17integral_constantIbLb0EES19_EEDaS14_S15_EUlS14_E_NS1_11comp_targetILNS1_3genE8ELNS1_11target_archE1030ELNS1_3gpuE2ELNS1_3repE0EEENS1_30default_config_static_selectorELNS0_4arch9wavefront6targetE1EEEvT1_
	.p2align	8
	.type	_ZN7rocprim17ROCPRIM_400000_NS6detail17trampoline_kernelINS0_14default_configENS1_25partition_config_selectorILNS1_17partition_subalgoE0EtNS0_10empty_typeEbEEZZNS1_14partition_implILS5_0ELb0ES3_jN6thrust23THRUST_200600_302600_NS6detail15normal_iteratorINSA_10device_ptrItEEEEPS6_SG_NS0_5tupleIJNSA_16discard_iteratorINSA_11use_defaultEEESF_EEENSH_IJSG_SG_EEES6_PlJ7is_evenItEEEE10hipError_tPvRmT3_T4_T5_T6_T7_T9_mT8_P12ihipStream_tbDpT10_ENKUlT_T0_E_clISt17integral_constantIbLb0EES19_EEDaS14_S15_EUlS14_E_NS1_11comp_targetILNS1_3genE8ELNS1_11target_archE1030ELNS1_3gpuE2ELNS1_3repE0EEENS1_30default_config_static_selectorELNS0_4arch9wavefront6targetE1EEEvT1_,@function
_ZN7rocprim17ROCPRIM_400000_NS6detail17trampoline_kernelINS0_14default_configENS1_25partition_config_selectorILNS1_17partition_subalgoE0EtNS0_10empty_typeEbEEZZNS1_14partition_implILS5_0ELb0ES3_jN6thrust23THRUST_200600_302600_NS6detail15normal_iteratorINSA_10device_ptrItEEEEPS6_SG_NS0_5tupleIJNSA_16discard_iteratorINSA_11use_defaultEEESF_EEENSH_IJSG_SG_EEES6_PlJ7is_evenItEEEE10hipError_tPvRmT3_T4_T5_T6_T7_T9_mT8_P12ihipStream_tbDpT10_ENKUlT_T0_E_clISt17integral_constantIbLb0EES19_EEDaS14_S15_EUlS14_E_NS1_11comp_targetILNS1_3genE8ELNS1_11target_archE1030ELNS1_3gpuE2ELNS1_3repE0EEENS1_30default_config_static_selectorELNS0_4arch9wavefront6targetE1EEEvT1_: ; @_ZN7rocprim17ROCPRIM_400000_NS6detail17trampoline_kernelINS0_14default_configENS1_25partition_config_selectorILNS1_17partition_subalgoE0EtNS0_10empty_typeEbEEZZNS1_14partition_implILS5_0ELb0ES3_jN6thrust23THRUST_200600_302600_NS6detail15normal_iteratorINSA_10device_ptrItEEEEPS6_SG_NS0_5tupleIJNSA_16discard_iteratorINSA_11use_defaultEEESF_EEENSH_IJSG_SG_EEES6_PlJ7is_evenItEEEE10hipError_tPvRmT3_T4_T5_T6_T7_T9_mT8_P12ihipStream_tbDpT10_ENKUlT_T0_E_clISt17integral_constantIbLb0EES19_EEDaS14_S15_EUlS14_E_NS1_11comp_targetILNS1_3genE8ELNS1_11target_archE1030ELNS1_3gpuE2ELNS1_3repE0EEENS1_30default_config_static_selectorELNS0_4arch9wavefront6targetE1EEEvT1_
; %bb.0:
	.section	.rodata,"a",@progbits
	.p2align	6, 0x0
	.amdhsa_kernel _ZN7rocprim17ROCPRIM_400000_NS6detail17trampoline_kernelINS0_14default_configENS1_25partition_config_selectorILNS1_17partition_subalgoE0EtNS0_10empty_typeEbEEZZNS1_14partition_implILS5_0ELb0ES3_jN6thrust23THRUST_200600_302600_NS6detail15normal_iteratorINSA_10device_ptrItEEEEPS6_SG_NS0_5tupleIJNSA_16discard_iteratorINSA_11use_defaultEEESF_EEENSH_IJSG_SG_EEES6_PlJ7is_evenItEEEE10hipError_tPvRmT3_T4_T5_T6_T7_T9_mT8_P12ihipStream_tbDpT10_ENKUlT_T0_E_clISt17integral_constantIbLb0EES19_EEDaS14_S15_EUlS14_E_NS1_11comp_targetILNS1_3genE8ELNS1_11target_archE1030ELNS1_3gpuE2ELNS1_3repE0EEENS1_30default_config_static_selectorELNS0_4arch9wavefront6targetE1EEEvT1_
		.amdhsa_group_segment_fixed_size 0
		.amdhsa_private_segment_fixed_size 0
		.amdhsa_kernarg_size 128
		.amdhsa_user_sgpr_count 6
		.amdhsa_user_sgpr_private_segment_buffer 1
		.amdhsa_user_sgpr_dispatch_ptr 0
		.amdhsa_user_sgpr_queue_ptr 0
		.amdhsa_user_sgpr_kernarg_segment_ptr 1
		.amdhsa_user_sgpr_dispatch_id 0
		.amdhsa_user_sgpr_flat_scratch_init 0
		.amdhsa_user_sgpr_kernarg_preload_length 0
		.amdhsa_user_sgpr_kernarg_preload_offset 0
		.amdhsa_user_sgpr_private_segment_size 0
		.amdhsa_uses_dynamic_stack 0
		.amdhsa_system_sgpr_private_segment_wavefront_offset 0
		.amdhsa_system_sgpr_workgroup_id_x 1
		.amdhsa_system_sgpr_workgroup_id_y 0
		.amdhsa_system_sgpr_workgroup_id_z 0
		.amdhsa_system_sgpr_workgroup_info 0
		.amdhsa_system_vgpr_workitem_id 0
		.amdhsa_next_free_vgpr 1
		.amdhsa_next_free_sgpr 0
		.amdhsa_accum_offset 4
		.amdhsa_reserve_vcc 0
		.amdhsa_reserve_flat_scratch 0
		.amdhsa_float_round_mode_32 0
		.amdhsa_float_round_mode_16_64 0
		.amdhsa_float_denorm_mode_32 3
		.amdhsa_float_denorm_mode_16_64 3
		.amdhsa_dx10_clamp 1
		.amdhsa_ieee_mode 1
		.amdhsa_fp16_overflow 0
		.amdhsa_tg_split 0
		.amdhsa_exception_fp_ieee_invalid_op 0
		.amdhsa_exception_fp_denorm_src 0
		.amdhsa_exception_fp_ieee_div_zero 0
		.amdhsa_exception_fp_ieee_overflow 0
		.amdhsa_exception_fp_ieee_underflow 0
		.amdhsa_exception_fp_ieee_inexact 0
		.amdhsa_exception_int_div_zero 0
	.end_amdhsa_kernel
	.section	.text._ZN7rocprim17ROCPRIM_400000_NS6detail17trampoline_kernelINS0_14default_configENS1_25partition_config_selectorILNS1_17partition_subalgoE0EtNS0_10empty_typeEbEEZZNS1_14partition_implILS5_0ELb0ES3_jN6thrust23THRUST_200600_302600_NS6detail15normal_iteratorINSA_10device_ptrItEEEEPS6_SG_NS0_5tupleIJNSA_16discard_iteratorINSA_11use_defaultEEESF_EEENSH_IJSG_SG_EEES6_PlJ7is_evenItEEEE10hipError_tPvRmT3_T4_T5_T6_T7_T9_mT8_P12ihipStream_tbDpT10_ENKUlT_T0_E_clISt17integral_constantIbLb0EES19_EEDaS14_S15_EUlS14_E_NS1_11comp_targetILNS1_3genE8ELNS1_11target_archE1030ELNS1_3gpuE2ELNS1_3repE0EEENS1_30default_config_static_selectorELNS0_4arch9wavefront6targetE1EEEvT1_,"axG",@progbits,_ZN7rocprim17ROCPRIM_400000_NS6detail17trampoline_kernelINS0_14default_configENS1_25partition_config_selectorILNS1_17partition_subalgoE0EtNS0_10empty_typeEbEEZZNS1_14partition_implILS5_0ELb0ES3_jN6thrust23THRUST_200600_302600_NS6detail15normal_iteratorINSA_10device_ptrItEEEEPS6_SG_NS0_5tupleIJNSA_16discard_iteratorINSA_11use_defaultEEESF_EEENSH_IJSG_SG_EEES6_PlJ7is_evenItEEEE10hipError_tPvRmT3_T4_T5_T6_T7_T9_mT8_P12ihipStream_tbDpT10_ENKUlT_T0_E_clISt17integral_constantIbLb0EES19_EEDaS14_S15_EUlS14_E_NS1_11comp_targetILNS1_3genE8ELNS1_11target_archE1030ELNS1_3gpuE2ELNS1_3repE0EEENS1_30default_config_static_selectorELNS0_4arch9wavefront6targetE1EEEvT1_,comdat
.Lfunc_end2562:
	.size	_ZN7rocprim17ROCPRIM_400000_NS6detail17trampoline_kernelINS0_14default_configENS1_25partition_config_selectorILNS1_17partition_subalgoE0EtNS0_10empty_typeEbEEZZNS1_14partition_implILS5_0ELb0ES3_jN6thrust23THRUST_200600_302600_NS6detail15normal_iteratorINSA_10device_ptrItEEEEPS6_SG_NS0_5tupleIJNSA_16discard_iteratorINSA_11use_defaultEEESF_EEENSH_IJSG_SG_EEES6_PlJ7is_evenItEEEE10hipError_tPvRmT3_T4_T5_T6_T7_T9_mT8_P12ihipStream_tbDpT10_ENKUlT_T0_E_clISt17integral_constantIbLb0EES19_EEDaS14_S15_EUlS14_E_NS1_11comp_targetILNS1_3genE8ELNS1_11target_archE1030ELNS1_3gpuE2ELNS1_3repE0EEENS1_30default_config_static_selectorELNS0_4arch9wavefront6targetE1EEEvT1_, .Lfunc_end2562-_ZN7rocprim17ROCPRIM_400000_NS6detail17trampoline_kernelINS0_14default_configENS1_25partition_config_selectorILNS1_17partition_subalgoE0EtNS0_10empty_typeEbEEZZNS1_14partition_implILS5_0ELb0ES3_jN6thrust23THRUST_200600_302600_NS6detail15normal_iteratorINSA_10device_ptrItEEEEPS6_SG_NS0_5tupleIJNSA_16discard_iteratorINSA_11use_defaultEEESF_EEENSH_IJSG_SG_EEES6_PlJ7is_evenItEEEE10hipError_tPvRmT3_T4_T5_T6_T7_T9_mT8_P12ihipStream_tbDpT10_ENKUlT_T0_E_clISt17integral_constantIbLb0EES19_EEDaS14_S15_EUlS14_E_NS1_11comp_targetILNS1_3genE8ELNS1_11target_archE1030ELNS1_3gpuE2ELNS1_3repE0EEENS1_30default_config_static_selectorELNS0_4arch9wavefront6targetE1EEEvT1_
                                        ; -- End function
	.section	.AMDGPU.csdata,"",@progbits
; Kernel info:
; codeLenInByte = 0
; NumSgprs: 4
; NumVgprs: 0
; NumAgprs: 0
; TotalNumVgprs: 0
; ScratchSize: 0
; MemoryBound: 0
; FloatMode: 240
; IeeeMode: 1
; LDSByteSize: 0 bytes/workgroup (compile time only)
; SGPRBlocks: 0
; VGPRBlocks: 0
; NumSGPRsForWavesPerEU: 4
; NumVGPRsForWavesPerEU: 1
; AccumOffset: 4
; Occupancy: 8
; WaveLimiterHint : 0
; COMPUTE_PGM_RSRC2:SCRATCH_EN: 0
; COMPUTE_PGM_RSRC2:USER_SGPR: 6
; COMPUTE_PGM_RSRC2:TRAP_HANDLER: 0
; COMPUTE_PGM_RSRC2:TGID_X_EN: 1
; COMPUTE_PGM_RSRC2:TGID_Y_EN: 0
; COMPUTE_PGM_RSRC2:TGID_Z_EN: 0
; COMPUTE_PGM_RSRC2:TIDIG_COMP_CNT: 0
; COMPUTE_PGM_RSRC3_GFX90A:ACCUM_OFFSET: 0
; COMPUTE_PGM_RSRC3_GFX90A:TG_SPLIT: 0
	.section	.text._ZN7rocprim17ROCPRIM_400000_NS6detail17trampoline_kernelINS0_14default_configENS1_25partition_config_selectorILNS1_17partition_subalgoE0EtNS0_10empty_typeEbEEZZNS1_14partition_implILS5_0ELb0ES3_jN6thrust23THRUST_200600_302600_NS6detail15normal_iteratorINSA_10device_ptrItEEEEPS6_SG_NS0_5tupleIJNSA_16discard_iteratorINSA_11use_defaultEEESF_EEENSH_IJSG_SG_EEES6_PlJ7is_evenItEEEE10hipError_tPvRmT3_T4_T5_T6_T7_T9_mT8_P12ihipStream_tbDpT10_ENKUlT_T0_E_clISt17integral_constantIbLb1EES19_EEDaS14_S15_EUlS14_E_NS1_11comp_targetILNS1_3genE0ELNS1_11target_archE4294967295ELNS1_3gpuE0ELNS1_3repE0EEENS1_30default_config_static_selectorELNS0_4arch9wavefront6targetE1EEEvT1_,"axG",@progbits,_ZN7rocprim17ROCPRIM_400000_NS6detail17trampoline_kernelINS0_14default_configENS1_25partition_config_selectorILNS1_17partition_subalgoE0EtNS0_10empty_typeEbEEZZNS1_14partition_implILS5_0ELb0ES3_jN6thrust23THRUST_200600_302600_NS6detail15normal_iteratorINSA_10device_ptrItEEEEPS6_SG_NS0_5tupleIJNSA_16discard_iteratorINSA_11use_defaultEEESF_EEENSH_IJSG_SG_EEES6_PlJ7is_evenItEEEE10hipError_tPvRmT3_T4_T5_T6_T7_T9_mT8_P12ihipStream_tbDpT10_ENKUlT_T0_E_clISt17integral_constantIbLb1EES19_EEDaS14_S15_EUlS14_E_NS1_11comp_targetILNS1_3genE0ELNS1_11target_archE4294967295ELNS1_3gpuE0ELNS1_3repE0EEENS1_30default_config_static_selectorELNS0_4arch9wavefront6targetE1EEEvT1_,comdat
	.protected	_ZN7rocprim17ROCPRIM_400000_NS6detail17trampoline_kernelINS0_14default_configENS1_25partition_config_selectorILNS1_17partition_subalgoE0EtNS0_10empty_typeEbEEZZNS1_14partition_implILS5_0ELb0ES3_jN6thrust23THRUST_200600_302600_NS6detail15normal_iteratorINSA_10device_ptrItEEEEPS6_SG_NS0_5tupleIJNSA_16discard_iteratorINSA_11use_defaultEEESF_EEENSH_IJSG_SG_EEES6_PlJ7is_evenItEEEE10hipError_tPvRmT3_T4_T5_T6_T7_T9_mT8_P12ihipStream_tbDpT10_ENKUlT_T0_E_clISt17integral_constantIbLb1EES19_EEDaS14_S15_EUlS14_E_NS1_11comp_targetILNS1_3genE0ELNS1_11target_archE4294967295ELNS1_3gpuE0ELNS1_3repE0EEENS1_30default_config_static_selectorELNS0_4arch9wavefront6targetE1EEEvT1_ ; -- Begin function _ZN7rocprim17ROCPRIM_400000_NS6detail17trampoline_kernelINS0_14default_configENS1_25partition_config_selectorILNS1_17partition_subalgoE0EtNS0_10empty_typeEbEEZZNS1_14partition_implILS5_0ELb0ES3_jN6thrust23THRUST_200600_302600_NS6detail15normal_iteratorINSA_10device_ptrItEEEEPS6_SG_NS0_5tupleIJNSA_16discard_iteratorINSA_11use_defaultEEESF_EEENSH_IJSG_SG_EEES6_PlJ7is_evenItEEEE10hipError_tPvRmT3_T4_T5_T6_T7_T9_mT8_P12ihipStream_tbDpT10_ENKUlT_T0_E_clISt17integral_constantIbLb1EES19_EEDaS14_S15_EUlS14_E_NS1_11comp_targetILNS1_3genE0ELNS1_11target_archE4294967295ELNS1_3gpuE0ELNS1_3repE0EEENS1_30default_config_static_selectorELNS0_4arch9wavefront6targetE1EEEvT1_
	.globl	_ZN7rocprim17ROCPRIM_400000_NS6detail17trampoline_kernelINS0_14default_configENS1_25partition_config_selectorILNS1_17partition_subalgoE0EtNS0_10empty_typeEbEEZZNS1_14partition_implILS5_0ELb0ES3_jN6thrust23THRUST_200600_302600_NS6detail15normal_iteratorINSA_10device_ptrItEEEEPS6_SG_NS0_5tupleIJNSA_16discard_iteratorINSA_11use_defaultEEESF_EEENSH_IJSG_SG_EEES6_PlJ7is_evenItEEEE10hipError_tPvRmT3_T4_T5_T6_T7_T9_mT8_P12ihipStream_tbDpT10_ENKUlT_T0_E_clISt17integral_constantIbLb1EES19_EEDaS14_S15_EUlS14_E_NS1_11comp_targetILNS1_3genE0ELNS1_11target_archE4294967295ELNS1_3gpuE0ELNS1_3repE0EEENS1_30default_config_static_selectorELNS0_4arch9wavefront6targetE1EEEvT1_
	.p2align	8
	.type	_ZN7rocprim17ROCPRIM_400000_NS6detail17trampoline_kernelINS0_14default_configENS1_25partition_config_selectorILNS1_17partition_subalgoE0EtNS0_10empty_typeEbEEZZNS1_14partition_implILS5_0ELb0ES3_jN6thrust23THRUST_200600_302600_NS6detail15normal_iteratorINSA_10device_ptrItEEEEPS6_SG_NS0_5tupleIJNSA_16discard_iteratorINSA_11use_defaultEEESF_EEENSH_IJSG_SG_EEES6_PlJ7is_evenItEEEE10hipError_tPvRmT3_T4_T5_T6_T7_T9_mT8_P12ihipStream_tbDpT10_ENKUlT_T0_E_clISt17integral_constantIbLb1EES19_EEDaS14_S15_EUlS14_E_NS1_11comp_targetILNS1_3genE0ELNS1_11target_archE4294967295ELNS1_3gpuE0ELNS1_3repE0EEENS1_30default_config_static_selectorELNS0_4arch9wavefront6targetE1EEEvT1_,@function
_ZN7rocprim17ROCPRIM_400000_NS6detail17trampoline_kernelINS0_14default_configENS1_25partition_config_selectorILNS1_17partition_subalgoE0EtNS0_10empty_typeEbEEZZNS1_14partition_implILS5_0ELb0ES3_jN6thrust23THRUST_200600_302600_NS6detail15normal_iteratorINSA_10device_ptrItEEEEPS6_SG_NS0_5tupleIJNSA_16discard_iteratorINSA_11use_defaultEEESF_EEENSH_IJSG_SG_EEES6_PlJ7is_evenItEEEE10hipError_tPvRmT3_T4_T5_T6_T7_T9_mT8_P12ihipStream_tbDpT10_ENKUlT_T0_E_clISt17integral_constantIbLb1EES19_EEDaS14_S15_EUlS14_E_NS1_11comp_targetILNS1_3genE0ELNS1_11target_archE4294967295ELNS1_3gpuE0ELNS1_3repE0EEENS1_30default_config_static_selectorELNS0_4arch9wavefront6targetE1EEEvT1_: ; @_ZN7rocprim17ROCPRIM_400000_NS6detail17trampoline_kernelINS0_14default_configENS1_25partition_config_selectorILNS1_17partition_subalgoE0EtNS0_10empty_typeEbEEZZNS1_14partition_implILS5_0ELb0ES3_jN6thrust23THRUST_200600_302600_NS6detail15normal_iteratorINSA_10device_ptrItEEEEPS6_SG_NS0_5tupleIJNSA_16discard_iteratorINSA_11use_defaultEEESF_EEENSH_IJSG_SG_EEES6_PlJ7is_evenItEEEE10hipError_tPvRmT3_T4_T5_T6_T7_T9_mT8_P12ihipStream_tbDpT10_ENKUlT_T0_E_clISt17integral_constantIbLb1EES19_EEDaS14_S15_EUlS14_E_NS1_11comp_targetILNS1_3genE0ELNS1_11target_archE4294967295ELNS1_3gpuE0ELNS1_3repE0EEENS1_30default_config_static_selectorELNS0_4arch9wavefront6targetE1EEEvT1_
; %bb.0:
	.section	.rodata,"a",@progbits
	.p2align	6, 0x0
	.amdhsa_kernel _ZN7rocprim17ROCPRIM_400000_NS6detail17trampoline_kernelINS0_14default_configENS1_25partition_config_selectorILNS1_17partition_subalgoE0EtNS0_10empty_typeEbEEZZNS1_14partition_implILS5_0ELb0ES3_jN6thrust23THRUST_200600_302600_NS6detail15normal_iteratorINSA_10device_ptrItEEEEPS6_SG_NS0_5tupleIJNSA_16discard_iteratorINSA_11use_defaultEEESF_EEENSH_IJSG_SG_EEES6_PlJ7is_evenItEEEE10hipError_tPvRmT3_T4_T5_T6_T7_T9_mT8_P12ihipStream_tbDpT10_ENKUlT_T0_E_clISt17integral_constantIbLb1EES19_EEDaS14_S15_EUlS14_E_NS1_11comp_targetILNS1_3genE0ELNS1_11target_archE4294967295ELNS1_3gpuE0ELNS1_3repE0EEENS1_30default_config_static_selectorELNS0_4arch9wavefront6targetE1EEEvT1_
		.amdhsa_group_segment_fixed_size 0
		.amdhsa_private_segment_fixed_size 0
		.amdhsa_kernarg_size 144
		.amdhsa_user_sgpr_count 6
		.amdhsa_user_sgpr_private_segment_buffer 1
		.amdhsa_user_sgpr_dispatch_ptr 0
		.amdhsa_user_sgpr_queue_ptr 0
		.amdhsa_user_sgpr_kernarg_segment_ptr 1
		.amdhsa_user_sgpr_dispatch_id 0
		.amdhsa_user_sgpr_flat_scratch_init 0
		.amdhsa_user_sgpr_kernarg_preload_length 0
		.amdhsa_user_sgpr_kernarg_preload_offset 0
		.amdhsa_user_sgpr_private_segment_size 0
		.amdhsa_uses_dynamic_stack 0
		.amdhsa_system_sgpr_private_segment_wavefront_offset 0
		.amdhsa_system_sgpr_workgroup_id_x 1
		.amdhsa_system_sgpr_workgroup_id_y 0
		.amdhsa_system_sgpr_workgroup_id_z 0
		.amdhsa_system_sgpr_workgroup_info 0
		.amdhsa_system_vgpr_workitem_id 0
		.amdhsa_next_free_vgpr 1
		.amdhsa_next_free_sgpr 0
		.amdhsa_accum_offset 4
		.amdhsa_reserve_vcc 0
		.amdhsa_reserve_flat_scratch 0
		.amdhsa_float_round_mode_32 0
		.amdhsa_float_round_mode_16_64 0
		.amdhsa_float_denorm_mode_32 3
		.amdhsa_float_denorm_mode_16_64 3
		.amdhsa_dx10_clamp 1
		.amdhsa_ieee_mode 1
		.amdhsa_fp16_overflow 0
		.amdhsa_tg_split 0
		.amdhsa_exception_fp_ieee_invalid_op 0
		.amdhsa_exception_fp_denorm_src 0
		.amdhsa_exception_fp_ieee_div_zero 0
		.amdhsa_exception_fp_ieee_overflow 0
		.amdhsa_exception_fp_ieee_underflow 0
		.amdhsa_exception_fp_ieee_inexact 0
		.amdhsa_exception_int_div_zero 0
	.end_amdhsa_kernel
	.section	.text._ZN7rocprim17ROCPRIM_400000_NS6detail17trampoline_kernelINS0_14default_configENS1_25partition_config_selectorILNS1_17partition_subalgoE0EtNS0_10empty_typeEbEEZZNS1_14partition_implILS5_0ELb0ES3_jN6thrust23THRUST_200600_302600_NS6detail15normal_iteratorINSA_10device_ptrItEEEEPS6_SG_NS0_5tupleIJNSA_16discard_iteratorINSA_11use_defaultEEESF_EEENSH_IJSG_SG_EEES6_PlJ7is_evenItEEEE10hipError_tPvRmT3_T4_T5_T6_T7_T9_mT8_P12ihipStream_tbDpT10_ENKUlT_T0_E_clISt17integral_constantIbLb1EES19_EEDaS14_S15_EUlS14_E_NS1_11comp_targetILNS1_3genE0ELNS1_11target_archE4294967295ELNS1_3gpuE0ELNS1_3repE0EEENS1_30default_config_static_selectorELNS0_4arch9wavefront6targetE1EEEvT1_,"axG",@progbits,_ZN7rocprim17ROCPRIM_400000_NS6detail17trampoline_kernelINS0_14default_configENS1_25partition_config_selectorILNS1_17partition_subalgoE0EtNS0_10empty_typeEbEEZZNS1_14partition_implILS5_0ELb0ES3_jN6thrust23THRUST_200600_302600_NS6detail15normal_iteratorINSA_10device_ptrItEEEEPS6_SG_NS0_5tupleIJNSA_16discard_iteratorINSA_11use_defaultEEESF_EEENSH_IJSG_SG_EEES6_PlJ7is_evenItEEEE10hipError_tPvRmT3_T4_T5_T6_T7_T9_mT8_P12ihipStream_tbDpT10_ENKUlT_T0_E_clISt17integral_constantIbLb1EES19_EEDaS14_S15_EUlS14_E_NS1_11comp_targetILNS1_3genE0ELNS1_11target_archE4294967295ELNS1_3gpuE0ELNS1_3repE0EEENS1_30default_config_static_selectorELNS0_4arch9wavefront6targetE1EEEvT1_,comdat
.Lfunc_end2563:
	.size	_ZN7rocprim17ROCPRIM_400000_NS6detail17trampoline_kernelINS0_14default_configENS1_25partition_config_selectorILNS1_17partition_subalgoE0EtNS0_10empty_typeEbEEZZNS1_14partition_implILS5_0ELb0ES3_jN6thrust23THRUST_200600_302600_NS6detail15normal_iteratorINSA_10device_ptrItEEEEPS6_SG_NS0_5tupleIJNSA_16discard_iteratorINSA_11use_defaultEEESF_EEENSH_IJSG_SG_EEES6_PlJ7is_evenItEEEE10hipError_tPvRmT3_T4_T5_T6_T7_T9_mT8_P12ihipStream_tbDpT10_ENKUlT_T0_E_clISt17integral_constantIbLb1EES19_EEDaS14_S15_EUlS14_E_NS1_11comp_targetILNS1_3genE0ELNS1_11target_archE4294967295ELNS1_3gpuE0ELNS1_3repE0EEENS1_30default_config_static_selectorELNS0_4arch9wavefront6targetE1EEEvT1_, .Lfunc_end2563-_ZN7rocprim17ROCPRIM_400000_NS6detail17trampoline_kernelINS0_14default_configENS1_25partition_config_selectorILNS1_17partition_subalgoE0EtNS0_10empty_typeEbEEZZNS1_14partition_implILS5_0ELb0ES3_jN6thrust23THRUST_200600_302600_NS6detail15normal_iteratorINSA_10device_ptrItEEEEPS6_SG_NS0_5tupleIJNSA_16discard_iteratorINSA_11use_defaultEEESF_EEENSH_IJSG_SG_EEES6_PlJ7is_evenItEEEE10hipError_tPvRmT3_T4_T5_T6_T7_T9_mT8_P12ihipStream_tbDpT10_ENKUlT_T0_E_clISt17integral_constantIbLb1EES19_EEDaS14_S15_EUlS14_E_NS1_11comp_targetILNS1_3genE0ELNS1_11target_archE4294967295ELNS1_3gpuE0ELNS1_3repE0EEENS1_30default_config_static_selectorELNS0_4arch9wavefront6targetE1EEEvT1_
                                        ; -- End function
	.section	.AMDGPU.csdata,"",@progbits
; Kernel info:
; codeLenInByte = 0
; NumSgprs: 4
; NumVgprs: 0
; NumAgprs: 0
; TotalNumVgprs: 0
; ScratchSize: 0
; MemoryBound: 0
; FloatMode: 240
; IeeeMode: 1
; LDSByteSize: 0 bytes/workgroup (compile time only)
; SGPRBlocks: 0
; VGPRBlocks: 0
; NumSGPRsForWavesPerEU: 4
; NumVGPRsForWavesPerEU: 1
; AccumOffset: 4
; Occupancy: 8
; WaveLimiterHint : 0
; COMPUTE_PGM_RSRC2:SCRATCH_EN: 0
; COMPUTE_PGM_RSRC2:USER_SGPR: 6
; COMPUTE_PGM_RSRC2:TRAP_HANDLER: 0
; COMPUTE_PGM_RSRC2:TGID_X_EN: 1
; COMPUTE_PGM_RSRC2:TGID_Y_EN: 0
; COMPUTE_PGM_RSRC2:TGID_Z_EN: 0
; COMPUTE_PGM_RSRC2:TIDIG_COMP_CNT: 0
; COMPUTE_PGM_RSRC3_GFX90A:ACCUM_OFFSET: 0
; COMPUTE_PGM_RSRC3_GFX90A:TG_SPLIT: 0
	.section	.text._ZN7rocprim17ROCPRIM_400000_NS6detail17trampoline_kernelINS0_14default_configENS1_25partition_config_selectorILNS1_17partition_subalgoE0EtNS0_10empty_typeEbEEZZNS1_14partition_implILS5_0ELb0ES3_jN6thrust23THRUST_200600_302600_NS6detail15normal_iteratorINSA_10device_ptrItEEEEPS6_SG_NS0_5tupleIJNSA_16discard_iteratorINSA_11use_defaultEEESF_EEENSH_IJSG_SG_EEES6_PlJ7is_evenItEEEE10hipError_tPvRmT3_T4_T5_T6_T7_T9_mT8_P12ihipStream_tbDpT10_ENKUlT_T0_E_clISt17integral_constantIbLb1EES19_EEDaS14_S15_EUlS14_E_NS1_11comp_targetILNS1_3genE5ELNS1_11target_archE942ELNS1_3gpuE9ELNS1_3repE0EEENS1_30default_config_static_selectorELNS0_4arch9wavefront6targetE1EEEvT1_,"axG",@progbits,_ZN7rocprim17ROCPRIM_400000_NS6detail17trampoline_kernelINS0_14default_configENS1_25partition_config_selectorILNS1_17partition_subalgoE0EtNS0_10empty_typeEbEEZZNS1_14partition_implILS5_0ELb0ES3_jN6thrust23THRUST_200600_302600_NS6detail15normal_iteratorINSA_10device_ptrItEEEEPS6_SG_NS0_5tupleIJNSA_16discard_iteratorINSA_11use_defaultEEESF_EEENSH_IJSG_SG_EEES6_PlJ7is_evenItEEEE10hipError_tPvRmT3_T4_T5_T6_T7_T9_mT8_P12ihipStream_tbDpT10_ENKUlT_T0_E_clISt17integral_constantIbLb1EES19_EEDaS14_S15_EUlS14_E_NS1_11comp_targetILNS1_3genE5ELNS1_11target_archE942ELNS1_3gpuE9ELNS1_3repE0EEENS1_30default_config_static_selectorELNS0_4arch9wavefront6targetE1EEEvT1_,comdat
	.protected	_ZN7rocprim17ROCPRIM_400000_NS6detail17trampoline_kernelINS0_14default_configENS1_25partition_config_selectorILNS1_17partition_subalgoE0EtNS0_10empty_typeEbEEZZNS1_14partition_implILS5_0ELb0ES3_jN6thrust23THRUST_200600_302600_NS6detail15normal_iteratorINSA_10device_ptrItEEEEPS6_SG_NS0_5tupleIJNSA_16discard_iteratorINSA_11use_defaultEEESF_EEENSH_IJSG_SG_EEES6_PlJ7is_evenItEEEE10hipError_tPvRmT3_T4_T5_T6_T7_T9_mT8_P12ihipStream_tbDpT10_ENKUlT_T0_E_clISt17integral_constantIbLb1EES19_EEDaS14_S15_EUlS14_E_NS1_11comp_targetILNS1_3genE5ELNS1_11target_archE942ELNS1_3gpuE9ELNS1_3repE0EEENS1_30default_config_static_selectorELNS0_4arch9wavefront6targetE1EEEvT1_ ; -- Begin function _ZN7rocprim17ROCPRIM_400000_NS6detail17trampoline_kernelINS0_14default_configENS1_25partition_config_selectorILNS1_17partition_subalgoE0EtNS0_10empty_typeEbEEZZNS1_14partition_implILS5_0ELb0ES3_jN6thrust23THRUST_200600_302600_NS6detail15normal_iteratorINSA_10device_ptrItEEEEPS6_SG_NS0_5tupleIJNSA_16discard_iteratorINSA_11use_defaultEEESF_EEENSH_IJSG_SG_EEES6_PlJ7is_evenItEEEE10hipError_tPvRmT3_T4_T5_T6_T7_T9_mT8_P12ihipStream_tbDpT10_ENKUlT_T0_E_clISt17integral_constantIbLb1EES19_EEDaS14_S15_EUlS14_E_NS1_11comp_targetILNS1_3genE5ELNS1_11target_archE942ELNS1_3gpuE9ELNS1_3repE0EEENS1_30default_config_static_selectorELNS0_4arch9wavefront6targetE1EEEvT1_
	.globl	_ZN7rocprim17ROCPRIM_400000_NS6detail17trampoline_kernelINS0_14default_configENS1_25partition_config_selectorILNS1_17partition_subalgoE0EtNS0_10empty_typeEbEEZZNS1_14partition_implILS5_0ELb0ES3_jN6thrust23THRUST_200600_302600_NS6detail15normal_iteratorINSA_10device_ptrItEEEEPS6_SG_NS0_5tupleIJNSA_16discard_iteratorINSA_11use_defaultEEESF_EEENSH_IJSG_SG_EEES6_PlJ7is_evenItEEEE10hipError_tPvRmT3_T4_T5_T6_T7_T9_mT8_P12ihipStream_tbDpT10_ENKUlT_T0_E_clISt17integral_constantIbLb1EES19_EEDaS14_S15_EUlS14_E_NS1_11comp_targetILNS1_3genE5ELNS1_11target_archE942ELNS1_3gpuE9ELNS1_3repE0EEENS1_30default_config_static_selectorELNS0_4arch9wavefront6targetE1EEEvT1_
	.p2align	8
	.type	_ZN7rocprim17ROCPRIM_400000_NS6detail17trampoline_kernelINS0_14default_configENS1_25partition_config_selectorILNS1_17partition_subalgoE0EtNS0_10empty_typeEbEEZZNS1_14partition_implILS5_0ELb0ES3_jN6thrust23THRUST_200600_302600_NS6detail15normal_iteratorINSA_10device_ptrItEEEEPS6_SG_NS0_5tupleIJNSA_16discard_iteratorINSA_11use_defaultEEESF_EEENSH_IJSG_SG_EEES6_PlJ7is_evenItEEEE10hipError_tPvRmT3_T4_T5_T6_T7_T9_mT8_P12ihipStream_tbDpT10_ENKUlT_T0_E_clISt17integral_constantIbLb1EES19_EEDaS14_S15_EUlS14_E_NS1_11comp_targetILNS1_3genE5ELNS1_11target_archE942ELNS1_3gpuE9ELNS1_3repE0EEENS1_30default_config_static_selectorELNS0_4arch9wavefront6targetE1EEEvT1_,@function
_ZN7rocprim17ROCPRIM_400000_NS6detail17trampoline_kernelINS0_14default_configENS1_25partition_config_selectorILNS1_17partition_subalgoE0EtNS0_10empty_typeEbEEZZNS1_14partition_implILS5_0ELb0ES3_jN6thrust23THRUST_200600_302600_NS6detail15normal_iteratorINSA_10device_ptrItEEEEPS6_SG_NS0_5tupleIJNSA_16discard_iteratorINSA_11use_defaultEEESF_EEENSH_IJSG_SG_EEES6_PlJ7is_evenItEEEE10hipError_tPvRmT3_T4_T5_T6_T7_T9_mT8_P12ihipStream_tbDpT10_ENKUlT_T0_E_clISt17integral_constantIbLb1EES19_EEDaS14_S15_EUlS14_E_NS1_11comp_targetILNS1_3genE5ELNS1_11target_archE942ELNS1_3gpuE9ELNS1_3repE0EEENS1_30default_config_static_selectorELNS0_4arch9wavefront6targetE1EEEvT1_: ; @_ZN7rocprim17ROCPRIM_400000_NS6detail17trampoline_kernelINS0_14default_configENS1_25partition_config_selectorILNS1_17partition_subalgoE0EtNS0_10empty_typeEbEEZZNS1_14partition_implILS5_0ELb0ES3_jN6thrust23THRUST_200600_302600_NS6detail15normal_iteratorINSA_10device_ptrItEEEEPS6_SG_NS0_5tupleIJNSA_16discard_iteratorINSA_11use_defaultEEESF_EEENSH_IJSG_SG_EEES6_PlJ7is_evenItEEEE10hipError_tPvRmT3_T4_T5_T6_T7_T9_mT8_P12ihipStream_tbDpT10_ENKUlT_T0_E_clISt17integral_constantIbLb1EES19_EEDaS14_S15_EUlS14_E_NS1_11comp_targetILNS1_3genE5ELNS1_11target_archE942ELNS1_3gpuE9ELNS1_3repE0EEENS1_30default_config_static_selectorELNS0_4arch9wavefront6targetE1EEEvT1_
; %bb.0:
	.section	.rodata,"a",@progbits
	.p2align	6, 0x0
	.amdhsa_kernel _ZN7rocprim17ROCPRIM_400000_NS6detail17trampoline_kernelINS0_14default_configENS1_25partition_config_selectorILNS1_17partition_subalgoE0EtNS0_10empty_typeEbEEZZNS1_14partition_implILS5_0ELb0ES3_jN6thrust23THRUST_200600_302600_NS6detail15normal_iteratorINSA_10device_ptrItEEEEPS6_SG_NS0_5tupleIJNSA_16discard_iteratorINSA_11use_defaultEEESF_EEENSH_IJSG_SG_EEES6_PlJ7is_evenItEEEE10hipError_tPvRmT3_T4_T5_T6_T7_T9_mT8_P12ihipStream_tbDpT10_ENKUlT_T0_E_clISt17integral_constantIbLb1EES19_EEDaS14_S15_EUlS14_E_NS1_11comp_targetILNS1_3genE5ELNS1_11target_archE942ELNS1_3gpuE9ELNS1_3repE0EEENS1_30default_config_static_selectorELNS0_4arch9wavefront6targetE1EEEvT1_
		.amdhsa_group_segment_fixed_size 0
		.amdhsa_private_segment_fixed_size 0
		.amdhsa_kernarg_size 144
		.amdhsa_user_sgpr_count 6
		.amdhsa_user_sgpr_private_segment_buffer 1
		.amdhsa_user_sgpr_dispatch_ptr 0
		.amdhsa_user_sgpr_queue_ptr 0
		.amdhsa_user_sgpr_kernarg_segment_ptr 1
		.amdhsa_user_sgpr_dispatch_id 0
		.amdhsa_user_sgpr_flat_scratch_init 0
		.amdhsa_user_sgpr_kernarg_preload_length 0
		.amdhsa_user_sgpr_kernarg_preload_offset 0
		.amdhsa_user_sgpr_private_segment_size 0
		.amdhsa_uses_dynamic_stack 0
		.amdhsa_system_sgpr_private_segment_wavefront_offset 0
		.amdhsa_system_sgpr_workgroup_id_x 1
		.amdhsa_system_sgpr_workgroup_id_y 0
		.amdhsa_system_sgpr_workgroup_id_z 0
		.amdhsa_system_sgpr_workgroup_info 0
		.amdhsa_system_vgpr_workitem_id 0
		.amdhsa_next_free_vgpr 1
		.amdhsa_next_free_sgpr 0
		.amdhsa_accum_offset 4
		.amdhsa_reserve_vcc 0
		.amdhsa_reserve_flat_scratch 0
		.amdhsa_float_round_mode_32 0
		.amdhsa_float_round_mode_16_64 0
		.amdhsa_float_denorm_mode_32 3
		.amdhsa_float_denorm_mode_16_64 3
		.amdhsa_dx10_clamp 1
		.amdhsa_ieee_mode 1
		.amdhsa_fp16_overflow 0
		.amdhsa_tg_split 0
		.amdhsa_exception_fp_ieee_invalid_op 0
		.amdhsa_exception_fp_denorm_src 0
		.amdhsa_exception_fp_ieee_div_zero 0
		.amdhsa_exception_fp_ieee_overflow 0
		.amdhsa_exception_fp_ieee_underflow 0
		.amdhsa_exception_fp_ieee_inexact 0
		.amdhsa_exception_int_div_zero 0
	.end_amdhsa_kernel
	.section	.text._ZN7rocprim17ROCPRIM_400000_NS6detail17trampoline_kernelINS0_14default_configENS1_25partition_config_selectorILNS1_17partition_subalgoE0EtNS0_10empty_typeEbEEZZNS1_14partition_implILS5_0ELb0ES3_jN6thrust23THRUST_200600_302600_NS6detail15normal_iteratorINSA_10device_ptrItEEEEPS6_SG_NS0_5tupleIJNSA_16discard_iteratorINSA_11use_defaultEEESF_EEENSH_IJSG_SG_EEES6_PlJ7is_evenItEEEE10hipError_tPvRmT3_T4_T5_T6_T7_T9_mT8_P12ihipStream_tbDpT10_ENKUlT_T0_E_clISt17integral_constantIbLb1EES19_EEDaS14_S15_EUlS14_E_NS1_11comp_targetILNS1_3genE5ELNS1_11target_archE942ELNS1_3gpuE9ELNS1_3repE0EEENS1_30default_config_static_selectorELNS0_4arch9wavefront6targetE1EEEvT1_,"axG",@progbits,_ZN7rocprim17ROCPRIM_400000_NS6detail17trampoline_kernelINS0_14default_configENS1_25partition_config_selectorILNS1_17partition_subalgoE0EtNS0_10empty_typeEbEEZZNS1_14partition_implILS5_0ELb0ES3_jN6thrust23THRUST_200600_302600_NS6detail15normal_iteratorINSA_10device_ptrItEEEEPS6_SG_NS0_5tupleIJNSA_16discard_iteratorINSA_11use_defaultEEESF_EEENSH_IJSG_SG_EEES6_PlJ7is_evenItEEEE10hipError_tPvRmT3_T4_T5_T6_T7_T9_mT8_P12ihipStream_tbDpT10_ENKUlT_T0_E_clISt17integral_constantIbLb1EES19_EEDaS14_S15_EUlS14_E_NS1_11comp_targetILNS1_3genE5ELNS1_11target_archE942ELNS1_3gpuE9ELNS1_3repE0EEENS1_30default_config_static_selectorELNS0_4arch9wavefront6targetE1EEEvT1_,comdat
.Lfunc_end2564:
	.size	_ZN7rocprim17ROCPRIM_400000_NS6detail17trampoline_kernelINS0_14default_configENS1_25partition_config_selectorILNS1_17partition_subalgoE0EtNS0_10empty_typeEbEEZZNS1_14partition_implILS5_0ELb0ES3_jN6thrust23THRUST_200600_302600_NS6detail15normal_iteratorINSA_10device_ptrItEEEEPS6_SG_NS0_5tupleIJNSA_16discard_iteratorINSA_11use_defaultEEESF_EEENSH_IJSG_SG_EEES6_PlJ7is_evenItEEEE10hipError_tPvRmT3_T4_T5_T6_T7_T9_mT8_P12ihipStream_tbDpT10_ENKUlT_T0_E_clISt17integral_constantIbLb1EES19_EEDaS14_S15_EUlS14_E_NS1_11comp_targetILNS1_3genE5ELNS1_11target_archE942ELNS1_3gpuE9ELNS1_3repE0EEENS1_30default_config_static_selectorELNS0_4arch9wavefront6targetE1EEEvT1_, .Lfunc_end2564-_ZN7rocprim17ROCPRIM_400000_NS6detail17trampoline_kernelINS0_14default_configENS1_25partition_config_selectorILNS1_17partition_subalgoE0EtNS0_10empty_typeEbEEZZNS1_14partition_implILS5_0ELb0ES3_jN6thrust23THRUST_200600_302600_NS6detail15normal_iteratorINSA_10device_ptrItEEEEPS6_SG_NS0_5tupleIJNSA_16discard_iteratorINSA_11use_defaultEEESF_EEENSH_IJSG_SG_EEES6_PlJ7is_evenItEEEE10hipError_tPvRmT3_T4_T5_T6_T7_T9_mT8_P12ihipStream_tbDpT10_ENKUlT_T0_E_clISt17integral_constantIbLb1EES19_EEDaS14_S15_EUlS14_E_NS1_11comp_targetILNS1_3genE5ELNS1_11target_archE942ELNS1_3gpuE9ELNS1_3repE0EEENS1_30default_config_static_selectorELNS0_4arch9wavefront6targetE1EEEvT1_
                                        ; -- End function
	.section	.AMDGPU.csdata,"",@progbits
; Kernel info:
; codeLenInByte = 0
; NumSgprs: 4
; NumVgprs: 0
; NumAgprs: 0
; TotalNumVgprs: 0
; ScratchSize: 0
; MemoryBound: 0
; FloatMode: 240
; IeeeMode: 1
; LDSByteSize: 0 bytes/workgroup (compile time only)
; SGPRBlocks: 0
; VGPRBlocks: 0
; NumSGPRsForWavesPerEU: 4
; NumVGPRsForWavesPerEU: 1
; AccumOffset: 4
; Occupancy: 8
; WaveLimiterHint : 0
; COMPUTE_PGM_RSRC2:SCRATCH_EN: 0
; COMPUTE_PGM_RSRC2:USER_SGPR: 6
; COMPUTE_PGM_RSRC2:TRAP_HANDLER: 0
; COMPUTE_PGM_RSRC2:TGID_X_EN: 1
; COMPUTE_PGM_RSRC2:TGID_Y_EN: 0
; COMPUTE_PGM_RSRC2:TGID_Z_EN: 0
; COMPUTE_PGM_RSRC2:TIDIG_COMP_CNT: 0
; COMPUTE_PGM_RSRC3_GFX90A:ACCUM_OFFSET: 0
; COMPUTE_PGM_RSRC3_GFX90A:TG_SPLIT: 0
	.section	.text._ZN7rocprim17ROCPRIM_400000_NS6detail17trampoline_kernelINS0_14default_configENS1_25partition_config_selectorILNS1_17partition_subalgoE0EtNS0_10empty_typeEbEEZZNS1_14partition_implILS5_0ELb0ES3_jN6thrust23THRUST_200600_302600_NS6detail15normal_iteratorINSA_10device_ptrItEEEEPS6_SG_NS0_5tupleIJNSA_16discard_iteratorINSA_11use_defaultEEESF_EEENSH_IJSG_SG_EEES6_PlJ7is_evenItEEEE10hipError_tPvRmT3_T4_T5_T6_T7_T9_mT8_P12ihipStream_tbDpT10_ENKUlT_T0_E_clISt17integral_constantIbLb1EES19_EEDaS14_S15_EUlS14_E_NS1_11comp_targetILNS1_3genE4ELNS1_11target_archE910ELNS1_3gpuE8ELNS1_3repE0EEENS1_30default_config_static_selectorELNS0_4arch9wavefront6targetE1EEEvT1_,"axG",@progbits,_ZN7rocprim17ROCPRIM_400000_NS6detail17trampoline_kernelINS0_14default_configENS1_25partition_config_selectorILNS1_17partition_subalgoE0EtNS0_10empty_typeEbEEZZNS1_14partition_implILS5_0ELb0ES3_jN6thrust23THRUST_200600_302600_NS6detail15normal_iteratorINSA_10device_ptrItEEEEPS6_SG_NS0_5tupleIJNSA_16discard_iteratorINSA_11use_defaultEEESF_EEENSH_IJSG_SG_EEES6_PlJ7is_evenItEEEE10hipError_tPvRmT3_T4_T5_T6_T7_T9_mT8_P12ihipStream_tbDpT10_ENKUlT_T0_E_clISt17integral_constantIbLb1EES19_EEDaS14_S15_EUlS14_E_NS1_11comp_targetILNS1_3genE4ELNS1_11target_archE910ELNS1_3gpuE8ELNS1_3repE0EEENS1_30default_config_static_selectorELNS0_4arch9wavefront6targetE1EEEvT1_,comdat
	.protected	_ZN7rocprim17ROCPRIM_400000_NS6detail17trampoline_kernelINS0_14default_configENS1_25partition_config_selectorILNS1_17partition_subalgoE0EtNS0_10empty_typeEbEEZZNS1_14partition_implILS5_0ELb0ES3_jN6thrust23THRUST_200600_302600_NS6detail15normal_iteratorINSA_10device_ptrItEEEEPS6_SG_NS0_5tupleIJNSA_16discard_iteratorINSA_11use_defaultEEESF_EEENSH_IJSG_SG_EEES6_PlJ7is_evenItEEEE10hipError_tPvRmT3_T4_T5_T6_T7_T9_mT8_P12ihipStream_tbDpT10_ENKUlT_T0_E_clISt17integral_constantIbLb1EES19_EEDaS14_S15_EUlS14_E_NS1_11comp_targetILNS1_3genE4ELNS1_11target_archE910ELNS1_3gpuE8ELNS1_3repE0EEENS1_30default_config_static_selectorELNS0_4arch9wavefront6targetE1EEEvT1_ ; -- Begin function _ZN7rocprim17ROCPRIM_400000_NS6detail17trampoline_kernelINS0_14default_configENS1_25partition_config_selectorILNS1_17partition_subalgoE0EtNS0_10empty_typeEbEEZZNS1_14partition_implILS5_0ELb0ES3_jN6thrust23THRUST_200600_302600_NS6detail15normal_iteratorINSA_10device_ptrItEEEEPS6_SG_NS0_5tupleIJNSA_16discard_iteratorINSA_11use_defaultEEESF_EEENSH_IJSG_SG_EEES6_PlJ7is_evenItEEEE10hipError_tPvRmT3_T4_T5_T6_T7_T9_mT8_P12ihipStream_tbDpT10_ENKUlT_T0_E_clISt17integral_constantIbLb1EES19_EEDaS14_S15_EUlS14_E_NS1_11comp_targetILNS1_3genE4ELNS1_11target_archE910ELNS1_3gpuE8ELNS1_3repE0EEENS1_30default_config_static_selectorELNS0_4arch9wavefront6targetE1EEEvT1_
	.globl	_ZN7rocprim17ROCPRIM_400000_NS6detail17trampoline_kernelINS0_14default_configENS1_25partition_config_selectorILNS1_17partition_subalgoE0EtNS0_10empty_typeEbEEZZNS1_14partition_implILS5_0ELb0ES3_jN6thrust23THRUST_200600_302600_NS6detail15normal_iteratorINSA_10device_ptrItEEEEPS6_SG_NS0_5tupleIJNSA_16discard_iteratorINSA_11use_defaultEEESF_EEENSH_IJSG_SG_EEES6_PlJ7is_evenItEEEE10hipError_tPvRmT3_T4_T5_T6_T7_T9_mT8_P12ihipStream_tbDpT10_ENKUlT_T0_E_clISt17integral_constantIbLb1EES19_EEDaS14_S15_EUlS14_E_NS1_11comp_targetILNS1_3genE4ELNS1_11target_archE910ELNS1_3gpuE8ELNS1_3repE0EEENS1_30default_config_static_selectorELNS0_4arch9wavefront6targetE1EEEvT1_
	.p2align	8
	.type	_ZN7rocprim17ROCPRIM_400000_NS6detail17trampoline_kernelINS0_14default_configENS1_25partition_config_selectorILNS1_17partition_subalgoE0EtNS0_10empty_typeEbEEZZNS1_14partition_implILS5_0ELb0ES3_jN6thrust23THRUST_200600_302600_NS6detail15normal_iteratorINSA_10device_ptrItEEEEPS6_SG_NS0_5tupleIJNSA_16discard_iteratorINSA_11use_defaultEEESF_EEENSH_IJSG_SG_EEES6_PlJ7is_evenItEEEE10hipError_tPvRmT3_T4_T5_T6_T7_T9_mT8_P12ihipStream_tbDpT10_ENKUlT_T0_E_clISt17integral_constantIbLb1EES19_EEDaS14_S15_EUlS14_E_NS1_11comp_targetILNS1_3genE4ELNS1_11target_archE910ELNS1_3gpuE8ELNS1_3repE0EEENS1_30default_config_static_selectorELNS0_4arch9wavefront6targetE1EEEvT1_,@function
_ZN7rocprim17ROCPRIM_400000_NS6detail17trampoline_kernelINS0_14default_configENS1_25partition_config_selectorILNS1_17partition_subalgoE0EtNS0_10empty_typeEbEEZZNS1_14partition_implILS5_0ELb0ES3_jN6thrust23THRUST_200600_302600_NS6detail15normal_iteratorINSA_10device_ptrItEEEEPS6_SG_NS0_5tupleIJNSA_16discard_iteratorINSA_11use_defaultEEESF_EEENSH_IJSG_SG_EEES6_PlJ7is_evenItEEEE10hipError_tPvRmT3_T4_T5_T6_T7_T9_mT8_P12ihipStream_tbDpT10_ENKUlT_T0_E_clISt17integral_constantIbLb1EES19_EEDaS14_S15_EUlS14_E_NS1_11comp_targetILNS1_3genE4ELNS1_11target_archE910ELNS1_3gpuE8ELNS1_3repE0EEENS1_30default_config_static_selectorELNS0_4arch9wavefront6targetE1EEEvT1_: ; @_ZN7rocprim17ROCPRIM_400000_NS6detail17trampoline_kernelINS0_14default_configENS1_25partition_config_selectorILNS1_17partition_subalgoE0EtNS0_10empty_typeEbEEZZNS1_14partition_implILS5_0ELb0ES3_jN6thrust23THRUST_200600_302600_NS6detail15normal_iteratorINSA_10device_ptrItEEEEPS6_SG_NS0_5tupleIJNSA_16discard_iteratorINSA_11use_defaultEEESF_EEENSH_IJSG_SG_EEES6_PlJ7is_evenItEEEE10hipError_tPvRmT3_T4_T5_T6_T7_T9_mT8_P12ihipStream_tbDpT10_ENKUlT_T0_E_clISt17integral_constantIbLb1EES19_EEDaS14_S15_EUlS14_E_NS1_11comp_targetILNS1_3genE4ELNS1_11target_archE910ELNS1_3gpuE8ELNS1_3repE0EEENS1_30default_config_static_selectorELNS0_4arch9wavefront6targetE1EEEvT1_
; %bb.0:
	s_load_dwordx2 s[28:29], s[4:5], 0x38
	s_load_dwordx4 s[20:23], s[4:5], 0x50
	s_load_dwordx2 s[2:3], s[4:5], 0x60
	s_load_dwordx2 s[30:31], s[4:5], 0x70
	v_cmp_eq_u32_e64 s[0:1], 0, v0
	s_and_saveexec_b64 s[6:7], s[0:1]
	s_cbranch_execz .LBB2565_4
; %bb.1:
	s_mov_b64 s[10:11], exec
	v_mbcnt_lo_u32_b32 v1, s10, 0
	v_mbcnt_hi_u32_b32 v1, s11, v1
	v_cmp_eq_u32_e32 vcc, 0, v1
                                        ; implicit-def: $vgpr2
	s_and_saveexec_b64 s[8:9], vcc
	s_cbranch_execz .LBB2565_3
; %bb.2:
	s_load_dwordx2 s[12:13], s[4:5], 0x80
	s_bcnt1_i32_b64 s10, s[10:11]
	v_mov_b32_e32 v2, 0
	v_mov_b32_e32 v3, s10
	s_waitcnt lgkmcnt(0)
	global_atomic_add v2, v2, v3, s[12:13] glc
.LBB2565_3:
	s_or_b64 exec, exec, s[8:9]
	s_waitcnt vmcnt(0)
	v_readfirstlane_b32 s8, v2
	v_add_u32_e32 v1, s8, v1
	v_mov_b32_e32 v2, 0
	ds_write_b32 v2, v1
.LBB2565_4:
	s_or_b64 exec, exec, s[6:7]
	v_mov_b32_e32 v3, 0
	s_load_dwordx4 s[24:27], s[4:5], 0x8
	s_load_dword s6, s[4:5], 0x78
	s_waitcnt lgkmcnt(0)
	s_barrier
	ds_read_b32 v1, v3
	s_waitcnt lgkmcnt(0)
	s_barrier
	global_load_dwordx2 v[14:15], v3, s[22:23]
	v_mov_b32_e32 v5, s3
	s_lshl_b64 s[4:5], s[26:27], 1
	s_movk_i32 s3, 0x1c00
	s_add_u32 s7, s24, s4
	v_mul_lo_u32 v2, v1, s3
	s_mul_i32 s3, s6, 0x1c00
	s_addc_u32 s8, s25, s5
	s_add_i32 s5, s3, s26
	s_sub_i32 s33, s2, s5
	s_add_i32 s4, s6, -1
	s_addk_i32 s33, 0x1c00
	v_mov_b32_e32 v4, s2
	s_add_u32 s2, s26, s3
	v_readfirstlane_b32 s38, v1
	s_addc_u32 s3, s27, 0
	s_cmp_eq_u32 s38, s4
	s_cselect_b64 s[22:23], -1, 0
	s_cmp_lg_u32 s38, s4
	v_cmp_lt_u64_e32 vcc, s[2:3], v[4:5]
	s_cselect_b64 s[2:3], -1, 0
	v_lshlrev_b64 v[16:17], 1, v[2:3]
	s_or_b64 s[4:5], vcc, s[2:3]
	v_mov_b32_e32 v2, s8
	v_add_co_u32_e32 v1, vcc, s7, v16
	v_addc_co_u32_e32 v2, vcc, v2, v17, vcc
	s_mov_b64 s[2:3], -1
	s_and_b64 vcc, exec, s[4:5]
	v_lshlrev_b32_e32 v30, 1, v0
	s_cbranch_vccz .LBB2565_6
; %bb.5:
	v_add_co_u32_e32 v4, vcc, v1, v30
	v_addc_co_u32_e32 v5, vcc, 0, v2, vcc
	v_add_co_u32_e32 v6, vcc, 0x1000, v4
	v_addc_co_u32_e32 v7, vcc, 0, v5, vcc
	flat_load_ushort v3, v[4:5]
	flat_load_ushort v8, v[4:5] offset:512
	flat_load_ushort v9, v[4:5] offset:1024
	flat_load_ushort v10, v[4:5] offset:1536
	flat_load_ushort v11, v[4:5] offset:2048
	flat_load_ushort v12, v[4:5] offset:2560
	flat_load_ushort v13, v[4:5] offset:3072
	flat_load_ushort v18, v[4:5] offset:3584
	flat_load_ushort v19, v[6:7]
	flat_load_ushort v20, v[6:7] offset:512
	flat_load_ushort v21, v[6:7] offset:1024
	;; [unrolled: 1-line block ×7, first 2 shown]
	v_add_co_u32_e32 v6, vcc, 0x2000, v4
	v_addc_co_u32_e32 v7, vcc, 0, v5, vcc
	v_add_co_u32_e32 v4, vcc, 0x3000, v4
	v_addc_co_u32_e32 v5, vcc, 0, v5, vcc
	flat_load_ushort v27, v[6:7]
	flat_load_ushort v28, v[6:7] offset:512
	flat_load_ushort v29, v[6:7] offset:1024
	;; [unrolled: 1-line block ×7, first 2 shown]
	s_nop 0
	flat_load_ushort v6, v[4:5]
	flat_load_ushort v7, v[4:5] offset:512
	flat_load_ushort v36, v[4:5] offset:1024
	;; [unrolled: 1-line block ×3, first 2 shown]
	s_mov_b64 s[2:3], 0
	s_waitcnt vmcnt(0) lgkmcnt(0)
	ds_write_b16 v30, v3
	ds_write_b16 v30, v8 offset:512
	ds_write_b16 v30, v9 offset:1024
	;; [unrolled: 1-line block ×27, first 2 shown]
	s_waitcnt lgkmcnt(0)
	s_barrier
.LBB2565_6:
	s_andn2_b64 vcc, exec, s[2:3]
	v_cmp_gt_u32_e64 s[2:3], s33, v0
	s_cbranch_vccnz .LBB2565_64
; %bb.7:
                                        ; implicit-def: $vgpr3
	s_and_saveexec_b64 s[6:7], s[2:3]
	s_cbranch_execz .LBB2565_9
; %bb.8:
	v_add_co_u32_e32 v4, vcc, v1, v30
	v_addc_co_u32_e32 v5, vcc, 0, v2, vcc
	flat_load_ushort v3, v[4:5]
.LBB2565_9:
	s_or_b64 exec, exec, s[6:7]
	v_or_b32_e32 v4, 0x100, v0
	v_cmp_gt_u32_e32 vcc, s33, v4
                                        ; implicit-def: $vgpr4
	s_and_saveexec_b64 s[2:3], vcc
	s_cbranch_execz .LBB2565_11
; %bb.10:
	v_add_co_u32_e32 v4, vcc, v1, v30
	v_addc_co_u32_e32 v5, vcc, 0, v2, vcc
	flat_load_ushort v4, v[4:5] offset:512
.LBB2565_11:
	s_or_b64 exec, exec, s[2:3]
	v_or_b32_e32 v5, 0x200, v0
	v_cmp_gt_u32_e32 vcc, s33, v5
                                        ; implicit-def: $vgpr5
	s_and_saveexec_b64 s[2:3], vcc
	s_cbranch_execz .LBB2565_13
; %bb.12:
	v_add_co_u32_e32 v6, vcc, v1, v30
	v_addc_co_u32_e32 v7, vcc, 0, v2, vcc
	flat_load_ushort v5, v[6:7] offset:1024
.LBB2565_13:
	s_or_b64 exec, exec, s[2:3]
	v_or_b32_e32 v6, 0x300, v0
	v_cmp_gt_u32_e32 vcc, s33, v6
                                        ; implicit-def: $vgpr6
	s_and_saveexec_b64 s[2:3], vcc
	s_cbranch_execz .LBB2565_15
; %bb.14:
	v_add_co_u32_e32 v6, vcc, v1, v30
	v_addc_co_u32_e32 v7, vcc, 0, v2, vcc
	flat_load_ushort v6, v[6:7] offset:1536
.LBB2565_15:
	s_or_b64 exec, exec, s[2:3]
	v_or_b32_e32 v7, 0x400, v0
	v_cmp_gt_u32_e32 vcc, s33, v7
                                        ; implicit-def: $vgpr7
	s_and_saveexec_b64 s[2:3], vcc
	s_cbranch_execz .LBB2565_17
; %bb.16:
	v_add_co_u32_e32 v8, vcc, v1, v30
	v_addc_co_u32_e32 v9, vcc, 0, v2, vcc
	flat_load_ushort v7, v[8:9] offset:2048
.LBB2565_17:
	s_or_b64 exec, exec, s[2:3]
	v_or_b32_e32 v8, 0x500, v0
	v_cmp_gt_u32_e32 vcc, s33, v8
                                        ; implicit-def: $vgpr8
	s_and_saveexec_b64 s[2:3], vcc
	s_cbranch_execz .LBB2565_19
; %bb.18:
	v_add_co_u32_e32 v8, vcc, v1, v30
	v_addc_co_u32_e32 v9, vcc, 0, v2, vcc
	flat_load_ushort v8, v[8:9] offset:2560
.LBB2565_19:
	s_or_b64 exec, exec, s[2:3]
	v_or_b32_e32 v9, 0x600, v0
	v_cmp_gt_u32_e32 vcc, s33, v9
                                        ; implicit-def: $vgpr9
	s_and_saveexec_b64 s[2:3], vcc
	s_cbranch_execz .LBB2565_21
; %bb.20:
	v_add_co_u32_e32 v10, vcc, v1, v30
	v_addc_co_u32_e32 v11, vcc, 0, v2, vcc
	flat_load_ushort v9, v[10:11] offset:3072
.LBB2565_21:
	s_or_b64 exec, exec, s[2:3]
	v_or_b32_e32 v10, 0x700, v0
	v_cmp_gt_u32_e32 vcc, s33, v10
                                        ; implicit-def: $vgpr10
	s_and_saveexec_b64 s[2:3], vcc
	s_cbranch_execz .LBB2565_23
; %bb.22:
	v_add_co_u32_e32 v10, vcc, v1, v30
	v_addc_co_u32_e32 v11, vcc, 0, v2, vcc
	flat_load_ushort v10, v[10:11] offset:3584
.LBB2565_23:
	s_or_b64 exec, exec, s[2:3]
	v_or_b32_e32 v12, 0x800, v0
	v_cmp_gt_u32_e32 vcc, s33, v12
                                        ; implicit-def: $vgpr11
	s_and_saveexec_b64 s[2:3], vcc
	s_cbranch_execz .LBB2565_25
; %bb.24:
	v_lshlrev_b32_e32 v11, 1, v12
	v_add_co_u32_e32 v12, vcc, v1, v11
	v_addc_co_u32_e32 v13, vcc, 0, v2, vcc
	flat_load_ushort v11, v[12:13]
.LBB2565_25:
	s_or_b64 exec, exec, s[2:3]
	v_or_b32_e32 v13, 0x900, v0
	v_cmp_gt_u32_e32 vcc, s33, v13
                                        ; implicit-def: $vgpr12
	s_and_saveexec_b64 s[2:3], vcc
	s_cbranch_execz .LBB2565_27
; %bb.26:
	v_lshlrev_b32_e32 v12, 1, v13
	v_add_co_u32_e32 v12, vcc, v1, v12
	v_addc_co_u32_e32 v13, vcc, 0, v2, vcc
	flat_load_ushort v12, v[12:13]
.LBB2565_27:
	s_or_b64 exec, exec, s[2:3]
	v_or_b32_e32 v18, 0xa00, v0
	v_cmp_gt_u32_e32 vcc, s33, v18
                                        ; implicit-def: $vgpr13
	s_and_saveexec_b64 s[2:3], vcc
	s_cbranch_execz .LBB2565_29
; %bb.28:
	v_lshlrev_b32_e32 v13, 1, v18
	v_add_co_u32_e32 v18, vcc, v1, v13
	v_addc_co_u32_e32 v19, vcc, 0, v2, vcc
	flat_load_ushort v13, v[18:19]
.LBB2565_29:
	s_or_b64 exec, exec, s[2:3]
	v_or_b32_e32 v19, 0xb00, v0
	v_cmp_gt_u32_e32 vcc, s33, v19
                                        ; implicit-def: $vgpr18
	s_and_saveexec_b64 s[2:3], vcc
	s_cbranch_execz .LBB2565_31
; %bb.30:
	v_lshlrev_b32_e32 v18, 1, v19
	v_add_co_u32_e32 v18, vcc, v1, v18
	v_addc_co_u32_e32 v19, vcc, 0, v2, vcc
	flat_load_ushort v18, v[18:19]
.LBB2565_31:
	s_or_b64 exec, exec, s[2:3]
	v_or_b32_e32 v20, 0xc00, v0
	v_cmp_gt_u32_e32 vcc, s33, v20
                                        ; implicit-def: $vgpr19
	s_and_saveexec_b64 s[2:3], vcc
	s_cbranch_execz .LBB2565_33
; %bb.32:
	v_lshlrev_b32_e32 v19, 1, v20
	v_add_co_u32_e32 v20, vcc, v1, v19
	v_addc_co_u32_e32 v21, vcc, 0, v2, vcc
	flat_load_ushort v19, v[20:21]
.LBB2565_33:
	s_or_b64 exec, exec, s[2:3]
	v_or_b32_e32 v21, 0xd00, v0
	v_cmp_gt_u32_e32 vcc, s33, v21
                                        ; implicit-def: $vgpr20
	s_and_saveexec_b64 s[2:3], vcc
	s_cbranch_execz .LBB2565_35
; %bb.34:
	v_lshlrev_b32_e32 v20, 1, v21
	v_add_co_u32_e32 v20, vcc, v1, v20
	v_addc_co_u32_e32 v21, vcc, 0, v2, vcc
	flat_load_ushort v20, v[20:21]
.LBB2565_35:
	s_or_b64 exec, exec, s[2:3]
	v_or_b32_e32 v22, 0xe00, v0
	v_cmp_gt_u32_e32 vcc, s33, v22
                                        ; implicit-def: $vgpr21
	s_and_saveexec_b64 s[2:3], vcc
	s_cbranch_execz .LBB2565_37
; %bb.36:
	v_lshlrev_b32_e32 v21, 1, v22
	v_add_co_u32_e32 v22, vcc, v1, v21
	v_addc_co_u32_e32 v23, vcc, 0, v2, vcc
	flat_load_ushort v21, v[22:23]
.LBB2565_37:
	s_or_b64 exec, exec, s[2:3]
	v_or_b32_e32 v23, 0xf00, v0
	v_cmp_gt_u32_e32 vcc, s33, v23
                                        ; implicit-def: $vgpr22
	s_and_saveexec_b64 s[2:3], vcc
	s_cbranch_execz .LBB2565_39
; %bb.38:
	v_lshlrev_b32_e32 v22, 1, v23
	v_add_co_u32_e32 v22, vcc, v1, v22
	v_addc_co_u32_e32 v23, vcc, 0, v2, vcc
	flat_load_ushort v22, v[22:23]
.LBB2565_39:
	s_or_b64 exec, exec, s[2:3]
	v_or_b32_e32 v24, 0x1000, v0
	v_cmp_gt_u32_e32 vcc, s33, v24
                                        ; implicit-def: $vgpr23
	s_and_saveexec_b64 s[2:3], vcc
	s_cbranch_execz .LBB2565_41
; %bb.40:
	v_lshlrev_b32_e32 v23, 1, v24
	v_add_co_u32_e32 v24, vcc, v1, v23
	v_addc_co_u32_e32 v25, vcc, 0, v2, vcc
	flat_load_ushort v23, v[24:25]
.LBB2565_41:
	s_or_b64 exec, exec, s[2:3]
	v_or_b32_e32 v25, 0x1100, v0
	v_cmp_gt_u32_e32 vcc, s33, v25
                                        ; implicit-def: $vgpr24
	s_and_saveexec_b64 s[2:3], vcc
	s_cbranch_execz .LBB2565_43
; %bb.42:
	v_lshlrev_b32_e32 v24, 1, v25
	v_add_co_u32_e32 v24, vcc, v1, v24
	v_addc_co_u32_e32 v25, vcc, 0, v2, vcc
	flat_load_ushort v24, v[24:25]
.LBB2565_43:
	s_or_b64 exec, exec, s[2:3]
	v_or_b32_e32 v26, 0x1200, v0
	v_cmp_gt_u32_e32 vcc, s33, v26
                                        ; implicit-def: $vgpr25
	s_and_saveexec_b64 s[2:3], vcc
	s_cbranch_execz .LBB2565_45
; %bb.44:
	v_lshlrev_b32_e32 v25, 1, v26
	v_add_co_u32_e32 v26, vcc, v1, v25
	v_addc_co_u32_e32 v27, vcc, 0, v2, vcc
	flat_load_ushort v25, v[26:27]
.LBB2565_45:
	s_or_b64 exec, exec, s[2:3]
	v_or_b32_e32 v27, 0x1300, v0
	v_cmp_gt_u32_e32 vcc, s33, v27
                                        ; implicit-def: $vgpr26
	s_and_saveexec_b64 s[2:3], vcc
	s_cbranch_execz .LBB2565_47
; %bb.46:
	v_lshlrev_b32_e32 v26, 1, v27
	v_add_co_u32_e32 v26, vcc, v1, v26
	v_addc_co_u32_e32 v27, vcc, 0, v2, vcc
	flat_load_ushort v26, v[26:27]
.LBB2565_47:
	s_or_b64 exec, exec, s[2:3]
	v_or_b32_e32 v28, 0x1400, v0
	v_cmp_gt_u32_e32 vcc, s33, v28
                                        ; implicit-def: $vgpr27
	s_and_saveexec_b64 s[2:3], vcc
	s_cbranch_execz .LBB2565_49
; %bb.48:
	v_lshlrev_b32_e32 v27, 1, v28
	v_add_co_u32_e32 v28, vcc, v1, v27
	v_addc_co_u32_e32 v29, vcc, 0, v2, vcc
	flat_load_ushort v27, v[28:29]
.LBB2565_49:
	s_or_b64 exec, exec, s[2:3]
	v_or_b32_e32 v29, 0x1500, v0
	v_cmp_gt_u32_e32 vcc, s33, v29
                                        ; implicit-def: $vgpr28
	s_and_saveexec_b64 s[2:3], vcc
	s_cbranch_execz .LBB2565_51
; %bb.50:
	v_lshlrev_b32_e32 v28, 1, v29
	v_add_co_u32_e32 v28, vcc, v1, v28
	v_addc_co_u32_e32 v29, vcc, 0, v2, vcc
	flat_load_ushort v28, v[28:29]
.LBB2565_51:
	s_or_b64 exec, exec, s[2:3]
	v_or_b32_e32 v31, 0x1600, v0
	v_cmp_gt_u32_e32 vcc, s33, v31
                                        ; implicit-def: $vgpr29
	s_and_saveexec_b64 s[2:3], vcc
	s_cbranch_execz .LBB2565_53
; %bb.52:
	v_lshlrev_b32_e32 v29, 1, v31
	v_add_co_u32_e32 v32, vcc, v1, v29
	v_addc_co_u32_e32 v33, vcc, 0, v2, vcc
	flat_load_ushort v29, v[32:33]
.LBB2565_53:
	s_or_b64 exec, exec, s[2:3]
	v_or_b32_e32 v32, 0x1700, v0
	v_cmp_gt_u32_e32 vcc, s33, v32
                                        ; implicit-def: $vgpr31
	s_and_saveexec_b64 s[2:3], vcc
	s_cbranch_execz .LBB2565_55
; %bb.54:
	v_lshlrev_b32_e32 v31, 1, v32
	v_add_co_u32_e32 v32, vcc, v1, v31
	v_addc_co_u32_e32 v33, vcc, 0, v2, vcc
	flat_load_ushort v31, v[32:33]
.LBB2565_55:
	s_or_b64 exec, exec, s[2:3]
	v_or_b32_e32 v33, 0x1800, v0
	v_cmp_gt_u32_e32 vcc, s33, v33
                                        ; implicit-def: $vgpr32
	s_and_saveexec_b64 s[2:3], vcc
	s_cbranch_execz .LBB2565_57
; %bb.56:
	v_lshlrev_b32_e32 v32, 1, v33
	v_add_co_u32_e32 v32, vcc, v1, v32
	v_addc_co_u32_e32 v33, vcc, 0, v2, vcc
	flat_load_ushort v32, v[32:33]
.LBB2565_57:
	s_or_b64 exec, exec, s[2:3]
	v_or_b32_e32 v34, 0x1900, v0
	v_cmp_gt_u32_e32 vcc, s33, v34
                                        ; implicit-def: $vgpr33
	s_and_saveexec_b64 s[2:3], vcc
	s_cbranch_execz .LBB2565_59
; %bb.58:
	v_lshlrev_b32_e32 v33, 1, v34
	v_add_co_u32_e32 v34, vcc, v1, v33
	v_addc_co_u32_e32 v35, vcc, 0, v2, vcc
	flat_load_ushort v33, v[34:35]
.LBB2565_59:
	s_or_b64 exec, exec, s[2:3]
	v_or_b32_e32 v35, 0x1a00, v0
	v_cmp_gt_u32_e32 vcc, s33, v35
                                        ; implicit-def: $vgpr34
	s_and_saveexec_b64 s[2:3], vcc
	s_cbranch_execz .LBB2565_61
; %bb.60:
	v_lshlrev_b32_e32 v34, 1, v35
	v_add_co_u32_e32 v34, vcc, v1, v34
	v_addc_co_u32_e32 v35, vcc, 0, v2, vcc
	flat_load_ushort v34, v[34:35]
.LBB2565_61:
	s_or_b64 exec, exec, s[2:3]
	v_or_b32_e32 v36, 0x1b00, v0
	v_cmp_gt_u32_e32 vcc, s33, v36
                                        ; implicit-def: $vgpr35
	s_and_saveexec_b64 s[2:3], vcc
	s_cbranch_execz .LBB2565_63
; %bb.62:
	v_lshlrev_b32_e32 v35, 1, v36
	v_add_co_u32_e32 v36, vcc, v1, v35
	v_addc_co_u32_e32 v37, vcc, 0, v2, vcc
	flat_load_ushort v35, v[36:37]
.LBB2565_63:
	s_or_b64 exec, exec, s[2:3]
	s_waitcnt vmcnt(0) lgkmcnt(0)
	ds_write_b16 v30, v3
	ds_write_b16 v30, v4 offset:512
	ds_write_b16 v30, v5 offset:1024
	;; [unrolled: 1-line block ×27, first 2 shown]
	s_waitcnt lgkmcnt(0)
	s_barrier
.LBB2565_64:
	v_mul_u32_u24_e32 v43, 28, v0
	v_lshlrev_b32_e32 v6, 1, v43
	ds_read_b64 v[20:21], v6 offset:48
	ds_read2_b64 v[2:5], v6 offset0:4 offset1:5
	ds_read2_b64 v[10:13], v6 offset1:1
	ds_read2_b64 v[6:9], v6 offset0:2 offset1:3
	v_cndmask_b32_e64 v18, 0, 1, s[4:5]
	s_waitcnt lgkmcnt(3)
	v_lshrrev_b32_e32 v31, 16, v20
	v_lshrrev_b32_e32 v1, 16, v21
	s_waitcnt lgkmcnt(2)
	v_lshrrev_b32_e32 v35, 16, v2
	v_lshrrev_b32_e32 v34, 16, v3
	v_lshrrev_b32_e32 v33, 16, v4
	v_lshrrev_b32_e32 v32, 16, v5
	s_waitcnt lgkmcnt(1)
	v_lshrrev_b32_e32 v44, 16, v10
	v_lshrrev_b32_e32 v42, 16, v11
	;; [unrolled: 5-line block ×3, first 2 shown]
	v_lshrrev_b32_e32 v37, 16, v8
	v_lshrrev_b32_e32 v36, 16, v9
	v_cmp_ne_u32_e64 s[2:3], 1, v18
	s_andn2_b64 vcc, exec, s[4:5]
	v_xor_b32_e32 v90, -1, v10
	v_xor_b32_e32 v89, -1, v44
	;; [unrolled: 1-line block ×28, first 2 shown]
	s_barrier
	s_cbranch_vccnz .LBB2565_66
; %bb.65:
	v_and_b32_e32 v72, 1, v90
	v_and_b32_e32 v71, 1, v89
	;; [unrolled: 1-line block ×28, first 2 shown]
	s_cbranch_execz .LBB2565_67
	s_branch .LBB2565_68
.LBB2565_66:
                                        ; implicit-def: $vgpr72
                                        ; implicit-def: $vgpr71
                                        ; implicit-def: $vgpr70
                                        ; implicit-def: $vgpr69
                                        ; implicit-def: $vgpr68
                                        ; implicit-def: $vgpr67
                                        ; implicit-def: $vgpr66
                                        ; implicit-def: $vgpr65
                                        ; implicit-def: $vgpr64
                                        ; implicit-def: $vgpr63
                                        ; implicit-def: $vgpr62
                                        ; implicit-def: $vgpr61
                                        ; implicit-def: $vgpr60
                                        ; implicit-def: $vgpr59
                                        ; implicit-def: $vgpr58
                                        ; implicit-def: $vgpr57
                                        ; implicit-def: $vgpr56
                                        ; implicit-def: $vgpr55
                                        ; implicit-def: $vgpr54
                                        ; implicit-def: $vgpr53
                                        ; implicit-def: $vgpr52
                                        ; implicit-def: $vgpr51
                                        ; implicit-def: $vgpr50
                                        ; implicit-def: $vgpr49
                                        ; implicit-def: $vgpr48
                                        ; implicit-def: $vgpr47
                                        ; implicit-def: $vgpr45
                                        ; implicit-def: $vgpr46
.LBB2565_67:
	v_or_b32_e32 v54, 1, v43
	v_cmp_gt_u32_e32 vcc, s33, v43
	v_or_b32_e32 v55, 2, v43
	v_cndmask_b32_e64 v63, 0, 1, vcc
	v_cmp_gt_u32_e32 vcc, s33, v54
	v_or_b32_e32 v56, 3, v43
	v_cndmask_b32_e64 v54, 0, 1, vcc
	v_cmp_gt_u32_e32 vcc, s33, v55
	v_add_u32_e32 v57, 4, v43
	v_and_b32_e32 v71, v54, v89
	v_cndmask_b32_e64 v54, 0, 1, vcc
	v_cmp_gt_u32_e32 vcc, s33, v56
	v_add_u32_e32 v58, 5, v43
	v_and_b32_e32 v70, v54, v88
	;; [unrolled: 4-line block ×9, first 2 shown]
	v_and_b32_e32 v63, v54, v81
	v_cndmask_b32_e64 v54, 0, 1, vcc
	v_cmp_gt_u32_e32 vcc, s33, v92
	v_add_u32_e32 v94, 13, v43
	v_and_b32_e32 v62, v54, v80
	v_cndmask_b32_e64 v54, 0, 1, vcc
	v_cmp_gt_u32_e32 vcc, s33, v93
	v_add_u32_e32 v95, 14, v43
	;; [unrolled: 4-line block ×15, first 2 shown]
	v_and_b32_e32 v48, v24, v23
	v_cndmask_b32_e64 v23, 0, 1, vcc
	v_cmp_gt_u32_e32 vcc, s33, v45
	v_and_b32_e32 v47, v23, v22
	v_cndmask_b32_e64 v22, 0, 1, vcc
	v_cmp_gt_u32_e32 vcc, s33, v46
	v_and_b32_e32 v45, v22, v19
	v_cndmask_b32_e64 v19, 0, 1, vcc
	v_and_b32_e32 v46, v19, v18
.LBB2565_68:
	v_and_b32_e32 v97, 0xff, v48
	v_and_b32_e32 v98, 0xff, v47
	v_add_u32_sdwa v18, v45, v46 dst_sel:DWORD dst_unused:UNUSED_PAD src0_sel:BYTE_0 src1_sel:BYTE_0
	v_and_b32_e32 v95, 0xff, v50
	v_and_b32_e32 v96, 0xff, v49
	v_add3_u32 v18, v18, v98, v97
	v_and_b32_e32 v93, 0xff, v52
	v_and_b32_e32 v94, 0xff, v51
	v_add3_u32 v18, v18, v96, v95
	v_and_b32_e32 v91, 0xff, v54
	v_and_b32_e32 v92, 0xff, v53
	v_add3_u32 v18, v18, v94, v93
	v_and_b32_e32 v89, 0xff, v56
	v_and_b32_e32 v90, 0xff, v55
	v_add3_u32 v18, v18, v92, v91
	v_and_b32_e32 v87, 0xff, v58
	v_and_b32_e32 v88, 0xff, v57
	v_add3_u32 v18, v18, v90, v89
	v_and_b32_e32 v85, 0xff, v60
	v_and_b32_e32 v86, 0xff, v59
	v_add3_u32 v18, v18, v88, v87
	v_and_b32_e32 v83, 0xff, v62
	v_and_b32_e32 v84, 0xff, v61
	v_add3_u32 v18, v18, v86, v85
	v_and_b32_e32 v81, 0xff, v64
	v_and_b32_e32 v82, 0xff, v63
	v_add3_u32 v18, v18, v84, v83
	v_and_b32_e32 v79, 0xff, v66
	v_and_b32_e32 v80, 0xff, v65
	v_add3_u32 v18, v18, v82, v81
	v_and_b32_e32 v77, 0xff, v68
	v_and_b32_e32 v78, 0xff, v67
	v_add3_u32 v18, v18, v80, v79
	v_and_b32_e32 v75, 0xff, v70
	v_and_b32_e32 v76, 0xff, v69
	v_add3_u32 v18, v18, v78, v77
	v_and_b32_e32 v73, 0xff, v72
	v_and_b32_e32 v74, 0xff, v71
	v_add3_u32 v18, v18, v76, v75
	v_add3_u32 v101, v18, v74, v73
	v_mbcnt_lo_u32_b32 v18, -1, 0
	v_mbcnt_hi_u32_b32 v99, -1, v18
	v_and_b32_e32 v18, 15, v99
	v_cmp_eq_u32_e64 s[16:17], 0, v18
	v_cmp_lt_u32_e64 s[14:15], 1, v18
	v_cmp_lt_u32_e64 s[12:13], 3, v18
	;; [unrolled: 1-line block ×3, first 2 shown]
	v_and_b32_e32 v18, 16, v99
	v_cmp_eq_u32_e64 s[8:9], 0, v18
	v_or_b32_e32 v18, 63, v0
	s_cmp_lg_u32 s38, 0
	v_cmp_lt_u32_e64 s[4:5], 31, v99
	v_lshrrev_b32_e32 v100, 6, v0
	v_cmp_eq_u32_e64 s[6:7], v18, v0
	s_cbranch_scc0 .LBB2565_99
; %bb.69:
	v_mov_b32_dpp v18, v101 row_shr:1 row_mask:0xf bank_mask:0xf
	v_cndmask_b32_e64 v18, v18, 0, s[16:17]
	v_add_u32_e32 v18, v18, v101
	s_nop 1
	v_mov_b32_dpp v19, v18 row_shr:2 row_mask:0xf bank_mask:0xf
	v_cndmask_b32_e64 v19, 0, v19, s[14:15]
	v_add_u32_e32 v18, v18, v19
	s_nop 1
	;; [unrolled: 4-line block ×4, first 2 shown]
	v_mov_b32_dpp v19, v18 row_bcast:15 row_mask:0xf bank_mask:0xf
	v_cndmask_b32_e64 v19, v19, 0, s[8:9]
	v_add_u32_e32 v18, v18, v19
	s_nop 1
	v_mov_b32_dpp v19, v18 row_bcast:31 row_mask:0xf bank_mask:0xf
	v_cndmask_b32_e64 v19, 0, v19, s[4:5]
	v_add_u32_e32 v18, v18, v19
	s_and_saveexec_b64 s[18:19], s[6:7]
	s_cbranch_execz .LBB2565_71
; %bb.70:
	v_lshlrev_b32_e32 v19, 2, v100
	ds_write_b32 v19, v18
.LBB2565_71:
	s_or_b64 exec, exec, s[18:19]
	v_cmp_gt_u32_e32 vcc, 4, v0
	s_waitcnt lgkmcnt(0)
	s_barrier
	s_and_saveexec_b64 s[18:19], vcc
	s_cbranch_execz .LBB2565_73
; %bb.72:
	v_lshlrev_b32_e32 v19, 2, v0
	ds_read_b32 v22, v19
	v_and_b32_e32 v23, 3, v99
	v_cmp_ne_u32_e32 vcc, 0, v23
	s_waitcnt lgkmcnt(0)
	v_mov_b32_dpp v24, v22 row_shr:1 row_mask:0xf bank_mask:0xf
	v_cndmask_b32_e32 v24, 0, v24, vcc
	v_add_u32_e32 v22, v24, v22
	v_cmp_lt_u32_e32 vcc, 1, v23
	s_nop 0
	v_mov_b32_dpp v24, v22 row_shr:2 row_mask:0xf bank_mask:0xf
	v_cndmask_b32_e32 v23, 0, v24, vcc
	v_add_u32_e32 v22, v22, v23
	ds_write_b32 v19, v22
.LBB2565_73:
	s_or_b64 exec, exec, s[18:19]
	v_cmp_gt_u32_e32 vcc, 64, v0
	v_cmp_lt_u32_e64 s[18:19], 63, v0
	s_waitcnt lgkmcnt(0)
	s_barrier
	s_waitcnt lgkmcnt(0)
                                        ; implicit-def: $vgpr102
	s_and_saveexec_b64 s[24:25], s[18:19]
	s_cbranch_execz .LBB2565_75
; %bb.74:
	v_lshl_add_u32 v19, v100, 2, -4
	ds_read_b32 v102, v19
	s_waitcnt lgkmcnt(0)
	v_add_u32_e32 v18, v102, v18
.LBB2565_75:
	s_or_b64 exec, exec, s[24:25]
	v_add_u32_e32 v19, -1, v99
	v_and_b32_e32 v22, 64, v99
	v_cmp_lt_i32_e64 s[18:19], v19, v22
	v_cndmask_b32_e64 v19, v19, v99, s[18:19]
	v_lshlrev_b32_e32 v19, 2, v19
	ds_bpermute_b32 v103, v19, v18
	v_cmp_eq_u32_e64 s[18:19], 0, v99
	s_and_saveexec_b64 s[24:25], vcc
	s_cbranch_execz .LBB2565_98
; %bb.76:
	v_mov_b32_e32 v29, 0
	ds_read_b32 v18, v29 offset:12
	s_and_saveexec_b64 s[34:35], s[18:19]
	s_cbranch_execz .LBB2565_78
; %bb.77:
	s_add_i32 s36, s38, 64
	s_mov_b32 s37, 0
	s_lshl_b64 s[36:37], s[36:37], 3
	s_add_u32 s36, s30, s36
	v_mov_b32_e32 v19, 1
	s_addc_u32 s37, s31, s37
	s_waitcnt lgkmcnt(0)
	global_store_dwordx2 v29, v[18:19], s[36:37]
.LBB2565_78:
	s_or_b64 exec, exec, s[34:35]
	v_xad_u32 v22, v99, -1, s38
	v_add_u32_e32 v28, 64, v22
	v_lshlrev_b64 v[24:25], 3, v[28:29]
	v_mov_b32_e32 v19, s31
	v_add_co_u32_e32 v24, vcc, s30, v24
	v_addc_co_u32_e32 v25, vcc, v19, v25, vcc
	global_load_dwordx2 v[26:27], v[24:25], off glc
	s_waitcnt vmcnt(0)
	v_cmp_eq_u16_sdwa s[36:37], v27, v29 src0_sel:BYTE_0 src1_sel:DWORD
	s_and_saveexec_b64 s[34:35], s[36:37]
	s_cbranch_execz .LBB2565_84
; %bb.79:
	s_mov_b32 s39, 1
	s_mov_b64 s[36:37], 0
	v_mov_b32_e32 v19, 0
.LBB2565_80:                            ; =>This Loop Header: Depth=1
                                        ;     Child Loop BB2565_81 Depth 2
	s_max_u32 s40, s39, 1
.LBB2565_81:                            ;   Parent Loop BB2565_80 Depth=1
                                        ; =>  This Inner Loop Header: Depth=2
	s_add_i32 s40, s40, -1
	s_cmp_eq_u32 s40, 0
	s_sleep 1
	s_cbranch_scc0 .LBB2565_81
; %bb.82:                               ;   in Loop: Header=BB2565_80 Depth=1
	global_load_dwordx2 v[26:27], v[24:25], off glc
	s_cmp_lt_u32 s39, 32
	s_cselect_b64 s[40:41], -1, 0
	s_cmp_lg_u64 s[40:41], 0
	s_addc_u32 s39, s39, 0
	s_waitcnt vmcnt(0)
	v_cmp_ne_u16_sdwa s[40:41], v27, v19 src0_sel:BYTE_0 src1_sel:DWORD
	s_or_b64 s[36:37], s[40:41], s[36:37]
	s_andn2_b64 exec, exec, s[36:37]
	s_cbranch_execnz .LBB2565_80
; %bb.83:
	s_or_b64 exec, exec, s[36:37]
.LBB2565_84:
	s_or_b64 exec, exec, s[34:35]
	v_and_b32_e32 v105, 63, v99
	v_mov_b32_e32 v104, 2
	v_cmp_ne_u32_e32 vcc, 63, v105
	v_cmp_eq_u16_sdwa s[34:35], v27, v104 src0_sel:BYTE_0 src1_sel:DWORD
	v_lshlrev_b64 v[24:25], v99, -1
	v_addc_co_u32_e32 v28, vcc, 0, v99, vcc
	v_and_b32_e32 v19, s35, v25
	v_lshlrev_b32_e32 v106, 2, v28
	v_or_b32_e32 v19, 0x80000000, v19
	ds_bpermute_b32 v28, v106, v26
	v_and_b32_e32 v23, s34, v24
	v_ffbl_b32_e32 v19, v19
	v_add_u32_e32 v19, 32, v19
	v_ffbl_b32_e32 v23, v23
	v_min_u32_e32 v19, v23, v19
	v_cmp_lt_u32_e32 vcc, v105, v19
	s_waitcnt lgkmcnt(0)
	v_cndmask_b32_e32 v23, 0, v28, vcc
	v_cmp_gt_u32_e32 vcc, 62, v105
	v_add_u32_e32 v23, v23, v26
	v_cndmask_b32_e64 v26, 0, 1, vcc
	v_lshlrev_b32_e32 v26, 1, v26
	v_add_lshl_u32 v107, v26, v99, 2
	ds_bpermute_b32 v26, v107, v23
	v_add_u32_e32 v108, 2, v105
	v_cmp_le_u32_e32 vcc, v108, v19
	v_add_u32_e32 v110, 4, v105
	v_add_u32_e32 v112, 8, v105
	s_waitcnt lgkmcnt(0)
	v_cndmask_b32_e32 v26, 0, v26, vcc
	v_cmp_gt_u32_e32 vcc, 60, v105
	v_add_u32_e32 v23, v23, v26
	v_cndmask_b32_e64 v26, 0, 1, vcc
	v_lshlrev_b32_e32 v26, 2, v26
	v_add_lshl_u32 v109, v26, v99, 2
	ds_bpermute_b32 v26, v109, v23
	v_cmp_le_u32_e32 vcc, v110, v19
	v_add_u32_e32 v114, 16, v105
	v_add_u32_e32 v116, 32, v105
	s_waitcnt lgkmcnt(0)
	v_cndmask_b32_e32 v26, 0, v26, vcc
	v_cmp_gt_u32_e32 vcc, 56, v105
	v_add_u32_e32 v23, v23, v26
	v_cndmask_b32_e64 v26, 0, 1, vcc
	v_lshlrev_b32_e32 v26, 3, v26
	v_add_lshl_u32 v111, v26, v99, 2
	ds_bpermute_b32 v26, v111, v23
	v_cmp_le_u32_e32 vcc, v112, v19
	s_waitcnt lgkmcnt(0)
	v_cndmask_b32_e32 v26, 0, v26, vcc
	v_cmp_gt_u32_e32 vcc, 48, v105
	v_add_u32_e32 v23, v23, v26
	v_cndmask_b32_e64 v26, 0, 1, vcc
	v_lshlrev_b32_e32 v26, 4, v26
	v_add_lshl_u32 v113, v26, v99, 2
	ds_bpermute_b32 v26, v113, v23
	v_cmp_le_u32_e32 vcc, v114, v19
	;; [unrolled: 9-line block ×3, first 2 shown]
	s_waitcnt lgkmcnt(0)
	v_cndmask_b32_e32 v19, 0, v26, vcc
	v_add_u32_e32 v26, v23, v19
	v_mov_b32_e32 v23, 0
	s_branch .LBB2565_86
.LBB2565_85:                            ;   in Loop: Header=BB2565_86 Depth=1
	s_or_b64 exec, exec, s[34:35]
	v_cmp_eq_u16_sdwa s[34:35], v27, v104 src0_sel:BYTE_0 src1_sel:DWORD
	v_and_b32_e32 v28, s35, v25
	v_or_b32_e32 v28, 0x80000000, v28
	ds_bpermute_b32 v117, v106, v26
	v_and_b32_e32 v29, s34, v24
	v_ffbl_b32_e32 v28, v28
	v_add_u32_e32 v28, 32, v28
	v_ffbl_b32_e32 v29, v29
	v_min_u32_e32 v28, v29, v28
	v_cmp_lt_u32_e32 vcc, v105, v28
	s_waitcnt lgkmcnt(0)
	v_cndmask_b32_e32 v29, 0, v117, vcc
	v_add_u32_e32 v26, v29, v26
	ds_bpermute_b32 v29, v107, v26
	v_cmp_le_u32_e32 vcc, v108, v28
	v_subrev_u32_e32 v22, 64, v22
	s_waitcnt lgkmcnt(0)
	v_cndmask_b32_e32 v29, 0, v29, vcc
	v_add_u32_e32 v26, v26, v29
	ds_bpermute_b32 v29, v109, v26
	v_cmp_le_u32_e32 vcc, v110, v28
	s_waitcnt lgkmcnt(0)
	v_cndmask_b32_e32 v29, 0, v29, vcc
	v_add_u32_e32 v26, v26, v29
	ds_bpermute_b32 v29, v111, v26
	v_cmp_le_u32_e32 vcc, v112, v28
	;; [unrolled: 5-line block ×4, first 2 shown]
	s_waitcnt lgkmcnt(0)
	v_cndmask_b32_e32 v28, 0, v29, vcc
	v_add3_u32 v26, v28, v19, v26
.LBB2565_86:                            ; =>This Loop Header: Depth=1
                                        ;     Child Loop BB2565_89 Depth 2
                                        ;       Child Loop BB2565_90 Depth 3
	v_cmp_ne_u16_sdwa s[34:35], v27, v104 src0_sel:BYTE_0 src1_sel:DWORD
	v_cndmask_b32_e64 v19, 0, 1, s[34:35]
	;;#ASMSTART
	;;#ASMEND
	v_cmp_ne_u32_e32 vcc, 0, v19
	s_cmp_lg_u64 vcc, exec
	v_mov_b32_e32 v19, v26
	s_cbranch_scc1 .LBB2565_93
; %bb.87:                               ;   in Loop: Header=BB2565_86 Depth=1
	v_lshlrev_b64 v[26:27], 3, v[22:23]
	v_mov_b32_e32 v29, s31
	v_add_co_u32_e32 v28, vcc, s30, v26
	v_addc_co_u32_e32 v29, vcc, v29, v27, vcc
	global_load_dwordx2 v[26:27], v[28:29], off glc
	s_waitcnt vmcnt(0)
	v_cmp_eq_u16_sdwa s[36:37], v27, v23 src0_sel:BYTE_0 src1_sel:DWORD
	s_and_saveexec_b64 s[34:35], s[36:37]
	s_cbranch_execz .LBB2565_85
; %bb.88:                               ;   in Loop: Header=BB2565_86 Depth=1
	s_mov_b32 s39, 1
	s_mov_b64 s[36:37], 0
.LBB2565_89:                            ;   Parent Loop BB2565_86 Depth=1
                                        ; =>  This Loop Header: Depth=2
                                        ;       Child Loop BB2565_90 Depth 3
	s_max_u32 s40, s39, 1
.LBB2565_90:                            ;   Parent Loop BB2565_86 Depth=1
                                        ;     Parent Loop BB2565_89 Depth=2
                                        ; =>    This Inner Loop Header: Depth=3
	s_add_i32 s40, s40, -1
	s_cmp_eq_u32 s40, 0
	s_sleep 1
	s_cbranch_scc0 .LBB2565_90
; %bb.91:                               ;   in Loop: Header=BB2565_89 Depth=2
	global_load_dwordx2 v[26:27], v[28:29], off glc
	s_cmp_lt_u32 s39, 32
	s_cselect_b64 s[40:41], -1, 0
	s_cmp_lg_u64 s[40:41], 0
	s_addc_u32 s39, s39, 0
	s_waitcnt vmcnt(0)
	v_cmp_ne_u16_sdwa s[40:41], v27, v23 src0_sel:BYTE_0 src1_sel:DWORD
	s_or_b64 s[36:37], s[40:41], s[36:37]
	s_andn2_b64 exec, exec, s[36:37]
	s_cbranch_execnz .LBB2565_89
; %bb.92:                               ;   in Loop: Header=BB2565_86 Depth=1
	s_or_b64 exec, exec, s[36:37]
	s_branch .LBB2565_85
.LBB2565_93:                            ;   in Loop: Header=BB2565_86 Depth=1
                                        ; implicit-def: $vgpr26
                                        ; implicit-def: $vgpr27
	s_cbranch_execz .LBB2565_86
; %bb.94:
	s_and_saveexec_b64 s[34:35], s[18:19]
	s_cbranch_execz .LBB2565_96
; %bb.95:
	s_add_i32 s36, s38, 64
	s_mov_b32 s37, 0
	s_lshl_b64 s[36:37], s[36:37], 3
	s_add_u32 s36, s30, s36
	v_add_u32_e32 v22, v19, v18
	v_mov_b32_e32 v23, 2
	s_addc_u32 s37, s31, s37
	v_mov_b32_e32 v24, 0
	global_store_dwordx2 v24, v[22:23], s[36:37]
	ds_write_b64 v24, v[18:19] offset:14336
.LBB2565_96:
	s_or_b64 exec, exec, s[34:35]
	s_and_b64 exec, exec, s[0:1]
	s_cbranch_execz .LBB2565_98
; %bb.97:
	v_mov_b32_e32 v18, 0
	ds_write_b32 v18, v19 offset:12
.LBB2565_98:
	s_or_b64 exec, exec, s[24:25]
	v_mov_b32_e32 v18, 0
	s_waitcnt lgkmcnt(0)
	s_barrier
	ds_read_b32 v22, v18 offset:12
	s_waitcnt lgkmcnt(0)
	s_barrier
	ds_read_b64 v[18:19], v18 offset:14336
	v_cndmask_b32_e64 v23, v103, v102, s[18:19]
	v_cndmask_b32_e64 v23, v23, 0, s[0:1]
	v_add_u32_e32 v22, v22, v23
	s_branch .LBB2565_109
.LBB2565_99:
                                        ; implicit-def: $vgpr19
                                        ; implicit-def: $vgpr22
	s_cbranch_execz .LBB2565_109
; %bb.100:
	s_waitcnt lgkmcnt(0)
	v_mov_b32_dpp v18, v101 row_shr:1 row_mask:0xf bank_mask:0xf
	v_cndmask_b32_e64 v18, v18, 0, s[16:17]
	v_add_u32_e32 v18, v18, v101
	s_nop 1
	v_mov_b32_dpp v19, v18 row_shr:2 row_mask:0xf bank_mask:0xf
	v_cndmask_b32_e64 v19, 0, v19, s[14:15]
	v_add_u32_e32 v18, v18, v19
	s_nop 1
	;; [unrolled: 4-line block ×4, first 2 shown]
	v_mov_b32_dpp v19, v18 row_bcast:15 row_mask:0xf bank_mask:0xf
	v_cndmask_b32_e64 v19, v19, 0, s[8:9]
	v_add_u32_e32 v18, v18, v19
	s_nop 1
	v_mov_b32_dpp v19, v18 row_bcast:31 row_mask:0xf bank_mask:0xf
	v_cndmask_b32_e64 v19, 0, v19, s[4:5]
	v_add_u32_e32 v18, v18, v19
	s_and_saveexec_b64 s[4:5], s[6:7]
	s_cbranch_execz .LBB2565_102
; %bb.101:
	v_lshlrev_b32_e32 v19, 2, v100
	ds_write_b32 v19, v18
.LBB2565_102:
	s_or_b64 exec, exec, s[4:5]
	v_cmp_gt_u32_e32 vcc, 4, v0
	s_waitcnt lgkmcnt(0)
	s_barrier
	s_and_saveexec_b64 s[4:5], vcc
	s_cbranch_execz .LBB2565_104
; %bb.103:
	v_lshlrev_b32_e32 v19, 2, v0
	ds_read_b32 v22, v19
	v_and_b32_e32 v23, 3, v99
	v_cmp_ne_u32_e32 vcc, 0, v23
	s_waitcnt lgkmcnt(0)
	v_mov_b32_dpp v24, v22 row_shr:1 row_mask:0xf bank_mask:0xf
	v_cndmask_b32_e32 v24, 0, v24, vcc
	v_add_u32_e32 v22, v24, v22
	v_cmp_lt_u32_e32 vcc, 1, v23
	s_nop 0
	v_mov_b32_dpp v24, v22 row_shr:2 row_mask:0xf bank_mask:0xf
	v_cndmask_b32_e32 v23, 0, v24, vcc
	v_add_u32_e32 v22, v22, v23
	ds_write_b32 v19, v22
.LBB2565_104:
	s_or_b64 exec, exec, s[4:5]
	v_cmp_lt_u32_e32 vcc, 63, v0
	v_mov_b32_e32 v19, 0
	v_mov_b32_e32 v22, 0
	s_waitcnt lgkmcnt(0)
	s_barrier
	s_and_saveexec_b64 s[4:5], vcc
	s_cbranch_execz .LBB2565_106
; %bb.105:
	v_lshl_add_u32 v22, v100, 2, -4
	ds_read_b32 v22, v22
.LBB2565_106:
	s_or_b64 exec, exec, s[4:5]
	v_add_u32_e32 v23, -1, v99
	v_and_b32_e32 v24, 64, v99
	v_cmp_lt_i32_e32 vcc, v23, v24
	v_cndmask_b32_e32 v23, v23, v99, vcc
	s_waitcnt lgkmcnt(0)
	v_add_u32_e32 v18, v22, v18
	v_lshlrev_b32_e32 v23, 2, v23
	ds_bpermute_b32 v23, v23, v18
	ds_read_b32 v18, v19 offset:12
	s_and_saveexec_b64 s[4:5], s[0:1]
	s_cbranch_execz .LBB2565_108
; %bb.107:
	v_mov_b32_e32 v24, 0
	v_mov_b32_e32 v19, 2
	s_waitcnt lgkmcnt(0)
	global_store_dwordx2 v24, v[18:19], s[30:31] offset:512
.LBB2565_108:
	s_or_b64 exec, exec, s[4:5]
	v_cmp_eq_u32_e32 vcc, 0, v99
	s_waitcnt lgkmcnt(1)
	v_cndmask_b32_e32 v22, v23, v22, vcc
	v_mov_b32_e32 v19, 0
	v_cndmask_b32_e64 v22, v22, 0, s[0:1]
	s_waitcnt lgkmcnt(0)
	s_barrier
.LBB2565_109:
	v_add_u32_e32 v23, v22, v73
	v_add_u32_e32 v24, v23, v74
	;; [unrolled: 1-line block ×19, first 2 shown]
	s_waitcnt lgkmcnt(0)
	v_add_u32_e32 v43, v18, v43
	v_sub_u32_e32 v22, v22, v19
	v_and_b32_e32 v72, 1, v72
	v_add_u32_e32 v85, v84, v92
	v_sub_u32_e32 v92, v43, v22
	v_cmp_eq_u32_e32 vcc, 1, v72
	v_cndmask_b32_e32 v22, v92, v22, vcc
	v_lshlrev_b32_e32 v22, 1, v22
	ds_write_b16 v22, v10
	v_sub_u32_e32 v10, v23, v19
	v_sub_u32_e32 v22, v43, v10
	v_and_b32_e32 v23, 1, v71
	v_add_u32_e32 v22, 1, v22
	v_cmp_eq_u32_e32 vcc, 1, v23
	v_cndmask_b32_e32 v10, v22, v10, vcc
	v_lshlrev_b32_e32 v10, 1, v10
	ds_write_b16 v10, v44
	v_sub_u32_e32 v10, v24, v19
	v_sub_u32_e32 v22, v43, v10
	v_and_b32_e32 v23, 1, v70
	v_add_u32_e32 v22, 2, v22
	v_cmp_eq_u32_e32 vcc, 1, v23
	v_cndmask_b32_e32 v10, v22, v10, vcc
	v_lshlrev_b32_e32 v10, 1, v10
	ds_write_b16 v10, v11
	v_sub_u32_e32 v10, v25, v19
	v_sub_u32_e32 v11, v43, v10
	v_and_b32_e32 v22, 1, v69
	v_add_u32_e32 v11, 3, v11
	v_cmp_eq_u32_e32 vcc, 1, v22
	v_cndmask_b32_e32 v10, v11, v10, vcc
	v_lshlrev_b32_e32 v10, 1, v10
	ds_write_b16 v10, v42
	v_sub_u32_e32 v10, v26, v19
	v_sub_u32_e32 v11, v43, v10
	v_and_b32_e32 v22, 1, v68
	v_add_u32_e32 v11, 4, v11
	v_cmp_eq_u32_e32 vcc, 1, v22
	v_cndmask_b32_e32 v10, v11, v10, vcc
	v_lshlrev_b32_e32 v10, 1, v10
	ds_write_b16 v10, v12
	v_sub_u32_e32 v10, v27, v19
	v_sub_u32_e32 v11, v43, v10
	v_and_b32_e32 v12, 1, v67
	v_add_u32_e32 v11, 5, v11
	v_cmp_eq_u32_e32 vcc, 1, v12
	v_cndmask_b32_e32 v10, v11, v10, vcc
	v_lshlrev_b32_e32 v10, 1, v10
	ds_write_b16 v10, v41
	v_sub_u32_e32 v10, v28, v19
	v_sub_u32_e32 v11, v43, v10
	v_and_b32_e32 v12, 1, v66
	v_add_u32_e32 v11, 6, v11
	v_cmp_eq_u32_e32 vcc, 1, v12
	v_cndmask_b32_e32 v10, v11, v10, vcc
	v_lshlrev_b32_e32 v10, 1, v10
	ds_write_b16 v10, v13
	v_sub_u32_e32 v10, v29, v19
	v_sub_u32_e32 v11, v43, v10
	v_and_b32_e32 v12, 1, v65
	v_add_u32_e32 v11, 7, v11
	v_cmp_eq_u32_e32 vcc, 1, v12
	v_cndmask_b32_e32 v10, v11, v10, vcc
	v_lshlrev_b32_e32 v10, 1, v10
	ds_write_b16 v10, v40
	v_sub_u32_e32 v10, v73, v19
	v_sub_u32_e32 v11, v43, v10
	v_and_b32_e32 v12, 1, v64
	v_add_u32_e32 v11, 8, v11
	v_cmp_eq_u32_e32 vcc, 1, v12
	v_cndmask_b32_e32 v10, v11, v10, vcc
	v_lshlrev_b32_e32 v10, 1, v10
	ds_write_b16 v10, v6
	v_sub_u32_e32 v6, v74, v19
	v_sub_u32_e32 v10, v43, v6
	v_and_b32_e32 v11, 1, v63
	v_add_u32_e32 v10, 9, v10
	v_cmp_eq_u32_e32 vcc, 1, v11
	v_cndmask_b32_e32 v6, v10, v6, vcc
	v_lshlrev_b32_e32 v6, 1, v6
	ds_write_b16 v6, v39
	v_sub_u32_e32 v6, v75, v19
	v_sub_u32_e32 v10, v43, v6
	v_and_b32_e32 v11, 1, v62
	v_add_u32_e32 v10, 10, v10
	v_cmp_eq_u32_e32 vcc, 1, v11
	v_cndmask_b32_e32 v6, v10, v6, vcc
	v_lshlrev_b32_e32 v6, 1, v6
	ds_write_b16 v6, v7
	v_sub_u32_e32 v6, v76, v19
	v_sub_u32_e32 v7, v43, v6
	v_and_b32_e32 v10, 1, v61
	v_add_u32_e32 v7, 11, v7
	v_cmp_eq_u32_e32 vcc, 1, v10
	v_cndmask_b32_e32 v6, v7, v6, vcc
	v_lshlrev_b32_e32 v6, 1, v6
	ds_write_b16 v6, v38
	v_sub_u32_e32 v6, v77, v19
	v_sub_u32_e32 v7, v43, v6
	v_and_b32_e32 v10, 1, v60
	v_add_u32_e32 v7, 12, v7
	v_cmp_eq_u32_e32 vcc, 1, v10
	v_cndmask_b32_e32 v6, v7, v6, vcc
	v_lshlrev_b32_e32 v6, 1, v6
	ds_write_b16 v6, v8
	v_sub_u32_e32 v6, v78, v19
	v_sub_u32_e32 v7, v43, v6
	v_and_b32_e32 v8, 1, v59
	v_add_u32_e32 v7, 13, v7
	v_cmp_eq_u32_e32 vcc, 1, v8
	v_cndmask_b32_e32 v6, v7, v6, vcc
	v_lshlrev_b32_e32 v6, 1, v6
	ds_write_b16 v6, v37
	v_sub_u32_e32 v6, v79, v19
	v_sub_u32_e32 v7, v43, v6
	v_and_b32_e32 v8, 1, v58
	v_add_u32_e32 v7, 14, v7
	v_cmp_eq_u32_e32 vcc, 1, v8
	v_cndmask_b32_e32 v6, v7, v6, vcc
	v_lshlrev_b32_e32 v6, 1, v6
	ds_write_b16 v6, v9
	v_sub_u32_e32 v6, v80, v19
	v_sub_u32_e32 v7, v43, v6
	v_and_b32_e32 v8, 1, v57
	v_add_u32_e32 v7, 15, v7
	v_cmp_eq_u32_e32 vcc, 1, v8
	v_cndmask_b32_e32 v6, v7, v6, vcc
	v_lshlrev_b32_e32 v6, 1, v6
	ds_write_b16 v6, v36
	v_sub_u32_e32 v6, v81, v19
	v_sub_u32_e32 v7, v43, v6
	v_and_b32_e32 v8, 1, v56
	v_add_u32_e32 v7, 16, v7
	v_cmp_eq_u32_e32 vcc, 1, v8
	v_cndmask_b32_e32 v6, v7, v6, vcc
	v_lshlrev_b32_e32 v6, 1, v6
	ds_write_b16 v6, v2
	v_sub_u32_e32 v2, v82, v19
	v_sub_u32_e32 v6, v43, v2
	v_and_b32_e32 v7, 1, v55
	v_add_u32_e32 v6, 17, v6
	v_cmp_eq_u32_e32 vcc, 1, v7
	v_cndmask_b32_e32 v2, v6, v2, vcc
	v_lshlrev_b32_e32 v2, 1, v2
	ds_write_b16 v2, v35
	v_sub_u32_e32 v2, v83, v19
	v_sub_u32_e32 v6, v43, v2
	v_and_b32_e32 v7, 1, v54
	v_add_u32_e32 v6, 18, v6
	v_cmp_eq_u32_e32 vcc, 1, v7
	v_cndmask_b32_e32 v2, v6, v2, vcc
	v_lshlrev_b32_e32 v2, 1, v2
	ds_write_b16 v2, v3
	v_sub_u32_e32 v2, v84, v19
	v_sub_u32_e32 v3, v43, v2
	v_and_b32_e32 v6, 1, v53
	v_add_u32_e32 v3, 19, v3
	v_cmp_eq_u32_e32 vcc, 1, v6
	v_cndmask_b32_e32 v2, v3, v2, vcc
	v_lshlrev_b32_e32 v2, 1, v2
	ds_write_b16 v2, v34
	v_sub_u32_e32 v2, v85, v19
	v_sub_u32_e32 v3, v43, v2
	v_and_b32_e32 v6, 1, v52
	v_add_u32_e32 v3, 20, v3
	v_cmp_eq_u32_e32 vcc, 1, v6
	v_cndmask_b32_e32 v2, v3, v2, vcc
	v_add_u32_e32 v86, v85, v93
	v_lshlrev_b32_e32 v2, 1, v2
	ds_write_b16 v2, v4
	v_sub_u32_e32 v2, v86, v19
	v_sub_u32_e32 v3, v43, v2
	v_and_b32_e32 v4, 1, v51
	v_add_u32_e32 v3, 21, v3
	v_cmp_eq_u32_e32 vcc, 1, v4
	v_cndmask_b32_e32 v2, v3, v2, vcc
	v_add_u32_e32 v87, v86, v94
	v_lshlrev_b32_e32 v2, 1, v2
	ds_write_b16 v2, v33
	v_sub_u32_e32 v2, v87, v19
	v_sub_u32_e32 v3, v43, v2
	v_and_b32_e32 v4, 1, v50
	v_add_u32_e32 v3, 22, v3
	;; [unrolled: 9-line block ×6, first 2 shown]
	v_cmp_eq_u32_e32 vcc, 1, v4
	v_cndmask_b32_e32 v2, v3, v2, vcc
	v_lshlrev_b32_e32 v2, 1, v2
	ds_write_b16 v2, v21
	v_sub_u32_sdwa v2, v45, v19 dst_sel:DWORD dst_unused:UNUSED_PAD src0_sel:BYTE_0 src1_sel:DWORD
	v_add_u32_e32 v2, v91, v2
	v_sub_u32_e32 v3, v43, v2
	v_and_b32_e32 v4, 1, v46
	v_add_u32_e32 v3, 27, v3
	v_cmp_eq_u32_e32 vcc, 1, v4
	v_cndmask_b32_e32 v2, v3, v2, vcc
	v_lshlrev_b32_e32 v2, 1, v2
	ds_write_b16 v2, v1
	s_waitcnt vmcnt(0)
	v_add_co_u32_e32 v1, vcc, v14, v18
	s_waitcnt lgkmcnt(0)
	s_barrier
	ds_read_u16 v66, v30
	ds_read_u16 v65, v30 offset:512
	ds_read_u16 v63, v30 offset:1024
	;; [unrolled: 1-line block ×23, first 2 shown]
	v_addc_co_u32_e32 v3, vcc, 0, v15, vcc
	v_add_co_u32_e32 v2, vcc, v1, v19
	v_addc_co_u32_e32 v3, vcc, 0, v3, vcc
	v_mov_b32_e32 v1, s27
	v_sub_co_u32_e32 v14, vcc, s26, v2
	ds_read_u16 v12, v30 offset:12288
	ds_read_u16 v10, v30 offset:12800
	;; [unrolled: 1-line block ×4, first 2 shown]
	v_subb_co_u32_e32 v15, vcc, v1, v3, vcc
	v_lshlrev_b64 v[14:15], 1, v[14:15]
	v_mov_b32_e32 v1, s29
	v_add_co_u32_e32 v4, vcc, s28, v14
	v_addc_co_u32_e32 v1, vcc, v1, v15, vcc
	v_add_co_u32_e32 v4, vcc, v4, v16
	v_addc_co_u32_e32 v1, vcc, v1, v17, vcc
	v_or_b32_e32 v64, 0x100, v0
	v_or_b32_e32 v62, 0x200, v0
	;; [unrolled: 1-line block ×27, first 2 shown]
	s_and_b64 vcc, exec, s[2:3]
	v_cmp_ge_u32_e64 s[2:3], v0, v18
	s_cbranch_vccnz .LBB2565_139
; %bb.110:
	s_and_saveexec_b64 s[4:5], s[2:3]
	s_cbranch_execnz .LBB2565_200
; %bb.111:
	s_or_b64 exec, exec, s[4:5]
	v_cmp_ge_u32_e32 vcc, v64, v18
	s_and_saveexec_b64 s[2:3], vcc
	s_cbranch_execnz .LBB2565_201
.LBB2565_112:
	s_or_b64 exec, exec, s[2:3]
	v_cmp_ge_u32_e32 vcc, v62, v18
	s_and_saveexec_b64 s[2:3], vcc
	s_cbranch_execnz .LBB2565_202
.LBB2565_113:
	s_or_b64 exec, exec, s[2:3]
	v_cmp_ge_u32_e32 vcc, v60, v18
	s_and_saveexec_b64 s[2:3], vcc
	s_cbranch_execnz .LBB2565_203
.LBB2565_114:
	s_or_b64 exec, exec, s[2:3]
	v_cmp_ge_u32_e32 vcc, v59, v18
	s_and_saveexec_b64 s[2:3], vcc
	s_cbranch_execnz .LBB2565_204
.LBB2565_115:
	s_or_b64 exec, exec, s[2:3]
	v_cmp_ge_u32_e32 vcc, v57, v18
	s_and_saveexec_b64 s[2:3], vcc
	s_cbranch_execnz .LBB2565_205
.LBB2565_116:
	s_or_b64 exec, exec, s[2:3]
	v_cmp_ge_u32_e32 vcc, v55, v18
	s_and_saveexec_b64 s[2:3], vcc
	s_cbranch_execnz .LBB2565_206
.LBB2565_117:
	s_or_b64 exec, exec, s[2:3]
	v_cmp_ge_u32_e32 vcc, v53, v18
	s_and_saveexec_b64 s[2:3], vcc
	s_cbranch_execnz .LBB2565_207
.LBB2565_118:
	s_or_b64 exec, exec, s[2:3]
	v_cmp_ge_u32_e32 vcc, v50, v18
	s_and_saveexec_b64 s[2:3], vcc
	s_cbranch_execnz .LBB2565_208
.LBB2565_119:
	s_or_b64 exec, exec, s[2:3]
	v_cmp_ge_u32_e32 vcc, v48, v18
	s_and_saveexec_b64 s[2:3], vcc
	s_cbranch_execnz .LBB2565_209
.LBB2565_120:
	s_or_b64 exec, exec, s[2:3]
	v_cmp_ge_u32_e32 vcc, v46, v18
	s_and_saveexec_b64 s[2:3], vcc
	s_cbranch_execnz .LBB2565_210
.LBB2565_121:
	s_or_b64 exec, exec, s[2:3]
	v_cmp_ge_u32_e32 vcc, v44, v18
	s_and_saveexec_b64 s[2:3], vcc
	s_cbranch_execnz .LBB2565_211
.LBB2565_122:
	s_or_b64 exec, exec, s[2:3]
	v_cmp_ge_u32_e32 vcc, v42, v18
	s_and_saveexec_b64 s[2:3], vcc
	s_cbranch_execnz .LBB2565_212
.LBB2565_123:
	s_or_b64 exec, exec, s[2:3]
	v_cmp_ge_u32_e32 vcc, v40, v18
	s_and_saveexec_b64 s[2:3], vcc
	s_cbranch_execnz .LBB2565_213
.LBB2565_124:
	s_or_b64 exec, exec, s[2:3]
	v_cmp_ge_u32_e32 vcc, v38, v18
	s_and_saveexec_b64 s[2:3], vcc
	s_cbranch_execnz .LBB2565_214
.LBB2565_125:
	s_or_b64 exec, exec, s[2:3]
	v_cmp_ge_u32_e32 vcc, v35, v18
	s_and_saveexec_b64 s[2:3], vcc
	s_cbranch_execnz .LBB2565_215
.LBB2565_126:
	s_or_b64 exec, exec, s[2:3]
	v_cmp_ge_u32_e32 vcc, v34, v18
	s_and_saveexec_b64 s[2:3], vcc
	s_cbranch_execnz .LBB2565_216
.LBB2565_127:
	s_or_b64 exec, exec, s[2:3]
	v_cmp_ge_u32_e32 vcc, v32, v18
	s_and_saveexec_b64 s[2:3], vcc
	s_cbranch_execnz .LBB2565_217
.LBB2565_128:
	s_or_b64 exec, exec, s[2:3]
	v_cmp_ge_u32_e32 vcc, v29, v18
	s_and_saveexec_b64 s[2:3], vcc
	s_cbranch_execnz .LBB2565_218
.LBB2565_129:
	s_or_b64 exec, exec, s[2:3]
	v_cmp_ge_u32_e32 vcc, v27, v18
	s_and_saveexec_b64 s[2:3], vcc
	s_cbranch_execnz .LBB2565_219
.LBB2565_130:
	s_or_b64 exec, exec, s[2:3]
	v_cmp_ge_u32_e32 vcc, v25, v18
	s_and_saveexec_b64 s[2:3], vcc
	s_cbranch_execnz .LBB2565_220
.LBB2565_131:
	s_or_b64 exec, exec, s[2:3]
	v_cmp_ge_u32_e32 vcc, v23, v18
	s_and_saveexec_b64 s[2:3], vcc
	s_cbranch_execnz .LBB2565_221
.LBB2565_132:
	s_or_b64 exec, exec, s[2:3]
	v_cmp_ge_u32_e32 vcc, v21, v18
	s_and_saveexec_b64 s[2:3], vcc
	s_cbranch_execnz .LBB2565_222
.LBB2565_133:
	s_or_b64 exec, exec, s[2:3]
	v_cmp_ge_u32_e32 vcc, v13, v18
	s_and_saveexec_b64 s[2:3], vcc
	s_cbranch_execnz .LBB2565_223
.LBB2565_134:
	s_or_b64 exec, exec, s[2:3]
	v_cmp_ge_u32_e32 vcc, v11, v18
	s_and_saveexec_b64 s[2:3], vcc
	s_cbranch_execnz .LBB2565_224
.LBB2565_135:
	s_or_b64 exec, exec, s[2:3]
	v_cmp_ge_u32_e32 vcc, v9, v18
	s_and_saveexec_b64 s[2:3], vcc
	s_cbranch_execnz .LBB2565_225
.LBB2565_136:
	s_or_b64 exec, exec, s[2:3]
	v_cmp_ge_u32_e32 vcc, v8, v18
	s_and_saveexec_b64 s[2:3], vcc
	s_cbranch_execz .LBB2565_138
.LBB2565_137:
	v_lshlrev_b32_e32 v14, 1, v8
	v_readfirstlane_b32 s4, v4
	v_readfirstlane_b32 s5, v1
	s_waitcnt lgkmcnt(1)
	s_nop 3
	global_store_short v14, v7, s[4:5]
.LBB2565_138:
	s_or_b64 exec, exec, s[2:3]
	v_cmp_ge_u32_e64 s[2:3], v6, v18
	s_branch .LBB2565_195
.LBB2565_139:
	s_mov_b64 s[2:3], 0
	s_cbranch_execz .LBB2565_195
; %bb.140:
	v_cmp_gt_u32_e32 vcc, s33, v0
	v_cmp_ge_u32_e64 s[2:3], v0, v18
	s_and_b64 s[4:5], vcc, s[2:3]
	s_and_saveexec_b64 s[2:3], s[4:5]
	s_cbranch_execz .LBB2565_142
; %bb.141:
	v_readfirstlane_b32 s4, v4
	v_readfirstlane_b32 s5, v1
	s_waitcnt lgkmcnt(14)
	s_nop 3
	global_store_short v30, v66, s[4:5]
.LBB2565_142:
	s_or_b64 exec, exec, s[2:3]
	v_cmp_gt_u32_e32 vcc, s33, v64
	v_cmp_ge_u32_e64 s[2:3], v64, v18
	s_and_b64 s[4:5], vcc, s[2:3]
	s_and_saveexec_b64 s[2:3], s[4:5]
	s_cbranch_execz .LBB2565_144
; %bb.143:
	v_readfirstlane_b32 s4, v4
	v_readfirstlane_b32 s5, v1
	s_waitcnt lgkmcnt(14)
	s_nop 3
	global_store_short v30, v65, s[4:5] offset:512
.LBB2565_144:
	s_or_b64 exec, exec, s[2:3]
	v_cmp_gt_u32_e32 vcc, s33, v62
	v_cmp_ge_u32_e64 s[2:3], v62, v18
	s_and_b64 s[4:5], vcc, s[2:3]
	s_and_saveexec_b64 s[2:3], s[4:5]
	s_cbranch_execz .LBB2565_146
; %bb.145:
	v_readfirstlane_b32 s4, v4
	v_readfirstlane_b32 s5, v1
	s_waitcnt lgkmcnt(14)
	s_nop 3
	global_store_short v30, v63, s[4:5] offset:1024
.LBB2565_146:
	;; [unrolled: 13-line block ×7, first 2 shown]
	s_or_b64 exec, exec, s[2:3]
	v_cmp_gt_u32_e32 vcc, s33, v50
	v_cmp_ge_u32_e64 s[2:3], v50, v18
	s_and_b64 s[4:5], vcc, s[2:3]
	s_and_saveexec_b64 s[2:3], s[4:5]
	s_cbranch_execz .LBB2565_158
; %bb.157:
	v_lshlrev_b32_e32 v0, 1, v50
	v_readfirstlane_b32 s4, v4
	v_readfirstlane_b32 s5, v1
	s_waitcnt lgkmcnt(14)
	s_nop 3
	global_store_short v0, v51, s[4:5]
.LBB2565_158:
	s_or_b64 exec, exec, s[2:3]
	v_cmp_gt_u32_e32 vcc, s33, v48
	v_cmp_ge_u32_e64 s[2:3], v48, v18
	s_and_b64 s[4:5], vcc, s[2:3]
	s_and_saveexec_b64 s[2:3], s[4:5]
	s_cbranch_execz .LBB2565_160
; %bb.159:
	v_lshlrev_b32_e32 v0, 1, v48
	v_readfirstlane_b32 s4, v4
	v_readfirstlane_b32 s5, v1
	s_waitcnt lgkmcnt(14)
	s_nop 3
	global_store_short v0, v49, s[4:5]
.LBB2565_160:
	;; [unrolled: 14-line block ×19, first 2 shown]
	s_or_b64 exec, exec, s[2:3]
	v_cmp_gt_u32_e32 vcc, s33, v6
	v_cmp_ge_u32_e64 s[2:3], v6, v18
	s_and_b64 s[2:3], vcc, s[2:3]
.LBB2565_195:
	s_and_saveexec_b64 s[4:5], s[2:3]
	s_cbranch_execnz .LBB2565_198
; %bb.196:
	s_or_b64 exec, exec, s[4:5]
	s_and_b64 s[0:1], s[0:1], s[22:23]
	s_and_saveexec_b64 s[2:3], s[0:1]
	s_cbranch_execnz .LBB2565_199
.LBB2565_197:
	s_endpgm
.LBB2565_198:
	v_lshlrev_b32_e32 v0, 1, v6
	v_readfirstlane_b32 s2, v4
	v_readfirstlane_b32 s3, v1
	s_waitcnt lgkmcnt(0)
	s_nop 3
	global_store_short v0, v5, s[2:3]
	s_or_b64 exec, exec, s[4:5]
	s_and_b64 s[0:1], s[0:1], s[22:23]
	s_and_saveexec_b64 s[2:3], s[0:1]
	s_cbranch_execz .LBB2565_197
.LBB2565_199:
	v_mov_b32_e32 v0, 0
	global_store_dwordx2 v0, v[2:3], s[20:21]
	s_endpgm
.LBB2565_200:
	v_readfirstlane_b32 s2, v4
	v_readfirstlane_b32 s3, v1
	s_waitcnt lgkmcnt(14)
	s_nop 3
	global_store_short v30, v66, s[2:3]
	s_or_b64 exec, exec, s[4:5]
	v_cmp_ge_u32_e32 vcc, v64, v18
	s_and_saveexec_b64 s[2:3], vcc
	s_cbranch_execz .LBB2565_112
.LBB2565_201:
	v_readfirstlane_b32 s4, v4
	v_readfirstlane_b32 s5, v1
	s_waitcnt lgkmcnt(14)
	s_nop 3
	global_store_short v30, v65, s[4:5] offset:512
	s_or_b64 exec, exec, s[2:3]
	v_cmp_ge_u32_e32 vcc, v62, v18
	s_and_saveexec_b64 s[2:3], vcc
	s_cbranch_execz .LBB2565_113
.LBB2565_202:
	v_readfirstlane_b32 s4, v4
	v_readfirstlane_b32 s5, v1
	s_waitcnt lgkmcnt(14)
	s_nop 3
	global_store_short v30, v63, s[4:5] offset:1024
	s_or_b64 exec, exec, s[2:3]
	v_cmp_ge_u32_e32 vcc, v60, v18
	s_and_saveexec_b64 s[2:3], vcc
	s_cbranch_execz .LBB2565_114
.LBB2565_203:
	v_readfirstlane_b32 s4, v4
	v_readfirstlane_b32 s5, v1
	s_waitcnt lgkmcnt(14)
	s_nop 3
	global_store_short v30, v61, s[4:5] offset:1536
	s_or_b64 exec, exec, s[2:3]
	v_cmp_ge_u32_e32 vcc, v59, v18
	s_and_saveexec_b64 s[2:3], vcc
	s_cbranch_execz .LBB2565_115
.LBB2565_204:
	v_readfirstlane_b32 s4, v4
	v_readfirstlane_b32 s5, v1
	s_waitcnt lgkmcnt(14)
	s_nop 3
	global_store_short v30, v58, s[4:5] offset:2048
	s_or_b64 exec, exec, s[2:3]
	v_cmp_ge_u32_e32 vcc, v57, v18
	s_and_saveexec_b64 s[2:3], vcc
	s_cbranch_execz .LBB2565_116
.LBB2565_205:
	v_readfirstlane_b32 s4, v4
	v_readfirstlane_b32 s5, v1
	s_waitcnt lgkmcnt(14)
	s_nop 3
	global_store_short v30, v56, s[4:5] offset:2560
	s_or_b64 exec, exec, s[2:3]
	v_cmp_ge_u32_e32 vcc, v55, v18
	s_and_saveexec_b64 s[2:3], vcc
	s_cbranch_execz .LBB2565_117
.LBB2565_206:
	v_readfirstlane_b32 s4, v4
	v_readfirstlane_b32 s5, v1
	s_waitcnt lgkmcnt(14)
	s_nop 3
	global_store_short v30, v54, s[4:5] offset:3072
	s_or_b64 exec, exec, s[2:3]
	v_cmp_ge_u32_e32 vcc, v53, v18
	s_and_saveexec_b64 s[2:3], vcc
	s_cbranch_execz .LBB2565_118
.LBB2565_207:
	v_readfirstlane_b32 s4, v4
	v_readfirstlane_b32 s5, v1
	s_waitcnt lgkmcnt(14)
	s_nop 3
	global_store_short v30, v52, s[4:5] offset:3584
	s_or_b64 exec, exec, s[2:3]
	v_cmp_ge_u32_e32 vcc, v50, v18
	s_and_saveexec_b64 s[2:3], vcc
	s_cbranch_execz .LBB2565_119
.LBB2565_208:
	v_lshlrev_b32_e32 v14, 1, v50
	v_readfirstlane_b32 s4, v4
	v_readfirstlane_b32 s5, v1
	s_waitcnt lgkmcnt(14)
	s_nop 3
	global_store_short v14, v51, s[4:5]
	s_or_b64 exec, exec, s[2:3]
	v_cmp_ge_u32_e32 vcc, v48, v18
	s_and_saveexec_b64 s[2:3], vcc
	s_cbranch_execz .LBB2565_120
.LBB2565_209:
	v_lshlrev_b32_e32 v14, 1, v48
	v_readfirstlane_b32 s4, v4
	v_readfirstlane_b32 s5, v1
	s_waitcnt lgkmcnt(14)
	s_nop 3
	global_store_short v14, v49, s[4:5]
	s_or_b64 exec, exec, s[2:3]
	v_cmp_ge_u32_e32 vcc, v46, v18
	s_and_saveexec_b64 s[2:3], vcc
	s_cbranch_execz .LBB2565_121
.LBB2565_210:
	v_lshlrev_b32_e32 v14, 1, v46
	v_readfirstlane_b32 s4, v4
	v_readfirstlane_b32 s5, v1
	s_waitcnt lgkmcnt(14)
	s_nop 3
	global_store_short v14, v47, s[4:5]
	s_or_b64 exec, exec, s[2:3]
	v_cmp_ge_u32_e32 vcc, v44, v18
	s_and_saveexec_b64 s[2:3], vcc
	s_cbranch_execz .LBB2565_122
.LBB2565_211:
	v_lshlrev_b32_e32 v14, 1, v44
	v_readfirstlane_b32 s4, v4
	v_readfirstlane_b32 s5, v1
	s_waitcnt lgkmcnt(14)
	s_nop 3
	global_store_short v14, v45, s[4:5]
	s_or_b64 exec, exec, s[2:3]
	v_cmp_ge_u32_e32 vcc, v42, v18
	s_and_saveexec_b64 s[2:3], vcc
	s_cbranch_execz .LBB2565_123
.LBB2565_212:
	v_lshlrev_b32_e32 v14, 1, v42
	v_readfirstlane_b32 s4, v4
	v_readfirstlane_b32 s5, v1
	s_waitcnt lgkmcnt(14)
	s_nop 3
	global_store_short v14, v43, s[4:5]
	s_or_b64 exec, exec, s[2:3]
	v_cmp_ge_u32_e32 vcc, v40, v18
	s_and_saveexec_b64 s[2:3], vcc
	s_cbranch_execz .LBB2565_124
.LBB2565_213:
	v_lshlrev_b32_e32 v14, 1, v40
	v_readfirstlane_b32 s4, v4
	v_readfirstlane_b32 s5, v1
	s_waitcnt lgkmcnt(14)
	s_nop 3
	global_store_short v14, v41, s[4:5]
	s_or_b64 exec, exec, s[2:3]
	v_cmp_ge_u32_e32 vcc, v38, v18
	s_and_saveexec_b64 s[2:3], vcc
	s_cbranch_execz .LBB2565_125
.LBB2565_214:
	v_lshlrev_b32_e32 v14, 1, v38
	v_readfirstlane_b32 s4, v4
	v_readfirstlane_b32 s5, v1
	s_waitcnt lgkmcnt(13)
	s_nop 3
	global_store_short v14, v39, s[4:5]
	s_or_b64 exec, exec, s[2:3]
	v_cmp_ge_u32_e32 vcc, v35, v18
	s_and_saveexec_b64 s[2:3], vcc
	s_cbranch_execz .LBB2565_126
.LBB2565_215:
	v_lshlrev_b32_e32 v14, 1, v35
	v_readfirstlane_b32 s4, v4
	v_readfirstlane_b32 s5, v1
	s_waitcnt lgkmcnt(12)
	s_nop 3
	global_store_short v14, v37, s[4:5]
	s_or_b64 exec, exec, s[2:3]
	v_cmp_ge_u32_e32 vcc, v34, v18
	s_and_saveexec_b64 s[2:3], vcc
	s_cbranch_execz .LBB2565_127
.LBB2565_216:
	v_lshlrev_b32_e32 v14, 1, v34
	v_readfirstlane_b32 s4, v4
	v_readfirstlane_b32 s5, v1
	s_waitcnt lgkmcnt(11)
	s_nop 3
	global_store_short v14, v36, s[4:5]
	s_or_b64 exec, exec, s[2:3]
	v_cmp_ge_u32_e32 vcc, v32, v18
	s_and_saveexec_b64 s[2:3], vcc
	s_cbranch_execz .LBB2565_128
.LBB2565_217:
	v_lshlrev_b32_e32 v14, 1, v32
	v_readfirstlane_b32 s4, v4
	v_readfirstlane_b32 s5, v1
	s_waitcnt lgkmcnt(10)
	s_nop 3
	global_store_short v14, v33, s[4:5]
	s_or_b64 exec, exec, s[2:3]
	v_cmp_ge_u32_e32 vcc, v29, v18
	s_and_saveexec_b64 s[2:3], vcc
	s_cbranch_execz .LBB2565_129
.LBB2565_218:
	v_lshlrev_b32_e32 v14, 1, v29
	v_readfirstlane_b32 s4, v4
	v_readfirstlane_b32 s5, v1
	s_waitcnt lgkmcnt(9)
	s_nop 3
	global_store_short v14, v31, s[4:5]
	s_or_b64 exec, exec, s[2:3]
	v_cmp_ge_u32_e32 vcc, v27, v18
	s_and_saveexec_b64 s[2:3], vcc
	s_cbranch_execz .LBB2565_130
.LBB2565_219:
	v_lshlrev_b32_e32 v14, 1, v27
	v_readfirstlane_b32 s4, v4
	v_readfirstlane_b32 s5, v1
	s_waitcnt lgkmcnt(8)
	s_nop 3
	global_store_short v14, v28, s[4:5]
	s_or_b64 exec, exec, s[2:3]
	v_cmp_ge_u32_e32 vcc, v25, v18
	s_and_saveexec_b64 s[2:3], vcc
	s_cbranch_execz .LBB2565_131
.LBB2565_220:
	v_lshlrev_b32_e32 v14, 1, v25
	v_readfirstlane_b32 s4, v4
	v_readfirstlane_b32 s5, v1
	s_waitcnt lgkmcnt(7)
	s_nop 3
	global_store_short v14, v26, s[4:5]
	s_or_b64 exec, exec, s[2:3]
	v_cmp_ge_u32_e32 vcc, v23, v18
	s_and_saveexec_b64 s[2:3], vcc
	s_cbranch_execz .LBB2565_132
.LBB2565_221:
	v_lshlrev_b32_e32 v14, 1, v23
	v_readfirstlane_b32 s4, v4
	v_readfirstlane_b32 s5, v1
	s_waitcnt lgkmcnt(6)
	s_nop 3
	global_store_short v14, v24, s[4:5]
	s_or_b64 exec, exec, s[2:3]
	v_cmp_ge_u32_e32 vcc, v21, v18
	s_and_saveexec_b64 s[2:3], vcc
	s_cbranch_execz .LBB2565_133
.LBB2565_222:
	v_lshlrev_b32_e32 v14, 1, v21
	v_readfirstlane_b32 s4, v4
	v_readfirstlane_b32 s5, v1
	s_waitcnt lgkmcnt(5)
	s_nop 3
	global_store_short v14, v22, s[4:5]
	s_or_b64 exec, exec, s[2:3]
	v_cmp_ge_u32_e32 vcc, v13, v18
	s_and_saveexec_b64 s[2:3], vcc
	s_cbranch_execz .LBB2565_134
.LBB2565_223:
	v_lshlrev_b32_e32 v14, 1, v13
	v_readfirstlane_b32 s4, v4
	v_readfirstlane_b32 s5, v1
	s_waitcnt lgkmcnt(4)
	s_nop 3
	global_store_short v14, v20, s[4:5]
	s_or_b64 exec, exec, s[2:3]
	v_cmp_ge_u32_e32 vcc, v11, v18
	s_and_saveexec_b64 s[2:3], vcc
	s_cbranch_execz .LBB2565_135
.LBB2565_224:
	v_lshlrev_b32_e32 v14, 1, v11
	v_readfirstlane_b32 s4, v4
	v_readfirstlane_b32 s5, v1
	s_waitcnt lgkmcnt(3)
	s_nop 3
	global_store_short v14, v12, s[4:5]
	s_or_b64 exec, exec, s[2:3]
	v_cmp_ge_u32_e32 vcc, v9, v18
	s_and_saveexec_b64 s[2:3], vcc
	s_cbranch_execz .LBB2565_136
.LBB2565_225:
	v_lshlrev_b32_e32 v14, 1, v9
	v_readfirstlane_b32 s4, v4
	v_readfirstlane_b32 s5, v1
	s_waitcnt lgkmcnt(2)
	s_nop 3
	global_store_short v14, v10, s[4:5]
	s_or_b64 exec, exec, s[2:3]
	v_cmp_ge_u32_e32 vcc, v8, v18
	s_and_saveexec_b64 s[2:3], vcc
	s_cbranch_execnz .LBB2565_137
	s_branch .LBB2565_138
	.section	.rodata,"a",@progbits
	.p2align	6, 0x0
	.amdhsa_kernel _ZN7rocprim17ROCPRIM_400000_NS6detail17trampoline_kernelINS0_14default_configENS1_25partition_config_selectorILNS1_17partition_subalgoE0EtNS0_10empty_typeEbEEZZNS1_14partition_implILS5_0ELb0ES3_jN6thrust23THRUST_200600_302600_NS6detail15normal_iteratorINSA_10device_ptrItEEEEPS6_SG_NS0_5tupleIJNSA_16discard_iteratorINSA_11use_defaultEEESF_EEENSH_IJSG_SG_EEES6_PlJ7is_evenItEEEE10hipError_tPvRmT3_T4_T5_T6_T7_T9_mT8_P12ihipStream_tbDpT10_ENKUlT_T0_E_clISt17integral_constantIbLb1EES19_EEDaS14_S15_EUlS14_E_NS1_11comp_targetILNS1_3genE4ELNS1_11target_archE910ELNS1_3gpuE8ELNS1_3repE0EEENS1_30default_config_static_selectorELNS0_4arch9wavefront6targetE1EEEvT1_
		.amdhsa_group_segment_fixed_size 14344
		.amdhsa_private_segment_fixed_size 0
		.amdhsa_kernarg_size 144
		.amdhsa_user_sgpr_count 6
		.amdhsa_user_sgpr_private_segment_buffer 1
		.amdhsa_user_sgpr_dispatch_ptr 0
		.amdhsa_user_sgpr_queue_ptr 0
		.amdhsa_user_sgpr_kernarg_segment_ptr 1
		.amdhsa_user_sgpr_dispatch_id 0
		.amdhsa_user_sgpr_flat_scratch_init 0
		.amdhsa_user_sgpr_kernarg_preload_length 0
		.amdhsa_user_sgpr_kernarg_preload_offset 0
		.amdhsa_user_sgpr_private_segment_size 0
		.amdhsa_uses_dynamic_stack 0
		.amdhsa_system_sgpr_private_segment_wavefront_offset 0
		.amdhsa_system_sgpr_workgroup_id_x 1
		.amdhsa_system_sgpr_workgroup_id_y 0
		.amdhsa_system_sgpr_workgroup_id_z 0
		.amdhsa_system_sgpr_workgroup_info 0
		.amdhsa_system_vgpr_workitem_id 0
		.amdhsa_next_free_vgpr 118
		.amdhsa_next_free_sgpr 42
		.amdhsa_accum_offset 120
		.amdhsa_reserve_vcc 1
		.amdhsa_reserve_flat_scratch 0
		.amdhsa_float_round_mode_32 0
		.amdhsa_float_round_mode_16_64 0
		.amdhsa_float_denorm_mode_32 3
		.amdhsa_float_denorm_mode_16_64 3
		.amdhsa_dx10_clamp 1
		.amdhsa_ieee_mode 1
		.amdhsa_fp16_overflow 0
		.amdhsa_tg_split 0
		.amdhsa_exception_fp_ieee_invalid_op 0
		.amdhsa_exception_fp_denorm_src 0
		.amdhsa_exception_fp_ieee_div_zero 0
		.amdhsa_exception_fp_ieee_overflow 0
		.amdhsa_exception_fp_ieee_underflow 0
		.amdhsa_exception_fp_ieee_inexact 0
		.amdhsa_exception_int_div_zero 0
	.end_amdhsa_kernel
	.section	.text._ZN7rocprim17ROCPRIM_400000_NS6detail17trampoline_kernelINS0_14default_configENS1_25partition_config_selectorILNS1_17partition_subalgoE0EtNS0_10empty_typeEbEEZZNS1_14partition_implILS5_0ELb0ES3_jN6thrust23THRUST_200600_302600_NS6detail15normal_iteratorINSA_10device_ptrItEEEEPS6_SG_NS0_5tupleIJNSA_16discard_iteratorINSA_11use_defaultEEESF_EEENSH_IJSG_SG_EEES6_PlJ7is_evenItEEEE10hipError_tPvRmT3_T4_T5_T6_T7_T9_mT8_P12ihipStream_tbDpT10_ENKUlT_T0_E_clISt17integral_constantIbLb1EES19_EEDaS14_S15_EUlS14_E_NS1_11comp_targetILNS1_3genE4ELNS1_11target_archE910ELNS1_3gpuE8ELNS1_3repE0EEENS1_30default_config_static_selectorELNS0_4arch9wavefront6targetE1EEEvT1_,"axG",@progbits,_ZN7rocprim17ROCPRIM_400000_NS6detail17trampoline_kernelINS0_14default_configENS1_25partition_config_selectorILNS1_17partition_subalgoE0EtNS0_10empty_typeEbEEZZNS1_14partition_implILS5_0ELb0ES3_jN6thrust23THRUST_200600_302600_NS6detail15normal_iteratorINSA_10device_ptrItEEEEPS6_SG_NS0_5tupleIJNSA_16discard_iteratorINSA_11use_defaultEEESF_EEENSH_IJSG_SG_EEES6_PlJ7is_evenItEEEE10hipError_tPvRmT3_T4_T5_T6_T7_T9_mT8_P12ihipStream_tbDpT10_ENKUlT_T0_E_clISt17integral_constantIbLb1EES19_EEDaS14_S15_EUlS14_E_NS1_11comp_targetILNS1_3genE4ELNS1_11target_archE910ELNS1_3gpuE8ELNS1_3repE0EEENS1_30default_config_static_selectorELNS0_4arch9wavefront6targetE1EEEvT1_,comdat
.Lfunc_end2565:
	.size	_ZN7rocprim17ROCPRIM_400000_NS6detail17trampoline_kernelINS0_14default_configENS1_25partition_config_selectorILNS1_17partition_subalgoE0EtNS0_10empty_typeEbEEZZNS1_14partition_implILS5_0ELb0ES3_jN6thrust23THRUST_200600_302600_NS6detail15normal_iteratorINSA_10device_ptrItEEEEPS6_SG_NS0_5tupleIJNSA_16discard_iteratorINSA_11use_defaultEEESF_EEENSH_IJSG_SG_EEES6_PlJ7is_evenItEEEE10hipError_tPvRmT3_T4_T5_T6_T7_T9_mT8_P12ihipStream_tbDpT10_ENKUlT_T0_E_clISt17integral_constantIbLb1EES19_EEDaS14_S15_EUlS14_E_NS1_11comp_targetILNS1_3genE4ELNS1_11target_archE910ELNS1_3gpuE8ELNS1_3repE0EEENS1_30default_config_static_selectorELNS0_4arch9wavefront6targetE1EEEvT1_, .Lfunc_end2565-_ZN7rocprim17ROCPRIM_400000_NS6detail17trampoline_kernelINS0_14default_configENS1_25partition_config_selectorILNS1_17partition_subalgoE0EtNS0_10empty_typeEbEEZZNS1_14partition_implILS5_0ELb0ES3_jN6thrust23THRUST_200600_302600_NS6detail15normal_iteratorINSA_10device_ptrItEEEEPS6_SG_NS0_5tupleIJNSA_16discard_iteratorINSA_11use_defaultEEESF_EEENSH_IJSG_SG_EEES6_PlJ7is_evenItEEEE10hipError_tPvRmT3_T4_T5_T6_T7_T9_mT8_P12ihipStream_tbDpT10_ENKUlT_T0_E_clISt17integral_constantIbLb1EES19_EEDaS14_S15_EUlS14_E_NS1_11comp_targetILNS1_3genE4ELNS1_11target_archE910ELNS1_3gpuE8ELNS1_3repE0EEENS1_30default_config_static_selectorELNS0_4arch9wavefront6targetE1EEEvT1_
                                        ; -- End function
	.section	.AMDGPU.csdata,"",@progbits
; Kernel info:
; codeLenInByte = 10316
; NumSgprs: 46
; NumVgprs: 118
; NumAgprs: 0
; TotalNumVgprs: 118
; ScratchSize: 0
; MemoryBound: 0
; FloatMode: 240
; IeeeMode: 1
; LDSByteSize: 14344 bytes/workgroup (compile time only)
; SGPRBlocks: 5
; VGPRBlocks: 14
; NumSGPRsForWavesPerEU: 46
; NumVGPRsForWavesPerEU: 118
; AccumOffset: 120
; Occupancy: 4
; WaveLimiterHint : 1
; COMPUTE_PGM_RSRC2:SCRATCH_EN: 0
; COMPUTE_PGM_RSRC2:USER_SGPR: 6
; COMPUTE_PGM_RSRC2:TRAP_HANDLER: 0
; COMPUTE_PGM_RSRC2:TGID_X_EN: 1
; COMPUTE_PGM_RSRC2:TGID_Y_EN: 0
; COMPUTE_PGM_RSRC2:TGID_Z_EN: 0
; COMPUTE_PGM_RSRC2:TIDIG_COMP_CNT: 0
; COMPUTE_PGM_RSRC3_GFX90A:ACCUM_OFFSET: 29
; COMPUTE_PGM_RSRC3_GFX90A:TG_SPLIT: 0
	.section	.text._ZN7rocprim17ROCPRIM_400000_NS6detail17trampoline_kernelINS0_14default_configENS1_25partition_config_selectorILNS1_17partition_subalgoE0EtNS0_10empty_typeEbEEZZNS1_14partition_implILS5_0ELb0ES3_jN6thrust23THRUST_200600_302600_NS6detail15normal_iteratorINSA_10device_ptrItEEEEPS6_SG_NS0_5tupleIJNSA_16discard_iteratorINSA_11use_defaultEEESF_EEENSH_IJSG_SG_EEES6_PlJ7is_evenItEEEE10hipError_tPvRmT3_T4_T5_T6_T7_T9_mT8_P12ihipStream_tbDpT10_ENKUlT_T0_E_clISt17integral_constantIbLb1EES19_EEDaS14_S15_EUlS14_E_NS1_11comp_targetILNS1_3genE3ELNS1_11target_archE908ELNS1_3gpuE7ELNS1_3repE0EEENS1_30default_config_static_selectorELNS0_4arch9wavefront6targetE1EEEvT1_,"axG",@progbits,_ZN7rocprim17ROCPRIM_400000_NS6detail17trampoline_kernelINS0_14default_configENS1_25partition_config_selectorILNS1_17partition_subalgoE0EtNS0_10empty_typeEbEEZZNS1_14partition_implILS5_0ELb0ES3_jN6thrust23THRUST_200600_302600_NS6detail15normal_iteratorINSA_10device_ptrItEEEEPS6_SG_NS0_5tupleIJNSA_16discard_iteratorINSA_11use_defaultEEESF_EEENSH_IJSG_SG_EEES6_PlJ7is_evenItEEEE10hipError_tPvRmT3_T4_T5_T6_T7_T9_mT8_P12ihipStream_tbDpT10_ENKUlT_T0_E_clISt17integral_constantIbLb1EES19_EEDaS14_S15_EUlS14_E_NS1_11comp_targetILNS1_3genE3ELNS1_11target_archE908ELNS1_3gpuE7ELNS1_3repE0EEENS1_30default_config_static_selectorELNS0_4arch9wavefront6targetE1EEEvT1_,comdat
	.protected	_ZN7rocprim17ROCPRIM_400000_NS6detail17trampoline_kernelINS0_14default_configENS1_25partition_config_selectorILNS1_17partition_subalgoE0EtNS0_10empty_typeEbEEZZNS1_14partition_implILS5_0ELb0ES3_jN6thrust23THRUST_200600_302600_NS6detail15normal_iteratorINSA_10device_ptrItEEEEPS6_SG_NS0_5tupleIJNSA_16discard_iteratorINSA_11use_defaultEEESF_EEENSH_IJSG_SG_EEES6_PlJ7is_evenItEEEE10hipError_tPvRmT3_T4_T5_T6_T7_T9_mT8_P12ihipStream_tbDpT10_ENKUlT_T0_E_clISt17integral_constantIbLb1EES19_EEDaS14_S15_EUlS14_E_NS1_11comp_targetILNS1_3genE3ELNS1_11target_archE908ELNS1_3gpuE7ELNS1_3repE0EEENS1_30default_config_static_selectorELNS0_4arch9wavefront6targetE1EEEvT1_ ; -- Begin function _ZN7rocprim17ROCPRIM_400000_NS6detail17trampoline_kernelINS0_14default_configENS1_25partition_config_selectorILNS1_17partition_subalgoE0EtNS0_10empty_typeEbEEZZNS1_14partition_implILS5_0ELb0ES3_jN6thrust23THRUST_200600_302600_NS6detail15normal_iteratorINSA_10device_ptrItEEEEPS6_SG_NS0_5tupleIJNSA_16discard_iteratorINSA_11use_defaultEEESF_EEENSH_IJSG_SG_EEES6_PlJ7is_evenItEEEE10hipError_tPvRmT3_T4_T5_T6_T7_T9_mT8_P12ihipStream_tbDpT10_ENKUlT_T0_E_clISt17integral_constantIbLb1EES19_EEDaS14_S15_EUlS14_E_NS1_11comp_targetILNS1_3genE3ELNS1_11target_archE908ELNS1_3gpuE7ELNS1_3repE0EEENS1_30default_config_static_selectorELNS0_4arch9wavefront6targetE1EEEvT1_
	.globl	_ZN7rocprim17ROCPRIM_400000_NS6detail17trampoline_kernelINS0_14default_configENS1_25partition_config_selectorILNS1_17partition_subalgoE0EtNS0_10empty_typeEbEEZZNS1_14partition_implILS5_0ELb0ES3_jN6thrust23THRUST_200600_302600_NS6detail15normal_iteratorINSA_10device_ptrItEEEEPS6_SG_NS0_5tupleIJNSA_16discard_iteratorINSA_11use_defaultEEESF_EEENSH_IJSG_SG_EEES6_PlJ7is_evenItEEEE10hipError_tPvRmT3_T4_T5_T6_T7_T9_mT8_P12ihipStream_tbDpT10_ENKUlT_T0_E_clISt17integral_constantIbLb1EES19_EEDaS14_S15_EUlS14_E_NS1_11comp_targetILNS1_3genE3ELNS1_11target_archE908ELNS1_3gpuE7ELNS1_3repE0EEENS1_30default_config_static_selectorELNS0_4arch9wavefront6targetE1EEEvT1_
	.p2align	8
	.type	_ZN7rocprim17ROCPRIM_400000_NS6detail17trampoline_kernelINS0_14default_configENS1_25partition_config_selectorILNS1_17partition_subalgoE0EtNS0_10empty_typeEbEEZZNS1_14partition_implILS5_0ELb0ES3_jN6thrust23THRUST_200600_302600_NS6detail15normal_iteratorINSA_10device_ptrItEEEEPS6_SG_NS0_5tupleIJNSA_16discard_iteratorINSA_11use_defaultEEESF_EEENSH_IJSG_SG_EEES6_PlJ7is_evenItEEEE10hipError_tPvRmT3_T4_T5_T6_T7_T9_mT8_P12ihipStream_tbDpT10_ENKUlT_T0_E_clISt17integral_constantIbLb1EES19_EEDaS14_S15_EUlS14_E_NS1_11comp_targetILNS1_3genE3ELNS1_11target_archE908ELNS1_3gpuE7ELNS1_3repE0EEENS1_30default_config_static_selectorELNS0_4arch9wavefront6targetE1EEEvT1_,@function
_ZN7rocprim17ROCPRIM_400000_NS6detail17trampoline_kernelINS0_14default_configENS1_25partition_config_selectorILNS1_17partition_subalgoE0EtNS0_10empty_typeEbEEZZNS1_14partition_implILS5_0ELb0ES3_jN6thrust23THRUST_200600_302600_NS6detail15normal_iteratorINSA_10device_ptrItEEEEPS6_SG_NS0_5tupleIJNSA_16discard_iteratorINSA_11use_defaultEEESF_EEENSH_IJSG_SG_EEES6_PlJ7is_evenItEEEE10hipError_tPvRmT3_T4_T5_T6_T7_T9_mT8_P12ihipStream_tbDpT10_ENKUlT_T0_E_clISt17integral_constantIbLb1EES19_EEDaS14_S15_EUlS14_E_NS1_11comp_targetILNS1_3genE3ELNS1_11target_archE908ELNS1_3gpuE7ELNS1_3repE0EEENS1_30default_config_static_selectorELNS0_4arch9wavefront6targetE1EEEvT1_: ; @_ZN7rocprim17ROCPRIM_400000_NS6detail17trampoline_kernelINS0_14default_configENS1_25partition_config_selectorILNS1_17partition_subalgoE0EtNS0_10empty_typeEbEEZZNS1_14partition_implILS5_0ELb0ES3_jN6thrust23THRUST_200600_302600_NS6detail15normal_iteratorINSA_10device_ptrItEEEEPS6_SG_NS0_5tupleIJNSA_16discard_iteratorINSA_11use_defaultEEESF_EEENSH_IJSG_SG_EEES6_PlJ7is_evenItEEEE10hipError_tPvRmT3_T4_T5_T6_T7_T9_mT8_P12ihipStream_tbDpT10_ENKUlT_T0_E_clISt17integral_constantIbLb1EES19_EEDaS14_S15_EUlS14_E_NS1_11comp_targetILNS1_3genE3ELNS1_11target_archE908ELNS1_3gpuE7ELNS1_3repE0EEENS1_30default_config_static_selectorELNS0_4arch9wavefront6targetE1EEEvT1_
; %bb.0:
	.section	.rodata,"a",@progbits
	.p2align	6, 0x0
	.amdhsa_kernel _ZN7rocprim17ROCPRIM_400000_NS6detail17trampoline_kernelINS0_14default_configENS1_25partition_config_selectorILNS1_17partition_subalgoE0EtNS0_10empty_typeEbEEZZNS1_14partition_implILS5_0ELb0ES3_jN6thrust23THRUST_200600_302600_NS6detail15normal_iteratorINSA_10device_ptrItEEEEPS6_SG_NS0_5tupleIJNSA_16discard_iteratorINSA_11use_defaultEEESF_EEENSH_IJSG_SG_EEES6_PlJ7is_evenItEEEE10hipError_tPvRmT3_T4_T5_T6_T7_T9_mT8_P12ihipStream_tbDpT10_ENKUlT_T0_E_clISt17integral_constantIbLb1EES19_EEDaS14_S15_EUlS14_E_NS1_11comp_targetILNS1_3genE3ELNS1_11target_archE908ELNS1_3gpuE7ELNS1_3repE0EEENS1_30default_config_static_selectorELNS0_4arch9wavefront6targetE1EEEvT1_
		.amdhsa_group_segment_fixed_size 0
		.amdhsa_private_segment_fixed_size 0
		.amdhsa_kernarg_size 144
		.amdhsa_user_sgpr_count 6
		.amdhsa_user_sgpr_private_segment_buffer 1
		.amdhsa_user_sgpr_dispatch_ptr 0
		.amdhsa_user_sgpr_queue_ptr 0
		.amdhsa_user_sgpr_kernarg_segment_ptr 1
		.amdhsa_user_sgpr_dispatch_id 0
		.amdhsa_user_sgpr_flat_scratch_init 0
		.amdhsa_user_sgpr_kernarg_preload_length 0
		.amdhsa_user_sgpr_kernarg_preload_offset 0
		.amdhsa_user_sgpr_private_segment_size 0
		.amdhsa_uses_dynamic_stack 0
		.amdhsa_system_sgpr_private_segment_wavefront_offset 0
		.amdhsa_system_sgpr_workgroup_id_x 1
		.amdhsa_system_sgpr_workgroup_id_y 0
		.amdhsa_system_sgpr_workgroup_id_z 0
		.amdhsa_system_sgpr_workgroup_info 0
		.amdhsa_system_vgpr_workitem_id 0
		.amdhsa_next_free_vgpr 1
		.amdhsa_next_free_sgpr 0
		.amdhsa_accum_offset 4
		.amdhsa_reserve_vcc 0
		.amdhsa_reserve_flat_scratch 0
		.amdhsa_float_round_mode_32 0
		.amdhsa_float_round_mode_16_64 0
		.amdhsa_float_denorm_mode_32 3
		.amdhsa_float_denorm_mode_16_64 3
		.amdhsa_dx10_clamp 1
		.amdhsa_ieee_mode 1
		.amdhsa_fp16_overflow 0
		.amdhsa_tg_split 0
		.amdhsa_exception_fp_ieee_invalid_op 0
		.amdhsa_exception_fp_denorm_src 0
		.amdhsa_exception_fp_ieee_div_zero 0
		.amdhsa_exception_fp_ieee_overflow 0
		.amdhsa_exception_fp_ieee_underflow 0
		.amdhsa_exception_fp_ieee_inexact 0
		.amdhsa_exception_int_div_zero 0
	.end_amdhsa_kernel
	.section	.text._ZN7rocprim17ROCPRIM_400000_NS6detail17trampoline_kernelINS0_14default_configENS1_25partition_config_selectorILNS1_17partition_subalgoE0EtNS0_10empty_typeEbEEZZNS1_14partition_implILS5_0ELb0ES3_jN6thrust23THRUST_200600_302600_NS6detail15normal_iteratorINSA_10device_ptrItEEEEPS6_SG_NS0_5tupleIJNSA_16discard_iteratorINSA_11use_defaultEEESF_EEENSH_IJSG_SG_EEES6_PlJ7is_evenItEEEE10hipError_tPvRmT3_T4_T5_T6_T7_T9_mT8_P12ihipStream_tbDpT10_ENKUlT_T0_E_clISt17integral_constantIbLb1EES19_EEDaS14_S15_EUlS14_E_NS1_11comp_targetILNS1_3genE3ELNS1_11target_archE908ELNS1_3gpuE7ELNS1_3repE0EEENS1_30default_config_static_selectorELNS0_4arch9wavefront6targetE1EEEvT1_,"axG",@progbits,_ZN7rocprim17ROCPRIM_400000_NS6detail17trampoline_kernelINS0_14default_configENS1_25partition_config_selectorILNS1_17partition_subalgoE0EtNS0_10empty_typeEbEEZZNS1_14partition_implILS5_0ELb0ES3_jN6thrust23THRUST_200600_302600_NS6detail15normal_iteratorINSA_10device_ptrItEEEEPS6_SG_NS0_5tupleIJNSA_16discard_iteratorINSA_11use_defaultEEESF_EEENSH_IJSG_SG_EEES6_PlJ7is_evenItEEEE10hipError_tPvRmT3_T4_T5_T6_T7_T9_mT8_P12ihipStream_tbDpT10_ENKUlT_T0_E_clISt17integral_constantIbLb1EES19_EEDaS14_S15_EUlS14_E_NS1_11comp_targetILNS1_3genE3ELNS1_11target_archE908ELNS1_3gpuE7ELNS1_3repE0EEENS1_30default_config_static_selectorELNS0_4arch9wavefront6targetE1EEEvT1_,comdat
.Lfunc_end2566:
	.size	_ZN7rocprim17ROCPRIM_400000_NS6detail17trampoline_kernelINS0_14default_configENS1_25partition_config_selectorILNS1_17partition_subalgoE0EtNS0_10empty_typeEbEEZZNS1_14partition_implILS5_0ELb0ES3_jN6thrust23THRUST_200600_302600_NS6detail15normal_iteratorINSA_10device_ptrItEEEEPS6_SG_NS0_5tupleIJNSA_16discard_iteratorINSA_11use_defaultEEESF_EEENSH_IJSG_SG_EEES6_PlJ7is_evenItEEEE10hipError_tPvRmT3_T4_T5_T6_T7_T9_mT8_P12ihipStream_tbDpT10_ENKUlT_T0_E_clISt17integral_constantIbLb1EES19_EEDaS14_S15_EUlS14_E_NS1_11comp_targetILNS1_3genE3ELNS1_11target_archE908ELNS1_3gpuE7ELNS1_3repE0EEENS1_30default_config_static_selectorELNS0_4arch9wavefront6targetE1EEEvT1_, .Lfunc_end2566-_ZN7rocprim17ROCPRIM_400000_NS6detail17trampoline_kernelINS0_14default_configENS1_25partition_config_selectorILNS1_17partition_subalgoE0EtNS0_10empty_typeEbEEZZNS1_14partition_implILS5_0ELb0ES3_jN6thrust23THRUST_200600_302600_NS6detail15normal_iteratorINSA_10device_ptrItEEEEPS6_SG_NS0_5tupleIJNSA_16discard_iteratorINSA_11use_defaultEEESF_EEENSH_IJSG_SG_EEES6_PlJ7is_evenItEEEE10hipError_tPvRmT3_T4_T5_T6_T7_T9_mT8_P12ihipStream_tbDpT10_ENKUlT_T0_E_clISt17integral_constantIbLb1EES19_EEDaS14_S15_EUlS14_E_NS1_11comp_targetILNS1_3genE3ELNS1_11target_archE908ELNS1_3gpuE7ELNS1_3repE0EEENS1_30default_config_static_selectorELNS0_4arch9wavefront6targetE1EEEvT1_
                                        ; -- End function
	.section	.AMDGPU.csdata,"",@progbits
; Kernel info:
; codeLenInByte = 0
; NumSgprs: 4
; NumVgprs: 0
; NumAgprs: 0
; TotalNumVgprs: 0
; ScratchSize: 0
; MemoryBound: 0
; FloatMode: 240
; IeeeMode: 1
; LDSByteSize: 0 bytes/workgroup (compile time only)
; SGPRBlocks: 0
; VGPRBlocks: 0
; NumSGPRsForWavesPerEU: 4
; NumVGPRsForWavesPerEU: 1
; AccumOffset: 4
; Occupancy: 8
; WaveLimiterHint : 0
; COMPUTE_PGM_RSRC2:SCRATCH_EN: 0
; COMPUTE_PGM_RSRC2:USER_SGPR: 6
; COMPUTE_PGM_RSRC2:TRAP_HANDLER: 0
; COMPUTE_PGM_RSRC2:TGID_X_EN: 1
; COMPUTE_PGM_RSRC2:TGID_Y_EN: 0
; COMPUTE_PGM_RSRC2:TGID_Z_EN: 0
; COMPUTE_PGM_RSRC2:TIDIG_COMP_CNT: 0
; COMPUTE_PGM_RSRC3_GFX90A:ACCUM_OFFSET: 0
; COMPUTE_PGM_RSRC3_GFX90A:TG_SPLIT: 0
	.section	.text._ZN7rocprim17ROCPRIM_400000_NS6detail17trampoline_kernelINS0_14default_configENS1_25partition_config_selectorILNS1_17partition_subalgoE0EtNS0_10empty_typeEbEEZZNS1_14partition_implILS5_0ELb0ES3_jN6thrust23THRUST_200600_302600_NS6detail15normal_iteratorINSA_10device_ptrItEEEEPS6_SG_NS0_5tupleIJNSA_16discard_iteratorINSA_11use_defaultEEESF_EEENSH_IJSG_SG_EEES6_PlJ7is_evenItEEEE10hipError_tPvRmT3_T4_T5_T6_T7_T9_mT8_P12ihipStream_tbDpT10_ENKUlT_T0_E_clISt17integral_constantIbLb1EES19_EEDaS14_S15_EUlS14_E_NS1_11comp_targetILNS1_3genE2ELNS1_11target_archE906ELNS1_3gpuE6ELNS1_3repE0EEENS1_30default_config_static_selectorELNS0_4arch9wavefront6targetE1EEEvT1_,"axG",@progbits,_ZN7rocprim17ROCPRIM_400000_NS6detail17trampoline_kernelINS0_14default_configENS1_25partition_config_selectorILNS1_17partition_subalgoE0EtNS0_10empty_typeEbEEZZNS1_14partition_implILS5_0ELb0ES3_jN6thrust23THRUST_200600_302600_NS6detail15normal_iteratorINSA_10device_ptrItEEEEPS6_SG_NS0_5tupleIJNSA_16discard_iteratorINSA_11use_defaultEEESF_EEENSH_IJSG_SG_EEES6_PlJ7is_evenItEEEE10hipError_tPvRmT3_T4_T5_T6_T7_T9_mT8_P12ihipStream_tbDpT10_ENKUlT_T0_E_clISt17integral_constantIbLb1EES19_EEDaS14_S15_EUlS14_E_NS1_11comp_targetILNS1_3genE2ELNS1_11target_archE906ELNS1_3gpuE6ELNS1_3repE0EEENS1_30default_config_static_selectorELNS0_4arch9wavefront6targetE1EEEvT1_,comdat
	.protected	_ZN7rocprim17ROCPRIM_400000_NS6detail17trampoline_kernelINS0_14default_configENS1_25partition_config_selectorILNS1_17partition_subalgoE0EtNS0_10empty_typeEbEEZZNS1_14partition_implILS5_0ELb0ES3_jN6thrust23THRUST_200600_302600_NS6detail15normal_iteratorINSA_10device_ptrItEEEEPS6_SG_NS0_5tupleIJNSA_16discard_iteratorINSA_11use_defaultEEESF_EEENSH_IJSG_SG_EEES6_PlJ7is_evenItEEEE10hipError_tPvRmT3_T4_T5_T6_T7_T9_mT8_P12ihipStream_tbDpT10_ENKUlT_T0_E_clISt17integral_constantIbLb1EES19_EEDaS14_S15_EUlS14_E_NS1_11comp_targetILNS1_3genE2ELNS1_11target_archE906ELNS1_3gpuE6ELNS1_3repE0EEENS1_30default_config_static_selectorELNS0_4arch9wavefront6targetE1EEEvT1_ ; -- Begin function _ZN7rocprim17ROCPRIM_400000_NS6detail17trampoline_kernelINS0_14default_configENS1_25partition_config_selectorILNS1_17partition_subalgoE0EtNS0_10empty_typeEbEEZZNS1_14partition_implILS5_0ELb0ES3_jN6thrust23THRUST_200600_302600_NS6detail15normal_iteratorINSA_10device_ptrItEEEEPS6_SG_NS0_5tupleIJNSA_16discard_iteratorINSA_11use_defaultEEESF_EEENSH_IJSG_SG_EEES6_PlJ7is_evenItEEEE10hipError_tPvRmT3_T4_T5_T6_T7_T9_mT8_P12ihipStream_tbDpT10_ENKUlT_T0_E_clISt17integral_constantIbLb1EES19_EEDaS14_S15_EUlS14_E_NS1_11comp_targetILNS1_3genE2ELNS1_11target_archE906ELNS1_3gpuE6ELNS1_3repE0EEENS1_30default_config_static_selectorELNS0_4arch9wavefront6targetE1EEEvT1_
	.globl	_ZN7rocprim17ROCPRIM_400000_NS6detail17trampoline_kernelINS0_14default_configENS1_25partition_config_selectorILNS1_17partition_subalgoE0EtNS0_10empty_typeEbEEZZNS1_14partition_implILS5_0ELb0ES3_jN6thrust23THRUST_200600_302600_NS6detail15normal_iteratorINSA_10device_ptrItEEEEPS6_SG_NS0_5tupleIJNSA_16discard_iteratorINSA_11use_defaultEEESF_EEENSH_IJSG_SG_EEES6_PlJ7is_evenItEEEE10hipError_tPvRmT3_T4_T5_T6_T7_T9_mT8_P12ihipStream_tbDpT10_ENKUlT_T0_E_clISt17integral_constantIbLb1EES19_EEDaS14_S15_EUlS14_E_NS1_11comp_targetILNS1_3genE2ELNS1_11target_archE906ELNS1_3gpuE6ELNS1_3repE0EEENS1_30default_config_static_selectorELNS0_4arch9wavefront6targetE1EEEvT1_
	.p2align	8
	.type	_ZN7rocprim17ROCPRIM_400000_NS6detail17trampoline_kernelINS0_14default_configENS1_25partition_config_selectorILNS1_17partition_subalgoE0EtNS0_10empty_typeEbEEZZNS1_14partition_implILS5_0ELb0ES3_jN6thrust23THRUST_200600_302600_NS6detail15normal_iteratorINSA_10device_ptrItEEEEPS6_SG_NS0_5tupleIJNSA_16discard_iteratorINSA_11use_defaultEEESF_EEENSH_IJSG_SG_EEES6_PlJ7is_evenItEEEE10hipError_tPvRmT3_T4_T5_T6_T7_T9_mT8_P12ihipStream_tbDpT10_ENKUlT_T0_E_clISt17integral_constantIbLb1EES19_EEDaS14_S15_EUlS14_E_NS1_11comp_targetILNS1_3genE2ELNS1_11target_archE906ELNS1_3gpuE6ELNS1_3repE0EEENS1_30default_config_static_selectorELNS0_4arch9wavefront6targetE1EEEvT1_,@function
_ZN7rocprim17ROCPRIM_400000_NS6detail17trampoline_kernelINS0_14default_configENS1_25partition_config_selectorILNS1_17partition_subalgoE0EtNS0_10empty_typeEbEEZZNS1_14partition_implILS5_0ELb0ES3_jN6thrust23THRUST_200600_302600_NS6detail15normal_iteratorINSA_10device_ptrItEEEEPS6_SG_NS0_5tupleIJNSA_16discard_iteratorINSA_11use_defaultEEESF_EEENSH_IJSG_SG_EEES6_PlJ7is_evenItEEEE10hipError_tPvRmT3_T4_T5_T6_T7_T9_mT8_P12ihipStream_tbDpT10_ENKUlT_T0_E_clISt17integral_constantIbLb1EES19_EEDaS14_S15_EUlS14_E_NS1_11comp_targetILNS1_3genE2ELNS1_11target_archE906ELNS1_3gpuE6ELNS1_3repE0EEENS1_30default_config_static_selectorELNS0_4arch9wavefront6targetE1EEEvT1_: ; @_ZN7rocprim17ROCPRIM_400000_NS6detail17trampoline_kernelINS0_14default_configENS1_25partition_config_selectorILNS1_17partition_subalgoE0EtNS0_10empty_typeEbEEZZNS1_14partition_implILS5_0ELb0ES3_jN6thrust23THRUST_200600_302600_NS6detail15normal_iteratorINSA_10device_ptrItEEEEPS6_SG_NS0_5tupleIJNSA_16discard_iteratorINSA_11use_defaultEEESF_EEENSH_IJSG_SG_EEES6_PlJ7is_evenItEEEE10hipError_tPvRmT3_T4_T5_T6_T7_T9_mT8_P12ihipStream_tbDpT10_ENKUlT_T0_E_clISt17integral_constantIbLb1EES19_EEDaS14_S15_EUlS14_E_NS1_11comp_targetILNS1_3genE2ELNS1_11target_archE906ELNS1_3gpuE6ELNS1_3repE0EEENS1_30default_config_static_selectorELNS0_4arch9wavefront6targetE1EEEvT1_
; %bb.0:
	.section	.rodata,"a",@progbits
	.p2align	6, 0x0
	.amdhsa_kernel _ZN7rocprim17ROCPRIM_400000_NS6detail17trampoline_kernelINS0_14default_configENS1_25partition_config_selectorILNS1_17partition_subalgoE0EtNS0_10empty_typeEbEEZZNS1_14partition_implILS5_0ELb0ES3_jN6thrust23THRUST_200600_302600_NS6detail15normal_iteratorINSA_10device_ptrItEEEEPS6_SG_NS0_5tupleIJNSA_16discard_iteratorINSA_11use_defaultEEESF_EEENSH_IJSG_SG_EEES6_PlJ7is_evenItEEEE10hipError_tPvRmT3_T4_T5_T6_T7_T9_mT8_P12ihipStream_tbDpT10_ENKUlT_T0_E_clISt17integral_constantIbLb1EES19_EEDaS14_S15_EUlS14_E_NS1_11comp_targetILNS1_3genE2ELNS1_11target_archE906ELNS1_3gpuE6ELNS1_3repE0EEENS1_30default_config_static_selectorELNS0_4arch9wavefront6targetE1EEEvT1_
		.amdhsa_group_segment_fixed_size 0
		.amdhsa_private_segment_fixed_size 0
		.amdhsa_kernarg_size 144
		.amdhsa_user_sgpr_count 6
		.amdhsa_user_sgpr_private_segment_buffer 1
		.amdhsa_user_sgpr_dispatch_ptr 0
		.amdhsa_user_sgpr_queue_ptr 0
		.amdhsa_user_sgpr_kernarg_segment_ptr 1
		.amdhsa_user_sgpr_dispatch_id 0
		.amdhsa_user_sgpr_flat_scratch_init 0
		.amdhsa_user_sgpr_kernarg_preload_length 0
		.amdhsa_user_sgpr_kernarg_preload_offset 0
		.amdhsa_user_sgpr_private_segment_size 0
		.amdhsa_uses_dynamic_stack 0
		.amdhsa_system_sgpr_private_segment_wavefront_offset 0
		.amdhsa_system_sgpr_workgroup_id_x 1
		.amdhsa_system_sgpr_workgroup_id_y 0
		.amdhsa_system_sgpr_workgroup_id_z 0
		.amdhsa_system_sgpr_workgroup_info 0
		.amdhsa_system_vgpr_workitem_id 0
		.amdhsa_next_free_vgpr 1
		.amdhsa_next_free_sgpr 0
		.amdhsa_accum_offset 4
		.amdhsa_reserve_vcc 0
		.amdhsa_reserve_flat_scratch 0
		.amdhsa_float_round_mode_32 0
		.amdhsa_float_round_mode_16_64 0
		.amdhsa_float_denorm_mode_32 3
		.amdhsa_float_denorm_mode_16_64 3
		.amdhsa_dx10_clamp 1
		.amdhsa_ieee_mode 1
		.amdhsa_fp16_overflow 0
		.amdhsa_tg_split 0
		.amdhsa_exception_fp_ieee_invalid_op 0
		.amdhsa_exception_fp_denorm_src 0
		.amdhsa_exception_fp_ieee_div_zero 0
		.amdhsa_exception_fp_ieee_overflow 0
		.amdhsa_exception_fp_ieee_underflow 0
		.amdhsa_exception_fp_ieee_inexact 0
		.amdhsa_exception_int_div_zero 0
	.end_amdhsa_kernel
	.section	.text._ZN7rocprim17ROCPRIM_400000_NS6detail17trampoline_kernelINS0_14default_configENS1_25partition_config_selectorILNS1_17partition_subalgoE0EtNS0_10empty_typeEbEEZZNS1_14partition_implILS5_0ELb0ES3_jN6thrust23THRUST_200600_302600_NS6detail15normal_iteratorINSA_10device_ptrItEEEEPS6_SG_NS0_5tupleIJNSA_16discard_iteratorINSA_11use_defaultEEESF_EEENSH_IJSG_SG_EEES6_PlJ7is_evenItEEEE10hipError_tPvRmT3_T4_T5_T6_T7_T9_mT8_P12ihipStream_tbDpT10_ENKUlT_T0_E_clISt17integral_constantIbLb1EES19_EEDaS14_S15_EUlS14_E_NS1_11comp_targetILNS1_3genE2ELNS1_11target_archE906ELNS1_3gpuE6ELNS1_3repE0EEENS1_30default_config_static_selectorELNS0_4arch9wavefront6targetE1EEEvT1_,"axG",@progbits,_ZN7rocprim17ROCPRIM_400000_NS6detail17trampoline_kernelINS0_14default_configENS1_25partition_config_selectorILNS1_17partition_subalgoE0EtNS0_10empty_typeEbEEZZNS1_14partition_implILS5_0ELb0ES3_jN6thrust23THRUST_200600_302600_NS6detail15normal_iteratorINSA_10device_ptrItEEEEPS6_SG_NS0_5tupleIJNSA_16discard_iteratorINSA_11use_defaultEEESF_EEENSH_IJSG_SG_EEES6_PlJ7is_evenItEEEE10hipError_tPvRmT3_T4_T5_T6_T7_T9_mT8_P12ihipStream_tbDpT10_ENKUlT_T0_E_clISt17integral_constantIbLb1EES19_EEDaS14_S15_EUlS14_E_NS1_11comp_targetILNS1_3genE2ELNS1_11target_archE906ELNS1_3gpuE6ELNS1_3repE0EEENS1_30default_config_static_selectorELNS0_4arch9wavefront6targetE1EEEvT1_,comdat
.Lfunc_end2567:
	.size	_ZN7rocprim17ROCPRIM_400000_NS6detail17trampoline_kernelINS0_14default_configENS1_25partition_config_selectorILNS1_17partition_subalgoE0EtNS0_10empty_typeEbEEZZNS1_14partition_implILS5_0ELb0ES3_jN6thrust23THRUST_200600_302600_NS6detail15normal_iteratorINSA_10device_ptrItEEEEPS6_SG_NS0_5tupleIJNSA_16discard_iteratorINSA_11use_defaultEEESF_EEENSH_IJSG_SG_EEES6_PlJ7is_evenItEEEE10hipError_tPvRmT3_T4_T5_T6_T7_T9_mT8_P12ihipStream_tbDpT10_ENKUlT_T0_E_clISt17integral_constantIbLb1EES19_EEDaS14_S15_EUlS14_E_NS1_11comp_targetILNS1_3genE2ELNS1_11target_archE906ELNS1_3gpuE6ELNS1_3repE0EEENS1_30default_config_static_selectorELNS0_4arch9wavefront6targetE1EEEvT1_, .Lfunc_end2567-_ZN7rocprim17ROCPRIM_400000_NS6detail17trampoline_kernelINS0_14default_configENS1_25partition_config_selectorILNS1_17partition_subalgoE0EtNS0_10empty_typeEbEEZZNS1_14partition_implILS5_0ELb0ES3_jN6thrust23THRUST_200600_302600_NS6detail15normal_iteratorINSA_10device_ptrItEEEEPS6_SG_NS0_5tupleIJNSA_16discard_iteratorINSA_11use_defaultEEESF_EEENSH_IJSG_SG_EEES6_PlJ7is_evenItEEEE10hipError_tPvRmT3_T4_T5_T6_T7_T9_mT8_P12ihipStream_tbDpT10_ENKUlT_T0_E_clISt17integral_constantIbLb1EES19_EEDaS14_S15_EUlS14_E_NS1_11comp_targetILNS1_3genE2ELNS1_11target_archE906ELNS1_3gpuE6ELNS1_3repE0EEENS1_30default_config_static_selectorELNS0_4arch9wavefront6targetE1EEEvT1_
                                        ; -- End function
	.section	.AMDGPU.csdata,"",@progbits
; Kernel info:
; codeLenInByte = 0
; NumSgprs: 4
; NumVgprs: 0
; NumAgprs: 0
; TotalNumVgprs: 0
; ScratchSize: 0
; MemoryBound: 0
; FloatMode: 240
; IeeeMode: 1
; LDSByteSize: 0 bytes/workgroup (compile time only)
; SGPRBlocks: 0
; VGPRBlocks: 0
; NumSGPRsForWavesPerEU: 4
; NumVGPRsForWavesPerEU: 1
; AccumOffset: 4
; Occupancy: 8
; WaveLimiterHint : 0
; COMPUTE_PGM_RSRC2:SCRATCH_EN: 0
; COMPUTE_PGM_RSRC2:USER_SGPR: 6
; COMPUTE_PGM_RSRC2:TRAP_HANDLER: 0
; COMPUTE_PGM_RSRC2:TGID_X_EN: 1
; COMPUTE_PGM_RSRC2:TGID_Y_EN: 0
; COMPUTE_PGM_RSRC2:TGID_Z_EN: 0
; COMPUTE_PGM_RSRC2:TIDIG_COMP_CNT: 0
; COMPUTE_PGM_RSRC3_GFX90A:ACCUM_OFFSET: 0
; COMPUTE_PGM_RSRC3_GFX90A:TG_SPLIT: 0
	.section	.text._ZN7rocprim17ROCPRIM_400000_NS6detail17trampoline_kernelINS0_14default_configENS1_25partition_config_selectorILNS1_17partition_subalgoE0EtNS0_10empty_typeEbEEZZNS1_14partition_implILS5_0ELb0ES3_jN6thrust23THRUST_200600_302600_NS6detail15normal_iteratorINSA_10device_ptrItEEEEPS6_SG_NS0_5tupleIJNSA_16discard_iteratorINSA_11use_defaultEEESF_EEENSH_IJSG_SG_EEES6_PlJ7is_evenItEEEE10hipError_tPvRmT3_T4_T5_T6_T7_T9_mT8_P12ihipStream_tbDpT10_ENKUlT_T0_E_clISt17integral_constantIbLb1EES19_EEDaS14_S15_EUlS14_E_NS1_11comp_targetILNS1_3genE10ELNS1_11target_archE1200ELNS1_3gpuE4ELNS1_3repE0EEENS1_30default_config_static_selectorELNS0_4arch9wavefront6targetE1EEEvT1_,"axG",@progbits,_ZN7rocprim17ROCPRIM_400000_NS6detail17trampoline_kernelINS0_14default_configENS1_25partition_config_selectorILNS1_17partition_subalgoE0EtNS0_10empty_typeEbEEZZNS1_14partition_implILS5_0ELb0ES3_jN6thrust23THRUST_200600_302600_NS6detail15normal_iteratorINSA_10device_ptrItEEEEPS6_SG_NS0_5tupleIJNSA_16discard_iteratorINSA_11use_defaultEEESF_EEENSH_IJSG_SG_EEES6_PlJ7is_evenItEEEE10hipError_tPvRmT3_T4_T5_T6_T7_T9_mT8_P12ihipStream_tbDpT10_ENKUlT_T0_E_clISt17integral_constantIbLb1EES19_EEDaS14_S15_EUlS14_E_NS1_11comp_targetILNS1_3genE10ELNS1_11target_archE1200ELNS1_3gpuE4ELNS1_3repE0EEENS1_30default_config_static_selectorELNS0_4arch9wavefront6targetE1EEEvT1_,comdat
	.protected	_ZN7rocprim17ROCPRIM_400000_NS6detail17trampoline_kernelINS0_14default_configENS1_25partition_config_selectorILNS1_17partition_subalgoE0EtNS0_10empty_typeEbEEZZNS1_14partition_implILS5_0ELb0ES3_jN6thrust23THRUST_200600_302600_NS6detail15normal_iteratorINSA_10device_ptrItEEEEPS6_SG_NS0_5tupleIJNSA_16discard_iteratorINSA_11use_defaultEEESF_EEENSH_IJSG_SG_EEES6_PlJ7is_evenItEEEE10hipError_tPvRmT3_T4_T5_T6_T7_T9_mT8_P12ihipStream_tbDpT10_ENKUlT_T0_E_clISt17integral_constantIbLb1EES19_EEDaS14_S15_EUlS14_E_NS1_11comp_targetILNS1_3genE10ELNS1_11target_archE1200ELNS1_3gpuE4ELNS1_3repE0EEENS1_30default_config_static_selectorELNS0_4arch9wavefront6targetE1EEEvT1_ ; -- Begin function _ZN7rocprim17ROCPRIM_400000_NS6detail17trampoline_kernelINS0_14default_configENS1_25partition_config_selectorILNS1_17partition_subalgoE0EtNS0_10empty_typeEbEEZZNS1_14partition_implILS5_0ELb0ES3_jN6thrust23THRUST_200600_302600_NS6detail15normal_iteratorINSA_10device_ptrItEEEEPS6_SG_NS0_5tupleIJNSA_16discard_iteratorINSA_11use_defaultEEESF_EEENSH_IJSG_SG_EEES6_PlJ7is_evenItEEEE10hipError_tPvRmT3_T4_T5_T6_T7_T9_mT8_P12ihipStream_tbDpT10_ENKUlT_T0_E_clISt17integral_constantIbLb1EES19_EEDaS14_S15_EUlS14_E_NS1_11comp_targetILNS1_3genE10ELNS1_11target_archE1200ELNS1_3gpuE4ELNS1_3repE0EEENS1_30default_config_static_selectorELNS0_4arch9wavefront6targetE1EEEvT1_
	.globl	_ZN7rocprim17ROCPRIM_400000_NS6detail17trampoline_kernelINS0_14default_configENS1_25partition_config_selectorILNS1_17partition_subalgoE0EtNS0_10empty_typeEbEEZZNS1_14partition_implILS5_0ELb0ES3_jN6thrust23THRUST_200600_302600_NS6detail15normal_iteratorINSA_10device_ptrItEEEEPS6_SG_NS0_5tupleIJNSA_16discard_iteratorINSA_11use_defaultEEESF_EEENSH_IJSG_SG_EEES6_PlJ7is_evenItEEEE10hipError_tPvRmT3_T4_T5_T6_T7_T9_mT8_P12ihipStream_tbDpT10_ENKUlT_T0_E_clISt17integral_constantIbLb1EES19_EEDaS14_S15_EUlS14_E_NS1_11comp_targetILNS1_3genE10ELNS1_11target_archE1200ELNS1_3gpuE4ELNS1_3repE0EEENS1_30default_config_static_selectorELNS0_4arch9wavefront6targetE1EEEvT1_
	.p2align	8
	.type	_ZN7rocprim17ROCPRIM_400000_NS6detail17trampoline_kernelINS0_14default_configENS1_25partition_config_selectorILNS1_17partition_subalgoE0EtNS0_10empty_typeEbEEZZNS1_14partition_implILS5_0ELb0ES3_jN6thrust23THRUST_200600_302600_NS6detail15normal_iteratorINSA_10device_ptrItEEEEPS6_SG_NS0_5tupleIJNSA_16discard_iteratorINSA_11use_defaultEEESF_EEENSH_IJSG_SG_EEES6_PlJ7is_evenItEEEE10hipError_tPvRmT3_T4_T5_T6_T7_T9_mT8_P12ihipStream_tbDpT10_ENKUlT_T0_E_clISt17integral_constantIbLb1EES19_EEDaS14_S15_EUlS14_E_NS1_11comp_targetILNS1_3genE10ELNS1_11target_archE1200ELNS1_3gpuE4ELNS1_3repE0EEENS1_30default_config_static_selectorELNS0_4arch9wavefront6targetE1EEEvT1_,@function
_ZN7rocprim17ROCPRIM_400000_NS6detail17trampoline_kernelINS0_14default_configENS1_25partition_config_selectorILNS1_17partition_subalgoE0EtNS0_10empty_typeEbEEZZNS1_14partition_implILS5_0ELb0ES3_jN6thrust23THRUST_200600_302600_NS6detail15normal_iteratorINSA_10device_ptrItEEEEPS6_SG_NS0_5tupleIJNSA_16discard_iteratorINSA_11use_defaultEEESF_EEENSH_IJSG_SG_EEES6_PlJ7is_evenItEEEE10hipError_tPvRmT3_T4_T5_T6_T7_T9_mT8_P12ihipStream_tbDpT10_ENKUlT_T0_E_clISt17integral_constantIbLb1EES19_EEDaS14_S15_EUlS14_E_NS1_11comp_targetILNS1_3genE10ELNS1_11target_archE1200ELNS1_3gpuE4ELNS1_3repE0EEENS1_30default_config_static_selectorELNS0_4arch9wavefront6targetE1EEEvT1_: ; @_ZN7rocprim17ROCPRIM_400000_NS6detail17trampoline_kernelINS0_14default_configENS1_25partition_config_selectorILNS1_17partition_subalgoE0EtNS0_10empty_typeEbEEZZNS1_14partition_implILS5_0ELb0ES3_jN6thrust23THRUST_200600_302600_NS6detail15normal_iteratorINSA_10device_ptrItEEEEPS6_SG_NS0_5tupleIJNSA_16discard_iteratorINSA_11use_defaultEEESF_EEENSH_IJSG_SG_EEES6_PlJ7is_evenItEEEE10hipError_tPvRmT3_T4_T5_T6_T7_T9_mT8_P12ihipStream_tbDpT10_ENKUlT_T0_E_clISt17integral_constantIbLb1EES19_EEDaS14_S15_EUlS14_E_NS1_11comp_targetILNS1_3genE10ELNS1_11target_archE1200ELNS1_3gpuE4ELNS1_3repE0EEENS1_30default_config_static_selectorELNS0_4arch9wavefront6targetE1EEEvT1_
; %bb.0:
	.section	.rodata,"a",@progbits
	.p2align	6, 0x0
	.amdhsa_kernel _ZN7rocprim17ROCPRIM_400000_NS6detail17trampoline_kernelINS0_14default_configENS1_25partition_config_selectorILNS1_17partition_subalgoE0EtNS0_10empty_typeEbEEZZNS1_14partition_implILS5_0ELb0ES3_jN6thrust23THRUST_200600_302600_NS6detail15normal_iteratorINSA_10device_ptrItEEEEPS6_SG_NS0_5tupleIJNSA_16discard_iteratorINSA_11use_defaultEEESF_EEENSH_IJSG_SG_EEES6_PlJ7is_evenItEEEE10hipError_tPvRmT3_T4_T5_T6_T7_T9_mT8_P12ihipStream_tbDpT10_ENKUlT_T0_E_clISt17integral_constantIbLb1EES19_EEDaS14_S15_EUlS14_E_NS1_11comp_targetILNS1_3genE10ELNS1_11target_archE1200ELNS1_3gpuE4ELNS1_3repE0EEENS1_30default_config_static_selectorELNS0_4arch9wavefront6targetE1EEEvT1_
		.amdhsa_group_segment_fixed_size 0
		.amdhsa_private_segment_fixed_size 0
		.amdhsa_kernarg_size 144
		.amdhsa_user_sgpr_count 6
		.amdhsa_user_sgpr_private_segment_buffer 1
		.amdhsa_user_sgpr_dispatch_ptr 0
		.amdhsa_user_sgpr_queue_ptr 0
		.amdhsa_user_sgpr_kernarg_segment_ptr 1
		.amdhsa_user_sgpr_dispatch_id 0
		.amdhsa_user_sgpr_flat_scratch_init 0
		.amdhsa_user_sgpr_kernarg_preload_length 0
		.amdhsa_user_sgpr_kernarg_preload_offset 0
		.amdhsa_user_sgpr_private_segment_size 0
		.amdhsa_uses_dynamic_stack 0
		.amdhsa_system_sgpr_private_segment_wavefront_offset 0
		.amdhsa_system_sgpr_workgroup_id_x 1
		.amdhsa_system_sgpr_workgroup_id_y 0
		.amdhsa_system_sgpr_workgroup_id_z 0
		.amdhsa_system_sgpr_workgroup_info 0
		.amdhsa_system_vgpr_workitem_id 0
		.amdhsa_next_free_vgpr 1
		.amdhsa_next_free_sgpr 0
		.amdhsa_accum_offset 4
		.amdhsa_reserve_vcc 0
		.amdhsa_reserve_flat_scratch 0
		.amdhsa_float_round_mode_32 0
		.amdhsa_float_round_mode_16_64 0
		.amdhsa_float_denorm_mode_32 3
		.amdhsa_float_denorm_mode_16_64 3
		.amdhsa_dx10_clamp 1
		.amdhsa_ieee_mode 1
		.amdhsa_fp16_overflow 0
		.amdhsa_tg_split 0
		.amdhsa_exception_fp_ieee_invalid_op 0
		.amdhsa_exception_fp_denorm_src 0
		.amdhsa_exception_fp_ieee_div_zero 0
		.amdhsa_exception_fp_ieee_overflow 0
		.amdhsa_exception_fp_ieee_underflow 0
		.amdhsa_exception_fp_ieee_inexact 0
		.amdhsa_exception_int_div_zero 0
	.end_amdhsa_kernel
	.section	.text._ZN7rocprim17ROCPRIM_400000_NS6detail17trampoline_kernelINS0_14default_configENS1_25partition_config_selectorILNS1_17partition_subalgoE0EtNS0_10empty_typeEbEEZZNS1_14partition_implILS5_0ELb0ES3_jN6thrust23THRUST_200600_302600_NS6detail15normal_iteratorINSA_10device_ptrItEEEEPS6_SG_NS0_5tupleIJNSA_16discard_iteratorINSA_11use_defaultEEESF_EEENSH_IJSG_SG_EEES6_PlJ7is_evenItEEEE10hipError_tPvRmT3_T4_T5_T6_T7_T9_mT8_P12ihipStream_tbDpT10_ENKUlT_T0_E_clISt17integral_constantIbLb1EES19_EEDaS14_S15_EUlS14_E_NS1_11comp_targetILNS1_3genE10ELNS1_11target_archE1200ELNS1_3gpuE4ELNS1_3repE0EEENS1_30default_config_static_selectorELNS0_4arch9wavefront6targetE1EEEvT1_,"axG",@progbits,_ZN7rocprim17ROCPRIM_400000_NS6detail17trampoline_kernelINS0_14default_configENS1_25partition_config_selectorILNS1_17partition_subalgoE0EtNS0_10empty_typeEbEEZZNS1_14partition_implILS5_0ELb0ES3_jN6thrust23THRUST_200600_302600_NS6detail15normal_iteratorINSA_10device_ptrItEEEEPS6_SG_NS0_5tupleIJNSA_16discard_iteratorINSA_11use_defaultEEESF_EEENSH_IJSG_SG_EEES6_PlJ7is_evenItEEEE10hipError_tPvRmT3_T4_T5_T6_T7_T9_mT8_P12ihipStream_tbDpT10_ENKUlT_T0_E_clISt17integral_constantIbLb1EES19_EEDaS14_S15_EUlS14_E_NS1_11comp_targetILNS1_3genE10ELNS1_11target_archE1200ELNS1_3gpuE4ELNS1_3repE0EEENS1_30default_config_static_selectorELNS0_4arch9wavefront6targetE1EEEvT1_,comdat
.Lfunc_end2568:
	.size	_ZN7rocprim17ROCPRIM_400000_NS6detail17trampoline_kernelINS0_14default_configENS1_25partition_config_selectorILNS1_17partition_subalgoE0EtNS0_10empty_typeEbEEZZNS1_14partition_implILS5_0ELb0ES3_jN6thrust23THRUST_200600_302600_NS6detail15normal_iteratorINSA_10device_ptrItEEEEPS6_SG_NS0_5tupleIJNSA_16discard_iteratorINSA_11use_defaultEEESF_EEENSH_IJSG_SG_EEES6_PlJ7is_evenItEEEE10hipError_tPvRmT3_T4_T5_T6_T7_T9_mT8_P12ihipStream_tbDpT10_ENKUlT_T0_E_clISt17integral_constantIbLb1EES19_EEDaS14_S15_EUlS14_E_NS1_11comp_targetILNS1_3genE10ELNS1_11target_archE1200ELNS1_3gpuE4ELNS1_3repE0EEENS1_30default_config_static_selectorELNS0_4arch9wavefront6targetE1EEEvT1_, .Lfunc_end2568-_ZN7rocprim17ROCPRIM_400000_NS6detail17trampoline_kernelINS0_14default_configENS1_25partition_config_selectorILNS1_17partition_subalgoE0EtNS0_10empty_typeEbEEZZNS1_14partition_implILS5_0ELb0ES3_jN6thrust23THRUST_200600_302600_NS6detail15normal_iteratorINSA_10device_ptrItEEEEPS6_SG_NS0_5tupleIJNSA_16discard_iteratorINSA_11use_defaultEEESF_EEENSH_IJSG_SG_EEES6_PlJ7is_evenItEEEE10hipError_tPvRmT3_T4_T5_T6_T7_T9_mT8_P12ihipStream_tbDpT10_ENKUlT_T0_E_clISt17integral_constantIbLb1EES19_EEDaS14_S15_EUlS14_E_NS1_11comp_targetILNS1_3genE10ELNS1_11target_archE1200ELNS1_3gpuE4ELNS1_3repE0EEENS1_30default_config_static_selectorELNS0_4arch9wavefront6targetE1EEEvT1_
                                        ; -- End function
	.section	.AMDGPU.csdata,"",@progbits
; Kernel info:
; codeLenInByte = 0
; NumSgprs: 4
; NumVgprs: 0
; NumAgprs: 0
; TotalNumVgprs: 0
; ScratchSize: 0
; MemoryBound: 0
; FloatMode: 240
; IeeeMode: 1
; LDSByteSize: 0 bytes/workgroup (compile time only)
; SGPRBlocks: 0
; VGPRBlocks: 0
; NumSGPRsForWavesPerEU: 4
; NumVGPRsForWavesPerEU: 1
; AccumOffset: 4
; Occupancy: 8
; WaveLimiterHint : 0
; COMPUTE_PGM_RSRC2:SCRATCH_EN: 0
; COMPUTE_PGM_RSRC2:USER_SGPR: 6
; COMPUTE_PGM_RSRC2:TRAP_HANDLER: 0
; COMPUTE_PGM_RSRC2:TGID_X_EN: 1
; COMPUTE_PGM_RSRC2:TGID_Y_EN: 0
; COMPUTE_PGM_RSRC2:TGID_Z_EN: 0
; COMPUTE_PGM_RSRC2:TIDIG_COMP_CNT: 0
; COMPUTE_PGM_RSRC3_GFX90A:ACCUM_OFFSET: 0
; COMPUTE_PGM_RSRC3_GFX90A:TG_SPLIT: 0
	.section	.text._ZN7rocprim17ROCPRIM_400000_NS6detail17trampoline_kernelINS0_14default_configENS1_25partition_config_selectorILNS1_17partition_subalgoE0EtNS0_10empty_typeEbEEZZNS1_14partition_implILS5_0ELb0ES3_jN6thrust23THRUST_200600_302600_NS6detail15normal_iteratorINSA_10device_ptrItEEEEPS6_SG_NS0_5tupleIJNSA_16discard_iteratorINSA_11use_defaultEEESF_EEENSH_IJSG_SG_EEES6_PlJ7is_evenItEEEE10hipError_tPvRmT3_T4_T5_T6_T7_T9_mT8_P12ihipStream_tbDpT10_ENKUlT_T0_E_clISt17integral_constantIbLb1EES19_EEDaS14_S15_EUlS14_E_NS1_11comp_targetILNS1_3genE9ELNS1_11target_archE1100ELNS1_3gpuE3ELNS1_3repE0EEENS1_30default_config_static_selectorELNS0_4arch9wavefront6targetE1EEEvT1_,"axG",@progbits,_ZN7rocprim17ROCPRIM_400000_NS6detail17trampoline_kernelINS0_14default_configENS1_25partition_config_selectorILNS1_17partition_subalgoE0EtNS0_10empty_typeEbEEZZNS1_14partition_implILS5_0ELb0ES3_jN6thrust23THRUST_200600_302600_NS6detail15normal_iteratorINSA_10device_ptrItEEEEPS6_SG_NS0_5tupleIJNSA_16discard_iteratorINSA_11use_defaultEEESF_EEENSH_IJSG_SG_EEES6_PlJ7is_evenItEEEE10hipError_tPvRmT3_T4_T5_T6_T7_T9_mT8_P12ihipStream_tbDpT10_ENKUlT_T0_E_clISt17integral_constantIbLb1EES19_EEDaS14_S15_EUlS14_E_NS1_11comp_targetILNS1_3genE9ELNS1_11target_archE1100ELNS1_3gpuE3ELNS1_3repE0EEENS1_30default_config_static_selectorELNS0_4arch9wavefront6targetE1EEEvT1_,comdat
	.protected	_ZN7rocprim17ROCPRIM_400000_NS6detail17trampoline_kernelINS0_14default_configENS1_25partition_config_selectorILNS1_17partition_subalgoE0EtNS0_10empty_typeEbEEZZNS1_14partition_implILS5_0ELb0ES3_jN6thrust23THRUST_200600_302600_NS6detail15normal_iteratorINSA_10device_ptrItEEEEPS6_SG_NS0_5tupleIJNSA_16discard_iteratorINSA_11use_defaultEEESF_EEENSH_IJSG_SG_EEES6_PlJ7is_evenItEEEE10hipError_tPvRmT3_T4_T5_T6_T7_T9_mT8_P12ihipStream_tbDpT10_ENKUlT_T0_E_clISt17integral_constantIbLb1EES19_EEDaS14_S15_EUlS14_E_NS1_11comp_targetILNS1_3genE9ELNS1_11target_archE1100ELNS1_3gpuE3ELNS1_3repE0EEENS1_30default_config_static_selectorELNS0_4arch9wavefront6targetE1EEEvT1_ ; -- Begin function _ZN7rocprim17ROCPRIM_400000_NS6detail17trampoline_kernelINS0_14default_configENS1_25partition_config_selectorILNS1_17partition_subalgoE0EtNS0_10empty_typeEbEEZZNS1_14partition_implILS5_0ELb0ES3_jN6thrust23THRUST_200600_302600_NS6detail15normal_iteratorINSA_10device_ptrItEEEEPS6_SG_NS0_5tupleIJNSA_16discard_iteratorINSA_11use_defaultEEESF_EEENSH_IJSG_SG_EEES6_PlJ7is_evenItEEEE10hipError_tPvRmT3_T4_T5_T6_T7_T9_mT8_P12ihipStream_tbDpT10_ENKUlT_T0_E_clISt17integral_constantIbLb1EES19_EEDaS14_S15_EUlS14_E_NS1_11comp_targetILNS1_3genE9ELNS1_11target_archE1100ELNS1_3gpuE3ELNS1_3repE0EEENS1_30default_config_static_selectorELNS0_4arch9wavefront6targetE1EEEvT1_
	.globl	_ZN7rocprim17ROCPRIM_400000_NS6detail17trampoline_kernelINS0_14default_configENS1_25partition_config_selectorILNS1_17partition_subalgoE0EtNS0_10empty_typeEbEEZZNS1_14partition_implILS5_0ELb0ES3_jN6thrust23THRUST_200600_302600_NS6detail15normal_iteratorINSA_10device_ptrItEEEEPS6_SG_NS0_5tupleIJNSA_16discard_iteratorINSA_11use_defaultEEESF_EEENSH_IJSG_SG_EEES6_PlJ7is_evenItEEEE10hipError_tPvRmT3_T4_T5_T6_T7_T9_mT8_P12ihipStream_tbDpT10_ENKUlT_T0_E_clISt17integral_constantIbLb1EES19_EEDaS14_S15_EUlS14_E_NS1_11comp_targetILNS1_3genE9ELNS1_11target_archE1100ELNS1_3gpuE3ELNS1_3repE0EEENS1_30default_config_static_selectorELNS0_4arch9wavefront6targetE1EEEvT1_
	.p2align	8
	.type	_ZN7rocprim17ROCPRIM_400000_NS6detail17trampoline_kernelINS0_14default_configENS1_25partition_config_selectorILNS1_17partition_subalgoE0EtNS0_10empty_typeEbEEZZNS1_14partition_implILS5_0ELb0ES3_jN6thrust23THRUST_200600_302600_NS6detail15normal_iteratorINSA_10device_ptrItEEEEPS6_SG_NS0_5tupleIJNSA_16discard_iteratorINSA_11use_defaultEEESF_EEENSH_IJSG_SG_EEES6_PlJ7is_evenItEEEE10hipError_tPvRmT3_T4_T5_T6_T7_T9_mT8_P12ihipStream_tbDpT10_ENKUlT_T0_E_clISt17integral_constantIbLb1EES19_EEDaS14_S15_EUlS14_E_NS1_11comp_targetILNS1_3genE9ELNS1_11target_archE1100ELNS1_3gpuE3ELNS1_3repE0EEENS1_30default_config_static_selectorELNS0_4arch9wavefront6targetE1EEEvT1_,@function
_ZN7rocprim17ROCPRIM_400000_NS6detail17trampoline_kernelINS0_14default_configENS1_25partition_config_selectorILNS1_17partition_subalgoE0EtNS0_10empty_typeEbEEZZNS1_14partition_implILS5_0ELb0ES3_jN6thrust23THRUST_200600_302600_NS6detail15normal_iteratorINSA_10device_ptrItEEEEPS6_SG_NS0_5tupleIJNSA_16discard_iteratorINSA_11use_defaultEEESF_EEENSH_IJSG_SG_EEES6_PlJ7is_evenItEEEE10hipError_tPvRmT3_T4_T5_T6_T7_T9_mT8_P12ihipStream_tbDpT10_ENKUlT_T0_E_clISt17integral_constantIbLb1EES19_EEDaS14_S15_EUlS14_E_NS1_11comp_targetILNS1_3genE9ELNS1_11target_archE1100ELNS1_3gpuE3ELNS1_3repE0EEENS1_30default_config_static_selectorELNS0_4arch9wavefront6targetE1EEEvT1_: ; @_ZN7rocprim17ROCPRIM_400000_NS6detail17trampoline_kernelINS0_14default_configENS1_25partition_config_selectorILNS1_17partition_subalgoE0EtNS0_10empty_typeEbEEZZNS1_14partition_implILS5_0ELb0ES3_jN6thrust23THRUST_200600_302600_NS6detail15normal_iteratorINSA_10device_ptrItEEEEPS6_SG_NS0_5tupleIJNSA_16discard_iteratorINSA_11use_defaultEEESF_EEENSH_IJSG_SG_EEES6_PlJ7is_evenItEEEE10hipError_tPvRmT3_T4_T5_T6_T7_T9_mT8_P12ihipStream_tbDpT10_ENKUlT_T0_E_clISt17integral_constantIbLb1EES19_EEDaS14_S15_EUlS14_E_NS1_11comp_targetILNS1_3genE9ELNS1_11target_archE1100ELNS1_3gpuE3ELNS1_3repE0EEENS1_30default_config_static_selectorELNS0_4arch9wavefront6targetE1EEEvT1_
; %bb.0:
	.section	.rodata,"a",@progbits
	.p2align	6, 0x0
	.amdhsa_kernel _ZN7rocprim17ROCPRIM_400000_NS6detail17trampoline_kernelINS0_14default_configENS1_25partition_config_selectorILNS1_17partition_subalgoE0EtNS0_10empty_typeEbEEZZNS1_14partition_implILS5_0ELb0ES3_jN6thrust23THRUST_200600_302600_NS6detail15normal_iteratorINSA_10device_ptrItEEEEPS6_SG_NS0_5tupleIJNSA_16discard_iteratorINSA_11use_defaultEEESF_EEENSH_IJSG_SG_EEES6_PlJ7is_evenItEEEE10hipError_tPvRmT3_T4_T5_T6_T7_T9_mT8_P12ihipStream_tbDpT10_ENKUlT_T0_E_clISt17integral_constantIbLb1EES19_EEDaS14_S15_EUlS14_E_NS1_11comp_targetILNS1_3genE9ELNS1_11target_archE1100ELNS1_3gpuE3ELNS1_3repE0EEENS1_30default_config_static_selectorELNS0_4arch9wavefront6targetE1EEEvT1_
		.amdhsa_group_segment_fixed_size 0
		.amdhsa_private_segment_fixed_size 0
		.amdhsa_kernarg_size 144
		.amdhsa_user_sgpr_count 6
		.amdhsa_user_sgpr_private_segment_buffer 1
		.amdhsa_user_sgpr_dispatch_ptr 0
		.amdhsa_user_sgpr_queue_ptr 0
		.amdhsa_user_sgpr_kernarg_segment_ptr 1
		.amdhsa_user_sgpr_dispatch_id 0
		.amdhsa_user_sgpr_flat_scratch_init 0
		.amdhsa_user_sgpr_kernarg_preload_length 0
		.amdhsa_user_sgpr_kernarg_preload_offset 0
		.amdhsa_user_sgpr_private_segment_size 0
		.amdhsa_uses_dynamic_stack 0
		.amdhsa_system_sgpr_private_segment_wavefront_offset 0
		.amdhsa_system_sgpr_workgroup_id_x 1
		.amdhsa_system_sgpr_workgroup_id_y 0
		.amdhsa_system_sgpr_workgroup_id_z 0
		.amdhsa_system_sgpr_workgroup_info 0
		.amdhsa_system_vgpr_workitem_id 0
		.amdhsa_next_free_vgpr 1
		.amdhsa_next_free_sgpr 0
		.amdhsa_accum_offset 4
		.amdhsa_reserve_vcc 0
		.amdhsa_reserve_flat_scratch 0
		.amdhsa_float_round_mode_32 0
		.amdhsa_float_round_mode_16_64 0
		.amdhsa_float_denorm_mode_32 3
		.amdhsa_float_denorm_mode_16_64 3
		.amdhsa_dx10_clamp 1
		.amdhsa_ieee_mode 1
		.amdhsa_fp16_overflow 0
		.amdhsa_tg_split 0
		.amdhsa_exception_fp_ieee_invalid_op 0
		.amdhsa_exception_fp_denorm_src 0
		.amdhsa_exception_fp_ieee_div_zero 0
		.amdhsa_exception_fp_ieee_overflow 0
		.amdhsa_exception_fp_ieee_underflow 0
		.amdhsa_exception_fp_ieee_inexact 0
		.amdhsa_exception_int_div_zero 0
	.end_amdhsa_kernel
	.section	.text._ZN7rocprim17ROCPRIM_400000_NS6detail17trampoline_kernelINS0_14default_configENS1_25partition_config_selectorILNS1_17partition_subalgoE0EtNS0_10empty_typeEbEEZZNS1_14partition_implILS5_0ELb0ES3_jN6thrust23THRUST_200600_302600_NS6detail15normal_iteratorINSA_10device_ptrItEEEEPS6_SG_NS0_5tupleIJNSA_16discard_iteratorINSA_11use_defaultEEESF_EEENSH_IJSG_SG_EEES6_PlJ7is_evenItEEEE10hipError_tPvRmT3_T4_T5_T6_T7_T9_mT8_P12ihipStream_tbDpT10_ENKUlT_T0_E_clISt17integral_constantIbLb1EES19_EEDaS14_S15_EUlS14_E_NS1_11comp_targetILNS1_3genE9ELNS1_11target_archE1100ELNS1_3gpuE3ELNS1_3repE0EEENS1_30default_config_static_selectorELNS0_4arch9wavefront6targetE1EEEvT1_,"axG",@progbits,_ZN7rocprim17ROCPRIM_400000_NS6detail17trampoline_kernelINS0_14default_configENS1_25partition_config_selectorILNS1_17partition_subalgoE0EtNS0_10empty_typeEbEEZZNS1_14partition_implILS5_0ELb0ES3_jN6thrust23THRUST_200600_302600_NS6detail15normal_iteratorINSA_10device_ptrItEEEEPS6_SG_NS0_5tupleIJNSA_16discard_iteratorINSA_11use_defaultEEESF_EEENSH_IJSG_SG_EEES6_PlJ7is_evenItEEEE10hipError_tPvRmT3_T4_T5_T6_T7_T9_mT8_P12ihipStream_tbDpT10_ENKUlT_T0_E_clISt17integral_constantIbLb1EES19_EEDaS14_S15_EUlS14_E_NS1_11comp_targetILNS1_3genE9ELNS1_11target_archE1100ELNS1_3gpuE3ELNS1_3repE0EEENS1_30default_config_static_selectorELNS0_4arch9wavefront6targetE1EEEvT1_,comdat
.Lfunc_end2569:
	.size	_ZN7rocprim17ROCPRIM_400000_NS6detail17trampoline_kernelINS0_14default_configENS1_25partition_config_selectorILNS1_17partition_subalgoE0EtNS0_10empty_typeEbEEZZNS1_14partition_implILS5_0ELb0ES3_jN6thrust23THRUST_200600_302600_NS6detail15normal_iteratorINSA_10device_ptrItEEEEPS6_SG_NS0_5tupleIJNSA_16discard_iteratorINSA_11use_defaultEEESF_EEENSH_IJSG_SG_EEES6_PlJ7is_evenItEEEE10hipError_tPvRmT3_T4_T5_T6_T7_T9_mT8_P12ihipStream_tbDpT10_ENKUlT_T0_E_clISt17integral_constantIbLb1EES19_EEDaS14_S15_EUlS14_E_NS1_11comp_targetILNS1_3genE9ELNS1_11target_archE1100ELNS1_3gpuE3ELNS1_3repE0EEENS1_30default_config_static_selectorELNS0_4arch9wavefront6targetE1EEEvT1_, .Lfunc_end2569-_ZN7rocprim17ROCPRIM_400000_NS6detail17trampoline_kernelINS0_14default_configENS1_25partition_config_selectorILNS1_17partition_subalgoE0EtNS0_10empty_typeEbEEZZNS1_14partition_implILS5_0ELb0ES3_jN6thrust23THRUST_200600_302600_NS6detail15normal_iteratorINSA_10device_ptrItEEEEPS6_SG_NS0_5tupleIJNSA_16discard_iteratorINSA_11use_defaultEEESF_EEENSH_IJSG_SG_EEES6_PlJ7is_evenItEEEE10hipError_tPvRmT3_T4_T5_T6_T7_T9_mT8_P12ihipStream_tbDpT10_ENKUlT_T0_E_clISt17integral_constantIbLb1EES19_EEDaS14_S15_EUlS14_E_NS1_11comp_targetILNS1_3genE9ELNS1_11target_archE1100ELNS1_3gpuE3ELNS1_3repE0EEENS1_30default_config_static_selectorELNS0_4arch9wavefront6targetE1EEEvT1_
                                        ; -- End function
	.section	.AMDGPU.csdata,"",@progbits
; Kernel info:
; codeLenInByte = 0
; NumSgprs: 4
; NumVgprs: 0
; NumAgprs: 0
; TotalNumVgprs: 0
; ScratchSize: 0
; MemoryBound: 0
; FloatMode: 240
; IeeeMode: 1
; LDSByteSize: 0 bytes/workgroup (compile time only)
; SGPRBlocks: 0
; VGPRBlocks: 0
; NumSGPRsForWavesPerEU: 4
; NumVGPRsForWavesPerEU: 1
; AccumOffset: 4
; Occupancy: 8
; WaveLimiterHint : 0
; COMPUTE_PGM_RSRC2:SCRATCH_EN: 0
; COMPUTE_PGM_RSRC2:USER_SGPR: 6
; COMPUTE_PGM_RSRC2:TRAP_HANDLER: 0
; COMPUTE_PGM_RSRC2:TGID_X_EN: 1
; COMPUTE_PGM_RSRC2:TGID_Y_EN: 0
; COMPUTE_PGM_RSRC2:TGID_Z_EN: 0
; COMPUTE_PGM_RSRC2:TIDIG_COMP_CNT: 0
; COMPUTE_PGM_RSRC3_GFX90A:ACCUM_OFFSET: 0
; COMPUTE_PGM_RSRC3_GFX90A:TG_SPLIT: 0
	.section	.text._ZN7rocprim17ROCPRIM_400000_NS6detail17trampoline_kernelINS0_14default_configENS1_25partition_config_selectorILNS1_17partition_subalgoE0EtNS0_10empty_typeEbEEZZNS1_14partition_implILS5_0ELb0ES3_jN6thrust23THRUST_200600_302600_NS6detail15normal_iteratorINSA_10device_ptrItEEEEPS6_SG_NS0_5tupleIJNSA_16discard_iteratorINSA_11use_defaultEEESF_EEENSH_IJSG_SG_EEES6_PlJ7is_evenItEEEE10hipError_tPvRmT3_T4_T5_T6_T7_T9_mT8_P12ihipStream_tbDpT10_ENKUlT_T0_E_clISt17integral_constantIbLb1EES19_EEDaS14_S15_EUlS14_E_NS1_11comp_targetILNS1_3genE8ELNS1_11target_archE1030ELNS1_3gpuE2ELNS1_3repE0EEENS1_30default_config_static_selectorELNS0_4arch9wavefront6targetE1EEEvT1_,"axG",@progbits,_ZN7rocprim17ROCPRIM_400000_NS6detail17trampoline_kernelINS0_14default_configENS1_25partition_config_selectorILNS1_17partition_subalgoE0EtNS0_10empty_typeEbEEZZNS1_14partition_implILS5_0ELb0ES3_jN6thrust23THRUST_200600_302600_NS6detail15normal_iteratorINSA_10device_ptrItEEEEPS6_SG_NS0_5tupleIJNSA_16discard_iteratorINSA_11use_defaultEEESF_EEENSH_IJSG_SG_EEES6_PlJ7is_evenItEEEE10hipError_tPvRmT3_T4_T5_T6_T7_T9_mT8_P12ihipStream_tbDpT10_ENKUlT_T0_E_clISt17integral_constantIbLb1EES19_EEDaS14_S15_EUlS14_E_NS1_11comp_targetILNS1_3genE8ELNS1_11target_archE1030ELNS1_3gpuE2ELNS1_3repE0EEENS1_30default_config_static_selectorELNS0_4arch9wavefront6targetE1EEEvT1_,comdat
	.protected	_ZN7rocprim17ROCPRIM_400000_NS6detail17trampoline_kernelINS0_14default_configENS1_25partition_config_selectorILNS1_17partition_subalgoE0EtNS0_10empty_typeEbEEZZNS1_14partition_implILS5_0ELb0ES3_jN6thrust23THRUST_200600_302600_NS6detail15normal_iteratorINSA_10device_ptrItEEEEPS6_SG_NS0_5tupleIJNSA_16discard_iteratorINSA_11use_defaultEEESF_EEENSH_IJSG_SG_EEES6_PlJ7is_evenItEEEE10hipError_tPvRmT3_T4_T5_T6_T7_T9_mT8_P12ihipStream_tbDpT10_ENKUlT_T0_E_clISt17integral_constantIbLb1EES19_EEDaS14_S15_EUlS14_E_NS1_11comp_targetILNS1_3genE8ELNS1_11target_archE1030ELNS1_3gpuE2ELNS1_3repE0EEENS1_30default_config_static_selectorELNS0_4arch9wavefront6targetE1EEEvT1_ ; -- Begin function _ZN7rocprim17ROCPRIM_400000_NS6detail17trampoline_kernelINS0_14default_configENS1_25partition_config_selectorILNS1_17partition_subalgoE0EtNS0_10empty_typeEbEEZZNS1_14partition_implILS5_0ELb0ES3_jN6thrust23THRUST_200600_302600_NS6detail15normal_iteratorINSA_10device_ptrItEEEEPS6_SG_NS0_5tupleIJNSA_16discard_iteratorINSA_11use_defaultEEESF_EEENSH_IJSG_SG_EEES6_PlJ7is_evenItEEEE10hipError_tPvRmT3_T4_T5_T6_T7_T9_mT8_P12ihipStream_tbDpT10_ENKUlT_T0_E_clISt17integral_constantIbLb1EES19_EEDaS14_S15_EUlS14_E_NS1_11comp_targetILNS1_3genE8ELNS1_11target_archE1030ELNS1_3gpuE2ELNS1_3repE0EEENS1_30default_config_static_selectorELNS0_4arch9wavefront6targetE1EEEvT1_
	.globl	_ZN7rocprim17ROCPRIM_400000_NS6detail17trampoline_kernelINS0_14default_configENS1_25partition_config_selectorILNS1_17partition_subalgoE0EtNS0_10empty_typeEbEEZZNS1_14partition_implILS5_0ELb0ES3_jN6thrust23THRUST_200600_302600_NS6detail15normal_iteratorINSA_10device_ptrItEEEEPS6_SG_NS0_5tupleIJNSA_16discard_iteratorINSA_11use_defaultEEESF_EEENSH_IJSG_SG_EEES6_PlJ7is_evenItEEEE10hipError_tPvRmT3_T4_T5_T6_T7_T9_mT8_P12ihipStream_tbDpT10_ENKUlT_T0_E_clISt17integral_constantIbLb1EES19_EEDaS14_S15_EUlS14_E_NS1_11comp_targetILNS1_3genE8ELNS1_11target_archE1030ELNS1_3gpuE2ELNS1_3repE0EEENS1_30default_config_static_selectorELNS0_4arch9wavefront6targetE1EEEvT1_
	.p2align	8
	.type	_ZN7rocprim17ROCPRIM_400000_NS6detail17trampoline_kernelINS0_14default_configENS1_25partition_config_selectorILNS1_17partition_subalgoE0EtNS0_10empty_typeEbEEZZNS1_14partition_implILS5_0ELb0ES3_jN6thrust23THRUST_200600_302600_NS6detail15normal_iteratorINSA_10device_ptrItEEEEPS6_SG_NS0_5tupleIJNSA_16discard_iteratorINSA_11use_defaultEEESF_EEENSH_IJSG_SG_EEES6_PlJ7is_evenItEEEE10hipError_tPvRmT3_T4_T5_T6_T7_T9_mT8_P12ihipStream_tbDpT10_ENKUlT_T0_E_clISt17integral_constantIbLb1EES19_EEDaS14_S15_EUlS14_E_NS1_11comp_targetILNS1_3genE8ELNS1_11target_archE1030ELNS1_3gpuE2ELNS1_3repE0EEENS1_30default_config_static_selectorELNS0_4arch9wavefront6targetE1EEEvT1_,@function
_ZN7rocprim17ROCPRIM_400000_NS6detail17trampoline_kernelINS0_14default_configENS1_25partition_config_selectorILNS1_17partition_subalgoE0EtNS0_10empty_typeEbEEZZNS1_14partition_implILS5_0ELb0ES3_jN6thrust23THRUST_200600_302600_NS6detail15normal_iteratorINSA_10device_ptrItEEEEPS6_SG_NS0_5tupleIJNSA_16discard_iteratorINSA_11use_defaultEEESF_EEENSH_IJSG_SG_EEES6_PlJ7is_evenItEEEE10hipError_tPvRmT3_T4_T5_T6_T7_T9_mT8_P12ihipStream_tbDpT10_ENKUlT_T0_E_clISt17integral_constantIbLb1EES19_EEDaS14_S15_EUlS14_E_NS1_11comp_targetILNS1_3genE8ELNS1_11target_archE1030ELNS1_3gpuE2ELNS1_3repE0EEENS1_30default_config_static_selectorELNS0_4arch9wavefront6targetE1EEEvT1_: ; @_ZN7rocprim17ROCPRIM_400000_NS6detail17trampoline_kernelINS0_14default_configENS1_25partition_config_selectorILNS1_17partition_subalgoE0EtNS0_10empty_typeEbEEZZNS1_14partition_implILS5_0ELb0ES3_jN6thrust23THRUST_200600_302600_NS6detail15normal_iteratorINSA_10device_ptrItEEEEPS6_SG_NS0_5tupleIJNSA_16discard_iteratorINSA_11use_defaultEEESF_EEENSH_IJSG_SG_EEES6_PlJ7is_evenItEEEE10hipError_tPvRmT3_T4_T5_T6_T7_T9_mT8_P12ihipStream_tbDpT10_ENKUlT_T0_E_clISt17integral_constantIbLb1EES19_EEDaS14_S15_EUlS14_E_NS1_11comp_targetILNS1_3genE8ELNS1_11target_archE1030ELNS1_3gpuE2ELNS1_3repE0EEENS1_30default_config_static_selectorELNS0_4arch9wavefront6targetE1EEEvT1_
; %bb.0:
	.section	.rodata,"a",@progbits
	.p2align	6, 0x0
	.amdhsa_kernel _ZN7rocprim17ROCPRIM_400000_NS6detail17trampoline_kernelINS0_14default_configENS1_25partition_config_selectorILNS1_17partition_subalgoE0EtNS0_10empty_typeEbEEZZNS1_14partition_implILS5_0ELb0ES3_jN6thrust23THRUST_200600_302600_NS6detail15normal_iteratorINSA_10device_ptrItEEEEPS6_SG_NS0_5tupleIJNSA_16discard_iteratorINSA_11use_defaultEEESF_EEENSH_IJSG_SG_EEES6_PlJ7is_evenItEEEE10hipError_tPvRmT3_T4_T5_T6_T7_T9_mT8_P12ihipStream_tbDpT10_ENKUlT_T0_E_clISt17integral_constantIbLb1EES19_EEDaS14_S15_EUlS14_E_NS1_11comp_targetILNS1_3genE8ELNS1_11target_archE1030ELNS1_3gpuE2ELNS1_3repE0EEENS1_30default_config_static_selectorELNS0_4arch9wavefront6targetE1EEEvT1_
		.amdhsa_group_segment_fixed_size 0
		.amdhsa_private_segment_fixed_size 0
		.amdhsa_kernarg_size 144
		.amdhsa_user_sgpr_count 6
		.amdhsa_user_sgpr_private_segment_buffer 1
		.amdhsa_user_sgpr_dispatch_ptr 0
		.amdhsa_user_sgpr_queue_ptr 0
		.amdhsa_user_sgpr_kernarg_segment_ptr 1
		.amdhsa_user_sgpr_dispatch_id 0
		.amdhsa_user_sgpr_flat_scratch_init 0
		.amdhsa_user_sgpr_kernarg_preload_length 0
		.amdhsa_user_sgpr_kernarg_preload_offset 0
		.amdhsa_user_sgpr_private_segment_size 0
		.amdhsa_uses_dynamic_stack 0
		.amdhsa_system_sgpr_private_segment_wavefront_offset 0
		.amdhsa_system_sgpr_workgroup_id_x 1
		.amdhsa_system_sgpr_workgroup_id_y 0
		.amdhsa_system_sgpr_workgroup_id_z 0
		.amdhsa_system_sgpr_workgroup_info 0
		.amdhsa_system_vgpr_workitem_id 0
		.amdhsa_next_free_vgpr 1
		.amdhsa_next_free_sgpr 0
		.amdhsa_accum_offset 4
		.amdhsa_reserve_vcc 0
		.amdhsa_reserve_flat_scratch 0
		.amdhsa_float_round_mode_32 0
		.amdhsa_float_round_mode_16_64 0
		.amdhsa_float_denorm_mode_32 3
		.amdhsa_float_denorm_mode_16_64 3
		.amdhsa_dx10_clamp 1
		.amdhsa_ieee_mode 1
		.amdhsa_fp16_overflow 0
		.amdhsa_tg_split 0
		.amdhsa_exception_fp_ieee_invalid_op 0
		.amdhsa_exception_fp_denorm_src 0
		.amdhsa_exception_fp_ieee_div_zero 0
		.amdhsa_exception_fp_ieee_overflow 0
		.amdhsa_exception_fp_ieee_underflow 0
		.amdhsa_exception_fp_ieee_inexact 0
		.amdhsa_exception_int_div_zero 0
	.end_amdhsa_kernel
	.section	.text._ZN7rocprim17ROCPRIM_400000_NS6detail17trampoline_kernelINS0_14default_configENS1_25partition_config_selectorILNS1_17partition_subalgoE0EtNS0_10empty_typeEbEEZZNS1_14partition_implILS5_0ELb0ES3_jN6thrust23THRUST_200600_302600_NS6detail15normal_iteratorINSA_10device_ptrItEEEEPS6_SG_NS0_5tupleIJNSA_16discard_iteratorINSA_11use_defaultEEESF_EEENSH_IJSG_SG_EEES6_PlJ7is_evenItEEEE10hipError_tPvRmT3_T4_T5_T6_T7_T9_mT8_P12ihipStream_tbDpT10_ENKUlT_T0_E_clISt17integral_constantIbLb1EES19_EEDaS14_S15_EUlS14_E_NS1_11comp_targetILNS1_3genE8ELNS1_11target_archE1030ELNS1_3gpuE2ELNS1_3repE0EEENS1_30default_config_static_selectorELNS0_4arch9wavefront6targetE1EEEvT1_,"axG",@progbits,_ZN7rocprim17ROCPRIM_400000_NS6detail17trampoline_kernelINS0_14default_configENS1_25partition_config_selectorILNS1_17partition_subalgoE0EtNS0_10empty_typeEbEEZZNS1_14partition_implILS5_0ELb0ES3_jN6thrust23THRUST_200600_302600_NS6detail15normal_iteratorINSA_10device_ptrItEEEEPS6_SG_NS0_5tupleIJNSA_16discard_iteratorINSA_11use_defaultEEESF_EEENSH_IJSG_SG_EEES6_PlJ7is_evenItEEEE10hipError_tPvRmT3_T4_T5_T6_T7_T9_mT8_P12ihipStream_tbDpT10_ENKUlT_T0_E_clISt17integral_constantIbLb1EES19_EEDaS14_S15_EUlS14_E_NS1_11comp_targetILNS1_3genE8ELNS1_11target_archE1030ELNS1_3gpuE2ELNS1_3repE0EEENS1_30default_config_static_selectorELNS0_4arch9wavefront6targetE1EEEvT1_,comdat
.Lfunc_end2570:
	.size	_ZN7rocprim17ROCPRIM_400000_NS6detail17trampoline_kernelINS0_14default_configENS1_25partition_config_selectorILNS1_17partition_subalgoE0EtNS0_10empty_typeEbEEZZNS1_14partition_implILS5_0ELb0ES3_jN6thrust23THRUST_200600_302600_NS6detail15normal_iteratorINSA_10device_ptrItEEEEPS6_SG_NS0_5tupleIJNSA_16discard_iteratorINSA_11use_defaultEEESF_EEENSH_IJSG_SG_EEES6_PlJ7is_evenItEEEE10hipError_tPvRmT3_T4_T5_T6_T7_T9_mT8_P12ihipStream_tbDpT10_ENKUlT_T0_E_clISt17integral_constantIbLb1EES19_EEDaS14_S15_EUlS14_E_NS1_11comp_targetILNS1_3genE8ELNS1_11target_archE1030ELNS1_3gpuE2ELNS1_3repE0EEENS1_30default_config_static_selectorELNS0_4arch9wavefront6targetE1EEEvT1_, .Lfunc_end2570-_ZN7rocprim17ROCPRIM_400000_NS6detail17trampoline_kernelINS0_14default_configENS1_25partition_config_selectorILNS1_17partition_subalgoE0EtNS0_10empty_typeEbEEZZNS1_14partition_implILS5_0ELb0ES3_jN6thrust23THRUST_200600_302600_NS6detail15normal_iteratorINSA_10device_ptrItEEEEPS6_SG_NS0_5tupleIJNSA_16discard_iteratorINSA_11use_defaultEEESF_EEENSH_IJSG_SG_EEES6_PlJ7is_evenItEEEE10hipError_tPvRmT3_T4_T5_T6_T7_T9_mT8_P12ihipStream_tbDpT10_ENKUlT_T0_E_clISt17integral_constantIbLb1EES19_EEDaS14_S15_EUlS14_E_NS1_11comp_targetILNS1_3genE8ELNS1_11target_archE1030ELNS1_3gpuE2ELNS1_3repE0EEENS1_30default_config_static_selectorELNS0_4arch9wavefront6targetE1EEEvT1_
                                        ; -- End function
	.section	.AMDGPU.csdata,"",@progbits
; Kernel info:
; codeLenInByte = 0
; NumSgprs: 4
; NumVgprs: 0
; NumAgprs: 0
; TotalNumVgprs: 0
; ScratchSize: 0
; MemoryBound: 0
; FloatMode: 240
; IeeeMode: 1
; LDSByteSize: 0 bytes/workgroup (compile time only)
; SGPRBlocks: 0
; VGPRBlocks: 0
; NumSGPRsForWavesPerEU: 4
; NumVGPRsForWavesPerEU: 1
; AccumOffset: 4
; Occupancy: 8
; WaveLimiterHint : 0
; COMPUTE_PGM_RSRC2:SCRATCH_EN: 0
; COMPUTE_PGM_RSRC2:USER_SGPR: 6
; COMPUTE_PGM_RSRC2:TRAP_HANDLER: 0
; COMPUTE_PGM_RSRC2:TGID_X_EN: 1
; COMPUTE_PGM_RSRC2:TGID_Y_EN: 0
; COMPUTE_PGM_RSRC2:TGID_Z_EN: 0
; COMPUTE_PGM_RSRC2:TIDIG_COMP_CNT: 0
; COMPUTE_PGM_RSRC3_GFX90A:ACCUM_OFFSET: 0
; COMPUTE_PGM_RSRC3_GFX90A:TG_SPLIT: 0
	.section	.text._ZN7rocprim17ROCPRIM_400000_NS6detail17trampoline_kernelINS0_14default_configENS1_25partition_config_selectorILNS1_17partition_subalgoE0EtNS0_10empty_typeEbEEZZNS1_14partition_implILS5_0ELb0ES3_jN6thrust23THRUST_200600_302600_NS6detail15normal_iteratorINSA_10device_ptrItEEEEPS6_SG_NS0_5tupleIJNSA_16discard_iteratorINSA_11use_defaultEEESF_EEENSH_IJSG_SG_EEES6_PlJ7is_evenItEEEE10hipError_tPvRmT3_T4_T5_T6_T7_T9_mT8_P12ihipStream_tbDpT10_ENKUlT_T0_E_clISt17integral_constantIbLb1EES18_IbLb0EEEEDaS14_S15_EUlS14_E_NS1_11comp_targetILNS1_3genE0ELNS1_11target_archE4294967295ELNS1_3gpuE0ELNS1_3repE0EEENS1_30default_config_static_selectorELNS0_4arch9wavefront6targetE1EEEvT1_,"axG",@progbits,_ZN7rocprim17ROCPRIM_400000_NS6detail17trampoline_kernelINS0_14default_configENS1_25partition_config_selectorILNS1_17partition_subalgoE0EtNS0_10empty_typeEbEEZZNS1_14partition_implILS5_0ELb0ES3_jN6thrust23THRUST_200600_302600_NS6detail15normal_iteratorINSA_10device_ptrItEEEEPS6_SG_NS0_5tupleIJNSA_16discard_iteratorINSA_11use_defaultEEESF_EEENSH_IJSG_SG_EEES6_PlJ7is_evenItEEEE10hipError_tPvRmT3_T4_T5_T6_T7_T9_mT8_P12ihipStream_tbDpT10_ENKUlT_T0_E_clISt17integral_constantIbLb1EES18_IbLb0EEEEDaS14_S15_EUlS14_E_NS1_11comp_targetILNS1_3genE0ELNS1_11target_archE4294967295ELNS1_3gpuE0ELNS1_3repE0EEENS1_30default_config_static_selectorELNS0_4arch9wavefront6targetE1EEEvT1_,comdat
	.protected	_ZN7rocprim17ROCPRIM_400000_NS6detail17trampoline_kernelINS0_14default_configENS1_25partition_config_selectorILNS1_17partition_subalgoE0EtNS0_10empty_typeEbEEZZNS1_14partition_implILS5_0ELb0ES3_jN6thrust23THRUST_200600_302600_NS6detail15normal_iteratorINSA_10device_ptrItEEEEPS6_SG_NS0_5tupleIJNSA_16discard_iteratorINSA_11use_defaultEEESF_EEENSH_IJSG_SG_EEES6_PlJ7is_evenItEEEE10hipError_tPvRmT3_T4_T5_T6_T7_T9_mT8_P12ihipStream_tbDpT10_ENKUlT_T0_E_clISt17integral_constantIbLb1EES18_IbLb0EEEEDaS14_S15_EUlS14_E_NS1_11comp_targetILNS1_3genE0ELNS1_11target_archE4294967295ELNS1_3gpuE0ELNS1_3repE0EEENS1_30default_config_static_selectorELNS0_4arch9wavefront6targetE1EEEvT1_ ; -- Begin function _ZN7rocprim17ROCPRIM_400000_NS6detail17trampoline_kernelINS0_14default_configENS1_25partition_config_selectorILNS1_17partition_subalgoE0EtNS0_10empty_typeEbEEZZNS1_14partition_implILS5_0ELb0ES3_jN6thrust23THRUST_200600_302600_NS6detail15normal_iteratorINSA_10device_ptrItEEEEPS6_SG_NS0_5tupleIJNSA_16discard_iteratorINSA_11use_defaultEEESF_EEENSH_IJSG_SG_EEES6_PlJ7is_evenItEEEE10hipError_tPvRmT3_T4_T5_T6_T7_T9_mT8_P12ihipStream_tbDpT10_ENKUlT_T0_E_clISt17integral_constantIbLb1EES18_IbLb0EEEEDaS14_S15_EUlS14_E_NS1_11comp_targetILNS1_3genE0ELNS1_11target_archE4294967295ELNS1_3gpuE0ELNS1_3repE0EEENS1_30default_config_static_selectorELNS0_4arch9wavefront6targetE1EEEvT1_
	.globl	_ZN7rocprim17ROCPRIM_400000_NS6detail17trampoline_kernelINS0_14default_configENS1_25partition_config_selectorILNS1_17partition_subalgoE0EtNS0_10empty_typeEbEEZZNS1_14partition_implILS5_0ELb0ES3_jN6thrust23THRUST_200600_302600_NS6detail15normal_iteratorINSA_10device_ptrItEEEEPS6_SG_NS0_5tupleIJNSA_16discard_iteratorINSA_11use_defaultEEESF_EEENSH_IJSG_SG_EEES6_PlJ7is_evenItEEEE10hipError_tPvRmT3_T4_T5_T6_T7_T9_mT8_P12ihipStream_tbDpT10_ENKUlT_T0_E_clISt17integral_constantIbLb1EES18_IbLb0EEEEDaS14_S15_EUlS14_E_NS1_11comp_targetILNS1_3genE0ELNS1_11target_archE4294967295ELNS1_3gpuE0ELNS1_3repE0EEENS1_30default_config_static_selectorELNS0_4arch9wavefront6targetE1EEEvT1_
	.p2align	8
	.type	_ZN7rocprim17ROCPRIM_400000_NS6detail17trampoline_kernelINS0_14default_configENS1_25partition_config_selectorILNS1_17partition_subalgoE0EtNS0_10empty_typeEbEEZZNS1_14partition_implILS5_0ELb0ES3_jN6thrust23THRUST_200600_302600_NS6detail15normal_iteratorINSA_10device_ptrItEEEEPS6_SG_NS0_5tupleIJNSA_16discard_iteratorINSA_11use_defaultEEESF_EEENSH_IJSG_SG_EEES6_PlJ7is_evenItEEEE10hipError_tPvRmT3_T4_T5_T6_T7_T9_mT8_P12ihipStream_tbDpT10_ENKUlT_T0_E_clISt17integral_constantIbLb1EES18_IbLb0EEEEDaS14_S15_EUlS14_E_NS1_11comp_targetILNS1_3genE0ELNS1_11target_archE4294967295ELNS1_3gpuE0ELNS1_3repE0EEENS1_30default_config_static_selectorELNS0_4arch9wavefront6targetE1EEEvT1_,@function
_ZN7rocprim17ROCPRIM_400000_NS6detail17trampoline_kernelINS0_14default_configENS1_25partition_config_selectorILNS1_17partition_subalgoE0EtNS0_10empty_typeEbEEZZNS1_14partition_implILS5_0ELb0ES3_jN6thrust23THRUST_200600_302600_NS6detail15normal_iteratorINSA_10device_ptrItEEEEPS6_SG_NS0_5tupleIJNSA_16discard_iteratorINSA_11use_defaultEEESF_EEENSH_IJSG_SG_EEES6_PlJ7is_evenItEEEE10hipError_tPvRmT3_T4_T5_T6_T7_T9_mT8_P12ihipStream_tbDpT10_ENKUlT_T0_E_clISt17integral_constantIbLb1EES18_IbLb0EEEEDaS14_S15_EUlS14_E_NS1_11comp_targetILNS1_3genE0ELNS1_11target_archE4294967295ELNS1_3gpuE0ELNS1_3repE0EEENS1_30default_config_static_selectorELNS0_4arch9wavefront6targetE1EEEvT1_: ; @_ZN7rocprim17ROCPRIM_400000_NS6detail17trampoline_kernelINS0_14default_configENS1_25partition_config_selectorILNS1_17partition_subalgoE0EtNS0_10empty_typeEbEEZZNS1_14partition_implILS5_0ELb0ES3_jN6thrust23THRUST_200600_302600_NS6detail15normal_iteratorINSA_10device_ptrItEEEEPS6_SG_NS0_5tupleIJNSA_16discard_iteratorINSA_11use_defaultEEESF_EEENSH_IJSG_SG_EEES6_PlJ7is_evenItEEEE10hipError_tPvRmT3_T4_T5_T6_T7_T9_mT8_P12ihipStream_tbDpT10_ENKUlT_T0_E_clISt17integral_constantIbLb1EES18_IbLb0EEEEDaS14_S15_EUlS14_E_NS1_11comp_targetILNS1_3genE0ELNS1_11target_archE4294967295ELNS1_3gpuE0ELNS1_3repE0EEENS1_30default_config_static_selectorELNS0_4arch9wavefront6targetE1EEEvT1_
; %bb.0:
	.section	.rodata,"a",@progbits
	.p2align	6, 0x0
	.amdhsa_kernel _ZN7rocprim17ROCPRIM_400000_NS6detail17trampoline_kernelINS0_14default_configENS1_25partition_config_selectorILNS1_17partition_subalgoE0EtNS0_10empty_typeEbEEZZNS1_14partition_implILS5_0ELb0ES3_jN6thrust23THRUST_200600_302600_NS6detail15normal_iteratorINSA_10device_ptrItEEEEPS6_SG_NS0_5tupleIJNSA_16discard_iteratorINSA_11use_defaultEEESF_EEENSH_IJSG_SG_EEES6_PlJ7is_evenItEEEE10hipError_tPvRmT3_T4_T5_T6_T7_T9_mT8_P12ihipStream_tbDpT10_ENKUlT_T0_E_clISt17integral_constantIbLb1EES18_IbLb0EEEEDaS14_S15_EUlS14_E_NS1_11comp_targetILNS1_3genE0ELNS1_11target_archE4294967295ELNS1_3gpuE0ELNS1_3repE0EEENS1_30default_config_static_selectorELNS0_4arch9wavefront6targetE1EEEvT1_
		.amdhsa_group_segment_fixed_size 0
		.amdhsa_private_segment_fixed_size 0
		.amdhsa_kernarg_size 128
		.amdhsa_user_sgpr_count 6
		.amdhsa_user_sgpr_private_segment_buffer 1
		.amdhsa_user_sgpr_dispatch_ptr 0
		.amdhsa_user_sgpr_queue_ptr 0
		.amdhsa_user_sgpr_kernarg_segment_ptr 1
		.amdhsa_user_sgpr_dispatch_id 0
		.amdhsa_user_sgpr_flat_scratch_init 0
		.amdhsa_user_sgpr_kernarg_preload_length 0
		.amdhsa_user_sgpr_kernarg_preload_offset 0
		.amdhsa_user_sgpr_private_segment_size 0
		.amdhsa_uses_dynamic_stack 0
		.amdhsa_system_sgpr_private_segment_wavefront_offset 0
		.amdhsa_system_sgpr_workgroup_id_x 1
		.amdhsa_system_sgpr_workgroup_id_y 0
		.amdhsa_system_sgpr_workgroup_id_z 0
		.amdhsa_system_sgpr_workgroup_info 0
		.amdhsa_system_vgpr_workitem_id 0
		.amdhsa_next_free_vgpr 1
		.amdhsa_next_free_sgpr 0
		.amdhsa_accum_offset 4
		.amdhsa_reserve_vcc 0
		.amdhsa_reserve_flat_scratch 0
		.amdhsa_float_round_mode_32 0
		.amdhsa_float_round_mode_16_64 0
		.amdhsa_float_denorm_mode_32 3
		.amdhsa_float_denorm_mode_16_64 3
		.amdhsa_dx10_clamp 1
		.amdhsa_ieee_mode 1
		.amdhsa_fp16_overflow 0
		.amdhsa_tg_split 0
		.amdhsa_exception_fp_ieee_invalid_op 0
		.amdhsa_exception_fp_denorm_src 0
		.amdhsa_exception_fp_ieee_div_zero 0
		.amdhsa_exception_fp_ieee_overflow 0
		.amdhsa_exception_fp_ieee_underflow 0
		.amdhsa_exception_fp_ieee_inexact 0
		.amdhsa_exception_int_div_zero 0
	.end_amdhsa_kernel
	.section	.text._ZN7rocprim17ROCPRIM_400000_NS6detail17trampoline_kernelINS0_14default_configENS1_25partition_config_selectorILNS1_17partition_subalgoE0EtNS0_10empty_typeEbEEZZNS1_14partition_implILS5_0ELb0ES3_jN6thrust23THRUST_200600_302600_NS6detail15normal_iteratorINSA_10device_ptrItEEEEPS6_SG_NS0_5tupleIJNSA_16discard_iteratorINSA_11use_defaultEEESF_EEENSH_IJSG_SG_EEES6_PlJ7is_evenItEEEE10hipError_tPvRmT3_T4_T5_T6_T7_T9_mT8_P12ihipStream_tbDpT10_ENKUlT_T0_E_clISt17integral_constantIbLb1EES18_IbLb0EEEEDaS14_S15_EUlS14_E_NS1_11comp_targetILNS1_3genE0ELNS1_11target_archE4294967295ELNS1_3gpuE0ELNS1_3repE0EEENS1_30default_config_static_selectorELNS0_4arch9wavefront6targetE1EEEvT1_,"axG",@progbits,_ZN7rocprim17ROCPRIM_400000_NS6detail17trampoline_kernelINS0_14default_configENS1_25partition_config_selectorILNS1_17partition_subalgoE0EtNS0_10empty_typeEbEEZZNS1_14partition_implILS5_0ELb0ES3_jN6thrust23THRUST_200600_302600_NS6detail15normal_iteratorINSA_10device_ptrItEEEEPS6_SG_NS0_5tupleIJNSA_16discard_iteratorINSA_11use_defaultEEESF_EEENSH_IJSG_SG_EEES6_PlJ7is_evenItEEEE10hipError_tPvRmT3_T4_T5_T6_T7_T9_mT8_P12ihipStream_tbDpT10_ENKUlT_T0_E_clISt17integral_constantIbLb1EES18_IbLb0EEEEDaS14_S15_EUlS14_E_NS1_11comp_targetILNS1_3genE0ELNS1_11target_archE4294967295ELNS1_3gpuE0ELNS1_3repE0EEENS1_30default_config_static_selectorELNS0_4arch9wavefront6targetE1EEEvT1_,comdat
.Lfunc_end2571:
	.size	_ZN7rocprim17ROCPRIM_400000_NS6detail17trampoline_kernelINS0_14default_configENS1_25partition_config_selectorILNS1_17partition_subalgoE0EtNS0_10empty_typeEbEEZZNS1_14partition_implILS5_0ELb0ES3_jN6thrust23THRUST_200600_302600_NS6detail15normal_iteratorINSA_10device_ptrItEEEEPS6_SG_NS0_5tupleIJNSA_16discard_iteratorINSA_11use_defaultEEESF_EEENSH_IJSG_SG_EEES6_PlJ7is_evenItEEEE10hipError_tPvRmT3_T4_T5_T6_T7_T9_mT8_P12ihipStream_tbDpT10_ENKUlT_T0_E_clISt17integral_constantIbLb1EES18_IbLb0EEEEDaS14_S15_EUlS14_E_NS1_11comp_targetILNS1_3genE0ELNS1_11target_archE4294967295ELNS1_3gpuE0ELNS1_3repE0EEENS1_30default_config_static_selectorELNS0_4arch9wavefront6targetE1EEEvT1_, .Lfunc_end2571-_ZN7rocprim17ROCPRIM_400000_NS6detail17trampoline_kernelINS0_14default_configENS1_25partition_config_selectorILNS1_17partition_subalgoE0EtNS0_10empty_typeEbEEZZNS1_14partition_implILS5_0ELb0ES3_jN6thrust23THRUST_200600_302600_NS6detail15normal_iteratorINSA_10device_ptrItEEEEPS6_SG_NS0_5tupleIJNSA_16discard_iteratorINSA_11use_defaultEEESF_EEENSH_IJSG_SG_EEES6_PlJ7is_evenItEEEE10hipError_tPvRmT3_T4_T5_T6_T7_T9_mT8_P12ihipStream_tbDpT10_ENKUlT_T0_E_clISt17integral_constantIbLb1EES18_IbLb0EEEEDaS14_S15_EUlS14_E_NS1_11comp_targetILNS1_3genE0ELNS1_11target_archE4294967295ELNS1_3gpuE0ELNS1_3repE0EEENS1_30default_config_static_selectorELNS0_4arch9wavefront6targetE1EEEvT1_
                                        ; -- End function
	.section	.AMDGPU.csdata,"",@progbits
; Kernel info:
; codeLenInByte = 0
; NumSgprs: 4
; NumVgprs: 0
; NumAgprs: 0
; TotalNumVgprs: 0
; ScratchSize: 0
; MemoryBound: 0
; FloatMode: 240
; IeeeMode: 1
; LDSByteSize: 0 bytes/workgroup (compile time only)
; SGPRBlocks: 0
; VGPRBlocks: 0
; NumSGPRsForWavesPerEU: 4
; NumVGPRsForWavesPerEU: 1
; AccumOffset: 4
; Occupancy: 8
; WaveLimiterHint : 0
; COMPUTE_PGM_RSRC2:SCRATCH_EN: 0
; COMPUTE_PGM_RSRC2:USER_SGPR: 6
; COMPUTE_PGM_RSRC2:TRAP_HANDLER: 0
; COMPUTE_PGM_RSRC2:TGID_X_EN: 1
; COMPUTE_PGM_RSRC2:TGID_Y_EN: 0
; COMPUTE_PGM_RSRC2:TGID_Z_EN: 0
; COMPUTE_PGM_RSRC2:TIDIG_COMP_CNT: 0
; COMPUTE_PGM_RSRC3_GFX90A:ACCUM_OFFSET: 0
; COMPUTE_PGM_RSRC3_GFX90A:TG_SPLIT: 0
	.section	.text._ZN7rocprim17ROCPRIM_400000_NS6detail17trampoline_kernelINS0_14default_configENS1_25partition_config_selectorILNS1_17partition_subalgoE0EtNS0_10empty_typeEbEEZZNS1_14partition_implILS5_0ELb0ES3_jN6thrust23THRUST_200600_302600_NS6detail15normal_iteratorINSA_10device_ptrItEEEEPS6_SG_NS0_5tupleIJNSA_16discard_iteratorINSA_11use_defaultEEESF_EEENSH_IJSG_SG_EEES6_PlJ7is_evenItEEEE10hipError_tPvRmT3_T4_T5_T6_T7_T9_mT8_P12ihipStream_tbDpT10_ENKUlT_T0_E_clISt17integral_constantIbLb1EES18_IbLb0EEEEDaS14_S15_EUlS14_E_NS1_11comp_targetILNS1_3genE5ELNS1_11target_archE942ELNS1_3gpuE9ELNS1_3repE0EEENS1_30default_config_static_selectorELNS0_4arch9wavefront6targetE1EEEvT1_,"axG",@progbits,_ZN7rocprim17ROCPRIM_400000_NS6detail17trampoline_kernelINS0_14default_configENS1_25partition_config_selectorILNS1_17partition_subalgoE0EtNS0_10empty_typeEbEEZZNS1_14partition_implILS5_0ELb0ES3_jN6thrust23THRUST_200600_302600_NS6detail15normal_iteratorINSA_10device_ptrItEEEEPS6_SG_NS0_5tupleIJNSA_16discard_iteratorINSA_11use_defaultEEESF_EEENSH_IJSG_SG_EEES6_PlJ7is_evenItEEEE10hipError_tPvRmT3_T4_T5_T6_T7_T9_mT8_P12ihipStream_tbDpT10_ENKUlT_T0_E_clISt17integral_constantIbLb1EES18_IbLb0EEEEDaS14_S15_EUlS14_E_NS1_11comp_targetILNS1_3genE5ELNS1_11target_archE942ELNS1_3gpuE9ELNS1_3repE0EEENS1_30default_config_static_selectorELNS0_4arch9wavefront6targetE1EEEvT1_,comdat
	.protected	_ZN7rocprim17ROCPRIM_400000_NS6detail17trampoline_kernelINS0_14default_configENS1_25partition_config_selectorILNS1_17partition_subalgoE0EtNS0_10empty_typeEbEEZZNS1_14partition_implILS5_0ELb0ES3_jN6thrust23THRUST_200600_302600_NS6detail15normal_iteratorINSA_10device_ptrItEEEEPS6_SG_NS0_5tupleIJNSA_16discard_iteratorINSA_11use_defaultEEESF_EEENSH_IJSG_SG_EEES6_PlJ7is_evenItEEEE10hipError_tPvRmT3_T4_T5_T6_T7_T9_mT8_P12ihipStream_tbDpT10_ENKUlT_T0_E_clISt17integral_constantIbLb1EES18_IbLb0EEEEDaS14_S15_EUlS14_E_NS1_11comp_targetILNS1_3genE5ELNS1_11target_archE942ELNS1_3gpuE9ELNS1_3repE0EEENS1_30default_config_static_selectorELNS0_4arch9wavefront6targetE1EEEvT1_ ; -- Begin function _ZN7rocprim17ROCPRIM_400000_NS6detail17trampoline_kernelINS0_14default_configENS1_25partition_config_selectorILNS1_17partition_subalgoE0EtNS0_10empty_typeEbEEZZNS1_14partition_implILS5_0ELb0ES3_jN6thrust23THRUST_200600_302600_NS6detail15normal_iteratorINSA_10device_ptrItEEEEPS6_SG_NS0_5tupleIJNSA_16discard_iteratorINSA_11use_defaultEEESF_EEENSH_IJSG_SG_EEES6_PlJ7is_evenItEEEE10hipError_tPvRmT3_T4_T5_T6_T7_T9_mT8_P12ihipStream_tbDpT10_ENKUlT_T0_E_clISt17integral_constantIbLb1EES18_IbLb0EEEEDaS14_S15_EUlS14_E_NS1_11comp_targetILNS1_3genE5ELNS1_11target_archE942ELNS1_3gpuE9ELNS1_3repE0EEENS1_30default_config_static_selectorELNS0_4arch9wavefront6targetE1EEEvT1_
	.globl	_ZN7rocprim17ROCPRIM_400000_NS6detail17trampoline_kernelINS0_14default_configENS1_25partition_config_selectorILNS1_17partition_subalgoE0EtNS0_10empty_typeEbEEZZNS1_14partition_implILS5_0ELb0ES3_jN6thrust23THRUST_200600_302600_NS6detail15normal_iteratorINSA_10device_ptrItEEEEPS6_SG_NS0_5tupleIJNSA_16discard_iteratorINSA_11use_defaultEEESF_EEENSH_IJSG_SG_EEES6_PlJ7is_evenItEEEE10hipError_tPvRmT3_T4_T5_T6_T7_T9_mT8_P12ihipStream_tbDpT10_ENKUlT_T0_E_clISt17integral_constantIbLb1EES18_IbLb0EEEEDaS14_S15_EUlS14_E_NS1_11comp_targetILNS1_3genE5ELNS1_11target_archE942ELNS1_3gpuE9ELNS1_3repE0EEENS1_30default_config_static_selectorELNS0_4arch9wavefront6targetE1EEEvT1_
	.p2align	8
	.type	_ZN7rocprim17ROCPRIM_400000_NS6detail17trampoline_kernelINS0_14default_configENS1_25partition_config_selectorILNS1_17partition_subalgoE0EtNS0_10empty_typeEbEEZZNS1_14partition_implILS5_0ELb0ES3_jN6thrust23THRUST_200600_302600_NS6detail15normal_iteratorINSA_10device_ptrItEEEEPS6_SG_NS0_5tupleIJNSA_16discard_iteratorINSA_11use_defaultEEESF_EEENSH_IJSG_SG_EEES6_PlJ7is_evenItEEEE10hipError_tPvRmT3_T4_T5_T6_T7_T9_mT8_P12ihipStream_tbDpT10_ENKUlT_T0_E_clISt17integral_constantIbLb1EES18_IbLb0EEEEDaS14_S15_EUlS14_E_NS1_11comp_targetILNS1_3genE5ELNS1_11target_archE942ELNS1_3gpuE9ELNS1_3repE0EEENS1_30default_config_static_selectorELNS0_4arch9wavefront6targetE1EEEvT1_,@function
_ZN7rocprim17ROCPRIM_400000_NS6detail17trampoline_kernelINS0_14default_configENS1_25partition_config_selectorILNS1_17partition_subalgoE0EtNS0_10empty_typeEbEEZZNS1_14partition_implILS5_0ELb0ES3_jN6thrust23THRUST_200600_302600_NS6detail15normal_iteratorINSA_10device_ptrItEEEEPS6_SG_NS0_5tupleIJNSA_16discard_iteratorINSA_11use_defaultEEESF_EEENSH_IJSG_SG_EEES6_PlJ7is_evenItEEEE10hipError_tPvRmT3_T4_T5_T6_T7_T9_mT8_P12ihipStream_tbDpT10_ENKUlT_T0_E_clISt17integral_constantIbLb1EES18_IbLb0EEEEDaS14_S15_EUlS14_E_NS1_11comp_targetILNS1_3genE5ELNS1_11target_archE942ELNS1_3gpuE9ELNS1_3repE0EEENS1_30default_config_static_selectorELNS0_4arch9wavefront6targetE1EEEvT1_: ; @_ZN7rocprim17ROCPRIM_400000_NS6detail17trampoline_kernelINS0_14default_configENS1_25partition_config_selectorILNS1_17partition_subalgoE0EtNS0_10empty_typeEbEEZZNS1_14partition_implILS5_0ELb0ES3_jN6thrust23THRUST_200600_302600_NS6detail15normal_iteratorINSA_10device_ptrItEEEEPS6_SG_NS0_5tupleIJNSA_16discard_iteratorINSA_11use_defaultEEESF_EEENSH_IJSG_SG_EEES6_PlJ7is_evenItEEEE10hipError_tPvRmT3_T4_T5_T6_T7_T9_mT8_P12ihipStream_tbDpT10_ENKUlT_T0_E_clISt17integral_constantIbLb1EES18_IbLb0EEEEDaS14_S15_EUlS14_E_NS1_11comp_targetILNS1_3genE5ELNS1_11target_archE942ELNS1_3gpuE9ELNS1_3repE0EEENS1_30default_config_static_selectorELNS0_4arch9wavefront6targetE1EEEvT1_
; %bb.0:
	.section	.rodata,"a",@progbits
	.p2align	6, 0x0
	.amdhsa_kernel _ZN7rocprim17ROCPRIM_400000_NS6detail17trampoline_kernelINS0_14default_configENS1_25partition_config_selectorILNS1_17partition_subalgoE0EtNS0_10empty_typeEbEEZZNS1_14partition_implILS5_0ELb0ES3_jN6thrust23THRUST_200600_302600_NS6detail15normal_iteratorINSA_10device_ptrItEEEEPS6_SG_NS0_5tupleIJNSA_16discard_iteratorINSA_11use_defaultEEESF_EEENSH_IJSG_SG_EEES6_PlJ7is_evenItEEEE10hipError_tPvRmT3_T4_T5_T6_T7_T9_mT8_P12ihipStream_tbDpT10_ENKUlT_T0_E_clISt17integral_constantIbLb1EES18_IbLb0EEEEDaS14_S15_EUlS14_E_NS1_11comp_targetILNS1_3genE5ELNS1_11target_archE942ELNS1_3gpuE9ELNS1_3repE0EEENS1_30default_config_static_selectorELNS0_4arch9wavefront6targetE1EEEvT1_
		.amdhsa_group_segment_fixed_size 0
		.amdhsa_private_segment_fixed_size 0
		.amdhsa_kernarg_size 128
		.amdhsa_user_sgpr_count 6
		.amdhsa_user_sgpr_private_segment_buffer 1
		.amdhsa_user_sgpr_dispatch_ptr 0
		.amdhsa_user_sgpr_queue_ptr 0
		.amdhsa_user_sgpr_kernarg_segment_ptr 1
		.amdhsa_user_sgpr_dispatch_id 0
		.amdhsa_user_sgpr_flat_scratch_init 0
		.amdhsa_user_sgpr_kernarg_preload_length 0
		.amdhsa_user_sgpr_kernarg_preload_offset 0
		.amdhsa_user_sgpr_private_segment_size 0
		.amdhsa_uses_dynamic_stack 0
		.amdhsa_system_sgpr_private_segment_wavefront_offset 0
		.amdhsa_system_sgpr_workgroup_id_x 1
		.amdhsa_system_sgpr_workgroup_id_y 0
		.amdhsa_system_sgpr_workgroup_id_z 0
		.amdhsa_system_sgpr_workgroup_info 0
		.amdhsa_system_vgpr_workitem_id 0
		.amdhsa_next_free_vgpr 1
		.amdhsa_next_free_sgpr 0
		.amdhsa_accum_offset 4
		.amdhsa_reserve_vcc 0
		.amdhsa_reserve_flat_scratch 0
		.amdhsa_float_round_mode_32 0
		.amdhsa_float_round_mode_16_64 0
		.amdhsa_float_denorm_mode_32 3
		.amdhsa_float_denorm_mode_16_64 3
		.amdhsa_dx10_clamp 1
		.amdhsa_ieee_mode 1
		.amdhsa_fp16_overflow 0
		.amdhsa_tg_split 0
		.amdhsa_exception_fp_ieee_invalid_op 0
		.amdhsa_exception_fp_denorm_src 0
		.amdhsa_exception_fp_ieee_div_zero 0
		.amdhsa_exception_fp_ieee_overflow 0
		.amdhsa_exception_fp_ieee_underflow 0
		.amdhsa_exception_fp_ieee_inexact 0
		.amdhsa_exception_int_div_zero 0
	.end_amdhsa_kernel
	.section	.text._ZN7rocprim17ROCPRIM_400000_NS6detail17trampoline_kernelINS0_14default_configENS1_25partition_config_selectorILNS1_17partition_subalgoE0EtNS0_10empty_typeEbEEZZNS1_14partition_implILS5_0ELb0ES3_jN6thrust23THRUST_200600_302600_NS6detail15normal_iteratorINSA_10device_ptrItEEEEPS6_SG_NS0_5tupleIJNSA_16discard_iteratorINSA_11use_defaultEEESF_EEENSH_IJSG_SG_EEES6_PlJ7is_evenItEEEE10hipError_tPvRmT3_T4_T5_T6_T7_T9_mT8_P12ihipStream_tbDpT10_ENKUlT_T0_E_clISt17integral_constantIbLb1EES18_IbLb0EEEEDaS14_S15_EUlS14_E_NS1_11comp_targetILNS1_3genE5ELNS1_11target_archE942ELNS1_3gpuE9ELNS1_3repE0EEENS1_30default_config_static_selectorELNS0_4arch9wavefront6targetE1EEEvT1_,"axG",@progbits,_ZN7rocprim17ROCPRIM_400000_NS6detail17trampoline_kernelINS0_14default_configENS1_25partition_config_selectorILNS1_17partition_subalgoE0EtNS0_10empty_typeEbEEZZNS1_14partition_implILS5_0ELb0ES3_jN6thrust23THRUST_200600_302600_NS6detail15normal_iteratorINSA_10device_ptrItEEEEPS6_SG_NS0_5tupleIJNSA_16discard_iteratorINSA_11use_defaultEEESF_EEENSH_IJSG_SG_EEES6_PlJ7is_evenItEEEE10hipError_tPvRmT3_T4_T5_T6_T7_T9_mT8_P12ihipStream_tbDpT10_ENKUlT_T0_E_clISt17integral_constantIbLb1EES18_IbLb0EEEEDaS14_S15_EUlS14_E_NS1_11comp_targetILNS1_3genE5ELNS1_11target_archE942ELNS1_3gpuE9ELNS1_3repE0EEENS1_30default_config_static_selectorELNS0_4arch9wavefront6targetE1EEEvT1_,comdat
.Lfunc_end2572:
	.size	_ZN7rocprim17ROCPRIM_400000_NS6detail17trampoline_kernelINS0_14default_configENS1_25partition_config_selectorILNS1_17partition_subalgoE0EtNS0_10empty_typeEbEEZZNS1_14partition_implILS5_0ELb0ES3_jN6thrust23THRUST_200600_302600_NS6detail15normal_iteratorINSA_10device_ptrItEEEEPS6_SG_NS0_5tupleIJNSA_16discard_iteratorINSA_11use_defaultEEESF_EEENSH_IJSG_SG_EEES6_PlJ7is_evenItEEEE10hipError_tPvRmT3_T4_T5_T6_T7_T9_mT8_P12ihipStream_tbDpT10_ENKUlT_T0_E_clISt17integral_constantIbLb1EES18_IbLb0EEEEDaS14_S15_EUlS14_E_NS1_11comp_targetILNS1_3genE5ELNS1_11target_archE942ELNS1_3gpuE9ELNS1_3repE0EEENS1_30default_config_static_selectorELNS0_4arch9wavefront6targetE1EEEvT1_, .Lfunc_end2572-_ZN7rocprim17ROCPRIM_400000_NS6detail17trampoline_kernelINS0_14default_configENS1_25partition_config_selectorILNS1_17partition_subalgoE0EtNS0_10empty_typeEbEEZZNS1_14partition_implILS5_0ELb0ES3_jN6thrust23THRUST_200600_302600_NS6detail15normal_iteratorINSA_10device_ptrItEEEEPS6_SG_NS0_5tupleIJNSA_16discard_iteratorINSA_11use_defaultEEESF_EEENSH_IJSG_SG_EEES6_PlJ7is_evenItEEEE10hipError_tPvRmT3_T4_T5_T6_T7_T9_mT8_P12ihipStream_tbDpT10_ENKUlT_T0_E_clISt17integral_constantIbLb1EES18_IbLb0EEEEDaS14_S15_EUlS14_E_NS1_11comp_targetILNS1_3genE5ELNS1_11target_archE942ELNS1_3gpuE9ELNS1_3repE0EEENS1_30default_config_static_selectorELNS0_4arch9wavefront6targetE1EEEvT1_
                                        ; -- End function
	.section	.AMDGPU.csdata,"",@progbits
; Kernel info:
; codeLenInByte = 0
; NumSgprs: 4
; NumVgprs: 0
; NumAgprs: 0
; TotalNumVgprs: 0
; ScratchSize: 0
; MemoryBound: 0
; FloatMode: 240
; IeeeMode: 1
; LDSByteSize: 0 bytes/workgroup (compile time only)
; SGPRBlocks: 0
; VGPRBlocks: 0
; NumSGPRsForWavesPerEU: 4
; NumVGPRsForWavesPerEU: 1
; AccumOffset: 4
; Occupancy: 8
; WaveLimiterHint : 0
; COMPUTE_PGM_RSRC2:SCRATCH_EN: 0
; COMPUTE_PGM_RSRC2:USER_SGPR: 6
; COMPUTE_PGM_RSRC2:TRAP_HANDLER: 0
; COMPUTE_PGM_RSRC2:TGID_X_EN: 1
; COMPUTE_PGM_RSRC2:TGID_Y_EN: 0
; COMPUTE_PGM_RSRC2:TGID_Z_EN: 0
; COMPUTE_PGM_RSRC2:TIDIG_COMP_CNT: 0
; COMPUTE_PGM_RSRC3_GFX90A:ACCUM_OFFSET: 0
; COMPUTE_PGM_RSRC3_GFX90A:TG_SPLIT: 0
	.section	.text._ZN7rocprim17ROCPRIM_400000_NS6detail17trampoline_kernelINS0_14default_configENS1_25partition_config_selectorILNS1_17partition_subalgoE0EtNS0_10empty_typeEbEEZZNS1_14partition_implILS5_0ELb0ES3_jN6thrust23THRUST_200600_302600_NS6detail15normal_iteratorINSA_10device_ptrItEEEEPS6_SG_NS0_5tupleIJNSA_16discard_iteratorINSA_11use_defaultEEESF_EEENSH_IJSG_SG_EEES6_PlJ7is_evenItEEEE10hipError_tPvRmT3_T4_T5_T6_T7_T9_mT8_P12ihipStream_tbDpT10_ENKUlT_T0_E_clISt17integral_constantIbLb1EES18_IbLb0EEEEDaS14_S15_EUlS14_E_NS1_11comp_targetILNS1_3genE4ELNS1_11target_archE910ELNS1_3gpuE8ELNS1_3repE0EEENS1_30default_config_static_selectorELNS0_4arch9wavefront6targetE1EEEvT1_,"axG",@progbits,_ZN7rocprim17ROCPRIM_400000_NS6detail17trampoline_kernelINS0_14default_configENS1_25partition_config_selectorILNS1_17partition_subalgoE0EtNS0_10empty_typeEbEEZZNS1_14partition_implILS5_0ELb0ES3_jN6thrust23THRUST_200600_302600_NS6detail15normal_iteratorINSA_10device_ptrItEEEEPS6_SG_NS0_5tupleIJNSA_16discard_iteratorINSA_11use_defaultEEESF_EEENSH_IJSG_SG_EEES6_PlJ7is_evenItEEEE10hipError_tPvRmT3_T4_T5_T6_T7_T9_mT8_P12ihipStream_tbDpT10_ENKUlT_T0_E_clISt17integral_constantIbLb1EES18_IbLb0EEEEDaS14_S15_EUlS14_E_NS1_11comp_targetILNS1_3genE4ELNS1_11target_archE910ELNS1_3gpuE8ELNS1_3repE0EEENS1_30default_config_static_selectorELNS0_4arch9wavefront6targetE1EEEvT1_,comdat
	.protected	_ZN7rocprim17ROCPRIM_400000_NS6detail17trampoline_kernelINS0_14default_configENS1_25partition_config_selectorILNS1_17partition_subalgoE0EtNS0_10empty_typeEbEEZZNS1_14partition_implILS5_0ELb0ES3_jN6thrust23THRUST_200600_302600_NS6detail15normal_iteratorINSA_10device_ptrItEEEEPS6_SG_NS0_5tupleIJNSA_16discard_iteratorINSA_11use_defaultEEESF_EEENSH_IJSG_SG_EEES6_PlJ7is_evenItEEEE10hipError_tPvRmT3_T4_T5_T6_T7_T9_mT8_P12ihipStream_tbDpT10_ENKUlT_T0_E_clISt17integral_constantIbLb1EES18_IbLb0EEEEDaS14_S15_EUlS14_E_NS1_11comp_targetILNS1_3genE4ELNS1_11target_archE910ELNS1_3gpuE8ELNS1_3repE0EEENS1_30default_config_static_selectorELNS0_4arch9wavefront6targetE1EEEvT1_ ; -- Begin function _ZN7rocprim17ROCPRIM_400000_NS6detail17trampoline_kernelINS0_14default_configENS1_25partition_config_selectorILNS1_17partition_subalgoE0EtNS0_10empty_typeEbEEZZNS1_14partition_implILS5_0ELb0ES3_jN6thrust23THRUST_200600_302600_NS6detail15normal_iteratorINSA_10device_ptrItEEEEPS6_SG_NS0_5tupleIJNSA_16discard_iteratorINSA_11use_defaultEEESF_EEENSH_IJSG_SG_EEES6_PlJ7is_evenItEEEE10hipError_tPvRmT3_T4_T5_T6_T7_T9_mT8_P12ihipStream_tbDpT10_ENKUlT_T0_E_clISt17integral_constantIbLb1EES18_IbLb0EEEEDaS14_S15_EUlS14_E_NS1_11comp_targetILNS1_3genE4ELNS1_11target_archE910ELNS1_3gpuE8ELNS1_3repE0EEENS1_30default_config_static_selectorELNS0_4arch9wavefront6targetE1EEEvT1_
	.globl	_ZN7rocprim17ROCPRIM_400000_NS6detail17trampoline_kernelINS0_14default_configENS1_25partition_config_selectorILNS1_17partition_subalgoE0EtNS0_10empty_typeEbEEZZNS1_14partition_implILS5_0ELb0ES3_jN6thrust23THRUST_200600_302600_NS6detail15normal_iteratorINSA_10device_ptrItEEEEPS6_SG_NS0_5tupleIJNSA_16discard_iteratorINSA_11use_defaultEEESF_EEENSH_IJSG_SG_EEES6_PlJ7is_evenItEEEE10hipError_tPvRmT3_T4_T5_T6_T7_T9_mT8_P12ihipStream_tbDpT10_ENKUlT_T0_E_clISt17integral_constantIbLb1EES18_IbLb0EEEEDaS14_S15_EUlS14_E_NS1_11comp_targetILNS1_3genE4ELNS1_11target_archE910ELNS1_3gpuE8ELNS1_3repE0EEENS1_30default_config_static_selectorELNS0_4arch9wavefront6targetE1EEEvT1_
	.p2align	8
	.type	_ZN7rocprim17ROCPRIM_400000_NS6detail17trampoline_kernelINS0_14default_configENS1_25partition_config_selectorILNS1_17partition_subalgoE0EtNS0_10empty_typeEbEEZZNS1_14partition_implILS5_0ELb0ES3_jN6thrust23THRUST_200600_302600_NS6detail15normal_iteratorINSA_10device_ptrItEEEEPS6_SG_NS0_5tupleIJNSA_16discard_iteratorINSA_11use_defaultEEESF_EEENSH_IJSG_SG_EEES6_PlJ7is_evenItEEEE10hipError_tPvRmT3_T4_T5_T6_T7_T9_mT8_P12ihipStream_tbDpT10_ENKUlT_T0_E_clISt17integral_constantIbLb1EES18_IbLb0EEEEDaS14_S15_EUlS14_E_NS1_11comp_targetILNS1_3genE4ELNS1_11target_archE910ELNS1_3gpuE8ELNS1_3repE0EEENS1_30default_config_static_selectorELNS0_4arch9wavefront6targetE1EEEvT1_,@function
_ZN7rocprim17ROCPRIM_400000_NS6detail17trampoline_kernelINS0_14default_configENS1_25partition_config_selectorILNS1_17partition_subalgoE0EtNS0_10empty_typeEbEEZZNS1_14partition_implILS5_0ELb0ES3_jN6thrust23THRUST_200600_302600_NS6detail15normal_iteratorINSA_10device_ptrItEEEEPS6_SG_NS0_5tupleIJNSA_16discard_iteratorINSA_11use_defaultEEESF_EEENSH_IJSG_SG_EEES6_PlJ7is_evenItEEEE10hipError_tPvRmT3_T4_T5_T6_T7_T9_mT8_P12ihipStream_tbDpT10_ENKUlT_T0_E_clISt17integral_constantIbLb1EES18_IbLb0EEEEDaS14_S15_EUlS14_E_NS1_11comp_targetILNS1_3genE4ELNS1_11target_archE910ELNS1_3gpuE8ELNS1_3repE0EEENS1_30default_config_static_selectorELNS0_4arch9wavefront6targetE1EEEvT1_: ; @_ZN7rocprim17ROCPRIM_400000_NS6detail17trampoline_kernelINS0_14default_configENS1_25partition_config_selectorILNS1_17partition_subalgoE0EtNS0_10empty_typeEbEEZZNS1_14partition_implILS5_0ELb0ES3_jN6thrust23THRUST_200600_302600_NS6detail15normal_iteratorINSA_10device_ptrItEEEEPS6_SG_NS0_5tupleIJNSA_16discard_iteratorINSA_11use_defaultEEESF_EEENSH_IJSG_SG_EEES6_PlJ7is_evenItEEEE10hipError_tPvRmT3_T4_T5_T6_T7_T9_mT8_P12ihipStream_tbDpT10_ENKUlT_T0_E_clISt17integral_constantIbLb1EES18_IbLb0EEEEDaS14_S15_EUlS14_E_NS1_11comp_targetILNS1_3genE4ELNS1_11target_archE910ELNS1_3gpuE8ELNS1_3repE0EEENS1_30default_config_static_selectorELNS0_4arch9wavefront6targetE1EEEvT1_
; %bb.0:
	s_load_dwordx2 s[0:1], s[4:5], 0x60
	s_load_dwordx4 s[20:23], s[4:5], 0x8
	s_load_dwordx4 s[24:27], s[4:5], 0x50
	s_load_dword s7, s[4:5], 0x78
	s_mul_i32 s8, s6, 0x1c00
	s_waitcnt lgkmcnt(0)
	v_mov_b32_e32 v3, s1
	s_lshl_b64 s[2:3], s[22:23], 1
	s_add_u32 s10, s20, s2
	s_mul_i32 s1, s7, 0x1c00
	s_addc_u32 s11, s21, s3
	s_add_i32 s3, s1, s22
	s_sub_i32 s33, s0, s3
	s_add_i32 s2, s7, -1
	s_addk_i32 s33, 0x1c00
	v_mov_b32_e32 v2, s0
	s_add_u32 s0, s22, s1
	s_addc_u32 s1, s23, 0
	s_cmp_eq_u32 s6, s2
	s_load_dwordx2 s[28:29], s[26:27], 0x0
	s_cselect_b64 s[26:27], -1, 0
	s_cmp_lg_u32 s6, s2
	s_mov_b32 s9, 0
	v_cmp_lt_u64_e32 vcc, s[0:1], v[2:3]
	s_cselect_b64 s[0:1], -1, 0
	s_or_b64 s[2:3], s[0:1], vcc
	s_lshl_b64 s[30:31], s[8:9], 1
	s_add_u32 s7, s10, s30
	s_addc_u32 s10, s11, s31
	s_mov_b64 s[0:1], -1
	s_and_b64 vcc, exec, s[2:3]
	v_lshlrev_b32_e32 v26, 1, v0
	s_cbranch_vccz .LBB2573_2
; %bb.1:
	v_mov_b32_e32 v1, s10
	v_add_co_u32_e32 v2, vcc, s7, v26
	v_addc_co_u32_e32 v3, vcc, 0, v1, vcc
	v_add_co_u32_e32 v4, vcc, 0x1000, v2
	v_addc_co_u32_e32 v5, vcc, 0, v3, vcc
	flat_load_ushort v1, v[2:3]
	flat_load_ushort v6, v[2:3] offset:512
	flat_load_ushort v7, v[2:3] offset:1024
	;; [unrolled: 1-line block ×7, first 2 shown]
	flat_load_ushort v13, v[4:5]
	flat_load_ushort v14, v[4:5] offset:512
	flat_load_ushort v15, v[4:5] offset:1024
	;; [unrolled: 1-line block ×7, first 2 shown]
	v_add_co_u32_e32 v4, vcc, 0x2000, v2
	v_addc_co_u32_e32 v5, vcc, 0, v3, vcc
	v_add_co_u32_e32 v2, vcc, 0x3000, v2
	v_addc_co_u32_e32 v3, vcc, 0, v3, vcc
	flat_load_ushort v21, v[4:5]
	flat_load_ushort v22, v[4:5] offset:512
	flat_load_ushort v23, v[4:5] offset:1024
	;; [unrolled: 1-line block ×7, first 2 shown]
	s_nop 0
	flat_load_ushort v4, v[2:3]
	flat_load_ushort v5, v[2:3] offset:512
	flat_load_ushort v30, v[2:3] offset:1024
	;; [unrolled: 1-line block ×3, first 2 shown]
	s_mov_b64 s[0:1], 0
	s_waitcnt vmcnt(0) lgkmcnt(0)
	ds_write_b16 v26, v1
	ds_write_b16 v26, v6 offset:512
	ds_write_b16 v26, v7 offset:1024
	ds_write_b16 v26, v8 offset:1536
	ds_write_b16 v26, v9 offset:2048
	ds_write_b16 v26, v10 offset:2560
	ds_write_b16 v26, v11 offset:3072
	ds_write_b16 v26, v12 offset:3584
	ds_write_b16 v26, v13 offset:4096
	ds_write_b16 v26, v14 offset:4608
	ds_write_b16 v26, v15 offset:5120
	ds_write_b16 v26, v16 offset:5632
	ds_write_b16 v26, v17 offset:6144
	ds_write_b16 v26, v18 offset:6656
	ds_write_b16 v26, v19 offset:7168
	ds_write_b16 v26, v20 offset:7680
	ds_write_b16 v26, v21 offset:8192
	ds_write_b16 v26, v22 offset:8704
	ds_write_b16 v26, v23 offset:9216
	ds_write_b16 v26, v24 offset:9728
	ds_write_b16 v26, v25 offset:10240
	ds_write_b16 v26, v27 offset:10752
	ds_write_b16 v26, v28 offset:11264
	ds_write_b16 v26, v29 offset:11776
	ds_write_b16 v26, v4 offset:12288
	ds_write_b16 v26, v5 offset:12800
	ds_write_b16 v26, v30 offset:13312
	ds_write_b16 v26, v31 offset:13824
	s_waitcnt lgkmcnt(0)
	s_barrier
.LBB2573_2:
	s_andn2_b64 vcc, exec, s[0:1]
	v_cmp_gt_u32_e64 s[0:1], s33, v0
	s_cbranch_vccnz .LBB2573_60
; %bb.3:
                                        ; implicit-def: $vgpr1
	s_and_saveexec_b64 s[8:9], s[0:1]
	s_cbranch_execz .LBB2573_5
; %bb.4:
	v_mov_b32_e32 v1, s10
	v_add_co_u32_e32 v2, vcc, s7, v26
	v_addc_co_u32_e32 v3, vcc, 0, v1, vcc
	flat_load_ushort v1, v[2:3]
.LBB2573_5:
	s_or_b64 exec, exec, s[8:9]
	v_or_b32_e32 v2, 0x100, v0
	v_cmp_gt_u32_e32 vcc, s33, v2
                                        ; implicit-def: $vgpr2
	s_and_saveexec_b64 s[0:1], vcc
	s_cbranch_execz .LBB2573_7
; %bb.6:
	v_mov_b32_e32 v3, s10
	v_add_co_u32_e32 v2, vcc, s7, v26
	v_addc_co_u32_e32 v3, vcc, 0, v3, vcc
	flat_load_ushort v2, v[2:3] offset:512
.LBB2573_7:
	s_or_b64 exec, exec, s[0:1]
	v_or_b32_e32 v3, 0x200, v0
	v_cmp_gt_u32_e32 vcc, s33, v3
                                        ; implicit-def: $vgpr3
	s_and_saveexec_b64 s[0:1], vcc
	s_cbranch_execz .LBB2573_9
; %bb.8:
	v_mov_b32_e32 v3, s10
	v_add_co_u32_e32 v4, vcc, s7, v26
	v_addc_co_u32_e32 v5, vcc, 0, v3, vcc
	flat_load_ushort v3, v[4:5] offset:1024
.LBB2573_9:
	s_or_b64 exec, exec, s[0:1]
	v_or_b32_e32 v4, 0x300, v0
	v_cmp_gt_u32_e32 vcc, s33, v4
                                        ; implicit-def: $vgpr4
	s_and_saveexec_b64 s[0:1], vcc
	s_cbranch_execz .LBB2573_11
; %bb.10:
	v_mov_b32_e32 v5, s10
	v_add_co_u32_e32 v4, vcc, s7, v26
	v_addc_co_u32_e32 v5, vcc, 0, v5, vcc
	flat_load_ushort v4, v[4:5] offset:1536
.LBB2573_11:
	s_or_b64 exec, exec, s[0:1]
	v_or_b32_e32 v5, 0x400, v0
	v_cmp_gt_u32_e32 vcc, s33, v5
                                        ; implicit-def: $vgpr5
	s_and_saveexec_b64 s[0:1], vcc
	s_cbranch_execz .LBB2573_13
; %bb.12:
	v_mov_b32_e32 v5, s10
	v_add_co_u32_e32 v6, vcc, s7, v26
	v_addc_co_u32_e32 v7, vcc, 0, v5, vcc
	flat_load_ushort v5, v[6:7] offset:2048
.LBB2573_13:
	s_or_b64 exec, exec, s[0:1]
	v_or_b32_e32 v6, 0x500, v0
	v_cmp_gt_u32_e32 vcc, s33, v6
                                        ; implicit-def: $vgpr6
	s_and_saveexec_b64 s[0:1], vcc
	s_cbranch_execz .LBB2573_15
; %bb.14:
	v_mov_b32_e32 v7, s10
	v_add_co_u32_e32 v6, vcc, s7, v26
	v_addc_co_u32_e32 v7, vcc, 0, v7, vcc
	flat_load_ushort v6, v[6:7] offset:2560
.LBB2573_15:
	s_or_b64 exec, exec, s[0:1]
	v_or_b32_e32 v7, 0x600, v0
	v_cmp_gt_u32_e32 vcc, s33, v7
                                        ; implicit-def: $vgpr7
	s_and_saveexec_b64 s[0:1], vcc
	s_cbranch_execz .LBB2573_17
; %bb.16:
	v_mov_b32_e32 v7, s10
	v_add_co_u32_e32 v8, vcc, s7, v26
	v_addc_co_u32_e32 v9, vcc, 0, v7, vcc
	flat_load_ushort v7, v[8:9] offset:3072
.LBB2573_17:
	s_or_b64 exec, exec, s[0:1]
	v_or_b32_e32 v8, 0x700, v0
	v_cmp_gt_u32_e32 vcc, s33, v8
                                        ; implicit-def: $vgpr8
	s_and_saveexec_b64 s[0:1], vcc
	s_cbranch_execz .LBB2573_19
; %bb.18:
	v_mov_b32_e32 v9, s10
	v_add_co_u32_e32 v8, vcc, s7, v26
	v_addc_co_u32_e32 v9, vcc, 0, v9, vcc
	flat_load_ushort v8, v[8:9] offset:3584
.LBB2573_19:
	s_or_b64 exec, exec, s[0:1]
	v_or_b32_e32 v10, 0x800, v0
	v_cmp_gt_u32_e32 vcc, s33, v10
                                        ; implicit-def: $vgpr9
	s_and_saveexec_b64 s[0:1], vcc
	s_cbranch_execz .LBB2573_21
; %bb.20:
	v_lshlrev_b32_e32 v9, 1, v10
	v_mov_b32_e32 v11, s10
	v_add_co_u32_e32 v10, vcc, s7, v9
	v_addc_co_u32_e32 v11, vcc, 0, v11, vcc
	flat_load_ushort v9, v[10:11]
.LBB2573_21:
	s_or_b64 exec, exec, s[0:1]
	v_or_b32_e32 v11, 0x900, v0
	v_cmp_gt_u32_e32 vcc, s33, v11
                                        ; implicit-def: $vgpr10
	s_and_saveexec_b64 s[0:1], vcc
	s_cbranch_execz .LBB2573_23
; %bb.22:
	v_lshlrev_b32_e32 v10, 1, v11
	v_mov_b32_e32 v11, s10
	v_add_co_u32_e32 v10, vcc, s7, v10
	v_addc_co_u32_e32 v11, vcc, 0, v11, vcc
	flat_load_ushort v10, v[10:11]
.LBB2573_23:
	s_or_b64 exec, exec, s[0:1]
	v_or_b32_e32 v12, 0xa00, v0
	v_cmp_gt_u32_e32 vcc, s33, v12
                                        ; implicit-def: $vgpr11
	s_and_saveexec_b64 s[0:1], vcc
	s_cbranch_execz .LBB2573_25
; %bb.24:
	v_lshlrev_b32_e32 v11, 1, v12
	v_mov_b32_e32 v13, s10
	v_add_co_u32_e32 v12, vcc, s7, v11
	v_addc_co_u32_e32 v13, vcc, 0, v13, vcc
	flat_load_ushort v11, v[12:13]
.LBB2573_25:
	s_or_b64 exec, exec, s[0:1]
	v_or_b32_e32 v13, 0xb00, v0
	v_cmp_gt_u32_e32 vcc, s33, v13
                                        ; implicit-def: $vgpr12
	s_and_saveexec_b64 s[0:1], vcc
	s_cbranch_execz .LBB2573_27
; %bb.26:
	v_lshlrev_b32_e32 v12, 1, v13
	v_mov_b32_e32 v13, s10
	v_add_co_u32_e32 v12, vcc, s7, v12
	v_addc_co_u32_e32 v13, vcc, 0, v13, vcc
	flat_load_ushort v12, v[12:13]
.LBB2573_27:
	s_or_b64 exec, exec, s[0:1]
	v_or_b32_e32 v14, 0xc00, v0
	v_cmp_gt_u32_e32 vcc, s33, v14
                                        ; implicit-def: $vgpr13
	s_and_saveexec_b64 s[0:1], vcc
	s_cbranch_execz .LBB2573_29
; %bb.28:
	v_lshlrev_b32_e32 v13, 1, v14
	v_mov_b32_e32 v15, s10
	v_add_co_u32_e32 v14, vcc, s7, v13
	v_addc_co_u32_e32 v15, vcc, 0, v15, vcc
	flat_load_ushort v13, v[14:15]
.LBB2573_29:
	s_or_b64 exec, exec, s[0:1]
	v_or_b32_e32 v15, 0xd00, v0
	v_cmp_gt_u32_e32 vcc, s33, v15
                                        ; implicit-def: $vgpr14
	s_and_saveexec_b64 s[0:1], vcc
	s_cbranch_execz .LBB2573_31
; %bb.30:
	v_lshlrev_b32_e32 v14, 1, v15
	v_mov_b32_e32 v15, s10
	v_add_co_u32_e32 v14, vcc, s7, v14
	v_addc_co_u32_e32 v15, vcc, 0, v15, vcc
	flat_load_ushort v14, v[14:15]
.LBB2573_31:
	s_or_b64 exec, exec, s[0:1]
	v_or_b32_e32 v16, 0xe00, v0
	v_cmp_gt_u32_e32 vcc, s33, v16
                                        ; implicit-def: $vgpr15
	s_and_saveexec_b64 s[0:1], vcc
	s_cbranch_execz .LBB2573_33
; %bb.32:
	v_lshlrev_b32_e32 v15, 1, v16
	v_mov_b32_e32 v17, s10
	v_add_co_u32_e32 v16, vcc, s7, v15
	v_addc_co_u32_e32 v17, vcc, 0, v17, vcc
	flat_load_ushort v15, v[16:17]
.LBB2573_33:
	s_or_b64 exec, exec, s[0:1]
	v_or_b32_e32 v17, 0xf00, v0
	v_cmp_gt_u32_e32 vcc, s33, v17
                                        ; implicit-def: $vgpr16
	s_and_saveexec_b64 s[0:1], vcc
	s_cbranch_execz .LBB2573_35
; %bb.34:
	v_lshlrev_b32_e32 v16, 1, v17
	v_mov_b32_e32 v17, s10
	v_add_co_u32_e32 v16, vcc, s7, v16
	v_addc_co_u32_e32 v17, vcc, 0, v17, vcc
	flat_load_ushort v16, v[16:17]
.LBB2573_35:
	s_or_b64 exec, exec, s[0:1]
	v_or_b32_e32 v18, 0x1000, v0
	v_cmp_gt_u32_e32 vcc, s33, v18
                                        ; implicit-def: $vgpr17
	s_and_saveexec_b64 s[0:1], vcc
	s_cbranch_execz .LBB2573_37
; %bb.36:
	v_lshlrev_b32_e32 v17, 1, v18
	v_mov_b32_e32 v19, s10
	v_add_co_u32_e32 v18, vcc, s7, v17
	v_addc_co_u32_e32 v19, vcc, 0, v19, vcc
	flat_load_ushort v17, v[18:19]
.LBB2573_37:
	s_or_b64 exec, exec, s[0:1]
	v_or_b32_e32 v19, 0x1100, v0
	v_cmp_gt_u32_e32 vcc, s33, v19
                                        ; implicit-def: $vgpr18
	s_and_saveexec_b64 s[0:1], vcc
	s_cbranch_execz .LBB2573_39
; %bb.38:
	v_lshlrev_b32_e32 v18, 1, v19
	v_mov_b32_e32 v19, s10
	v_add_co_u32_e32 v18, vcc, s7, v18
	v_addc_co_u32_e32 v19, vcc, 0, v19, vcc
	flat_load_ushort v18, v[18:19]
.LBB2573_39:
	s_or_b64 exec, exec, s[0:1]
	v_or_b32_e32 v20, 0x1200, v0
	v_cmp_gt_u32_e32 vcc, s33, v20
                                        ; implicit-def: $vgpr19
	s_and_saveexec_b64 s[0:1], vcc
	s_cbranch_execz .LBB2573_41
; %bb.40:
	v_lshlrev_b32_e32 v19, 1, v20
	v_mov_b32_e32 v21, s10
	v_add_co_u32_e32 v20, vcc, s7, v19
	v_addc_co_u32_e32 v21, vcc, 0, v21, vcc
	flat_load_ushort v19, v[20:21]
.LBB2573_41:
	s_or_b64 exec, exec, s[0:1]
	v_or_b32_e32 v21, 0x1300, v0
	v_cmp_gt_u32_e32 vcc, s33, v21
                                        ; implicit-def: $vgpr20
	s_and_saveexec_b64 s[0:1], vcc
	s_cbranch_execz .LBB2573_43
; %bb.42:
	v_lshlrev_b32_e32 v20, 1, v21
	v_mov_b32_e32 v21, s10
	v_add_co_u32_e32 v20, vcc, s7, v20
	v_addc_co_u32_e32 v21, vcc, 0, v21, vcc
	flat_load_ushort v20, v[20:21]
.LBB2573_43:
	s_or_b64 exec, exec, s[0:1]
	v_or_b32_e32 v22, 0x1400, v0
	v_cmp_gt_u32_e32 vcc, s33, v22
                                        ; implicit-def: $vgpr21
	s_and_saveexec_b64 s[0:1], vcc
	s_cbranch_execz .LBB2573_45
; %bb.44:
	v_lshlrev_b32_e32 v21, 1, v22
	v_mov_b32_e32 v23, s10
	v_add_co_u32_e32 v22, vcc, s7, v21
	v_addc_co_u32_e32 v23, vcc, 0, v23, vcc
	flat_load_ushort v21, v[22:23]
.LBB2573_45:
	s_or_b64 exec, exec, s[0:1]
	v_or_b32_e32 v23, 0x1500, v0
	v_cmp_gt_u32_e32 vcc, s33, v23
                                        ; implicit-def: $vgpr22
	s_and_saveexec_b64 s[0:1], vcc
	s_cbranch_execz .LBB2573_47
; %bb.46:
	v_lshlrev_b32_e32 v22, 1, v23
	v_mov_b32_e32 v23, s10
	v_add_co_u32_e32 v22, vcc, s7, v22
	v_addc_co_u32_e32 v23, vcc, 0, v23, vcc
	flat_load_ushort v22, v[22:23]
.LBB2573_47:
	s_or_b64 exec, exec, s[0:1]
	v_or_b32_e32 v24, 0x1600, v0
	v_cmp_gt_u32_e32 vcc, s33, v24
                                        ; implicit-def: $vgpr23
	s_and_saveexec_b64 s[0:1], vcc
	s_cbranch_execz .LBB2573_49
; %bb.48:
	v_lshlrev_b32_e32 v23, 1, v24
	v_mov_b32_e32 v25, s10
	v_add_co_u32_e32 v24, vcc, s7, v23
	v_addc_co_u32_e32 v25, vcc, 0, v25, vcc
	flat_load_ushort v23, v[24:25]
.LBB2573_49:
	s_or_b64 exec, exec, s[0:1]
	v_or_b32_e32 v25, 0x1700, v0
	v_cmp_gt_u32_e32 vcc, s33, v25
                                        ; implicit-def: $vgpr24
	s_and_saveexec_b64 s[0:1], vcc
	s_cbranch_execz .LBB2573_51
; %bb.50:
	v_lshlrev_b32_e32 v24, 1, v25
	v_mov_b32_e32 v25, s10
	v_add_co_u32_e32 v24, vcc, s7, v24
	v_addc_co_u32_e32 v25, vcc, 0, v25, vcc
	flat_load_ushort v24, v[24:25]
.LBB2573_51:
	s_or_b64 exec, exec, s[0:1]
	v_or_b32_e32 v27, 0x1800, v0
	v_cmp_gt_u32_e32 vcc, s33, v27
                                        ; implicit-def: $vgpr25
	s_and_saveexec_b64 s[0:1], vcc
	s_cbranch_execz .LBB2573_53
; %bb.52:
	v_lshlrev_b32_e32 v25, 1, v27
	v_mov_b32_e32 v27, s10
	v_add_co_u32_e32 v28, vcc, s7, v25
	v_addc_co_u32_e32 v29, vcc, 0, v27, vcc
	flat_load_ushort v25, v[28:29]
.LBB2573_53:
	s_or_b64 exec, exec, s[0:1]
	v_or_b32_e32 v28, 0x1900, v0
	v_cmp_gt_u32_e32 vcc, s33, v28
                                        ; implicit-def: $vgpr27
	s_and_saveexec_b64 s[0:1], vcc
	s_cbranch_execz .LBB2573_55
; %bb.54:
	v_lshlrev_b32_e32 v27, 1, v28
	v_mov_b32_e32 v29, s10
	v_add_co_u32_e32 v28, vcc, s7, v27
	v_addc_co_u32_e32 v29, vcc, 0, v29, vcc
	flat_load_ushort v27, v[28:29]
.LBB2573_55:
	s_or_b64 exec, exec, s[0:1]
	v_or_b32_e32 v29, 0x1a00, v0
	v_cmp_gt_u32_e32 vcc, s33, v29
                                        ; implicit-def: $vgpr28
	s_and_saveexec_b64 s[0:1], vcc
	s_cbranch_execz .LBB2573_57
; %bb.56:
	v_lshlrev_b32_e32 v28, 1, v29
	v_mov_b32_e32 v29, s10
	v_add_co_u32_e32 v28, vcc, s7, v28
	v_addc_co_u32_e32 v29, vcc, 0, v29, vcc
	flat_load_ushort v28, v[28:29]
.LBB2573_57:
	s_or_b64 exec, exec, s[0:1]
	v_or_b32_e32 v30, 0x1b00, v0
	v_cmp_gt_u32_e32 vcc, s33, v30
                                        ; implicit-def: $vgpr29
	s_and_saveexec_b64 s[0:1], vcc
	s_cbranch_execz .LBB2573_59
; %bb.58:
	v_lshlrev_b32_e32 v29, 1, v30
	v_mov_b32_e32 v31, s10
	v_add_co_u32_e32 v30, vcc, s7, v29
	v_addc_co_u32_e32 v31, vcc, 0, v31, vcc
	flat_load_ushort v29, v[30:31]
.LBB2573_59:
	s_or_b64 exec, exec, s[0:1]
	s_waitcnt vmcnt(0) lgkmcnt(0)
	ds_write_b16 v26, v1
	ds_write_b16 v26, v2 offset:512
	ds_write_b16 v26, v3 offset:1024
	;; [unrolled: 1-line block ×27, first 2 shown]
	s_waitcnt lgkmcnt(0)
	s_barrier
.LBB2573_60:
	v_mul_u32_u24_e32 v39, 28, v0
	v_lshlrev_b32_e32 v6, 1, v39
	s_waitcnt lgkmcnt(0)
	ds_read_b64 v[16:17], v6 offset:48
	ds_read2_b64 v[2:5], v6 offset0:4 offset1:5
	ds_read2_b64 v[10:13], v6 offset1:1
	ds_read2_b64 v[6:9], v6 offset0:2 offset1:3
	v_cndmask_b32_e64 v14, 0, 1, s[2:3]
	s_waitcnt lgkmcnt(3)
	v_lshrrev_b32_e32 v27, 16, v16
	v_lshrrev_b32_e32 v1, 16, v17
	s_waitcnt lgkmcnt(2)
	v_lshrrev_b32_e32 v31, 16, v2
	v_lshrrev_b32_e32 v30, 16, v3
	v_lshrrev_b32_e32 v29, 16, v4
	v_lshrrev_b32_e32 v28, 16, v5
	s_waitcnt lgkmcnt(1)
	v_lshrrev_b32_e32 v40, 16, v10
	v_lshrrev_b32_e32 v38, 16, v11
	;; [unrolled: 5-line block ×3, first 2 shown]
	v_lshrrev_b32_e32 v33, 16, v8
	v_lshrrev_b32_e32 v32, 16, v9
	v_cmp_ne_u32_e64 s[0:1], 1, v14
	s_andn2_b64 vcc, exec, s[2:3]
	v_xor_b32_e32 v86, -1, v10
	v_xor_b32_e32 v85, -1, v40
	;; [unrolled: 1-line block ×28, first 2 shown]
	s_barrier
	s_cbranch_vccnz .LBB2573_62
; %bb.61:
	v_and_b32_e32 v68, 1, v86
	v_and_b32_e32 v67, 1, v85
	;; [unrolled: 1-line block ×28, first 2 shown]
	s_load_dwordx2 s[34:35], s[4:5], 0x70
	s_cbranch_execz .LBB2573_63
	s_branch .LBB2573_64
.LBB2573_62:
                                        ; implicit-def: $vgpr68
                                        ; implicit-def: $vgpr67
                                        ; implicit-def: $vgpr66
                                        ; implicit-def: $vgpr65
                                        ; implicit-def: $vgpr64
                                        ; implicit-def: $vgpr63
                                        ; implicit-def: $vgpr62
                                        ; implicit-def: $vgpr61
                                        ; implicit-def: $vgpr60
                                        ; implicit-def: $vgpr59
                                        ; implicit-def: $vgpr58
                                        ; implicit-def: $vgpr57
                                        ; implicit-def: $vgpr56
                                        ; implicit-def: $vgpr55
                                        ; implicit-def: $vgpr54
                                        ; implicit-def: $vgpr53
                                        ; implicit-def: $vgpr52
                                        ; implicit-def: $vgpr51
                                        ; implicit-def: $vgpr50
                                        ; implicit-def: $vgpr49
                                        ; implicit-def: $vgpr48
                                        ; implicit-def: $vgpr47
                                        ; implicit-def: $vgpr46
                                        ; implicit-def: $vgpr45
                                        ; implicit-def: $vgpr44
                                        ; implicit-def: $vgpr43
                                        ; implicit-def: $vgpr41
                                        ; implicit-def: $vgpr42
	s_load_dwordx2 s[34:35], s[4:5], 0x70
.LBB2573_63:
	v_or_b32_e32 v50, 1, v39
	v_cmp_gt_u32_e32 vcc, s33, v39
	v_or_b32_e32 v51, 2, v39
	v_cndmask_b32_e64 v59, 0, 1, vcc
	v_cmp_gt_u32_e32 vcc, s33, v50
	v_or_b32_e32 v52, 3, v39
	v_cndmask_b32_e64 v50, 0, 1, vcc
	v_cmp_gt_u32_e32 vcc, s33, v51
	v_add_u32_e32 v53, 4, v39
	v_and_b32_e32 v67, v50, v85
	v_cndmask_b32_e64 v50, 0, 1, vcc
	v_cmp_gt_u32_e32 vcc, s33, v52
	v_add_u32_e32 v54, 5, v39
	v_and_b32_e32 v66, v50, v84
	v_cndmask_b32_e64 v50, 0, 1, vcc
	v_cmp_gt_u32_e32 vcc, s33, v53
	v_add_u32_e32 v55, 6, v39
	v_and_b32_e32 v65, v50, v83
	v_cndmask_b32_e64 v50, 0, 1, vcc
	v_cmp_gt_u32_e32 vcc, s33, v54
	v_add_u32_e32 v56, 7, v39
	v_and_b32_e32 v64, v50, v82
	v_cndmask_b32_e64 v50, 0, 1, vcc
	v_cmp_gt_u32_e32 vcc, s33, v55
	v_add_u32_e32 v57, 8, v39
	v_and_b32_e32 v63, v50, v81
	v_cndmask_b32_e64 v50, 0, 1, vcc
	v_cmp_gt_u32_e32 vcc, s33, v56
	v_add_u32_e32 v58, 9, v39
	v_and_b32_e32 v62, v50, v80
	v_cndmask_b32_e64 v50, 0, 1, vcc
	v_cmp_gt_u32_e32 vcc, s33, v57
	v_add_u32_e32 v87, 10, v39
	v_and_b32_e32 v61, v50, v79
	v_cndmask_b32_e64 v50, 0, 1, vcc
	v_cmp_gt_u32_e32 vcc, s33, v58
	v_add_u32_e32 v88, 11, v39
	v_and_b32_e32 v60, v50, v78
	v_cndmask_b32_e64 v50, 0, 1, vcc
	v_cmp_gt_u32_e32 vcc, s33, v87
	v_add_u32_e32 v89, 12, v39
	v_and_b32_e32 v68, v59, v86
	v_and_b32_e32 v59, v50, v77
	v_cndmask_b32_e64 v50, 0, 1, vcc
	v_cmp_gt_u32_e32 vcc, s33, v88
	v_add_u32_e32 v90, 13, v39
	v_and_b32_e32 v58, v50, v76
	v_cndmask_b32_e64 v50, 0, 1, vcc
	v_cmp_gt_u32_e32 vcc, s33, v89
	v_add_u32_e32 v91, 14, v39
	;; [unrolled: 4-line block ×15, first 2 shown]
	v_and_b32_e32 v44, v20, v19
	v_cndmask_b32_e64 v19, 0, 1, vcc
	v_cmp_gt_u32_e32 vcc, s33, v41
	v_and_b32_e32 v43, v19, v18
	v_cndmask_b32_e64 v18, 0, 1, vcc
	v_cmp_gt_u32_e32 vcc, s33, v42
	v_and_b32_e32 v41, v18, v15
	v_cndmask_b32_e64 v15, 0, 1, vcc
	v_and_b32_e32 v42, v15, v14
.LBB2573_64:
	v_and_b32_e32 v93, 0xff, v44
	v_and_b32_e32 v94, 0xff, v43
	v_add_u32_sdwa v14, v41, v42 dst_sel:DWORD dst_unused:UNUSED_PAD src0_sel:BYTE_0 src1_sel:BYTE_0
	v_and_b32_e32 v91, 0xff, v46
	v_and_b32_e32 v92, 0xff, v45
	v_add3_u32 v14, v14, v94, v93
	v_and_b32_e32 v89, 0xff, v48
	v_and_b32_e32 v90, 0xff, v47
	v_add3_u32 v14, v14, v92, v91
	;; [unrolled: 3-line block ×12, first 2 shown]
	v_add3_u32 v97, v14, v70, v69
	v_mbcnt_lo_u32_b32 v14, -1, 0
	v_mbcnt_hi_u32_b32 v95, -1, v14
	v_and_b32_e32 v14, 15, v95
	v_cmp_eq_u32_e64 s[16:17], 0, v14
	v_cmp_lt_u32_e64 s[14:15], 1, v14
	v_cmp_lt_u32_e64 s[12:13], 3, v14
	;; [unrolled: 1-line block ×3, first 2 shown]
	v_and_b32_e32 v14, 16, v95
	v_cmp_eq_u32_e64 s[8:9], 0, v14
	v_or_b32_e32 v14, 63, v0
	s_cmp_lg_u32 s6, 0
	v_cmp_lt_u32_e64 s[2:3], 31, v95
	v_lshrrev_b32_e32 v96, 6, v0
	v_cmp_eq_u32_e64 s[20:21], v14, v0
	s_cbranch_scc0 .LBB2573_95
; %bb.65:
	v_mov_b32_dpp v14, v97 row_shr:1 row_mask:0xf bank_mask:0xf
	v_cndmask_b32_e64 v14, v14, 0, s[16:17]
	v_add_u32_e32 v14, v14, v97
	s_nop 1
	v_mov_b32_dpp v15, v14 row_shr:2 row_mask:0xf bank_mask:0xf
	v_cndmask_b32_e64 v15, 0, v15, s[14:15]
	v_add_u32_e32 v14, v14, v15
	s_nop 1
	;; [unrolled: 4-line block ×4, first 2 shown]
	v_mov_b32_dpp v15, v14 row_bcast:15 row_mask:0xf bank_mask:0xf
	v_cndmask_b32_e64 v15, v15, 0, s[8:9]
	v_add_u32_e32 v14, v14, v15
	s_nop 1
	v_mov_b32_dpp v15, v14 row_bcast:31 row_mask:0xf bank_mask:0xf
	v_cndmask_b32_e64 v15, 0, v15, s[2:3]
	v_add_u32_e32 v14, v14, v15
	s_and_saveexec_b64 s[18:19], s[20:21]
	s_cbranch_execz .LBB2573_67
; %bb.66:
	v_lshlrev_b32_e32 v15, 2, v96
	ds_write_b32 v15, v14
.LBB2573_67:
	s_or_b64 exec, exec, s[18:19]
	v_cmp_gt_u32_e32 vcc, 4, v0
	s_waitcnt lgkmcnt(0)
	s_barrier
	s_and_saveexec_b64 s[18:19], vcc
	s_cbranch_execz .LBB2573_69
; %bb.68:
	v_lshlrev_b32_e32 v15, 2, v0
	ds_read_b32 v18, v15
	v_and_b32_e32 v19, 3, v95
	v_cmp_ne_u32_e32 vcc, 0, v19
	s_waitcnt lgkmcnt(0)
	v_mov_b32_dpp v20, v18 row_shr:1 row_mask:0xf bank_mask:0xf
	v_cndmask_b32_e32 v20, 0, v20, vcc
	v_add_u32_e32 v18, v20, v18
	v_cmp_lt_u32_e32 vcc, 1, v19
	s_nop 0
	v_mov_b32_dpp v20, v18 row_shr:2 row_mask:0xf bank_mask:0xf
	v_cndmask_b32_e32 v19, 0, v20, vcc
	v_add_u32_e32 v18, v18, v19
	ds_write_b32 v15, v18
.LBB2573_69:
	s_or_b64 exec, exec, s[18:19]
	v_cmp_gt_u32_e32 vcc, 64, v0
	v_cmp_lt_u32_e64 s[18:19], 63, v0
	s_waitcnt lgkmcnt(0)
	s_barrier
	s_waitcnt lgkmcnt(0)
                                        ; implicit-def: $vgpr98
	s_and_saveexec_b64 s[36:37], s[18:19]
	s_cbranch_execz .LBB2573_71
; %bb.70:
	v_lshl_add_u32 v15, v96, 2, -4
	ds_read_b32 v98, v15
	s_waitcnt lgkmcnt(0)
	v_add_u32_e32 v14, v98, v14
.LBB2573_71:
	s_or_b64 exec, exec, s[36:37]
	v_add_u32_e32 v15, -1, v95
	v_and_b32_e32 v18, 64, v95
	v_cmp_lt_i32_e64 s[18:19], v15, v18
	v_cndmask_b32_e64 v15, v15, v95, s[18:19]
	v_lshlrev_b32_e32 v15, 2, v15
	ds_bpermute_b32 v99, v15, v14
	v_cmp_eq_u32_e64 s[18:19], 0, v95
	s_and_saveexec_b64 s[36:37], vcc
	s_cbranch_execz .LBB2573_94
; %bb.72:
	v_mov_b32_e32 v25, 0
	ds_read_b32 v14, v25 offset:12
	s_and_saveexec_b64 s[38:39], s[18:19]
	s_cbranch_execz .LBB2573_74
; %bb.73:
	s_add_i32 s40, s6, 64
	s_mov_b32 s41, 0
	s_lshl_b64 s[40:41], s[40:41], 3
	s_add_u32 s40, s34, s40
	v_mov_b32_e32 v15, 1
	s_addc_u32 s41, s35, s41
	s_waitcnt lgkmcnt(0)
	global_store_dwordx2 v25, v[14:15], s[40:41]
.LBB2573_74:
	s_or_b64 exec, exec, s[38:39]
	v_xad_u32 v18, v95, -1, s6
	v_add_u32_e32 v24, 64, v18
	v_lshlrev_b64 v[20:21], 3, v[24:25]
	v_mov_b32_e32 v15, s35
	v_add_co_u32_e32 v20, vcc, s34, v20
	v_addc_co_u32_e32 v21, vcc, v15, v21, vcc
	global_load_dwordx2 v[22:23], v[20:21], off glc
	s_waitcnt vmcnt(0)
	v_cmp_eq_u16_sdwa s[40:41], v23, v25 src0_sel:BYTE_0 src1_sel:DWORD
	s_and_saveexec_b64 s[38:39], s[40:41]
	s_cbranch_execz .LBB2573_80
; %bb.75:
	s_mov_b32 s7, 1
	s_mov_b64 s[40:41], 0
	v_mov_b32_e32 v15, 0
.LBB2573_76:                            ; =>This Loop Header: Depth=1
                                        ;     Child Loop BB2573_77 Depth 2
	s_max_u32 s42, s7, 1
.LBB2573_77:                            ;   Parent Loop BB2573_76 Depth=1
                                        ; =>  This Inner Loop Header: Depth=2
	s_add_i32 s42, s42, -1
	s_cmp_eq_u32 s42, 0
	s_sleep 1
	s_cbranch_scc0 .LBB2573_77
; %bb.78:                               ;   in Loop: Header=BB2573_76 Depth=1
	global_load_dwordx2 v[22:23], v[20:21], off glc
	s_cmp_lt_u32 s7, 32
	s_cselect_b64 s[42:43], -1, 0
	s_cmp_lg_u64 s[42:43], 0
	s_addc_u32 s7, s7, 0
	s_waitcnt vmcnt(0)
	v_cmp_ne_u16_sdwa s[42:43], v23, v15 src0_sel:BYTE_0 src1_sel:DWORD
	s_or_b64 s[40:41], s[42:43], s[40:41]
	s_andn2_b64 exec, exec, s[40:41]
	s_cbranch_execnz .LBB2573_76
; %bb.79:
	s_or_b64 exec, exec, s[40:41]
.LBB2573_80:
	s_or_b64 exec, exec, s[38:39]
	v_and_b32_e32 v101, 63, v95
	v_mov_b32_e32 v100, 2
	v_cmp_ne_u32_e32 vcc, 63, v101
	v_cmp_eq_u16_sdwa s[38:39], v23, v100 src0_sel:BYTE_0 src1_sel:DWORD
	v_lshlrev_b64 v[20:21], v95, -1
	v_addc_co_u32_e32 v24, vcc, 0, v95, vcc
	v_and_b32_e32 v15, s39, v21
	v_lshlrev_b32_e32 v102, 2, v24
	v_or_b32_e32 v15, 0x80000000, v15
	ds_bpermute_b32 v24, v102, v22
	v_and_b32_e32 v19, s38, v20
	v_ffbl_b32_e32 v15, v15
	v_add_u32_e32 v15, 32, v15
	v_ffbl_b32_e32 v19, v19
	v_min_u32_e32 v15, v19, v15
	v_cmp_lt_u32_e32 vcc, v101, v15
	s_waitcnt lgkmcnt(0)
	v_cndmask_b32_e32 v19, 0, v24, vcc
	v_cmp_gt_u32_e32 vcc, 62, v101
	v_add_u32_e32 v19, v19, v22
	v_cndmask_b32_e64 v22, 0, 1, vcc
	v_lshlrev_b32_e32 v22, 1, v22
	v_add_lshl_u32 v103, v22, v95, 2
	ds_bpermute_b32 v22, v103, v19
	v_add_u32_e32 v104, 2, v101
	v_cmp_le_u32_e32 vcc, v104, v15
	v_add_u32_e32 v106, 4, v101
	v_add_u32_e32 v108, 8, v101
	s_waitcnt lgkmcnt(0)
	v_cndmask_b32_e32 v22, 0, v22, vcc
	v_cmp_gt_u32_e32 vcc, 60, v101
	v_add_u32_e32 v19, v19, v22
	v_cndmask_b32_e64 v22, 0, 1, vcc
	v_lshlrev_b32_e32 v22, 2, v22
	v_add_lshl_u32 v105, v22, v95, 2
	ds_bpermute_b32 v22, v105, v19
	v_cmp_le_u32_e32 vcc, v106, v15
	v_add_u32_e32 v110, 16, v101
	v_add_u32_e32 v112, 32, v101
	s_waitcnt lgkmcnt(0)
	v_cndmask_b32_e32 v22, 0, v22, vcc
	v_cmp_gt_u32_e32 vcc, 56, v101
	v_add_u32_e32 v19, v19, v22
	v_cndmask_b32_e64 v22, 0, 1, vcc
	v_lshlrev_b32_e32 v22, 3, v22
	v_add_lshl_u32 v107, v22, v95, 2
	ds_bpermute_b32 v22, v107, v19
	v_cmp_le_u32_e32 vcc, v108, v15
	s_waitcnt lgkmcnt(0)
	v_cndmask_b32_e32 v22, 0, v22, vcc
	v_cmp_gt_u32_e32 vcc, 48, v101
	v_add_u32_e32 v19, v19, v22
	v_cndmask_b32_e64 v22, 0, 1, vcc
	v_lshlrev_b32_e32 v22, 4, v22
	v_add_lshl_u32 v109, v22, v95, 2
	ds_bpermute_b32 v22, v109, v19
	v_cmp_le_u32_e32 vcc, v110, v15
	;; [unrolled: 9-line block ×3, first 2 shown]
	s_waitcnt lgkmcnt(0)
	v_cndmask_b32_e32 v15, 0, v22, vcc
	v_add_u32_e32 v22, v19, v15
	v_mov_b32_e32 v19, 0
	s_branch .LBB2573_82
.LBB2573_81:                            ;   in Loop: Header=BB2573_82 Depth=1
	s_or_b64 exec, exec, s[38:39]
	v_cmp_eq_u16_sdwa s[38:39], v23, v100 src0_sel:BYTE_0 src1_sel:DWORD
	v_and_b32_e32 v24, s39, v21
	v_or_b32_e32 v24, 0x80000000, v24
	ds_bpermute_b32 v113, v102, v22
	v_and_b32_e32 v25, s38, v20
	v_ffbl_b32_e32 v24, v24
	v_add_u32_e32 v24, 32, v24
	v_ffbl_b32_e32 v25, v25
	v_min_u32_e32 v24, v25, v24
	v_cmp_lt_u32_e32 vcc, v101, v24
	s_waitcnt lgkmcnt(0)
	v_cndmask_b32_e32 v25, 0, v113, vcc
	v_add_u32_e32 v22, v25, v22
	ds_bpermute_b32 v25, v103, v22
	v_cmp_le_u32_e32 vcc, v104, v24
	v_subrev_u32_e32 v18, 64, v18
	s_waitcnt lgkmcnt(0)
	v_cndmask_b32_e32 v25, 0, v25, vcc
	v_add_u32_e32 v22, v22, v25
	ds_bpermute_b32 v25, v105, v22
	v_cmp_le_u32_e32 vcc, v106, v24
	s_waitcnt lgkmcnt(0)
	v_cndmask_b32_e32 v25, 0, v25, vcc
	v_add_u32_e32 v22, v22, v25
	ds_bpermute_b32 v25, v107, v22
	v_cmp_le_u32_e32 vcc, v108, v24
	;; [unrolled: 5-line block ×4, first 2 shown]
	s_waitcnt lgkmcnt(0)
	v_cndmask_b32_e32 v24, 0, v25, vcc
	v_add3_u32 v22, v24, v15, v22
.LBB2573_82:                            ; =>This Loop Header: Depth=1
                                        ;     Child Loop BB2573_85 Depth 2
                                        ;       Child Loop BB2573_86 Depth 3
	v_cmp_ne_u16_sdwa s[38:39], v23, v100 src0_sel:BYTE_0 src1_sel:DWORD
	v_cndmask_b32_e64 v15, 0, 1, s[38:39]
	;;#ASMSTART
	;;#ASMEND
	v_cmp_ne_u32_e32 vcc, 0, v15
	s_cmp_lg_u64 vcc, exec
	v_mov_b32_e32 v15, v22
	s_cbranch_scc1 .LBB2573_89
; %bb.83:                               ;   in Loop: Header=BB2573_82 Depth=1
	v_lshlrev_b64 v[22:23], 3, v[18:19]
	v_mov_b32_e32 v25, s35
	v_add_co_u32_e32 v24, vcc, s34, v22
	v_addc_co_u32_e32 v25, vcc, v25, v23, vcc
	global_load_dwordx2 v[22:23], v[24:25], off glc
	s_waitcnt vmcnt(0)
	v_cmp_eq_u16_sdwa s[40:41], v23, v19 src0_sel:BYTE_0 src1_sel:DWORD
	s_and_saveexec_b64 s[38:39], s[40:41]
	s_cbranch_execz .LBB2573_81
; %bb.84:                               ;   in Loop: Header=BB2573_82 Depth=1
	s_mov_b32 s7, 1
	s_mov_b64 s[40:41], 0
.LBB2573_85:                            ;   Parent Loop BB2573_82 Depth=1
                                        ; =>  This Loop Header: Depth=2
                                        ;       Child Loop BB2573_86 Depth 3
	s_max_u32 s42, s7, 1
.LBB2573_86:                            ;   Parent Loop BB2573_82 Depth=1
                                        ;     Parent Loop BB2573_85 Depth=2
                                        ; =>    This Inner Loop Header: Depth=3
	s_add_i32 s42, s42, -1
	s_cmp_eq_u32 s42, 0
	s_sleep 1
	s_cbranch_scc0 .LBB2573_86
; %bb.87:                               ;   in Loop: Header=BB2573_85 Depth=2
	global_load_dwordx2 v[22:23], v[24:25], off glc
	s_cmp_lt_u32 s7, 32
	s_cselect_b64 s[42:43], -1, 0
	s_cmp_lg_u64 s[42:43], 0
	s_addc_u32 s7, s7, 0
	s_waitcnt vmcnt(0)
	v_cmp_ne_u16_sdwa s[42:43], v23, v19 src0_sel:BYTE_0 src1_sel:DWORD
	s_or_b64 s[40:41], s[42:43], s[40:41]
	s_andn2_b64 exec, exec, s[40:41]
	s_cbranch_execnz .LBB2573_85
; %bb.88:                               ;   in Loop: Header=BB2573_82 Depth=1
	s_or_b64 exec, exec, s[40:41]
	s_branch .LBB2573_81
.LBB2573_89:                            ;   in Loop: Header=BB2573_82 Depth=1
                                        ; implicit-def: $vgpr22
                                        ; implicit-def: $vgpr23
	s_cbranch_execz .LBB2573_82
; %bb.90:
	s_and_saveexec_b64 s[38:39], s[18:19]
	s_cbranch_execz .LBB2573_92
; %bb.91:
	s_add_i32 s6, s6, 64
	s_mov_b32 s7, 0
	s_lshl_b64 s[6:7], s[6:7], 3
	s_add_u32 s6, s34, s6
	v_add_u32_e32 v18, v15, v14
	v_mov_b32_e32 v19, 2
	s_addc_u32 s7, s35, s7
	v_mov_b32_e32 v20, 0
	global_store_dwordx2 v20, v[18:19], s[6:7]
	ds_write_b64 v20, v[14:15] offset:14336
.LBB2573_92:
	s_or_b64 exec, exec, s[38:39]
	v_cmp_eq_u32_e32 vcc, 0, v0
	s_and_b64 exec, exec, vcc
	s_cbranch_execz .LBB2573_94
; %bb.93:
	v_mov_b32_e32 v14, 0
	ds_write_b32 v14, v15 offset:12
.LBB2573_94:
	s_or_b64 exec, exec, s[36:37]
	v_mov_b32_e32 v14, 0
	s_waitcnt lgkmcnt(0)
	s_barrier
	ds_read_b32 v19, v14 offset:12
	s_waitcnt lgkmcnt(0)
	s_barrier
	ds_read_b64 v[14:15], v14 offset:14336
	v_cndmask_b32_e64 v18, v99, v98, s[18:19]
	v_cmp_ne_u32_e32 vcc, 0, v0
	v_cndmask_b32_e32 v18, 0, v18, vcc
	v_add_u32_e32 v18, v19, v18
	s_load_dwordx2 s[4:5], s[4:5], 0x38
	s_branch .LBB2573_105
.LBB2573_95:
                                        ; implicit-def: $vgpr15
                                        ; implicit-def: $vgpr18
	s_load_dwordx2 s[4:5], s[4:5], 0x38
	s_cbranch_execz .LBB2573_105
; %bb.96:
	s_waitcnt lgkmcnt(0)
	v_mov_b32_dpp v14, v97 row_shr:1 row_mask:0xf bank_mask:0xf
	v_cndmask_b32_e64 v14, v14, 0, s[16:17]
	v_add_u32_e32 v14, v14, v97
	s_nop 1
	v_mov_b32_dpp v15, v14 row_shr:2 row_mask:0xf bank_mask:0xf
	v_cndmask_b32_e64 v15, 0, v15, s[14:15]
	v_add_u32_e32 v14, v14, v15
	s_nop 1
	;; [unrolled: 4-line block ×4, first 2 shown]
	v_mov_b32_dpp v15, v14 row_bcast:15 row_mask:0xf bank_mask:0xf
	v_cndmask_b32_e64 v15, v15, 0, s[8:9]
	v_add_u32_e32 v14, v14, v15
	s_nop 1
	v_mov_b32_dpp v15, v14 row_bcast:31 row_mask:0xf bank_mask:0xf
	v_cndmask_b32_e64 v15, 0, v15, s[2:3]
	v_add_u32_e32 v14, v14, v15
	s_and_saveexec_b64 s[2:3], s[20:21]
	s_cbranch_execz .LBB2573_98
; %bb.97:
	v_lshlrev_b32_e32 v15, 2, v96
	ds_write_b32 v15, v14
.LBB2573_98:
	s_or_b64 exec, exec, s[2:3]
	v_cmp_gt_u32_e32 vcc, 4, v0
	s_waitcnt lgkmcnt(0)
	s_barrier
	s_and_saveexec_b64 s[2:3], vcc
	s_cbranch_execz .LBB2573_100
; %bb.99:
	v_lshlrev_b32_e32 v15, 2, v0
	ds_read_b32 v18, v15
	v_and_b32_e32 v19, 3, v95
	v_cmp_ne_u32_e32 vcc, 0, v19
	s_waitcnt lgkmcnt(0)
	v_mov_b32_dpp v20, v18 row_shr:1 row_mask:0xf bank_mask:0xf
	v_cndmask_b32_e32 v20, 0, v20, vcc
	v_add_u32_e32 v18, v20, v18
	v_cmp_lt_u32_e32 vcc, 1, v19
	s_nop 0
	v_mov_b32_dpp v20, v18 row_shr:2 row_mask:0xf bank_mask:0xf
	v_cndmask_b32_e32 v19, 0, v20, vcc
	v_add_u32_e32 v18, v18, v19
	ds_write_b32 v15, v18
.LBB2573_100:
	s_or_b64 exec, exec, s[2:3]
	v_cmp_lt_u32_e32 vcc, 63, v0
	v_mov_b32_e32 v15, 0
	v_mov_b32_e32 v18, 0
	s_waitcnt lgkmcnt(0)
	s_barrier
	s_and_saveexec_b64 s[2:3], vcc
	s_cbranch_execz .LBB2573_102
; %bb.101:
	v_lshl_add_u32 v18, v96, 2, -4
	ds_read_b32 v18, v18
.LBB2573_102:
	s_or_b64 exec, exec, s[2:3]
	v_add_u32_e32 v19, -1, v95
	v_and_b32_e32 v20, 64, v95
	v_cmp_lt_i32_e32 vcc, v19, v20
	v_cndmask_b32_e32 v19, v19, v95, vcc
	s_waitcnt lgkmcnt(0)
	v_add_u32_e32 v14, v18, v14
	v_lshlrev_b32_e32 v19, 2, v19
	ds_bpermute_b32 v19, v19, v14
	ds_read_b32 v14, v15 offset:12
	v_cmp_eq_u32_e32 vcc, 0, v0
	s_and_saveexec_b64 s[2:3], vcc
	s_cbranch_execz .LBB2573_104
; %bb.103:
	v_mov_b32_e32 v20, 0
	v_mov_b32_e32 v15, 2
	s_waitcnt lgkmcnt(0)
	global_store_dwordx2 v20, v[14:15], s[34:35] offset:512
.LBB2573_104:
	s_or_b64 exec, exec, s[2:3]
	v_cmp_eq_u32_e64 s[2:3], 0, v95
	s_waitcnt lgkmcnt(1)
	v_cndmask_b32_e64 v18, v19, v18, s[2:3]
	v_mov_b32_e32 v15, 0
	v_cndmask_b32_e64 v18, v18, 0, vcc
	s_waitcnt lgkmcnt(0)
	s_barrier
.LBB2573_105:
	v_add_u32_e32 v19, v18, v69
	v_add_u32_e32 v20, v19, v70
	v_add_u32_e32 v21, v20, v71
	v_add_u32_e32 v22, v21, v72
	v_add_u32_e32 v23, v22, v73
	v_add_u32_e32 v24, v23, v74
	v_add_u32_e32 v25, v24, v75
	v_add_u32_e32 v69, v25, v76
	v_add_u32_e32 v70, v69, v77
	v_add_u32_e32 v71, v70, v78
	v_add_u32_e32 v72, v71, v79
	v_add_u32_e32 v73, v72, v80
	v_add_u32_e32 v74, v73, v81
	v_add_u32_e32 v75, v74, v82
	v_add_u32_e32 v76, v75, v83
	v_add_u32_e32 v77, v76, v84
	v_add_u32_e32 v78, v77, v85
	v_add_u32_e32 v79, v78, v86
	v_add_u32_e32 v80, v79, v87
	s_waitcnt lgkmcnt(0)
	v_add_u32_e32 v39, v14, v39
	v_sub_u32_e32 v18, v18, v15
	v_and_b32_e32 v68, 1, v68
	v_add_u32_e32 v81, v80, v88
	v_sub_u32_e32 v88, v39, v18
	v_cmp_eq_u32_e32 vcc, 1, v68
	v_cndmask_b32_e32 v18, v88, v18, vcc
	v_lshlrev_b32_e32 v18, 1, v18
	ds_write_b16 v18, v10
	v_sub_u32_e32 v10, v19, v15
	v_sub_u32_e32 v18, v39, v10
	v_and_b32_e32 v19, 1, v67
	v_add_u32_e32 v18, 1, v18
	v_cmp_eq_u32_e32 vcc, 1, v19
	v_cndmask_b32_e32 v10, v18, v10, vcc
	v_lshlrev_b32_e32 v10, 1, v10
	ds_write_b16 v10, v40
	v_sub_u32_e32 v10, v20, v15
	v_sub_u32_e32 v18, v39, v10
	v_and_b32_e32 v19, 1, v66
	v_add_u32_e32 v18, 2, v18
	;; [unrolled: 8-line block ×20, first 2 shown]
	v_cmp_eq_u32_e32 vcc, 1, v6
	v_cndmask_b32_e32 v2, v3, v2, vcc
	v_add_u32_e32 v82, v81, v89
	v_lshlrev_b32_e32 v2, 1, v2
	ds_write_b16 v2, v4
	v_sub_u32_e32 v2, v82, v15
	v_sub_u32_e32 v3, v39, v2
	v_and_b32_e32 v4, 1, v47
	v_add_u32_e32 v3, 21, v3
	v_cmp_eq_u32_e32 vcc, 1, v4
	v_cndmask_b32_e32 v2, v3, v2, vcc
	v_add_u32_e32 v83, v82, v90
	v_lshlrev_b32_e32 v2, 1, v2
	ds_write_b16 v2, v29
	v_sub_u32_e32 v2, v83, v15
	v_sub_u32_e32 v3, v39, v2
	v_and_b32_e32 v4, 1, v46
	v_add_u32_e32 v3, 22, v3
	;; [unrolled: 9-line block ×6, first 2 shown]
	v_cmp_eq_u32_e32 vcc, 1, v4
	v_cndmask_b32_e32 v2, v3, v2, vcc
	v_lshlrev_b32_e32 v2, 1, v2
	ds_write_b16 v2, v17
	v_sub_u32_sdwa v2, v41, v15 dst_sel:DWORD dst_unused:UNUSED_PAD src0_sel:BYTE_0 src1_sel:DWORD
	v_add_u32_e32 v2, v87, v2
	v_sub_u32_e32 v3, v39, v2
	v_and_b32_e32 v4, 1, v42
	v_add_u32_e32 v3, 27, v3
	v_cmp_eq_u32_e32 vcc, 1, v4
	v_cndmask_b32_e32 v2, v3, v2, vcc
	v_lshlrev_b32_e32 v2, 1, v2
	ds_write_b16 v2, v1
	v_mov_b32_e32 v1, s29
	v_add_co_u32_e32 v2, vcc, s28, v14
	s_waitcnt lgkmcnt(0)
	s_barrier
	ds_read_u16 v62, v26
	ds_read_u16 v61, v26 offset:512
	ds_read_u16 v59, v26 offset:1024
	;; [unrolled: 1-line block ×23, first 2 shown]
	v_addc_co_u32_e32 v1, vcc, 0, v1, vcc
	v_add_co_u32_e32 v2, vcc, v2, v15
	v_addc_co_u32_e32 v3, vcc, 0, v1, vcc
	v_mov_b32_e32 v1, s23
	v_sub_co_u32_e32 v64, vcc, s22, v2
	ds_read_u16 v12, v26 offset:12288
	ds_read_u16 v10, v26 offset:12800
	;; [unrolled: 1-line block ×4, first 2 shown]
	v_subb_co_u32_e32 v65, vcc, v1, v3, vcc
	v_lshlrev_b64 v[64:65], 1, v[64:65]
	v_mov_b32_e32 v1, s5
	v_add_co_u32_e32 v4, vcc, s4, v64
	v_addc_co_u32_e32 v1, vcc, v1, v65, vcc
	v_mov_b32_e32 v15, s31
	v_add_co_u32_e32 v4, vcc, s30, v4
	v_addc_co_u32_e32 v1, vcc, v1, v15, vcc
	v_or_b32_e32 v60, 0x100, v0
	v_or_b32_e32 v58, 0x200, v0
	;; [unrolled: 1-line block ×27, first 2 shown]
	s_and_b64 vcc, exec, s[0:1]
	v_cmp_ge_u32_e64 s[0:1], v0, v14
	s_cbranch_vccnz .LBB2573_135
; %bb.106:
	s_and_saveexec_b64 s[2:3], s[0:1]
	s_cbranch_execnz .LBB2573_196
; %bb.107:
	s_or_b64 exec, exec, s[2:3]
	v_cmp_ge_u32_e32 vcc, v60, v14
	s_and_saveexec_b64 s[0:1], vcc
	s_cbranch_execnz .LBB2573_197
.LBB2573_108:
	s_or_b64 exec, exec, s[0:1]
	v_cmp_ge_u32_e32 vcc, v58, v14
	s_and_saveexec_b64 s[0:1], vcc
	s_cbranch_execnz .LBB2573_198
.LBB2573_109:
	s_or_b64 exec, exec, s[0:1]
	v_cmp_ge_u32_e32 vcc, v56, v14
	s_and_saveexec_b64 s[0:1], vcc
	s_cbranch_execnz .LBB2573_199
.LBB2573_110:
	s_or_b64 exec, exec, s[0:1]
	v_cmp_ge_u32_e32 vcc, v55, v14
	s_and_saveexec_b64 s[0:1], vcc
	s_cbranch_execnz .LBB2573_200
.LBB2573_111:
	s_or_b64 exec, exec, s[0:1]
	v_cmp_ge_u32_e32 vcc, v53, v14
	s_and_saveexec_b64 s[0:1], vcc
	s_cbranch_execnz .LBB2573_201
.LBB2573_112:
	s_or_b64 exec, exec, s[0:1]
	v_cmp_ge_u32_e32 vcc, v51, v14
	s_and_saveexec_b64 s[0:1], vcc
	s_cbranch_execnz .LBB2573_202
.LBB2573_113:
	s_or_b64 exec, exec, s[0:1]
	v_cmp_ge_u32_e32 vcc, v49, v14
	s_and_saveexec_b64 s[0:1], vcc
	s_cbranch_execnz .LBB2573_203
.LBB2573_114:
	s_or_b64 exec, exec, s[0:1]
	v_cmp_ge_u32_e32 vcc, v46, v14
	s_and_saveexec_b64 s[0:1], vcc
	s_cbranch_execnz .LBB2573_204
.LBB2573_115:
	s_or_b64 exec, exec, s[0:1]
	v_cmp_ge_u32_e32 vcc, v44, v14
	s_and_saveexec_b64 s[0:1], vcc
	s_cbranch_execnz .LBB2573_205
.LBB2573_116:
	s_or_b64 exec, exec, s[0:1]
	v_cmp_ge_u32_e32 vcc, v42, v14
	s_and_saveexec_b64 s[0:1], vcc
	s_cbranch_execnz .LBB2573_206
.LBB2573_117:
	s_or_b64 exec, exec, s[0:1]
	v_cmp_ge_u32_e32 vcc, v40, v14
	s_and_saveexec_b64 s[0:1], vcc
	s_cbranch_execnz .LBB2573_207
.LBB2573_118:
	s_or_b64 exec, exec, s[0:1]
	v_cmp_ge_u32_e32 vcc, v38, v14
	s_and_saveexec_b64 s[0:1], vcc
	s_cbranch_execnz .LBB2573_208
.LBB2573_119:
	s_or_b64 exec, exec, s[0:1]
	v_cmp_ge_u32_e32 vcc, v36, v14
	s_and_saveexec_b64 s[0:1], vcc
	s_cbranch_execnz .LBB2573_209
.LBB2573_120:
	s_or_b64 exec, exec, s[0:1]
	v_cmp_ge_u32_e32 vcc, v34, v14
	s_and_saveexec_b64 s[0:1], vcc
	s_cbranch_execnz .LBB2573_210
.LBB2573_121:
	s_or_b64 exec, exec, s[0:1]
	v_cmp_ge_u32_e32 vcc, v31, v14
	s_and_saveexec_b64 s[0:1], vcc
	s_cbranch_execnz .LBB2573_211
.LBB2573_122:
	s_or_b64 exec, exec, s[0:1]
	v_cmp_ge_u32_e32 vcc, v30, v14
	s_and_saveexec_b64 s[0:1], vcc
	s_cbranch_execnz .LBB2573_212
.LBB2573_123:
	s_or_b64 exec, exec, s[0:1]
	v_cmp_ge_u32_e32 vcc, v28, v14
	s_and_saveexec_b64 s[0:1], vcc
	s_cbranch_execnz .LBB2573_213
.LBB2573_124:
	s_or_b64 exec, exec, s[0:1]
	v_cmp_ge_u32_e32 vcc, v25, v14
	s_and_saveexec_b64 s[0:1], vcc
	s_cbranch_execnz .LBB2573_214
.LBB2573_125:
	s_or_b64 exec, exec, s[0:1]
	v_cmp_ge_u32_e32 vcc, v23, v14
	s_and_saveexec_b64 s[0:1], vcc
	s_cbranch_execnz .LBB2573_215
.LBB2573_126:
	s_or_b64 exec, exec, s[0:1]
	v_cmp_ge_u32_e32 vcc, v21, v14
	s_and_saveexec_b64 s[0:1], vcc
	s_cbranch_execnz .LBB2573_216
.LBB2573_127:
	s_or_b64 exec, exec, s[0:1]
	v_cmp_ge_u32_e32 vcc, v19, v14
	s_and_saveexec_b64 s[0:1], vcc
	s_cbranch_execnz .LBB2573_217
.LBB2573_128:
	s_or_b64 exec, exec, s[0:1]
	v_cmp_ge_u32_e32 vcc, v17, v14
	s_and_saveexec_b64 s[0:1], vcc
	s_cbranch_execnz .LBB2573_218
.LBB2573_129:
	s_or_b64 exec, exec, s[0:1]
	v_cmp_ge_u32_e32 vcc, v13, v14
	s_and_saveexec_b64 s[0:1], vcc
	s_cbranch_execnz .LBB2573_219
.LBB2573_130:
	s_or_b64 exec, exec, s[0:1]
	v_cmp_ge_u32_e32 vcc, v11, v14
	s_and_saveexec_b64 s[0:1], vcc
	s_cbranch_execnz .LBB2573_220
.LBB2573_131:
	s_or_b64 exec, exec, s[0:1]
	v_cmp_ge_u32_e32 vcc, v9, v14
	s_and_saveexec_b64 s[0:1], vcc
	s_cbranch_execnz .LBB2573_221
.LBB2573_132:
	s_or_b64 exec, exec, s[0:1]
	v_cmp_ge_u32_e32 vcc, v8, v14
	s_and_saveexec_b64 s[0:1], vcc
	s_cbranch_execz .LBB2573_134
.LBB2573_133:
	v_lshlrev_b32_e32 v15, 1, v8
	v_readfirstlane_b32 s2, v4
	v_readfirstlane_b32 s3, v1
	s_waitcnt lgkmcnt(1)
	s_nop 3
	global_store_short v15, v7, s[2:3]
.LBB2573_134:
	s_or_b64 exec, exec, s[0:1]
	v_cmp_ge_u32_e64 s[0:1], v6, v14
	s_branch .LBB2573_191
.LBB2573_135:
	s_mov_b64 s[0:1], 0
	s_cbranch_execz .LBB2573_191
; %bb.136:
	v_cmp_gt_u32_e32 vcc, s33, v0
	v_cmp_ge_u32_e64 s[0:1], v0, v14
	s_and_b64 s[2:3], vcc, s[0:1]
	s_and_saveexec_b64 s[0:1], s[2:3]
	s_cbranch_execz .LBB2573_138
; %bb.137:
	v_readfirstlane_b32 s2, v4
	v_readfirstlane_b32 s3, v1
	s_waitcnt lgkmcnt(14)
	s_nop 3
	global_store_short v26, v62, s[2:3]
.LBB2573_138:
	s_or_b64 exec, exec, s[0:1]
	v_cmp_gt_u32_e32 vcc, s33, v60
	v_cmp_ge_u32_e64 s[0:1], v60, v14
	s_and_b64 s[2:3], vcc, s[0:1]
	s_and_saveexec_b64 s[0:1], s[2:3]
	s_cbranch_execz .LBB2573_140
; %bb.139:
	v_readfirstlane_b32 s2, v4
	v_readfirstlane_b32 s3, v1
	s_waitcnt lgkmcnt(14)
	s_nop 3
	global_store_short v26, v61, s[2:3] offset:512
.LBB2573_140:
	s_or_b64 exec, exec, s[0:1]
	v_cmp_gt_u32_e32 vcc, s33, v58
	v_cmp_ge_u32_e64 s[0:1], v58, v14
	s_and_b64 s[2:3], vcc, s[0:1]
	s_and_saveexec_b64 s[0:1], s[2:3]
	s_cbranch_execz .LBB2573_142
; %bb.141:
	v_readfirstlane_b32 s2, v4
	v_readfirstlane_b32 s3, v1
	s_waitcnt lgkmcnt(14)
	s_nop 3
	global_store_short v26, v59, s[2:3] offset:1024
.LBB2573_142:
	;; [unrolled: 13-line block ×7, first 2 shown]
	s_or_b64 exec, exec, s[0:1]
	v_cmp_gt_u32_e32 vcc, s33, v46
	v_cmp_ge_u32_e64 s[0:1], v46, v14
	s_and_b64 s[2:3], vcc, s[0:1]
	s_and_saveexec_b64 s[0:1], s[2:3]
	s_cbranch_execz .LBB2573_154
; %bb.153:
	v_lshlrev_b32_e32 v15, 1, v46
	v_readfirstlane_b32 s2, v4
	v_readfirstlane_b32 s3, v1
	s_waitcnt lgkmcnt(14)
	s_nop 3
	global_store_short v15, v47, s[2:3]
.LBB2573_154:
	s_or_b64 exec, exec, s[0:1]
	v_cmp_gt_u32_e32 vcc, s33, v44
	v_cmp_ge_u32_e64 s[0:1], v44, v14
	s_and_b64 s[2:3], vcc, s[0:1]
	s_and_saveexec_b64 s[0:1], s[2:3]
	s_cbranch_execz .LBB2573_156
; %bb.155:
	v_lshlrev_b32_e32 v15, 1, v44
	v_readfirstlane_b32 s2, v4
	v_readfirstlane_b32 s3, v1
	s_waitcnt lgkmcnt(14)
	s_nop 3
	global_store_short v15, v45, s[2:3]
.LBB2573_156:
	;; [unrolled: 14-line block ×19, first 2 shown]
	s_or_b64 exec, exec, s[0:1]
	v_cmp_gt_u32_e32 vcc, s33, v6
	v_cmp_ge_u32_e64 s[0:1], v6, v14
	s_and_b64 s[0:1], vcc, s[0:1]
.LBB2573_191:
	s_and_saveexec_b64 s[2:3], s[0:1]
	s_cbranch_execz .LBB2573_193
; %bb.192:
	v_lshlrev_b32_e32 v6, 1, v6
	v_readfirstlane_b32 s0, v4
	v_readfirstlane_b32 s1, v1
	s_waitcnt lgkmcnt(0)
	s_nop 3
	global_store_short v6, v5, s[0:1]
.LBB2573_193:
	s_or_b64 exec, exec, s[2:3]
	v_cmp_eq_u32_e32 vcc, 0, v0
	s_and_b64 s[0:1], vcc, s[26:27]
	s_and_saveexec_b64 s[2:3], s[0:1]
	s_cbranch_execz .LBB2573_195
; %bb.194:
	v_mov_b32_e32 v0, 0
	global_store_dwordx2 v0, v[2:3], s[24:25]
.LBB2573_195:
	s_endpgm
.LBB2573_196:
	v_readfirstlane_b32 s0, v4
	v_readfirstlane_b32 s1, v1
	s_waitcnt lgkmcnt(14)
	s_nop 3
	global_store_short v26, v62, s[0:1]
	s_or_b64 exec, exec, s[2:3]
	v_cmp_ge_u32_e32 vcc, v60, v14
	s_and_saveexec_b64 s[0:1], vcc
	s_cbranch_execz .LBB2573_108
.LBB2573_197:
	v_readfirstlane_b32 s2, v4
	v_readfirstlane_b32 s3, v1
	s_waitcnt lgkmcnt(14)
	s_nop 3
	global_store_short v26, v61, s[2:3] offset:512
	s_or_b64 exec, exec, s[0:1]
	v_cmp_ge_u32_e32 vcc, v58, v14
	s_and_saveexec_b64 s[0:1], vcc
	s_cbranch_execz .LBB2573_109
.LBB2573_198:
	v_readfirstlane_b32 s2, v4
	v_readfirstlane_b32 s3, v1
	s_waitcnt lgkmcnt(14)
	s_nop 3
	global_store_short v26, v59, s[2:3] offset:1024
	s_or_b64 exec, exec, s[0:1]
	v_cmp_ge_u32_e32 vcc, v56, v14
	s_and_saveexec_b64 s[0:1], vcc
	s_cbranch_execz .LBB2573_110
.LBB2573_199:
	v_readfirstlane_b32 s2, v4
	v_readfirstlane_b32 s3, v1
	s_waitcnt lgkmcnt(14)
	s_nop 3
	global_store_short v26, v57, s[2:3] offset:1536
	s_or_b64 exec, exec, s[0:1]
	v_cmp_ge_u32_e32 vcc, v55, v14
	s_and_saveexec_b64 s[0:1], vcc
	s_cbranch_execz .LBB2573_111
.LBB2573_200:
	v_readfirstlane_b32 s2, v4
	v_readfirstlane_b32 s3, v1
	s_waitcnt lgkmcnt(14)
	s_nop 3
	global_store_short v26, v54, s[2:3] offset:2048
	s_or_b64 exec, exec, s[0:1]
	v_cmp_ge_u32_e32 vcc, v53, v14
	s_and_saveexec_b64 s[0:1], vcc
	s_cbranch_execz .LBB2573_112
.LBB2573_201:
	v_readfirstlane_b32 s2, v4
	v_readfirstlane_b32 s3, v1
	s_waitcnt lgkmcnt(14)
	s_nop 3
	global_store_short v26, v52, s[2:3] offset:2560
	s_or_b64 exec, exec, s[0:1]
	v_cmp_ge_u32_e32 vcc, v51, v14
	s_and_saveexec_b64 s[0:1], vcc
	s_cbranch_execz .LBB2573_113
.LBB2573_202:
	v_readfirstlane_b32 s2, v4
	v_readfirstlane_b32 s3, v1
	s_waitcnt lgkmcnt(14)
	s_nop 3
	global_store_short v26, v50, s[2:3] offset:3072
	s_or_b64 exec, exec, s[0:1]
	v_cmp_ge_u32_e32 vcc, v49, v14
	s_and_saveexec_b64 s[0:1], vcc
	s_cbranch_execz .LBB2573_114
.LBB2573_203:
	v_readfirstlane_b32 s2, v4
	v_readfirstlane_b32 s3, v1
	s_waitcnt lgkmcnt(14)
	s_nop 3
	global_store_short v26, v48, s[2:3] offset:3584
	s_or_b64 exec, exec, s[0:1]
	v_cmp_ge_u32_e32 vcc, v46, v14
	s_and_saveexec_b64 s[0:1], vcc
	s_cbranch_execz .LBB2573_115
.LBB2573_204:
	v_lshlrev_b32_e32 v15, 1, v46
	v_readfirstlane_b32 s2, v4
	v_readfirstlane_b32 s3, v1
	s_waitcnt lgkmcnt(14)
	s_nop 3
	global_store_short v15, v47, s[2:3]
	s_or_b64 exec, exec, s[0:1]
	v_cmp_ge_u32_e32 vcc, v44, v14
	s_and_saveexec_b64 s[0:1], vcc
	s_cbranch_execz .LBB2573_116
.LBB2573_205:
	v_lshlrev_b32_e32 v15, 1, v44
	v_readfirstlane_b32 s2, v4
	v_readfirstlane_b32 s3, v1
	s_waitcnt lgkmcnt(14)
	s_nop 3
	global_store_short v15, v45, s[2:3]
	s_or_b64 exec, exec, s[0:1]
	v_cmp_ge_u32_e32 vcc, v42, v14
	s_and_saveexec_b64 s[0:1], vcc
	s_cbranch_execz .LBB2573_117
.LBB2573_206:
	v_lshlrev_b32_e32 v15, 1, v42
	v_readfirstlane_b32 s2, v4
	v_readfirstlane_b32 s3, v1
	s_waitcnt lgkmcnt(14)
	s_nop 3
	global_store_short v15, v43, s[2:3]
	s_or_b64 exec, exec, s[0:1]
	v_cmp_ge_u32_e32 vcc, v40, v14
	s_and_saveexec_b64 s[0:1], vcc
	s_cbranch_execz .LBB2573_118
.LBB2573_207:
	v_lshlrev_b32_e32 v15, 1, v40
	v_readfirstlane_b32 s2, v4
	v_readfirstlane_b32 s3, v1
	s_waitcnt lgkmcnt(14)
	s_nop 3
	global_store_short v15, v41, s[2:3]
	s_or_b64 exec, exec, s[0:1]
	v_cmp_ge_u32_e32 vcc, v38, v14
	s_and_saveexec_b64 s[0:1], vcc
	s_cbranch_execz .LBB2573_119
.LBB2573_208:
	v_lshlrev_b32_e32 v15, 1, v38
	v_readfirstlane_b32 s2, v4
	v_readfirstlane_b32 s3, v1
	s_waitcnt lgkmcnt(14)
	s_nop 3
	global_store_short v15, v39, s[2:3]
	s_or_b64 exec, exec, s[0:1]
	v_cmp_ge_u32_e32 vcc, v36, v14
	s_and_saveexec_b64 s[0:1], vcc
	s_cbranch_execz .LBB2573_120
.LBB2573_209:
	v_lshlrev_b32_e32 v15, 1, v36
	v_readfirstlane_b32 s2, v4
	v_readfirstlane_b32 s3, v1
	s_waitcnt lgkmcnt(14)
	s_nop 3
	global_store_short v15, v37, s[2:3]
	s_or_b64 exec, exec, s[0:1]
	v_cmp_ge_u32_e32 vcc, v34, v14
	s_and_saveexec_b64 s[0:1], vcc
	s_cbranch_execz .LBB2573_121
.LBB2573_210:
	v_lshlrev_b32_e32 v15, 1, v34
	v_readfirstlane_b32 s2, v4
	v_readfirstlane_b32 s3, v1
	s_waitcnt lgkmcnt(13)
	s_nop 3
	global_store_short v15, v35, s[2:3]
	s_or_b64 exec, exec, s[0:1]
	v_cmp_ge_u32_e32 vcc, v31, v14
	s_and_saveexec_b64 s[0:1], vcc
	s_cbranch_execz .LBB2573_122
.LBB2573_211:
	v_lshlrev_b32_e32 v15, 1, v31
	v_readfirstlane_b32 s2, v4
	v_readfirstlane_b32 s3, v1
	s_waitcnt lgkmcnt(12)
	s_nop 3
	global_store_short v15, v33, s[2:3]
	s_or_b64 exec, exec, s[0:1]
	v_cmp_ge_u32_e32 vcc, v30, v14
	s_and_saveexec_b64 s[0:1], vcc
	s_cbranch_execz .LBB2573_123
.LBB2573_212:
	v_lshlrev_b32_e32 v15, 1, v30
	v_readfirstlane_b32 s2, v4
	v_readfirstlane_b32 s3, v1
	s_waitcnt lgkmcnt(11)
	s_nop 3
	global_store_short v15, v32, s[2:3]
	s_or_b64 exec, exec, s[0:1]
	v_cmp_ge_u32_e32 vcc, v28, v14
	s_and_saveexec_b64 s[0:1], vcc
	s_cbranch_execz .LBB2573_124
.LBB2573_213:
	v_lshlrev_b32_e32 v15, 1, v28
	v_readfirstlane_b32 s2, v4
	v_readfirstlane_b32 s3, v1
	s_waitcnt lgkmcnt(10)
	s_nop 3
	global_store_short v15, v29, s[2:3]
	s_or_b64 exec, exec, s[0:1]
	v_cmp_ge_u32_e32 vcc, v25, v14
	s_and_saveexec_b64 s[0:1], vcc
	s_cbranch_execz .LBB2573_125
.LBB2573_214:
	v_lshlrev_b32_e32 v15, 1, v25
	v_readfirstlane_b32 s2, v4
	v_readfirstlane_b32 s3, v1
	s_waitcnt lgkmcnt(9)
	s_nop 3
	global_store_short v15, v27, s[2:3]
	s_or_b64 exec, exec, s[0:1]
	v_cmp_ge_u32_e32 vcc, v23, v14
	s_and_saveexec_b64 s[0:1], vcc
	s_cbranch_execz .LBB2573_126
.LBB2573_215:
	v_lshlrev_b32_e32 v15, 1, v23
	v_readfirstlane_b32 s2, v4
	v_readfirstlane_b32 s3, v1
	s_waitcnt lgkmcnt(8)
	s_nop 3
	global_store_short v15, v24, s[2:3]
	s_or_b64 exec, exec, s[0:1]
	v_cmp_ge_u32_e32 vcc, v21, v14
	s_and_saveexec_b64 s[0:1], vcc
	s_cbranch_execz .LBB2573_127
.LBB2573_216:
	v_lshlrev_b32_e32 v15, 1, v21
	v_readfirstlane_b32 s2, v4
	v_readfirstlane_b32 s3, v1
	s_waitcnt lgkmcnt(7)
	s_nop 3
	global_store_short v15, v22, s[2:3]
	s_or_b64 exec, exec, s[0:1]
	v_cmp_ge_u32_e32 vcc, v19, v14
	s_and_saveexec_b64 s[0:1], vcc
	s_cbranch_execz .LBB2573_128
.LBB2573_217:
	v_lshlrev_b32_e32 v15, 1, v19
	v_readfirstlane_b32 s2, v4
	v_readfirstlane_b32 s3, v1
	s_waitcnt lgkmcnt(6)
	s_nop 3
	global_store_short v15, v20, s[2:3]
	s_or_b64 exec, exec, s[0:1]
	v_cmp_ge_u32_e32 vcc, v17, v14
	s_and_saveexec_b64 s[0:1], vcc
	s_cbranch_execz .LBB2573_129
.LBB2573_218:
	v_lshlrev_b32_e32 v15, 1, v17
	v_readfirstlane_b32 s2, v4
	v_readfirstlane_b32 s3, v1
	s_waitcnt lgkmcnt(5)
	s_nop 3
	global_store_short v15, v18, s[2:3]
	s_or_b64 exec, exec, s[0:1]
	v_cmp_ge_u32_e32 vcc, v13, v14
	s_and_saveexec_b64 s[0:1], vcc
	s_cbranch_execz .LBB2573_130
.LBB2573_219:
	v_lshlrev_b32_e32 v15, 1, v13
	v_readfirstlane_b32 s2, v4
	v_readfirstlane_b32 s3, v1
	s_waitcnt lgkmcnt(4)
	s_nop 3
	global_store_short v15, v16, s[2:3]
	s_or_b64 exec, exec, s[0:1]
	v_cmp_ge_u32_e32 vcc, v11, v14
	s_and_saveexec_b64 s[0:1], vcc
	s_cbranch_execz .LBB2573_131
.LBB2573_220:
	v_lshlrev_b32_e32 v15, 1, v11
	v_readfirstlane_b32 s2, v4
	v_readfirstlane_b32 s3, v1
	s_waitcnt lgkmcnt(3)
	s_nop 3
	global_store_short v15, v12, s[2:3]
	s_or_b64 exec, exec, s[0:1]
	v_cmp_ge_u32_e32 vcc, v9, v14
	s_and_saveexec_b64 s[0:1], vcc
	s_cbranch_execz .LBB2573_132
.LBB2573_221:
	v_lshlrev_b32_e32 v15, 1, v9
	v_readfirstlane_b32 s2, v4
	v_readfirstlane_b32 s3, v1
	s_waitcnt lgkmcnt(2)
	s_nop 3
	global_store_short v15, v10, s[2:3]
	s_or_b64 exec, exec, s[0:1]
	v_cmp_ge_u32_e32 vcc, v8, v14
	s_and_saveexec_b64 s[0:1], vcc
	s_cbranch_execnz .LBB2573_133
	s_branch .LBB2573_134
	.section	.rodata,"a",@progbits
	.p2align	6, 0x0
	.amdhsa_kernel _ZN7rocprim17ROCPRIM_400000_NS6detail17trampoline_kernelINS0_14default_configENS1_25partition_config_selectorILNS1_17partition_subalgoE0EtNS0_10empty_typeEbEEZZNS1_14partition_implILS5_0ELb0ES3_jN6thrust23THRUST_200600_302600_NS6detail15normal_iteratorINSA_10device_ptrItEEEEPS6_SG_NS0_5tupleIJNSA_16discard_iteratorINSA_11use_defaultEEESF_EEENSH_IJSG_SG_EEES6_PlJ7is_evenItEEEE10hipError_tPvRmT3_T4_T5_T6_T7_T9_mT8_P12ihipStream_tbDpT10_ENKUlT_T0_E_clISt17integral_constantIbLb1EES18_IbLb0EEEEDaS14_S15_EUlS14_E_NS1_11comp_targetILNS1_3genE4ELNS1_11target_archE910ELNS1_3gpuE8ELNS1_3repE0EEENS1_30default_config_static_selectorELNS0_4arch9wavefront6targetE1EEEvT1_
		.amdhsa_group_segment_fixed_size 14344
		.amdhsa_private_segment_fixed_size 0
		.amdhsa_kernarg_size 128
		.amdhsa_user_sgpr_count 6
		.amdhsa_user_sgpr_private_segment_buffer 1
		.amdhsa_user_sgpr_dispatch_ptr 0
		.amdhsa_user_sgpr_queue_ptr 0
		.amdhsa_user_sgpr_kernarg_segment_ptr 1
		.amdhsa_user_sgpr_dispatch_id 0
		.amdhsa_user_sgpr_flat_scratch_init 0
		.amdhsa_user_sgpr_kernarg_preload_length 0
		.amdhsa_user_sgpr_kernarg_preload_offset 0
		.amdhsa_user_sgpr_private_segment_size 0
		.amdhsa_uses_dynamic_stack 0
		.amdhsa_system_sgpr_private_segment_wavefront_offset 0
		.amdhsa_system_sgpr_workgroup_id_x 1
		.amdhsa_system_sgpr_workgroup_id_y 0
		.amdhsa_system_sgpr_workgroup_id_z 0
		.amdhsa_system_sgpr_workgroup_info 0
		.amdhsa_system_vgpr_workitem_id 0
		.amdhsa_next_free_vgpr 114
		.amdhsa_next_free_sgpr 44
		.amdhsa_accum_offset 116
		.amdhsa_reserve_vcc 1
		.amdhsa_reserve_flat_scratch 0
		.amdhsa_float_round_mode_32 0
		.amdhsa_float_round_mode_16_64 0
		.amdhsa_float_denorm_mode_32 3
		.amdhsa_float_denorm_mode_16_64 3
		.amdhsa_dx10_clamp 1
		.amdhsa_ieee_mode 1
		.amdhsa_fp16_overflow 0
		.amdhsa_tg_split 0
		.amdhsa_exception_fp_ieee_invalid_op 0
		.amdhsa_exception_fp_denorm_src 0
		.amdhsa_exception_fp_ieee_div_zero 0
		.amdhsa_exception_fp_ieee_overflow 0
		.amdhsa_exception_fp_ieee_underflow 0
		.amdhsa_exception_fp_ieee_inexact 0
		.amdhsa_exception_int_div_zero 0
	.end_amdhsa_kernel
	.section	.text._ZN7rocprim17ROCPRIM_400000_NS6detail17trampoline_kernelINS0_14default_configENS1_25partition_config_selectorILNS1_17partition_subalgoE0EtNS0_10empty_typeEbEEZZNS1_14partition_implILS5_0ELb0ES3_jN6thrust23THRUST_200600_302600_NS6detail15normal_iteratorINSA_10device_ptrItEEEEPS6_SG_NS0_5tupleIJNSA_16discard_iteratorINSA_11use_defaultEEESF_EEENSH_IJSG_SG_EEES6_PlJ7is_evenItEEEE10hipError_tPvRmT3_T4_T5_T6_T7_T9_mT8_P12ihipStream_tbDpT10_ENKUlT_T0_E_clISt17integral_constantIbLb1EES18_IbLb0EEEEDaS14_S15_EUlS14_E_NS1_11comp_targetILNS1_3genE4ELNS1_11target_archE910ELNS1_3gpuE8ELNS1_3repE0EEENS1_30default_config_static_selectorELNS0_4arch9wavefront6targetE1EEEvT1_,"axG",@progbits,_ZN7rocprim17ROCPRIM_400000_NS6detail17trampoline_kernelINS0_14default_configENS1_25partition_config_selectorILNS1_17partition_subalgoE0EtNS0_10empty_typeEbEEZZNS1_14partition_implILS5_0ELb0ES3_jN6thrust23THRUST_200600_302600_NS6detail15normal_iteratorINSA_10device_ptrItEEEEPS6_SG_NS0_5tupleIJNSA_16discard_iteratorINSA_11use_defaultEEESF_EEENSH_IJSG_SG_EEES6_PlJ7is_evenItEEEE10hipError_tPvRmT3_T4_T5_T6_T7_T9_mT8_P12ihipStream_tbDpT10_ENKUlT_T0_E_clISt17integral_constantIbLb1EES18_IbLb0EEEEDaS14_S15_EUlS14_E_NS1_11comp_targetILNS1_3genE4ELNS1_11target_archE910ELNS1_3gpuE8ELNS1_3repE0EEENS1_30default_config_static_selectorELNS0_4arch9wavefront6targetE1EEEvT1_,comdat
.Lfunc_end2573:
	.size	_ZN7rocprim17ROCPRIM_400000_NS6detail17trampoline_kernelINS0_14default_configENS1_25partition_config_selectorILNS1_17partition_subalgoE0EtNS0_10empty_typeEbEEZZNS1_14partition_implILS5_0ELb0ES3_jN6thrust23THRUST_200600_302600_NS6detail15normal_iteratorINSA_10device_ptrItEEEEPS6_SG_NS0_5tupleIJNSA_16discard_iteratorINSA_11use_defaultEEESF_EEENSH_IJSG_SG_EEES6_PlJ7is_evenItEEEE10hipError_tPvRmT3_T4_T5_T6_T7_T9_mT8_P12ihipStream_tbDpT10_ENKUlT_T0_E_clISt17integral_constantIbLb1EES18_IbLb0EEEEDaS14_S15_EUlS14_E_NS1_11comp_targetILNS1_3genE4ELNS1_11target_archE910ELNS1_3gpuE8ELNS1_3repE0EEENS1_30default_config_static_selectorELNS0_4arch9wavefront6targetE1EEEvT1_, .Lfunc_end2573-_ZN7rocprim17ROCPRIM_400000_NS6detail17trampoline_kernelINS0_14default_configENS1_25partition_config_selectorILNS1_17partition_subalgoE0EtNS0_10empty_typeEbEEZZNS1_14partition_implILS5_0ELb0ES3_jN6thrust23THRUST_200600_302600_NS6detail15normal_iteratorINSA_10device_ptrItEEEEPS6_SG_NS0_5tupleIJNSA_16discard_iteratorINSA_11use_defaultEEESF_EEENSH_IJSG_SG_EEES6_PlJ7is_evenItEEEE10hipError_tPvRmT3_T4_T5_T6_T7_T9_mT8_P12ihipStream_tbDpT10_ENKUlT_T0_E_clISt17integral_constantIbLb1EES18_IbLb0EEEEDaS14_S15_EUlS14_E_NS1_11comp_targetILNS1_3genE4ELNS1_11target_archE910ELNS1_3gpuE8ELNS1_3repE0EEENS1_30default_config_static_selectorELNS0_4arch9wavefront6targetE1EEEvT1_
                                        ; -- End function
	.section	.AMDGPU.csdata,"",@progbits
; Kernel info:
; codeLenInByte = 10308
; NumSgprs: 48
; NumVgprs: 114
; NumAgprs: 0
; TotalNumVgprs: 114
; ScratchSize: 0
; MemoryBound: 0
; FloatMode: 240
; IeeeMode: 1
; LDSByteSize: 14344 bytes/workgroup (compile time only)
; SGPRBlocks: 5
; VGPRBlocks: 14
; NumSGPRsForWavesPerEU: 48
; NumVGPRsForWavesPerEU: 114
; AccumOffset: 116
; Occupancy: 4
; WaveLimiterHint : 1
; COMPUTE_PGM_RSRC2:SCRATCH_EN: 0
; COMPUTE_PGM_RSRC2:USER_SGPR: 6
; COMPUTE_PGM_RSRC2:TRAP_HANDLER: 0
; COMPUTE_PGM_RSRC2:TGID_X_EN: 1
; COMPUTE_PGM_RSRC2:TGID_Y_EN: 0
; COMPUTE_PGM_RSRC2:TGID_Z_EN: 0
; COMPUTE_PGM_RSRC2:TIDIG_COMP_CNT: 0
; COMPUTE_PGM_RSRC3_GFX90A:ACCUM_OFFSET: 28
; COMPUTE_PGM_RSRC3_GFX90A:TG_SPLIT: 0
	.section	.text._ZN7rocprim17ROCPRIM_400000_NS6detail17trampoline_kernelINS0_14default_configENS1_25partition_config_selectorILNS1_17partition_subalgoE0EtNS0_10empty_typeEbEEZZNS1_14partition_implILS5_0ELb0ES3_jN6thrust23THRUST_200600_302600_NS6detail15normal_iteratorINSA_10device_ptrItEEEEPS6_SG_NS0_5tupleIJNSA_16discard_iteratorINSA_11use_defaultEEESF_EEENSH_IJSG_SG_EEES6_PlJ7is_evenItEEEE10hipError_tPvRmT3_T4_T5_T6_T7_T9_mT8_P12ihipStream_tbDpT10_ENKUlT_T0_E_clISt17integral_constantIbLb1EES18_IbLb0EEEEDaS14_S15_EUlS14_E_NS1_11comp_targetILNS1_3genE3ELNS1_11target_archE908ELNS1_3gpuE7ELNS1_3repE0EEENS1_30default_config_static_selectorELNS0_4arch9wavefront6targetE1EEEvT1_,"axG",@progbits,_ZN7rocprim17ROCPRIM_400000_NS6detail17trampoline_kernelINS0_14default_configENS1_25partition_config_selectorILNS1_17partition_subalgoE0EtNS0_10empty_typeEbEEZZNS1_14partition_implILS5_0ELb0ES3_jN6thrust23THRUST_200600_302600_NS6detail15normal_iteratorINSA_10device_ptrItEEEEPS6_SG_NS0_5tupleIJNSA_16discard_iteratorINSA_11use_defaultEEESF_EEENSH_IJSG_SG_EEES6_PlJ7is_evenItEEEE10hipError_tPvRmT3_T4_T5_T6_T7_T9_mT8_P12ihipStream_tbDpT10_ENKUlT_T0_E_clISt17integral_constantIbLb1EES18_IbLb0EEEEDaS14_S15_EUlS14_E_NS1_11comp_targetILNS1_3genE3ELNS1_11target_archE908ELNS1_3gpuE7ELNS1_3repE0EEENS1_30default_config_static_selectorELNS0_4arch9wavefront6targetE1EEEvT1_,comdat
	.protected	_ZN7rocprim17ROCPRIM_400000_NS6detail17trampoline_kernelINS0_14default_configENS1_25partition_config_selectorILNS1_17partition_subalgoE0EtNS0_10empty_typeEbEEZZNS1_14partition_implILS5_0ELb0ES3_jN6thrust23THRUST_200600_302600_NS6detail15normal_iteratorINSA_10device_ptrItEEEEPS6_SG_NS0_5tupleIJNSA_16discard_iteratorINSA_11use_defaultEEESF_EEENSH_IJSG_SG_EEES6_PlJ7is_evenItEEEE10hipError_tPvRmT3_T4_T5_T6_T7_T9_mT8_P12ihipStream_tbDpT10_ENKUlT_T0_E_clISt17integral_constantIbLb1EES18_IbLb0EEEEDaS14_S15_EUlS14_E_NS1_11comp_targetILNS1_3genE3ELNS1_11target_archE908ELNS1_3gpuE7ELNS1_3repE0EEENS1_30default_config_static_selectorELNS0_4arch9wavefront6targetE1EEEvT1_ ; -- Begin function _ZN7rocprim17ROCPRIM_400000_NS6detail17trampoline_kernelINS0_14default_configENS1_25partition_config_selectorILNS1_17partition_subalgoE0EtNS0_10empty_typeEbEEZZNS1_14partition_implILS5_0ELb0ES3_jN6thrust23THRUST_200600_302600_NS6detail15normal_iteratorINSA_10device_ptrItEEEEPS6_SG_NS0_5tupleIJNSA_16discard_iteratorINSA_11use_defaultEEESF_EEENSH_IJSG_SG_EEES6_PlJ7is_evenItEEEE10hipError_tPvRmT3_T4_T5_T6_T7_T9_mT8_P12ihipStream_tbDpT10_ENKUlT_T0_E_clISt17integral_constantIbLb1EES18_IbLb0EEEEDaS14_S15_EUlS14_E_NS1_11comp_targetILNS1_3genE3ELNS1_11target_archE908ELNS1_3gpuE7ELNS1_3repE0EEENS1_30default_config_static_selectorELNS0_4arch9wavefront6targetE1EEEvT1_
	.globl	_ZN7rocprim17ROCPRIM_400000_NS6detail17trampoline_kernelINS0_14default_configENS1_25partition_config_selectorILNS1_17partition_subalgoE0EtNS0_10empty_typeEbEEZZNS1_14partition_implILS5_0ELb0ES3_jN6thrust23THRUST_200600_302600_NS6detail15normal_iteratorINSA_10device_ptrItEEEEPS6_SG_NS0_5tupleIJNSA_16discard_iteratorINSA_11use_defaultEEESF_EEENSH_IJSG_SG_EEES6_PlJ7is_evenItEEEE10hipError_tPvRmT3_T4_T5_T6_T7_T9_mT8_P12ihipStream_tbDpT10_ENKUlT_T0_E_clISt17integral_constantIbLb1EES18_IbLb0EEEEDaS14_S15_EUlS14_E_NS1_11comp_targetILNS1_3genE3ELNS1_11target_archE908ELNS1_3gpuE7ELNS1_3repE0EEENS1_30default_config_static_selectorELNS0_4arch9wavefront6targetE1EEEvT1_
	.p2align	8
	.type	_ZN7rocprim17ROCPRIM_400000_NS6detail17trampoline_kernelINS0_14default_configENS1_25partition_config_selectorILNS1_17partition_subalgoE0EtNS0_10empty_typeEbEEZZNS1_14partition_implILS5_0ELb0ES3_jN6thrust23THRUST_200600_302600_NS6detail15normal_iteratorINSA_10device_ptrItEEEEPS6_SG_NS0_5tupleIJNSA_16discard_iteratorINSA_11use_defaultEEESF_EEENSH_IJSG_SG_EEES6_PlJ7is_evenItEEEE10hipError_tPvRmT3_T4_T5_T6_T7_T9_mT8_P12ihipStream_tbDpT10_ENKUlT_T0_E_clISt17integral_constantIbLb1EES18_IbLb0EEEEDaS14_S15_EUlS14_E_NS1_11comp_targetILNS1_3genE3ELNS1_11target_archE908ELNS1_3gpuE7ELNS1_3repE0EEENS1_30default_config_static_selectorELNS0_4arch9wavefront6targetE1EEEvT1_,@function
_ZN7rocprim17ROCPRIM_400000_NS6detail17trampoline_kernelINS0_14default_configENS1_25partition_config_selectorILNS1_17partition_subalgoE0EtNS0_10empty_typeEbEEZZNS1_14partition_implILS5_0ELb0ES3_jN6thrust23THRUST_200600_302600_NS6detail15normal_iteratorINSA_10device_ptrItEEEEPS6_SG_NS0_5tupleIJNSA_16discard_iteratorINSA_11use_defaultEEESF_EEENSH_IJSG_SG_EEES6_PlJ7is_evenItEEEE10hipError_tPvRmT3_T4_T5_T6_T7_T9_mT8_P12ihipStream_tbDpT10_ENKUlT_T0_E_clISt17integral_constantIbLb1EES18_IbLb0EEEEDaS14_S15_EUlS14_E_NS1_11comp_targetILNS1_3genE3ELNS1_11target_archE908ELNS1_3gpuE7ELNS1_3repE0EEENS1_30default_config_static_selectorELNS0_4arch9wavefront6targetE1EEEvT1_: ; @_ZN7rocprim17ROCPRIM_400000_NS6detail17trampoline_kernelINS0_14default_configENS1_25partition_config_selectorILNS1_17partition_subalgoE0EtNS0_10empty_typeEbEEZZNS1_14partition_implILS5_0ELb0ES3_jN6thrust23THRUST_200600_302600_NS6detail15normal_iteratorINSA_10device_ptrItEEEEPS6_SG_NS0_5tupleIJNSA_16discard_iteratorINSA_11use_defaultEEESF_EEENSH_IJSG_SG_EEES6_PlJ7is_evenItEEEE10hipError_tPvRmT3_T4_T5_T6_T7_T9_mT8_P12ihipStream_tbDpT10_ENKUlT_T0_E_clISt17integral_constantIbLb1EES18_IbLb0EEEEDaS14_S15_EUlS14_E_NS1_11comp_targetILNS1_3genE3ELNS1_11target_archE908ELNS1_3gpuE7ELNS1_3repE0EEENS1_30default_config_static_selectorELNS0_4arch9wavefront6targetE1EEEvT1_
; %bb.0:
	.section	.rodata,"a",@progbits
	.p2align	6, 0x0
	.amdhsa_kernel _ZN7rocprim17ROCPRIM_400000_NS6detail17trampoline_kernelINS0_14default_configENS1_25partition_config_selectorILNS1_17partition_subalgoE0EtNS0_10empty_typeEbEEZZNS1_14partition_implILS5_0ELb0ES3_jN6thrust23THRUST_200600_302600_NS6detail15normal_iteratorINSA_10device_ptrItEEEEPS6_SG_NS0_5tupleIJNSA_16discard_iteratorINSA_11use_defaultEEESF_EEENSH_IJSG_SG_EEES6_PlJ7is_evenItEEEE10hipError_tPvRmT3_T4_T5_T6_T7_T9_mT8_P12ihipStream_tbDpT10_ENKUlT_T0_E_clISt17integral_constantIbLb1EES18_IbLb0EEEEDaS14_S15_EUlS14_E_NS1_11comp_targetILNS1_3genE3ELNS1_11target_archE908ELNS1_3gpuE7ELNS1_3repE0EEENS1_30default_config_static_selectorELNS0_4arch9wavefront6targetE1EEEvT1_
		.amdhsa_group_segment_fixed_size 0
		.amdhsa_private_segment_fixed_size 0
		.amdhsa_kernarg_size 128
		.amdhsa_user_sgpr_count 6
		.amdhsa_user_sgpr_private_segment_buffer 1
		.amdhsa_user_sgpr_dispatch_ptr 0
		.amdhsa_user_sgpr_queue_ptr 0
		.amdhsa_user_sgpr_kernarg_segment_ptr 1
		.amdhsa_user_sgpr_dispatch_id 0
		.amdhsa_user_sgpr_flat_scratch_init 0
		.amdhsa_user_sgpr_kernarg_preload_length 0
		.amdhsa_user_sgpr_kernarg_preload_offset 0
		.amdhsa_user_sgpr_private_segment_size 0
		.amdhsa_uses_dynamic_stack 0
		.amdhsa_system_sgpr_private_segment_wavefront_offset 0
		.amdhsa_system_sgpr_workgroup_id_x 1
		.amdhsa_system_sgpr_workgroup_id_y 0
		.amdhsa_system_sgpr_workgroup_id_z 0
		.amdhsa_system_sgpr_workgroup_info 0
		.amdhsa_system_vgpr_workitem_id 0
		.amdhsa_next_free_vgpr 1
		.amdhsa_next_free_sgpr 0
		.amdhsa_accum_offset 4
		.amdhsa_reserve_vcc 0
		.amdhsa_reserve_flat_scratch 0
		.amdhsa_float_round_mode_32 0
		.amdhsa_float_round_mode_16_64 0
		.amdhsa_float_denorm_mode_32 3
		.amdhsa_float_denorm_mode_16_64 3
		.amdhsa_dx10_clamp 1
		.amdhsa_ieee_mode 1
		.amdhsa_fp16_overflow 0
		.amdhsa_tg_split 0
		.amdhsa_exception_fp_ieee_invalid_op 0
		.amdhsa_exception_fp_denorm_src 0
		.amdhsa_exception_fp_ieee_div_zero 0
		.amdhsa_exception_fp_ieee_overflow 0
		.amdhsa_exception_fp_ieee_underflow 0
		.amdhsa_exception_fp_ieee_inexact 0
		.amdhsa_exception_int_div_zero 0
	.end_amdhsa_kernel
	.section	.text._ZN7rocprim17ROCPRIM_400000_NS6detail17trampoline_kernelINS0_14default_configENS1_25partition_config_selectorILNS1_17partition_subalgoE0EtNS0_10empty_typeEbEEZZNS1_14partition_implILS5_0ELb0ES3_jN6thrust23THRUST_200600_302600_NS6detail15normal_iteratorINSA_10device_ptrItEEEEPS6_SG_NS0_5tupleIJNSA_16discard_iteratorINSA_11use_defaultEEESF_EEENSH_IJSG_SG_EEES6_PlJ7is_evenItEEEE10hipError_tPvRmT3_T4_T5_T6_T7_T9_mT8_P12ihipStream_tbDpT10_ENKUlT_T0_E_clISt17integral_constantIbLb1EES18_IbLb0EEEEDaS14_S15_EUlS14_E_NS1_11comp_targetILNS1_3genE3ELNS1_11target_archE908ELNS1_3gpuE7ELNS1_3repE0EEENS1_30default_config_static_selectorELNS0_4arch9wavefront6targetE1EEEvT1_,"axG",@progbits,_ZN7rocprim17ROCPRIM_400000_NS6detail17trampoline_kernelINS0_14default_configENS1_25partition_config_selectorILNS1_17partition_subalgoE0EtNS0_10empty_typeEbEEZZNS1_14partition_implILS5_0ELb0ES3_jN6thrust23THRUST_200600_302600_NS6detail15normal_iteratorINSA_10device_ptrItEEEEPS6_SG_NS0_5tupleIJNSA_16discard_iteratorINSA_11use_defaultEEESF_EEENSH_IJSG_SG_EEES6_PlJ7is_evenItEEEE10hipError_tPvRmT3_T4_T5_T6_T7_T9_mT8_P12ihipStream_tbDpT10_ENKUlT_T0_E_clISt17integral_constantIbLb1EES18_IbLb0EEEEDaS14_S15_EUlS14_E_NS1_11comp_targetILNS1_3genE3ELNS1_11target_archE908ELNS1_3gpuE7ELNS1_3repE0EEENS1_30default_config_static_selectorELNS0_4arch9wavefront6targetE1EEEvT1_,comdat
.Lfunc_end2574:
	.size	_ZN7rocprim17ROCPRIM_400000_NS6detail17trampoline_kernelINS0_14default_configENS1_25partition_config_selectorILNS1_17partition_subalgoE0EtNS0_10empty_typeEbEEZZNS1_14partition_implILS5_0ELb0ES3_jN6thrust23THRUST_200600_302600_NS6detail15normal_iteratorINSA_10device_ptrItEEEEPS6_SG_NS0_5tupleIJNSA_16discard_iteratorINSA_11use_defaultEEESF_EEENSH_IJSG_SG_EEES6_PlJ7is_evenItEEEE10hipError_tPvRmT3_T4_T5_T6_T7_T9_mT8_P12ihipStream_tbDpT10_ENKUlT_T0_E_clISt17integral_constantIbLb1EES18_IbLb0EEEEDaS14_S15_EUlS14_E_NS1_11comp_targetILNS1_3genE3ELNS1_11target_archE908ELNS1_3gpuE7ELNS1_3repE0EEENS1_30default_config_static_selectorELNS0_4arch9wavefront6targetE1EEEvT1_, .Lfunc_end2574-_ZN7rocprim17ROCPRIM_400000_NS6detail17trampoline_kernelINS0_14default_configENS1_25partition_config_selectorILNS1_17partition_subalgoE0EtNS0_10empty_typeEbEEZZNS1_14partition_implILS5_0ELb0ES3_jN6thrust23THRUST_200600_302600_NS6detail15normal_iteratorINSA_10device_ptrItEEEEPS6_SG_NS0_5tupleIJNSA_16discard_iteratorINSA_11use_defaultEEESF_EEENSH_IJSG_SG_EEES6_PlJ7is_evenItEEEE10hipError_tPvRmT3_T4_T5_T6_T7_T9_mT8_P12ihipStream_tbDpT10_ENKUlT_T0_E_clISt17integral_constantIbLb1EES18_IbLb0EEEEDaS14_S15_EUlS14_E_NS1_11comp_targetILNS1_3genE3ELNS1_11target_archE908ELNS1_3gpuE7ELNS1_3repE0EEENS1_30default_config_static_selectorELNS0_4arch9wavefront6targetE1EEEvT1_
                                        ; -- End function
	.section	.AMDGPU.csdata,"",@progbits
; Kernel info:
; codeLenInByte = 0
; NumSgprs: 4
; NumVgprs: 0
; NumAgprs: 0
; TotalNumVgprs: 0
; ScratchSize: 0
; MemoryBound: 0
; FloatMode: 240
; IeeeMode: 1
; LDSByteSize: 0 bytes/workgroup (compile time only)
; SGPRBlocks: 0
; VGPRBlocks: 0
; NumSGPRsForWavesPerEU: 4
; NumVGPRsForWavesPerEU: 1
; AccumOffset: 4
; Occupancy: 8
; WaveLimiterHint : 0
; COMPUTE_PGM_RSRC2:SCRATCH_EN: 0
; COMPUTE_PGM_RSRC2:USER_SGPR: 6
; COMPUTE_PGM_RSRC2:TRAP_HANDLER: 0
; COMPUTE_PGM_RSRC2:TGID_X_EN: 1
; COMPUTE_PGM_RSRC2:TGID_Y_EN: 0
; COMPUTE_PGM_RSRC2:TGID_Z_EN: 0
; COMPUTE_PGM_RSRC2:TIDIG_COMP_CNT: 0
; COMPUTE_PGM_RSRC3_GFX90A:ACCUM_OFFSET: 0
; COMPUTE_PGM_RSRC3_GFX90A:TG_SPLIT: 0
	.section	.text._ZN7rocprim17ROCPRIM_400000_NS6detail17trampoline_kernelINS0_14default_configENS1_25partition_config_selectorILNS1_17partition_subalgoE0EtNS0_10empty_typeEbEEZZNS1_14partition_implILS5_0ELb0ES3_jN6thrust23THRUST_200600_302600_NS6detail15normal_iteratorINSA_10device_ptrItEEEEPS6_SG_NS0_5tupleIJNSA_16discard_iteratorINSA_11use_defaultEEESF_EEENSH_IJSG_SG_EEES6_PlJ7is_evenItEEEE10hipError_tPvRmT3_T4_T5_T6_T7_T9_mT8_P12ihipStream_tbDpT10_ENKUlT_T0_E_clISt17integral_constantIbLb1EES18_IbLb0EEEEDaS14_S15_EUlS14_E_NS1_11comp_targetILNS1_3genE2ELNS1_11target_archE906ELNS1_3gpuE6ELNS1_3repE0EEENS1_30default_config_static_selectorELNS0_4arch9wavefront6targetE1EEEvT1_,"axG",@progbits,_ZN7rocprim17ROCPRIM_400000_NS6detail17trampoline_kernelINS0_14default_configENS1_25partition_config_selectorILNS1_17partition_subalgoE0EtNS0_10empty_typeEbEEZZNS1_14partition_implILS5_0ELb0ES3_jN6thrust23THRUST_200600_302600_NS6detail15normal_iteratorINSA_10device_ptrItEEEEPS6_SG_NS0_5tupleIJNSA_16discard_iteratorINSA_11use_defaultEEESF_EEENSH_IJSG_SG_EEES6_PlJ7is_evenItEEEE10hipError_tPvRmT3_T4_T5_T6_T7_T9_mT8_P12ihipStream_tbDpT10_ENKUlT_T0_E_clISt17integral_constantIbLb1EES18_IbLb0EEEEDaS14_S15_EUlS14_E_NS1_11comp_targetILNS1_3genE2ELNS1_11target_archE906ELNS1_3gpuE6ELNS1_3repE0EEENS1_30default_config_static_selectorELNS0_4arch9wavefront6targetE1EEEvT1_,comdat
	.protected	_ZN7rocprim17ROCPRIM_400000_NS6detail17trampoline_kernelINS0_14default_configENS1_25partition_config_selectorILNS1_17partition_subalgoE0EtNS0_10empty_typeEbEEZZNS1_14partition_implILS5_0ELb0ES3_jN6thrust23THRUST_200600_302600_NS6detail15normal_iteratorINSA_10device_ptrItEEEEPS6_SG_NS0_5tupleIJNSA_16discard_iteratorINSA_11use_defaultEEESF_EEENSH_IJSG_SG_EEES6_PlJ7is_evenItEEEE10hipError_tPvRmT3_T4_T5_T6_T7_T9_mT8_P12ihipStream_tbDpT10_ENKUlT_T0_E_clISt17integral_constantIbLb1EES18_IbLb0EEEEDaS14_S15_EUlS14_E_NS1_11comp_targetILNS1_3genE2ELNS1_11target_archE906ELNS1_3gpuE6ELNS1_3repE0EEENS1_30default_config_static_selectorELNS0_4arch9wavefront6targetE1EEEvT1_ ; -- Begin function _ZN7rocprim17ROCPRIM_400000_NS6detail17trampoline_kernelINS0_14default_configENS1_25partition_config_selectorILNS1_17partition_subalgoE0EtNS0_10empty_typeEbEEZZNS1_14partition_implILS5_0ELb0ES3_jN6thrust23THRUST_200600_302600_NS6detail15normal_iteratorINSA_10device_ptrItEEEEPS6_SG_NS0_5tupleIJNSA_16discard_iteratorINSA_11use_defaultEEESF_EEENSH_IJSG_SG_EEES6_PlJ7is_evenItEEEE10hipError_tPvRmT3_T4_T5_T6_T7_T9_mT8_P12ihipStream_tbDpT10_ENKUlT_T0_E_clISt17integral_constantIbLb1EES18_IbLb0EEEEDaS14_S15_EUlS14_E_NS1_11comp_targetILNS1_3genE2ELNS1_11target_archE906ELNS1_3gpuE6ELNS1_3repE0EEENS1_30default_config_static_selectorELNS0_4arch9wavefront6targetE1EEEvT1_
	.globl	_ZN7rocprim17ROCPRIM_400000_NS6detail17trampoline_kernelINS0_14default_configENS1_25partition_config_selectorILNS1_17partition_subalgoE0EtNS0_10empty_typeEbEEZZNS1_14partition_implILS5_0ELb0ES3_jN6thrust23THRUST_200600_302600_NS6detail15normal_iteratorINSA_10device_ptrItEEEEPS6_SG_NS0_5tupleIJNSA_16discard_iteratorINSA_11use_defaultEEESF_EEENSH_IJSG_SG_EEES6_PlJ7is_evenItEEEE10hipError_tPvRmT3_T4_T5_T6_T7_T9_mT8_P12ihipStream_tbDpT10_ENKUlT_T0_E_clISt17integral_constantIbLb1EES18_IbLb0EEEEDaS14_S15_EUlS14_E_NS1_11comp_targetILNS1_3genE2ELNS1_11target_archE906ELNS1_3gpuE6ELNS1_3repE0EEENS1_30default_config_static_selectorELNS0_4arch9wavefront6targetE1EEEvT1_
	.p2align	8
	.type	_ZN7rocprim17ROCPRIM_400000_NS6detail17trampoline_kernelINS0_14default_configENS1_25partition_config_selectorILNS1_17partition_subalgoE0EtNS0_10empty_typeEbEEZZNS1_14partition_implILS5_0ELb0ES3_jN6thrust23THRUST_200600_302600_NS6detail15normal_iteratorINSA_10device_ptrItEEEEPS6_SG_NS0_5tupleIJNSA_16discard_iteratorINSA_11use_defaultEEESF_EEENSH_IJSG_SG_EEES6_PlJ7is_evenItEEEE10hipError_tPvRmT3_T4_T5_T6_T7_T9_mT8_P12ihipStream_tbDpT10_ENKUlT_T0_E_clISt17integral_constantIbLb1EES18_IbLb0EEEEDaS14_S15_EUlS14_E_NS1_11comp_targetILNS1_3genE2ELNS1_11target_archE906ELNS1_3gpuE6ELNS1_3repE0EEENS1_30default_config_static_selectorELNS0_4arch9wavefront6targetE1EEEvT1_,@function
_ZN7rocprim17ROCPRIM_400000_NS6detail17trampoline_kernelINS0_14default_configENS1_25partition_config_selectorILNS1_17partition_subalgoE0EtNS0_10empty_typeEbEEZZNS1_14partition_implILS5_0ELb0ES3_jN6thrust23THRUST_200600_302600_NS6detail15normal_iteratorINSA_10device_ptrItEEEEPS6_SG_NS0_5tupleIJNSA_16discard_iteratorINSA_11use_defaultEEESF_EEENSH_IJSG_SG_EEES6_PlJ7is_evenItEEEE10hipError_tPvRmT3_T4_T5_T6_T7_T9_mT8_P12ihipStream_tbDpT10_ENKUlT_T0_E_clISt17integral_constantIbLb1EES18_IbLb0EEEEDaS14_S15_EUlS14_E_NS1_11comp_targetILNS1_3genE2ELNS1_11target_archE906ELNS1_3gpuE6ELNS1_3repE0EEENS1_30default_config_static_selectorELNS0_4arch9wavefront6targetE1EEEvT1_: ; @_ZN7rocprim17ROCPRIM_400000_NS6detail17trampoline_kernelINS0_14default_configENS1_25partition_config_selectorILNS1_17partition_subalgoE0EtNS0_10empty_typeEbEEZZNS1_14partition_implILS5_0ELb0ES3_jN6thrust23THRUST_200600_302600_NS6detail15normal_iteratorINSA_10device_ptrItEEEEPS6_SG_NS0_5tupleIJNSA_16discard_iteratorINSA_11use_defaultEEESF_EEENSH_IJSG_SG_EEES6_PlJ7is_evenItEEEE10hipError_tPvRmT3_T4_T5_T6_T7_T9_mT8_P12ihipStream_tbDpT10_ENKUlT_T0_E_clISt17integral_constantIbLb1EES18_IbLb0EEEEDaS14_S15_EUlS14_E_NS1_11comp_targetILNS1_3genE2ELNS1_11target_archE906ELNS1_3gpuE6ELNS1_3repE0EEENS1_30default_config_static_selectorELNS0_4arch9wavefront6targetE1EEEvT1_
; %bb.0:
	.section	.rodata,"a",@progbits
	.p2align	6, 0x0
	.amdhsa_kernel _ZN7rocprim17ROCPRIM_400000_NS6detail17trampoline_kernelINS0_14default_configENS1_25partition_config_selectorILNS1_17partition_subalgoE0EtNS0_10empty_typeEbEEZZNS1_14partition_implILS5_0ELb0ES3_jN6thrust23THRUST_200600_302600_NS6detail15normal_iteratorINSA_10device_ptrItEEEEPS6_SG_NS0_5tupleIJNSA_16discard_iteratorINSA_11use_defaultEEESF_EEENSH_IJSG_SG_EEES6_PlJ7is_evenItEEEE10hipError_tPvRmT3_T4_T5_T6_T7_T9_mT8_P12ihipStream_tbDpT10_ENKUlT_T0_E_clISt17integral_constantIbLb1EES18_IbLb0EEEEDaS14_S15_EUlS14_E_NS1_11comp_targetILNS1_3genE2ELNS1_11target_archE906ELNS1_3gpuE6ELNS1_3repE0EEENS1_30default_config_static_selectorELNS0_4arch9wavefront6targetE1EEEvT1_
		.amdhsa_group_segment_fixed_size 0
		.amdhsa_private_segment_fixed_size 0
		.amdhsa_kernarg_size 128
		.amdhsa_user_sgpr_count 6
		.amdhsa_user_sgpr_private_segment_buffer 1
		.amdhsa_user_sgpr_dispatch_ptr 0
		.amdhsa_user_sgpr_queue_ptr 0
		.amdhsa_user_sgpr_kernarg_segment_ptr 1
		.amdhsa_user_sgpr_dispatch_id 0
		.amdhsa_user_sgpr_flat_scratch_init 0
		.amdhsa_user_sgpr_kernarg_preload_length 0
		.amdhsa_user_sgpr_kernarg_preload_offset 0
		.amdhsa_user_sgpr_private_segment_size 0
		.amdhsa_uses_dynamic_stack 0
		.amdhsa_system_sgpr_private_segment_wavefront_offset 0
		.amdhsa_system_sgpr_workgroup_id_x 1
		.amdhsa_system_sgpr_workgroup_id_y 0
		.amdhsa_system_sgpr_workgroup_id_z 0
		.amdhsa_system_sgpr_workgroup_info 0
		.amdhsa_system_vgpr_workitem_id 0
		.amdhsa_next_free_vgpr 1
		.amdhsa_next_free_sgpr 0
		.amdhsa_accum_offset 4
		.amdhsa_reserve_vcc 0
		.amdhsa_reserve_flat_scratch 0
		.amdhsa_float_round_mode_32 0
		.amdhsa_float_round_mode_16_64 0
		.amdhsa_float_denorm_mode_32 3
		.amdhsa_float_denorm_mode_16_64 3
		.amdhsa_dx10_clamp 1
		.amdhsa_ieee_mode 1
		.amdhsa_fp16_overflow 0
		.amdhsa_tg_split 0
		.amdhsa_exception_fp_ieee_invalid_op 0
		.amdhsa_exception_fp_denorm_src 0
		.amdhsa_exception_fp_ieee_div_zero 0
		.amdhsa_exception_fp_ieee_overflow 0
		.amdhsa_exception_fp_ieee_underflow 0
		.amdhsa_exception_fp_ieee_inexact 0
		.amdhsa_exception_int_div_zero 0
	.end_amdhsa_kernel
	.section	.text._ZN7rocprim17ROCPRIM_400000_NS6detail17trampoline_kernelINS0_14default_configENS1_25partition_config_selectorILNS1_17partition_subalgoE0EtNS0_10empty_typeEbEEZZNS1_14partition_implILS5_0ELb0ES3_jN6thrust23THRUST_200600_302600_NS6detail15normal_iteratorINSA_10device_ptrItEEEEPS6_SG_NS0_5tupleIJNSA_16discard_iteratorINSA_11use_defaultEEESF_EEENSH_IJSG_SG_EEES6_PlJ7is_evenItEEEE10hipError_tPvRmT3_T4_T5_T6_T7_T9_mT8_P12ihipStream_tbDpT10_ENKUlT_T0_E_clISt17integral_constantIbLb1EES18_IbLb0EEEEDaS14_S15_EUlS14_E_NS1_11comp_targetILNS1_3genE2ELNS1_11target_archE906ELNS1_3gpuE6ELNS1_3repE0EEENS1_30default_config_static_selectorELNS0_4arch9wavefront6targetE1EEEvT1_,"axG",@progbits,_ZN7rocprim17ROCPRIM_400000_NS6detail17trampoline_kernelINS0_14default_configENS1_25partition_config_selectorILNS1_17partition_subalgoE0EtNS0_10empty_typeEbEEZZNS1_14partition_implILS5_0ELb0ES3_jN6thrust23THRUST_200600_302600_NS6detail15normal_iteratorINSA_10device_ptrItEEEEPS6_SG_NS0_5tupleIJNSA_16discard_iteratorINSA_11use_defaultEEESF_EEENSH_IJSG_SG_EEES6_PlJ7is_evenItEEEE10hipError_tPvRmT3_T4_T5_T6_T7_T9_mT8_P12ihipStream_tbDpT10_ENKUlT_T0_E_clISt17integral_constantIbLb1EES18_IbLb0EEEEDaS14_S15_EUlS14_E_NS1_11comp_targetILNS1_3genE2ELNS1_11target_archE906ELNS1_3gpuE6ELNS1_3repE0EEENS1_30default_config_static_selectorELNS0_4arch9wavefront6targetE1EEEvT1_,comdat
.Lfunc_end2575:
	.size	_ZN7rocprim17ROCPRIM_400000_NS6detail17trampoline_kernelINS0_14default_configENS1_25partition_config_selectorILNS1_17partition_subalgoE0EtNS0_10empty_typeEbEEZZNS1_14partition_implILS5_0ELb0ES3_jN6thrust23THRUST_200600_302600_NS6detail15normal_iteratorINSA_10device_ptrItEEEEPS6_SG_NS0_5tupleIJNSA_16discard_iteratorINSA_11use_defaultEEESF_EEENSH_IJSG_SG_EEES6_PlJ7is_evenItEEEE10hipError_tPvRmT3_T4_T5_T6_T7_T9_mT8_P12ihipStream_tbDpT10_ENKUlT_T0_E_clISt17integral_constantIbLb1EES18_IbLb0EEEEDaS14_S15_EUlS14_E_NS1_11comp_targetILNS1_3genE2ELNS1_11target_archE906ELNS1_3gpuE6ELNS1_3repE0EEENS1_30default_config_static_selectorELNS0_4arch9wavefront6targetE1EEEvT1_, .Lfunc_end2575-_ZN7rocprim17ROCPRIM_400000_NS6detail17trampoline_kernelINS0_14default_configENS1_25partition_config_selectorILNS1_17partition_subalgoE0EtNS0_10empty_typeEbEEZZNS1_14partition_implILS5_0ELb0ES3_jN6thrust23THRUST_200600_302600_NS6detail15normal_iteratorINSA_10device_ptrItEEEEPS6_SG_NS0_5tupleIJNSA_16discard_iteratorINSA_11use_defaultEEESF_EEENSH_IJSG_SG_EEES6_PlJ7is_evenItEEEE10hipError_tPvRmT3_T4_T5_T6_T7_T9_mT8_P12ihipStream_tbDpT10_ENKUlT_T0_E_clISt17integral_constantIbLb1EES18_IbLb0EEEEDaS14_S15_EUlS14_E_NS1_11comp_targetILNS1_3genE2ELNS1_11target_archE906ELNS1_3gpuE6ELNS1_3repE0EEENS1_30default_config_static_selectorELNS0_4arch9wavefront6targetE1EEEvT1_
                                        ; -- End function
	.section	.AMDGPU.csdata,"",@progbits
; Kernel info:
; codeLenInByte = 0
; NumSgprs: 4
; NumVgprs: 0
; NumAgprs: 0
; TotalNumVgprs: 0
; ScratchSize: 0
; MemoryBound: 0
; FloatMode: 240
; IeeeMode: 1
; LDSByteSize: 0 bytes/workgroup (compile time only)
; SGPRBlocks: 0
; VGPRBlocks: 0
; NumSGPRsForWavesPerEU: 4
; NumVGPRsForWavesPerEU: 1
; AccumOffset: 4
; Occupancy: 8
; WaveLimiterHint : 0
; COMPUTE_PGM_RSRC2:SCRATCH_EN: 0
; COMPUTE_PGM_RSRC2:USER_SGPR: 6
; COMPUTE_PGM_RSRC2:TRAP_HANDLER: 0
; COMPUTE_PGM_RSRC2:TGID_X_EN: 1
; COMPUTE_PGM_RSRC2:TGID_Y_EN: 0
; COMPUTE_PGM_RSRC2:TGID_Z_EN: 0
; COMPUTE_PGM_RSRC2:TIDIG_COMP_CNT: 0
; COMPUTE_PGM_RSRC3_GFX90A:ACCUM_OFFSET: 0
; COMPUTE_PGM_RSRC3_GFX90A:TG_SPLIT: 0
	.section	.text._ZN7rocprim17ROCPRIM_400000_NS6detail17trampoline_kernelINS0_14default_configENS1_25partition_config_selectorILNS1_17partition_subalgoE0EtNS0_10empty_typeEbEEZZNS1_14partition_implILS5_0ELb0ES3_jN6thrust23THRUST_200600_302600_NS6detail15normal_iteratorINSA_10device_ptrItEEEEPS6_SG_NS0_5tupleIJNSA_16discard_iteratorINSA_11use_defaultEEESF_EEENSH_IJSG_SG_EEES6_PlJ7is_evenItEEEE10hipError_tPvRmT3_T4_T5_T6_T7_T9_mT8_P12ihipStream_tbDpT10_ENKUlT_T0_E_clISt17integral_constantIbLb1EES18_IbLb0EEEEDaS14_S15_EUlS14_E_NS1_11comp_targetILNS1_3genE10ELNS1_11target_archE1200ELNS1_3gpuE4ELNS1_3repE0EEENS1_30default_config_static_selectorELNS0_4arch9wavefront6targetE1EEEvT1_,"axG",@progbits,_ZN7rocprim17ROCPRIM_400000_NS6detail17trampoline_kernelINS0_14default_configENS1_25partition_config_selectorILNS1_17partition_subalgoE0EtNS0_10empty_typeEbEEZZNS1_14partition_implILS5_0ELb0ES3_jN6thrust23THRUST_200600_302600_NS6detail15normal_iteratorINSA_10device_ptrItEEEEPS6_SG_NS0_5tupleIJNSA_16discard_iteratorINSA_11use_defaultEEESF_EEENSH_IJSG_SG_EEES6_PlJ7is_evenItEEEE10hipError_tPvRmT3_T4_T5_T6_T7_T9_mT8_P12ihipStream_tbDpT10_ENKUlT_T0_E_clISt17integral_constantIbLb1EES18_IbLb0EEEEDaS14_S15_EUlS14_E_NS1_11comp_targetILNS1_3genE10ELNS1_11target_archE1200ELNS1_3gpuE4ELNS1_3repE0EEENS1_30default_config_static_selectorELNS0_4arch9wavefront6targetE1EEEvT1_,comdat
	.protected	_ZN7rocprim17ROCPRIM_400000_NS6detail17trampoline_kernelINS0_14default_configENS1_25partition_config_selectorILNS1_17partition_subalgoE0EtNS0_10empty_typeEbEEZZNS1_14partition_implILS5_0ELb0ES3_jN6thrust23THRUST_200600_302600_NS6detail15normal_iteratorINSA_10device_ptrItEEEEPS6_SG_NS0_5tupleIJNSA_16discard_iteratorINSA_11use_defaultEEESF_EEENSH_IJSG_SG_EEES6_PlJ7is_evenItEEEE10hipError_tPvRmT3_T4_T5_T6_T7_T9_mT8_P12ihipStream_tbDpT10_ENKUlT_T0_E_clISt17integral_constantIbLb1EES18_IbLb0EEEEDaS14_S15_EUlS14_E_NS1_11comp_targetILNS1_3genE10ELNS1_11target_archE1200ELNS1_3gpuE4ELNS1_3repE0EEENS1_30default_config_static_selectorELNS0_4arch9wavefront6targetE1EEEvT1_ ; -- Begin function _ZN7rocprim17ROCPRIM_400000_NS6detail17trampoline_kernelINS0_14default_configENS1_25partition_config_selectorILNS1_17partition_subalgoE0EtNS0_10empty_typeEbEEZZNS1_14partition_implILS5_0ELb0ES3_jN6thrust23THRUST_200600_302600_NS6detail15normal_iteratorINSA_10device_ptrItEEEEPS6_SG_NS0_5tupleIJNSA_16discard_iteratorINSA_11use_defaultEEESF_EEENSH_IJSG_SG_EEES6_PlJ7is_evenItEEEE10hipError_tPvRmT3_T4_T5_T6_T7_T9_mT8_P12ihipStream_tbDpT10_ENKUlT_T0_E_clISt17integral_constantIbLb1EES18_IbLb0EEEEDaS14_S15_EUlS14_E_NS1_11comp_targetILNS1_3genE10ELNS1_11target_archE1200ELNS1_3gpuE4ELNS1_3repE0EEENS1_30default_config_static_selectorELNS0_4arch9wavefront6targetE1EEEvT1_
	.globl	_ZN7rocprim17ROCPRIM_400000_NS6detail17trampoline_kernelINS0_14default_configENS1_25partition_config_selectorILNS1_17partition_subalgoE0EtNS0_10empty_typeEbEEZZNS1_14partition_implILS5_0ELb0ES3_jN6thrust23THRUST_200600_302600_NS6detail15normal_iteratorINSA_10device_ptrItEEEEPS6_SG_NS0_5tupleIJNSA_16discard_iteratorINSA_11use_defaultEEESF_EEENSH_IJSG_SG_EEES6_PlJ7is_evenItEEEE10hipError_tPvRmT3_T4_T5_T6_T7_T9_mT8_P12ihipStream_tbDpT10_ENKUlT_T0_E_clISt17integral_constantIbLb1EES18_IbLb0EEEEDaS14_S15_EUlS14_E_NS1_11comp_targetILNS1_3genE10ELNS1_11target_archE1200ELNS1_3gpuE4ELNS1_3repE0EEENS1_30default_config_static_selectorELNS0_4arch9wavefront6targetE1EEEvT1_
	.p2align	8
	.type	_ZN7rocprim17ROCPRIM_400000_NS6detail17trampoline_kernelINS0_14default_configENS1_25partition_config_selectorILNS1_17partition_subalgoE0EtNS0_10empty_typeEbEEZZNS1_14partition_implILS5_0ELb0ES3_jN6thrust23THRUST_200600_302600_NS6detail15normal_iteratorINSA_10device_ptrItEEEEPS6_SG_NS0_5tupleIJNSA_16discard_iteratorINSA_11use_defaultEEESF_EEENSH_IJSG_SG_EEES6_PlJ7is_evenItEEEE10hipError_tPvRmT3_T4_T5_T6_T7_T9_mT8_P12ihipStream_tbDpT10_ENKUlT_T0_E_clISt17integral_constantIbLb1EES18_IbLb0EEEEDaS14_S15_EUlS14_E_NS1_11comp_targetILNS1_3genE10ELNS1_11target_archE1200ELNS1_3gpuE4ELNS1_3repE0EEENS1_30default_config_static_selectorELNS0_4arch9wavefront6targetE1EEEvT1_,@function
_ZN7rocprim17ROCPRIM_400000_NS6detail17trampoline_kernelINS0_14default_configENS1_25partition_config_selectorILNS1_17partition_subalgoE0EtNS0_10empty_typeEbEEZZNS1_14partition_implILS5_0ELb0ES3_jN6thrust23THRUST_200600_302600_NS6detail15normal_iteratorINSA_10device_ptrItEEEEPS6_SG_NS0_5tupleIJNSA_16discard_iteratorINSA_11use_defaultEEESF_EEENSH_IJSG_SG_EEES6_PlJ7is_evenItEEEE10hipError_tPvRmT3_T4_T5_T6_T7_T9_mT8_P12ihipStream_tbDpT10_ENKUlT_T0_E_clISt17integral_constantIbLb1EES18_IbLb0EEEEDaS14_S15_EUlS14_E_NS1_11comp_targetILNS1_3genE10ELNS1_11target_archE1200ELNS1_3gpuE4ELNS1_3repE0EEENS1_30default_config_static_selectorELNS0_4arch9wavefront6targetE1EEEvT1_: ; @_ZN7rocprim17ROCPRIM_400000_NS6detail17trampoline_kernelINS0_14default_configENS1_25partition_config_selectorILNS1_17partition_subalgoE0EtNS0_10empty_typeEbEEZZNS1_14partition_implILS5_0ELb0ES3_jN6thrust23THRUST_200600_302600_NS6detail15normal_iteratorINSA_10device_ptrItEEEEPS6_SG_NS0_5tupleIJNSA_16discard_iteratorINSA_11use_defaultEEESF_EEENSH_IJSG_SG_EEES6_PlJ7is_evenItEEEE10hipError_tPvRmT3_T4_T5_T6_T7_T9_mT8_P12ihipStream_tbDpT10_ENKUlT_T0_E_clISt17integral_constantIbLb1EES18_IbLb0EEEEDaS14_S15_EUlS14_E_NS1_11comp_targetILNS1_3genE10ELNS1_11target_archE1200ELNS1_3gpuE4ELNS1_3repE0EEENS1_30default_config_static_selectorELNS0_4arch9wavefront6targetE1EEEvT1_
; %bb.0:
	.section	.rodata,"a",@progbits
	.p2align	6, 0x0
	.amdhsa_kernel _ZN7rocprim17ROCPRIM_400000_NS6detail17trampoline_kernelINS0_14default_configENS1_25partition_config_selectorILNS1_17partition_subalgoE0EtNS0_10empty_typeEbEEZZNS1_14partition_implILS5_0ELb0ES3_jN6thrust23THRUST_200600_302600_NS6detail15normal_iteratorINSA_10device_ptrItEEEEPS6_SG_NS0_5tupleIJNSA_16discard_iteratorINSA_11use_defaultEEESF_EEENSH_IJSG_SG_EEES6_PlJ7is_evenItEEEE10hipError_tPvRmT3_T4_T5_T6_T7_T9_mT8_P12ihipStream_tbDpT10_ENKUlT_T0_E_clISt17integral_constantIbLb1EES18_IbLb0EEEEDaS14_S15_EUlS14_E_NS1_11comp_targetILNS1_3genE10ELNS1_11target_archE1200ELNS1_3gpuE4ELNS1_3repE0EEENS1_30default_config_static_selectorELNS0_4arch9wavefront6targetE1EEEvT1_
		.amdhsa_group_segment_fixed_size 0
		.amdhsa_private_segment_fixed_size 0
		.amdhsa_kernarg_size 128
		.amdhsa_user_sgpr_count 6
		.amdhsa_user_sgpr_private_segment_buffer 1
		.amdhsa_user_sgpr_dispatch_ptr 0
		.amdhsa_user_sgpr_queue_ptr 0
		.amdhsa_user_sgpr_kernarg_segment_ptr 1
		.amdhsa_user_sgpr_dispatch_id 0
		.amdhsa_user_sgpr_flat_scratch_init 0
		.amdhsa_user_sgpr_kernarg_preload_length 0
		.amdhsa_user_sgpr_kernarg_preload_offset 0
		.amdhsa_user_sgpr_private_segment_size 0
		.amdhsa_uses_dynamic_stack 0
		.amdhsa_system_sgpr_private_segment_wavefront_offset 0
		.amdhsa_system_sgpr_workgroup_id_x 1
		.amdhsa_system_sgpr_workgroup_id_y 0
		.amdhsa_system_sgpr_workgroup_id_z 0
		.amdhsa_system_sgpr_workgroup_info 0
		.amdhsa_system_vgpr_workitem_id 0
		.amdhsa_next_free_vgpr 1
		.amdhsa_next_free_sgpr 0
		.amdhsa_accum_offset 4
		.amdhsa_reserve_vcc 0
		.amdhsa_reserve_flat_scratch 0
		.amdhsa_float_round_mode_32 0
		.amdhsa_float_round_mode_16_64 0
		.amdhsa_float_denorm_mode_32 3
		.amdhsa_float_denorm_mode_16_64 3
		.amdhsa_dx10_clamp 1
		.amdhsa_ieee_mode 1
		.amdhsa_fp16_overflow 0
		.amdhsa_tg_split 0
		.amdhsa_exception_fp_ieee_invalid_op 0
		.amdhsa_exception_fp_denorm_src 0
		.amdhsa_exception_fp_ieee_div_zero 0
		.amdhsa_exception_fp_ieee_overflow 0
		.amdhsa_exception_fp_ieee_underflow 0
		.amdhsa_exception_fp_ieee_inexact 0
		.amdhsa_exception_int_div_zero 0
	.end_amdhsa_kernel
	.section	.text._ZN7rocprim17ROCPRIM_400000_NS6detail17trampoline_kernelINS0_14default_configENS1_25partition_config_selectorILNS1_17partition_subalgoE0EtNS0_10empty_typeEbEEZZNS1_14partition_implILS5_0ELb0ES3_jN6thrust23THRUST_200600_302600_NS6detail15normal_iteratorINSA_10device_ptrItEEEEPS6_SG_NS0_5tupleIJNSA_16discard_iteratorINSA_11use_defaultEEESF_EEENSH_IJSG_SG_EEES6_PlJ7is_evenItEEEE10hipError_tPvRmT3_T4_T5_T6_T7_T9_mT8_P12ihipStream_tbDpT10_ENKUlT_T0_E_clISt17integral_constantIbLb1EES18_IbLb0EEEEDaS14_S15_EUlS14_E_NS1_11comp_targetILNS1_3genE10ELNS1_11target_archE1200ELNS1_3gpuE4ELNS1_3repE0EEENS1_30default_config_static_selectorELNS0_4arch9wavefront6targetE1EEEvT1_,"axG",@progbits,_ZN7rocprim17ROCPRIM_400000_NS6detail17trampoline_kernelINS0_14default_configENS1_25partition_config_selectorILNS1_17partition_subalgoE0EtNS0_10empty_typeEbEEZZNS1_14partition_implILS5_0ELb0ES3_jN6thrust23THRUST_200600_302600_NS6detail15normal_iteratorINSA_10device_ptrItEEEEPS6_SG_NS0_5tupleIJNSA_16discard_iteratorINSA_11use_defaultEEESF_EEENSH_IJSG_SG_EEES6_PlJ7is_evenItEEEE10hipError_tPvRmT3_T4_T5_T6_T7_T9_mT8_P12ihipStream_tbDpT10_ENKUlT_T0_E_clISt17integral_constantIbLb1EES18_IbLb0EEEEDaS14_S15_EUlS14_E_NS1_11comp_targetILNS1_3genE10ELNS1_11target_archE1200ELNS1_3gpuE4ELNS1_3repE0EEENS1_30default_config_static_selectorELNS0_4arch9wavefront6targetE1EEEvT1_,comdat
.Lfunc_end2576:
	.size	_ZN7rocprim17ROCPRIM_400000_NS6detail17trampoline_kernelINS0_14default_configENS1_25partition_config_selectorILNS1_17partition_subalgoE0EtNS0_10empty_typeEbEEZZNS1_14partition_implILS5_0ELb0ES3_jN6thrust23THRUST_200600_302600_NS6detail15normal_iteratorINSA_10device_ptrItEEEEPS6_SG_NS0_5tupleIJNSA_16discard_iteratorINSA_11use_defaultEEESF_EEENSH_IJSG_SG_EEES6_PlJ7is_evenItEEEE10hipError_tPvRmT3_T4_T5_T6_T7_T9_mT8_P12ihipStream_tbDpT10_ENKUlT_T0_E_clISt17integral_constantIbLb1EES18_IbLb0EEEEDaS14_S15_EUlS14_E_NS1_11comp_targetILNS1_3genE10ELNS1_11target_archE1200ELNS1_3gpuE4ELNS1_3repE0EEENS1_30default_config_static_selectorELNS0_4arch9wavefront6targetE1EEEvT1_, .Lfunc_end2576-_ZN7rocprim17ROCPRIM_400000_NS6detail17trampoline_kernelINS0_14default_configENS1_25partition_config_selectorILNS1_17partition_subalgoE0EtNS0_10empty_typeEbEEZZNS1_14partition_implILS5_0ELb0ES3_jN6thrust23THRUST_200600_302600_NS6detail15normal_iteratorINSA_10device_ptrItEEEEPS6_SG_NS0_5tupleIJNSA_16discard_iteratorINSA_11use_defaultEEESF_EEENSH_IJSG_SG_EEES6_PlJ7is_evenItEEEE10hipError_tPvRmT3_T4_T5_T6_T7_T9_mT8_P12ihipStream_tbDpT10_ENKUlT_T0_E_clISt17integral_constantIbLb1EES18_IbLb0EEEEDaS14_S15_EUlS14_E_NS1_11comp_targetILNS1_3genE10ELNS1_11target_archE1200ELNS1_3gpuE4ELNS1_3repE0EEENS1_30default_config_static_selectorELNS0_4arch9wavefront6targetE1EEEvT1_
                                        ; -- End function
	.section	.AMDGPU.csdata,"",@progbits
; Kernel info:
; codeLenInByte = 0
; NumSgprs: 4
; NumVgprs: 0
; NumAgprs: 0
; TotalNumVgprs: 0
; ScratchSize: 0
; MemoryBound: 0
; FloatMode: 240
; IeeeMode: 1
; LDSByteSize: 0 bytes/workgroup (compile time only)
; SGPRBlocks: 0
; VGPRBlocks: 0
; NumSGPRsForWavesPerEU: 4
; NumVGPRsForWavesPerEU: 1
; AccumOffset: 4
; Occupancy: 8
; WaveLimiterHint : 0
; COMPUTE_PGM_RSRC2:SCRATCH_EN: 0
; COMPUTE_PGM_RSRC2:USER_SGPR: 6
; COMPUTE_PGM_RSRC2:TRAP_HANDLER: 0
; COMPUTE_PGM_RSRC2:TGID_X_EN: 1
; COMPUTE_PGM_RSRC2:TGID_Y_EN: 0
; COMPUTE_PGM_RSRC2:TGID_Z_EN: 0
; COMPUTE_PGM_RSRC2:TIDIG_COMP_CNT: 0
; COMPUTE_PGM_RSRC3_GFX90A:ACCUM_OFFSET: 0
; COMPUTE_PGM_RSRC3_GFX90A:TG_SPLIT: 0
	.section	.text._ZN7rocprim17ROCPRIM_400000_NS6detail17trampoline_kernelINS0_14default_configENS1_25partition_config_selectorILNS1_17partition_subalgoE0EtNS0_10empty_typeEbEEZZNS1_14partition_implILS5_0ELb0ES3_jN6thrust23THRUST_200600_302600_NS6detail15normal_iteratorINSA_10device_ptrItEEEEPS6_SG_NS0_5tupleIJNSA_16discard_iteratorINSA_11use_defaultEEESF_EEENSH_IJSG_SG_EEES6_PlJ7is_evenItEEEE10hipError_tPvRmT3_T4_T5_T6_T7_T9_mT8_P12ihipStream_tbDpT10_ENKUlT_T0_E_clISt17integral_constantIbLb1EES18_IbLb0EEEEDaS14_S15_EUlS14_E_NS1_11comp_targetILNS1_3genE9ELNS1_11target_archE1100ELNS1_3gpuE3ELNS1_3repE0EEENS1_30default_config_static_selectorELNS0_4arch9wavefront6targetE1EEEvT1_,"axG",@progbits,_ZN7rocprim17ROCPRIM_400000_NS6detail17trampoline_kernelINS0_14default_configENS1_25partition_config_selectorILNS1_17partition_subalgoE0EtNS0_10empty_typeEbEEZZNS1_14partition_implILS5_0ELb0ES3_jN6thrust23THRUST_200600_302600_NS6detail15normal_iteratorINSA_10device_ptrItEEEEPS6_SG_NS0_5tupleIJNSA_16discard_iteratorINSA_11use_defaultEEESF_EEENSH_IJSG_SG_EEES6_PlJ7is_evenItEEEE10hipError_tPvRmT3_T4_T5_T6_T7_T9_mT8_P12ihipStream_tbDpT10_ENKUlT_T0_E_clISt17integral_constantIbLb1EES18_IbLb0EEEEDaS14_S15_EUlS14_E_NS1_11comp_targetILNS1_3genE9ELNS1_11target_archE1100ELNS1_3gpuE3ELNS1_3repE0EEENS1_30default_config_static_selectorELNS0_4arch9wavefront6targetE1EEEvT1_,comdat
	.protected	_ZN7rocprim17ROCPRIM_400000_NS6detail17trampoline_kernelINS0_14default_configENS1_25partition_config_selectorILNS1_17partition_subalgoE0EtNS0_10empty_typeEbEEZZNS1_14partition_implILS5_0ELb0ES3_jN6thrust23THRUST_200600_302600_NS6detail15normal_iteratorINSA_10device_ptrItEEEEPS6_SG_NS0_5tupleIJNSA_16discard_iteratorINSA_11use_defaultEEESF_EEENSH_IJSG_SG_EEES6_PlJ7is_evenItEEEE10hipError_tPvRmT3_T4_T5_T6_T7_T9_mT8_P12ihipStream_tbDpT10_ENKUlT_T0_E_clISt17integral_constantIbLb1EES18_IbLb0EEEEDaS14_S15_EUlS14_E_NS1_11comp_targetILNS1_3genE9ELNS1_11target_archE1100ELNS1_3gpuE3ELNS1_3repE0EEENS1_30default_config_static_selectorELNS0_4arch9wavefront6targetE1EEEvT1_ ; -- Begin function _ZN7rocprim17ROCPRIM_400000_NS6detail17trampoline_kernelINS0_14default_configENS1_25partition_config_selectorILNS1_17partition_subalgoE0EtNS0_10empty_typeEbEEZZNS1_14partition_implILS5_0ELb0ES3_jN6thrust23THRUST_200600_302600_NS6detail15normal_iteratorINSA_10device_ptrItEEEEPS6_SG_NS0_5tupleIJNSA_16discard_iteratorINSA_11use_defaultEEESF_EEENSH_IJSG_SG_EEES6_PlJ7is_evenItEEEE10hipError_tPvRmT3_T4_T5_T6_T7_T9_mT8_P12ihipStream_tbDpT10_ENKUlT_T0_E_clISt17integral_constantIbLb1EES18_IbLb0EEEEDaS14_S15_EUlS14_E_NS1_11comp_targetILNS1_3genE9ELNS1_11target_archE1100ELNS1_3gpuE3ELNS1_3repE0EEENS1_30default_config_static_selectorELNS0_4arch9wavefront6targetE1EEEvT1_
	.globl	_ZN7rocprim17ROCPRIM_400000_NS6detail17trampoline_kernelINS0_14default_configENS1_25partition_config_selectorILNS1_17partition_subalgoE0EtNS0_10empty_typeEbEEZZNS1_14partition_implILS5_0ELb0ES3_jN6thrust23THRUST_200600_302600_NS6detail15normal_iteratorINSA_10device_ptrItEEEEPS6_SG_NS0_5tupleIJNSA_16discard_iteratorINSA_11use_defaultEEESF_EEENSH_IJSG_SG_EEES6_PlJ7is_evenItEEEE10hipError_tPvRmT3_T4_T5_T6_T7_T9_mT8_P12ihipStream_tbDpT10_ENKUlT_T0_E_clISt17integral_constantIbLb1EES18_IbLb0EEEEDaS14_S15_EUlS14_E_NS1_11comp_targetILNS1_3genE9ELNS1_11target_archE1100ELNS1_3gpuE3ELNS1_3repE0EEENS1_30default_config_static_selectorELNS0_4arch9wavefront6targetE1EEEvT1_
	.p2align	8
	.type	_ZN7rocprim17ROCPRIM_400000_NS6detail17trampoline_kernelINS0_14default_configENS1_25partition_config_selectorILNS1_17partition_subalgoE0EtNS0_10empty_typeEbEEZZNS1_14partition_implILS5_0ELb0ES3_jN6thrust23THRUST_200600_302600_NS6detail15normal_iteratorINSA_10device_ptrItEEEEPS6_SG_NS0_5tupleIJNSA_16discard_iteratorINSA_11use_defaultEEESF_EEENSH_IJSG_SG_EEES6_PlJ7is_evenItEEEE10hipError_tPvRmT3_T4_T5_T6_T7_T9_mT8_P12ihipStream_tbDpT10_ENKUlT_T0_E_clISt17integral_constantIbLb1EES18_IbLb0EEEEDaS14_S15_EUlS14_E_NS1_11comp_targetILNS1_3genE9ELNS1_11target_archE1100ELNS1_3gpuE3ELNS1_3repE0EEENS1_30default_config_static_selectorELNS0_4arch9wavefront6targetE1EEEvT1_,@function
_ZN7rocprim17ROCPRIM_400000_NS6detail17trampoline_kernelINS0_14default_configENS1_25partition_config_selectorILNS1_17partition_subalgoE0EtNS0_10empty_typeEbEEZZNS1_14partition_implILS5_0ELb0ES3_jN6thrust23THRUST_200600_302600_NS6detail15normal_iteratorINSA_10device_ptrItEEEEPS6_SG_NS0_5tupleIJNSA_16discard_iteratorINSA_11use_defaultEEESF_EEENSH_IJSG_SG_EEES6_PlJ7is_evenItEEEE10hipError_tPvRmT3_T4_T5_T6_T7_T9_mT8_P12ihipStream_tbDpT10_ENKUlT_T0_E_clISt17integral_constantIbLb1EES18_IbLb0EEEEDaS14_S15_EUlS14_E_NS1_11comp_targetILNS1_3genE9ELNS1_11target_archE1100ELNS1_3gpuE3ELNS1_3repE0EEENS1_30default_config_static_selectorELNS0_4arch9wavefront6targetE1EEEvT1_: ; @_ZN7rocprim17ROCPRIM_400000_NS6detail17trampoline_kernelINS0_14default_configENS1_25partition_config_selectorILNS1_17partition_subalgoE0EtNS0_10empty_typeEbEEZZNS1_14partition_implILS5_0ELb0ES3_jN6thrust23THRUST_200600_302600_NS6detail15normal_iteratorINSA_10device_ptrItEEEEPS6_SG_NS0_5tupleIJNSA_16discard_iteratorINSA_11use_defaultEEESF_EEENSH_IJSG_SG_EEES6_PlJ7is_evenItEEEE10hipError_tPvRmT3_T4_T5_T6_T7_T9_mT8_P12ihipStream_tbDpT10_ENKUlT_T0_E_clISt17integral_constantIbLb1EES18_IbLb0EEEEDaS14_S15_EUlS14_E_NS1_11comp_targetILNS1_3genE9ELNS1_11target_archE1100ELNS1_3gpuE3ELNS1_3repE0EEENS1_30default_config_static_selectorELNS0_4arch9wavefront6targetE1EEEvT1_
; %bb.0:
	.section	.rodata,"a",@progbits
	.p2align	6, 0x0
	.amdhsa_kernel _ZN7rocprim17ROCPRIM_400000_NS6detail17trampoline_kernelINS0_14default_configENS1_25partition_config_selectorILNS1_17partition_subalgoE0EtNS0_10empty_typeEbEEZZNS1_14partition_implILS5_0ELb0ES3_jN6thrust23THRUST_200600_302600_NS6detail15normal_iteratorINSA_10device_ptrItEEEEPS6_SG_NS0_5tupleIJNSA_16discard_iteratorINSA_11use_defaultEEESF_EEENSH_IJSG_SG_EEES6_PlJ7is_evenItEEEE10hipError_tPvRmT3_T4_T5_T6_T7_T9_mT8_P12ihipStream_tbDpT10_ENKUlT_T0_E_clISt17integral_constantIbLb1EES18_IbLb0EEEEDaS14_S15_EUlS14_E_NS1_11comp_targetILNS1_3genE9ELNS1_11target_archE1100ELNS1_3gpuE3ELNS1_3repE0EEENS1_30default_config_static_selectorELNS0_4arch9wavefront6targetE1EEEvT1_
		.amdhsa_group_segment_fixed_size 0
		.amdhsa_private_segment_fixed_size 0
		.amdhsa_kernarg_size 128
		.amdhsa_user_sgpr_count 6
		.amdhsa_user_sgpr_private_segment_buffer 1
		.amdhsa_user_sgpr_dispatch_ptr 0
		.amdhsa_user_sgpr_queue_ptr 0
		.amdhsa_user_sgpr_kernarg_segment_ptr 1
		.amdhsa_user_sgpr_dispatch_id 0
		.amdhsa_user_sgpr_flat_scratch_init 0
		.amdhsa_user_sgpr_kernarg_preload_length 0
		.amdhsa_user_sgpr_kernarg_preload_offset 0
		.amdhsa_user_sgpr_private_segment_size 0
		.amdhsa_uses_dynamic_stack 0
		.amdhsa_system_sgpr_private_segment_wavefront_offset 0
		.amdhsa_system_sgpr_workgroup_id_x 1
		.amdhsa_system_sgpr_workgroup_id_y 0
		.amdhsa_system_sgpr_workgroup_id_z 0
		.amdhsa_system_sgpr_workgroup_info 0
		.amdhsa_system_vgpr_workitem_id 0
		.amdhsa_next_free_vgpr 1
		.amdhsa_next_free_sgpr 0
		.amdhsa_accum_offset 4
		.amdhsa_reserve_vcc 0
		.amdhsa_reserve_flat_scratch 0
		.amdhsa_float_round_mode_32 0
		.amdhsa_float_round_mode_16_64 0
		.amdhsa_float_denorm_mode_32 3
		.amdhsa_float_denorm_mode_16_64 3
		.amdhsa_dx10_clamp 1
		.amdhsa_ieee_mode 1
		.amdhsa_fp16_overflow 0
		.amdhsa_tg_split 0
		.amdhsa_exception_fp_ieee_invalid_op 0
		.amdhsa_exception_fp_denorm_src 0
		.amdhsa_exception_fp_ieee_div_zero 0
		.amdhsa_exception_fp_ieee_overflow 0
		.amdhsa_exception_fp_ieee_underflow 0
		.amdhsa_exception_fp_ieee_inexact 0
		.amdhsa_exception_int_div_zero 0
	.end_amdhsa_kernel
	.section	.text._ZN7rocprim17ROCPRIM_400000_NS6detail17trampoline_kernelINS0_14default_configENS1_25partition_config_selectorILNS1_17partition_subalgoE0EtNS0_10empty_typeEbEEZZNS1_14partition_implILS5_0ELb0ES3_jN6thrust23THRUST_200600_302600_NS6detail15normal_iteratorINSA_10device_ptrItEEEEPS6_SG_NS0_5tupleIJNSA_16discard_iteratorINSA_11use_defaultEEESF_EEENSH_IJSG_SG_EEES6_PlJ7is_evenItEEEE10hipError_tPvRmT3_T4_T5_T6_T7_T9_mT8_P12ihipStream_tbDpT10_ENKUlT_T0_E_clISt17integral_constantIbLb1EES18_IbLb0EEEEDaS14_S15_EUlS14_E_NS1_11comp_targetILNS1_3genE9ELNS1_11target_archE1100ELNS1_3gpuE3ELNS1_3repE0EEENS1_30default_config_static_selectorELNS0_4arch9wavefront6targetE1EEEvT1_,"axG",@progbits,_ZN7rocprim17ROCPRIM_400000_NS6detail17trampoline_kernelINS0_14default_configENS1_25partition_config_selectorILNS1_17partition_subalgoE0EtNS0_10empty_typeEbEEZZNS1_14partition_implILS5_0ELb0ES3_jN6thrust23THRUST_200600_302600_NS6detail15normal_iteratorINSA_10device_ptrItEEEEPS6_SG_NS0_5tupleIJNSA_16discard_iteratorINSA_11use_defaultEEESF_EEENSH_IJSG_SG_EEES6_PlJ7is_evenItEEEE10hipError_tPvRmT3_T4_T5_T6_T7_T9_mT8_P12ihipStream_tbDpT10_ENKUlT_T0_E_clISt17integral_constantIbLb1EES18_IbLb0EEEEDaS14_S15_EUlS14_E_NS1_11comp_targetILNS1_3genE9ELNS1_11target_archE1100ELNS1_3gpuE3ELNS1_3repE0EEENS1_30default_config_static_selectorELNS0_4arch9wavefront6targetE1EEEvT1_,comdat
.Lfunc_end2577:
	.size	_ZN7rocprim17ROCPRIM_400000_NS6detail17trampoline_kernelINS0_14default_configENS1_25partition_config_selectorILNS1_17partition_subalgoE0EtNS0_10empty_typeEbEEZZNS1_14partition_implILS5_0ELb0ES3_jN6thrust23THRUST_200600_302600_NS6detail15normal_iteratorINSA_10device_ptrItEEEEPS6_SG_NS0_5tupleIJNSA_16discard_iteratorINSA_11use_defaultEEESF_EEENSH_IJSG_SG_EEES6_PlJ7is_evenItEEEE10hipError_tPvRmT3_T4_T5_T6_T7_T9_mT8_P12ihipStream_tbDpT10_ENKUlT_T0_E_clISt17integral_constantIbLb1EES18_IbLb0EEEEDaS14_S15_EUlS14_E_NS1_11comp_targetILNS1_3genE9ELNS1_11target_archE1100ELNS1_3gpuE3ELNS1_3repE0EEENS1_30default_config_static_selectorELNS0_4arch9wavefront6targetE1EEEvT1_, .Lfunc_end2577-_ZN7rocprim17ROCPRIM_400000_NS6detail17trampoline_kernelINS0_14default_configENS1_25partition_config_selectorILNS1_17partition_subalgoE0EtNS0_10empty_typeEbEEZZNS1_14partition_implILS5_0ELb0ES3_jN6thrust23THRUST_200600_302600_NS6detail15normal_iteratorINSA_10device_ptrItEEEEPS6_SG_NS0_5tupleIJNSA_16discard_iteratorINSA_11use_defaultEEESF_EEENSH_IJSG_SG_EEES6_PlJ7is_evenItEEEE10hipError_tPvRmT3_T4_T5_T6_T7_T9_mT8_P12ihipStream_tbDpT10_ENKUlT_T0_E_clISt17integral_constantIbLb1EES18_IbLb0EEEEDaS14_S15_EUlS14_E_NS1_11comp_targetILNS1_3genE9ELNS1_11target_archE1100ELNS1_3gpuE3ELNS1_3repE0EEENS1_30default_config_static_selectorELNS0_4arch9wavefront6targetE1EEEvT1_
                                        ; -- End function
	.section	.AMDGPU.csdata,"",@progbits
; Kernel info:
; codeLenInByte = 0
; NumSgprs: 4
; NumVgprs: 0
; NumAgprs: 0
; TotalNumVgprs: 0
; ScratchSize: 0
; MemoryBound: 0
; FloatMode: 240
; IeeeMode: 1
; LDSByteSize: 0 bytes/workgroup (compile time only)
; SGPRBlocks: 0
; VGPRBlocks: 0
; NumSGPRsForWavesPerEU: 4
; NumVGPRsForWavesPerEU: 1
; AccumOffset: 4
; Occupancy: 8
; WaveLimiterHint : 0
; COMPUTE_PGM_RSRC2:SCRATCH_EN: 0
; COMPUTE_PGM_RSRC2:USER_SGPR: 6
; COMPUTE_PGM_RSRC2:TRAP_HANDLER: 0
; COMPUTE_PGM_RSRC2:TGID_X_EN: 1
; COMPUTE_PGM_RSRC2:TGID_Y_EN: 0
; COMPUTE_PGM_RSRC2:TGID_Z_EN: 0
; COMPUTE_PGM_RSRC2:TIDIG_COMP_CNT: 0
; COMPUTE_PGM_RSRC3_GFX90A:ACCUM_OFFSET: 0
; COMPUTE_PGM_RSRC3_GFX90A:TG_SPLIT: 0
	.section	.text._ZN7rocprim17ROCPRIM_400000_NS6detail17trampoline_kernelINS0_14default_configENS1_25partition_config_selectorILNS1_17partition_subalgoE0EtNS0_10empty_typeEbEEZZNS1_14partition_implILS5_0ELb0ES3_jN6thrust23THRUST_200600_302600_NS6detail15normal_iteratorINSA_10device_ptrItEEEEPS6_SG_NS0_5tupleIJNSA_16discard_iteratorINSA_11use_defaultEEESF_EEENSH_IJSG_SG_EEES6_PlJ7is_evenItEEEE10hipError_tPvRmT3_T4_T5_T6_T7_T9_mT8_P12ihipStream_tbDpT10_ENKUlT_T0_E_clISt17integral_constantIbLb1EES18_IbLb0EEEEDaS14_S15_EUlS14_E_NS1_11comp_targetILNS1_3genE8ELNS1_11target_archE1030ELNS1_3gpuE2ELNS1_3repE0EEENS1_30default_config_static_selectorELNS0_4arch9wavefront6targetE1EEEvT1_,"axG",@progbits,_ZN7rocprim17ROCPRIM_400000_NS6detail17trampoline_kernelINS0_14default_configENS1_25partition_config_selectorILNS1_17partition_subalgoE0EtNS0_10empty_typeEbEEZZNS1_14partition_implILS5_0ELb0ES3_jN6thrust23THRUST_200600_302600_NS6detail15normal_iteratorINSA_10device_ptrItEEEEPS6_SG_NS0_5tupleIJNSA_16discard_iteratorINSA_11use_defaultEEESF_EEENSH_IJSG_SG_EEES6_PlJ7is_evenItEEEE10hipError_tPvRmT3_T4_T5_T6_T7_T9_mT8_P12ihipStream_tbDpT10_ENKUlT_T0_E_clISt17integral_constantIbLb1EES18_IbLb0EEEEDaS14_S15_EUlS14_E_NS1_11comp_targetILNS1_3genE8ELNS1_11target_archE1030ELNS1_3gpuE2ELNS1_3repE0EEENS1_30default_config_static_selectorELNS0_4arch9wavefront6targetE1EEEvT1_,comdat
	.protected	_ZN7rocprim17ROCPRIM_400000_NS6detail17trampoline_kernelINS0_14default_configENS1_25partition_config_selectorILNS1_17partition_subalgoE0EtNS0_10empty_typeEbEEZZNS1_14partition_implILS5_0ELb0ES3_jN6thrust23THRUST_200600_302600_NS6detail15normal_iteratorINSA_10device_ptrItEEEEPS6_SG_NS0_5tupleIJNSA_16discard_iteratorINSA_11use_defaultEEESF_EEENSH_IJSG_SG_EEES6_PlJ7is_evenItEEEE10hipError_tPvRmT3_T4_T5_T6_T7_T9_mT8_P12ihipStream_tbDpT10_ENKUlT_T0_E_clISt17integral_constantIbLb1EES18_IbLb0EEEEDaS14_S15_EUlS14_E_NS1_11comp_targetILNS1_3genE8ELNS1_11target_archE1030ELNS1_3gpuE2ELNS1_3repE0EEENS1_30default_config_static_selectorELNS0_4arch9wavefront6targetE1EEEvT1_ ; -- Begin function _ZN7rocprim17ROCPRIM_400000_NS6detail17trampoline_kernelINS0_14default_configENS1_25partition_config_selectorILNS1_17partition_subalgoE0EtNS0_10empty_typeEbEEZZNS1_14partition_implILS5_0ELb0ES3_jN6thrust23THRUST_200600_302600_NS6detail15normal_iteratorINSA_10device_ptrItEEEEPS6_SG_NS0_5tupleIJNSA_16discard_iteratorINSA_11use_defaultEEESF_EEENSH_IJSG_SG_EEES6_PlJ7is_evenItEEEE10hipError_tPvRmT3_T4_T5_T6_T7_T9_mT8_P12ihipStream_tbDpT10_ENKUlT_T0_E_clISt17integral_constantIbLb1EES18_IbLb0EEEEDaS14_S15_EUlS14_E_NS1_11comp_targetILNS1_3genE8ELNS1_11target_archE1030ELNS1_3gpuE2ELNS1_3repE0EEENS1_30default_config_static_selectorELNS0_4arch9wavefront6targetE1EEEvT1_
	.globl	_ZN7rocprim17ROCPRIM_400000_NS6detail17trampoline_kernelINS0_14default_configENS1_25partition_config_selectorILNS1_17partition_subalgoE0EtNS0_10empty_typeEbEEZZNS1_14partition_implILS5_0ELb0ES3_jN6thrust23THRUST_200600_302600_NS6detail15normal_iteratorINSA_10device_ptrItEEEEPS6_SG_NS0_5tupleIJNSA_16discard_iteratorINSA_11use_defaultEEESF_EEENSH_IJSG_SG_EEES6_PlJ7is_evenItEEEE10hipError_tPvRmT3_T4_T5_T6_T7_T9_mT8_P12ihipStream_tbDpT10_ENKUlT_T0_E_clISt17integral_constantIbLb1EES18_IbLb0EEEEDaS14_S15_EUlS14_E_NS1_11comp_targetILNS1_3genE8ELNS1_11target_archE1030ELNS1_3gpuE2ELNS1_3repE0EEENS1_30default_config_static_selectorELNS0_4arch9wavefront6targetE1EEEvT1_
	.p2align	8
	.type	_ZN7rocprim17ROCPRIM_400000_NS6detail17trampoline_kernelINS0_14default_configENS1_25partition_config_selectorILNS1_17partition_subalgoE0EtNS0_10empty_typeEbEEZZNS1_14partition_implILS5_0ELb0ES3_jN6thrust23THRUST_200600_302600_NS6detail15normal_iteratorINSA_10device_ptrItEEEEPS6_SG_NS0_5tupleIJNSA_16discard_iteratorINSA_11use_defaultEEESF_EEENSH_IJSG_SG_EEES6_PlJ7is_evenItEEEE10hipError_tPvRmT3_T4_T5_T6_T7_T9_mT8_P12ihipStream_tbDpT10_ENKUlT_T0_E_clISt17integral_constantIbLb1EES18_IbLb0EEEEDaS14_S15_EUlS14_E_NS1_11comp_targetILNS1_3genE8ELNS1_11target_archE1030ELNS1_3gpuE2ELNS1_3repE0EEENS1_30default_config_static_selectorELNS0_4arch9wavefront6targetE1EEEvT1_,@function
_ZN7rocprim17ROCPRIM_400000_NS6detail17trampoline_kernelINS0_14default_configENS1_25partition_config_selectorILNS1_17partition_subalgoE0EtNS0_10empty_typeEbEEZZNS1_14partition_implILS5_0ELb0ES3_jN6thrust23THRUST_200600_302600_NS6detail15normal_iteratorINSA_10device_ptrItEEEEPS6_SG_NS0_5tupleIJNSA_16discard_iteratorINSA_11use_defaultEEESF_EEENSH_IJSG_SG_EEES6_PlJ7is_evenItEEEE10hipError_tPvRmT3_T4_T5_T6_T7_T9_mT8_P12ihipStream_tbDpT10_ENKUlT_T0_E_clISt17integral_constantIbLb1EES18_IbLb0EEEEDaS14_S15_EUlS14_E_NS1_11comp_targetILNS1_3genE8ELNS1_11target_archE1030ELNS1_3gpuE2ELNS1_3repE0EEENS1_30default_config_static_selectorELNS0_4arch9wavefront6targetE1EEEvT1_: ; @_ZN7rocprim17ROCPRIM_400000_NS6detail17trampoline_kernelINS0_14default_configENS1_25partition_config_selectorILNS1_17partition_subalgoE0EtNS0_10empty_typeEbEEZZNS1_14partition_implILS5_0ELb0ES3_jN6thrust23THRUST_200600_302600_NS6detail15normal_iteratorINSA_10device_ptrItEEEEPS6_SG_NS0_5tupleIJNSA_16discard_iteratorINSA_11use_defaultEEESF_EEENSH_IJSG_SG_EEES6_PlJ7is_evenItEEEE10hipError_tPvRmT3_T4_T5_T6_T7_T9_mT8_P12ihipStream_tbDpT10_ENKUlT_T0_E_clISt17integral_constantIbLb1EES18_IbLb0EEEEDaS14_S15_EUlS14_E_NS1_11comp_targetILNS1_3genE8ELNS1_11target_archE1030ELNS1_3gpuE2ELNS1_3repE0EEENS1_30default_config_static_selectorELNS0_4arch9wavefront6targetE1EEEvT1_
; %bb.0:
	.section	.rodata,"a",@progbits
	.p2align	6, 0x0
	.amdhsa_kernel _ZN7rocprim17ROCPRIM_400000_NS6detail17trampoline_kernelINS0_14default_configENS1_25partition_config_selectorILNS1_17partition_subalgoE0EtNS0_10empty_typeEbEEZZNS1_14partition_implILS5_0ELb0ES3_jN6thrust23THRUST_200600_302600_NS6detail15normal_iteratorINSA_10device_ptrItEEEEPS6_SG_NS0_5tupleIJNSA_16discard_iteratorINSA_11use_defaultEEESF_EEENSH_IJSG_SG_EEES6_PlJ7is_evenItEEEE10hipError_tPvRmT3_T4_T5_T6_T7_T9_mT8_P12ihipStream_tbDpT10_ENKUlT_T0_E_clISt17integral_constantIbLb1EES18_IbLb0EEEEDaS14_S15_EUlS14_E_NS1_11comp_targetILNS1_3genE8ELNS1_11target_archE1030ELNS1_3gpuE2ELNS1_3repE0EEENS1_30default_config_static_selectorELNS0_4arch9wavefront6targetE1EEEvT1_
		.amdhsa_group_segment_fixed_size 0
		.amdhsa_private_segment_fixed_size 0
		.amdhsa_kernarg_size 128
		.amdhsa_user_sgpr_count 6
		.amdhsa_user_sgpr_private_segment_buffer 1
		.amdhsa_user_sgpr_dispatch_ptr 0
		.amdhsa_user_sgpr_queue_ptr 0
		.amdhsa_user_sgpr_kernarg_segment_ptr 1
		.amdhsa_user_sgpr_dispatch_id 0
		.amdhsa_user_sgpr_flat_scratch_init 0
		.amdhsa_user_sgpr_kernarg_preload_length 0
		.amdhsa_user_sgpr_kernarg_preload_offset 0
		.amdhsa_user_sgpr_private_segment_size 0
		.amdhsa_uses_dynamic_stack 0
		.amdhsa_system_sgpr_private_segment_wavefront_offset 0
		.amdhsa_system_sgpr_workgroup_id_x 1
		.amdhsa_system_sgpr_workgroup_id_y 0
		.amdhsa_system_sgpr_workgroup_id_z 0
		.amdhsa_system_sgpr_workgroup_info 0
		.amdhsa_system_vgpr_workitem_id 0
		.amdhsa_next_free_vgpr 1
		.amdhsa_next_free_sgpr 0
		.amdhsa_accum_offset 4
		.amdhsa_reserve_vcc 0
		.amdhsa_reserve_flat_scratch 0
		.amdhsa_float_round_mode_32 0
		.amdhsa_float_round_mode_16_64 0
		.amdhsa_float_denorm_mode_32 3
		.amdhsa_float_denorm_mode_16_64 3
		.amdhsa_dx10_clamp 1
		.amdhsa_ieee_mode 1
		.amdhsa_fp16_overflow 0
		.amdhsa_tg_split 0
		.amdhsa_exception_fp_ieee_invalid_op 0
		.amdhsa_exception_fp_denorm_src 0
		.amdhsa_exception_fp_ieee_div_zero 0
		.amdhsa_exception_fp_ieee_overflow 0
		.amdhsa_exception_fp_ieee_underflow 0
		.amdhsa_exception_fp_ieee_inexact 0
		.amdhsa_exception_int_div_zero 0
	.end_amdhsa_kernel
	.section	.text._ZN7rocprim17ROCPRIM_400000_NS6detail17trampoline_kernelINS0_14default_configENS1_25partition_config_selectorILNS1_17partition_subalgoE0EtNS0_10empty_typeEbEEZZNS1_14partition_implILS5_0ELb0ES3_jN6thrust23THRUST_200600_302600_NS6detail15normal_iteratorINSA_10device_ptrItEEEEPS6_SG_NS0_5tupleIJNSA_16discard_iteratorINSA_11use_defaultEEESF_EEENSH_IJSG_SG_EEES6_PlJ7is_evenItEEEE10hipError_tPvRmT3_T4_T5_T6_T7_T9_mT8_P12ihipStream_tbDpT10_ENKUlT_T0_E_clISt17integral_constantIbLb1EES18_IbLb0EEEEDaS14_S15_EUlS14_E_NS1_11comp_targetILNS1_3genE8ELNS1_11target_archE1030ELNS1_3gpuE2ELNS1_3repE0EEENS1_30default_config_static_selectorELNS0_4arch9wavefront6targetE1EEEvT1_,"axG",@progbits,_ZN7rocprim17ROCPRIM_400000_NS6detail17trampoline_kernelINS0_14default_configENS1_25partition_config_selectorILNS1_17partition_subalgoE0EtNS0_10empty_typeEbEEZZNS1_14partition_implILS5_0ELb0ES3_jN6thrust23THRUST_200600_302600_NS6detail15normal_iteratorINSA_10device_ptrItEEEEPS6_SG_NS0_5tupleIJNSA_16discard_iteratorINSA_11use_defaultEEESF_EEENSH_IJSG_SG_EEES6_PlJ7is_evenItEEEE10hipError_tPvRmT3_T4_T5_T6_T7_T9_mT8_P12ihipStream_tbDpT10_ENKUlT_T0_E_clISt17integral_constantIbLb1EES18_IbLb0EEEEDaS14_S15_EUlS14_E_NS1_11comp_targetILNS1_3genE8ELNS1_11target_archE1030ELNS1_3gpuE2ELNS1_3repE0EEENS1_30default_config_static_selectorELNS0_4arch9wavefront6targetE1EEEvT1_,comdat
.Lfunc_end2578:
	.size	_ZN7rocprim17ROCPRIM_400000_NS6detail17trampoline_kernelINS0_14default_configENS1_25partition_config_selectorILNS1_17partition_subalgoE0EtNS0_10empty_typeEbEEZZNS1_14partition_implILS5_0ELb0ES3_jN6thrust23THRUST_200600_302600_NS6detail15normal_iteratorINSA_10device_ptrItEEEEPS6_SG_NS0_5tupleIJNSA_16discard_iteratorINSA_11use_defaultEEESF_EEENSH_IJSG_SG_EEES6_PlJ7is_evenItEEEE10hipError_tPvRmT3_T4_T5_T6_T7_T9_mT8_P12ihipStream_tbDpT10_ENKUlT_T0_E_clISt17integral_constantIbLb1EES18_IbLb0EEEEDaS14_S15_EUlS14_E_NS1_11comp_targetILNS1_3genE8ELNS1_11target_archE1030ELNS1_3gpuE2ELNS1_3repE0EEENS1_30default_config_static_selectorELNS0_4arch9wavefront6targetE1EEEvT1_, .Lfunc_end2578-_ZN7rocprim17ROCPRIM_400000_NS6detail17trampoline_kernelINS0_14default_configENS1_25partition_config_selectorILNS1_17partition_subalgoE0EtNS0_10empty_typeEbEEZZNS1_14partition_implILS5_0ELb0ES3_jN6thrust23THRUST_200600_302600_NS6detail15normal_iteratorINSA_10device_ptrItEEEEPS6_SG_NS0_5tupleIJNSA_16discard_iteratorINSA_11use_defaultEEESF_EEENSH_IJSG_SG_EEES6_PlJ7is_evenItEEEE10hipError_tPvRmT3_T4_T5_T6_T7_T9_mT8_P12ihipStream_tbDpT10_ENKUlT_T0_E_clISt17integral_constantIbLb1EES18_IbLb0EEEEDaS14_S15_EUlS14_E_NS1_11comp_targetILNS1_3genE8ELNS1_11target_archE1030ELNS1_3gpuE2ELNS1_3repE0EEENS1_30default_config_static_selectorELNS0_4arch9wavefront6targetE1EEEvT1_
                                        ; -- End function
	.section	.AMDGPU.csdata,"",@progbits
; Kernel info:
; codeLenInByte = 0
; NumSgprs: 4
; NumVgprs: 0
; NumAgprs: 0
; TotalNumVgprs: 0
; ScratchSize: 0
; MemoryBound: 0
; FloatMode: 240
; IeeeMode: 1
; LDSByteSize: 0 bytes/workgroup (compile time only)
; SGPRBlocks: 0
; VGPRBlocks: 0
; NumSGPRsForWavesPerEU: 4
; NumVGPRsForWavesPerEU: 1
; AccumOffset: 4
; Occupancy: 8
; WaveLimiterHint : 0
; COMPUTE_PGM_RSRC2:SCRATCH_EN: 0
; COMPUTE_PGM_RSRC2:USER_SGPR: 6
; COMPUTE_PGM_RSRC2:TRAP_HANDLER: 0
; COMPUTE_PGM_RSRC2:TGID_X_EN: 1
; COMPUTE_PGM_RSRC2:TGID_Y_EN: 0
; COMPUTE_PGM_RSRC2:TGID_Z_EN: 0
; COMPUTE_PGM_RSRC2:TIDIG_COMP_CNT: 0
; COMPUTE_PGM_RSRC3_GFX90A:ACCUM_OFFSET: 0
; COMPUTE_PGM_RSRC3_GFX90A:TG_SPLIT: 0
	.section	.text._ZN7rocprim17ROCPRIM_400000_NS6detail17trampoline_kernelINS0_14default_configENS1_25partition_config_selectorILNS1_17partition_subalgoE0EtNS0_10empty_typeEbEEZZNS1_14partition_implILS5_0ELb0ES3_jN6thrust23THRUST_200600_302600_NS6detail15normal_iteratorINSA_10device_ptrItEEEEPS6_SG_NS0_5tupleIJNSA_16discard_iteratorINSA_11use_defaultEEESF_EEENSH_IJSG_SG_EEES6_PlJ7is_evenItEEEE10hipError_tPvRmT3_T4_T5_T6_T7_T9_mT8_P12ihipStream_tbDpT10_ENKUlT_T0_E_clISt17integral_constantIbLb0EES18_IbLb1EEEEDaS14_S15_EUlS14_E_NS1_11comp_targetILNS1_3genE0ELNS1_11target_archE4294967295ELNS1_3gpuE0ELNS1_3repE0EEENS1_30default_config_static_selectorELNS0_4arch9wavefront6targetE1EEEvT1_,"axG",@progbits,_ZN7rocprim17ROCPRIM_400000_NS6detail17trampoline_kernelINS0_14default_configENS1_25partition_config_selectorILNS1_17partition_subalgoE0EtNS0_10empty_typeEbEEZZNS1_14partition_implILS5_0ELb0ES3_jN6thrust23THRUST_200600_302600_NS6detail15normal_iteratorINSA_10device_ptrItEEEEPS6_SG_NS0_5tupleIJNSA_16discard_iteratorINSA_11use_defaultEEESF_EEENSH_IJSG_SG_EEES6_PlJ7is_evenItEEEE10hipError_tPvRmT3_T4_T5_T6_T7_T9_mT8_P12ihipStream_tbDpT10_ENKUlT_T0_E_clISt17integral_constantIbLb0EES18_IbLb1EEEEDaS14_S15_EUlS14_E_NS1_11comp_targetILNS1_3genE0ELNS1_11target_archE4294967295ELNS1_3gpuE0ELNS1_3repE0EEENS1_30default_config_static_selectorELNS0_4arch9wavefront6targetE1EEEvT1_,comdat
	.protected	_ZN7rocprim17ROCPRIM_400000_NS6detail17trampoline_kernelINS0_14default_configENS1_25partition_config_selectorILNS1_17partition_subalgoE0EtNS0_10empty_typeEbEEZZNS1_14partition_implILS5_0ELb0ES3_jN6thrust23THRUST_200600_302600_NS6detail15normal_iteratorINSA_10device_ptrItEEEEPS6_SG_NS0_5tupleIJNSA_16discard_iteratorINSA_11use_defaultEEESF_EEENSH_IJSG_SG_EEES6_PlJ7is_evenItEEEE10hipError_tPvRmT3_T4_T5_T6_T7_T9_mT8_P12ihipStream_tbDpT10_ENKUlT_T0_E_clISt17integral_constantIbLb0EES18_IbLb1EEEEDaS14_S15_EUlS14_E_NS1_11comp_targetILNS1_3genE0ELNS1_11target_archE4294967295ELNS1_3gpuE0ELNS1_3repE0EEENS1_30default_config_static_selectorELNS0_4arch9wavefront6targetE1EEEvT1_ ; -- Begin function _ZN7rocprim17ROCPRIM_400000_NS6detail17trampoline_kernelINS0_14default_configENS1_25partition_config_selectorILNS1_17partition_subalgoE0EtNS0_10empty_typeEbEEZZNS1_14partition_implILS5_0ELb0ES3_jN6thrust23THRUST_200600_302600_NS6detail15normal_iteratorINSA_10device_ptrItEEEEPS6_SG_NS0_5tupleIJNSA_16discard_iteratorINSA_11use_defaultEEESF_EEENSH_IJSG_SG_EEES6_PlJ7is_evenItEEEE10hipError_tPvRmT3_T4_T5_T6_T7_T9_mT8_P12ihipStream_tbDpT10_ENKUlT_T0_E_clISt17integral_constantIbLb0EES18_IbLb1EEEEDaS14_S15_EUlS14_E_NS1_11comp_targetILNS1_3genE0ELNS1_11target_archE4294967295ELNS1_3gpuE0ELNS1_3repE0EEENS1_30default_config_static_selectorELNS0_4arch9wavefront6targetE1EEEvT1_
	.globl	_ZN7rocprim17ROCPRIM_400000_NS6detail17trampoline_kernelINS0_14default_configENS1_25partition_config_selectorILNS1_17partition_subalgoE0EtNS0_10empty_typeEbEEZZNS1_14partition_implILS5_0ELb0ES3_jN6thrust23THRUST_200600_302600_NS6detail15normal_iteratorINSA_10device_ptrItEEEEPS6_SG_NS0_5tupleIJNSA_16discard_iteratorINSA_11use_defaultEEESF_EEENSH_IJSG_SG_EEES6_PlJ7is_evenItEEEE10hipError_tPvRmT3_T4_T5_T6_T7_T9_mT8_P12ihipStream_tbDpT10_ENKUlT_T0_E_clISt17integral_constantIbLb0EES18_IbLb1EEEEDaS14_S15_EUlS14_E_NS1_11comp_targetILNS1_3genE0ELNS1_11target_archE4294967295ELNS1_3gpuE0ELNS1_3repE0EEENS1_30default_config_static_selectorELNS0_4arch9wavefront6targetE1EEEvT1_
	.p2align	8
	.type	_ZN7rocprim17ROCPRIM_400000_NS6detail17trampoline_kernelINS0_14default_configENS1_25partition_config_selectorILNS1_17partition_subalgoE0EtNS0_10empty_typeEbEEZZNS1_14partition_implILS5_0ELb0ES3_jN6thrust23THRUST_200600_302600_NS6detail15normal_iteratorINSA_10device_ptrItEEEEPS6_SG_NS0_5tupleIJNSA_16discard_iteratorINSA_11use_defaultEEESF_EEENSH_IJSG_SG_EEES6_PlJ7is_evenItEEEE10hipError_tPvRmT3_T4_T5_T6_T7_T9_mT8_P12ihipStream_tbDpT10_ENKUlT_T0_E_clISt17integral_constantIbLb0EES18_IbLb1EEEEDaS14_S15_EUlS14_E_NS1_11comp_targetILNS1_3genE0ELNS1_11target_archE4294967295ELNS1_3gpuE0ELNS1_3repE0EEENS1_30default_config_static_selectorELNS0_4arch9wavefront6targetE1EEEvT1_,@function
_ZN7rocprim17ROCPRIM_400000_NS6detail17trampoline_kernelINS0_14default_configENS1_25partition_config_selectorILNS1_17partition_subalgoE0EtNS0_10empty_typeEbEEZZNS1_14partition_implILS5_0ELb0ES3_jN6thrust23THRUST_200600_302600_NS6detail15normal_iteratorINSA_10device_ptrItEEEEPS6_SG_NS0_5tupleIJNSA_16discard_iteratorINSA_11use_defaultEEESF_EEENSH_IJSG_SG_EEES6_PlJ7is_evenItEEEE10hipError_tPvRmT3_T4_T5_T6_T7_T9_mT8_P12ihipStream_tbDpT10_ENKUlT_T0_E_clISt17integral_constantIbLb0EES18_IbLb1EEEEDaS14_S15_EUlS14_E_NS1_11comp_targetILNS1_3genE0ELNS1_11target_archE4294967295ELNS1_3gpuE0ELNS1_3repE0EEENS1_30default_config_static_selectorELNS0_4arch9wavefront6targetE1EEEvT1_: ; @_ZN7rocprim17ROCPRIM_400000_NS6detail17trampoline_kernelINS0_14default_configENS1_25partition_config_selectorILNS1_17partition_subalgoE0EtNS0_10empty_typeEbEEZZNS1_14partition_implILS5_0ELb0ES3_jN6thrust23THRUST_200600_302600_NS6detail15normal_iteratorINSA_10device_ptrItEEEEPS6_SG_NS0_5tupleIJNSA_16discard_iteratorINSA_11use_defaultEEESF_EEENSH_IJSG_SG_EEES6_PlJ7is_evenItEEEE10hipError_tPvRmT3_T4_T5_T6_T7_T9_mT8_P12ihipStream_tbDpT10_ENKUlT_T0_E_clISt17integral_constantIbLb0EES18_IbLb1EEEEDaS14_S15_EUlS14_E_NS1_11comp_targetILNS1_3genE0ELNS1_11target_archE4294967295ELNS1_3gpuE0ELNS1_3repE0EEENS1_30default_config_static_selectorELNS0_4arch9wavefront6targetE1EEEvT1_
; %bb.0:
	.section	.rodata,"a",@progbits
	.p2align	6, 0x0
	.amdhsa_kernel _ZN7rocprim17ROCPRIM_400000_NS6detail17trampoline_kernelINS0_14default_configENS1_25partition_config_selectorILNS1_17partition_subalgoE0EtNS0_10empty_typeEbEEZZNS1_14partition_implILS5_0ELb0ES3_jN6thrust23THRUST_200600_302600_NS6detail15normal_iteratorINSA_10device_ptrItEEEEPS6_SG_NS0_5tupleIJNSA_16discard_iteratorINSA_11use_defaultEEESF_EEENSH_IJSG_SG_EEES6_PlJ7is_evenItEEEE10hipError_tPvRmT3_T4_T5_T6_T7_T9_mT8_P12ihipStream_tbDpT10_ENKUlT_T0_E_clISt17integral_constantIbLb0EES18_IbLb1EEEEDaS14_S15_EUlS14_E_NS1_11comp_targetILNS1_3genE0ELNS1_11target_archE4294967295ELNS1_3gpuE0ELNS1_3repE0EEENS1_30default_config_static_selectorELNS0_4arch9wavefront6targetE1EEEvT1_
		.amdhsa_group_segment_fixed_size 0
		.amdhsa_private_segment_fixed_size 0
		.amdhsa_kernarg_size 144
		.amdhsa_user_sgpr_count 6
		.amdhsa_user_sgpr_private_segment_buffer 1
		.amdhsa_user_sgpr_dispatch_ptr 0
		.amdhsa_user_sgpr_queue_ptr 0
		.amdhsa_user_sgpr_kernarg_segment_ptr 1
		.amdhsa_user_sgpr_dispatch_id 0
		.amdhsa_user_sgpr_flat_scratch_init 0
		.amdhsa_user_sgpr_kernarg_preload_length 0
		.amdhsa_user_sgpr_kernarg_preload_offset 0
		.amdhsa_user_sgpr_private_segment_size 0
		.amdhsa_uses_dynamic_stack 0
		.amdhsa_system_sgpr_private_segment_wavefront_offset 0
		.amdhsa_system_sgpr_workgroup_id_x 1
		.amdhsa_system_sgpr_workgroup_id_y 0
		.amdhsa_system_sgpr_workgroup_id_z 0
		.amdhsa_system_sgpr_workgroup_info 0
		.amdhsa_system_vgpr_workitem_id 0
		.amdhsa_next_free_vgpr 1
		.amdhsa_next_free_sgpr 0
		.amdhsa_accum_offset 4
		.amdhsa_reserve_vcc 0
		.amdhsa_reserve_flat_scratch 0
		.amdhsa_float_round_mode_32 0
		.amdhsa_float_round_mode_16_64 0
		.amdhsa_float_denorm_mode_32 3
		.amdhsa_float_denorm_mode_16_64 3
		.amdhsa_dx10_clamp 1
		.amdhsa_ieee_mode 1
		.amdhsa_fp16_overflow 0
		.amdhsa_tg_split 0
		.amdhsa_exception_fp_ieee_invalid_op 0
		.amdhsa_exception_fp_denorm_src 0
		.amdhsa_exception_fp_ieee_div_zero 0
		.amdhsa_exception_fp_ieee_overflow 0
		.amdhsa_exception_fp_ieee_underflow 0
		.amdhsa_exception_fp_ieee_inexact 0
		.amdhsa_exception_int_div_zero 0
	.end_amdhsa_kernel
	.section	.text._ZN7rocprim17ROCPRIM_400000_NS6detail17trampoline_kernelINS0_14default_configENS1_25partition_config_selectorILNS1_17partition_subalgoE0EtNS0_10empty_typeEbEEZZNS1_14partition_implILS5_0ELb0ES3_jN6thrust23THRUST_200600_302600_NS6detail15normal_iteratorINSA_10device_ptrItEEEEPS6_SG_NS0_5tupleIJNSA_16discard_iteratorINSA_11use_defaultEEESF_EEENSH_IJSG_SG_EEES6_PlJ7is_evenItEEEE10hipError_tPvRmT3_T4_T5_T6_T7_T9_mT8_P12ihipStream_tbDpT10_ENKUlT_T0_E_clISt17integral_constantIbLb0EES18_IbLb1EEEEDaS14_S15_EUlS14_E_NS1_11comp_targetILNS1_3genE0ELNS1_11target_archE4294967295ELNS1_3gpuE0ELNS1_3repE0EEENS1_30default_config_static_selectorELNS0_4arch9wavefront6targetE1EEEvT1_,"axG",@progbits,_ZN7rocprim17ROCPRIM_400000_NS6detail17trampoline_kernelINS0_14default_configENS1_25partition_config_selectorILNS1_17partition_subalgoE0EtNS0_10empty_typeEbEEZZNS1_14partition_implILS5_0ELb0ES3_jN6thrust23THRUST_200600_302600_NS6detail15normal_iteratorINSA_10device_ptrItEEEEPS6_SG_NS0_5tupleIJNSA_16discard_iteratorINSA_11use_defaultEEESF_EEENSH_IJSG_SG_EEES6_PlJ7is_evenItEEEE10hipError_tPvRmT3_T4_T5_T6_T7_T9_mT8_P12ihipStream_tbDpT10_ENKUlT_T0_E_clISt17integral_constantIbLb0EES18_IbLb1EEEEDaS14_S15_EUlS14_E_NS1_11comp_targetILNS1_3genE0ELNS1_11target_archE4294967295ELNS1_3gpuE0ELNS1_3repE0EEENS1_30default_config_static_selectorELNS0_4arch9wavefront6targetE1EEEvT1_,comdat
.Lfunc_end2579:
	.size	_ZN7rocprim17ROCPRIM_400000_NS6detail17trampoline_kernelINS0_14default_configENS1_25partition_config_selectorILNS1_17partition_subalgoE0EtNS0_10empty_typeEbEEZZNS1_14partition_implILS5_0ELb0ES3_jN6thrust23THRUST_200600_302600_NS6detail15normal_iteratorINSA_10device_ptrItEEEEPS6_SG_NS0_5tupleIJNSA_16discard_iteratorINSA_11use_defaultEEESF_EEENSH_IJSG_SG_EEES6_PlJ7is_evenItEEEE10hipError_tPvRmT3_T4_T5_T6_T7_T9_mT8_P12ihipStream_tbDpT10_ENKUlT_T0_E_clISt17integral_constantIbLb0EES18_IbLb1EEEEDaS14_S15_EUlS14_E_NS1_11comp_targetILNS1_3genE0ELNS1_11target_archE4294967295ELNS1_3gpuE0ELNS1_3repE0EEENS1_30default_config_static_selectorELNS0_4arch9wavefront6targetE1EEEvT1_, .Lfunc_end2579-_ZN7rocprim17ROCPRIM_400000_NS6detail17trampoline_kernelINS0_14default_configENS1_25partition_config_selectorILNS1_17partition_subalgoE0EtNS0_10empty_typeEbEEZZNS1_14partition_implILS5_0ELb0ES3_jN6thrust23THRUST_200600_302600_NS6detail15normal_iteratorINSA_10device_ptrItEEEEPS6_SG_NS0_5tupleIJNSA_16discard_iteratorINSA_11use_defaultEEESF_EEENSH_IJSG_SG_EEES6_PlJ7is_evenItEEEE10hipError_tPvRmT3_T4_T5_T6_T7_T9_mT8_P12ihipStream_tbDpT10_ENKUlT_T0_E_clISt17integral_constantIbLb0EES18_IbLb1EEEEDaS14_S15_EUlS14_E_NS1_11comp_targetILNS1_3genE0ELNS1_11target_archE4294967295ELNS1_3gpuE0ELNS1_3repE0EEENS1_30default_config_static_selectorELNS0_4arch9wavefront6targetE1EEEvT1_
                                        ; -- End function
	.section	.AMDGPU.csdata,"",@progbits
; Kernel info:
; codeLenInByte = 0
; NumSgprs: 4
; NumVgprs: 0
; NumAgprs: 0
; TotalNumVgprs: 0
; ScratchSize: 0
; MemoryBound: 0
; FloatMode: 240
; IeeeMode: 1
; LDSByteSize: 0 bytes/workgroup (compile time only)
; SGPRBlocks: 0
; VGPRBlocks: 0
; NumSGPRsForWavesPerEU: 4
; NumVGPRsForWavesPerEU: 1
; AccumOffset: 4
; Occupancy: 8
; WaveLimiterHint : 0
; COMPUTE_PGM_RSRC2:SCRATCH_EN: 0
; COMPUTE_PGM_RSRC2:USER_SGPR: 6
; COMPUTE_PGM_RSRC2:TRAP_HANDLER: 0
; COMPUTE_PGM_RSRC2:TGID_X_EN: 1
; COMPUTE_PGM_RSRC2:TGID_Y_EN: 0
; COMPUTE_PGM_RSRC2:TGID_Z_EN: 0
; COMPUTE_PGM_RSRC2:TIDIG_COMP_CNT: 0
; COMPUTE_PGM_RSRC3_GFX90A:ACCUM_OFFSET: 0
; COMPUTE_PGM_RSRC3_GFX90A:TG_SPLIT: 0
	.section	.text._ZN7rocprim17ROCPRIM_400000_NS6detail17trampoline_kernelINS0_14default_configENS1_25partition_config_selectorILNS1_17partition_subalgoE0EtNS0_10empty_typeEbEEZZNS1_14partition_implILS5_0ELb0ES3_jN6thrust23THRUST_200600_302600_NS6detail15normal_iteratorINSA_10device_ptrItEEEEPS6_SG_NS0_5tupleIJNSA_16discard_iteratorINSA_11use_defaultEEESF_EEENSH_IJSG_SG_EEES6_PlJ7is_evenItEEEE10hipError_tPvRmT3_T4_T5_T6_T7_T9_mT8_P12ihipStream_tbDpT10_ENKUlT_T0_E_clISt17integral_constantIbLb0EES18_IbLb1EEEEDaS14_S15_EUlS14_E_NS1_11comp_targetILNS1_3genE5ELNS1_11target_archE942ELNS1_3gpuE9ELNS1_3repE0EEENS1_30default_config_static_selectorELNS0_4arch9wavefront6targetE1EEEvT1_,"axG",@progbits,_ZN7rocprim17ROCPRIM_400000_NS6detail17trampoline_kernelINS0_14default_configENS1_25partition_config_selectorILNS1_17partition_subalgoE0EtNS0_10empty_typeEbEEZZNS1_14partition_implILS5_0ELb0ES3_jN6thrust23THRUST_200600_302600_NS6detail15normal_iteratorINSA_10device_ptrItEEEEPS6_SG_NS0_5tupleIJNSA_16discard_iteratorINSA_11use_defaultEEESF_EEENSH_IJSG_SG_EEES6_PlJ7is_evenItEEEE10hipError_tPvRmT3_T4_T5_T6_T7_T9_mT8_P12ihipStream_tbDpT10_ENKUlT_T0_E_clISt17integral_constantIbLb0EES18_IbLb1EEEEDaS14_S15_EUlS14_E_NS1_11comp_targetILNS1_3genE5ELNS1_11target_archE942ELNS1_3gpuE9ELNS1_3repE0EEENS1_30default_config_static_selectorELNS0_4arch9wavefront6targetE1EEEvT1_,comdat
	.protected	_ZN7rocprim17ROCPRIM_400000_NS6detail17trampoline_kernelINS0_14default_configENS1_25partition_config_selectorILNS1_17partition_subalgoE0EtNS0_10empty_typeEbEEZZNS1_14partition_implILS5_0ELb0ES3_jN6thrust23THRUST_200600_302600_NS6detail15normal_iteratorINSA_10device_ptrItEEEEPS6_SG_NS0_5tupleIJNSA_16discard_iteratorINSA_11use_defaultEEESF_EEENSH_IJSG_SG_EEES6_PlJ7is_evenItEEEE10hipError_tPvRmT3_T4_T5_T6_T7_T9_mT8_P12ihipStream_tbDpT10_ENKUlT_T0_E_clISt17integral_constantIbLb0EES18_IbLb1EEEEDaS14_S15_EUlS14_E_NS1_11comp_targetILNS1_3genE5ELNS1_11target_archE942ELNS1_3gpuE9ELNS1_3repE0EEENS1_30default_config_static_selectorELNS0_4arch9wavefront6targetE1EEEvT1_ ; -- Begin function _ZN7rocprim17ROCPRIM_400000_NS6detail17trampoline_kernelINS0_14default_configENS1_25partition_config_selectorILNS1_17partition_subalgoE0EtNS0_10empty_typeEbEEZZNS1_14partition_implILS5_0ELb0ES3_jN6thrust23THRUST_200600_302600_NS6detail15normal_iteratorINSA_10device_ptrItEEEEPS6_SG_NS0_5tupleIJNSA_16discard_iteratorINSA_11use_defaultEEESF_EEENSH_IJSG_SG_EEES6_PlJ7is_evenItEEEE10hipError_tPvRmT3_T4_T5_T6_T7_T9_mT8_P12ihipStream_tbDpT10_ENKUlT_T0_E_clISt17integral_constantIbLb0EES18_IbLb1EEEEDaS14_S15_EUlS14_E_NS1_11comp_targetILNS1_3genE5ELNS1_11target_archE942ELNS1_3gpuE9ELNS1_3repE0EEENS1_30default_config_static_selectorELNS0_4arch9wavefront6targetE1EEEvT1_
	.globl	_ZN7rocprim17ROCPRIM_400000_NS6detail17trampoline_kernelINS0_14default_configENS1_25partition_config_selectorILNS1_17partition_subalgoE0EtNS0_10empty_typeEbEEZZNS1_14partition_implILS5_0ELb0ES3_jN6thrust23THRUST_200600_302600_NS6detail15normal_iteratorINSA_10device_ptrItEEEEPS6_SG_NS0_5tupleIJNSA_16discard_iteratorINSA_11use_defaultEEESF_EEENSH_IJSG_SG_EEES6_PlJ7is_evenItEEEE10hipError_tPvRmT3_T4_T5_T6_T7_T9_mT8_P12ihipStream_tbDpT10_ENKUlT_T0_E_clISt17integral_constantIbLb0EES18_IbLb1EEEEDaS14_S15_EUlS14_E_NS1_11comp_targetILNS1_3genE5ELNS1_11target_archE942ELNS1_3gpuE9ELNS1_3repE0EEENS1_30default_config_static_selectorELNS0_4arch9wavefront6targetE1EEEvT1_
	.p2align	8
	.type	_ZN7rocprim17ROCPRIM_400000_NS6detail17trampoline_kernelINS0_14default_configENS1_25partition_config_selectorILNS1_17partition_subalgoE0EtNS0_10empty_typeEbEEZZNS1_14partition_implILS5_0ELb0ES3_jN6thrust23THRUST_200600_302600_NS6detail15normal_iteratorINSA_10device_ptrItEEEEPS6_SG_NS0_5tupleIJNSA_16discard_iteratorINSA_11use_defaultEEESF_EEENSH_IJSG_SG_EEES6_PlJ7is_evenItEEEE10hipError_tPvRmT3_T4_T5_T6_T7_T9_mT8_P12ihipStream_tbDpT10_ENKUlT_T0_E_clISt17integral_constantIbLb0EES18_IbLb1EEEEDaS14_S15_EUlS14_E_NS1_11comp_targetILNS1_3genE5ELNS1_11target_archE942ELNS1_3gpuE9ELNS1_3repE0EEENS1_30default_config_static_selectorELNS0_4arch9wavefront6targetE1EEEvT1_,@function
_ZN7rocprim17ROCPRIM_400000_NS6detail17trampoline_kernelINS0_14default_configENS1_25partition_config_selectorILNS1_17partition_subalgoE0EtNS0_10empty_typeEbEEZZNS1_14partition_implILS5_0ELb0ES3_jN6thrust23THRUST_200600_302600_NS6detail15normal_iteratorINSA_10device_ptrItEEEEPS6_SG_NS0_5tupleIJNSA_16discard_iteratorINSA_11use_defaultEEESF_EEENSH_IJSG_SG_EEES6_PlJ7is_evenItEEEE10hipError_tPvRmT3_T4_T5_T6_T7_T9_mT8_P12ihipStream_tbDpT10_ENKUlT_T0_E_clISt17integral_constantIbLb0EES18_IbLb1EEEEDaS14_S15_EUlS14_E_NS1_11comp_targetILNS1_3genE5ELNS1_11target_archE942ELNS1_3gpuE9ELNS1_3repE0EEENS1_30default_config_static_selectorELNS0_4arch9wavefront6targetE1EEEvT1_: ; @_ZN7rocprim17ROCPRIM_400000_NS6detail17trampoline_kernelINS0_14default_configENS1_25partition_config_selectorILNS1_17partition_subalgoE0EtNS0_10empty_typeEbEEZZNS1_14partition_implILS5_0ELb0ES3_jN6thrust23THRUST_200600_302600_NS6detail15normal_iteratorINSA_10device_ptrItEEEEPS6_SG_NS0_5tupleIJNSA_16discard_iteratorINSA_11use_defaultEEESF_EEENSH_IJSG_SG_EEES6_PlJ7is_evenItEEEE10hipError_tPvRmT3_T4_T5_T6_T7_T9_mT8_P12ihipStream_tbDpT10_ENKUlT_T0_E_clISt17integral_constantIbLb0EES18_IbLb1EEEEDaS14_S15_EUlS14_E_NS1_11comp_targetILNS1_3genE5ELNS1_11target_archE942ELNS1_3gpuE9ELNS1_3repE0EEENS1_30default_config_static_selectorELNS0_4arch9wavefront6targetE1EEEvT1_
; %bb.0:
	.section	.rodata,"a",@progbits
	.p2align	6, 0x0
	.amdhsa_kernel _ZN7rocprim17ROCPRIM_400000_NS6detail17trampoline_kernelINS0_14default_configENS1_25partition_config_selectorILNS1_17partition_subalgoE0EtNS0_10empty_typeEbEEZZNS1_14partition_implILS5_0ELb0ES3_jN6thrust23THRUST_200600_302600_NS6detail15normal_iteratorINSA_10device_ptrItEEEEPS6_SG_NS0_5tupleIJNSA_16discard_iteratorINSA_11use_defaultEEESF_EEENSH_IJSG_SG_EEES6_PlJ7is_evenItEEEE10hipError_tPvRmT3_T4_T5_T6_T7_T9_mT8_P12ihipStream_tbDpT10_ENKUlT_T0_E_clISt17integral_constantIbLb0EES18_IbLb1EEEEDaS14_S15_EUlS14_E_NS1_11comp_targetILNS1_3genE5ELNS1_11target_archE942ELNS1_3gpuE9ELNS1_3repE0EEENS1_30default_config_static_selectorELNS0_4arch9wavefront6targetE1EEEvT1_
		.amdhsa_group_segment_fixed_size 0
		.amdhsa_private_segment_fixed_size 0
		.amdhsa_kernarg_size 144
		.amdhsa_user_sgpr_count 6
		.amdhsa_user_sgpr_private_segment_buffer 1
		.amdhsa_user_sgpr_dispatch_ptr 0
		.amdhsa_user_sgpr_queue_ptr 0
		.amdhsa_user_sgpr_kernarg_segment_ptr 1
		.amdhsa_user_sgpr_dispatch_id 0
		.amdhsa_user_sgpr_flat_scratch_init 0
		.amdhsa_user_sgpr_kernarg_preload_length 0
		.amdhsa_user_sgpr_kernarg_preload_offset 0
		.amdhsa_user_sgpr_private_segment_size 0
		.amdhsa_uses_dynamic_stack 0
		.amdhsa_system_sgpr_private_segment_wavefront_offset 0
		.amdhsa_system_sgpr_workgroup_id_x 1
		.amdhsa_system_sgpr_workgroup_id_y 0
		.amdhsa_system_sgpr_workgroup_id_z 0
		.amdhsa_system_sgpr_workgroup_info 0
		.amdhsa_system_vgpr_workitem_id 0
		.amdhsa_next_free_vgpr 1
		.amdhsa_next_free_sgpr 0
		.amdhsa_accum_offset 4
		.amdhsa_reserve_vcc 0
		.amdhsa_reserve_flat_scratch 0
		.amdhsa_float_round_mode_32 0
		.amdhsa_float_round_mode_16_64 0
		.amdhsa_float_denorm_mode_32 3
		.amdhsa_float_denorm_mode_16_64 3
		.amdhsa_dx10_clamp 1
		.amdhsa_ieee_mode 1
		.amdhsa_fp16_overflow 0
		.amdhsa_tg_split 0
		.amdhsa_exception_fp_ieee_invalid_op 0
		.amdhsa_exception_fp_denorm_src 0
		.amdhsa_exception_fp_ieee_div_zero 0
		.amdhsa_exception_fp_ieee_overflow 0
		.amdhsa_exception_fp_ieee_underflow 0
		.amdhsa_exception_fp_ieee_inexact 0
		.amdhsa_exception_int_div_zero 0
	.end_amdhsa_kernel
	.section	.text._ZN7rocprim17ROCPRIM_400000_NS6detail17trampoline_kernelINS0_14default_configENS1_25partition_config_selectorILNS1_17partition_subalgoE0EtNS0_10empty_typeEbEEZZNS1_14partition_implILS5_0ELb0ES3_jN6thrust23THRUST_200600_302600_NS6detail15normal_iteratorINSA_10device_ptrItEEEEPS6_SG_NS0_5tupleIJNSA_16discard_iteratorINSA_11use_defaultEEESF_EEENSH_IJSG_SG_EEES6_PlJ7is_evenItEEEE10hipError_tPvRmT3_T4_T5_T6_T7_T9_mT8_P12ihipStream_tbDpT10_ENKUlT_T0_E_clISt17integral_constantIbLb0EES18_IbLb1EEEEDaS14_S15_EUlS14_E_NS1_11comp_targetILNS1_3genE5ELNS1_11target_archE942ELNS1_3gpuE9ELNS1_3repE0EEENS1_30default_config_static_selectorELNS0_4arch9wavefront6targetE1EEEvT1_,"axG",@progbits,_ZN7rocprim17ROCPRIM_400000_NS6detail17trampoline_kernelINS0_14default_configENS1_25partition_config_selectorILNS1_17partition_subalgoE0EtNS0_10empty_typeEbEEZZNS1_14partition_implILS5_0ELb0ES3_jN6thrust23THRUST_200600_302600_NS6detail15normal_iteratorINSA_10device_ptrItEEEEPS6_SG_NS0_5tupleIJNSA_16discard_iteratorINSA_11use_defaultEEESF_EEENSH_IJSG_SG_EEES6_PlJ7is_evenItEEEE10hipError_tPvRmT3_T4_T5_T6_T7_T9_mT8_P12ihipStream_tbDpT10_ENKUlT_T0_E_clISt17integral_constantIbLb0EES18_IbLb1EEEEDaS14_S15_EUlS14_E_NS1_11comp_targetILNS1_3genE5ELNS1_11target_archE942ELNS1_3gpuE9ELNS1_3repE0EEENS1_30default_config_static_selectorELNS0_4arch9wavefront6targetE1EEEvT1_,comdat
.Lfunc_end2580:
	.size	_ZN7rocprim17ROCPRIM_400000_NS6detail17trampoline_kernelINS0_14default_configENS1_25partition_config_selectorILNS1_17partition_subalgoE0EtNS0_10empty_typeEbEEZZNS1_14partition_implILS5_0ELb0ES3_jN6thrust23THRUST_200600_302600_NS6detail15normal_iteratorINSA_10device_ptrItEEEEPS6_SG_NS0_5tupleIJNSA_16discard_iteratorINSA_11use_defaultEEESF_EEENSH_IJSG_SG_EEES6_PlJ7is_evenItEEEE10hipError_tPvRmT3_T4_T5_T6_T7_T9_mT8_P12ihipStream_tbDpT10_ENKUlT_T0_E_clISt17integral_constantIbLb0EES18_IbLb1EEEEDaS14_S15_EUlS14_E_NS1_11comp_targetILNS1_3genE5ELNS1_11target_archE942ELNS1_3gpuE9ELNS1_3repE0EEENS1_30default_config_static_selectorELNS0_4arch9wavefront6targetE1EEEvT1_, .Lfunc_end2580-_ZN7rocprim17ROCPRIM_400000_NS6detail17trampoline_kernelINS0_14default_configENS1_25partition_config_selectorILNS1_17partition_subalgoE0EtNS0_10empty_typeEbEEZZNS1_14partition_implILS5_0ELb0ES3_jN6thrust23THRUST_200600_302600_NS6detail15normal_iteratorINSA_10device_ptrItEEEEPS6_SG_NS0_5tupleIJNSA_16discard_iteratorINSA_11use_defaultEEESF_EEENSH_IJSG_SG_EEES6_PlJ7is_evenItEEEE10hipError_tPvRmT3_T4_T5_T6_T7_T9_mT8_P12ihipStream_tbDpT10_ENKUlT_T0_E_clISt17integral_constantIbLb0EES18_IbLb1EEEEDaS14_S15_EUlS14_E_NS1_11comp_targetILNS1_3genE5ELNS1_11target_archE942ELNS1_3gpuE9ELNS1_3repE0EEENS1_30default_config_static_selectorELNS0_4arch9wavefront6targetE1EEEvT1_
                                        ; -- End function
	.section	.AMDGPU.csdata,"",@progbits
; Kernel info:
; codeLenInByte = 0
; NumSgprs: 4
; NumVgprs: 0
; NumAgprs: 0
; TotalNumVgprs: 0
; ScratchSize: 0
; MemoryBound: 0
; FloatMode: 240
; IeeeMode: 1
; LDSByteSize: 0 bytes/workgroup (compile time only)
; SGPRBlocks: 0
; VGPRBlocks: 0
; NumSGPRsForWavesPerEU: 4
; NumVGPRsForWavesPerEU: 1
; AccumOffset: 4
; Occupancy: 8
; WaveLimiterHint : 0
; COMPUTE_PGM_RSRC2:SCRATCH_EN: 0
; COMPUTE_PGM_RSRC2:USER_SGPR: 6
; COMPUTE_PGM_RSRC2:TRAP_HANDLER: 0
; COMPUTE_PGM_RSRC2:TGID_X_EN: 1
; COMPUTE_PGM_RSRC2:TGID_Y_EN: 0
; COMPUTE_PGM_RSRC2:TGID_Z_EN: 0
; COMPUTE_PGM_RSRC2:TIDIG_COMP_CNT: 0
; COMPUTE_PGM_RSRC3_GFX90A:ACCUM_OFFSET: 0
; COMPUTE_PGM_RSRC3_GFX90A:TG_SPLIT: 0
	.section	.text._ZN7rocprim17ROCPRIM_400000_NS6detail17trampoline_kernelINS0_14default_configENS1_25partition_config_selectorILNS1_17partition_subalgoE0EtNS0_10empty_typeEbEEZZNS1_14partition_implILS5_0ELb0ES3_jN6thrust23THRUST_200600_302600_NS6detail15normal_iteratorINSA_10device_ptrItEEEEPS6_SG_NS0_5tupleIJNSA_16discard_iteratorINSA_11use_defaultEEESF_EEENSH_IJSG_SG_EEES6_PlJ7is_evenItEEEE10hipError_tPvRmT3_T4_T5_T6_T7_T9_mT8_P12ihipStream_tbDpT10_ENKUlT_T0_E_clISt17integral_constantIbLb0EES18_IbLb1EEEEDaS14_S15_EUlS14_E_NS1_11comp_targetILNS1_3genE4ELNS1_11target_archE910ELNS1_3gpuE8ELNS1_3repE0EEENS1_30default_config_static_selectorELNS0_4arch9wavefront6targetE1EEEvT1_,"axG",@progbits,_ZN7rocprim17ROCPRIM_400000_NS6detail17trampoline_kernelINS0_14default_configENS1_25partition_config_selectorILNS1_17partition_subalgoE0EtNS0_10empty_typeEbEEZZNS1_14partition_implILS5_0ELb0ES3_jN6thrust23THRUST_200600_302600_NS6detail15normal_iteratorINSA_10device_ptrItEEEEPS6_SG_NS0_5tupleIJNSA_16discard_iteratorINSA_11use_defaultEEESF_EEENSH_IJSG_SG_EEES6_PlJ7is_evenItEEEE10hipError_tPvRmT3_T4_T5_T6_T7_T9_mT8_P12ihipStream_tbDpT10_ENKUlT_T0_E_clISt17integral_constantIbLb0EES18_IbLb1EEEEDaS14_S15_EUlS14_E_NS1_11comp_targetILNS1_3genE4ELNS1_11target_archE910ELNS1_3gpuE8ELNS1_3repE0EEENS1_30default_config_static_selectorELNS0_4arch9wavefront6targetE1EEEvT1_,comdat
	.protected	_ZN7rocprim17ROCPRIM_400000_NS6detail17trampoline_kernelINS0_14default_configENS1_25partition_config_selectorILNS1_17partition_subalgoE0EtNS0_10empty_typeEbEEZZNS1_14partition_implILS5_0ELb0ES3_jN6thrust23THRUST_200600_302600_NS6detail15normal_iteratorINSA_10device_ptrItEEEEPS6_SG_NS0_5tupleIJNSA_16discard_iteratorINSA_11use_defaultEEESF_EEENSH_IJSG_SG_EEES6_PlJ7is_evenItEEEE10hipError_tPvRmT3_T4_T5_T6_T7_T9_mT8_P12ihipStream_tbDpT10_ENKUlT_T0_E_clISt17integral_constantIbLb0EES18_IbLb1EEEEDaS14_S15_EUlS14_E_NS1_11comp_targetILNS1_3genE4ELNS1_11target_archE910ELNS1_3gpuE8ELNS1_3repE0EEENS1_30default_config_static_selectorELNS0_4arch9wavefront6targetE1EEEvT1_ ; -- Begin function _ZN7rocprim17ROCPRIM_400000_NS6detail17trampoline_kernelINS0_14default_configENS1_25partition_config_selectorILNS1_17partition_subalgoE0EtNS0_10empty_typeEbEEZZNS1_14partition_implILS5_0ELb0ES3_jN6thrust23THRUST_200600_302600_NS6detail15normal_iteratorINSA_10device_ptrItEEEEPS6_SG_NS0_5tupleIJNSA_16discard_iteratorINSA_11use_defaultEEESF_EEENSH_IJSG_SG_EEES6_PlJ7is_evenItEEEE10hipError_tPvRmT3_T4_T5_T6_T7_T9_mT8_P12ihipStream_tbDpT10_ENKUlT_T0_E_clISt17integral_constantIbLb0EES18_IbLb1EEEEDaS14_S15_EUlS14_E_NS1_11comp_targetILNS1_3genE4ELNS1_11target_archE910ELNS1_3gpuE8ELNS1_3repE0EEENS1_30default_config_static_selectorELNS0_4arch9wavefront6targetE1EEEvT1_
	.globl	_ZN7rocprim17ROCPRIM_400000_NS6detail17trampoline_kernelINS0_14default_configENS1_25partition_config_selectorILNS1_17partition_subalgoE0EtNS0_10empty_typeEbEEZZNS1_14partition_implILS5_0ELb0ES3_jN6thrust23THRUST_200600_302600_NS6detail15normal_iteratorINSA_10device_ptrItEEEEPS6_SG_NS0_5tupleIJNSA_16discard_iteratorINSA_11use_defaultEEESF_EEENSH_IJSG_SG_EEES6_PlJ7is_evenItEEEE10hipError_tPvRmT3_T4_T5_T6_T7_T9_mT8_P12ihipStream_tbDpT10_ENKUlT_T0_E_clISt17integral_constantIbLb0EES18_IbLb1EEEEDaS14_S15_EUlS14_E_NS1_11comp_targetILNS1_3genE4ELNS1_11target_archE910ELNS1_3gpuE8ELNS1_3repE0EEENS1_30default_config_static_selectorELNS0_4arch9wavefront6targetE1EEEvT1_
	.p2align	8
	.type	_ZN7rocprim17ROCPRIM_400000_NS6detail17trampoline_kernelINS0_14default_configENS1_25partition_config_selectorILNS1_17partition_subalgoE0EtNS0_10empty_typeEbEEZZNS1_14partition_implILS5_0ELb0ES3_jN6thrust23THRUST_200600_302600_NS6detail15normal_iteratorINSA_10device_ptrItEEEEPS6_SG_NS0_5tupleIJNSA_16discard_iteratorINSA_11use_defaultEEESF_EEENSH_IJSG_SG_EEES6_PlJ7is_evenItEEEE10hipError_tPvRmT3_T4_T5_T6_T7_T9_mT8_P12ihipStream_tbDpT10_ENKUlT_T0_E_clISt17integral_constantIbLb0EES18_IbLb1EEEEDaS14_S15_EUlS14_E_NS1_11comp_targetILNS1_3genE4ELNS1_11target_archE910ELNS1_3gpuE8ELNS1_3repE0EEENS1_30default_config_static_selectorELNS0_4arch9wavefront6targetE1EEEvT1_,@function
_ZN7rocprim17ROCPRIM_400000_NS6detail17trampoline_kernelINS0_14default_configENS1_25partition_config_selectorILNS1_17partition_subalgoE0EtNS0_10empty_typeEbEEZZNS1_14partition_implILS5_0ELb0ES3_jN6thrust23THRUST_200600_302600_NS6detail15normal_iteratorINSA_10device_ptrItEEEEPS6_SG_NS0_5tupleIJNSA_16discard_iteratorINSA_11use_defaultEEESF_EEENSH_IJSG_SG_EEES6_PlJ7is_evenItEEEE10hipError_tPvRmT3_T4_T5_T6_T7_T9_mT8_P12ihipStream_tbDpT10_ENKUlT_T0_E_clISt17integral_constantIbLb0EES18_IbLb1EEEEDaS14_S15_EUlS14_E_NS1_11comp_targetILNS1_3genE4ELNS1_11target_archE910ELNS1_3gpuE8ELNS1_3repE0EEENS1_30default_config_static_selectorELNS0_4arch9wavefront6targetE1EEEvT1_: ; @_ZN7rocprim17ROCPRIM_400000_NS6detail17trampoline_kernelINS0_14default_configENS1_25partition_config_selectorILNS1_17partition_subalgoE0EtNS0_10empty_typeEbEEZZNS1_14partition_implILS5_0ELb0ES3_jN6thrust23THRUST_200600_302600_NS6detail15normal_iteratorINSA_10device_ptrItEEEEPS6_SG_NS0_5tupleIJNSA_16discard_iteratorINSA_11use_defaultEEESF_EEENSH_IJSG_SG_EEES6_PlJ7is_evenItEEEE10hipError_tPvRmT3_T4_T5_T6_T7_T9_mT8_P12ihipStream_tbDpT10_ENKUlT_T0_E_clISt17integral_constantIbLb0EES18_IbLb1EEEEDaS14_S15_EUlS14_E_NS1_11comp_targetILNS1_3genE4ELNS1_11target_archE910ELNS1_3gpuE8ELNS1_3repE0EEENS1_30default_config_static_selectorELNS0_4arch9wavefront6targetE1EEEvT1_
; %bb.0:
	s_load_dwordx2 s[28:29], s[4:5], 0x38
	s_load_dwordx4 s[20:23], s[4:5], 0x50
	s_load_dwordx2 s[2:3], s[4:5], 0x60
	s_load_dwordx2 s[30:31], s[4:5], 0x70
	v_cmp_eq_u32_e64 s[0:1], 0, v0
	s_and_saveexec_b64 s[6:7], s[0:1]
	s_cbranch_execz .LBB2581_4
; %bb.1:
	s_mov_b64 s[10:11], exec
	v_mbcnt_lo_u32_b32 v1, s10, 0
	v_mbcnt_hi_u32_b32 v1, s11, v1
	v_cmp_eq_u32_e32 vcc, 0, v1
                                        ; implicit-def: $vgpr2
	s_and_saveexec_b64 s[8:9], vcc
	s_cbranch_execz .LBB2581_3
; %bb.2:
	s_load_dwordx2 s[12:13], s[4:5], 0x80
	s_bcnt1_i32_b64 s10, s[10:11]
	v_mov_b32_e32 v2, 0
	v_mov_b32_e32 v3, s10
	s_waitcnt lgkmcnt(0)
	global_atomic_add v2, v2, v3, s[12:13] glc
.LBB2581_3:
	s_or_b64 exec, exec, s[8:9]
	s_waitcnt vmcnt(0)
	v_readfirstlane_b32 s8, v2
	v_add_u32_e32 v1, s8, v1
	v_mov_b32_e32 v2, 0
	ds_write_b32 v2, v1
.LBB2581_4:
	s_or_b64 exec, exec, s[6:7]
	v_mov_b32_e32 v3, 0
	s_load_dwordx4 s[24:27], s[4:5], 0x8
	s_load_dword s6, s[4:5], 0x78
	s_waitcnt lgkmcnt(0)
	s_barrier
	ds_read_b32 v1, v3
	s_waitcnt lgkmcnt(0)
	s_barrier
	global_load_dwordx2 v[14:15], v3, s[22:23]
	v_mov_b32_e32 v5, s3
	s_lshl_b64 s[4:5], s[26:27], 1
	s_movk_i32 s3, 0x1c00
	s_add_u32 s7, s24, s4
	v_mul_lo_u32 v2, v1, s3
	s_mul_i32 s3, s6, 0x1c00
	s_addc_u32 s8, s25, s5
	s_add_i32 s5, s3, s26
	s_sub_i32 s33, s2, s5
	s_add_i32 s4, s6, -1
	s_addk_i32 s33, 0x1c00
	v_mov_b32_e32 v4, s2
	s_add_u32 s2, s26, s3
	v_readfirstlane_b32 s38, v1
	s_addc_u32 s3, s27, 0
	s_cmp_eq_u32 s38, s4
	s_cselect_b64 s[22:23], -1, 0
	s_cmp_lg_u32 s38, s4
	v_cmp_lt_u64_e32 vcc, s[2:3], v[4:5]
	s_cselect_b64 s[2:3], -1, 0
	v_lshlrev_b64 v[16:17], 1, v[2:3]
	s_or_b64 s[4:5], vcc, s[2:3]
	v_mov_b32_e32 v2, s8
	v_add_co_u32_e32 v1, vcc, s7, v16
	v_addc_co_u32_e32 v2, vcc, v2, v17, vcc
	s_mov_b64 s[2:3], -1
	s_and_b64 vcc, exec, s[4:5]
	v_lshlrev_b32_e32 v30, 1, v0
	s_cbranch_vccz .LBB2581_6
; %bb.5:
	v_add_co_u32_e32 v4, vcc, v1, v30
	v_addc_co_u32_e32 v5, vcc, 0, v2, vcc
	v_add_co_u32_e32 v6, vcc, 0x1000, v4
	v_addc_co_u32_e32 v7, vcc, 0, v5, vcc
	flat_load_ushort v3, v[4:5]
	flat_load_ushort v8, v[4:5] offset:512
	flat_load_ushort v9, v[4:5] offset:1024
	;; [unrolled: 1-line block ×7, first 2 shown]
	flat_load_ushort v19, v[6:7]
	flat_load_ushort v20, v[6:7] offset:512
	flat_load_ushort v21, v[6:7] offset:1024
	;; [unrolled: 1-line block ×7, first 2 shown]
	v_add_co_u32_e32 v6, vcc, 0x2000, v4
	v_addc_co_u32_e32 v7, vcc, 0, v5, vcc
	v_add_co_u32_e32 v4, vcc, 0x3000, v4
	v_addc_co_u32_e32 v5, vcc, 0, v5, vcc
	flat_load_ushort v27, v[6:7]
	flat_load_ushort v28, v[6:7] offset:512
	flat_load_ushort v29, v[6:7] offset:1024
	;; [unrolled: 1-line block ×7, first 2 shown]
	s_nop 0
	flat_load_ushort v6, v[4:5]
	flat_load_ushort v7, v[4:5] offset:512
	flat_load_ushort v36, v[4:5] offset:1024
	;; [unrolled: 1-line block ×3, first 2 shown]
	s_mov_b64 s[2:3], 0
	s_waitcnt vmcnt(0) lgkmcnt(0)
	ds_write_b16 v30, v3
	ds_write_b16 v30, v8 offset:512
	ds_write_b16 v30, v9 offset:1024
	;; [unrolled: 1-line block ×27, first 2 shown]
	s_waitcnt lgkmcnt(0)
	s_barrier
.LBB2581_6:
	s_andn2_b64 vcc, exec, s[2:3]
	v_cmp_gt_u32_e64 s[2:3], s33, v0
	s_cbranch_vccnz .LBB2581_64
; %bb.7:
                                        ; implicit-def: $vgpr3
	s_and_saveexec_b64 s[6:7], s[2:3]
	s_cbranch_execz .LBB2581_9
; %bb.8:
	v_add_co_u32_e32 v4, vcc, v1, v30
	v_addc_co_u32_e32 v5, vcc, 0, v2, vcc
	flat_load_ushort v3, v[4:5]
.LBB2581_9:
	s_or_b64 exec, exec, s[6:7]
	v_or_b32_e32 v4, 0x100, v0
	v_cmp_gt_u32_e32 vcc, s33, v4
                                        ; implicit-def: $vgpr4
	s_and_saveexec_b64 s[2:3], vcc
	s_cbranch_execz .LBB2581_11
; %bb.10:
	v_add_co_u32_e32 v4, vcc, v1, v30
	v_addc_co_u32_e32 v5, vcc, 0, v2, vcc
	flat_load_ushort v4, v[4:5] offset:512
.LBB2581_11:
	s_or_b64 exec, exec, s[2:3]
	v_or_b32_e32 v5, 0x200, v0
	v_cmp_gt_u32_e32 vcc, s33, v5
                                        ; implicit-def: $vgpr5
	s_and_saveexec_b64 s[2:3], vcc
	s_cbranch_execz .LBB2581_13
; %bb.12:
	v_add_co_u32_e32 v6, vcc, v1, v30
	v_addc_co_u32_e32 v7, vcc, 0, v2, vcc
	flat_load_ushort v5, v[6:7] offset:1024
.LBB2581_13:
	s_or_b64 exec, exec, s[2:3]
	v_or_b32_e32 v6, 0x300, v0
	v_cmp_gt_u32_e32 vcc, s33, v6
                                        ; implicit-def: $vgpr6
	s_and_saveexec_b64 s[2:3], vcc
	s_cbranch_execz .LBB2581_15
; %bb.14:
	v_add_co_u32_e32 v6, vcc, v1, v30
	v_addc_co_u32_e32 v7, vcc, 0, v2, vcc
	flat_load_ushort v6, v[6:7] offset:1536
.LBB2581_15:
	s_or_b64 exec, exec, s[2:3]
	v_or_b32_e32 v7, 0x400, v0
	v_cmp_gt_u32_e32 vcc, s33, v7
                                        ; implicit-def: $vgpr7
	s_and_saveexec_b64 s[2:3], vcc
	s_cbranch_execz .LBB2581_17
; %bb.16:
	v_add_co_u32_e32 v8, vcc, v1, v30
	v_addc_co_u32_e32 v9, vcc, 0, v2, vcc
	flat_load_ushort v7, v[8:9] offset:2048
.LBB2581_17:
	s_or_b64 exec, exec, s[2:3]
	v_or_b32_e32 v8, 0x500, v0
	v_cmp_gt_u32_e32 vcc, s33, v8
                                        ; implicit-def: $vgpr8
	s_and_saveexec_b64 s[2:3], vcc
	s_cbranch_execz .LBB2581_19
; %bb.18:
	v_add_co_u32_e32 v8, vcc, v1, v30
	v_addc_co_u32_e32 v9, vcc, 0, v2, vcc
	flat_load_ushort v8, v[8:9] offset:2560
.LBB2581_19:
	s_or_b64 exec, exec, s[2:3]
	v_or_b32_e32 v9, 0x600, v0
	v_cmp_gt_u32_e32 vcc, s33, v9
                                        ; implicit-def: $vgpr9
	s_and_saveexec_b64 s[2:3], vcc
	s_cbranch_execz .LBB2581_21
; %bb.20:
	v_add_co_u32_e32 v10, vcc, v1, v30
	v_addc_co_u32_e32 v11, vcc, 0, v2, vcc
	flat_load_ushort v9, v[10:11] offset:3072
.LBB2581_21:
	s_or_b64 exec, exec, s[2:3]
	v_or_b32_e32 v10, 0x700, v0
	v_cmp_gt_u32_e32 vcc, s33, v10
                                        ; implicit-def: $vgpr10
	s_and_saveexec_b64 s[2:3], vcc
	s_cbranch_execz .LBB2581_23
; %bb.22:
	v_add_co_u32_e32 v10, vcc, v1, v30
	v_addc_co_u32_e32 v11, vcc, 0, v2, vcc
	flat_load_ushort v10, v[10:11] offset:3584
.LBB2581_23:
	s_or_b64 exec, exec, s[2:3]
	v_or_b32_e32 v12, 0x800, v0
	v_cmp_gt_u32_e32 vcc, s33, v12
                                        ; implicit-def: $vgpr11
	s_and_saveexec_b64 s[2:3], vcc
	s_cbranch_execz .LBB2581_25
; %bb.24:
	v_lshlrev_b32_e32 v11, 1, v12
	v_add_co_u32_e32 v12, vcc, v1, v11
	v_addc_co_u32_e32 v13, vcc, 0, v2, vcc
	flat_load_ushort v11, v[12:13]
.LBB2581_25:
	s_or_b64 exec, exec, s[2:3]
	v_or_b32_e32 v13, 0x900, v0
	v_cmp_gt_u32_e32 vcc, s33, v13
                                        ; implicit-def: $vgpr12
	s_and_saveexec_b64 s[2:3], vcc
	s_cbranch_execz .LBB2581_27
; %bb.26:
	v_lshlrev_b32_e32 v12, 1, v13
	v_add_co_u32_e32 v12, vcc, v1, v12
	v_addc_co_u32_e32 v13, vcc, 0, v2, vcc
	flat_load_ushort v12, v[12:13]
.LBB2581_27:
	s_or_b64 exec, exec, s[2:3]
	v_or_b32_e32 v18, 0xa00, v0
	v_cmp_gt_u32_e32 vcc, s33, v18
                                        ; implicit-def: $vgpr13
	s_and_saveexec_b64 s[2:3], vcc
	s_cbranch_execz .LBB2581_29
; %bb.28:
	v_lshlrev_b32_e32 v13, 1, v18
	v_add_co_u32_e32 v18, vcc, v1, v13
	v_addc_co_u32_e32 v19, vcc, 0, v2, vcc
	flat_load_ushort v13, v[18:19]
.LBB2581_29:
	s_or_b64 exec, exec, s[2:3]
	v_or_b32_e32 v19, 0xb00, v0
	v_cmp_gt_u32_e32 vcc, s33, v19
                                        ; implicit-def: $vgpr18
	s_and_saveexec_b64 s[2:3], vcc
	s_cbranch_execz .LBB2581_31
; %bb.30:
	v_lshlrev_b32_e32 v18, 1, v19
	v_add_co_u32_e32 v18, vcc, v1, v18
	v_addc_co_u32_e32 v19, vcc, 0, v2, vcc
	flat_load_ushort v18, v[18:19]
.LBB2581_31:
	s_or_b64 exec, exec, s[2:3]
	v_or_b32_e32 v20, 0xc00, v0
	v_cmp_gt_u32_e32 vcc, s33, v20
                                        ; implicit-def: $vgpr19
	s_and_saveexec_b64 s[2:3], vcc
	s_cbranch_execz .LBB2581_33
; %bb.32:
	v_lshlrev_b32_e32 v19, 1, v20
	v_add_co_u32_e32 v20, vcc, v1, v19
	v_addc_co_u32_e32 v21, vcc, 0, v2, vcc
	flat_load_ushort v19, v[20:21]
.LBB2581_33:
	s_or_b64 exec, exec, s[2:3]
	v_or_b32_e32 v21, 0xd00, v0
	v_cmp_gt_u32_e32 vcc, s33, v21
                                        ; implicit-def: $vgpr20
	s_and_saveexec_b64 s[2:3], vcc
	s_cbranch_execz .LBB2581_35
; %bb.34:
	v_lshlrev_b32_e32 v20, 1, v21
	v_add_co_u32_e32 v20, vcc, v1, v20
	v_addc_co_u32_e32 v21, vcc, 0, v2, vcc
	flat_load_ushort v20, v[20:21]
.LBB2581_35:
	s_or_b64 exec, exec, s[2:3]
	v_or_b32_e32 v22, 0xe00, v0
	v_cmp_gt_u32_e32 vcc, s33, v22
                                        ; implicit-def: $vgpr21
	s_and_saveexec_b64 s[2:3], vcc
	s_cbranch_execz .LBB2581_37
; %bb.36:
	v_lshlrev_b32_e32 v21, 1, v22
	v_add_co_u32_e32 v22, vcc, v1, v21
	v_addc_co_u32_e32 v23, vcc, 0, v2, vcc
	flat_load_ushort v21, v[22:23]
.LBB2581_37:
	s_or_b64 exec, exec, s[2:3]
	v_or_b32_e32 v23, 0xf00, v0
	v_cmp_gt_u32_e32 vcc, s33, v23
                                        ; implicit-def: $vgpr22
	s_and_saveexec_b64 s[2:3], vcc
	s_cbranch_execz .LBB2581_39
; %bb.38:
	v_lshlrev_b32_e32 v22, 1, v23
	v_add_co_u32_e32 v22, vcc, v1, v22
	v_addc_co_u32_e32 v23, vcc, 0, v2, vcc
	flat_load_ushort v22, v[22:23]
.LBB2581_39:
	s_or_b64 exec, exec, s[2:3]
	v_or_b32_e32 v24, 0x1000, v0
	v_cmp_gt_u32_e32 vcc, s33, v24
                                        ; implicit-def: $vgpr23
	s_and_saveexec_b64 s[2:3], vcc
	s_cbranch_execz .LBB2581_41
; %bb.40:
	v_lshlrev_b32_e32 v23, 1, v24
	v_add_co_u32_e32 v24, vcc, v1, v23
	v_addc_co_u32_e32 v25, vcc, 0, v2, vcc
	flat_load_ushort v23, v[24:25]
.LBB2581_41:
	s_or_b64 exec, exec, s[2:3]
	v_or_b32_e32 v25, 0x1100, v0
	v_cmp_gt_u32_e32 vcc, s33, v25
                                        ; implicit-def: $vgpr24
	s_and_saveexec_b64 s[2:3], vcc
	s_cbranch_execz .LBB2581_43
; %bb.42:
	v_lshlrev_b32_e32 v24, 1, v25
	v_add_co_u32_e32 v24, vcc, v1, v24
	v_addc_co_u32_e32 v25, vcc, 0, v2, vcc
	flat_load_ushort v24, v[24:25]
.LBB2581_43:
	s_or_b64 exec, exec, s[2:3]
	v_or_b32_e32 v26, 0x1200, v0
	v_cmp_gt_u32_e32 vcc, s33, v26
                                        ; implicit-def: $vgpr25
	s_and_saveexec_b64 s[2:3], vcc
	s_cbranch_execz .LBB2581_45
; %bb.44:
	v_lshlrev_b32_e32 v25, 1, v26
	v_add_co_u32_e32 v26, vcc, v1, v25
	v_addc_co_u32_e32 v27, vcc, 0, v2, vcc
	flat_load_ushort v25, v[26:27]
.LBB2581_45:
	s_or_b64 exec, exec, s[2:3]
	v_or_b32_e32 v27, 0x1300, v0
	v_cmp_gt_u32_e32 vcc, s33, v27
                                        ; implicit-def: $vgpr26
	s_and_saveexec_b64 s[2:3], vcc
	s_cbranch_execz .LBB2581_47
; %bb.46:
	v_lshlrev_b32_e32 v26, 1, v27
	v_add_co_u32_e32 v26, vcc, v1, v26
	v_addc_co_u32_e32 v27, vcc, 0, v2, vcc
	flat_load_ushort v26, v[26:27]
.LBB2581_47:
	s_or_b64 exec, exec, s[2:3]
	v_or_b32_e32 v28, 0x1400, v0
	v_cmp_gt_u32_e32 vcc, s33, v28
                                        ; implicit-def: $vgpr27
	s_and_saveexec_b64 s[2:3], vcc
	s_cbranch_execz .LBB2581_49
; %bb.48:
	v_lshlrev_b32_e32 v27, 1, v28
	v_add_co_u32_e32 v28, vcc, v1, v27
	v_addc_co_u32_e32 v29, vcc, 0, v2, vcc
	flat_load_ushort v27, v[28:29]
.LBB2581_49:
	s_or_b64 exec, exec, s[2:3]
	v_or_b32_e32 v29, 0x1500, v0
	v_cmp_gt_u32_e32 vcc, s33, v29
                                        ; implicit-def: $vgpr28
	s_and_saveexec_b64 s[2:3], vcc
	s_cbranch_execz .LBB2581_51
; %bb.50:
	v_lshlrev_b32_e32 v28, 1, v29
	v_add_co_u32_e32 v28, vcc, v1, v28
	v_addc_co_u32_e32 v29, vcc, 0, v2, vcc
	flat_load_ushort v28, v[28:29]
.LBB2581_51:
	s_or_b64 exec, exec, s[2:3]
	v_or_b32_e32 v31, 0x1600, v0
	v_cmp_gt_u32_e32 vcc, s33, v31
                                        ; implicit-def: $vgpr29
	s_and_saveexec_b64 s[2:3], vcc
	s_cbranch_execz .LBB2581_53
; %bb.52:
	v_lshlrev_b32_e32 v29, 1, v31
	v_add_co_u32_e32 v32, vcc, v1, v29
	v_addc_co_u32_e32 v33, vcc, 0, v2, vcc
	flat_load_ushort v29, v[32:33]
.LBB2581_53:
	s_or_b64 exec, exec, s[2:3]
	v_or_b32_e32 v32, 0x1700, v0
	v_cmp_gt_u32_e32 vcc, s33, v32
                                        ; implicit-def: $vgpr31
	s_and_saveexec_b64 s[2:3], vcc
	s_cbranch_execz .LBB2581_55
; %bb.54:
	v_lshlrev_b32_e32 v31, 1, v32
	v_add_co_u32_e32 v32, vcc, v1, v31
	v_addc_co_u32_e32 v33, vcc, 0, v2, vcc
	flat_load_ushort v31, v[32:33]
.LBB2581_55:
	s_or_b64 exec, exec, s[2:3]
	v_or_b32_e32 v33, 0x1800, v0
	v_cmp_gt_u32_e32 vcc, s33, v33
                                        ; implicit-def: $vgpr32
	s_and_saveexec_b64 s[2:3], vcc
	s_cbranch_execz .LBB2581_57
; %bb.56:
	v_lshlrev_b32_e32 v32, 1, v33
	v_add_co_u32_e32 v32, vcc, v1, v32
	v_addc_co_u32_e32 v33, vcc, 0, v2, vcc
	flat_load_ushort v32, v[32:33]
.LBB2581_57:
	s_or_b64 exec, exec, s[2:3]
	v_or_b32_e32 v34, 0x1900, v0
	v_cmp_gt_u32_e32 vcc, s33, v34
                                        ; implicit-def: $vgpr33
	s_and_saveexec_b64 s[2:3], vcc
	s_cbranch_execz .LBB2581_59
; %bb.58:
	v_lshlrev_b32_e32 v33, 1, v34
	v_add_co_u32_e32 v34, vcc, v1, v33
	v_addc_co_u32_e32 v35, vcc, 0, v2, vcc
	flat_load_ushort v33, v[34:35]
.LBB2581_59:
	s_or_b64 exec, exec, s[2:3]
	v_or_b32_e32 v35, 0x1a00, v0
	v_cmp_gt_u32_e32 vcc, s33, v35
                                        ; implicit-def: $vgpr34
	s_and_saveexec_b64 s[2:3], vcc
	s_cbranch_execz .LBB2581_61
; %bb.60:
	v_lshlrev_b32_e32 v34, 1, v35
	v_add_co_u32_e32 v34, vcc, v1, v34
	v_addc_co_u32_e32 v35, vcc, 0, v2, vcc
	flat_load_ushort v34, v[34:35]
.LBB2581_61:
	s_or_b64 exec, exec, s[2:3]
	v_or_b32_e32 v36, 0x1b00, v0
	v_cmp_gt_u32_e32 vcc, s33, v36
                                        ; implicit-def: $vgpr35
	s_and_saveexec_b64 s[2:3], vcc
	s_cbranch_execz .LBB2581_63
; %bb.62:
	v_lshlrev_b32_e32 v35, 1, v36
	v_add_co_u32_e32 v36, vcc, v1, v35
	v_addc_co_u32_e32 v37, vcc, 0, v2, vcc
	flat_load_ushort v35, v[36:37]
.LBB2581_63:
	s_or_b64 exec, exec, s[2:3]
	s_waitcnt vmcnt(0) lgkmcnt(0)
	ds_write_b16 v30, v3
	ds_write_b16 v30, v4 offset:512
	ds_write_b16 v30, v5 offset:1024
	;; [unrolled: 1-line block ×27, first 2 shown]
	s_waitcnt lgkmcnt(0)
	s_barrier
.LBB2581_64:
	v_mul_u32_u24_e32 v43, 28, v0
	v_lshlrev_b32_e32 v6, 1, v43
	ds_read_b64 v[20:21], v6 offset:48
	ds_read2_b64 v[2:5], v6 offset0:4 offset1:5
	ds_read2_b64 v[10:13], v6 offset1:1
	ds_read2_b64 v[6:9], v6 offset0:2 offset1:3
	v_cndmask_b32_e64 v18, 0, 1, s[4:5]
	s_waitcnt lgkmcnt(3)
	v_lshrrev_b32_e32 v31, 16, v20
	v_lshrrev_b32_e32 v1, 16, v21
	s_waitcnt lgkmcnt(2)
	v_lshrrev_b32_e32 v35, 16, v2
	v_lshrrev_b32_e32 v34, 16, v3
	v_lshrrev_b32_e32 v33, 16, v4
	v_lshrrev_b32_e32 v32, 16, v5
	s_waitcnt lgkmcnt(1)
	v_lshrrev_b32_e32 v44, 16, v10
	v_lshrrev_b32_e32 v42, 16, v11
	;; [unrolled: 5-line block ×3, first 2 shown]
	v_lshrrev_b32_e32 v37, 16, v8
	v_lshrrev_b32_e32 v36, 16, v9
	v_cmp_ne_u32_e64 s[2:3], 1, v18
	s_andn2_b64 vcc, exec, s[4:5]
	v_xor_b32_e32 v90, -1, v10
	v_xor_b32_e32 v89, -1, v44
	;; [unrolled: 1-line block ×28, first 2 shown]
	s_barrier
	s_cbranch_vccnz .LBB2581_66
; %bb.65:
	v_and_b32_e32 v72, 1, v90
	v_and_b32_e32 v71, 1, v89
	;; [unrolled: 1-line block ×28, first 2 shown]
	s_cbranch_execz .LBB2581_67
	s_branch .LBB2581_68
.LBB2581_66:
                                        ; implicit-def: $vgpr72
                                        ; implicit-def: $vgpr71
                                        ; implicit-def: $vgpr70
                                        ; implicit-def: $vgpr69
                                        ; implicit-def: $vgpr68
                                        ; implicit-def: $vgpr67
                                        ; implicit-def: $vgpr66
                                        ; implicit-def: $vgpr65
                                        ; implicit-def: $vgpr64
                                        ; implicit-def: $vgpr63
                                        ; implicit-def: $vgpr62
                                        ; implicit-def: $vgpr61
                                        ; implicit-def: $vgpr60
                                        ; implicit-def: $vgpr59
                                        ; implicit-def: $vgpr58
                                        ; implicit-def: $vgpr57
                                        ; implicit-def: $vgpr56
                                        ; implicit-def: $vgpr55
                                        ; implicit-def: $vgpr54
                                        ; implicit-def: $vgpr53
                                        ; implicit-def: $vgpr52
                                        ; implicit-def: $vgpr51
                                        ; implicit-def: $vgpr50
                                        ; implicit-def: $vgpr49
                                        ; implicit-def: $vgpr48
                                        ; implicit-def: $vgpr47
                                        ; implicit-def: $vgpr45
                                        ; implicit-def: $vgpr46
.LBB2581_67:
	v_or_b32_e32 v54, 1, v43
	v_cmp_gt_u32_e32 vcc, s33, v43
	v_or_b32_e32 v55, 2, v43
	v_cndmask_b32_e64 v63, 0, 1, vcc
	v_cmp_gt_u32_e32 vcc, s33, v54
	v_or_b32_e32 v56, 3, v43
	v_cndmask_b32_e64 v54, 0, 1, vcc
	v_cmp_gt_u32_e32 vcc, s33, v55
	v_add_u32_e32 v57, 4, v43
	v_and_b32_e32 v71, v54, v89
	v_cndmask_b32_e64 v54, 0, 1, vcc
	v_cmp_gt_u32_e32 vcc, s33, v56
	v_add_u32_e32 v58, 5, v43
	v_and_b32_e32 v70, v54, v88
	;; [unrolled: 4-line block ×9, first 2 shown]
	v_and_b32_e32 v63, v54, v81
	v_cndmask_b32_e64 v54, 0, 1, vcc
	v_cmp_gt_u32_e32 vcc, s33, v92
	v_add_u32_e32 v94, 13, v43
	v_and_b32_e32 v62, v54, v80
	v_cndmask_b32_e64 v54, 0, 1, vcc
	v_cmp_gt_u32_e32 vcc, s33, v93
	v_add_u32_e32 v95, 14, v43
	;; [unrolled: 4-line block ×15, first 2 shown]
	v_and_b32_e32 v48, v24, v23
	v_cndmask_b32_e64 v23, 0, 1, vcc
	v_cmp_gt_u32_e32 vcc, s33, v45
	v_and_b32_e32 v47, v23, v22
	v_cndmask_b32_e64 v22, 0, 1, vcc
	v_cmp_gt_u32_e32 vcc, s33, v46
	v_and_b32_e32 v45, v22, v19
	v_cndmask_b32_e64 v19, 0, 1, vcc
	v_and_b32_e32 v46, v19, v18
.LBB2581_68:
	v_and_b32_e32 v97, 0xff, v48
	v_and_b32_e32 v98, 0xff, v47
	v_add_u32_sdwa v18, v45, v46 dst_sel:DWORD dst_unused:UNUSED_PAD src0_sel:BYTE_0 src1_sel:BYTE_0
	v_and_b32_e32 v95, 0xff, v50
	v_and_b32_e32 v96, 0xff, v49
	v_add3_u32 v18, v18, v98, v97
	v_and_b32_e32 v93, 0xff, v52
	v_and_b32_e32 v94, 0xff, v51
	v_add3_u32 v18, v18, v96, v95
	;; [unrolled: 3-line block ×12, first 2 shown]
	v_add3_u32 v101, v18, v74, v73
	v_mbcnt_lo_u32_b32 v18, -1, 0
	v_mbcnt_hi_u32_b32 v99, -1, v18
	v_and_b32_e32 v18, 15, v99
	v_cmp_eq_u32_e64 s[16:17], 0, v18
	v_cmp_lt_u32_e64 s[14:15], 1, v18
	v_cmp_lt_u32_e64 s[12:13], 3, v18
	;; [unrolled: 1-line block ×3, first 2 shown]
	v_and_b32_e32 v18, 16, v99
	v_cmp_eq_u32_e64 s[8:9], 0, v18
	v_or_b32_e32 v18, 63, v0
	s_cmp_lg_u32 s38, 0
	v_cmp_lt_u32_e64 s[4:5], 31, v99
	v_lshrrev_b32_e32 v100, 6, v0
	v_cmp_eq_u32_e64 s[6:7], v18, v0
	s_cbranch_scc0 .LBB2581_95
; %bb.69:
	v_mov_b32_dpp v18, v101 row_shr:1 row_mask:0xf bank_mask:0xf
	v_cndmask_b32_e64 v18, v18, 0, s[16:17]
	v_add_u32_e32 v18, v18, v101
	s_nop 1
	v_mov_b32_dpp v19, v18 row_shr:2 row_mask:0xf bank_mask:0xf
	v_cndmask_b32_e64 v19, 0, v19, s[14:15]
	v_add_u32_e32 v18, v18, v19
	s_nop 1
	;; [unrolled: 4-line block ×4, first 2 shown]
	v_mov_b32_dpp v19, v18 row_bcast:15 row_mask:0xf bank_mask:0xf
	v_cndmask_b32_e64 v19, v19, 0, s[8:9]
	v_add_u32_e32 v18, v18, v19
	s_nop 1
	v_mov_b32_dpp v19, v18 row_bcast:31 row_mask:0xf bank_mask:0xf
	v_cndmask_b32_e64 v19, 0, v19, s[4:5]
	v_add_u32_e32 v18, v18, v19
	s_and_saveexec_b64 s[18:19], s[6:7]
	s_cbranch_execz .LBB2581_71
; %bb.70:
	v_lshlrev_b32_e32 v19, 2, v100
	ds_write_b32 v19, v18
.LBB2581_71:
	s_or_b64 exec, exec, s[18:19]
	v_cmp_gt_u32_e32 vcc, 4, v0
	s_waitcnt lgkmcnt(0)
	s_barrier
	s_and_saveexec_b64 s[18:19], vcc
	s_cbranch_execz .LBB2581_73
; %bb.72:
	v_lshlrev_b32_e32 v19, 2, v0
	ds_read_b32 v22, v19
	v_and_b32_e32 v23, 3, v99
	v_cmp_ne_u32_e32 vcc, 0, v23
	s_waitcnt lgkmcnt(0)
	v_mov_b32_dpp v24, v22 row_shr:1 row_mask:0xf bank_mask:0xf
	v_cndmask_b32_e32 v24, 0, v24, vcc
	v_add_u32_e32 v22, v24, v22
	v_cmp_lt_u32_e32 vcc, 1, v23
	s_nop 0
	v_mov_b32_dpp v24, v22 row_shr:2 row_mask:0xf bank_mask:0xf
	v_cndmask_b32_e32 v23, 0, v24, vcc
	v_add_u32_e32 v22, v22, v23
	ds_write_b32 v19, v22
.LBB2581_73:
	s_or_b64 exec, exec, s[18:19]
	v_cmp_gt_u32_e32 vcc, 64, v0
	v_cmp_lt_u32_e64 s[18:19], 63, v0
	s_waitcnt lgkmcnt(0)
	s_barrier
	s_waitcnt lgkmcnt(0)
                                        ; implicit-def: $vgpr102
	s_and_saveexec_b64 s[24:25], s[18:19]
	s_cbranch_execz .LBB2581_75
; %bb.74:
	v_lshl_add_u32 v19, v100, 2, -4
	ds_read_b32 v102, v19
	s_waitcnt lgkmcnt(0)
	v_add_u32_e32 v18, v102, v18
.LBB2581_75:
	s_or_b64 exec, exec, s[24:25]
	v_add_u32_e32 v19, -1, v99
	v_and_b32_e32 v22, 64, v99
	v_cmp_lt_i32_e64 s[18:19], v19, v22
	v_cndmask_b32_e64 v19, v19, v99, s[18:19]
	v_lshlrev_b32_e32 v19, 2, v19
	ds_bpermute_b32 v103, v19, v18
	v_cmp_eq_u32_e64 s[18:19], 0, v99
	s_and_saveexec_b64 s[24:25], vcc
	s_cbranch_execz .LBB2581_94
; %bb.76:
	v_mov_b32_e32 v27, 0
	ds_read_b32 v18, v27 offset:12
	s_and_saveexec_b64 s[34:35], s[18:19]
	s_cbranch_execz .LBB2581_78
; %bb.77:
	s_add_i32 s36, s38, 64
	s_mov_b32 s37, 0
	s_lshl_b64 s[36:37], s[36:37], 3
	s_add_u32 s36, s30, s36
	v_mov_b32_e32 v19, 1
	s_addc_u32 s37, s31, s37
	s_waitcnt lgkmcnt(0)
	global_store_dwordx2 v27, v[18:19], s[36:37]
.LBB2581_78:
	s_or_b64 exec, exec, s[34:35]
	v_xad_u32 v22, v99, -1, s38
	v_add_u32_e32 v26, 64, v22
	v_lshlrev_b64 v[24:25], 3, v[26:27]
	v_mov_b32_e32 v19, s31
	v_add_co_u32_e32 v28, vcc, s30, v24
	v_addc_co_u32_e32 v29, vcc, v19, v25, vcc
	global_load_dwordx2 v[24:25], v[28:29], off glc
	s_waitcnt vmcnt(0)
	v_cmp_eq_u16_sdwa s[36:37], v25, v27 src0_sel:BYTE_0 src1_sel:DWORD
	s_and_saveexec_b64 s[34:35], s[36:37]
	s_cbranch_execz .LBB2581_82
; %bb.79:
	s_mov_b64 s[36:37], 0
	v_mov_b32_e32 v19, 0
.LBB2581_80:                            ; =>This Inner Loop Header: Depth=1
	global_load_dwordx2 v[24:25], v[28:29], off glc
	s_waitcnt vmcnt(0)
	v_cmp_ne_u16_sdwa s[40:41], v25, v19 src0_sel:BYTE_0 src1_sel:DWORD
	s_or_b64 s[36:37], s[40:41], s[36:37]
	s_andn2_b64 exec, exec, s[36:37]
	s_cbranch_execnz .LBB2581_80
; %bb.81:
	s_or_b64 exec, exec, s[36:37]
.LBB2581_82:
	s_or_b64 exec, exec, s[34:35]
	v_and_b32_e32 v105, 63, v99
	v_mov_b32_e32 v104, 2
	v_cmp_ne_u32_e32 vcc, 63, v105
	v_cmp_eq_u16_sdwa s[34:35], v25, v104 src0_sel:BYTE_0 src1_sel:DWORD
	v_lshlrev_b64 v[26:27], v99, -1
	v_addc_co_u32_e32 v28, vcc, 0, v99, vcc
	v_and_b32_e32 v19, s35, v27
	v_lshlrev_b32_e32 v106, 2, v28
	v_or_b32_e32 v19, 0x80000000, v19
	ds_bpermute_b32 v28, v106, v24
	v_and_b32_e32 v23, s34, v26
	v_ffbl_b32_e32 v19, v19
	v_add_u32_e32 v19, 32, v19
	v_ffbl_b32_e32 v23, v23
	v_min_u32_e32 v19, v23, v19
	v_cmp_lt_u32_e32 vcc, v105, v19
	s_waitcnt lgkmcnt(0)
	v_cndmask_b32_e32 v23, 0, v28, vcc
	v_cmp_gt_u32_e32 vcc, 62, v105
	v_add_u32_e32 v23, v23, v24
	v_cndmask_b32_e64 v24, 0, 1, vcc
	v_lshlrev_b32_e32 v24, 1, v24
	v_add_lshl_u32 v107, v24, v99, 2
	ds_bpermute_b32 v24, v107, v23
	v_add_u32_e32 v108, 2, v105
	v_cmp_le_u32_e32 vcc, v108, v19
	v_add_u32_e32 v110, 4, v105
	v_add_u32_e32 v112, 8, v105
	s_waitcnt lgkmcnt(0)
	v_cndmask_b32_e32 v24, 0, v24, vcc
	v_cmp_gt_u32_e32 vcc, 60, v105
	v_add_u32_e32 v23, v23, v24
	v_cndmask_b32_e64 v24, 0, 1, vcc
	v_lshlrev_b32_e32 v24, 2, v24
	v_add_lshl_u32 v109, v24, v99, 2
	ds_bpermute_b32 v24, v109, v23
	v_cmp_le_u32_e32 vcc, v110, v19
	v_add_u32_e32 v114, 16, v105
	v_add_u32_e32 v116, 32, v105
	s_waitcnt lgkmcnt(0)
	v_cndmask_b32_e32 v24, 0, v24, vcc
	v_cmp_gt_u32_e32 vcc, 56, v105
	v_add_u32_e32 v23, v23, v24
	v_cndmask_b32_e64 v24, 0, 1, vcc
	v_lshlrev_b32_e32 v24, 3, v24
	v_add_lshl_u32 v111, v24, v99, 2
	ds_bpermute_b32 v24, v111, v23
	v_cmp_le_u32_e32 vcc, v112, v19
	s_waitcnt lgkmcnt(0)
	v_cndmask_b32_e32 v24, 0, v24, vcc
	v_cmp_gt_u32_e32 vcc, 48, v105
	v_add_u32_e32 v23, v23, v24
	v_cndmask_b32_e64 v24, 0, 1, vcc
	v_lshlrev_b32_e32 v24, 4, v24
	v_add_lshl_u32 v113, v24, v99, 2
	ds_bpermute_b32 v24, v113, v23
	v_cmp_le_u32_e32 vcc, v114, v19
	;; [unrolled: 9-line block ×3, first 2 shown]
	s_waitcnt lgkmcnt(0)
	v_cndmask_b32_e32 v19, 0, v24, vcc
	v_add_u32_e32 v24, v23, v19
	v_mov_b32_e32 v23, 0
	s_branch .LBB2581_84
.LBB2581_83:                            ;   in Loop: Header=BB2581_84 Depth=1
	s_or_b64 exec, exec, s[34:35]
	v_cmp_eq_u16_sdwa s[34:35], v25, v104 src0_sel:BYTE_0 src1_sel:DWORD
	v_and_b32_e32 v28, s35, v27
	v_or_b32_e32 v28, 0x80000000, v28
	ds_bpermute_b32 v117, v106, v24
	v_and_b32_e32 v29, s34, v26
	v_ffbl_b32_e32 v28, v28
	v_add_u32_e32 v28, 32, v28
	v_ffbl_b32_e32 v29, v29
	v_min_u32_e32 v28, v29, v28
	v_cmp_lt_u32_e32 vcc, v105, v28
	s_waitcnt lgkmcnt(0)
	v_cndmask_b32_e32 v29, 0, v117, vcc
	v_add_u32_e32 v24, v29, v24
	ds_bpermute_b32 v29, v107, v24
	v_cmp_le_u32_e32 vcc, v108, v28
	v_subrev_u32_e32 v22, 64, v22
	s_waitcnt lgkmcnt(0)
	v_cndmask_b32_e32 v29, 0, v29, vcc
	v_add_u32_e32 v24, v24, v29
	ds_bpermute_b32 v29, v109, v24
	v_cmp_le_u32_e32 vcc, v110, v28
	s_waitcnt lgkmcnt(0)
	v_cndmask_b32_e32 v29, 0, v29, vcc
	v_add_u32_e32 v24, v24, v29
	ds_bpermute_b32 v29, v111, v24
	v_cmp_le_u32_e32 vcc, v112, v28
	;; [unrolled: 5-line block ×4, first 2 shown]
	s_waitcnt lgkmcnt(0)
	v_cndmask_b32_e32 v28, 0, v29, vcc
	v_add3_u32 v24, v28, v19, v24
.LBB2581_84:                            ; =>This Loop Header: Depth=1
                                        ;     Child Loop BB2581_87 Depth 2
	v_cmp_ne_u16_sdwa s[34:35], v25, v104 src0_sel:BYTE_0 src1_sel:DWORD
	v_cndmask_b32_e64 v19, 0, 1, s[34:35]
	;;#ASMSTART
	;;#ASMEND
	v_cmp_ne_u32_e32 vcc, 0, v19
	s_cmp_lg_u64 vcc, exec
	v_mov_b32_e32 v19, v24
	s_cbranch_scc1 .LBB2581_89
; %bb.85:                               ;   in Loop: Header=BB2581_84 Depth=1
	v_lshlrev_b64 v[24:25], 3, v[22:23]
	v_mov_b32_e32 v29, s31
	v_add_co_u32_e32 v28, vcc, s30, v24
	v_addc_co_u32_e32 v29, vcc, v29, v25, vcc
	global_load_dwordx2 v[24:25], v[28:29], off glc
	s_waitcnt vmcnt(0)
	v_cmp_eq_u16_sdwa s[36:37], v25, v23 src0_sel:BYTE_0 src1_sel:DWORD
	s_and_saveexec_b64 s[34:35], s[36:37]
	s_cbranch_execz .LBB2581_83
; %bb.86:                               ;   in Loop: Header=BB2581_84 Depth=1
	s_mov_b64 s[36:37], 0
.LBB2581_87:                            ;   Parent Loop BB2581_84 Depth=1
                                        ; =>  This Inner Loop Header: Depth=2
	global_load_dwordx2 v[24:25], v[28:29], off glc
	s_waitcnt vmcnt(0)
	v_cmp_ne_u16_sdwa s[40:41], v25, v23 src0_sel:BYTE_0 src1_sel:DWORD
	s_or_b64 s[36:37], s[40:41], s[36:37]
	s_andn2_b64 exec, exec, s[36:37]
	s_cbranch_execnz .LBB2581_87
; %bb.88:                               ;   in Loop: Header=BB2581_84 Depth=1
	s_or_b64 exec, exec, s[36:37]
	s_branch .LBB2581_83
.LBB2581_89:                            ;   in Loop: Header=BB2581_84 Depth=1
                                        ; implicit-def: $vgpr24
                                        ; implicit-def: $vgpr25
	s_cbranch_execz .LBB2581_84
; %bb.90:
	s_and_saveexec_b64 s[34:35], s[18:19]
	s_cbranch_execz .LBB2581_92
; %bb.91:
	s_add_i32 s36, s38, 64
	s_mov_b32 s37, 0
	s_lshl_b64 s[36:37], s[36:37], 3
	s_add_u32 s36, s30, s36
	v_add_u32_e32 v22, v19, v18
	v_mov_b32_e32 v23, 2
	s_addc_u32 s37, s31, s37
	v_mov_b32_e32 v24, 0
	global_store_dwordx2 v24, v[22:23], s[36:37]
	ds_write_b64 v24, v[18:19] offset:14336
.LBB2581_92:
	s_or_b64 exec, exec, s[34:35]
	s_and_b64 exec, exec, s[0:1]
	s_cbranch_execz .LBB2581_94
; %bb.93:
	v_mov_b32_e32 v18, 0
	ds_write_b32 v18, v19 offset:12
.LBB2581_94:
	s_or_b64 exec, exec, s[24:25]
	v_mov_b32_e32 v18, 0
	s_waitcnt lgkmcnt(0)
	s_barrier
	ds_read_b32 v22, v18 offset:12
	s_waitcnt lgkmcnt(0)
	s_barrier
	ds_read_b64 v[18:19], v18 offset:14336
	v_cndmask_b32_e64 v23, v103, v102, s[18:19]
	v_cndmask_b32_e64 v23, v23, 0, s[0:1]
	v_add_u32_e32 v22, v22, v23
	s_branch .LBB2581_105
.LBB2581_95:
                                        ; implicit-def: $vgpr19
                                        ; implicit-def: $vgpr22
	s_cbranch_execz .LBB2581_105
; %bb.96:
	s_waitcnt lgkmcnt(0)
	v_mov_b32_dpp v18, v101 row_shr:1 row_mask:0xf bank_mask:0xf
	v_cndmask_b32_e64 v18, v18, 0, s[16:17]
	v_add_u32_e32 v18, v18, v101
	s_nop 1
	v_mov_b32_dpp v19, v18 row_shr:2 row_mask:0xf bank_mask:0xf
	v_cndmask_b32_e64 v19, 0, v19, s[14:15]
	v_add_u32_e32 v18, v18, v19
	s_nop 1
	;; [unrolled: 4-line block ×4, first 2 shown]
	v_mov_b32_dpp v19, v18 row_bcast:15 row_mask:0xf bank_mask:0xf
	v_cndmask_b32_e64 v19, v19, 0, s[8:9]
	v_add_u32_e32 v18, v18, v19
	s_nop 1
	v_mov_b32_dpp v19, v18 row_bcast:31 row_mask:0xf bank_mask:0xf
	v_cndmask_b32_e64 v19, 0, v19, s[4:5]
	v_add_u32_e32 v18, v18, v19
	s_and_saveexec_b64 s[4:5], s[6:7]
	s_cbranch_execz .LBB2581_98
; %bb.97:
	v_lshlrev_b32_e32 v19, 2, v100
	ds_write_b32 v19, v18
.LBB2581_98:
	s_or_b64 exec, exec, s[4:5]
	v_cmp_gt_u32_e32 vcc, 4, v0
	s_waitcnt lgkmcnt(0)
	s_barrier
	s_and_saveexec_b64 s[4:5], vcc
	s_cbranch_execz .LBB2581_100
; %bb.99:
	v_lshlrev_b32_e32 v19, 2, v0
	ds_read_b32 v22, v19
	v_and_b32_e32 v23, 3, v99
	v_cmp_ne_u32_e32 vcc, 0, v23
	s_waitcnt lgkmcnt(0)
	v_mov_b32_dpp v24, v22 row_shr:1 row_mask:0xf bank_mask:0xf
	v_cndmask_b32_e32 v24, 0, v24, vcc
	v_add_u32_e32 v22, v24, v22
	v_cmp_lt_u32_e32 vcc, 1, v23
	s_nop 0
	v_mov_b32_dpp v24, v22 row_shr:2 row_mask:0xf bank_mask:0xf
	v_cndmask_b32_e32 v23, 0, v24, vcc
	v_add_u32_e32 v22, v22, v23
	ds_write_b32 v19, v22
.LBB2581_100:
	s_or_b64 exec, exec, s[4:5]
	v_cmp_lt_u32_e32 vcc, 63, v0
	v_mov_b32_e32 v19, 0
	v_mov_b32_e32 v22, 0
	s_waitcnt lgkmcnt(0)
	s_barrier
	s_and_saveexec_b64 s[4:5], vcc
	s_cbranch_execz .LBB2581_102
; %bb.101:
	v_lshl_add_u32 v22, v100, 2, -4
	ds_read_b32 v22, v22
.LBB2581_102:
	s_or_b64 exec, exec, s[4:5]
	v_add_u32_e32 v23, -1, v99
	v_and_b32_e32 v24, 64, v99
	v_cmp_lt_i32_e32 vcc, v23, v24
	v_cndmask_b32_e32 v23, v23, v99, vcc
	s_waitcnt lgkmcnt(0)
	v_add_u32_e32 v18, v22, v18
	v_lshlrev_b32_e32 v23, 2, v23
	ds_bpermute_b32 v23, v23, v18
	ds_read_b32 v18, v19 offset:12
	s_and_saveexec_b64 s[4:5], s[0:1]
	s_cbranch_execz .LBB2581_104
; %bb.103:
	v_mov_b32_e32 v24, 0
	v_mov_b32_e32 v19, 2
	s_waitcnt lgkmcnt(0)
	global_store_dwordx2 v24, v[18:19], s[30:31] offset:512
.LBB2581_104:
	s_or_b64 exec, exec, s[4:5]
	v_cmp_eq_u32_e32 vcc, 0, v99
	s_waitcnt lgkmcnt(1)
	v_cndmask_b32_e32 v22, v23, v22, vcc
	v_mov_b32_e32 v19, 0
	v_cndmask_b32_e64 v22, v22, 0, s[0:1]
	s_waitcnt lgkmcnt(0)
	s_barrier
.LBB2581_105:
	v_add_u32_e32 v23, v22, v73
	v_add_u32_e32 v24, v23, v74
	;; [unrolled: 1-line block ×19, first 2 shown]
	s_waitcnt lgkmcnt(0)
	v_add_u32_e32 v43, v18, v43
	v_sub_u32_e32 v22, v22, v19
	v_and_b32_e32 v72, 1, v72
	v_add_u32_e32 v85, v84, v92
	v_sub_u32_e32 v92, v43, v22
	v_cmp_eq_u32_e32 vcc, 1, v72
	v_cndmask_b32_e32 v22, v92, v22, vcc
	v_lshlrev_b32_e32 v22, 1, v22
	ds_write_b16 v22, v10
	v_sub_u32_e32 v10, v23, v19
	v_sub_u32_e32 v22, v43, v10
	v_and_b32_e32 v23, 1, v71
	v_add_u32_e32 v22, 1, v22
	v_cmp_eq_u32_e32 vcc, 1, v23
	v_cndmask_b32_e32 v10, v22, v10, vcc
	v_lshlrev_b32_e32 v10, 1, v10
	ds_write_b16 v10, v44
	v_sub_u32_e32 v10, v24, v19
	v_sub_u32_e32 v22, v43, v10
	v_and_b32_e32 v23, 1, v70
	v_add_u32_e32 v22, 2, v22
	;; [unrolled: 8-line block ×20, first 2 shown]
	v_cmp_eq_u32_e32 vcc, 1, v6
	v_cndmask_b32_e32 v2, v3, v2, vcc
	v_add_u32_e32 v86, v85, v93
	v_lshlrev_b32_e32 v2, 1, v2
	ds_write_b16 v2, v4
	v_sub_u32_e32 v2, v86, v19
	v_sub_u32_e32 v3, v43, v2
	v_and_b32_e32 v4, 1, v51
	v_add_u32_e32 v3, 21, v3
	v_cmp_eq_u32_e32 vcc, 1, v4
	v_cndmask_b32_e32 v2, v3, v2, vcc
	v_add_u32_e32 v87, v86, v94
	v_lshlrev_b32_e32 v2, 1, v2
	ds_write_b16 v2, v33
	v_sub_u32_e32 v2, v87, v19
	v_sub_u32_e32 v3, v43, v2
	v_and_b32_e32 v4, 1, v50
	v_add_u32_e32 v3, 22, v3
	;; [unrolled: 9-line block ×6, first 2 shown]
	v_cmp_eq_u32_e32 vcc, 1, v4
	v_cndmask_b32_e32 v2, v3, v2, vcc
	v_lshlrev_b32_e32 v2, 1, v2
	ds_write_b16 v2, v21
	v_sub_u32_sdwa v2, v45, v19 dst_sel:DWORD dst_unused:UNUSED_PAD src0_sel:BYTE_0 src1_sel:DWORD
	v_add_u32_e32 v2, v91, v2
	v_sub_u32_e32 v3, v43, v2
	v_and_b32_e32 v4, 1, v46
	v_add_u32_e32 v3, 27, v3
	v_cmp_eq_u32_e32 vcc, 1, v4
	v_cndmask_b32_e32 v2, v3, v2, vcc
	v_lshlrev_b32_e32 v2, 1, v2
	ds_write_b16 v2, v1
	s_waitcnt vmcnt(0)
	v_add_co_u32_e32 v1, vcc, v14, v18
	s_waitcnt lgkmcnt(0)
	s_barrier
	ds_read_u16 v66, v30
	ds_read_u16 v65, v30 offset:512
	ds_read_u16 v63, v30 offset:1024
	;; [unrolled: 1-line block ×23, first 2 shown]
	v_addc_co_u32_e32 v3, vcc, 0, v15, vcc
	v_add_co_u32_e32 v2, vcc, v1, v19
	v_addc_co_u32_e32 v3, vcc, 0, v3, vcc
	v_mov_b32_e32 v1, s27
	v_sub_co_u32_e32 v14, vcc, s26, v2
	ds_read_u16 v12, v30 offset:12288
	ds_read_u16 v10, v30 offset:12800
	;; [unrolled: 1-line block ×4, first 2 shown]
	v_subb_co_u32_e32 v15, vcc, v1, v3, vcc
	v_lshlrev_b64 v[14:15], 1, v[14:15]
	v_mov_b32_e32 v1, s29
	v_add_co_u32_e32 v4, vcc, s28, v14
	v_addc_co_u32_e32 v1, vcc, v1, v15, vcc
	v_add_co_u32_e32 v4, vcc, v4, v16
	v_addc_co_u32_e32 v1, vcc, v1, v17, vcc
	v_or_b32_e32 v64, 0x100, v0
	v_or_b32_e32 v62, 0x200, v0
	;; [unrolled: 1-line block ×27, first 2 shown]
	s_and_b64 vcc, exec, s[2:3]
	v_cmp_ge_u32_e64 s[2:3], v0, v18
	s_cbranch_vccnz .LBB2581_135
; %bb.106:
	s_and_saveexec_b64 s[4:5], s[2:3]
	s_cbranch_execnz .LBB2581_196
; %bb.107:
	s_or_b64 exec, exec, s[4:5]
	v_cmp_ge_u32_e32 vcc, v64, v18
	s_and_saveexec_b64 s[2:3], vcc
	s_cbranch_execnz .LBB2581_197
.LBB2581_108:
	s_or_b64 exec, exec, s[2:3]
	v_cmp_ge_u32_e32 vcc, v62, v18
	s_and_saveexec_b64 s[2:3], vcc
	s_cbranch_execnz .LBB2581_198
.LBB2581_109:
	s_or_b64 exec, exec, s[2:3]
	v_cmp_ge_u32_e32 vcc, v60, v18
	s_and_saveexec_b64 s[2:3], vcc
	s_cbranch_execnz .LBB2581_199
.LBB2581_110:
	s_or_b64 exec, exec, s[2:3]
	v_cmp_ge_u32_e32 vcc, v59, v18
	s_and_saveexec_b64 s[2:3], vcc
	s_cbranch_execnz .LBB2581_200
.LBB2581_111:
	s_or_b64 exec, exec, s[2:3]
	v_cmp_ge_u32_e32 vcc, v57, v18
	s_and_saveexec_b64 s[2:3], vcc
	s_cbranch_execnz .LBB2581_201
.LBB2581_112:
	s_or_b64 exec, exec, s[2:3]
	v_cmp_ge_u32_e32 vcc, v55, v18
	s_and_saveexec_b64 s[2:3], vcc
	s_cbranch_execnz .LBB2581_202
.LBB2581_113:
	s_or_b64 exec, exec, s[2:3]
	v_cmp_ge_u32_e32 vcc, v53, v18
	s_and_saveexec_b64 s[2:3], vcc
	s_cbranch_execnz .LBB2581_203
.LBB2581_114:
	s_or_b64 exec, exec, s[2:3]
	v_cmp_ge_u32_e32 vcc, v50, v18
	s_and_saveexec_b64 s[2:3], vcc
	s_cbranch_execnz .LBB2581_204
.LBB2581_115:
	s_or_b64 exec, exec, s[2:3]
	v_cmp_ge_u32_e32 vcc, v48, v18
	s_and_saveexec_b64 s[2:3], vcc
	s_cbranch_execnz .LBB2581_205
.LBB2581_116:
	s_or_b64 exec, exec, s[2:3]
	v_cmp_ge_u32_e32 vcc, v46, v18
	s_and_saveexec_b64 s[2:3], vcc
	s_cbranch_execnz .LBB2581_206
.LBB2581_117:
	s_or_b64 exec, exec, s[2:3]
	v_cmp_ge_u32_e32 vcc, v44, v18
	s_and_saveexec_b64 s[2:3], vcc
	s_cbranch_execnz .LBB2581_207
.LBB2581_118:
	s_or_b64 exec, exec, s[2:3]
	v_cmp_ge_u32_e32 vcc, v42, v18
	s_and_saveexec_b64 s[2:3], vcc
	s_cbranch_execnz .LBB2581_208
.LBB2581_119:
	s_or_b64 exec, exec, s[2:3]
	v_cmp_ge_u32_e32 vcc, v40, v18
	s_and_saveexec_b64 s[2:3], vcc
	s_cbranch_execnz .LBB2581_209
.LBB2581_120:
	s_or_b64 exec, exec, s[2:3]
	v_cmp_ge_u32_e32 vcc, v38, v18
	s_and_saveexec_b64 s[2:3], vcc
	s_cbranch_execnz .LBB2581_210
.LBB2581_121:
	s_or_b64 exec, exec, s[2:3]
	v_cmp_ge_u32_e32 vcc, v35, v18
	s_and_saveexec_b64 s[2:3], vcc
	s_cbranch_execnz .LBB2581_211
.LBB2581_122:
	s_or_b64 exec, exec, s[2:3]
	v_cmp_ge_u32_e32 vcc, v34, v18
	s_and_saveexec_b64 s[2:3], vcc
	s_cbranch_execnz .LBB2581_212
.LBB2581_123:
	s_or_b64 exec, exec, s[2:3]
	v_cmp_ge_u32_e32 vcc, v32, v18
	s_and_saveexec_b64 s[2:3], vcc
	s_cbranch_execnz .LBB2581_213
.LBB2581_124:
	s_or_b64 exec, exec, s[2:3]
	v_cmp_ge_u32_e32 vcc, v29, v18
	s_and_saveexec_b64 s[2:3], vcc
	s_cbranch_execnz .LBB2581_214
.LBB2581_125:
	s_or_b64 exec, exec, s[2:3]
	v_cmp_ge_u32_e32 vcc, v27, v18
	s_and_saveexec_b64 s[2:3], vcc
	s_cbranch_execnz .LBB2581_215
.LBB2581_126:
	s_or_b64 exec, exec, s[2:3]
	v_cmp_ge_u32_e32 vcc, v25, v18
	s_and_saveexec_b64 s[2:3], vcc
	s_cbranch_execnz .LBB2581_216
.LBB2581_127:
	s_or_b64 exec, exec, s[2:3]
	v_cmp_ge_u32_e32 vcc, v23, v18
	s_and_saveexec_b64 s[2:3], vcc
	s_cbranch_execnz .LBB2581_217
.LBB2581_128:
	s_or_b64 exec, exec, s[2:3]
	v_cmp_ge_u32_e32 vcc, v21, v18
	s_and_saveexec_b64 s[2:3], vcc
	s_cbranch_execnz .LBB2581_218
.LBB2581_129:
	s_or_b64 exec, exec, s[2:3]
	v_cmp_ge_u32_e32 vcc, v13, v18
	s_and_saveexec_b64 s[2:3], vcc
	s_cbranch_execnz .LBB2581_219
.LBB2581_130:
	s_or_b64 exec, exec, s[2:3]
	v_cmp_ge_u32_e32 vcc, v11, v18
	s_and_saveexec_b64 s[2:3], vcc
	s_cbranch_execnz .LBB2581_220
.LBB2581_131:
	s_or_b64 exec, exec, s[2:3]
	v_cmp_ge_u32_e32 vcc, v9, v18
	s_and_saveexec_b64 s[2:3], vcc
	s_cbranch_execnz .LBB2581_221
.LBB2581_132:
	s_or_b64 exec, exec, s[2:3]
	v_cmp_ge_u32_e32 vcc, v8, v18
	s_and_saveexec_b64 s[2:3], vcc
	s_cbranch_execz .LBB2581_134
.LBB2581_133:
	v_lshlrev_b32_e32 v14, 1, v8
	v_readfirstlane_b32 s4, v4
	v_readfirstlane_b32 s5, v1
	s_waitcnt lgkmcnt(1)
	s_nop 3
	global_store_short v14, v7, s[4:5]
.LBB2581_134:
	s_or_b64 exec, exec, s[2:3]
	v_cmp_ge_u32_e64 s[2:3], v6, v18
	s_branch .LBB2581_191
.LBB2581_135:
	s_mov_b64 s[2:3], 0
	s_cbranch_execz .LBB2581_191
; %bb.136:
	v_cmp_gt_u32_e32 vcc, s33, v0
	v_cmp_ge_u32_e64 s[2:3], v0, v18
	s_and_b64 s[4:5], vcc, s[2:3]
	s_and_saveexec_b64 s[2:3], s[4:5]
	s_cbranch_execz .LBB2581_138
; %bb.137:
	v_readfirstlane_b32 s4, v4
	v_readfirstlane_b32 s5, v1
	s_waitcnt lgkmcnt(14)
	s_nop 3
	global_store_short v30, v66, s[4:5]
.LBB2581_138:
	s_or_b64 exec, exec, s[2:3]
	v_cmp_gt_u32_e32 vcc, s33, v64
	v_cmp_ge_u32_e64 s[2:3], v64, v18
	s_and_b64 s[4:5], vcc, s[2:3]
	s_and_saveexec_b64 s[2:3], s[4:5]
	s_cbranch_execz .LBB2581_140
; %bb.139:
	v_readfirstlane_b32 s4, v4
	v_readfirstlane_b32 s5, v1
	s_waitcnt lgkmcnt(14)
	s_nop 3
	global_store_short v30, v65, s[4:5] offset:512
.LBB2581_140:
	s_or_b64 exec, exec, s[2:3]
	v_cmp_gt_u32_e32 vcc, s33, v62
	v_cmp_ge_u32_e64 s[2:3], v62, v18
	s_and_b64 s[4:5], vcc, s[2:3]
	s_and_saveexec_b64 s[2:3], s[4:5]
	s_cbranch_execz .LBB2581_142
; %bb.141:
	v_readfirstlane_b32 s4, v4
	v_readfirstlane_b32 s5, v1
	s_waitcnt lgkmcnt(14)
	s_nop 3
	global_store_short v30, v63, s[4:5] offset:1024
.LBB2581_142:
	;; [unrolled: 13-line block ×7, first 2 shown]
	s_or_b64 exec, exec, s[2:3]
	v_cmp_gt_u32_e32 vcc, s33, v50
	v_cmp_ge_u32_e64 s[2:3], v50, v18
	s_and_b64 s[4:5], vcc, s[2:3]
	s_and_saveexec_b64 s[2:3], s[4:5]
	s_cbranch_execz .LBB2581_154
; %bb.153:
	v_lshlrev_b32_e32 v0, 1, v50
	v_readfirstlane_b32 s4, v4
	v_readfirstlane_b32 s5, v1
	s_waitcnt lgkmcnt(14)
	s_nop 3
	global_store_short v0, v51, s[4:5]
.LBB2581_154:
	s_or_b64 exec, exec, s[2:3]
	v_cmp_gt_u32_e32 vcc, s33, v48
	v_cmp_ge_u32_e64 s[2:3], v48, v18
	s_and_b64 s[4:5], vcc, s[2:3]
	s_and_saveexec_b64 s[2:3], s[4:5]
	s_cbranch_execz .LBB2581_156
; %bb.155:
	v_lshlrev_b32_e32 v0, 1, v48
	v_readfirstlane_b32 s4, v4
	v_readfirstlane_b32 s5, v1
	s_waitcnt lgkmcnt(14)
	s_nop 3
	global_store_short v0, v49, s[4:5]
.LBB2581_156:
	;; [unrolled: 14-line block ×19, first 2 shown]
	s_or_b64 exec, exec, s[2:3]
	v_cmp_gt_u32_e32 vcc, s33, v6
	v_cmp_ge_u32_e64 s[2:3], v6, v18
	s_and_b64 s[2:3], vcc, s[2:3]
.LBB2581_191:
	s_and_saveexec_b64 s[4:5], s[2:3]
	s_cbranch_execnz .LBB2581_194
; %bb.192:
	s_or_b64 exec, exec, s[4:5]
	s_and_b64 s[0:1], s[0:1], s[22:23]
	s_and_saveexec_b64 s[2:3], s[0:1]
	s_cbranch_execnz .LBB2581_195
.LBB2581_193:
	s_endpgm
.LBB2581_194:
	v_lshlrev_b32_e32 v0, 1, v6
	v_readfirstlane_b32 s2, v4
	v_readfirstlane_b32 s3, v1
	s_waitcnt lgkmcnt(0)
	s_nop 3
	global_store_short v0, v5, s[2:3]
	s_or_b64 exec, exec, s[4:5]
	s_and_b64 s[0:1], s[0:1], s[22:23]
	s_and_saveexec_b64 s[2:3], s[0:1]
	s_cbranch_execz .LBB2581_193
.LBB2581_195:
	v_mov_b32_e32 v0, 0
	global_store_dwordx2 v0, v[2:3], s[20:21]
	s_endpgm
.LBB2581_196:
	v_readfirstlane_b32 s2, v4
	v_readfirstlane_b32 s3, v1
	s_waitcnt lgkmcnt(14)
	s_nop 3
	global_store_short v30, v66, s[2:3]
	s_or_b64 exec, exec, s[4:5]
	v_cmp_ge_u32_e32 vcc, v64, v18
	s_and_saveexec_b64 s[2:3], vcc
	s_cbranch_execz .LBB2581_108
.LBB2581_197:
	v_readfirstlane_b32 s4, v4
	v_readfirstlane_b32 s5, v1
	s_waitcnt lgkmcnt(14)
	s_nop 3
	global_store_short v30, v65, s[4:5] offset:512
	s_or_b64 exec, exec, s[2:3]
	v_cmp_ge_u32_e32 vcc, v62, v18
	s_and_saveexec_b64 s[2:3], vcc
	s_cbranch_execz .LBB2581_109
.LBB2581_198:
	v_readfirstlane_b32 s4, v4
	v_readfirstlane_b32 s5, v1
	s_waitcnt lgkmcnt(14)
	s_nop 3
	global_store_short v30, v63, s[4:5] offset:1024
	s_or_b64 exec, exec, s[2:3]
	v_cmp_ge_u32_e32 vcc, v60, v18
	s_and_saveexec_b64 s[2:3], vcc
	s_cbranch_execz .LBB2581_110
.LBB2581_199:
	v_readfirstlane_b32 s4, v4
	v_readfirstlane_b32 s5, v1
	s_waitcnt lgkmcnt(14)
	s_nop 3
	global_store_short v30, v61, s[4:5] offset:1536
	s_or_b64 exec, exec, s[2:3]
	v_cmp_ge_u32_e32 vcc, v59, v18
	s_and_saveexec_b64 s[2:3], vcc
	s_cbranch_execz .LBB2581_111
.LBB2581_200:
	v_readfirstlane_b32 s4, v4
	v_readfirstlane_b32 s5, v1
	s_waitcnt lgkmcnt(14)
	s_nop 3
	global_store_short v30, v58, s[4:5] offset:2048
	s_or_b64 exec, exec, s[2:3]
	v_cmp_ge_u32_e32 vcc, v57, v18
	s_and_saveexec_b64 s[2:3], vcc
	s_cbranch_execz .LBB2581_112
.LBB2581_201:
	v_readfirstlane_b32 s4, v4
	v_readfirstlane_b32 s5, v1
	s_waitcnt lgkmcnt(14)
	s_nop 3
	global_store_short v30, v56, s[4:5] offset:2560
	s_or_b64 exec, exec, s[2:3]
	v_cmp_ge_u32_e32 vcc, v55, v18
	s_and_saveexec_b64 s[2:3], vcc
	s_cbranch_execz .LBB2581_113
.LBB2581_202:
	v_readfirstlane_b32 s4, v4
	v_readfirstlane_b32 s5, v1
	s_waitcnt lgkmcnt(14)
	s_nop 3
	global_store_short v30, v54, s[4:5] offset:3072
	s_or_b64 exec, exec, s[2:3]
	v_cmp_ge_u32_e32 vcc, v53, v18
	s_and_saveexec_b64 s[2:3], vcc
	s_cbranch_execz .LBB2581_114
.LBB2581_203:
	v_readfirstlane_b32 s4, v4
	v_readfirstlane_b32 s5, v1
	s_waitcnt lgkmcnt(14)
	s_nop 3
	global_store_short v30, v52, s[4:5] offset:3584
	s_or_b64 exec, exec, s[2:3]
	v_cmp_ge_u32_e32 vcc, v50, v18
	s_and_saveexec_b64 s[2:3], vcc
	s_cbranch_execz .LBB2581_115
.LBB2581_204:
	v_lshlrev_b32_e32 v14, 1, v50
	v_readfirstlane_b32 s4, v4
	v_readfirstlane_b32 s5, v1
	s_waitcnt lgkmcnt(14)
	s_nop 3
	global_store_short v14, v51, s[4:5]
	s_or_b64 exec, exec, s[2:3]
	v_cmp_ge_u32_e32 vcc, v48, v18
	s_and_saveexec_b64 s[2:3], vcc
	s_cbranch_execz .LBB2581_116
.LBB2581_205:
	v_lshlrev_b32_e32 v14, 1, v48
	v_readfirstlane_b32 s4, v4
	v_readfirstlane_b32 s5, v1
	s_waitcnt lgkmcnt(14)
	s_nop 3
	global_store_short v14, v49, s[4:5]
	s_or_b64 exec, exec, s[2:3]
	v_cmp_ge_u32_e32 vcc, v46, v18
	s_and_saveexec_b64 s[2:3], vcc
	s_cbranch_execz .LBB2581_117
.LBB2581_206:
	v_lshlrev_b32_e32 v14, 1, v46
	v_readfirstlane_b32 s4, v4
	v_readfirstlane_b32 s5, v1
	s_waitcnt lgkmcnt(14)
	s_nop 3
	global_store_short v14, v47, s[4:5]
	s_or_b64 exec, exec, s[2:3]
	v_cmp_ge_u32_e32 vcc, v44, v18
	s_and_saveexec_b64 s[2:3], vcc
	s_cbranch_execz .LBB2581_118
.LBB2581_207:
	v_lshlrev_b32_e32 v14, 1, v44
	v_readfirstlane_b32 s4, v4
	v_readfirstlane_b32 s5, v1
	s_waitcnt lgkmcnt(14)
	s_nop 3
	global_store_short v14, v45, s[4:5]
	s_or_b64 exec, exec, s[2:3]
	v_cmp_ge_u32_e32 vcc, v42, v18
	s_and_saveexec_b64 s[2:3], vcc
	s_cbranch_execz .LBB2581_119
.LBB2581_208:
	v_lshlrev_b32_e32 v14, 1, v42
	v_readfirstlane_b32 s4, v4
	v_readfirstlane_b32 s5, v1
	s_waitcnt lgkmcnt(14)
	s_nop 3
	global_store_short v14, v43, s[4:5]
	s_or_b64 exec, exec, s[2:3]
	v_cmp_ge_u32_e32 vcc, v40, v18
	s_and_saveexec_b64 s[2:3], vcc
	s_cbranch_execz .LBB2581_120
.LBB2581_209:
	v_lshlrev_b32_e32 v14, 1, v40
	v_readfirstlane_b32 s4, v4
	v_readfirstlane_b32 s5, v1
	s_waitcnt lgkmcnt(14)
	s_nop 3
	global_store_short v14, v41, s[4:5]
	s_or_b64 exec, exec, s[2:3]
	v_cmp_ge_u32_e32 vcc, v38, v18
	s_and_saveexec_b64 s[2:3], vcc
	s_cbranch_execz .LBB2581_121
.LBB2581_210:
	v_lshlrev_b32_e32 v14, 1, v38
	v_readfirstlane_b32 s4, v4
	v_readfirstlane_b32 s5, v1
	s_waitcnt lgkmcnt(13)
	s_nop 3
	global_store_short v14, v39, s[4:5]
	s_or_b64 exec, exec, s[2:3]
	v_cmp_ge_u32_e32 vcc, v35, v18
	s_and_saveexec_b64 s[2:3], vcc
	s_cbranch_execz .LBB2581_122
.LBB2581_211:
	v_lshlrev_b32_e32 v14, 1, v35
	v_readfirstlane_b32 s4, v4
	v_readfirstlane_b32 s5, v1
	s_waitcnt lgkmcnt(12)
	s_nop 3
	global_store_short v14, v37, s[4:5]
	s_or_b64 exec, exec, s[2:3]
	v_cmp_ge_u32_e32 vcc, v34, v18
	s_and_saveexec_b64 s[2:3], vcc
	s_cbranch_execz .LBB2581_123
.LBB2581_212:
	v_lshlrev_b32_e32 v14, 1, v34
	v_readfirstlane_b32 s4, v4
	v_readfirstlane_b32 s5, v1
	s_waitcnt lgkmcnt(11)
	s_nop 3
	global_store_short v14, v36, s[4:5]
	s_or_b64 exec, exec, s[2:3]
	v_cmp_ge_u32_e32 vcc, v32, v18
	s_and_saveexec_b64 s[2:3], vcc
	s_cbranch_execz .LBB2581_124
.LBB2581_213:
	v_lshlrev_b32_e32 v14, 1, v32
	v_readfirstlane_b32 s4, v4
	v_readfirstlane_b32 s5, v1
	s_waitcnt lgkmcnt(10)
	s_nop 3
	global_store_short v14, v33, s[4:5]
	s_or_b64 exec, exec, s[2:3]
	v_cmp_ge_u32_e32 vcc, v29, v18
	s_and_saveexec_b64 s[2:3], vcc
	s_cbranch_execz .LBB2581_125
.LBB2581_214:
	v_lshlrev_b32_e32 v14, 1, v29
	v_readfirstlane_b32 s4, v4
	v_readfirstlane_b32 s5, v1
	s_waitcnt lgkmcnt(9)
	s_nop 3
	global_store_short v14, v31, s[4:5]
	s_or_b64 exec, exec, s[2:3]
	v_cmp_ge_u32_e32 vcc, v27, v18
	s_and_saveexec_b64 s[2:3], vcc
	s_cbranch_execz .LBB2581_126
.LBB2581_215:
	v_lshlrev_b32_e32 v14, 1, v27
	v_readfirstlane_b32 s4, v4
	v_readfirstlane_b32 s5, v1
	s_waitcnt lgkmcnt(8)
	s_nop 3
	global_store_short v14, v28, s[4:5]
	s_or_b64 exec, exec, s[2:3]
	v_cmp_ge_u32_e32 vcc, v25, v18
	s_and_saveexec_b64 s[2:3], vcc
	s_cbranch_execz .LBB2581_127
.LBB2581_216:
	v_lshlrev_b32_e32 v14, 1, v25
	v_readfirstlane_b32 s4, v4
	v_readfirstlane_b32 s5, v1
	s_waitcnt lgkmcnt(7)
	s_nop 3
	global_store_short v14, v26, s[4:5]
	s_or_b64 exec, exec, s[2:3]
	v_cmp_ge_u32_e32 vcc, v23, v18
	s_and_saveexec_b64 s[2:3], vcc
	s_cbranch_execz .LBB2581_128
.LBB2581_217:
	v_lshlrev_b32_e32 v14, 1, v23
	v_readfirstlane_b32 s4, v4
	v_readfirstlane_b32 s5, v1
	s_waitcnt lgkmcnt(6)
	s_nop 3
	global_store_short v14, v24, s[4:5]
	s_or_b64 exec, exec, s[2:3]
	v_cmp_ge_u32_e32 vcc, v21, v18
	s_and_saveexec_b64 s[2:3], vcc
	s_cbranch_execz .LBB2581_129
.LBB2581_218:
	v_lshlrev_b32_e32 v14, 1, v21
	v_readfirstlane_b32 s4, v4
	v_readfirstlane_b32 s5, v1
	s_waitcnt lgkmcnt(5)
	s_nop 3
	global_store_short v14, v22, s[4:5]
	s_or_b64 exec, exec, s[2:3]
	v_cmp_ge_u32_e32 vcc, v13, v18
	s_and_saveexec_b64 s[2:3], vcc
	s_cbranch_execz .LBB2581_130
.LBB2581_219:
	v_lshlrev_b32_e32 v14, 1, v13
	v_readfirstlane_b32 s4, v4
	v_readfirstlane_b32 s5, v1
	s_waitcnt lgkmcnt(4)
	s_nop 3
	global_store_short v14, v20, s[4:5]
	s_or_b64 exec, exec, s[2:3]
	v_cmp_ge_u32_e32 vcc, v11, v18
	s_and_saveexec_b64 s[2:3], vcc
	s_cbranch_execz .LBB2581_131
.LBB2581_220:
	v_lshlrev_b32_e32 v14, 1, v11
	v_readfirstlane_b32 s4, v4
	v_readfirstlane_b32 s5, v1
	s_waitcnt lgkmcnt(3)
	s_nop 3
	global_store_short v14, v12, s[4:5]
	s_or_b64 exec, exec, s[2:3]
	v_cmp_ge_u32_e32 vcc, v9, v18
	s_and_saveexec_b64 s[2:3], vcc
	s_cbranch_execz .LBB2581_132
.LBB2581_221:
	v_lshlrev_b32_e32 v14, 1, v9
	v_readfirstlane_b32 s4, v4
	v_readfirstlane_b32 s5, v1
	s_waitcnt lgkmcnt(2)
	s_nop 3
	global_store_short v14, v10, s[4:5]
	s_or_b64 exec, exec, s[2:3]
	v_cmp_ge_u32_e32 vcc, v8, v18
	s_and_saveexec_b64 s[2:3], vcc
	s_cbranch_execnz .LBB2581_133
	s_branch .LBB2581_134
	.section	.rodata,"a",@progbits
	.p2align	6, 0x0
	.amdhsa_kernel _ZN7rocprim17ROCPRIM_400000_NS6detail17trampoline_kernelINS0_14default_configENS1_25partition_config_selectorILNS1_17partition_subalgoE0EtNS0_10empty_typeEbEEZZNS1_14partition_implILS5_0ELb0ES3_jN6thrust23THRUST_200600_302600_NS6detail15normal_iteratorINSA_10device_ptrItEEEEPS6_SG_NS0_5tupleIJNSA_16discard_iteratorINSA_11use_defaultEEESF_EEENSH_IJSG_SG_EEES6_PlJ7is_evenItEEEE10hipError_tPvRmT3_T4_T5_T6_T7_T9_mT8_P12ihipStream_tbDpT10_ENKUlT_T0_E_clISt17integral_constantIbLb0EES18_IbLb1EEEEDaS14_S15_EUlS14_E_NS1_11comp_targetILNS1_3genE4ELNS1_11target_archE910ELNS1_3gpuE8ELNS1_3repE0EEENS1_30default_config_static_selectorELNS0_4arch9wavefront6targetE1EEEvT1_
		.amdhsa_group_segment_fixed_size 14344
		.amdhsa_private_segment_fixed_size 0
		.amdhsa_kernarg_size 144
		.amdhsa_user_sgpr_count 6
		.amdhsa_user_sgpr_private_segment_buffer 1
		.amdhsa_user_sgpr_dispatch_ptr 0
		.amdhsa_user_sgpr_queue_ptr 0
		.amdhsa_user_sgpr_kernarg_segment_ptr 1
		.amdhsa_user_sgpr_dispatch_id 0
		.amdhsa_user_sgpr_flat_scratch_init 0
		.amdhsa_user_sgpr_kernarg_preload_length 0
		.amdhsa_user_sgpr_kernarg_preload_offset 0
		.amdhsa_user_sgpr_private_segment_size 0
		.amdhsa_uses_dynamic_stack 0
		.amdhsa_system_sgpr_private_segment_wavefront_offset 0
		.amdhsa_system_sgpr_workgroup_id_x 1
		.amdhsa_system_sgpr_workgroup_id_y 0
		.amdhsa_system_sgpr_workgroup_id_z 0
		.amdhsa_system_sgpr_workgroup_info 0
		.amdhsa_system_vgpr_workitem_id 0
		.amdhsa_next_free_vgpr 118
		.amdhsa_next_free_sgpr 42
		.amdhsa_accum_offset 120
		.amdhsa_reserve_vcc 1
		.amdhsa_reserve_flat_scratch 0
		.amdhsa_float_round_mode_32 0
		.amdhsa_float_round_mode_16_64 0
		.amdhsa_float_denorm_mode_32 3
		.amdhsa_float_denorm_mode_16_64 3
		.amdhsa_dx10_clamp 1
		.amdhsa_ieee_mode 1
		.amdhsa_fp16_overflow 0
		.amdhsa_tg_split 0
		.amdhsa_exception_fp_ieee_invalid_op 0
		.amdhsa_exception_fp_denorm_src 0
		.amdhsa_exception_fp_ieee_div_zero 0
		.amdhsa_exception_fp_ieee_overflow 0
		.amdhsa_exception_fp_ieee_underflow 0
		.amdhsa_exception_fp_ieee_inexact 0
		.amdhsa_exception_int_div_zero 0
	.end_amdhsa_kernel
	.section	.text._ZN7rocprim17ROCPRIM_400000_NS6detail17trampoline_kernelINS0_14default_configENS1_25partition_config_selectorILNS1_17partition_subalgoE0EtNS0_10empty_typeEbEEZZNS1_14partition_implILS5_0ELb0ES3_jN6thrust23THRUST_200600_302600_NS6detail15normal_iteratorINSA_10device_ptrItEEEEPS6_SG_NS0_5tupleIJNSA_16discard_iteratorINSA_11use_defaultEEESF_EEENSH_IJSG_SG_EEES6_PlJ7is_evenItEEEE10hipError_tPvRmT3_T4_T5_T6_T7_T9_mT8_P12ihipStream_tbDpT10_ENKUlT_T0_E_clISt17integral_constantIbLb0EES18_IbLb1EEEEDaS14_S15_EUlS14_E_NS1_11comp_targetILNS1_3genE4ELNS1_11target_archE910ELNS1_3gpuE8ELNS1_3repE0EEENS1_30default_config_static_selectorELNS0_4arch9wavefront6targetE1EEEvT1_,"axG",@progbits,_ZN7rocprim17ROCPRIM_400000_NS6detail17trampoline_kernelINS0_14default_configENS1_25partition_config_selectorILNS1_17partition_subalgoE0EtNS0_10empty_typeEbEEZZNS1_14partition_implILS5_0ELb0ES3_jN6thrust23THRUST_200600_302600_NS6detail15normal_iteratorINSA_10device_ptrItEEEEPS6_SG_NS0_5tupleIJNSA_16discard_iteratorINSA_11use_defaultEEESF_EEENSH_IJSG_SG_EEES6_PlJ7is_evenItEEEE10hipError_tPvRmT3_T4_T5_T6_T7_T9_mT8_P12ihipStream_tbDpT10_ENKUlT_T0_E_clISt17integral_constantIbLb0EES18_IbLb1EEEEDaS14_S15_EUlS14_E_NS1_11comp_targetILNS1_3genE4ELNS1_11target_archE910ELNS1_3gpuE8ELNS1_3repE0EEENS1_30default_config_static_selectorELNS0_4arch9wavefront6targetE1EEEvT1_,comdat
.Lfunc_end2581:
	.size	_ZN7rocprim17ROCPRIM_400000_NS6detail17trampoline_kernelINS0_14default_configENS1_25partition_config_selectorILNS1_17partition_subalgoE0EtNS0_10empty_typeEbEEZZNS1_14partition_implILS5_0ELb0ES3_jN6thrust23THRUST_200600_302600_NS6detail15normal_iteratorINSA_10device_ptrItEEEEPS6_SG_NS0_5tupleIJNSA_16discard_iteratorINSA_11use_defaultEEESF_EEENSH_IJSG_SG_EEES6_PlJ7is_evenItEEEE10hipError_tPvRmT3_T4_T5_T6_T7_T9_mT8_P12ihipStream_tbDpT10_ENKUlT_T0_E_clISt17integral_constantIbLb0EES18_IbLb1EEEEDaS14_S15_EUlS14_E_NS1_11comp_targetILNS1_3genE4ELNS1_11target_archE910ELNS1_3gpuE8ELNS1_3repE0EEENS1_30default_config_static_selectorELNS0_4arch9wavefront6targetE1EEEvT1_, .Lfunc_end2581-_ZN7rocprim17ROCPRIM_400000_NS6detail17trampoline_kernelINS0_14default_configENS1_25partition_config_selectorILNS1_17partition_subalgoE0EtNS0_10empty_typeEbEEZZNS1_14partition_implILS5_0ELb0ES3_jN6thrust23THRUST_200600_302600_NS6detail15normal_iteratorINSA_10device_ptrItEEEEPS6_SG_NS0_5tupleIJNSA_16discard_iteratorINSA_11use_defaultEEESF_EEENSH_IJSG_SG_EEES6_PlJ7is_evenItEEEE10hipError_tPvRmT3_T4_T5_T6_T7_T9_mT8_P12ihipStream_tbDpT10_ENKUlT_T0_E_clISt17integral_constantIbLb0EES18_IbLb1EEEEDaS14_S15_EUlS14_E_NS1_11comp_targetILNS1_3genE4ELNS1_11target_archE910ELNS1_3gpuE8ELNS1_3repE0EEENS1_30default_config_static_selectorELNS0_4arch9wavefront6targetE1EEEvT1_
                                        ; -- End function
	.section	.AMDGPU.csdata,"",@progbits
; Kernel info:
; codeLenInByte = 10236
; NumSgprs: 46
; NumVgprs: 118
; NumAgprs: 0
; TotalNumVgprs: 118
; ScratchSize: 0
; MemoryBound: 0
; FloatMode: 240
; IeeeMode: 1
; LDSByteSize: 14344 bytes/workgroup (compile time only)
; SGPRBlocks: 5
; VGPRBlocks: 14
; NumSGPRsForWavesPerEU: 46
; NumVGPRsForWavesPerEU: 118
; AccumOffset: 120
; Occupancy: 4
; WaveLimiterHint : 1
; COMPUTE_PGM_RSRC2:SCRATCH_EN: 0
; COMPUTE_PGM_RSRC2:USER_SGPR: 6
; COMPUTE_PGM_RSRC2:TRAP_HANDLER: 0
; COMPUTE_PGM_RSRC2:TGID_X_EN: 1
; COMPUTE_PGM_RSRC2:TGID_Y_EN: 0
; COMPUTE_PGM_RSRC2:TGID_Z_EN: 0
; COMPUTE_PGM_RSRC2:TIDIG_COMP_CNT: 0
; COMPUTE_PGM_RSRC3_GFX90A:ACCUM_OFFSET: 29
; COMPUTE_PGM_RSRC3_GFX90A:TG_SPLIT: 0
	.section	.text._ZN7rocprim17ROCPRIM_400000_NS6detail17trampoline_kernelINS0_14default_configENS1_25partition_config_selectorILNS1_17partition_subalgoE0EtNS0_10empty_typeEbEEZZNS1_14partition_implILS5_0ELb0ES3_jN6thrust23THRUST_200600_302600_NS6detail15normal_iteratorINSA_10device_ptrItEEEEPS6_SG_NS0_5tupleIJNSA_16discard_iteratorINSA_11use_defaultEEESF_EEENSH_IJSG_SG_EEES6_PlJ7is_evenItEEEE10hipError_tPvRmT3_T4_T5_T6_T7_T9_mT8_P12ihipStream_tbDpT10_ENKUlT_T0_E_clISt17integral_constantIbLb0EES18_IbLb1EEEEDaS14_S15_EUlS14_E_NS1_11comp_targetILNS1_3genE3ELNS1_11target_archE908ELNS1_3gpuE7ELNS1_3repE0EEENS1_30default_config_static_selectorELNS0_4arch9wavefront6targetE1EEEvT1_,"axG",@progbits,_ZN7rocprim17ROCPRIM_400000_NS6detail17trampoline_kernelINS0_14default_configENS1_25partition_config_selectorILNS1_17partition_subalgoE0EtNS0_10empty_typeEbEEZZNS1_14partition_implILS5_0ELb0ES3_jN6thrust23THRUST_200600_302600_NS6detail15normal_iteratorINSA_10device_ptrItEEEEPS6_SG_NS0_5tupleIJNSA_16discard_iteratorINSA_11use_defaultEEESF_EEENSH_IJSG_SG_EEES6_PlJ7is_evenItEEEE10hipError_tPvRmT3_T4_T5_T6_T7_T9_mT8_P12ihipStream_tbDpT10_ENKUlT_T0_E_clISt17integral_constantIbLb0EES18_IbLb1EEEEDaS14_S15_EUlS14_E_NS1_11comp_targetILNS1_3genE3ELNS1_11target_archE908ELNS1_3gpuE7ELNS1_3repE0EEENS1_30default_config_static_selectorELNS0_4arch9wavefront6targetE1EEEvT1_,comdat
	.protected	_ZN7rocprim17ROCPRIM_400000_NS6detail17trampoline_kernelINS0_14default_configENS1_25partition_config_selectorILNS1_17partition_subalgoE0EtNS0_10empty_typeEbEEZZNS1_14partition_implILS5_0ELb0ES3_jN6thrust23THRUST_200600_302600_NS6detail15normal_iteratorINSA_10device_ptrItEEEEPS6_SG_NS0_5tupleIJNSA_16discard_iteratorINSA_11use_defaultEEESF_EEENSH_IJSG_SG_EEES6_PlJ7is_evenItEEEE10hipError_tPvRmT3_T4_T5_T6_T7_T9_mT8_P12ihipStream_tbDpT10_ENKUlT_T0_E_clISt17integral_constantIbLb0EES18_IbLb1EEEEDaS14_S15_EUlS14_E_NS1_11comp_targetILNS1_3genE3ELNS1_11target_archE908ELNS1_3gpuE7ELNS1_3repE0EEENS1_30default_config_static_selectorELNS0_4arch9wavefront6targetE1EEEvT1_ ; -- Begin function _ZN7rocprim17ROCPRIM_400000_NS6detail17trampoline_kernelINS0_14default_configENS1_25partition_config_selectorILNS1_17partition_subalgoE0EtNS0_10empty_typeEbEEZZNS1_14partition_implILS5_0ELb0ES3_jN6thrust23THRUST_200600_302600_NS6detail15normal_iteratorINSA_10device_ptrItEEEEPS6_SG_NS0_5tupleIJNSA_16discard_iteratorINSA_11use_defaultEEESF_EEENSH_IJSG_SG_EEES6_PlJ7is_evenItEEEE10hipError_tPvRmT3_T4_T5_T6_T7_T9_mT8_P12ihipStream_tbDpT10_ENKUlT_T0_E_clISt17integral_constantIbLb0EES18_IbLb1EEEEDaS14_S15_EUlS14_E_NS1_11comp_targetILNS1_3genE3ELNS1_11target_archE908ELNS1_3gpuE7ELNS1_3repE0EEENS1_30default_config_static_selectorELNS0_4arch9wavefront6targetE1EEEvT1_
	.globl	_ZN7rocprim17ROCPRIM_400000_NS6detail17trampoline_kernelINS0_14default_configENS1_25partition_config_selectorILNS1_17partition_subalgoE0EtNS0_10empty_typeEbEEZZNS1_14partition_implILS5_0ELb0ES3_jN6thrust23THRUST_200600_302600_NS6detail15normal_iteratorINSA_10device_ptrItEEEEPS6_SG_NS0_5tupleIJNSA_16discard_iteratorINSA_11use_defaultEEESF_EEENSH_IJSG_SG_EEES6_PlJ7is_evenItEEEE10hipError_tPvRmT3_T4_T5_T6_T7_T9_mT8_P12ihipStream_tbDpT10_ENKUlT_T0_E_clISt17integral_constantIbLb0EES18_IbLb1EEEEDaS14_S15_EUlS14_E_NS1_11comp_targetILNS1_3genE3ELNS1_11target_archE908ELNS1_3gpuE7ELNS1_3repE0EEENS1_30default_config_static_selectorELNS0_4arch9wavefront6targetE1EEEvT1_
	.p2align	8
	.type	_ZN7rocprim17ROCPRIM_400000_NS6detail17trampoline_kernelINS0_14default_configENS1_25partition_config_selectorILNS1_17partition_subalgoE0EtNS0_10empty_typeEbEEZZNS1_14partition_implILS5_0ELb0ES3_jN6thrust23THRUST_200600_302600_NS6detail15normal_iteratorINSA_10device_ptrItEEEEPS6_SG_NS0_5tupleIJNSA_16discard_iteratorINSA_11use_defaultEEESF_EEENSH_IJSG_SG_EEES6_PlJ7is_evenItEEEE10hipError_tPvRmT3_T4_T5_T6_T7_T9_mT8_P12ihipStream_tbDpT10_ENKUlT_T0_E_clISt17integral_constantIbLb0EES18_IbLb1EEEEDaS14_S15_EUlS14_E_NS1_11comp_targetILNS1_3genE3ELNS1_11target_archE908ELNS1_3gpuE7ELNS1_3repE0EEENS1_30default_config_static_selectorELNS0_4arch9wavefront6targetE1EEEvT1_,@function
_ZN7rocprim17ROCPRIM_400000_NS6detail17trampoline_kernelINS0_14default_configENS1_25partition_config_selectorILNS1_17partition_subalgoE0EtNS0_10empty_typeEbEEZZNS1_14partition_implILS5_0ELb0ES3_jN6thrust23THRUST_200600_302600_NS6detail15normal_iteratorINSA_10device_ptrItEEEEPS6_SG_NS0_5tupleIJNSA_16discard_iteratorINSA_11use_defaultEEESF_EEENSH_IJSG_SG_EEES6_PlJ7is_evenItEEEE10hipError_tPvRmT3_T4_T5_T6_T7_T9_mT8_P12ihipStream_tbDpT10_ENKUlT_T0_E_clISt17integral_constantIbLb0EES18_IbLb1EEEEDaS14_S15_EUlS14_E_NS1_11comp_targetILNS1_3genE3ELNS1_11target_archE908ELNS1_3gpuE7ELNS1_3repE0EEENS1_30default_config_static_selectorELNS0_4arch9wavefront6targetE1EEEvT1_: ; @_ZN7rocprim17ROCPRIM_400000_NS6detail17trampoline_kernelINS0_14default_configENS1_25partition_config_selectorILNS1_17partition_subalgoE0EtNS0_10empty_typeEbEEZZNS1_14partition_implILS5_0ELb0ES3_jN6thrust23THRUST_200600_302600_NS6detail15normal_iteratorINSA_10device_ptrItEEEEPS6_SG_NS0_5tupleIJNSA_16discard_iteratorINSA_11use_defaultEEESF_EEENSH_IJSG_SG_EEES6_PlJ7is_evenItEEEE10hipError_tPvRmT3_T4_T5_T6_T7_T9_mT8_P12ihipStream_tbDpT10_ENKUlT_T0_E_clISt17integral_constantIbLb0EES18_IbLb1EEEEDaS14_S15_EUlS14_E_NS1_11comp_targetILNS1_3genE3ELNS1_11target_archE908ELNS1_3gpuE7ELNS1_3repE0EEENS1_30default_config_static_selectorELNS0_4arch9wavefront6targetE1EEEvT1_
; %bb.0:
	.section	.rodata,"a",@progbits
	.p2align	6, 0x0
	.amdhsa_kernel _ZN7rocprim17ROCPRIM_400000_NS6detail17trampoline_kernelINS0_14default_configENS1_25partition_config_selectorILNS1_17partition_subalgoE0EtNS0_10empty_typeEbEEZZNS1_14partition_implILS5_0ELb0ES3_jN6thrust23THRUST_200600_302600_NS6detail15normal_iteratorINSA_10device_ptrItEEEEPS6_SG_NS0_5tupleIJNSA_16discard_iteratorINSA_11use_defaultEEESF_EEENSH_IJSG_SG_EEES6_PlJ7is_evenItEEEE10hipError_tPvRmT3_T4_T5_T6_T7_T9_mT8_P12ihipStream_tbDpT10_ENKUlT_T0_E_clISt17integral_constantIbLb0EES18_IbLb1EEEEDaS14_S15_EUlS14_E_NS1_11comp_targetILNS1_3genE3ELNS1_11target_archE908ELNS1_3gpuE7ELNS1_3repE0EEENS1_30default_config_static_selectorELNS0_4arch9wavefront6targetE1EEEvT1_
		.amdhsa_group_segment_fixed_size 0
		.amdhsa_private_segment_fixed_size 0
		.amdhsa_kernarg_size 144
		.amdhsa_user_sgpr_count 6
		.amdhsa_user_sgpr_private_segment_buffer 1
		.amdhsa_user_sgpr_dispatch_ptr 0
		.amdhsa_user_sgpr_queue_ptr 0
		.amdhsa_user_sgpr_kernarg_segment_ptr 1
		.amdhsa_user_sgpr_dispatch_id 0
		.amdhsa_user_sgpr_flat_scratch_init 0
		.amdhsa_user_sgpr_kernarg_preload_length 0
		.amdhsa_user_sgpr_kernarg_preload_offset 0
		.amdhsa_user_sgpr_private_segment_size 0
		.amdhsa_uses_dynamic_stack 0
		.amdhsa_system_sgpr_private_segment_wavefront_offset 0
		.amdhsa_system_sgpr_workgroup_id_x 1
		.amdhsa_system_sgpr_workgroup_id_y 0
		.amdhsa_system_sgpr_workgroup_id_z 0
		.amdhsa_system_sgpr_workgroup_info 0
		.amdhsa_system_vgpr_workitem_id 0
		.amdhsa_next_free_vgpr 1
		.amdhsa_next_free_sgpr 0
		.amdhsa_accum_offset 4
		.amdhsa_reserve_vcc 0
		.amdhsa_reserve_flat_scratch 0
		.amdhsa_float_round_mode_32 0
		.amdhsa_float_round_mode_16_64 0
		.amdhsa_float_denorm_mode_32 3
		.amdhsa_float_denorm_mode_16_64 3
		.amdhsa_dx10_clamp 1
		.amdhsa_ieee_mode 1
		.amdhsa_fp16_overflow 0
		.amdhsa_tg_split 0
		.amdhsa_exception_fp_ieee_invalid_op 0
		.amdhsa_exception_fp_denorm_src 0
		.amdhsa_exception_fp_ieee_div_zero 0
		.amdhsa_exception_fp_ieee_overflow 0
		.amdhsa_exception_fp_ieee_underflow 0
		.amdhsa_exception_fp_ieee_inexact 0
		.amdhsa_exception_int_div_zero 0
	.end_amdhsa_kernel
	.section	.text._ZN7rocprim17ROCPRIM_400000_NS6detail17trampoline_kernelINS0_14default_configENS1_25partition_config_selectorILNS1_17partition_subalgoE0EtNS0_10empty_typeEbEEZZNS1_14partition_implILS5_0ELb0ES3_jN6thrust23THRUST_200600_302600_NS6detail15normal_iteratorINSA_10device_ptrItEEEEPS6_SG_NS0_5tupleIJNSA_16discard_iteratorINSA_11use_defaultEEESF_EEENSH_IJSG_SG_EEES6_PlJ7is_evenItEEEE10hipError_tPvRmT3_T4_T5_T6_T7_T9_mT8_P12ihipStream_tbDpT10_ENKUlT_T0_E_clISt17integral_constantIbLb0EES18_IbLb1EEEEDaS14_S15_EUlS14_E_NS1_11comp_targetILNS1_3genE3ELNS1_11target_archE908ELNS1_3gpuE7ELNS1_3repE0EEENS1_30default_config_static_selectorELNS0_4arch9wavefront6targetE1EEEvT1_,"axG",@progbits,_ZN7rocprim17ROCPRIM_400000_NS6detail17trampoline_kernelINS0_14default_configENS1_25partition_config_selectorILNS1_17partition_subalgoE0EtNS0_10empty_typeEbEEZZNS1_14partition_implILS5_0ELb0ES3_jN6thrust23THRUST_200600_302600_NS6detail15normal_iteratorINSA_10device_ptrItEEEEPS6_SG_NS0_5tupleIJNSA_16discard_iteratorINSA_11use_defaultEEESF_EEENSH_IJSG_SG_EEES6_PlJ7is_evenItEEEE10hipError_tPvRmT3_T4_T5_T6_T7_T9_mT8_P12ihipStream_tbDpT10_ENKUlT_T0_E_clISt17integral_constantIbLb0EES18_IbLb1EEEEDaS14_S15_EUlS14_E_NS1_11comp_targetILNS1_3genE3ELNS1_11target_archE908ELNS1_3gpuE7ELNS1_3repE0EEENS1_30default_config_static_selectorELNS0_4arch9wavefront6targetE1EEEvT1_,comdat
.Lfunc_end2582:
	.size	_ZN7rocprim17ROCPRIM_400000_NS6detail17trampoline_kernelINS0_14default_configENS1_25partition_config_selectorILNS1_17partition_subalgoE0EtNS0_10empty_typeEbEEZZNS1_14partition_implILS5_0ELb0ES3_jN6thrust23THRUST_200600_302600_NS6detail15normal_iteratorINSA_10device_ptrItEEEEPS6_SG_NS0_5tupleIJNSA_16discard_iteratorINSA_11use_defaultEEESF_EEENSH_IJSG_SG_EEES6_PlJ7is_evenItEEEE10hipError_tPvRmT3_T4_T5_T6_T7_T9_mT8_P12ihipStream_tbDpT10_ENKUlT_T0_E_clISt17integral_constantIbLb0EES18_IbLb1EEEEDaS14_S15_EUlS14_E_NS1_11comp_targetILNS1_3genE3ELNS1_11target_archE908ELNS1_3gpuE7ELNS1_3repE0EEENS1_30default_config_static_selectorELNS0_4arch9wavefront6targetE1EEEvT1_, .Lfunc_end2582-_ZN7rocprim17ROCPRIM_400000_NS6detail17trampoline_kernelINS0_14default_configENS1_25partition_config_selectorILNS1_17partition_subalgoE0EtNS0_10empty_typeEbEEZZNS1_14partition_implILS5_0ELb0ES3_jN6thrust23THRUST_200600_302600_NS6detail15normal_iteratorINSA_10device_ptrItEEEEPS6_SG_NS0_5tupleIJNSA_16discard_iteratorINSA_11use_defaultEEESF_EEENSH_IJSG_SG_EEES6_PlJ7is_evenItEEEE10hipError_tPvRmT3_T4_T5_T6_T7_T9_mT8_P12ihipStream_tbDpT10_ENKUlT_T0_E_clISt17integral_constantIbLb0EES18_IbLb1EEEEDaS14_S15_EUlS14_E_NS1_11comp_targetILNS1_3genE3ELNS1_11target_archE908ELNS1_3gpuE7ELNS1_3repE0EEENS1_30default_config_static_selectorELNS0_4arch9wavefront6targetE1EEEvT1_
                                        ; -- End function
	.section	.AMDGPU.csdata,"",@progbits
; Kernel info:
; codeLenInByte = 0
; NumSgprs: 4
; NumVgprs: 0
; NumAgprs: 0
; TotalNumVgprs: 0
; ScratchSize: 0
; MemoryBound: 0
; FloatMode: 240
; IeeeMode: 1
; LDSByteSize: 0 bytes/workgroup (compile time only)
; SGPRBlocks: 0
; VGPRBlocks: 0
; NumSGPRsForWavesPerEU: 4
; NumVGPRsForWavesPerEU: 1
; AccumOffset: 4
; Occupancy: 8
; WaveLimiterHint : 0
; COMPUTE_PGM_RSRC2:SCRATCH_EN: 0
; COMPUTE_PGM_RSRC2:USER_SGPR: 6
; COMPUTE_PGM_RSRC2:TRAP_HANDLER: 0
; COMPUTE_PGM_RSRC2:TGID_X_EN: 1
; COMPUTE_PGM_RSRC2:TGID_Y_EN: 0
; COMPUTE_PGM_RSRC2:TGID_Z_EN: 0
; COMPUTE_PGM_RSRC2:TIDIG_COMP_CNT: 0
; COMPUTE_PGM_RSRC3_GFX90A:ACCUM_OFFSET: 0
; COMPUTE_PGM_RSRC3_GFX90A:TG_SPLIT: 0
	.section	.text._ZN7rocprim17ROCPRIM_400000_NS6detail17trampoline_kernelINS0_14default_configENS1_25partition_config_selectorILNS1_17partition_subalgoE0EtNS0_10empty_typeEbEEZZNS1_14partition_implILS5_0ELb0ES3_jN6thrust23THRUST_200600_302600_NS6detail15normal_iteratorINSA_10device_ptrItEEEEPS6_SG_NS0_5tupleIJNSA_16discard_iteratorINSA_11use_defaultEEESF_EEENSH_IJSG_SG_EEES6_PlJ7is_evenItEEEE10hipError_tPvRmT3_T4_T5_T6_T7_T9_mT8_P12ihipStream_tbDpT10_ENKUlT_T0_E_clISt17integral_constantIbLb0EES18_IbLb1EEEEDaS14_S15_EUlS14_E_NS1_11comp_targetILNS1_3genE2ELNS1_11target_archE906ELNS1_3gpuE6ELNS1_3repE0EEENS1_30default_config_static_selectorELNS0_4arch9wavefront6targetE1EEEvT1_,"axG",@progbits,_ZN7rocprim17ROCPRIM_400000_NS6detail17trampoline_kernelINS0_14default_configENS1_25partition_config_selectorILNS1_17partition_subalgoE0EtNS0_10empty_typeEbEEZZNS1_14partition_implILS5_0ELb0ES3_jN6thrust23THRUST_200600_302600_NS6detail15normal_iteratorINSA_10device_ptrItEEEEPS6_SG_NS0_5tupleIJNSA_16discard_iteratorINSA_11use_defaultEEESF_EEENSH_IJSG_SG_EEES6_PlJ7is_evenItEEEE10hipError_tPvRmT3_T4_T5_T6_T7_T9_mT8_P12ihipStream_tbDpT10_ENKUlT_T0_E_clISt17integral_constantIbLb0EES18_IbLb1EEEEDaS14_S15_EUlS14_E_NS1_11comp_targetILNS1_3genE2ELNS1_11target_archE906ELNS1_3gpuE6ELNS1_3repE0EEENS1_30default_config_static_selectorELNS0_4arch9wavefront6targetE1EEEvT1_,comdat
	.protected	_ZN7rocprim17ROCPRIM_400000_NS6detail17trampoline_kernelINS0_14default_configENS1_25partition_config_selectorILNS1_17partition_subalgoE0EtNS0_10empty_typeEbEEZZNS1_14partition_implILS5_0ELb0ES3_jN6thrust23THRUST_200600_302600_NS6detail15normal_iteratorINSA_10device_ptrItEEEEPS6_SG_NS0_5tupleIJNSA_16discard_iteratorINSA_11use_defaultEEESF_EEENSH_IJSG_SG_EEES6_PlJ7is_evenItEEEE10hipError_tPvRmT3_T4_T5_T6_T7_T9_mT8_P12ihipStream_tbDpT10_ENKUlT_T0_E_clISt17integral_constantIbLb0EES18_IbLb1EEEEDaS14_S15_EUlS14_E_NS1_11comp_targetILNS1_3genE2ELNS1_11target_archE906ELNS1_3gpuE6ELNS1_3repE0EEENS1_30default_config_static_selectorELNS0_4arch9wavefront6targetE1EEEvT1_ ; -- Begin function _ZN7rocprim17ROCPRIM_400000_NS6detail17trampoline_kernelINS0_14default_configENS1_25partition_config_selectorILNS1_17partition_subalgoE0EtNS0_10empty_typeEbEEZZNS1_14partition_implILS5_0ELb0ES3_jN6thrust23THRUST_200600_302600_NS6detail15normal_iteratorINSA_10device_ptrItEEEEPS6_SG_NS0_5tupleIJNSA_16discard_iteratorINSA_11use_defaultEEESF_EEENSH_IJSG_SG_EEES6_PlJ7is_evenItEEEE10hipError_tPvRmT3_T4_T5_T6_T7_T9_mT8_P12ihipStream_tbDpT10_ENKUlT_T0_E_clISt17integral_constantIbLb0EES18_IbLb1EEEEDaS14_S15_EUlS14_E_NS1_11comp_targetILNS1_3genE2ELNS1_11target_archE906ELNS1_3gpuE6ELNS1_3repE0EEENS1_30default_config_static_selectorELNS0_4arch9wavefront6targetE1EEEvT1_
	.globl	_ZN7rocprim17ROCPRIM_400000_NS6detail17trampoline_kernelINS0_14default_configENS1_25partition_config_selectorILNS1_17partition_subalgoE0EtNS0_10empty_typeEbEEZZNS1_14partition_implILS5_0ELb0ES3_jN6thrust23THRUST_200600_302600_NS6detail15normal_iteratorINSA_10device_ptrItEEEEPS6_SG_NS0_5tupleIJNSA_16discard_iteratorINSA_11use_defaultEEESF_EEENSH_IJSG_SG_EEES6_PlJ7is_evenItEEEE10hipError_tPvRmT3_T4_T5_T6_T7_T9_mT8_P12ihipStream_tbDpT10_ENKUlT_T0_E_clISt17integral_constantIbLb0EES18_IbLb1EEEEDaS14_S15_EUlS14_E_NS1_11comp_targetILNS1_3genE2ELNS1_11target_archE906ELNS1_3gpuE6ELNS1_3repE0EEENS1_30default_config_static_selectorELNS0_4arch9wavefront6targetE1EEEvT1_
	.p2align	8
	.type	_ZN7rocprim17ROCPRIM_400000_NS6detail17trampoline_kernelINS0_14default_configENS1_25partition_config_selectorILNS1_17partition_subalgoE0EtNS0_10empty_typeEbEEZZNS1_14partition_implILS5_0ELb0ES3_jN6thrust23THRUST_200600_302600_NS6detail15normal_iteratorINSA_10device_ptrItEEEEPS6_SG_NS0_5tupleIJNSA_16discard_iteratorINSA_11use_defaultEEESF_EEENSH_IJSG_SG_EEES6_PlJ7is_evenItEEEE10hipError_tPvRmT3_T4_T5_T6_T7_T9_mT8_P12ihipStream_tbDpT10_ENKUlT_T0_E_clISt17integral_constantIbLb0EES18_IbLb1EEEEDaS14_S15_EUlS14_E_NS1_11comp_targetILNS1_3genE2ELNS1_11target_archE906ELNS1_3gpuE6ELNS1_3repE0EEENS1_30default_config_static_selectorELNS0_4arch9wavefront6targetE1EEEvT1_,@function
_ZN7rocprim17ROCPRIM_400000_NS6detail17trampoline_kernelINS0_14default_configENS1_25partition_config_selectorILNS1_17partition_subalgoE0EtNS0_10empty_typeEbEEZZNS1_14partition_implILS5_0ELb0ES3_jN6thrust23THRUST_200600_302600_NS6detail15normal_iteratorINSA_10device_ptrItEEEEPS6_SG_NS0_5tupleIJNSA_16discard_iteratorINSA_11use_defaultEEESF_EEENSH_IJSG_SG_EEES6_PlJ7is_evenItEEEE10hipError_tPvRmT3_T4_T5_T6_T7_T9_mT8_P12ihipStream_tbDpT10_ENKUlT_T0_E_clISt17integral_constantIbLb0EES18_IbLb1EEEEDaS14_S15_EUlS14_E_NS1_11comp_targetILNS1_3genE2ELNS1_11target_archE906ELNS1_3gpuE6ELNS1_3repE0EEENS1_30default_config_static_selectorELNS0_4arch9wavefront6targetE1EEEvT1_: ; @_ZN7rocprim17ROCPRIM_400000_NS6detail17trampoline_kernelINS0_14default_configENS1_25partition_config_selectorILNS1_17partition_subalgoE0EtNS0_10empty_typeEbEEZZNS1_14partition_implILS5_0ELb0ES3_jN6thrust23THRUST_200600_302600_NS6detail15normal_iteratorINSA_10device_ptrItEEEEPS6_SG_NS0_5tupleIJNSA_16discard_iteratorINSA_11use_defaultEEESF_EEENSH_IJSG_SG_EEES6_PlJ7is_evenItEEEE10hipError_tPvRmT3_T4_T5_T6_T7_T9_mT8_P12ihipStream_tbDpT10_ENKUlT_T0_E_clISt17integral_constantIbLb0EES18_IbLb1EEEEDaS14_S15_EUlS14_E_NS1_11comp_targetILNS1_3genE2ELNS1_11target_archE906ELNS1_3gpuE6ELNS1_3repE0EEENS1_30default_config_static_selectorELNS0_4arch9wavefront6targetE1EEEvT1_
; %bb.0:
	.section	.rodata,"a",@progbits
	.p2align	6, 0x0
	.amdhsa_kernel _ZN7rocprim17ROCPRIM_400000_NS6detail17trampoline_kernelINS0_14default_configENS1_25partition_config_selectorILNS1_17partition_subalgoE0EtNS0_10empty_typeEbEEZZNS1_14partition_implILS5_0ELb0ES3_jN6thrust23THRUST_200600_302600_NS6detail15normal_iteratorINSA_10device_ptrItEEEEPS6_SG_NS0_5tupleIJNSA_16discard_iteratorINSA_11use_defaultEEESF_EEENSH_IJSG_SG_EEES6_PlJ7is_evenItEEEE10hipError_tPvRmT3_T4_T5_T6_T7_T9_mT8_P12ihipStream_tbDpT10_ENKUlT_T0_E_clISt17integral_constantIbLb0EES18_IbLb1EEEEDaS14_S15_EUlS14_E_NS1_11comp_targetILNS1_3genE2ELNS1_11target_archE906ELNS1_3gpuE6ELNS1_3repE0EEENS1_30default_config_static_selectorELNS0_4arch9wavefront6targetE1EEEvT1_
		.amdhsa_group_segment_fixed_size 0
		.amdhsa_private_segment_fixed_size 0
		.amdhsa_kernarg_size 144
		.amdhsa_user_sgpr_count 6
		.amdhsa_user_sgpr_private_segment_buffer 1
		.amdhsa_user_sgpr_dispatch_ptr 0
		.amdhsa_user_sgpr_queue_ptr 0
		.amdhsa_user_sgpr_kernarg_segment_ptr 1
		.amdhsa_user_sgpr_dispatch_id 0
		.amdhsa_user_sgpr_flat_scratch_init 0
		.amdhsa_user_sgpr_kernarg_preload_length 0
		.amdhsa_user_sgpr_kernarg_preload_offset 0
		.amdhsa_user_sgpr_private_segment_size 0
		.amdhsa_uses_dynamic_stack 0
		.amdhsa_system_sgpr_private_segment_wavefront_offset 0
		.amdhsa_system_sgpr_workgroup_id_x 1
		.amdhsa_system_sgpr_workgroup_id_y 0
		.amdhsa_system_sgpr_workgroup_id_z 0
		.amdhsa_system_sgpr_workgroup_info 0
		.amdhsa_system_vgpr_workitem_id 0
		.amdhsa_next_free_vgpr 1
		.amdhsa_next_free_sgpr 0
		.amdhsa_accum_offset 4
		.amdhsa_reserve_vcc 0
		.amdhsa_reserve_flat_scratch 0
		.amdhsa_float_round_mode_32 0
		.amdhsa_float_round_mode_16_64 0
		.amdhsa_float_denorm_mode_32 3
		.amdhsa_float_denorm_mode_16_64 3
		.amdhsa_dx10_clamp 1
		.amdhsa_ieee_mode 1
		.amdhsa_fp16_overflow 0
		.amdhsa_tg_split 0
		.amdhsa_exception_fp_ieee_invalid_op 0
		.amdhsa_exception_fp_denorm_src 0
		.amdhsa_exception_fp_ieee_div_zero 0
		.amdhsa_exception_fp_ieee_overflow 0
		.amdhsa_exception_fp_ieee_underflow 0
		.amdhsa_exception_fp_ieee_inexact 0
		.amdhsa_exception_int_div_zero 0
	.end_amdhsa_kernel
	.section	.text._ZN7rocprim17ROCPRIM_400000_NS6detail17trampoline_kernelINS0_14default_configENS1_25partition_config_selectorILNS1_17partition_subalgoE0EtNS0_10empty_typeEbEEZZNS1_14partition_implILS5_0ELb0ES3_jN6thrust23THRUST_200600_302600_NS6detail15normal_iteratorINSA_10device_ptrItEEEEPS6_SG_NS0_5tupleIJNSA_16discard_iteratorINSA_11use_defaultEEESF_EEENSH_IJSG_SG_EEES6_PlJ7is_evenItEEEE10hipError_tPvRmT3_T4_T5_T6_T7_T9_mT8_P12ihipStream_tbDpT10_ENKUlT_T0_E_clISt17integral_constantIbLb0EES18_IbLb1EEEEDaS14_S15_EUlS14_E_NS1_11comp_targetILNS1_3genE2ELNS1_11target_archE906ELNS1_3gpuE6ELNS1_3repE0EEENS1_30default_config_static_selectorELNS0_4arch9wavefront6targetE1EEEvT1_,"axG",@progbits,_ZN7rocprim17ROCPRIM_400000_NS6detail17trampoline_kernelINS0_14default_configENS1_25partition_config_selectorILNS1_17partition_subalgoE0EtNS0_10empty_typeEbEEZZNS1_14partition_implILS5_0ELb0ES3_jN6thrust23THRUST_200600_302600_NS6detail15normal_iteratorINSA_10device_ptrItEEEEPS6_SG_NS0_5tupleIJNSA_16discard_iteratorINSA_11use_defaultEEESF_EEENSH_IJSG_SG_EEES6_PlJ7is_evenItEEEE10hipError_tPvRmT3_T4_T5_T6_T7_T9_mT8_P12ihipStream_tbDpT10_ENKUlT_T0_E_clISt17integral_constantIbLb0EES18_IbLb1EEEEDaS14_S15_EUlS14_E_NS1_11comp_targetILNS1_3genE2ELNS1_11target_archE906ELNS1_3gpuE6ELNS1_3repE0EEENS1_30default_config_static_selectorELNS0_4arch9wavefront6targetE1EEEvT1_,comdat
.Lfunc_end2583:
	.size	_ZN7rocprim17ROCPRIM_400000_NS6detail17trampoline_kernelINS0_14default_configENS1_25partition_config_selectorILNS1_17partition_subalgoE0EtNS0_10empty_typeEbEEZZNS1_14partition_implILS5_0ELb0ES3_jN6thrust23THRUST_200600_302600_NS6detail15normal_iteratorINSA_10device_ptrItEEEEPS6_SG_NS0_5tupleIJNSA_16discard_iteratorINSA_11use_defaultEEESF_EEENSH_IJSG_SG_EEES6_PlJ7is_evenItEEEE10hipError_tPvRmT3_T4_T5_T6_T7_T9_mT8_P12ihipStream_tbDpT10_ENKUlT_T0_E_clISt17integral_constantIbLb0EES18_IbLb1EEEEDaS14_S15_EUlS14_E_NS1_11comp_targetILNS1_3genE2ELNS1_11target_archE906ELNS1_3gpuE6ELNS1_3repE0EEENS1_30default_config_static_selectorELNS0_4arch9wavefront6targetE1EEEvT1_, .Lfunc_end2583-_ZN7rocprim17ROCPRIM_400000_NS6detail17trampoline_kernelINS0_14default_configENS1_25partition_config_selectorILNS1_17partition_subalgoE0EtNS0_10empty_typeEbEEZZNS1_14partition_implILS5_0ELb0ES3_jN6thrust23THRUST_200600_302600_NS6detail15normal_iteratorINSA_10device_ptrItEEEEPS6_SG_NS0_5tupleIJNSA_16discard_iteratorINSA_11use_defaultEEESF_EEENSH_IJSG_SG_EEES6_PlJ7is_evenItEEEE10hipError_tPvRmT3_T4_T5_T6_T7_T9_mT8_P12ihipStream_tbDpT10_ENKUlT_T0_E_clISt17integral_constantIbLb0EES18_IbLb1EEEEDaS14_S15_EUlS14_E_NS1_11comp_targetILNS1_3genE2ELNS1_11target_archE906ELNS1_3gpuE6ELNS1_3repE0EEENS1_30default_config_static_selectorELNS0_4arch9wavefront6targetE1EEEvT1_
                                        ; -- End function
	.section	.AMDGPU.csdata,"",@progbits
; Kernel info:
; codeLenInByte = 0
; NumSgprs: 4
; NumVgprs: 0
; NumAgprs: 0
; TotalNumVgprs: 0
; ScratchSize: 0
; MemoryBound: 0
; FloatMode: 240
; IeeeMode: 1
; LDSByteSize: 0 bytes/workgroup (compile time only)
; SGPRBlocks: 0
; VGPRBlocks: 0
; NumSGPRsForWavesPerEU: 4
; NumVGPRsForWavesPerEU: 1
; AccumOffset: 4
; Occupancy: 8
; WaveLimiterHint : 0
; COMPUTE_PGM_RSRC2:SCRATCH_EN: 0
; COMPUTE_PGM_RSRC2:USER_SGPR: 6
; COMPUTE_PGM_RSRC2:TRAP_HANDLER: 0
; COMPUTE_PGM_RSRC2:TGID_X_EN: 1
; COMPUTE_PGM_RSRC2:TGID_Y_EN: 0
; COMPUTE_PGM_RSRC2:TGID_Z_EN: 0
; COMPUTE_PGM_RSRC2:TIDIG_COMP_CNT: 0
; COMPUTE_PGM_RSRC3_GFX90A:ACCUM_OFFSET: 0
; COMPUTE_PGM_RSRC3_GFX90A:TG_SPLIT: 0
	.section	.text._ZN7rocprim17ROCPRIM_400000_NS6detail17trampoline_kernelINS0_14default_configENS1_25partition_config_selectorILNS1_17partition_subalgoE0EtNS0_10empty_typeEbEEZZNS1_14partition_implILS5_0ELb0ES3_jN6thrust23THRUST_200600_302600_NS6detail15normal_iteratorINSA_10device_ptrItEEEEPS6_SG_NS0_5tupleIJNSA_16discard_iteratorINSA_11use_defaultEEESF_EEENSH_IJSG_SG_EEES6_PlJ7is_evenItEEEE10hipError_tPvRmT3_T4_T5_T6_T7_T9_mT8_P12ihipStream_tbDpT10_ENKUlT_T0_E_clISt17integral_constantIbLb0EES18_IbLb1EEEEDaS14_S15_EUlS14_E_NS1_11comp_targetILNS1_3genE10ELNS1_11target_archE1200ELNS1_3gpuE4ELNS1_3repE0EEENS1_30default_config_static_selectorELNS0_4arch9wavefront6targetE1EEEvT1_,"axG",@progbits,_ZN7rocprim17ROCPRIM_400000_NS6detail17trampoline_kernelINS0_14default_configENS1_25partition_config_selectorILNS1_17partition_subalgoE0EtNS0_10empty_typeEbEEZZNS1_14partition_implILS5_0ELb0ES3_jN6thrust23THRUST_200600_302600_NS6detail15normal_iteratorINSA_10device_ptrItEEEEPS6_SG_NS0_5tupleIJNSA_16discard_iteratorINSA_11use_defaultEEESF_EEENSH_IJSG_SG_EEES6_PlJ7is_evenItEEEE10hipError_tPvRmT3_T4_T5_T6_T7_T9_mT8_P12ihipStream_tbDpT10_ENKUlT_T0_E_clISt17integral_constantIbLb0EES18_IbLb1EEEEDaS14_S15_EUlS14_E_NS1_11comp_targetILNS1_3genE10ELNS1_11target_archE1200ELNS1_3gpuE4ELNS1_3repE0EEENS1_30default_config_static_selectorELNS0_4arch9wavefront6targetE1EEEvT1_,comdat
	.protected	_ZN7rocprim17ROCPRIM_400000_NS6detail17trampoline_kernelINS0_14default_configENS1_25partition_config_selectorILNS1_17partition_subalgoE0EtNS0_10empty_typeEbEEZZNS1_14partition_implILS5_0ELb0ES3_jN6thrust23THRUST_200600_302600_NS6detail15normal_iteratorINSA_10device_ptrItEEEEPS6_SG_NS0_5tupleIJNSA_16discard_iteratorINSA_11use_defaultEEESF_EEENSH_IJSG_SG_EEES6_PlJ7is_evenItEEEE10hipError_tPvRmT3_T4_T5_T6_T7_T9_mT8_P12ihipStream_tbDpT10_ENKUlT_T0_E_clISt17integral_constantIbLb0EES18_IbLb1EEEEDaS14_S15_EUlS14_E_NS1_11comp_targetILNS1_3genE10ELNS1_11target_archE1200ELNS1_3gpuE4ELNS1_3repE0EEENS1_30default_config_static_selectorELNS0_4arch9wavefront6targetE1EEEvT1_ ; -- Begin function _ZN7rocprim17ROCPRIM_400000_NS6detail17trampoline_kernelINS0_14default_configENS1_25partition_config_selectorILNS1_17partition_subalgoE0EtNS0_10empty_typeEbEEZZNS1_14partition_implILS5_0ELb0ES3_jN6thrust23THRUST_200600_302600_NS6detail15normal_iteratorINSA_10device_ptrItEEEEPS6_SG_NS0_5tupleIJNSA_16discard_iteratorINSA_11use_defaultEEESF_EEENSH_IJSG_SG_EEES6_PlJ7is_evenItEEEE10hipError_tPvRmT3_T4_T5_T6_T7_T9_mT8_P12ihipStream_tbDpT10_ENKUlT_T0_E_clISt17integral_constantIbLb0EES18_IbLb1EEEEDaS14_S15_EUlS14_E_NS1_11comp_targetILNS1_3genE10ELNS1_11target_archE1200ELNS1_3gpuE4ELNS1_3repE0EEENS1_30default_config_static_selectorELNS0_4arch9wavefront6targetE1EEEvT1_
	.globl	_ZN7rocprim17ROCPRIM_400000_NS6detail17trampoline_kernelINS0_14default_configENS1_25partition_config_selectorILNS1_17partition_subalgoE0EtNS0_10empty_typeEbEEZZNS1_14partition_implILS5_0ELb0ES3_jN6thrust23THRUST_200600_302600_NS6detail15normal_iteratorINSA_10device_ptrItEEEEPS6_SG_NS0_5tupleIJNSA_16discard_iteratorINSA_11use_defaultEEESF_EEENSH_IJSG_SG_EEES6_PlJ7is_evenItEEEE10hipError_tPvRmT3_T4_T5_T6_T7_T9_mT8_P12ihipStream_tbDpT10_ENKUlT_T0_E_clISt17integral_constantIbLb0EES18_IbLb1EEEEDaS14_S15_EUlS14_E_NS1_11comp_targetILNS1_3genE10ELNS1_11target_archE1200ELNS1_3gpuE4ELNS1_3repE0EEENS1_30default_config_static_selectorELNS0_4arch9wavefront6targetE1EEEvT1_
	.p2align	8
	.type	_ZN7rocprim17ROCPRIM_400000_NS6detail17trampoline_kernelINS0_14default_configENS1_25partition_config_selectorILNS1_17partition_subalgoE0EtNS0_10empty_typeEbEEZZNS1_14partition_implILS5_0ELb0ES3_jN6thrust23THRUST_200600_302600_NS6detail15normal_iteratorINSA_10device_ptrItEEEEPS6_SG_NS0_5tupleIJNSA_16discard_iteratorINSA_11use_defaultEEESF_EEENSH_IJSG_SG_EEES6_PlJ7is_evenItEEEE10hipError_tPvRmT3_T4_T5_T6_T7_T9_mT8_P12ihipStream_tbDpT10_ENKUlT_T0_E_clISt17integral_constantIbLb0EES18_IbLb1EEEEDaS14_S15_EUlS14_E_NS1_11comp_targetILNS1_3genE10ELNS1_11target_archE1200ELNS1_3gpuE4ELNS1_3repE0EEENS1_30default_config_static_selectorELNS0_4arch9wavefront6targetE1EEEvT1_,@function
_ZN7rocprim17ROCPRIM_400000_NS6detail17trampoline_kernelINS0_14default_configENS1_25partition_config_selectorILNS1_17partition_subalgoE0EtNS0_10empty_typeEbEEZZNS1_14partition_implILS5_0ELb0ES3_jN6thrust23THRUST_200600_302600_NS6detail15normal_iteratorINSA_10device_ptrItEEEEPS6_SG_NS0_5tupleIJNSA_16discard_iteratorINSA_11use_defaultEEESF_EEENSH_IJSG_SG_EEES6_PlJ7is_evenItEEEE10hipError_tPvRmT3_T4_T5_T6_T7_T9_mT8_P12ihipStream_tbDpT10_ENKUlT_T0_E_clISt17integral_constantIbLb0EES18_IbLb1EEEEDaS14_S15_EUlS14_E_NS1_11comp_targetILNS1_3genE10ELNS1_11target_archE1200ELNS1_3gpuE4ELNS1_3repE0EEENS1_30default_config_static_selectorELNS0_4arch9wavefront6targetE1EEEvT1_: ; @_ZN7rocprim17ROCPRIM_400000_NS6detail17trampoline_kernelINS0_14default_configENS1_25partition_config_selectorILNS1_17partition_subalgoE0EtNS0_10empty_typeEbEEZZNS1_14partition_implILS5_0ELb0ES3_jN6thrust23THRUST_200600_302600_NS6detail15normal_iteratorINSA_10device_ptrItEEEEPS6_SG_NS0_5tupleIJNSA_16discard_iteratorINSA_11use_defaultEEESF_EEENSH_IJSG_SG_EEES6_PlJ7is_evenItEEEE10hipError_tPvRmT3_T4_T5_T6_T7_T9_mT8_P12ihipStream_tbDpT10_ENKUlT_T0_E_clISt17integral_constantIbLb0EES18_IbLb1EEEEDaS14_S15_EUlS14_E_NS1_11comp_targetILNS1_3genE10ELNS1_11target_archE1200ELNS1_3gpuE4ELNS1_3repE0EEENS1_30default_config_static_selectorELNS0_4arch9wavefront6targetE1EEEvT1_
; %bb.0:
	.section	.rodata,"a",@progbits
	.p2align	6, 0x0
	.amdhsa_kernel _ZN7rocprim17ROCPRIM_400000_NS6detail17trampoline_kernelINS0_14default_configENS1_25partition_config_selectorILNS1_17partition_subalgoE0EtNS0_10empty_typeEbEEZZNS1_14partition_implILS5_0ELb0ES3_jN6thrust23THRUST_200600_302600_NS6detail15normal_iteratorINSA_10device_ptrItEEEEPS6_SG_NS0_5tupleIJNSA_16discard_iteratorINSA_11use_defaultEEESF_EEENSH_IJSG_SG_EEES6_PlJ7is_evenItEEEE10hipError_tPvRmT3_T4_T5_T6_T7_T9_mT8_P12ihipStream_tbDpT10_ENKUlT_T0_E_clISt17integral_constantIbLb0EES18_IbLb1EEEEDaS14_S15_EUlS14_E_NS1_11comp_targetILNS1_3genE10ELNS1_11target_archE1200ELNS1_3gpuE4ELNS1_3repE0EEENS1_30default_config_static_selectorELNS0_4arch9wavefront6targetE1EEEvT1_
		.amdhsa_group_segment_fixed_size 0
		.amdhsa_private_segment_fixed_size 0
		.amdhsa_kernarg_size 144
		.amdhsa_user_sgpr_count 6
		.amdhsa_user_sgpr_private_segment_buffer 1
		.amdhsa_user_sgpr_dispatch_ptr 0
		.amdhsa_user_sgpr_queue_ptr 0
		.amdhsa_user_sgpr_kernarg_segment_ptr 1
		.amdhsa_user_sgpr_dispatch_id 0
		.amdhsa_user_sgpr_flat_scratch_init 0
		.amdhsa_user_sgpr_kernarg_preload_length 0
		.amdhsa_user_sgpr_kernarg_preload_offset 0
		.amdhsa_user_sgpr_private_segment_size 0
		.amdhsa_uses_dynamic_stack 0
		.amdhsa_system_sgpr_private_segment_wavefront_offset 0
		.amdhsa_system_sgpr_workgroup_id_x 1
		.amdhsa_system_sgpr_workgroup_id_y 0
		.amdhsa_system_sgpr_workgroup_id_z 0
		.amdhsa_system_sgpr_workgroup_info 0
		.amdhsa_system_vgpr_workitem_id 0
		.amdhsa_next_free_vgpr 1
		.amdhsa_next_free_sgpr 0
		.amdhsa_accum_offset 4
		.amdhsa_reserve_vcc 0
		.amdhsa_reserve_flat_scratch 0
		.amdhsa_float_round_mode_32 0
		.amdhsa_float_round_mode_16_64 0
		.amdhsa_float_denorm_mode_32 3
		.amdhsa_float_denorm_mode_16_64 3
		.amdhsa_dx10_clamp 1
		.amdhsa_ieee_mode 1
		.amdhsa_fp16_overflow 0
		.amdhsa_tg_split 0
		.amdhsa_exception_fp_ieee_invalid_op 0
		.amdhsa_exception_fp_denorm_src 0
		.amdhsa_exception_fp_ieee_div_zero 0
		.amdhsa_exception_fp_ieee_overflow 0
		.amdhsa_exception_fp_ieee_underflow 0
		.amdhsa_exception_fp_ieee_inexact 0
		.amdhsa_exception_int_div_zero 0
	.end_amdhsa_kernel
	.section	.text._ZN7rocprim17ROCPRIM_400000_NS6detail17trampoline_kernelINS0_14default_configENS1_25partition_config_selectorILNS1_17partition_subalgoE0EtNS0_10empty_typeEbEEZZNS1_14partition_implILS5_0ELb0ES3_jN6thrust23THRUST_200600_302600_NS6detail15normal_iteratorINSA_10device_ptrItEEEEPS6_SG_NS0_5tupleIJNSA_16discard_iteratorINSA_11use_defaultEEESF_EEENSH_IJSG_SG_EEES6_PlJ7is_evenItEEEE10hipError_tPvRmT3_T4_T5_T6_T7_T9_mT8_P12ihipStream_tbDpT10_ENKUlT_T0_E_clISt17integral_constantIbLb0EES18_IbLb1EEEEDaS14_S15_EUlS14_E_NS1_11comp_targetILNS1_3genE10ELNS1_11target_archE1200ELNS1_3gpuE4ELNS1_3repE0EEENS1_30default_config_static_selectorELNS0_4arch9wavefront6targetE1EEEvT1_,"axG",@progbits,_ZN7rocprim17ROCPRIM_400000_NS6detail17trampoline_kernelINS0_14default_configENS1_25partition_config_selectorILNS1_17partition_subalgoE0EtNS0_10empty_typeEbEEZZNS1_14partition_implILS5_0ELb0ES3_jN6thrust23THRUST_200600_302600_NS6detail15normal_iteratorINSA_10device_ptrItEEEEPS6_SG_NS0_5tupleIJNSA_16discard_iteratorINSA_11use_defaultEEESF_EEENSH_IJSG_SG_EEES6_PlJ7is_evenItEEEE10hipError_tPvRmT3_T4_T5_T6_T7_T9_mT8_P12ihipStream_tbDpT10_ENKUlT_T0_E_clISt17integral_constantIbLb0EES18_IbLb1EEEEDaS14_S15_EUlS14_E_NS1_11comp_targetILNS1_3genE10ELNS1_11target_archE1200ELNS1_3gpuE4ELNS1_3repE0EEENS1_30default_config_static_selectorELNS0_4arch9wavefront6targetE1EEEvT1_,comdat
.Lfunc_end2584:
	.size	_ZN7rocprim17ROCPRIM_400000_NS6detail17trampoline_kernelINS0_14default_configENS1_25partition_config_selectorILNS1_17partition_subalgoE0EtNS0_10empty_typeEbEEZZNS1_14partition_implILS5_0ELb0ES3_jN6thrust23THRUST_200600_302600_NS6detail15normal_iteratorINSA_10device_ptrItEEEEPS6_SG_NS0_5tupleIJNSA_16discard_iteratorINSA_11use_defaultEEESF_EEENSH_IJSG_SG_EEES6_PlJ7is_evenItEEEE10hipError_tPvRmT3_T4_T5_T6_T7_T9_mT8_P12ihipStream_tbDpT10_ENKUlT_T0_E_clISt17integral_constantIbLb0EES18_IbLb1EEEEDaS14_S15_EUlS14_E_NS1_11comp_targetILNS1_3genE10ELNS1_11target_archE1200ELNS1_3gpuE4ELNS1_3repE0EEENS1_30default_config_static_selectorELNS0_4arch9wavefront6targetE1EEEvT1_, .Lfunc_end2584-_ZN7rocprim17ROCPRIM_400000_NS6detail17trampoline_kernelINS0_14default_configENS1_25partition_config_selectorILNS1_17partition_subalgoE0EtNS0_10empty_typeEbEEZZNS1_14partition_implILS5_0ELb0ES3_jN6thrust23THRUST_200600_302600_NS6detail15normal_iteratorINSA_10device_ptrItEEEEPS6_SG_NS0_5tupleIJNSA_16discard_iteratorINSA_11use_defaultEEESF_EEENSH_IJSG_SG_EEES6_PlJ7is_evenItEEEE10hipError_tPvRmT3_T4_T5_T6_T7_T9_mT8_P12ihipStream_tbDpT10_ENKUlT_T0_E_clISt17integral_constantIbLb0EES18_IbLb1EEEEDaS14_S15_EUlS14_E_NS1_11comp_targetILNS1_3genE10ELNS1_11target_archE1200ELNS1_3gpuE4ELNS1_3repE0EEENS1_30default_config_static_selectorELNS0_4arch9wavefront6targetE1EEEvT1_
                                        ; -- End function
	.section	.AMDGPU.csdata,"",@progbits
; Kernel info:
; codeLenInByte = 0
; NumSgprs: 4
; NumVgprs: 0
; NumAgprs: 0
; TotalNumVgprs: 0
; ScratchSize: 0
; MemoryBound: 0
; FloatMode: 240
; IeeeMode: 1
; LDSByteSize: 0 bytes/workgroup (compile time only)
; SGPRBlocks: 0
; VGPRBlocks: 0
; NumSGPRsForWavesPerEU: 4
; NumVGPRsForWavesPerEU: 1
; AccumOffset: 4
; Occupancy: 8
; WaveLimiterHint : 0
; COMPUTE_PGM_RSRC2:SCRATCH_EN: 0
; COMPUTE_PGM_RSRC2:USER_SGPR: 6
; COMPUTE_PGM_RSRC2:TRAP_HANDLER: 0
; COMPUTE_PGM_RSRC2:TGID_X_EN: 1
; COMPUTE_PGM_RSRC2:TGID_Y_EN: 0
; COMPUTE_PGM_RSRC2:TGID_Z_EN: 0
; COMPUTE_PGM_RSRC2:TIDIG_COMP_CNT: 0
; COMPUTE_PGM_RSRC3_GFX90A:ACCUM_OFFSET: 0
; COMPUTE_PGM_RSRC3_GFX90A:TG_SPLIT: 0
	.section	.text._ZN7rocprim17ROCPRIM_400000_NS6detail17trampoline_kernelINS0_14default_configENS1_25partition_config_selectorILNS1_17partition_subalgoE0EtNS0_10empty_typeEbEEZZNS1_14partition_implILS5_0ELb0ES3_jN6thrust23THRUST_200600_302600_NS6detail15normal_iteratorINSA_10device_ptrItEEEEPS6_SG_NS0_5tupleIJNSA_16discard_iteratorINSA_11use_defaultEEESF_EEENSH_IJSG_SG_EEES6_PlJ7is_evenItEEEE10hipError_tPvRmT3_T4_T5_T6_T7_T9_mT8_P12ihipStream_tbDpT10_ENKUlT_T0_E_clISt17integral_constantIbLb0EES18_IbLb1EEEEDaS14_S15_EUlS14_E_NS1_11comp_targetILNS1_3genE9ELNS1_11target_archE1100ELNS1_3gpuE3ELNS1_3repE0EEENS1_30default_config_static_selectorELNS0_4arch9wavefront6targetE1EEEvT1_,"axG",@progbits,_ZN7rocprim17ROCPRIM_400000_NS6detail17trampoline_kernelINS0_14default_configENS1_25partition_config_selectorILNS1_17partition_subalgoE0EtNS0_10empty_typeEbEEZZNS1_14partition_implILS5_0ELb0ES3_jN6thrust23THRUST_200600_302600_NS6detail15normal_iteratorINSA_10device_ptrItEEEEPS6_SG_NS0_5tupleIJNSA_16discard_iteratorINSA_11use_defaultEEESF_EEENSH_IJSG_SG_EEES6_PlJ7is_evenItEEEE10hipError_tPvRmT3_T4_T5_T6_T7_T9_mT8_P12ihipStream_tbDpT10_ENKUlT_T0_E_clISt17integral_constantIbLb0EES18_IbLb1EEEEDaS14_S15_EUlS14_E_NS1_11comp_targetILNS1_3genE9ELNS1_11target_archE1100ELNS1_3gpuE3ELNS1_3repE0EEENS1_30default_config_static_selectorELNS0_4arch9wavefront6targetE1EEEvT1_,comdat
	.protected	_ZN7rocprim17ROCPRIM_400000_NS6detail17trampoline_kernelINS0_14default_configENS1_25partition_config_selectorILNS1_17partition_subalgoE0EtNS0_10empty_typeEbEEZZNS1_14partition_implILS5_0ELb0ES3_jN6thrust23THRUST_200600_302600_NS6detail15normal_iteratorINSA_10device_ptrItEEEEPS6_SG_NS0_5tupleIJNSA_16discard_iteratorINSA_11use_defaultEEESF_EEENSH_IJSG_SG_EEES6_PlJ7is_evenItEEEE10hipError_tPvRmT3_T4_T5_T6_T7_T9_mT8_P12ihipStream_tbDpT10_ENKUlT_T0_E_clISt17integral_constantIbLb0EES18_IbLb1EEEEDaS14_S15_EUlS14_E_NS1_11comp_targetILNS1_3genE9ELNS1_11target_archE1100ELNS1_3gpuE3ELNS1_3repE0EEENS1_30default_config_static_selectorELNS0_4arch9wavefront6targetE1EEEvT1_ ; -- Begin function _ZN7rocprim17ROCPRIM_400000_NS6detail17trampoline_kernelINS0_14default_configENS1_25partition_config_selectorILNS1_17partition_subalgoE0EtNS0_10empty_typeEbEEZZNS1_14partition_implILS5_0ELb0ES3_jN6thrust23THRUST_200600_302600_NS6detail15normal_iteratorINSA_10device_ptrItEEEEPS6_SG_NS0_5tupleIJNSA_16discard_iteratorINSA_11use_defaultEEESF_EEENSH_IJSG_SG_EEES6_PlJ7is_evenItEEEE10hipError_tPvRmT3_T4_T5_T6_T7_T9_mT8_P12ihipStream_tbDpT10_ENKUlT_T0_E_clISt17integral_constantIbLb0EES18_IbLb1EEEEDaS14_S15_EUlS14_E_NS1_11comp_targetILNS1_3genE9ELNS1_11target_archE1100ELNS1_3gpuE3ELNS1_3repE0EEENS1_30default_config_static_selectorELNS0_4arch9wavefront6targetE1EEEvT1_
	.globl	_ZN7rocprim17ROCPRIM_400000_NS6detail17trampoline_kernelINS0_14default_configENS1_25partition_config_selectorILNS1_17partition_subalgoE0EtNS0_10empty_typeEbEEZZNS1_14partition_implILS5_0ELb0ES3_jN6thrust23THRUST_200600_302600_NS6detail15normal_iteratorINSA_10device_ptrItEEEEPS6_SG_NS0_5tupleIJNSA_16discard_iteratorINSA_11use_defaultEEESF_EEENSH_IJSG_SG_EEES6_PlJ7is_evenItEEEE10hipError_tPvRmT3_T4_T5_T6_T7_T9_mT8_P12ihipStream_tbDpT10_ENKUlT_T0_E_clISt17integral_constantIbLb0EES18_IbLb1EEEEDaS14_S15_EUlS14_E_NS1_11comp_targetILNS1_3genE9ELNS1_11target_archE1100ELNS1_3gpuE3ELNS1_3repE0EEENS1_30default_config_static_selectorELNS0_4arch9wavefront6targetE1EEEvT1_
	.p2align	8
	.type	_ZN7rocprim17ROCPRIM_400000_NS6detail17trampoline_kernelINS0_14default_configENS1_25partition_config_selectorILNS1_17partition_subalgoE0EtNS0_10empty_typeEbEEZZNS1_14partition_implILS5_0ELb0ES3_jN6thrust23THRUST_200600_302600_NS6detail15normal_iteratorINSA_10device_ptrItEEEEPS6_SG_NS0_5tupleIJNSA_16discard_iteratorINSA_11use_defaultEEESF_EEENSH_IJSG_SG_EEES6_PlJ7is_evenItEEEE10hipError_tPvRmT3_T4_T5_T6_T7_T9_mT8_P12ihipStream_tbDpT10_ENKUlT_T0_E_clISt17integral_constantIbLb0EES18_IbLb1EEEEDaS14_S15_EUlS14_E_NS1_11comp_targetILNS1_3genE9ELNS1_11target_archE1100ELNS1_3gpuE3ELNS1_3repE0EEENS1_30default_config_static_selectorELNS0_4arch9wavefront6targetE1EEEvT1_,@function
_ZN7rocprim17ROCPRIM_400000_NS6detail17trampoline_kernelINS0_14default_configENS1_25partition_config_selectorILNS1_17partition_subalgoE0EtNS0_10empty_typeEbEEZZNS1_14partition_implILS5_0ELb0ES3_jN6thrust23THRUST_200600_302600_NS6detail15normal_iteratorINSA_10device_ptrItEEEEPS6_SG_NS0_5tupleIJNSA_16discard_iteratorINSA_11use_defaultEEESF_EEENSH_IJSG_SG_EEES6_PlJ7is_evenItEEEE10hipError_tPvRmT3_T4_T5_T6_T7_T9_mT8_P12ihipStream_tbDpT10_ENKUlT_T0_E_clISt17integral_constantIbLb0EES18_IbLb1EEEEDaS14_S15_EUlS14_E_NS1_11comp_targetILNS1_3genE9ELNS1_11target_archE1100ELNS1_3gpuE3ELNS1_3repE0EEENS1_30default_config_static_selectorELNS0_4arch9wavefront6targetE1EEEvT1_: ; @_ZN7rocprim17ROCPRIM_400000_NS6detail17trampoline_kernelINS0_14default_configENS1_25partition_config_selectorILNS1_17partition_subalgoE0EtNS0_10empty_typeEbEEZZNS1_14partition_implILS5_0ELb0ES3_jN6thrust23THRUST_200600_302600_NS6detail15normal_iteratorINSA_10device_ptrItEEEEPS6_SG_NS0_5tupleIJNSA_16discard_iteratorINSA_11use_defaultEEESF_EEENSH_IJSG_SG_EEES6_PlJ7is_evenItEEEE10hipError_tPvRmT3_T4_T5_T6_T7_T9_mT8_P12ihipStream_tbDpT10_ENKUlT_T0_E_clISt17integral_constantIbLb0EES18_IbLb1EEEEDaS14_S15_EUlS14_E_NS1_11comp_targetILNS1_3genE9ELNS1_11target_archE1100ELNS1_3gpuE3ELNS1_3repE0EEENS1_30default_config_static_selectorELNS0_4arch9wavefront6targetE1EEEvT1_
; %bb.0:
	.section	.rodata,"a",@progbits
	.p2align	6, 0x0
	.amdhsa_kernel _ZN7rocprim17ROCPRIM_400000_NS6detail17trampoline_kernelINS0_14default_configENS1_25partition_config_selectorILNS1_17partition_subalgoE0EtNS0_10empty_typeEbEEZZNS1_14partition_implILS5_0ELb0ES3_jN6thrust23THRUST_200600_302600_NS6detail15normal_iteratorINSA_10device_ptrItEEEEPS6_SG_NS0_5tupleIJNSA_16discard_iteratorINSA_11use_defaultEEESF_EEENSH_IJSG_SG_EEES6_PlJ7is_evenItEEEE10hipError_tPvRmT3_T4_T5_T6_T7_T9_mT8_P12ihipStream_tbDpT10_ENKUlT_T0_E_clISt17integral_constantIbLb0EES18_IbLb1EEEEDaS14_S15_EUlS14_E_NS1_11comp_targetILNS1_3genE9ELNS1_11target_archE1100ELNS1_3gpuE3ELNS1_3repE0EEENS1_30default_config_static_selectorELNS0_4arch9wavefront6targetE1EEEvT1_
		.amdhsa_group_segment_fixed_size 0
		.amdhsa_private_segment_fixed_size 0
		.amdhsa_kernarg_size 144
		.amdhsa_user_sgpr_count 6
		.amdhsa_user_sgpr_private_segment_buffer 1
		.amdhsa_user_sgpr_dispatch_ptr 0
		.amdhsa_user_sgpr_queue_ptr 0
		.amdhsa_user_sgpr_kernarg_segment_ptr 1
		.amdhsa_user_sgpr_dispatch_id 0
		.amdhsa_user_sgpr_flat_scratch_init 0
		.amdhsa_user_sgpr_kernarg_preload_length 0
		.amdhsa_user_sgpr_kernarg_preload_offset 0
		.amdhsa_user_sgpr_private_segment_size 0
		.amdhsa_uses_dynamic_stack 0
		.amdhsa_system_sgpr_private_segment_wavefront_offset 0
		.amdhsa_system_sgpr_workgroup_id_x 1
		.amdhsa_system_sgpr_workgroup_id_y 0
		.amdhsa_system_sgpr_workgroup_id_z 0
		.amdhsa_system_sgpr_workgroup_info 0
		.amdhsa_system_vgpr_workitem_id 0
		.amdhsa_next_free_vgpr 1
		.amdhsa_next_free_sgpr 0
		.amdhsa_accum_offset 4
		.amdhsa_reserve_vcc 0
		.amdhsa_reserve_flat_scratch 0
		.amdhsa_float_round_mode_32 0
		.amdhsa_float_round_mode_16_64 0
		.amdhsa_float_denorm_mode_32 3
		.amdhsa_float_denorm_mode_16_64 3
		.amdhsa_dx10_clamp 1
		.amdhsa_ieee_mode 1
		.amdhsa_fp16_overflow 0
		.amdhsa_tg_split 0
		.amdhsa_exception_fp_ieee_invalid_op 0
		.amdhsa_exception_fp_denorm_src 0
		.amdhsa_exception_fp_ieee_div_zero 0
		.amdhsa_exception_fp_ieee_overflow 0
		.amdhsa_exception_fp_ieee_underflow 0
		.amdhsa_exception_fp_ieee_inexact 0
		.amdhsa_exception_int_div_zero 0
	.end_amdhsa_kernel
	.section	.text._ZN7rocprim17ROCPRIM_400000_NS6detail17trampoline_kernelINS0_14default_configENS1_25partition_config_selectorILNS1_17partition_subalgoE0EtNS0_10empty_typeEbEEZZNS1_14partition_implILS5_0ELb0ES3_jN6thrust23THRUST_200600_302600_NS6detail15normal_iteratorINSA_10device_ptrItEEEEPS6_SG_NS0_5tupleIJNSA_16discard_iteratorINSA_11use_defaultEEESF_EEENSH_IJSG_SG_EEES6_PlJ7is_evenItEEEE10hipError_tPvRmT3_T4_T5_T6_T7_T9_mT8_P12ihipStream_tbDpT10_ENKUlT_T0_E_clISt17integral_constantIbLb0EES18_IbLb1EEEEDaS14_S15_EUlS14_E_NS1_11comp_targetILNS1_3genE9ELNS1_11target_archE1100ELNS1_3gpuE3ELNS1_3repE0EEENS1_30default_config_static_selectorELNS0_4arch9wavefront6targetE1EEEvT1_,"axG",@progbits,_ZN7rocprim17ROCPRIM_400000_NS6detail17trampoline_kernelINS0_14default_configENS1_25partition_config_selectorILNS1_17partition_subalgoE0EtNS0_10empty_typeEbEEZZNS1_14partition_implILS5_0ELb0ES3_jN6thrust23THRUST_200600_302600_NS6detail15normal_iteratorINSA_10device_ptrItEEEEPS6_SG_NS0_5tupleIJNSA_16discard_iteratorINSA_11use_defaultEEESF_EEENSH_IJSG_SG_EEES6_PlJ7is_evenItEEEE10hipError_tPvRmT3_T4_T5_T6_T7_T9_mT8_P12ihipStream_tbDpT10_ENKUlT_T0_E_clISt17integral_constantIbLb0EES18_IbLb1EEEEDaS14_S15_EUlS14_E_NS1_11comp_targetILNS1_3genE9ELNS1_11target_archE1100ELNS1_3gpuE3ELNS1_3repE0EEENS1_30default_config_static_selectorELNS0_4arch9wavefront6targetE1EEEvT1_,comdat
.Lfunc_end2585:
	.size	_ZN7rocprim17ROCPRIM_400000_NS6detail17trampoline_kernelINS0_14default_configENS1_25partition_config_selectorILNS1_17partition_subalgoE0EtNS0_10empty_typeEbEEZZNS1_14partition_implILS5_0ELb0ES3_jN6thrust23THRUST_200600_302600_NS6detail15normal_iteratorINSA_10device_ptrItEEEEPS6_SG_NS0_5tupleIJNSA_16discard_iteratorINSA_11use_defaultEEESF_EEENSH_IJSG_SG_EEES6_PlJ7is_evenItEEEE10hipError_tPvRmT3_T4_T5_T6_T7_T9_mT8_P12ihipStream_tbDpT10_ENKUlT_T0_E_clISt17integral_constantIbLb0EES18_IbLb1EEEEDaS14_S15_EUlS14_E_NS1_11comp_targetILNS1_3genE9ELNS1_11target_archE1100ELNS1_3gpuE3ELNS1_3repE0EEENS1_30default_config_static_selectorELNS0_4arch9wavefront6targetE1EEEvT1_, .Lfunc_end2585-_ZN7rocprim17ROCPRIM_400000_NS6detail17trampoline_kernelINS0_14default_configENS1_25partition_config_selectorILNS1_17partition_subalgoE0EtNS0_10empty_typeEbEEZZNS1_14partition_implILS5_0ELb0ES3_jN6thrust23THRUST_200600_302600_NS6detail15normal_iteratorINSA_10device_ptrItEEEEPS6_SG_NS0_5tupleIJNSA_16discard_iteratorINSA_11use_defaultEEESF_EEENSH_IJSG_SG_EEES6_PlJ7is_evenItEEEE10hipError_tPvRmT3_T4_T5_T6_T7_T9_mT8_P12ihipStream_tbDpT10_ENKUlT_T0_E_clISt17integral_constantIbLb0EES18_IbLb1EEEEDaS14_S15_EUlS14_E_NS1_11comp_targetILNS1_3genE9ELNS1_11target_archE1100ELNS1_3gpuE3ELNS1_3repE0EEENS1_30default_config_static_selectorELNS0_4arch9wavefront6targetE1EEEvT1_
                                        ; -- End function
	.section	.AMDGPU.csdata,"",@progbits
; Kernel info:
; codeLenInByte = 0
; NumSgprs: 4
; NumVgprs: 0
; NumAgprs: 0
; TotalNumVgprs: 0
; ScratchSize: 0
; MemoryBound: 0
; FloatMode: 240
; IeeeMode: 1
; LDSByteSize: 0 bytes/workgroup (compile time only)
; SGPRBlocks: 0
; VGPRBlocks: 0
; NumSGPRsForWavesPerEU: 4
; NumVGPRsForWavesPerEU: 1
; AccumOffset: 4
; Occupancy: 8
; WaveLimiterHint : 0
; COMPUTE_PGM_RSRC2:SCRATCH_EN: 0
; COMPUTE_PGM_RSRC2:USER_SGPR: 6
; COMPUTE_PGM_RSRC2:TRAP_HANDLER: 0
; COMPUTE_PGM_RSRC2:TGID_X_EN: 1
; COMPUTE_PGM_RSRC2:TGID_Y_EN: 0
; COMPUTE_PGM_RSRC2:TGID_Z_EN: 0
; COMPUTE_PGM_RSRC2:TIDIG_COMP_CNT: 0
; COMPUTE_PGM_RSRC3_GFX90A:ACCUM_OFFSET: 0
; COMPUTE_PGM_RSRC3_GFX90A:TG_SPLIT: 0
	.section	.text._ZN7rocprim17ROCPRIM_400000_NS6detail17trampoline_kernelINS0_14default_configENS1_25partition_config_selectorILNS1_17partition_subalgoE0EtNS0_10empty_typeEbEEZZNS1_14partition_implILS5_0ELb0ES3_jN6thrust23THRUST_200600_302600_NS6detail15normal_iteratorINSA_10device_ptrItEEEEPS6_SG_NS0_5tupleIJNSA_16discard_iteratorINSA_11use_defaultEEESF_EEENSH_IJSG_SG_EEES6_PlJ7is_evenItEEEE10hipError_tPvRmT3_T4_T5_T6_T7_T9_mT8_P12ihipStream_tbDpT10_ENKUlT_T0_E_clISt17integral_constantIbLb0EES18_IbLb1EEEEDaS14_S15_EUlS14_E_NS1_11comp_targetILNS1_3genE8ELNS1_11target_archE1030ELNS1_3gpuE2ELNS1_3repE0EEENS1_30default_config_static_selectorELNS0_4arch9wavefront6targetE1EEEvT1_,"axG",@progbits,_ZN7rocprim17ROCPRIM_400000_NS6detail17trampoline_kernelINS0_14default_configENS1_25partition_config_selectorILNS1_17partition_subalgoE0EtNS0_10empty_typeEbEEZZNS1_14partition_implILS5_0ELb0ES3_jN6thrust23THRUST_200600_302600_NS6detail15normal_iteratorINSA_10device_ptrItEEEEPS6_SG_NS0_5tupleIJNSA_16discard_iteratorINSA_11use_defaultEEESF_EEENSH_IJSG_SG_EEES6_PlJ7is_evenItEEEE10hipError_tPvRmT3_T4_T5_T6_T7_T9_mT8_P12ihipStream_tbDpT10_ENKUlT_T0_E_clISt17integral_constantIbLb0EES18_IbLb1EEEEDaS14_S15_EUlS14_E_NS1_11comp_targetILNS1_3genE8ELNS1_11target_archE1030ELNS1_3gpuE2ELNS1_3repE0EEENS1_30default_config_static_selectorELNS0_4arch9wavefront6targetE1EEEvT1_,comdat
	.protected	_ZN7rocprim17ROCPRIM_400000_NS6detail17trampoline_kernelINS0_14default_configENS1_25partition_config_selectorILNS1_17partition_subalgoE0EtNS0_10empty_typeEbEEZZNS1_14partition_implILS5_0ELb0ES3_jN6thrust23THRUST_200600_302600_NS6detail15normal_iteratorINSA_10device_ptrItEEEEPS6_SG_NS0_5tupleIJNSA_16discard_iteratorINSA_11use_defaultEEESF_EEENSH_IJSG_SG_EEES6_PlJ7is_evenItEEEE10hipError_tPvRmT3_T4_T5_T6_T7_T9_mT8_P12ihipStream_tbDpT10_ENKUlT_T0_E_clISt17integral_constantIbLb0EES18_IbLb1EEEEDaS14_S15_EUlS14_E_NS1_11comp_targetILNS1_3genE8ELNS1_11target_archE1030ELNS1_3gpuE2ELNS1_3repE0EEENS1_30default_config_static_selectorELNS0_4arch9wavefront6targetE1EEEvT1_ ; -- Begin function _ZN7rocprim17ROCPRIM_400000_NS6detail17trampoline_kernelINS0_14default_configENS1_25partition_config_selectorILNS1_17partition_subalgoE0EtNS0_10empty_typeEbEEZZNS1_14partition_implILS5_0ELb0ES3_jN6thrust23THRUST_200600_302600_NS6detail15normal_iteratorINSA_10device_ptrItEEEEPS6_SG_NS0_5tupleIJNSA_16discard_iteratorINSA_11use_defaultEEESF_EEENSH_IJSG_SG_EEES6_PlJ7is_evenItEEEE10hipError_tPvRmT3_T4_T5_T6_T7_T9_mT8_P12ihipStream_tbDpT10_ENKUlT_T0_E_clISt17integral_constantIbLb0EES18_IbLb1EEEEDaS14_S15_EUlS14_E_NS1_11comp_targetILNS1_3genE8ELNS1_11target_archE1030ELNS1_3gpuE2ELNS1_3repE0EEENS1_30default_config_static_selectorELNS0_4arch9wavefront6targetE1EEEvT1_
	.globl	_ZN7rocprim17ROCPRIM_400000_NS6detail17trampoline_kernelINS0_14default_configENS1_25partition_config_selectorILNS1_17partition_subalgoE0EtNS0_10empty_typeEbEEZZNS1_14partition_implILS5_0ELb0ES3_jN6thrust23THRUST_200600_302600_NS6detail15normal_iteratorINSA_10device_ptrItEEEEPS6_SG_NS0_5tupleIJNSA_16discard_iteratorINSA_11use_defaultEEESF_EEENSH_IJSG_SG_EEES6_PlJ7is_evenItEEEE10hipError_tPvRmT3_T4_T5_T6_T7_T9_mT8_P12ihipStream_tbDpT10_ENKUlT_T0_E_clISt17integral_constantIbLb0EES18_IbLb1EEEEDaS14_S15_EUlS14_E_NS1_11comp_targetILNS1_3genE8ELNS1_11target_archE1030ELNS1_3gpuE2ELNS1_3repE0EEENS1_30default_config_static_selectorELNS0_4arch9wavefront6targetE1EEEvT1_
	.p2align	8
	.type	_ZN7rocprim17ROCPRIM_400000_NS6detail17trampoline_kernelINS0_14default_configENS1_25partition_config_selectorILNS1_17partition_subalgoE0EtNS0_10empty_typeEbEEZZNS1_14partition_implILS5_0ELb0ES3_jN6thrust23THRUST_200600_302600_NS6detail15normal_iteratorINSA_10device_ptrItEEEEPS6_SG_NS0_5tupleIJNSA_16discard_iteratorINSA_11use_defaultEEESF_EEENSH_IJSG_SG_EEES6_PlJ7is_evenItEEEE10hipError_tPvRmT3_T4_T5_T6_T7_T9_mT8_P12ihipStream_tbDpT10_ENKUlT_T0_E_clISt17integral_constantIbLb0EES18_IbLb1EEEEDaS14_S15_EUlS14_E_NS1_11comp_targetILNS1_3genE8ELNS1_11target_archE1030ELNS1_3gpuE2ELNS1_3repE0EEENS1_30default_config_static_selectorELNS0_4arch9wavefront6targetE1EEEvT1_,@function
_ZN7rocprim17ROCPRIM_400000_NS6detail17trampoline_kernelINS0_14default_configENS1_25partition_config_selectorILNS1_17partition_subalgoE0EtNS0_10empty_typeEbEEZZNS1_14partition_implILS5_0ELb0ES3_jN6thrust23THRUST_200600_302600_NS6detail15normal_iteratorINSA_10device_ptrItEEEEPS6_SG_NS0_5tupleIJNSA_16discard_iteratorINSA_11use_defaultEEESF_EEENSH_IJSG_SG_EEES6_PlJ7is_evenItEEEE10hipError_tPvRmT3_T4_T5_T6_T7_T9_mT8_P12ihipStream_tbDpT10_ENKUlT_T0_E_clISt17integral_constantIbLb0EES18_IbLb1EEEEDaS14_S15_EUlS14_E_NS1_11comp_targetILNS1_3genE8ELNS1_11target_archE1030ELNS1_3gpuE2ELNS1_3repE0EEENS1_30default_config_static_selectorELNS0_4arch9wavefront6targetE1EEEvT1_: ; @_ZN7rocprim17ROCPRIM_400000_NS6detail17trampoline_kernelINS0_14default_configENS1_25partition_config_selectorILNS1_17partition_subalgoE0EtNS0_10empty_typeEbEEZZNS1_14partition_implILS5_0ELb0ES3_jN6thrust23THRUST_200600_302600_NS6detail15normal_iteratorINSA_10device_ptrItEEEEPS6_SG_NS0_5tupleIJNSA_16discard_iteratorINSA_11use_defaultEEESF_EEENSH_IJSG_SG_EEES6_PlJ7is_evenItEEEE10hipError_tPvRmT3_T4_T5_T6_T7_T9_mT8_P12ihipStream_tbDpT10_ENKUlT_T0_E_clISt17integral_constantIbLb0EES18_IbLb1EEEEDaS14_S15_EUlS14_E_NS1_11comp_targetILNS1_3genE8ELNS1_11target_archE1030ELNS1_3gpuE2ELNS1_3repE0EEENS1_30default_config_static_selectorELNS0_4arch9wavefront6targetE1EEEvT1_
; %bb.0:
	.section	.rodata,"a",@progbits
	.p2align	6, 0x0
	.amdhsa_kernel _ZN7rocprim17ROCPRIM_400000_NS6detail17trampoline_kernelINS0_14default_configENS1_25partition_config_selectorILNS1_17partition_subalgoE0EtNS0_10empty_typeEbEEZZNS1_14partition_implILS5_0ELb0ES3_jN6thrust23THRUST_200600_302600_NS6detail15normal_iteratorINSA_10device_ptrItEEEEPS6_SG_NS0_5tupleIJNSA_16discard_iteratorINSA_11use_defaultEEESF_EEENSH_IJSG_SG_EEES6_PlJ7is_evenItEEEE10hipError_tPvRmT3_T4_T5_T6_T7_T9_mT8_P12ihipStream_tbDpT10_ENKUlT_T0_E_clISt17integral_constantIbLb0EES18_IbLb1EEEEDaS14_S15_EUlS14_E_NS1_11comp_targetILNS1_3genE8ELNS1_11target_archE1030ELNS1_3gpuE2ELNS1_3repE0EEENS1_30default_config_static_selectorELNS0_4arch9wavefront6targetE1EEEvT1_
		.amdhsa_group_segment_fixed_size 0
		.amdhsa_private_segment_fixed_size 0
		.amdhsa_kernarg_size 144
		.amdhsa_user_sgpr_count 6
		.amdhsa_user_sgpr_private_segment_buffer 1
		.amdhsa_user_sgpr_dispatch_ptr 0
		.amdhsa_user_sgpr_queue_ptr 0
		.amdhsa_user_sgpr_kernarg_segment_ptr 1
		.amdhsa_user_sgpr_dispatch_id 0
		.amdhsa_user_sgpr_flat_scratch_init 0
		.amdhsa_user_sgpr_kernarg_preload_length 0
		.amdhsa_user_sgpr_kernarg_preload_offset 0
		.amdhsa_user_sgpr_private_segment_size 0
		.amdhsa_uses_dynamic_stack 0
		.amdhsa_system_sgpr_private_segment_wavefront_offset 0
		.amdhsa_system_sgpr_workgroup_id_x 1
		.amdhsa_system_sgpr_workgroup_id_y 0
		.amdhsa_system_sgpr_workgroup_id_z 0
		.amdhsa_system_sgpr_workgroup_info 0
		.amdhsa_system_vgpr_workitem_id 0
		.amdhsa_next_free_vgpr 1
		.amdhsa_next_free_sgpr 0
		.amdhsa_accum_offset 4
		.amdhsa_reserve_vcc 0
		.amdhsa_reserve_flat_scratch 0
		.amdhsa_float_round_mode_32 0
		.amdhsa_float_round_mode_16_64 0
		.amdhsa_float_denorm_mode_32 3
		.amdhsa_float_denorm_mode_16_64 3
		.amdhsa_dx10_clamp 1
		.amdhsa_ieee_mode 1
		.amdhsa_fp16_overflow 0
		.amdhsa_tg_split 0
		.amdhsa_exception_fp_ieee_invalid_op 0
		.amdhsa_exception_fp_denorm_src 0
		.amdhsa_exception_fp_ieee_div_zero 0
		.amdhsa_exception_fp_ieee_overflow 0
		.amdhsa_exception_fp_ieee_underflow 0
		.amdhsa_exception_fp_ieee_inexact 0
		.amdhsa_exception_int_div_zero 0
	.end_amdhsa_kernel
	.section	.text._ZN7rocprim17ROCPRIM_400000_NS6detail17trampoline_kernelINS0_14default_configENS1_25partition_config_selectorILNS1_17partition_subalgoE0EtNS0_10empty_typeEbEEZZNS1_14partition_implILS5_0ELb0ES3_jN6thrust23THRUST_200600_302600_NS6detail15normal_iteratorINSA_10device_ptrItEEEEPS6_SG_NS0_5tupleIJNSA_16discard_iteratorINSA_11use_defaultEEESF_EEENSH_IJSG_SG_EEES6_PlJ7is_evenItEEEE10hipError_tPvRmT3_T4_T5_T6_T7_T9_mT8_P12ihipStream_tbDpT10_ENKUlT_T0_E_clISt17integral_constantIbLb0EES18_IbLb1EEEEDaS14_S15_EUlS14_E_NS1_11comp_targetILNS1_3genE8ELNS1_11target_archE1030ELNS1_3gpuE2ELNS1_3repE0EEENS1_30default_config_static_selectorELNS0_4arch9wavefront6targetE1EEEvT1_,"axG",@progbits,_ZN7rocprim17ROCPRIM_400000_NS6detail17trampoline_kernelINS0_14default_configENS1_25partition_config_selectorILNS1_17partition_subalgoE0EtNS0_10empty_typeEbEEZZNS1_14partition_implILS5_0ELb0ES3_jN6thrust23THRUST_200600_302600_NS6detail15normal_iteratorINSA_10device_ptrItEEEEPS6_SG_NS0_5tupleIJNSA_16discard_iteratorINSA_11use_defaultEEESF_EEENSH_IJSG_SG_EEES6_PlJ7is_evenItEEEE10hipError_tPvRmT3_T4_T5_T6_T7_T9_mT8_P12ihipStream_tbDpT10_ENKUlT_T0_E_clISt17integral_constantIbLb0EES18_IbLb1EEEEDaS14_S15_EUlS14_E_NS1_11comp_targetILNS1_3genE8ELNS1_11target_archE1030ELNS1_3gpuE2ELNS1_3repE0EEENS1_30default_config_static_selectorELNS0_4arch9wavefront6targetE1EEEvT1_,comdat
.Lfunc_end2586:
	.size	_ZN7rocprim17ROCPRIM_400000_NS6detail17trampoline_kernelINS0_14default_configENS1_25partition_config_selectorILNS1_17partition_subalgoE0EtNS0_10empty_typeEbEEZZNS1_14partition_implILS5_0ELb0ES3_jN6thrust23THRUST_200600_302600_NS6detail15normal_iteratorINSA_10device_ptrItEEEEPS6_SG_NS0_5tupleIJNSA_16discard_iteratorINSA_11use_defaultEEESF_EEENSH_IJSG_SG_EEES6_PlJ7is_evenItEEEE10hipError_tPvRmT3_T4_T5_T6_T7_T9_mT8_P12ihipStream_tbDpT10_ENKUlT_T0_E_clISt17integral_constantIbLb0EES18_IbLb1EEEEDaS14_S15_EUlS14_E_NS1_11comp_targetILNS1_3genE8ELNS1_11target_archE1030ELNS1_3gpuE2ELNS1_3repE0EEENS1_30default_config_static_selectorELNS0_4arch9wavefront6targetE1EEEvT1_, .Lfunc_end2586-_ZN7rocprim17ROCPRIM_400000_NS6detail17trampoline_kernelINS0_14default_configENS1_25partition_config_selectorILNS1_17partition_subalgoE0EtNS0_10empty_typeEbEEZZNS1_14partition_implILS5_0ELb0ES3_jN6thrust23THRUST_200600_302600_NS6detail15normal_iteratorINSA_10device_ptrItEEEEPS6_SG_NS0_5tupleIJNSA_16discard_iteratorINSA_11use_defaultEEESF_EEENSH_IJSG_SG_EEES6_PlJ7is_evenItEEEE10hipError_tPvRmT3_T4_T5_T6_T7_T9_mT8_P12ihipStream_tbDpT10_ENKUlT_T0_E_clISt17integral_constantIbLb0EES18_IbLb1EEEEDaS14_S15_EUlS14_E_NS1_11comp_targetILNS1_3genE8ELNS1_11target_archE1030ELNS1_3gpuE2ELNS1_3repE0EEENS1_30default_config_static_selectorELNS0_4arch9wavefront6targetE1EEEvT1_
                                        ; -- End function
	.section	.AMDGPU.csdata,"",@progbits
; Kernel info:
; codeLenInByte = 0
; NumSgprs: 4
; NumVgprs: 0
; NumAgprs: 0
; TotalNumVgprs: 0
; ScratchSize: 0
; MemoryBound: 0
; FloatMode: 240
; IeeeMode: 1
; LDSByteSize: 0 bytes/workgroup (compile time only)
; SGPRBlocks: 0
; VGPRBlocks: 0
; NumSGPRsForWavesPerEU: 4
; NumVGPRsForWavesPerEU: 1
; AccumOffset: 4
; Occupancy: 8
; WaveLimiterHint : 0
; COMPUTE_PGM_RSRC2:SCRATCH_EN: 0
; COMPUTE_PGM_RSRC2:USER_SGPR: 6
; COMPUTE_PGM_RSRC2:TRAP_HANDLER: 0
; COMPUTE_PGM_RSRC2:TGID_X_EN: 1
; COMPUTE_PGM_RSRC2:TGID_Y_EN: 0
; COMPUTE_PGM_RSRC2:TGID_Z_EN: 0
; COMPUTE_PGM_RSRC2:TIDIG_COMP_CNT: 0
; COMPUTE_PGM_RSRC3_GFX90A:ACCUM_OFFSET: 0
; COMPUTE_PGM_RSRC3_GFX90A:TG_SPLIT: 0
	.section	.text._ZN7rocprim17ROCPRIM_400000_NS6detail17trampoline_kernelINS0_14default_configENS1_25partition_config_selectorILNS1_17partition_subalgoE0ExNS0_10empty_typeEbEEZZNS1_14partition_implILS5_0ELb0ES3_jN6thrust23THRUST_200600_302600_NS6detail15normal_iteratorINSA_10device_ptrIxEEEEPS6_SG_NS0_5tupleIJNSA_16discard_iteratorINSA_11use_defaultEEESK_EEENSH_IJSG_SG_EEES6_PlJ7is_evenIxEEEE10hipError_tPvRmT3_T4_T5_T6_T7_T9_mT8_P12ihipStream_tbDpT10_ENKUlT_T0_E_clISt17integral_constantIbLb0EES19_EEDaS14_S15_EUlS14_E_NS1_11comp_targetILNS1_3genE0ELNS1_11target_archE4294967295ELNS1_3gpuE0ELNS1_3repE0EEENS1_30default_config_static_selectorELNS0_4arch9wavefront6targetE1EEEvT1_,"axG",@progbits,_ZN7rocprim17ROCPRIM_400000_NS6detail17trampoline_kernelINS0_14default_configENS1_25partition_config_selectorILNS1_17partition_subalgoE0ExNS0_10empty_typeEbEEZZNS1_14partition_implILS5_0ELb0ES3_jN6thrust23THRUST_200600_302600_NS6detail15normal_iteratorINSA_10device_ptrIxEEEEPS6_SG_NS0_5tupleIJNSA_16discard_iteratorINSA_11use_defaultEEESK_EEENSH_IJSG_SG_EEES6_PlJ7is_evenIxEEEE10hipError_tPvRmT3_T4_T5_T6_T7_T9_mT8_P12ihipStream_tbDpT10_ENKUlT_T0_E_clISt17integral_constantIbLb0EES19_EEDaS14_S15_EUlS14_E_NS1_11comp_targetILNS1_3genE0ELNS1_11target_archE4294967295ELNS1_3gpuE0ELNS1_3repE0EEENS1_30default_config_static_selectorELNS0_4arch9wavefront6targetE1EEEvT1_,comdat
	.protected	_ZN7rocprim17ROCPRIM_400000_NS6detail17trampoline_kernelINS0_14default_configENS1_25partition_config_selectorILNS1_17partition_subalgoE0ExNS0_10empty_typeEbEEZZNS1_14partition_implILS5_0ELb0ES3_jN6thrust23THRUST_200600_302600_NS6detail15normal_iteratorINSA_10device_ptrIxEEEEPS6_SG_NS0_5tupleIJNSA_16discard_iteratorINSA_11use_defaultEEESK_EEENSH_IJSG_SG_EEES6_PlJ7is_evenIxEEEE10hipError_tPvRmT3_T4_T5_T6_T7_T9_mT8_P12ihipStream_tbDpT10_ENKUlT_T0_E_clISt17integral_constantIbLb0EES19_EEDaS14_S15_EUlS14_E_NS1_11comp_targetILNS1_3genE0ELNS1_11target_archE4294967295ELNS1_3gpuE0ELNS1_3repE0EEENS1_30default_config_static_selectorELNS0_4arch9wavefront6targetE1EEEvT1_ ; -- Begin function _ZN7rocprim17ROCPRIM_400000_NS6detail17trampoline_kernelINS0_14default_configENS1_25partition_config_selectorILNS1_17partition_subalgoE0ExNS0_10empty_typeEbEEZZNS1_14partition_implILS5_0ELb0ES3_jN6thrust23THRUST_200600_302600_NS6detail15normal_iteratorINSA_10device_ptrIxEEEEPS6_SG_NS0_5tupleIJNSA_16discard_iteratorINSA_11use_defaultEEESK_EEENSH_IJSG_SG_EEES6_PlJ7is_evenIxEEEE10hipError_tPvRmT3_T4_T5_T6_T7_T9_mT8_P12ihipStream_tbDpT10_ENKUlT_T0_E_clISt17integral_constantIbLb0EES19_EEDaS14_S15_EUlS14_E_NS1_11comp_targetILNS1_3genE0ELNS1_11target_archE4294967295ELNS1_3gpuE0ELNS1_3repE0EEENS1_30default_config_static_selectorELNS0_4arch9wavefront6targetE1EEEvT1_
	.globl	_ZN7rocprim17ROCPRIM_400000_NS6detail17trampoline_kernelINS0_14default_configENS1_25partition_config_selectorILNS1_17partition_subalgoE0ExNS0_10empty_typeEbEEZZNS1_14partition_implILS5_0ELb0ES3_jN6thrust23THRUST_200600_302600_NS6detail15normal_iteratorINSA_10device_ptrIxEEEEPS6_SG_NS0_5tupleIJNSA_16discard_iteratorINSA_11use_defaultEEESK_EEENSH_IJSG_SG_EEES6_PlJ7is_evenIxEEEE10hipError_tPvRmT3_T4_T5_T6_T7_T9_mT8_P12ihipStream_tbDpT10_ENKUlT_T0_E_clISt17integral_constantIbLb0EES19_EEDaS14_S15_EUlS14_E_NS1_11comp_targetILNS1_3genE0ELNS1_11target_archE4294967295ELNS1_3gpuE0ELNS1_3repE0EEENS1_30default_config_static_selectorELNS0_4arch9wavefront6targetE1EEEvT1_
	.p2align	8
	.type	_ZN7rocprim17ROCPRIM_400000_NS6detail17trampoline_kernelINS0_14default_configENS1_25partition_config_selectorILNS1_17partition_subalgoE0ExNS0_10empty_typeEbEEZZNS1_14partition_implILS5_0ELb0ES3_jN6thrust23THRUST_200600_302600_NS6detail15normal_iteratorINSA_10device_ptrIxEEEEPS6_SG_NS0_5tupleIJNSA_16discard_iteratorINSA_11use_defaultEEESK_EEENSH_IJSG_SG_EEES6_PlJ7is_evenIxEEEE10hipError_tPvRmT3_T4_T5_T6_T7_T9_mT8_P12ihipStream_tbDpT10_ENKUlT_T0_E_clISt17integral_constantIbLb0EES19_EEDaS14_S15_EUlS14_E_NS1_11comp_targetILNS1_3genE0ELNS1_11target_archE4294967295ELNS1_3gpuE0ELNS1_3repE0EEENS1_30default_config_static_selectorELNS0_4arch9wavefront6targetE1EEEvT1_,@function
_ZN7rocprim17ROCPRIM_400000_NS6detail17trampoline_kernelINS0_14default_configENS1_25partition_config_selectorILNS1_17partition_subalgoE0ExNS0_10empty_typeEbEEZZNS1_14partition_implILS5_0ELb0ES3_jN6thrust23THRUST_200600_302600_NS6detail15normal_iteratorINSA_10device_ptrIxEEEEPS6_SG_NS0_5tupleIJNSA_16discard_iteratorINSA_11use_defaultEEESK_EEENSH_IJSG_SG_EEES6_PlJ7is_evenIxEEEE10hipError_tPvRmT3_T4_T5_T6_T7_T9_mT8_P12ihipStream_tbDpT10_ENKUlT_T0_E_clISt17integral_constantIbLb0EES19_EEDaS14_S15_EUlS14_E_NS1_11comp_targetILNS1_3genE0ELNS1_11target_archE4294967295ELNS1_3gpuE0ELNS1_3repE0EEENS1_30default_config_static_selectorELNS0_4arch9wavefront6targetE1EEEvT1_: ; @_ZN7rocprim17ROCPRIM_400000_NS6detail17trampoline_kernelINS0_14default_configENS1_25partition_config_selectorILNS1_17partition_subalgoE0ExNS0_10empty_typeEbEEZZNS1_14partition_implILS5_0ELb0ES3_jN6thrust23THRUST_200600_302600_NS6detail15normal_iteratorINSA_10device_ptrIxEEEEPS6_SG_NS0_5tupleIJNSA_16discard_iteratorINSA_11use_defaultEEESK_EEENSH_IJSG_SG_EEES6_PlJ7is_evenIxEEEE10hipError_tPvRmT3_T4_T5_T6_T7_T9_mT8_P12ihipStream_tbDpT10_ENKUlT_T0_E_clISt17integral_constantIbLb0EES19_EEDaS14_S15_EUlS14_E_NS1_11comp_targetILNS1_3genE0ELNS1_11target_archE4294967295ELNS1_3gpuE0ELNS1_3repE0EEENS1_30default_config_static_selectorELNS0_4arch9wavefront6targetE1EEEvT1_
; %bb.0:
	.section	.rodata,"a",@progbits
	.p2align	6, 0x0
	.amdhsa_kernel _ZN7rocprim17ROCPRIM_400000_NS6detail17trampoline_kernelINS0_14default_configENS1_25partition_config_selectorILNS1_17partition_subalgoE0ExNS0_10empty_typeEbEEZZNS1_14partition_implILS5_0ELb0ES3_jN6thrust23THRUST_200600_302600_NS6detail15normal_iteratorINSA_10device_ptrIxEEEEPS6_SG_NS0_5tupleIJNSA_16discard_iteratorINSA_11use_defaultEEESK_EEENSH_IJSG_SG_EEES6_PlJ7is_evenIxEEEE10hipError_tPvRmT3_T4_T5_T6_T7_T9_mT8_P12ihipStream_tbDpT10_ENKUlT_T0_E_clISt17integral_constantIbLb0EES19_EEDaS14_S15_EUlS14_E_NS1_11comp_targetILNS1_3genE0ELNS1_11target_archE4294967295ELNS1_3gpuE0ELNS1_3repE0EEENS1_30default_config_static_selectorELNS0_4arch9wavefront6targetE1EEEvT1_
		.amdhsa_group_segment_fixed_size 0
		.amdhsa_private_segment_fixed_size 0
		.amdhsa_kernarg_size 136
		.amdhsa_user_sgpr_count 6
		.amdhsa_user_sgpr_private_segment_buffer 1
		.amdhsa_user_sgpr_dispatch_ptr 0
		.amdhsa_user_sgpr_queue_ptr 0
		.amdhsa_user_sgpr_kernarg_segment_ptr 1
		.amdhsa_user_sgpr_dispatch_id 0
		.amdhsa_user_sgpr_flat_scratch_init 0
		.amdhsa_user_sgpr_kernarg_preload_length 0
		.amdhsa_user_sgpr_kernarg_preload_offset 0
		.amdhsa_user_sgpr_private_segment_size 0
		.amdhsa_uses_dynamic_stack 0
		.amdhsa_system_sgpr_private_segment_wavefront_offset 0
		.amdhsa_system_sgpr_workgroup_id_x 1
		.amdhsa_system_sgpr_workgroup_id_y 0
		.amdhsa_system_sgpr_workgroup_id_z 0
		.amdhsa_system_sgpr_workgroup_info 0
		.amdhsa_system_vgpr_workitem_id 0
		.amdhsa_next_free_vgpr 1
		.amdhsa_next_free_sgpr 0
		.amdhsa_accum_offset 4
		.amdhsa_reserve_vcc 0
		.amdhsa_reserve_flat_scratch 0
		.amdhsa_float_round_mode_32 0
		.amdhsa_float_round_mode_16_64 0
		.amdhsa_float_denorm_mode_32 3
		.amdhsa_float_denorm_mode_16_64 3
		.amdhsa_dx10_clamp 1
		.amdhsa_ieee_mode 1
		.amdhsa_fp16_overflow 0
		.amdhsa_tg_split 0
		.amdhsa_exception_fp_ieee_invalid_op 0
		.amdhsa_exception_fp_denorm_src 0
		.amdhsa_exception_fp_ieee_div_zero 0
		.amdhsa_exception_fp_ieee_overflow 0
		.amdhsa_exception_fp_ieee_underflow 0
		.amdhsa_exception_fp_ieee_inexact 0
		.amdhsa_exception_int_div_zero 0
	.end_amdhsa_kernel
	.section	.text._ZN7rocprim17ROCPRIM_400000_NS6detail17trampoline_kernelINS0_14default_configENS1_25partition_config_selectorILNS1_17partition_subalgoE0ExNS0_10empty_typeEbEEZZNS1_14partition_implILS5_0ELb0ES3_jN6thrust23THRUST_200600_302600_NS6detail15normal_iteratorINSA_10device_ptrIxEEEEPS6_SG_NS0_5tupleIJNSA_16discard_iteratorINSA_11use_defaultEEESK_EEENSH_IJSG_SG_EEES6_PlJ7is_evenIxEEEE10hipError_tPvRmT3_T4_T5_T6_T7_T9_mT8_P12ihipStream_tbDpT10_ENKUlT_T0_E_clISt17integral_constantIbLb0EES19_EEDaS14_S15_EUlS14_E_NS1_11comp_targetILNS1_3genE0ELNS1_11target_archE4294967295ELNS1_3gpuE0ELNS1_3repE0EEENS1_30default_config_static_selectorELNS0_4arch9wavefront6targetE1EEEvT1_,"axG",@progbits,_ZN7rocprim17ROCPRIM_400000_NS6detail17trampoline_kernelINS0_14default_configENS1_25partition_config_selectorILNS1_17partition_subalgoE0ExNS0_10empty_typeEbEEZZNS1_14partition_implILS5_0ELb0ES3_jN6thrust23THRUST_200600_302600_NS6detail15normal_iteratorINSA_10device_ptrIxEEEEPS6_SG_NS0_5tupleIJNSA_16discard_iteratorINSA_11use_defaultEEESK_EEENSH_IJSG_SG_EEES6_PlJ7is_evenIxEEEE10hipError_tPvRmT3_T4_T5_T6_T7_T9_mT8_P12ihipStream_tbDpT10_ENKUlT_T0_E_clISt17integral_constantIbLb0EES19_EEDaS14_S15_EUlS14_E_NS1_11comp_targetILNS1_3genE0ELNS1_11target_archE4294967295ELNS1_3gpuE0ELNS1_3repE0EEENS1_30default_config_static_selectorELNS0_4arch9wavefront6targetE1EEEvT1_,comdat
.Lfunc_end2587:
	.size	_ZN7rocprim17ROCPRIM_400000_NS6detail17trampoline_kernelINS0_14default_configENS1_25partition_config_selectorILNS1_17partition_subalgoE0ExNS0_10empty_typeEbEEZZNS1_14partition_implILS5_0ELb0ES3_jN6thrust23THRUST_200600_302600_NS6detail15normal_iteratorINSA_10device_ptrIxEEEEPS6_SG_NS0_5tupleIJNSA_16discard_iteratorINSA_11use_defaultEEESK_EEENSH_IJSG_SG_EEES6_PlJ7is_evenIxEEEE10hipError_tPvRmT3_T4_T5_T6_T7_T9_mT8_P12ihipStream_tbDpT10_ENKUlT_T0_E_clISt17integral_constantIbLb0EES19_EEDaS14_S15_EUlS14_E_NS1_11comp_targetILNS1_3genE0ELNS1_11target_archE4294967295ELNS1_3gpuE0ELNS1_3repE0EEENS1_30default_config_static_selectorELNS0_4arch9wavefront6targetE1EEEvT1_, .Lfunc_end2587-_ZN7rocprim17ROCPRIM_400000_NS6detail17trampoline_kernelINS0_14default_configENS1_25partition_config_selectorILNS1_17partition_subalgoE0ExNS0_10empty_typeEbEEZZNS1_14partition_implILS5_0ELb0ES3_jN6thrust23THRUST_200600_302600_NS6detail15normal_iteratorINSA_10device_ptrIxEEEEPS6_SG_NS0_5tupleIJNSA_16discard_iteratorINSA_11use_defaultEEESK_EEENSH_IJSG_SG_EEES6_PlJ7is_evenIxEEEE10hipError_tPvRmT3_T4_T5_T6_T7_T9_mT8_P12ihipStream_tbDpT10_ENKUlT_T0_E_clISt17integral_constantIbLb0EES19_EEDaS14_S15_EUlS14_E_NS1_11comp_targetILNS1_3genE0ELNS1_11target_archE4294967295ELNS1_3gpuE0ELNS1_3repE0EEENS1_30default_config_static_selectorELNS0_4arch9wavefront6targetE1EEEvT1_
                                        ; -- End function
	.section	.AMDGPU.csdata,"",@progbits
; Kernel info:
; codeLenInByte = 0
; NumSgprs: 4
; NumVgprs: 0
; NumAgprs: 0
; TotalNumVgprs: 0
; ScratchSize: 0
; MemoryBound: 0
; FloatMode: 240
; IeeeMode: 1
; LDSByteSize: 0 bytes/workgroup (compile time only)
; SGPRBlocks: 0
; VGPRBlocks: 0
; NumSGPRsForWavesPerEU: 4
; NumVGPRsForWavesPerEU: 1
; AccumOffset: 4
; Occupancy: 8
; WaveLimiterHint : 0
; COMPUTE_PGM_RSRC2:SCRATCH_EN: 0
; COMPUTE_PGM_RSRC2:USER_SGPR: 6
; COMPUTE_PGM_RSRC2:TRAP_HANDLER: 0
; COMPUTE_PGM_RSRC2:TGID_X_EN: 1
; COMPUTE_PGM_RSRC2:TGID_Y_EN: 0
; COMPUTE_PGM_RSRC2:TGID_Z_EN: 0
; COMPUTE_PGM_RSRC2:TIDIG_COMP_CNT: 0
; COMPUTE_PGM_RSRC3_GFX90A:ACCUM_OFFSET: 0
; COMPUTE_PGM_RSRC3_GFX90A:TG_SPLIT: 0
	.section	.text._ZN7rocprim17ROCPRIM_400000_NS6detail17trampoline_kernelINS0_14default_configENS1_25partition_config_selectorILNS1_17partition_subalgoE0ExNS0_10empty_typeEbEEZZNS1_14partition_implILS5_0ELb0ES3_jN6thrust23THRUST_200600_302600_NS6detail15normal_iteratorINSA_10device_ptrIxEEEEPS6_SG_NS0_5tupleIJNSA_16discard_iteratorINSA_11use_defaultEEESK_EEENSH_IJSG_SG_EEES6_PlJ7is_evenIxEEEE10hipError_tPvRmT3_T4_T5_T6_T7_T9_mT8_P12ihipStream_tbDpT10_ENKUlT_T0_E_clISt17integral_constantIbLb0EES19_EEDaS14_S15_EUlS14_E_NS1_11comp_targetILNS1_3genE5ELNS1_11target_archE942ELNS1_3gpuE9ELNS1_3repE0EEENS1_30default_config_static_selectorELNS0_4arch9wavefront6targetE1EEEvT1_,"axG",@progbits,_ZN7rocprim17ROCPRIM_400000_NS6detail17trampoline_kernelINS0_14default_configENS1_25partition_config_selectorILNS1_17partition_subalgoE0ExNS0_10empty_typeEbEEZZNS1_14partition_implILS5_0ELb0ES3_jN6thrust23THRUST_200600_302600_NS6detail15normal_iteratorINSA_10device_ptrIxEEEEPS6_SG_NS0_5tupleIJNSA_16discard_iteratorINSA_11use_defaultEEESK_EEENSH_IJSG_SG_EEES6_PlJ7is_evenIxEEEE10hipError_tPvRmT3_T4_T5_T6_T7_T9_mT8_P12ihipStream_tbDpT10_ENKUlT_T0_E_clISt17integral_constantIbLb0EES19_EEDaS14_S15_EUlS14_E_NS1_11comp_targetILNS1_3genE5ELNS1_11target_archE942ELNS1_3gpuE9ELNS1_3repE0EEENS1_30default_config_static_selectorELNS0_4arch9wavefront6targetE1EEEvT1_,comdat
	.protected	_ZN7rocprim17ROCPRIM_400000_NS6detail17trampoline_kernelINS0_14default_configENS1_25partition_config_selectorILNS1_17partition_subalgoE0ExNS0_10empty_typeEbEEZZNS1_14partition_implILS5_0ELb0ES3_jN6thrust23THRUST_200600_302600_NS6detail15normal_iteratorINSA_10device_ptrIxEEEEPS6_SG_NS0_5tupleIJNSA_16discard_iteratorINSA_11use_defaultEEESK_EEENSH_IJSG_SG_EEES6_PlJ7is_evenIxEEEE10hipError_tPvRmT3_T4_T5_T6_T7_T9_mT8_P12ihipStream_tbDpT10_ENKUlT_T0_E_clISt17integral_constantIbLb0EES19_EEDaS14_S15_EUlS14_E_NS1_11comp_targetILNS1_3genE5ELNS1_11target_archE942ELNS1_3gpuE9ELNS1_3repE0EEENS1_30default_config_static_selectorELNS0_4arch9wavefront6targetE1EEEvT1_ ; -- Begin function _ZN7rocprim17ROCPRIM_400000_NS6detail17trampoline_kernelINS0_14default_configENS1_25partition_config_selectorILNS1_17partition_subalgoE0ExNS0_10empty_typeEbEEZZNS1_14partition_implILS5_0ELb0ES3_jN6thrust23THRUST_200600_302600_NS6detail15normal_iteratorINSA_10device_ptrIxEEEEPS6_SG_NS0_5tupleIJNSA_16discard_iteratorINSA_11use_defaultEEESK_EEENSH_IJSG_SG_EEES6_PlJ7is_evenIxEEEE10hipError_tPvRmT3_T4_T5_T6_T7_T9_mT8_P12ihipStream_tbDpT10_ENKUlT_T0_E_clISt17integral_constantIbLb0EES19_EEDaS14_S15_EUlS14_E_NS1_11comp_targetILNS1_3genE5ELNS1_11target_archE942ELNS1_3gpuE9ELNS1_3repE0EEENS1_30default_config_static_selectorELNS0_4arch9wavefront6targetE1EEEvT1_
	.globl	_ZN7rocprim17ROCPRIM_400000_NS6detail17trampoline_kernelINS0_14default_configENS1_25partition_config_selectorILNS1_17partition_subalgoE0ExNS0_10empty_typeEbEEZZNS1_14partition_implILS5_0ELb0ES3_jN6thrust23THRUST_200600_302600_NS6detail15normal_iteratorINSA_10device_ptrIxEEEEPS6_SG_NS0_5tupleIJNSA_16discard_iteratorINSA_11use_defaultEEESK_EEENSH_IJSG_SG_EEES6_PlJ7is_evenIxEEEE10hipError_tPvRmT3_T4_T5_T6_T7_T9_mT8_P12ihipStream_tbDpT10_ENKUlT_T0_E_clISt17integral_constantIbLb0EES19_EEDaS14_S15_EUlS14_E_NS1_11comp_targetILNS1_3genE5ELNS1_11target_archE942ELNS1_3gpuE9ELNS1_3repE0EEENS1_30default_config_static_selectorELNS0_4arch9wavefront6targetE1EEEvT1_
	.p2align	8
	.type	_ZN7rocprim17ROCPRIM_400000_NS6detail17trampoline_kernelINS0_14default_configENS1_25partition_config_selectorILNS1_17partition_subalgoE0ExNS0_10empty_typeEbEEZZNS1_14partition_implILS5_0ELb0ES3_jN6thrust23THRUST_200600_302600_NS6detail15normal_iteratorINSA_10device_ptrIxEEEEPS6_SG_NS0_5tupleIJNSA_16discard_iteratorINSA_11use_defaultEEESK_EEENSH_IJSG_SG_EEES6_PlJ7is_evenIxEEEE10hipError_tPvRmT3_T4_T5_T6_T7_T9_mT8_P12ihipStream_tbDpT10_ENKUlT_T0_E_clISt17integral_constantIbLb0EES19_EEDaS14_S15_EUlS14_E_NS1_11comp_targetILNS1_3genE5ELNS1_11target_archE942ELNS1_3gpuE9ELNS1_3repE0EEENS1_30default_config_static_selectorELNS0_4arch9wavefront6targetE1EEEvT1_,@function
_ZN7rocprim17ROCPRIM_400000_NS6detail17trampoline_kernelINS0_14default_configENS1_25partition_config_selectorILNS1_17partition_subalgoE0ExNS0_10empty_typeEbEEZZNS1_14partition_implILS5_0ELb0ES3_jN6thrust23THRUST_200600_302600_NS6detail15normal_iteratorINSA_10device_ptrIxEEEEPS6_SG_NS0_5tupleIJNSA_16discard_iteratorINSA_11use_defaultEEESK_EEENSH_IJSG_SG_EEES6_PlJ7is_evenIxEEEE10hipError_tPvRmT3_T4_T5_T6_T7_T9_mT8_P12ihipStream_tbDpT10_ENKUlT_T0_E_clISt17integral_constantIbLb0EES19_EEDaS14_S15_EUlS14_E_NS1_11comp_targetILNS1_3genE5ELNS1_11target_archE942ELNS1_3gpuE9ELNS1_3repE0EEENS1_30default_config_static_selectorELNS0_4arch9wavefront6targetE1EEEvT1_: ; @_ZN7rocprim17ROCPRIM_400000_NS6detail17trampoline_kernelINS0_14default_configENS1_25partition_config_selectorILNS1_17partition_subalgoE0ExNS0_10empty_typeEbEEZZNS1_14partition_implILS5_0ELb0ES3_jN6thrust23THRUST_200600_302600_NS6detail15normal_iteratorINSA_10device_ptrIxEEEEPS6_SG_NS0_5tupleIJNSA_16discard_iteratorINSA_11use_defaultEEESK_EEENSH_IJSG_SG_EEES6_PlJ7is_evenIxEEEE10hipError_tPvRmT3_T4_T5_T6_T7_T9_mT8_P12ihipStream_tbDpT10_ENKUlT_T0_E_clISt17integral_constantIbLb0EES19_EEDaS14_S15_EUlS14_E_NS1_11comp_targetILNS1_3genE5ELNS1_11target_archE942ELNS1_3gpuE9ELNS1_3repE0EEENS1_30default_config_static_selectorELNS0_4arch9wavefront6targetE1EEEvT1_
; %bb.0:
	.section	.rodata,"a",@progbits
	.p2align	6, 0x0
	.amdhsa_kernel _ZN7rocprim17ROCPRIM_400000_NS6detail17trampoline_kernelINS0_14default_configENS1_25partition_config_selectorILNS1_17partition_subalgoE0ExNS0_10empty_typeEbEEZZNS1_14partition_implILS5_0ELb0ES3_jN6thrust23THRUST_200600_302600_NS6detail15normal_iteratorINSA_10device_ptrIxEEEEPS6_SG_NS0_5tupleIJNSA_16discard_iteratorINSA_11use_defaultEEESK_EEENSH_IJSG_SG_EEES6_PlJ7is_evenIxEEEE10hipError_tPvRmT3_T4_T5_T6_T7_T9_mT8_P12ihipStream_tbDpT10_ENKUlT_T0_E_clISt17integral_constantIbLb0EES19_EEDaS14_S15_EUlS14_E_NS1_11comp_targetILNS1_3genE5ELNS1_11target_archE942ELNS1_3gpuE9ELNS1_3repE0EEENS1_30default_config_static_selectorELNS0_4arch9wavefront6targetE1EEEvT1_
		.amdhsa_group_segment_fixed_size 0
		.amdhsa_private_segment_fixed_size 0
		.amdhsa_kernarg_size 136
		.amdhsa_user_sgpr_count 6
		.amdhsa_user_sgpr_private_segment_buffer 1
		.amdhsa_user_sgpr_dispatch_ptr 0
		.amdhsa_user_sgpr_queue_ptr 0
		.amdhsa_user_sgpr_kernarg_segment_ptr 1
		.amdhsa_user_sgpr_dispatch_id 0
		.amdhsa_user_sgpr_flat_scratch_init 0
		.amdhsa_user_sgpr_kernarg_preload_length 0
		.amdhsa_user_sgpr_kernarg_preload_offset 0
		.amdhsa_user_sgpr_private_segment_size 0
		.amdhsa_uses_dynamic_stack 0
		.amdhsa_system_sgpr_private_segment_wavefront_offset 0
		.amdhsa_system_sgpr_workgroup_id_x 1
		.amdhsa_system_sgpr_workgroup_id_y 0
		.amdhsa_system_sgpr_workgroup_id_z 0
		.amdhsa_system_sgpr_workgroup_info 0
		.amdhsa_system_vgpr_workitem_id 0
		.amdhsa_next_free_vgpr 1
		.amdhsa_next_free_sgpr 0
		.amdhsa_accum_offset 4
		.amdhsa_reserve_vcc 0
		.amdhsa_reserve_flat_scratch 0
		.amdhsa_float_round_mode_32 0
		.amdhsa_float_round_mode_16_64 0
		.amdhsa_float_denorm_mode_32 3
		.amdhsa_float_denorm_mode_16_64 3
		.amdhsa_dx10_clamp 1
		.amdhsa_ieee_mode 1
		.amdhsa_fp16_overflow 0
		.amdhsa_tg_split 0
		.amdhsa_exception_fp_ieee_invalid_op 0
		.amdhsa_exception_fp_denorm_src 0
		.amdhsa_exception_fp_ieee_div_zero 0
		.amdhsa_exception_fp_ieee_overflow 0
		.amdhsa_exception_fp_ieee_underflow 0
		.amdhsa_exception_fp_ieee_inexact 0
		.amdhsa_exception_int_div_zero 0
	.end_amdhsa_kernel
	.section	.text._ZN7rocprim17ROCPRIM_400000_NS6detail17trampoline_kernelINS0_14default_configENS1_25partition_config_selectorILNS1_17partition_subalgoE0ExNS0_10empty_typeEbEEZZNS1_14partition_implILS5_0ELb0ES3_jN6thrust23THRUST_200600_302600_NS6detail15normal_iteratorINSA_10device_ptrIxEEEEPS6_SG_NS0_5tupleIJNSA_16discard_iteratorINSA_11use_defaultEEESK_EEENSH_IJSG_SG_EEES6_PlJ7is_evenIxEEEE10hipError_tPvRmT3_T4_T5_T6_T7_T9_mT8_P12ihipStream_tbDpT10_ENKUlT_T0_E_clISt17integral_constantIbLb0EES19_EEDaS14_S15_EUlS14_E_NS1_11comp_targetILNS1_3genE5ELNS1_11target_archE942ELNS1_3gpuE9ELNS1_3repE0EEENS1_30default_config_static_selectorELNS0_4arch9wavefront6targetE1EEEvT1_,"axG",@progbits,_ZN7rocprim17ROCPRIM_400000_NS6detail17trampoline_kernelINS0_14default_configENS1_25partition_config_selectorILNS1_17partition_subalgoE0ExNS0_10empty_typeEbEEZZNS1_14partition_implILS5_0ELb0ES3_jN6thrust23THRUST_200600_302600_NS6detail15normal_iteratorINSA_10device_ptrIxEEEEPS6_SG_NS0_5tupleIJNSA_16discard_iteratorINSA_11use_defaultEEESK_EEENSH_IJSG_SG_EEES6_PlJ7is_evenIxEEEE10hipError_tPvRmT3_T4_T5_T6_T7_T9_mT8_P12ihipStream_tbDpT10_ENKUlT_T0_E_clISt17integral_constantIbLb0EES19_EEDaS14_S15_EUlS14_E_NS1_11comp_targetILNS1_3genE5ELNS1_11target_archE942ELNS1_3gpuE9ELNS1_3repE0EEENS1_30default_config_static_selectorELNS0_4arch9wavefront6targetE1EEEvT1_,comdat
.Lfunc_end2588:
	.size	_ZN7rocprim17ROCPRIM_400000_NS6detail17trampoline_kernelINS0_14default_configENS1_25partition_config_selectorILNS1_17partition_subalgoE0ExNS0_10empty_typeEbEEZZNS1_14partition_implILS5_0ELb0ES3_jN6thrust23THRUST_200600_302600_NS6detail15normal_iteratorINSA_10device_ptrIxEEEEPS6_SG_NS0_5tupleIJNSA_16discard_iteratorINSA_11use_defaultEEESK_EEENSH_IJSG_SG_EEES6_PlJ7is_evenIxEEEE10hipError_tPvRmT3_T4_T5_T6_T7_T9_mT8_P12ihipStream_tbDpT10_ENKUlT_T0_E_clISt17integral_constantIbLb0EES19_EEDaS14_S15_EUlS14_E_NS1_11comp_targetILNS1_3genE5ELNS1_11target_archE942ELNS1_3gpuE9ELNS1_3repE0EEENS1_30default_config_static_selectorELNS0_4arch9wavefront6targetE1EEEvT1_, .Lfunc_end2588-_ZN7rocprim17ROCPRIM_400000_NS6detail17trampoline_kernelINS0_14default_configENS1_25partition_config_selectorILNS1_17partition_subalgoE0ExNS0_10empty_typeEbEEZZNS1_14partition_implILS5_0ELb0ES3_jN6thrust23THRUST_200600_302600_NS6detail15normal_iteratorINSA_10device_ptrIxEEEEPS6_SG_NS0_5tupleIJNSA_16discard_iteratorINSA_11use_defaultEEESK_EEENSH_IJSG_SG_EEES6_PlJ7is_evenIxEEEE10hipError_tPvRmT3_T4_T5_T6_T7_T9_mT8_P12ihipStream_tbDpT10_ENKUlT_T0_E_clISt17integral_constantIbLb0EES19_EEDaS14_S15_EUlS14_E_NS1_11comp_targetILNS1_3genE5ELNS1_11target_archE942ELNS1_3gpuE9ELNS1_3repE0EEENS1_30default_config_static_selectorELNS0_4arch9wavefront6targetE1EEEvT1_
                                        ; -- End function
	.section	.AMDGPU.csdata,"",@progbits
; Kernel info:
; codeLenInByte = 0
; NumSgprs: 4
; NumVgprs: 0
; NumAgprs: 0
; TotalNumVgprs: 0
; ScratchSize: 0
; MemoryBound: 0
; FloatMode: 240
; IeeeMode: 1
; LDSByteSize: 0 bytes/workgroup (compile time only)
; SGPRBlocks: 0
; VGPRBlocks: 0
; NumSGPRsForWavesPerEU: 4
; NumVGPRsForWavesPerEU: 1
; AccumOffset: 4
; Occupancy: 8
; WaveLimiterHint : 0
; COMPUTE_PGM_RSRC2:SCRATCH_EN: 0
; COMPUTE_PGM_RSRC2:USER_SGPR: 6
; COMPUTE_PGM_RSRC2:TRAP_HANDLER: 0
; COMPUTE_PGM_RSRC2:TGID_X_EN: 1
; COMPUTE_PGM_RSRC2:TGID_Y_EN: 0
; COMPUTE_PGM_RSRC2:TGID_Z_EN: 0
; COMPUTE_PGM_RSRC2:TIDIG_COMP_CNT: 0
; COMPUTE_PGM_RSRC3_GFX90A:ACCUM_OFFSET: 0
; COMPUTE_PGM_RSRC3_GFX90A:TG_SPLIT: 0
	.section	.text._ZN7rocprim17ROCPRIM_400000_NS6detail17trampoline_kernelINS0_14default_configENS1_25partition_config_selectorILNS1_17partition_subalgoE0ExNS0_10empty_typeEbEEZZNS1_14partition_implILS5_0ELb0ES3_jN6thrust23THRUST_200600_302600_NS6detail15normal_iteratorINSA_10device_ptrIxEEEEPS6_SG_NS0_5tupleIJNSA_16discard_iteratorINSA_11use_defaultEEESK_EEENSH_IJSG_SG_EEES6_PlJ7is_evenIxEEEE10hipError_tPvRmT3_T4_T5_T6_T7_T9_mT8_P12ihipStream_tbDpT10_ENKUlT_T0_E_clISt17integral_constantIbLb0EES19_EEDaS14_S15_EUlS14_E_NS1_11comp_targetILNS1_3genE4ELNS1_11target_archE910ELNS1_3gpuE8ELNS1_3repE0EEENS1_30default_config_static_selectorELNS0_4arch9wavefront6targetE1EEEvT1_,"axG",@progbits,_ZN7rocprim17ROCPRIM_400000_NS6detail17trampoline_kernelINS0_14default_configENS1_25partition_config_selectorILNS1_17partition_subalgoE0ExNS0_10empty_typeEbEEZZNS1_14partition_implILS5_0ELb0ES3_jN6thrust23THRUST_200600_302600_NS6detail15normal_iteratorINSA_10device_ptrIxEEEEPS6_SG_NS0_5tupleIJNSA_16discard_iteratorINSA_11use_defaultEEESK_EEENSH_IJSG_SG_EEES6_PlJ7is_evenIxEEEE10hipError_tPvRmT3_T4_T5_T6_T7_T9_mT8_P12ihipStream_tbDpT10_ENKUlT_T0_E_clISt17integral_constantIbLb0EES19_EEDaS14_S15_EUlS14_E_NS1_11comp_targetILNS1_3genE4ELNS1_11target_archE910ELNS1_3gpuE8ELNS1_3repE0EEENS1_30default_config_static_selectorELNS0_4arch9wavefront6targetE1EEEvT1_,comdat
	.protected	_ZN7rocprim17ROCPRIM_400000_NS6detail17trampoline_kernelINS0_14default_configENS1_25partition_config_selectorILNS1_17partition_subalgoE0ExNS0_10empty_typeEbEEZZNS1_14partition_implILS5_0ELb0ES3_jN6thrust23THRUST_200600_302600_NS6detail15normal_iteratorINSA_10device_ptrIxEEEEPS6_SG_NS0_5tupleIJNSA_16discard_iteratorINSA_11use_defaultEEESK_EEENSH_IJSG_SG_EEES6_PlJ7is_evenIxEEEE10hipError_tPvRmT3_T4_T5_T6_T7_T9_mT8_P12ihipStream_tbDpT10_ENKUlT_T0_E_clISt17integral_constantIbLb0EES19_EEDaS14_S15_EUlS14_E_NS1_11comp_targetILNS1_3genE4ELNS1_11target_archE910ELNS1_3gpuE8ELNS1_3repE0EEENS1_30default_config_static_selectorELNS0_4arch9wavefront6targetE1EEEvT1_ ; -- Begin function _ZN7rocprim17ROCPRIM_400000_NS6detail17trampoline_kernelINS0_14default_configENS1_25partition_config_selectorILNS1_17partition_subalgoE0ExNS0_10empty_typeEbEEZZNS1_14partition_implILS5_0ELb0ES3_jN6thrust23THRUST_200600_302600_NS6detail15normal_iteratorINSA_10device_ptrIxEEEEPS6_SG_NS0_5tupleIJNSA_16discard_iteratorINSA_11use_defaultEEESK_EEENSH_IJSG_SG_EEES6_PlJ7is_evenIxEEEE10hipError_tPvRmT3_T4_T5_T6_T7_T9_mT8_P12ihipStream_tbDpT10_ENKUlT_T0_E_clISt17integral_constantIbLb0EES19_EEDaS14_S15_EUlS14_E_NS1_11comp_targetILNS1_3genE4ELNS1_11target_archE910ELNS1_3gpuE8ELNS1_3repE0EEENS1_30default_config_static_selectorELNS0_4arch9wavefront6targetE1EEEvT1_
	.globl	_ZN7rocprim17ROCPRIM_400000_NS6detail17trampoline_kernelINS0_14default_configENS1_25partition_config_selectorILNS1_17partition_subalgoE0ExNS0_10empty_typeEbEEZZNS1_14partition_implILS5_0ELb0ES3_jN6thrust23THRUST_200600_302600_NS6detail15normal_iteratorINSA_10device_ptrIxEEEEPS6_SG_NS0_5tupleIJNSA_16discard_iteratorINSA_11use_defaultEEESK_EEENSH_IJSG_SG_EEES6_PlJ7is_evenIxEEEE10hipError_tPvRmT3_T4_T5_T6_T7_T9_mT8_P12ihipStream_tbDpT10_ENKUlT_T0_E_clISt17integral_constantIbLb0EES19_EEDaS14_S15_EUlS14_E_NS1_11comp_targetILNS1_3genE4ELNS1_11target_archE910ELNS1_3gpuE8ELNS1_3repE0EEENS1_30default_config_static_selectorELNS0_4arch9wavefront6targetE1EEEvT1_
	.p2align	8
	.type	_ZN7rocprim17ROCPRIM_400000_NS6detail17trampoline_kernelINS0_14default_configENS1_25partition_config_selectorILNS1_17partition_subalgoE0ExNS0_10empty_typeEbEEZZNS1_14partition_implILS5_0ELb0ES3_jN6thrust23THRUST_200600_302600_NS6detail15normal_iteratorINSA_10device_ptrIxEEEEPS6_SG_NS0_5tupleIJNSA_16discard_iteratorINSA_11use_defaultEEESK_EEENSH_IJSG_SG_EEES6_PlJ7is_evenIxEEEE10hipError_tPvRmT3_T4_T5_T6_T7_T9_mT8_P12ihipStream_tbDpT10_ENKUlT_T0_E_clISt17integral_constantIbLb0EES19_EEDaS14_S15_EUlS14_E_NS1_11comp_targetILNS1_3genE4ELNS1_11target_archE910ELNS1_3gpuE8ELNS1_3repE0EEENS1_30default_config_static_selectorELNS0_4arch9wavefront6targetE1EEEvT1_,@function
_ZN7rocprim17ROCPRIM_400000_NS6detail17trampoline_kernelINS0_14default_configENS1_25partition_config_selectorILNS1_17partition_subalgoE0ExNS0_10empty_typeEbEEZZNS1_14partition_implILS5_0ELb0ES3_jN6thrust23THRUST_200600_302600_NS6detail15normal_iteratorINSA_10device_ptrIxEEEEPS6_SG_NS0_5tupleIJNSA_16discard_iteratorINSA_11use_defaultEEESK_EEENSH_IJSG_SG_EEES6_PlJ7is_evenIxEEEE10hipError_tPvRmT3_T4_T5_T6_T7_T9_mT8_P12ihipStream_tbDpT10_ENKUlT_T0_E_clISt17integral_constantIbLb0EES19_EEDaS14_S15_EUlS14_E_NS1_11comp_targetILNS1_3genE4ELNS1_11target_archE910ELNS1_3gpuE8ELNS1_3repE0EEENS1_30default_config_static_selectorELNS0_4arch9wavefront6targetE1EEEvT1_: ; @_ZN7rocprim17ROCPRIM_400000_NS6detail17trampoline_kernelINS0_14default_configENS1_25partition_config_selectorILNS1_17partition_subalgoE0ExNS0_10empty_typeEbEEZZNS1_14partition_implILS5_0ELb0ES3_jN6thrust23THRUST_200600_302600_NS6detail15normal_iteratorINSA_10device_ptrIxEEEEPS6_SG_NS0_5tupleIJNSA_16discard_iteratorINSA_11use_defaultEEESK_EEENSH_IJSG_SG_EEES6_PlJ7is_evenIxEEEE10hipError_tPvRmT3_T4_T5_T6_T7_T9_mT8_P12ihipStream_tbDpT10_ENKUlT_T0_E_clISt17integral_constantIbLb0EES19_EEDaS14_S15_EUlS14_E_NS1_11comp_targetILNS1_3genE4ELNS1_11target_archE910ELNS1_3gpuE8ELNS1_3repE0EEENS1_30default_config_static_selectorELNS0_4arch9wavefront6targetE1EEEvT1_
; %bb.0:
	s_load_dwordx2 s[8:9], s[4:5], 0x68
	s_load_dwordx4 s[0:3], s[4:5], 0x8
	s_load_dwordx4 s[20:23], s[4:5], 0x58
	s_load_dword s7, s[4:5], 0x80
	v_lshlrev_b32_e32 v1, 3, v0
	s_waitcnt lgkmcnt(0)
	v_mov_b32_e32 v3, s9
	s_lshl_b64 s[10:11], s[2:3], 3
	s_add_u32 s9, s0, s10
	s_mul_i32 s0, s7, 0x300
	s_addc_u32 s12, s1, s11
	s_add_i32 s1, s0, s2
	s_add_i32 s13, s7, -1
	s_sub_i32 s7, s8, s1
	s_add_u32 s0, s2, s0
	s_addc_u32 s1, s3, 0
	s_cmp_eq_u32 s6, s13
	v_mov_b32_e32 v2, s8
	s_load_dwordx2 s[18:19], s[22:23], 0x0
	s_cselect_b64 s[22:23], -1, 0
	s_cmp_lg_u32 s6, s13
	s_mul_i32 s10, s6, 0x300
	s_mov_b32 s11, 0
	v_cmp_lt_u64_e32 vcc, s[0:1], v[2:3]
	s_cselect_b64 s[0:1], -1, 0
	s_or_b64 s[0:1], s[0:1], vcc
	s_lshl_b64 s[2:3], s[10:11], 3
	s_add_u32 s8, s9, s2
	s_addc_u32 s9, s12, s3
	s_mov_b64 s[2:3], -1
	s_and_b64 vcc, exec, s[0:1]
	v_lshrrev_b32_e32 v10, 2, v0
	s_cbranch_vccz .LBB2589_2
; %bb.1:
	v_mov_b32_e32 v3, s9
	v_add_co_u32_e32 v2, vcc, s8, v1
	v_addc_co_u32_e32 v3, vcc, 0, v3, vcc
	v_add_co_u32_e32 v4, vcc, 0x1000, v2
	v_addc_co_u32_e32 v5, vcc, 0, v3, vcc
	flat_load_dwordx2 v[6:7], v[2:3]
	flat_load_dwordx2 v[8:9], v[2:3] offset:1536
	flat_load_dwordx2 v[12:13], v[2:3] offset:3072
	;; [unrolled: 1-line block ×3, first 2 shown]
	v_add_u32_e32 v3, 0xc0, v0
	v_add_u32_e32 v4, 0x180, v0
	v_add_u32_e32 v5, 0x240, v0
	v_and_b32_e32 v2, 56, v10
	v_lshrrev_b32_e32 v3, 2, v3
	v_lshrrev_b32_e32 v4, 2, v4
	;; [unrolled: 1-line block ×3, first 2 shown]
	v_add_u32_e32 v2, v2, v1
	v_and_b32_e32 v3, 0x78, v3
	v_and_b32_e32 v4, 0xf8, v4
	;; [unrolled: 1-line block ×3, first 2 shown]
	v_add_u32_e32 v3, v3, v1
	v_add_u32_e32 v4, v4, v1
	v_add_u32_e32 v5, v5, v1
	s_mov_b64 s[2:3], 0
	s_waitcnt vmcnt(0) lgkmcnt(0)
	ds_write_b64 v2, v[6:7]
	ds_write_b64 v3, v[8:9] offset:1536
	ds_write_b64 v4, v[12:13] offset:3072
	;; [unrolled: 1-line block ×3, first 2 shown]
	s_waitcnt lgkmcnt(0)
	s_barrier
.LBB2589_2:
	s_andn2_b64 vcc, exec, s[2:3]
	s_addk_i32 s7, 0x300
	s_cbranch_vccnz .LBB2589_12
; %bb.3:
	v_cmp_gt_u32_e32 vcc, s7, v0
                                        ; implicit-def: $vgpr2_vgpr3_vgpr4_vgpr5_vgpr6_vgpr7_vgpr8_vgpr9
	s_and_saveexec_b64 s[2:3], vcc
	s_cbranch_execz .LBB2589_5
; %bb.4:
	v_mov_b32_e32 v3, s9
	v_add_co_u32_e32 v2, vcc, s8, v1
	v_addc_co_u32_e32 v3, vcc, 0, v3, vcc
	flat_load_dwordx2 v[2:3], v[2:3]
.LBB2589_5:
	s_or_b64 exec, exec, s[2:3]
	v_add_u32_e32 v11, 0xc0, v0
	v_cmp_gt_u32_e32 vcc, s7, v11
	s_and_saveexec_b64 s[2:3], vcc
	s_cbranch_execz .LBB2589_7
; %bb.6:
	v_mov_b32_e32 v5, s9
	v_add_co_u32_e32 v4, vcc, s8, v1
	v_addc_co_u32_e32 v5, vcc, 0, v5, vcc
	flat_load_dwordx2 v[4:5], v[4:5] offset:1536
.LBB2589_7:
	s_or_b64 exec, exec, s[2:3]
	v_add_u32_e32 v12, 0x180, v0
	v_cmp_gt_u32_e32 vcc, s7, v12
	s_and_saveexec_b64 s[2:3], vcc
	s_cbranch_execz .LBB2589_9
; %bb.8:
	v_mov_b32_e32 v7, s9
	v_add_co_u32_e32 v6, vcc, s8, v1
	v_addc_co_u32_e32 v7, vcc, 0, v7, vcc
	flat_load_dwordx2 v[6:7], v[6:7] offset:3072
.LBB2589_9:
	s_or_b64 exec, exec, s[2:3]
	v_add_u32_e32 v13, 0x240, v0
	v_cmp_gt_u32_e32 vcc, s7, v13
	s_and_saveexec_b64 s[2:3], vcc
	s_cbranch_execz .LBB2589_11
; %bb.10:
	v_lshlrev_b32_e32 v8, 3, v13
	v_mov_b32_e32 v9, s9
	v_add_co_u32_e32 v8, vcc, s8, v8
	v_addc_co_u32_e32 v9, vcc, 0, v9, vcc
	flat_load_dwordx2 v[8:9], v[8:9]
.LBB2589_11:
	s_or_b64 exec, exec, s[2:3]
	v_and_b32_e32 v10, 56, v10
	v_add_u32_e32 v10, v10, v1
	s_waitcnt vmcnt(0) lgkmcnt(0)
	ds_write_b64 v10, v[2:3]
	v_lshrrev_b32_e32 v2, 2, v11
	v_and_b32_e32 v2, 0x78, v2
	v_add_u32_e32 v2, v2, v1
	ds_write_b64 v2, v[4:5] offset:1536
	v_lshrrev_b32_e32 v2, 2, v12
	v_and_b32_e32 v2, 0xf8, v2
	v_add_u32_e32 v2, v2, v1
	ds_write_b64 v2, v[6:7] offset:3072
	;; [unrolled: 4-line block ×3, first 2 shown]
	s_waitcnt lgkmcnt(0)
	s_barrier
.LBB2589_12:
	v_lshlrev_b32_e32 v1, 2, v0
	v_lshrrev_b32_e32 v2, 3, v0
	v_add_lshl_u32 v2, v2, v1, 3
	s_waitcnt lgkmcnt(0)
	ds_read2_b64 v[6:9], v2 offset1:1
	ds_read2_b64 v[2:5], v2 offset0:2 offset1:3
	s_andn2_b64 vcc, exec, s[0:1]
	s_waitcnt lgkmcnt(0)
	s_barrier
	v_xor_b32_e32 v13, -1, v6
	v_xor_b32_e32 v12, -1, v8
	;; [unrolled: 1-line block ×4, first 2 shown]
	s_cbranch_vccnz .LBB2589_14
; %bb.13:
	v_mov_b32_e32 v15, 1
	v_and_b32_e32 v14, 1, v13
	v_and_b32_sdwa v16, v12, v15 dst_sel:BYTE_1 dst_unused:UNUSED_PAD src0_sel:DWORD src1_sel:DWORD
	v_and_b32_e32 v17, 1, v11
	v_and_b32_sdwa v15, v10, v15 dst_sel:BYTE_1 dst_unused:UNUSED_PAD src0_sel:DWORD src1_sel:DWORD
	v_or_b32_e32 v14, v14, v16
	v_or_b32_sdwa v15, v17, v15 dst_sel:WORD_1 dst_unused:UNUSED_PAD src0_sel:DWORD src1_sel:DWORD
	v_or_b32_sdwa v20, v14, v15 dst_sel:DWORD dst_unused:UNUSED_PAD src0_sel:WORD_0 src1_sel:DWORD
	s_load_dwordx2 s[24:25], s[4:5], 0x78
	s_cbranch_execz .LBB2589_15
	s_branch .LBB2589_16
.LBB2589_14:
                                        ; implicit-def: $vgpr20
	s_load_dwordx2 s[24:25], s[4:5], 0x78
.LBB2589_15:
	v_cmp_gt_u32_e32 vcc, s7, v1
	v_cndmask_b32_e64 v14, 0, 1, vcc
	v_and_b32_e32 v13, v14, v13
	v_or_b32_e32 v14, 1, v1
	v_cmp_gt_u32_e32 vcc, s7, v14
	v_cndmask_b32_e64 v14, 0, 1, vcc
	v_and_b32_sdwa v12, v14, v12 dst_sel:BYTE_1 dst_unused:UNUSED_PAD src0_sel:DWORD src1_sel:DWORD
	v_or_b32_e32 v14, 2, v1
	v_cmp_gt_u32_e32 vcc, s7, v14
	v_cndmask_b32_e64 v14, 0, 1, vcc
	v_and_b32_e32 v11, v14, v11
	v_or_b32_e32 v14, 3, v1
	v_cmp_gt_u32_e32 vcc, s7, v14
	v_cndmask_b32_e64 v14, 0, 1, vcc
	v_and_b32_sdwa v10, v14, v10 dst_sel:BYTE_1 dst_unused:UNUSED_PAD src0_sel:DWORD src1_sel:DWORD
	v_or_b32_e32 v12, v13, v12
	v_or_b32_sdwa v10, v11, v10 dst_sel:WORD_1 dst_unused:UNUSED_PAD src0_sel:DWORD src1_sel:DWORD
	v_or_b32_sdwa v20, v12, v10 dst_sel:DWORD dst_unused:UNUSED_PAD src0_sel:WORD_0 src1_sel:DWORD
.LBB2589_16:
	v_bfe_u32 v22, v20, 16, 8
	v_lshrrev_b32_e32 v21, 24, v20
	v_add_u32_sdwa v10, v20, v20 dst_sel:DWORD dst_unused:UNUSED_PAD src0_sel:BYTE_1 src1_sel:BYTE_0
	v_add3_u32 v25, v10, v22, v21
	v_mbcnt_lo_u32_b32 v10, -1, 0
	v_mbcnt_hi_u32_b32 v23, -1, v10
	v_and_b32_e32 v10, 15, v23
	v_cmp_eq_u32_e64 s[12:13], 0, v10
	v_cmp_lt_u32_e64 s[10:11], 1, v10
	v_cmp_lt_u32_e64 s[8:9], 3, v10
	;; [unrolled: 1-line block ×3, first 2 shown]
	v_and_b32_e32 v10, 16, v23
	v_cmp_eq_u32_e64 s[2:3], 0, v10
	v_and_b32_e32 v10, 0xc0, v0
	v_min_u32_e32 v10, 0x80, v10
	v_or_b32_e32 v10, 63, v10
	s_cmp_lg_u32 s6, 0
	v_cmp_lt_u32_e64 s[0:1], 31, v23
	v_lshrrev_b32_e32 v24, 6, v0
	v_cmp_eq_u32_e64 s[4:5], v10, v0
	s_cbranch_scc0 .LBB2589_43
; %bb.17:
	v_mov_b32_dpp v10, v25 row_shr:1 row_mask:0xf bank_mask:0xf
	v_cndmask_b32_e64 v10, v10, 0, s[12:13]
	v_add_u32_e32 v10, v10, v25
	s_nop 1
	v_mov_b32_dpp v11, v10 row_shr:2 row_mask:0xf bank_mask:0xf
	v_cndmask_b32_e64 v11, 0, v11, s[10:11]
	v_add_u32_e32 v10, v10, v11
	s_nop 1
	;; [unrolled: 4-line block ×4, first 2 shown]
	v_mov_b32_dpp v11, v10 row_bcast:15 row_mask:0xf bank_mask:0xf
	v_cndmask_b32_e64 v11, v11, 0, s[2:3]
	v_add_u32_e32 v10, v10, v11
	s_nop 1
	v_mov_b32_dpp v11, v10 row_bcast:31 row_mask:0xf bank_mask:0xf
	v_cndmask_b32_e64 v11, 0, v11, s[0:1]
	v_add_u32_e32 v10, v10, v11
	s_and_saveexec_b64 s[14:15], s[4:5]
	s_cbranch_execz .LBB2589_19
; %bb.18:
	v_lshlrev_b32_e32 v11, 2, v24
	ds_write_b32 v11, v10
.LBB2589_19:
	s_or_b64 exec, exec, s[14:15]
	v_cmp_gt_u32_e32 vcc, 3, v0
	s_waitcnt lgkmcnt(0)
	s_barrier
	s_and_saveexec_b64 s[14:15], vcc
	s_cbranch_execz .LBB2589_21
; %bb.20:
	ds_read_b32 v11, v1
	v_and_b32_e32 v12, 3, v23
	v_cmp_ne_u32_e32 vcc, 0, v12
	s_waitcnt lgkmcnt(0)
	v_mov_b32_dpp v13, v11 row_shr:1 row_mask:0xf bank_mask:0xf
	v_cndmask_b32_e32 v13, 0, v13, vcc
	v_add_u32_e32 v11, v13, v11
	v_cmp_lt_u32_e32 vcc, 1, v12
	s_nop 0
	v_mov_b32_dpp v13, v11 row_shr:2 row_mask:0xf bank_mask:0xf
	v_cndmask_b32_e32 v12, 0, v13, vcc
	v_add_u32_e32 v11, v11, v12
	ds_write_b32 v1, v11
.LBB2589_21:
	s_or_b64 exec, exec, s[14:15]
	v_cmp_gt_u32_e32 vcc, 64, v0
	v_cmp_lt_u32_e64 s[14:15], 63, v0
	s_waitcnt lgkmcnt(0)
	s_barrier
	s_waitcnt lgkmcnt(0)
                                        ; implicit-def: $vgpr26
	s_and_saveexec_b64 s[26:27], s[14:15]
	s_cbranch_execz .LBB2589_23
; %bb.22:
	v_lshl_add_u32 v11, v24, 2, -4
	ds_read_b32 v26, v11
	s_waitcnt lgkmcnt(0)
	v_add_u32_e32 v10, v26, v10
.LBB2589_23:
	s_or_b64 exec, exec, s[26:27]
	v_add_u32_e32 v11, -1, v23
	v_and_b32_e32 v12, 64, v23
	v_cmp_lt_i32_e64 s[14:15], v11, v12
	v_cndmask_b32_e64 v11, v11, v23, s[14:15]
	v_lshlrev_b32_e32 v11, 2, v11
	ds_bpermute_b32 v27, v11, v10
	v_cmp_eq_u32_e64 s[14:15], 0, v23
	s_and_saveexec_b64 s[26:27], vcc
	s_cbranch_execz .LBB2589_42
; %bb.24:
	v_mov_b32_e32 v17, 0
	ds_read_b32 v10, v17 offset:8
	s_and_saveexec_b64 s[28:29], s[14:15]
	s_cbranch_execz .LBB2589_26
; %bb.25:
	s_add_i32 s30, s6, 64
	s_mov_b32 s31, 0
	s_lshl_b64 s[30:31], s[30:31], 3
	s_add_u32 s30, s24, s30
	v_mov_b32_e32 v11, 1
	s_addc_u32 s31, s25, s31
	s_waitcnt lgkmcnt(0)
	global_store_dwordx2 v17, v[10:11], s[30:31]
.LBB2589_26:
	s_or_b64 exec, exec, s[28:29]
	v_xad_u32 v12, v23, -1, s6
	v_add_u32_e32 v16, 64, v12
	v_lshlrev_b64 v[14:15], 3, v[16:17]
	v_mov_b32_e32 v11, s25
	v_add_co_u32_e32 v18, vcc, s24, v14
	v_addc_co_u32_e32 v19, vcc, v11, v15, vcc
	global_load_dwordx2 v[14:15], v[18:19], off glc
	s_waitcnt vmcnt(0)
	v_cmp_eq_u16_sdwa s[30:31], v15, v17 src0_sel:BYTE_0 src1_sel:DWORD
	s_and_saveexec_b64 s[28:29], s[30:31]
	s_cbranch_execz .LBB2589_30
; %bb.27:
	s_mov_b64 s[30:31], 0
	v_mov_b32_e32 v11, 0
.LBB2589_28:                            ; =>This Inner Loop Header: Depth=1
	global_load_dwordx2 v[14:15], v[18:19], off glc
	s_waitcnt vmcnt(0)
	v_cmp_ne_u16_sdwa s[34:35], v15, v11 src0_sel:BYTE_0 src1_sel:DWORD
	s_or_b64 s[30:31], s[34:35], s[30:31]
	s_andn2_b64 exec, exec, s[30:31]
	s_cbranch_execnz .LBB2589_28
; %bb.29:
	s_or_b64 exec, exec, s[30:31]
.LBB2589_30:
	s_or_b64 exec, exec, s[28:29]
	v_and_b32_e32 v29, 63, v23
	v_mov_b32_e32 v28, 2
	v_cmp_ne_u32_e32 vcc, 63, v29
	v_cmp_eq_u16_sdwa s[28:29], v15, v28 src0_sel:BYTE_0 src1_sel:DWORD
	v_lshlrev_b64 v[16:17], v23, -1
	v_addc_co_u32_e32 v18, vcc, 0, v23, vcc
	v_and_b32_e32 v11, s29, v17
	v_lshlrev_b32_e32 v30, 2, v18
	v_or_b32_e32 v11, 0x80000000, v11
	ds_bpermute_b32 v18, v30, v14
	v_and_b32_e32 v13, s28, v16
	v_ffbl_b32_e32 v11, v11
	v_add_u32_e32 v11, 32, v11
	v_ffbl_b32_e32 v13, v13
	v_min_u32_e32 v11, v13, v11
	v_cmp_lt_u32_e32 vcc, v29, v11
	s_waitcnt lgkmcnt(0)
	v_cndmask_b32_e32 v13, 0, v18, vcc
	v_cmp_gt_u32_e32 vcc, 62, v29
	v_add_u32_e32 v13, v13, v14
	v_cndmask_b32_e64 v14, 0, 1, vcc
	v_lshlrev_b32_e32 v14, 1, v14
	v_add_lshl_u32 v31, v14, v23, 2
	ds_bpermute_b32 v14, v31, v13
	v_add_u32_e32 v32, 2, v29
	v_cmp_le_u32_e32 vcc, v32, v11
	v_add_u32_e32 v34, 4, v29
	v_add_u32_e32 v36, 8, v29
	s_waitcnt lgkmcnt(0)
	v_cndmask_b32_e32 v14, 0, v14, vcc
	v_cmp_gt_u32_e32 vcc, 60, v29
	v_add_u32_e32 v13, v13, v14
	v_cndmask_b32_e64 v14, 0, 1, vcc
	v_lshlrev_b32_e32 v14, 2, v14
	v_add_lshl_u32 v33, v14, v23, 2
	ds_bpermute_b32 v14, v33, v13
	v_cmp_le_u32_e32 vcc, v34, v11
	v_add_u32_e32 v38, 16, v29
	v_add_u32_e32 v40, 32, v29
	s_waitcnt lgkmcnt(0)
	v_cndmask_b32_e32 v14, 0, v14, vcc
	v_cmp_gt_u32_e32 vcc, 56, v29
	v_add_u32_e32 v13, v13, v14
	v_cndmask_b32_e64 v14, 0, 1, vcc
	v_lshlrev_b32_e32 v14, 3, v14
	v_add_lshl_u32 v35, v14, v23, 2
	ds_bpermute_b32 v14, v35, v13
	v_cmp_le_u32_e32 vcc, v36, v11
	s_waitcnt lgkmcnt(0)
	v_cndmask_b32_e32 v14, 0, v14, vcc
	v_cmp_gt_u32_e32 vcc, 48, v29
	v_add_u32_e32 v13, v13, v14
	v_cndmask_b32_e64 v14, 0, 1, vcc
	v_lshlrev_b32_e32 v14, 4, v14
	v_add_lshl_u32 v37, v14, v23, 2
	ds_bpermute_b32 v14, v37, v13
	v_cmp_le_u32_e32 vcc, v38, v11
	;; [unrolled: 9-line block ×3, first 2 shown]
	s_waitcnt lgkmcnt(0)
	v_cndmask_b32_e32 v11, 0, v14, vcc
	v_add_u32_e32 v14, v13, v11
	v_mov_b32_e32 v13, 0
	s_branch .LBB2589_32
.LBB2589_31:                            ;   in Loop: Header=BB2589_32 Depth=1
	s_or_b64 exec, exec, s[28:29]
	v_cmp_eq_u16_sdwa s[28:29], v15, v28 src0_sel:BYTE_0 src1_sel:DWORD
	v_and_b32_e32 v18, s29, v17
	v_or_b32_e32 v18, 0x80000000, v18
	ds_bpermute_b32 v41, v30, v14
	v_and_b32_e32 v19, s28, v16
	v_ffbl_b32_e32 v18, v18
	v_add_u32_e32 v18, 32, v18
	v_ffbl_b32_e32 v19, v19
	v_min_u32_e32 v18, v19, v18
	v_cmp_lt_u32_e32 vcc, v29, v18
	s_waitcnt lgkmcnt(0)
	v_cndmask_b32_e32 v19, 0, v41, vcc
	v_add_u32_e32 v14, v19, v14
	ds_bpermute_b32 v19, v31, v14
	v_cmp_le_u32_e32 vcc, v32, v18
	v_subrev_u32_e32 v12, 64, v12
	s_waitcnt lgkmcnt(0)
	v_cndmask_b32_e32 v19, 0, v19, vcc
	v_add_u32_e32 v14, v14, v19
	ds_bpermute_b32 v19, v33, v14
	v_cmp_le_u32_e32 vcc, v34, v18
	s_waitcnt lgkmcnt(0)
	v_cndmask_b32_e32 v19, 0, v19, vcc
	v_add_u32_e32 v14, v14, v19
	ds_bpermute_b32 v19, v35, v14
	v_cmp_le_u32_e32 vcc, v36, v18
	;; [unrolled: 5-line block ×4, first 2 shown]
	s_waitcnt lgkmcnt(0)
	v_cndmask_b32_e32 v18, 0, v19, vcc
	v_add3_u32 v14, v18, v11, v14
.LBB2589_32:                            ; =>This Loop Header: Depth=1
                                        ;     Child Loop BB2589_35 Depth 2
	v_cmp_ne_u16_sdwa s[28:29], v15, v28 src0_sel:BYTE_0 src1_sel:DWORD
	v_cndmask_b32_e64 v11, 0, 1, s[28:29]
	;;#ASMSTART
	;;#ASMEND
	v_cmp_ne_u32_e32 vcc, 0, v11
	s_cmp_lg_u64 vcc, exec
	v_mov_b32_e32 v11, v14
	s_cbranch_scc1 .LBB2589_37
; %bb.33:                               ;   in Loop: Header=BB2589_32 Depth=1
	v_lshlrev_b64 v[14:15], 3, v[12:13]
	v_mov_b32_e32 v19, s25
	v_add_co_u32_e32 v18, vcc, s24, v14
	v_addc_co_u32_e32 v19, vcc, v19, v15, vcc
	global_load_dwordx2 v[14:15], v[18:19], off glc
	s_waitcnt vmcnt(0)
	v_cmp_eq_u16_sdwa s[30:31], v15, v13 src0_sel:BYTE_0 src1_sel:DWORD
	s_and_saveexec_b64 s[28:29], s[30:31]
	s_cbranch_execz .LBB2589_31
; %bb.34:                               ;   in Loop: Header=BB2589_32 Depth=1
	s_mov_b64 s[30:31], 0
.LBB2589_35:                            ;   Parent Loop BB2589_32 Depth=1
                                        ; =>  This Inner Loop Header: Depth=2
	global_load_dwordx2 v[14:15], v[18:19], off glc
	s_waitcnt vmcnt(0)
	v_cmp_ne_u16_sdwa s[34:35], v15, v13 src0_sel:BYTE_0 src1_sel:DWORD
	s_or_b64 s[30:31], s[34:35], s[30:31]
	s_andn2_b64 exec, exec, s[30:31]
	s_cbranch_execnz .LBB2589_35
; %bb.36:                               ;   in Loop: Header=BB2589_32 Depth=1
	s_or_b64 exec, exec, s[30:31]
	s_branch .LBB2589_31
.LBB2589_37:                            ;   in Loop: Header=BB2589_32 Depth=1
                                        ; implicit-def: $vgpr14
                                        ; implicit-def: $vgpr15
	s_cbranch_execz .LBB2589_32
; %bb.38:
	s_and_saveexec_b64 s[28:29], s[14:15]
	s_cbranch_execz .LBB2589_40
; %bb.39:
	s_add_i32 s6, s6, 64
	s_mov_b32 s7, 0
	s_lshl_b64 s[6:7], s[6:7], 3
	s_add_u32 s6, s24, s6
	v_add_u32_e32 v12, v11, v10
	v_mov_b32_e32 v13, 2
	s_addc_u32 s7, s25, s7
	v_mov_b32_e32 v14, 0
	global_store_dwordx2 v14, v[12:13], s[6:7]
	ds_write_b64 v14, v[10:11] offset:6336
.LBB2589_40:
	s_or_b64 exec, exec, s[28:29]
	v_cmp_eq_u32_e32 vcc, 0, v0
	s_and_b64 exec, exec, vcc
	s_cbranch_execz .LBB2589_42
; %bb.41:
	v_mov_b32_e32 v10, 0
	ds_write_b32 v10, v11 offset:8
.LBB2589_42:
	s_or_b64 exec, exec, s[26:27]
	v_mov_b32_e32 v10, 0
	s_waitcnt lgkmcnt(0)
	s_barrier
	ds_read_b32 v11, v10 offset:8
	v_cndmask_b32_e64 v12, v27, v26, s[14:15]
	v_cmp_ne_u32_e32 vcc, 0, v0
	v_cndmask_b32_e32 v12, 0, v12, vcc
	s_waitcnt lgkmcnt(0)
	v_add_u32_e32 v14, v11, v12
	s_barrier
	ds_read_b64 v[10:11], v10 offset:6336
	v_add_u32_sdwa v15, v14, v20 dst_sel:DWORD dst_unused:UNUSED_PAD src0_sel:DWORD src1_sel:BYTE_0
	v_add_u32_sdwa v13, v15, v20 dst_sel:DWORD dst_unused:UNUSED_PAD src0_sel:DWORD src1_sel:BYTE_1
	v_add_u32_e32 v12, v13, v22
	s_branch .LBB2589_53
.LBB2589_43:
                                        ; implicit-def: $vgpr11
                                        ; implicit-def: $vgpr12
                                        ; implicit-def: $vgpr13
                                        ; implicit-def: $vgpr15
                                        ; implicit-def: $vgpr14
	s_cbranch_execz .LBB2589_53
; %bb.44:
	s_waitcnt lgkmcnt(0)
	v_mov_b32_dpp v10, v25 row_shr:1 row_mask:0xf bank_mask:0xf
	v_cndmask_b32_e64 v10, v10, 0, s[12:13]
	v_add_u32_e32 v10, v10, v25
	s_nop 1
	v_mov_b32_dpp v11, v10 row_shr:2 row_mask:0xf bank_mask:0xf
	v_cndmask_b32_e64 v11, 0, v11, s[10:11]
	v_add_u32_e32 v10, v10, v11
	s_nop 1
	;; [unrolled: 4-line block ×4, first 2 shown]
	v_mov_b32_dpp v11, v10 row_bcast:15 row_mask:0xf bank_mask:0xf
	v_cndmask_b32_e64 v11, v11, 0, s[2:3]
	v_add_u32_e32 v10, v10, v11
	s_nop 1
	v_mov_b32_dpp v11, v10 row_bcast:31 row_mask:0xf bank_mask:0xf
	v_cndmask_b32_e64 v11, 0, v11, s[0:1]
	v_add_u32_e32 v10, v10, v11
	s_and_saveexec_b64 s[0:1], s[4:5]
	s_cbranch_execz .LBB2589_46
; %bb.45:
	v_lshlrev_b32_e32 v11, 2, v24
	ds_write_b32 v11, v10
.LBB2589_46:
	s_or_b64 exec, exec, s[0:1]
	v_cmp_gt_u32_e32 vcc, 3, v0
	s_waitcnt lgkmcnt(0)
	s_barrier
	s_and_saveexec_b64 s[0:1], vcc
	s_cbranch_execz .LBB2589_48
; %bb.47:
	ds_read_b32 v11, v1
	v_and_b32_e32 v12, 3, v23
	v_cmp_ne_u32_e32 vcc, 0, v12
	s_waitcnt lgkmcnt(0)
	v_mov_b32_dpp v13, v11 row_shr:1 row_mask:0xf bank_mask:0xf
	v_cndmask_b32_e32 v13, 0, v13, vcc
	v_add_u32_e32 v11, v13, v11
	v_cmp_lt_u32_e32 vcc, 1, v12
	s_nop 0
	v_mov_b32_dpp v13, v11 row_shr:2 row_mask:0xf bank_mask:0xf
	v_cndmask_b32_e32 v12, 0, v13, vcc
	v_add_u32_e32 v11, v11, v12
	ds_write_b32 v1, v11
.LBB2589_48:
	s_or_b64 exec, exec, s[0:1]
	v_cmp_lt_u32_e32 vcc, 63, v0
	v_mov_b32_e32 v11, 0
	v_mov_b32_e32 v12, 0
	s_waitcnt lgkmcnt(0)
	s_barrier
	s_and_saveexec_b64 s[0:1], vcc
	s_cbranch_execz .LBB2589_50
; %bb.49:
	v_lshl_add_u32 v12, v24, 2, -4
	ds_read_b32 v12, v12
.LBB2589_50:
	s_or_b64 exec, exec, s[0:1]
	v_add_u32_e32 v13, -1, v23
	v_and_b32_e32 v14, 64, v23
	v_cmp_lt_i32_e32 vcc, v13, v14
	v_cndmask_b32_e32 v13, v13, v23, vcc
	s_waitcnt lgkmcnt(0)
	v_add_u32_e32 v10, v12, v10
	v_lshlrev_b32_e32 v13, 2, v13
	ds_bpermute_b32 v13, v13, v10
	ds_read_b32 v10, v11 offset:8
	v_cmp_eq_u32_e32 vcc, 0, v0
	s_and_saveexec_b64 s[0:1], vcc
	s_cbranch_execz .LBB2589_52
; %bb.51:
	v_mov_b32_e32 v14, 0
	v_mov_b32_e32 v11, 2
	s_waitcnt lgkmcnt(0)
	global_store_dwordx2 v14, v[10:11], s[24:25] offset:512
.LBB2589_52:
	s_or_b64 exec, exec, s[0:1]
	v_cmp_eq_u32_e64 s[0:1], 0, v23
	s_waitcnt lgkmcnt(1)
	v_cndmask_b32_e64 v12, v13, v12, s[0:1]
	v_cndmask_b32_e64 v14, v12, 0, vcc
	v_add_u32_sdwa v15, v14, v20 dst_sel:DWORD dst_unused:UNUSED_PAD src0_sel:DWORD src1_sel:BYTE_0
	v_add_u32_sdwa v13, v15, v20 dst_sel:DWORD dst_unused:UNUSED_PAD src0_sel:DWORD src1_sel:BYTE_1
	v_mov_b32_e32 v11, 0
	v_add_u32_e32 v12, v13, v22
	s_waitcnt lgkmcnt(0)
	s_barrier
.LBB2589_53:
	s_waitcnt lgkmcnt(0)
	v_add_u32_e32 v1, v10, v1
	v_sub_u32_e32 v14, v14, v11
	v_and_b32_e32 v18, 1, v20
	v_sub_u32_e32 v17, v1, v14
	v_cmp_eq_u32_e32 vcc, 1, v18
	v_cndmask_b32_e32 v14, v17, v14, vcc
	v_lshlrev_b32_e32 v14, 3, v14
	v_lshrrev_b32_e32 v16, 8, v20
	ds_write_b64 v14, v[6:7]
	v_sub_u32_e32 v6, v15, v11
	v_sub_u32_e32 v7, v1, v6
	v_and_b32_e32 v14, 1, v16
	v_add_u32_e32 v7, 1, v7
	v_cmp_eq_u32_e32 vcc, 1, v14
	v_cndmask_b32_e32 v6, v7, v6, vcc
	v_lshlrev_b32_e32 v6, 3, v6
	ds_write_b64 v6, v[8:9]
	v_sub_u32_e32 v6, v13, v11
	v_mov_b32_e32 v8, 1
	v_sub_u32_e32 v7, v1, v6
	v_and_b32_sdwa v8, v8, v20 dst_sel:DWORD dst_unused:UNUSED_PAD src0_sel:DWORD src1_sel:WORD_1
	v_add_u32_e32 v7, 2, v7
	v_cmp_eq_u32_e32 vcc, 1, v8
	v_cndmask_b32_e32 v6, v7, v6, vcc
	v_lshlrev_b32_e32 v6, 3, v6
	ds_write_b64 v6, v[2:3]
	v_sub_u32_e32 v2, v12, v11
	v_sub_u32_e32 v1, v1, v2
	v_and_b32_e32 v3, 1, v21
	v_add_u32_e32 v1, 3, v1
	v_cmp_eq_u32_e32 vcc, 1, v3
	v_cndmask_b32_e32 v1, v1, v2, vcc
	v_cmp_eq_u32_e32 vcc, 0, v0
	v_lshlrev_b32_e32 v1, 3, v1
	s_and_b64 s[0:1], vcc, s[22:23]
	ds_write_b64 v1, v[4:5]
	s_waitcnt lgkmcnt(0)
	s_barrier
	s_and_saveexec_b64 s[2:3], s[0:1]
	s_cbranch_execz .LBB2589_55
; %bb.54:
	v_mov_b32_e32 v0, s19
	v_add_co_u32_e32 v1, vcc, s18, v10
	v_addc_co_u32_e32 v3, vcc, 0, v0, vcc
	v_add_co_u32_e32 v0, vcc, v1, v11
	v_mov_b32_e32 v2, 0
	v_addc_co_u32_e32 v1, vcc, 0, v3, vcc
	global_store_dwordx2 v2, v[0:1], s[20:21]
.LBB2589_55:
	s_endpgm
	.section	.rodata,"a",@progbits
	.p2align	6, 0x0
	.amdhsa_kernel _ZN7rocprim17ROCPRIM_400000_NS6detail17trampoline_kernelINS0_14default_configENS1_25partition_config_selectorILNS1_17partition_subalgoE0ExNS0_10empty_typeEbEEZZNS1_14partition_implILS5_0ELb0ES3_jN6thrust23THRUST_200600_302600_NS6detail15normal_iteratorINSA_10device_ptrIxEEEEPS6_SG_NS0_5tupleIJNSA_16discard_iteratorINSA_11use_defaultEEESK_EEENSH_IJSG_SG_EEES6_PlJ7is_evenIxEEEE10hipError_tPvRmT3_T4_T5_T6_T7_T9_mT8_P12ihipStream_tbDpT10_ENKUlT_T0_E_clISt17integral_constantIbLb0EES19_EEDaS14_S15_EUlS14_E_NS1_11comp_targetILNS1_3genE4ELNS1_11target_archE910ELNS1_3gpuE8ELNS1_3repE0EEENS1_30default_config_static_selectorELNS0_4arch9wavefront6targetE1EEEvT1_
		.amdhsa_group_segment_fixed_size 6344
		.amdhsa_private_segment_fixed_size 0
		.amdhsa_kernarg_size 136
		.amdhsa_user_sgpr_count 6
		.amdhsa_user_sgpr_private_segment_buffer 1
		.amdhsa_user_sgpr_dispatch_ptr 0
		.amdhsa_user_sgpr_queue_ptr 0
		.amdhsa_user_sgpr_kernarg_segment_ptr 1
		.amdhsa_user_sgpr_dispatch_id 0
		.amdhsa_user_sgpr_flat_scratch_init 0
		.amdhsa_user_sgpr_kernarg_preload_length 0
		.amdhsa_user_sgpr_kernarg_preload_offset 0
		.amdhsa_user_sgpr_private_segment_size 0
		.amdhsa_uses_dynamic_stack 0
		.amdhsa_system_sgpr_private_segment_wavefront_offset 0
		.amdhsa_system_sgpr_workgroup_id_x 1
		.amdhsa_system_sgpr_workgroup_id_y 0
		.amdhsa_system_sgpr_workgroup_id_z 0
		.amdhsa_system_sgpr_workgroup_info 0
		.amdhsa_system_vgpr_workitem_id 0
		.amdhsa_next_free_vgpr 42
		.amdhsa_next_free_sgpr 36
		.amdhsa_accum_offset 44
		.amdhsa_reserve_vcc 1
		.amdhsa_reserve_flat_scratch 0
		.amdhsa_float_round_mode_32 0
		.amdhsa_float_round_mode_16_64 0
		.amdhsa_float_denorm_mode_32 3
		.amdhsa_float_denorm_mode_16_64 3
		.amdhsa_dx10_clamp 1
		.amdhsa_ieee_mode 1
		.amdhsa_fp16_overflow 0
		.amdhsa_tg_split 0
		.amdhsa_exception_fp_ieee_invalid_op 0
		.amdhsa_exception_fp_denorm_src 0
		.amdhsa_exception_fp_ieee_div_zero 0
		.amdhsa_exception_fp_ieee_overflow 0
		.amdhsa_exception_fp_ieee_underflow 0
		.amdhsa_exception_fp_ieee_inexact 0
		.amdhsa_exception_int_div_zero 0
	.end_amdhsa_kernel
	.section	.text._ZN7rocprim17ROCPRIM_400000_NS6detail17trampoline_kernelINS0_14default_configENS1_25partition_config_selectorILNS1_17partition_subalgoE0ExNS0_10empty_typeEbEEZZNS1_14partition_implILS5_0ELb0ES3_jN6thrust23THRUST_200600_302600_NS6detail15normal_iteratorINSA_10device_ptrIxEEEEPS6_SG_NS0_5tupleIJNSA_16discard_iteratorINSA_11use_defaultEEESK_EEENSH_IJSG_SG_EEES6_PlJ7is_evenIxEEEE10hipError_tPvRmT3_T4_T5_T6_T7_T9_mT8_P12ihipStream_tbDpT10_ENKUlT_T0_E_clISt17integral_constantIbLb0EES19_EEDaS14_S15_EUlS14_E_NS1_11comp_targetILNS1_3genE4ELNS1_11target_archE910ELNS1_3gpuE8ELNS1_3repE0EEENS1_30default_config_static_selectorELNS0_4arch9wavefront6targetE1EEEvT1_,"axG",@progbits,_ZN7rocprim17ROCPRIM_400000_NS6detail17trampoline_kernelINS0_14default_configENS1_25partition_config_selectorILNS1_17partition_subalgoE0ExNS0_10empty_typeEbEEZZNS1_14partition_implILS5_0ELb0ES3_jN6thrust23THRUST_200600_302600_NS6detail15normal_iteratorINSA_10device_ptrIxEEEEPS6_SG_NS0_5tupleIJNSA_16discard_iteratorINSA_11use_defaultEEESK_EEENSH_IJSG_SG_EEES6_PlJ7is_evenIxEEEE10hipError_tPvRmT3_T4_T5_T6_T7_T9_mT8_P12ihipStream_tbDpT10_ENKUlT_T0_E_clISt17integral_constantIbLb0EES19_EEDaS14_S15_EUlS14_E_NS1_11comp_targetILNS1_3genE4ELNS1_11target_archE910ELNS1_3gpuE8ELNS1_3repE0EEENS1_30default_config_static_selectorELNS0_4arch9wavefront6targetE1EEEvT1_,comdat
.Lfunc_end2589:
	.size	_ZN7rocprim17ROCPRIM_400000_NS6detail17trampoline_kernelINS0_14default_configENS1_25partition_config_selectorILNS1_17partition_subalgoE0ExNS0_10empty_typeEbEEZZNS1_14partition_implILS5_0ELb0ES3_jN6thrust23THRUST_200600_302600_NS6detail15normal_iteratorINSA_10device_ptrIxEEEEPS6_SG_NS0_5tupleIJNSA_16discard_iteratorINSA_11use_defaultEEESK_EEENSH_IJSG_SG_EEES6_PlJ7is_evenIxEEEE10hipError_tPvRmT3_T4_T5_T6_T7_T9_mT8_P12ihipStream_tbDpT10_ENKUlT_T0_E_clISt17integral_constantIbLb0EES19_EEDaS14_S15_EUlS14_E_NS1_11comp_targetILNS1_3genE4ELNS1_11target_archE910ELNS1_3gpuE8ELNS1_3repE0EEENS1_30default_config_static_selectorELNS0_4arch9wavefront6targetE1EEEvT1_, .Lfunc_end2589-_ZN7rocprim17ROCPRIM_400000_NS6detail17trampoline_kernelINS0_14default_configENS1_25partition_config_selectorILNS1_17partition_subalgoE0ExNS0_10empty_typeEbEEZZNS1_14partition_implILS5_0ELb0ES3_jN6thrust23THRUST_200600_302600_NS6detail15normal_iteratorINSA_10device_ptrIxEEEEPS6_SG_NS0_5tupleIJNSA_16discard_iteratorINSA_11use_defaultEEESK_EEENSH_IJSG_SG_EEES6_PlJ7is_evenIxEEEE10hipError_tPvRmT3_T4_T5_T6_T7_T9_mT8_P12ihipStream_tbDpT10_ENKUlT_T0_E_clISt17integral_constantIbLb0EES19_EEDaS14_S15_EUlS14_E_NS1_11comp_targetILNS1_3genE4ELNS1_11target_archE910ELNS1_3gpuE8ELNS1_3repE0EEENS1_30default_config_static_selectorELNS0_4arch9wavefront6targetE1EEEvT1_
                                        ; -- End function
	.section	.AMDGPU.csdata,"",@progbits
; Kernel info:
; codeLenInByte = 3072
; NumSgprs: 40
; NumVgprs: 42
; NumAgprs: 0
; TotalNumVgprs: 42
; ScratchSize: 0
; MemoryBound: 0
; FloatMode: 240
; IeeeMode: 1
; LDSByteSize: 6344 bytes/workgroup (compile time only)
; SGPRBlocks: 4
; VGPRBlocks: 5
; NumSGPRsForWavesPerEU: 40
; NumVGPRsForWavesPerEU: 42
; AccumOffset: 44
; Occupancy: 8
; WaveLimiterHint : 1
; COMPUTE_PGM_RSRC2:SCRATCH_EN: 0
; COMPUTE_PGM_RSRC2:USER_SGPR: 6
; COMPUTE_PGM_RSRC2:TRAP_HANDLER: 0
; COMPUTE_PGM_RSRC2:TGID_X_EN: 1
; COMPUTE_PGM_RSRC2:TGID_Y_EN: 0
; COMPUTE_PGM_RSRC2:TGID_Z_EN: 0
; COMPUTE_PGM_RSRC2:TIDIG_COMP_CNT: 0
; COMPUTE_PGM_RSRC3_GFX90A:ACCUM_OFFSET: 10
; COMPUTE_PGM_RSRC3_GFX90A:TG_SPLIT: 0
	.section	.text._ZN7rocprim17ROCPRIM_400000_NS6detail17trampoline_kernelINS0_14default_configENS1_25partition_config_selectorILNS1_17partition_subalgoE0ExNS0_10empty_typeEbEEZZNS1_14partition_implILS5_0ELb0ES3_jN6thrust23THRUST_200600_302600_NS6detail15normal_iteratorINSA_10device_ptrIxEEEEPS6_SG_NS0_5tupleIJNSA_16discard_iteratorINSA_11use_defaultEEESK_EEENSH_IJSG_SG_EEES6_PlJ7is_evenIxEEEE10hipError_tPvRmT3_T4_T5_T6_T7_T9_mT8_P12ihipStream_tbDpT10_ENKUlT_T0_E_clISt17integral_constantIbLb0EES19_EEDaS14_S15_EUlS14_E_NS1_11comp_targetILNS1_3genE3ELNS1_11target_archE908ELNS1_3gpuE7ELNS1_3repE0EEENS1_30default_config_static_selectorELNS0_4arch9wavefront6targetE1EEEvT1_,"axG",@progbits,_ZN7rocprim17ROCPRIM_400000_NS6detail17trampoline_kernelINS0_14default_configENS1_25partition_config_selectorILNS1_17partition_subalgoE0ExNS0_10empty_typeEbEEZZNS1_14partition_implILS5_0ELb0ES3_jN6thrust23THRUST_200600_302600_NS6detail15normal_iteratorINSA_10device_ptrIxEEEEPS6_SG_NS0_5tupleIJNSA_16discard_iteratorINSA_11use_defaultEEESK_EEENSH_IJSG_SG_EEES6_PlJ7is_evenIxEEEE10hipError_tPvRmT3_T4_T5_T6_T7_T9_mT8_P12ihipStream_tbDpT10_ENKUlT_T0_E_clISt17integral_constantIbLb0EES19_EEDaS14_S15_EUlS14_E_NS1_11comp_targetILNS1_3genE3ELNS1_11target_archE908ELNS1_3gpuE7ELNS1_3repE0EEENS1_30default_config_static_selectorELNS0_4arch9wavefront6targetE1EEEvT1_,comdat
	.protected	_ZN7rocprim17ROCPRIM_400000_NS6detail17trampoline_kernelINS0_14default_configENS1_25partition_config_selectorILNS1_17partition_subalgoE0ExNS0_10empty_typeEbEEZZNS1_14partition_implILS5_0ELb0ES3_jN6thrust23THRUST_200600_302600_NS6detail15normal_iteratorINSA_10device_ptrIxEEEEPS6_SG_NS0_5tupleIJNSA_16discard_iteratorINSA_11use_defaultEEESK_EEENSH_IJSG_SG_EEES6_PlJ7is_evenIxEEEE10hipError_tPvRmT3_T4_T5_T6_T7_T9_mT8_P12ihipStream_tbDpT10_ENKUlT_T0_E_clISt17integral_constantIbLb0EES19_EEDaS14_S15_EUlS14_E_NS1_11comp_targetILNS1_3genE3ELNS1_11target_archE908ELNS1_3gpuE7ELNS1_3repE0EEENS1_30default_config_static_selectorELNS0_4arch9wavefront6targetE1EEEvT1_ ; -- Begin function _ZN7rocprim17ROCPRIM_400000_NS6detail17trampoline_kernelINS0_14default_configENS1_25partition_config_selectorILNS1_17partition_subalgoE0ExNS0_10empty_typeEbEEZZNS1_14partition_implILS5_0ELb0ES3_jN6thrust23THRUST_200600_302600_NS6detail15normal_iteratorINSA_10device_ptrIxEEEEPS6_SG_NS0_5tupleIJNSA_16discard_iteratorINSA_11use_defaultEEESK_EEENSH_IJSG_SG_EEES6_PlJ7is_evenIxEEEE10hipError_tPvRmT3_T4_T5_T6_T7_T9_mT8_P12ihipStream_tbDpT10_ENKUlT_T0_E_clISt17integral_constantIbLb0EES19_EEDaS14_S15_EUlS14_E_NS1_11comp_targetILNS1_3genE3ELNS1_11target_archE908ELNS1_3gpuE7ELNS1_3repE0EEENS1_30default_config_static_selectorELNS0_4arch9wavefront6targetE1EEEvT1_
	.globl	_ZN7rocprim17ROCPRIM_400000_NS6detail17trampoline_kernelINS0_14default_configENS1_25partition_config_selectorILNS1_17partition_subalgoE0ExNS0_10empty_typeEbEEZZNS1_14partition_implILS5_0ELb0ES3_jN6thrust23THRUST_200600_302600_NS6detail15normal_iteratorINSA_10device_ptrIxEEEEPS6_SG_NS0_5tupleIJNSA_16discard_iteratorINSA_11use_defaultEEESK_EEENSH_IJSG_SG_EEES6_PlJ7is_evenIxEEEE10hipError_tPvRmT3_T4_T5_T6_T7_T9_mT8_P12ihipStream_tbDpT10_ENKUlT_T0_E_clISt17integral_constantIbLb0EES19_EEDaS14_S15_EUlS14_E_NS1_11comp_targetILNS1_3genE3ELNS1_11target_archE908ELNS1_3gpuE7ELNS1_3repE0EEENS1_30default_config_static_selectorELNS0_4arch9wavefront6targetE1EEEvT1_
	.p2align	8
	.type	_ZN7rocprim17ROCPRIM_400000_NS6detail17trampoline_kernelINS0_14default_configENS1_25partition_config_selectorILNS1_17partition_subalgoE0ExNS0_10empty_typeEbEEZZNS1_14partition_implILS5_0ELb0ES3_jN6thrust23THRUST_200600_302600_NS6detail15normal_iteratorINSA_10device_ptrIxEEEEPS6_SG_NS0_5tupleIJNSA_16discard_iteratorINSA_11use_defaultEEESK_EEENSH_IJSG_SG_EEES6_PlJ7is_evenIxEEEE10hipError_tPvRmT3_T4_T5_T6_T7_T9_mT8_P12ihipStream_tbDpT10_ENKUlT_T0_E_clISt17integral_constantIbLb0EES19_EEDaS14_S15_EUlS14_E_NS1_11comp_targetILNS1_3genE3ELNS1_11target_archE908ELNS1_3gpuE7ELNS1_3repE0EEENS1_30default_config_static_selectorELNS0_4arch9wavefront6targetE1EEEvT1_,@function
_ZN7rocprim17ROCPRIM_400000_NS6detail17trampoline_kernelINS0_14default_configENS1_25partition_config_selectorILNS1_17partition_subalgoE0ExNS0_10empty_typeEbEEZZNS1_14partition_implILS5_0ELb0ES3_jN6thrust23THRUST_200600_302600_NS6detail15normal_iteratorINSA_10device_ptrIxEEEEPS6_SG_NS0_5tupleIJNSA_16discard_iteratorINSA_11use_defaultEEESK_EEENSH_IJSG_SG_EEES6_PlJ7is_evenIxEEEE10hipError_tPvRmT3_T4_T5_T6_T7_T9_mT8_P12ihipStream_tbDpT10_ENKUlT_T0_E_clISt17integral_constantIbLb0EES19_EEDaS14_S15_EUlS14_E_NS1_11comp_targetILNS1_3genE3ELNS1_11target_archE908ELNS1_3gpuE7ELNS1_3repE0EEENS1_30default_config_static_selectorELNS0_4arch9wavefront6targetE1EEEvT1_: ; @_ZN7rocprim17ROCPRIM_400000_NS6detail17trampoline_kernelINS0_14default_configENS1_25partition_config_selectorILNS1_17partition_subalgoE0ExNS0_10empty_typeEbEEZZNS1_14partition_implILS5_0ELb0ES3_jN6thrust23THRUST_200600_302600_NS6detail15normal_iteratorINSA_10device_ptrIxEEEEPS6_SG_NS0_5tupleIJNSA_16discard_iteratorINSA_11use_defaultEEESK_EEENSH_IJSG_SG_EEES6_PlJ7is_evenIxEEEE10hipError_tPvRmT3_T4_T5_T6_T7_T9_mT8_P12ihipStream_tbDpT10_ENKUlT_T0_E_clISt17integral_constantIbLb0EES19_EEDaS14_S15_EUlS14_E_NS1_11comp_targetILNS1_3genE3ELNS1_11target_archE908ELNS1_3gpuE7ELNS1_3repE0EEENS1_30default_config_static_selectorELNS0_4arch9wavefront6targetE1EEEvT1_
; %bb.0:
	.section	.rodata,"a",@progbits
	.p2align	6, 0x0
	.amdhsa_kernel _ZN7rocprim17ROCPRIM_400000_NS6detail17trampoline_kernelINS0_14default_configENS1_25partition_config_selectorILNS1_17partition_subalgoE0ExNS0_10empty_typeEbEEZZNS1_14partition_implILS5_0ELb0ES3_jN6thrust23THRUST_200600_302600_NS6detail15normal_iteratorINSA_10device_ptrIxEEEEPS6_SG_NS0_5tupleIJNSA_16discard_iteratorINSA_11use_defaultEEESK_EEENSH_IJSG_SG_EEES6_PlJ7is_evenIxEEEE10hipError_tPvRmT3_T4_T5_T6_T7_T9_mT8_P12ihipStream_tbDpT10_ENKUlT_T0_E_clISt17integral_constantIbLb0EES19_EEDaS14_S15_EUlS14_E_NS1_11comp_targetILNS1_3genE3ELNS1_11target_archE908ELNS1_3gpuE7ELNS1_3repE0EEENS1_30default_config_static_selectorELNS0_4arch9wavefront6targetE1EEEvT1_
		.amdhsa_group_segment_fixed_size 0
		.amdhsa_private_segment_fixed_size 0
		.amdhsa_kernarg_size 136
		.amdhsa_user_sgpr_count 6
		.amdhsa_user_sgpr_private_segment_buffer 1
		.amdhsa_user_sgpr_dispatch_ptr 0
		.amdhsa_user_sgpr_queue_ptr 0
		.amdhsa_user_sgpr_kernarg_segment_ptr 1
		.amdhsa_user_sgpr_dispatch_id 0
		.amdhsa_user_sgpr_flat_scratch_init 0
		.amdhsa_user_sgpr_kernarg_preload_length 0
		.amdhsa_user_sgpr_kernarg_preload_offset 0
		.amdhsa_user_sgpr_private_segment_size 0
		.amdhsa_uses_dynamic_stack 0
		.amdhsa_system_sgpr_private_segment_wavefront_offset 0
		.amdhsa_system_sgpr_workgroup_id_x 1
		.amdhsa_system_sgpr_workgroup_id_y 0
		.amdhsa_system_sgpr_workgroup_id_z 0
		.amdhsa_system_sgpr_workgroup_info 0
		.amdhsa_system_vgpr_workitem_id 0
		.amdhsa_next_free_vgpr 1
		.amdhsa_next_free_sgpr 0
		.amdhsa_accum_offset 4
		.amdhsa_reserve_vcc 0
		.amdhsa_reserve_flat_scratch 0
		.amdhsa_float_round_mode_32 0
		.amdhsa_float_round_mode_16_64 0
		.amdhsa_float_denorm_mode_32 3
		.amdhsa_float_denorm_mode_16_64 3
		.amdhsa_dx10_clamp 1
		.amdhsa_ieee_mode 1
		.amdhsa_fp16_overflow 0
		.amdhsa_tg_split 0
		.amdhsa_exception_fp_ieee_invalid_op 0
		.amdhsa_exception_fp_denorm_src 0
		.amdhsa_exception_fp_ieee_div_zero 0
		.amdhsa_exception_fp_ieee_overflow 0
		.amdhsa_exception_fp_ieee_underflow 0
		.amdhsa_exception_fp_ieee_inexact 0
		.amdhsa_exception_int_div_zero 0
	.end_amdhsa_kernel
	.section	.text._ZN7rocprim17ROCPRIM_400000_NS6detail17trampoline_kernelINS0_14default_configENS1_25partition_config_selectorILNS1_17partition_subalgoE0ExNS0_10empty_typeEbEEZZNS1_14partition_implILS5_0ELb0ES3_jN6thrust23THRUST_200600_302600_NS6detail15normal_iteratorINSA_10device_ptrIxEEEEPS6_SG_NS0_5tupleIJNSA_16discard_iteratorINSA_11use_defaultEEESK_EEENSH_IJSG_SG_EEES6_PlJ7is_evenIxEEEE10hipError_tPvRmT3_T4_T5_T6_T7_T9_mT8_P12ihipStream_tbDpT10_ENKUlT_T0_E_clISt17integral_constantIbLb0EES19_EEDaS14_S15_EUlS14_E_NS1_11comp_targetILNS1_3genE3ELNS1_11target_archE908ELNS1_3gpuE7ELNS1_3repE0EEENS1_30default_config_static_selectorELNS0_4arch9wavefront6targetE1EEEvT1_,"axG",@progbits,_ZN7rocprim17ROCPRIM_400000_NS6detail17trampoline_kernelINS0_14default_configENS1_25partition_config_selectorILNS1_17partition_subalgoE0ExNS0_10empty_typeEbEEZZNS1_14partition_implILS5_0ELb0ES3_jN6thrust23THRUST_200600_302600_NS6detail15normal_iteratorINSA_10device_ptrIxEEEEPS6_SG_NS0_5tupleIJNSA_16discard_iteratorINSA_11use_defaultEEESK_EEENSH_IJSG_SG_EEES6_PlJ7is_evenIxEEEE10hipError_tPvRmT3_T4_T5_T6_T7_T9_mT8_P12ihipStream_tbDpT10_ENKUlT_T0_E_clISt17integral_constantIbLb0EES19_EEDaS14_S15_EUlS14_E_NS1_11comp_targetILNS1_3genE3ELNS1_11target_archE908ELNS1_3gpuE7ELNS1_3repE0EEENS1_30default_config_static_selectorELNS0_4arch9wavefront6targetE1EEEvT1_,comdat
.Lfunc_end2590:
	.size	_ZN7rocprim17ROCPRIM_400000_NS6detail17trampoline_kernelINS0_14default_configENS1_25partition_config_selectorILNS1_17partition_subalgoE0ExNS0_10empty_typeEbEEZZNS1_14partition_implILS5_0ELb0ES3_jN6thrust23THRUST_200600_302600_NS6detail15normal_iteratorINSA_10device_ptrIxEEEEPS6_SG_NS0_5tupleIJNSA_16discard_iteratorINSA_11use_defaultEEESK_EEENSH_IJSG_SG_EEES6_PlJ7is_evenIxEEEE10hipError_tPvRmT3_T4_T5_T6_T7_T9_mT8_P12ihipStream_tbDpT10_ENKUlT_T0_E_clISt17integral_constantIbLb0EES19_EEDaS14_S15_EUlS14_E_NS1_11comp_targetILNS1_3genE3ELNS1_11target_archE908ELNS1_3gpuE7ELNS1_3repE0EEENS1_30default_config_static_selectorELNS0_4arch9wavefront6targetE1EEEvT1_, .Lfunc_end2590-_ZN7rocprim17ROCPRIM_400000_NS6detail17trampoline_kernelINS0_14default_configENS1_25partition_config_selectorILNS1_17partition_subalgoE0ExNS0_10empty_typeEbEEZZNS1_14partition_implILS5_0ELb0ES3_jN6thrust23THRUST_200600_302600_NS6detail15normal_iteratorINSA_10device_ptrIxEEEEPS6_SG_NS0_5tupleIJNSA_16discard_iteratorINSA_11use_defaultEEESK_EEENSH_IJSG_SG_EEES6_PlJ7is_evenIxEEEE10hipError_tPvRmT3_T4_T5_T6_T7_T9_mT8_P12ihipStream_tbDpT10_ENKUlT_T0_E_clISt17integral_constantIbLb0EES19_EEDaS14_S15_EUlS14_E_NS1_11comp_targetILNS1_3genE3ELNS1_11target_archE908ELNS1_3gpuE7ELNS1_3repE0EEENS1_30default_config_static_selectorELNS0_4arch9wavefront6targetE1EEEvT1_
                                        ; -- End function
	.section	.AMDGPU.csdata,"",@progbits
; Kernel info:
; codeLenInByte = 0
; NumSgprs: 4
; NumVgprs: 0
; NumAgprs: 0
; TotalNumVgprs: 0
; ScratchSize: 0
; MemoryBound: 0
; FloatMode: 240
; IeeeMode: 1
; LDSByteSize: 0 bytes/workgroup (compile time only)
; SGPRBlocks: 0
; VGPRBlocks: 0
; NumSGPRsForWavesPerEU: 4
; NumVGPRsForWavesPerEU: 1
; AccumOffset: 4
; Occupancy: 8
; WaveLimiterHint : 0
; COMPUTE_PGM_RSRC2:SCRATCH_EN: 0
; COMPUTE_PGM_RSRC2:USER_SGPR: 6
; COMPUTE_PGM_RSRC2:TRAP_HANDLER: 0
; COMPUTE_PGM_RSRC2:TGID_X_EN: 1
; COMPUTE_PGM_RSRC2:TGID_Y_EN: 0
; COMPUTE_PGM_RSRC2:TGID_Z_EN: 0
; COMPUTE_PGM_RSRC2:TIDIG_COMP_CNT: 0
; COMPUTE_PGM_RSRC3_GFX90A:ACCUM_OFFSET: 0
; COMPUTE_PGM_RSRC3_GFX90A:TG_SPLIT: 0
	.section	.text._ZN7rocprim17ROCPRIM_400000_NS6detail17trampoline_kernelINS0_14default_configENS1_25partition_config_selectorILNS1_17partition_subalgoE0ExNS0_10empty_typeEbEEZZNS1_14partition_implILS5_0ELb0ES3_jN6thrust23THRUST_200600_302600_NS6detail15normal_iteratorINSA_10device_ptrIxEEEEPS6_SG_NS0_5tupleIJNSA_16discard_iteratorINSA_11use_defaultEEESK_EEENSH_IJSG_SG_EEES6_PlJ7is_evenIxEEEE10hipError_tPvRmT3_T4_T5_T6_T7_T9_mT8_P12ihipStream_tbDpT10_ENKUlT_T0_E_clISt17integral_constantIbLb0EES19_EEDaS14_S15_EUlS14_E_NS1_11comp_targetILNS1_3genE2ELNS1_11target_archE906ELNS1_3gpuE6ELNS1_3repE0EEENS1_30default_config_static_selectorELNS0_4arch9wavefront6targetE1EEEvT1_,"axG",@progbits,_ZN7rocprim17ROCPRIM_400000_NS6detail17trampoline_kernelINS0_14default_configENS1_25partition_config_selectorILNS1_17partition_subalgoE0ExNS0_10empty_typeEbEEZZNS1_14partition_implILS5_0ELb0ES3_jN6thrust23THRUST_200600_302600_NS6detail15normal_iteratorINSA_10device_ptrIxEEEEPS6_SG_NS0_5tupleIJNSA_16discard_iteratorINSA_11use_defaultEEESK_EEENSH_IJSG_SG_EEES6_PlJ7is_evenIxEEEE10hipError_tPvRmT3_T4_T5_T6_T7_T9_mT8_P12ihipStream_tbDpT10_ENKUlT_T0_E_clISt17integral_constantIbLb0EES19_EEDaS14_S15_EUlS14_E_NS1_11comp_targetILNS1_3genE2ELNS1_11target_archE906ELNS1_3gpuE6ELNS1_3repE0EEENS1_30default_config_static_selectorELNS0_4arch9wavefront6targetE1EEEvT1_,comdat
	.protected	_ZN7rocprim17ROCPRIM_400000_NS6detail17trampoline_kernelINS0_14default_configENS1_25partition_config_selectorILNS1_17partition_subalgoE0ExNS0_10empty_typeEbEEZZNS1_14partition_implILS5_0ELb0ES3_jN6thrust23THRUST_200600_302600_NS6detail15normal_iteratorINSA_10device_ptrIxEEEEPS6_SG_NS0_5tupleIJNSA_16discard_iteratorINSA_11use_defaultEEESK_EEENSH_IJSG_SG_EEES6_PlJ7is_evenIxEEEE10hipError_tPvRmT3_T4_T5_T6_T7_T9_mT8_P12ihipStream_tbDpT10_ENKUlT_T0_E_clISt17integral_constantIbLb0EES19_EEDaS14_S15_EUlS14_E_NS1_11comp_targetILNS1_3genE2ELNS1_11target_archE906ELNS1_3gpuE6ELNS1_3repE0EEENS1_30default_config_static_selectorELNS0_4arch9wavefront6targetE1EEEvT1_ ; -- Begin function _ZN7rocprim17ROCPRIM_400000_NS6detail17trampoline_kernelINS0_14default_configENS1_25partition_config_selectorILNS1_17partition_subalgoE0ExNS0_10empty_typeEbEEZZNS1_14partition_implILS5_0ELb0ES3_jN6thrust23THRUST_200600_302600_NS6detail15normal_iteratorINSA_10device_ptrIxEEEEPS6_SG_NS0_5tupleIJNSA_16discard_iteratorINSA_11use_defaultEEESK_EEENSH_IJSG_SG_EEES6_PlJ7is_evenIxEEEE10hipError_tPvRmT3_T4_T5_T6_T7_T9_mT8_P12ihipStream_tbDpT10_ENKUlT_T0_E_clISt17integral_constantIbLb0EES19_EEDaS14_S15_EUlS14_E_NS1_11comp_targetILNS1_3genE2ELNS1_11target_archE906ELNS1_3gpuE6ELNS1_3repE0EEENS1_30default_config_static_selectorELNS0_4arch9wavefront6targetE1EEEvT1_
	.globl	_ZN7rocprim17ROCPRIM_400000_NS6detail17trampoline_kernelINS0_14default_configENS1_25partition_config_selectorILNS1_17partition_subalgoE0ExNS0_10empty_typeEbEEZZNS1_14partition_implILS5_0ELb0ES3_jN6thrust23THRUST_200600_302600_NS6detail15normal_iteratorINSA_10device_ptrIxEEEEPS6_SG_NS0_5tupleIJNSA_16discard_iteratorINSA_11use_defaultEEESK_EEENSH_IJSG_SG_EEES6_PlJ7is_evenIxEEEE10hipError_tPvRmT3_T4_T5_T6_T7_T9_mT8_P12ihipStream_tbDpT10_ENKUlT_T0_E_clISt17integral_constantIbLb0EES19_EEDaS14_S15_EUlS14_E_NS1_11comp_targetILNS1_3genE2ELNS1_11target_archE906ELNS1_3gpuE6ELNS1_3repE0EEENS1_30default_config_static_selectorELNS0_4arch9wavefront6targetE1EEEvT1_
	.p2align	8
	.type	_ZN7rocprim17ROCPRIM_400000_NS6detail17trampoline_kernelINS0_14default_configENS1_25partition_config_selectorILNS1_17partition_subalgoE0ExNS0_10empty_typeEbEEZZNS1_14partition_implILS5_0ELb0ES3_jN6thrust23THRUST_200600_302600_NS6detail15normal_iteratorINSA_10device_ptrIxEEEEPS6_SG_NS0_5tupleIJNSA_16discard_iteratorINSA_11use_defaultEEESK_EEENSH_IJSG_SG_EEES6_PlJ7is_evenIxEEEE10hipError_tPvRmT3_T4_T5_T6_T7_T9_mT8_P12ihipStream_tbDpT10_ENKUlT_T0_E_clISt17integral_constantIbLb0EES19_EEDaS14_S15_EUlS14_E_NS1_11comp_targetILNS1_3genE2ELNS1_11target_archE906ELNS1_3gpuE6ELNS1_3repE0EEENS1_30default_config_static_selectorELNS0_4arch9wavefront6targetE1EEEvT1_,@function
_ZN7rocprim17ROCPRIM_400000_NS6detail17trampoline_kernelINS0_14default_configENS1_25partition_config_selectorILNS1_17partition_subalgoE0ExNS0_10empty_typeEbEEZZNS1_14partition_implILS5_0ELb0ES3_jN6thrust23THRUST_200600_302600_NS6detail15normal_iteratorINSA_10device_ptrIxEEEEPS6_SG_NS0_5tupleIJNSA_16discard_iteratorINSA_11use_defaultEEESK_EEENSH_IJSG_SG_EEES6_PlJ7is_evenIxEEEE10hipError_tPvRmT3_T4_T5_T6_T7_T9_mT8_P12ihipStream_tbDpT10_ENKUlT_T0_E_clISt17integral_constantIbLb0EES19_EEDaS14_S15_EUlS14_E_NS1_11comp_targetILNS1_3genE2ELNS1_11target_archE906ELNS1_3gpuE6ELNS1_3repE0EEENS1_30default_config_static_selectorELNS0_4arch9wavefront6targetE1EEEvT1_: ; @_ZN7rocprim17ROCPRIM_400000_NS6detail17trampoline_kernelINS0_14default_configENS1_25partition_config_selectorILNS1_17partition_subalgoE0ExNS0_10empty_typeEbEEZZNS1_14partition_implILS5_0ELb0ES3_jN6thrust23THRUST_200600_302600_NS6detail15normal_iteratorINSA_10device_ptrIxEEEEPS6_SG_NS0_5tupleIJNSA_16discard_iteratorINSA_11use_defaultEEESK_EEENSH_IJSG_SG_EEES6_PlJ7is_evenIxEEEE10hipError_tPvRmT3_T4_T5_T6_T7_T9_mT8_P12ihipStream_tbDpT10_ENKUlT_T0_E_clISt17integral_constantIbLb0EES19_EEDaS14_S15_EUlS14_E_NS1_11comp_targetILNS1_3genE2ELNS1_11target_archE906ELNS1_3gpuE6ELNS1_3repE0EEENS1_30default_config_static_selectorELNS0_4arch9wavefront6targetE1EEEvT1_
; %bb.0:
	.section	.rodata,"a",@progbits
	.p2align	6, 0x0
	.amdhsa_kernel _ZN7rocprim17ROCPRIM_400000_NS6detail17trampoline_kernelINS0_14default_configENS1_25partition_config_selectorILNS1_17partition_subalgoE0ExNS0_10empty_typeEbEEZZNS1_14partition_implILS5_0ELb0ES3_jN6thrust23THRUST_200600_302600_NS6detail15normal_iteratorINSA_10device_ptrIxEEEEPS6_SG_NS0_5tupleIJNSA_16discard_iteratorINSA_11use_defaultEEESK_EEENSH_IJSG_SG_EEES6_PlJ7is_evenIxEEEE10hipError_tPvRmT3_T4_T5_T6_T7_T9_mT8_P12ihipStream_tbDpT10_ENKUlT_T0_E_clISt17integral_constantIbLb0EES19_EEDaS14_S15_EUlS14_E_NS1_11comp_targetILNS1_3genE2ELNS1_11target_archE906ELNS1_3gpuE6ELNS1_3repE0EEENS1_30default_config_static_selectorELNS0_4arch9wavefront6targetE1EEEvT1_
		.amdhsa_group_segment_fixed_size 0
		.amdhsa_private_segment_fixed_size 0
		.amdhsa_kernarg_size 136
		.amdhsa_user_sgpr_count 6
		.amdhsa_user_sgpr_private_segment_buffer 1
		.amdhsa_user_sgpr_dispatch_ptr 0
		.amdhsa_user_sgpr_queue_ptr 0
		.amdhsa_user_sgpr_kernarg_segment_ptr 1
		.amdhsa_user_sgpr_dispatch_id 0
		.amdhsa_user_sgpr_flat_scratch_init 0
		.amdhsa_user_sgpr_kernarg_preload_length 0
		.amdhsa_user_sgpr_kernarg_preload_offset 0
		.amdhsa_user_sgpr_private_segment_size 0
		.amdhsa_uses_dynamic_stack 0
		.amdhsa_system_sgpr_private_segment_wavefront_offset 0
		.amdhsa_system_sgpr_workgroup_id_x 1
		.amdhsa_system_sgpr_workgroup_id_y 0
		.amdhsa_system_sgpr_workgroup_id_z 0
		.amdhsa_system_sgpr_workgroup_info 0
		.amdhsa_system_vgpr_workitem_id 0
		.amdhsa_next_free_vgpr 1
		.amdhsa_next_free_sgpr 0
		.amdhsa_accum_offset 4
		.amdhsa_reserve_vcc 0
		.amdhsa_reserve_flat_scratch 0
		.amdhsa_float_round_mode_32 0
		.amdhsa_float_round_mode_16_64 0
		.amdhsa_float_denorm_mode_32 3
		.amdhsa_float_denorm_mode_16_64 3
		.amdhsa_dx10_clamp 1
		.amdhsa_ieee_mode 1
		.amdhsa_fp16_overflow 0
		.amdhsa_tg_split 0
		.amdhsa_exception_fp_ieee_invalid_op 0
		.amdhsa_exception_fp_denorm_src 0
		.amdhsa_exception_fp_ieee_div_zero 0
		.amdhsa_exception_fp_ieee_overflow 0
		.amdhsa_exception_fp_ieee_underflow 0
		.amdhsa_exception_fp_ieee_inexact 0
		.amdhsa_exception_int_div_zero 0
	.end_amdhsa_kernel
	.section	.text._ZN7rocprim17ROCPRIM_400000_NS6detail17trampoline_kernelINS0_14default_configENS1_25partition_config_selectorILNS1_17partition_subalgoE0ExNS0_10empty_typeEbEEZZNS1_14partition_implILS5_0ELb0ES3_jN6thrust23THRUST_200600_302600_NS6detail15normal_iteratorINSA_10device_ptrIxEEEEPS6_SG_NS0_5tupleIJNSA_16discard_iteratorINSA_11use_defaultEEESK_EEENSH_IJSG_SG_EEES6_PlJ7is_evenIxEEEE10hipError_tPvRmT3_T4_T5_T6_T7_T9_mT8_P12ihipStream_tbDpT10_ENKUlT_T0_E_clISt17integral_constantIbLb0EES19_EEDaS14_S15_EUlS14_E_NS1_11comp_targetILNS1_3genE2ELNS1_11target_archE906ELNS1_3gpuE6ELNS1_3repE0EEENS1_30default_config_static_selectorELNS0_4arch9wavefront6targetE1EEEvT1_,"axG",@progbits,_ZN7rocprim17ROCPRIM_400000_NS6detail17trampoline_kernelINS0_14default_configENS1_25partition_config_selectorILNS1_17partition_subalgoE0ExNS0_10empty_typeEbEEZZNS1_14partition_implILS5_0ELb0ES3_jN6thrust23THRUST_200600_302600_NS6detail15normal_iteratorINSA_10device_ptrIxEEEEPS6_SG_NS0_5tupleIJNSA_16discard_iteratorINSA_11use_defaultEEESK_EEENSH_IJSG_SG_EEES6_PlJ7is_evenIxEEEE10hipError_tPvRmT3_T4_T5_T6_T7_T9_mT8_P12ihipStream_tbDpT10_ENKUlT_T0_E_clISt17integral_constantIbLb0EES19_EEDaS14_S15_EUlS14_E_NS1_11comp_targetILNS1_3genE2ELNS1_11target_archE906ELNS1_3gpuE6ELNS1_3repE0EEENS1_30default_config_static_selectorELNS0_4arch9wavefront6targetE1EEEvT1_,comdat
.Lfunc_end2591:
	.size	_ZN7rocprim17ROCPRIM_400000_NS6detail17trampoline_kernelINS0_14default_configENS1_25partition_config_selectorILNS1_17partition_subalgoE0ExNS0_10empty_typeEbEEZZNS1_14partition_implILS5_0ELb0ES3_jN6thrust23THRUST_200600_302600_NS6detail15normal_iteratorINSA_10device_ptrIxEEEEPS6_SG_NS0_5tupleIJNSA_16discard_iteratorINSA_11use_defaultEEESK_EEENSH_IJSG_SG_EEES6_PlJ7is_evenIxEEEE10hipError_tPvRmT3_T4_T5_T6_T7_T9_mT8_P12ihipStream_tbDpT10_ENKUlT_T0_E_clISt17integral_constantIbLb0EES19_EEDaS14_S15_EUlS14_E_NS1_11comp_targetILNS1_3genE2ELNS1_11target_archE906ELNS1_3gpuE6ELNS1_3repE0EEENS1_30default_config_static_selectorELNS0_4arch9wavefront6targetE1EEEvT1_, .Lfunc_end2591-_ZN7rocprim17ROCPRIM_400000_NS6detail17trampoline_kernelINS0_14default_configENS1_25partition_config_selectorILNS1_17partition_subalgoE0ExNS0_10empty_typeEbEEZZNS1_14partition_implILS5_0ELb0ES3_jN6thrust23THRUST_200600_302600_NS6detail15normal_iteratorINSA_10device_ptrIxEEEEPS6_SG_NS0_5tupleIJNSA_16discard_iteratorINSA_11use_defaultEEESK_EEENSH_IJSG_SG_EEES6_PlJ7is_evenIxEEEE10hipError_tPvRmT3_T4_T5_T6_T7_T9_mT8_P12ihipStream_tbDpT10_ENKUlT_T0_E_clISt17integral_constantIbLb0EES19_EEDaS14_S15_EUlS14_E_NS1_11comp_targetILNS1_3genE2ELNS1_11target_archE906ELNS1_3gpuE6ELNS1_3repE0EEENS1_30default_config_static_selectorELNS0_4arch9wavefront6targetE1EEEvT1_
                                        ; -- End function
	.section	.AMDGPU.csdata,"",@progbits
; Kernel info:
; codeLenInByte = 0
; NumSgprs: 4
; NumVgprs: 0
; NumAgprs: 0
; TotalNumVgprs: 0
; ScratchSize: 0
; MemoryBound: 0
; FloatMode: 240
; IeeeMode: 1
; LDSByteSize: 0 bytes/workgroup (compile time only)
; SGPRBlocks: 0
; VGPRBlocks: 0
; NumSGPRsForWavesPerEU: 4
; NumVGPRsForWavesPerEU: 1
; AccumOffset: 4
; Occupancy: 8
; WaveLimiterHint : 0
; COMPUTE_PGM_RSRC2:SCRATCH_EN: 0
; COMPUTE_PGM_RSRC2:USER_SGPR: 6
; COMPUTE_PGM_RSRC2:TRAP_HANDLER: 0
; COMPUTE_PGM_RSRC2:TGID_X_EN: 1
; COMPUTE_PGM_RSRC2:TGID_Y_EN: 0
; COMPUTE_PGM_RSRC2:TGID_Z_EN: 0
; COMPUTE_PGM_RSRC2:TIDIG_COMP_CNT: 0
; COMPUTE_PGM_RSRC3_GFX90A:ACCUM_OFFSET: 0
; COMPUTE_PGM_RSRC3_GFX90A:TG_SPLIT: 0
	.section	.text._ZN7rocprim17ROCPRIM_400000_NS6detail17trampoline_kernelINS0_14default_configENS1_25partition_config_selectorILNS1_17partition_subalgoE0ExNS0_10empty_typeEbEEZZNS1_14partition_implILS5_0ELb0ES3_jN6thrust23THRUST_200600_302600_NS6detail15normal_iteratorINSA_10device_ptrIxEEEEPS6_SG_NS0_5tupleIJNSA_16discard_iteratorINSA_11use_defaultEEESK_EEENSH_IJSG_SG_EEES6_PlJ7is_evenIxEEEE10hipError_tPvRmT3_T4_T5_T6_T7_T9_mT8_P12ihipStream_tbDpT10_ENKUlT_T0_E_clISt17integral_constantIbLb0EES19_EEDaS14_S15_EUlS14_E_NS1_11comp_targetILNS1_3genE10ELNS1_11target_archE1200ELNS1_3gpuE4ELNS1_3repE0EEENS1_30default_config_static_selectorELNS0_4arch9wavefront6targetE1EEEvT1_,"axG",@progbits,_ZN7rocprim17ROCPRIM_400000_NS6detail17trampoline_kernelINS0_14default_configENS1_25partition_config_selectorILNS1_17partition_subalgoE0ExNS0_10empty_typeEbEEZZNS1_14partition_implILS5_0ELb0ES3_jN6thrust23THRUST_200600_302600_NS6detail15normal_iteratorINSA_10device_ptrIxEEEEPS6_SG_NS0_5tupleIJNSA_16discard_iteratorINSA_11use_defaultEEESK_EEENSH_IJSG_SG_EEES6_PlJ7is_evenIxEEEE10hipError_tPvRmT3_T4_T5_T6_T7_T9_mT8_P12ihipStream_tbDpT10_ENKUlT_T0_E_clISt17integral_constantIbLb0EES19_EEDaS14_S15_EUlS14_E_NS1_11comp_targetILNS1_3genE10ELNS1_11target_archE1200ELNS1_3gpuE4ELNS1_3repE0EEENS1_30default_config_static_selectorELNS0_4arch9wavefront6targetE1EEEvT1_,comdat
	.protected	_ZN7rocprim17ROCPRIM_400000_NS6detail17trampoline_kernelINS0_14default_configENS1_25partition_config_selectorILNS1_17partition_subalgoE0ExNS0_10empty_typeEbEEZZNS1_14partition_implILS5_0ELb0ES3_jN6thrust23THRUST_200600_302600_NS6detail15normal_iteratorINSA_10device_ptrIxEEEEPS6_SG_NS0_5tupleIJNSA_16discard_iteratorINSA_11use_defaultEEESK_EEENSH_IJSG_SG_EEES6_PlJ7is_evenIxEEEE10hipError_tPvRmT3_T4_T5_T6_T7_T9_mT8_P12ihipStream_tbDpT10_ENKUlT_T0_E_clISt17integral_constantIbLb0EES19_EEDaS14_S15_EUlS14_E_NS1_11comp_targetILNS1_3genE10ELNS1_11target_archE1200ELNS1_3gpuE4ELNS1_3repE0EEENS1_30default_config_static_selectorELNS0_4arch9wavefront6targetE1EEEvT1_ ; -- Begin function _ZN7rocprim17ROCPRIM_400000_NS6detail17trampoline_kernelINS0_14default_configENS1_25partition_config_selectorILNS1_17partition_subalgoE0ExNS0_10empty_typeEbEEZZNS1_14partition_implILS5_0ELb0ES3_jN6thrust23THRUST_200600_302600_NS6detail15normal_iteratorINSA_10device_ptrIxEEEEPS6_SG_NS0_5tupleIJNSA_16discard_iteratorINSA_11use_defaultEEESK_EEENSH_IJSG_SG_EEES6_PlJ7is_evenIxEEEE10hipError_tPvRmT3_T4_T5_T6_T7_T9_mT8_P12ihipStream_tbDpT10_ENKUlT_T0_E_clISt17integral_constantIbLb0EES19_EEDaS14_S15_EUlS14_E_NS1_11comp_targetILNS1_3genE10ELNS1_11target_archE1200ELNS1_3gpuE4ELNS1_3repE0EEENS1_30default_config_static_selectorELNS0_4arch9wavefront6targetE1EEEvT1_
	.globl	_ZN7rocprim17ROCPRIM_400000_NS6detail17trampoline_kernelINS0_14default_configENS1_25partition_config_selectorILNS1_17partition_subalgoE0ExNS0_10empty_typeEbEEZZNS1_14partition_implILS5_0ELb0ES3_jN6thrust23THRUST_200600_302600_NS6detail15normal_iteratorINSA_10device_ptrIxEEEEPS6_SG_NS0_5tupleIJNSA_16discard_iteratorINSA_11use_defaultEEESK_EEENSH_IJSG_SG_EEES6_PlJ7is_evenIxEEEE10hipError_tPvRmT3_T4_T5_T6_T7_T9_mT8_P12ihipStream_tbDpT10_ENKUlT_T0_E_clISt17integral_constantIbLb0EES19_EEDaS14_S15_EUlS14_E_NS1_11comp_targetILNS1_3genE10ELNS1_11target_archE1200ELNS1_3gpuE4ELNS1_3repE0EEENS1_30default_config_static_selectorELNS0_4arch9wavefront6targetE1EEEvT1_
	.p2align	8
	.type	_ZN7rocprim17ROCPRIM_400000_NS6detail17trampoline_kernelINS0_14default_configENS1_25partition_config_selectorILNS1_17partition_subalgoE0ExNS0_10empty_typeEbEEZZNS1_14partition_implILS5_0ELb0ES3_jN6thrust23THRUST_200600_302600_NS6detail15normal_iteratorINSA_10device_ptrIxEEEEPS6_SG_NS0_5tupleIJNSA_16discard_iteratorINSA_11use_defaultEEESK_EEENSH_IJSG_SG_EEES6_PlJ7is_evenIxEEEE10hipError_tPvRmT3_T4_T5_T6_T7_T9_mT8_P12ihipStream_tbDpT10_ENKUlT_T0_E_clISt17integral_constantIbLb0EES19_EEDaS14_S15_EUlS14_E_NS1_11comp_targetILNS1_3genE10ELNS1_11target_archE1200ELNS1_3gpuE4ELNS1_3repE0EEENS1_30default_config_static_selectorELNS0_4arch9wavefront6targetE1EEEvT1_,@function
_ZN7rocprim17ROCPRIM_400000_NS6detail17trampoline_kernelINS0_14default_configENS1_25partition_config_selectorILNS1_17partition_subalgoE0ExNS0_10empty_typeEbEEZZNS1_14partition_implILS5_0ELb0ES3_jN6thrust23THRUST_200600_302600_NS6detail15normal_iteratorINSA_10device_ptrIxEEEEPS6_SG_NS0_5tupleIJNSA_16discard_iteratorINSA_11use_defaultEEESK_EEENSH_IJSG_SG_EEES6_PlJ7is_evenIxEEEE10hipError_tPvRmT3_T4_T5_T6_T7_T9_mT8_P12ihipStream_tbDpT10_ENKUlT_T0_E_clISt17integral_constantIbLb0EES19_EEDaS14_S15_EUlS14_E_NS1_11comp_targetILNS1_3genE10ELNS1_11target_archE1200ELNS1_3gpuE4ELNS1_3repE0EEENS1_30default_config_static_selectorELNS0_4arch9wavefront6targetE1EEEvT1_: ; @_ZN7rocprim17ROCPRIM_400000_NS6detail17trampoline_kernelINS0_14default_configENS1_25partition_config_selectorILNS1_17partition_subalgoE0ExNS0_10empty_typeEbEEZZNS1_14partition_implILS5_0ELb0ES3_jN6thrust23THRUST_200600_302600_NS6detail15normal_iteratorINSA_10device_ptrIxEEEEPS6_SG_NS0_5tupleIJNSA_16discard_iteratorINSA_11use_defaultEEESK_EEENSH_IJSG_SG_EEES6_PlJ7is_evenIxEEEE10hipError_tPvRmT3_T4_T5_T6_T7_T9_mT8_P12ihipStream_tbDpT10_ENKUlT_T0_E_clISt17integral_constantIbLb0EES19_EEDaS14_S15_EUlS14_E_NS1_11comp_targetILNS1_3genE10ELNS1_11target_archE1200ELNS1_3gpuE4ELNS1_3repE0EEENS1_30default_config_static_selectorELNS0_4arch9wavefront6targetE1EEEvT1_
; %bb.0:
	.section	.rodata,"a",@progbits
	.p2align	6, 0x0
	.amdhsa_kernel _ZN7rocprim17ROCPRIM_400000_NS6detail17trampoline_kernelINS0_14default_configENS1_25partition_config_selectorILNS1_17partition_subalgoE0ExNS0_10empty_typeEbEEZZNS1_14partition_implILS5_0ELb0ES3_jN6thrust23THRUST_200600_302600_NS6detail15normal_iteratorINSA_10device_ptrIxEEEEPS6_SG_NS0_5tupleIJNSA_16discard_iteratorINSA_11use_defaultEEESK_EEENSH_IJSG_SG_EEES6_PlJ7is_evenIxEEEE10hipError_tPvRmT3_T4_T5_T6_T7_T9_mT8_P12ihipStream_tbDpT10_ENKUlT_T0_E_clISt17integral_constantIbLb0EES19_EEDaS14_S15_EUlS14_E_NS1_11comp_targetILNS1_3genE10ELNS1_11target_archE1200ELNS1_3gpuE4ELNS1_3repE0EEENS1_30default_config_static_selectorELNS0_4arch9wavefront6targetE1EEEvT1_
		.amdhsa_group_segment_fixed_size 0
		.amdhsa_private_segment_fixed_size 0
		.amdhsa_kernarg_size 136
		.amdhsa_user_sgpr_count 6
		.amdhsa_user_sgpr_private_segment_buffer 1
		.amdhsa_user_sgpr_dispatch_ptr 0
		.amdhsa_user_sgpr_queue_ptr 0
		.amdhsa_user_sgpr_kernarg_segment_ptr 1
		.amdhsa_user_sgpr_dispatch_id 0
		.amdhsa_user_sgpr_flat_scratch_init 0
		.amdhsa_user_sgpr_kernarg_preload_length 0
		.amdhsa_user_sgpr_kernarg_preload_offset 0
		.amdhsa_user_sgpr_private_segment_size 0
		.amdhsa_uses_dynamic_stack 0
		.amdhsa_system_sgpr_private_segment_wavefront_offset 0
		.amdhsa_system_sgpr_workgroup_id_x 1
		.amdhsa_system_sgpr_workgroup_id_y 0
		.amdhsa_system_sgpr_workgroup_id_z 0
		.amdhsa_system_sgpr_workgroup_info 0
		.amdhsa_system_vgpr_workitem_id 0
		.amdhsa_next_free_vgpr 1
		.amdhsa_next_free_sgpr 0
		.amdhsa_accum_offset 4
		.amdhsa_reserve_vcc 0
		.amdhsa_reserve_flat_scratch 0
		.amdhsa_float_round_mode_32 0
		.amdhsa_float_round_mode_16_64 0
		.amdhsa_float_denorm_mode_32 3
		.amdhsa_float_denorm_mode_16_64 3
		.amdhsa_dx10_clamp 1
		.amdhsa_ieee_mode 1
		.amdhsa_fp16_overflow 0
		.amdhsa_tg_split 0
		.amdhsa_exception_fp_ieee_invalid_op 0
		.amdhsa_exception_fp_denorm_src 0
		.amdhsa_exception_fp_ieee_div_zero 0
		.amdhsa_exception_fp_ieee_overflow 0
		.amdhsa_exception_fp_ieee_underflow 0
		.amdhsa_exception_fp_ieee_inexact 0
		.amdhsa_exception_int_div_zero 0
	.end_amdhsa_kernel
	.section	.text._ZN7rocprim17ROCPRIM_400000_NS6detail17trampoline_kernelINS0_14default_configENS1_25partition_config_selectorILNS1_17partition_subalgoE0ExNS0_10empty_typeEbEEZZNS1_14partition_implILS5_0ELb0ES3_jN6thrust23THRUST_200600_302600_NS6detail15normal_iteratorINSA_10device_ptrIxEEEEPS6_SG_NS0_5tupleIJNSA_16discard_iteratorINSA_11use_defaultEEESK_EEENSH_IJSG_SG_EEES6_PlJ7is_evenIxEEEE10hipError_tPvRmT3_T4_T5_T6_T7_T9_mT8_P12ihipStream_tbDpT10_ENKUlT_T0_E_clISt17integral_constantIbLb0EES19_EEDaS14_S15_EUlS14_E_NS1_11comp_targetILNS1_3genE10ELNS1_11target_archE1200ELNS1_3gpuE4ELNS1_3repE0EEENS1_30default_config_static_selectorELNS0_4arch9wavefront6targetE1EEEvT1_,"axG",@progbits,_ZN7rocprim17ROCPRIM_400000_NS6detail17trampoline_kernelINS0_14default_configENS1_25partition_config_selectorILNS1_17partition_subalgoE0ExNS0_10empty_typeEbEEZZNS1_14partition_implILS5_0ELb0ES3_jN6thrust23THRUST_200600_302600_NS6detail15normal_iteratorINSA_10device_ptrIxEEEEPS6_SG_NS0_5tupleIJNSA_16discard_iteratorINSA_11use_defaultEEESK_EEENSH_IJSG_SG_EEES6_PlJ7is_evenIxEEEE10hipError_tPvRmT3_T4_T5_T6_T7_T9_mT8_P12ihipStream_tbDpT10_ENKUlT_T0_E_clISt17integral_constantIbLb0EES19_EEDaS14_S15_EUlS14_E_NS1_11comp_targetILNS1_3genE10ELNS1_11target_archE1200ELNS1_3gpuE4ELNS1_3repE0EEENS1_30default_config_static_selectorELNS0_4arch9wavefront6targetE1EEEvT1_,comdat
.Lfunc_end2592:
	.size	_ZN7rocprim17ROCPRIM_400000_NS6detail17trampoline_kernelINS0_14default_configENS1_25partition_config_selectorILNS1_17partition_subalgoE0ExNS0_10empty_typeEbEEZZNS1_14partition_implILS5_0ELb0ES3_jN6thrust23THRUST_200600_302600_NS6detail15normal_iteratorINSA_10device_ptrIxEEEEPS6_SG_NS0_5tupleIJNSA_16discard_iteratorINSA_11use_defaultEEESK_EEENSH_IJSG_SG_EEES6_PlJ7is_evenIxEEEE10hipError_tPvRmT3_T4_T5_T6_T7_T9_mT8_P12ihipStream_tbDpT10_ENKUlT_T0_E_clISt17integral_constantIbLb0EES19_EEDaS14_S15_EUlS14_E_NS1_11comp_targetILNS1_3genE10ELNS1_11target_archE1200ELNS1_3gpuE4ELNS1_3repE0EEENS1_30default_config_static_selectorELNS0_4arch9wavefront6targetE1EEEvT1_, .Lfunc_end2592-_ZN7rocprim17ROCPRIM_400000_NS6detail17trampoline_kernelINS0_14default_configENS1_25partition_config_selectorILNS1_17partition_subalgoE0ExNS0_10empty_typeEbEEZZNS1_14partition_implILS5_0ELb0ES3_jN6thrust23THRUST_200600_302600_NS6detail15normal_iteratorINSA_10device_ptrIxEEEEPS6_SG_NS0_5tupleIJNSA_16discard_iteratorINSA_11use_defaultEEESK_EEENSH_IJSG_SG_EEES6_PlJ7is_evenIxEEEE10hipError_tPvRmT3_T4_T5_T6_T7_T9_mT8_P12ihipStream_tbDpT10_ENKUlT_T0_E_clISt17integral_constantIbLb0EES19_EEDaS14_S15_EUlS14_E_NS1_11comp_targetILNS1_3genE10ELNS1_11target_archE1200ELNS1_3gpuE4ELNS1_3repE0EEENS1_30default_config_static_selectorELNS0_4arch9wavefront6targetE1EEEvT1_
                                        ; -- End function
	.section	.AMDGPU.csdata,"",@progbits
; Kernel info:
; codeLenInByte = 0
; NumSgprs: 4
; NumVgprs: 0
; NumAgprs: 0
; TotalNumVgprs: 0
; ScratchSize: 0
; MemoryBound: 0
; FloatMode: 240
; IeeeMode: 1
; LDSByteSize: 0 bytes/workgroup (compile time only)
; SGPRBlocks: 0
; VGPRBlocks: 0
; NumSGPRsForWavesPerEU: 4
; NumVGPRsForWavesPerEU: 1
; AccumOffset: 4
; Occupancy: 8
; WaveLimiterHint : 0
; COMPUTE_PGM_RSRC2:SCRATCH_EN: 0
; COMPUTE_PGM_RSRC2:USER_SGPR: 6
; COMPUTE_PGM_RSRC2:TRAP_HANDLER: 0
; COMPUTE_PGM_RSRC2:TGID_X_EN: 1
; COMPUTE_PGM_RSRC2:TGID_Y_EN: 0
; COMPUTE_PGM_RSRC2:TGID_Z_EN: 0
; COMPUTE_PGM_RSRC2:TIDIG_COMP_CNT: 0
; COMPUTE_PGM_RSRC3_GFX90A:ACCUM_OFFSET: 0
; COMPUTE_PGM_RSRC3_GFX90A:TG_SPLIT: 0
	.section	.text._ZN7rocprim17ROCPRIM_400000_NS6detail17trampoline_kernelINS0_14default_configENS1_25partition_config_selectorILNS1_17partition_subalgoE0ExNS0_10empty_typeEbEEZZNS1_14partition_implILS5_0ELb0ES3_jN6thrust23THRUST_200600_302600_NS6detail15normal_iteratorINSA_10device_ptrIxEEEEPS6_SG_NS0_5tupleIJNSA_16discard_iteratorINSA_11use_defaultEEESK_EEENSH_IJSG_SG_EEES6_PlJ7is_evenIxEEEE10hipError_tPvRmT3_T4_T5_T6_T7_T9_mT8_P12ihipStream_tbDpT10_ENKUlT_T0_E_clISt17integral_constantIbLb0EES19_EEDaS14_S15_EUlS14_E_NS1_11comp_targetILNS1_3genE9ELNS1_11target_archE1100ELNS1_3gpuE3ELNS1_3repE0EEENS1_30default_config_static_selectorELNS0_4arch9wavefront6targetE1EEEvT1_,"axG",@progbits,_ZN7rocprim17ROCPRIM_400000_NS6detail17trampoline_kernelINS0_14default_configENS1_25partition_config_selectorILNS1_17partition_subalgoE0ExNS0_10empty_typeEbEEZZNS1_14partition_implILS5_0ELb0ES3_jN6thrust23THRUST_200600_302600_NS6detail15normal_iteratorINSA_10device_ptrIxEEEEPS6_SG_NS0_5tupleIJNSA_16discard_iteratorINSA_11use_defaultEEESK_EEENSH_IJSG_SG_EEES6_PlJ7is_evenIxEEEE10hipError_tPvRmT3_T4_T5_T6_T7_T9_mT8_P12ihipStream_tbDpT10_ENKUlT_T0_E_clISt17integral_constantIbLb0EES19_EEDaS14_S15_EUlS14_E_NS1_11comp_targetILNS1_3genE9ELNS1_11target_archE1100ELNS1_3gpuE3ELNS1_3repE0EEENS1_30default_config_static_selectorELNS0_4arch9wavefront6targetE1EEEvT1_,comdat
	.protected	_ZN7rocprim17ROCPRIM_400000_NS6detail17trampoline_kernelINS0_14default_configENS1_25partition_config_selectorILNS1_17partition_subalgoE0ExNS0_10empty_typeEbEEZZNS1_14partition_implILS5_0ELb0ES3_jN6thrust23THRUST_200600_302600_NS6detail15normal_iteratorINSA_10device_ptrIxEEEEPS6_SG_NS0_5tupleIJNSA_16discard_iteratorINSA_11use_defaultEEESK_EEENSH_IJSG_SG_EEES6_PlJ7is_evenIxEEEE10hipError_tPvRmT3_T4_T5_T6_T7_T9_mT8_P12ihipStream_tbDpT10_ENKUlT_T0_E_clISt17integral_constantIbLb0EES19_EEDaS14_S15_EUlS14_E_NS1_11comp_targetILNS1_3genE9ELNS1_11target_archE1100ELNS1_3gpuE3ELNS1_3repE0EEENS1_30default_config_static_selectorELNS0_4arch9wavefront6targetE1EEEvT1_ ; -- Begin function _ZN7rocprim17ROCPRIM_400000_NS6detail17trampoline_kernelINS0_14default_configENS1_25partition_config_selectorILNS1_17partition_subalgoE0ExNS0_10empty_typeEbEEZZNS1_14partition_implILS5_0ELb0ES3_jN6thrust23THRUST_200600_302600_NS6detail15normal_iteratorINSA_10device_ptrIxEEEEPS6_SG_NS0_5tupleIJNSA_16discard_iteratorINSA_11use_defaultEEESK_EEENSH_IJSG_SG_EEES6_PlJ7is_evenIxEEEE10hipError_tPvRmT3_T4_T5_T6_T7_T9_mT8_P12ihipStream_tbDpT10_ENKUlT_T0_E_clISt17integral_constantIbLb0EES19_EEDaS14_S15_EUlS14_E_NS1_11comp_targetILNS1_3genE9ELNS1_11target_archE1100ELNS1_3gpuE3ELNS1_3repE0EEENS1_30default_config_static_selectorELNS0_4arch9wavefront6targetE1EEEvT1_
	.globl	_ZN7rocprim17ROCPRIM_400000_NS6detail17trampoline_kernelINS0_14default_configENS1_25partition_config_selectorILNS1_17partition_subalgoE0ExNS0_10empty_typeEbEEZZNS1_14partition_implILS5_0ELb0ES3_jN6thrust23THRUST_200600_302600_NS6detail15normal_iteratorINSA_10device_ptrIxEEEEPS6_SG_NS0_5tupleIJNSA_16discard_iteratorINSA_11use_defaultEEESK_EEENSH_IJSG_SG_EEES6_PlJ7is_evenIxEEEE10hipError_tPvRmT3_T4_T5_T6_T7_T9_mT8_P12ihipStream_tbDpT10_ENKUlT_T0_E_clISt17integral_constantIbLb0EES19_EEDaS14_S15_EUlS14_E_NS1_11comp_targetILNS1_3genE9ELNS1_11target_archE1100ELNS1_3gpuE3ELNS1_3repE0EEENS1_30default_config_static_selectorELNS0_4arch9wavefront6targetE1EEEvT1_
	.p2align	8
	.type	_ZN7rocprim17ROCPRIM_400000_NS6detail17trampoline_kernelINS0_14default_configENS1_25partition_config_selectorILNS1_17partition_subalgoE0ExNS0_10empty_typeEbEEZZNS1_14partition_implILS5_0ELb0ES3_jN6thrust23THRUST_200600_302600_NS6detail15normal_iteratorINSA_10device_ptrIxEEEEPS6_SG_NS0_5tupleIJNSA_16discard_iteratorINSA_11use_defaultEEESK_EEENSH_IJSG_SG_EEES6_PlJ7is_evenIxEEEE10hipError_tPvRmT3_T4_T5_T6_T7_T9_mT8_P12ihipStream_tbDpT10_ENKUlT_T0_E_clISt17integral_constantIbLb0EES19_EEDaS14_S15_EUlS14_E_NS1_11comp_targetILNS1_3genE9ELNS1_11target_archE1100ELNS1_3gpuE3ELNS1_3repE0EEENS1_30default_config_static_selectorELNS0_4arch9wavefront6targetE1EEEvT1_,@function
_ZN7rocprim17ROCPRIM_400000_NS6detail17trampoline_kernelINS0_14default_configENS1_25partition_config_selectorILNS1_17partition_subalgoE0ExNS0_10empty_typeEbEEZZNS1_14partition_implILS5_0ELb0ES3_jN6thrust23THRUST_200600_302600_NS6detail15normal_iteratorINSA_10device_ptrIxEEEEPS6_SG_NS0_5tupleIJNSA_16discard_iteratorINSA_11use_defaultEEESK_EEENSH_IJSG_SG_EEES6_PlJ7is_evenIxEEEE10hipError_tPvRmT3_T4_T5_T6_T7_T9_mT8_P12ihipStream_tbDpT10_ENKUlT_T0_E_clISt17integral_constantIbLb0EES19_EEDaS14_S15_EUlS14_E_NS1_11comp_targetILNS1_3genE9ELNS1_11target_archE1100ELNS1_3gpuE3ELNS1_3repE0EEENS1_30default_config_static_selectorELNS0_4arch9wavefront6targetE1EEEvT1_: ; @_ZN7rocprim17ROCPRIM_400000_NS6detail17trampoline_kernelINS0_14default_configENS1_25partition_config_selectorILNS1_17partition_subalgoE0ExNS0_10empty_typeEbEEZZNS1_14partition_implILS5_0ELb0ES3_jN6thrust23THRUST_200600_302600_NS6detail15normal_iteratorINSA_10device_ptrIxEEEEPS6_SG_NS0_5tupleIJNSA_16discard_iteratorINSA_11use_defaultEEESK_EEENSH_IJSG_SG_EEES6_PlJ7is_evenIxEEEE10hipError_tPvRmT3_T4_T5_T6_T7_T9_mT8_P12ihipStream_tbDpT10_ENKUlT_T0_E_clISt17integral_constantIbLb0EES19_EEDaS14_S15_EUlS14_E_NS1_11comp_targetILNS1_3genE9ELNS1_11target_archE1100ELNS1_3gpuE3ELNS1_3repE0EEENS1_30default_config_static_selectorELNS0_4arch9wavefront6targetE1EEEvT1_
; %bb.0:
	.section	.rodata,"a",@progbits
	.p2align	6, 0x0
	.amdhsa_kernel _ZN7rocprim17ROCPRIM_400000_NS6detail17trampoline_kernelINS0_14default_configENS1_25partition_config_selectorILNS1_17partition_subalgoE0ExNS0_10empty_typeEbEEZZNS1_14partition_implILS5_0ELb0ES3_jN6thrust23THRUST_200600_302600_NS6detail15normal_iteratorINSA_10device_ptrIxEEEEPS6_SG_NS0_5tupleIJNSA_16discard_iteratorINSA_11use_defaultEEESK_EEENSH_IJSG_SG_EEES6_PlJ7is_evenIxEEEE10hipError_tPvRmT3_T4_T5_T6_T7_T9_mT8_P12ihipStream_tbDpT10_ENKUlT_T0_E_clISt17integral_constantIbLb0EES19_EEDaS14_S15_EUlS14_E_NS1_11comp_targetILNS1_3genE9ELNS1_11target_archE1100ELNS1_3gpuE3ELNS1_3repE0EEENS1_30default_config_static_selectorELNS0_4arch9wavefront6targetE1EEEvT1_
		.amdhsa_group_segment_fixed_size 0
		.amdhsa_private_segment_fixed_size 0
		.amdhsa_kernarg_size 136
		.amdhsa_user_sgpr_count 6
		.amdhsa_user_sgpr_private_segment_buffer 1
		.amdhsa_user_sgpr_dispatch_ptr 0
		.amdhsa_user_sgpr_queue_ptr 0
		.amdhsa_user_sgpr_kernarg_segment_ptr 1
		.amdhsa_user_sgpr_dispatch_id 0
		.amdhsa_user_sgpr_flat_scratch_init 0
		.amdhsa_user_sgpr_kernarg_preload_length 0
		.amdhsa_user_sgpr_kernarg_preload_offset 0
		.amdhsa_user_sgpr_private_segment_size 0
		.amdhsa_uses_dynamic_stack 0
		.amdhsa_system_sgpr_private_segment_wavefront_offset 0
		.amdhsa_system_sgpr_workgroup_id_x 1
		.amdhsa_system_sgpr_workgroup_id_y 0
		.amdhsa_system_sgpr_workgroup_id_z 0
		.amdhsa_system_sgpr_workgroup_info 0
		.amdhsa_system_vgpr_workitem_id 0
		.amdhsa_next_free_vgpr 1
		.amdhsa_next_free_sgpr 0
		.amdhsa_accum_offset 4
		.amdhsa_reserve_vcc 0
		.amdhsa_reserve_flat_scratch 0
		.amdhsa_float_round_mode_32 0
		.amdhsa_float_round_mode_16_64 0
		.amdhsa_float_denorm_mode_32 3
		.amdhsa_float_denorm_mode_16_64 3
		.amdhsa_dx10_clamp 1
		.amdhsa_ieee_mode 1
		.amdhsa_fp16_overflow 0
		.amdhsa_tg_split 0
		.amdhsa_exception_fp_ieee_invalid_op 0
		.amdhsa_exception_fp_denorm_src 0
		.amdhsa_exception_fp_ieee_div_zero 0
		.amdhsa_exception_fp_ieee_overflow 0
		.amdhsa_exception_fp_ieee_underflow 0
		.amdhsa_exception_fp_ieee_inexact 0
		.amdhsa_exception_int_div_zero 0
	.end_amdhsa_kernel
	.section	.text._ZN7rocprim17ROCPRIM_400000_NS6detail17trampoline_kernelINS0_14default_configENS1_25partition_config_selectorILNS1_17partition_subalgoE0ExNS0_10empty_typeEbEEZZNS1_14partition_implILS5_0ELb0ES3_jN6thrust23THRUST_200600_302600_NS6detail15normal_iteratorINSA_10device_ptrIxEEEEPS6_SG_NS0_5tupleIJNSA_16discard_iteratorINSA_11use_defaultEEESK_EEENSH_IJSG_SG_EEES6_PlJ7is_evenIxEEEE10hipError_tPvRmT3_T4_T5_T6_T7_T9_mT8_P12ihipStream_tbDpT10_ENKUlT_T0_E_clISt17integral_constantIbLb0EES19_EEDaS14_S15_EUlS14_E_NS1_11comp_targetILNS1_3genE9ELNS1_11target_archE1100ELNS1_3gpuE3ELNS1_3repE0EEENS1_30default_config_static_selectorELNS0_4arch9wavefront6targetE1EEEvT1_,"axG",@progbits,_ZN7rocprim17ROCPRIM_400000_NS6detail17trampoline_kernelINS0_14default_configENS1_25partition_config_selectorILNS1_17partition_subalgoE0ExNS0_10empty_typeEbEEZZNS1_14partition_implILS5_0ELb0ES3_jN6thrust23THRUST_200600_302600_NS6detail15normal_iteratorINSA_10device_ptrIxEEEEPS6_SG_NS0_5tupleIJNSA_16discard_iteratorINSA_11use_defaultEEESK_EEENSH_IJSG_SG_EEES6_PlJ7is_evenIxEEEE10hipError_tPvRmT3_T4_T5_T6_T7_T9_mT8_P12ihipStream_tbDpT10_ENKUlT_T0_E_clISt17integral_constantIbLb0EES19_EEDaS14_S15_EUlS14_E_NS1_11comp_targetILNS1_3genE9ELNS1_11target_archE1100ELNS1_3gpuE3ELNS1_3repE0EEENS1_30default_config_static_selectorELNS0_4arch9wavefront6targetE1EEEvT1_,comdat
.Lfunc_end2593:
	.size	_ZN7rocprim17ROCPRIM_400000_NS6detail17trampoline_kernelINS0_14default_configENS1_25partition_config_selectorILNS1_17partition_subalgoE0ExNS0_10empty_typeEbEEZZNS1_14partition_implILS5_0ELb0ES3_jN6thrust23THRUST_200600_302600_NS6detail15normal_iteratorINSA_10device_ptrIxEEEEPS6_SG_NS0_5tupleIJNSA_16discard_iteratorINSA_11use_defaultEEESK_EEENSH_IJSG_SG_EEES6_PlJ7is_evenIxEEEE10hipError_tPvRmT3_T4_T5_T6_T7_T9_mT8_P12ihipStream_tbDpT10_ENKUlT_T0_E_clISt17integral_constantIbLb0EES19_EEDaS14_S15_EUlS14_E_NS1_11comp_targetILNS1_3genE9ELNS1_11target_archE1100ELNS1_3gpuE3ELNS1_3repE0EEENS1_30default_config_static_selectorELNS0_4arch9wavefront6targetE1EEEvT1_, .Lfunc_end2593-_ZN7rocprim17ROCPRIM_400000_NS6detail17trampoline_kernelINS0_14default_configENS1_25partition_config_selectorILNS1_17partition_subalgoE0ExNS0_10empty_typeEbEEZZNS1_14partition_implILS5_0ELb0ES3_jN6thrust23THRUST_200600_302600_NS6detail15normal_iteratorINSA_10device_ptrIxEEEEPS6_SG_NS0_5tupleIJNSA_16discard_iteratorINSA_11use_defaultEEESK_EEENSH_IJSG_SG_EEES6_PlJ7is_evenIxEEEE10hipError_tPvRmT3_T4_T5_T6_T7_T9_mT8_P12ihipStream_tbDpT10_ENKUlT_T0_E_clISt17integral_constantIbLb0EES19_EEDaS14_S15_EUlS14_E_NS1_11comp_targetILNS1_3genE9ELNS1_11target_archE1100ELNS1_3gpuE3ELNS1_3repE0EEENS1_30default_config_static_selectorELNS0_4arch9wavefront6targetE1EEEvT1_
                                        ; -- End function
	.section	.AMDGPU.csdata,"",@progbits
; Kernel info:
; codeLenInByte = 0
; NumSgprs: 4
; NumVgprs: 0
; NumAgprs: 0
; TotalNumVgprs: 0
; ScratchSize: 0
; MemoryBound: 0
; FloatMode: 240
; IeeeMode: 1
; LDSByteSize: 0 bytes/workgroup (compile time only)
; SGPRBlocks: 0
; VGPRBlocks: 0
; NumSGPRsForWavesPerEU: 4
; NumVGPRsForWavesPerEU: 1
; AccumOffset: 4
; Occupancy: 8
; WaveLimiterHint : 0
; COMPUTE_PGM_RSRC2:SCRATCH_EN: 0
; COMPUTE_PGM_RSRC2:USER_SGPR: 6
; COMPUTE_PGM_RSRC2:TRAP_HANDLER: 0
; COMPUTE_PGM_RSRC2:TGID_X_EN: 1
; COMPUTE_PGM_RSRC2:TGID_Y_EN: 0
; COMPUTE_PGM_RSRC2:TGID_Z_EN: 0
; COMPUTE_PGM_RSRC2:TIDIG_COMP_CNT: 0
; COMPUTE_PGM_RSRC3_GFX90A:ACCUM_OFFSET: 0
; COMPUTE_PGM_RSRC3_GFX90A:TG_SPLIT: 0
	.section	.text._ZN7rocprim17ROCPRIM_400000_NS6detail17trampoline_kernelINS0_14default_configENS1_25partition_config_selectorILNS1_17partition_subalgoE0ExNS0_10empty_typeEbEEZZNS1_14partition_implILS5_0ELb0ES3_jN6thrust23THRUST_200600_302600_NS6detail15normal_iteratorINSA_10device_ptrIxEEEEPS6_SG_NS0_5tupleIJNSA_16discard_iteratorINSA_11use_defaultEEESK_EEENSH_IJSG_SG_EEES6_PlJ7is_evenIxEEEE10hipError_tPvRmT3_T4_T5_T6_T7_T9_mT8_P12ihipStream_tbDpT10_ENKUlT_T0_E_clISt17integral_constantIbLb0EES19_EEDaS14_S15_EUlS14_E_NS1_11comp_targetILNS1_3genE8ELNS1_11target_archE1030ELNS1_3gpuE2ELNS1_3repE0EEENS1_30default_config_static_selectorELNS0_4arch9wavefront6targetE1EEEvT1_,"axG",@progbits,_ZN7rocprim17ROCPRIM_400000_NS6detail17trampoline_kernelINS0_14default_configENS1_25partition_config_selectorILNS1_17partition_subalgoE0ExNS0_10empty_typeEbEEZZNS1_14partition_implILS5_0ELb0ES3_jN6thrust23THRUST_200600_302600_NS6detail15normal_iteratorINSA_10device_ptrIxEEEEPS6_SG_NS0_5tupleIJNSA_16discard_iteratorINSA_11use_defaultEEESK_EEENSH_IJSG_SG_EEES6_PlJ7is_evenIxEEEE10hipError_tPvRmT3_T4_T5_T6_T7_T9_mT8_P12ihipStream_tbDpT10_ENKUlT_T0_E_clISt17integral_constantIbLb0EES19_EEDaS14_S15_EUlS14_E_NS1_11comp_targetILNS1_3genE8ELNS1_11target_archE1030ELNS1_3gpuE2ELNS1_3repE0EEENS1_30default_config_static_selectorELNS0_4arch9wavefront6targetE1EEEvT1_,comdat
	.protected	_ZN7rocprim17ROCPRIM_400000_NS6detail17trampoline_kernelINS0_14default_configENS1_25partition_config_selectorILNS1_17partition_subalgoE0ExNS0_10empty_typeEbEEZZNS1_14partition_implILS5_0ELb0ES3_jN6thrust23THRUST_200600_302600_NS6detail15normal_iteratorINSA_10device_ptrIxEEEEPS6_SG_NS0_5tupleIJNSA_16discard_iteratorINSA_11use_defaultEEESK_EEENSH_IJSG_SG_EEES6_PlJ7is_evenIxEEEE10hipError_tPvRmT3_T4_T5_T6_T7_T9_mT8_P12ihipStream_tbDpT10_ENKUlT_T0_E_clISt17integral_constantIbLb0EES19_EEDaS14_S15_EUlS14_E_NS1_11comp_targetILNS1_3genE8ELNS1_11target_archE1030ELNS1_3gpuE2ELNS1_3repE0EEENS1_30default_config_static_selectorELNS0_4arch9wavefront6targetE1EEEvT1_ ; -- Begin function _ZN7rocprim17ROCPRIM_400000_NS6detail17trampoline_kernelINS0_14default_configENS1_25partition_config_selectorILNS1_17partition_subalgoE0ExNS0_10empty_typeEbEEZZNS1_14partition_implILS5_0ELb0ES3_jN6thrust23THRUST_200600_302600_NS6detail15normal_iteratorINSA_10device_ptrIxEEEEPS6_SG_NS0_5tupleIJNSA_16discard_iteratorINSA_11use_defaultEEESK_EEENSH_IJSG_SG_EEES6_PlJ7is_evenIxEEEE10hipError_tPvRmT3_T4_T5_T6_T7_T9_mT8_P12ihipStream_tbDpT10_ENKUlT_T0_E_clISt17integral_constantIbLb0EES19_EEDaS14_S15_EUlS14_E_NS1_11comp_targetILNS1_3genE8ELNS1_11target_archE1030ELNS1_3gpuE2ELNS1_3repE0EEENS1_30default_config_static_selectorELNS0_4arch9wavefront6targetE1EEEvT1_
	.globl	_ZN7rocprim17ROCPRIM_400000_NS6detail17trampoline_kernelINS0_14default_configENS1_25partition_config_selectorILNS1_17partition_subalgoE0ExNS0_10empty_typeEbEEZZNS1_14partition_implILS5_0ELb0ES3_jN6thrust23THRUST_200600_302600_NS6detail15normal_iteratorINSA_10device_ptrIxEEEEPS6_SG_NS0_5tupleIJNSA_16discard_iteratorINSA_11use_defaultEEESK_EEENSH_IJSG_SG_EEES6_PlJ7is_evenIxEEEE10hipError_tPvRmT3_T4_T5_T6_T7_T9_mT8_P12ihipStream_tbDpT10_ENKUlT_T0_E_clISt17integral_constantIbLb0EES19_EEDaS14_S15_EUlS14_E_NS1_11comp_targetILNS1_3genE8ELNS1_11target_archE1030ELNS1_3gpuE2ELNS1_3repE0EEENS1_30default_config_static_selectorELNS0_4arch9wavefront6targetE1EEEvT1_
	.p2align	8
	.type	_ZN7rocprim17ROCPRIM_400000_NS6detail17trampoline_kernelINS0_14default_configENS1_25partition_config_selectorILNS1_17partition_subalgoE0ExNS0_10empty_typeEbEEZZNS1_14partition_implILS5_0ELb0ES3_jN6thrust23THRUST_200600_302600_NS6detail15normal_iteratorINSA_10device_ptrIxEEEEPS6_SG_NS0_5tupleIJNSA_16discard_iteratorINSA_11use_defaultEEESK_EEENSH_IJSG_SG_EEES6_PlJ7is_evenIxEEEE10hipError_tPvRmT3_T4_T5_T6_T7_T9_mT8_P12ihipStream_tbDpT10_ENKUlT_T0_E_clISt17integral_constantIbLb0EES19_EEDaS14_S15_EUlS14_E_NS1_11comp_targetILNS1_3genE8ELNS1_11target_archE1030ELNS1_3gpuE2ELNS1_3repE0EEENS1_30default_config_static_selectorELNS0_4arch9wavefront6targetE1EEEvT1_,@function
_ZN7rocprim17ROCPRIM_400000_NS6detail17trampoline_kernelINS0_14default_configENS1_25partition_config_selectorILNS1_17partition_subalgoE0ExNS0_10empty_typeEbEEZZNS1_14partition_implILS5_0ELb0ES3_jN6thrust23THRUST_200600_302600_NS6detail15normal_iteratorINSA_10device_ptrIxEEEEPS6_SG_NS0_5tupleIJNSA_16discard_iteratorINSA_11use_defaultEEESK_EEENSH_IJSG_SG_EEES6_PlJ7is_evenIxEEEE10hipError_tPvRmT3_T4_T5_T6_T7_T9_mT8_P12ihipStream_tbDpT10_ENKUlT_T0_E_clISt17integral_constantIbLb0EES19_EEDaS14_S15_EUlS14_E_NS1_11comp_targetILNS1_3genE8ELNS1_11target_archE1030ELNS1_3gpuE2ELNS1_3repE0EEENS1_30default_config_static_selectorELNS0_4arch9wavefront6targetE1EEEvT1_: ; @_ZN7rocprim17ROCPRIM_400000_NS6detail17trampoline_kernelINS0_14default_configENS1_25partition_config_selectorILNS1_17partition_subalgoE0ExNS0_10empty_typeEbEEZZNS1_14partition_implILS5_0ELb0ES3_jN6thrust23THRUST_200600_302600_NS6detail15normal_iteratorINSA_10device_ptrIxEEEEPS6_SG_NS0_5tupleIJNSA_16discard_iteratorINSA_11use_defaultEEESK_EEENSH_IJSG_SG_EEES6_PlJ7is_evenIxEEEE10hipError_tPvRmT3_T4_T5_T6_T7_T9_mT8_P12ihipStream_tbDpT10_ENKUlT_T0_E_clISt17integral_constantIbLb0EES19_EEDaS14_S15_EUlS14_E_NS1_11comp_targetILNS1_3genE8ELNS1_11target_archE1030ELNS1_3gpuE2ELNS1_3repE0EEENS1_30default_config_static_selectorELNS0_4arch9wavefront6targetE1EEEvT1_
; %bb.0:
	.section	.rodata,"a",@progbits
	.p2align	6, 0x0
	.amdhsa_kernel _ZN7rocprim17ROCPRIM_400000_NS6detail17trampoline_kernelINS0_14default_configENS1_25partition_config_selectorILNS1_17partition_subalgoE0ExNS0_10empty_typeEbEEZZNS1_14partition_implILS5_0ELb0ES3_jN6thrust23THRUST_200600_302600_NS6detail15normal_iteratorINSA_10device_ptrIxEEEEPS6_SG_NS0_5tupleIJNSA_16discard_iteratorINSA_11use_defaultEEESK_EEENSH_IJSG_SG_EEES6_PlJ7is_evenIxEEEE10hipError_tPvRmT3_T4_T5_T6_T7_T9_mT8_P12ihipStream_tbDpT10_ENKUlT_T0_E_clISt17integral_constantIbLb0EES19_EEDaS14_S15_EUlS14_E_NS1_11comp_targetILNS1_3genE8ELNS1_11target_archE1030ELNS1_3gpuE2ELNS1_3repE0EEENS1_30default_config_static_selectorELNS0_4arch9wavefront6targetE1EEEvT1_
		.amdhsa_group_segment_fixed_size 0
		.amdhsa_private_segment_fixed_size 0
		.amdhsa_kernarg_size 136
		.amdhsa_user_sgpr_count 6
		.amdhsa_user_sgpr_private_segment_buffer 1
		.amdhsa_user_sgpr_dispatch_ptr 0
		.amdhsa_user_sgpr_queue_ptr 0
		.amdhsa_user_sgpr_kernarg_segment_ptr 1
		.amdhsa_user_sgpr_dispatch_id 0
		.amdhsa_user_sgpr_flat_scratch_init 0
		.amdhsa_user_sgpr_kernarg_preload_length 0
		.amdhsa_user_sgpr_kernarg_preload_offset 0
		.amdhsa_user_sgpr_private_segment_size 0
		.amdhsa_uses_dynamic_stack 0
		.amdhsa_system_sgpr_private_segment_wavefront_offset 0
		.amdhsa_system_sgpr_workgroup_id_x 1
		.amdhsa_system_sgpr_workgroup_id_y 0
		.amdhsa_system_sgpr_workgroup_id_z 0
		.amdhsa_system_sgpr_workgroup_info 0
		.amdhsa_system_vgpr_workitem_id 0
		.amdhsa_next_free_vgpr 1
		.amdhsa_next_free_sgpr 0
		.amdhsa_accum_offset 4
		.amdhsa_reserve_vcc 0
		.amdhsa_reserve_flat_scratch 0
		.amdhsa_float_round_mode_32 0
		.amdhsa_float_round_mode_16_64 0
		.amdhsa_float_denorm_mode_32 3
		.amdhsa_float_denorm_mode_16_64 3
		.amdhsa_dx10_clamp 1
		.amdhsa_ieee_mode 1
		.amdhsa_fp16_overflow 0
		.amdhsa_tg_split 0
		.amdhsa_exception_fp_ieee_invalid_op 0
		.amdhsa_exception_fp_denorm_src 0
		.amdhsa_exception_fp_ieee_div_zero 0
		.amdhsa_exception_fp_ieee_overflow 0
		.amdhsa_exception_fp_ieee_underflow 0
		.amdhsa_exception_fp_ieee_inexact 0
		.amdhsa_exception_int_div_zero 0
	.end_amdhsa_kernel
	.section	.text._ZN7rocprim17ROCPRIM_400000_NS6detail17trampoline_kernelINS0_14default_configENS1_25partition_config_selectorILNS1_17partition_subalgoE0ExNS0_10empty_typeEbEEZZNS1_14partition_implILS5_0ELb0ES3_jN6thrust23THRUST_200600_302600_NS6detail15normal_iteratorINSA_10device_ptrIxEEEEPS6_SG_NS0_5tupleIJNSA_16discard_iteratorINSA_11use_defaultEEESK_EEENSH_IJSG_SG_EEES6_PlJ7is_evenIxEEEE10hipError_tPvRmT3_T4_T5_T6_T7_T9_mT8_P12ihipStream_tbDpT10_ENKUlT_T0_E_clISt17integral_constantIbLb0EES19_EEDaS14_S15_EUlS14_E_NS1_11comp_targetILNS1_3genE8ELNS1_11target_archE1030ELNS1_3gpuE2ELNS1_3repE0EEENS1_30default_config_static_selectorELNS0_4arch9wavefront6targetE1EEEvT1_,"axG",@progbits,_ZN7rocprim17ROCPRIM_400000_NS6detail17trampoline_kernelINS0_14default_configENS1_25partition_config_selectorILNS1_17partition_subalgoE0ExNS0_10empty_typeEbEEZZNS1_14partition_implILS5_0ELb0ES3_jN6thrust23THRUST_200600_302600_NS6detail15normal_iteratorINSA_10device_ptrIxEEEEPS6_SG_NS0_5tupleIJNSA_16discard_iteratorINSA_11use_defaultEEESK_EEENSH_IJSG_SG_EEES6_PlJ7is_evenIxEEEE10hipError_tPvRmT3_T4_T5_T6_T7_T9_mT8_P12ihipStream_tbDpT10_ENKUlT_T0_E_clISt17integral_constantIbLb0EES19_EEDaS14_S15_EUlS14_E_NS1_11comp_targetILNS1_3genE8ELNS1_11target_archE1030ELNS1_3gpuE2ELNS1_3repE0EEENS1_30default_config_static_selectorELNS0_4arch9wavefront6targetE1EEEvT1_,comdat
.Lfunc_end2594:
	.size	_ZN7rocprim17ROCPRIM_400000_NS6detail17trampoline_kernelINS0_14default_configENS1_25partition_config_selectorILNS1_17partition_subalgoE0ExNS0_10empty_typeEbEEZZNS1_14partition_implILS5_0ELb0ES3_jN6thrust23THRUST_200600_302600_NS6detail15normal_iteratorINSA_10device_ptrIxEEEEPS6_SG_NS0_5tupleIJNSA_16discard_iteratorINSA_11use_defaultEEESK_EEENSH_IJSG_SG_EEES6_PlJ7is_evenIxEEEE10hipError_tPvRmT3_T4_T5_T6_T7_T9_mT8_P12ihipStream_tbDpT10_ENKUlT_T0_E_clISt17integral_constantIbLb0EES19_EEDaS14_S15_EUlS14_E_NS1_11comp_targetILNS1_3genE8ELNS1_11target_archE1030ELNS1_3gpuE2ELNS1_3repE0EEENS1_30default_config_static_selectorELNS0_4arch9wavefront6targetE1EEEvT1_, .Lfunc_end2594-_ZN7rocprim17ROCPRIM_400000_NS6detail17trampoline_kernelINS0_14default_configENS1_25partition_config_selectorILNS1_17partition_subalgoE0ExNS0_10empty_typeEbEEZZNS1_14partition_implILS5_0ELb0ES3_jN6thrust23THRUST_200600_302600_NS6detail15normal_iteratorINSA_10device_ptrIxEEEEPS6_SG_NS0_5tupleIJNSA_16discard_iteratorINSA_11use_defaultEEESK_EEENSH_IJSG_SG_EEES6_PlJ7is_evenIxEEEE10hipError_tPvRmT3_T4_T5_T6_T7_T9_mT8_P12ihipStream_tbDpT10_ENKUlT_T0_E_clISt17integral_constantIbLb0EES19_EEDaS14_S15_EUlS14_E_NS1_11comp_targetILNS1_3genE8ELNS1_11target_archE1030ELNS1_3gpuE2ELNS1_3repE0EEENS1_30default_config_static_selectorELNS0_4arch9wavefront6targetE1EEEvT1_
                                        ; -- End function
	.section	.AMDGPU.csdata,"",@progbits
; Kernel info:
; codeLenInByte = 0
; NumSgprs: 4
; NumVgprs: 0
; NumAgprs: 0
; TotalNumVgprs: 0
; ScratchSize: 0
; MemoryBound: 0
; FloatMode: 240
; IeeeMode: 1
; LDSByteSize: 0 bytes/workgroup (compile time only)
; SGPRBlocks: 0
; VGPRBlocks: 0
; NumSGPRsForWavesPerEU: 4
; NumVGPRsForWavesPerEU: 1
; AccumOffset: 4
; Occupancy: 8
; WaveLimiterHint : 0
; COMPUTE_PGM_RSRC2:SCRATCH_EN: 0
; COMPUTE_PGM_RSRC2:USER_SGPR: 6
; COMPUTE_PGM_RSRC2:TRAP_HANDLER: 0
; COMPUTE_PGM_RSRC2:TGID_X_EN: 1
; COMPUTE_PGM_RSRC2:TGID_Y_EN: 0
; COMPUTE_PGM_RSRC2:TGID_Z_EN: 0
; COMPUTE_PGM_RSRC2:TIDIG_COMP_CNT: 0
; COMPUTE_PGM_RSRC3_GFX90A:ACCUM_OFFSET: 0
; COMPUTE_PGM_RSRC3_GFX90A:TG_SPLIT: 0
	.section	.text._ZN7rocprim17ROCPRIM_400000_NS6detail17trampoline_kernelINS0_14default_configENS1_25partition_config_selectorILNS1_17partition_subalgoE0ExNS0_10empty_typeEbEEZZNS1_14partition_implILS5_0ELb0ES3_jN6thrust23THRUST_200600_302600_NS6detail15normal_iteratorINSA_10device_ptrIxEEEEPS6_SG_NS0_5tupleIJNSA_16discard_iteratorINSA_11use_defaultEEESK_EEENSH_IJSG_SG_EEES6_PlJ7is_evenIxEEEE10hipError_tPvRmT3_T4_T5_T6_T7_T9_mT8_P12ihipStream_tbDpT10_ENKUlT_T0_E_clISt17integral_constantIbLb1EES19_EEDaS14_S15_EUlS14_E_NS1_11comp_targetILNS1_3genE0ELNS1_11target_archE4294967295ELNS1_3gpuE0ELNS1_3repE0EEENS1_30default_config_static_selectorELNS0_4arch9wavefront6targetE1EEEvT1_,"axG",@progbits,_ZN7rocprim17ROCPRIM_400000_NS6detail17trampoline_kernelINS0_14default_configENS1_25partition_config_selectorILNS1_17partition_subalgoE0ExNS0_10empty_typeEbEEZZNS1_14partition_implILS5_0ELb0ES3_jN6thrust23THRUST_200600_302600_NS6detail15normal_iteratorINSA_10device_ptrIxEEEEPS6_SG_NS0_5tupleIJNSA_16discard_iteratorINSA_11use_defaultEEESK_EEENSH_IJSG_SG_EEES6_PlJ7is_evenIxEEEE10hipError_tPvRmT3_T4_T5_T6_T7_T9_mT8_P12ihipStream_tbDpT10_ENKUlT_T0_E_clISt17integral_constantIbLb1EES19_EEDaS14_S15_EUlS14_E_NS1_11comp_targetILNS1_3genE0ELNS1_11target_archE4294967295ELNS1_3gpuE0ELNS1_3repE0EEENS1_30default_config_static_selectorELNS0_4arch9wavefront6targetE1EEEvT1_,comdat
	.protected	_ZN7rocprim17ROCPRIM_400000_NS6detail17trampoline_kernelINS0_14default_configENS1_25partition_config_selectorILNS1_17partition_subalgoE0ExNS0_10empty_typeEbEEZZNS1_14partition_implILS5_0ELb0ES3_jN6thrust23THRUST_200600_302600_NS6detail15normal_iteratorINSA_10device_ptrIxEEEEPS6_SG_NS0_5tupleIJNSA_16discard_iteratorINSA_11use_defaultEEESK_EEENSH_IJSG_SG_EEES6_PlJ7is_evenIxEEEE10hipError_tPvRmT3_T4_T5_T6_T7_T9_mT8_P12ihipStream_tbDpT10_ENKUlT_T0_E_clISt17integral_constantIbLb1EES19_EEDaS14_S15_EUlS14_E_NS1_11comp_targetILNS1_3genE0ELNS1_11target_archE4294967295ELNS1_3gpuE0ELNS1_3repE0EEENS1_30default_config_static_selectorELNS0_4arch9wavefront6targetE1EEEvT1_ ; -- Begin function _ZN7rocprim17ROCPRIM_400000_NS6detail17trampoline_kernelINS0_14default_configENS1_25partition_config_selectorILNS1_17partition_subalgoE0ExNS0_10empty_typeEbEEZZNS1_14partition_implILS5_0ELb0ES3_jN6thrust23THRUST_200600_302600_NS6detail15normal_iteratorINSA_10device_ptrIxEEEEPS6_SG_NS0_5tupleIJNSA_16discard_iteratorINSA_11use_defaultEEESK_EEENSH_IJSG_SG_EEES6_PlJ7is_evenIxEEEE10hipError_tPvRmT3_T4_T5_T6_T7_T9_mT8_P12ihipStream_tbDpT10_ENKUlT_T0_E_clISt17integral_constantIbLb1EES19_EEDaS14_S15_EUlS14_E_NS1_11comp_targetILNS1_3genE0ELNS1_11target_archE4294967295ELNS1_3gpuE0ELNS1_3repE0EEENS1_30default_config_static_selectorELNS0_4arch9wavefront6targetE1EEEvT1_
	.globl	_ZN7rocprim17ROCPRIM_400000_NS6detail17trampoline_kernelINS0_14default_configENS1_25partition_config_selectorILNS1_17partition_subalgoE0ExNS0_10empty_typeEbEEZZNS1_14partition_implILS5_0ELb0ES3_jN6thrust23THRUST_200600_302600_NS6detail15normal_iteratorINSA_10device_ptrIxEEEEPS6_SG_NS0_5tupleIJNSA_16discard_iteratorINSA_11use_defaultEEESK_EEENSH_IJSG_SG_EEES6_PlJ7is_evenIxEEEE10hipError_tPvRmT3_T4_T5_T6_T7_T9_mT8_P12ihipStream_tbDpT10_ENKUlT_T0_E_clISt17integral_constantIbLb1EES19_EEDaS14_S15_EUlS14_E_NS1_11comp_targetILNS1_3genE0ELNS1_11target_archE4294967295ELNS1_3gpuE0ELNS1_3repE0EEENS1_30default_config_static_selectorELNS0_4arch9wavefront6targetE1EEEvT1_
	.p2align	8
	.type	_ZN7rocprim17ROCPRIM_400000_NS6detail17trampoline_kernelINS0_14default_configENS1_25partition_config_selectorILNS1_17partition_subalgoE0ExNS0_10empty_typeEbEEZZNS1_14partition_implILS5_0ELb0ES3_jN6thrust23THRUST_200600_302600_NS6detail15normal_iteratorINSA_10device_ptrIxEEEEPS6_SG_NS0_5tupleIJNSA_16discard_iteratorINSA_11use_defaultEEESK_EEENSH_IJSG_SG_EEES6_PlJ7is_evenIxEEEE10hipError_tPvRmT3_T4_T5_T6_T7_T9_mT8_P12ihipStream_tbDpT10_ENKUlT_T0_E_clISt17integral_constantIbLb1EES19_EEDaS14_S15_EUlS14_E_NS1_11comp_targetILNS1_3genE0ELNS1_11target_archE4294967295ELNS1_3gpuE0ELNS1_3repE0EEENS1_30default_config_static_selectorELNS0_4arch9wavefront6targetE1EEEvT1_,@function
_ZN7rocprim17ROCPRIM_400000_NS6detail17trampoline_kernelINS0_14default_configENS1_25partition_config_selectorILNS1_17partition_subalgoE0ExNS0_10empty_typeEbEEZZNS1_14partition_implILS5_0ELb0ES3_jN6thrust23THRUST_200600_302600_NS6detail15normal_iteratorINSA_10device_ptrIxEEEEPS6_SG_NS0_5tupleIJNSA_16discard_iteratorINSA_11use_defaultEEESK_EEENSH_IJSG_SG_EEES6_PlJ7is_evenIxEEEE10hipError_tPvRmT3_T4_T5_T6_T7_T9_mT8_P12ihipStream_tbDpT10_ENKUlT_T0_E_clISt17integral_constantIbLb1EES19_EEDaS14_S15_EUlS14_E_NS1_11comp_targetILNS1_3genE0ELNS1_11target_archE4294967295ELNS1_3gpuE0ELNS1_3repE0EEENS1_30default_config_static_selectorELNS0_4arch9wavefront6targetE1EEEvT1_: ; @_ZN7rocprim17ROCPRIM_400000_NS6detail17trampoline_kernelINS0_14default_configENS1_25partition_config_selectorILNS1_17partition_subalgoE0ExNS0_10empty_typeEbEEZZNS1_14partition_implILS5_0ELb0ES3_jN6thrust23THRUST_200600_302600_NS6detail15normal_iteratorINSA_10device_ptrIxEEEEPS6_SG_NS0_5tupleIJNSA_16discard_iteratorINSA_11use_defaultEEESK_EEENSH_IJSG_SG_EEES6_PlJ7is_evenIxEEEE10hipError_tPvRmT3_T4_T5_T6_T7_T9_mT8_P12ihipStream_tbDpT10_ENKUlT_T0_E_clISt17integral_constantIbLb1EES19_EEDaS14_S15_EUlS14_E_NS1_11comp_targetILNS1_3genE0ELNS1_11target_archE4294967295ELNS1_3gpuE0ELNS1_3repE0EEENS1_30default_config_static_selectorELNS0_4arch9wavefront6targetE1EEEvT1_
; %bb.0:
	.section	.rodata,"a",@progbits
	.p2align	6, 0x0
	.amdhsa_kernel _ZN7rocprim17ROCPRIM_400000_NS6detail17trampoline_kernelINS0_14default_configENS1_25partition_config_selectorILNS1_17partition_subalgoE0ExNS0_10empty_typeEbEEZZNS1_14partition_implILS5_0ELb0ES3_jN6thrust23THRUST_200600_302600_NS6detail15normal_iteratorINSA_10device_ptrIxEEEEPS6_SG_NS0_5tupleIJNSA_16discard_iteratorINSA_11use_defaultEEESK_EEENSH_IJSG_SG_EEES6_PlJ7is_evenIxEEEE10hipError_tPvRmT3_T4_T5_T6_T7_T9_mT8_P12ihipStream_tbDpT10_ENKUlT_T0_E_clISt17integral_constantIbLb1EES19_EEDaS14_S15_EUlS14_E_NS1_11comp_targetILNS1_3genE0ELNS1_11target_archE4294967295ELNS1_3gpuE0ELNS1_3repE0EEENS1_30default_config_static_selectorELNS0_4arch9wavefront6targetE1EEEvT1_
		.amdhsa_group_segment_fixed_size 0
		.amdhsa_private_segment_fixed_size 0
		.amdhsa_kernarg_size 152
		.amdhsa_user_sgpr_count 6
		.amdhsa_user_sgpr_private_segment_buffer 1
		.amdhsa_user_sgpr_dispatch_ptr 0
		.amdhsa_user_sgpr_queue_ptr 0
		.amdhsa_user_sgpr_kernarg_segment_ptr 1
		.amdhsa_user_sgpr_dispatch_id 0
		.amdhsa_user_sgpr_flat_scratch_init 0
		.amdhsa_user_sgpr_kernarg_preload_length 0
		.amdhsa_user_sgpr_kernarg_preload_offset 0
		.amdhsa_user_sgpr_private_segment_size 0
		.amdhsa_uses_dynamic_stack 0
		.amdhsa_system_sgpr_private_segment_wavefront_offset 0
		.amdhsa_system_sgpr_workgroup_id_x 1
		.amdhsa_system_sgpr_workgroup_id_y 0
		.amdhsa_system_sgpr_workgroup_id_z 0
		.amdhsa_system_sgpr_workgroup_info 0
		.amdhsa_system_vgpr_workitem_id 0
		.amdhsa_next_free_vgpr 1
		.amdhsa_next_free_sgpr 0
		.amdhsa_accum_offset 4
		.amdhsa_reserve_vcc 0
		.amdhsa_reserve_flat_scratch 0
		.amdhsa_float_round_mode_32 0
		.amdhsa_float_round_mode_16_64 0
		.amdhsa_float_denorm_mode_32 3
		.amdhsa_float_denorm_mode_16_64 3
		.amdhsa_dx10_clamp 1
		.amdhsa_ieee_mode 1
		.amdhsa_fp16_overflow 0
		.amdhsa_tg_split 0
		.amdhsa_exception_fp_ieee_invalid_op 0
		.amdhsa_exception_fp_denorm_src 0
		.amdhsa_exception_fp_ieee_div_zero 0
		.amdhsa_exception_fp_ieee_overflow 0
		.amdhsa_exception_fp_ieee_underflow 0
		.amdhsa_exception_fp_ieee_inexact 0
		.amdhsa_exception_int_div_zero 0
	.end_amdhsa_kernel
	.section	.text._ZN7rocprim17ROCPRIM_400000_NS6detail17trampoline_kernelINS0_14default_configENS1_25partition_config_selectorILNS1_17partition_subalgoE0ExNS0_10empty_typeEbEEZZNS1_14partition_implILS5_0ELb0ES3_jN6thrust23THRUST_200600_302600_NS6detail15normal_iteratorINSA_10device_ptrIxEEEEPS6_SG_NS0_5tupleIJNSA_16discard_iteratorINSA_11use_defaultEEESK_EEENSH_IJSG_SG_EEES6_PlJ7is_evenIxEEEE10hipError_tPvRmT3_T4_T5_T6_T7_T9_mT8_P12ihipStream_tbDpT10_ENKUlT_T0_E_clISt17integral_constantIbLb1EES19_EEDaS14_S15_EUlS14_E_NS1_11comp_targetILNS1_3genE0ELNS1_11target_archE4294967295ELNS1_3gpuE0ELNS1_3repE0EEENS1_30default_config_static_selectorELNS0_4arch9wavefront6targetE1EEEvT1_,"axG",@progbits,_ZN7rocprim17ROCPRIM_400000_NS6detail17trampoline_kernelINS0_14default_configENS1_25partition_config_selectorILNS1_17partition_subalgoE0ExNS0_10empty_typeEbEEZZNS1_14partition_implILS5_0ELb0ES3_jN6thrust23THRUST_200600_302600_NS6detail15normal_iteratorINSA_10device_ptrIxEEEEPS6_SG_NS0_5tupleIJNSA_16discard_iteratorINSA_11use_defaultEEESK_EEENSH_IJSG_SG_EEES6_PlJ7is_evenIxEEEE10hipError_tPvRmT3_T4_T5_T6_T7_T9_mT8_P12ihipStream_tbDpT10_ENKUlT_T0_E_clISt17integral_constantIbLb1EES19_EEDaS14_S15_EUlS14_E_NS1_11comp_targetILNS1_3genE0ELNS1_11target_archE4294967295ELNS1_3gpuE0ELNS1_3repE0EEENS1_30default_config_static_selectorELNS0_4arch9wavefront6targetE1EEEvT1_,comdat
.Lfunc_end2595:
	.size	_ZN7rocprim17ROCPRIM_400000_NS6detail17trampoline_kernelINS0_14default_configENS1_25partition_config_selectorILNS1_17partition_subalgoE0ExNS0_10empty_typeEbEEZZNS1_14partition_implILS5_0ELb0ES3_jN6thrust23THRUST_200600_302600_NS6detail15normal_iteratorINSA_10device_ptrIxEEEEPS6_SG_NS0_5tupleIJNSA_16discard_iteratorINSA_11use_defaultEEESK_EEENSH_IJSG_SG_EEES6_PlJ7is_evenIxEEEE10hipError_tPvRmT3_T4_T5_T6_T7_T9_mT8_P12ihipStream_tbDpT10_ENKUlT_T0_E_clISt17integral_constantIbLb1EES19_EEDaS14_S15_EUlS14_E_NS1_11comp_targetILNS1_3genE0ELNS1_11target_archE4294967295ELNS1_3gpuE0ELNS1_3repE0EEENS1_30default_config_static_selectorELNS0_4arch9wavefront6targetE1EEEvT1_, .Lfunc_end2595-_ZN7rocprim17ROCPRIM_400000_NS6detail17trampoline_kernelINS0_14default_configENS1_25partition_config_selectorILNS1_17partition_subalgoE0ExNS0_10empty_typeEbEEZZNS1_14partition_implILS5_0ELb0ES3_jN6thrust23THRUST_200600_302600_NS6detail15normal_iteratorINSA_10device_ptrIxEEEEPS6_SG_NS0_5tupleIJNSA_16discard_iteratorINSA_11use_defaultEEESK_EEENSH_IJSG_SG_EEES6_PlJ7is_evenIxEEEE10hipError_tPvRmT3_T4_T5_T6_T7_T9_mT8_P12ihipStream_tbDpT10_ENKUlT_T0_E_clISt17integral_constantIbLb1EES19_EEDaS14_S15_EUlS14_E_NS1_11comp_targetILNS1_3genE0ELNS1_11target_archE4294967295ELNS1_3gpuE0ELNS1_3repE0EEENS1_30default_config_static_selectorELNS0_4arch9wavefront6targetE1EEEvT1_
                                        ; -- End function
	.section	.AMDGPU.csdata,"",@progbits
; Kernel info:
; codeLenInByte = 0
; NumSgprs: 4
; NumVgprs: 0
; NumAgprs: 0
; TotalNumVgprs: 0
; ScratchSize: 0
; MemoryBound: 0
; FloatMode: 240
; IeeeMode: 1
; LDSByteSize: 0 bytes/workgroup (compile time only)
; SGPRBlocks: 0
; VGPRBlocks: 0
; NumSGPRsForWavesPerEU: 4
; NumVGPRsForWavesPerEU: 1
; AccumOffset: 4
; Occupancy: 8
; WaveLimiterHint : 0
; COMPUTE_PGM_RSRC2:SCRATCH_EN: 0
; COMPUTE_PGM_RSRC2:USER_SGPR: 6
; COMPUTE_PGM_RSRC2:TRAP_HANDLER: 0
; COMPUTE_PGM_RSRC2:TGID_X_EN: 1
; COMPUTE_PGM_RSRC2:TGID_Y_EN: 0
; COMPUTE_PGM_RSRC2:TGID_Z_EN: 0
; COMPUTE_PGM_RSRC2:TIDIG_COMP_CNT: 0
; COMPUTE_PGM_RSRC3_GFX90A:ACCUM_OFFSET: 0
; COMPUTE_PGM_RSRC3_GFX90A:TG_SPLIT: 0
	.section	.text._ZN7rocprim17ROCPRIM_400000_NS6detail17trampoline_kernelINS0_14default_configENS1_25partition_config_selectorILNS1_17partition_subalgoE0ExNS0_10empty_typeEbEEZZNS1_14partition_implILS5_0ELb0ES3_jN6thrust23THRUST_200600_302600_NS6detail15normal_iteratorINSA_10device_ptrIxEEEEPS6_SG_NS0_5tupleIJNSA_16discard_iteratorINSA_11use_defaultEEESK_EEENSH_IJSG_SG_EEES6_PlJ7is_evenIxEEEE10hipError_tPvRmT3_T4_T5_T6_T7_T9_mT8_P12ihipStream_tbDpT10_ENKUlT_T0_E_clISt17integral_constantIbLb1EES19_EEDaS14_S15_EUlS14_E_NS1_11comp_targetILNS1_3genE5ELNS1_11target_archE942ELNS1_3gpuE9ELNS1_3repE0EEENS1_30default_config_static_selectorELNS0_4arch9wavefront6targetE1EEEvT1_,"axG",@progbits,_ZN7rocprim17ROCPRIM_400000_NS6detail17trampoline_kernelINS0_14default_configENS1_25partition_config_selectorILNS1_17partition_subalgoE0ExNS0_10empty_typeEbEEZZNS1_14partition_implILS5_0ELb0ES3_jN6thrust23THRUST_200600_302600_NS6detail15normal_iteratorINSA_10device_ptrIxEEEEPS6_SG_NS0_5tupleIJNSA_16discard_iteratorINSA_11use_defaultEEESK_EEENSH_IJSG_SG_EEES6_PlJ7is_evenIxEEEE10hipError_tPvRmT3_T4_T5_T6_T7_T9_mT8_P12ihipStream_tbDpT10_ENKUlT_T0_E_clISt17integral_constantIbLb1EES19_EEDaS14_S15_EUlS14_E_NS1_11comp_targetILNS1_3genE5ELNS1_11target_archE942ELNS1_3gpuE9ELNS1_3repE0EEENS1_30default_config_static_selectorELNS0_4arch9wavefront6targetE1EEEvT1_,comdat
	.protected	_ZN7rocprim17ROCPRIM_400000_NS6detail17trampoline_kernelINS0_14default_configENS1_25partition_config_selectorILNS1_17partition_subalgoE0ExNS0_10empty_typeEbEEZZNS1_14partition_implILS5_0ELb0ES3_jN6thrust23THRUST_200600_302600_NS6detail15normal_iteratorINSA_10device_ptrIxEEEEPS6_SG_NS0_5tupleIJNSA_16discard_iteratorINSA_11use_defaultEEESK_EEENSH_IJSG_SG_EEES6_PlJ7is_evenIxEEEE10hipError_tPvRmT3_T4_T5_T6_T7_T9_mT8_P12ihipStream_tbDpT10_ENKUlT_T0_E_clISt17integral_constantIbLb1EES19_EEDaS14_S15_EUlS14_E_NS1_11comp_targetILNS1_3genE5ELNS1_11target_archE942ELNS1_3gpuE9ELNS1_3repE0EEENS1_30default_config_static_selectorELNS0_4arch9wavefront6targetE1EEEvT1_ ; -- Begin function _ZN7rocprim17ROCPRIM_400000_NS6detail17trampoline_kernelINS0_14default_configENS1_25partition_config_selectorILNS1_17partition_subalgoE0ExNS0_10empty_typeEbEEZZNS1_14partition_implILS5_0ELb0ES3_jN6thrust23THRUST_200600_302600_NS6detail15normal_iteratorINSA_10device_ptrIxEEEEPS6_SG_NS0_5tupleIJNSA_16discard_iteratorINSA_11use_defaultEEESK_EEENSH_IJSG_SG_EEES6_PlJ7is_evenIxEEEE10hipError_tPvRmT3_T4_T5_T6_T7_T9_mT8_P12ihipStream_tbDpT10_ENKUlT_T0_E_clISt17integral_constantIbLb1EES19_EEDaS14_S15_EUlS14_E_NS1_11comp_targetILNS1_3genE5ELNS1_11target_archE942ELNS1_3gpuE9ELNS1_3repE0EEENS1_30default_config_static_selectorELNS0_4arch9wavefront6targetE1EEEvT1_
	.globl	_ZN7rocprim17ROCPRIM_400000_NS6detail17trampoline_kernelINS0_14default_configENS1_25partition_config_selectorILNS1_17partition_subalgoE0ExNS0_10empty_typeEbEEZZNS1_14partition_implILS5_0ELb0ES3_jN6thrust23THRUST_200600_302600_NS6detail15normal_iteratorINSA_10device_ptrIxEEEEPS6_SG_NS0_5tupleIJNSA_16discard_iteratorINSA_11use_defaultEEESK_EEENSH_IJSG_SG_EEES6_PlJ7is_evenIxEEEE10hipError_tPvRmT3_T4_T5_T6_T7_T9_mT8_P12ihipStream_tbDpT10_ENKUlT_T0_E_clISt17integral_constantIbLb1EES19_EEDaS14_S15_EUlS14_E_NS1_11comp_targetILNS1_3genE5ELNS1_11target_archE942ELNS1_3gpuE9ELNS1_3repE0EEENS1_30default_config_static_selectorELNS0_4arch9wavefront6targetE1EEEvT1_
	.p2align	8
	.type	_ZN7rocprim17ROCPRIM_400000_NS6detail17trampoline_kernelINS0_14default_configENS1_25partition_config_selectorILNS1_17partition_subalgoE0ExNS0_10empty_typeEbEEZZNS1_14partition_implILS5_0ELb0ES3_jN6thrust23THRUST_200600_302600_NS6detail15normal_iteratorINSA_10device_ptrIxEEEEPS6_SG_NS0_5tupleIJNSA_16discard_iteratorINSA_11use_defaultEEESK_EEENSH_IJSG_SG_EEES6_PlJ7is_evenIxEEEE10hipError_tPvRmT3_T4_T5_T6_T7_T9_mT8_P12ihipStream_tbDpT10_ENKUlT_T0_E_clISt17integral_constantIbLb1EES19_EEDaS14_S15_EUlS14_E_NS1_11comp_targetILNS1_3genE5ELNS1_11target_archE942ELNS1_3gpuE9ELNS1_3repE0EEENS1_30default_config_static_selectorELNS0_4arch9wavefront6targetE1EEEvT1_,@function
_ZN7rocprim17ROCPRIM_400000_NS6detail17trampoline_kernelINS0_14default_configENS1_25partition_config_selectorILNS1_17partition_subalgoE0ExNS0_10empty_typeEbEEZZNS1_14partition_implILS5_0ELb0ES3_jN6thrust23THRUST_200600_302600_NS6detail15normal_iteratorINSA_10device_ptrIxEEEEPS6_SG_NS0_5tupleIJNSA_16discard_iteratorINSA_11use_defaultEEESK_EEENSH_IJSG_SG_EEES6_PlJ7is_evenIxEEEE10hipError_tPvRmT3_T4_T5_T6_T7_T9_mT8_P12ihipStream_tbDpT10_ENKUlT_T0_E_clISt17integral_constantIbLb1EES19_EEDaS14_S15_EUlS14_E_NS1_11comp_targetILNS1_3genE5ELNS1_11target_archE942ELNS1_3gpuE9ELNS1_3repE0EEENS1_30default_config_static_selectorELNS0_4arch9wavefront6targetE1EEEvT1_: ; @_ZN7rocprim17ROCPRIM_400000_NS6detail17trampoline_kernelINS0_14default_configENS1_25partition_config_selectorILNS1_17partition_subalgoE0ExNS0_10empty_typeEbEEZZNS1_14partition_implILS5_0ELb0ES3_jN6thrust23THRUST_200600_302600_NS6detail15normal_iteratorINSA_10device_ptrIxEEEEPS6_SG_NS0_5tupleIJNSA_16discard_iteratorINSA_11use_defaultEEESK_EEENSH_IJSG_SG_EEES6_PlJ7is_evenIxEEEE10hipError_tPvRmT3_T4_T5_T6_T7_T9_mT8_P12ihipStream_tbDpT10_ENKUlT_T0_E_clISt17integral_constantIbLb1EES19_EEDaS14_S15_EUlS14_E_NS1_11comp_targetILNS1_3genE5ELNS1_11target_archE942ELNS1_3gpuE9ELNS1_3repE0EEENS1_30default_config_static_selectorELNS0_4arch9wavefront6targetE1EEEvT1_
; %bb.0:
	.section	.rodata,"a",@progbits
	.p2align	6, 0x0
	.amdhsa_kernel _ZN7rocprim17ROCPRIM_400000_NS6detail17trampoline_kernelINS0_14default_configENS1_25partition_config_selectorILNS1_17partition_subalgoE0ExNS0_10empty_typeEbEEZZNS1_14partition_implILS5_0ELb0ES3_jN6thrust23THRUST_200600_302600_NS6detail15normal_iteratorINSA_10device_ptrIxEEEEPS6_SG_NS0_5tupleIJNSA_16discard_iteratorINSA_11use_defaultEEESK_EEENSH_IJSG_SG_EEES6_PlJ7is_evenIxEEEE10hipError_tPvRmT3_T4_T5_T6_T7_T9_mT8_P12ihipStream_tbDpT10_ENKUlT_T0_E_clISt17integral_constantIbLb1EES19_EEDaS14_S15_EUlS14_E_NS1_11comp_targetILNS1_3genE5ELNS1_11target_archE942ELNS1_3gpuE9ELNS1_3repE0EEENS1_30default_config_static_selectorELNS0_4arch9wavefront6targetE1EEEvT1_
		.amdhsa_group_segment_fixed_size 0
		.amdhsa_private_segment_fixed_size 0
		.amdhsa_kernarg_size 152
		.amdhsa_user_sgpr_count 6
		.amdhsa_user_sgpr_private_segment_buffer 1
		.amdhsa_user_sgpr_dispatch_ptr 0
		.amdhsa_user_sgpr_queue_ptr 0
		.amdhsa_user_sgpr_kernarg_segment_ptr 1
		.amdhsa_user_sgpr_dispatch_id 0
		.amdhsa_user_sgpr_flat_scratch_init 0
		.amdhsa_user_sgpr_kernarg_preload_length 0
		.amdhsa_user_sgpr_kernarg_preload_offset 0
		.amdhsa_user_sgpr_private_segment_size 0
		.amdhsa_uses_dynamic_stack 0
		.amdhsa_system_sgpr_private_segment_wavefront_offset 0
		.amdhsa_system_sgpr_workgroup_id_x 1
		.amdhsa_system_sgpr_workgroup_id_y 0
		.amdhsa_system_sgpr_workgroup_id_z 0
		.amdhsa_system_sgpr_workgroup_info 0
		.amdhsa_system_vgpr_workitem_id 0
		.amdhsa_next_free_vgpr 1
		.amdhsa_next_free_sgpr 0
		.amdhsa_accum_offset 4
		.amdhsa_reserve_vcc 0
		.amdhsa_reserve_flat_scratch 0
		.amdhsa_float_round_mode_32 0
		.amdhsa_float_round_mode_16_64 0
		.amdhsa_float_denorm_mode_32 3
		.amdhsa_float_denorm_mode_16_64 3
		.amdhsa_dx10_clamp 1
		.amdhsa_ieee_mode 1
		.amdhsa_fp16_overflow 0
		.amdhsa_tg_split 0
		.amdhsa_exception_fp_ieee_invalid_op 0
		.amdhsa_exception_fp_denorm_src 0
		.amdhsa_exception_fp_ieee_div_zero 0
		.amdhsa_exception_fp_ieee_overflow 0
		.amdhsa_exception_fp_ieee_underflow 0
		.amdhsa_exception_fp_ieee_inexact 0
		.amdhsa_exception_int_div_zero 0
	.end_amdhsa_kernel
	.section	.text._ZN7rocprim17ROCPRIM_400000_NS6detail17trampoline_kernelINS0_14default_configENS1_25partition_config_selectorILNS1_17partition_subalgoE0ExNS0_10empty_typeEbEEZZNS1_14partition_implILS5_0ELb0ES3_jN6thrust23THRUST_200600_302600_NS6detail15normal_iteratorINSA_10device_ptrIxEEEEPS6_SG_NS0_5tupleIJNSA_16discard_iteratorINSA_11use_defaultEEESK_EEENSH_IJSG_SG_EEES6_PlJ7is_evenIxEEEE10hipError_tPvRmT3_T4_T5_T6_T7_T9_mT8_P12ihipStream_tbDpT10_ENKUlT_T0_E_clISt17integral_constantIbLb1EES19_EEDaS14_S15_EUlS14_E_NS1_11comp_targetILNS1_3genE5ELNS1_11target_archE942ELNS1_3gpuE9ELNS1_3repE0EEENS1_30default_config_static_selectorELNS0_4arch9wavefront6targetE1EEEvT1_,"axG",@progbits,_ZN7rocprim17ROCPRIM_400000_NS6detail17trampoline_kernelINS0_14default_configENS1_25partition_config_selectorILNS1_17partition_subalgoE0ExNS0_10empty_typeEbEEZZNS1_14partition_implILS5_0ELb0ES3_jN6thrust23THRUST_200600_302600_NS6detail15normal_iteratorINSA_10device_ptrIxEEEEPS6_SG_NS0_5tupleIJNSA_16discard_iteratorINSA_11use_defaultEEESK_EEENSH_IJSG_SG_EEES6_PlJ7is_evenIxEEEE10hipError_tPvRmT3_T4_T5_T6_T7_T9_mT8_P12ihipStream_tbDpT10_ENKUlT_T0_E_clISt17integral_constantIbLb1EES19_EEDaS14_S15_EUlS14_E_NS1_11comp_targetILNS1_3genE5ELNS1_11target_archE942ELNS1_3gpuE9ELNS1_3repE0EEENS1_30default_config_static_selectorELNS0_4arch9wavefront6targetE1EEEvT1_,comdat
.Lfunc_end2596:
	.size	_ZN7rocprim17ROCPRIM_400000_NS6detail17trampoline_kernelINS0_14default_configENS1_25partition_config_selectorILNS1_17partition_subalgoE0ExNS0_10empty_typeEbEEZZNS1_14partition_implILS5_0ELb0ES3_jN6thrust23THRUST_200600_302600_NS6detail15normal_iteratorINSA_10device_ptrIxEEEEPS6_SG_NS0_5tupleIJNSA_16discard_iteratorINSA_11use_defaultEEESK_EEENSH_IJSG_SG_EEES6_PlJ7is_evenIxEEEE10hipError_tPvRmT3_T4_T5_T6_T7_T9_mT8_P12ihipStream_tbDpT10_ENKUlT_T0_E_clISt17integral_constantIbLb1EES19_EEDaS14_S15_EUlS14_E_NS1_11comp_targetILNS1_3genE5ELNS1_11target_archE942ELNS1_3gpuE9ELNS1_3repE0EEENS1_30default_config_static_selectorELNS0_4arch9wavefront6targetE1EEEvT1_, .Lfunc_end2596-_ZN7rocprim17ROCPRIM_400000_NS6detail17trampoline_kernelINS0_14default_configENS1_25partition_config_selectorILNS1_17partition_subalgoE0ExNS0_10empty_typeEbEEZZNS1_14partition_implILS5_0ELb0ES3_jN6thrust23THRUST_200600_302600_NS6detail15normal_iteratorINSA_10device_ptrIxEEEEPS6_SG_NS0_5tupleIJNSA_16discard_iteratorINSA_11use_defaultEEESK_EEENSH_IJSG_SG_EEES6_PlJ7is_evenIxEEEE10hipError_tPvRmT3_T4_T5_T6_T7_T9_mT8_P12ihipStream_tbDpT10_ENKUlT_T0_E_clISt17integral_constantIbLb1EES19_EEDaS14_S15_EUlS14_E_NS1_11comp_targetILNS1_3genE5ELNS1_11target_archE942ELNS1_3gpuE9ELNS1_3repE0EEENS1_30default_config_static_selectorELNS0_4arch9wavefront6targetE1EEEvT1_
                                        ; -- End function
	.section	.AMDGPU.csdata,"",@progbits
; Kernel info:
; codeLenInByte = 0
; NumSgprs: 4
; NumVgprs: 0
; NumAgprs: 0
; TotalNumVgprs: 0
; ScratchSize: 0
; MemoryBound: 0
; FloatMode: 240
; IeeeMode: 1
; LDSByteSize: 0 bytes/workgroup (compile time only)
; SGPRBlocks: 0
; VGPRBlocks: 0
; NumSGPRsForWavesPerEU: 4
; NumVGPRsForWavesPerEU: 1
; AccumOffset: 4
; Occupancy: 8
; WaveLimiterHint : 0
; COMPUTE_PGM_RSRC2:SCRATCH_EN: 0
; COMPUTE_PGM_RSRC2:USER_SGPR: 6
; COMPUTE_PGM_RSRC2:TRAP_HANDLER: 0
; COMPUTE_PGM_RSRC2:TGID_X_EN: 1
; COMPUTE_PGM_RSRC2:TGID_Y_EN: 0
; COMPUTE_PGM_RSRC2:TGID_Z_EN: 0
; COMPUTE_PGM_RSRC2:TIDIG_COMP_CNT: 0
; COMPUTE_PGM_RSRC3_GFX90A:ACCUM_OFFSET: 0
; COMPUTE_PGM_RSRC3_GFX90A:TG_SPLIT: 0
	.section	.text._ZN7rocprim17ROCPRIM_400000_NS6detail17trampoline_kernelINS0_14default_configENS1_25partition_config_selectorILNS1_17partition_subalgoE0ExNS0_10empty_typeEbEEZZNS1_14partition_implILS5_0ELb0ES3_jN6thrust23THRUST_200600_302600_NS6detail15normal_iteratorINSA_10device_ptrIxEEEEPS6_SG_NS0_5tupleIJNSA_16discard_iteratorINSA_11use_defaultEEESK_EEENSH_IJSG_SG_EEES6_PlJ7is_evenIxEEEE10hipError_tPvRmT3_T4_T5_T6_T7_T9_mT8_P12ihipStream_tbDpT10_ENKUlT_T0_E_clISt17integral_constantIbLb1EES19_EEDaS14_S15_EUlS14_E_NS1_11comp_targetILNS1_3genE4ELNS1_11target_archE910ELNS1_3gpuE8ELNS1_3repE0EEENS1_30default_config_static_selectorELNS0_4arch9wavefront6targetE1EEEvT1_,"axG",@progbits,_ZN7rocprim17ROCPRIM_400000_NS6detail17trampoline_kernelINS0_14default_configENS1_25partition_config_selectorILNS1_17partition_subalgoE0ExNS0_10empty_typeEbEEZZNS1_14partition_implILS5_0ELb0ES3_jN6thrust23THRUST_200600_302600_NS6detail15normal_iteratorINSA_10device_ptrIxEEEEPS6_SG_NS0_5tupleIJNSA_16discard_iteratorINSA_11use_defaultEEESK_EEENSH_IJSG_SG_EEES6_PlJ7is_evenIxEEEE10hipError_tPvRmT3_T4_T5_T6_T7_T9_mT8_P12ihipStream_tbDpT10_ENKUlT_T0_E_clISt17integral_constantIbLb1EES19_EEDaS14_S15_EUlS14_E_NS1_11comp_targetILNS1_3genE4ELNS1_11target_archE910ELNS1_3gpuE8ELNS1_3repE0EEENS1_30default_config_static_selectorELNS0_4arch9wavefront6targetE1EEEvT1_,comdat
	.protected	_ZN7rocprim17ROCPRIM_400000_NS6detail17trampoline_kernelINS0_14default_configENS1_25partition_config_selectorILNS1_17partition_subalgoE0ExNS0_10empty_typeEbEEZZNS1_14partition_implILS5_0ELb0ES3_jN6thrust23THRUST_200600_302600_NS6detail15normal_iteratorINSA_10device_ptrIxEEEEPS6_SG_NS0_5tupleIJNSA_16discard_iteratorINSA_11use_defaultEEESK_EEENSH_IJSG_SG_EEES6_PlJ7is_evenIxEEEE10hipError_tPvRmT3_T4_T5_T6_T7_T9_mT8_P12ihipStream_tbDpT10_ENKUlT_T0_E_clISt17integral_constantIbLb1EES19_EEDaS14_S15_EUlS14_E_NS1_11comp_targetILNS1_3genE4ELNS1_11target_archE910ELNS1_3gpuE8ELNS1_3repE0EEENS1_30default_config_static_selectorELNS0_4arch9wavefront6targetE1EEEvT1_ ; -- Begin function _ZN7rocprim17ROCPRIM_400000_NS6detail17trampoline_kernelINS0_14default_configENS1_25partition_config_selectorILNS1_17partition_subalgoE0ExNS0_10empty_typeEbEEZZNS1_14partition_implILS5_0ELb0ES3_jN6thrust23THRUST_200600_302600_NS6detail15normal_iteratorINSA_10device_ptrIxEEEEPS6_SG_NS0_5tupleIJNSA_16discard_iteratorINSA_11use_defaultEEESK_EEENSH_IJSG_SG_EEES6_PlJ7is_evenIxEEEE10hipError_tPvRmT3_T4_T5_T6_T7_T9_mT8_P12ihipStream_tbDpT10_ENKUlT_T0_E_clISt17integral_constantIbLb1EES19_EEDaS14_S15_EUlS14_E_NS1_11comp_targetILNS1_3genE4ELNS1_11target_archE910ELNS1_3gpuE8ELNS1_3repE0EEENS1_30default_config_static_selectorELNS0_4arch9wavefront6targetE1EEEvT1_
	.globl	_ZN7rocprim17ROCPRIM_400000_NS6detail17trampoline_kernelINS0_14default_configENS1_25partition_config_selectorILNS1_17partition_subalgoE0ExNS0_10empty_typeEbEEZZNS1_14partition_implILS5_0ELb0ES3_jN6thrust23THRUST_200600_302600_NS6detail15normal_iteratorINSA_10device_ptrIxEEEEPS6_SG_NS0_5tupleIJNSA_16discard_iteratorINSA_11use_defaultEEESK_EEENSH_IJSG_SG_EEES6_PlJ7is_evenIxEEEE10hipError_tPvRmT3_T4_T5_T6_T7_T9_mT8_P12ihipStream_tbDpT10_ENKUlT_T0_E_clISt17integral_constantIbLb1EES19_EEDaS14_S15_EUlS14_E_NS1_11comp_targetILNS1_3genE4ELNS1_11target_archE910ELNS1_3gpuE8ELNS1_3repE0EEENS1_30default_config_static_selectorELNS0_4arch9wavefront6targetE1EEEvT1_
	.p2align	8
	.type	_ZN7rocprim17ROCPRIM_400000_NS6detail17trampoline_kernelINS0_14default_configENS1_25partition_config_selectorILNS1_17partition_subalgoE0ExNS0_10empty_typeEbEEZZNS1_14partition_implILS5_0ELb0ES3_jN6thrust23THRUST_200600_302600_NS6detail15normal_iteratorINSA_10device_ptrIxEEEEPS6_SG_NS0_5tupleIJNSA_16discard_iteratorINSA_11use_defaultEEESK_EEENSH_IJSG_SG_EEES6_PlJ7is_evenIxEEEE10hipError_tPvRmT3_T4_T5_T6_T7_T9_mT8_P12ihipStream_tbDpT10_ENKUlT_T0_E_clISt17integral_constantIbLb1EES19_EEDaS14_S15_EUlS14_E_NS1_11comp_targetILNS1_3genE4ELNS1_11target_archE910ELNS1_3gpuE8ELNS1_3repE0EEENS1_30default_config_static_selectorELNS0_4arch9wavefront6targetE1EEEvT1_,@function
_ZN7rocprim17ROCPRIM_400000_NS6detail17trampoline_kernelINS0_14default_configENS1_25partition_config_selectorILNS1_17partition_subalgoE0ExNS0_10empty_typeEbEEZZNS1_14partition_implILS5_0ELb0ES3_jN6thrust23THRUST_200600_302600_NS6detail15normal_iteratorINSA_10device_ptrIxEEEEPS6_SG_NS0_5tupleIJNSA_16discard_iteratorINSA_11use_defaultEEESK_EEENSH_IJSG_SG_EEES6_PlJ7is_evenIxEEEE10hipError_tPvRmT3_T4_T5_T6_T7_T9_mT8_P12ihipStream_tbDpT10_ENKUlT_T0_E_clISt17integral_constantIbLb1EES19_EEDaS14_S15_EUlS14_E_NS1_11comp_targetILNS1_3genE4ELNS1_11target_archE910ELNS1_3gpuE8ELNS1_3repE0EEENS1_30default_config_static_selectorELNS0_4arch9wavefront6targetE1EEEvT1_: ; @_ZN7rocprim17ROCPRIM_400000_NS6detail17trampoline_kernelINS0_14default_configENS1_25partition_config_selectorILNS1_17partition_subalgoE0ExNS0_10empty_typeEbEEZZNS1_14partition_implILS5_0ELb0ES3_jN6thrust23THRUST_200600_302600_NS6detail15normal_iteratorINSA_10device_ptrIxEEEEPS6_SG_NS0_5tupleIJNSA_16discard_iteratorINSA_11use_defaultEEESK_EEENSH_IJSG_SG_EEES6_PlJ7is_evenIxEEEE10hipError_tPvRmT3_T4_T5_T6_T7_T9_mT8_P12ihipStream_tbDpT10_ENKUlT_T0_E_clISt17integral_constantIbLb1EES19_EEDaS14_S15_EUlS14_E_NS1_11comp_targetILNS1_3genE4ELNS1_11target_archE910ELNS1_3gpuE8ELNS1_3repE0EEENS1_30default_config_static_selectorELNS0_4arch9wavefront6targetE1EEEvT1_
; %bb.0:
	s_load_dwordx2 s[2:3], s[4:5], 0x68
	s_load_dwordx4 s[20:23], s[4:5], 0x58
	s_load_dwordx2 s[18:19], s[4:5], 0x78
	v_cmp_eq_u32_e64 s[0:1], 0, v0
	s_and_saveexec_b64 s[6:7], s[0:1]
	s_cbranch_execz .LBB2597_4
; %bb.1:
	s_mov_b64 s[10:11], exec
	v_mbcnt_lo_u32_b32 v1, s10, 0
	v_mbcnt_hi_u32_b32 v1, s11, v1
	v_cmp_eq_u32_e32 vcc, 0, v1
                                        ; implicit-def: $vgpr2
	s_and_saveexec_b64 s[8:9], vcc
	s_cbranch_execz .LBB2597_3
; %bb.2:
	s_load_dwordx2 s[12:13], s[4:5], 0x88
	s_bcnt1_i32_b64 s10, s[10:11]
	v_mov_b32_e32 v2, 0
	v_mov_b32_e32 v3, s10
	s_waitcnt lgkmcnt(0)
	global_atomic_add v2, v2, v3, s[12:13] glc
.LBB2597_3:
	s_or_b64 exec, exec, s[8:9]
	s_waitcnt vmcnt(0)
	v_readfirstlane_b32 s8, v2
	v_add_u32_e32 v1, s8, v1
	v_mov_b32_e32 v2, 0
	ds_write_b32 v2, v1
.LBB2597_4:
	s_or_b64 exec, exec, s[6:7]
	v_mov_b32_e32 v3, 0
	s_load_dwordx4 s[8:11], s[4:5], 0x8
	s_load_dword s6, s[4:5], 0x80
	s_waitcnt lgkmcnt(0)
	s_barrier
	ds_read_b32 v1, v3
	s_waitcnt lgkmcnt(0)
	s_barrier
	global_load_dwordx2 v[10:11], v3, s[22:23]
	v_mov_b32_e32 v5, s3
	s_lshl_b64 s[4:5], s[10:11], 3
	s_movk_i32 s3, 0x300
	s_add_u32 s4, s8, s4
	v_mul_lo_u32 v2, v1, s3
	s_mul_i32 s3, s6, 0x300
	s_addc_u32 s5, s9, s5
	s_add_i32 s7, s6, -1
	s_add_i32 s6, s3, s10
	s_sub_i32 s6, s2, s6
	v_mov_b32_e32 v4, s2
	s_add_u32 s2, s10, s3
	v_readfirstlane_b32 s30, v1
	s_addc_u32 s3, s11, 0
	s_cmp_eq_u32 s30, s7
	s_cselect_b64 s[22:23], -1, 0
	s_cmp_lg_u32 s30, s7
	v_cmp_lt_u64_e32 vcc, s[2:3], v[4:5]
	s_cselect_b64 s[2:3], -1, 0
	v_lshlrev_b64 v[2:3], 3, v[2:3]
	s_or_b64 s[2:3], vcc, s[2:3]
	v_mov_b32_e32 v1, s5
	v_add_co_u32_e32 v13, vcc, s4, v2
	v_addc_co_u32_e32 v14, vcc, v1, v3, vcc
	s_mov_b64 s[4:5], -1
	s_and_b64 vcc, exec, s[2:3]
	v_lshlrev_b32_e32 v1, 3, v0
	v_lshrrev_b32_e32 v12, 2, v0
	s_cbranch_vccz .LBB2597_6
; %bb.5:
	v_add_co_u32_e32 v2, vcc, v13, v1
	v_addc_co_u32_e32 v3, vcc, 0, v14, vcc
	v_add_co_u32_e32 v4, vcc, 0x1000, v2
	v_addc_co_u32_e32 v5, vcc, 0, v3, vcc
	flat_load_dwordx2 v[6:7], v[2:3]
	flat_load_dwordx2 v[8:9], v[2:3] offset:1536
	flat_load_dwordx2 v[16:17], v[2:3] offset:3072
	;; [unrolled: 1-line block ×3, first 2 shown]
	v_add_u32_e32 v3, 0xc0, v0
	v_add_u32_e32 v4, 0x180, v0
	;; [unrolled: 1-line block ×3, first 2 shown]
	v_and_b32_e32 v2, 56, v12
	v_lshrrev_b32_e32 v3, 2, v3
	v_lshrrev_b32_e32 v4, 2, v4
	v_lshrrev_b32_e32 v5, 2, v5
	v_add_u32_e32 v2, v2, v1
	v_and_b32_e32 v3, 0x78, v3
	v_and_b32_e32 v4, 0xf8, v4
	;; [unrolled: 1-line block ×3, first 2 shown]
	v_add_u32_e32 v3, v3, v1
	v_add_u32_e32 v4, v4, v1
	;; [unrolled: 1-line block ×3, first 2 shown]
	s_mov_b64 s[4:5], 0
	s_waitcnt vmcnt(0) lgkmcnt(0)
	ds_write_b64 v2, v[6:7]
	ds_write_b64 v3, v[8:9] offset:1536
	ds_write_b64 v4, v[16:17] offset:3072
	;; [unrolled: 1-line block ×3, first 2 shown]
	s_waitcnt lgkmcnt(0)
	s_barrier
.LBB2597_6:
	s_andn2_b64 vcc, exec, s[4:5]
	s_addk_i32 s6, 0x300
	s_cbranch_vccnz .LBB2597_16
; %bb.7:
	v_cmp_gt_u32_e32 vcc, s6, v0
                                        ; implicit-def: $vgpr2_vgpr3_vgpr4_vgpr5_vgpr6_vgpr7_vgpr8_vgpr9
	s_and_saveexec_b64 s[4:5], vcc
	s_cbranch_execz .LBB2597_9
; %bb.8:
	v_add_co_u32_e32 v2, vcc, v13, v1
	v_addc_co_u32_e32 v3, vcc, 0, v14, vcc
	flat_load_dwordx2 v[2:3], v[2:3]
.LBB2597_9:
	s_or_b64 exec, exec, s[4:5]
	v_add_u32_e32 v15, 0xc0, v0
	v_cmp_gt_u32_e32 vcc, s6, v15
	s_and_saveexec_b64 s[4:5], vcc
	s_cbranch_execz .LBB2597_11
; %bb.10:
	v_add_co_u32_e32 v4, vcc, v13, v1
	v_addc_co_u32_e32 v5, vcc, 0, v14, vcc
	flat_load_dwordx2 v[4:5], v[4:5] offset:1536
.LBB2597_11:
	s_or_b64 exec, exec, s[4:5]
	v_add_u32_e32 v16, 0x180, v0
	v_cmp_gt_u32_e32 vcc, s6, v16
	s_and_saveexec_b64 s[4:5], vcc
	s_cbranch_execz .LBB2597_13
; %bb.12:
	v_add_co_u32_e32 v6, vcc, v13, v1
	v_addc_co_u32_e32 v7, vcc, 0, v14, vcc
	flat_load_dwordx2 v[6:7], v[6:7] offset:3072
.LBB2597_13:
	s_or_b64 exec, exec, s[4:5]
	v_add_u32_e32 v17, 0x240, v0
	v_cmp_gt_u32_e32 vcc, s6, v17
	s_and_saveexec_b64 s[4:5], vcc
	s_cbranch_execz .LBB2597_15
; %bb.14:
	v_lshlrev_b32_e32 v8, 3, v17
	v_add_co_u32_e32 v8, vcc, v13, v8
	v_addc_co_u32_e32 v9, vcc, 0, v14, vcc
	flat_load_dwordx2 v[8:9], v[8:9]
.LBB2597_15:
	s_or_b64 exec, exec, s[4:5]
	v_and_b32_e32 v12, 56, v12
	v_add_u32_e32 v12, v12, v1
	s_waitcnt vmcnt(0) lgkmcnt(0)
	ds_write_b64 v12, v[2:3]
	v_lshrrev_b32_e32 v2, 2, v15
	v_and_b32_e32 v2, 0x78, v2
	v_add_u32_e32 v2, v2, v1
	ds_write_b64 v2, v[4:5] offset:1536
	v_lshrrev_b32_e32 v2, 2, v16
	v_and_b32_e32 v2, 0xf8, v2
	v_add_u32_e32 v2, v2, v1
	ds_write_b64 v2, v[6:7] offset:3072
	v_lshrrev_b32_e32 v2, 2, v17
	v_and_b32_e32 v2, 0xf8, v2
	v_add_u32_e32 v1, v2, v1
	ds_write_b64 v1, v[8:9] offset:4608
	s_waitcnt lgkmcnt(0)
	s_barrier
.LBB2597_16:
	v_lshlrev_b32_e32 v1, 2, v0
	v_lshrrev_b32_e32 v2, 3, v0
	v_add_lshl_u32 v2, v2, v1, 3
	ds_read2_b64 v[6:9], v2 offset1:1
	ds_read2_b64 v[2:5], v2 offset0:2 offset1:3
	s_andn2_b64 vcc, exec, s[2:3]
	s_waitcnt lgkmcnt(0)
	s_barrier
	v_xor_b32_e32 v15, -1, v6
	v_xor_b32_e32 v14, -1, v8
	;; [unrolled: 1-line block ×4, first 2 shown]
	s_cbranch_vccnz .LBB2597_18
; %bb.17:
	v_mov_b32_e32 v17, 1
	v_and_b32_e32 v16, 1, v15
	v_and_b32_sdwa v18, v14, v17 dst_sel:BYTE_1 dst_unused:UNUSED_PAD src0_sel:DWORD src1_sel:DWORD
	v_and_b32_e32 v19, 1, v13
	v_and_b32_sdwa v17, v12, v17 dst_sel:BYTE_1 dst_unused:UNUSED_PAD src0_sel:DWORD src1_sel:DWORD
	v_or_b32_e32 v16, v16, v18
	v_or_b32_sdwa v17, v19, v17 dst_sel:WORD_1 dst_unused:UNUSED_PAD src0_sel:DWORD src1_sel:DWORD
	v_or_b32_sdwa v22, v16, v17 dst_sel:DWORD dst_unused:UNUSED_PAD src0_sel:WORD_0 src1_sel:DWORD
	s_cbranch_execz .LBB2597_19
	s_branch .LBB2597_20
.LBB2597_18:
                                        ; implicit-def: $vgpr22
.LBB2597_19:
	v_cmp_gt_u32_e32 vcc, s6, v1
	v_cndmask_b32_e64 v16, 0, 1, vcc
	v_and_b32_e32 v15, v16, v15
	v_or_b32_e32 v16, 1, v1
	v_cmp_gt_u32_e32 vcc, s6, v16
	v_cndmask_b32_e64 v16, 0, 1, vcc
	v_and_b32_sdwa v14, v16, v14 dst_sel:BYTE_1 dst_unused:UNUSED_PAD src0_sel:DWORD src1_sel:DWORD
	v_or_b32_e32 v16, 2, v1
	v_cmp_gt_u32_e32 vcc, s6, v16
	v_cndmask_b32_e64 v16, 0, 1, vcc
	v_and_b32_e32 v13, v16, v13
	v_or_b32_e32 v16, 3, v1
	v_cmp_gt_u32_e32 vcc, s6, v16
	v_cndmask_b32_e64 v16, 0, 1, vcc
	v_and_b32_sdwa v12, v16, v12 dst_sel:BYTE_1 dst_unused:UNUSED_PAD src0_sel:DWORD src1_sel:DWORD
	v_or_b32_e32 v14, v15, v14
	v_or_b32_sdwa v12, v13, v12 dst_sel:WORD_1 dst_unused:UNUSED_PAD src0_sel:DWORD src1_sel:DWORD
	v_or_b32_sdwa v22, v14, v12 dst_sel:DWORD dst_unused:UNUSED_PAD src0_sel:WORD_0 src1_sel:DWORD
.LBB2597_20:
	v_bfe_u32 v24, v22, 16, 8
	v_lshrrev_b32_e32 v23, 24, v22
	v_add_u32_sdwa v12, v22, v22 dst_sel:DWORD dst_unused:UNUSED_PAD src0_sel:BYTE_1 src1_sel:BYTE_0
	v_add3_u32 v27, v12, v24, v23
	v_mbcnt_lo_u32_b32 v12, -1, 0
	v_mbcnt_hi_u32_b32 v25, -1, v12
	v_and_b32_e32 v12, 15, v25
	v_cmp_eq_u32_e64 s[14:15], 0, v12
	v_cmp_lt_u32_e64 s[12:13], 1, v12
	v_cmp_lt_u32_e64 s[10:11], 3, v12
	;; [unrolled: 1-line block ×3, first 2 shown]
	v_and_b32_e32 v12, 16, v25
	v_cmp_eq_u32_e64 s[4:5], 0, v12
	v_and_b32_e32 v12, 0xc0, v0
	v_min_u32_e32 v12, 0x80, v12
	v_or_b32_e32 v12, 63, v12
	s_cmp_lg_u32 s30, 0
	v_cmp_lt_u32_e64 s[2:3], 31, v25
	v_lshrrev_b32_e32 v26, 6, v0
	v_cmp_eq_u32_e64 s[6:7], v12, v0
	s_cbranch_scc0 .LBB2597_51
; %bb.21:
	v_mov_b32_dpp v12, v27 row_shr:1 row_mask:0xf bank_mask:0xf
	v_cndmask_b32_e64 v12, v12, 0, s[14:15]
	v_add_u32_e32 v12, v12, v27
	s_nop 1
	v_mov_b32_dpp v13, v12 row_shr:2 row_mask:0xf bank_mask:0xf
	v_cndmask_b32_e64 v13, 0, v13, s[12:13]
	v_add_u32_e32 v12, v12, v13
	s_nop 1
	;; [unrolled: 4-line block ×4, first 2 shown]
	v_mov_b32_dpp v13, v12 row_bcast:15 row_mask:0xf bank_mask:0xf
	v_cndmask_b32_e64 v13, v13, 0, s[4:5]
	v_add_u32_e32 v12, v12, v13
	s_nop 1
	v_mov_b32_dpp v13, v12 row_bcast:31 row_mask:0xf bank_mask:0xf
	v_cndmask_b32_e64 v13, 0, v13, s[2:3]
	v_add_u32_e32 v12, v12, v13
	s_and_saveexec_b64 s[16:17], s[6:7]
	s_cbranch_execz .LBB2597_23
; %bb.22:
	v_lshlrev_b32_e32 v13, 2, v26
	ds_write_b32 v13, v12
.LBB2597_23:
	s_or_b64 exec, exec, s[16:17]
	v_cmp_gt_u32_e32 vcc, 3, v0
	s_waitcnt lgkmcnt(0)
	s_barrier
	s_and_saveexec_b64 s[16:17], vcc
	s_cbranch_execz .LBB2597_25
; %bb.24:
	ds_read_b32 v13, v1
	v_and_b32_e32 v14, 3, v25
	v_cmp_ne_u32_e32 vcc, 0, v14
	s_waitcnt lgkmcnt(0)
	v_mov_b32_dpp v15, v13 row_shr:1 row_mask:0xf bank_mask:0xf
	v_cndmask_b32_e32 v15, 0, v15, vcc
	v_add_u32_e32 v13, v15, v13
	v_cmp_lt_u32_e32 vcc, 1, v14
	s_nop 0
	v_mov_b32_dpp v15, v13 row_shr:2 row_mask:0xf bank_mask:0xf
	v_cndmask_b32_e32 v14, 0, v15, vcc
	v_add_u32_e32 v13, v13, v14
	ds_write_b32 v1, v13
.LBB2597_25:
	s_or_b64 exec, exec, s[16:17]
	v_cmp_gt_u32_e32 vcc, 64, v0
	v_cmp_lt_u32_e64 s[16:17], 63, v0
	s_waitcnt lgkmcnt(0)
	s_barrier
	s_waitcnt lgkmcnt(0)
                                        ; implicit-def: $vgpr28
	s_and_saveexec_b64 s[24:25], s[16:17]
	s_cbranch_execz .LBB2597_27
; %bb.26:
	v_lshl_add_u32 v13, v26, 2, -4
	ds_read_b32 v28, v13
	s_waitcnt lgkmcnt(0)
	v_add_u32_e32 v12, v28, v12
.LBB2597_27:
	s_or_b64 exec, exec, s[24:25]
	v_add_u32_e32 v13, -1, v25
	v_and_b32_e32 v14, 64, v25
	v_cmp_lt_i32_e64 s[16:17], v13, v14
	v_cndmask_b32_e64 v13, v13, v25, s[16:17]
	v_lshlrev_b32_e32 v13, 2, v13
	ds_bpermute_b32 v29, v13, v12
	v_cmp_eq_u32_e64 s[16:17], 0, v25
	s_and_saveexec_b64 s[24:25], vcc
	s_cbranch_execz .LBB2597_50
; %bb.28:
	v_mov_b32_e32 v21, 0
	ds_read_b32 v12, v21 offset:8
	s_and_saveexec_b64 s[26:27], s[16:17]
	s_cbranch_execz .LBB2597_30
; %bb.29:
	s_add_i32 s28, s30, 64
	s_mov_b32 s29, 0
	s_lshl_b64 s[28:29], s[28:29], 3
	s_add_u32 s28, s18, s28
	v_mov_b32_e32 v13, 1
	s_addc_u32 s29, s19, s29
	s_waitcnt lgkmcnt(0)
	global_store_dwordx2 v21, v[12:13], s[28:29]
.LBB2597_30:
	s_or_b64 exec, exec, s[26:27]
	v_xad_u32 v14, v25, -1, s30
	v_add_u32_e32 v20, 64, v14
	v_lshlrev_b64 v[16:17], 3, v[20:21]
	v_mov_b32_e32 v13, s19
	v_add_co_u32_e32 v16, vcc, s18, v16
	v_addc_co_u32_e32 v17, vcc, v13, v17, vcc
	global_load_dwordx2 v[18:19], v[16:17], off glc
	s_waitcnt vmcnt(0)
	v_cmp_eq_u16_sdwa s[28:29], v19, v21 src0_sel:BYTE_0 src1_sel:DWORD
	s_and_saveexec_b64 s[26:27], s[28:29]
	s_cbranch_execz .LBB2597_36
; %bb.31:
	s_mov_b32 s31, 1
	s_mov_b64 s[28:29], 0
	v_mov_b32_e32 v13, 0
.LBB2597_32:                            ; =>This Loop Header: Depth=1
                                        ;     Child Loop BB2597_33 Depth 2
	s_max_u32 s33, s31, 1
.LBB2597_33:                            ;   Parent Loop BB2597_32 Depth=1
                                        ; =>  This Inner Loop Header: Depth=2
	s_add_i32 s33, s33, -1
	s_cmp_eq_u32 s33, 0
	s_sleep 1
	s_cbranch_scc0 .LBB2597_33
; %bb.34:                               ;   in Loop: Header=BB2597_32 Depth=1
	global_load_dwordx2 v[18:19], v[16:17], off glc
	s_cmp_lt_u32 s31, 32
	s_cselect_b64 s[34:35], -1, 0
	s_cmp_lg_u64 s[34:35], 0
	s_addc_u32 s31, s31, 0
	s_waitcnt vmcnt(0)
	v_cmp_ne_u16_sdwa s[34:35], v19, v13 src0_sel:BYTE_0 src1_sel:DWORD
	s_or_b64 s[28:29], s[34:35], s[28:29]
	s_andn2_b64 exec, exec, s[28:29]
	s_cbranch_execnz .LBB2597_32
; %bb.35:
	s_or_b64 exec, exec, s[28:29]
.LBB2597_36:
	s_or_b64 exec, exec, s[26:27]
	v_and_b32_e32 v31, 63, v25
	v_mov_b32_e32 v30, 2
	v_cmp_ne_u32_e32 vcc, 63, v31
	v_cmp_eq_u16_sdwa s[26:27], v19, v30 src0_sel:BYTE_0 src1_sel:DWORD
	v_lshlrev_b64 v[16:17], v25, -1
	v_addc_co_u32_e32 v20, vcc, 0, v25, vcc
	v_and_b32_e32 v13, s27, v17
	v_lshlrev_b32_e32 v32, 2, v20
	v_or_b32_e32 v13, 0x80000000, v13
	ds_bpermute_b32 v20, v32, v18
	v_and_b32_e32 v15, s26, v16
	v_ffbl_b32_e32 v13, v13
	v_add_u32_e32 v13, 32, v13
	v_ffbl_b32_e32 v15, v15
	v_min_u32_e32 v13, v15, v13
	v_cmp_lt_u32_e32 vcc, v31, v13
	s_waitcnt lgkmcnt(0)
	v_cndmask_b32_e32 v15, 0, v20, vcc
	v_cmp_gt_u32_e32 vcc, 62, v31
	v_add_u32_e32 v15, v15, v18
	v_cndmask_b32_e64 v18, 0, 1, vcc
	v_lshlrev_b32_e32 v18, 1, v18
	v_add_lshl_u32 v33, v18, v25, 2
	ds_bpermute_b32 v18, v33, v15
	v_add_u32_e32 v34, 2, v31
	v_cmp_le_u32_e32 vcc, v34, v13
	v_add_u32_e32 v36, 4, v31
	v_add_u32_e32 v38, 8, v31
	s_waitcnt lgkmcnt(0)
	v_cndmask_b32_e32 v18, 0, v18, vcc
	v_cmp_gt_u32_e32 vcc, 60, v31
	v_add_u32_e32 v15, v15, v18
	v_cndmask_b32_e64 v18, 0, 1, vcc
	v_lshlrev_b32_e32 v18, 2, v18
	v_add_lshl_u32 v35, v18, v25, 2
	ds_bpermute_b32 v18, v35, v15
	v_cmp_le_u32_e32 vcc, v36, v13
	v_add_u32_e32 v40, 16, v31
	v_add_u32_e32 v42, 32, v31
	s_waitcnt lgkmcnt(0)
	v_cndmask_b32_e32 v18, 0, v18, vcc
	v_cmp_gt_u32_e32 vcc, 56, v31
	v_add_u32_e32 v15, v15, v18
	v_cndmask_b32_e64 v18, 0, 1, vcc
	v_lshlrev_b32_e32 v18, 3, v18
	v_add_lshl_u32 v37, v18, v25, 2
	ds_bpermute_b32 v18, v37, v15
	v_cmp_le_u32_e32 vcc, v38, v13
	s_waitcnt lgkmcnt(0)
	v_cndmask_b32_e32 v18, 0, v18, vcc
	v_cmp_gt_u32_e32 vcc, 48, v31
	v_add_u32_e32 v15, v15, v18
	v_cndmask_b32_e64 v18, 0, 1, vcc
	v_lshlrev_b32_e32 v18, 4, v18
	v_add_lshl_u32 v39, v18, v25, 2
	ds_bpermute_b32 v18, v39, v15
	v_cmp_le_u32_e32 vcc, v40, v13
	;; [unrolled: 9-line block ×3, first 2 shown]
	s_waitcnt lgkmcnt(0)
	v_cndmask_b32_e32 v13, 0, v18, vcc
	v_add_u32_e32 v18, v15, v13
	v_mov_b32_e32 v15, 0
	s_branch .LBB2597_38
.LBB2597_37:                            ;   in Loop: Header=BB2597_38 Depth=1
	s_or_b64 exec, exec, s[26:27]
	v_cmp_eq_u16_sdwa s[26:27], v19, v30 src0_sel:BYTE_0 src1_sel:DWORD
	v_and_b32_e32 v20, s27, v17
	v_or_b32_e32 v20, 0x80000000, v20
	ds_bpermute_b32 v43, v32, v18
	v_and_b32_e32 v21, s26, v16
	v_ffbl_b32_e32 v20, v20
	v_add_u32_e32 v20, 32, v20
	v_ffbl_b32_e32 v21, v21
	v_min_u32_e32 v20, v21, v20
	v_cmp_lt_u32_e32 vcc, v31, v20
	s_waitcnt lgkmcnt(0)
	v_cndmask_b32_e32 v21, 0, v43, vcc
	v_add_u32_e32 v18, v21, v18
	ds_bpermute_b32 v21, v33, v18
	v_cmp_le_u32_e32 vcc, v34, v20
	v_subrev_u32_e32 v14, 64, v14
	s_waitcnt lgkmcnt(0)
	v_cndmask_b32_e32 v21, 0, v21, vcc
	v_add_u32_e32 v18, v18, v21
	ds_bpermute_b32 v21, v35, v18
	v_cmp_le_u32_e32 vcc, v36, v20
	s_waitcnt lgkmcnt(0)
	v_cndmask_b32_e32 v21, 0, v21, vcc
	v_add_u32_e32 v18, v18, v21
	ds_bpermute_b32 v21, v37, v18
	v_cmp_le_u32_e32 vcc, v38, v20
	s_waitcnt lgkmcnt(0)
	v_cndmask_b32_e32 v21, 0, v21, vcc
	v_add_u32_e32 v18, v18, v21
	ds_bpermute_b32 v21, v39, v18
	v_cmp_le_u32_e32 vcc, v40, v20
	s_waitcnt lgkmcnt(0)
	v_cndmask_b32_e32 v21, 0, v21, vcc
	v_add_u32_e32 v18, v18, v21
	ds_bpermute_b32 v21, v41, v18
	v_cmp_le_u32_e32 vcc, v42, v20
	s_waitcnt lgkmcnt(0)
	v_cndmask_b32_e32 v20, 0, v21, vcc
	v_add3_u32 v18, v20, v13, v18
.LBB2597_38:                            ; =>This Loop Header: Depth=1
                                        ;     Child Loop BB2597_41 Depth 2
                                        ;       Child Loop BB2597_42 Depth 3
	v_cmp_ne_u16_sdwa s[26:27], v19, v30 src0_sel:BYTE_0 src1_sel:DWORD
	v_cndmask_b32_e64 v13, 0, 1, s[26:27]
	;;#ASMSTART
	;;#ASMEND
	v_cmp_ne_u32_e32 vcc, 0, v13
	s_cmp_lg_u64 vcc, exec
	v_mov_b32_e32 v13, v18
	s_cbranch_scc1 .LBB2597_45
; %bb.39:                               ;   in Loop: Header=BB2597_38 Depth=1
	v_lshlrev_b64 v[18:19], 3, v[14:15]
	v_mov_b32_e32 v21, s19
	v_add_co_u32_e32 v20, vcc, s18, v18
	v_addc_co_u32_e32 v21, vcc, v21, v19, vcc
	global_load_dwordx2 v[18:19], v[20:21], off glc
	s_waitcnt vmcnt(0)
	v_cmp_eq_u16_sdwa s[28:29], v19, v15 src0_sel:BYTE_0 src1_sel:DWORD
	s_and_saveexec_b64 s[26:27], s[28:29]
	s_cbranch_execz .LBB2597_37
; %bb.40:                               ;   in Loop: Header=BB2597_38 Depth=1
	s_mov_b32 s31, 1
	s_mov_b64 s[28:29], 0
.LBB2597_41:                            ;   Parent Loop BB2597_38 Depth=1
                                        ; =>  This Loop Header: Depth=2
                                        ;       Child Loop BB2597_42 Depth 3
	s_max_u32 s33, s31, 1
.LBB2597_42:                            ;   Parent Loop BB2597_38 Depth=1
                                        ;     Parent Loop BB2597_41 Depth=2
                                        ; =>    This Inner Loop Header: Depth=3
	s_add_i32 s33, s33, -1
	s_cmp_eq_u32 s33, 0
	s_sleep 1
	s_cbranch_scc0 .LBB2597_42
; %bb.43:                               ;   in Loop: Header=BB2597_41 Depth=2
	global_load_dwordx2 v[18:19], v[20:21], off glc
	s_cmp_lt_u32 s31, 32
	s_cselect_b64 s[34:35], -1, 0
	s_cmp_lg_u64 s[34:35], 0
	s_addc_u32 s31, s31, 0
	s_waitcnt vmcnt(0)
	v_cmp_ne_u16_sdwa s[34:35], v19, v15 src0_sel:BYTE_0 src1_sel:DWORD
	s_or_b64 s[28:29], s[34:35], s[28:29]
	s_andn2_b64 exec, exec, s[28:29]
	s_cbranch_execnz .LBB2597_41
; %bb.44:                               ;   in Loop: Header=BB2597_38 Depth=1
	s_or_b64 exec, exec, s[28:29]
	s_branch .LBB2597_37
.LBB2597_45:                            ;   in Loop: Header=BB2597_38 Depth=1
                                        ; implicit-def: $vgpr18
                                        ; implicit-def: $vgpr19
	s_cbranch_execz .LBB2597_38
; %bb.46:
	s_and_saveexec_b64 s[26:27], s[16:17]
	s_cbranch_execz .LBB2597_48
; %bb.47:
	s_add_i32 s28, s30, 64
	s_mov_b32 s29, 0
	s_lshl_b64 s[28:29], s[28:29], 3
	s_add_u32 s28, s18, s28
	v_add_u32_e32 v14, v13, v12
	v_mov_b32_e32 v15, 2
	s_addc_u32 s29, s19, s29
	v_mov_b32_e32 v16, 0
	global_store_dwordx2 v16, v[14:15], s[28:29]
	ds_write_b64 v16, v[12:13] offset:6336
.LBB2597_48:
	s_or_b64 exec, exec, s[26:27]
	s_and_b64 exec, exec, s[0:1]
	s_cbranch_execz .LBB2597_50
; %bb.49:
	v_mov_b32_e32 v12, 0
	ds_write_b32 v12, v13 offset:8
.LBB2597_50:
	s_or_b64 exec, exec, s[24:25]
	v_mov_b32_e32 v12, 0
	s_waitcnt lgkmcnt(0)
	s_barrier
	ds_read_b32 v13, v12 offset:8
	v_cndmask_b32_e64 v14, v29, v28, s[16:17]
	v_cndmask_b32_e64 v14, v14, 0, s[0:1]
	s_waitcnt lgkmcnt(0)
	s_barrier
	v_add_u32_e32 v16, v13, v14
	ds_read_b64 v[12:13], v12 offset:6336
	v_add_u32_sdwa v17, v16, v22 dst_sel:DWORD dst_unused:UNUSED_PAD src0_sel:DWORD src1_sel:BYTE_0
	v_add_u32_sdwa v15, v17, v22 dst_sel:DWORD dst_unused:UNUSED_PAD src0_sel:DWORD src1_sel:BYTE_1
	v_add_u32_e32 v14, v15, v24
	s_branch .LBB2597_61
.LBB2597_51:
                                        ; implicit-def: $vgpr13
                                        ; implicit-def: $vgpr14
                                        ; implicit-def: $vgpr15
                                        ; implicit-def: $vgpr17
                                        ; implicit-def: $vgpr16
	s_cbranch_execz .LBB2597_61
; %bb.52:
	s_waitcnt lgkmcnt(0)
	v_mov_b32_dpp v12, v27 row_shr:1 row_mask:0xf bank_mask:0xf
	v_cndmask_b32_e64 v12, v12, 0, s[14:15]
	v_add_u32_e32 v12, v12, v27
	s_nop 1
	v_mov_b32_dpp v13, v12 row_shr:2 row_mask:0xf bank_mask:0xf
	v_cndmask_b32_e64 v13, 0, v13, s[12:13]
	v_add_u32_e32 v12, v12, v13
	s_nop 1
	;; [unrolled: 4-line block ×4, first 2 shown]
	v_mov_b32_dpp v13, v12 row_bcast:15 row_mask:0xf bank_mask:0xf
	v_cndmask_b32_e64 v13, v13, 0, s[4:5]
	v_add_u32_e32 v12, v12, v13
	s_nop 1
	v_mov_b32_dpp v13, v12 row_bcast:31 row_mask:0xf bank_mask:0xf
	v_cndmask_b32_e64 v13, 0, v13, s[2:3]
	v_add_u32_e32 v12, v12, v13
	s_and_saveexec_b64 s[2:3], s[6:7]
	s_cbranch_execz .LBB2597_54
; %bb.53:
	v_lshlrev_b32_e32 v13, 2, v26
	ds_write_b32 v13, v12
.LBB2597_54:
	s_or_b64 exec, exec, s[2:3]
	v_cmp_gt_u32_e32 vcc, 3, v0
	s_waitcnt lgkmcnt(0)
	s_barrier
	s_and_saveexec_b64 s[2:3], vcc
	s_cbranch_execz .LBB2597_56
; %bb.55:
	ds_read_b32 v13, v1
	v_and_b32_e32 v14, 3, v25
	v_cmp_ne_u32_e32 vcc, 0, v14
	s_waitcnt lgkmcnt(0)
	v_mov_b32_dpp v15, v13 row_shr:1 row_mask:0xf bank_mask:0xf
	v_cndmask_b32_e32 v15, 0, v15, vcc
	v_add_u32_e32 v13, v15, v13
	v_cmp_lt_u32_e32 vcc, 1, v14
	s_nop 0
	v_mov_b32_dpp v15, v13 row_shr:2 row_mask:0xf bank_mask:0xf
	v_cndmask_b32_e32 v14, 0, v15, vcc
	v_add_u32_e32 v13, v13, v14
	ds_write_b32 v1, v13
.LBB2597_56:
	s_or_b64 exec, exec, s[2:3]
	v_cmp_lt_u32_e32 vcc, 63, v0
	v_mov_b32_e32 v13, 0
	v_mov_b32_e32 v0, 0
	s_waitcnt lgkmcnt(0)
	s_barrier
	s_and_saveexec_b64 s[2:3], vcc
	s_cbranch_execz .LBB2597_58
; %bb.57:
	v_lshl_add_u32 v0, v26, 2, -4
	ds_read_b32 v0, v0
.LBB2597_58:
	s_or_b64 exec, exec, s[2:3]
	v_add_u32_e32 v14, -1, v25
	v_and_b32_e32 v15, 64, v25
	v_cmp_lt_i32_e32 vcc, v14, v15
	v_cndmask_b32_e32 v14, v14, v25, vcc
	s_waitcnt lgkmcnt(0)
	v_add_u32_e32 v12, v0, v12
	v_lshlrev_b32_e32 v14, 2, v14
	ds_bpermute_b32 v14, v14, v12
	ds_read_b32 v12, v13 offset:8
	s_and_saveexec_b64 s[2:3], s[0:1]
	s_cbranch_execz .LBB2597_60
; %bb.59:
	v_mov_b32_e32 v15, 0
	v_mov_b32_e32 v13, 2
	s_waitcnt lgkmcnt(0)
	global_store_dwordx2 v15, v[12:13], s[18:19] offset:512
.LBB2597_60:
	s_or_b64 exec, exec, s[2:3]
	v_cmp_eq_u32_e32 vcc, 0, v25
	s_waitcnt lgkmcnt(1)
	v_cndmask_b32_e32 v0, v14, v0, vcc
	v_cndmask_b32_e64 v16, v0, 0, s[0:1]
	v_add_u32_sdwa v17, v16, v22 dst_sel:DWORD dst_unused:UNUSED_PAD src0_sel:DWORD src1_sel:BYTE_0
	v_add_u32_sdwa v15, v17, v22 dst_sel:DWORD dst_unused:UNUSED_PAD src0_sel:DWORD src1_sel:BYTE_1
	v_mov_b32_e32 v13, 0
	v_add_u32_e32 v14, v15, v24
	s_waitcnt lgkmcnt(0)
	s_barrier
.LBB2597_61:
	s_waitcnt lgkmcnt(0)
	v_add_u32_e32 v1, v12, v1
	v_sub_u32_e32 v16, v16, v13
	v_and_b32_e32 v19, 1, v22
	v_sub_u32_e32 v18, v1, v16
	v_cmp_eq_u32_e32 vcc, 1, v19
	v_cndmask_b32_e32 v16, v18, v16, vcc
	v_lshlrev_b32_e32 v16, 3, v16
	v_lshrrev_b32_e32 v0, 8, v22
	ds_write_b64 v16, v[6:7]
	v_sub_u32_e32 v6, v17, v13
	v_sub_u32_e32 v7, v1, v6
	v_and_b32_e32 v0, 1, v0
	v_add_u32_e32 v7, 1, v7
	v_cmp_eq_u32_e32 vcc, 1, v0
	v_cndmask_b32_e32 v0, v7, v6, vcc
	v_lshlrev_b32_e32 v0, 3, v0
	ds_write_b64 v0, v[8:9]
	v_sub_u32_e32 v0, v15, v13
	v_mov_b32_e32 v7, 1
	v_sub_u32_e32 v6, v1, v0
	v_and_b32_sdwa v7, v7, v22 dst_sel:DWORD dst_unused:UNUSED_PAD src0_sel:DWORD src1_sel:WORD_1
	v_add_u32_e32 v6, 2, v6
	v_cmp_eq_u32_e32 vcc, 1, v7
	v_cndmask_b32_e32 v0, v6, v0, vcc
	v_lshlrev_b32_e32 v0, 3, v0
	ds_write_b64 v0, v[2:3]
	v_sub_u32_e32 v0, v14, v13
	v_sub_u32_e32 v1, v1, v0
	v_and_b32_e32 v2, 1, v23
	v_add_u32_e32 v1, 3, v1
	v_cmp_eq_u32_e32 vcc, 1, v2
	v_cndmask_b32_e32 v0, v1, v0, vcc
	v_lshlrev_b32_e32 v0, 3, v0
	s_and_b64 s[0:1], s[0:1], s[22:23]
	ds_write_b64 v0, v[4:5]
	s_waitcnt lgkmcnt(0)
	s_barrier
	s_and_saveexec_b64 s[2:3], s[0:1]
	s_cbranch_execz .LBB2597_63
; %bb.62:
	s_waitcnt vmcnt(0)
	v_add_co_u32_e32 v0, vcc, v10, v12
	v_addc_co_u32_e32 v1, vcc, 0, v11, vcc
	v_add_co_u32_e32 v0, vcc, v0, v13
	v_mov_b32_e32 v2, 0
	v_addc_co_u32_e32 v1, vcc, 0, v1, vcc
	global_store_dwordx2 v2, v[0:1], s[20:21]
.LBB2597_63:
	s_endpgm
	.section	.rodata,"a",@progbits
	.p2align	6, 0x0
	.amdhsa_kernel _ZN7rocprim17ROCPRIM_400000_NS6detail17trampoline_kernelINS0_14default_configENS1_25partition_config_selectorILNS1_17partition_subalgoE0ExNS0_10empty_typeEbEEZZNS1_14partition_implILS5_0ELb0ES3_jN6thrust23THRUST_200600_302600_NS6detail15normal_iteratorINSA_10device_ptrIxEEEEPS6_SG_NS0_5tupleIJNSA_16discard_iteratorINSA_11use_defaultEEESK_EEENSH_IJSG_SG_EEES6_PlJ7is_evenIxEEEE10hipError_tPvRmT3_T4_T5_T6_T7_T9_mT8_P12ihipStream_tbDpT10_ENKUlT_T0_E_clISt17integral_constantIbLb1EES19_EEDaS14_S15_EUlS14_E_NS1_11comp_targetILNS1_3genE4ELNS1_11target_archE910ELNS1_3gpuE8ELNS1_3repE0EEENS1_30default_config_static_selectorELNS0_4arch9wavefront6targetE1EEEvT1_
		.amdhsa_group_segment_fixed_size 6344
		.amdhsa_private_segment_fixed_size 0
		.amdhsa_kernarg_size 152
		.amdhsa_user_sgpr_count 6
		.amdhsa_user_sgpr_private_segment_buffer 1
		.amdhsa_user_sgpr_dispatch_ptr 0
		.amdhsa_user_sgpr_queue_ptr 0
		.amdhsa_user_sgpr_kernarg_segment_ptr 1
		.amdhsa_user_sgpr_dispatch_id 0
		.amdhsa_user_sgpr_flat_scratch_init 0
		.amdhsa_user_sgpr_kernarg_preload_length 0
		.amdhsa_user_sgpr_kernarg_preload_offset 0
		.amdhsa_user_sgpr_private_segment_size 0
		.amdhsa_uses_dynamic_stack 0
		.amdhsa_system_sgpr_private_segment_wavefront_offset 0
		.amdhsa_system_sgpr_workgroup_id_x 1
		.amdhsa_system_sgpr_workgroup_id_y 0
		.amdhsa_system_sgpr_workgroup_id_z 0
		.amdhsa_system_sgpr_workgroup_info 0
		.amdhsa_system_vgpr_workitem_id 0
		.amdhsa_next_free_vgpr 44
		.amdhsa_next_free_sgpr 36
		.amdhsa_accum_offset 44
		.amdhsa_reserve_vcc 1
		.amdhsa_reserve_flat_scratch 0
		.amdhsa_float_round_mode_32 0
		.amdhsa_float_round_mode_16_64 0
		.amdhsa_float_denorm_mode_32 3
		.amdhsa_float_denorm_mode_16_64 3
		.amdhsa_dx10_clamp 1
		.amdhsa_ieee_mode 1
		.amdhsa_fp16_overflow 0
		.amdhsa_tg_split 0
		.amdhsa_exception_fp_ieee_invalid_op 0
		.amdhsa_exception_fp_denorm_src 0
		.amdhsa_exception_fp_ieee_div_zero 0
		.amdhsa_exception_fp_ieee_overflow 0
		.amdhsa_exception_fp_ieee_underflow 0
		.amdhsa_exception_fp_ieee_inexact 0
		.amdhsa_exception_int_div_zero 0
	.end_amdhsa_kernel
	.section	.text._ZN7rocprim17ROCPRIM_400000_NS6detail17trampoline_kernelINS0_14default_configENS1_25partition_config_selectorILNS1_17partition_subalgoE0ExNS0_10empty_typeEbEEZZNS1_14partition_implILS5_0ELb0ES3_jN6thrust23THRUST_200600_302600_NS6detail15normal_iteratorINSA_10device_ptrIxEEEEPS6_SG_NS0_5tupleIJNSA_16discard_iteratorINSA_11use_defaultEEESK_EEENSH_IJSG_SG_EEES6_PlJ7is_evenIxEEEE10hipError_tPvRmT3_T4_T5_T6_T7_T9_mT8_P12ihipStream_tbDpT10_ENKUlT_T0_E_clISt17integral_constantIbLb1EES19_EEDaS14_S15_EUlS14_E_NS1_11comp_targetILNS1_3genE4ELNS1_11target_archE910ELNS1_3gpuE8ELNS1_3repE0EEENS1_30default_config_static_selectorELNS0_4arch9wavefront6targetE1EEEvT1_,"axG",@progbits,_ZN7rocprim17ROCPRIM_400000_NS6detail17trampoline_kernelINS0_14default_configENS1_25partition_config_selectorILNS1_17partition_subalgoE0ExNS0_10empty_typeEbEEZZNS1_14partition_implILS5_0ELb0ES3_jN6thrust23THRUST_200600_302600_NS6detail15normal_iteratorINSA_10device_ptrIxEEEEPS6_SG_NS0_5tupleIJNSA_16discard_iteratorINSA_11use_defaultEEESK_EEENSH_IJSG_SG_EEES6_PlJ7is_evenIxEEEE10hipError_tPvRmT3_T4_T5_T6_T7_T9_mT8_P12ihipStream_tbDpT10_ENKUlT_T0_E_clISt17integral_constantIbLb1EES19_EEDaS14_S15_EUlS14_E_NS1_11comp_targetILNS1_3genE4ELNS1_11target_archE910ELNS1_3gpuE8ELNS1_3repE0EEENS1_30default_config_static_selectorELNS0_4arch9wavefront6targetE1EEEvT1_,comdat
.Lfunc_end2597:
	.size	_ZN7rocprim17ROCPRIM_400000_NS6detail17trampoline_kernelINS0_14default_configENS1_25partition_config_selectorILNS1_17partition_subalgoE0ExNS0_10empty_typeEbEEZZNS1_14partition_implILS5_0ELb0ES3_jN6thrust23THRUST_200600_302600_NS6detail15normal_iteratorINSA_10device_ptrIxEEEEPS6_SG_NS0_5tupleIJNSA_16discard_iteratorINSA_11use_defaultEEESK_EEENSH_IJSG_SG_EEES6_PlJ7is_evenIxEEEE10hipError_tPvRmT3_T4_T5_T6_T7_T9_mT8_P12ihipStream_tbDpT10_ENKUlT_T0_E_clISt17integral_constantIbLb1EES19_EEDaS14_S15_EUlS14_E_NS1_11comp_targetILNS1_3genE4ELNS1_11target_archE910ELNS1_3gpuE8ELNS1_3repE0EEENS1_30default_config_static_selectorELNS0_4arch9wavefront6targetE1EEEvT1_, .Lfunc_end2597-_ZN7rocprim17ROCPRIM_400000_NS6detail17trampoline_kernelINS0_14default_configENS1_25partition_config_selectorILNS1_17partition_subalgoE0ExNS0_10empty_typeEbEEZZNS1_14partition_implILS5_0ELb0ES3_jN6thrust23THRUST_200600_302600_NS6detail15normal_iteratorINSA_10device_ptrIxEEEEPS6_SG_NS0_5tupleIJNSA_16discard_iteratorINSA_11use_defaultEEESK_EEENSH_IJSG_SG_EEES6_PlJ7is_evenIxEEEE10hipError_tPvRmT3_T4_T5_T6_T7_T9_mT8_P12ihipStream_tbDpT10_ENKUlT_T0_E_clISt17integral_constantIbLb1EES19_EEDaS14_S15_EUlS14_E_NS1_11comp_targetILNS1_3genE4ELNS1_11target_archE910ELNS1_3gpuE8ELNS1_3repE0EEENS1_30default_config_static_selectorELNS0_4arch9wavefront6targetE1EEEvT1_
                                        ; -- End function
	.section	.AMDGPU.csdata,"",@progbits
; Kernel info:
; codeLenInByte = 3248
; NumSgprs: 40
; NumVgprs: 44
; NumAgprs: 0
; TotalNumVgprs: 44
; ScratchSize: 0
; MemoryBound: 0
; FloatMode: 240
; IeeeMode: 1
; LDSByteSize: 6344 bytes/workgroup (compile time only)
; SGPRBlocks: 4
; VGPRBlocks: 5
; NumSGPRsForWavesPerEU: 40
; NumVGPRsForWavesPerEU: 44
; AccumOffset: 44
; Occupancy: 8
; WaveLimiterHint : 1
; COMPUTE_PGM_RSRC2:SCRATCH_EN: 0
; COMPUTE_PGM_RSRC2:USER_SGPR: 6
; COMPUTE_PGM_RSRC2:TRAP_HANDLER: 0
; COMPUTE_PGM_RSRC2:TGID_X_EN: 1
; COMPUTE_PGM_RSRC2:TGID_Y_EN: 0
; COMPUTE_PGM_RSRC2:TGID_Z_EN: 0
; COMPUTE_PGM_RSRC2:TIDIG_COMP_CNT: 0
; COMPUTE_PGM_RSRC3_GFX90A:ACCUM_OFFSET: 10
; COMPUTE_PGM_RSRC3_GFX90A:TG_SPLIT: 0
	.section	.text._ZN7rocprim17ROCPRIM_400000_NS6detail17trampoline_kernelINS0_14default_configENS1_25partition_config_selectorILNS1_17partition_subalgoE0ExNS0_10empty_typeEbEEZZNS1_14partition_implILS5_0ELb0ES3_jN6thrust23THRUST_200600_302600_NS6detail15normal_iteratorINSA_10device_ptrIxEEEEPS6_SG_NS0_5tupleIJNSA_16discard_iteratorINSA_11use_defaultEEESK_EEENSH_IJSG_SG_EEES6_PlJ7is_evenIxEEEE10hipError_tPvRmT3_T4_T5_T6_T7_T9_mT8_P12ihipStream_tbDpT10_ENKUlT_T0_E_clISt17integral_constantIbLb1EES19_EEDaS14_S15_EUlS14_E_NS1_11comp_targetILNS1_3genE3ELNS1_11target_archE908ELNS1_3gpuE7ELNS1_3repE0EEENS1_30default_config_static_selectorELNS0_4arch9wavefront6targetE1EEEvT1_,"axG",@progbits,_ZN7rocprim17ROCPRIM_400000_NS6detail17trampoline_kernelINS0_14default_configENS1_25partition_config_selectorILNS1_17partition_subalgoE0ExNS0_10empty_typeEbEEZZNS1_14partition_implILS5_0ELb0ES3_jN6thrust23THRUST_200600_302600_NS6detail15normal_iteratorINSA_10device_ptrIxEEEEPS6_SG_NS0_5tupleIJNSA_16discard_iteratorINSA_11use_defaultEEESK_EEENSH_IJSG_SG_EEES6_PlJ7is_evenIxEEEE10hipError_tPvRmT3_T4_T5_T6_T7_T9_mT8_P12ihipStream_tbDpT10_ENKUlT_T0_E_clISt17integral_constantIbLb1EES19_EEDaS14_S15_EUlS14_E_NS1_11comp_targetILNS1_3genE3ELNS1_11target_archE908ELNS1_3gpuE7ELNS1_3repE0EEENS1_30default_config_static_selectorELNS0_4arch9wavefront6targetE1EEEvT1_,comdat
	.protected	_ZN7rocprim17ROCPRIM_400000_NS6detail17trampoline_kernelINS0_14default_configENS1_25partition_config_selectorILNS1_17partition_subalgoE0ExNS0_10empty_typeEbEEZZNS1_14partition_implILS5_0ELb0ES3_jN6thrust23THRUST_200600_302600_NS6detail15normal_iteratorINSA_10device_ptrIxEEEEPS6_SG_NS0_5tupleIJNSA_16discard_iteratorINSA_11use_defaultEEESK_EEENSH_IJSG_SG_EEES6_PlJ7is_evenIxEEEE10hipError_tPvRmT3_T4_T5_T6_T7_T9_mT8_P12ihipStream_tbDpT10_ENKUlT_T0_E_clISt17integral_constantIbLb1EES19_EEDaS14_S15_EUlS14_E_NS1_11comp_targetILNS1_3genE3ELNS1_11target_archE908ELNS1_3gpuE7ELNS1_3repE0EEENS1_30default_config_static_selectorELNS0_4arch9wavefront6targetE1EEEvT1_ ; -- Begin function _ZN7rocprim17ROCPRIM_400000_NS6detail17trampoline_kernelINS0_14default_configENS1_25partition_config_selectorILNS1_17partition_subalgoE0ExNS0_10empty_typeEbEEZZNS1_14partition_implILS5_0ELb0ES3_jN6thrust23THRUST_200600_302600_NS6detail15normal_iteratorINSA_10device_ptrIxEEEEPS6_SG_NS0_5tupleIJNSA_16discard_iteratorINSA_11use_defaultEEESK_EEENSH_IJSG_SG_EEES6_PlJ7is_evenIxEEEE10hipError_tPvRmT3_T4_T5_T6_T7_T9_mT8_P12ihipStream_tbDpT10_ENKUlT_T0_E_clISt17integral_constantIbLb1EES19_EEDaS14_S15_EUlS14_E_NS1_11comp_targetILNS1_3genE3ELNS1_11target_archE908ELNS1_3gpuE7ELNS1_3repE0EEENS1_30default_config_static_selectorELNS0_4arch9wavefront6targetE1EEEvT1_
	.globl	_ZN7rocprim17ROCPRIM_400000_NS6detail17trampoline_kernelINS0_14default_configENS1_25partition_config_selectorILNS1_17partition_subalgoE0ExNS0_10empty_typeEbEEZZNS1_14partition_implILS5_0ELb0ES3_jN6thrust23THRUST_200600_302600_NS6detail15normal_iteratorINSA_10device_ptrIxEEEEPS6_SG_NS0_5tupleIJNSA_16discard_iteratorINSA_11use_defaultEEESK_EEENSH_IJSG_SG_EEES6_PlJ7is_evenIxEEEE10hipError_tPvRmT3_T4_T5_T6_T7_T9_mT8_P12ihipStream_tbDpT10_ENKUlT_T0_E_clISt17integral_constantIbLb1EES19_EEDaS14_S15_EUlS14_E_NS1_11comp_targetILNS1_3genE3ELNS1_11target_archE908ELNS1_3gpuE7ELNS1_3repE0EEENS1_30default_config_static_selectorELNS0_4arch9wavefront6targetE1EEEvT1_
	.p2align	8
	.type	_ZN7rocprim17ROCPRIM_400000_NS6detail17trampoline_kernelINS0_14default_configENS1_25partition_config_selectorILNS1_17partition_subalgoE0ExNS0_10empty_typeEbEEZZNS1_14partition_implILS5_0ELb0ES3_jN6thrust23THRUST_200600_302600_NS6detail15normal_iteratorINSA_10device_ptrIxEEEEPS6_SG_NS0_5tupleIJNSA_16discard_iteratorINSA_11use_defaultEEESK_EEENSH_IJSG_SG_EEES6_PlJ7is_evenIxEEEE10hipError_tPvRmT3_T4_T5_T6_T7_T9_mT8_P12ihipStream_tbDpT10_ENKUlT_T0_E_clISt17integral_constantIbLb1EES19_EEDaS14_S15_EUlS14_E_NS1_11comp_targetILNS1_3genE3ELNS1_11target_archE908ELNS1_3gpuE7ELNS1_3repE0EEENS1_30default_config_static_selectorELNS0_4arch9wavefront6targetE1EEEvT1_,@function
_ZN7rocprim17ROCPRIM_400000_NS6detail17trampoline_kernelINS0_14default_configENS1_25partition_config_selectorILNS1_17partition_subalgoE0ExNS0_10empty_typeEbEEZZNS1_14partition_implILS5_0ELb0ES3_jN6thrust23THRUST_200600_302600_NS6detail15normal_iteratorINSA_10device_ptrIxEEEEPS6_SG_NS0_5tupleIJNSA_16discard_iteratorINSA_11use_defaultEEESK_EEENSH_IJSG_SG_EEES6_PlJ7is_evenIxEEEE10hipError_tPvRmT3_T4_T5_T6_T7_T9_mT8_P12ihipStream_tbDpT10_ENKUlT_T0_E_clISt17integral_constantIbLb1EES19_EEDaS14_S15_EUlS14_E_NS1_11comp_targetILNS1_3genE3ELNS1_11target_archE908ELNS1_3gpuE7ELNS1_3repE0EEENS1_30default_config_static_selectorELNS0_4arch9wavefront6targetE1EEEvT1_: ; @_ZN7rocprim17ROCPRIM_400000_NS6detail17trampoline_kernelINS0_14default_configENS1_25partition_config_selectorILNS1_17partition_subalgoE0ExNS0_10empty_typeEbEEZZNS1_14partition_implILS5_0ELb0ES3_jN6thrust23THRUST_200600_302600_NS6detail15normal_iteratorINSA_10device_ptrIxEEEEPS6_SG_NS0_5tupleIJNSA_16discard_iteratorINSA_11use_defaultEEESK_EEENSH_IJSG_SG_EEES6_PlJ7is_evenIxEEEE10hipError_tPvRmT3_T4_T5_T6_T7_T9_mT8_P12ihipStream_tbDpT10_ENKUlT_T0_E_clISt17integral_constantIbLb1EES19_EEDaS14_S15_EUlS14_E_NS1_11comp_targetILNS1_3genE3ELNS1_11target_archE908ELNS1_3gpuE7ELNS1_3repE0EEENS1_30default_config_static_selectorELNS0_4arch9wavefront6targetE1EEEvT1_
; %bb.0:
	.section	.rodata,"a",@progbits
	.p2align	6, 0x0
	.amdhsa_kernel _ZN7rocprim17ROCPRIM_400000_NS6detail17trampoline_kernelINS0_14default_configENS1_25partition_config_selectorILNS1_17partition_subalgoE0ExNS0_10empty_typeEbEEZZNS1_14partition_implILS5_0ELb0ES3_jN6thrust23THRUST_200600_302600_NS6detail15normal_iteratorINSA_10device_ptrIxEEEEPS6_SG_NS0_5tupleIJNSA_16discard_iteratorINSA_11use_defaultEEESK_EEENSH_IJSG_SG_EEES6_PlJ7is_evenIxEEEE10hipError_tPvRmT3_T4_T5_T6_T7_T9_mT8_P12ihipStream_tbDpT10_ENKUlT_T0_E_clISt17integral_constantIbLb1EES19_EEDaS14_S15_EUlS14_E_NS1_11comp_targetILNS1_3genE3ELNS1_11target_archE908ELNS1_3gpuE7ELNS1_3repE0EEENS1_30default_config_static_selectorELNS0_4arch9wavefront6targetE1EEEvT1_
		.amdhsa_group_segment_fixed_size 0
		.amdhsa_private_segment_fixed_size 0
		.amdhsa_kernarg_size 152
		.amdhsa_user_sgpr_count 6
		.amdhsa_user_sgpr_private_segment_buffer 1
		.amdhsa_user_sgpr_dispatch_ptr 0
		.amdhsa_user_sgpr_queue_ptr 0
		.amdhsa_user_sgpr_kernarg_segment_ptr 1
		.amdhsa_user_sgpr_dispatch_id 0
		.amdhsa_user_sgpr_flat_scratch_init 0
		.amdhsa_user_sgpr_kernarg_preload_length 0
		.amdhsa_user_sgpr_kernarg_preload_offset 0
		.amdhsa_user_sgpr_private_segment_size 0
		.amdhsa_uses_dynamic_stack 0
		.amdhsa_system_sgpr_private_segment_wavefront_offset 0
		.amdhsa_system_sgpr_workgroup_id_x 1
		.amdhsa_system_sgpr_workgroup_id_y 0
		.amdhsa_system_sgpr_workgroup_id_z 0
		.amdhsa_system_sgpr_workgroup_info 0
		.amdhsa_system_vgpr_workitem_id 0
		.amdhsa_next_free_vgpr 1
		.amdhsa_next_free_sgpr 0
		.amdhsa_accum_offset 4
		.amdhsa_reserve_vcc 0
		.amdhsa_reserve_flat_scratch 0
		.amdhsa_float_round_mode_32 0
		.amdhsa_float_round_mode_16_64 0
		.amdhsa_float_denorm_mode_32 3
		.amdhsa_float_denorm_mode_16_64 3
		.amdhsa_dx10_clamp 1
		.amdhsa_ieee_mode 1
		.amdhsa_fp16_overflow 0
		.amdhsa_tg_split 0
		.amdhsa_exception_fp_ieee_invalid_op 0
		.amdhsa_exception_fp_denorm_src 0
		.amdhsa_exception_fp_ieee_div_zero 0
		.amdhsa_exception_fp_ieee_overflow 0
		.amdhsa_exception_fp_ieee_underflow 0
		.amdhsa_exception_fp_ieee_inexact 0
		.amdhsa_exception_int_div_zero 0
	.end_amdhsa_kernel
	.section	.text._ZN7rocprim17ROCPRIM_400000_NS6detail17trampoline_kernelINS0_14default_configENS1_25partition_config_selectorILNS1_17partition_subalgoE0ExNS0_10empty_typeEbEEZZNS1_14partition_implILS5_0ELb0ES3_jN6thrust23THRUST_200600_302600_NS6detail15normal_iteratorINSA_10device_ptrIxEEEEPS6_SG_NS0_5tupleIJNSA_16discard_iteratorINSA_11use_defaultEEESK_EEENSH_IJSG_SG_EEES6_PlJ7is_evenIxEEEE10hipError_tPvRmT3_T4_T5_T6_T7_T9_mT8_P12ihipStream_tbDpT10_ENKUlT_T0_E_clISt17integral_constantIbLb1EES19_EEDaS14_S15_EUlS14_E_NS1_11comp_targetILNS1_3genE3ELNS1_11target_archE908ELNS1_3gpuE7ELNS1_3repE0EEENS1_30default_config_static_selectorELNS0_4arch9wavefront6targetE1EEEvT1_,"axG",@progbits,_ZN7rocprim17ROCPRIM_400000_NS6detail17trampoline_kernelINS0_14default_configENS1_25partition_config_selectorILNS1_17partition_subalgoE0ExNS0_10empty_typeEbEEZZNS1_14partition_implILS5_0ELb0ES3_jN6thrust23THRUST_200600_302600_NS6detail15normal_iteratorINSA_10device_ptrIxEEEEPS6_SG_NS0_5tupleIJNSA_16discard_iteratorINSA_11use_defaultEEESK_EEENSH_IJSG_SG_EEES6_PlJ7is_evenIxEEEE10hipError_tPvRmT3_T4_T5_T6_T7_T9_mT8_P12ihipStream_tbDpT10_ENKUlT_T0_E_clISt17integral_constantIbLb1EES19_EEDaS14_S15_EUlS14_E_NS1_11comp_targetILNS1_3genE3ELNS1_11target_archE908ELNS1_3gpuE7ELNS1_3repE0EEENS1_30default_config_static_selectorELNS0_4arch9wavefront6targetE1EEEvT1_,comdat
.Lfunc_end2598:
	.size	_ZN7rocprim17ROCPRIM_400000_NS6detail17trampoline_kernelINS0_14default_configENS1_25partition_config_selectorILNS1_17partition_subalgoE0ExNS0_10empty_typeEbEEZZNS1_14partition_implILS5_0ELb0ES3_jN6thrust23THRUST_200600_302600_NS6detail15normal_iteratorINSA_10device_ptrIxEEEEPS6_SG_NS0_5tupleIJNSA_16discard_iteratorINSA_11use_defaultEEESK_EEENSH_IJSG_SG_EEES6_PlJ7is_evenIxEEEE10hipError_tPvRmT3_T4_T5_T6_T7_T9_mT8_P12ihipStream_tbDpT10_ENKUlT_T0_E_clISt17integral_constantIbLb1EES19_EEDaS14_S15_EUlS14_E_NS1_11comp_targetILNS1_3genE3ELNS1_11target_archE908ELNS1_3gpuE7ELNS1_3repE0EEENS1_30default_config_static_selectorELNS0_4arch9wavefront6targetE1EEEvT1_, .Lfunc_end2598-_ZN7rocprim17ROCPRIM_400000_NS6detail17trampoline_kernelINS0_14default_configENS1_25partition_config_selectorILNS1_17partition_subalgoE0ExNS0_10empty_typeEbEEZZNS1_14partition_implILS5_0ELb0ES3_jN6thrust23THRUST_200600_302600_NS6detail15normal_iteratorINSA_10device_ptrIxEEEEPS6_SG_NS0_5tupleIJNSA_16discard_iteratorINSA_11use_defaultEEESK_EEENSH_IJSG_SG_EEES6_PlJ7is_evenIxEEEE10hipError_tPvRmT3_T4_T5_T6_T7_T9_mT8_P12ihipStream_tbDpT10_ENKUlT_T0_E_clISt17integral_constantIbLb1EES19_EEDaS14_S15_EUlS14_E_NS1_11comp_targetILNS1_3genE3ELNS1_11target_archE908ELNS1_3gpuE7ELNS1_3repE0EEENS1_30default_config_static_selectorELNS0_4arch9wavefront6targetE1EEEvT1_
                                        ; -- End function
	.section	.AMDGPU.csdata,"",@progbits
; Kernel info:
; codeLenInByte = 0
; NumSgprs: 4
; NumVgprs: 0
; NumAgprs: 0
; TotalNumVgprs: 0
; ScratchSize: 0
; MemoryBound: 0
; FloatMode: 240
; IeeeMode: 1
; LDSByteSize: 0 bytes/workgroup (compile time only)
; SGPRBlocks: 0
; VGPRBlocks: 0
; NumSGPRsForWavesPerEU: 4
; NumVGPRsForWavesPerEU: 1
; AccumOffset: 4
; Occupancy: 8
; WaveLimiterHint : 0
; COMPUTE_PGM_RSRC2:SCRATCH_EN: 0
; COMPUTE_PGM_RSRC2:USER_SGPR: 6
; COMPUTE_PGM_RSRC2:TRAP_HANDLER: 0
; COMPUTE_PGM_RSRC2:TGID_X_EN: 1
; COMPUTE_PGM_RSRC2:TGID_Y_EN: 0
; COMPUTE_PGM_RSRC2:TGID_Z_EN: 0
; COMPUTE_PGM_RSRC2:TIDIG_COMP_CNT: 0
; COMPUTE_PGM_RSRC3_GFX90A:ACCUM_OFFSET: 0
; COMPUTE_PGM_RSRC3_GFX90A:TG_SPLIT: 0
	.section	.text._ZN7rocprim17ROCPRIM_400000_NS6detail17trampoline_kernelINS0_14default_configENS1_25partition_config_selectorILNS1_17partition_subalgoE0ExNS0_10empty_typeEbEEZZNS1_14partition_implILS5_0ELb0ES3_jN6thrust23THRUST_200600_302600_NS6detail15normal_iteratorINSA_10device_ptrIxEEEEPS6_SG_NS0_5tupleIJNSA_16discard_iteratorINSA_11use_defaultEEESK_EEENSH_IJSG_SG_EEES6_PlJ7is_evenIxEEEE10hipError_tPvRmT3_T4_T5_T6_T7_T9_mT8_P12ihipStream_tbDpT10_ENKUlT_T0_E_clISt17integral_constantIbLb1EES19_EEDaS14_S15_EUlS14_E_NS1_11comp_targetILNS1_3genE2ELNS1_11target_archE906ELNS1_3gpuE6ELNS1_3repE0EEENS1_30default_config_static_selectorELNS0_4arch9wavefront6targetE1EEEvT1_,"axG",@progbits,_ZN7rocprim17ROCPRIM_400000_NS6detail17trampoline_kernelINS0_14default_configENS1_25partition_config_selectorILNS1_17partition_subalgoE0ExNS0_10empty_typeEbEEZZNS1_14partition_implILS5_0ELb0ES3_jN6thrust23THRUST_200600_302600_NS6detail15normal_iteratorINSA_10device_ptrIxEEEEPS6_SG_NS0_5tupleIJNSA_16discard_iteratorINSA_11use_defaultEEESK_EEENSH_IJSG_SG_EEES6_PlJ7is_evenIxEEEE10hipError_tPvRmT3_T4_T5_T6_T7_T9_mT8_P12ihipStream_tbDpT10_ENKUlT_T0_E_clISt17integral_constantIbLb1EES19_EEDaS14_S15_EUlS14_E_NS1_11comp_targetILNS1_3genE2ELNS1_11target_archE906ELNS1_3gpuE6ELNS1_3repE0EEENS1_30default_config_static_selectorELNS0_4arch9wavefront6targetE1EEEvT1_,comdat
	.protected	_ZN7rocprim17ROCPRIM_400000_NS6detail17trampoline_kernelINS0_14default_configENS1_25partition_config_selectorILNS1_17partition_subalgoE0ExNS0_10empty_typeEbEEZZNS1_14partition_implILS5_0ELb0ES3_jN6thrust23THRUST_200600_302600_NS6detail15normal_iteratorINSA_10device_ptrIxEEEEPS6_SG_NS0_5tupleIJNSA_16discard_iteratorINSA_11use_defaultEEESK_EEENSH_IJSG_SG_EEES6_PlJ7is_evenIxEEEE10hipError_tPvRmT3_T4_T5_T6_T7_T9_mT8_P12ihipStream_tbDpT10_ENKUlT_T0_E_clISt17integral_constantIbLb1EES19_EEDaS14_S15_EUlS14_E_NS1_11comp_targetILNS1_3genE2ELNS1_11target_archE906ELNS1_3gpuE6ELNS1_3repE0EEENS1_30default_config_static_selectorELNS0_4arch9wavefront6targetE1EEEvT1_ ; -- Begin function _ZN7rocprim17ROCPRIM_400000_NS6detail17trampoline_kernelINS0_14default_configENS1_25partition_config_selectorILNS1_17partition_subalgoE0ExNS0_10empty_typeEbEEZZNS1_14partition_implILS5_0ELb0ES3_jN6thrust23THRUST_200600_302600_NS6detail15normal_iteratorINSA_10device_ptrIxEEEEPS6_SG_NS0_5tupleIJNSA_16discard_iteratorINSA_11use_defaultEEESK_EEENSH_IJSG_SG_EEES6_PlJ7is_evenIxEEEE10hipError_tPvRmT3_T4_T5_T6_T7_T9_mT8_P12ihipStream_tbDpT10_ENKUlT_T0_E_clISt17integral_constantIbLb1EES19_EEDaS14_S15_EUlS14_E_NS1_11comp_targetILNS1_3genE2ELNS1_11target_archE906ELNS1_3gpuE6ELNS1_3repE0EEENS1_30default_config_static_selectorELNS0_4arch9wavefront6targetE1EEEvT1_
	.globl	_ZN7rocprim17ROCPRIM_400000_NS6detail17trampoline_kernelINS0_14default_configENS1_25partition_config_selectorILNS1_17partition_subalgoE0ExNS0_10empty_typeEbEEZZNS1_14partition_implILS5_0ELb0ES3_jN6thrust23THRUST_200600_302600_NS6detail15normal_iteratorINSA_10device_ptrIxEEEEPS6_SG_NS0_5tupleIJNSA_16discard_iteratorINSA_11use_defaultEEESK_EEENSH_IJSG_SG_EEES6_PlJ7is_evenIxEEEE10hipError_tPvRmT3_T4_T5_T6_T7_T9_mT8_P12ihipStream_tbDpT10_ENKUlT_T0_E_clISt17integral_constantIbLb1EES19_EEDaS14_S15_EUlS14_E_NS1_11comp_targetILNS1_3genE2ELNS1_11target_archE906ELNS1_3gpuE6ELNS1_3repE0EEENS1_30default_config_static_selectorELNS0_4arch9wavefront6targetE1EEEvT1_
	.p2align	8
	.type	_ZN7rocprim17ROCPRIM_400000_NS6detail17trampoline_kernelINS0_14default_configENS1_25partition_config_selectorILNS1_17partition_subalgoE0ExNS0_10empty_typeEbEEZZNS1_14partition_implILS5_0ELb0ES3_jN6thrust23THRUST_200600_302600_NS6detail15normal_iteratorINSA_10device_ptrIxEEEEPS6_SG_NS0_5tupleIJNSA_16discard_iteratorINSA_11use_defaultEEESK_EEENSH_IJSG_SG_EEES6_PlJ7is_evenIxEEEE10hipError_tPvRmT3_T4_T5_T6_T7_T9_mT8_P12ihipStream_tbDpT10_ENKUlT_T0_E_clISt17integral_constantIbLb1EES19_EEDaS14_S15_EUlS14_E_NS1_11comp_targetILNS1_3genE2ELNS1_11target_archE906ELNS1_3gpuE6ELNS1_3repE0EEENS1_30default_config_static_selectorELNS0_4arch9wavefront6targetE1EEEvT1_,@function
_ZN7rocprim17ROCPRIM_400000_NS6detail17trampoline_kernelINS0_14default_configENS1_25partition_config_selectorILNS1_17partition_subalgoE0ExNS0_10empty_typeEbEEZZNS1_14partition_implILS5_0ELb0ES3_jN6thrust23THRUST_200600_302600_NS6detail15normal_iteratorINSA_10device_ptrIxEEEEPS6_SG_NS0_5tupleIJNSA_16discard_iteratorINSA_11use_defaultEEESK_EEENSH_IJSG_SG_EEES6_PlJ7is_evenIxEEEE10hipError_tPvRmT3_T4_T5_T6_T7_T9_mT8_P12ihipStream_tbDpT10_ENKUlT_T0_E_clISt17integral_constantIbLb1EES19_EEDaS14_S15_EUlS14_E_NS1_11comp_targetILNS1_3genE2ELNS1_11target_archE906ELNS1_3gpuE6ELNS1_3repE0EEENS1_30default_config_static_selectorELNS0_4arch9wavefront6targetE1EEEvT1_: ; @_ZN7rocprim17ROCPRIM_400000_NS6detail17trampoline_kernelINS0_14default_configENS1_25partition_config_selectorILNS1_17partition_subalgoE0ExNS0_10empty_typeEbEEZZNS1_14partition_implILS5_0ELb0ES3_jN6thrust23THRUST_200600_302600_NS6detail15normal_iteratorINSA_10device_ptrIxEEEEPS6_SG_NS0_5tupleIJNSA_16discard_iteratorINSA_11use_defaultEEESK_EEENSH_IJSG_SG_EEES6_PlJ7is_evenIxEEEE10hipError_tPvRmT3_T4_T5_T6_T7_T9_mT8_P12ihipStream_tbDpT10_ENKUlT_T0_E_clISt17integral_constantIbLb1EES19_EEDaS14_S15_EUlS14_E_NS1_11comp_targetILNS1_3genE2ELNS1_11target_archE906ELNS1_3gpuE6ELNS1_3repE0EEENS1_30default_config_static_selectorELNS0_4arch9wavefront6targetE1EEEvT1_
; %bb.0:
	.section	.rodata,"a",@progbits
	.p2align	6, 0x0
	.amdhsa_kernel _ZN7rocprim17ROCPRIM_400000_NS6detail17trampoline_kernelINS0_14default_configENS1_25partition_config_selectorILNS1_17partition_subalgoE0ExNS0_10empty_typeEbEEZZNS1_14partition_implILS5_0ELb0ES3_jN6thrust23THRUST_200600_302600_NS6detail15normal_iteratorINSA_10device_ptrIxEEEEPS6_SG_NS0_5tupleIJNSA_16discard_iteratorINSA_11use_defaultEEESK_EEENSH_IJSG_SG_EEES6_PlJ7is_evenIxEEEE10hipError_tPvRmT3_T4_T5_T6_T7_T9_mT8_P12ihipStream_tbDpT10_ENKUlT_T0_E_clISt17integral_constantIbLb1EES19_EEDaS14_S15_EUlS14_E_NS1_11comp_targetILNS1_3genE2ELNS1_11target_archE906ELNS1_3gpuE6ELNS1_3repE0EEENS1_30default_config_static_selectorELNS0_4arch9wavefront6targetE1EEEvT1_
		.amdhsa_group_segment_fixed_size 0
		.amdhsa_private_segment_fixed_size 0
		.amdhsa_kernarg_size 152
		.amdhsa_user_sgpr_count 6
		.amdhsa_user_sgpr_private_segment_buffer 1
		.amdhsa_user_sgpr_dispatch_ptr 0
		.amdhsa_user_sgpr_queue_ptr 0
		.amdhsa_user_sgpr_kernarg_segment_ptr 1
		.amdhsa_user_sgpr_dispatch_id 0
		.amdhsa_user_sgpr_flat_scratch_init 0
		.amdhsa_user_sgpr_kernarg_preload_length 0
		.amdhsa_user_sgpr_kernarg_preload_offset 0
		.amdhsa_user_sgpr_private_segment_size 0
		.amdhsa_uses_dynamic_stack 0
		.amdhsa_system_sgpr_private_segment_wavefront_offset 0
		.amdhsa_system_sgpr_workgroup_id_x 1
		.amdhsa_system_sgpr_workgroup_id_y 0
		.amdhsa_system_sgpr_workgroup_id_z 0
		.amdhsa_system_sgpr_workgroup_info 0
		.amdhsa_system_vgpr_workitem_id 0
		.amdhsa_next_free_vgpr 1
		.amdhsa_next_free_sgpr 0
		.amdhsa_accum_offset 4
		.amdhsa_reserve_vcc 0
		.amdhsa_reserve_flat_scratch 0
		.amdhsa_float_round_mode_32 0
		.amdhsa_float_round_mode_16_64 0
		.amdhsa_float_denorm_mode_32 3
		.amdhsa_float_denorm_mode_16_64 3
		.amdhsa_dx10_clamp 1
		.amdhsa_ieee_mode 1
		.amdhsa_fp16_overflow 0
		.amdhsa_tg_split 0
		.amdhsa_exception_fp_ieee_invalid_op 0
		.amdhsa_exception_fp_denorm_src 0
		.amdhsa_exception_fp_ieee_div_zero 0
		.amdhsa_exception_fp_ieee_overflow 0
		.amdhsa_exception_fp_ieee_underflow 0
		.amdhsa_exception_fp_ieee_inexact 0
		.amdhsa_exception_int_div_zero 0
	.end_amdhsa_kernel
	.section	.text._ZN7rocprim17ROCPRIM_400000_NS6detail17trampoline_kernelINS0_14default_configENS1_25partition_config_selectorILNS1_17partition_subalgoE0ExNS0_10empty_typeEbEEZZNS1_14partition_implILS5_0ELb0ES3_jN6thrust23THRUST_200600_302600_NS6detail15normal_iteratorINSA_10device_ptrIxEEEEPS6_SG_NS0_5tupleIJNSA_16discard_iteratorINSA_11use_defaultEEESK_EEENSH_IJSG_SG_EEES6_PlJ7is_evenIxEEEE10hipError_tPvRmT3_T4_T5_T6_T7_T9_mT8_P12ihipStream_tbDpT10_ENKUlT_T0_E_clISt17integral_constantIbLb1EES19_EEDaS14_S15_EUlS14_E_NS1_11comp_targetILNS1_3genE2ELNS1_11target_archE906ELNS1_3gpuE6ELNS1_3repE0EEENS1_30default_config_static_selectorELNS0_4arch9wavefront6targetE1EEEvT1_,"axG",@progbits,_ZN7rocprim17ROCPRIM_400000_NS6detail17trampoline_kernelINS0_14default_configENS1_25partition_config_selectorILNS1_17partition_subalgoE0ExNS0_10empty_typeEbEEZZNS1_14partition_implILS5_0ELb0ES3_jN6thrust23THRUST_200600_302600_NS6detail15normal_iteratorINSA_10device_ptrIxEEEEPS6_SG_NS0_5tupleIJNSA_16discard_iteratorINSA_11use_defaultEEESK_EEENSH_IJSG_SG_EEES6_PlJ7is_evenIxEEEE10hipError_tPvRmT3_T4_T5_T6_T7_T9_mT8_P12ihipStream_tbDpT10_ENKUlT_T0_E_clISt17integral_constantIbLb1EES19_EEDaS14_S15_EUlS14_E_NS1_11comp_targetILNS1_3genE2ELNS1_11target_archE906ELNS1_3gpuE6ELNS1_3repE0EEENS1_30default_config_static_selectorELNS0_4arch9wavefront6targetE1EEEvT1_,comdat
.Lfunc_end2599:
	.size	_ZN7rocprim17ROCPRIM_400000_NS6detail17trampoline_kernelINS0_14default_configENS1_25partition_config_selectorILNS1_17partition_subalgoE0ExNS0_10empty_typeEbEEZZNS1_14partition_implILS5_0ELb0ES3_jN6thrust23THRUST_200600_302600_NS6detail15normal_iteratorINSA_10device_ptrIxEEEEPS6_SG_NS0_5tupleIJNSA_16discard_iteratorINSA_11use_defaultEEESK_EEENSH_IJSG_SG_EEES6_PlJ7is_evenIxEEEE10hipError_tPvRmT3_T4_T5_T6_T7_T9_mT8_P12ihipStream_tbDpT10_ENKUlT_T0_E_clISt17integral_constantIbLb1EES19_EEDaS14_S15_EUlS14_E_NS1_11comp_targetILNS1_3genE2ELNS1_11target_archE906ELNS1_3gpuE6ELNS1_3repE0EEENS1_30default_config_static_selectorELNS0_4arch9wavefront6targetE1EEEvT1_, .Lfunc_end2599-_ZN7rocprim17ROCPRIM_400000_NS6detail17trampoline_kernelINS0_14default_configENS1_25partition_config_selectorILNS1_17partition_subalgoE0ExNS0_10empty_typeEbEEZZNS1_14partition_implILS5_0ELb0ES3_jN6thrust23THRUST_200600_302600_NS6detail15normal_iteratorINSA_10device_ptrIxEEEEPS6_SG_NS0_5tupleIJNSA_16discard_iteratorINSA_11use_defaultEEESK_EEENSH_IJSG_SG_EEES6_PlJ7is_evenIxEEEE10hipError_tPvRmT3_T4_T5_T6_T7_T9_mT8_P12ihipStream_tbDpT10_ENKUlT_T0_E_clISt17integral_constantIbLb1EES19_EEDaS14_S15_EUlS14_E_NS1_11comp_targetILNS1_3genE2ELNS1_11target_archE906ELNS1_3gpuE6ELNS1_3repE0EEENS1_30default_config_static_selectorELNS0_4arch9wavefront6targetE1EEEvT1_
                                        ; -- End function
	.section	.AMDGPU.csdata,"",@progbits
; Kernel info:
; codeLenInByte = 0
; NumSgprs: 4
; NumVgprs: 0
; NumAgprs: 0
; TotalNumVgprs: 0
; ScratchSize: 0
; MemoryBound: 0
; FloatMode: 240
; IeeeMode: 1
; LDSByteSize: 0 bytes/workgroup (compile time only)
; SGPRBlocks: 0
; VGPRBlocks: 0
; NumSGPRsForWavesPerEU: 4
; NumVGPRsForWavesPerEU: 1
; AccumOffset: 4
; Occupancy: 8
; WaveLimiterHint : 0
; COMPUTE_PGM_RSRC2:SCRATCH_EN: 0
; COMPUTE_PGM_RSRC2:USER_SGPR: 6
; COMPUTE_PGM_RSRC2:TRAP_HANDLER: 0
; COMPUTE_PGM_RSRC2:TGID_X_EN: 1
; COMPUTE_PGM_RSRC2:TGID_Y_EN: 0
; COMPUTE_PGM_RSRC2:TGID_Z_EN: 0
; COMPUTE_PGM_RSRC2:TIDIG_COMP_CNT: 0
; COMPUTE_PGM_RSRC3_GFX90A:ACCUM_OFFSET: 0
; COMPUTE_PGM_RSRC3_GFX90A:TG_SPLIT: 0
	.section	.text._ZN7rocprim17ROCPRIM_400000_NS6detail17trampoline_kernelINS0_14default_configENS1_25partition_config_selectorILNS1_17partition_subalgoE0ExNS0_10empty_typeEbEEZZNS1_14partition_implILS5_0ELb0ES3_jN6thrust23THRUST_200600_302600_NS6detail15normal_iteratorINSA_10device_ptrIxEEEEPS6_SG_NS0_5tupleIJNSA_16discard_iteratorINSA_11use_defaultEEESK_EEENSH_IJSG_SG_EEES6_PlJ7is_evenIxEEEE10hipError_tPvRmT3_T4_T5_T6_T7_T9_mT8_P12ihipStream_tbDpT10_ENKUlT_T0_E_clISt17integral_constantIbLb1EES19_EEDaS14_S15_EUlS14_E_NS1_11comp_targetILNS1_3genE10ELNS1_11target_archE1200ELNS1_3gpuE4ELNS1_3repE0EEENS1_30default_config_static_selectorELNS0_4arch9wavefront6targetE1EEEvT1_,"axG",@progbits,_ZN7rocprim17ROCPRIM_400000_NS6detail17trampoline_kernelINS0_14default_configENS1_25partition_config_selectorILNS1_17partition_subalgoE0ExNS0_10empty_typeEbEEZZNS1_14partition_implILS5_0ELb0ES3_jN6thrust23THRUST_200600_302600_NS6detail15normal_iteratorINSA_10device_ptrIxEEEEPS6_SG_NS0_5tupleIJNSA_16discard_iteratorINSA_11use_defaultEEESK_EEENSH_IJSG_SG_EEES6_PlJ7is_evenIxEEEE10hipError_tPvRmT3_T4_T5_T6_T7_T9_mT8_P12ihipStream_tbDpT10_ENKUlT_T0_E_clISt17integral_constantIbLb1EES19_EEDaS14_S15_EUlS14_E_NS1_11comp_targetILNS1_3genE10ELNS1_11target_archE1200ELNS1_3gpuE4ELNS1_3repE0EEENS1_30default_config_static_selectorELNS0_4arch9wavefront6targetE1EEEvT1_,comdat
	.protected	_ZN7rocprim17ROCPRIM_400000_NS6detail17trampoline_kernelINS0_14default_configENS1_25partition_config_selectorILNS1_17partition_subalgoE0ExNS0_10empty_typeEbEEZZNS1_14partition_implILS5_0ELb0ES3_jN6thrust23THRUST_200600_302600_NS6detail15normal_iteratorINSA_10device_ptrIxEEEEPS6_SG_NS0_5tupleIJNSA_16discard_iteratorINSA_11use_defaultEEESK_EEENSH_IJSG_SG_EEES6_PlJ7is_evenIxEEEE10hipError_tPvRmT3_T4_T5_T6_T7_T9_mT8_P12ihipStream_tbDpT10_ENKUlT_T0_E_clISt17integral_constantIbLb1EES19_EEDaS14_S15_EUlS14_E_NS1_11comp_targetILNS1_3genE10ELNS1_11target_archE1200ELNS1_3gpuE4ELNS1_3repE0EEENS1_30default_config_static_selectorELNS0_4arch9wavefront6targetE1EEEvT1_ ; -- Begin function _ZN7rocprim17ROCPRIM_400000_NS6detail17trampoline_kernelINS0_14default_configENS1_25partition_config_selectorILNS1_17partition_subalgoE0ExNS0_10empty_typeEbEEZZNS1_14partition_implILS5_0ELb0ES3_jN6thrust23THRUST_200600_302600_NS6detail15normal_iteratorINSA_10device_ptrIxEEEEPS6_SG_NS0_5tupleIJNSA_16discard_iteratorINSA_11use_defaultEEESK_EEENSH_IJSG_SG_EEES6_PlJ7is_evenIxEEEE10hipError_tPvRmT3_T4_T5_T6_T7_T9_mT8_P12ihipStream_tbDpT10_ENKUlT_T0_E_clISt17integral_constantIbLb1EES19_EEDaS14_S15_EUlS14_E_NS1_11comp_targetILNS1_3genE10ELNS1_11target_archE1200ELNS1_3gpuE4ELNS1_3repE0EEENS1_30default_config_static_selectorELNS0_4arch9wavefront6targetE1EEEvT1_
	.globl	_ZN7rocprim17ROCPRIM_400000_NS6detail17trampoline_kernelINS0_14default_configENS1_25partition_config_selectorILNS1_17partition_subalgoE0ExNS0_10empty_typeEbEEZZNS1_14partition_implILS5_0ELb0ES3_jN6thrust23THRUST_200600_302600_NS6detail15normal_iteratorINSA_10device_ptrIxEEEEPS6_SG_NS0_5tupleIJNSA_16discard_iteratorINSA_11use_defaultEEESK_EEENSH_IJSG_SG_EEES6_PlJ7is_evenIxEEEE10hipError_tPvRmT3_T4_T5_T6_T7_T9_mT8_P12ihipStream_tbDpT10_ENKUlT_T0_E_clISt17integral_constantIbLb1EES19_EEDaS14_S15_EUlS14_E_NS1_11comp_targetILNS1_3genE10ELNS1_11target_archE1200ELNS1_3gpuE4ELNS1_3repE0EEENS1_30default_config_static_selectorELNS0_4arch9wavefront6targetE1EEEvT1_
	.p2align	8
	.type	_ZN7rocprim17ROCPRIM_400000_NS6detail17trampoline_kernelINS0_14default_configENS1_25partition_config_selectorILNS1_17partition_subalgoE0ExNS0_10empty_typeEbEEZZNS1_14partition_implILS5_0ELb0ES3_jN6thrust23THRUST_200600_302600_NS6detail15normal_iteratorINSA_10device_ptrIxEEEEPS6_SG_NS0_5tupleIJNSA_16discard_iteratorINSA_11use_defaultEEESK_EEENSH_IJSG_SG_EEES6_PlJ7is_evenIxEEEE10hipError_tPvRmT3_T4_T5_T6_T7_T9_mT8_P12ihipStream_tbDpT10_ENKUlT_T0_E_clISt17integral_constantIbLb1EES19_EEDaS14_S15_EUlS14_E_NS1_11comp_targetILNS1_3genE10ELNS1_11target_archE1200ELNS1_3gpuE4ELNS1_3repE0EEENS1_30default_config_static_selectorELNS0_4arch9wavefront6targetE1EEEvT1_,@function
_ZN7rocprim17ROCPRIM_400000_NS6detail17trampoline_kernelINS0_14default_configENS1_25partition_config_selectorILNS1_17partition_subalgoE0ExNS0_10empty_typeEbEEZZNS1_14partition_implILS5_0ELb0ES3_jN6thrust23THRUST_200600_302600_NS6detail15normal_iteratorINSA_10device_ptrIxEEEEPS6_SG_NS0_5tupleIJNSA_16discard_iteratorINSA_11use_defaultEEESK_EEENSH_IJSG_SG_EEES6_PlJ7is_evenIxEEEE10hipError_tPvRmT3_T4_T5_T6_T7_T9_mT8_P12ihipStream_tbDpT10_ENKUlT_T0_E_clISt17integral_constantIbLb1EES19_EEDaS14_S15_EUlS14_E_NS1_11comp_targetILNS1_3genE10ELNS1_11target_archE1200ELNS1_3gpuE4ELNS1_3repE0EEENS1_30default_config_static_selectorELNS0_4arch9wavefront6targetE1EEEvT1_: ; @_ZN7rocprim17ROCPRIM_400000_NS6detail17trampoline_kernelINS0_14default_configENS1_25partition_config_selectorILNS1_17partition_subalgoE0ExNS0_10empty_typeEbEEZZNS1_14partition_implILS5_0ELb0ES3_jN6thrust23THRUST_200600_302600_NS6detail15normal_iteratorINSA_10device_ptrIxEEEEPS6_SG_NS0_5tupleIJNSA_16discard_iteratorINSA_11use_defaultEEESK_EEENSH_IJSG_SG_EEES6_PlJ7is_evenIxEEEE10hipError_tPvRmT3_T4_T5_T6_T7_T9_mT8_P12ihipStream_tbDpT10_ENKUlT_T0_E_clISt17integral_constantIbLb1EES19_EEDaS14_S15_EUlS14_E_NS1_11comp_targetILNS1_3genE10ELNS1_11target_archE1200ELNS1_3gpuE4ELNS1_3repE0EEENS1_30default_config_static_selectorELNS0_4arch9wavefront6targetE1EEEvT1_
; %bb.0:
	.section	.rodata,"a",@progbits
	.p2align	6, 0x0
	.amdhsa_kernel _ZN7rocprim17ROCPRIM_400000_NS6detail17trampoline_kernelINS0_14default_configENS1_25partition_config_selectorILNS1_17partition_subalgoE0ExNS0_10empty_typeEbEEZZNS1_14partition_implILS5_0ELb0ES3_jN6thrust23THRUST_200600_302600_NS6detail15normal_iteratorINSA_10device_ptrIxEEEEPS6_SG_NS0_5tupleIJNSA_16discard_iteratorINSA_11use_defaultEEESK_EEENSH_IJSG_SG_EEES6_PlJ7is_evenIxEEEE10hipError_tPvRmT3_T4_T5_T6_T7_T9_mT8_P12ihipStream_tbDpT10_ENKUlT_T0_E_clISt17integral_constantIbLb1EES19_EEDaS14_S15_EUlS14_E_NS1_11comp_targetILNS1_3genE10ELNS1_11target_archE1200ELNS1_3gpuE4ELNS1_3repE0EEENS1_30default_config_static_selectorELNS0_4arch9wavefront6targetE1EEEvT1_
		.amdhsa_group_segment_fixed_size 0
		.amdhsa_private_segment_fixed_size 0
		.amdhsa_kernarg_size 152
		.amdhsa_user_sgpr_count 6
		.amdhsa_user_sgpr_private_segment_buffer 1
		.amdhsa_user_sgpr_dispatch_ptr 0
		.amdhsa_user_sgpr_queue_ptr 0
		.amdhsa_user_sgpr_kernarg_segment_ptr 1
		.amdhsa_user_sgpr_dispatch_id 0
		.amdhsa_user_sgpr_flat_scratch_init 0
		.amdhsa_user_sgpr_kernarg_preload_length 0
		.amdhsa_user_sgpr_kernarg_preload_offset 0
		.amdhsa_user_sgpr_private_segment_size 0
		.amdhsa_uses_dynamic_stack 0
		.amdhsa_system_sgpr_private_segment_wavefront_offset 0
		.amdhsa_system_sgpr_workgroup_id_x 1
		.amdhsa_system_sgpr_workgroup_id_y 0
		.amdhsa_system_sgpr_workgroup_id_z 0
		.amdhsa_system_sgpr_workgroup_info 0
		.amdhsa_system_vgpr_workitem_id 0
		.amdhsa_next_free_vgpr 1
		.amdhsa_next_free_sgpr 0
		.amdhsa_accum_offset 4
		.amdhsa_reserve_vcc 0
		.amdhsa_reserve_flat_scratch 0
		.amdhsa_float_round_mode_32 0
		.amdhsa_float_round_mode_16_64 0
		.amdhsa_float_denorm_mode_32 3
		.amdhsa_float_denorm_mode_16_64 3
		.amdhsa_dx10_clamp 1
		.amdhsa_ieee_mode 1
		.amdhsa_fp16_overflow 0
		.amdhsa_tg_split 0
		.amdhsa_exception_fp_ieee_invalid_op 0
		.amdhsa_exception_fp_denorm_src 0
		.amdhsa_exception_fp_ieee_div_zero 0
		.amdhsa_exception_fp_ieee_overflow 0
		.amdhsa_exception_fp_ieee_underflow 0
		.amdhsa_exception_fp_ieee_inexact 0
		.amdhsa_exception_int_div_zero 0
	.end_amdhsa_kernel
	.section	.text._ZN7rocprim17ROCPRIM_400000_NS6detail17trampoline_kernelINS0_14default_configENS1_25partition_config_selectorILNS1_17partition_subalgoE0ExNS0_10empty_typeEbEEZZNS1_14partition_implILS5_0ELb0ES3_jN6thrust23THRUST_200600_302600_NS6detail15normal_iteratorINSA_10device_ptrIxEEEEPS6_SG_NS0_5tupleIJNSA_16discard_iteratorINSA_11use_defaultEEESK_EEENSH_IJSG_SG_EEES6_PlJ7is_evenIxEEEE10hipError_tPvRmT3_T4_T5_T6_T7_T9_mT8_P12ihipStream_tbDpT10_ENKUlT_T0_E_clISt17integral_constantIbLb1EES19_EEDaS14_S15_EUlS14_E_NS1_11comp_targetILNS1_3genE10ELNS1_11target_archE1200ELNS1_3gpuE4ELNS1_3repE0EEENS1_30default_config_static_selectorELNS0_4arch9wavefront6targetE1EEEvT1_,"axG",@progbits,_ZN7rocprim17ROCPRIM_400000_NS6detail17trampoline_kernelINS0_14default_configENS1_25partition_config_selectorILNS1_17partition_subalgoE0ExNS0_10empty_typeEbEEZZNS1_14partition_implILS5_0ELb0ES3_jN6thrust23THRUST_200600_302600_NS6detail15normal_iteratorINSA_10device_ptrIxEEEEPS6_SG_NS0_5tupleIJNSA_16discard_iteratorINSA_11use_defaultEEESK_EEENSH_IJSG_SG_EEES6_PlJ7is_evenIxEEEE10hipError_tPvRmT3_T4_T5_T6_T7_T9_mT8_P12ihipStream_tbDpT10_ENKUlT_T0_E_clISt17integral_constantIbLb1EES19_EEDaS14_S15_EUlS14_E_NS1_11comp_targetILNS1_3genE10ELNS1_11target_archE1200ELNS1_3gpuE4ELNS1_3repE0EEENS1_30default_config_static_selectorELNS0_4arch9wavefront6targetE1EEEvT1_,comdat
.Lfunc_end2600:
	.size	_ZN7rocprim17ROCPRIM_400000_NS6detail17trampoline_kernelINS0_14default_configENS1_25partition_config_selectorILNS1_17partition_subalgoE0ExNS0_10empty_typeEbEEZZNS1_14partition_implILS5_0ELb0ES3_jN6thrust23THRUST_200600_302600_NS6detail15normal_iteratorINSA_10device_ptrIxEEEEPS6_SG_NS0_5tupleIJNSA_16discard_iteratorINSA_11use_defaultEEESK_EEENSH_IJSG_SG_EEES6_PlJ7is_evenIxEEEE10hipError_tPvRmT3_T4_T5_T6_T7_T9_mT8_P12ihipStream_tbDpT10_ENKUlT_T0_E_clISt17integral_constantIbLb1EES19_EEDaS14_S15_EUlS14_E_NS1_11comp_targetILNS1_3genE10ELNS1_11target_archE1200ELNS1_3gpuE4ELNS1_3repE0EEENS1_30default_config_static_selectorELNS0_4arch9wavefront6targetE1EEEvT1_, .Lfunc_end2600-_ZN7rocprim17ROCPRIM_400000_NS6detail17trampoline_kernelINS0_14default_configENS1_25partition_config_selectorILNS1_17partition_subalgoE0ExNS0_10empty_typeEbEEZZNS1_14partition_implILS5_0ELb0ES3_jN6thrust23THRUST_200600_302600_NS6detail15normal_iteratorINSA_10device_ptrIxEEEEPS6_SG_NS0_5tupleIJNSA_16discard_iteratorINSA_11use_defaultEEESK_EEENSH_IJSG_SG_EEES6_PlJ7is_evenIxEEEE10hipError_tPvRmT3_T4_T5_T6_T7_T9_mT8_P12ihipStream_tbDpT10_ENKUlT_T0_E_clISt17integral_constantIbLb1EES19_EEDaS14_S15_EUlS14_E_NS1_11comp_targetILNS1_3genE10ELNS1_11target_archE1200ELNS1_3gpuE4ELNS1_3repE0EEENS1_30default_config_static_selectorELNS0_4arch9wavefront6targetE1EEEvT1_
                                        ; -- End function
	.section	.AMDGPU.csdata,"",@progbits
; Kernel info:
; codeLenInByte = 0
; NumSgprs: 4
; NumVgprs: 0
; NumAgprs: 0
; TotalNumVgprs: 0
; ScratchSize: 0
; MemoryBound: 0
; FloatMode: 240
; IeeeMode: 1
; LDSByteSize: 0 bytes/workgroup (compile time only)
; SGPRBlocks: 0
; VGPRBlocks: 0
; NumSGPRsForWavesPerEU: 4
; NumVGPRsForWavesPerEU: 1
; AccumOffset: 4
; Occupancy: 8
; WaveLimiterHint : 0
; COMPUTE_PGM_RSRC2:SCRATCH_EN: 0
; COMPUTE_PGM_RSRC2:USER_SGPR: 6
; COMPUTE_PGM_RSRC2:TRAP_HANDLER: 0
; COMPUTE_PGM_RSRC2:TGID_X_EN: 1
; COMPUTE_PGM_RSRC2:TGID_Y_EN: 0
; COMPUTE_PGM_RSRC2:TGID_Z_EN: 0
; COMPUTE_PGM_RSRC2:TIDIG_COMP_CNT: 0
; COMPUTE_PGM_RSRC3_GFX90A:ACCUM_OFFSET: 0
; COMPUTE_PGM_RSRC3_GFX90A:TG_SPLIT: 0
	.section	.text._ZN7rocprim17ROCPRIM_400000_NS6detail17trampoline_kernelINS0_14default_configENS1_25partition_config_selectorILNS1_17partition_subalgoE0ExNS0_10empty_typeEbEEZZNS1_14partition_implILS5_0ELb0ES3_jN6thrust23THRUST_200600_302600_NS6detail15normal_iteratorINSA_10device_ptrIxEEEEPS6_SG_NS0_5tupleIJNSA_16discard_iteratorINSA_11use_defaultEEESK_EEENSH_IJSG_SG_EEES6_PlJ7is_evenIxEEEE10hipError_tPvRmT3_T4_T5_T6_T7_T9_mT8_P12ihipStream_tbDpT10_ENKUlT_T0_E_clISt17integral_constantIbLb1EES19_EEDaS14_S15_EUlS14_E_NS1_11comp_targetILNS1_3genE9ELNS1_11target_archE1100ELNS1_3gpuE3ELNS1_3repE0EEENS1_30default_config_static_selectorELNS0_4arch9wavefront6targetE1EEEvT1_,"axG",@progbits,_ZN7rocprim17ROCPRIM_400000_NS6detail17trampoline_kernelINS0_14default_configENS1_25partition_config_selectorILNS1_17partition_subalgoE0ExNS0_10empty_typeEbEEZZNS1_14partition_implILS5_0ELb0ES3_jN6thrust23THRUST_200600_302600_NS6detail15normal_iteratorINSA_10device_ptrIxEEEEPS6_SG_NS0_5tupleIJNSA_16discard_iteratorINSA_11use_defaultEEESK_EEENSH_IJSG_SG_EEES6_PlJ7is_evenIxEEEE10hipError_tPvRmT3_T4_T5_T6_T7_T9_mT8_P12ihipStream_tbDpT10_ENKUlT_T0_E_clISt17integral_constantIbLb1EES19_EEDaS14_S15_EUlS14_E_NS1_11comp_targetILNS1_3genE9ELNS1_11target_archE1100ELNS1_3gpuE3ELNS1_3repE0EEENS1_30default_config_static_selectorELNS0_4arch9wavefront6targetE1EEEvT1_,comdat
	.protected	_ZN7rocprim17ROCPRIM_400000_NS6detail17trampoline_kernelINS0_14default_configENS1_25partition_config_selectorILNS1_17partition_subalgoE0ExNS0_10empty_typeEbEEZZNS1_14partition_implILS5_0ELb0ES3_jN6thrust23THRUST_200600_302600_NS6detail15normal_iteratorINSA_10device_ptrIxEEEEPS6_SG_NS0_5tupleIJNSA_16discard_iteratorINSA_11use_defaultEEESK_EEENSH_IJSG_SG_EEES6_PlJ7is_evenIxEEEE10hipError_tPvRmT3_T4_T5_T6_T7_T9_mT8_P12ihipStream_tbDpT10_ENKUlT_T0_E_clISt17integral_constantIbLb1EES19_EEDaS14_S15_EUlS14_E_NS1_11comp_targetILNS1_3genE9ELNS1_11target_archE1100ELNS1_3gpuE3ELNS1_3repE0EEENS1_30default_config_static_selectorELNS0_4arch9wavefront6targetE1EEEvT1_ ; -- Begin function _ZN7rocprim17ROCPRIM_400000_NS6detail17trampoline_kernelINS0_14default_configENS1_25partition_config_selectorILNS1_17partition_subalgoE0ExNS0_10empty_typeEbEEZZNS1_14partition_implILS5_0ELb0ES3_jN6thrust23THRUST_200600_302600_NS6detail15normal_iteratorINSA_10device_ptrIxEEEEPS6_SG_NS0_5tupleIJNSA_16discard_iteratorINSA_11use_defaultEEESK_EEENSH_IJSG_SG_EEES6_PlJ7is_evenIxEEEE10hipError_tPvRmT3_T4_T5_T6_T7_T9_mT8_P12ihipStream_tbDpT10_ENKUlT_T0_E_clISt17integral_constantIbLb1EES19_EEDaS14_S15_EUlS14_E_NS1_11comp_targetILNS1_3genE9ELNS1_11target_archE1100ELNS1_3gpuE3ELNS1_3repE0EEENS1_30default_config_static_selectorELNS0_4arch9wavefront6targetE1EEEvT1_
	.globl	_ZN7rocprim17ROCPRIM_400000_NS6detail17trampoline_kernelINS0_14default_configENS1_25partition_config_selectorILNS1_17partition_subalgoE0ExNS0_10empty_typeEbEEZZNS1_14partition_implILS5_0ELb0ES3_jN6thrust23THRUST_200600_302600_NS6detail15normal_iteratorINSA_10device_ptrIxEEEEPS6_SG_NS0_5tupleIJNSA_16discard_iteratorINSA_11use_defaultEEESK_EEENSH_IJSG_SG_EEES6_PlJ7is_evenIxEEEE10hipError_tPvRmT3_T4_T5_T6_T7_T9_mT8_P12ihipStream_tbDpT10_ENKUlT_T0_E_clISt17integral_constantIbLb1EES19_EEDaS14_S15_EUlS14_E_NS1_11comp_targetILNS1_3genE9ELNS1_11target_archE1100ELNS1_3gpuE3ELNS1_3repE0EEENS1_30default_config_static_selectorELNS0_4arch9wavefront6targetE1EEEvT1_
	.p2align	8
	.type	_ZN7rocprim17ROCPRIM_400000_NS6detail17trampoline_kernelINS0_14default_configENS1_25partition_config_selectorILNS1_17partition_subalgoE0ExNS0_10empty_typeEbEEZZNS1_14partition_implILS5_0ELb0ES3_jN6thrust23THRUST_200600_302600_NS6detail15normal_iteratorINSA_10device_ptrIxEEEEPS6_SG_NS0_5tupleIJNSA_16discard_iteratorINSA_11use_defaultEEESK_EEENSH_IJSG_SG_EEES6_PlJ7is_evenIxEEEE10hipError_tPvRmT3_T4_T5_T6_T7_T9_mT8_P12ihipStream_tbDpT10_ENKUlT_T0_E_clISt17integral_constantIbLb1EES19_EEDaS14_S15_EUlS14_E_NS1_11comp_targetILNS1_3genE9ELNS1_11target_archE1100ELNS1_3gpuE3ELNS1_3repE0EEENS1_30default_config_static_selectorELNS0_4arch9wavefront6targetE1EEEvT1_,@function
_ZN7rocprim17ROCPRIM_400000_NS6detail17trampoline_kernelINS0_14default_configENS1_25partition_config_selectorILNS1_17partition_subalgoE0ExNS0_10empty_typeEbEEZZNS1_14partition_implILS5_0ELb0ES3_jN6thrust23THRUST_200600_302600_NS6detail15normal_iteratorINSA_10device_ptrIxEEEEPS6_SG_NS0_5tupleIJNSA_16discard_iteratorINSA_11use_defaultEEESK_EEENSH_IJSG_SG_EEES6_PlJ7is_evenIxEEEE10hipError_tPvRmT3_T4_T5_T6_T7_T9_mT8_P12ihipStream_tbDpT10_ENKUlT_T0_E_clISt17integral_constantIbLb1EES19_EEDaS14_S15_EUlS14_E_NS1_11comp_targetILNS1_3genE9ELNS1_11target_archE1100ELNS1_3gpuE3ELNS1_3repE0EEENS1_30default_config_static_selectorELNS0_4arch9wavefront6targetE1EEEvT1_: ; @_ZN7rocprim17ROCPRIM_400000_NS6detail17trampoline_kernelINS0_14default_configENS1_25partition_config_selectorILNS1_17partition_subalgoE0ExNS0_10empty_typeEbEEZZNS1_14partition_implILS5_0ELb0ES3_jN6thrust23THRUST_200600_302600_NS6detail15normal_iteratorINSA_10device_ptrIxEEEEPS6_SG_NS0_5tupleIJNSA_16discard_iteratorINSA_11use_defaultEEESK_EEENSH_IJSG_SG_EEES6_PlJ7is_evenIxEEEE10hipError_tPvRmT3_T4_T5_T6_T7_T9_mT8_P12ihipStream_tbDpT10_ENKUlT_T0_E_clISt17integral_constantIbLb1EES19_EEDaS14_S15_EUlS14_E_NS1_11comp_targetILNS1_3genE9ELNS1_11target_archE1100ELNS1_3gpuE3ELNS1_3repE0EEENS1_30default_config_static_selectorELNS0_4arch9wavefront6targetE1EEEvT1_
; %bb.0:
	.section	.rodata,"a",@progbits
	.p2align	6, 0x0
	.amdhsa_kernel _ZN7rocprim17ROCPRIM_400000_NS6detail17trampoline_kernelINS0_14default_configENS1_25partition_config_selectorILNS1_17partition_subalgoE0ExNS0_10empty_typeEbEEZZNS1_14partition_implILS5_0ELb0ES3_jN6thrust23THRUST_200600_302600_NS6detail15normal_iteratorINSA_10device_ptrIxEEEEPS6_SG_NS0_5tupleIJNSA_16discard_iteratorINSA_11use_defaultEEESK_EEENSH_IJSG_SG_EEES6_PlJ7is_evenIxEEEE10hipError_tPvRmT3_T4_T5_T6_T7_T9_mT8_P12ihipStream_tbDpT10_ENKUlT_T0_E_clISt17integral_constantIbLb1EES19_EEDaS14_S15_EUlS14_E_NS1_11comp_targetILNS1_3genE9ELNS1_11target_archE1100ELNS1_3gpuE3ELNS1_3repE0EEENS1_30default_config_static_selectorELNS0_4arch9wavefront6targetE1EEEvT1_
		.amdhsa_group_segment_fixed_size 0
		.amdhsa_private_segment_fixed_size 0
		.amdhsa_kernarg_size 152
		.amdhsa_user_sgpr_count 6
		.amdhsa_user_sgpr_private_segment_buffer 1
		.amdhsa_user_sgpr_dispatch_ptr 0
		.amdhsa_user_sgpr_queue_ptr 0
		.amdhsa_user_sgpr_kernarg_segment_ptr 1
		.amdhsa_user_sgpr_dispatch_id 0
		.amdhsa_user_sgpr_flat_scratch_init 0
		.amdhsa_user_sgpr_kernarg_preload_length 0
		.amdhsa_user_sgpr_kernarg_preload_offset 0
		.amdhsa_user_sgpr_private_segment_size 0
		.amdhsa_uses_dynamic_stack 0
		.amdhsa_system_sgpr_private_segment_wavefront_offset 0
		.amdhsa_system_sgpr_workgroup_id_x 1
		.amdhsa_system_sgpr_workgroup_id_y 0
		.amdhsa_system_sgpr_workgroup_id_z 0
		.amdhsa_system_sgpr_workgroup_info 0
		.amdhsa_system_vgpr_workitem_id 0
		.amdhsa_next_free_vgpr 1
		.amdhsa_next_free_sgpr 0
		.amdhsa_accum_offset 4
		.amdhsa_reserve_vcc 0
		.amdhsa_reserve_flat_scratch 0
		.amdhsa_float_round_mode_32 0
		.amdhsa_float_round_mode_16_64 0
		.amdhsa_float_denorm_mode_32 3
		.amdhsa_float_denorm_mode_16_64 3
		.amdhsa_dx10_clamp 1
		.amdhsa_ieee_mode 1
		.amdhsa_fp16_overflow 0
		.amdhsa_tg_split 0
		.amdhsa_exception_fp_ieee_invalid_op 0
		.amdhsa_exception_fp_denorm_src 0
		.amdhsa_exception_fp_ieee_div_zero 0
		.amdhsa_exception_fp_ieee_overflow 0
		.amdhsa_exception_fp_ieee_underflow 0
		.amdhsa_exception_fp_ieee_inexact 0
		.amdhsa_exception_int_div_zero 0
	.end_amdhsa_kernel
	.section	.text._ZN7rocprim17ROCPRIM_400000_NS6detail17trampoline_kernelINS0_14default_configENS1_25partition_config_selectorILNS1_17partition_subalgoE0ExNS0_10empty_typeEbEEZZNS1_14partition_implILS5_0ELb0ES3_jN6thrust23THRUST_200600_302600_NS6detail15normal_iteratorINSA_10device_ptrIxEEEEPS6_SG_NS0_5tupleIJNSA_16discard_iteratorINSA_11use_defaultEEESK_EEENSH_IJSG_SG_EEES6_PlJ7is_evenIxEEEE10hipError_tPvRmT3_T4_T5_T6_T7_T9_mT8_P12ihipStream_tbDpT10_ENKUlT_T0_E_clISt17integral_constantIbLb1EES19_EEDaS14_S15_EUlS14_E_NS1_11comp_targetILNS1_3genE9ELNS1_11target_archE1100ELNS1_3gpuE3ELNS1_3repE0EEENS1_30default_config_static_selectorELNS0_4arch9wavefront6targetE1EEEvT1_,"axG",@progbits,_ZN7rocprim17ROCPRIM_400000_NS6detail17trampoline_kernelINS0_14default_configENS1_25partition_config_selectorILNS1_17partition_subalgoE0ExNS0_10empty_typeEbEEZZNS1_14partition_implILS5_0ELb0ES3_jN6thrust23THRUST_200600_302600_NS6detail15normal_iteratorINSA_10device_ptrIxEEEEPS6_SG_NS0_5tupleIJNSA_16discard_iteratorINSA_11use_defaultEEESK_EEENSH_IJSG_SG_EEES6_PlJ7is_evenIxEEEE10hipError_tPvRmT3_T4_T5_T6_T7_T9_mT8_P12ihipStream_tbDpT10_ENKUlT_T0_E_clISt17integral_constantIbLb1EES19_EEDaS14_S15_EUlS14_E_NS1_11comp_targetILNS1_3genE9ELNS1_11target_archE1100ELNS1_3gpuE3ELNS1_3repE0EEENS1_30default_config_static_selectorELNS0_4arch9wavefront6targetE1EEEvT1_,comdat
.Lfunc_end2601:
	.size	_ZN7rocprim17ROCPRIM_400000_NS6detail17trampoline_kernelINS0_14default_configENS1_25partition_config_selectorILNS1_17partition_subalgoE0ExNS0_10empty_typeEbEEZZNS1_14partition_implILS5_0ELb0ES3_jN6thrust23THRUST_200600_302600_NS6detail15normal_iteratorINSA_10device_ptrIxEEEEPS6_SG_NS0_5tupleIJNSA_16discard_iteratorINSA_11use_defaultEEESK_EEENSH_IJSG_SG_EEES6_PlJ7is_evenIxEEEE10hipError_tPvRmT3_T4_T5_T6_T7_T9_mT8_P12ihipStream_tbDpT10_ENKUlT_T0_E_clISt17integral_constantIbLb1EES19_EEDaS14_S15_EUlS14_E_NS1_11comp_targetILNS1_3genE9ELNS1_11target_archE1100ELNS1_3gpuE3ELNS1_3repE0EEENS1_30default_config_static_selectorELNS0_4arch9wavefront6targetE1EEEvT1_, .Lfunc_end2601-_ZN7rocprim17ROCPRIM_400000_NS6detail17trampoline_kernelINS0_14default_configENS1_25partition_config_selectorILNS1_17partition_subalgoE0ExNS0_10empty_typeEbEEZZNS1_14partition_implILS5_0ELb0ES3_jN6thrust23THRUST_200600_302600_NS6detail15normal_iteratorINSA_10device_ptrIxEEEEPS6_SG_NS0_5tupleIJNSA_16discard_iteratorINSA_11use_defaultEEESK_EEENSH_IJSG_SG_EEES6_PlJ7is_evenIxEEEE10hipError_tPvRmT3_T4_T5_T6_T7_T9_mT8_P12ihipStream_tbDpT10_ENKUlT_T0_E_clISt17integral_constantIbLb1EES19_EEDaS14_S15_EUlS14_E_NS1_11comp_targetILNS1_3genE9ELNS1_11target_archE1100ELNS1_3gpuE3ELNS1_3repE0EEENS1_30default_config_static_selectorELNS0_4arch9wavefront6targetE1EEEvT1_
                                        ; -- End function
	.section	.AMDGPU.csdata,"",@progbits
; Kernel info:
; codeLenInByte = 0
; NumSgprs: 4
; NumVgprs: 0
; NumAgprs: 0
; TotalNumVgprs: 0
; ScratchSize: 0
; MemoryBound: 0
; FloatMode: 240
; IeeeMode: 1
; LDSByteSize: 0 bytes/workgroup (compile time only)
; SGPRBlocks: 0
; VGPRBlocks: 0
; NumSGPRsForWavesPerEU: 4
; NumVGPRsForWavesPerEU: 1
; AccumOffset: 4
; Occupancy: 8
; WaveLimiterHint : 0
; COMPUTE_PGM_RSRC2:SCRATCH_EN: 0
; COMPUTE_PGM_RSRC2:USER_SGPR: 6
; COMPUTE_PGM_RSRC2:TRAP_HANDLER: 0
; COMPUTE_PGM_RSRC2:TGID_X_EN: 1
; COMPUTE_PGM_RSRC2:TGID_Y_EN: 0
; COMPUTE_PGM_RSRC2:TGID_Z_EN: 0
; COMPUTE_PGM_RSRC2:TIDIG_COMP_CNT: 0
; COMPUTE_PGM_RSRC3_GFX90A:ACCUM_OFFSET: 0
; COMPUTE_PGM_RSRC3_GFX90A:TG_SPLIT: 0
	.section	.text._ZN7rocprim17ROCPRIM_400000_NS6detail17trampoline_kernelINS0_14default_configENS1_25partition_config_selectorILNS1_17partition_subalgoE0ExNS0_10empty_typeEbEEZZNS1_14partition_implILS5_0ELb0ES3_jN6thrust23THRUST_200600_302600_NS6detail15normal_iteratorINSA_10device_ptrIxEEEEPS6_SG_NS0_5tupleIJNSA_16discard_iteratorINSA_11use_defaultEEESK_EEENSH_IJSG_SG_EEES6_PlJ7is_evenIxEEEE10hipError_tPvRmT3_T4_T5_T6_T7_T9_mT8_P12ihipStream_tbDpT10_ENKUlT_T0_E_clISt17integral_constantIbLb1EES19_EEDaS14_S15_EUlS14_E_NS1_11comp_targetILNS1_3genE8ELNS1_11target_archE1030ELNS1_3gpuE2ELNS1_3repE0EEENS1_30default_config_static_selectorELNS0_4arch9wavefront6targetE1EEEvT1_,"axG",@progbits,_ZN7rocprim17ROCPRIM_400000_NS6detail17trampoline_kernelINS0_14default_configENS1_25partition_config_selectorILNS1_17partition_subalgoE0ExNS0_10empty_typeEbEEZZNS1_14partition_implILS5_0ELb0ES3_jN6thrust23THRUST_200600_302600_NS6detail15normal_iteratorINSA_10device_ptrIxEEEEPS6_SG_NS0_5tupleIJNSA_16discard_iteratorINSA_11use_defaultEEESK_EEENSH_IJSG_SG_EEES6_PlJ7is_evenIxEEEE10hipError_tPvRmT3_T4_T5_T6_T7_T9_mT8_P12ihipStream_tbDpT10_ENKUlT_T0_E_clISt17integral_constantIbLb1EES19_EEDaS14_S15_EUlS14_E_NS1_11comp_targetILNS1_3genE8ELNS1_11target_archE1030ELNS1_3gpuE2ELNS1_3repE0EEENS1_30default_config_static_selectorELNS0_4arch9wavefront6targetE1EEEvT1_,comdat
	.protected	_ZN7rocprim17ROCPRIM_400000_NS6detail17trampoline_kernelINS0_14default_configENS1_25partition_config_selectorILNS1_17partition_subalgoE0ExNS0_10empty_typeEbEEZZNS1_14partition_implILS5_0ELb0ES3_jN6thrust23THRUST_200600_302600_NS6detail15normal_iteratorINSA_10device_ptrIxEEEEPS6_SG_NS0_5tupleIJNSA_16discard_iteratorINSA_11use_defaultEEESK_EEENSH_IJSG_SG_EEES6_PlJ7is_evenIxEEEE10hipError_tPvRmT3_T4_T5_T6_T7_T9_mT8_P12ihipStream_tbDpT10_ENKUlT_T0_E_clISt17integral_constantIbLb1EES19_EEDaS14_S15_EUlS14_E_NS1_11comp_targetILNS1_3genE8ELNS1_11target_archE1030ELNS1_3gpuE2ELNS1_3repE0EEENS1_30default_config_static_selectorELNS0_4arch9wavefront6targetE1EEEvT1_ ; -- Begin function _ZN7rocprim17ROCPRIM_400000_NS6detail17trampoline_kernelINS0_14default_configENS1_25partition_config_selectorILNS1_17partition_subalgoE0ExNS0_10empty_typeEbEEZZNS1_14partition_implILS5_0ELb0ES3_jN6thrust23THRUST_200600_302600_NS6detail15normal_iteratorINSA_10device_ptrIxEEEEPS6_SG_NS0_5tupleIJNSA_16discard_iteratorINSA_11use_defaultEEESK_EEENSH_IJSG_SG_EEES6_PlJ7is_evenIxEEEE10hipError_tPvRmT3_T4_T5_T6_T7_T9_mT8_P12ihipStream_tbDpT10_ENKUlT_T0_E_clISt17integral_constantIbLb1EES19_EEDaS14_S15_EUlS14_E_NS1_11comp_targetILNS1_3genE8ELNS1_11target_archE1030ELNS1_3gpuE2ELNS1_3repE0EEENS1_30default_config_static_selectorELNS0_4arch9wavefront6targetE1EEEvT1_
	.globl	_ZN7rocprim17ROCPRIM_400000_NS6detail17trampoline_kernelINS0_14default_configENS1_25partition_config_selectorILNS1_17partition_subalgoE0ExNS0_10empty_typeEbEEZZNS1_14partition_implILS5_0ELb0ES3_jN6thrust23THRUST_200600_302600_NS6detail15normal_iteratorINSA_10device_ptrIxEEEEPS6_SG_NS0_5tupleIJNSA_16discard_iteratorINSA_11use_defaultEEESK_EEENSH_IJSG_SG_EEES6_PlJ7is_evenIxEEEE10hipError_tPvRmT3_T4_T5_T6_T7_T9_mT8_P12ihipStream_tbDpT10_ENKUlT_T0_E_clISt17integral_constantIbLb1EES19_EEDaS14_S15_EUlS14_E_NS1_11comp_targetILNS1_3genE8ELNS1_11target_archE1030ELNS1_3gpuE2ELNS1_3repE0EEENS1_30default_config_static_selectorELNS0_4arch9wavefront6targetE1EEEvT1_
	.p2align	8
	.type	_ZN7rocprim17ROCPRIM_400000_NS6detail17trampoline_kernelINS0_14default_configENS1_25partition_config_selectorILNS1_17partition_subalgoE0ExNS0_10empty_typeEbEEZZNS1_14partition_implILS5_0ELb0ES3_jN6thrust23THRUST_200600_302600_NS6detail15normal_iteratorINSA_10device_ptrIxEEEEPS6_SG_NS0_5tupleIJNSA_16discard_iteratorINSA_11use_defaultEEESK_EEENSH_IJSG_SG_EEES6_PlJ7is_evenIxEEEE10hipError_tPvRmT3_T4_T5_T6_T7_T9_mT8_P12ihipStream_tbDpT10_ENKUlT_T0_E_clISt17integral_constantIbLb1EES19_EEDaS14_S15_EUlS14_E_NS1_11comp_targetILNS1_3genE8ELNS1_11target_archE1030ELNS1_3gpuE2ELNS1_3repE0EEENS1_30default_config_static_selectorELNS0_4arch9wavefront6targetE1EEEvT1_,@function
_ZN7rocprim17ROCPRIM_400000_NS6detail17trampoline_kernelINS0_14default_configENS1_25partition_config_selectorILNS1_17partition_subalgoE0ExNS0_10empty_typeEbEEZZNS1_14partition_implILS5_0ELb0ES3_jN6thrust23THRUST_200600_302600_NS6detail15normal_iteratorINSA_10device_ptrIxEEEEPS6_SG_NS0_5tupleIJNSA_16discard_iteratorINSA_11use_defaultEEESK_EEENSH_IJSG_SG_EEES6_PlJ7is_evenIxEEEE10hipError_tPvRmT3_T4_T5_T6_T7_T9_mT8_P12ihipStream_tbDpT10_ENKUlT_T0_E_clISt17integral_constantIbLb1EES19_EEDaS14_S15_EUlS14_E_NS1_11comp_targetILNS1_3genE8ELNS1_11target_archE1030ELNS1_3gpuE2ELNS1_3repE0EEENS1_30default_config_static_selectorELNS0_4arch9wavefront6targetE1EEEvT1_: ; @_ZN7rocprim17ROCPRIM_400000_NS6detail17trampoline_kernelINS0_14default_configENS1_25partition_config_selectorILNS1_17partition_subalgoE0ExNS0_10empty_typeEbEEZZNS1_14partition_implILS5_0ELb0ES3_jN6thrust23THRUST_200600_302600_NS6detail15normal_iteratorINSA_10device_ptrIxEEEEPS6_SG_NS0_5tupleIJNSA_16discard_iteratorINSA_11use_defaultEEESK_EEENSH_IJSG_SG_EEES6_PlJ7is_evenIxEEEE10hipError_tPvRmT3_T4_T5_T6_T7_T9_mT8_P12ihipStream_tbDpT10_ENKUlT_T0_E_clISt17integral_constantIbLb1EES19_EEDaS14_S15_EUlS14_E_NS1_11comp_targetILNS1_3genE8ELNS1_11target_archE1030ELNS1_3gpuE2ELNS1_3repE0EEENS1_30default_config_static_selectorELNS0_4arch9wavefront6targetE1EEEvT1_
; %bb.0:
	.section	.rodata,"a",@progbits
	.p2align	6, 0x0
	.amdhsa_kernel _ZN7rocprim17ROCPRIM_400000_NS6detail17trampoline_kernelINS0_14default_configENS1_25partition_config_selectorILNS1_17partition_subalgoE0ExNS0_10empty_typeEbEEZZNS1_14partition_implILS5_0ELb0ES3_jN6thrust23THRUST_200600_302600_NS6detail15normal_iteratorINSA_10device_ptrIxEEEEPS6_SG_NS0_5tupleIJNSA_16discard_iteratorINSA_11use_defaultEEESK_EEENSH_IJSG_SG_EEES6_PlJ7is_evenIxEEEE10hipError_tPvRmT3_T4_T5_T6_T7_T9_mT8_P12ihipStream_tbDpT10_ENKUlT_T0_E_clISt17integral_constantIbLb1EES19_EEDaS14_S15_EUlS14_E_NS1_11comp_targetILNS1_3genE8ELNS1_11target_archE1030ELNS1_3gpuE2ELNS1_3repE0EEENS1_30default_config_static_selectorELNS0_4arch9wavefront6targetE1EEEvT1_
		.amdhsa_group_segment_fixed_size 0
		.amdhsa_private_segment_fixed_size 0
		.amdhsa_kernarg_size 152
		.amdhsa_user_sgpr_count 6
		.amdhsa_user_sgpr_private_segment_buffer 1
		.amdhsa_user_sgpr_dispatch_ptr 0
		.amdhsa_user_sgpr_queue_ptr 0
		.amdhsa_user_sgpr_kernarg_segment_ptr 1
		.amdhsa_user_sgpr_dispatch_id 0
		.amdhsa_user_sgpr_flat_scratch_init 0
		.amdhsa_user_sgpr_kernarg_preload_length 0
		.amdhsa_user_sgpr_kernarg_preload_offset 0
		.amdhsa_user_sgpr_private_segment_size 0
		.amdhsa_uses_dynamic_stack 0
		.amdhsa_system_sgpr_private_segment_wavefront_offset 0
		.amdhsa_system_sgpr_workgroup_id_x 1
		.amdhsa_system_sgpr_workgroup_id_y 0
		.amdhsa_system_sgpr_workgroup_id_z 0
		.amdhsa_system_sgpr_workgroup_info 0
		.amdhsa_system_vgpr_workitem_id 0
		.amdhsa_next_free_vgpr 1
		.amdhsa_next_free_sgpr 0
		.amdhsa_accum_offset 4
		.amdhsa_reserve_vcc 0
		.amdhsa_reserve_flat_scratch 0
		.amdhsa_float_round_mode_32 0
		.amdhsa_float_round_mode_16_64 0
		.amdhsa_float_denorm_mode_32 3
		.amdhsa_float_denorm_mode_16_64 3
		.amdhsa_dx10_clamp 1
		.amdhsa_ieee_mode 1
		.amdhsa_fp16_overflow 0
		.amdhsa_tg_split 0
		.amdhsa_exception_fp_ieee_invalid_op 0
		.amdhsa_exception_fp_denorm_src 0
		.amdhsa_exception_fp_ieee_div_zero 0
		.amdhsa_exception_fp_ieee_overflow 0
		.amdhsa_exception_fp_ieee_underflow 0
		.amdhsa_exception_fp_ieee_inexact 0
		.amdhsa_exception_int_div_zero 0
	.end_amdhsa_kernel
	.section	.text._ZN7rocprim17ROCPRIM_400000_NS6detail17trampoline_kernelINS0_14default_configENS1_25partition_config_selectorILNS1_17partition_subalgoE0ExNS0_10empty_typeEbEEZZNS1_14partition_implILS5_0ELb0ES3_jN6thrust23THRUST_200600_302600_NS6detail15normal_iteratorINSA_10device_ptrIxEEEEPS6_SG_NS0_5tupleIJNSA_16discard_iteratorINSA_11use_defaultEEESK_EEENSH_IJSG_SG_EEES6_PlJ7is_evenIxEEEE10hipError_tPvRmT3_T4_T5_T6_T7_T9_mT8_P12ihipStream_tbDpT10_ENKUlT_T0_E_clISt17integral_constantIbLb1EES19_EEDaS14_S15_EUlS14_E_NS1_11comp_targetILNS1_3genE8ELNS1_11target_archE1030ELNS1_3gpuE2ELNS1_3repE0EEENS1_30default_config_static_selectorELNS0_4arch9wavefront6targetE1EEEvT1_,"axG",@progbits,_ZN7rocprim17ROCPRIM_400000_NS6detail17trampoline_kernelINS0_14default_configENS1_25partition_config_selectorILNS1_17partition_subalgoE0ExNS0_10empty_typeEbEEZZNS1_14partition_implILS5_0ELb0ES3_jN6thrust23THRUST_200600_302600_NS6detail15normal_iteratorINSA_10device_ptrIxEEEEPS6_SG_NS0_5tupleIJNSA_16discard_iteratorINSA_11use_defaultEEESK_EEENSH_IJSG_SG_EEES6_PlJ7is_evenIxEEEE10hipError_tPvRmT3_T4_T5_T6_T7_T9_mT8_P12ihipStream_tbDpT10_ENKUlT_T0_E_clISt17integral_constantIbLb1EES19_EEDaS14_S15_EUlS14_E_NS1_11comp_targetILNS1_3genE8ELNS1_11target_archE1030ELNS1_3gpuE2ELNS1_3repE0EEENS1_30default_config_static_selectorELNS0_4arch9wavefront6targetE1EEEvT1_,comdat
.Lfunc_end2602:
	.size	_ZN7rocprim17ROCPRIM_400000_NS6detail17trampoline_kernelINS0_14default_configENS1_25partition_config_selectorILNS1_17partition_subalgoE0ExNS0_10empty_typeEbEEZZNS1_14partition_implILS5_0ELb0ES3_jN6thrust23THRUST_200600_302600_NS6detail15normal_iteratorINSA_10device_ptrIxEEEEPS6_SG_NS0_5tupleIJNSA_16discard_iteratorINSA_11use_defaultEEESK_EEENSH_IJSG_SG_EEES6_PlJ7is_evenIxEEEE10hipError_tPvRmT3_T4_T5_T6_T7_T9_mT8_P12ihipStream_tbDpT10_ENKUlT_T0_E_clISt17integral_constantIbLb1EES19_EEDaS14_S15_EUlS14_E_NS1_11comp_targetILNS1_3genE8ELNS1_11target_archE1030ELNS1_3gpuE2ELNS1_3repE0EEENS1_30default_config_static_selectorELNS0_4arch9wavefront6targetE1EEEvT1_, .Lfunc_end2602-_ZN7rocprim17ROCPRIM_400000_NS6detail17trampoline_kernelINS0_14default_configENS1_25partition_config_selectorILNS1_17partition_subalgoE0ExNS0_10empty_typeEbEEZZNS1_14partition_implILS5_0ELb0ES3_jN6thrust23THRUST_200600_302600_NS6detail15normal_iteratorINSA_10device_ptrIxEEEEPS6_SG_NS0_5tupleIJNSA_16discard_iteratorINSA_11use_defaultEEESK_EEENSH_IJSG_SG_EEES6_PlJ7is_evenIxEEEE10hipError_tPvRmT3_T4_T5_T6_T7_T9_mT8_P12ihipStream_tbDpT10_ENKUlT_T0_E_clISt17integral_constantIbLb1EES19_EEDaS14_S15_EUlS14_E_NS1_11comp_targetILNS1_3genE8ELNS1_11target_archE1030ELNS1_3gpuE2ELNS1_3repE0EEENS1_30default_config_static_selectorELNS0_4arch9wavefront6targetE1EEEvT1_
                                        ; -- End function
	.section	.AMDGPU.csdata,"",@progbits
; Kernel info:
; codeLenInByte = 0
; NumSgprs: 4
; NumVgprs: 0
; NumAgprs: 0
; TotalNumVgprs: 0
; ScratchSize: 0
; MemoryBound: 0
; FloatMode: 240
; IeeeMode: 1
; LDSByteSize: 0 bytes/workgroup (compile time only)
; SGPRBlocks: 0
; VGPRBlocks: 0
; NumSGPRsForWavesPerEU: 4
; NumVGPRsForWavesPerEU: 1
; AccumOffset: 4
; Occupancy: 8
; WaveLimiterHint : 0
; COMPUTE_PGM_RSRC2:SCRATCH_EN: 0
; COMPUTE_PGM_RSRC2:USER_SGPR: 6
; COMPUTE_PGM_RSRC2:TRAP_HANDLER: 0
; COMPUTE_PGM_RSRC2:TGID_X_EN: 1
; COMPUTE_PGM_RSRC2:TGID_Y_EN: 0
; COMPUTE_PGM_RSRC2:TGID_Z_EN: 0
; COMPUTE_PGM_RSRC2:TIDIG_COMP_CNT: 0
; COMPUTE_PGM_RSRC3_GFX90A:ACCUM_OFFSET: 0
; COMPUTE_PGM_RSRC3_GFX90A:TG_SPLIT: 0
	.section	.text._ZN7rocprim17ROCPRIM_400000_NS6detail17trampoline_kernelINS0_14default_configENS1_25partition_config_selectorILNS1_17partition_subalgoE0ExNS0_10empty_typeEbEEZZNS1_14partition_implILS5_0ELb0ES3_jN6thrust23THRUST_200600_302600_NS6detail15normal_iteratorINSA_10device_ptrIxEEEEPS6_SG_NS0_5tupleIJNSA_16discard_iteratorINSA_11use_defaultEEESK_EEENSH_IJSG_SG_EEES6_PlJ7is_evenIxEEEE10hipError_tPvRmT3_T4_T5_T6_T7_T9_mT8_P12ihipStream_tbDpT10_ENKUlT_T0_E_clISt17integral_constantIbLb1EES18_IbLb0EEEEDaS14_S15_EUlS14_E_NS1_11comp_targetILNS1_3genE0ELNS1_11target_archE4294967295ELNS1_3gpuE0ELNS1_3repE0EEENS1_30default_config_static_selectorELNS0_4arch9wavefront6targetE1EEEvT1_,"axG",@progbits,_ZN7rocprim17ROCPRIM_400000_NS6detail17trampoline_kernelINS0_14default_configENS1_25partition_config_selectorILNS1_17partition_subalgoE0ExNS0_10empty_typeEbEEZZNS1_14partition_implILS5_0ELb0ES3_jN6thrust23THRUST_200600_302600_NS6detail15normal_iteratorINSA_10device_ptrIxEEEEPS6_SG_NS0_5tupleIJNSA_16discard_iteratorINSA_11use_defaultEEESK_EEENSH_IJSG_SG_EEES6_PlJ7is_evenIxEEEE10hipError_tPvRmT3_T4_T5_T6_T7_T9_mT8_P12ihipStream_tbDpT10_ENKUlT_T0_E_clISt17integral_constantIbLb1EES18_IbLb0EEEEDaS14_S15_EUlS14_E_NS1_11comp_targetILNS1_3genE0ELNS1_11target_archE4294967295ELNS1_3gpuE0ELNS1_3repE0EEENS1_30default_config_static_selectorELNS0_4arch9wavefront6targetE1EEEvT1_,comdat
	.protected	_ZN7rocprim17ROCPRIM_400000_NS6detail17trampoline_kernelINS0_14default_configENS1_25partition_config_selectorILNS1_17partition_subalgoE0ExNS0_10empty_typeEbEEZZNS1_14partition_implILS5_0ELb0ES3_jN6thrust23THRUST_200600_302600_NS6detail15normal_iteratorINSA_10device_ptrIxEEEEPS6_SG_NS0_5tupleIJNSA_16discard_iteratorINSA_11use_defaultEEESK_EEENSH_IJSG_SG_EEES6_PlJ7is_evenIxEEEE10hipError_tPvRmT3_T4_T5_T6_T7_T9_mT8_P12ihipStream_tbDpT10_ENKUlT_T0_E_clISt17integral_constantIbLb1EES18_IbLb0EEEEDaS14_S15_EUlS14_E_NS1_11comp_targetILNS1_3genE0ELNS1_11target_archE4294967295ELNS1_3gpuE0ELNS1_3repE0EEENS1_30default_config_static_selectorELNS0_4arch9wavefront6targetE1EEEvT1_ ; -- Begin function _ZN7rocprim17ROCPRIM_400000_NS6detail17trampoline_kernelINS0_14default_configENS1_25partition_config_selectorILNS1_17partition_subalgoE0ExNS0_10empty_typeEbEEZZNS1_14partition_implILS5_0ELb0ES3_jN6thrust23THRUST_200600_302600_NS6detail15normal_iteratorINSA_10device_ptrIxEEEEPS6_SG_NS0_5tupleIJNSA_16discard_iteratorINSA_11use_defaultEEESK_EEENSH_IJSG_SG_EEES6_PlJ7is_evenIxEEEE10hipError_tPvRmT3_T4_T5_T6_T7_T9_mT8_P12ihipStream_tbDpT10_ENKUlT_T0_E_clISt17integral_constantIbLb1EES18_IbLb0EEEEDaS14_S15_EUlS14_E_NS1_11comp_targetILNS1_3genE0ELNS1_11target_archE4294967295ELNS1_3gpuE0ELNS1_3repE0EEENS1_30default_config_static_selectorELNS0_4arch9wavefront6targetE1EEEvT1_
	.globl	_ZN7rocprim17ROCPRIM_400000_NS6detail17trampoline_kernelINS0_14default_configENS1_25partition_config_selectorILNS1_17partition_subalgoE0ExNS0_10empty_typeEbEEZZNS1_14partition_implILS5_0ELb0ES3_jN6thrust23THRUST_200600_302600_NS6detail15normal_iteratorINSA_10device_ptrIxEEEEPS6_SG_NS0_5tupleIJNSA_16discard_iteratorINSA_11use_defaultEEESK_EEENSH_IJSG_SG_EEES6_PlJ7is_evenIxEEEE10hipError_tPvRmT3_T4_T5_T6_T7_T9_mT8_P12ihipStream_tbDpT10_ENKUlT_T0_E_clISt17integral_constantIbLb1EES18_IbLb0EEEEDaS14_S15_EUlS14_E_NS1_11comp_targetILNS1_3genE0ELNS1_11target_archE4294967295ELNS1_3gpuE0ELNS1_3repE0EEENS1_30default_config_static_selectorELNS0_4arch9wavefront6targetE1EEEvT1_
	.p2align	8
	.type	_ZN7rocprim17ROCPRIM_400000_NS6detail17trampoline_kernelINS0_14default_configENS1_25partition_config_selectorILNS1_17partition_subalgoE0ExNS0_10empty_typeEbEEZZNS1_14partition_implILS5_0ELb0ES3_jN6thrust23THRUST_200600_302600_NS6detail15normal_iteratorINSA_10device_ptrIxEEEEPS6_SG_NS0_5tupleIJNSA_16discard_iteratorINSA_11use_defaultEEESK_EEENSH_IJSG_SG_EEES6_PlJ7is_evenIxEEEE10hipError_tPvRmT3_T4_T5_T6_T7_T9_mT8_P12ihipStream_tbDpT10_ENKUlT_T0_E_clISt17integral_constantIbLb1EES18_IbLb0EEEEDaS14_S15_EUlS14_E_NS1_11comp_targetILNS1_3genE0ELNS1_11target_archE4294967295ELNS1_3gpuE0ELNS1_3repE0EEENS1_30default_config_static_selectorELNS0_4arch9wavefront6targetE1EEEvT1_,@function
_ZN7rocprim17ROCPRIM_400000_NS6detail17trampoline_kernelINS0_14default_configENS1_25partition_config_selectorILNS1_17partition_subalgoE0ExNS0_10empty_typeEbEEZZNS1_14partition_implILS5_0ELb0ES3_jN6thrust23THRUST_200600_302600_NS6detail15normal_iteratorINSA_10device_ptrIxEEEEPS6_SG_NS0_5tupleIJNSA_16discard_iteratorINSA_11use_defaultEEESK_EEENSH_IJSG_SG_EEES6_PlJ7is_evenIxEEEE10hipError_tPvRmT3_T4_T5_T6_T7_T9_mT8_P12ihipStream_tbDpT10_ENKUlT_T0_E_clISt17integral_constantIbLb1EES18_IbLb0EEEEDaS14_S15_EUlS14_E_NS1_11comp_targetILNS1_3genE0ELNS1_11target_archE4294967295ELNS1_3gpuE0ELNS1_3repE0EEENS1_30default_config_static_selectorELNS0_4arch9wavefront6targetE1EEEvT1_: ; @_ZN7rocprim17ROCPRIM_400000_NS6detail17trampoline_kernelINS0_14default_configENS1_25partition_config_selectorILNS1_17partition_subalgoE0ExNS0_10empty_typeEbEEZZNS1_14partition_implILS5_0ELb0ES3_jN6thrust23THRUST_200600_302600_NS6detail15normal_iteratorINSA_10device_ptrIxEEEEPS6_SG_NS0_5tupleIJNSA_16discard_iteratorINSA_11use_defaultEEESK_EEENSH_IJSG_SG_EEES6_PlJ7is_evenIxEEEE10hipError_tPvRmT3_T4_T5_T6_T7_T9_mT8_P12ihipStream_tbDpT10_ENKUlT_T0_E_clISt17integral_constantIbLb1EES18_IbLb0EEEEDaS14_S15_EUlS14_E_NS1_11comp_targetILNS1_3genE0ELNS1_11target_archE4294967295ELNS1_3gpuE0ELNS1_3repE0EEENS1_30default_config_static_selectorELNS0_4arch9wavefront6targetE1EEEvT1_
; %bb.0:
	.section	.rodata,"a",@progbits
	.p2align	6, 0x0
	.amdhsa_kernel _ZN7rocprim17ROCPRIM_400000_NS6detail17trampoline_kernelINS0_14default_configENS1_25partition_config_selectorILNS1_17partition_subalgoE0ExNS0_10empty_typeEbEEZZNS1_14partition_implILS5_0ELb0ES3_jN6thrust23THRUST_200600_302600_NS6detail15normal_iteratorINSA_10device_ptrIxEEEEPS6_SG_NS0_5tupleIJNSA_16discard_iteratorINSA_11use_defaultEEESK_EEENSH_IJSG_SG_EEES6_PlJ7is_evenIxEEEE10hipError_tPvRmT3_T4_T5_T6_T7_T9_mT8_P12ihipStream_tbDpT10_ENKUlT_T0_E_clISt17integral_constantIbLb1EES18_IbLb0EEEEDaS14_S15_EUlS14_E_NS1_11comp_targetILNS1_3genE0ELNS1_11target_archE4294967295ELNS1_3gpuE0ELNS1_3repE0EEENS1_30default_config_static_selectorELNS0_4arch9wavefront6targetE1EEEvT1_
		.amdhsa_group_segment_fixed_size 0
		.amdhsa_private_segment_fixed_size 0
		.amdhsa_kernarg_size 136
		.amdhsa_user_sgpr_count 6
		.amdhsa_user_sgpr_private_segment_buffer 1
		.amdhsa_user_sgpr_dispatch_ptr 0
		.amdhsa_user_sgpr_queue_ptr 0
		.amdhsa_user_sgpr_kernarg_segment_ptr 1
		.amdhsa_user_sgpr_dispatch_id 0
		.amdhsa_user_sgpr_flat_scratch_init 0
		.amdhsa_user_sgpr_kernarg_preload_length 0
		.amdhsa_user_sgpr_kernarg_preload_offset 0
		.amdhsa_user_sgpr_private_segment_size 0
		.amdhsa_uses_dynamic_stack 0
		.amdhsa_system_sgpr_private_segment_wavefront_offset 0
		.amdhsa_system_sgpr_workgroup_id_x 1
		.amdhsa_system_sgpr_workgroup_id_y 0
		.amdhsa_system_sgpr_workgroup_id_z 0
		.amdhsa_system_sgpr_workgroup_info 0
		.amdhsa_system_vgpr_workitem_id 0
		.amdhsa_next_free_vgpr 1
		.amdhsa_next_free_sgpr 0
		.amdhsa_accum_offset 4
		.amdhsa_reserve_vcc 0
		.amdhsa_reserve_flat_scratch 0
		.amdhsa_float_round_mode_32 0
		.amdhsa_float_round_mode_16_64 0
		.amdhsa_float_denorm_mode_32 3
		.amdhsa_float_denorm_mode_16_64 3
		.amdhsa_dx10_clamp 1
		.amdhsa_ieee_mode 1
		.amdhsa_fp16_overflow 0
		.amdhsa_tg_split 0
		.amdhsa_exception_fp_ieee_invalid_op 0
		.amdhsa_exception_fp_denorm_src 0
		.amdhsa_exception_fp_ieee_div_zero 0
		.amdhsa_exception_fp_ieee_overflow 0
		.amdhsa_exception_fp_ieee_underflow 0
		.amdhsa_exception_fp_ieee_inexact 0
		.amdhsa_exception_int_div_zero 0
	.end_amdhsa_kernel
	.section	.text._ZN7rocprim17ROCPRIM_400000_NS6detail17trampoline_kernelINS0_14default_configENS1_25partition_config_selectorILNS1_17partition_subalgoE0ExNS0_10empty_typeEbEEZZNS1_14partition_implILS5_0ELb0ES3_jN6thrust23THRUST_200600_302600_NS6detail15normal_iteratorINSA_10device_ptrIxEEEEPS6_SG_NS0_5tupleIJNSA_16discard_iteratorINSA_11use_defaultEEESK_EEENSH_IJSG_SG_EEES6_PlJ7is_evenIxEEEE10hipError_tPvRmT3_T4_T5_T6_T7_T9_mT8_P12ihipStream_tbDpT10_ENKUlT_T0_E_clISt17integral_constantIbLb1EES18_IbLb0EEEEDaS14_S15_EUlS14_E_NS1_11comp_targetILNS1_3genE0ELNS1_11target_archE4294967295ELNS1_3gpuE0ELNS1_3repE0EEENS1_30default_config_static_selectorELNS0_4arch9wavefront6targetE1EEEvT1_,"axG",@progbits,_ZN7rocprim17ROCPRIM_400000_NS6detail17trampoline_kernelINS0_14default_configENS1_25partition_config_selectorILNS1_17partition_subalgoE0ExNS0_10empty_typeEbEEZZNS1_14partition_implILS5_0ELb0ES3_jN6thrust23THRUST_200600_302600_NS6detail15normal_iteratorINSA_10device_ptrIxEEEEPS6_SG_NS0_5tupleIJNSA_16discard_iteratorINSA_11use_defaultEEESK_EEENSH_IJSG_SG_EEES6_PlJ7is_evenIxEEEE10hipError_tPvRmT3_T4_T5_T6_T7_T9_mT8_P12ihipStream_tbDpT10_ENKUlT_T0_E_clISt17integral_constantIbLb1EES18_IbLb0EEEEDaS14_S15_EUlS14_E_NS1_11comp_targetILNS1_3genE0ELNS1_11target_archE4294967295ELNS1_3gpuE0ELNS1_3repE0EEENS1_30default_config_static_selectorELNS0_4arch9wavefront6targetE1EEEvT1_,comdat
.Lfunc_end2603:
	.size	_ZN7rocprim17ROCPRIM_400000_NS6detail17trampoline_kernelINS0_14default_configENS1_25partition_config_selectorILNS1_17partition_subalgoE0ExNS0_10empty_typeEbEEZZNS1_14partition_implILS5_0ELb0ES3_jN6thrust23THRUST_200600_302600_NS6detail15normal_iteratorINSA_10device_ptrIxEEEEPS6_SG_NS0_5tupleIJNSA_16discard_iteratorINSA_11use_defaultEEESK_EEENSH_IJSG_SG_EEES6_PlJ7is_evenIxEEEE10hipError_tPvRmT3_T4_T5_T6_T7_T9_mT8_P12ihipStream_tbDpT10_ENKUlT_T0_E_clISt17integral_constantIbLb1EES18_IbLb0EEEEDaS14_S15_EUlS14_E_NS1_11comp_targetILNS1_3genE0ELNS1_11target_archE4294967295ELNS1_3gpuE0ELNS1_3repE0EEENS1_30default_config_static_selectorELNS0_4arch9wavefront6targetE1EEEvT1_, .Lfunc_end2603-_ZN7rocprim17ROCPRIM_400000_NS6detail17trampoline_kernelINS0_14default_configENS1_25partition_config_selectorILNS1_17partition_subalgoE0ExNS0_10empty_typeEbEEZZNS1_14partition_implILS5_0ELb0ES3_jN6thrust23THRUST_200600_302600_NS6detail15normal_iteratorINSA_10device_ptrIxEEEEPS6_SG_NS0_5tupleIJNSA_16discard_iteratorINSA_11use_defaultEEESK_EEENSH_IJSG_SG_EEES6_PlJ7is_evenIxEEEE10hipError_tPvRmT3_T4_T5_T6_T7_T9_mT8_P12ihipStream_tbDpT10_ENKUlT_T0_E_clISt17integral_constantIbLb1EES18_IbLb0EEEEDaS14_S15_EUlS14_E_NS1_11comp_targetILNS1_3genE0ELNS1_11target_archE4294967295ELNS1_3gpuE0ELNS1_3repE0EEENS1_30default_config_static_selectorELNS0_4arch9wavefront6targetE1EEEvT1_
                                        ; -- End function
	.section	.AMDGPU.csdata,"",@progbits
; Kernel info:
; codeLenInByte = 0
; NumSgprs: 4
; NumVgprs: 0
; NumAgprs: 0
; TotalNumVgprs: 0
; ScratchSize: 0
; MemoryBound: 0
; FloatMode: 240
; IeeeMode: 1
; LDSByteSize: 0 bytes/workgroup (compile time only)
; SGPRBlocks: 0
; VGPRBlocks: 0
; NumSGPRsForWavesPerEU: 4
; NumVGPRsForWavesPerEU: 1
; AccumOffset: 4
; Occupancy: 8
; WaveLimiterHint : 0
; COMPUTE_PGM_RSRC2:SCRATCH_EN: 0
; COMPUTE_PGM_RSRC2:USER_SGPR: 6
; COMPUTE_PGM_RSRC2:TRAP_HANDLER: 0
; COMPUTE_PGM_RSRC2:TGID_X_EN: 1
; COMPUTE_PGM_RSRC2:TGID_Y_EN: 0
; COMPUTE_PGM_RSRC2:TGID_Z_EN: 0
; COMPUTE_PGM_RSRC2:TIDIG_COMP_CNT: 0
; COMPUTE_PGM_RSRC3_GFX90A:ACCUM_OFFSET: 0
; COMPUTE_PGM_RSRC3_GFX90A:TG_SPLIT: 0
	.section	.text._ZN7rocprim17ROCPRIM_400000_NS6detail17trampoline_kernelINS0_14default_configENS1_25partition_config_selectorILNS1_17partition_subalgoE0ExNS0_10empty_typeEbEEZZNS1_14partition_implILS5_0ELb0ES3_jN6thrust23THRUST_200600_302600_NS6detail15normal_iteratorINSA_10device_ptrIxEEEEPS6_SG_NS0_5tupleIJNSA_16discard_iteratorINSA_11use_defaultEEESK_EEENSH_IJSG_SG_EEES6_PlJ7is_evenIxEEEE10hipError_tPvRmT3_T4_T5_T6_T7_T9_mT8_P12ihipStream_tbDpT10_ENKUlT_T0_E_clISt17integral_constantIbLb1EES18_IbLb0EEEEDaS14_S15_EUlS14_E_NS1_11comp_targetILNS1_3genE5ELNS1_11target_archE942ELNS1_3gpuE9ELNS1_3repE0EEENS1_30default_config_static_selectorELNS0_4arch9wavefront6targetE1EEEvT1_,"axG",@progbits,_ZN7rocprim17ROCPRIM_400000_NS6detail17trampoline_kernelINS0_14default_configENS1_25partition_config_selectorILNS1_17partition_subalgoE0ExNS0_10empty_typeEbEEZZNS1_14partition_implILS5_0ELb0ES3_jN6thrust23THRUST_200600_302600_NS6detail15normal_iteratorINSA_10device_ptrIxEEEEPS6_SG_NS0_5tupleIJNSA_16discard_iteratorINSA_11use_defaultEEESK_EEENSH_IJSG_SG_EEES6_PlJ7is_evenIxEEEE10hipError_tPvRmT3_T4_T5_T6_T7_T9_mT8_P12ihipStream_tbDpT10_ENKUlT_T0_E_clISt17integral_constantIbLb1EES18_IbLb0EEEEDaS14_S15_EUlS14_E_NS1_11comp_targetILNS1_3genE5ELNS1_11target_archE942ELNS1_3gpuE9ELNS1_3repE0EEENS1_30default_config_static_selectorELNS0_4arch9wavefront6targetE1EEEvT1_,comdat
	.protected	_ZN7rocprim17ROCPRIM_400000_NS6detail17trampoline_kernelINS0_14default_configENS1_25partition_config_selectorILNS1_17partition_subalgoE0ExNS0_10empty_typeEbEEZZNS1_14partition_implILS5_0ELb0ES3_jN6thrust23THRUST_200600_302600_NS6detail15normal_iteratorINSA_10device_ptrIxEEEEPS6_SG_NS0_5tupleIJNSA_16discard_iteratorINSA_11use_defaultEEESK_EEENSH_IJSG_SG_EEES6_PlJ7is_evenIxEEEE10hipError_tPvRmT3_T4_T5_T6_T7_T9_mT8_P12ihipStream_tbDpT10_ENKUlT_T0_E_clISt17integral_constantIbLb1EES18_IbLb0EEEEDaS14_S15_EUlS14_E_NS1_11comp_targetILNS1_3genE5ELNS1_11target_archE942ELNS1_3gpuE9ELNS1_3repE0EEENS1_30default_config_static_selectorELNS0_4arch9wavefront6targetE1EEEvT1_ ; -- Begin function _ZN7rocprim17ROCPRIM_400000_NS6detail17trampoline_kernelINS0_14default_configENS1_25partition_config_selectorILNS1_17partition_subalgoE0ExNS0_10empty_typeEbEEZZNS1_14partition_implILS5_0ELb0ES3_jN6thrust23THRUST_200600_302600_NS6detail15normal_iteratorINSA_10device_ptrIxEEEEPS6_SG_NS0_5tupleIJNSA_16discard_iteratorINSA_11use_defaultEEESK_EEENSH_IJSG_SG_EEES6_PlJ7is_evenIxEEEE10hipError_tPvRmT3_T4_T5_T6_T7_T9_mT8_P12ihipStream_tbDpT10_ENKUlT_T0_E_clISt17integral_constantIbLb1EES18_IbLb0EEEEDaS14_S15_EUlS14_E_NS1_11comp_targetILNS1_3genE5ELNS1_11target_archE942ELNS1_3gpuE9ELNS1_3repE0EEENS1_30default_config_static_selectorELNS0_4arch9wavefront6targetE1EEEvT1_
	.globl	_ZN7rocprim17ROCPRIM_400000_NS6detail17trampoline_kernelINS0_14default_configENS1_25partition_config_selectorILNS1_17partition_subalgoE0ExNS0_10empty_typeEbEEZZNS1_14partition_implILS5_0ELb0ES3_jN6thrust23THRUST_200600_302600_NS6detail15normal_iteratorINSA_10device_ptrIxEEEEPS6_SG_NS0_5tupleIJNSA_16discard_iteratorINSA_11use_defaultEEESK_EEENSH_IJSG_SG_EEES6_PlJ7is_evenIxEEEE10hipError_tPvRmT3_T4_T5_T6_T7_T9_mT8_P12ihipStream_tbDpT10_ENKUlT_T0_E_clISt17integral_constantIbLb1EES18_IbLb0EEEEDaS14_S15_EUlS14_E_NS1_11comp_targetILNS1_3genE5ELNS1_11target_archE942ELNS1_3gpuE9ELNS1_3repE0EEENS1_30default_config_static_selectorELNS0_4arch9wavefront6targetE1EEEvT1_
	.p2align	8
	.type	_ZN7rocprim17ROCPRIM_400000_NS6detail17trampoline_kernelINS0_14default_configENS1_25partition_config_selectorILNS1_17partition_subalgoE0ExNS0_10empty_typeEbEEZZNS1_14partition_implILS5_0ELb0ES3_jN6thrust23THRUST_200600_302600_NS6detail15normal_iteratorINSA_10device_ptrIxEEEEPS6_SG_NS0_5tupleIJNSA_16discard_iteratorINSA_11use_defaultEEESK_EEENSH_IJSG_SG_EEES6_PlJ7is_evenIxEEEE10hipError_tPvRmT3_T4_T5_T6_T7_T9_mT8_P12ihipStream_tbDpT10_ENKUlT_T0_E_clISt17integral_constantIbLb1EES18_IbLb0EEEEDaS14_S15_EUlS14_E_NS1_11comp_targetILNS1_3genE5ELNS1_11target_archE942ELNS1_3gpuE9ELNS1_3repE0EEENS1_30default_config_static_selectorELNS0_4arch9wavefront6targetE1EEEvT1_,@function
_ZN7rocprim17ROCPRIM_400000_NS6detail17trampoline_kernelINS0_14default_configENS1_25partition_config_selectorILNS1_17partition_subalgoE0ExNS0_10empty_typeEbEEZZNS1_14partition_implILS5_0ELb0ES3_jN6thrust23THRUST_200600_302600_NS6detail15normal_iteratorINSA_10device_ptrIxEEEEPS6_SG_NS0_5tupleIJNSA_16discard_iteratorINSA_11use_defaultEEESK_EEENSH_IJSG_SG_EEES6_PlJ7is_evenIxEEEE10hipError_tPvRmT3_T4_T5_T6_T7_T9_mT8_P12ihipStream_tbDpT10_ENKUlT_T0_E_clISt17integral_constantIbLb1EES18_IbLb0EEEEDaS14_S15_EUlS14_E_NS1_11comp_targetILNS1_3genE5ELNS1_11target_archE942ELNS1_3gpuE9ELNS1_3repE0EEENS1_30default_config_static_selectorELNS0_4arch9wavefront6targetE1EEEvT1_: ; @_ZN7rocprim17ROCPRIM_400000_NS6detail17trampoline_kernelINS0_14default_configENS1_25partition_config_selectorILNS1_17partition_subalgoE0ExNS0_10empty_typeEbEEZZNS1_14partition_implILS5_0ELb0ES3_jN6thrust23THRUST_200600_302600_NS6detail15normal_iteratorINSA_10device_ptrIxEEEEPS6_SG_NS0_5tupleIJNSA_16discard_iteratorINSA_11use_defaultEEESK_EEENSH_IJSG_SG_EEES6_PlJ7is_evenIxEEEE10hipError_tPvRmT3_T4_T5_T6_T7_T9_mT8_P12ihipStream_tbDpT10_ENKUlT_T0_E_clISt17integral_constantIbLb1EES18_IbLb0EEEEDaS14_S15_EUlS14_E_NS1_11comp_targetILNS1_3genE5ELNS1_11target_archE942ELNS1_3gpuE9ELNS1_3repE0EEENS1_30default_config_static_selectorELNS0_4arch9wavefront6targetE1EEEvT1_
; %bb.0:
	.section	.rodata,"a",@progbits
	.p2align	6, 0x0
	.amdhsa_kernel _ZN7rocprim17ROCPRIM_400000_NS6detail17trampoline_kernelINS0_14default_configENS1_25partition_config_selectorILNS1_17partition_subalgoE0ExNS0_10empty_typeEbEEZZNS1_14partition_implILS5_0ELb0ES3_jN6thrust23THRUST_200600_302600_NS6detail15normal_iteratorINSA_10device_ptrIxEEEEPS6_SG_NS0_5tupleIJNSA_16discard_iteratorINSA_11use_defaultEEESK_EEENSH_IJSG_SG_EEES6_PlJ7is_evenIxEEEE10hipError_tPvRmT3_T4_T5_T6_T7_T9_mT8_P12ihipStream_tbDpT10_ENKUlT_T0_E_clISt17integral_constantIbLb1EES18_IbLb0EEEEDaS14_S15_EUlS14_E_NS1_11comp_targetILNS1_3genE5ELNS1_11target_archE942ELNS1_3gpuE9ELNS1_3repE0EEENS1_30default_config_static_selectorELNS0_4arch9wavefront6targetE1EEEvT1_
		.amdhsa_group_segment_fixed_size 0
		.amdhsa_private_segment_fixed_size 0
		.amdhsa_kernarg_size 136
		.amdhsa_user_sgpr_count 6
		.amdhsa_user_sgpr_private_segment_buffer 1
		.amdhsa_user_sgpr_dispatch_ptr 0
		.amdhsa_user_sgpr_queue_ptr 0
		.amdhsa_user_sgpr_kernarg_segment_ptr 1
		.amdhsa_user_sgpr_dispatch_id 0
		.amdhsa_user_sgpr_flat_scratch_init 0
		.amdhsa_user_sgpr_kernarg_preload_length 0
		.amdhsa_user_sgpr_kernarg_preload_offset 0
		.amdhsa_user_sgpr_private_segment_size 0
		.amdhsa_uses_dynamic_stack 0
		.amdhsa_system_sgpr_private_segment_wavefront_offset 0
		.amdhsa_system_sgpr_workgroup_id_x 1
		.amdhsa_system_sgpr_workgroup_id_y 0
		.amdhsa_system_sgpr_workgroup_id_z 0
		.amdhsa_system_sgpr_workgroup_info 0
		.amdhsa_system_vgpr_workitem_id 0
		.amdhsa_next_free_vgpr 1
		.amdhsa_next_free_sgpr 0
		.amdhsa_accum_offset 4
		.amdhsa_reserve_vcc 0
		.amdhsa_reserve_flat_scratch 0
		.amdhsa_float_round_mode_32 0
		.amdhsa_float_round_mode_16_64 0
		.amdhsa_float_denorm_mode_32 3
		.amdhsa_float_denorm_mode_16_64 3
		.amdhsa_dx10_clamp 1
		.amdhsa_ieee_mode 1
		.amdhsa_fp16_overflow 0
		.amdhsa_tg_split 0
		.amdhsa_exception_fp_ieee_invalid_op 0
		.amdhsa_exception_fp_denorm_src 0
		.amdhsa_exception_fp_ieee_div_zero 0
		.amdhsa_exception_fp_ieee_overflow 0
		.amdhsa_exception_fp_ieee_underflow 0
		.amdhsa_exception_fp_ieee_inexact 0
		.amdhsa_exception_int_div_zero 0
	.end_amdhsa_kernel
	.section	.text._ZN7rocprim17ROCPRIM_400000_NS6detail17trampoline_kernelINS0_14default_configENS1_25partition_config_selectorILNS1_17partition_subalgoE0ExNS0_10empty_typeEbEEZZNS1_14partition_implILS5_0ELb0ES3_jN6thrust23THRUST_200600_302600_NS6detail15normal_iteratorINSA_10device_ptrIxEEEEPS6_SG_NS0_5tupleIJNSA_16discard_iteratorINSA_11use_defaultEEESK_EEENSH_IJSG_SG_EEES6_PlJ7is_evenIxEEEE10hipError_tPvRmT3_T4_T5_T6_T7_T9_mT8_P12ihipStream_tbDpT10_ENKUlT_T0_E_clISt17integral_constantIbLb1EES18_IbLb0EEEEDaS14_S15_EUlS14_E_NS1_11comp_targetILNS1_3genE5ELNS1_11target_archE942ELNS1_3gpuE9ELNS1_3repE0EEENS1_30default_config_static_selectorELNS0_4arch9wavefront6targetE1EEEvT1_,"axG",@progbits,_ZN7rocprim17ROCPRIM_400000_NS6detail17trampoline_kernelINS0_14default_configENS1_25partition_config_selectorILNS1_17partition_subalgoE0ExNS0_10empty_typeEbEEZZNS1_14partition_implILS5_0ELb0ES3_jN6thrust23THRUST_200600_302600_NS6detail15normal_iteratorINSA_10device_ptrIxEEEEPS6_SG_NS0_5tupleIJNSA_16discard_iteratorINSA_11use_defaultEEESK_EEENSH_IJSG_SG_EEES6_PlJ7is_evenIxEEEE10hipError_tPvRmT3_T4_T5_T6_T7_T9_mT8_P12ihipStream_tbDpT10_ENKUlT_T0_E_clISt17integral_constantIbLb1EES18_IbLb0EEEEDaS14_S15_EUlS14_E_NS1_11comp_targetILNS1_3genE5ELNS1_11target_archE942ELNS1_3gpuE9ELNS1_3repE0EEENS1_30default_config_static_selectorELNS0_4arch9wavefront6targetE1EEEvT1_,comdat
.Lfunc_end2604:
	.size	_ZN7rocprim17ROCPRIM_400000_NS6detail17trampoline_kernelINS0_14default_configENS1_25partition_config_selectorILNS1_17partition_subalgoE0ExNS0_10empty_typeEbEEZZNS1_14partition_implILS5_0ELb0ES3_jN6thrust23THRUST_200600_302600_NS6detail15normal_iteratorINSA_10device_ptrIxEEEEPS6_SG_NS0_5tupleIJNSA_16discard_iteratorINSA_11use_defaultEEESK_EEENSH_IJSG_SG_EEES6_PlJ7is_evenIxEEEE10hipError_tPvRmT3_T4_T5_T6_T7_T9_mT8_P12ihipStream_tbDpT10_ENKUlT_T0_E_clISt17integral_constantIbLb1EES18_IbLb0EEEEDaS14_S15_EUlS14_E_NS1_11comp_targetILNS1_3genE5ELNS1_11target_archE942ELNS1_3gpuE9ELNS1_3repE0EEENS1_30default_config_static_selectorELNS0_4arch9wavefront6targetE1EEEvT1_, .Lfunc_end2604-_ZN7rocprim17ROCPRIM_400000_NS6detail17trampoline_kernelINS0_14default_configENS1_25partition_config_selectorILNS1_17partition_subalgoE0ExNS0_10empty_typeEbEEZZNS1_14partition_implILS5_0ELb0ES3_jN6thrust23THRUST_200600_302600_NS6detail15normal_iteratorINSA_10device_ptrIxEEEEPS6_SG_NS0_5tupleIJNSA_16discard_iteratorINSA_11use_defaultEEESK_EEENSH_IJSG_SG_EEES6_PlJ7is_evenIxEEEE10hipError_tPvRmT3_T4_T5_T6_T7_T9_mT8_P12ihipStream_tbDpT10_ENKUlT_T0_E_clISt17integral_constantIbLb1EES18_IbLb0EEEEDaS14_S15_EUlS14_E_NS1_11comp_targetILNS1_3genE5ELNS1_11target_archE942ELNS1_3gpuE9ELNS1_3repE0EEENS1_30default_config_static_selectorELNS0_4arch9wavefront6targetE1EEEvT1_
                                        ; -- End function
	.section	.AMDGPU.csdata,"",@progbits
; Kernel info:
; codeLenInByte = 0
; NumSgprs: 4
; NumVgprs: 0
; NumAgprs: 0
; TotalNumVgprs: 0
; ScratchSize: 0
; MemoryBound: 0
; FloatMode: 240
; IeeeMode: 1
; LDSByteSize: 0 bytes/workgroup (compile time only)
; SGPRBlocks: 0
; VGPRBlocks: 0
; NumSGPRsForWavesPerEU: 4
; NumVGPRsForWavesPerEU: 1
; AccumOffset: 4
; Occupancy: 8
; WaveLimiterHint : 0
; COMPUTE_PGM_RSRC2:SCRATCH_EN: 0
; COMPUTE_PGM_RSRC2:USER_SGPR: 6
; COMPUTE_PGM_RSRC2:TRAP_HANDLER: 0
; COMPUTE_PGM_RSRC2:TGID_X_EN: 1
; COMPUTE_PGM_RSRC2:TGID_Y_EN: 0
; COMPUTE_PGM_RSRC2:TGID_Z_EN: 0
; COMPUTE_PGM_RSRC2:TIDIG_COMP_CNT: 0
; COMPUTE_PGM_RSRC3_GFX90A:ACCUM_OFFSET: 0
; COMPUTE_PGM_RSRC3_GFX90A:TG_SPLIT: 0
	.section	.text._ZN7rocprim17ROCPRIM_400000_NS6detail17trampoline_kernelINS0_14default_configENS1_25partition_config_selectorILNS1_17partition_subalgoE0ExNS0_10empty_typeEbEEZZNS1_14partition_implILS5_0ELb0ES3_jN6thrust23THRUST_200600_302600_NS6detail15normal_iteratorINSA_10device_ptrIxEEEEPS6_SG_NS0_5tupleIJNSA_16discard_iteratorINSA_11use_defaultEEESK_EEENSH_IJSG_SG_EEES6_PlJ7is_evenIxEEEE10hipError_tPvRmT3_T4_T5_T6_T7_T9_mT8_P12ihipStream_tbDpT10_ENKUlT_T0_E_clISt17integral_constantIbLb1EES18_IbLb0EEEEDaS14_S15_EUlS14_E_NS1_11comp_targetILNS1_3genE4ELNS1_11target_archE910ELNS1_3gpuE8ELNS1_3repE0EEENS1_30default_config_static_selectorELNS0_4arch9wavefront6targetE1EEEvT1_,"axG",@progbits,_ZN7rocprim17ROCPRIM_400000_NS6detail17trampoline_kernelINS0_14default_configENS1_25partition_config_selectorILNS1_17partition_subalgoE0ExNS0_10empty_typeEbEEZZNS1_14partition_implILS5_0ELb0ES3_jN6thrust23THRUST_200600_302600_NS6detail15normal_iteratorINSA_10device_ptrIxEEEEPS6_SG_NS0_5tupleIJNSA_16discard_iteratorINSA_11use_defaultEEESK_EEENSH_IJSG_SG_EEES6_PlJ7is_evenIxEEEE10hipError_tPvRmT3_T4_T5_T6_T7_T9_mT8_P12ihipStream_tbDpT10_ENKUlT_T0_E_clISt17integral_constantIbLb1EES18_IbLb0EEEEDaS14_S15_EUlS14_E_NS1_11comp_targetILNS1_3genE4ELNS1_11target_archE910ELNS1_3gpuE8ELNS1_3repE0EEENS1_30default_config_static_selectorELNS0_4arch9wavefront6targetE1EEEvT1_,comdat
	.protected	_ZN7rocprim17ROCPRIM_400000_NS6detail17trampoline_kernelINS0_14default_configENS1_25partition_config_selectorILNS1_17partition_subalgoE0ExNS0_10empty_typeEbEEZZNS1_14partition_implILS5_0ELb0ES3_jN6thrust23THRUST_200600_302600_NS6detail15normal_iteratorINSA_10device_ptrIxEEEEPS6_SG_NS0_5tupleIJNSA_16discard_iteratorINSA_11use_defaultEEESK_EEENSH_IJSG_SG_EEES6_PlJ7is_evenIxEEEE10hipError_tPvRmT3_T4_T5_T6_T7_T9_mT8_P12ihipStream_tbDpT10_ENKUlT_T0_E_clISt17integral_constantIbLb1EES18_IbLb0EEEEDaS14_S15_EUlS14_E_NS1_11comp_targetILNS1_3genE4ELNS1_11target_archE910ELNS1_3gpuE8ELNS1_3repE0EEENS1_30default_config_static_selectorELNS0_4arch9wavefront6targetE1EEEvT1_ ; -- Begin function _ZN7rocprim17ROCPRIM_400000_NS6detail17trampoline_kernelINS0_14default_configENS1_25partition_config_selectorILNS1_17partition_subalgoE0ExNS0_10empty_typeEbEEZZNS1_14partition_implILS5_0ELb0ES3_jN6thrust23THRUST_200600_302600_NS6detail15normal_iteratorINSA_10device_ptrIxEEEEPS6_SG_NS0_5tupleIJNSA_16discard_iteratorINSA_11use_defaultEEESK_EEENSH_IJSG_SG_EEES6_PlJ7is_evenIxEEEE10hipError_tPvRmT3_T4_T5_T6_T7_T9_mT8_P12ihipStream_tbDpT10_ENKUlT_T0_E_clISt17integral_constantIbLb1EES18_IbLb0EEEEDaS14_S15_EUlS14_E_NS1_11comp_targetILNS1_3genE4ELNS1_11target_archE910ELNS1_3gpuE8ELNS1_3repE0EEENS1_30default_config_static_selectorELNS0_4arch9wavefront6targetE1EEEvT1_
	.globl	_ZN7rocprim17ROCPRIM_400000_NS6detail17trampoline_kernelINS0_14default_configENS1_25partition_config_selectorILNS1_17partition_subalgoE0ExNS0_10empty_typeEbEEZZNS1_14partition_implILS5_0ELb0ES3_jN6thrust23THRUST_200600_302600_NS6detail15normal_iteratorINSA_10device_ptrIxEEEEPS6_SG_NS0_5tupleIJNSA_16discard_iteratorINSA_11use_defaultEEESK_EEENSH_IJSG_SG_EEES6_PlJ7is_evenIxEEEE10hipError_tPvRmT3_T4_T5_T6_T7_T9_mT8_P12ihipStream_tbDpT10_ENKUlT_T0_E_clISt17integral_constantIbLb1EES18_IbLb0EEEEDaS14_S15_EUlS14_E_NS1_11comp_targetILNS1_3genE4ELNS1_11target_archE910ELNS1_3gpuE8ELNS1_3repE0EEENS1_30default_config_static_selectorELNS0_4arch9wavefront6targetE1EEEvT1_
	.p2align	8
	.type	_ZN7rocprim17ROCPRIM_400000_NS6detail17trampoline_kernelINS0_14default_configENS1_25partition_config_selectorILNS1_17partition_subalgoE0ExNS0_10empty_typeEbEEZZNS1_14partition_implILS5_0ELb0ES3_jN6thrust23THRUST_200600_302600_NS6detail15normal_iteratorINSA_10device_ptrIxEEEEPS6_SG_NS0_5tupleIJNSA_16discard_iteratorINSA_11use_defaultEEESK_EEENSH_IJSG_SG_EEES6_PlJ7is_evenIxEEEE10hipError_tPvRmT3_T4_T5_T6_T7_T9_mT8_P12ihipStream_tbDpT10_ENKUlT_T0_E_clISt17integral_constantIbLb1EES18_IbLb0EEEEDaS14_S15_EUlS14_E_NS1_11comp_targetILNS1_3genE4ELNS1_11target_archE910ELNS1_3gpuE8ELNS1_3repE0EEENS1_30default_config_static_selectorELNS0_4arch9wavefront6targetE1EEEvT1_,@function
_ZN7rocprim17ROCPRIM_400000_NS6detail17trampoline_kernelINS0_14default_configENS1_25partition_config_selectorILNS1_17partition_subalgoE0ExNS0_10empty_typeEbEEZZNS1_14partition_implILS5_0ELb0ES3_jN6thrust23THRUST_200600_302600_NS6detail15normal_iteratorINSA_10device_ptrIxEEEEPS6_SG_NS0_5tupleIJNSA_16discard_iteratorINSA_11use_defaultEEESK_EEENSH_IJSG_SG_EEES6_PlJ7is_evenIxEEEE10hipError_tPvRmT3_T4_T5_T6_T7_T9_mT8_P12ihipStream_tbDpT10_ENKUlT_T0_E_clISt17integral_constantIbLb1EES18_IbLb0EEEEDaS14_S15_EUlS14_E_NS1_11comp_targetILNS1_3genE4ELNS1_11target_archE910ELNS1_3gpuE8ELNS1_3repE0EEENS1_30default_config_static_selectorELNS0_4arch9wavefront6targetE1EEEvT1_: ; @_ZN7rocprim17ROCPRIM_400000_NS6detail17trampoline_kernelINS0_14default_configENS1_25partition_config_selectorILNS1_17partition_subalgoE0ExNS0_10empty_typeEbEEZZNS1_14partition_implILS5_0ELb0ES3_jN6thrust23THRUST_200600_302600_NS6detail15normal_iteratorINSA_10device_ptrIxEEEEPS6_SG_NS0_5tupleIJNSA_16discard_iteratorINSA_11use_defaultEEESK_EEENSH_IJSG_SG_EEES6_PlJ7is_evenIxEEEE10hipError_tPvRmT3_T4_T5_T6_T7_T9_mT8_P12ihipStream_tbDpT10_ENKUlT_T0_E_clISt17integral_constantIbLb1EES18_IbLb0EEEEDaS14_S15_EUlS14_E_NS1_11comp_targetILNS1_3genE4ELNS1_11target_archE910ELNS1_3gpuE8ELNS1_3repE0EEENS1_30default_config_static_selectorELNS0_4arch9wavefront6targetE1EEEvT1_
; %bb.0:
	s_load_dwordx2 s[8:9], s[4:5], 0x68
	s_load_dwordx4 s[0:3], s[4:5], 0x8
	s_load_dwordx4 s[20:23], s[4:5], 0x58
	s_load_dword s7, s[4:5], 0x80
	v_lshlrev_b32_e32 v1, 3, v0
	s_waitcnt lgkmcnt(0)
	v_mov_b32_e32 v3, s9
	s_lshl_b64 s[10:11], s[2:3], 3
	s_add_u32 s9, s0, s10
	s_mul_i32 s0, s7, 0x300
	s_addc_u32 s12, s1, s11
	s_add_i32 s1, s0, s2
	s_add_i32 s13, s7, -1
	s_sub_i32 s7, s8, s1
	s_add_u32 s0, s2, s0
	s_addc_u32 s1, s3, 0
	s_cmp_eq_u32 s6, s13
	v_mov_b32_e32 v2, s8
	s_load_dwordx2 s[18:19], s[22:23], 0x0
	s_cselect_b64 s[22:23], -1, 0
	s_cmp_lg_u32 s6, s13
	s_mul_i32 s10, s6, 0x300
	s_mov_b32 s11, 0
	v_cmp_lt_u64_e32 vcc, s[0:1], v[2:3]
	s_cselect_b64 s[0:1], -1, 0
	s_or_b64 s[0:1], s[0:1], vcc
	s_lshl_b64 s[2:3], s[10:11], 3
	s_add_u32 s8, s9, s2
	s_addc_u32 s9, s12, s3
	s_mov_b64 s[2:3], -1
	s_and_b64 vcc, exec, s[0:1]
	v_lshrrev_b32_e32 v10, 2, v0
	s_cbranch_vccz .LBB2605_2
; %bb.1:
	v_mov_b32_e32 v3, s9
	v_add_co_u32_e32 v2, vcc, s8, v1
	v_addc_co_u32_e32 v3, vcc, 0, v3, vcc
	v_add_co_u32_e32 v4, vcc, 0x1000, v2
	v_addc_co_u32_e32 v5, vcc, 0, v3, vcc
	flat_load_dwordx2 v[6:7], v[2:3]
	flat_load_dwordx2 v[8:9], v[2:3] offset:1536
	flat_load_dwordx2 v[12:13], v[2:3] offset:3072
	;; [unrolled: 1-line block ×3, first 2 shown]
	v_add_u32_e32 v3, 0xc0, v0
	v_add_u32_e32 v4, 0x180, v0
	;; [unrolled: 1-line block ×3, first 2 shown]
	v_and_b32_e32 v2, 56, v10
	v_lshrrev_b32_e32 v3, 2, v3
	v_lshrrev_b32_e32 v4, 2, v4
	;; [unrolled: 1-line block ×3, first 2 shown]
	v_add_u32_e32 v2, v2, v1
	v_and_b32_e32 v3, 0x78, v3
	v_and_b32_e32 v4, 0xf8, v4
	;; [unrolled: 1-line block ×3, first 2 shown]
	v_add_u32_e32 v3, v3, v1
	v_add_u32_e32 v4, v4, v1
	;; [unrolled: 1-line block ×3, first 2 shown]
	s_mov_b64 s[2:3], 0
	s_waitcnt vmcnt(0) lgkmcnt(0)
	ds_write_b64 v2, v[6:7]
	ds_write_b64 v3, v[8:9] offset:1536
	ds_write_b64 v4, v[12:13] offset:3072
	;; [unrolled: 1-line block ×3, first 2 shown]
	s_waitcnt lgkmcnt(0)
	s_barrier
.LBB2605_2:
	s_andn2_b64 vcc, exec, s[2:3]
	s_addk_i32 s7, 0x300
	s_cbranch_vccnz .LBB2605_12
; %bb.3:
	v_cmp_gt_u32_e32 vcc, s7, v0
                                        ; implicit-def: $vgpr2_vgpr3_vgpr4_vgpr5_vgpr6_vgpr7_vgpr8_vgpr9
	s_and_saveexec_b64 s[2:3], vcc
	s_cbranch_execz .LBB2605_5
; %bb.4:
	v_mov_b32_e32 v3, s9
	v_add_co_u32_e32 v2, vcc, s8, v1
	v_addc_co_u32_e32 v3, vcc, 0, v3, vcc
	flat_load_dwordx2 v[2:3], v[2:3]
.LBB2605_5:
	s_or_b64 exec, exec, s[2:3]
	v_add_u32_e32 v11, 0xc0, v0
	v_cmp_gt_u32_e32 vcc, s7, v11
	s_and_saveexec_b64 s[2:3], vcc
	s_cbranch_execz .LBB2605_7
; %bb.6:
	v_mov_b32_e32 v5, s9
	v_add_co_u32_e32 v4, vcc, s8, v1
	v_addc_co_u32_e32 v5, vcc, 0, v5, vcc
	flat_load_dwordx2 v[4:5], v[4:5] offset:1536
.LBB2605_7:
	s_or_b64 exec, exec, s[2:3]
	v_add_u32_e32 v12, 0x180, v0
	v_cmp_gt_u32_e32 vcc, s7, v12
	s_and_saveexec_b64 s[2:3], vcc
	s_cbranch_execz .LBB2605_9
; %bb.8:
	v_mov_b32_e32 v7, s9
	v_add_co_u32_e32 v6, vcc, s8, v1
	v_addc_co_u32_e32 v7, vcc, 0, v7, vcc
	flat_load_dwordx2 v[6:7], v[6:7] offset:3072
.LBB2605_9:
	s_or_b64 exec, exec, s[2:3]
	v_add_u32_e32 v13, 0x240, v0
	v_cmp_gt_u32_e32 vcc, s7, v13
	s_and_saveexec_b64 s[2:3], vcc
	s_cbranch_execz .LBB2605_11
; %bb.10:
	v_lshlrev_b32_e32 v8, 3, v13
	v_mov_b32_e32 v9, s9
	v_add_co_u32_e32 v8, vcc, s8, v8
	v_addc_co_u32_e32 v9, vcc, 0, v9, vcc
	flat_load_dwordx2 v[8:9], v[8:9]
.LBB2605_11:
	s_or_b64 exec, exec, s[2:3]
	v_and_b32_e32 v10, 56, v10
	v_add_u32_e32 v10, v10, v1
	s_waitcnt vmcnt(0) lgkmcnt(0)
	ds_write_b64 v10, v[2:3]
	v_lshrrev_b32_e32 v2, 2, v11
	v_and_b32_e32 v2, 0x78, v2
	v_add_u32_e32 v2, v2, v1
	ds_write_b64 v2, v[4:5] offset:1536
	v_lshrrev_b32_e32 v2, 2, v12
	v_and_b32_e32 v2, 0xf8, v2
	v_add_u32_e32 v2, v2, v1
	ds_write_b64 v2, v[6:7] offset:3072
	;; [unrolled: 4-line block ×3, first 2 shown]
	s_waitcnt lgkmcnt(0)
	s_barrier
.LBB2605_12:
	v_lshlrev_b32_e32 v1, 2, v0
	v_lshrrev_b32_e32 v2, 3, v0
	v_add_lshl_u32 v2, v2, v1, 3
	s_waitcnt lgkmcnt(0)
	ds_read2_b64 v[6:9], v2 offset1:1
	ds_read2_b64 v[2:5], v2 offset0:2 offset1:3
	s_andn2_b64 vcc, exec, s[0:1]
	s_waitcnt lgkmcnt(0)
	s_barrier
	v_xor_b32_e32 v13, -1, v6
	v_xor_b32_e32 v12, -1, v8
	;; [unrolled: 1-line block ×4, first 2 shown]
	s_cbranch_vccnz .LBB2605_14
; %bb.13:
	v_mov_b32_e32 v15, 1
	v_and_b32_e32 v14, 1, v13
	v_and_b32_sdwa v16, v12, v15 dst_sel:BYTE_1 dst_unused:UNUSED_PAD src0_sel:DWORD src1_sel:DWORD
	v_and_b32_e32 v17, 1, v11
	v_and_b32_sdwa v15, v10, v15 dst_sel:BYTE_1 dst_unused:UNUSED_PAD src0_sel:DWORD src1_sel:DWORD
	v_or_b32_e32 v14, v14, v16
	v_or_b32_sdwa v15, v17, v15 dst_sel:WORD_1 dst_unused:UNUSED_PAD src0_sel:DWORD src1_sel:DWORD
	v_or_b32_sdwa v20, v14, v15 dst_sel:DWORD dst_unused:UNUSED_PAD src0_sel:WORD_0 src1_sel:DWORD
	s_load_dwordx2 s[24:25], s[4:5], 0x78
	s_cbranch_execz .LBB2605_15
	s_branch .LBB2605_16
.LBB2605_14:
                                        ; implicit-def: $vgpr20
	s_load_dwordx2 s[24:25], s[4:5], 0x78
.LBB2605_15:
	v_cmp_gt_u32_e32 vcc, s7, v1
	v_cndmask_b32_e64 v14, 0, 1, vcc
	v_and_b32_e32 v13, v14, v13
	v_or_b32_e32 v14, 1, v1
	v_cmp_gt_u32_e32 vcc, s7, v14
	v_cndmask_b32_e64 v14, 0, 1, vcc
	v_and_b32_sdwa v12, v14, v12 dst_sel:BYTE_1 dst_unused:UNUSED_PAD src0_sel:DWORD src1_sel:DWORD
	v_or_b32_e32 v14, 2, v1
	v_cmp_gt_u32_e32 vcc, s7, v14
	v_cndmask_b32_e64 v14, 0, 1, vcc
	v_and_b32_e32 v11, v14, v11
	v_or_b32_e32 v14, 3, v1
	v_cmp_gt_u32_e32 vcc, s7, v14
	v_cndmask_b32_e64 v14, 0, 1, vcc
	v_and_b32_sdwa v10, v14, v10 dst_sel:BYTE_1 dst_unused:UNUSED_PAD src0_sel:DWORD src1_sel:DWORD
	v_or_b32_e32 v12, v13, v12
	v_or_b32_sdwa v10, v11, v10 dst_sel:WORD_1 dst_unused:UNUSED_PAD src0_sel:DWORD src1_sel:DWORD
	v_or_b32_sdwa v20, v12, v10 dst_sel:DWORD dst_unused:UNUSED_PAD src0_sel:WORD_0 src1_sel:DWORD
.LBB2605_16:
	v_bfe_u32 v22, v20, 16, 8
	v_lshrrev_b32_e32 v21, 24, v20
	v_add_u32_sdwa v10, v20, v20 dst_sel:DWORD dst_unused:UNUSED_PAD src0_sel:BYTE_1 src1_sel:BYTE_0
	v_add3_u32 v25, v10, v22, v21
	v_mbcnt_lo_u32_b32 v10, -1, 0
	v_mbcnt_hi_u32_b32 v23, -1, v10
	v_and_b32_e32 v10, 15, v23
	v_cmp_eq_u32_e64 s[12:13], 0, v10
	v_cmp_lt_u32_e64 s[10:11], 1, v10
	v_cmp_lt_u32_e64 s[8:9], 3, v10
	;; [unrolled: 1-line block ×3, first 2 shown]
	v_and_b32_e32 v10, 16, v23
	v_cmp_eq_u32_e64 s[2:3], 0, v10
	v_and_b32_e32 v10, 0xc0, v0
	v_min_u32_e32 v10, 0x80, v10
	v_or_b32_e32 v10, 63, v10
	s_cmp_lg_u32 s6, 0
	v_cmp_lt_u32_e64 s[0:1], 31, v23
	v_lshrrev_b32_e32 v24, 6, v0
	v_cmp_eq_u32_e64 s[4:5], v10, v0
	s_cbranch_scc0 .LBB2605_47
; %bb.17:
	v_mov_b32_dpp v10, v25 row_shr:1 row_mask:0xf bank_mask:0xf
	v_cndmask_b32_e64 v10, v10, 0, s[12:13]
	v_add_u32_e32 v10, v10, v25
	s_nop 1
	v_mov_b32_dpp v11, v10 row_shr:2 row_mask:0xf bank_mask:0xf
	v_cndmask_b32_e64 v11, 0, v11, s[10:11]
	v_add_u32_e32 v10, v10, v11
	s_nop 1
	;; [unrolled: 4-line block ×4, first 2 shown]
	v_mov_b32_dpp v11, v10 row_bcast:15 row_mask:0xf bank_mask:0xf
	v_cndmask_b32_e64 v11, v11, 0, s[2:3]
	v_add_u32_e32 v10, v10, v11
	s_nop 1
	v_mov_b32_dpp v11, v10 row_bcast:31 row_mask:0xf bank_mask:0xf
	v_cndmask_b32_e64 v11, 0, v11, s[0:1]
	v_add_u32_e32 v10, v10, v11
	s_and_saveexec_b64 s[14:15], s[4:5]
	s_cbranch_execz .LBB2605_19
; %bb.18:
	v_lshlrev_b32_e32 v11, 2, v24
	ds_write_b32 v11, v10
.LBB2605_19:
	s_or_b64 exec, exec, s[14:15]
	v_cmp_gt_u32_e32 vcc, 3, v0
	s_waitcnt lgkmcnt(0)
	s_barrier
	s_and_saveexec_b64 s[14:15], vcc
	s_cbranch_execz .LBB2605_21
; %bb.20:
	ds_read_b32 v11, v1
	v_and_b32_e32 v12, 3, v23
	v_cmp_ne_u32_e32 vcc, 0, v12
	s_waitcnt lgkmcnt(0)
	v_mov_b32_dpp v13, v11 row_shr:1 row_mask:0xf bank_mask:0xf
	v_cndmask_b32_e32 v13, 0, v13, vcc
	v_add_u32_e32 v11, v13, v11
	v_cmp_lt_u32_e32 vcc, 1, v12
	s_nop 0
	v_mov_b32_dpp v13, v11 row_shr:2 row_mask:0xf bank_mask:0xf
	v_cndmask_b32_e32 v12, 0, v13, vcc
	v_add_u32_e32 v11, v11, v12
	ds_write_b32 v1, v11
.LBB2605_21:
	s_or_b64 exec, exec, s[14:15]
	v_cmp_gt_u32_e32 vcc, 64, v0
	v_cmp_lt_u32_e64 s[14:15], 63, v0
	s_waitcnt lgkmcnt(0)
	s_barrier
	s_waitcnt lgkmcnt(0)
                                        ; implicit-def: $vgpr26
	s_and_saveexec_b64 s[26:27], s[14:15]
	s_cbranch_execz .LBB2605_23
; %bb.22:
	v_lshl_add_u32 v11, v24, 2, -4
	ds_read_b32 v26, v11
	s_waitcnt lgkmcnt(0)
	v_add_u32_e32 v10, v26, v10
.LBB2605_23:
	s_or_b64 exec, exec, s[26:27]
	v_add_u32_e32 v11, -1, v23
	v_and_b32_e32 v12, 64, v23
	v_cmp_lt_i32_e64 s[14:15], v11, v12
	v_cndmask_b32_e64 v11, v11, v23, s[14:15]
	v_lshlrev_b32_e32 v11, 2, v11
	ds_bpermute_b32 v27, v11, v10
	v_cmp_eq_u32_e64 s[14:15], 0, v23
	s_and_saveexec_b64 s[26:27], vcc
	s_cbranch_execz .LBB2605_46
; %bb.24:
	v_mov_b32_e32 v19, 0
	ds_read_b32 v10, v19 offset:8
	s_and_saveexec_b64 s[28:29], s[14:15]
	s_cbranch_execz .LBB2605_26
; %bb.25:
	s_add_i32 s30, s6, 64
	s_mov_b32 s31, 0
	s_lshl_b64 s[30:31], s[30:31], 3
	s_add_u32 s30, s24, s30
	v_mov_b32_e32 v11, 1
	s_addc_u32 s31, s25, s31
	s_waitcnt lgkmcnt(0)
	global_store_dwordx2 v19, v[10:11], s[30:31]
.LBB2605_26:
	s_or_b64 exec, exec, s[28:29]
	v_xad_u32 v12, v23, -1, s6
	v_add_u32_e32 v18, 64, v12
	v_lshlrev_b64 v[14:15], 3, v[18:19]
	v_mov_b32_e32 v11, s25
	v_add_co_u32_e32 v14, vcc, s24, v14
	v_addc_co_u32_e32 v15, vcc, v11, v15, vcc
	global_load_dwordx2 v[16:17], v[14:15], off glc
	s_waitcnt vmcnt(0)
	v_cmp_eq_u16_sdwa s[30:31], v17, v19 src0_sel:BYTE_0 src1_sel:DWORD
	s_and_saveexec_b64 s[28:29], s[30:31]
	s_cbranch_execz .LBB2605_32
; %bb.27:
	s_mov_b32 s7, 1
	s_mov_b64 s[30:31], 0
	v_mov_b32_e32 v11, 0
.LBB2605_28:                            ; =>This Loop Header: Depth=1
                                        ;     Child Loop BB2605_29 Depth 2
	s_max_u32 s33, s7, 1
.LBB2605_29:                            ;   Parent Loop BB2605_28 Depth=1
                                        ; =>  This Inner Loop Header: Depth=2
	s_add_i32 s33, s33, -1
	s_cmp_eq_u32 s33, 0
	s_sleep 1
	s_cbranch_scc0 .LBB2605_29
; %bb.30:                               ;   in Loop: Header=BB2605_28 Depth=1
	global_load_dwordx2 v[16:17], v[14:15], off glc
	s_cmp_lt_u32 s7, 32
	s_cselect_b64 s[34:35], -1, 0
	s_cmp_lg_u64 s[34:35], 0
	s_addc_u32 s7, s7, 0
	s_waitcnt vmcnt(0)
	v_cmp_ne_u16_sdwa s[34:35], v17, v11 src0_sel:BYTE_0 src1_sel:DWORD
	s_or_b64 s[30:31], s[34:35], s[30:31]
	s_andn2_b64 exec, exec, s[30:31]
	s_cbranch_execnz .LBB2605_28
; %bb.31:
	s_or_b64 exec, exec, s[30:31]
.LBB2605_32:
	s_or_b64 exec, exec, s[28:29]
	v_and_b32_e32 v29, 63, v23
	v_mov_b32_e32 v28, 2
	v_cmp_ne_u32_e32 vcc, 63, v29
	v_cmp_eq_u16_sdwa s[28:29], v17, v28 src0_sel:BYTE_0 src1_sel:DWORD
	v_lshlrev_b64 v[14:15], v23, -1
	v_addc_co_u32_e32 v18, vcc, 0, v23, vcc
	v_and_b32_e32 v11, s29, v15
	v_lshlrev_b32_e32 v30, 2, v18
	v_or_b32_e32 v11, 0x80000000, v11
	ds_bpermute_b32 v18, v30, v16
	v_and_b32_e32 v13, s28, v14
	v_ffbl_b32_e32 v11, v11
	v_add_u32_e32 v11, 32, v11
	v_ffbl_b32_e32 v13, v13
	v_min_u32_e32 v11, v13, v11
	v_cmp_lt_u32_e32 vcc, v29, v11
	s_waitcnt lgkmcnt(0)
	v_cndmask_b32_e32 v13, 0, v18, vcc
	v_cmp_gt_u32_e32 vcc, 62, v29
	v_add_u32_e32 v13, v13, v16
	v_cndmask_b32_e64 v16, 0, 1, vcc
	v_lshlrev_b32_e32 v16, 1, v16
	v_add_lshl_u32 v31, v16, v23, 2
	ds_bpermute_b32 v16, v31, v13
	v_add_u32_e32 v32, 2, v29
	v_cmp_le_u32_e32 vcc, v32, v11
	v_add_u32_e32 v34, 4, v29
	v_add_u32_e32 v36, 8, v29
	s_waitcnt lgkmcnt(0)
	v_cndmask_b32_e32 v16, 0, v16, vcc
	v_cmp_gt_u32_e32 vcc, 60, v29
	v_add_u32_e32 v13, v13, v16
	v_cndmask_b32_e64 v16, 0, 1, vcc
	v_lshlrev_b32_e32 v16, 2, v16
	v_add_lshl_u32 v33, v16, v23, 2
	ds_bpermute_b32 v16, v33, v13
	v_cmp_le_u32_e32 vcc, v34, v11
	v_add_u32_e32 v38, 16, v29
	v_add_u32_e32 v40, 32, v29
	s_waitcnt lgkmcnt(0)
	v_cndmask_b32_e32 v16, 0, v16, vcc
	v_cmp_gt_u32_e32 vcc, 56, v29
	v_add_u32_e32 v13, v13, v16
	v_cndmask_b32_e64 v16, 0, 1, vcc
	v_lshlrev_b32_e32 v16, 3, v16
	v_add_lshl_u32 v35, v16, v23, 2
	ds_bpermute_b32 v16, v35, v13
	v_cmp_le_u32_e32 vcc, v36, v11
	s_waitcnt lgkmcnt(0)
	v_cndmask_b32_e32 v16, 0, v16, vcc
	v_cmp_gt_u32_e32 vcc, 48, v29
	v_add_u32_e32 v13, v13, v16
	v_cndmask_b32_e64 v16, 0, 1, vcc
	v_lshlrev_b32_e32 v16, 4, v16
	v_add_lshl_u32 v37, v16, v23, 2
	ds_bpermute_b32 v16, v37, v13
	v_cmp_le_u32_e32 vcc, v38, v11
	s_waitcnt lgkmcnt(0)
	v_cndmask_b32_e32 v16, 0, v16, vcc
	v_cmp_gt_u32_e32 vcc, 32, v29
	v_add_u32_e32 v13, v13, v16
	v_cndmask_b32_e64 v16, 0, 1, vcc
	v_lshlrev_b32_e32 v16, 5, v16
	v_add_lshl_u32 v39, v16, v23, 2
	ds_bpermute_b32 v16, v39, v13
	v_cmp_le_u32_e32 vcc, v40, v11
	s_waitcnt lgkmcnt(0)
	v_cndmask_b32_e32 v11, 0, v16, vcc
	v_add_u32_e32 v16, v13, v11
	v_mov_b32_e32 v13, 0
	s_branch .LBB2605_34
.LBB2605_33:                            ;   in Loop: Header=BB2605_34 Depth=1
	s_or_b64 exec, exec, s[28:29]
	v_cmp_eq_u16_sdwa s[28:29], v17, v28 src0_sel:BYTE_0 src1_sel:DWORD
	v_and_b32_e32 v18, s29, v15
	v_or_b32_e32 v18, 0x80000000, v18
	ds_bpermute_b32 v41, v30, v16
	v_and_b32_e32 v19, s28, v14
	v_ffbl_b32_e32 v18, v18
	v_add_u32_e32 v18, 32, v18
	v_ffbl_b32_e32 v19, v19
	v_min_u32_e32 v18, v19, v18
	v_cmp_lt_u32_e32 vcc, v29, v18
	s_waitcnt lgkmcnt(0)
	v_cndmask_b32_e32 v19, 0, v41, vcc
	v_add_u32_e32 v16, v19, v16
	ds_bpermute_b32 v19, v31, v16
	v_cmp_le_u32_e32 vcc, v32, v18
	v_subrev_u32_e32 v12, 64, v12
	s_waitcnt lgkmcnt(0)
	v_cndmask_b32_e32 v19, 0, v19, vcc
	v_add_u32_e32 v16, v16, v19
	ds_bpermute_b32 v19, v33, v16
	v_cmp_le_u32_e32 vcc, v34, v18
	s_waitcnt lgkmcnt(0)
	v_cndmask_b32_e32 v19, 0, v19, vcc
	v_add_u32_e32 v16, v16, v19
	ds_bpermute_b32 v19, v35, v16
	v_cmp_le_u32_e32 vcc, v36, v18
	;; [unrolled: 5-line block ×4, first 2 shown]
	s_waitcnt lgkmcnt(0)
	v_cndmask_b32_e32 v18, 0, v19, vcc
	v_add3_u32 v16, v18, v11, v16
.LBB2605_34:                            ; =>This Loop Header: Depth=1
                                        ;     Child Loop BB2605_37 Depth 2
                                        ;       Child Loop BB2605_38 Depth 3
	v_cmp_ne_u16_sdwa s[28:29], v17, v28 src0_sel:BYTE_0 src1_sel:DWORD
	v_cndmask_b32_e64 v11, 0, 1, s[28:29]
	;;#ASMSTART
	;;#ASMEND
	v_cmp_ne_u32_e32 vcc, 0, v11
	s_cmp_lg_u64 vcc, exec
	v_mov_b32_e32 v11, v16
	s_cbranch_scc1 .LBB2605_41
; %bb.35:                               ;   in Loop: Header=BB2605_34 Depth=1
	v_lshlrev_b64 v[16:17], 3, v[12:13]
	v_mov_b32_e32 v19, s25
	v_add_co_u32_e32 v18, vcc, s24, v16
	v_addc_co_u32_e32 v19, vcc, v19, v17, vcc
	global_load_dwordx2 v[16:17], v[18:19], off glc
	s_waitcnt vmcnt(0)
	v_cmp_eq_u16_sdwa s[30:31], v17, v13 src0_sel:BYTE_0 src1_sel:DWORD
	s_and_saveexec_b64 s[28:29], s[30:31]
	s_cbranch_execz .LBB2605_33
; %bb.36:                               ;   in Loop: Header=BB2605_34 Depth=1
	s_mov_b32 s7, 1
	s_mov_b64 s[30:31], 0
.LBB2605_37:                            ;   Parent Loop BB2605_34 Depth=1
                                        ; =>  This Loop Header: Depth=2
                                        ;       Child Loop BB2605_38 Depth 3
	s_max_u32 s33, s7, 1
.LBB2605_38:                            ;   Parent Loop BB2605_34 Depth=1
                                        ;     Parent Loop BB2605_37 Depth=2
                                        ; =>    This Inner Loop Header: Depth=3
	s_add_i32 s33, s33, -1
	s_cmp_eq_u32 s33, 0
	s_sleep 1
	s_cbranch_scc0 .LBB2605_38
; %bb.39:                               ;   in Loop: Header=BB2605_37 Depth=2
	global_load_dwordx2 v[16:17], v[18:19], off glc
	s_cmp_lt_u32 s7, 32
	s_cselect_b64 s[34:35], -1, 0
	s_cmp_lg_u64 s[34:35], 0
	s_addc_u32 s7, s7, 0
	s_waitcnt vmcnt(0)
	v_cmp_ne_u16_sdwa s[34:35], v17, v13 src0_sel:BYTE_0 src1_sel:DWORD
	s_or_b64 s[30:31], s[34:35], s[30:31]
	s_andn2_b64 exec, exec, s[30:31]
	s_cbranch_execnz .LBB2605_37
; %bb.40:                               ;   in Loop: Header=BB2605_34 Depth=1
	s_or_b64 exec, exec, s[30:31]
	s_branch .LBB2605_33
.LBB2605_41:                            ;   in Loop: Header=BB2605_34 Depth=1
                                        ; implicit-def: $vgpr16
                                        ; implicit-def: $vgpr17
	s_cbranch_execz .LBB2605_34
; %bb.42:
	s_and_saveexec_b64 s[28:29], s[14:15]
	s_cbranch_execz .LBB2605_44
; %bb.43:
	s_add_i32 s6, s6, 64
	s_mov_b32 s7, 0
	s_lshl_b64 s[6:7], s[6:7], 3
	s_add_u32 s6, s24, s6
	v_add_u32_e32 v12, v11, v10
	v_mov_b32_e32 v13, 2
	s_addc_u32 s7, s25, s7
	v_mov_b32_e32 v14, 0
	global_store_dwordx2 v14, v[12:13], s[6:7]
	ds_write_b64 v14, v[10:11] offset:6336
.LBB2605_44:
	s_or_b64 exec, exec, s[28:29]
	v_cmp_eq_u32_e32 vcc, 0, v0
	s_and_b64 exec, exec, vcc
	s_cbranch_execz .LBB2605_46
; %bb.45:
	v_mov_b32_e32 v10, 0
	ds_write_b32 v10, v11 offset:8
.LBB2605_46:
	s_or_b64 exec, exec, s[26:27]
	v_mov_b32_e32 v10, 0
	s_waitcnt lgkmcnt(0)
	s_barrier
	ds_read_b32 v11, v10 offset:8
	v_cndmask_b32_e64 v12, v27, v26, s[14:15]
	v_cmp_ne_u32_e32 vcc, 0, v0
	v_cndmask_b32_e32 v12, 0, v12, vcc
	s_waitcnt lgkmcnt(0)
	v_add_u32_e32 v14, v11, v12
	s_barrier
	ds_read_b64 v[10:11], v10 offset:6336
	v_add_u32_sdwa v15, v14, v20 dst_sel:DWORD dst_unused:UNUSED_PAD src0_sel:DWORD src1_sel:BYTE_0
	v_add_u32_sdwa v13, v15, v20 dst_sel:DWORD dst_unused:UNUSED_PAD src0_sel:DWORD src1_sel:BYTE_1
	v_add_u32_e32 v12, v13, v22
	s_branch .LBB2605_57
.LBB2605_47:
                                        ; implicit-def: $vgpr11
                                        ; implicit-def: $vgpr12
                                        ; implicit-def: $vgpr13
                                        ; implicit-def: $vgpr15
                                        ; implicit-def: $vgpr14
	s_cbranch_execz .LBB2605_57
; %bb.48:
	s_waitcnt lgkmcnt(0)
	v_mov_b32_dpp v10, v25 row_shr:1 row_mask:0xf bank_mask:0xf
	v_cndmask_b32_e64 v10, v10, 0, s[12:13]
	v_add_u32_e32 v10, v10, v25
	s_nop 1
	v_mov_b32_dpp v11, v10 row_shr:2 row_mask:0xf bank_mask:0xf
	v_cndmask_b32_e64 v11, 0, v11, s[10:11]
	v_add_u32_e32 v10, v10, v11
	s_nop 1
	;; [unrolled: 4-line block ×4, first 2 shown]
	v_mov_b32_dpp v11, v10 row_bcast:15 row_mask:0xf bank_mask:0xf
	v_cndmask_b32_e64 v11, v11, 0, s[2:3]
	v_add_u32_e32 v10, v10, v11
	s_nop 1
	v_mov_b32_dpp v11, v10 row_bcast:31 row_mask:0xf bank_mask:0xf
	v_cndmask_b32_e64 v11, 0, v11, s[0:1]
	v_add_u32_e32 v10, v10, v11
	s_and_saveexec_b64 s[0:1], s[4:5]
	s_cbranch_execz .LBB2605_50
; %bb.49:
	v_lshlrev_b32_e32 v11, 2, v24
	ds_write_b32 v11, v10
.LBB2605_50:
	s_or_b64 exec, exec, s[0:1]
	v_cmp_gt_u32_e32 vcc, 3, v0
	s_waitcnt lgkmcnt(0)
	s_barrier
	s_and_saveexec_b64 s[0:1], vcc
	s_cbranch_execz .LBB2605_52
; %bb.51:
	ds_read_b32 v11, v1
	v_and_b32_e32 v12, 3, v23
	v_cmp_ne_u32_e32 vcc, 0, v12
	s_waitcnt lgkmcnt(0)
	v_mov_b32_dpp v13, v11 row_shr:1 row_mask:0xf bank_mask:0xf
	v_cndmask_b32_e32 v13, 0, v13, vcc
	v_add_u32_e32 v11, v13, v11
	v_cmp_lt_u32_e32 vcc, 1, v12
	s_nop 0
	v_mov_b32_dpp v13, v11 row_shr:2 row_mask:0xf bank_mask:0xf
	v_cndmask_b32_e32 v12, 0, v13, vcc
	v_add_u32_e32 v11, v11, v12
	ds_write_b32 v1, v11
.LBB2605_52:
	s_or_b64 exec, exec, s[0:1]
	v_cmp_lt_u32_e32 vcc, 63, v0
	v_mov_b32_e32 v11, 0
	v_mov_b32_e32 v12, 0
	s_waitcnt lgkmcnt(0)
	s_barrier
	s_and_saveexec_b64 s[0:1], vcc
	s_cbranch_execz .LBB2605_54
; %bb.53:
	v_lshl_add_u32 v12, v24, 2, -4
	ds_read_b32 v12, v12
.LBB2605_54:
	s_or_b64 exec, exec, s[0:1]
	v_add_u32_e32 v13, -1, v23
	v_and_b32_e32 v14, 64, v23
	v_cmp_lt_i32_e32 vcc, v13, v14
	v_cndmask_b32_e32 v13, v13, v23, vcc
	s_waitcnt lgkmcnt(0)
	v_add_u32_e32 v10, v12, v10
	v_lshlrev_b32_e32 v13, 2, v13
	ds_bpermute_b32 v13, v13, v10
	ds_read_b32 v10, v11 offset:8
	v_cmp_eq_u32_e32 vcc, 0, v0
	s_and_saveexec_b64 s[0:1], vcc
	s_cbranch_execz .LBB2605_56
; %bb.55:
	v_mov_b32_e32 v14, 0
	v_mov_b32_e32 v11, 2
	s_waitcnt lgkmcnt(0)
	global_store_dwordx2 v14, v[10:11], s[24:25] offset:512
.LBB2605_56:
	s_or_b64 exec, exec, s[0:1]
	v_cmp_eq_u32_e64 s[0:1], 0, v23
	s_waitcnt lgkmcnt(1)
	v_cndmask_b32_e64 v12, v13, v12, s[0:1]
	v_cndmask_b32_e64 v14, v12, 0, vcc
	v_add_u32_sdwa v15, v14, v20 dst_sel:DWORD dst_unused:UNUSED_PAD src0_sel:DWORD src1_sel:BYTE_0
	v_add_u32_sdwa v13, v15, v20 dst_sel:DWORD dst_unused:UNUSED_PAD src0_sel:DWORD src1_sel:BYTE_1
	v_mov_b32_e32 v11, 0
	v_add_u32_e32 v12, v13, v22
	s_waitcnt lgkmcnt(0)
	s_barrier
.LBB2605_57:
	s_waitcnt lgkmcnt(0)
	v_add_u32_e32 v1, v10, v1
	v_sub_u32_e32 v14, v14, v11
	v_and_b32_e32 v18, 1, v20
	v_sub_u32_e32 v17, v1, v14
	v_cmp_eq_u32_e32 vcc, 1, v18
	v_cndmask_b32_e32 v14, v17, v14, vcc
	v_lshlrev_b32_e32 v14, 3, v14
	v_lshrrev_b32_e32 v16, 8, v20
	ds_write_b64 v14, v[6:7]
	v_sub_u32_e32 v6, v15, v11
	v_sub_u32_e32 v7, v1, v6
	v_and_b32_e32 v14, 1, v16
	v_add_u32_e32 v7, 1, v7
	v_cmp_eq_u32_e32 vcc, 1, v14
	v_cndmask_b32_e32 v6, v7, v6, vcc
	v_lshlrev_b32_e32 v6, 3, v6
	ds_write_b64 v6, v[8:9]
	v_sub_u32_e32 v6, v13, v11
	v_mov_b32_e32 v8, 1
	v_sub_u32_e32 v7, v1, v6
	v_and_b32_sdwa v8, v8, v20 dst_sel:DWORD dst_unused:UNUSED_PAD src0_sel:DWORD src1_sel:WORD_1
	v_add_u32_e32 v7, 2, v7
	v_cmp_eq_u32_e32 vcc, 1, v8
	v_cndmask_b32_e32 v6, v7, v6, vcc
	v_lshlrev_b32_e32 v6, 3, v6
	ds_write_b64 v6, v[2:3]
	v_sub_u32_e32 v2, v12, v11
	v_sub_u32_e32 v1, v1, v2
	v_and_b32_e32 v3, 1, v21
	v_add_u32_e32 v1, 3, v1
	v_cmp_eq_u32_e32 vcc, 1, v3
	v_cndmask_b32_e32 v1, v1, v2, vcc
	v_cmp_eq_u32_e32 vcc, 0, v0
	v_lshlrev_b32_e32 v1, 3, v1
	s_and_b64 s[0:1], vcc, s[22:23]
	ds_write_b64 v1, v[4:5]
	s_waitcnt lgkmcnt(0)
	s_barrier
	s_and_saveexec_b64 s[2:3], s[0:1]
	s_cbranch_execz .LBB2605_59
; %bb.58:
	v_mov_b32_e32 v0, s19
	v_add_co_u32_e32 v1, vcc, s18, v10
	v_addc_co_u32_e32 v3, vcc, 0, v0, vcc
	v_add_co_u32_e32 v0, vcc, v1, v11
	v_mov_b32_e32 v2, 0
	v_addc_co_u32_e32 v1, vcc, 0, v3, vcc
	global_store_dwordx2 v2, v[0:1], s[20:21]
.LBB2605_59:
	s_endpgm
	.section	.rodata,"a",@progbits
	.p2align	6, 0x0
	.amdhsa_kernel _ZN7rocprim17ROCPRIM_400000_NS6detail17trampoline_kernelINS0_14default_configENS1_25partition_config_selectorILNS1_17partition_subalgoE0ExNS0_10empty_typeEbEEZZNS1_14partition_implILS5_0ELb0ES3_jN6thrust23THRUST_200600_302600_NS6detail15normal_iteratorINSA_10device_ptrIxEEEEPS6_SG_NS0_5tupleIJNSA_16discard_iteratorINSA_11use_defaultEEESK_EEENSH_IJSG_SG_EEES6_PlJ7is_evenIxEEEE10hipError_tPvRmT3_T4_T5_T6_T7_T9_mT8_P12ihipStream_tbDpT10_ENKUlT_T0_E_clISt17integral_constantIbLb1EES18_IbLb0EEEEDaS14_S15_EUlS14_E_NS1_11comp_targetILNS1_3genE4ELNS1_11target_archE910ELNS1_3gpuE8ELNS1_3repE0EEENS1_30default_config_static_selectorELNS0_4arch9wavefront6targetE1EEEvT1_
		.amdhsa_group_segment_fixed_size 6344
		.amdhsa_private_segment_fixed_size 0
		.amdhsa_kernarg_size 136
		.amdhsa_user_sgpr_count 6
		.amdhsa_user_sgpr_private_segment_buffer 1
		.amdhsa_user_sgpr_dispatch_ptr 0
		.amdhsa_user_sgpr_queue_ptr 0
		.amdhsa_user_sgpr_kernarg_segment_ptr 1
		.amdhsa_user_sgpr_dispatch_id 0
		.amdhsa_user_sgpr_flat_scratch_init 0
		.amdhsa_user_sgpr_kernarg_preload_length 0
		.amdhsa_user_sgpr_kernarg_preload_offset 0
		.amdhsa_user_sgpr_private_segment_size 0
		.amdhsa_uses_dynamic_stack 0
		.amdhsa_system_sgpr_private_segment_wavefront_offset 0
		.amdhsa_system_sgpr_workgroup_id_x 1
		.amdhsa_system_sgpr_workgroup_id_y 0
		.amdhsa_system_sgpr_workgroup_id_z 0
		.amdhsa_system_sgpr_workgroup_info 0
		.amdhsa_system_vgpr_workitem_id 0
		.amdhsa_next_free_vgpr 42
		.amdhsa_next_free_sgpr 36
		.amdhsa_accum_offset 44
		.amdhsa_reserve_vcc 1
		.amdhsa_reserve_flat_scratch 0
		.amdhsa_float_round_mode_32 0
		.amdhsa_float_round_mode_16_64 0
		.amdhsa_float_denorm_mode_32 3
		.amdhsa_float_denorm_mode_16_64 3
		.amdhsa_dx10_clamp 1
		.amdhsa_ieee_mode 1
		.amdhsa_fp16_overflow 0
		.amdhsa_tg_split 0
		.amdhsa_exception_fp_ieee_invalid_op 0
		.amdhsa_exception_fp_denorm_src 0
		.amdhsa_exception_fp_ieee_div_zero 0
		.amdhsa_exception_fp_ieee_overflow 0
		.amdhsa_exception_fp_ieee_underflow 0
		.amdhsa_exception_fp_ieee_inexact 0
		.amdhsa_exception_int_div_zero 0
	.end_amdhsa_kernel
	.section	.text._ZN7rocprim17ROCPRIM_400000_NS6detail17trampoline_kernelINS0_14default_configENS1_25partition_config_selectorILNS1_17partition_subalgoE0ExNS0_10empty_typeEbEEZZNS1_14partition_implILS5_0ELb0ES3_jN6thrust23THRUST_200600_302600_NS6detail15normal_iteratorINSA_10device_ptrIxEEEEPS6_SG_NS0_5tupleIJNSA_16discard_iteratorINSA_11use_defaultEEESK_EEENSH_IJSG_SG_EEES6_PlJ7is_evenIxEEEE10hipError_tPvRmT3_T4_T5_T6_T7_T9_mT8_P12ihipStream_tbDpT10_ENKUlT_T0_E_clISt17integral_constantIbLb1EES18_IbLb0EEEEDaS14_S15_EUlS14_E_NS1_11comp_targetILNS1_3genE4ELNS1_11target_archE910ELNS1_3gpuE8ELNS1_3repE0EEENS1_30default_config_static_selectorELNS0_4arch9wavefront6targetE1EEEvT1_,"axG",@progbits,_ZN7rocprim17ROCPRIM_400000_NS6detail17trampoline_kernelINS0_14default_configENS1_25partition_config_selectorILNS1_17partition_subalgoE0ExNS0_10empty_typeEbEEZZNS1_14partition_implILS5_0ELb0ES3_jN6thrust23THRUST_200600_302600_NS6detail15normal_iteratorINSA_10device_ptrIxEEEEPS6_SG_NS0_5tupleIJNSA_16discard_iteratorINSA_11use_defaultEEESK_EEENSH_IJSG_SG_EEES6_PlJ7is_evenIxEEEE10hipError_tPvRmT3_T4_T5_T6_T7_T9_mT8_P12ihipStream_tbDpT10_ENKUlT_T0_E_clISt17integral_constantIbLb1EES18_IbLb0EEEEDaS14_S15_EUlS14_E_NS1_11comp_targetILNS1_3genE4ELNS1_11target_archE910ELNS1_3gpuE8ELNS1_3repE0EEENS1_30default_config_static_selectorELNS0_4arch9wavefront6targetE1EEEvT1_,comdat
.Lfunc_end2605:
	.size	_ZN7rocprim17ROCPRIM_400000_NS6detail17trampoline_kernelINS0_14default_configENS1_25partition_config_selectorILNS1_17partition_subalgoE0ExNS0_10empty_typeEbEEZZNS1_14partition_implILS5_0ELb0ES3_jN6thrust23THRUST_200600_302600_NS6detail15normal_iteratorINSA_10device_ptrIxEEEEPS6_SG_NS0_5tupleIJNSA_16discard_iteratorINSA_11use_defaultEEESK_EEENSH_IJSG_SG_EEES6_PlJ7is_evenIxEEEE10hipError_tPvRmT3_T4_T5_T6_T7_T9_mT8_P12ihipStream_tbDpT10_ENKUlT_T0_E_clISt17integral_constantIbLb1EES18_IbLb0EEEEDaS14_S15_EUlS14_E_NS1_11comp_targetILNS1_3genE4ELNS1_11target_archE910ELNS1_3gpuE8ELNS1_3repE0EEENS1_30default_config_static_selectorELNS0_4arch9wavefront6targetE1EEEvT1_, .Lfunc_end2605-_ZN7rocprim17ROCPRIM_400000_NS6detail17trampoline_kernelINS0_14default_configENS1_25partition_config_selectorILNS1_17partition_subalgoE0ExNS0_10empty_typeEbEEZZNS1_14partition_implILS5_0ELb0ES3_jN6thrust23THRUST_200600_302600_NS6detail15normal_iteratorINSA_10device_ptrIxEEEEPS6_SG_NS0_5tupleIJNSA_16discard_iteratorINSA_11use_defaultEEESK_EEENSH_IJSG_SG_EEES6_PlJ7is_evenIxEEEE10hipError_tPvRmT3_T4_T5_T6_T7_T9_mT8_P12ihipStream_tbDpT10_ENKUlT_T0_E_clISt17integral_constantIbLb1EES18_IbLb0EEEEDaS14_S15_EUlS14_E_NS1_11comp_targetILNS1_3genE4ELNS1_11target_archE910ELNS1_3gpuE8ELNS1_3repE0EEENS1_30default_config_static_selectorELNS0_4arch9wavefront6targetE1EEEvT1_
                                        ; -- End function
	.section	.AMDGPU.csdata,"",@progbits
; Kernel info:
; codeLenInByte = 3152
; NumSgprs: 40
; NumVgprs: 42
; NumAgprs: 0
; TotalNumVgprs: 42
; ScratchSize: 0
; MemoryBound: 0
; FloatMode: 240
; IeeeMode: 1
; LDSByteSize: 6344 bytes/workgroup (compile time only)
; SGPRBlocks: 4
; VGPRBlocks: 5
; NumSGPRsForWavesPerEU: 40
; NumVGPRsForWavesPerEU: 42
; AccumOffset: 44
; Occupancy: 8
; WaveLimiterHint : 1
; COMPUTE_PGM_RSRC2:SCRATCH_EN: 0
; COMPUTE_PGM_RSRC2:USER_SGPR: 6
; COMPUTE_PGM_RSRC2:TRAP_HANDLER: 0
; COMPUTE_PGM_RSRC2:TGID_X_EN: 1
; COMPUTE_PGM_RSRC2:TGID_Y_EN: 0
; COMPUTE_PGM_RSRC2:TGID_Z_EN: 0
; COMPUTE_PGM_RSRC2:TIDIG_COMP_CNT: 0
; COMPUTE_PGM_RSRC3_GFX90A:ACCUM_OFFSET: 10
; COMPUTE_PGM_RSRC3_GFX90A:TG_SPLIT: 0
	.section	.text._ZN7rocprim17ROCPRIM_400000_NS6detail17trampoline_kernelINS0_14default_configENS1_25partition_config_selectorILNS1_17partition_subalgoE0ExNS0_10empty_typeEbEEZZNS1_14partition_implILS5_0ELb0ES3_jN6thrust23THRUST_200600_302600_NS6detail15normal_iteratorINSA_10device_ptrIxEEEEPS6_SG_NS0_5tupleIJNSA_16discard_iteratorINSA_11use_defaultEEESK_EEENSH_IJSG_SG_EEES6_PlJ7is_evenIxEEEE10hipError_tPvRmT3_T4_T5_T6_T7_T9_mT8_P12ihipStream_tbDpT10_ENKUlT_T0_E_clISt17integral_constantIbLb1EES18_IbLb0EEEEDaS14_S15_EUlS14_E_NS1_11comp_targetILNS1_3genE3ELNS1_11target_archE908ELNS1_3gpuE7ELNS1_3repE0EEENS1_30default_config_static_selectorELNS0_4arch9wavefront6targetE1EEEvT1_,"axG",@progbits,_ZN7rocprim17ROCPRIM_400000_NS6detail17trampoline_kernelINS0_14default_configENS1_25partition_config_selectorILNS1_17partition_subalgoE0ExNS0_10empty_typeEbEEZZNS1_14partition_implILS5_0ELb0ES3_jN6thrust23THRUST_200600_302600_NS6detail15normal_iteratorINSA_10device_ptrIxEEEEPS6_SG_NS0_5tupleIJNSA_16discard_iteratorINSA_11use_defaultEEESK_EEENSH_IJSG_SG_EEES6_PlJ7is_evenIxEEEE10hipError_tPvRmT3_T4_T5_T6_T7_T9_mT8_P12ihipStream_tbDpT10_ENKUlT_T0_E_clISt17integral_constantIbLb1EES18_IbLb0EEEEDaS14_S15_EUlS14_E_NS1_11comp_targetILNS1_3genE3ELNS1_11target_archE908ELNS1_3gpuE7ELNS1_3repE0EEENS1_30default_config_static_selectorELNS0_4arch9wavefront6targetE1EEEvT1_,comdat
	.protected	_ZN7rocprim17ROCPRIM_400000_NS6detail17trampoline_kernelINS0_14default_configENS1_25partition_config_selectorILNS1_17partition_subalgoE0ExNS0_10empty_typeEbEEZZNS1_14partition_implILS5_0ELb0ES3_jN6thrust23THRUST_200600_302600_NS6detail15normal_iteratorINSA_10device_ptrIxEEEEPS6_SG_NS0_5tupleIJNSA_16discard_iteratorINSA_11use_defaultEEESK_EEENSH_IJSG_SG_EEES6_PlJ7is_evenIxEEEE10hipError_tPvRmT3_T4_T5_T6_T7_T9_mT8_P12ihipStream_tbDpT10_ENKUlT_T0_E_clISt17integral_constantIbLb1EES18_IbLb0EEEEDaS14_S15_EUlS14_E_NS1_11comp_targetILNS1_3genE3ELNS1_11target_archE908ELNS1_3gpuE7ELNS1_3repE0EEENS1_30default_config_static_selectorELNS0_4arch9wavefront6targetE1EEEvT1_ ; -- Begin function _ZN7rocprim17ROCPRIM_400000_NS6detail17trampoline_kernelINS0_14default_configENS1_25partition_config_selectorILNS1_17partition_subalgoE0ExNS0_10empty_typeEbEEZZNS1_14partition_implILS5_0ELb0ES3_jN6thrust23THRUST_200600_302600_NS6detail15normal_iteratorINSA_10device_ptrIxEEEEPS6_SG_NS0_5tupleIJNSA_16discard_iteratorINSA_11use_defaultEEESK_EEENSH_IJSG_SG_EEES6_PlJ7is_evenIxEEEE10hipError_tPvRmT3_T4_T5_T6_T7_T9_mT8_P12ihipStream_tbDpT10_ENKUlT_T0_E_clISt17integral_constantIbLb1EES18_IbLb0EEEEDaS14_S15_EUlS14_E_NS1_11comp_targetILNS1_3genE3ELNS1_11target_archE908ELNS1_3gpuE7ELNS1_3repE0EEENS1_30default_config_static_selectorELNS0_4arch9wavefront6targetE1EEEvT1_
	.globl	_ZN7rocprim17ROCPRIM_400000_NS6detail17trampoline_kernelINS0_14default_configENS1_25partition_config_selectorILNS1_17partition_subalgoE0ExNS0_10empty_typeEbEEZZNS1_14partition_implILS5_0ELb0ES3_jN6thrust23THRUST_200600_302600_NS6detail15normal_iteratorINSA_10device_ptrIxEEEEPS6_SG_NS0_5tupleIJNSA_16discard_iteratorINSA_11use_defaultEEESK_EEENSH_IJSG_SG_EEES6_PlJ7is_evenIxEEEE10hipError_tPvRmT3_T4_T5_T6_T7_T9_mT8_P12ihipStream_tbDpT10_ENKUlT_T0_E_clISt17integral_constantIbLb1EES18_IbLb0EEEEDaS14_S15_EUlS14_E_NS1_11comp_targetILNS1_3genE3ELNS1_11target_archE908ELNS1_3gpuE7ELNS1_3repE0EEENS1_30default_config_static_selectorELNS0_4arch9wavefront6targetE1EEEvT1_
	.p2align	8
	.type	_ZN7rocprim17ROCPRIM_400000_NS6detail17trampoline_kernelINS0_14default_configENS1_25partition_config_selectorILNS1_17partition_subalgoE0ExNS0_10empty_typeEbEEZZNS1_14partition_implILS5_0ELb0ES3_jN6thrust23THRUST_200600_302600_NS6detail15normal_iteratorINSA_10device_ptrIxEEEEPS6_SG_NS0_5tupleIJNSA_16discard_iteratorINSA_11use_defaultEEESK_EEENSH_IJSG_SG_EEES6_PlJ7is_evenIxEEEE10hipError_tPvRmT3_T4_T5_T6_T7_T9_mT8_P12ihipStream_tbDpT10_ENKUlT_T0_E_clISt17integral_constantIbLb1EES18_IbLb0EEEEDaS14_S15_EUlS14_E_NS1_11comp_targetILNS1_3genE3ELNS1_11target_archE908ELNS1_3gpuE7ELNS1_3repE0EEENS1_30default_config_static_selectorELNS0_4arch9wavefront6targetE1EEEvT1_,@function
_ZN7rocprim17ROCPRIM_400000_NS6detail17trampoline_kernelINS0_14default_configENS1_25partition_config_selectorILNS1_17partition_subalgoE0ExNS0_10empty_typeEbEEZZNS1_14partition_implILS5_0ELb0ES3_jN6thrust23THRUST_200600_302600_NS6detail15normal_iteratorINSA_10device_ptrIxEEEEPS6_SG_NS0_5tupleIJNSA_16discard_iteratorINSA_11use_defaultEEESK_EEENSH_IJSG_SG_EEES6_PlJ7is_evenIxEEEE10hipError_tPvRmT3_T4_T5_T6_T7_T9_mT8_P12ihipStream_tbDpT10_ENKUlT_T0_E_clISt17integral_constantIbLb1EES18_IbLb0EEEEDaS14_S15_EUlS14_E_NS1_11comp_targetILNS1_3genE3ELNS1_11target_archE908ELNS1_3gpuE7ELNS1_3repE0EEENS1_30default_config_static_selectorELNS0_4arch9wavefront6targetE1EEEvT1_: ; @_ZN7rocprim17ROCPRIM_400000_NS6detail17trampoline_kernelINS0_14default_configENS1_25partition_config_selectorILNS1_17partition_subalgoE0ExNS0_10empty_typeEbEEZZNS1_14partition_implILS5_0ELb0ES3_jN6thrust23THRUST_200600_302600_NS6detail15normal_iteratorINSA_10device_ptrIxEEEEPS6_SG_NS0_5tupleIJNSA_16discard_iteratorINSA_11use_defaultEEESK_EEENSH_IJSG_SG_EEES6_PlJ7is_evenIxEEEE10hipError_tPvRmT3_T4_T5_T6_T7_T9_mT8_P12ihipStream_tbDpT10_ENKUlT_T0_E_clISt17integral_constantIbLb1EES18_IbLb0EEEEDaS14_S15_EUlS14_E_NS1_11comp_targetILNS1_3genE3ELNS1_11target_archE908ELNS1_3gpuE7ELNS1_3repE0EEENS1_30default_config_static_selectorELNS0_4arch9wavefront6targetE1EEEvT1_
; %bb.0:
	.section	.rodata,"a",@progbits
	.p2align	6, 0x0
	.amdhsa_kernel _ZN7rocprim17ROCPRIM_400000_NS6detail17trampoline_kernelINS0_14default_configENS1_25partition_config_selectorILNS1_17partition_subalgoE0ExNS0_10empty_typeEbEEZZNS1_14partition_implILS5_0ELb0ES3_jN6thrust23THRUST_200600_302600_NS6detail15normal_iteratorINSA_10device_ptrIxEEEEPS6_SG_NS0_5tupleIJNSA_16discard_iteratorINSA_11use_defaultEEESK_EEENSH_IJSG_SG_EEES6_PlJ7is_evenIxEEEE10hipError_tPvRmT3_T4_T5_T6_T7_T9_mT8_P12ihipStream_tbDpT10_ENKUlT_T0_E_clISt17integral_constantIbLb1EES18_IbLb0EEEEDaS14_S15_EUlS14_E_NS1_11comp_targetILNS1_3genE3ELNS1_11target_archE908ELNS1_3gpuE7ELNS1_3repE0EEENS1_30default_config_static_selectorELNS0_4arch9wavefront6targetE1EEEvT1_
		.amdhsa_group_segment_fixed_size 0
		.amdhsa_private_segment_fixed_size 0
		.amdhsa_kernarg_size 136
		.amdhsa_user_sgpr_count 6
		.amdhsa_user_sgpr_private_segment_buffer 1
		.amdhsa_user_sgpr_dispatch_ptr 0
		.amdhsa_user_sgpr_queue_ptr 0
		.amdhsa_user_sgpr_kernarg_segment_ptr 1
		.amdhsa_user_sgpr_dispatch_id 0
		.amdhsa_user_sgpr_flat_scratch_init 0
		.amdhsa_user_sgpr_kernarg_preload_length 0
		.amdhsa_user_sgpr_kernarg_preload_offset 0
		.amdhsa_user_sgpr_private_segment_size 0
		.amdhsa_uses_dynamic_stack 0
		.amdhsa_system_sgpr_private_segment_wavefront_offset 0
		.amdhsa_system_sgpr_workgroup_id_x 1
		.amdhsa_system_sgpr_workgroup_id_y 0
		.amdhsa_system_sgpr_workgroup_id_z 0
		.amdhsa_system_sgpr_workgroup_info 0
		.amdhsa_system_vgpr_workitem_id 0
		.amdhsa_next_free_vgpr 1
		.amdhsa_next_free_sgpr 0
		.amdhsa_accum_offset 4
		.amdhsa_reserve_vcc 0
		.amdhsa_reserve_flat_scratch 0
		.amdhsa_float_round_mode_32 0
		.amdhsa_float_round_mode_16_64 0
		.amdhsa_float_denorm_mode_32 3
		.amdhsa_float_denorm_mode_16_64 3
		.amdhsa_dx10_clamp 1
		.amdhsa_ieee_mode 1
		.amdhsa_fp16_overflow 0
		.amdhsa_tg_split 0
		.amdhsa_exception_fp_ieee_invalid_op 0
		.amdhsa_exception_fp_denorm_src 0
		.amdhsa_exception_fp_ieee_div_zero 0
		.amdhsa_exception_fp_ieee_overflow 0
		.amdhsa_exception_fp_ieee_underflow 0
		.amdhsa_exception_fp_ieee_inexact 0
		.amdhsa_exception_int_div_zero 0
	.end_amdhsa_kernel
	.section	.text._ZN7rocprim17ROCPRIM_400000_NS6detail17trampoline_kernelINS0_14default_configENS1_25partition_config_selectorILNS1_17partition_subalgoE0ExNS0_10empty_typeEbEEZZNS1_14partition_implILS5_0ELb0ES3_jN6thrust23THRUST_200600_302600_NS6detail15normal_iteratorINSA_10device_ptrIxEEEEPS6_SG_NS0_5tupleIJNSA_16discard_iteratorINSA_11use_defaultEEESK_EEENSH_IJSG_SG_EEES6_PlJ7is_evenIxEEEE10hipError_tPvRmT3_T4_T5_T6_T7_T9_mT8_P12ihipStream_tbDpT10_ENKUlT_T0_E_clISt17integral_constantIbLb1EES18_IbLb0EEEEDaS14_S15_EUlS14_E_NS1_11comp_targetILNS1_3genE3ELNS1_11target_archE908ELNS1_3gpuE7ELNS1_3repE0EEENS1_30default_config_static_selectorELNS0_4arch9wavefront6targetE1EEEvT1_,"axG",@progbits,_ZN7rocprim17ROCPRIM_400000_NS6detail17trampoline_kernelINS0_14default_configENS1_25partition_config_selectorILNS1_17partition_subalgoE0ExNS0_10empty_typeEbEEZZNS1_14partition_implILS5_0ELb0ES3_jN6thrust23THRUST_200600_302600_NS6detail15normal_iteratorINSA_10device_ptrIxEEEEPS6_SG_NS0_5tupleIJNSA_16discard_iteratorINSA_11use_defaultEEESK_EEENSH_IJSG_SG_EEES6_PlJ7is_evenIxEEEE10hipError_tPvRmT3_T4_T5_T6_T7_T9_mT8_P12ihipStream_tbDpT10_ENKUlT_T0_E_clISt17integral_constantIbLb1EES18_IbLb0EEEEDaS14_S15_EUlS14_E_NS1_11comp_targetILNS1_3genE3ELNS1_11target_archE908ELNS1_3gpuE7ELNS1_3repE0EEENS1_30default_config_static_selectorELNS0_4arch9wavefront6targetE1EEEvT1_,comdat
.Lfunc_end2606:
	.size	_ZN7rocprim17ROCPRIM_400000_NS6detail17trampoline_kernelINS0_14default_configENS1_25partition_config_selectorILNS1_17partition_subalgoE0ExNS0_10empty_typeEbEEZZNS1_14partition_implILS5_0ELb0ES3_jN6thrust23THRUST_200600_302600_NS6detail15normal_iteratorINSA_10device_ptrIxEEEEPS6_SG_NS0_5tupleIJNSA_16discard_iteratorINSA_11use_defaultEEESK_EEENSH_IJSG_SG_EEES6_PlJ7is_evenIxEEEE10hipError_tPvRmT3_T4_T5_T6_T7_T9_mT8_P12ihipStream_tbDpT10_ENKUlT_T0_E_clISt17integral_constantIbLb1EES18_IbLb0EEEEDaS14_S15_EUlS14_E_NS1_11comp_targetILNS1_3genE3ELNS1_11target_archE908ELNS1_3gpuE7ELNS1_3repE0EEENS1_30default_config_static_selectorELNS0_4arch9wavefront6targetE1EEEvT1_, .Lfunc_end2606-_ZN7rocprim17ROCPRIM_400000_NS6detail17trampoline_kernelINS0_14default_configENS1_25partition_config_selectorILNS1_17partition_subalgoE0ExNS0_10empty_typeEbEEZZNS1_14partition_implILS5_0ELb0ES3_jN6thrust23THRUST_200600_302600_NS6detail15normal_iteratorINSA_10device_ptrIxEEEEPS6_SG_NS0_5tupleIJNSA_16discard_iteratorINSA_11use_defaultEEESK_EEENSH_IJSG_SG_EEES6_PlJ7is_evenIxEEEE10hipError_tPvRmT3_T4_T5_T6_T7_T9_mT8_P12ihipStream_tbDpT10_ENKUlT_T0_E_clISt17integral_constantIbLb1EES18_IbLb0EEEEDaS14_S15_EUlS14_E_NS1_11comp_targetILNS1_3genE3ELNS1_11target_archE908ELNS1_3gpuE7ELNS1_3repE0EEENS1_30default_config_static_selectorELNS0_4arch9wavefront6targetE1EEEvT1_
                                        ; -- End function
	.section	.AMDGPU.csdata,"",@progbits
; Kernel info:
; codeLenInByte = 0
; NumSgprs: 4
; NumVgprs: 0
; NumAgprs: 0
; TotalNumVgprs: 0
; ScratchSize: 0
; MemoryBound: 0
; FloatMode: 240
; IeeeMode: 1
; LDSByteSize: 0 bytes/workgroup (compile time only)
; SGPRBlocks: 0
; VGPRBlocks: 0
; NumSGPRsForWavesPerEU: 4
; NumVGPRsForWavesPerEU: 1
; AccumOffset: 4
; Occupancy: 8
; WaveLimiterHint : 0
; COMPUTE_PGM_RSRC2:SCRATCH_EN: 0
; COMPUTE_PGM_RSRC2:USER_SGPR: 6
; COMPUTE_PGM_RSRC2:TRAP_HANDLER: 0
; COMPUTE_PGM_RSRC2:TGID_X_EN: 1
; COMPUTE_PGM_RSRC2:TGID_Y_EN: 0
; COMPUTE_PGM_RSRC2:TGID_Z_EN: 0
; COMPUTE_PGM_RSRC2:TIDIG_COMP_CNT: 0
; COMPUTE_PGM_RSRC3_GFX90A:ACCUM_OFFSET: 0
; COMPUTE_PGM_RSRC3_GFX90A:TG_SPLIT: 0
	.section	.text._ZN7rocprim17ROCPRIM_400000_NS6detail17trampoline_kernelINS0_14default_configENS1_25partition_config_selectorILNS1_17partition_subalgoE0ExNS0_10empty_typeEbEEZZNS1_14partition_implILS5_0ELb0ES3_jN6thrust23THRUST_200600_302600_NS6detail15normal_iteratorINSA_10device_ptrIxEEEEPS6_SG_NS0_5tupleIJNSA_16discard_iteratorINSA_11use_defaultEEESK_EEENSH_IJSG_SG_EEES6_PlJ7is_evenIxEEEE10hipError_tPvRmT3_T4_T5_T6_T7_T9_mT8_P12ihipStream_tbDpT10_ENKUlT_T0_E_clISt17integral_constantIbLb1EES18_IbLb0EEEEDaS14_S15_EUlS14_E_NS1_11comp_targetILNS1_3genE2ELNS1_11target_archE906ELNS1_3gpuE6ELNS1_3repE0EEENS1_30default_config_static_selectorELNS0_4arch9wavefront6targetE1EEEvT1_,"axG",@progbits,_ZN7rocprim17ROCPRIM_400000_NS6detail17trampoline_kernelINS0_14default_configENS1_25partition_config_selectorILNS1_17partition_subalgoE0ExNS0_10empty_typeEbEEZZNS1_14partition_implILS5_0ELb0ES3_jN6thrust23THRUST_200600_302600_NS6detail15normal_iteratorINSA_10device_ptrIxEEEEPS6_SG_NS0_5tupleIJNSA_16discard_iteratorINSA_11use_defaultEEESK_EEENSH_IJSG_SG_EEES6_PlJ7is_evenIxEEEE10hipError_tPvRmT3_T4_T5_T6_T7_T9_mT8_P12ihipStream_tbDpT10_ENKUlT_T0_E_clISt17integral_constantIbLb1EES18_IbLb0EEEEDaS14_S15_EUlS14_E_NS1_11comp_targetILNS1_3genE2ELNS1_11target_archE906ELNS1_3gpuE6ELNS1_3repE0EEENS1_30default_config_static_selectorELNS0_4arch9wavefront6targetE1EEEvT1_,comdat
	.protected	_ZN7rocprim17ROCPRIM_400000_NS6detail17trampoline_kernelINS0_14default_configENS1_25partition_config_selectorILNS1_17partition_subalgoE0ExNS0_10empty_typeEbEEZZNS1_14partition_implILS5_0ELb0ES3_jN6thrust23THRUST_200600_302600_NS6detail15normal_iteratorINSA_10device_ptrIxEEEEPS6_SG_NS0_5tupleIJNSA_16discard_iteratorINSA_11use_defaultEEESK_EEENSH_IJSG_SG_EEES6_PlJ7is_evenIxEEEE10hipError_tPvRmT3_T4_T5_T6_T7_T9_mT8_P12ihipStream_tbDpT10_ENKUlT_T0_E_clISt17integral_constantIbLb1EES18_IbLb0EEEEDaS14_S15_EUlS14_E_NS1_11comp_targetILNS1_3genE2ELNS1_11target_archE906ELNS1_3gpuE6ELNS1_3repE0EEENS1_30default_config_static_selectorELNS0_4arch9wavefront6targetE1EEEvT1_ ; -- Begin function _ZN7rocprim17ROCPRIM_400000_NS6detail17trampoline_kernelINS0_14default_configENS1_25partition_config_selectorILNS1_17partition_subalgoE0ExNS0_10empty_typeEbEEZZNS1_14partition_implILS5_0ELb0ES3_jN6thrust23THRUST_200600_302600_NS6detail15normal_iteratorINSA_10device_ptrIxEEEEPS6_SG_NS0_5tupleIJNSA_16discard_iteratorINSA_11use_defaultEEESK_EEENSH_IJSG_SG_EEES6_PlJ7is_evenIxEEEE10hipError_tPvRmT3_T4_T5_T6_T7_T9_mT8_P12ihipStream_tbDpT10_ENKUlT_T0_E_clISt17integral_constantIbLb1EES18_IbLb0EEEEDaS14_S15_EUlS14_E_NS1_11comp_targetILNS1_3genE2ELNS1_11target_archE906ELNS1_3gpuE6ELNS1_3repE0EEENS1_30default_config_static_selectorELNS0_4arch9wavefront6targetE1EEEvT1_
	.globl	_ZN7rocprim17ROCPRIM_400000_NS6detail17trampoline_kernelINS0_14default_configENS1_25partition_config_selectorILNS1_17partition_subalgoE0ExNS0_10empty_typeEbEEZZNS1_14partition_implILS5_0ELb0ES3_jN6thrust23THRUST_200600_302600_NS6detail15normal_iteratorINSA_10device_ptrIxEEEEPS6_SG_NS0_5tupleIJNSA_16discard_iteratorINSA_11use_defaultEEESK_EEENSH_IJSG_SG_EEES6_PlJ7is_evenIxEEEE10hipError_tPvRmT3_T4_T5_T6_T7_T9_mT8_P12ihipStream_tbDpT10_ENKUlT_T0_E_clISt17integral_constantIbLb1EES18_IbLb0EEEEDaS14_S15_EUlS14_E_NS1_11comp_targetILNS1_3genE2ELNS1_11target_archE906ELNS1_3gpuE6ELNS1_3repE0EEENS1_30default_config_static_selectorELNS0_4arch9wavefront6targetE1EEEvT1_
	.p2align	8
	.type	_ZN7rocprim17ROCPRIM_400000_NS6detail17trampoline_kernelINS0_14default_configENS1_25partition_config_selectorILNS1_17partition_subalgoE0ExNS0_10empty_typeEbEEZZNS1_14partition_implILS5_0ELb0ES3_jN6thrust23THRUST_200600_302600_NS6detail15normal_iteratorINSA_10device_ptrIxEEEEPS6_SG_NS0_5tupleIJNSA_16discard_iteratorINSA_11use_defaultEEESK_EEENSH_IJSG_SG_EEES6_PlJ7is_evenIxEEEE10hipError_tPvRmT3_T4_T5_T6_T7_T9_mT8_P12ihipStream_tbDpT10_ENKUlT_T0_E_clISt17integral_constantIbLb1EES18_IbLb0EEEEDaS14_S15_EUlS14_E_NS1_11comp_targetILNS1_3genE2ELNS1_11target_archE906ELNS1_3gpuE6ELNS1_3repE0EEENS1_30default_config_static_selectorELNS0_4arch9wavefront6targetE1EEEvT1_,@function
_ZN7rocprim17ROCPRIM_400000_NS6detail17trampoline_kernelINS0_14default_configENS1_25partition_config_selectorILNS1_17partition_subalgoE0ExNS0_10empty_typeEbEEZZNS1_14partition_implILS5_0ELb0ES3_jN6thrust23THRUST_200600_302600_NS6detail15normal_iteratorINSA_10device_ptrIxEEEEPS6_SG_NS0_5tupleIJNSA_16discard_iteratorINSA_11use_defaultEEESK_EEENSH_IJSG_SG_EEES6_PlJ7is_evenIxEEEE10hipError_tPvRmT3_T4_T5_T6_T7_T9_mT8_P12ihipStream_tbDpT10_ENKUlT_T0_E_clISt17integral_constantIbLb1EES18_IbLb0EEEEDaS14_S15_EUlS14_E_NS1_11comp_targetILNS1_3genE2ELNS1_11target_archE906ELNS1_3gpuE6ELNS1_3repE0EEENS1_30default_config_static_selectorELNS0_4arch9wavefront6targetE1EEEvT1_: ; @_ZN7rocprim17ROCPRIM_400000_NS6detail17trampoline_kernelINS0_14default_configENS1_25partition_config_selectorILNS1_17partition_subalgoE0ExNS0_10empty_typeEbEEZZNS1_14partition_implILS5_0ELb0ES3_jN6thrust23THRUST_200600_302600_NS6detail15normal_iteratorINSA_10device_ptrIxEEEEPS6_SG_NS0_5tupleIJNSA_16discard_iteratorINSA_11use_defaultEEESK_EEENSH_IJSG_SG_EEES6_PlJ7is_evenIxEEEE10hipError_tPvRmT3_T4_T5_T6_T7_T9_mT8_P12ihipStream_tbDpT10_ENKUlT_T0_E_clISt17integral_constantIbLb1EES18_IbLb0EEEEDaS14_S15_EUlS14_E_NS1_11comp_targetILNS1_3genE2ELNS1_11target_archE906ELNS1_3gpuE6ELNS1_3repE0EEENS1_30default_config_static_selectorELNS0_4arch9wavefront6targetE1EEEvT1_
; %bb.0:
	.section	.rodata,"a",@progbits
	.p2align	6, 0x0
	.amdhsa_kernel _ZN7rocprim17ROCPRIM_400000_NS6detail17trampoline_kernelINS0_14default_configENS1_25partition_config_selectorILNS1_17partition_subalgoE0ExNS0_10empty_typeEbEEZZNS1_14partition_implILS5_0ELb0ES3_jN6thrust23THRUST_200600_302600_NS6detail15normal_iteratorINSA_10device_ptrIxEEEEPS6_SG_NS0_5tupleIJNSA_16discard_iteratorINSA_11use_defaultEEESK_EEENSH_IJSG_SG_EEES6_PlJ7is_evenIxEEEE10hipError_tPvRmT3_T4_T5_T6_T7_T9_mT8_P12ihipStream_tbDpT10_ENKUlT_T0_E_clISt17integral_constantIbLb1EES18_IbLb0EEEEDaS14_S15_EUlS14_E_NS1_11comp_targetILNS1_3genE2ELNS1_11target_archE906ELNS1_3gpuE6ELNS1_3repE0EEENS1_30default_config_static_selectorELNS0_4arch9wavefront6targetE1EEEvT1_
		.amdhsa_group_segment_fixed_size 0
		.amdhsa_private_segment_fixed_size 0
		.amdhsa_kernarg_size 136
		.amdhsa_user_sgpr_count 6
		.amdhsa_user_sgpr_private_segment_buffer 1
		.amdhsa_user_sgpr_dispatch_ptr 0
		.amdhsa_user_sgpr_queue_ptr 0
		.amdhsa_user_sgpr_kernarg_segment_ptr 1
		.amdhsa_user_sgpr_dispatch_id 0
		.amdhsa_user_sgpr_flat_scratch_init 0
		.amdhsa_user_sgpr_kernarg_preload_length 0
		.amdhsa_user_sgpr_kernarg_preload_offset 0
		.amdhsa_user_sgpr_private_segment_size 0
		.amdhsa_uses_dynamic_stack 0
		.amdhsa_system_sgpr_private_segment_wavefront_offset 0
		.amdhsa_system_sgpr_workgroup_id_x 1
		.amdhsa_system_sgpr_workgroup_id_y 0
		.amdhsa_system_sgpr_workgroup_id_z 0
		.amdhsa_system_sgpr_workgroup_info 0
		.amdhsa_system_vgpr_workitem_id 0
		.amdhsa_next_free_vgpr 1
		.amdhsa_next_free_sgpr 0
		.amdhsa_accum_offset 4
		.amdhsa_reserve_vcc 0
		.amdhsa_reserve_flat_scratch 0
		.amdhsa_float_round_mode_32 0
		.amdhsa_float_round_mode_16_64 0
		.amdhsa_float_denorm_mode_32 3
		.amdhsa_float_denorm_mode_16_64 3
		.amdhsa_dx10_clamp 1
		.amdhsa_ieee_mode 1
		.amdhsa_fp16_overflow 0
		.amdhsa_tg_split 0
		.amdhsa_exception_fp_ieee_invalid_op 0
		.amdhsa_exception_fp_denorm_src 0
		.amdhsa_exception_fp_ieee_div_zero 0
		.amdhsa_exception_fp_ieee_overflow 0
		.amdhsa_exception_fp_ieee_underflow 0
		.amdhsa_exception_fp_ieee_inexact 0
		.amdhsa_exception_int_div_zero 0
	.end_amdhsa_kernel
	.section	.text._ZN7rocprim17ROCPRIM_400000_NS6detail17trampoline_kernelINS0_14default_configENS1_25partition_config_selectorILNS1_17partition_subalgoE0ExNS0_10empty_typeEbEEZZNS1_14partition_implILS5_0ELb0ES3_jN6thrust23THRUST_200600_302600_NS6detail15normal_iteratorINSA_10device_ptrIxEEEEPS6_SG_NS0_5tupleIJNSA_16discard_iteratorINSA_11use_defaultEEESK_EEENSH_IJSG_SG_EEES6_PlJ7is_evenIxEEEE10hipError_tPvRmT3_T4_T5_T6_T7_T9_mT8_P12ihipStream_tbDpT10_ENKUlT_T0_E_clISt17integral_constantIbLb1EES18_IbLb0EEEEDaS14_S15_EUlS14_E_NS1_11comp_targetILNS1_3genE2ELNS1_11target_archE906ELNS1_3gpuE6ELNS1_3repE0EEENS1_30default_config_static_selectorELNS0_4arch9wavefront6targetE1EEEvT1_,"axG",@progbits,_ZN7rocprim17ROCPRIM_400000_NS6detail17trampoline_kernelINS0_14default_configENS1_25partition_config_selectorILNS1_17partition_subalgoE0ExNS0_10empty_typeEbEEZZNS1_14partition_implILS5_0ELb0ES3_jN6thrust23THRUST_200600_302600_NS6detail15normal_iteratorINSA_10device_ptrIxEEEEPS6_SG_NS0_5tupleIJNSA_16discard_iteratorINSA_11use_defaultEEESK_EEENSH_IJSG_SG_EEES6_PlJ7is_evenIxEEEE10hipError_tPvRmT3_T4_T5_T6_T7_T9_mT8_P12ihipStream_tbDpT10_ENKUlT_T0_E_clISt17integral_constantIbLb1EES18_IbLb0EEEEDaS14_S15_EUlS14_E_NS1_11comp_targetILNS1_3genE2ELNS1_11target_archE906ELNS1_3gpuE6ELNS1_3repE0EEENS1_30default_config_static_selectorELNS0_4arch9wavefront6targetE1EEEvT1_,comdat
.Lfunc_end2607:
	.size	_ZN7rocprim17ROCPRIM_400000_NS6detail17trampoline_kernelINS0_14default_configENS1_25partition_config_selectorILNS1_17partition_subalgoE0ExNS0_10empty_typeEbEEZZNS1_14partition_implILS5_0ELb0ES3_jN6thrust23THRUST_200600_302600_NS6detail15normal_iteratorINSA_10device_ptrIxEEEEPS6_SG_NS0_5tupleIJNSA_16discard_iteratorINSA_11use_defaultEEESK_EEENSH_IJSG_SG_EEES6_PlJ7is_evenIxEEEE10hipError_tPvRmT3_T4_T5_T6_T7_T9_mT8_P12ihipStream_tbDpT10_ENKUlT_T0_E_clISt17integral_constantIbLb1EES18_IbLb0EEEEDaS14_S15_EUlS14_E_NS1_11comp_targetILNS1_3genE2ELNS1_11target_archE906ELNS1_3gpuE6ELNS1_3repE0EEENS1_30default_config_static_selectorELNS0_4arch9wavefront6targetE1EEEvT1_, .Lfunc_end2607-_ZN7rocprim17ROCPRIM_400000_NS6detail17trampoline_kernelINS0_14default_configENS1_25partition_config_selectorILNS1_17partition_subalgoE0ExNS0_10empty_typeEbEEZZNS1_14partition_implILS5_0ELb0ES3_jN6thrust23THRUST_200600_302600_NS6detail15normal_iteratorINSA_10device_ptrIxEEEEPS6_SG_NS0_5tupleIJNSA_16discard_iteratorINSA_11use_defaultEEESK_EEENSH_IJSG_SG_EEES6_PlJ7is_evenIxEEEE10hipError_tPvRmT3_T4_T5_T6_T7_T9_mT8_P12ihipStream_tbDpT10_ENKUlT_T0_E_clISt17integral_constantIbLb1EES18_IbLb0EEEEDaS14_S15_EUlS14_E_NS1_11comp_targetILNS1_3genE2ELNS1_11target_archE906ELNS1_3gpuE6ELNS1_3repE0EEENS1_30default_config_static_selectorELNS0_4arch9wavefront6targetE1EEEvT1_
                                        ; -- End function
	.section	.AMDGPU.csdata,"",@progbits
; Kernel info:
; codeLenInByte = 0
; NumSgprs: 4
; NumVgprs: 0
; NumAgprs: 0
; TotalNumVgprs: 0
; ScratchSize: 0
; MemoryBound: 0
; FloatMode: 240
; IeeeMode: 1
; LDSByteSize: 0 bytes/workgroup (compile time only)
; SGPRBlocks: 0
; VGPRBlocks: 0
; NumSGPRsForWavesPerEU: 4
; NumVGPRsForWavesPerEU: 1
; AccumOffset: 4
; Occupancy: 8
; WaveLimiterHint : 0
; COMPUTE_PGM_RSRC2:SCRATCH_EN: 0
; COMPUTE_PGM_RSRC2:USER_SGPR: 6
; COMPUTE_PGM_RSRC2:TRAP_HANDLER: 0
; COMPUTE_PGM_RSRC2:TGID_X_EN: 1
; COMPUTE_PGM_RSRC2:TGID_Y_EN: 0
; COMPUTE_PGM_RSRC2:TGID_Z_EN: 0
; COMPUTE_PGM_RSRC2:TIDIG_COMP_CNT: 0
; COMPUTE_PGM_RSRC3_GFX90A:ACCUM_OFFSET: 0
; COMPUTE_PGM_RSRC3_GFX90A:TG_SPLIT: 0
	.section	.text._ZN7rocprim17ROCPRIM_400000_NS6detail17trampoline_kernelINS0_14default_configENS1_25partition_config_selectorILNS1_17partition_subalgoE0ExNS0_10empty_typeEbEEZZNS1_14partition_implILS5_0ELb0ES3_jN6thrust23THRUST_200600_302600_NS6detail15normal_iteratorINSA_10device_ptrIxEEEEPS6_SG_NS0_5tupleIJNSA_16discard_iteratorINSA_11use_defaultEEESK_EEENSH_IJSG_SG_EEES6_PlJ7is_evenIxEEEE10hipError_tPvRmT3_T4_T5_T6_T7_T9_mT8_P12ihipStream_tbDpT10_ENKUlT_T0_E_clISt17integral_constantIbLb1EES18_IbLb0EEEEDaS14_S15_EUlS14_E_NS1_11comp_targetILNS1_3genE10ELNS1_11target_archE1200ELNS1_3gpuE4ELNS1_3repE0EEENS1_30default_config_static_selectorELNS0_4arch9wavefront6targetE1EEEvT1_,"axG",@progbits,_ZN7rocprim17ROCPRIM_400000_NS6detail17trampoline_kernelINS0_14default_configENS1_25partition_config_selectorILNS1_17partition_subalgoE0ExNS0_10empty_typeEbEEZZNS1_14partition_implILS5_0ELb0ES3_jN6thrust23THRUST_200600_302600_NS6detail15normal_iteratorINSA_10device_ptrIxEEEEPS6_SG_NS0_5tupleIJNSA_16discard_iteratorINSA_11use_defaultEEESK_EEENSH_IJSG_SG_EEES6_PlJ7is_evenIxEEEE10hipError_tPvRmT3_T4_T5_T6_T7_T9_mT8_P12ihipStream_tbDpT10_ENKUlT_T0_E_clISt17integral_constantIbLb1EES18_IbLb0EEEEDaS14_S15_EUlS14_E_NS1_11comp_targetILNS1_3genE10ELNS1_11target_archE1200ELNS1_3gpuE4ELNS1_3repE0EEENS1_30default_config_static_selectorELNS0_4arch9wavefront6targetE1EEEvT1_,comdat
	.protected	_ZN7rocprim17ROCPRIM_400000_NS6detail17trampoline_kernelINS0_14default_configENS1_25partition_config_selectorILNS1_17partition_subalgoE0ExNS0_10empty_typeEbEEZZNS1_14partition_implILS5_0ELb0ES3_jN6thrust23THRUST_200600_302600_NS6detail15normal_iteratorINSA_10device_ptrIxEEEEPS6_SG_NS0_5tupleIJNSA_16discard_iteratorINSA_11use_defaultEEESK_EEENSH_IJSG_SG_EEES6_PlJ7is_evenIxEEEE10hipError_tPvRmT3_T4_T5_T6_T7_T9_mT8_P12ihipStream_tbDpT10_ENKUlT_T0_E_clISt17integral_constantIbLb1EES18_IbLb0EEEEDaS14_S15_EUlS14_E_NS1_11comp_targetILNS1_3genE10ELNS1_11target_archE1200ELNS1_3gpuE4ELNS1_3repE0EEENS1_30default_config_static_selectorELNS0_4arch9wavefront6targetE1EEEvT1_ ; -- Begin function _ZN7rocprim17ROCPRIM_400000_NS6detail17trampoline_kernelINS0_14default_configENS1_25partition_config_selectorILNS1_17partition_subalgoE0ExNS0_10empty_typeEbEEZZNS1_14partition_implILS5_0ELb0ES3_jN6thrust23THRUST_200600_302600_NS6detail15normal_iteratorINSA_10device_ptrIxEEEEPS6_SG_NS0_5tupleIJNSA_16discard_iteratorINSA_11use_defaultEEESK_EEENSH_IJSG_SG_EEES6_PlJ7is_evenIxEEEE10hipError_tPvRmT3_T4_T5_T6_T7_T9_mT8_P12ihipStream_tbDpT10_ENKUlT_T0_E_clISt17integral_constantIbLb1EES18_IbLb0EEEEDaS14_S15_EUlS14_E_NS1_11comp_targetILNS1_3genE10ELNS1_11target_archE1200ELNS1_3gpuE4ELNS1_3repE0EEENS1_30default_config_static_selectorELNS0_4arch9wavefront6targetE1EEEvT1_
	.globl	_ZN7rocprim17ROCPRIM_400000_NS6detail17trampoline_kernelINS0_14default_configENS1_25partition_config_selectorILNS1_17partition_subalgoE0ExNS0_10empty_typeEbEEZZNS1_14partition_implILS5_0ELb0ES3_jN6thrust23THRUST_200600_302600_NS6detail15normal_iteratorINSA_10device_ptrIxEEEEPS6_SG_NS0_5tupleIJNSA_16discard_iteratorINSA_11use_defaultEEESK_EEENSH_IJSG_SG_EEES6_PlJ7is_evenIxEEEE10hipError_tPvRmT3_T4_T5_T6_T7_T9_mT8_P12ihipStream_tbDpT10_ENKUlT_T0_E_clISt17integral_constantIbLb1EES18_IbLb0EEEEDaS14_S15_EUlS14_E_NS1_11comp_targetILNS1_3genE10ELNS1_11target_archE1200ELNS1_3gpuE4ELNS1_3repE0EEENS1_30default_config_static_selectorELNS0_4arch9wavefront6targetE1EEEvT1_
	.p2align	8
	.type	_ZN7rocprim17ROCPRIM_400000_NS6detail17trampoline_kernelINS0_14default_configENS1_25partition_config_selectorILNS1_17partition_subalgoE0ExNS0_10empty_typeEbEEZZNS1_14partition_implILS5_0ELb0ES3_jN6thrust23THRUST_200600_302600_NS6detail15normal_iteratorINSA_10device_ptrIxEEEEPS6_SG_NS0_5tupleIJNSA_16discard_iteratorINSA_11use_defaultEEESK_EEENSH_IJSG_SG_EEES6_PlJ7is_evenIxEEEE10hipError_tPvRmT3_T4_T5_T6_T7_T9_mT8_P12ihipStream_tbDpT10_ENKUlT_T0_E_clISt17integral_constantIbLb1EES18_IbLb0EEEEDaS14_S15_EUlS14_E_NS1_11comp_targetILNS1_3genE10ELNS1_11target_archE1200ELNS1_3gpuE4ELNS1_3repE0EEENS1_30default_config_static_selectorELNS0_4arch9wavefront6targetE1EEEvT1_,@function
_ZN7rocprim17ROCPRIM_400000_NS6detail17trampoline_kernelINS0_14default_configENS1_25partition_config_selectorILNS1_17partition_subalgoE0ExNS0_10empty_typeEbEEZZNS1_14partition_implILS5_0ELb0ES3_jN6thrust23THRUST_200600_302600_NS6detail15normal_iteratorINSA_10device_ptrIxEEEEPS6_SG_NS0_5tupleIJNSA_16discard_iteratorINSA_11use_defaultEEESK_EEENSH_IJSG_SG_EEES6_PlJ7is_evenIxEEEE10hipError_tPvRmT3_T4_T5_T6_T7_T9_mT8_P12ihipStream_tbDpT10_ENKUlT_T0_E_clISt17integral_constantIbLb1EES18_IbLb0EEEEDaS14_S15_EUlS14_E_NS1_11comp_targetILNS1_3genE10ELNS1_11target_archE1200ELNS1_3gpuE4ELNS1_3repE0EEENS1_30default_config_static_selectorELNS0_4arch9wavefront6targetE1EEEvT1_: ; @_ZN7rocprim17ROCPRIM_400000_NS6detail17trampoline_kernelINS0_14default_configENS1_25partition_config_selectorILNS1_17partition_subalgoE0ExNS0_10empty_typeEbEEZZNS1_14partition_implILS5_0ELb0ES3_jN6thrust23THRUST_200600_302600_NS6detail15normal_iteratorINSA_10device_ptrIxEEEEPS6_SG_NS0_5tupleIJNSA_16discard_iteratorINSA_11use_defaultEEESK_EEENSH_IJSG_SG_EEES6_PlJ7is_evenIxEEEE10hipError_tPvRmT3_T4_T5_T6_T7_T9_mT8_P12ihipStream_tbDpT10_ENKUlT_T0_E_clISt17integral_constantIbLb1EES18_IbLb0EEEEDaS14_S15_EUlS14_E_NS1_11comp_targetILNS1_3genE10ELNS1_11target_archE1200ELNS1_3gpuE4ELNS1_3repE0EEENS1_30default_config_static_selectorELNS0_4arch9wavefront6targetE1EEEvT1_
; %bb.0:
	.section	.rodata,"a",@progbits
	.p2align	6, 0x0
	.amdhsa_kernel _ZN7rocprim17ROCPRIM_400000_NS6detail17trampoline_kernelINS0_14default_configENS1_25partition_config_selectorILNS1_17partition_subalgoE0ExNS0_10empty_typeEbEEZZNS1_14partition_implILS5_0ELb0ES3_jN6thrust23THRUST_200600_302600_NS6detail15normal_iteratorINSA_10device_ptrIxEEEEPS6_SG_NS0_5tupleIJNSA_16discard_iteratorINSA_11use_defaultEEESK_EEENSH_IJSG_SG_EEES6_PlJ7is_evenIxEEEE10hipError_tPvRmT3_T4_T5_T6_T7_T9_mT8_P12ihipStream_tbDpT10_ENKUlT_T0_E_clISt17integral_constantIbLb1EES18_IbLb0EEEEDaS14_S15_EUlS14_E_NS1_11comp_targetILNS1_3genE10ELNS1_11target_archE1200ELNS1_3gpuE4ELNS1_3repE0EEENS1_30default_config_static_selectorELNS0_4arch9wavefront6targetE1EEEvT1_
		.amdhsa_group_segment_fixed_size 0
		.amdhsa_private_segment_fixed_size 0
		.amdhsa_kernarg_size 136
		.amdhsa_user_sgpr_count 6
		.amdhsa_user_sgpr_private_segment_buffer 1
		.amdhsa_user_sgpr_dispatch_ptr 0
		.amdhsa_user_sgpr_queue_ptr 0
		.amdhsa_user_sgpr_kernarg_segment_ptr 1
		.amdhsa_user_sgpr_dispatch_id 0
		.amdhsa_user_sgpr_flat_scratch_init 0
		.amdhsa_user_sgpr_kernarg_preload_length 0
		.amdhsa_user_sgpr_kernarg_preload_offset 0
		.amdhsa_user_sgpr_private_segment_size 0
		.amdhsa_uses_dynamic_stack 0
		.amdhsa_system_sgpr_private_segment_wavefront_offset 0
		.amdhsa_system_sgpr_workgroup_id_x 1
		.amdhsa_system_sgpr_workgroup_id_y 0
		.amdhsa_system_sgpr_workgroup_id_z 0
		.amdhsa_system_sgpr_workgroup_info 0
		.amdhsa_system_vgpr_workitem_id 0
		.amdhsa_next_free_vgpr 1
		.amdhsa_next_free_sgpr 0
		.amdhsa_accum_offset 4
		.amdhsa_reserve_vcc 0
		.amdhsa_reserve_flat_scratch 0
		.amdhsa_float_round_mode_32 0
		.amdhsa_float_round_mode_16_64 0
		.amdhsa_float_denorm_mode_32 3
		.amdhsa_float_denorm_mode_16_64 3
		.amdhsa_dx10_clamp 1
		.amdhsa_ieee_mode 1
		.amdhsa_fp16_overflow 0
		.amdhsa_tg_split 0
		.amdhsa_exception_fp_ieee_invalid_op 0
		.amdhsa_exception_fp_denorm_src 0
		.amdhsa_exception_fp_ieee_div_zero 0
		.amdhsa_exception_fp_ieee_overflow 0
		.amdhsa_exception_fp_ieee_underflow 0
		.amdhsa_exception_fp_ieee_inexact 0
		.amdhsa_exception_int_div_zero 0
	.end_amdhsa_kernel
	.section	.text._ZN7rocprim17ROCPRIM_400000_NS6detail17trampoline_kernelINS0_14default_configENS1_25partition_config_selectorILNS1_17partition_subalgoE0ExNS0_10empty_typeEbEEZZNS1_14partition_implILS5_0ELb0ES3_jN6thrust23THRUST_200600_302600_NS6detail15normal_iteratorINSA_10device_ptrIxEEEEPS6_SG_NS0_5tupleIJNSA_16discard_iteratorINSA_11use_defaultEEESK_EEENSH_IJSG_SG_EEES6_PlJ7is_evenIxEEEE10hipError_tPvRmT3_T4_T5_T6_T7_T9_mT8_P12ihipStream_tbDpT10_ENKUlT_T0_E_clISt17integral_constantIbLb1EES18_IbLb0EEEEDaS14_S15_EUlS14_E_NS1_11comp_targetILNS1_3genE10ELNS1_11target_archE1200ELNS1_3gpuE4ELNS1_3repE0EEENS1_30default_config_static_selectorELNS0_4arch9wavefront6targetE1EEEvT1_,"axG",@progbits,_ZN7rocprim17ROCPRIM_400000_NS6detail17trampoline_kernelINS0_14default_configENS1_25partition_config_selectorILNS1_17partition_subalgoE0ExNS0_10empty_typeEbEEZZNS1_14partition_implILS5_0ELb0ES3_jN6thrust23THRUST_200600_302600_NS6detail15normal_iteratorINSA_10device_ptrIxEEEEPS6_SG_NS0_5tupleIJNSA_16discard_iteratorINSA_11use_defaultEEESK_EEENSH_IJSG_SG_EEES6_PlJ7is_evenIxEEEE10hipError_tPvRmT3_T4_T5_T6_T7_T9_mT8_P12ihipStream_tbDpT10_ENKUlT_T0_E_clISt17integral_constantIbLb1EES18_IbLb0EEEEDaS14_S15_EUlS14_E_NS1_11comp_targetILNS1_3genE10ELNS1_11target_archE1200ELNS1_3gpuE4ELNS1_3repE0EEENS1_30default_config_static_selectorELNS0_4arch9wavefront6targetE1EEEvT1_,comdat
.Lfunc_end2608:
	.size	_ZN7rocprim17ROCPRIM_400000_NS6detail17trampoline_kernelINS0_14default_configENS1_25partition_config_selectorILNS1_17partition_subalgoE0ExNS0_10empty_typeEbEEZZNS1_14partition_implILS5_0ELb0ES3_jN6thrust23THRUST_200600_302600_NS6detail15normal_iteratorINSA_10device_ptrIxEEEEPS6_SG_NS0_5tupleIJNSA_16discard_iteratorINSA_11use_defaultEEESK_EEENSH_IJSG_SG_EEES6_PlJ7is_evenIxEEEE10hipError_tPvRmT3_T4_T5_T6_T7_T9_mT8_P12ihipStream_tbDpT10_ENKUlT_T0_E_clISt17integral_constantIbLb1EES18_IbLb0EEEEDaS14_S15_EUlS14_E_NS1_11comp_targetILNS1_3genE10ELNS1_11target_archE1200ELNS1_3gpuE4ELNS1_3repE0EEENS1_30default_config_static_selectorELNS0_4arch9wavefront6targetE1EEEvT1_, .Lfunc_end2608-_ZN7rocprim17ROCPRIM_400000_NS6detail17trampoline_kernelINS0_14default_configENS1_25partition_config_selectorILNS1_17partition_subalgoE0ExNS0_10empty_typeEbEEZZNS1_14partition_implILS5_0ELb0ES3_jN6thrust23THRUST_200600_302600_NS6detail15normal_iteratorINSA_10device_ptrIxEEEEPS6_SG_NS0_5tupleIJNSA_16discard_iteratorINSA_11use_defaultEEESK_EEENSH_IJSG_SG_EEES6_PlJ7is_evenIxEEEE10hipError_tPvRmT3_T4_T5_T6_T7_T9_mT8_P12ihipStream_tbDpT10_ENKUlT_T0_E_clISt17integral_constantIbLb1EES18_IbLb0EEEEDaS14_S15_EUlS14_E_NS1_11comp_targetILNS1_3genE10ELNS1_11target_archE1200ELNS1_3gpuE4ELNS1_3repE0EEENS1_30default_config_static_selectorELNS0_4arch9wavefront6targetE1EEEvT1_
                                        ; -- End function
	.section	.AMDGPU.csdata,"",@progbits
; Kernel info:
; codeLenInByte = 0
; NumSgprs: 4
; NumVgprs: 0
; NumAgprs: 0
; TotalNumVgprs: 0
; ScratchSize: 0
; MemoryBound: 0
; FloatMode: 240
; IeeeMode: 1
; LDSByteSize: 0 bytes/workgroup (compile time only)
; SGPRBlocks: 0
; VGPRBlocks: 0
; NumSGPRsForWavesPerEU: 4
; NumVGPRsForWavesPerEU: 1
; AccumOffset: 4
; Occupancy: 8
; WaveLimiterHint : 0
; COMPUTE_PGM_RSRC2:SCRATCH_EN: 0
; COMPUTE_PGM_RSRC2:USER_SGPR: 6
; COMPUTE_PGM_RSRC2:TRAP_HANDLER: 0
; COMPUTE_PGM_RSRC2:TGID_X_EN: 1
; COMPUTE_PGM_RSRC2:TGID_Y_EN: 0
; COMPUTE_PGM_RSRC2:TGID_Z_EN: 0
; COMPUTE_PGM_RSRC2:TIDIG_COMP_CNT: 0
; COMPUTE_PGM_RSRC3_GFX90A:ACCUM_OFFSET: 0
; COMPUTE_PGM_RSRC3_GFX90A:TG_SPLIT: 0
	.section	.text._ZN7rocprim17ROCPRIM_400000_NS6detail17trampoline_kernelINS0_14default_configENS1_25partition_config_selectorILNS1_17partition_subalgoE0ExNS0_10empty_typeEbEEZZNS1_14partition_implILS5_0ELb0ES3_jN6thrust23THRUST_200600_302600_NS6detail15normal_iteratorINSA_10device_ptrIxEEEEPS6_SG_NS0_5tupleIJNSA_16discard_iteratorINSA_11use_defaultEEESK_EEENSH_IJSG_SG_EEES6_PlJ7is_evenIxEEEE10hipError_tPvRmT3_T4_T5_T6_T7_T9_mT8_P12ihipStream_tbDpT10_ENKUlT_T0_E_clISt17integral_constantIbLb1EES18_IbLb0EEEEDaS14_S15_EUlS14_E_NS1_11comp_targetILNS1_3genE9ELNS1_11target_archE1100ELNS1_3gpuE3ELNS1_3repE0EEENS1_30default_config_static_selectorELNS0_4arch9wavefront6targetE1EEEvT1_,"axG",@progbits,_ZN7rocprim17ROCPRIM_400000_NS6detail17trampoline_kernelINS0_14default_configENS1_25partition_config_selectorILNS1_17partition_subalgoE0ExNS0_10empty_typeEbEEZZNS1_14partition_implILS5_0ELb0ES3_jN6thrust23THRUST_200600_302600_NS6detail15normal_iteratorINSA_10device_ptrIxEEEEPS6_SG_NS0_5tupleIJNSA_16discard_iteratorINSA_11use_defaultEEESK_EEENSH_IJSG_SG_EEES6_PlJ7is_evenIxEEEE10hipError_tPvRmT3_T4_T5_T6_T7_T9_mT8_P12ihipStream_tbDpT10_ENKUlT_T0_E_clISt17integral_constantIbLb1EES18_IbLb0EEEEDaS14_S15_EUlS14_E_NS1_11comp_targetILNS1_3genE9ELNS1_11target_archE1100ELNS1_3gpuE3ELNS1_3repE0EEENS1_30default_config_static_selectorELNS0_4arch9wavefront6targetE1EEEvT1_,comdat
	.protected	_ZN7rocprim17ROCPRIM_400000_NS6detail17trampoline_kernelINS0_14default_configENS1_25partition_config_selectorILNS1_17partition_subalgoE0ExNS0_10empty_typeEbEEZZNS1_14partition_implILS5_0ELb0ES3_jN6thrust23THRUST_200600_302600_NS6detail15normal_iteratorINSA_10device_ptrIxEEEEPS6_SG_NS0_5tupleIJNSA_16discard_iteratorINSA_11use_defaultEEESK_EEENSH_IJSG_SG_EEES6_PlJ7is_evenIxEEEE10hipError_tPvRmT3_T4_T5_T6_T7_T9_mT8_P12ihipStream_tbDpT10_ENKUlT_T0_E_clISt17integral_constantIbLb1EES18_IbLb0EEEEDaS14_S15_EUlS14_E_NS1_11comp_targetILNS1_3genE9ELNS1_11target_archE1100ELNS1_3gpuE3ELNS1_3repE0EEENS1_30default_config_static_selectorELNS0_4arch9wavefront6targetE1EEEvT1_ ; -- Begin function _ZN7rocprim17ROCPRIM_400000_NS6detail17trampoline_kernelINS0_14default_configENS1_25partition_config_selectorILNS1_17partition_subalgoE0ExNS0_10empty_typeEbEEZZNS1_14partition_implILS5_0ELb0ES3_jN6thrust23THRUST_200600_302600_NS6detail15normal_iteratorINSA_10device_ptrIxEEEEPS6_SG_NS0_5tupleIJNSA_16discard_iteratorINSA_11use_defaultEEESK_EEENSH_IJSG_SG_EEES6_PlJ7is_evenIxEEEE10hipError_tPvRmT3_T4_T5_T6_T7_T9_mT8_P12ihipStream_tbDpT10_ENKUlT_T0_E_clISt17integral_constantIbLb1EES18_IbLb0EEEEDaS14_S15_EUlS14_E_NS1_11comp_targetILNS1_3genE9ELNS1_11target_archE1100ELNS1_3gpuE3ELNS1_3repE0EEENS1_30default_config_static_selectorELNS0_4arch9wavefront6targetE1EEEvT1_
	.globl	_ZN7rocprim17ROCPRIM_400000_NS6detail17trampoline_kernelINS0_14default_configENS1_25partition_config_selectorILNS1_17partition_subalgoE0ExNS0_10empty_typeEbEEZZNS1_14partition_implILS5_0ELb0ES3_jN6thrust23THRUST_200600_302600_NS6detail15normal_iteratorINSA_10device_ptrIxEEEEPS6_SG_NS0_5tupleIJNSA_16discard_iteratorINSA_11use_defaultEEESK_EEENSH_IJSG_SG_EEES6_PlJ7is_evenIxEEEE10hipError_tPvRmT3_T4_T5_T6_T7_T9_mT8_P12ihipStream_tbDpT10_ENKUlT_T0_E_clISt17integral_constantIbLb1EES18_IbLb0EEEEDaS14_S15_EUlS14_E_NS1_11comp_targetILNS1_3genE9ELNS1_11target_archE1100ELNS1_3gpuE3ELNS1_3repE0EEENS1_30default_config_static_selectorELNS0_4arch9wavefront6targetE1EEEvT1_
	.p2align	8
	.type	_ZN7rocprim17ROCPRIM_400000_NS6detail17trampoline_kernelINS0_14default_configENS1_25partition_config_selectorILNS1_17partition_subalgoE0ExNS0_10empty_typeEbEEZZNS1_14partition_implILS5_0ELb0ES3_jN6thrust23THRUST_200600_302600_NS6detail15normal_iteratorINSA_10device_ptrIxEEEEPS6_SG_NS0_5tupleIJNSA_16discard_iteratorINSA_11use_defaultEEESK_EEENSH_IJSG_SG_EEES6_PlJ7is_evenIxEEEE10hipError_tPvRmT3_T4_T5_T6_T7_T9_mT8_P12ihipStream_tbDpT10_ENKUlT_T0_E_clISt17integral_constantIbLb1EES18_IbLb0EEEEDaS14_S15_EUlS14_E_NS1_11comp_targetILNS1_3genE9ELNS1_11target_archE1100ELNS1_3gpuE3ELNS1_3repE0EEENS1_30default_config_static_selectorELNS0_4arch9wavefront6targetE1EEEvT1_,@function
_ZN7rocprim17ROCPRIM_400000_NS6detail17trampoline_kernelINS0_14default_configENS1_25partition_config_selectorILNS1_17partition_subalgoE0ExNS0_10empty_typeEbEEZZNS1_14partition_implILS5_0ELb0ES3_jN6thrust23THRUST_200600_302600_NS6detail15normal_iteratorINSA_10device_ptrIxEEEEPS6_SG_NS0_5tupleIJNSA_16discard_iteratorINSA_11use_defaultEEESK_EEENSH_IJSG_SG_EEES6_PlJ7is_evenIxEEEE10hipError_tPvRmT3_T4_T5_T6_T7_T9_mT8_P12ihipStream_tbDpT10_ENKUlT_T0_E_clISt17integral_constantIbLb1EES18_IbLb0EEEEDaS14_S15_EUlS14_E_NS1_11comp_targetILNS1_3genE9ELNS1_11target_archE1100ELNS1_3gpuE3ELNS1_3repE0EEENS1_30default_config_static_selectorELNS0_4arch9wavefront6targetE1EEEvT1_: ; @_ZN7rocprim17ROCPRIM_400000_NS6detail17trampoline_kernelINS0_14default_configENS1_25partition_config_selectorILNS1_17partition_subalgoE0ExNS0_10empty_typeEbEEZZNS1_14partition_implILS5_0ELb0ES3_jN6thrust23THRUST_200600_302600_NS6detail15normal_iteratorINSA_10device_ptrIxEEEEPS6_SG_NS0_5tupleIJNSA_16discard_iteratorINSA_11use_defaultEEESK_EEENSH_IJSG_SG_EEES6_PlJ7is_evenIxEEEE10hipError_tPvRmT3_T4_T5_T6_T7_T9_mT8_P12ihipStream_tbDpT10_ENKUlT_T0_E_clISt17integral_constantIbLb1EES18_IbLb0EEEEDaS14_S15_EUlS14_E_NS1_11comp_targetILNS1_3genE9ELNS1_11target_archE1100ELNS1_3gpuE3ELNS1_3repE0EEENS1_30default_config_static_selectorELNS0_4arch9wavefront6targetE1EEEvT1_
; %bb.0:
	.section	.rodata,"a",@progbits
	.p2align	6, 0x0
	.amdhsa_kernel _ZN7rocprim17ROCPRIM_400000_NS6detail17trampoline_kernelINS0_14default_configENS1_25partition_config_selectorILNS1_17partition_subalgoE0ExNS0_10empty_typeEbEEZZNS1_14partition_implILS5_0ELb0ES3_jN6thrust23THRUST_200600_302600_NS6detail15normal_iteratorINSA_10device_ptrIxEEEEPS6_SG_NS0_5tupleIJNSA_16discard_iteratorINSA_11use_defaultEEESK_EEENSH_IJSG_SG_EEES6_PlJ7is_evenIxEEEE10hipError_tPvRmT3_T4_T5_T6_T7_T9_mT8_P12ihipStream_tbDpT10_ENKUlT_T0_E_clISt17integral_constantIbLb1EES18_IbLb0EEEEDaS14_S15_EUlS14_E_NS1_11comp_targetILNS1_3genE9ELNS1_11target_archE1100ELNS1_3gpuE3ELNS1_3repE0EEENS1_30default_config_static_selectorELNS0_4arch9wavefront6targetE1EEEvT1_
		.amdhsa_group_segment_fixed_size 0
		.amdhsa_private_segment_fixed_size 0
		.amdhsa_kernarg_size 136
		.amdhsa_user_sgpr_count 6
		.amdhsa_user_sgpr_private_segment_buffer 1
		.amdhsa_user_sgpr_dispatch_ptr 0
		.amdhsa_user_sgpr_queue_ptr 0
		.amdhsa_user_sgpr_kernarg_segment_ptr 1
		.amdhsa_user_sgpr_dispatch_id 0
		.amdhsa_user_sgpr_flat_scratch_init 0
		.amdhsa_user_sgpr_kernarg_preload_length 0
		.amdhsa_user_sgpr_kernarg_preload_offset 0
		.amdhsa_user_sgpr_private_segment_size 0
		.amdhsa_uses_dynamic_stack 0
		.amdhsa_system_sgpr_private_segment_wavefront_offset 0
		.amdhsa_system_sgpr_workgroup_id_x 1
		.amdhsa_system_sgpr_workgroup_id_y 0
		.amdhsa_system_sgpr_workgroup_id_z 0
		.amdhsa_system_sgpr_workgroup_info 0
		.amdhsa_system_vgpr_workitem_id 0
		.amdhsa_next_free_vgpr 1
		.amdhsa_next_free_sgpr 0
		.amdhsa_accum_offset 4
		.amdhsa_reserve_vcc 0
		.amdhsa_reserve_flat_scratch 0
		.amdhsa_float_round_mode_32 0
		.amdhsa_float_round_mode_16_64 0
		.amdhsa_float_denorm_mode_32 3
		.amdhsa_float_denorm_mode_16_64 3
		.amdhsa_dx10_clamp 1
		.amdhsa_ieee_mode 1
		.amdhsa_fp16_overflow 0
		.amdhsa_tg_split 0
		.amdhsa_exception_fp_ieee_invalid_op 0
		.amdhsa_exception_fp_denorm_src 0
		.amdhsa_exception_fp_ieee_div_zero 0
		.amdhsa_exception_fp_ieee_overflow 0
		.amdhsa_exception_fp_ieee_underflow 0
		.amdhsa_exception_fp_ieee_inexact 0
		.amdhsa_exception_int_div_zero 0
	.end_amdhsa_kernel
	.section	.text._ZN7rocprim17ROCPRIM_400000_NS6detail17trampoline_kernelINS0_14default_configENS1_25partition_config_selectorILNS1_17partition_subalgoE0ExNS0_10empty_typeEbEEZZNS1_14partition_implILS5_0ELb0ES3_jN6thrust23THRUST_200600_302600_NS6detail15normal_iteratorINSA_10device_ptrIxEEEEPS6_SG_NS0_5tupleIJNSA_16discard_iteratorINSA_11use_defaultEEESK_EEENSH_IJSG_SG_EEES6_PlJ7is_evenIxEEEE10hipError_tPvRmT3_T4_T5_T6_T7_T9_mT8_P12ihipStream_tbDpT10_ENKUlT_T0_E_clISt17integral_constantIbLb1EES18_IbLb0EEEEDaS14_S15_EUlS14_E_NS1_11comp_targetILNS1_3genE9ELNS1_11target_archE1100ELNS1_3gpuE3ELNS1_3repE0EEENS1_30default_config_static_selectorELNS0_4arch9wavefront6targetE1EEEvT1_,"axG",@progbits,_ZN7rocprim17ROCPRIM_400000_NS6detail17trampoline_kernelINS0_14default_configENS1_25partition_config_selectorILNS1_17partition_subalgoE0ExNS0_10empty_typeEbEEZZNS1_14partition_implILS5_0ELb0ES3_jN6thrust23THRUST_200600_302600_NS6detail15normal_iteratorINSA_10device_ptrIxEEEEPS6_SG_NS0_5tupleIJNSA_16discard_iteratorINSA_11use_defaultEEESK_EEENSH_IJSG_SG_EEES6_PlJ7is_evenIxEEEE10hipError_tPvRmT3_T4_T5_T6_T7_T9_mT8_P12ihipStream_tbDpT10_ENKUlT_T0_E_clISt17integral_constantIbLb1EES18_IbLb0EEEEDaS14_S15_EUlS14_E_NS1_11comp_targetILNS1_3genE9ELNS1_11target_archE1100ELNS1_3gpuE3ELNS1_3repE0EEENS1_30default_config_static_selectorELNS0_4arch9wavefront6targetE1EEEvT1_,comdat
.Lfunc_end2609:
	.size	_ZN7rocprim17ROCPRIM_400000_NS6detail17trampoline_kernelINS0_14default_configENS1_25partition_config_selectorILNS1_17partition_subalgoE0ExNS0_10empty_typeEbEEZZNS1_14partition_implILS5_0ELb0ES3_jN6thrust23THRUST_200600_302600_NS6detail15normal_iteratorINSA_10device_ptrIxEEEEPS6_SG_NS0_5tupleIJNSA_16discard_iteratorINSA_11use_defaultEEESK_EEENSH_IJSG_SG_EEES6_PlJ7is_evenIxEEEE10hipError_tPvRmT3_T4_T5_T6_T7_T9_mT8_P12ihipStream_tbDpT10_ENKUlT_T0_E_clISt17integral_constantIbLb1EES18_IbLb0EEEEDaS14_S15_EUlS14_E_NS1_11comp_targetILNS1_3genE9ELNS1_11target_archE1100ELNS1_3gpuE3ELNS1_3repE0EEENS1_30default_config_static_selectorELNS0_4arch9wavefront6targetE1EEEvT1_, .Lfunc_end2609-_ZN7rocprim17ROCPRIM_400000_NS6detail17trampoline_kernelINS0_14default_configENS1_25partition_config_selectorILNS1_17partition_subalgoE0ExNS0_10empty_typeEbEEZZNS1_14partition_implILS5_0ELb0ES3_jN6thrust23THRUST_200600_302600_NS6detail15normal_iteratorINSA_10device_ptrIxEEEEPS6_SG_NS0_5tupleIJNSA_16discard_iteratorINSA_11use_defaultEEESK_EEENSH_IJSG_SG_EEES6_PlJ7is_evenIxEEEE10hipError_tPvRmT3_T4_T5_T6_T7_T9_mT8_P12ihipStream_tbDpT10_ENKUlT_T0_E_clISt17integral_constantIbLb1EES18_IbLb0EEEEDaS14_S15_EUlS14_E_NS1_11comp_targetILNS1_3genE9ELNS1_11target_archE1100ELNS1_3gpuE3ELNS1_3repE0EEENS1_30default_config_static_selectorELNS0_4arch9wavefront6targetE1EEEvT1_
                                        ; -- End function
	.section	.AMDGPU.csdata,"",@progbits
; Kernel info:
; codeLenInByte = 0
; NumSgprs: 4
; NumVgprs: 0
; NumAgprs: 0
; TotalNumVgprs: 0
; ScratchSize: 0
; MemoryBound: 0
; FloatMode: 240
; IeeeMode: 1
; LDSByteSize: 0 bytes/workgroup (compile time only)
; SGPRBlocks: 0
; VGPRBlocks: 0
; NumSGPRsForWavesPerEU: 4
; NumVGPRsForWavesPerEU: 1
; AccumOffset: 4
; Occupancy: 8
; WaveLimiterHint : 0
; COMPUTE_PGM_RSRC2:SCRATCH_EN: 0
; COMPUTE_PGM_RSRC2:USER_SGPR: 6
; COMPUTE_PGM_RSRC2:TRAP_HANDLER: 0
; COMPUTE_PGM_RSRC2:TGID_X_EN: 1
; COMPUTE_PGM_RSRC2:TGID_Y_EN: 0
; COMPUTE_PGM_RSRC2:TGID_Z_EN: 0
; COMPUTE_PGM_RSRC2:TIDIG_COMP_CNT: 0
; COMPUTE_PGM_RSRC3_GFX90A:ACCUM_OFFSET: 0
; COMPUTE_PGM_RSRC3_GFX90A:TG_SPLIT: 0
	.section	.text._ZN7rocprim17ROCPRIM_400000_NS6detail17trampoline_kernelINS0_14default_configENS1_25partition_config_selectorILNS1_17partition_subalgoE0ExNS0_10empty_typeEbEEZZNS1_14partition_implILS5_0ELb0ES3_jN6thrust23THRUST_200600_302600_NS6detail15normal_iteratorINSA_10device_ptrIxEEEEPS6_SG_NS0_5tupleIJNSA_16discard_iteratorINSA_11use_defaultEEESK_EEENSH_IJSG_SG_EEES6_PlJ7is_evenIxEEEE10hipError_tPvRmT3_T4_T5_T6_T7_T9_mT8_P12ihipStream_tbDpT10_ENKUlT_T0_E_clISt17integral_constantIbLb1EES18_IbLb0EEEEDaS14_S15_EUlS14_E_NS1_11comp_targetILNS1_3genE8ELNS1_11target_archE1030ELNS1_3gpuE2ELNS1_3repE0EEENS1_30default_config_static_selectorELNS0_4arch9wavefront6targetE1EEEvT1_,"axG",@progbits,_ZN7rocprim17ROCPRIM_400000_NS6detail17trampoline_kernelINS0_14default_configENS1_25partition_config_selectorILNS1_17partition_subalgoE0ExNS0_10empty_typeEbEEZZNS1_14partition_implILS5_0ELb0ES3_jN6thrust23THRUST_200600_302600_NS6detail15normal_iteratorINSA_10device_ptrIxEEEEPS6_SG_NS0_5tupleIJNSA_16discard_iteratorINSA_11use_defaultEEESK_EEENSH_IJSG_SG_EEES6_PlJ7is_evenIxEEEE10hipError_tPvRmT3_T4_T5_T6_T7_T9_mT8_P12ihipStream_tbDpT10_ENKUlT_T0_E_clISt17integral_constantIbLb1EES18_IbLb0EEEEDaS14_S15_EUlS14_E_NS1_11comp_targetILNS1_3genE8ELNS1_11target_archE1030ELNS1_3gpuE2ELNS1_3repE0EEENS1_30default_config_static_selectorELNS0_4arch9wavefront6targetE1EEEvT1_,comdat
	.protected	_ZN7rocprim17ROCPRIM_400000_NS6detail17trampoline_kernelINS0_14default_configENS1_25partition_config_selectorILNS1_17partition_subalgoE0ExNS0_10empty_typeEbEEZZNS1_14partition_implILS5_0ELb0ES3_jN6thrust23THRUST_200600_302600_NS6detail15normal_iteratorINSA_10device_ptrIxEEEEPS6_SG_NS0_5tupleIJNSA_16discard_iteratorINSA_11use_defaultEEESK_EEENSH_IJSG_SG_EEES6_PlJ7is_evenIxEEEE10hipError_tPvRmT3_T4_T5_T6_T7_T9_mT8_P12ihipStream_tbDpT10_ENKUlT_T0_E_clISt17integral_constantIbLb1EES18_IbLb0EEEEDaS14_S15_EUlS14_E_NS1_11comp_targetILNS1_3genE8ELNS1_11target_archE1030ELNS1_3gpuE2ELNS1_3repE0EEENS1_30default_config_static_selectorELNS0_4arch9wavefront6targetE1EEEvT1_ ; -- Begin function _ZN7rocprim17ROCPRIM_400000_NS6detail17trampoline_kernelINS0_14default_configENS1_25partition_config_selectorILNS1_17partition_subalgoE0ExNS0_10empty_typeEbEEZZNS1_14partition_implILS5_0ELb0ES3_jN6thrust23THRUST_200600_302600_NS6detail15normal_iteratorINSA_10device_ptrIxEEEEPS6_SG_NS0_5tupleIJNSA_16discard_iteratorINSA_11use_defaultEEESK_EEENSH_IJSG_SG_EEES6_PlJ7is_evenIxEEEE10hipError_tPvRmT3_T4_T5_T6_T7_T9_mT8_P12ihipStream_tbDpT10_ENKUlT_T0_E_clISt17integral_constantIbLb1EES18_IbLb0EEEEDaS14_S15_EUlS14_E_NS1_11comp_targetILNS1_3genE8ELNS1_11target_archE1030ELNS1_3gpuE2ELNS1_3repE0EEENS1_30default_config_static_selectorELNS0_4arch9wavefront6targetE1EEEvT1_
	.globl	_ZN7rocprim17ROCPRIM_400000_NS6detail17trampoline_kernelINS0_14default_configENS1_25partition_config_selectorILNS1_17partition_subalgoE0ExNS0_10empty_typeEbEEZZNS1_14partition_implILS5_0ELb0ES3_jN6thrust23THRUST_200600_302600_NS6detail15normal_iteratorINSA_10device_ptrIxEEEEPS6_SG_NS0_5tupleIJNSA_16discard_iteratorINSA_11use_defaultEEESK_EEENSH_IJSG_SG_EEES6_PlJ7is_evenIxEEEE10hipError_tPvRmT3_T4_T5_T6_T7_T9_mT8_P12ihipStream_tbDpT10_ENKUlT_T0_E_clISt17integral_constantIbLb1EES18_IbLb0EEEEDaS14_S15_EUlS14_E_NS1_11comp_targetILNS1_3genE8ELNS1_11target_archE1030ELNS1_3gpuE2ELNS1_3repE0EEENS1_30default_config_static_selectorELNS0_4arch9wavefront6targetE1EEEvT1_
	.p2align	8
	.type	_ZN7rocprim17ROCPRIM_400000_NS6detail17trampoline_kernelINS0_14default_configENS1_25partition_config_selectorILNS1_17partition_subalgoE0ExNS0_10empty_typeEbEEZZNS1_14partition_implILS5_0ELb0ES3_jN6thrust23THRUST_200600_302600_NS6detail15normal_iteratorINSA_10device_ptrIxEEEEPS6_SG_NS0_5tupleIJNSA_16discard_iteratorINSA_11use_defaultEEESK_EEENSH_IJSG_SG_EEES6_PlJ7is_evenIxEEEE10hipError_tPvRmT3_T4_T5_T6_T7_T9_mT8_P12ihipStream_tbDpT10_ENKUlT_T0_E_clISt17integral_constantIbLb1EES18_IbLb0EEEEDaS14_S15_EUlS14_E_NS1_11comp_targetILNS1_3genE8ELNS1_11target_archE1030ELNS1_3gpuE2ELNS1_3repE0EEENS1_30default_config_static_selectorELNS0_4arch9wavefront6targetE1EEEvT1_,@function
_ZN7rocprim17ROCPRIM_400000_NS6detail17trampoline_kernelINS0_14default_configENS1_25partition_config_selectorILNS1_17partition_subalgoE0ExNS0_10empty_typeEbEEZZNS1_14partition_implILS5_0ELb0ES3_jN6thrust23THRUST_200600_302600_NS6detail15normal_iteratorINSA_10device_ptrIxEEEEPS6_SG_NS0_5tupleIJNSA_16discard_iteratorINSA_11use_defaultEEESK_EEENSH_IJSG_SG_EEES6_PlJ7is_evenIxEEEE10hipError_tPvRmT3_T4_T5_T6_T7_T9_mT8_P12ihipStream_tbDpT10_ENKUlT_T0_E_clISt17integral_constantIbLb1EES18_IbLb0EEEEDaS14_S15_EUlS14_E_NS1_11comp_targetILNS1_3genE8ELNS1_11target_archE1030ELNS1_3gpuE2ELNS1_3repE0EEENS1_30default_config_static_selectorELNS0_4arch9wavefront6targetE1EEEvT1_: ; @_ZN7rocprim17ROCPRIM_400000_NS6detail17trampoline_kernelINS0_14default_configENS1_25partition_config_selectorILNS1_17partition_subalgoE0ExNS0_10empty_typeEbEEZZNS1_14partition_implILS5_0ELb0ES3_jN6thrust23THRUST_200600_302600_NS6detail15normal_iteratorINSA_10device_ptrIxEEEEPS6_SG_NS0_5tupleIJNSA_16discard_iteratorINSA_11use_defaultEEESK_EEENSH_IJSG_SG_EEES6_PlJ7is_evenIxEEEE10hipError_tPvRmT3_T4_T5_T6_T7_T9_mT8_P12ihipStream_tbDpT10_ENKUlT_T0_E_clISt17integral_constantIbLb1EES18_IbLb0EEEEDaS14_S15_EUlS14_E_NS1_11comp_targetILNS1_3genE8ELNS1_11target_archE1030ELNS1_3gpuE2ELNS1_3repE0EEENS1_30default_config_static_selectorELNS0_4arch9wavefront6targetE1EEEvT1_
; %bb.0:
	.section	.rodata,"a",@progbits
	.p2align	6, 0x0
	.amdhsa_kernel _ZN7rocprim17ROCPRIM_400000_NS6detail17trampoline_kernelINS0_14default_configENS1_25partition_config_selectorILNS1_17partition_subalgoE0ExNS0_10empty_typeEbEEZZNS1_14partition_implILS5_0ELb0ES3_jN6thrust23THRUST_200600_302600_NS6detail15normal_iteratorINSA_10device_ptrIxEEEEPS6_SG_NS0_5tupleIJNSA_16discard_iteratorINSA_11use_defaultEEESK_EEENSH_IJSG_SG_EEES6_PlJ7is_evenIxEEEE10hipError_tPvRmT3_T4_T5_T6_T7_T9_mT8_P12ihipStream_tbDpT10_ENKUlT_T0_E_clISt17integral_constantIbLb1EES18_IbLb0EEEEDaS14_S15_EUlS14_E_NS1_11comp_targetILNS1_3genE8ELNS1_11target_archE1030ELNS1_3gpuE2ELNS1_3repE0EEENS1_30default_config_static_selectorELNS0_4arch9wavefront6targetE1EEEvT1_
		.amdhsa_group_segment_fixed_size 0
		.amdhsa_private_segment_fixed_size 0
		.amdhsa_kernarg_size 136
		.amdhsa_user_sgpr_count 6
		.amdhsa_user_sgpr_private_segment_buffer 1
		.amdhsa_user_sgpr_dispatch_ptr 0
		.amdhsa_user_sgpr_queue_ptr 0
		.amdhsa_user_sgpr_kernarg_segment_ptr 1
		.amdhsa_user_sgpr_dispatch_id 0
		.amdhsa_user_sgpr_flat_scratch_init 0
		.amdhsa_user_sgpr_kernarg_preload_length 0
		.amdhsa_user_sgpr_kernarg_preload_offset 0
		.amdhsa_user_sgpr_private_segment_size 0
		.amdhsa_uses_dynamic_stack 0
		.amdhsa_system_sgpr_private_segment_wavefront_offset 0
		.amdhsa_system_sgpr_workgroup_id_x 1
		.amdhsa_system_sgpr_workgroup_id_y 0
		.amdhsa_system_sgpr_workgroup_id_z 0
		.amdhsa_system_sgpr_workgroup_info 0
		.amdhsa_system_vgpr_workitem_id 0
		.amdhsa_next_free_vgpr 1
		.amdhsa_next_free_sgpr 0
		.amdhsa_accum_offset 4
		.amdhsa_reserve_vcc 0
		.amdhsa_reserve_flat_scratch 0
		.amdhsa_float_round_mode_32 0
		.amdhsa_float_round_mode_16_64 0
		.amdhsa_float_denorm_mode_32 3
		.amdhsa_float_denorm_mode_16_64 3
		.amdhsa_dx10_clamp 1
		.amdhsa_ieee_mode 1
		.amdhsa_fp16_overflow 0
		.amdhsa_tg_split 0
		.amdhsa_exception_fp_ieee_invalid_op 0
		.amdhsa_exception_fp_denorm_src 0
		.amdhsa_exception_fp_ieee_div_zero 0
		.amdhsa_exception_fp_ieee_overflow 0
		.amdhsa_exception_fp_ieee_underflow 0
		.amdhsa_exception_fp_ieee_inexact 0
		.amdhsa_exception_int_div_zero 0
	.end_amdhsa_kernel
	.section	.text._ZN7rocprim17ROCPRIM_400000_NS6detail17trampoline_kernelINS0_14default_configENS1_25partition_config_selectorILNS1_17partition_subalgoE0ExNS0_10empty_typeEbEEZZNS1_14partition_implILS5_0ELb0ES3_jN6thrust23THRUST_200600_302600_NS6detail15normal_iteratorINSA_10device_ptrIxEEEEPS6_SG_NS0_5tupleIJNSA_16discard_iteratorINSA_11use_defaultEEESK_EEENSH_IJSG_SG_EEES6_PlJ7is_evenIxEEEE10hipError_tPvRmT3_T4_T5_T6_T7_T9_mT8_P12ihipStream_tbDpT10_ENKUlT_T0_E_clISt17integral_constantIbLb1EES18_IbLb0EEEEDaS14_S15_EUlS14_E_NS1_11comp_targetILNS1_3genE8ELNS1_11target_archE1030ELNS1_3gpuE2ELNS1_3repE0EEENS1_30default_config_static_selectorELNS0_4arch9wavefront6targetE1EEEvT1_,"axG",@progbits,_ZN7rocprim17ROCPRIM_400000_NS6detail17trampoline_kernelINS0_14default_configENS1_25partition_config_selectorILNS1_17partition_subalgoE0ExNS0_10empty_typeEbEEZZNS1_14partition_implILS5_0ELb0ES3_jN6thrust23THRUST_200600_302600_NS6detail15normal_iteratorINSA_10device_ptrIxEEEEPS6_SG_NS0_5tupleIJNSA_16discard_iteratorINSA_11use_defaultEEESK_EEENSH_IJSG_SG_EEES6_PlJ7is_evenIxEEEE10hipError_tPvRmT3_T4_T5_T6_T7_T9_mT8_P12ihipStream_tbDpT10_ENKUlT_T0_E_clISt17integral_constantIbLb1EES18_IbLb0EEEEDaS14_S15_EUlS14_E_NS1_11comp_targetILNS1_3genE8ELNS1_11target_archE1030ELNS1_3gpuE2ELNS1_3repE0EEENS1_30default_config_static_selectorELNS0_4arch9wavefront6targetE1EEEvT1_,comdat
.Lfunc_end2610:
	.size	_ZN7rocprim17ROCPRIM_400000_NS6detail17trampoline_kernelINS0_14default_configENS1_25partition_config_selectorILNS1_17partition_subalgoE0ExNS0_10empty_typeEbEEZZNS1_14partition_implILS5_0ELb0ES3_jN6thrust23THRUST_200600_302600_NS6detail15normal_iteratorINSA_10device_ptrIxEEEEPS6_SG_NS0_5tupleIJNSA_16discard_iteratorINSA_11use_defaultEEESK_EEENSH_IJSG_SG_EEES6_PlJ7is_evenIxEEEE10hipError_tPvRmT3_T4_T5_T6_T7_T9_mT8_P12ihipStream_tbDpT10_ENKUlT_T0_E_clISt17integral_constantIbLb1EES18_IbLb0EEEEDaS14_S15_EUlS14_E_NS1_11comp_targetILNS1_3genE8ELNS1_11target_archE1030ELNS1_3gpuE2ELNS1_3repE0EEENS1_30default_config_static_selectorELNS0_4arch9wavefront6targetE1EEEvT1_, .Lfunc_end2610-_ZN7rocprim17ROCPRIM_400000_NS6detail17trampoline_kernelINS0_14default_configENS1_25partition_config_selectorILNS1_17partition_subalgoE0ExNS0_10empty_typeEbEEZZNS1_14partition_implILS5_0ELb0ES3_jN6thrust23THRUST_200600_302600_NS6detail15normal_iteratorINSA_10device_ptrIxEEEEPS6_SG_NS0_5tupleIJNSA_16discard_iteratorINSA_11use_defaultEEESK_EEENSH_IJSG_SG_EEES6_PlJ7is_evenIxEEEE10hipError_tPvRmT3_T4_T5_T6_T7_T9_mT8_P12ihipStream_tbDpT10_ENKUlT_T0_E_clISt17integral_constantIbLb1EES18_IbLb0EEEEDaS14_S15_EUlS14_E_NS1_11comp_targetILNS1_3genE8ELNS1_11target_archE1030ELNS1_3gpuE2ELNS1_3repE0EEENS1_30default_config_static_selectorELNS0_4arch9wavefront6targetE1EEEvT1_
                                        ; -- End function
	.section	.AMDGPU.csdata,"",@progbits
; Kernel info:
; codeLenInByte = 0
; NumSgprs: 4
; NumVgprs: 0
; NumAgprs: 0
; TotalNumVgprs: 0
; ScratchSize: 0
; MemoryBound: 0
; FloatMode: 240
; IeeeMode: 1
; LDSByteSize: 0 bytes/workgroup (compile time only)
; SGPRBlocks: 0
; VGPRBlocks: 0
; NumSGPRsForWavesPerEU: 4
; NumVGPRsForWavesPerEU: 1
; AccumOffset: 4
; Occupancy: 8
; WaveLimiterHint : 0
; COMPUTE_PGM_RSRC2:SCRATCH_EN: 0
; COMPUTE_PGM_RSRC2:USER_SGPR: 6
; COMPUTE_PGM_RSRC2:TRAP_HANDLER: 0
; COMPUTE_PGM_RSRC2:TGID_X_EN: 1
; COMPUTE_PGM_RSRC2:TGID_Y_EN: 0
; COMPUTE_PGM_RSRC2:TGID_Z_EN: 0
; COMPUTE_PGM_RSRC2:TIDIG_COMP_CNT: 0
; COMPUTE_PGM_RSRC3_GFX90A:ACCUM_OFFSET: 0
; COMPUTE_PGM_RSRC3_GFX90A:TG_SPLIT: 0
	.section	.text._ZN7rocprim17ROCPRIM_400000_NS6detail17trampoline_kernelINS0_14default_configENS1_25partition_config_selectorILNS1_17partition_subalgoE0ExNS0_10empty_typeEbEEZZNS1_14partition_implILS5_0ELb0ES3_jN6thrust23THRUST_200600_302600_NS6detail15normal_iteratorINSA_10device_ptrIxEEEEPS6_SG_NS0_5tupleIJNSA_16discard_iteratorINSA_11use_defaultEEESK_EEENSH_IJSG_SG_EEES6_PlJ7is_evenIxEEEE10hipError_tPvRmT3_T4_T5_T6_T7_T9_mT8_P12ihipStream_tbDpT10_ENKUlT_T0_E_clISt17integral_constantIbLb0EES18_IbLb1EEEEDaS14_S15_EUlS14_E_NS1_11comp_targetILNS1_3genE0ELNS1_11target_archE4294967295ELNS1_3gpuE0ELNS1_3repE0EEENS1_30default_config_static_selectorELNS0_4arch9wavefront6targetE1EEEvT1_,"axG",@progbits,_ZN7rocprim17ROCPRIM_400000_NS6detail17trampoline_kernelINS0_14default_configENS1_25partition_config_selectorILNS1_17partition_subalgoE0ExNS0_10empty_typeEbEEZZNS1_14partition_implILS5_0ELb0ES3_jN6thrust23THRUST_200600_302600_NS6detail15normal_iteratorINSA_10device_ptrIxEEEEPS6_SG_NS0_5tupleIJNSA_16discard_iteratorINSA_11use_defaultEEESK_EEENSH_IJSG_SG_EEES6_PlJ7is_evenIxEEEE10hipError_tPvRmT3_T4_T5_T6_T7_T9_mT8_P12ihipStream_tbDpT10_ENKUlT_T0_E_clISt17integral_constantIbLb0EES18_IbLb1EEEEDaS14_S15_EUlS14_E_NS1_11comp_targetILNS1_3genE0ELNS1_11target_archE4294967295ELNS1_3gpuE0ELNS1_3repE0EEENS1_30default_config_static_selectorELNS0_4arch9wavefront6targetE1EEEvT1_,comdat
	.protected	_ZN7rocprim17ROCPRIM_400000_NS6detail17trampoline_kernelINS0_14default_configENS1_25partition_config_selectorILNS1_17partition_subalgoE0ExNS0_10empty_typeEbEEZZNS1_14partition_implILS5_0ELb0ES3_jN6thrust23THRUST_200600_302600_NS6detail15normal_iteratorINSA_10device_ptrIxEEEEPS6_SG_NS0_5tupleIJNSA_16discard_iteratorINSA_11use_defaultEEESK_EEENSH_IJSG_SG_EEES6_PlJ7is_evenIxEEEE10hipError_tPvRmT3_T4_T5_T6_T7_T9_mT8_P12ihipStream_tbDpT10_ENKUlT_T0_E_clISt17integral_constantIbLb0EES18_IbLb1EEEEDaS14_S15_EUlS14_E_NS1_11comp_targetILNS1_3genE0ELNS1_11target_archE4294967295ELNS1_3gpuE0ELNS1_3repE0EEENS1_30default_config_static_selectorELNS0_4arch9wavefront6targetE1EEEvT1_ ; -- Begin function _ZN7rocprim17ROCPRIM_400000_NS6detail17trampoline_kernelINS0_14default_configENS1_25partition_config_selectorILNS1_17partition_subalgoE0ExNS0_10empty_typeEbEEZZNS1_14partition_implILS5_0ELb0ES3_jN6thrust23THRUST_200600_302600_NS6detail15normal_iteratorINSA_10device_ptrIxEEEEPS6_SG_NS0_5tupleIJNSA_16discard_iteratorINSA_11use_defaultEEESK_EEENSH_IJSG_SG_EEES6_PlJ7is_evenIxEEEE10hipError_tPvRmT3_T4_T5_T6_T7_T9_mT8_P12ihipStream_tbDpT10_ENKUlT_T0_E_clISt17integral_constantIbLb0EES18_IbLb1EEEEDaS14_S15_EUlS14_E_NS1_11comp_targetILNS1_3genE0ELNS1_11target_archE4294967295ELNS1_3gpuE0ELNS1_3repE0EEENS1_30default_config_static_selectorELNS0_4arch9wavefront6targetE1EEEvT1_
	.globl	_ZN7rocprim17ROCPRIM_400000_NS6detail17trampoline_kernelINS0_14default_configENS1_25partition_config_selectorILNS1_17partition_subalgoE0ExNS0_10empty_typeEbEEZZNS1_14partition_implILS5_0ELb0ES3_jN6thrust23THRUST_200600_302600_NS6detail15normal_iteratorINSA_10device_ptrIxEEEEPS6_SG_NS0_5tupleIJNSA_16discard_iteratorINSA_11use_defaultEEESK_EEENSH_IJSG_SG_EEES6_PlJ7is_evenIxEEEE10hipError_tPvRmT3_T4_T5_T6_T7_T9_mT8_P12ihipStream_tbDpT10_ENKUlT_T0_E_clISt17integral_constantIbLb0EES18_IbLb1EEEEDaS14_S15_EUlS14_E_NS1_11comp_targetILNS1_3genE0ELNS1_11target_archE4294967295ELNS1_3gpuE0ELNS1_3repE0EEENS1_30default_config_static_selectorELNS0_4arch9wavefront6targetE1EEEvT1_
	.p2align	8
	.type	_ZN7rocprim17ROCPRIM_400000_NS6detail17trampoline_kernelINS0_14default_configENS1_25partition_config_selectorILNS1_17partition_subalgoE0ExNS0_10empty_typeEbEEZZNS1_14partition_implILS5_0ELb0ES3_jN6thrust23THRUST_200600_302600_NS6detail15normal_iteratorINSA_10device_ptrIxEEEEPS6_SG_NS0_5tupleIJNSA_16discard_iteratorINSA_11use_defaultEEESK_EEENSH_IJSG_SG_EEES6_PlJ7is_evenIxEEEE10hipError_tPvRmT3_T4_T5_T6_T7_T9_mT8_P12ihipStream_tbDpT10_ENKUlT_T0_E_clISt17integral_constantIbLb0EES18_IbLb1EEEEDaS14_S15_EUlS14_E_NS1_11comp_targetILNS1_3genE0ELNS1_11target_archE4294967295ELNS1_3gpuE0ELNS1_3repE0EEENS1_30default_config_static_selectorELNS0_4arch9wavefront6targetE1EEEvT1_,@function
_ZN7rocprim17ROCPRIM_400000_NS6detail17trampoline_kernelINS0_14default_configENS1_25partition_config_selectorILNS1_17partition_subalgoE0ExNS0_10empty_typeEbEEZZNS1_14partition_implILS5_0ELb0ES3_jN6thrust23THRUST_200600_302600_NS6detail15normal_iteratorINSA_10device_ptrIxEEEEPS6_SG_NS0_5tupleIJNSA_16discard_iteratorINSA_11use_defaultEEESK_EEENSH_IJSG_SG_EEES6_PlJ7is_evenIxEEEE10hipError_tPvRmT3_T4_T5_T6_T7_T9_mT8_P12ihipStream_tbDpT10_ENKUlT_T0_E_clISt17integral_constantIbLb0EES18_IbLb1EEEEDaS14_S15_EUlS14_E_NS1_11comp_targetILNS1_3genE0ELNS1_11target_archE4294967295ELNS1_3gpuE0ELNS1_3repE0EEENS1_30default_config_static_selectorELNS0_4arch9wavefront6targetE1EEEvT1_: ; @_ZN7rocprim17ROCPRIM_400000_NS6detail17trampoline_kernelINS0_14default_configENS1_25partition_config_selectorILNS1_17partition_subalgoE0ExNS0_10empty_typeEbEEZZNS1_14partition_implILS5_0ELb0ES3_jN6thrust23THRUST_200600_302600_NS6detail15normal_iteratorINSA_10device_ptrIxEEEEPS6_SG_NS0_5tupleIJNSA_16discard_iteratorINSA_11use_defaultEEESK_EEENSH_IJSG_SG_EEES6_PlJ7is_evenIxEEEE10hipError_tPvRmT3_T4_T5_T6_T7_T9_mT8_P12ihipStream_tbDpT10_ENKUlT_T0_E_clISt17integral_constantIbLb0EES18_IbLb1EEEEDaS14_S15_EUlS14_E_NS1_11comp_targetILNS1_3genE0ELNS1_11target_archE4294967295ELNS1_3gpuE0ELNS1_3repE0EEENS1_30default_config_static_selectorELNS0_4arch9wavefront6targetE1EEEvT1_
; %bb.0:
	.section	.rodata,"a",@progbits
	.p2align	6, 0x0
	.amdhsa_kernel _ZN7rocprim17ROCPRIM_400000_NS6detail17trampoline_kernelINS0_14default_configENS1_25partition_config_selectorILNS1_17partition_subalgoE0ExNS0_10empty_typeEbEEZZNS1_14partition_implILS5_0ELb0ES3_jN6thrust23THRUST_200600_302600_NS6detail15normal_iteratorINSA_10device_ptrIxEEEEPS6_SG_NS0_5tupleIJNSA_16discard_iteratorINSA_11use_defaultEEESK_EEENSH_IJSG_SG_EEES6_PlJ7is_evenIxEEEE10hipError_tPvRmT3_T4_T5_T6_T7_T9_mT8_P12ihipStream_tbDpT10_ENKUlT_T0_E_clISt17integral_constantIbLb0EES18_IbLb1EEEEDaS14_S15_EUlS14_E_NS1_11comp_targetILNS1_3genE0ELNS1_11target_archE4294967295ELNS1_3gpuE0ELNS1_3repE0EEENS1_30default_config_static_selectorELNS0_4arch9wavefront6targetE1EEEvT1_
		.amdhsa_group_segment_fixed_size 0
		.amdhsa_private_segment_fixed_size 0
		.amdhsa_kernarg_size 152
		.amdhsa_user_sgpr_count 6
		.amdhsa_user_sgpr_private_segment_buffer 1
		.amdhsa_user_sgpr_dispatch_ptr 0
		.amdhsa_user_sgpr_queue_ptr 0
		.amdhsa_user_sgpr_kernarg_segment_ptr 1
		.amdhsa_user_sgpr_dispatch_id 0
		.amdhsa_user_sgpr_flat_scratch_init 0
		.amdhsa_user_sgpr_kernarg_preload_length 0
		.amdhsa_user_sgpr_kernarg_preload_offset 0
		.amdhsa_user_sgpr_private_segment_size 0
		.amdhsa_uses_dynamic_stack 0
		.amdhsa_system_sgpr_private_segment_wavefront_offset 0
		.amdhsa_system_sgpr_workgroup_id_x 1
		.amdhsa_system_sgpr_workgroup_id_y 0
		.amdhsa_system_sgpr_workgroup_id_z 0
		.amdhsa_system_sgpr_workgroup_info 0
		.amdhsa_system_vgpr_workitem_id 0
		.amdhsa_next_free_vgpr 1
		.amdhsa_next_free_sgpr 0
		.amdhsa_accum_offset 4
		.amdhsa_reserve_vcc 0
		.amdhsa_reserve_flat_scratch 0
		.amdhsa_float_round_mode_32 0
		.amdhsa_float_round_mode_16_64 0
		.amdhsa_float_denorm_mode_32 3
		.amdhsa_float_denorm_mode_16_64 3
		.amdhsa_dx10_clamp 1
		.amdhsa_ieee_mode 1
		.amdhsa_fp16_overflow 0
		.amdhsa_tg_split 0
		.amdhsa_exception_fp_ieee_invalid_op 0
		.amdhsa_exception_fp_denorm_src 0
		.amdhsa_exception_fp_ieee_div_zero 0
		.amdhsa_exception_fp_ieee_overflow 0
		.amdhsa_exception_fp_ieee_underflow 0
		.amdhsa_exception_fp_ieee_inexact 0
		.amdhsa_exception_int_div_zero 0
	.end_amdhsa_kernel
	.section	.text._ZN7rocprim17ROCPRIM_400000_NS6detail17trampoline_kernelINS0_14default_configENS1_25partition_config_selectorILNS1_17partition_subalgoE0ExNS0_10empty_typeEbEEZZNS1_14partition_implILS5_0ELb0ES3_jN6thrust23THRUST_200600_302600_NS6detail15normal_iteratorINSA_10device_ptrIxEEEEPS6_SG_NS0_5tupleIJNSA_16discard_iteratorINSA_11use_defaultEEESK_EEENSH_IJSG_SG_EEES6_PlJ7is_evenIxEEEE10hipError_tPvRmT3_T4_T5_T6_T7_T9_mT8_P12ihipStream_tbDpT10_ENKUlT_T0_E_clISt17integral_constantIbLb0EES18_IbLb1EEEEDaS14_S15_EUlS14_E_NS1_11comp_targetILNS1_3genE0ELNS1_11target_archE4294967295ELNS1_3gpuE0ELNS1_3repE0EEENS1_30default_config_static_selectorELNS0_4arch9wavefront6targetE1EEEvT1_,"axG",@progbits,_ZN7rocprim17ROCPRIM_400000_NS6detail17trampoline_kernelINS0_14default_configENS1_25partition_config_selectorILNS1_17partition_subalgoE0ExNS0_10empty_typeEbEEZZNS1_14partition_implILS5_0ELb0ES3_jN6thrust23THRUST_200600_302600_NS6detail15normal_iteratorINSA_10device_ptrIxEEEEPS6_SG_NS0_5tupleIJNSA_16discard_iteratorINSA_11use_defaultEEESK_EEENSH_IJSG_SG_EEES6_PlJ7is_evenIxEEEE10hipError_tPvRmT3_T4_T5_T6_T7_T9_mT8_P12ihipStream_tbDpT10_ENKUlT_T0_E_clISt17integral_constantIbLb0EES18_IbLb1EEEEDaS14_S15_EUlS14_E_NS1_11comp_targetILNS1_3genE0ELNS1_11target_archE4294967295ELNS1_3gpuE0ELNS1_3repE0EEENS1_30default_config_static_selectorELNS0_4arch9wavefront6targetE1EEEvT1_,comdat
.Lfunc_end2611:
	.size	_ZN7rocprim17ROCPRIM_400000_NS6detail17trampoline_kernelINS0_14default_configENS1_25partition_config_selectorILNS1_17partition_subalgoE0ExNS0_10empty_typeEbEEZZNS1_14partition_implILS5_0ELb0ES3_jN6thrust23THRUST_200600_302600_NS6detail15normal_iteratorINSA_10device_ptrIxEEEEPS6_SG_NS0_5tupleIJNSA_16discard_iteratorINSA_11use_defaultEEESK_EEENSH_IJSG_SG_EEES6_PlJ7is_evenIxEEEE10hipError_tPvRmT3_T4_T5_T6_T7_T9_mT8_P12ihipStream_tbDpT10_ENKUlT_T0_E_clISt17integral_constantIbLb0EES18_IbLb1EEEEDaS14_S15_EUlS14_E_NS1_11comp_targetILNS1_3genE0ELNS1_11target_archE4294967295ELNS1_3gpuE0ELNS1_3repE0EEENS1_30default_config_static_selectorELNS0_4arch9wavefront6targetE1EEEvT1_, .Lfunc_end2611-_ZN7rocprim17ROCPRIM_400000_NS6detail17trampoline_kernelINS0_14default_configENS1_25partition_config_selectorILNS1_17partition_subalgoE0ExNS0_10empty_typeEbEEZZNS1_14partition_implILS5_0ELb0ES3_jN6thrust23THRUST_200600_302600_NS6detail15normal_iteratorINSA_10device_ptrIxEEEEPS6_SG_NS0_5tupleIJNSA_16discard_iteratorINSA_11use_defaultEEESK_EEENSH_IJSG_SG_EEES6_PlJ7is_evenIxEEEE10hipError_tPvRmT3_T4_T5_T6_T7_T9_mT8_P12ihipStream_tbDpT10_ENKUlT_T0_E_clISt17integral_constantIbLb0EES18_IbLb1EEEEDaS14_S15_EUlS14_E_NS1_11comp_targetILNS1_3genE0ELNS1_11target_archE4294967295ELNS1_3gpuE0ELNS1_3repE0EEENS1_30default_config_static_selectorELNS0_4arch9wavefront6targetE1EEEvT1_
                                        ; -- End function
	.section	.AMDGPU.csdata,"",@progbits
; Kernel info:
; codeLenInByte = 0
; NumSgprs: 4
; NumVgprs: 0
; NumAgprs: 0
; TotalNumVgprs: 0
; ScratchSize: 0
; MemoryBound: 0
; FloatMode: 240
; IeeeMode: 1
; LDSByteSize: 0 bytes/workgroup (compile time only)
; SGPRBlocks: 0
; VGPRBlocks: 0
; NumSGPRsForWavesPerEU: 4
; NumVGPRsForWavesPerEU: 1
; AccumOffset: 4
; Occupancy: 8
; WaveLimiterHint : 0
; COMPUTE_PGM_RSRC2:SCRATCH_EN: 0
; COMPUTE_PGM_RSRC2:USER_SGPR: 6
; COMPUTE_PGM_RSRC2:TRAP_HANDLER: 0
; COMPUTE_PGM_RSRC2:TGID_X_EN: 1
; COMPUTE_PGM_RSRC2:TGID_Y_EN: 0
; COMPUTE_PGM_RSRC2:TGID_Z_EN: 0
; COMPUTE_PGM_RSRC2:TIDIG_COMP_CNT: 0
; COMPUTE_PGM_RSRC3_GFX90A:ACCUM_OFFSET: 0
; COMPUTE_PGM_RSRC3_GFX90A:TG_SPLIT: 0
	.section	.text._ZN7rocprim17ROCPRIM_400000_NS6detail17trampoline_kernelINS0_14default_configENS1_25partition_config_selectorILNS1_17partition_subalgoE0ExNS0_10empty_typeEbEEZZNS1_14partition_implILS5_0ELb0ES3_jN6thrust23THRUST_200600_302600_NS6detail15normal_iteratorINSA_10device_ptrIxEEEEPS6_SG_NS0_5tupleIJNSA_16discard_iteratorINSA_11use_defaultEEESK_EEENSH_IJSG_SG_EEES6_PlJ7is_evenIxEEEE10hipError_tPvRmT3_T4_T5_T6_T7_T9_mT8_P12ihipStream_tbDpT10_ENKUlT_T0_E_clISt17integral_constantIbLb0EES18_IbLb1EEEEDaS14_S15_EUlS14_E_NS1_11comp_targetILNS1_3genE5ELNS1_11target_archE942ELNS1_3gpuE9ELNS1_3repE0EEENS1_30default_config_static_selectorELNS0_4arch9wavefront6targetE1EEEvT1_,"axG",@progbits,_ZN7rocprim17ROCPRIM_400000_NS6detail17trampoline_kernelINS0_14default_configENS1_25partition_config_selectorILNS1_17partition_subalgoE0ExNS0_10empty_typeEbEEZZNS1_14partition_implILS5_0ELb0ES3_jN6thrust23THRUST_200600_302600_NS6detail15normal_iteratorINSA_10device_ptrIxEEEEPS6_SG_NS0_5tupleIJNSA_16discard_iteratorINSA_11use_defaultEEESK_EEENSH_IJSG_SG_EEES6_PlJ7is_evenIxEEEE10hipError_tPvRmT3_T4_T5_T6_T7_T9_mT8_P12ihipStream_tbDpT10_ENKUlT_T0_E_clISt17integral_constantIbLb0EES18_IbLb1EEEEDaS14_S15_EUlS14_E_NS1_11comp_targetILNS1_3genE5ELNS1_11target_archE942ELNS1_3gpuE9ELNS1_3repE0EEENS1_30default_config_static_selectorELNS0_4arch9wavefront6targetE1EEEvT1_,comdat
	.protected	_ZN7rocprim17ROCPRIM_400000_NS6detail17trampoline_kernelINS0_14default_configENS1_25partition_config_selectorILNS1_17partition_subalgoE0ExNS0_10empty_typeEbEEZZNS1_14partition_implILS5_0ELb0ES3_jN6thrust23THRUST_200600_302600_NS6detail15normal_iteratorINSA_10device_ptrIxEEEEPS6_SG_NS0_5tupleIJNSA_16discard_iteratorINSA_11use_defaultEEESK_EEENSH_IJSG_SG_EEES6_PlJ7is_evenIxEEEE10hipError_tPvRmT3_T4_T5_T6_T7_T9_mT8_P12ihipStream_tbDpT10_ENKUlT_T0_E_clISt17integral_constantIbLb0EES18_IbLb1EEEEDaS14_S15_EUlS14_E_NS1_11comp_targetILNS1_3genE5ELNS1_11target_archE942ELNS1_3gpuE9ELNS1_3repE0EEENS1_30default_config_static_selectorELNS0_4arch9wavefront6targetE1EEEvT1_ ; -- Begin function _ZN7rocprim17ROCPRIM_400000_NS6detail17trampoline_kernelINS0_14default_configENS1_25partition_config_selectorILNS1_17partition_subalgoE0ExNS0_10empty_typeEbEEZZNS1_14partition_implILS5_0ELb0ES3_jN6thrust23THRUST_200600_302600_NS6detail15normal_iteratorINSA_10device_ptrIxEEEEPS6_SG_NS0_5tupleIJNSA_16discard_iteratorINSA_11use_defaultEEESK_EEENSH_IJSG_SG_EEES6_PlJ7is_evenIxEEEE10hipError_tPvRmT3_T4_T5_T6_T7_T9_mT8_P12ihipStream_tbDpT10_ENKUlT_T0_E_clISt17integral_constantIbLb0EES18_IbLb1EEEEDaS14_S15_EUlS14_E_NS1_11comp_targetILNS1_3genE5ELNS1_11target_archE942ELNS1_3gpuE9ELNS1_3repE0EEENS1_30default_config_static_selectorELNS0_4arch9wavefront6targetE1EEEvT1_
	.globl	_ZN7rocprim17ROCPRIM_400000_NS6detail17trampoline_kernelINS0_14default_configENS1_25partition_config_selectorILNS1_17partition_subalgoE0ExNS0_10empty_typeEbEEZZNS1_14partition_implILS5_0ELb0ES3_jN6thrust23THRUST_200600_302600_NS6detail15normal_iteratorINSA_10device_ptrIxEEEEPS6_SG_NS0_5tupleIJNSA_16discard_iteratorINSA_11use_defaultEEESK_EEENSH_IJSG_SG_EEES6_PlJ7is_evenIxEEEE10hipError_tPvRmT3_T4_T5_T6_T7_T9_mT8_P12ihipStream_tbDpT10_ENKUlT_T0_E_clISt17integral_constantIbLb0EES18_IbLb1EEEEDaS14_S15_EUlS14_E_NS1_11comp_targetILNS1_3genE5ELNS1_11target_archE942ELNS1_3gpuE9ELNS1_3repE0EEENS1_30default_config_static_selectorELNS0_4arch9wavefront6targetE1EEEvT1_
	.p2align	8
	.type	_ZN7rocprim17ROCPRIM_400000_NS6detail17trampoline_kernelINS0_14default_configENS1_25partition_config_selectorILNS1_17partition_subalgoE0ExNS0_10empty_typeEbEEZZNS1_14partition_implILS5_0ELb0ES3_jN6thrust23THRUST_200600_302600_NS6detail15normal_iteratorINSA_10device_ptrIxEEEEPS6_SG_NS0_5tupleIJNSA_16discard_iteratorINSA_11use_defaultEEESK_EEENSH_IJSG_SG_EEES6_PlJ7is_evenIxEEEE10hipError_tPvRmT3_T4_T5_T6_T7_T9_mT8_P12ihipStream_tbDpT10_ENKUlT_T0_E_clISt17integral_constantIbLb0EES18_IbLb1EEEEDaS14_S15_EUlS14_E_NS1_11comp_targetILNS1_3genE5ELNS1_11target_archE942ELNS1_3gpuE9ELNS1_3repE0EEENS1_30default_config_static_selectorELNS0_4arch9wavefront6targetE1EEEvT1_,@function
_ZN7rocprim17ROCPRIM_400000_NS6detail17trampoline_kernelINS0_14default_configENS1_25partition_config_selectorILNS1_17partition_subalgoE0ExNS0_10empty_typeEbEEZZNS1_14partition_implILS5_0ELb0ES3_jN6thrust23THRUST_200600_302600_NS6detail15normal_iteratorINSA_10device_ptrIxEEEEPS6_SG_NS0_5tupleIJNSA_16discard_iteratorINSA_11use_defaultEEESK_EEENSH_IJSG_SG_EEES6_PlJ7is_evenIxEEEE10hipError_tPvRmT3_T4_T5_T6_T7_T9_mT8_P12ihipStream_tbDpT10_ENKUlT_T0_E_clISt17integral_constantIbLb0EES18_IbLb1EEEEDaS14_S15_EUlS14_E_NS1_11comp_targetILNS1_3genE5ELNS1_11target_archE942ELNS1_3gpuE9ELNS1_3repE0EEENS1_30default_config_static_selectorELNS0_4arch9wavefront6targetE1EEEvT1_: ; @_ZN7rocprim17ROCPRIM_400000_NS6detail17trampoline_kernelINS0_14default_configENS1_25partition_config_selectorILNS1_17partition_subalgoE0ExNS0_10empty_typeEbEEZZNS1_14partition_implILS5_0ELb0ES3_jN6thrust23THRUST_200600_302600_NS6detail15normal_iteratorINSA_10device_ptrIxEEEEPS6_SG_NS0_5tupleIJNSA_16discard_iteratorINSA_11use_defaultEEESK_EEENSH_IJSG_SG_EEES6_PlJ7is_evenIxEEEE10hipError_tPvRmT3_T4_T5_T6_T7_T9_mT8_P12ihipStream_tbDpT10_ENKUlT_T0_E_clISt17integral_constantIbLb0EES18_IbLb1EEEEDaS14_S15_EUlS14_E_NS1_11comp_targetILNS1_3genE5ELNS1_11target_archE942ELNS1_3gpuE9ELNS1_3repE0EEENS1_30default_config_static_selectorELNS0_4arch9wavefront6targetE1EEEvT1_
; %bb.0:
	.section	.rodata,"a",@progbits
	.p2align	6, 0x0
	.amdhsa_kernel _ZN7rocprim17ROCPRIM_400000_NS6detail17trampoline_kernelINS0_14default_configENS1_25partition_config_selectorILNS1_17partition_subalgoE0ExNS0_10empty_typeEbEEZZNS1_14partition_implILS5_0ELb0ES3_jN6thrust23THRUST_200600_302600_NS6detail15normal_iteratorINSA_10device_ptrIxEEEEPS6_SG_NS0_5tupleIJNSA_16discard_iteratorINSA_11use_defaultEEESK_EEENSH_IJSG_SG_EEES6_PlJ7is_evenIxEEEE10hipError_tPvRmT3_T4_T5_T6_T7_T9_mT8_P12ihipStream_tbDpT10_ENKUlT_T0_E_clISt17integral_constantIbLb0EES18_IbLb1EEEEDaS14_S15_EUlS14_E_NS1_11comp_targetILNS1_3genE5ELNS1_11target_archE942ELNS1_3gpuE9ELNS1_3repE0EEENS1_30default_config_static_selectorELNS0_4arch9wavefront6targetE1EEEvT1_
		.amdhsa_group_segment_fixed_size 0
		.amdhsa_private_segment_fixed_size 0
		.amdhsa_kernarg_size 152
		.amdhsa_user_sgpr_count 6
		.amdhsa_user_sgpr_private_segment_buffer 1
		.amdhsa_user_sgpr_dispatch_ptr 0
		.amdhsa_user_sgpr_queue_ptr 0
		.amdhsa_user_sgpr_kernarg_segment_ptr 1
		.amdhsa_user_sgpr_dispatch_id 0
		.amdhsa_user_sgpr_flat_scratch_init 0
		.amdhsa_user_sgpr_kernarg_preload_length 0
		.amdhsa_user_sgpr_kernarg_preload_offset 0
		.amdhsa_user_sgpr_private_segment_size 0
		.amdhsa_uses_dynamic_stack 0
		.amdhsa_system_sgpr_private_segment_wavefront_offset 0
		.amdhsa_system_sgpr_workgroup_id_x 1
		.amdhsa_system_sgpr_workgroup_id_y 0
		.amdhsa_system_sgpr_workgroup_id_z 0
		.amdhsa_system_sgpr_workgroup_info 0
		.amdhsa_system_vgpr_workitem_id 0
		.amdhsa_next_free_vgpr 1
		.amdhsa_next_free_sgpr 0
		.amdhsa_accum_offset 4
		.amdhsa_reserve_vcc 0
		.amdhsa_reserve_flat_scratch 0
		.amdhsa_float_round_mode_32 0
		.amdhsa_float_round_mode_16_64 0
		.amdhsa_float_denorm_mode_32 3
		.amdhsa_float_denorm_mode_16_64 3
		.amdhsa_dx10_clamp 1
		.amdhsa_ieee_mode 1
		.amdhsa_fp16_overflow 0
		.amdhsa_tg_split 0
		.amdhsa_exception_fp_ieee_invalid_op 0
		.amdhsa_exception_fp_denorm_src 0
		.amdhsa_exception_fp_ieee_div_zero 0
		.amdhsa_exception_fp_ieee_overflow 0
		.amdhsa_exception_fp_ieee_underflow 0
		.amdhsa_exception_fp_ieee_inexact 0
		.amdhsa_exception_int_div_zero 0
	.end_amdhsa_kernel
	.section	.text._ZN7rocprim17ROCPRIM_400000_NS6detail17trampoline_kernelINS0_14default_configENS1_25partition_config_selectorILNS1_17partition_subalgoE0ExNS0_10empty_typeEbEEZZNS1_14partition_implILS5_0ELb0ES3_jN6thrust23THRUST_200600_302600_NS6detail15normal_iteratorINSA_10device_ptrIxEEEEPS6_SG_NS0_5tupleIJNSA_16discard_iteratorINSA_11use_defaultEEESK_EEENSH_IJSG_SG_EEES6_PlJ7is_evenIxEEEE10hipError_tPvRmT3_T4_T5_T6_T7_T9_mT8_P12ihipStream_tbDpT10_ENKUlT_T0_E_clISt17integral_constantIbLb0EES18_IbLb1EEEEDaS14_S15_EUlS14_E_NS1_11comp_targetILNS1_3genE5ELNS1_11target_archE942ELNS1_3gpuE9ELNS1_3repE0EEENS1_30default_config_static_selectorELNS0_4arch9wavefront6targetE1EEEvT1_,"axG",@progbits,_ZN7rocprim17ROCPRIM_400000_NS6detail17trampoline_kernelINS0_14default_configENS1_25partition_config_selectorILNS1_17partition_subalgoE0ExNS0_10empty_typeEbEEZZNS1_14partition_implILS5_0ELb0ES3_jN6thrust23THRUST_200600_302600_NS6detail15normal_iteratorINSA_10device_ptrIxEEEEPS6_SG_NS0_5tupleIJNSA_16discard_iteratorINSA_11use_defaultEEESK_EEENSH_IJSG_SG_EEES6_PlJ7is_evenIxEEEE10hipError_tPvRmT3_T4_T5_T6_T7_T9_mT8_P12ihipStream_tbDpT10_ENKUlT_T0_E_clISt17integral_constantIbLb0EES18_IbLb1EEEEDaS14_S15_EUlS14_E_NS1_11comp_targetILNS1_3genE5ELNS1_11target_archE942ELNS1_3gpuE9ELNS1_3repE0EEENS1_30default_config_static_selectorELNS0_4arch9wavefront6targetE1EEEvT1_,comdat
.Lfunc_end2612:
	.size	_ZN7rocprim17ROCPRIM_400000_NS6detail17trampoline_kernelINS0_14default_configENS1_25partition_config_selectorILNS1_17partition_subalgoE0ExNS0_10empty_typeEbEEZZNS1_14partition_implILS5_0ELb0ES3_jN6thrust23THRUST_200600_302600_NS6detail15normal_iteratorINSA_10device_ptrIxEEEEPS6_SG_NS0_5tupleIJNSA_16discard_iteratorINSA_11use_defaultEEESK_EEENSH_IJSG_SG_EEES6_PlJ7is_evenIxEEEE10hipError_tPvRmT3_T4_T5_T6_T7_T9_mT8_P12ihipStream_tbDpT10_ENKUlT_T0_E_clISt17integral_constantIbLb0EES18_IbLb1EEEEDaS14_S15_EUlS14_E_NS1_11comp_targetILNS1_3genE5ELNS1_11target_archE942ELNS1_3gpuE9ELNS1_3repE0EEENS1_30default_config_static_selectorELNS0_4arch9wavefront6targetE1EEEvT1_, .Lfunc_end2612-_ZN7rocprim17ROCPRIM_400000_NS6detail17trampoline_kernelINS0_14default_configENS1_25partition_config_selectorILNS1_17partition_subalgoE0ExNS0_10empty_typeEbEEZZNS1_14partition_implILS5_0ELb0ES3_jN6thrust23THRUST_200600_302600_NS6detail15normal_iteratorINSA_10device_ptrIxEEEEPS6_SG_NS0_5tupleIJNSA_16discard_iteratorINSA_11use_defaultEEESK_EEENSH_IJSG_SG_EEES6_PlJ7is_evenIxEEEE10hipError_tPvRmT3_T4_T5_T6_T7_T9_mT8_P12ihipStream_tbDpT10_ENKUlT_T0_E_clISt17integral_constantIbLb0EES18_IbLb1EEEEDaS14_S15_EUlS14_E_NS1_11comp_targetILNS1_3genE5ELNS1_11target_archE942ELNS1_3gpuE9ELNS1_3repE0EEENS1_30default_config_static_selectorELNS0_4arch9wavefront6targetE1EEEvT1_
                                        ; -- End function
	.section	.AMDGPU.csdata,"",@progbits
; Kernel info:
; codeLenInByte = 0
; NumSgprs: 4
; NumVgprs: 0
; NumAgprs: 0
; TotalNumVgprs: 0
; ScratchSize: 0
; MemoryBound: 0
; FloatMode: 240
; IeeeMode: 1
; LDSByteSize: 0 bytes/workgroup (compile time only)
; SGPRBlocks: 0
; VGPRBlocks: 0
; NumSGPRsForWavesPerEU: 4
; NumVGPRsForWavesPerEU: 1
; AccumOffset: 4
; Occupancy: 8
; WaveLimiterHint : 0
; COMPUTE_PGM_RSRC2:SCRATCH_EN: 0
; COMPUTE_PGM_RSRC2:USER_SGPR: 6
; COMPUTE_PGM_RSRC2:TRAP_HANDLER: 0
; COMPUTE_PGM_RSRC2:TGID_X_EN: 1
; COMPUTE_PGM_RSRC2:TGID_Y_EN: 0
; COMPUTE_PGM_RSRC2:TGID_Z_EN: 0
; COMPUTE_PGM_RSRC2:TIDIG_COMP_CNT: 0
; COMPUTE_PGM_RSRC3_GFX90A:ACCUM_OFFSET: 0
; COMPUTE_PGM_RSRC3_GFX90A:TG_SPLIT: 0
	.section	.text._ZN7rocprim17ROCPRIM_400000_NS6detail17trampoline_kernelINS0_14default_configENS1_25partition_config_selectorILNS1_17partition_subalgoE0ExNS0_10empty_typeEbEEZZNS1_14partition_implILS5_0ELb0ES3_jN6thrust23THRUST_200600_302600_NS6detail15normal_iteratorINSA_10device_ptrIxEEEEPS6_SG_NS0_5tupleIJNSA_16discard_iteratorINSA_11use_defaultEEESK_EEENSH_IJSG_SG_EEES6_PlJ7is_evenIxEEEE10hipError_tPvRmT3_T4_T5_T6_T7_T9_mT8_P12ihipStream_tbDpT10_ENKUlT_T0_E_clISt17integral_constantIbLb0EES18_IbLb1EEEEDaS14_S15_EUlS14_E_NS1_11comp_targetILNS1_3genE4ELNS1_11target_archE910ELNS1_3gpuE8ELNS1_3repE0EEENS1_30default_config_static_selectorELNS0_4arch9wavefront6targetE1EEEvT1_,"axG",@progbits,_ZN7rocprim17ROCPRIM_400000_NS6detail17trampoline_kernelINS0_14default_configENS1_25partition_config_selectorILNS1_17partition_subalgoE0ExNS0_10empty_typeEbEEZZNS1_14partition_implILS5_0ELb0ES3_jN6thrust23THRUST_200600_302600_NS6detail15normal_iteratorINSA_10device_ptrIxEEEEPS6_SG_NS0_5tupleIJNSA_16discard_iteratorINSA_11use_defaultEEESK_EEENSH_IJSG_SG_EEES6_PlJ7is_evenIxEEEE10hipError_tPvRmT3_T4_T5_T6_T7_T9_mT8_P12ihipStream_tbDpT10_ENKUlT_T0_E_clISt17integral_constantIbLb0EES18_IbLb1EEEEDaS14_S15_EUlS14_E_NS1_11comp_targetILNS1_3genE4ELNS1_11target_archE910ELNS1_3gpuE8ELNS1_3repE0EEENS1_30default_config_static_selectorELNS0_4arch9wavefront6targetE1EEEvT1_,comdat
	.protected	_ZN7rocprim17ROCPRIM_400000_NS6detail17trampoline_kernelINS0_14default_configENS1_25partition_config_selectorILNS1_17partition_subalgoE0ExNS0_10empty_typeEbEEZZNS1_14partition_implILS5_0ELb0ES3_jN6thrust23THRUST_200600_302600_NS6detail15normal_iteratorINSA_10device_ptrIxEEEEPS6_SG_NS0_5tupleIJNSA_16discard_iteratorINSA_11use_defaultEEESK_EEENSH_IJSG_SG_EEES6_PlJ7is_evenIxEEEE10hipError_tPvRmT3_T4_T5_T6_T7_T9_mT8_P12ihipStream_tbDpT10_ENKUlT_T0_E_clISt17integral_constantIbLb0EES18_IbLb1EEEEDaS14_S15_EUlS14_E_NS1_11comp_targetILNS1_3genE4ELNS1_11target_archE910ELNS1_3gpuE8ELNS1_3repE0EEENS1_30default_config_static_selectorELNS0_4arch9wavefront6targetE1EEEvT1_ ; -- Begin function _ZN7rocprim17ROCPRIM_400000_NS6detail17trampoline_kernelINS0_14default_configENS1_25partition_config_selectorILNS1_17partition_subalgoE0ExNS0_10empty_typeEbEEZZNS1_14partition_implILS5_0ELb0ES3_jN6thrust23THRUST_200600_302600_NS6detail15normal_iteratorINSA_10device_ptrIxEEEEPS6_SG_NS0_5tupleIJNSA_16discard_iteratorINSA_11use_defaultEEESK_EEENSH_IJSG_SG_EEES6_PlJ7is_evenIxEEEE10hipError_tPvRmT3_T4_T5_T6_T7_T9_mT8_P12ihipStream_tbDpT10_ENKUlT_T0_E_clISt17integral_constantIbLb0EES18_IbLb1EEEEDaS14_S15_EUlS14_E_NS1_11comp_targetILNS1_3genE4ELNS1_11target_archE910ELNS1_3gpuE8ELNS1_3repE0EEENS1_30default_config_static_selectorELNS0_4arch9wavefront6targetE1EEEvT1_
	.globl	_ZN7rocprim17ROCPRIM_400000_NS6detail17trampoline_kernelINS0_14default_configENS1_25partition_config_selectorILNS1_17partition_subalgoE0ExNS0_10empty_typeEbEEZZNS1_14partition_implILS5_0ELb0ES3_jN6thrust23THRUST_200600_302600_NS6detail15normal_iteratorINSA_10device_ptrIxEEEEPS6_SG_NS0_5tupleIJNSA_16discard_iteratorINSA_11use_defaultEEESK_EEENSH_IJSG_SG_EEES6_PlJ7is_evenIxEEEE10hipError_tPvRmT3_T4_T5_T6_T7_T9_mT8_P12ihipStream_tbDpT10_ENKUlT_T0_E_clISt17integral_constantIbLb0EES18_IbLb1EEEEDaS14_S15_EUlS14_E_NS1_11comp_targetILNS1_3genE4ELNS1_11target_archE910ELNS1_3gpuE8ELNS1_3repE0EEENS1_30default_config_static_selectorELNS0_4arch9wavefront6targetE1EEEvT1_
	.p2align	8
	.type	_ZN7rocprim17ROCPRIM_400000_NS6detail17trampoline_kernelINS0_14default_configENS1_25partition_config_selectorILNS1_17partition_subalgoE0ExNS0_10empty_typeEbEEZZNS1_14partition_implILS5_0ELb0ES3_jN6thrust23THRUST_200600_302600_NS6detail15normal_iteratorINSA_10device_ptrIxEEEEPS6_SG_NS0_5tupleIJNSA_16discard_iteratorINSA_11use_defaultEEESK_EEENSH_IJSG_SG_EEES6_PlJ7is_evenIxEEEE10hipError_tPvRmT3_T4_T5_T6_T7_T9_mT8_P12ihipStream_tbDpT10_ENKUlT_T0_E_clISt17integral_constantIbLb0EES18_IbLb1EEEEDaS14_S15_EUlS14_E_NS1_11comp_targetILNS1_3genE4ELNS1_11target_archE910ELNS1_3gpuE8ELNS1_3repE0EEENS1_30default_config_static_selectorELNS0_4arch9wavefront6targetE1EEEvT1_,@function
_ZN7rocprim17ROCPRIM_400000_NS6detail17trampoline_kernelINS0_14default_configENS1_25partition_config_selectorILNS1_17partition_subalgoE0ExNS0_10empty_typeEbEEZZNS1_14partition_implILS5_0ELb0ES3_jN6thrust23THRUST_200600_302600_NS6detail15normal_iteratorINSA_10device_ptrIxEEEEPS6_SG_NS0_5tupleIJNSA_16discard_iteratorINSA_11use_defaultEEESK_EEENSH_IJSG_SG_EEES6_PlJ7is_evenIxEEEE10hipError_tPvRmT3_T4_T5_T6_T7_T9_mT8_P12ihipStream_tbDpT10_ENKUlT_T0_E_clISt17integral_constantIbLb0EES18_IbLb1EEEEDaS14_S15_EUlS14_E_NS1_11comp_targetILNS1_3genE4ELNS1_11target_archE910ELNS1_3gpuE8ELNS1_3repE0EEENS1_30default_config_static_selectorELNS0_4arch9wavefront6targetE1EEEvT1_: ; @_ZN7rocprim17ROCPRIM_400000_NS6detail17trampoline_kernelINS0_14default_configENS1_25partition_config_selectorILNS1_17partition_subalgoE0ExNS0_10empty_typeEbEEZZNS1_14partition_implILS5_0ELb0ES3_jN6thrust23THRUST_200600_302600_NS6detail15normal_iteratorINSA_10device_ptrIxEEEEPS6_SG_NS0_5tupleIJNSA_16discard_iteratorINSA_11use_defaultEEESK_EEENSH_IJSG_SG_EEES6_PlJ7is_evenIxEEEE10hipError_tPvRmT3_T4_T5_T6_T7_T9_mT8_P12ihipStream_tbDpT10_ENKUlT_T0_E_clISt17integral_constantIbLb0EES18_IbLb1EEEEDaS14_S15_EUlS14_E_NS1_11comp_targetILNS1_3genE4ELNS1_11target_archE910ELNS1_3gpuE8ELNS1_3repE0EEENS1_30default_config_static_selectorELNS0_4arch9wavefront6targetE1EEEvT1_
; %bb.0:
	s_load_dwordx2 s[2:3], s[4:5], 0x68
	s_load_dwordx4 s[20:23], s[4:5], 0x58
	s_load_dwordx2 s[18:19], s[4:5], 0x78
	v_cmp_eq_u32_e64 s[0:1], 0, v0
	s_and_saveexec_b64 s[6:7], s[0:1]
	s_cbranch_execz .LBB2613_4
; %bb.1:
	s_mov_b64 s[10:11], exec
	v_mbcnt_lo_u32_b32 v1, s10, 0
	v_mbcnt_hi_u32_b32 v1, s11, v1
	v_cmp_eq_u32_e32 vcc, 0, v1
                                        ; implicit-def: $vgpr2
	s_and_saveexec_b64 s[8:9], vcc
	s_cbranch_execz .LBB2613_3
; %bb.2:
	s_load_dwordx2 s[12:13], s[4:5], 0x88
	s_bcnt1_i32_b64 s10, s[10:11]
	v_mov_b32_e32 v2, 0
	v_mov_b32_e32 v3, s10
	s_waitcnt lgkmcnt(0)
	global_atomic_add v2, v2, v3, s[12:13] glc
.LBB2613_3:
	s_or_b64 exec, exec, s[8:9]
	s_waitcnt vmcnt(0)
	v_readfirstlane_b32 s8, v2
	v_add_u32_e32 v1, s8, v1
	v_mov_b32_e32 v2, 0
	ds_write_b32 v2, v1
.LBB2613_4:
	s_or_b64 exec, exec, s[6:7]
	v_mov_b32_e32 v3, 0
	s_load_dwordx4 s[8:11], s[4:5], 0x8
	s_load_dword s6, s[4:5], 0x80
	s_waitcnt lgkmcnt(0)
	s_barrier
	ds_read_b32 v1, v3
	s_waitcnt lgkmcnt(0)
	s_barrier
	global_load_dwordx2 v[10:11], v3, s[22:23]
	v_mov_b32_e32 v5, s3
	s_lshl_b64 s[4:5], s[10:11], 3
	s_movk_i32 s3, 0x300
	s_add_u32 s4, s8, s4
	v_mul_lo_u32 v2, v1, s3
	s_mul_i32 s3, s6, 0x300
	s_addc_u32 s5, s9, s5
	s_add_i32 s7, s6, -1
	s_add_i32 s6, s3, s10
	s_sub_i32 s6, s2, s6
	v_mov_b32_e32 v4, s2
	s_add_u32 s2, s10, s3
	v_readfirstlane_b32 s30, v1
	s_addc_u32 s3, s11, 0
	s_cmp_eq_u32 s30, s7
	s_cselect_b64 s[22:23], -1, 0
	s_cmp_lg_u32 s30, s7
	v_cmp_lt_u64_e32 vcc, s[2:3], v[4:5]
	s_cselect_b64 s[2:3], -1, 0
	v_lshlrev_b64 v[2:3], 3, v[2:3]
	s_or_b64 s[2:3], vcc, s[2:3]
	v_mov_b32_e32 v1, s5
	v_add_co_u32_e32 v13, vcc, s4, v2
	v_addc_co_u32_e32 v14, vcc, v1, v3, vcc
	s_mov_b64 s[4:5], -1
	s_and_b64 vcc, exec, s[2:3]
	v_lshlrev_b32_e32 v1, 3, v0
	v_lshrrev_b32_e32 v12, 2, v0
	s_cbranch_vccz .LBB2613_6
; %bb.5:
	v_add_co_u32_e32 v2, vcc, v13, v1
	v_addc_co_u32_e32 v3, vcc, 0, v14, vcc
	v_add_co_u32_e32 v4, vcc, 0x1000, v2
	v_addc_co_u32_e32 v5, vcc, 0, v3, vcc
	flat_load_dwordx2 v[6:7], v[2:3]
	flat_load_dwordx2 v[8:9], v[2:3] offset:1536
	flat_load_dwordx2 v[16:17], v[2:3] offset:3072
	;; [unrolled: 1-line block ×3, first 2 shown]
	v_add_u32_e32 v3, 0xc0, v0
	v_add_u32_e32 v4, 0x180, v0
	;; [unrolled: 1-line block ×3, first 2 shown]
	v_and_b32_e32 v2, 56, v12
	v_lshrrev_b32_e32 v3, 2, v3
	v_lshrrev_b32_e32 v4, 2, v4
	v_lshrrev_b32_e32 v5, 2, v5
	v_add_u32_e32 v2, v2, v1
	v_and_b32_e32 v3, 0x78, v3
	v_and_b32_e32 v4, 0xf8, v4
	;; [unrolled: 1-line block ×3, first 2 shown]
	v_add_u32_e32 v3, v3, v1
	v_add_u32_e32 v4, v4, v1
	v_add_u32_e32 v5, v5, v1
	s_mov_b64 s[4:5], 0
	s_waitcnt vmcnt(0) lgkmcnt(0)
	ds_write_b64 v2, v[6:7]
	ds_write_b64 v3, v[8:9] offset:1536
	ds_write_b64 v4, v[16:17] offset:3072
	;; [unrolled: 1-line block ×3, first 2 shown]
	s_waitcnt lgkmcnt(0)
	s_barrier
.LBB2613_6:
	s_andn2_b64 vcc, exec, s[4:5]
	s_addk_i32 s6, 0x300
	s_cbranch_vccnz .LBB2613_16
; %bb.7:
	v_cmp_gt_u32_e32 vcc, s6, v0
                                        ; implicit-def: $vgpr2_vgpr3_vgpr4_vgpr5_vgpr6_vgpr7_vgpr8_vgpr9
	s_and_saveexec_b64 s[4:5], vcc
	s_cbranch_execz .LBB2613_9
; %bb.8:
	v_add_co_u32_e32 v2, vcc, v13, v1
	v_addc_co_u32_e32 v3, vcc, 0, v14, vcc
	flat_load_dwordx2 v[2:3], v[2:3]
.LBB2613_9:
	s_or_b64 exec, exec, s[4:5]
	v_add_u32_e32 v15, 0xc0, v0
	v_cmp_gt_u32_e32 vcc, s6, v15
	s_and_saveexec_b64 s[4:5], vcc
	s_cbranch_execz .LBB2613_11
; %bb.10:
	v_add_co_u32_e32 v4, vcc, v13, v1
	v_addc_co_u32_e32 v5, vcc, 0, v14, vcc
	flat_load_dwordx2 v[4:5], v[4:5] offset:1536
.LBB2613_11:
	s_or_b64 exec, exec, s[4:5]
	v_add_u32_e32 v16, 0x180, v0
	v_cmp_gt_u32_e32 vcc, s6, v16
	s_and_saveexec_b64 s[4:5], vcc
	s_cbranch_execz .LBB2613_13
; %bb.12:
	v_add_co_u32_e32 v6, vcc, v13, v1
	v_addc_co_u32_e32 v7, vcc, 0, v14, vcc
	flat_load_dwordx2 v[6:7], v[6:7] offset:3072
.LBB2613_13:
	s_or_b64 exec, exec, s[4:5]
	v_add_u32_e32 v17, 0x240, v0
	v_cmp_gt_u32_e32 vcc, s6, v17
	s_and_saveexec_b64 s[4:5], vcc
	s_cbranch_execz .LBB2613_15
; %bb.14:
	v_lshlrev_b32_e32 v8, 3, v17
	v_add_co_u32_e32 v8, vcc, v13, v8
	v_addc_co_u32_e32 v9, vcc, 0, v14, vcc
	flat_load_dwordx2 v[8:9], v[8:9]
.LBB2613_15:
	s_or_b64 exec, exec, s[4:5]
	v_and_b32_e32 v12, 56, v12
	v_add_u32_e32 v12, v12, v1
	s_waitcnt vmcnt(0) lgkmcnt(0)
	ds_write_b64 v12, v[2:3]
	v_lshrrev_b32_e32 v2, 2, v15
	v_and_b32_e32 v2, 0x78, v2
	v_add_u32_e32 v2, v2, v1
	ds_write_b64 v2, v[4:5] offset:1536
	v_lshrrev_b32_e32 v2, 2, v16
	v_and_b32_e32 v2, 0xf8, v2
	v_add_u32_e32 v2, v2, v1
	ds_write_b64 v2, v[6:7] offset:3072
	;; [unrolled: 4-line block ×3, first 2 shown]
	s_waitcnt lgkmcnt(0)
	s_barrier
.LBB2613_16:
	v_lshlrev_b32_e32 v1, 2, v0
	v_lshrrev_b32_e32 v2, 3, v0
	v_add_lshl_u32 v2, v2, v1, 3
	ds_read2_b64 v[6:9], v2 offset1:1
	ds_read2_b64 v[2:5], v2 offset0:2 offset1:3
	s_andn2_b64 vcc, exec, s[2:3]
	s_waitcnt lgkmcnt(0)
	s_barrier
	v_xor_b32_e32 v15, -1, v6
	v_xor_b32_e32 v14, -1, v8
	;; [unrolled: 1-line block ×4, first 2 shown]
	s_cbranch_vccnz .LBB2613_18
; %bb.17:
	v_mov_b32_e32 v17, 1
	v_and_b32_e32 v16, 1, v15
	v_and_b32_sdwa v18, v14, v17 dst_sel:BYTE_1 dst_unused:UNUSED_PAD src0_sel:DWORD src1_sel:DWORD
	v_and_b32_e32 v19, 1, v13
	v_and_b32_sdwa v17, v12, v17 dst_sel:BYTE_1 dst_unused:UNUSED_PAD src0_sel:DWORD src1_sel:DWORD
	v_or_b32_e32 v16, v16, v18
	v_or_b32_sdwa v17, v19, v17 dst_sel:WORD_1 dst_unused:UNUSED_PAD src0_sel:DWORD src1_sel:DWORD
	v_or_b32_sdwa v22, v16, v17 dst_sel:DWORD dst_unused:UNUSED_PAD src0_sel:WORD_0 src1_sel:DWORD
	s_cbranch_execz .LBB2613_19
	s_branch .LBB2613_20
.LBB2613_18:
                                        ; implicit-def: $vgpr22
.LBB2613_19:
	v_cmp_gt_u32_e32 vcc, s6, v1
	v_cndmask_b32_e64 v16, 0, 1, vcc
	v_and_b32_e32 v15, v16, v15
	v_or_b32_e32 v16, 1, v1
	v_cmp_gt_u32_e32 vcc, s6, v16
	v_cndmask_b32_e64 v16, 0, 1, vcc
	v_and_b32_sdwa v14, v16, v14 dst_sel:BYTE_1 dst_unused:UNUSED_PAD src0_sel:DWORD src1_sel:DWORD
	v_or_b32_e32 v16, 2, v1
	v_cmp_gt_u32_e32 vcc, s6, v16
	v_cndmask_b32_e64 v16, 0, 1, vcc
	v_and_b32_e32 v13, v16, v13
	v_or_b32_e32 v16, 3, v1
	v_cmp_gt_u32_e32 vcc, s6, v16
	v_cndmask_b32_e64 v16, 0, 1, vcc
	v_and_b32_sdwa v12, v16, v12 dst_sel:BYTE_1 dst_unused:UNUSED_PAD src0_sel:DWORD src1_sel:DWORD
	v_or_b32_e32 v14, v15, v14
	v_or_b32_sdwa v12, v13, v12 dst_sel:WORD_1 dst_unused:UNUSED_PAD src0_sel:DWORD src1_sel:DWORD
	v_or_b32_sdwa v22, v14, v12 dst_sel:DWORD dst_unused:UNUSED_PAD src0_sel:WORD_0 src1_sel:DWORD
.LBB2613_20:
	v_bfe_u32 v24, v22, 16, 8
	v_lshrrev_b32_e32 v23, 24, v22
	v_add_u32_sdwa v12, v22, v22 dst_sel:DWORD dst_unused:UNUSED_PAD src0_sel:BYTE_1 src1_sel:BYTE_0
	v_add3_u32 v27, v12, v24, v23
	v_mbcnt_lo_u32_b32 v12, -1, 0
	v_mbcnt_hi_u32_b32 v25, -1, v12
	v_and_b32_e32 v12, 15, v25
	v_cmp_eq_u32_e64 s[14:15], 0, v12
	v_cmp_lt_u32_e64 s[12:13], 1, v12
	v_cmp_lt_u32_e64 s[10:11], 3, v12
	;; [unrolled: 1-line block ×3, first 2 shown]
	v_and_b32_e32 v12, 16, v25
	v_cmp_eq_u32_e64 s[4:5], 0, v12
	v_and_b32_e32 v12, 0xc0, v0
	v_min_u32_e32 v12, 0x80, v12
	v_or_b32_e32 v12, 63, v12
	s_cmp_lg_u32 s30, 0
	v_cmp_lt_u32_e64 s[2:3], 31, v25
	v_lshrrev_b32_e32 v26, 6, v0
	v_cmp_eq_u32_e64 s[6:7], v12, v0
	s_cbranch_scc0 .LBB2613_47
; %bb.21:
	v_mov_b32_dpp v12, v27 row_shr:1 row_mask:0xf bank_mask:0xf
	v_cndmask_b32_e64 v12, v12, 0, s[14:15]
	v_add_u32_e32 v12, v12, v27
	s_nop 1
	v_mov_b32_dpp v13, v12 row_shr:2 row_mask:0xf bank_mask:0xf
	v_cndmask_b32_e64 v13, 0, v13, s[12:13]
	v_add_u32_e32 v12, v12, v13
	s_nop 1
	;; [unrolled: 4-line block ×4, first 2 shown]
	v_mov_b32_dpp v13, v12 row_bcast:15 row_mask:0xf bank_mask:0xf
	v_cndmask_b32_e64 v13, v13, 0, s[4:5]
	v_add_u32_e32 v12, v12, v13
	s_nop 1
	v_mov_b32_dpp v13, v12 row_bcast:31 row_mask:0xf bank_mask:0xf
	v_cndmask_b32_e64 v13, 0, v13, s[2:3]
	v_add_u32_e32 v12, v12, v13
	s_and_saveexec_b64 s[16:17], s[6:7]
	s_cbranch_execz .LBB2613_23
; %bb.22:
	v_lshlrev_b32_e32 v13, 2, v26
	ds_write_b32 v13, v12
.LBB2613_23:
	s_or_b64 exec, exec, s[16:17]
	v_cmp_gt_u32_e32 vcc, 3, v0
	s_waitcnt lgkmcnt(0)
	s_barrier
	s_and_saveexec_b64 s[16:17], vcc
	s_cbranch_execz .LBB2613_25
; %bb.24:
	ds_read_b32 v13, v1
	v_and_b32_e32 v14, 3, v25
	v_cmp_ne_u32_e32 vcc, 0, v14
	s_waitcnt lgkmcnt(0)
	v_mov_b32_dpp v15, v13 row_shr:1 row_mask:0xf bank_mask:0xf
	v_cndmask_b32_e32 v15, 0, v15, vcc
	v_add_u32_e32 v13, v15, v13
	v_cmp_lt_u32_e32 vcc, 1, v14
	s_nop 0
	v_mov_b32_dpp v15, v13 row_shr:2 row_mask:0xf bank_mask:0xf
	v_cndmask_b32_e32 v14, 0, v15, vcc
	v_add_u32_e32 v13, v13, v14
	ds_write_b32 v1, v13
.LBB2613_25:
	s_or_b64 exec, exec, s[16:17]
	v_cmp_gt_u32_e32 vcc, 64, v0
	v_cmp_lt_u32_e64 s[16:17], 63, v0
	s_waitcnt lgkmcnt(0)
	s_barrier
	s_waitcnt lgkmcnt(0)
                                        ; implicit-def: $vgpr28
	s_and_saveexec_b64 s[24:25], s[16:17]
	s_cbranch_execz .LBB2613_27
; %bb.26:
	v_lshl_add_u32 v13, v26, 2, -4
	ds_read_b32 v28, v13
	s_waitcnt lgkmcnt(0)
	v_add_u32_e32 v12, v28, v12
.LBB2613_27:
	s_or_b64 exec, exec, s[24:25]
	v_add_u32_e32 v13, -1, v25
	v_and_b32_e32 v14, 64, v25
	v_cmp_lt_i32_e64 s[16:17], v13, v14
	v_cndmask_b32_e64 v13, v13, v25, s[16:17]
	v_lshlrev_b32_e32 v13, 2, v13
	ds_bpermute_b32 v29, v13, v12
	v_cmp_eq_u32_e64 s[16:17], 0, v25
	s_and_saveexec_b64 s[24:25], vcc
	s_cbranch_execz .LBB2613_46
; %bb.28:
	v_mov_b32_e32 v19, 0
	ds_read_b32 v12, v19 offset:8
	s_and_saveexec_b64 s[26:27], s[16:17]
	s_cbranch_execz .LBB2613_30
; %bb.29:
	s_add_i32 s28, s30, 64
	s_mov_b32 s29, 0
	s_lshl_b64 s[28:29], s[28:29], 3
	s_add_u32 s28, s18, s28
	v_mov_b32_e32 v13, 1
	s_addc_u32 s29, s19, s29
	s_waitcnt lgkmcnt(0)
	global_store_dwordx2 v19, v[12:13], s[28:29]
.LBB2613_30:
	s_or_b64 exec, exec, s[26:27]
	v_xad_u32 v14, v25, -1, s30
	v_add_u32_e32 v18, 64, v14
	v_lshlrev_b64 v[16:17], 3, v[18:19]
	v_mov_b32_e32 v13, s19
	v_add_co_u32_e32 v20, vcc, s18, v16
	v_addc_co_u32_e32 v21, vcc, v13, v17, vcc
	global_load_dwordx2 v[16:17], v[20:21], off glc
	s_waitcnt vmcnt(0)
	v_cmp_eq_u16_sdwa s[28:29], v17, v19 src0_sel:BYTE_0 src1_sel:DWORD
	s_and_saveexec_b64 s[26:27], s[28:29]
	s_cbranch_execz .LBB2613_34
; %bb.31:
	s_mov_b64 s[28:29], 0
	v_mov_b32_e32 v13, 0
.LBB2613_32:                            ; =>This Inner Loop Header: Depth=1
	global_load_dwordx2 v[16:17], v[20:21], off glc
	s_waitcnt vmcnt(0)
	v_cmp_ne_u16_sdwa s[34:35], v17, v13 src0_sel:BYTE_0 src1_sel:DWORD
	s_or_b64 s[28:29], s[34:35], s[28:29]
	s_andn2_b64 exec, exec, s[28:29]
	s_cbranch_execnz .LBB2613_32
; %bb.33:
	s_or_b64 exec, exec, s[28:29]
.LBB2613_34:
	s_or_b64 exec, exec, s[26:27]
	v_and_b32_e32 v31, 63, v25
	v_mov_b32_e32 v30, 2
	v_cmp_ne_u32_e32 vcc, 63, v31
	v_cmp_eq_u16_sdwa s[26:27], v17, v30 src0_sel:BYTE_0 src1_sel:DWORD
	v_lshlrev_b64 v[18:19], v25, -1
	v_addc_co_u32_e32 v20, vcc, 0, v25, vcc
	v_and_b32_e32 v13, s27, v19
	v_lshlrev_b32_e32 v32, 2, v20
	v_or_b32_e32 v13, 0x80000000, v13
	ds_bpermute_b32 v20, v32, v16
	v_and_b32_e32 v15, s26, v18
	v_ffbl_b32_e32 v13, v13
	v_add_u32_e32 v13, 32, v13
	v_ffbl_b32_e32 v15, v15
	v_min_u32_e32 v13, v15, v13
	v_cmp_lt_u32_e32 vcc, v31, v13
	s_waitcnt lgkmcnt(0)
	v_cndmask_b32_e32 v15, 0, v20, vcc
	v_cmp_gt_u32_e32 vcc, 62, v31
	v_add_u32_e32 v15, v15, v16
	v_cndmask_b32_e64 v16, 0, 1, vcc
	v_lshlrev_b32_e32 v16, 1, v16
	v_add_lshl_u32 v33, v16, v25, 2
	ds_bpermute_b32 v16, v33, v15
	v_add_u32_e32 v34, 2, v31
	v_cmp_le_u32_e32 vcc, v34, v13
	v_add_u32_e32 v36, 4, v31
	v_add_u32_e32 v38, 8, v31
	s_waitcnt lgkmcnt(0)
	v_cndmask_b32_e32 v16, 0, v16, vcc
	v_cmp_gt_u32_e32 vcc, 60, v31
	v_add_u32_e32 v15, v15, v16
	v_cndmask_b32_e64 v16, 0, 1, vcc
	v_lshlrev_b32_e32 v16, 2, v16
	v_add_lshl_u32 v35, v16, v25, 2
	ds_bpermute_b32 v16, v35, v15
	v_cmp_le_u32_e32 vcc, v36, v13
	v_add_u32_e32 v40, 16, v31
	v_add_u32_e32 v42, 32, v31
	s_waitcnt lgkmcnt(0)
	v_cndmask_b32_e32 v16, 0, v16, vcc
	v_cmp_gt_u32_e32 vcc, 56, v31
	v_add_u32_e32 v15, v15, v16
	v_cndmask_b32_e64 v16, 0, 1, vcc
	v_lshlrev_b32_e32 v16, 3, v16
	v_add_lshl_u32 v37, v16, v25, 2
	ds_bpermute_b32 v16, v37, v15
	v_cmp_le_u32_e32 vcc, v38, v13
	s_waitcnt lgkmcnt(0)
	v_cndmask_b32_e32 v16, 0, v16, vcc
	v_cmp_gt_u32_e32 vcc, 48, v31
	v_add_u32_e32 v15, v15, v16
	v_cndmask_b32_e64 v16, 0, 1, vcc
	v_lshlrev_b32_e32 v16, 4, v16
	v_add_lshl_u32 v39, v16, v25, 2
	ds_bpermute_b32 v16, v39, v15
	v_cmp_le_u32_e32 vcc, v40, v13
	;; [unrolled: 9-line block ×3, first 2 shown]
	s_waitcnt lgkmcnt(0)
	v_cndmask_b32_e32 v13, 0, v16, vcc
	v_add_u32_e32 v16, v15, v13
	v_mov_b32_e32 v15, 0
	s_branch .LBB2613_36
.LBB2613_35:                            ;   in Loop: Header=BB2613_36 Depth=1
	s_or_b64 exec, exec, s[26:27]
	v_cmp_eq_u16_sdwa s[26:27], v17, v30 src0_sel:BYTE_0 src1_sel:DWORD
	v_and_b32_e32 v20, s27, v19
	v_or_b32_e32 v20, 0x80000000, v20
	ds_bpermute_b32 v43, v32, v16
	v_and_b32_e32 v21, s26, v18
	v_ffbl_b32_e32 v20, v20
	v_add_u32_e32 v20, 32, v20
	v_ffbl_b32_e32 v21, v21
	v_min_u32_e32 v20, v21, v20
	v_cmp_lt_u32_e32 vcc, v31, v20
	s_waitcnt lgkmcnt(0)
	v_cndmask_b32_e32 v21, 0, v43, vcc
	v_add_u32_e32 v16, v21, v16
	ds_bpermute_b32 v21, v33, v16
	v_cmp_le_u32_e32 vcc, v34, v20
	v_subrev_u32_e32 v14, 64, v14
	s_waitcnt lgkmcnt(0)
	v_cndmask_b32_e32 v21, 0, v21, vcc
	v_add_u32_e32 v16, v16, v21
	ds_bpermute_b32 v21, v35, v16
	v_cmp_le_u32_e32 vcc, v36, v20
	s_waitcnt lgkmcnt(0)
	v_cndmask_b32_e32 v21, 0, v21, vcc
	v_add_u32_e32 v16, v16, v21
	ds_bpermute_b32 v21, v37, v16
	v_cmp_le_u32_e32 vcc, v38, v20
	;; [unrolled: 5-line block ×4, first 2 shown]
	s_waitcnt lgkmcnt(0)
	v_cndmask_b32_e32 v20, 0, v21, vcc
	v_add3_u32 v16, v20, v13, v16
.LBB2613_36:                            ; =>This Loop Header: Depth=1
                                        ;     Child Loop BB2613_39 Depth 2
	v_cmp_ne_u16_sdwa s[26:27], v17, v30 src0_sel:BYTE_0 src1_sel:DWORD
	v_cndmask_b32_e64 v13, 0, 1, s[26:27]
	;;#ASMSTART
	;;#ASMEND
	v_cmp_ne_u32_e32 vcc, 0, v13
	s_cmp_lg_u64 vcc, exec
	v_mov_b32_e32 v13, v16
	s_cbranch_scc1 .LBB2613_41
; %bb.37:                               ;   in Loop: Header=BB2613_36 Depth=1
	v_lshlrev_b64 v[16:17], 3, v[14:15]
	v_mov_b32_e32 v21, s19
	v_add_co_u32_e32 v20, vcc, s18, v16
	v_addc_co_u32_e32 v21, vcc, v21, v17, vcc
	global_load_dwordx2 v[16:17], v[20:21], off glc
	s_waitcnt vmcnt(0)
	v_cmp_eq_u16_sdwa s[28:29], v17, v15 src0_sel:BYTE_0 src1_sel:DWORD
	s_and_saveexec_b64 s[26:27], s[28:29]
	s_cbranch_execz .LBB2613_35
; %bb.38:                               ;   in Loop: Header=BB2613_36 Depth=1
	s_mov_b64 s[28:29], 0
.LBB2613_39:                            ;   Parent Loop BB2613_36 Depth=1
                                        ; =>  This Inner Loop Header: Depth=2
	global_load_dwordx2 v[16:17], v[20:21], off glc
	s_waitcnt vmcnt(0)
	v_cmp_ne_u16_sdwa s[34:35], v17, v15 src0_sel:BYTE_0 src1_sel:DWORD
	s_or_b64 s[28:29], s[34:35], s[28:29]
	s_andn2_b64 exec, exec, s[28:29]
	s_cbranch_execnz .LBB2613_39
; %bb.40:                               ;   in Loop: Header=BB2613_36 Depth=1
	s_or_b64 exec, exec, s[28:29]
	s_branch .LBB2613_35
.LBB2613_41:                            ;   in Loop: Header=BB2613_36 Depth=1
                                        ; implicit-def: $vgpr16
                                        ; implicit-def: $vgpr17
	s_cbranch_execz .LBB2613_36
; %bb.42:
	s_and_saveexec_b64 s[26:27], s[16:17]
	s_cbranch_execz .LBB2613_44
; %bb.43:
	s_add_i32 s28, s30, 64
	s_mov_b32 s29, 0
	s_lshl_b64 s[28:29], s[28:29], 3
	s_add_u32 s28, s18, s28
	v_add_u32_e32 v14, v13, v12
	v_mov_b32_e32 v15, 2
	s_addc_u32 s29, s19, s29
	v_mov_b32_e32 v16, 0
	global_store_dwordx2 v16, v[14:15], s[28:29]
	ds_write_b64 v16, v[12:13] offset:6336
.LBB2613_44:
	s_or_b64 exec, exec, s[26:27]
	s_and_b64 exec, exec, s[0:1]
	s_cbranch_execz .LBB2613_46
; %bb.45:
	v_mov_b32_e32 v12, 0
	ds_write_b32 v12, v13 offset:8
.LBB2613_46:
	s_or_b64 exec, exec, s[24:25]
	v_mov_b32_e32 v12, 0
	s_waitcnt lgkmcnt(0)
	s_barrier
	ds_read_b32 v13, v12 offset:8
	v_cndmask_b32_e64 v14, v29, v28, s[16:17]
	v_cndmask_b32_e64 v14, v14, 0, s[0:1]
	s_waitcnt lgkmcnt(0)
	s_barrier
	v_add_u32_e32 v16, v13, v14
	ds_read_b64 v[12:13], v12 offset:6336
	v_add_u32_sdwa v17, v16, v22 dst_sel:DWORD dst_unused:UNUSED_PAD src0_sel:DWORD src1_sel:BYTE_0
	v_add_u32_sdwa v15, v17, v22 dst_sel:DWORD dst_unused:UNUSED_PAD src0_sel:DWORD src1_sel:BYTE_1
	v_add_u32_e32 v14, v15, v24
	s_branch .LBB2613_57
.LBB2613_47:
                                        ; implicit-def: $vgpr13
                                        ; implicit-def: $vgpr14
                                        ; implicit-def: $vgpr15
                                        ; implicit-def: $vgpr17
                                        ; implicit-def: $vgpr16
	s_cbranch_execz .LBB2613_57
; %bb.48:
	s_waitcnt lgkmcnt(0)
	v_mov_b32_dpp v12, v27 row_shr:1 row_mask:0xf bank_mask:0xf
	v_cndmask_b32_e64 v12, v12, 0, s[14:15]
	v_add_u32_e32 v12, v12, v27
	s_nop 1
	v_mov_b32_dpp v13, v12 row_shr:2 row_mask:0xf bank_mask:0xf
	v_cndmask_b32_e64 v13, 0, v13, s[12:13]
	v_add_u32_e32 v12, v12, v13
	s_nop 1
	;; [unrolled: 4-line block ×4, first 2 shown]
	v_mov_b32_dpp v13, v12 row_bcast:15 row_mask:0xf bank_mask:0xf
	v_cndmask_b32_e64 v13, v13, 0, s[4:5]
	v_add_u32_e32 v12, v12, v13
	s_nop 1
	v_mov_b32_dpp v13, v12 row_bcast:31 row_mask:0xf bank_mask:0xf
	v_cndmask_b32_e64 v13, 0, v13, s[2:3]
	v_add_u32_e32 v12, v12, v13
	s_and_saveexec_b64 s[2:3], s[6:7]
	s_cbranch_execz .LBB2613_50
; %bb.49:
	v_lshlrev_b32_e32 v13, 2, v26
	ds_write_b32 v13, v12
.LBB2613_50:
	s_or_b64 exec, exec, s[2:3]
	v_cmp_gt_u32_e32 vcc, 3, v0
	s_waitcnt lgkmcnt(0)
	s_barrier
	s_and_saveexec_b64 s[2:3], vcc
	s_cbranch_execz .LBB2613_52
; %bb.51:
	ds_read_b32 v13, v1
	v_and_b32_e32 v14, 3, v25
	v_cmp_ne_u32_e32 vcc, 0, v14
	s_waitcnt lgkmcnt(0)
	v_mov_b32_dpp v15, v13 row_shr:1 row_mask:0xf bank_mask:0xf
	v_cndmask_b32_e32 v15, 0, v15, vcc
	v_add_u32_e32 v13, v15, v13
	v_cmp_lt_u32_e32 vcc, 1, v14
	s_nop 0
	v_mov_b32_dpp v15, v13 row_shr:2 row_mask:0xf bank_mask:0xf
	v_cndmask_b32_e32 v14, 0, v15, vcc
	v_add_u32_e32 v13, v13, v14
	ds_write_b32 v1, v13
.LBB2613_52:
	s_or_b64 exec, exec, s[2:3]
	v_cmp_lt_u32_e32 vcc, 63, v0
	v_mov_b32_e32 v13, 0
	v_mov_b32_e32 v0, 0
	s_waitcnt lgkmcnt(0)
	s_barrier
	s_and_saveexec_b64 s[2:3], vcc
	s_cbranch_execz .LBB2613_54
; %bb.53:
	v_lshl_add_u32 v0, v26, 2, -4
	ds_read_b32 v0, v0
.LBB2613_54:
	s_or_b64 exec, exec, s[2:3]
	v_add_u32_e32 v14, -1, v25
	v_and_b32_e32 v15, 64, v25
	v_cmp_lt_i32_e32 vcc, v14, v15
	v_cndmask_b32_e32 v14, v14, v25, vcc
	s_waitcnt lgkmcnt(0)
	v_add_u32_e32 v12, v0, v12
	v_lshlrev_b32_e32 v14, 2, v14
	ds_bpermute_b32 v14, v14, v12
	ds_read_b32 v12, v13 offset:8
	s_and_saveexec_b64 s[2:3], s[0:1]
	s_cbranch_execz .LBB2613_56
; %bb.55:
	v_mov_b32_e32 v15, 0
	v_mov_b32_e32 v13, 2
	s_waitcnt lgkmcnt(0)
	global_store_dwordx2 v15, v[12:13], s[18:19] offset:512
.LBB2613_56:
	s_or_b64 exec, exec, s[2:3]
	v_cmp_eq_u32_e32 vcc, 0, v25
	s_waitcnt lgkmcnt(1)
	v_cndmask_b32_e32 v0, v14, v0, vcc
	v_cndmask_b32_e64 v16, v0, 0, s[0:1]
	v_add_u32_sdwa v17, v16, v22 dst_sel:DWORD dst_unused:UNUSED_PAD src0_sel:DWORD src1_sel:BYTE_0
	v_add_u32_sdwa v15, v17, v22 dst_sel:DWORD dst_unused:UNUSED_PAD src0_sel:DWORD src1_sel:BYTE_1
	v_mov_b32_e32 v13, 0
	v_add_u32_e32 v14, v15, v24
	s_waitcnt lgkmcnt(0)
	s_barrier
.LBB2613_57:
	s_waitcnt lgkmcnt(0)
	v_add_u32_e32 v1, v12, v1
	v_sub_u32_e32 v16, v16, v13
	v_and_b32_e32 v19, 1, v22
	v_sub_u32_e32 v18, v1, v16
	v_cmp_eq_u32_e32 vcc, 1, v19
	v_cndmask_b32_e32 v16, v18, v16, vcc
	v_lshlrev_b32_e32 v16, 3, v16
	v_lshrrev_b32_e32 v0, 8, v22
	ds_write_b64 v16, v[6:7]
	v_sub_u32_e32 v6, v17, v13
	v_sub_u32_e32 v7, v1, v6
	v_and_b32_e32 v0, 1, v0
	v_add_u32_e32 v7, 1, v7
	v_cmp_eq_u32_e32 vcc, 1, v0
	v_cndmask_b32_e32 v0, v7, v6, vcc
	v_lshlrev_b32_e32 v0, 3, v0
	ds_write_b64 v0, v[8:9]
	v_sub_u32_e32 v0, v15, v13
	v_mov_b32_e32 v7, 1
	v_sub_u32_e32 v6, v1, v0
	v_and_b32_sdwa v7, v7, v22 dst_sel:DWORD dst_unused:UNUSED_PAD src0_sel:DWORD src1_sel:WORD_1
	v_add_u32_e32 v6, 2, v6
	v_cmp_eq_u32_e32 vcc, 1, v7
	v_cndmask_b32_e32 v0, v6, v0, vcc
	v_lshlrev_b32_e32 v0, 3, v0
	ds_write_b64 v0, v[2:3]
	v_sub_u32_e32 v0, v14, v13
	v_sub_u32_e32 v1, v1, v0
	v_and_b32_e32 v2, 1, v23
	v_add_u32_e32 v1, 3, v1
	v_cmp_eq_u32_e32 vcc, 1, v2
	v_cndmask_b32_e32 v0, v1, v0, vcc
	v_lshlrev_b32_e32 v0, 3, v0
	s_and_b64 s[0:1], s[0:1], s[22:23]
	ds_write_b64 v0, v[4:5]
	s_waitcnt lgkmcnt(0)
	s_barrier
	s_and_saveexec_b64 s[2:3], s[0:1]
	s_cbranch_execz .LBB2613_59
; %bb.58:
	s_waitcnt vmcnt(0)
	v_add_co_u32_e32 v0, vcc, v10, v12
	v_addc_co_u32_e32 v1, vcc, 0, v11, vcc
	v_add_co_u32_e32 v0, vcc, v0, v13
	v_mov_b32_e32 v2, 0
	v_addc_co_u32_e32 v1, vcc, 0, v1, vcc
	global_store_dwordx2 v2, v[0:1], s[20:21]
.LBB2613_59:
	s_endpgm
	.section	.rodata,"a",@progbits
	.p2align	6, 0x0
	.amdhsa_kernel _ZN7rocprim17ROCPRIM_400000_NS6detail17trampoline_kernelINS0_14default_configENS1_25partition_config_selectorILNS1_17partition_subalgoE0ExNS0_10empty_typeEbEEZZNS1_14partition_implILS5_0ELb0ES3_jN6thrust23THRUST_200600_302600_NS6detail15normal_iteratorINSA_10device_ptrIxEEEEPS6_SG_NS0_5tupleIJNSA_16discard_iteratorINSA_11use_defaultEEESK_EEENSH_IJSG_SG_EEES6_PlJ7is_evenIxEEEE10hipError_tPvRmT3_T4_T5_T6_T7_T9_mT8_P12ihipStream_tbDpT10_ENKUlT_T0_E_clISt17integral_constantIbLb0EES18_IbLb1EEEEDaS14_S15_EUlS14_E_NS1_11comp_targetILNS1_3genE4ELNS1_11target_archE910ELNS1_3gpuE8ELNS1_3repE0EEENS1_30default_config_static_selectorELNS0_4arch9wavefront6targetE1EEEvT1_
		.amdhsa_group_segment_fixed_size 6344
		.amdhsa_private_segment_fixed_size 0
		.amdhsa_kernarg_size 152
		.amdhsa_user_sgpr_count 6
		.amdhsa_user_sgpr_private_segment_buffer 1
		.amdhsa_user_sgpr_dispatch_ptr 0
		.amdhsa_user_sgpr_queue_ptr 0
		.amdhsa_user_sgpr_kernarg_segment_ptr 1
		.amdhsa_user_sgpr_dispatch_id 0
		.amdhsa_user_sgpr_flat_scratch_init 0
		.amdhsa_user_sgpr_kernarg_preload_length 0
		.amdhsa_user_sgpr_kernarg_preload_offset 0
		.amdhsa_user_sgpr_private_segment_size 0
		.amdhsa_uses_dynamic_stack 0
		.amdhsa_system_sgpr_private_segment_wavefront_offset 0
		.amdhsa_system_sgpr_workgroup_id_x 1
		.amdhsa_system_sgpr_workgroup_id_y 0
		.amdhsa_system_sgpr_workgroup_id_z 0
		.amdhsa_system_sgpr_workgroup_info 0
		.amdhsa_system_vgpr_workitem_id 0
		.amdhsa_next_free_vgpr 44
		.amdhsa_next_free_sgpr 36
		.amdhsa_accum_offset 44
		.amdhsa_reserve_vcc 1
		.amdhsa_reserve_flat_scratch 0
		.amdhsa_float_round_mode_32 0
		.amdhsa_float_round_mode_16_64 0
		.amdhsa_float_denorm_mode_32 3
		.amdhsa_float_denorm_mode_16_64 3
		.amdhsa_dx10_clamp 1
		.amdhsa_ieee_mode 1
		.amdhsa_fp16_overflow 0
		.amdhsa_tg_split 0
		.amdhsa_exception_fp_ieee_invalid_op 0
		.amdhsa_exception_fp_denorm_src 0
		.amdhsa_exception_fp_ieee_div_zero 0
		.amdhsa_exception_fp_ieee_overflow 0
		.amdhsa_exception_fp_ieee_underflow 0
		.amdhsa_exception_fp_ieee_inexact 0
		.amdhsa_exception_int_div_zero 0
	.end_amdhsa_kernel
	.section	.text._ZN7rocprim17ROCPRIM_400000_NS6detail17trampoline_kernelINS0_14default_configENS1_25partition_config_selectorILNS1_17partition_subalgoE0ExNS0_10empty_typeEbEEZZNS1_14partition_implILS5_0ELb0ES3_jN6thrust23THRUST_200600_302600_NS6detail15normal_iteratorINSA_10device_ptrIxEEEEPS6_SG_NS0_5tupleIJNSA_16discard_iteratorINSA_11use_defaultEEESK_EEENSH_IJSG_SG_EEES6_PlJ7is_evenIxEEEE10hipError_tPvRmT3_T4_T5_T6_T7_T9_mT8_P12ihipStream_tbDpT10_ENKUlT_T0_E_clISt17integral_constantIbLb0EES18_IbLb1EEEEDaS14_S15_EUlS14_E_NS1_11comp_targetILNS1_3genE4ELNS1_11target_archE910ELNS1_3gpuE8ELNS1_3repE0EEENS1_30default_config_static_selectorELNS0_4arch9wavefront6targetE1EEEvT1_,"axG",@progbits,_ZN7rocprim17ROCPRIM_400000_NS6detail17trampoline_kernelINS0_14default_configENS1_25partition_config_selectorILNS1_17partition_subalgoE0ExNS0_10empty_typeEbEEZZNS1_14partition_implILS5_0ELb0ES3_jN6thrust23THRUST_200600_302600_NS6detail15normal_iteratorINSA_10device_ptrIxEEEEPS6_SG_NS0_5tupleIJNSA_16discard_iteratorINSA_11use_defaultEEESK_EEENSH_IJSG_SG_EEES6_PlJ7is_evenIxEEEE10hipError_tPvRmT3_T4_T5_T6_T7_T9_mT8_P12ihipStream_tbDpT10_ENKUlT_T0_E_clISt17integral_constantIbLb0EES18_IbLb1EEEEDaS14_S15_EUlS14_E_NS1_11comp_targetILNS1_3genE4ELNS1_11target_archE910ELNS1_3gpuE8ELNS1_3repE0EEENS1_30default_config_static_selectorELNS0_4arch9wavefront6targetE1EEEvT1_,comdat
.Lfunc_end2613:
	.size	_ZN7rocprim17ROCPRIM_400000_NS6detail17trampoline_kernelINS0_14default_configENS1_25partition_config_selectorILNS1_17partition_subalgoE0ExNS0_10empty_typeEbEEZZNS1_14partition_implILS5_0ELb0ES3_jN6thrust23THRUST_200600_302600_NS6detail15normal_iteratorINSA_10device_ptrIxEEEEPS6_SG_NS0_5tupleIJNSA_16discard_iteratorINSA_11use_defaultEEESK_EEENSH_IJSG_SG_EEES6_PlJ7is_evenIxEEEE10hipError_tPvRmT3_T4_T5_T6_T7_T9_mT8_P12ihipStream_tbDpT10_ENKUlT_T0_E_clISt17integral_constantIbLb0EES18_IbLb1EEEEDaS14_S15_EUlS14_E_NS1_11comp_targetILNS1_3genE4ELNS1_11target_archE910ELNS1_3gpuE8ELNS1_3repE0EEENS1_30default_config_static_selectorELNS0_4arch9wavefront6targetE1EEEvT1_, .Lfunc_end2613-_ZN7rocprim17ROCPRIM_400000_NS6detail17trampoline_kernelINS0_14default_configENS1_25partition_config_selectorILNS1_17partition_subalgoE0ExNS0_10empty_typeEbEEZZNS1_14partition_implILS5_0ELb0ES3_jN6thrust23THRUST_200600_302600_NS6detail15normal_iteratorINSA_10device_ptrIxEEEEPS6_SG_NS0_5tupleIJNSA_16discard_iteratorINSA_11use_defaultEEESK_EEENSH_IJSG_SG_EEES6_PlJ7is_evenIxEEEE10hipError_tPvRmT3_T4_T5_T6_T7_T9_mT8_P12ihipStream_tbDpT10_ENKUlT_T0_E_clISt17integral_constantIbLb0EES18_IbLb1EEEEDaS14_S15_EUlS14_E_NS1_11comp_targetILNS1_3genE4ELNS1_11target_archE910ELNS1_3gpuE8ELNS1_3repE0EEENS1_30default_config_static_selectorELNS0_4arch9wavefront6targetE1EEEvT1_
                                        ; -- End function
	.section	.AMDGPU.csdata,"",@progbits
; Kernel info:
; codeLenInByte = 3168
; NumSgprs: 40
; NumVgprs: 44
; NumAgprs: 0
; TotalNumVgprs: 44
; ScratchSize: 0
; MemoryBound: 0
; FloatMode: 240
; IeeeMode: 1
; LDSByteSize: 6344 bytes/workgroup (compile time only)
; SGPRBlocks: 4
; VGPRBlocks: 5
; NumSGPRsForWavesPerEU: 40
; NumVGPRsForWavesPerEU: 44
; AccumOffset: 44
; Occupancy: 8
; WaveLimiterHint : 1
; COMPUTE_PGM_RSRC2:SCRATCH_EN: 0
; COMPUTE_PGM_RSRC2:USER_SGPR: 6
; COMPUTE_PGM_RSRC2:TRAP_HANDLER: 0
; COMPUTE_PGM_RSRC2:TGID_X_EN: 1
; COMPUTE_PGM_RSRC2:TGID_Y_EN: 0
; COMPUTE_PGM_RSRC2:TGID_Z_EN: 0
; COMPUTE_PGM_RSRC2:TIDIG_COMP_CNT: 0
; COMPUTE_PGM_RSRC3_GFX90A:ACCUM_OFFSET: 10
; COMPUTE_PGM_RSRC3_GFX90A:TG_SPLIT: 0
	.section	.text._ZN7rocprim17ROCPRIM_400000_NS6detail17trampoline_kernelINS0_14default_configENS1_25partition_config_selectorILNS1_17partition_subalgoE0ExNS0_10empty_typeEbEEZZNS1_14partition_implILS5_0ELb0ES3_jN6thrust23THRUST_200600_302600_NS6detail15normal_iteratorINSA_10device_ptrIxEEEEPS6_SG_NS0_5tupleIJNSA_16discard_iteratorINSA_11use_defaultEEESK_EEENSH_IJSG_SG_EEES6_PlJ7is_evenIxEEEE10hipError_tPvRmT3_T4_T5_T6_T7_T9_mT8_P12ihipStream_tbDpT10_ENKUlT_T0_E_clISt17integral_constantIbLb0EES18_IbLb1EEEEDaS14_S15_EUlS14_E_NS1_11comp_targetILNS1_3genE3ELNS1_11target_archE908ELNS1_3gpuE7ELNS1_3repE0EEENS1_30default_config_static_selectorELNS0_4arch9wavefront6targetE1EEEvT1_,"axG",@progbits,_ZN7rocprim17ROCPRIM_400000_NS6detail17trampoline_kernelINS0_14default_configENS1_25partition_config_selectorILNS1_17partition_subalgoE0ExNS0_10empty_typeEbEEZZNS1_14partition_implILS5_0ELb0ES3_jN6thrust23THRUST_200600_302600_NS6detail15normal_iteratorINSA_10device_ptrIxEEEEPS6_SG_NS0_5tupleIJNSA_16discard_iteratorINSA_11use_defaultEEESK_EEENSH_IJSG_SG_EEES6_PlJ7is_evenIxEEEE10hipError_tPvRmT3_T4_T5_T6_T7_T9_mT8_P12ihipStream_tbDpT10_ENKUlT_T0_E_clISt17integral_constantIbLb0EES18_IbLb1EEEEDaS14_S15_EUlS14_E_NS1_11comp_targetILNS1_3genE3ELNS1_11target_archE908ELNS1_3gpuE7ELNS1_3repE0EEENS1_30default_config_static_selectorELNS0_4arch9wavefront6targetE1EEEvT1_,comdat
	.protected	_ZN7rocprim17ROCPRIM_400000_NS6detail17trampoline_kernelINS0_14default_configENS1_25partition_config_selectorILNS1_17partition_subalgoE0ExNS0_10empty_typeEbEEZZNS1_14partition_implILS5_0ELb0ES3_jN6thrust23THRUST_200600_302600_NS6detail15normal_iteratorINSA_10device_ptrIxEEEEPS6_SG_NS0_5tupleIJNSA_16discard_iteratorINSA_11use_defaultEEESK_EEENSH_IJSG_SG_EEES6_PlJ7is_evenIxEEEE10hipError_tPvRmT3_T4_T5_T6_T7_T9_mT8_P12ihipStream_tbDpT10_ENKUlT_T0_E_clISt17integral_constantIbLb0EES18_IbLb1EEEEDaS14_S15_EUlS14_E_NS1_11comp_targetILNS1_3genE3ELNS1_11target_archE908ELNS1_3gpuE7ELNS1_3repE0EEENS1_30default_config_static_selectorELNS0_4arch9wavefront6targetE1EEEvT1_ ; -- Begin function _ZN7rocprim17ROCPRIM_400000_NS6detail17trampoline_kernelINS0_14default_configENS1_25partition_config_selectorILNS1_17partition_subalgoE0ExNS0_10empty_typeEbEEZZNS1_14partition_implILS5_0ELb0ES3_jN6thrust23THRUST_200600_302600_NS6detail15normal_iteratorINSA_10device_ptrIxEEEEPS6_SG_NS0_5tupleIJNSA_16discard_iteratorINSA_11use_defaultEEESK_EEENSH_IJSG_SG_EEES6_PlJ7is_evenIxEEEE10hipError_tPvRmT3_T4_T5_T6_T7_T9_mT8_P12ihipStream_tbDpT10_ENKUlT_T0_E_clISt17integral_constantIbLb0EES18_IbLb1EEEEDaS14_S15_EUlS14_E_NS1_11comp_targetILNS1_3genE3ELNS1_11target_archE908ELNS1_3gpuE7ELNS1_3repE0EEENS1_30default_config_static_selectorELNS0_4arch9wavefront6targetE1EEEvT1_
	.globl	_ZN7rocprim17ROCPRIM_400000_NS6detail17trampoline_kernelINS0_14default_configENS1_25partition_config_selectorILNS1_17partition_subalgoE0ExNS0_10empty_typeEbEEZZNS1_14partition_implILS5_0ELb0ES3_jN6thrust23THRUST_200600_302600_NS6detail15normal_iteratorINSA_10device_ptrIxEEEEPS6_SG_NS0_5tupleIJNSA_16discard_iteratorINSA_11use_defaultEEESK_EEENSH_IJSG_SG_EEES6_PlJ7is_evenIxEEEE10hipError_tPvRmT3_T4_T5_T6_T7_T9_mT8_P12ihipStream_tbDpT10_ENKUlT_T0_E_clISt17integral_constantIbLb0EES18_IbLb1EEEEDaS14_S15_EUlS14_E_NS1_11comp_targetILNS1_3genE3ELNS1_11target_archE908ELNS1_3gpuE7ELNS1_3repE0EEENS1_30default_config_static_selectorELNS0_4arch9wavefront6targetE1EEEvT1_
	.p2align	8
	.type	_ZN7rocprim17ROCPRIM_400000_NS6detail17trampoline_kernelINS0_14default_configENS1_25partition_config_selectorILNS1_17partition_subalgoE0ExNS0_10empty_typeEbEEZZNS1_14partition_implILS5_0ELb0ES3_jN6thrust23THRUST_200600_302600_NS6detail15normal_iteratorINSA_10device_ptrIxEEEEPS6_SG_NS0_5tupleIJNSA_16discard_iteratorINSA_11use_defaultEEESK_EEENSH_IJSG_SG_EEES6_PlJ7is_evenIxEEEE10hipError_tPvRmT3_T4_T5_T6_T7_T9_mT8_P12ihipStream_tbDpT10_ENKUlT_T0_E_clISt17integral_constantIbLb0EES18_IbLb1EEEEDaS14_S15_EUlS14_E_NS1_11comp_targetILNS1_3genE3ELNS1_11target_archE908ELNS1_3gpuE7ELNS1_3repE0EEENS1_30default_config_static_selectorELNS0_4arch9wavefront6targetE1EEEvT1_,@function
_ZN7rocprim17ROCPRIM_400000_NS6detail17trampoline_kernelINS0_14default_configENS1_25partition_config_selectorILNS1_17partition_subalgoE0ExNS0_10empty_typeEbEEZZNS1_14partition_implILS5_0ELb0ES3_jN6thrust23THRUST_200600_302600_NS6detail15normal_iteratorINSA_10device_ptrIxEEEEPS6_SG_NS0_5tupleIJNSA_16discard_iteratorINSA_11use_defaultEEESK_EEENSH_IJSG_SG_EEES6_PlJ7is_evenIxEEEE10hipError_tPvRmT3_T4_T5_T6_T7_T9_mT8_P12ihipStream_tbDpT10_ENKUlT_T0_E_clISt17integral_constantIbLb0EES18_IbLb1EEEEDaS14_S15_EUlS14_E_NS1_11comp_targetILNS1_3genE3ELNS1_11target_archE908ELNS1_3gpuE7ELNS1_3repE0EEENS1_30default_config_static_selectorELNS0_4arch9wavefront6targetE1EEEvT1_: ; @_ZN7rocprim17ROCPRIM_400000_NS6detail17trampoline_kernelINS0_14default_configENS1_25partition_config_selectorILNS1_17partition_subalgoE0ExNS0_10empty_typeEbEEZZNS1_14partition_implILS5_0ELb0ES3_jN6thrust23THRUST_200600_302600_NS6detail15normal_iteratorINSA_10device_ptrIxEEEEPS6_SG_NS0_5tupleIJNSA_16discard_iteratorINSA_11use_defaultEEESK_EEENSH_IJSG_SG_EEES6_PlJ7is_evenIxEEEE10hipError_tPvRmT3_T4_T5_T6_T7_T9_mT8_P12ihipStream_tbDpT10_ENKUlT_T0_E_clISt17integral_constantIbLb0EES18_IbLb1EEEEDaS14_S15_EUlS14_E_NS1_11comp_targetILNS1_3genE3ELNS1_11target_archE908ELNS1_3gpuE7ELNS1_3repE0EEENS1_30default_config_static_selectorELNS0_4arch9wavefront6targetE1EEEvT1_
; %bb.0:
	.section	.rodata,"a",@progbits
	.p2align	6, 0x0
	.amdhsa_kernel _ZN7rocprim17ROCPRIM_400000_NS6detail17trampoline_kernelINS0_14default_configENS1_25partition_config_selectorILNS1_17partition_subalgoE0ExNS0_10empty_typeEbEEZZNS1_14partition_implILS5_0ELb0ES3_jN6thrust23THRUST_200600_302600_NS6detail15normal_iteratorINSA_10device_ptrIxEEEEPS6_SG_NS0_5tupleIJNSA_16discard_iteratorINSA_11use_defaultEEESK_EEENSH_IJSG_SG_EEES6_PlJ7is_evenIxEEEE10hipError_tPvRmT3_T4_T5_T6_T7_T9_mT8_P12ihipStream_tbDpT10_ENKUlT_T0_E_clISt17integral_constantIbLb0EES18_IbLb1EEEEDaS14_S15_EUlS14_E_NS1_11comp_targetILNS1_3genE3ELNS1_11target_archE908ELNS1_3gpuE7ELNS1_3repE0EEENS1_30default_config_static_selectorELNS0_4arch9wavefront6targetE1EEEvT1_
		.amdhsa_group_segment_fixed_size 0
		.amdhsa_private_segment_fixed_size 0
		.amdhsa_kernarg_size 152
		.amdhsa_user_sgpr_count 6
		.amdhsa_user_sgpr_private_segment_buffer 1
		.amdhsa_user_sgpr_dispatch_ptr 0
		.amdhsa_user_sgpr_queue_ptr 0
		.amdhsa_user_sgpr_kernarg_segment_ptr 1
		.amdhsa_user_sgpr_dispatch_id 0
		.amdhsa_user_sgpr_flat_scratch_init 0
		.amdhsa_user_sgpr_kernarg_preload_length 0
		.amdhsa_user_sgpr_kernarg_preload_offset 0
		.amdhsa_user_sgpr_private_segment_size 0
		.amdhsa_uses_dynamic_stack 0
		.amdhsa_system_sgpr_private_segment_wavefront_offset 0
		.amdhsa_system_sgpr_workgroup_id_x 1
		.amdhsa_system_sgpr_workgroup_id_y 0
		.amdhsa_system_sgpr_workgroup_id_z 0
		.amdhsa_system_sgpr_workgroup_info 0
		.amdhsa_system_vgpr_workitem_id 0
		.amdhsa_next_free_vgpr 1
		.amdhsa_next_free_sgpr 0
		.amdhsa_accum_offset 4
		.amdhsa_reserve_vcc 0
		.amdhsa_reserve_flat_scratch 0
		.amdhsa_float_round_mode_32 0
		.amdhsa_float_round_mode_16_64 0
		.amdhsa_float_denorm_mode_32 3
		.amdhsa_float_denorm_mode_16_64 3
		.amdhsa_dx10_clamp 1
		.amdhsa_ieee_mode 1
		.amdhsa_fp16_overflow 0
		.amdhsa_tg_split 0
		.amdhsa_exception_fp_ieee_invalid_op 0
		.amdhsa_exception_fp_denorm_src 0
		.amdhsa_exception_fp_ieee_div_zero 0
		.amdhsa_exception_fp_ieee_overflow 0
		.amdhsa_exception_fp_ieee_underflow 0
		.amdhsa_exception_fp_ieee_inexact 0
		.amdhsa_exception_int_div_zero 0
	.end_amdhsa_kernel
	.section	.text._ZN7rocprim17ROCPRIM_400000_NS6detail17trampoline_kernelINS0_14default_configENS1_25partition_config_selectorILNS1_17partition_subalgoE0ExNS0_10empty_typeEbEEZZNS1_14partition_implILS5_0ELb0ES3_jN6thrust23THRUST_200600_302600_NS6detail15normal_iteratorINSA_10device_ptrIxEEEEPS6_SG_NS0_5tupleIJNSA_16discard_iteratorINSA_11use_defaultEEESK_EEENSH_IJSG_SG_EEES6_PlJ7is_evenIxEEEE10hipError_tPvRmT3_T4_T5_T6_T7_T9_mT8_P12ihipStream_tbDpT10_ENKUlT_T0_E_clISt17integral_constantIbLb0EES18_IbLb1EEEEDaS14_S15_EUlS14_E_NS1_11comp_targetILNS1_3genE3ELNS1_11target_archE908ELNS1_3gpuE7ELNS1_3repE0EEENS1_30default_config_static_selectorELNS0_4arch9wavefront6targetE1EEEvT1_,"axG",@progbits,_ZN7rocprim17ROCPRIM_400000_NS6detail17trampoline_kernelINS0_14default_configENS1_25partition_config_selectorILNS1_17partition_subalgoE0ExNS0_10empty_typeEbEEZZNS1_14partition_implILS5_0ELb0ES3_jN6thrust23THRUST_200600_302600_NS6detail15normal_iteratorINSA_10device_ptrIxEEEEPS6_SG_NS0_5tupleIJNSA_16discard_iteratorINSA_11use_defaultEEESK_EEENSH_IJSG_SG_EEES6_PlJ7is_evenIxEEEE10hipError_tPvRmT3_T4_T5_T6_T7_T9_mT8_P12ihipStream_tbDpT10_ENKUlT_T0_E_clISt17integral_constantIbLb0EES18_IbLb1EEEEDaS14_S15_EUlS14_E_NS1_11comp_targetILNS1_3genE3ELNS1_11target_archE908ELNS1_3gpuE7ELNS1_3repE0EEENS1_30default_config_static_selectorELNS0_4arch9wavefront6targetE1EEEvT1_,comdat
.Lfunc_end2614:
	.size	_ZN7rocprim17ROCPRIM_400000_NS6detail17trampoline_kernelINS0_14default_configENS1_25partition_config_selectorILNS1_17partition_subalgoE0ExNS0_10empty_typeEbEEZZNS1_14partition_implILS5_0ELb0ES3_jN6thrust23THRUST_200600_302600_NS6detail15normal_iteratorINSA_10device_ptrIxEEEEPS6_SG_NS0_5tupleIJNSA_16discard_iteratorINSA_11use_defaultEEESK_EEENSH_IJSG_SG_EEES6_PlJ7is_evenIxEEEE10hipError_tPvRmT3_T4_T5_T6_T7_T9_mT8_P12ihipStream_tbDpT10_ENKUlT_T0_E_clISt17integral_constantIbLb0EES18_IbLb1EEEEDaS14_S15_EUlS14_E_NS1_11comp_targetILNS1_3genE3ELNS1_11target_archE908ELNS1_3gpuE7ELNS1_3repE0EEENS1_30default_config_static_selectorELNS0_4arch9wavefront6targetE1EEEvT1_, .Lfunc_end2614-_ZN7rocprim17ROCPRIM_400000_NS6detail17trampoline_kernelINS0_14default_configENS1_25partition_config_selectorILNS1_17partition_subalgoE0ExNS0_10empty_typeEbEEZZNS1_14partition_implILS5_0ELb0ES3_jN6thrust23THRUST_200600_302600_NS6detail15normal_iteratorINSA_10device_ptrIxEEEEPS6_SG_NS0_5tupleIJNSA_16discard_iteratorINSA_11use_defaultEEESK_EEENSH_IJSG_SG_EEES6_PlJ7is_evenIxEEEE10hipError_tPvRmT3_T4_T5_T6_T7_T9_mT8_P12ihipStream_tbDpT10_ENKUlT_T0_E_clISt17integral_constantIbLb0EES18_IbLb1EEEEDaS14_S15_EUlS14_E_NS1_11comp_targetILNS1_3genE3ELNS1_11target_archE908ELNS1_3gpuE7ELNS1_3repE0EEENS1_30default_config_static_selectorELNS0_4arch9wavefront6targetE1EEEvT1_
                                        ; -- End function
	.section	.AMDGPU.csdata,"",@progbits
; Kernel info:
; codeLenInByte = 0
; NumSgprs: 4
; NumVgprs: 0
; NumAgprs: 0
; TotalNumVgprs: 0
; ScratchSize: 0
; MemoryBound: 0
; FloatMode: 240
; IeeeMode: 1
; LDSByteSize: 0 bytes/workgroup (compile time only)
; SGPRBlocks: 0
; VGPRBlocks: 0
; NumSGPRsForWavesPerEU: 4
; NumVGPRsForWavesPerEU: 1
; AccumOffset: 4
; Occupancy: 8
; WaveLimiterHint : 0
; COMPUTE_PGM_RSRC2:SCRATCH_EN: 0
; COMPUTE_PGM_RSRC2:USER_SGPR: 6
; COMPUTE_PGM_RSRC2:TRAP_HANDLER: 0
; COMPUTE_PGM_RSRC2:TGID_X_EN: 1
; COMPUTE_PGM_RSRC2:TGID_Y_EN: 0
; COMPUTE_PGM_RSRC2:TGID_Z_EN: 0
; COMPUTE_PGM_RSRC2:TIDIG_COMP_CNT: 0
; COMPUTE_PGM_RSRC3_GFX90A:ACCUM_OFFSET: 0
; COMPUTE_PGM_RSRC3_GFX90A:TG_SPLIT: 0
	.section	.text._ZN7rocprim17ROCPRIM_400000_NS6detail17trampoline_kernelINS0_14default_configENS1_25partition_config_selectorILNS1_17partition_subalgoE0ExNS0_10empty_typeEbEEZZNS1_14partition_implILS5_0ELb0ES3_jN6thrust23THRUST_200600_302600_NS6detail15normal_iteratorINSA_10device_ptrIxEEEEPS6_SG_NS0_5tupleIJNSA_16discard_iteratorINSA_11use_defaultEEESK_EEENSH_IJSG_SG_EEES6_PlJ7is_evenIxEEEE10hipError_tPvRmT3_T4_T5_T6_T7_T9_mT8_P12ihipStream_tbDpT10_ENKUlT_T0_E_clISt17integral_constantIbLb0EES18_IbLb1EEEEDaS14_S15_EUlS14_E_NS1_11comp_targetILNS1_3genE2ELNS1_11target_archE906ELNS1_3gpuE6ELNS1_3repE0EEENS1_30default_config_static_selectorELNS0_4arch9wavefront6targetE1EEEvT1_,"axG",@progbits,_ZN7rocprim17ROCPRIM_400000_NS6detail17trampoline_kernelINS0_14default_configENS1_25partition_config_selectorILNS1_17partition_subalgoE0ExNS0_10empty_typeEbEEZZNS1_14partition_implILS5_0ELb0ES3_jN6thrust23THRUST_200600_302600_NS6detail15normal_iteratorINSA_10device_ptrIxEEEEPS6_SG_NS0_5tupleIJNSA_16discard_iteratorINSA_11use_defaultEEESK_EEENSH_IJSG_SG_EEES6_PlJ7is_evenIxEEEE10hipError_tPvRmT3_T4_T5_T6_T7_T9_mT8_P12ihipStream_tbDpT10_ENKUlT_T0_E_clISt17integral_constantIbLb0EES18_IbLb1EEEEDaS14_S15_EUlS14_E_NS1_11comp_targetILNS1_3genE2ELNS1_11target_archE906ELNS1_3gpuE6ELNS1_3repE0EEENS1_30default_config_static_selectorELNS0_4arch9wavefront6targetE1EEEvT1_,comdat
	.protected	_ZN7rocprim17ROCPRIM_400000_NS6detail17trampoline_kernelINS0_14default_configENS1_25partition_config_selectorILNS1_17partition_subalgoE0ExNS0_10empty_typeEbEEZZNS1_14partition_implILS5_0ELb0ES3_jN6thrust23THRUST_200600_302600_NS6detail15normal_iteratorINSA_10device_ptrIxEEEEPS6_SG_NS0_5tupleIJNSA_16discard_iteratorINSA_11use_defaultEEESK_EEENSH_IJSG_SG_EEES6_PlJ7is_evenIxEEEE10hipError_tPvRmT3_T4_T5_T6_T7_T9_mT8_P12ihipStream_tbDpT10_ENKUlT_T0_E_clISt17integral_constantIbLb0EES18_IbLb1EEEEDaS14_S15_EUlS14_E_NS1_11comp_targetILNS1_3genE2ELNS1_11target_archE906ELNS1_3gpuE6ELNS1_3repE0EEENS1_30default_config_static_selectorELNS0_4arch9wavefront6targetE1EEEvT1_ ; -- Begin function _ZN7rocprim17ROCPRIM_400000_NS6detail17trampoline_kernelINS0_14default_configENS1_25partition_config_selectorILNS1_17partition_subalgoE0ExNS0_10empty_typeEbEEZZNS1_14partition_implILS5_0ELb0ES3_jN6thrust23THRUST_200600_302600_NS6detail15normal_iteratorINSA_10device_ptrIxEEEEPS6_SG_NS0_5tupleIJNSA_16discard_iteratorINSA_11use_defaultEEESK_EEENSH_IJSG_SG_EEES6_PlJ7is_evenIxEEEE10hipError_tPvRmT3_T4_T5_T6_T7_T9_mT8_P12ihipStream_tbDpT10_ENKUlT_T0_E_clISt17integral_constantIbLb0EES18_IbLb1EEEEDaS14_S15_EUlS14_E_NS1_11comp_targetILNS1_3genE2ELNS1_11target_archE906ELNS1_3gpuE6ELNS1_3repE0EEENS1_30default_config_static_selectorELNS0_4arch9wavefront6targetE1EEEvT1_
	.globl	_ZN7rocprim17ROCPRIM_400000_NS6detail17trampoline_kernelINS0_14default_configENS1_25partition_config_selectorILNS1_17partition_subalgoE0ExNS0_10empty_typeEbEEZZNS1_14partition_implILS5_0ELb0ES3_jN6thrust23THRUST_200600_302600_NS6detail15normal_iteratorINSA_10device_ptrIxEEEEPS6_SG_NS0_5tupleIJNSA_16discard_iteratorINSA_11use_defaultEEESK_EEENSH_IJSG_SG_EEES6_PlJ7is_evenIxEEEE10hipError_tPvRmT3_T4_T5_T6_T7_T9_mT8_P12ihipStream_tbDpT10_ENKUlT_T0_E_clISt17integral_constantIbLb0EES18_IbLb1EEEEDaS14_S15_EUlS14_E_NS1_11comp_targetILNS1_3genE2ELNS1_11target_archE906ELNS1_3gpuE6ELNS1_3repE0EEENS1_30default_config_static_selectorELNS0_4arch9wavefront6targetE1EEEvT1_
	.p2align	8
	.type	_ZN7rocprim17ROCPRIM_400000_NS6detail17trampoline_kernelINS0_14default_configENS1_25partition_config_selectorILNS1_17partition_subalgoE0ExNS0_10empty_typeEbEEZZNS1_14partition_implILS5_0ELb0ES3_jN6thrust23THRUST_200600_302600_NS6detail15normal_iteratorINSA_10device_ptrIxEEEEPS6_SG_NS0_5tupleIJNSA_16discard_iteratorINSA_11use_defaultEEESK_EEENSH_IJSG_SG_EEES6_PlJ7is_evenIxEEEE10hipError_tPvRmT3_T4_T5_T6_T7_T9_mT8_P12ihipStream_tbDpT10_ENKUlT_T0_E_clISt17integral_constantIbLb0EES18_IbLb1EEEEDaS14_S15_EUlS14_E_NS1_11comp_targetILNS1_3genE2ELNS1_11target_archE906ELNS1_3gpuE6ELNS1_3repE0EEENS1_30default_config_static_selectorELNS0_4arch9wavefront6targetE1EEEvT1_,@function
_ZN7rocprim17ROCPRIM_400000_NS6detail17trampoline_kernelINS0_14default_configENS1_25partition_config_selectorILNS1_17partition_subalgoE0ExNS0_10empty_typeEbEEZZNS1_14partition_implILS5_0ELb0ES3_jN6thrust23THRUST_200600_302600_NS6detail15normal_iteratorINSA_10device_ptrIxEEEEPS6_SG_NS0_5tupleIJNSA_16discard_iteratorINSA_11use_defaultEEESK_EEENSH_IJSG_SG_EEES6_PlJ7is_evenIxEEEE10hipError_tPvRmT3_T4_T5_T6_T7_T9_mT8_P12ihipStream_tbDpT10_ENKUlT_T0_E_clISt17integral_constantIbLb0EES18_IbLb1EEEEDaS14_S15_EUlS14_E_NS1_11comp_targetILNS1_3genE2ELNS1_11target_archE906ELNS1_3gpuE6ELNS1_3repE0EEENS1_30default_config_static_selectorELNS0_4arch9wavefront6targetE1EEEvT1_: ; @_ZN7rocprim17ROCPRIM_400000_NS6detail17trampoline_kernelINS0_14default_configENS1_25partition_config_selectorILNS1_17partition_subalgoE0ExNS0_10empty_typeEbEEZZNS1_14partition_implILS5_0ELb0ES3_jN6thrust23THRUST_200600_302600_NS6detail15normal_iteratorINSA_10device_ptrIxEEEEPS6_SG_NS0_5tupleIJNSA_16discard_iteratorINSA_11use_defaultEEESK_EEENSH_IJSG_SG_EEES6_PlJ7is_evenIxEEEE10hipError_tPvRmT3_T4_T5_T6_T7_T9_mT8_P12ihipStream_tbDpT10_ENKUlT_T0_E_clISt17integral_constantIbLb0EES18_IbLb1EEEEDaS14_S15_EUlS14_E_NS1_11comp_targetILNS1_3genE2ELNS1_11target_archE906ELNS1_3gpuE6ELNS1_3repE0EEENS1_30default_config_static_selectorELNS0_4arch9wavefront6targetE1EEEvT1_
; %bb.0:
	.section	.rodata,"a",@progbits
	.p2align	6, 0x0
	.amdhsa_kernel _ZN7rocprim17ROCPRIM_400000_NS6detail17trampoline_kernelINS0_14default_configENS1_25partition_config_selectorILNS1_17partition_subalgoE0ExNS0_10empty_typeEbEEZZNS1_14partition_implILS5_0ELb0ES3_jN6thrust23THRUST_200600_302600_NS6detail15normal_iteratorINSA_10device_ptrIxEEEEPS6_SG_NS0_5tupleIJNSA_16discard_iteratorINSA_11use_defaultEEESK_EEENSH_IJSG_SG_EEES6_PlJ7is_evenIxEEEE10hipError_tPvRmT3_T4_T5_T6_T7_T9_mT8_P12ihipStream_tbDpT10_ENKUlT_T0_E_clISt17integral_constantIbLb0EES18_IbLb1EEEEDaS14_S15_EUlS14_E_NS1_11comp_targetILNS1_3genE2ELNS1_11target_archE906ELNS1_3gpuE6ELNS1_3repE0EEENS1_30default_config_static_selectorELNS0_4arch9wavefront6targetE1EEEvT1_
		.amdhsa_group_segment_fixed_size 0
		.amdhsa_private_segment_fixed_size 0
		.amdhsa_kernarg_size 152
		.amdhsa_user_sgpr_count 6
		.amdhsa_user_sgpr_private_segment_buffer 1
		.amdhsa_user_sgpr_dispatch_ptr 0
		.amdhsa_user_sgpr_queue_ptr 0
		.amdhsa_user_sgpr_kernarg_segment_ptr 1
		.amdhsa_user_sgpr_dispatch_id 0
		.amdhsa_user_sgpr_flat_scratch_init 0
		.amdhsa_user_sgpr_kernarg_preload_length 0
		.amdhsa_user_sgpr_kernarg_preload_offset 0
		.amdhsa_user_sgpr_private_segment_size 0
		.amdhsa_uses_dynamic_stack 0
		.amdhsa_system_sgpr_private_segment_wavefront_offset 0
		.amdhsa_system_sgpr_workgroup_id_x 1
		.amdhsa_system_sgpr_workgroup_id_y 0
		.amdhsa_system_sgpr_workgroup_id_z 0
		.amdhsa_system_sgpr_workgroup_info 0
		.amdhsa_system_vgpr_workitem_id 0
		.amdhsa_next_free_vgpr 1
		.amdhsa_next_free_sgpr 0
		.amdhsa_accum_offset 4
		.amdhsa_reserve_vcc 0
		.amdhsa_reserve_flat_scratch 0
		.amdhsa_float_round_mode_32 0
		.amdhsa_float_round_mode_16_64 0
		.amdhsa_float_denorm_mode_32 3
		.amdhsa_float_denorm_mode_16_64 3
		.amdhsa_dx10_clamp 1
		.amdhsa_ieee_mode 1
		.amdhsa_fp16_overflow 0
		.amdhsa_tg_split 0
		.amdhsa_exception_fp_ieee_invalid_op 0
		.amdhsa_exception_fp_denorm_src 0
		.amdhsa_exception_fp_ieee_div_zero 0
		.amdhsa_exception_fp_ieee_overflow 0
		.amdhsa_exception_fp_ieee_underflow 0
		.amdhsa_exception_fp_ieee_inexact 0
		.amdhsa_exception_int_div_zero 0
	.end_amdhsa_kernel
	.section	.text._ZN7rocprim17ROCPRIM_400000_NS6detail17trampoline_kernelINS0_14default_configENS1_25partition_config_selectorILNS1_17partition_subalgoE0ExNS0_10empty_typeEbEEZZNS1_14partition_implILS5_0ELb0ES3_jN6thrust23THRUST_200600_302600_NS6detail15normal_iteratorINSA_10device_ptrIxEEEEPS6_SG_NS0_5tupleIJNSA_16discard_iteratorINSA_11use_defaultEEESK_EEENSH_IJSG_SG_EEES6_PlJ7is_evenIxEEEE10hipError_tPvRmT3_T4_T5_T6_T7_T9_mT8_P12ihipStream_tbDpT10_ENKUlT_T0_E_clISt17integral_constantIbLb0EES18_IbLb1EEEEDaS14_S15_EUlS14_E_NS1_11comp_targetILNS1_3genE2ELNS1_11target_archE906ELNS1_3gpuE6ELNS1_3repE0EEENS1_30default_config_static_selectorELNS0_4arch9wavefront6targetE1EEEvT1_,"axG",@progbits,_ZN7rocprim17ROCPRIM_400000_NS6detail17trampoline_kernelINS0_14default_configENS1_25partition_config_selectorILNS1_17partition_subalgoE0ExNS0_10empty_typeEbEEZZNS1_14partition_implILS5_0ELb0ES3_jN6thrust23THRUST_200600_302600_NS6detail15normal_iteratorINSA_10device_ptrIxEEEEPS6_SG_NS0_5tupleIJNSA_16discard_iteratorINSA_11use_defaultEEESK_EEENSH_IJSG_SG_EEES6_PlJ7is_evenIxEEEE10hipError_tPvRmT3_T4_T5_T6_T7_T9_mT8_P12ihipStream_tbDpT10_ENKUlT_T0_E_clISt17integral_constantIbLb0EES18_IbLb1EEEEDaS14_S15_EUlS14_E_NS1_11comp_targetILNS1_3genE2ELNS1_11target_archE906ELNS1_3gpuE6ELNS1_3repE0EEENS1_30default_config_static_selectorELNS0_4arch9wavefront6targetE1EEEvT1_,comdat
.Lfunc_end2615:
	.size	_ZN7rocprim17ROCPRIM_400000_NS6detail17trampoline_kernelINS0_14default_configENS1_25partition_config_selectorILNS1_17partition_subalgoE0ExNS0_10empty_typeEbEEZZNS1_14partition_implILS5_0ELb0ES3_jN6thrust23THRUST_200600_302600_NS6detail15normal_iteratorINSA_10device_ptrIxEEEEPS6_SG_NS0_5tupleIJNSA_16discard_iteratorINSA_11use_defaultEEESK_EEENSH_IJSG_SG_EEES6_PlJ7is_evenIxEEEE10hipError_tPvRmT3_T4_T5_T6_T7_T9_mT8_P12ihipStream_tbDpT10_ENKUlT_T0_E_clISt17integral_constantIbLb0EES18_IbLb1EEEEDaS14_S15_EUlS14_E_NS1_11comp_targetILNS1_3genE2ELNS1_11target_archE906ELNS1_3gpuE6ELNS1_3repE0EEENS1_30default_config_static_selectorELNS0_4arch9wavefront6targetE1EEEvT1_, .Lfunc_end2615-_ZN7rocprim17ROCPRIM_400000_NS6detail17trampoline_kernelINS0_14default_configENS1_25partition_config_selectorILNS1_17partition_subalgoE0ExNS0_10empty_typeEbEEZZNS1_14partition_implILS5_0ELb0ES3_jN6thrust23THRUST_200600_302600_NS6detail15normal_iteratorINSA_10device_ptrIxEEEEPS6_SG_NS0_5tupleIJNSA_16discard_iteratorINSA_11use_defaultEEESK_EEENSH_IJSG_SG_EEES6_PlJ7is_evenIxEEEE10hipError_tPvRmT3_T4_T5_T6_T7_T9_mT8_P12ihipStream_tbDpT10_ENKUlT_T0_E_clISt17integral_constantIbLb0EES18_IbLb1EEEEDaS14_S15_EUlS14_E_NS1_11comp_targetILNS1_3genE2ELNS1_11target_archE906ELNS1_3gpuE6ELNS1_3repE0EEENS1_30default_config_static_selectorELNS0_4arch9wavefront6targetE1EEEvT1_
                                        ; -- End function
	.section	.AMDGPU.csdata,"",@progbits
; Kernel info:
; codeLenInByte = 0
; NumSgprs: 4
; NumVgprs: 0
; NumAgprs: 0
; TotalNumVgprs: 0
; ScratchSize: 0
; MemoryBound: 0
; FloatMode: 240
; IeeeMode: 1
; LDSByteSize: 0 bytes/workgroup (compile time only)
; SGPRBlocks: 0
; VGPRBlocks: 0
; NumSGPRsForWavesPerEU: 4
; NumVGPRsForWavesPerEU: 1
; AccumOffset: 4
; Occupancy: 8
; WaveLimiterHint : 0
; COMPUTE_PGM_RSRC2:SCRATCH_EN: 0
; COMPUTE_PGM_RSRC2:USER_SGPR: 6
; COMPUTE_PGM_RSRC2:TRAP_HANDLER: 0
; COMPUTE_PGM_RSRC2:TGID_X_EN: 1
; COMPUTE_PGM_RSRC2:TGID_Y_EN: 0
; COMPUTE_PGM_RSRC2:TGID_Z_EN: 0
; COMPUTE_PGM_RSRC2:TIDIG_COMP_CNT: 0
; COMPUTE_PGM_RSRC3_GFX90A:ACCUM_OFFSET: 0
; COMPUTE_PGM_RSRC3_GFX90A:TG_SPLIT: 0
	.section	.text._ZN7rocprim17ROCPRIM_400000_NS6detail17trampoline_kernelINS0_14default_configENS1_25partition_config_selectorILNS1_17partition_subalgoE0ExNS0_10empty_typeEbEEZZNS1_14partition_implILS5_0ELb0ES3_jN6thrust23THRUST_200600_302600_NS6detail15normal_iteratorINSA_10device_ptrIxEEEEPS6_SG_NS0_5tupleIJNSA_16discard_iteratorINSA_11use_defaultEEESK_EEENSH_IJSG_SG_EEES6_PlJ7is_evenIxEEEE10hipError_tPvRmT3_T4_T5_T6_T7_T9_mT8_P12ihipStream_tbDpT10_ENKUlT_T0_E_clISt17integral_constantIbLb0EES18_IbLb1EEEEDaS14_S15_EUlS14_E_NS1_11comp_targetILNS1_3genE10ELNS1_11target_archE1200ELNS1_3gpuE4ELNS1_3repE0EEENS1_30default_config_static_selectorELNS0_4arch9wavefront6targetE1EEEvT1_,"axG",@progbits,_ZN7rocprim17ROCPRIM_400000_NS6detail17trampoline_kernelINS0_14default_configENS1_25partition_config_selectorILNS1_17partition_subalgoE0ExNS0_10empty_typeEbEEZZNS1_14partition_implILS5_0ELb0ES3_jN6thrust23THRUST_200600_302600_NS6detail15normal_iteratorINSA_10device_ptrIxEEEEPS6_SG_NS0_5tupleIJNSA_16discard_iteratorINSA_11use_defaultEEESK_EEENSH_IJSG_SG_EEES6_PlJ7is_evenIxEEEE10hipError_tPvRmT3_T4_T5_T6_T7_T9_mT8_P12ihipStream_tbDpT10_ENKUlT_T0_E_clISt17integral_constantIbLb0EES18_IbLb1EEEEDaS14_S15_EUlS14_E_NS1_11comp_targetILNS1_3genE10ELNS1_11target_archE1200ELNS1_3gpuE4ELNS1_3repE0EEENS1_30default_config_static_selectorELNS0_4arch9wavefront6targetE1EEEvT1_,comdat
	.protected	_ZN7rocprim17ROCPRIM_400000_NS6detail17trampoline_kernelINS0_14default_configENS1_25partition_config_selectorILNS1_17partition_subalgoE0ExNS0_10empty_typeEbEEZZNS1_14partition_implILS5_0ELb0ES3_jN6thrust23THRUST_200600_302600_NS6detail15normal_iteratorINSA_10device_ptrIxEEEEPS6_SG_NS0_5tupleIJNSA_16discard_iteratorINSA_11use_defaultEEESK_EEENSH_IJSG_SG_EEES6_PlJ7is_evenIxEEEE10hipError_tPvRmT3_T4_T5_T6_T7_T9_mT8_P12ihipStream_tbDpT10_ENKUlT_T0_E_clISt17integral_constantIbLb0EES18_IbLb1EEEEDaS14_S15_EUlS14_E_NS1_11comp_targetILNS1_3genE10ELNS1_11target_archE1200ELNS1_3gpuE4ELNS1_3repE0EEENS1_30default_config_static_selectorELNS0_4arch9wavefront6targetE1EEEvT1_ ; -- Begin function _ZN7rocprim17ROCPRIM_400000_NS6detail17trampoline_kernelINS0_14default_configENS1_25partition_config_selectorILNS1_17partition_subalgoE0ExNS0_10empty_typeEbEEZZNS1_14partition_implILS5_0ELb0ES3_jN6thrust23THRUST_200600_302600_NS6detail15normal_iteratorINSA_10device_ptrIxEEEEPS6_SG_NS0_5tupleIJNSA_16discard_iteratorINSA_11use_defaultEEESK_EEENSH_IJSG_SG_EEES6_PlJ7is_evenIxEEEE10hipError_tPvRmT3_T4_T5_T6_T7_T9_mT8_P12ihipStream_tbDpT10_ENKUlT_T0_E_clISt17integral_constantIbLb0EES18_IbLb1EEEEDaS14_S15_EUlS14_E_NS1_11comp_targetILNS1_3genE10ELNS1_11target_archE1200ELNS1_3gpuE4ELNS1_3repE0EEENS1_30default_config_static_selectorELNS0_4arch9wavefront6targetE1EEEvT1_
	.globl	_ZN7rocprim17ROCPRIM_400000_NS6detail17trampoline_kernelINS0_14default_configENS1_25partition_config_selectorILNS1_17partition_subalgoE0ExNS0_10empty_typeEbEEZZNS1_14partition_implILS5_0ELb0ES3_jN6thrust23THRUST_200600_302600_NS6detail15normal_iteratorINSA_10device_ptrIxEEEEPS6_SG_NS0_5tupleIJNSA_16discard_iteratorINSA_11use_defaultEEESK_EEENSH_IJSG_SG_EEES6_PlJ7is_evenIxEEEE10hipError_tPvRmT3_T4_T5_T6_T7_T9_mT8_P12ihipStream_tbDpT10_ENKUlT_T0_E_clISt17integral_constantIbLb0EES18_IbLb1EEEEDaS14_S15_EUlS14_E_NS1_11comp_targetILNS1_3genE10ELNS1_11target_archE1200ELNS1_3gpuE4ELNS1_3repE0EEENS1_30default_config_static_selectorELNS0_4arch9wavefront6targetE1EEEvT1_
	.p2align	8
	.type	_ZN7rocprim17ROCPRIM_400000_NS6detail17trampoline_kernelINS0_14default_configENS1_25partition_config_selectorILNS1_17partition_subalgoE0ExNS0_10empty_typeEbEEZZNS1_14partition_implILS5_0ELb0ES3_jN6thrust23THRUST_200600_302600_NS6detail15normal_iteratorINSA_10device_ptrIxEEEEPS6_SG_NS0_5tupleIJNSA_16discard_iteratorINSA_11use_defaultEEESK_EEENSH_IJSG_SG_EEES6_PlJ7is_evenIxEEEE10hipError_tPvRmT3_T4_T5_T6_T7_T9_mT8_P12ihipStream_tbDpT10_ENKUlT_T0_E_clISt17integral_constantIbLb0EES18_IbLb1EEEEDaS14_S15_EUlS14_E_NS1_11comp_targetILNS1_3genE10ELNS1_11target_archE1200ELNS1_3gpuE4ELNS1_3repE0EEENS1_30default_config_static_selectorELNS0_4arch9wavefront6targetE1EEEvT1_,@function
_ZN7rocprim17ROCPRIM_400000_NS6detail17trampoline_kernelINS0_14default_configENS1_25partition_config_selectorILNS1_17partition_subalgoE0ExNS0_10empty_typeEbEEZZNS1_14partition_implILS5_0ELb0ES3_jN6thrust23THRUST_200600_302600_NS6detail15normal_iteratorINSA_10device_ptrIxEEEEPS6_SG_NS0_5tupleIJNSA_16discard_iteratorINSA_11use_defaultEEESK_EEENSH_IJSG_SG_EEES6_PlJ7is_evenIxEEEE10hipError_tPvRmT3_T4_T5_T6_T7_T9_mT8_P12ihipStream_tbDpT10_ENKUlT_T0_E_clISt17integral_constantIbLb0EES18_IbLb1EEEEDaS14_S15_EUlS14_E_NS1_11comp_targetILNS1_3genE10ELNS1_11target_archE1200ELNS1_3gpuE4ELNS1_3repE0EEENS1_30default_config_static_selectorELNS0_4arch9wavefront6targetE1EEEvT1_: ; @_ZN7rocprim17ROCPRIM_400000_NS6detail17trampoline_kernelINS0_14default_configENS1_25partition_config_selectorILNS1_17partition_subalgoE0ExNS0_10empty_typeEbEEZZNS1_14partition_implILS5_0ELb0ES3_jN6thrust23THRUST_200600_302600_NS6detail15normal_iteratorINSA_10device_ptrIxEEEEPS6_SG_NS0_5tupleIJNSA_16discard_iteratorINSA_11use_defaultEEESK_EEENSH_IJSG_SG_EEES6_PlJ7is_evenIxEEEE10hipError_tPvRmT3_T4_T5_T6_T7_T9_mT8_P12ihipStream_tbDpT10_ENKUlT_T0_E_clISt17integral_constantIbLb0EES18_IbLb1EEEEDaS14_S15_EUlS14_E_NS1_11comp_targetILNS1_3genE10ELNS1_11target_archE1200ELNS1_3gpuE4ELNS1_3repE0EEENS1_30default_config_static_selectorELNS0_4arch9wavefront6targetE1EEEvT1_
; %bb.0:
	.section	.rodata,"a",@progbits
	.p2align	6, 0x0
	.amdhsa_kernel _ZN7rocprim17ROCPRIM_400000_NS6detail17trampoline_kernelINS0_14default_configENS1_25partition_config_selectorILNS1_17partition_subalgoE0ExNS0_10empty_typeEbEEZZNS1_14partition_implILS5_0ELb0ES3_jN6thrust23THRUST_200600_302600_NS6detail15normal_iteratorINSA_10device_ptrIxEEEEPS6_SG_NS0_5tupleIJNSA_16discard_iteratorINSA_11use_defaultEEESK_EEENSH_IJSG_SG_EEES6_PlJ7is_evenIxEEEE10hipError_tPvRmT3_T4_T5_T6_T7_T9_mT8_P12ihipStream_tbDpT10_ENKUlT_T0_E_clISt17integral_constantIbLb0EES18_IbLb1EEEEDaS14_S15_EUlS14_E_NS1_11comp_targetILNS1_3genE10ELNS1_11target_archE1200ELNS1_3gpuE4ELNS1_3repE0EEENS1_30default_config_static_selectorELNS0_4arch9wavefront6targetE1EEEvT1_
		.amdhsa_group_segment_fixed_size 0
		.amdhsa_private_segment_fixed_size 0
		.amdhsa_kernarg_size 152
		.amdhsa_user_sgpr_count 6
		.amdhsa_user_sgpr_private_segment_buffer 1
		.amdhsa_user_sgpr_dispatch_ptr 0
		.amdhsa_user_sgpr_queue_ptr 0
		.amdhsa_user_sgpr_kernarg_segment_ptr 1
		.amdhsa_user_sgpr_dispatch_id 0
		.amdhsa_user_sgpr_flat_scratch_init 0
		.amdhsa_user_sgpr_kernarg_preload_length 0
		.amdhsa_user_sgpr_kernarg_preload_offset 0
		.amdhsa_user_sgpr_private_segment_size 0
		.amdhsa_uses_dynamic_stack 0
		.amdhsa_system_sgpr_private_segment_wavefront_offset 0
		.amdhsa_system_sgpr_workgroup_id_x 1
		.amdhsa_system_sgpr_workgroup_id_y 0
		.amdhsa_system_sgpr_workgroup_id_z 0
		.amdhsa_system_sgpr_workgroup_info 0
		.amdhsa_system_vgpr_workitem_id 0
		.amdhsa_next_free_vgpr 1
		.amdhsa_next_free_sgpr 0
		.amdhsa_accum_offset 4
		.amdhsa_reserve_vcc 0
		.amdhsa_reserve_flat_scratch 0
		.amdhsa_float_round_mode_32 0
		.amdhsa_float_round_mode_16_64 0
		.amdhsa_float_denorm_mode_32 3
		.amdhsa_float_denorm_mode_16_64 3
		.amdhsa_dx10_clamp 1
		.amdhsa_ieee_mode 1
		.amdhsa_fp16_overflow 0
		.amdhsa_tg_split 0
		.amdhsa_exception_fp_ieee_invalid_op 0
		.amdhsa_exception_fp_denorm_src 0
		.amdhsa_exception_fp_ieee_div_zero 0
		.amdhsa_exception_fp_ieee_overflow 0
		.amdhsa_exception_fp_ieee_underflow 0
		.amdhsa_exception_fp_ieee_inexact 0
		.amdhsa_exception_int_div_zero 0
	.end_amdhsa_kernel
	.section	.text._ZN7rocprim17ROCPRIM_400000_NS6detail17trampoline_kernelINS0_14default_configENS1_25partition_config_selectorILNS1_17partition_subalgoE0ExNS0_10empty_typeEbEEZZNS1_14partition_implILS5_0ELb0ES3_jN6thrust23THRUST_200600_302600_NS6detail15normal_iteratorINSA_10device_ptrIxEEEEPS6_SG_NS0_5tupleIJNSA_16discard_iteratorINSA_11use_defaultEEESK_EEENSH_IJSG_SG_EEES6_PlJ7is_evenIxEEEE10hipError_tPvRmT3_T4_T5_T6_T7_T9_mT8_P12ihipStream_tbDpT10_ENKUlT_T0_E_clISt17integral_constantIbLb0EES18_IbLb1EEEEDaS14_S15_EUlS14_E_NS1_11comp_targetILNS1_3genE10ELNS1_11target_archE1200ELNS1_3gpuE4ELNS1_3repE0EEENS1_30default_config_static_selectorELNS0_4arch9wavefront6targetE1EEEvT1_,"axG",@progbits,_ZN7rocprim17ROCPRIM_400000_NS6detail17trampoline_kernelINS0_14default_configENS1_25partition_config_selectorILNS1_17partition_subalgoE0ExNS0_10empty_typeEbEEZZNS1_14partition_implILS5_0ELb0ES3_jN6thrust23THRUST_200600_302600_NS6detail15normal_iteratorINSA_10device_ptrIxEEEEPS6_SG_NS0_5tupleIJNSA_16discard_iteratorINSA_11use_defaultEEESK_EEENSH_IJSG_SG_EEES6_PlJ7is_evenIxEEEE10hipError_tPvRmT3_T4_T5_T6_T7_T9_mT8_P12ihipStream_tbDpT10_ENKUlT_T0_E_clISt17integral_constantIbLb0EES18_IbLb1EEEEDaS14_S15_EUlS14_E_NS1_11comp_targetILNS1_3genE10ELNS1_11target_archE1200ELNS1_3gpuE4ELNS1_3repE0EEENS1_30default_config_static_selectorELNS0_4arch9wavefront6targetE1EEEvT1_,comdat
.Lfunc_end2616:
	.size	_ZN7rocprim17ROCPRIM_400000_NS6detail17trampoline_kernelINS0_14default_configENS1_25partition_config_selectorILNS1_17partition_subalgoE0ExNS0_10empty_typeEbEEZZNS1_14partition_implILS5_0ELb0ES3_jN6thrust23THRUST_200600_302600_NS6detail15normal_iteratorINSA_10device_ptrIxEEEEPS6_SG_NS0_5tupleIJNSA_16discard_iteratorINSA_11use_defaultEEESK_EEENSH_IJSG_SG_EEES6_PlJ7is_evenIxEEEE10hipError_tPvRmT3_T4_T5_T6_T7_T9_mT8_P12ihipStream_tbDpT10_ENKUlT_T0_E_clISt17integral_constantIbLb0EES18_IbLb1EEEEDaS14_S15_EUlS14_E_NS1_11comp_targetILNS1_3genE10ELNS1_11target_archE1200ELNS1_3gpuE4ELNS1_3repE0EEENS1_30default_config_static_selectorELNS0_4arch9wavefront6targetE1EEEvT1_, .Lfunc_end2616-_ZN7rocprim17ROCPRIM_400000_NS6detail17trampoline_kernelINS0_14default_configENS1_25partition_config_selectorILNS1_17partition_subalgoE0ExNS0_10empty_typeEbEEZZNS1_14partition_implILS5_0ELb0ES3_jN6thrust23THRUST_200600_302600_NS6detail15normal_iteratorINSA_10device_ptrIxEEEEPS6_SG_NS0_5tupleIJNSA_16discard_iteratorINSA_11use_defaultEEESK_EEENSH_IJSG_SG_EEES6_PlJ7is_evenIxEEEE10hipError_tPvRmT3_T4_T5_T6_T7_T9_mT8_P12ihipStream_tbDpT10_ENKUlT_T0_E_clISt17integral_constantIbLb0EES18_IbLb1EEEEDaS14_S15_EUlS14_E_NS1_11comp_targetILNS1_3genE10ELNS1_11target_archE1200ELNS1_3gpuE4ELNS1_3repE0EEENS1_30default_config_static_selectorELNS0_4arch9wavefront6targetE1EEEvT1_
                                        ; -- End function
	.section	.AMDGPU.csdata,"",@progbits
; Kernel info:
; codeLenInByte = 0
; NumSgprs: 4
; NumVgprs: 0
; NumAgprs: 0
; TotalNumVgprs: 0
; ScratchSize: 0
; MemoryBound: 0
; FloatMode: 240
; IeeeMode: 1
; LDSByteSize: 0 bytes/workgroup (compile time only)
; SGPRBlocks: 0
; VGPRBlocks: 0
; NumSGPRsForWavesPerEU: 4
; NumVGPRsForWavesPerEU: 1
; AccumOffset: 4
; Occupancy: 8
; WaveLimiterHint : 0
; COMPUTE_PGM_RSRC2:SCRATCH_EN: 0
; COMPUTE_PGM_RSRC2:USER_SGPR: 6
; COMPUTE_PGM_RSRC2:TRAP_HANDLER: 0
; COMPUTE_PGM_RSRC2:TGID_X_EN: 1
; COMPUTE_PGM_RSRC2:TGID_Y_EN: 0
; COMPUTE_PGM_RSRC2:TGID_Z_EN: 0
; COMPUTE_PGM_RSRC2:TIDIG_COMP_CNT: 0
; COMPUTE_PGM_RSRC3_GFX90A:ACCUM_OFFSET: 0
; COMPUTE_PGM_RSRC3_GFX90A:TG_SPLIT: 0
	.section	.text._ZN7rocprim17ROCPRIM_400000_NS6detail17trampoline_kernelINS0_14default_configENS1_25partition_config_selectorILNS1_17partition_subalgoE0ExNS0_10empty_typeEbEEZZNS1_14partition_implILS5_0ELb0ES3_jN6thrust23THRUST_200600_302600_NS6detail15normal_iteratorINSA_10device_ptrIxEEEEPS6_SG_NS0_5tupleIJNSA_16discard_iteratorINSA_11use_defaultEEESK_EEENSH_IJSG_SG_EEES6_PlJ7is_evenIxEEEE10hipError_tPvRmT3_T4_T5_T6_T7_T9_mT8_P12ihipStream_tbDpT10_ENKUlT_T0_E_clISt17integral_constantIbLb0EES18_IbLb1EEEEDaS14_S15_EUlS14_E_NS1_11comp_targetILNS1_3genE9ELNS1_11target_archE1100ELNS1_3gpuE3ELNS1_3repE0EEENS1_30default_config_static_selectorELNS0_4arch9wavefront6targetE1EEEvT1_,"axG",@progbits,_ZN7rocprim17ROCPRIM_400000_NS6detail17trampoline_kernelINS0_14default_configENS1_25partition_config_selectorILNS1_17partition_subalgoE0ExNS0_10empty_typeEbEEZZNS1_14partition_implILS5_0ELb0ES3_jN6thrust23THRUST_200600_302600_NS6detail15normal_iteratorINSA_10device_ptrIxEEEEPS6_SG_NS0_5tupleIJNSA_16discard_iteratorINSA_11use_defaultEEESK_EEENSH_IJSG_SG_EEES6_PlJ7is_evenIxEEEE10hipError_tPvRmT3_T4_T5_T6_T7_T9_mT8_P12ihipStream_tbDpT10_ENKUlT_T0_E_clISt17integral_constantIbLb0EES18_IbLb1EEEEDaS14_S15_EUlS14_E_NS1_11comp_targetILNS1_3genE9ELNS1_11target_archE1100ELNS1_3gpuE3ELNS1_3repE0EEENS1_30default_config_static_selectorELNS0_4arch9wavefront6targetE1EEEvT1_,comdat
	.protected	_ZN7rocprim17ROCPRIM_400000_NS6detail17trampoline_kernelINS0_14default_configENS1_25partition_config_selectorILNS1_17partition_subalgoE0ExNS0_10empty_typeEbEEZZNS1_14partition_implILS5_0ELb0ES3_jN6thrust23THRUST_200600_302600_NS6detail15normal_iteratorINSA_10device_ptrIxEEEEPS6_SG_NS0_5tupleIJNSA_16discard_iteratorINSA_11use_defaultEEESK_EEENSH_IJSG_SG_EEES6_PlJ7is_evenIxEEEE10hipError_tPvRmT3_T4_T5_T6_T7_T9_mT8_P12ihipStream_tbDpT10_ENKUlT_T0_E_clISt17integral_constantIbLb0EES18_IbLb1EEEEDaS14_S15_EUlS14_E_NS1_11comp_targetILNS1_3genE9ELNS1_11target_archE1100ELNS1_3gpuE3ELNS1_3repE0EEENS1_30default_config_static_selectorELNS0_4arch9wavefront6targetE1EEEvT1_ ; -- Begin function _ZN7rocprim17ROCPRIM_400000_NS6detail17trampoline_kernelINS0_14default_configENS1_25partition_config_selectorILNS1_17partition_subalgoE0ExNS0_10empty_typeEbEEZZNS1_14partition_implILS5_0ELb0ES3_jN6thrust23THRUST_200600_302600_NS6detail15normal_iteratorINSA_10device_ptrIxEEEEPS6_SG_NS0_5tupleIJNSA_16discard_iteratorINSA_11use_defaultEEESK_EEENSH_IJSG_SG_EEES6_PlJ7is_evenIxEEEE10hipError_tPvRmT3_T4_T5_T6_T7_T9_mT8_P12ihipStream_tbDpT10_ENKUlT_T0_E_clISt17integral_constantIbLb0EES18_IbLb1EEEEDaS14_S15_EUlS14_E_NS1_11comp_targetILNS1_3genE9ELNS1_11target_archE1100ELNS1_3gpuE3ELNS1_3repE0EEENS1_30default_config_static_selectorELNS0_4arch9wavefront6targetE1EEEvT1_
	.globl	_ZN7rocprim17ROCPRIM_400000_NS6detail17trampoline_kernelINS0_14default_configENS1_25partition_config_selectorILNS1_17partition_subalgoE0ExNS0_10empty_typeEbEEZZNS1_14partition_implILS5_0ELb0ES3_jN6thrust23THRUST_200600_302600_NS6detail15normal_iteratorINSA_10device_ptrIxEEEEPS6_SG_NS0_5tupleIJNSA_16discard_iteratorINSA_11use_defaultEEESK_EEENSH_IJSG_SG_EEES6_PlJ7is_evenIxEEEE10hipError_tPvRmT3_T4_T5_T6_T7_T9_mT8_P12ihipStream_tbDpT10_ENKUlT_T0_E_clISt17integral_constantIbLb0EES18_IbLb1EEEEDaS14_S15_EUlS14_E_NS1_11comp_targetILNS1_3genE9ELNS1_11target_archE1100ELNS1_3gpuE3ELNS1_3repE0EEENS1_30default_config_static_selectorELNS0_4arch9wavefront6targetE1EEEvT1_
	.p2align	8
	.type	_ZN7rocprim17ROCPRIM_400000_NS6detail17trampoline_kernelINS0_14default_configENS1_25partition_config_selectorILNS1_17partition_subalgoE0ExNS0_10empty_typeEbEEZZNS1_14partition_implILS5_0ELb0ES3_jN6thrust23THRUST_200600_302600_NS6detail15normal_iteratorINSA_10device_ptrIxEEEEPS6_SG_NS0_5tupleIJNSA_16discard_iteratorINSA_11use_defaultEEESK_EEENSH_IJSG_SG_EEES6_PlJ7is_evenIxEEEE10hipError_tPvRmT3_T4_T5_T6_T7_T9_mT8_P12ihipStream_tbDpT10_ENKUlT_T0_E_clISt17integral_constantIbLb0EES18_IbLb1EEEEDaS14_S15_EUlS14_E_NS1_11comp_targetILNS1_3genE9ELNS1_11target_archE1100ELNS1_3gpuE3ELNS1_3repE0EEENS1_30default_config_static_selectorELNS0_4arch9wavefront6targetE1EEEvT1_,@function
_ZN7rocprim17ROCPRIM_400000_NS6detail17trampoline_kernelINS0_14default_configENS1_25partition_config_selectorILNS1_17partition_subalgoE0ExNS0_10empty_typeEbEEZZNS1_14partition_implILS5_0ELb0ES3_jN6thrust23THRUST_200600_302600_NS6detail15normal_iteratorINSA_10device_ptrIxEEEEPS6_SG_NS0_5tupleIJNSA_16discard_iteratorINSA_11use_defaultEEESK_EEENSH_IJSG_SG_EEES6_PlJ7is_evenIxEEEE10hipError_tPvRmT3_T4_T5_T6_T7_T9_mT8_P12ihipStream_tbDpT10_ENKUlT_T0_E_clISt17integral_constantIbLb0EES18_IbLb1EEEEDaS14_S15_EUlS14_E_NS1_11comp_targetILNS1_3genE9ELNS1_11target_archE1100ELNS1_3gpuE3ELNS1_3repE0EEENS1_30default_config_static_selectorELNS0_4arch9wavefront6targetE1EEEvT1_: ; @_ZN7rocprim17ROCPRIM_400000_NS6detail17trampoline_kernelINS0_14default_configENS1_25partition_config_selectorILNS1_17partition_subalgoE0ExNS0_10empty_typeEbEEZZNS1_14partition_implILS5_0ELb0ES3_jN6thrust23THRUST_200600_302600_NS6detail15normal_iteratorINSA_10device_ptrIxEEEEPS6_SG_NS0_5tupleIJNSA_16discard_iteratorINSA_11use_defaultEEESK_EEENSH_IJSG_SG_EEES6_PlJ7is_evenIxEEEE10hipError_tPvRmT3_T4_T5_T6_T7_T9_mT8_P12ihipStream_tbDpT10_ENKUlT_T0_E_clISt17integral_constantIbLb0EES18_IbLb1EEEEDaS14_S15_EUlS14_E_NS1_11comp_targetILNS1_3genE9ELNS1_11target_archE1100ELNS1_3gpuE3ELNS1_3repE0EEENS1_30default_config_static_selectorELNS0_4arch9wavefront6targetE1EEEvT1_
; %bb.0:
	.section	.rodata,"a",@progbits
	.p2align	6, 0x0
	.amdhsa_kernel _ZN7rocprim17ROCPRIM_400000_NS6detail17trampoline_kernelINS0_14default_configENS1_25partition_config_selectorILNS1_17partition_subalgoE0ExNS0_10empty_typeEbEEZZNS1_14partition_implILS5_0ELb0ES3_jN6thrust23THRUST_200600_302600_NS6detail15normal_iteratorINSA_10device_ptrIxEEEEPS6_SG_NS0_5tupleIJNSA_16discard_iteratorINSA_11use_defaultEEESK_EEENSH_IJSG_SG_EEES6_PlJ7is_evenIxEEEE10hipError_tPvRmT3_T4_T5_T6_T7_T9_mT8_P12ihipStream_tbDpT10_ENKUlT_T0_E_clISt17integral_constantIbLb0EES18_IbLb1EEEEDaS14_S15_EUlS14_E_NS1_11comp_targetILNS1_3genE9ELNS1_11target_archE1100ELNS1_3gpuE3ELNS1_3repE0EEENS1_30default_config_static_selectorELNS0_4arch9wavefront6targetE1EEEvT1_
		.amdhsa_group_segment_fixed_size 0
		.amdhsa_private_segment_fixed_size 0
		.amdhsa_kernarg_size 152
		.amdhsa_user_sgpr_count 6
		.amdhsa_user_sgpr_private_segment_buffer 1
		.amdhsa_user_sgpr_dispatch_ptr 0
		.amdhsa_user_sgpr_queue_ptr 0
		.amdhsa_user_sgpr_kernarg_segment_ptr 1
		.amdhsa_user_sgpr_dispatch_id 0
		.amdhsa_user_sgpr_flat_scratch_init 0
		.amdhsa_user_sgpr_kernarg_preload_length 0
		.amdhsa_user_sgpr_kernarg_preload_offset 0
		.amdhsa_user_sgpr_private_segment_size 0
		.amdhsa_uses_dynamic_stack 0
		.amdhsa_system_sgpr_private_segment_wavefront_offset 0
		.amdhsa_system_sgpr_workgroup_id_x 1
		.amdhsa_system_sgpr_workgroup_id_y 0
		.amdhsa_system_sgpr_workgroup_id_z 0
		.amdhsa_system_sgpr_workgroup_info 0
		.amdhsa_system_vgpr_workitem_id 0
		.amdhsa_next_free_vgpr 1
		.amdhsa_next_free_sgpr 0
		.amdhsa_accum_offset 4
		.amdhsa_reserve_vcc 0
		.amdhsa_reserve_flat_scratch 0
		.amdhsa_float_round_mode_32 0
		.amdhsa_float_round_mode_16_64 0
		.amdhsa_float_denorm_mode_32 3
		.amdhsa_float_denorm_mode_16_64 3
		.amdhsa_dx10_clamp 1
		.amdhsa_ieee_mode 1
		.amdhsa_fp16_overflow 0
		.amdhsa_tg_split 0
		.amdhsa_exception_fp_ieee_invalid_op 0
		.amdhsa_exception_fp_denorm_src 0
		.amdhsa_exception_fp_ieee_div_zero 0
		.amdhsa_exception_fp_ieee_overflow 0
		.amdhsa_exception_fp_ieee_underflow 0
		.amdhsa_exception_fp_ieee_inexact 0
		.amdhsa_exception_int_div_zero 0
	.end_amdhsa_kernel
	.section	.text._ZN7rocprim17ROCPRIM_400000_NS6detail17trampoline_kernelINS0_14default_configENS1_25partition_config_selectorILNS1_17partition_subalgoE0ExNS0_10empty_typeEbEEZZNS1_14partition_implILS5_0ELb0ES3_jN6thrust23THRUST_200600_302600_NS6detail15normal_iteratorINSA_10device_ptrIxEEEEPS6_SG_NS0_5tupleIJNSA_16discard_iteratorINSA_11use_defaultEEESK_EEENSH_IJSG_SG_EEES6_PlJ7is_evenIxEEEE10hipError_tPvRmT3_T4_T5_T6_T7_T9_mT8_P12ihipStream_tbDpT10_ENKUlT_T0_E_clISt17integral_constantIbLb0EES18_IbLb1EEEEDaS14_S15_EUlS14_E_NS1_11comp_targetILNS1_3genE9ELNS1_11target_archE1100ELNS1_3gpuE3ELNS1_3repE0EEENS1_30default_config_static_selectorELNS0_4arch9wavefront6targetE1EEEvT1_,"axG",@progbits,_ZN7rocprim17ROCPRIM_400000_NS6detail17trampoline_kernelINS0_14default_configENS1_25partition_config_selectorILNS1_17partition_subalgoE0ExNS0_10empty_typeEbEEZZNS1_14partition_implILS5_0ELb0ES3_jN6thrust23THRUST_200600_302600_NS6detail15normal_iteratorINSA_10device_ptrIxEEEEPS6_SG_NS0_5tupleIJNSA_16discard_iteratorINSA_11use_defaultEEESK_EEENSH_IJSG_SG_EEES6_PlJ7is_evenIxEEEE10hipError_tPvRmT3_T4_T5_T6_T7_T9_mT8_P12ihipStream_tbDpT10_ENKUlT_T0_E_clISt17integral_constantIbLb0EES18_IbLb1EEEEDaS14_S15_EUlS14_E_NS1_11comp_targetILNS1_3genE9ELNS1_11target_archE1100ELNS1_3gpuE3ELNS1_3repE0EEENS1_30default_config_static_selectorELNS0_4arch9wavefront6targetE1EEEvT1_,comdat
.Lfunc_end2617:
	.size	_ZN7rocprim17ROCPRIM_400000_NS6detail17trampoline_kernelINS0_14default_configENS1_25partition_config_selectorILNS1_17partition_subalgoE0ExNS0_10empty_typeEbEEZZNS1_14partition_implILS5_0ELb0ES3_jN6thrust23THRUST_200600_302600_NS6detail15normal_iteratorINSA_10device_ptrIxEEEEPS6_SG_NS0_5tupleIJNSA_16discard_iteratorINSA_11use_defaultEEESK_EEENSH_IJSG_SG_EEES6_PlJ7is_evenIxEEEE10hipError_tPvRmT3_T4_T5_T6_T7_T9_mT8_P12ihipStream_tbDpT10_ENKUlT_T0_E_clISt17integral_constantIbLb0EES18_IbLb1EEEEDaS14_S15_EUlS14_E_NS1_11comp_targetILNS1_3genE9ELNS1_11target_archE1100ELNS1_3gpuE3ELNS1_3repE0EEENS1_30default_config_static_selectorELNS0_4arch9wavefront6targetE1EEEvT1_, .Lfunc_end2617-_ZN7rocprim17ROCPRIM_400000_NS6detail17trampoline_kernelINS0_14default_configENS1_25partition_config_selectorILNS1_17partition_subalgoE0ExNS0_10empty_typeEbEEZZNS1_14partition_implILS5_0ELb0ES3_jN6thrust23THRUST_200600_302600_NS6detail15normal_iteratorINSA_10device_ptrIxEEEEPS6_SG_NS0_5tupleIJNSA_16discard_iteratorINSA_11use_defaultEEESK_EEENSH_IJSG_SG_EEES6_PlJ7is_evenIxEEEE10hipError_tPvRmT3_T4_T5_T6_T7_T9_mT8_P12ihipStream_tbDpT10_ENKUlT_T0_E_clISt17integral_constantIbLb0EES18_IbLb1EEEEDaS14_S15_EUlS14_E_NS1_11comp_targetILNS1_3genE9ELNS1_11target_archE1100ELNS1_3gpuE3ELNS1_3repE0EEENS1_30default_config_static_selectorELNS0_4arch9wavefront6targetE1EEEvT1_
                                        ; -- End function
	.section	.AMDGPU.csdata,"",@progbits
; Kernel info:
; codeLenInByte = 0
; NumSgprs: 4
; NumVgprs: 0
; NumAgprs: 0
; TotalNumVgprs: 0
; ScratchSize: 0
; MemoryBound: 0
; FloatMode: 240
; IeeeMode: 1
; LDSByteSize: 0 bytes/workgroup (compile time only)
; SGPRBlocks: 0
; VGPRBlocks: 0
; NumSGPRsForWavesPerEU: 4
; NumVGPRsForWavesPerEU: 1
; AccumOffset: 4
; Occupancy: 8
; WaveLimiterHint : 0
; COMPUTE_PGM_RSRC2:SCRATCH_EN: 0
; COMPUTE_PGM_RSRC2:USER_SGPR: 6
; COMPUTE_PGM_RSRC2:TRAP_HANDLER: 0
; COMPUTE_PGM_RSRC2:TGID_X_EN: 1
; COMPUTE_PGM_RSRC2:TGID_Y_EN: 0
; COMPUTE_PGM_RSRC2:TGID_Z_EN: 0
; COMPUTE_PGM_RSRC2:TIDIG_COMP_CNT: 0
; COMPUTE_PGM_RSRC3_GFX90A:ACCUM_OFFSET: 0
; COMPUTE_PGM_RSRC3_GFX90A:TG_SPLIT: 0
	.section	.text._ZN7rocprim17ROCPRIM_400000_NS6detail17trampoline_kernelINS0_14default_configENS1_25partition_config_selectorILNS1_17partition_subalgoE0ExNS0_10empty_typeEbEEZZNS1_14partition_implILS5_0ELb0ES3_jN6thrust23THRUST_200600_302600_NS6detail15normal_iteratorINSA_10device_ptrIxEEEEPS6_SG_NS0_5tupleIJNSA_16discard_iteratorINSA_11use_defaultEEESK_EEENSH_IJSG_SG_EEES6_PlJ7is_evenIxEEEE10hipError_tPvRmT3_T4_T5_T6_T7_T9_mT8_P12ihipStream_tbDpT10_ENKUlT_T0_E_clISt17integral_constantIbLb0EES18_IbLb1EEEEDaS14_S15_EUlS14_E_NS1_11comp_targetILNS1_3genE8ELNS1_11target_archE1030ELNS1_3gpuE2ELNS1_3repE0EEENS1_30default_config_static_selectorELNS0_4arch9wavefront6targetE1EEEvT1_,"axG",@progbits,_ZN7rocprim17ROCPRIM_400000_NS6detail17trampoline_kernelINS0_14default_configENS1_25partition_config_selectorILNS1_17partition_subalgoE0ExNS0_10empty_typeEbEEZZNS1_14partition_implILS5_0ELb0ES3_jN6thrust23THRUST_200600_302600_NS6detail15normal_iteratorINSA_10device_ptrIxEEEEPS6_SG_NS0_5tupleIJNSA_16discard_iteratorINSA_11use_defaultEEESK_EEENSH_IJSG_SG_EEES6_PlJ7is_evenIxEEEE10hipError_tPvRmT3_T4_T5_T6_T7_T9_mT8_P12ihipStream_tbDpT10_ENKUlT_T0_E_clISt17integral_constantIbLb0EES18_IbLb1EEEEDaS14_S15_EUlS14_E_NS1_11comp_targetILNS1_3genE8ELNS1_11target_archE1030ELNS1_3gpuE2ELNS1_3repE0EEENS1_30default_config_static_selectorELNS0_4arch9wavefront6targetE1EEEvT1_,comdat
	.protected	_ZN7rocprim17ROCPRIM_400000_NS6detail17trampoline_kernelINS0_14default_configENS1_25partition_config_selectorILNS1_17partition_subalgoE0ExNS0_10empty_typeEbEEZZNS1_14partition_implILS5_0ELb0ES3_jN6thrust23THRUST_200600_302600_NS6detail15normal_iteratorINSA_10device_ptrIxEEEEPS6_SG_NS0_5tupleIJNSA_16discard_iteratorINSA_11use_defaultEEESK_EEENSH_IJSG_SG_EEES6_PlJ7is_evenIxEEEE10hipError_tPvRmT3_T4_T5_T6_T7_T9_mT8_P12ihipStream_tbDpT10_ENKUlT_T0_E_clISt17integral_constantIbLb0EES18_IbLb1EEEEDaS14_S15_EUlS14_E_NS1_11comp_targetILNS1_3genE8ELNS1_11target_archE1030ELNS1_3gpuE2ELNS1_3repE0EEENS1_30default_config_static_selectorELNS0_4arch9wavefront6targetE1EEEvT1_ ; -- Begin function _ZN7rocprim17ROCPRIM_400000_NS6detail17trampoline_kernelINS0_14default_configENS1_25partition_config_selectorILNS1_17partition_subalgoE0ExNS0_10empty_typeEbEEZZNS1_14partition_implILS5_0ELb0ES3_jN6thrust23THRUST_200600_302600_NS6detail15normal_iteratorINSA_10device_ptrIxEEEEPS6_SG_NS0_5tupleIJNSA_16discard_iteratorINSA_11use_defaultEEESK_EEENSH_IJSG_SG_EEES6_PlJ7is_evenIxEEEE10hipError_tPvRmT3_T4_T5_T6_T7_T9_mT8_P12ihipStream_tbDpT10_ENKUlT_T0_E_clISt17integral_constantIbLb0EES18_IbLb1EEEEDaS14_S15_EUlS14_E_NS1_11comp_targetILNS1_3genE8ELNS1_11target_archE1030ELNS1_3gpuE2ELNS1_3repE0EEENS1_30default_config_static_selectorELNS0_4arch9wavefront6targetE1EEEvT1_
	.globl	_ZN7rocprim17ROCPRIM_400000_NS6detail17trampoline_kernelINS0_14default_configENS1_25partition_config_selectorILNS1_17partition_subalgoE0ExNS0_10empty_typeEbEEZZNS1_14partition_implILS5_0ELb0ES3_jN6thrust23THRUST_200600_302600_NS6detail15normal_iteratorINSA_10device_ptrIxEEEEPS6_SG_NS0_5tupleIJNSA_16discard_iteratorINSA_11use_defaultEEESK_EEENSH_IJSG_SG_EEES6_PlJ7is_evenIxEEEE10hipError_tPvRmT3_T4_T5_T6_T7_T9_mT8_P12ihipStream_tbDpT10_ENKUlT_T0_E_clISt17integral_constantIbLb0EES18_IbLb1EEEEDaS14_S15_EUlS14_E_NS1_11comp_targetILNS1_3genE8ELNS1_11target_archE1030ELNS1_3gpuE2ELNS1_3repE0EEENS1_30default_config_static_selectorELNS0_4arch9wavefront6targetE1EEEvT1_
	.p2align	8
	.type	_ZN7rocprim17ROCPRIM_400000_NS6detail17trampoline_kernelINS0_14default_configENS1_25partition_config_selectorILNS1_17partition_subalgoE0ExNS0_10empty_typeEbEEZZNS1_14partition_implILS5_0ELb0ES3_jN6thrust23THRUST_200600_302600_NS6detail15normal_iteratorINSA_10device_ptrIxEEEEPS6_SG_NS0_5tupleIJNSA_16discard_iteratorINSA_11use_defaultEEESK_EEENSH_IJSG_SG_EEES6_PlJ7is_evenIxEEEE10hipError_tPvRmT3_T4_T5_T6_T7_T9_mT8_P12ihipStream_tbDpT10_ENKUlT_T0_E_clISt17integral_constantIbLb0EES18_IbLb1EEEEDaS14_S15_EUlS14_E_NS1_11comp_targetILNS1_3genE8ELNS1_11target_archE1030ELNS1_3gpuE2ELNS1_3repE0EEENS1_30default_config_static_selectorELNS0_4arch9wavefront6targetE1EEEvT1_,@function
_ZN7rocprim17ROCPRIM_400000_NS6detail17trampoline_kernelINS0_14default_configENS1_25partition_config_selectorILNS1_17partition_subalgoE0ExNS0_10empty_typeEbEEZZNS1_14partition_implILS5_0ELb0ES3_jN6thrust23THRUST_200600_302600_NS6detail15normal_iteratorINSA_10device_ptrIxEEEEPS6_SG_NS0_5tupleIJNSA_16discard_iteratorINSA_11use_defaultEEESK_EEENSH_IJSG_SG_EEES6_PlJ7is_evenIxEEEE10hipError_tPvRmT3_T4_T5_T6_T7_T9_mT8_P12ihipStream_tbDpT10_ENKUlT_T0_E_clISt17integral_constantIbLb0EES18_IbLb1EEEEDaS14_S15_EUlS14_E_NS1_11comp_targetILNS1_3genE8ELNS1_11target_archE1030ELNS1_3gpuE2ELNS1_3repE0EEENS1_30default_config_static_selectorELNS0_4arch9wavefront6targetE1EEEvT1_: ; @_ZN7rocprim17ROCPRIM_400000_NS6detail17trampoline_kernelINS0_14default_configENS1_25partition_config_selectorILNS1_17partition_subalgoE0ExNS0_10empty_typeEbEEZZNS1_14partition_implILS5_0ELb0ES3_jN6thrust23THRUST_200600_302600_NS6detail15normal_iteratorINSA_10device_ptrIxEEEEPS6_SG_NS0_5tupleIJNSA_16discard_iteratorINSA_11use_defaultEEESK_EEENSH_IJSG_SG_EEES6_PlJ7is_evenIxEEEE10hipError_tPvRmT3_T4_T5_T6_T7_T9_mT8_P12ihipStream_tbDpT10_ENKUlT_T0_E_clISt17integral_constantIbLb0EES18_IbLb1EEEEDaS14_S15_EUlS14_E_NS1_11comp_targetILNS1_3genE8ELNS1_11target_archE1030ELNS1_3gpuE2ELNS1_3repE0EEENS1_30default_config_static_selectorELNS0_4arch9wavefront6targetE1EEEvT1_
; %bb.0:
	.section	.rodata,"a",@progbits
	.p2align	6, 0x0
	.amdhsa_kernel _ZN7rocprim17ROCPRIM_400000_NS6detail17trampoline_kernelINS0_14default_configENS1_25partition_config_selectorILNS1_17partition_subalgoE0ExNS0_10empty_typeEbEEZZNS1_14partition_implILS5_0ELb0ES3_jN6thrust23THRUST_200600_302600_NS6detail15normal_iteratorINSA_10device_ptrIxEEEEPS6_SG_NS0_5tupleIJNSA_16discard_iteratorINSA_11use_defaultEEESK_EEENSH_IJSG_SG_EEES6_PlJ7is_evenIxEEEE10hipError_tPvRmT3_T4_T5_T6_T7_T9_mT8_P12ihipStream_tbDpT10_ENKUlT_T0_E_clISt17integral_constantIbLb0EES18_IbLb1EEEEDaS14_S15_EUlS14_E_NS1_11comp_targetILNS1_3genE8ELNS1_11target_archE1030ELNS1_3gpuE2ELNS1_3repE0EEENS1_30default_config_static_selectorELNS0_4arch9wavefront6targetE1EEEvT1_
		.amdhsa_group_segment_fixed_size 0
		.amdhsa_private_segment_fixed_size 0
		.amdhsa_kernarg_size 152
		.amdhsa_user_sgpr_count 6
		.amdhsa_user_sgpr_private_segment_buffer 1
		.amdhsa_user_sgpr_dispatch_ptr 0
		.amdhsa_user_sgpr_queue_ptr 0
		.amdhsa_user_sgpr_kernarg_segment_ptr 1
		.amdhsa_user_sgpr_dispatch_id 0
		.amdhsa_user_sgpr_flat_scratch_init 0
		.amdhsa_user_sgpr_kernarg_preload_length 0
		.amdhsa_user_sgpr_kernarg_preload_offset 0
		.amdhsa_user_sgpr_private_segment_size 0
		.amdhsa_uses_dynamic_stack 0
		.amdhsa_system_sgpr_private_segment_wavefront_offset 0
		.amdhsa_system_sgpr_workgroup_id_x 1
		.amdhsa_system_sgpr_workgroup_id_y 0
		.amdhsa_system_sgpr_workgroup_id_z 0
		.amdhsa_system_sgpr_workgroup_info 0
		.amdhsa_system_vgpr_workitem_id 0
		.amdhsa_next_free_vgpr 1
		.amdhsa_next_free_sgpr 0
		.amdhsa_accum_offset 4
		.amdhsa_reserve_vcc 0
		.amdhsa_reserve_flat_scratch 0
		.amdhsa_float_round_mode_32 0
		.amdhsa_float_round_mode_16_64 0
		.amdhsa_float_denorm_mode_32 3
		.amdhsa_float_denorm_mode_16_64 3
		.amdhsa_dx10_clamp 1
		.amdhsa_ieee_mode 1
		.amdhsa_fp16_overflow 0
		.amdhsa_tg_split 0
		.amdhsa_exception_fp_ieee_invalid_op 0
		.amdhsa_exception_fp_denorm_src 0
		.amdhsa_exception_fp_ieee_div_zero 0
		.amdhsa_exception_fp_ieee_overflow 0
		.amdhsa_exception_fp_ieee_underflow 0
		.amdhsa_exception_fp_ieee_inexact 0
		.amdhsa_exception_int_div_zero 0
	.end_amdhsa_kernel
	.section	.text._ZN7rocprim17ROCPRIM_400000_NS6detail17trampoline_kernelINS0_14default_configENS1_25partition_config_selectorILNS1_17partition_subalgoE0ExNS0_10empty_typeEbEEZZNS1_14partition_implILS5_0ELb0ES3_jN6thrust23THRUST_200600_302600_NS6detail15normal_iteratorINSA_10device_ptrIxEEEEPS6_SG_NS0_5tupleIJNSA_16discard_iteratorINSA_11use_defaultEEESK_EEENSH_IJSG_SG_EEES6_PlJ7is_evenIxEEEE10hipError_tPvRmT3_T4_T5_T6_T7_T9_mT8_P12ihipStream_tbDpT10_ENKUlT_T0_E_clISt17integral_constantIbLb0EES18_IbLb1EEEEDaS14_S15_EUlS14_E_NS1_11comp_targetILNS1_3genE8ELNS1_11target_archE1030ELNS1_3gpuE2ELNS1_3repE0EEENS1_30default_config_static_selectorELNS0_4arch9wavefront6targetE1EEEvT1_,"axG",@progbits,_ZN7rocprim17ROCPRIM_400000_NS6detail17trampoline_kernelINS0_14default_configENS1_25partition_config_selectorILNS1_17partition_subalgoE0ExNS0_10empty_typeEbEEZZNS1_14partition_implILS5_0ELb0ES3_jN6thrust23THRUST_200600_302600_NS6detail15normal_iteratorINSA_10device_ptrIxEEEEPS6_SG_NS0_5tupleIJNSA_16discard_iteratorINSA_11use_defaultEEESK_EEENSH_IJSG_SG_EEES6_PlJ7is_evenIxEEEE10hipError_tPvRmT3_T4_T5_T6_T7_T9_mT8_P12ihipStream_tbDpT10_ENKUlT_T0_E_clISt17integral_constantIbLb0EES18_IbLb1EEEEDaS14_S15_EUlS14_E_NS1_11comp_targetILNS1_3genE8ELNS1_11target_archE1030ELNS1_3gpuE2ELNS1_3repE0EEENS1_30default_config_static_selectorELNS0_4arch9wavefront6targetE1EEEvT1_,comdat
.Lfunc_end2618:
	.size	_ZN7rocprim17ROCPRIM_400000_NS6detail17trampoline_kernelINS0_14default_configENS1_25partition_config_selectorILNS1_17partition_subalgoE0ExNS0_10empty_typeEbEEZZNS1_14partition_implILS5_0ELb0ES3_jN6thrust23THRUST_200600_302600_NS6detail15normal_iteratorINSA_10device_ptrIxEEEEPS6_SG_NS0_5tupleIJNSA_16discard_iteratorINSA_11use_defaultEEESK_EEENSH_IJSG_SG_EEES6_PlJ7is_evenIxEEEE10hipError_tPvRmT3_T4_T5_T6_T7_T9_mT8_P12ihipStream_tbDpT10_ENKUlT_T0_E_clISt17integral_constantIbLb0EES18_IbLb1EEEEDaS14_S15_EUlS14_E_NS1_11comp_targetILNS1_3genE8ELNS1_11target_archE1030ELNS1_3gpuE2ELNS1_3repE0EEENS1_30default_config_static_selectorELNS0_4arch9wavefront6targetE1EEEvT1_, .Lfunc_end2618-_ZN7rocprim17ROCPRIM_400000_NS6detail17trampoline_kernelINS0_14default_configENS1_25partition_config_selectorILNS1_17partition_subalgoE0ExNS0_10empty_typeEbEEZZNS1_14partition_implILS5_0ELb0ES3_jN6thrust23THRUST_200600_302600_NS6detail15normal_iteratorINSA_10device_ptrIxEEEEPS6_SG_NS0_5tupleIJNSA_16discard_iteratorINSA_11use_defaultEEESK_EEENSH_IJSG_SG_EEES6_PlJ7is_evenIxEEEE10hipError_tPvRmT3_T4_T5_T6_T7_T9_mT8_P12ihipStream_tbDpT10_ENKUlT_T0_E_clISt17integral_constantIbLb0EES18_IbLb1EEEEDaS14_S15_EUlS14_E_NS1_11comp_targetILNS1_3genE8ELNS1_11target_archE1030ELNS1_3gpuE2ELNS1_3repE0EEENS1_30default_config_static_selectorELNS0_4arch9wavefront6targetE1EEEvT1_
                                        ; -- End function
	.section	.AMDGPU.csdata,"",@progbits
; Kernel info:
; codeLenInByte = 0
; NumSgprs: 4
; NumVgprs: 0
; NumAgprs: 0
; TotalNumVgprs: 0
; ScratchSize: 0
; MemoryBound: 0
; FloatMode: 240
; IeeeMode: 1
; LDSByteSize: 0 bytes/workgroup (compile time only)
; SGPRBlocks: 0
; VGPRBlocks: 0
; NumSGPRsForWavesPerEU: 4
; NumVGPRsForWavesPerEU: 1
; AccumOffset: 4
; Occupancy: 8
; WaveLimiterHint : 0
; COMPUTE_PGM_RSRC2:SCRATCH_EN: 0
; COMPUTE_PGM_RSRC2:USER_SGPR: 6
; COMPUTE_PGM_RSRC2:TRAP_HANDLER: 0
; COMPUTE_PGM_RSRC2:TGID_X_EN: 1
; COMPUTE_PGM_RSRC2:TGID_Y_EN: 0
; COMPUTE_PGM_RSRC2:TGID_Z_EN: 0
; COMPUTE_PGM_RSRC2:TIDIG_COMP_CNT: 0
; COMPUTE_PGM_RSRC3_GFX90A:ACCUM_OFFSET: 0
; COMPUTE_PGM_RSRC3_GFX90A:TG_SPLIT: 0
	.section	.text._ZN7rocprim17ROCPRIM_400000_NS6detail17trampoline_kernelINS0_14default_configENS1_25partition_config_selectorILNS1_17partition_subalgoE0ExNS0_10empty_typeEbEEZZNS1_14partition_implILS5_0ELb0ES3_jN6thrust23THRUST_200600_302600_NS6detail15normal_iteratorINSA_10device_ptrIxEEEEPS6_SG_NS0_5tupleIJSF_NSA_16discard_iteratorINSA_11use_defaultEEEEEENSH_IJSG_SG_EEES6_PlJ7is_evenIxEEEE10hipError_tPvRmT3_T4_T5_T6_T7_T9_mT8_P12ihipStream_tbDpT10_ENKUlT_T0_E_clISt17integral_constantIbLb0EES19_EEDaS14_S15_EUlS14_E_NS1_11comp_targetILNS1_3genE0ELNS1_11target_archE4294967295ELNS1_3gpuE0ELNS1_3repE0EEENS1_30default_config_static_selectorELNS0_4arch9wavefront6targetE1EEEvT1_,"axG",@progbits,_ZN7rocprim17ROCPRIM_400000_NS6detail17trampoline_kernelINS0_14default_configENS1_25partition_config_selectorILNS1_17partition_subalgoE0ExNS0_10empty_typeEbEEZZNS1_14partition_implILS5_0ELb0ES3_jN6thrust23THRUST_200600_302600_NS6detail15normal_iteratorINSA_10device_ptrIxEEEEPS6_SG_NS0_5tupleIJSF_NSA_16discard_iteratorINSA_11use_defaultEEEEEENSH_IJSG_SG_EEES6_PlJ7is_evenIxEEEE10hipError_tPvRmT3_T4_T5_T6_T7_T9_mT8_P12ihipStream_tbDpT10_ENKUlT_T0_E_clISt17integral_constantIbLb0EES19_EEDaS14_S15_EUlS14_E_NS1_11comp_targetILNS1_3genE0ELNS1_11target_archE4294967295ELNS1_3gpuE0ELNS1_3repE0EEENS1_30default_config_static_selectorELNS0_4arch9wavefront6targetE1EEEvT1_,comdat
	.protected	_ZN7rocprim17ROCPRIM_400000_NS6detail17trampoline_kernelINS0_14default_configENS1_25partition_config_selectorILNS1_17partition_subalgoE0ExNS0_10empty_typeEbEEZZNS1_14partition_implILS5_0ELb0ES3_jN6thrust23THRUST_200600_302600_NS6detail15normal_iteratorINSA_10device_ptrIxEEEEPS6_SG_NS0_5tupleIJSF_NSA_16discard_iteratorINSA_11use_defaultEEEEEENSH_IJSG_SG_EEES6_PlJ7is_evenIxEEEE10hipError_tPvRmT3_T4_T5_T6_T7_T9_mT8_P12ihipStream_tbDpT10_ENKUlT_T0_E_clISt17integral_constantIbLb0EES19_EEDaS14_S15_EUlS14_E_NS1_11comp_targetILNS1_3genE0ELNS1_11target_archE4294967295ELNS1_3gpuE0ELNS1_3repE0EEENS1_30default_config_static_selectorELNS0_4arch9wavefront6targetE1EEEvT1_ ; -- Begin function _ZN7rocprim17ROCPRIM_400000_NS6detail17trampoline_kernelINS0_14default_configENS1_25partition_config_selectorILNS1_17partition_subalgoE0ExNS0_10empty_typeEbEEZZNS1_14partition_implILS5_0ELb0ES3_jN6thrust23THRUST_200600_302600_NS6detail15normal_iteratorINSA_10device_ptrIxEEEEPS6_SG_NS0_5tupleIJSF_NSA_16discard_iteratorINSA_11use_defaultEEEEEENSH_IJSG_SG_EEES6_PlJ7is_evenIxEEEE10hipError_tPvRmT3_T4_T5_T6_T7_T9_mT8_P12ihipStream_tbDpT10_ENKUlT_T0_E_clISt17integral_constantIbLb0EES19_EEDaS14_S15_EUlS14_E_NS1_11comp_targetILNS1_3genE0ELNS1_11target_archE4294967295ELNS1_3gpuE0ELNS1_3repE0EEENS1_30default_config_static_selectorELNS0_4arch9wavefront6targetE1EEEvT1_
	.globl	_ZN7rocprim17ROCPRIM_400000_NS6detail17trampoline_kernelINS0_14default_configENS1_25partition_config_selectorILNS1_17partition_subalgoE0ExNS0_10empty_typeEbEEZZNS1_14partition_implILS5_0ELb0ES3_jN6thrust23THRUST_200600_302600_NS6detail15normal_iteratorINSA_10device_ptrIxEEEEPS6_SG_NS0_5tupleIJSF_NSA_16discard_iteratorINSA_11use_defaultEEEEEENSH_IJSG_SG_EEES6_PlJ7is_evenIxEEEE10hipError_tPvRmT3_T4_T5_T6_T7_T9_mT8_P12ihipStream_tbDpT10_ENKUlT_T0_E_clISt17integral_constantIbLb0EES19_EEDaS14_S15_EUlS14_E_NS1_11comp_targetILNS1_3genE0ELNS1_11target_archE4294967295ELNS1_3gpuE0ELNS1_3repE0EEENS1_30default_config_static_selectorELNS0_4arch9wavefront6targetE1EEEvT1_
	.p2align	8
	.type	_ZN7rocprim17ROCPRIM_400000_NS6detail17trampoline_kernelINS0_14default_configENS1_25partition_config_selectorILNS1_17partition_subalgoE0ExNS0_10empty_typeEbEEZZNS1_14partition_implILS5_0ELb0ES3_jN6thrust23THRUST_200600_302600_NS6detail15normal_iteratorINSA_10device_ptrIxEEEEPS6_SG_NS0_5tupleIJSF_NSA_16discard_iteratorINSA_11use_defaultEEEEEENSH_IJSG_SG_EEES6_PlJ7is_evenIxEEEE10hipError_tPvRmT3_T4_T5_T6_T7_T9_mT8_P12ihipStream_tbDpT10_ENKUlT_T0_E_clISt17integral_constantIbLb0EES19_EEDaS14_S15_EUlS14_E_NS1_11comp_targetILNS1_3genE0ELNS1_11target_archE4294967295ELNS1_3gpuE0ELNS1_3repE0EEENS1_30default_config_static_selectorELNS0_4arch9wavefront6targetE1EEEvT1_,@function
_ZN7rocprim17ROCPRIM_400000_NS6detail17trampoline_kernelINS0_14default_configENS1_25partition_config_selectorILNS1_17partition_subalgoE0ExNS0_10empty_typeEbEEZZNS1_14partition_implILS5_0ELb0ES3_jN6thrust23THRUST_200600_302600_NS6detail15normal_iteratorINSA_10device_ptrIxEEEEPS6_SG_NS0_5tupleIJSF_NSA_16discard_iteratorINSA_11use_defaultEEEEEENSH_IJSG_SG_EEES6_PlJ7is_evenIxEEEE10hipError_tPvRmT3_T4_T5_T6_T7_T9_mT8_P12ihipStream_tbDpT10_ENKUlT_T0_E_clISt17integral_constantIbLb0EES19_EEDaS14_S15_EUlS14_E_NS1_11comp_targetILNS1_3genE0ELNS1_11target_archE4294967295ELNS1_3gpuE0ELNS1_3repE0EEENS1_30default_config_static_selectorELNS0_4arch9wavefront6targetE1EEEvT1_: ; @_ZN7rocprim17ROCPRIM_400000_NS6detail17trampoline_kernelINS0_14default_configENS1_25partition_config_selectorILNS1_17partition_subalgoE0ExNS0_10empty_typeEbEEZZNS1_14partition_implILS5_0ELb0ES3_jN6thrust23THRUST_200600_302600_NS6detail15normal_iteratorINSA_10device_ptrIxEEEEPS6_SG_NS0_5tupleIJSF_NSA_16discard_iteratorINSA_11use_defaultEEEEEENSH_IJSG_SG_EEES6_PlJ7is_evenIxEEEE10hipError_tPvRmT3_T4_T5_T6_T7_T9_mT8_P12ihipStream_tbDpT10_ENKUlT_T0_E_clISt17integral_constantIbLb0EES19_EEDaS14_S15_EUlS14_E_NS1_11comp_targetILNS1_3genE0ELNS1_11target_archE4294967295ELNS1_3gpuE0ELNS1_3repE0EEENS1_30default_config_static_selectorELNS0_4arch9wavefront6targetE1EEEvT1_
; %bb.0:
	.section	.rodata,"a",@progbits
	.p2align	6, 0x0
	.amdhsa_kernel _ZN7rocprim17ROCPRIM_400000_NS6detail17trampoline_kernelINS0_14default_configENS1_25partition_config_selectorILNS1_17partition_subalgoE0ExNS0_10empty_typeEbEEZZNS1_14partition_implILS5_0ELb0ES3_jN6thrust23THRUST_200600_302600_NS6detail15normal_iteratorINSA_10device_ptrIxEEEEPS6_SG_NS0_5tupleIJSF_NSA_16discard_iteratorINSA_11use_defaultEEEEEENSH_IJSG_SG_EEES6_PlJ7is_evenIxEEEE10hipError_tPvRmT3_T4_T5_T6_T7_T9_mT8_P12ihipStream_tbDpT10_ENKUlT_T0_E_clISt17integral_constantIbLb0EES19_EEDaS14_S15_EUlS14_E_NS1_11comp_targetILNS1_3genE0ELNS1_11target_archE4294967295ELNS1_3gpuE0ELNS1_3repE0EEENS1_30default_config_static_selectorELNS0_4arch9wavefront6targetE1EEEvT1_
		.amdhsa_group_segment_fixed_size 0
		.amdhsa_private_segment_fixed_size 0
		.amdhsa_kernarg_size 128
		.amdhsa_user_sgpr_count 6
		.amdhsa_user_sgpr_private_segment_buffer 1
		.amdhsa_user_sgpr_dispatch_ptr 0
		.amdhsa_user_sgpr_queue_ptr 0
		.amdhsa_user_sgpr_kernarg_segment_ptr 1
		.amdhsa_user_sgpr_dispatch_id 0
		.amdhsa_user_sgpr_flat_scratch_init 0
		.amdhsa_user_sgpr_kernarg_preload_length 0
		.amdhsa_user_sgpr_kernarg_preload_offset 0
		.amdhsa_user_sgpr_private_segment_size 0
		.amdhsa_uses_dynamic_stack 0
		.amdhsa_system_sgpr_private_segment_wavefront_offset 0
		.amdhsa_system_sgpr_workgroup_id_x 1
		.amdhsa_system_sgpr_workgroup_id_y 0
		.amdhsa_system_sgpr_workgroup_id_z 0
		.amdhsa_system_sgpr_workgroup_info 0
		.amdhsa_system_vgpr_workitem_id 0
		.amdhsa_next_free_vgpr 1
		.amdhsa_next_free_sgpr 0
		.amdhsa_accum_offset 4
		.amdhsa_reserve_vcc 0
		.amdhsa_reserve_flat_scratch 0
		.amdhsa_float_round_mode_32 0
		.amdhsa_float_round_mode_16_64 0
		.amdhsa_float_denorm_mode_32 3
		.amdhsa_float_denorm_mode_16_64 3
		.amdhsa_dx10_clamp 1
		.amdhsa_ieee_mode 1
		.amdhsa_fp16_overflow 0
		.amdhsa_tg_split 0
		.amdhsa_exception_fp_ieee_invalid_op 0
		.amdhsa_exception_fp_denorm_src 0
		.amdhsa_exception_fp_ieee_div_zero 0
		.amdhsa_exception_fp_ieee_overflow 0
		.amdhsa_exception_fp_ieee_underflow 0
		.amdhsa_exception_fp_ieee_inexact 0
		.amdhsa_exception_int_div_zero 0
	.end_amdhsa_kernel
	.section	.text._ZN7rocprim17ROCPRIM_400000_NS6detail17trampoline_kernelINS0_14default_configENS1_25partition_config_selectorILNS1_17partition_subalgoE0ExNS0_10empty_typeEbEEZZNS1_14partition_implILS5_0ELb0ES3_jN6thrust23THRUST_200600_302600_NS6detail15normal_iteratorINSA_10device_ptrIxEEEEPS6_SG_NS0_5tupleIJSF_NSA_16discard_iteratorINSA_11use_defaultEEEEEENSH_IJSG_SG_EEES6_PlJ7is_evenIxEEEE10hipError_tPvRmT3_T4_T5_T6_T7_T9_mT8_P12ihipStream_tbDpT10_ENKUlT_T0_E_clISt17integral_constantIbLb0EES19_EEDaS14_S15_EUlS14_E_NS1_11comp_targetILNS1_3genE0ELNS1_11target_archE4294967295ELNS1_3gpuE0ELNS1_3repE0EEENS1_30default_config_static_selectorELNS0_4arch9wavefront6targetE1EEEvT1_,"axG",@progbits,_ZN7rocprim17ROCPRIM_400000_NS6detail17trampoline_kernelINS0_14default_configENS1_25partition_config_selectorILNS1_17partition_subalgoE0ExNS0_10empty_typeEbEEZZNS1_14partition_implILS5_0ELb0ES3_jN6thrust23THRUST_200600_302600_NS6detail15normal_iteratorINSA_10device_ptrIxEEEEPS6_SG_NS0_5tupleIJSF_NSA_16discard_iteratorINSA_11use_defaultEEEEEENSH_IJSG_SG_EEES6_PlJ7is_evenIxEEEE10hipError_tPvRmT3_T4_T5_T6_T7_T9_mT8_P12ihipStream_tbDpT10_ENKUlT_T0_E_clISt17integral_constantIbLb0EES19_EEDaS14_S15_EUlS14_E_NS1_11comp_targetILNS1_3genE0ELNS1_11target_archE4294967295ELNS1_3gpuE0ELNS1_3repE0EEENS1_30default_config_static_selectorELNS0_4arch9wavefront6targetE1EEEvT1_,comdat
.Lfunc_end2619:
	.size	_ZN7rocprim17ROCPRIM_400000_NS6detail17trampoline_kernelINS0_14default_configENS1_25partition_config_selectorILNS1_17partition_subalgoE0ExNS0_10empty_typeEbEEZZNS1_14partition_implILS5_0ELb0ES3_jN6thrust23THRUST_200600_302600_NS6detail15normal_iteratorINSA_10device_ptrIxEEEEPS6_SG_NS0_5tupleIJSF_NSA_16discard_iteratorINSA_11use_defaultEEEEEENSH_IJSG_SG_EEES6_PlJ7is_evenIxEEEE10hipError_tPvRmT3_T4_T5_T6_T7_T9_mT8_P12ihipStream_tbDpT10_ENKUlT_T0_E_clISt17integral_constantIbLb0EES19_EEDaS14_S15_EUlS14_E_NS1_11comp_targetILNS1_3genE0ELNS1_11target_archE4294967295ELNS1_3gpuE0ELNS1_3repE0EEENS1_30default_config_static_selectorELNS0_4arch9wavefront6targetE1EEEvT1_, .Lfunc_end2619-_ZN7rocprim17ROCPRIM_400000_NS6detail17trampoline_kernelINS0_14default_configENS1_25partition_config_selectorILNS1_17partition_subalgoE0ExNS0_10empty_typeEbEEZZNS1_14partition_implILS5_0ELb0ES3_jN6thrust23THRUST_200600_302600_NS6detail15normal_iteratorINSA_10device_ptrIxEEEEPS6_SG_NS0_5tupleIJSF_NSA_16discard_iteratorINSA_11use_defaultEEEEEENSH_IJSG_SG_EEES6_PlJ7is_evenIxEEEE10hipError_tPvRmT3_T4_T5_T6_T7_T9_mT8_P12ihipStream_tbDpT10_ENKUlT_T0_E_clISt17integral_constantIbLb0EES19_EEDaS14_S15_EUlS14_E_NS1_11comp_targetILNS1_3genE0ELNS1_11target_archE4294967295ELNS1_3gpuE0ELNS1_3repE0EEENS1_30default_config_static_selectorELNS0_4arch9wavefront6targetE1EEEvT1_
                                        ; -- End function
	.section	.AMDGPU.csdata,"",@progbits
; Kernel info:
; codeLenInByte = 0
; NumSgprs: 4
; NumVgprs: 0
; NumAgprs: 0
; TotalNumVgprs: 0
; ScratchSize: 0
; MemoryBound: 0
; FloatMode: 240
; IeeeMode: 1
; LDSByteSize: 0 bytes/workgroup (compile time only)
; SGPRBlocks: 0
; VGPRBlocks: 0
; NumSGPRsForWavesPerEU: 4
; NumVGPRsForWavesPerEU: 1
; AccumOffset: 4
; Occupancy: 8
; WaveLimiterHint : 0
; COMPUTE_PGM_RSRC2:SCRATCH_EN: 0
; COMPUTE_PGM_RSRC2:USER_SGPR: 6
; COMPUTE_PGM_RSRC2:TRAP_HANDLER: 0
; COMPUTE_PGM_RSRC2:TGID_X_EN: 1
; COMPUTE_PGM_RSRC2:TGID_Y_EN: 0
; COMPUTE_PGM_RSRC2:TGID_Z_EN: 0
; COMPUTE_PGM_RSRC2:TIDIG_COMP_CNT: 0
; COMPUTE_PGM_RSRC3_GFX90A:ACCUM_OFFSET: 0
; COMPUTE_PGM_RSRC3_GFX90A:TG_SPLIT: 0
	.section	.text._ZN7rocprim17ROCPRIM_400000_NS6detail17trampoline_kernelINS0_14default_configENS1_25partition_config_selectorILNS1_17partition_subalgoE0ExNS0_10empty_typeEbEEZZNS1_14partition_implILS5_0ELb0ES3_jN6thrust23THRUST_200600_302600_NS6detail15normal_iteratorINSA_10device_ptrIxEEEEPS6_SG_NS0_5tupleIJSF_NSA_16discard_iteratorINSA_11use_defaultEEEEEENSH_IJSG_SG_EEES6_PlJ7is_evenIxEEEE10hipError_tPvRmT3_T4_T5_T6_T7_T9_mT8_P12ihipStream_tbDpT10_ENKUlT_T0_E_clISt17integral_constantIbLb0EES19_EEDaS14_S15_EUlS14_E_NS1_11comp_targetILNS1_3genE5ELNS1_11target_archE942ELNS1_3gpuE9ELNS1_3repE0EEENS1_30default_config_static_selectorELNS0_4arch9wavefront6targetE1EEEvT1_,"axG",@progbits,_ZN7rocprim17ROCPRIM_400000_NS6detail17trampoline_kernelINS0_14default_configENS1_25partition_config_selectorILNS1_17partition_subalgoE0ExNS0_10empty_typeEbEEZZNS1_14partition_implILS5_0ELb0ES3_jN6thrust23THRUST_200600_302600_NS6detail15normal_iteratorINSA_10device_ptrIxEEEEPS6_SG_NS0_5tupleIJSF_NSA_16discard_iteratorINSA_11use_defaultEEEEEENSH_IJSG_SG_EEES6_PlJ7is_evenIxEEEE10hipError_tPvRmT3_T4_T5_T6_T7_T9_mT8_P12ihipStream_tbDpT10_ENKUlT_T0_E_clISt17integral_constantIbLb0EES19_EEDaS14_S15_EUlS14_E_NS1_11comp_targetILNS1_3genE5ELNS1_11target_archE942ELNS1_3gpuE9ELNS1_3repE0EEENS1_30default_config_static_selectorELNS0_4arch9wavefront6targetE1EEEvT1_,comdat
	.protected	_ZN7rocprim17ROCPRIM_400000_NS6detail17trampoline_kernelINS0_14default_configENS1_25partition_config_selectorILNS1_17partition_subalgoE0ExNS0_10empty_typeEbEEZZNS1_14partition_implILS5_0ELb0ES3_jN6thrust23THRUST_200600_302600_NS6detail15normal_iteratorINSA_10device_ptrIxEEEEPS6_SG_NS0_5tupleIJSF_NSA_16discard_iteratorINSA_11use_defaultEEEEEENSH_IJSG_SG_EEES6_PlJ7is_evenIxEEEE10hipError_tPvRmT3_T4_T5_T6_T7_T9_mT8_P12ihipStream_tbDpT10_ENKUlT_T0_E_clISt17integral_constantIbLb0EES19_EEDaS14_S15_EUlS14_E_NS1_11comp_targetILNS1_3genE5ELNS1_11target_archE942ELNS1_3gpuE9ELNS1_3repE0EEENS1_30default_config_static_selectorELNS0_4arch9wavefront6targetE1EEEvT1_ ; -- Begin function _ZN7rocprim17ROCPRIM_400000_NS6detail17trampoline_kernelINS0_14default_configENS1_25partition_config_selectorILNS1_17partition_subalgoE0ExNS0_10empty_typeEbEEZZNS1_14partition_implILS5_0ELb0ES3_jN6thrust23THRUST_200600_302600_NS6detail15normal_iteratorINSA_10device_ptrIxEEEEPS6_SG_NS0_5tupleIJSF_NSA_16discard_iteratorINSA_11use_defaultEEEEEENSH_IJSG_SG_EEES6_PlJ7is_evenIxEEEE10hipError_tPvRmT3_T4_T5_T6_T7_T9_mT8_P12ihipStream_tbDpT10_ENKUlT_T0_E_clISt17integral_constantIbLb0EES19_EEDaS14_S15_EUlS14_E_NS1_11comp_targetILNS1_3genE5ELNS1_11target_archE942ELNS1_3gpuE9ELNS1_3repE0EEENS1_30default_config_static_selectorELNS0_4arch9wavefront6targetE1EEEvT1_
	.globl	_ZN7rocprim17ROCPRIM_400000_NS6detail17trampoline_kernelINS0_14default_configENS1_25partition_config_selectorILNS1_17partition_subalgoE0ExNS0_10empty_typeEbEEZZNS1_14partition_implILS5_0ELb0ES3_jN6thrust23THRUST_200600_302600_NS6detail15normal_iteratorINSA_10device_ptrIxEEEEPS6_SG_NS0_5tupleIJSF_NSA_16discard_iteratorINSA_11use_defaultEEEEEENSH_IJSG_SG_EEES6_PlJ7is_evenIxEEEE10hipError_tPvRmT3_T4_T5_T6_T7_T9_mT8_P12ihipStream_tbDpT10_ENKUlT_T0_E_clISt17integral_constantIbLb0EES19_EEDaS14_S15_EUlS14_E_NS1_11comp_targetILNS1_3genE5ELNS1_11target_archE942ELNS1_3gpuE9ELNS1_3repE0EEENS1_30default_config_static_selectorELNS0_4arch9wavefront6targetE1EEEvT1_
	.p2align	8
	.type	_ZN7rocprim17ROCPRIM_400000_NS6detail17trampoline_kernelINS0_14default_configENS1_25partition_config_selectorILNS1_17partition_subalgoE0ExNS0_10empty_typeEbEEZZNS1_14partition_implILS5_0ELb0ES3_jN6thrust23THRUST_200600_302600_NS6detail15normal_iteratorINSA_10device_ptrIxEEEEPS6_SG_NS0_5tupleIJSF_NSA_16discard_iteratorINSA_11use_defaultEEEEEENSH_IJSG_SG_EEES6_PlJ7is_evenIxEEEE10hipError_tPvRmT3_T4_T5_T6_T7_T9_mT8_P12ihipStream_tbDpT10_ENKUlT_T0_E_clISt17integral_constantIbLb0EES19_EEDaS14_S15_EUlS14_E_NS1_11comp_targetILNS1_3genE5ELNS1_11target_archE942ELNS1_3gpuE9ELNS1_3repE0EEENS1_30default_config_static_selectorELNS0_4arch9wavefront6targetE1EEEvT1_,@function
_ZN7rocprim17ROCPRIM_400000_NS6detail17trampoline_kernelINS0_14default_configENS1_25partition_config_selectorILNS1_17partition_subalgoE0ExNS0_10empty_typeEbEEZZNS1_14partition_implILS5_0ELb0ES3_jN6thrust23THRUST_200600_302600_NS6detail15normal_iteratorINSA_10device_ptrIxEEEEPS6_SG_NS0_5tupleIJSF_NSA_16discard_iteratorINSA_11use_defaultEEEEEENSH_IJSG_SG_EEES6_PlJ7is_evenIxEEEE10hipError_tPvRmT3_T4_T5_T6_T7_T9_mT8_P12ihipStream_tbDpT10_ENKUlT_T0_E_clISt17integral_constantIbLb0EES19_EEDaS14_S15_EUlS14_E_NS1_11comp_targetILNS1_3genE5ELNS1_11target_archE942ELNS1_3gpuE9ELNS1_3repE0EEENS1_30default_config_static_selectorELNS0_4arch9wavefront6targetE1EEEvT1_: ; @_ZN7rocprim17ROCPRIM_400000_NS6detail17trampoline_kernelINS0_14default_configENS1_25partition_config_selectorILNS1_17partition_subalgoE0ExNS0_10empty_typeEbEEZZNS1_14partition_implILS5_0ELb0ES3_jN6thrust23THRUST_200600_302600_NS6detail15normal_iteratorINSA_10device_ptrIxEEEEPS6_SG_NS0_5tupleIJSF_NSA_16discard_iteratorINSA_11use_defaultEEEEEENSH_IJSG_SG_EEES6_PlJ7is_evenIxEEEE10hipError_tPvRmT3_T4_T5_T6_T7_T9_mT8_P12ihipStream_tbDpT10_ENKUlT_T0_E_clISt17integral_constantIbLb0EES19_EEDaS14_S15_EUlS14_E_NS1_11comp_targetILNS1_3genE5ELNS1_11target_archE942ELNS1_3gpuE9ELNS1_3repE0EEENS1_30default_config_static_selectorELNS0_4arch9wavefront6targetE1EEEvT1_
; %bb.0:
	.section	.rodata,"a",@progbits
	.p2align	6, 0x0
	.amdhsa_kernel _ZN7rocprim17ROCPRIM_400000_NS6detail17trampoline_kernelINS0_14default_configENS1_25partition_config_selectorILNS1_17partition_subalgoE0ExNS0_10empty_typeEbEEZZNS1_14partition_implILS5_0ELb0ES3_jN6thrust23THRUST_200600_302600_NS6detail15normal_iteratorINSA_10device_ptrIxEEEEPS6_SG_NS0_5tupleIJSF_NSA_16discard_iteratorINSA_11use_defaultEEEEEENSH_IJSG_SG_EEES6_PlJ7is_evenIxEEEE10hipError_tPvRmT3_T4_T5_T6_T7_T9_mT8_P12ihipStream_tbDpT10_ENKUlT_T0_E_clISt17integral_constantIbLb0EES19_EEDaS14_S15_EUlS14_E_NS1_11comp_targetILNS1_3genE5ELNS1_11target_archE942ELNS1_3gpuE9ELNS1_3repE0EEENS1_30default_config_static_selectorELNS0_4arch9wavefront6targetE1EEEvT1_
		.amdhsa_group_segment_fixed_size 0
		.amdhsa_private_segment_fixed_size 0
		.amdhsa_kernarg_size 128
		.amdhsa_user_sgpr_count 6
		.amdhsa_user_sgpr_private_segment_buffer 1
		.amdhsa_user_sgpr_dispatch_ptr 0
		.amdhsa_user_sgpr_queue_ptr 0
		.amdhsa_user_sgpr_kernarg_segment_ptr 1
		.amdhsa_user_sgpr_dispatch_id 0
		.amdhsa_user_sgpr_flat_scratch_init 0
		.amdhsa_user_sgpr_kernarg_preload_length 0
		.amdhsa_user_sgpr_kernarg_preload_offset 0
		.amdhsa_user_sgpr_private_segment_size 0
		.amdhsa_uses_dynamic_stack 0
		.amdhsa_system_sgpr_private_segment_wavefront_offset 0
		.amdhsa_system_sgpr_workgroup_id_x 1
		.amdhsa_system_sgpr_workgroup_id_y 0
		.amdhsa_system_sgpr_workgroup_id_z 0
		.amdhsa_system_sgpr_workgroup_info 0
		.amdhsa_system_vgpr_workitem_id 0
		.amdhsa_next_free_vgpr 1
		.amdhsa_next_free_sgpr 0
		.amdhsa_accum_offset 4
		.amdhsa_reserve_vcc 0
		.amdhsa_reserve_flat_scratch 0
		.amdhsa_float_round_mode_32 0
		.amdhsa_float_round_mode_16_64 0
		.amdhsa_float_denorm_mode_32 3
		.amdhsa_float_denorm_mode_16_64 3
		.amdhsa_dx10_clamp 1
		.amdhsa_ieee_mode 1
		.amdhsa_fp16_overflow 0
		.amdhsa_tg_split 0
		.amdhsa_exception_fp_ieee_invalid_op 0
		.amdhsa_exception_fp_denorm_src 0
		.amdhsa_exception_fp_ieee_div_zero 0
		.amdhsa_exception_fp_ieee_overflow 0
		.amdhsa_exception_fp_ieee_underflow 0
		.amdhsa_exception_fp_ieee_inexact 0
		.amdhsa_exception_int_div_zero 0
	.end_amdhsa_kernel
	.section	.text._ZN7rocprim17ROCPRIM_400000_NS6detail17trampoline_kernelINS0_14default_configENS1_25partition_config_selectorILNS1_17partition_subalgoE0ExNS0_10empty_typeEbEEZZNS1_14partition_implILS5_0ELb0ES3_jN6thrust23THRUST_200600_302600_NS6detail15normal_iteratorINSA_10device_ptrIxEEEEPS6_SG_NS0_5tupleIJSF_NSA_16discard_iteratorINSA_11use_defaultEEEEEENSH_IJSG_SG_EEES6_PlJ7is_evenIxEEEE10hipError_tPvRmT3_T4_T5_T6_T7_T9_mT8_P12ihipStream_tbDpT10_ENKUlT_T0_E_clISt17integral_constantIbLb0EES19_EEDaS14_S15_EUlS14_E_NS1_11comp_targetILNS1_3genE5ELNS1_11target_archE942ELNS1_3gpuE9ELNS1_3repE0EEENS1_30default_config_static_selectorELNS0_4arch9wavefront6targetE1EEEvT1_,"axG",@progbits,_ZN7rocprim17ROCPRIM_400000_NS6detail17trampoline_kernelINS0_14default_configENS1_25partition_config_selectorILNS1_17partition_subalgoE0ExNS0_10empty_typeEbEEZZNS1_14partition_implILS5_0ELb0ES3_jN6thrust23THRUST_200600_302600_NS6detail15normal_iteratorINSA_10device_ptrIxEEEEPS6_SG_NS0_5tupleIJSF_NSA_16discard_iteratorINSA_11use_defaultEEEEEENSH_IJSG_SG_EEES6_PlJ7is_evenIxEEEE10hipError_tPvRmT3_T4_T5_T6_T7_T9_mT8_P12ihipStream_tbDpT10_ENKUlT_T0_E_clISt17integral_constantIbLb0EES19_EEDaS14_S15_EUlS14_E_NS1_11comp_targetILNS1_3genE5ELNS1_11target_archE942ELNS1_3gpuE9ELNS1_3repE0EEENS1_30default_config_static_selectorELNS0_4arch9wavefront6targetE1EEEvT1_,comdat
.Lfunc_end2620:
	.size	_ZN7rocprim17ROCPRIM_400000_NS6detail17trampoline_kernelINS0_14default_configENS1_25partition_config_selectorILNS1_17partition_subalgoE0ExNS0_10empty_typeEbEEZZNS1_14partition_implILS5_0ELb0ES3_jN6thrust23THRUST_200600_302600_NS6detail15normal_iteratorINSA_10device_ptrIxEEEEPS6_SG_NS0_5tupleIJSF_NSA_16discard_iteratorINSA_11use_defaultEEEEEENSH_IJSG_SG_EEES6_PlJ7is_evenIxEEEE10hipError_tPvRmT3_T4_T5_T6_T7_T9_mT8_P12ihipStream_tbDpT10_ENKUlT_T0_E_clISt17integral_constantIbLb0EES19_EEDaS14_S15_EUlS14_E_NS1_11comp_targetILNS1_3genE5ELNS1_11target_archE942ELNS1_3gpuE9ELNS1_3repE0EEENS1_30default_config_static_selectorELNS0_4arch9wavefront6targetE1EEEvT1_, .Lfunc_end2620-_ZN7rocprim17ROCPRIM_400000_NS6detail17trampoline_kernelINS0_14default_configENS1_25partition_config_selectorILNS1_17partition_subalgoE0ExNS0_10empty_typeEbEEZZNS1_14partition_implILS5_0ELb0ES3_jN6thrust23THRUST_200600_302600_NS6detail15normal_iteratorINSA_10device_ptrIxEEEEPS6_SG_NS0_5tupleIJSF_NSA_16discard_iteratorINSA_11use_defaultEEEEEENSH_IJSG_SG_EEES6_PlJ7is_evenIxEEEE10hipError_tPvRmT3_T4_T5_T6_T7_T9_mT8_P12ihipStream_tbDpT10_ENKUlT_T0_E_clISt17integral_constantIbLb0EES19_EEDaS14_S15_EUlS14_E_NS1_11comp_targetILNS1_3genE5ELNS1_11target_archE942ELNS1_3gpuE9ELNS1_3repE0EEENS1_30default_config_static_selectorELNS0_4arch9wavefront6targetE1EEEvT1_
                                        ; -- End function
	.section	.AMDGPU.csdata,"",@progbits
; Kernel info:
; codeLenInByte = 0
; NumSgprs: 4
; NumVgprs: 0
; NumAgprs: 0
; TotalNumVgprs: 0
; ScratchSize: 0
; MemoryBound: 0
; FloatMode: 240
; IeeeMode: 1
; LDSByteSize: 0 bytes/workgroup (compile time only)
; SGPRBlocks: 0
; VGPRBlocks: 0
; NumSGPRsForWavesPerEU: 4
; NumVGPRsForWavesPerEU: 1
; AccumOffset: 4
; Occupancy: 8
; WaveLimiterHint : 0
; COMPUTE_PGM_RSRC2:SCRATCH_EN: 0
; COMPUTE_PGM_RSRC2:USER_SGPR: 6
; COMPUTE_PGM_RSRC2:TRAP_HANDLER: 0
; COMPUTE_PGM_RSRC2:TGID_X_EN: 1
; COMPUTE_PGM_RSRC2:TGID_Y_EN: 0
; COMPUTE_PGM_RSRC2:TGID_Z_EN: 0
; COMPUTE_PGM_RSRC2:TIDIG_COMP_CNT: 0
; COMPUTE_PGM_RSRC3_GFX90A:ACCUM_OFFSET: 0
; COMPUTE_PGM_RSRC3_GFX90A:TG_SPLIT: 0
	.section	.text._ZN7rocprim17ROCPRIM_400000_NS6detail17trampoline_kernelINS0_14default_configENS1_25partition_config_selectorILNS1_17partition_subalgoE0ExNS0_10empty_typeEbEEZZNS1_14partition_implILS5_0ELb0ES3_jN6thrust23THRUST_200600_302600_NS6detail15normal_iteratorINSA_10device_ptrIxEEEEPS6_SG_NS0_5tupleIJSF_NSA_16discard_iteratorINSA_11use_defaultEEEEEENSH_IJSG_SG_EEES6_PlJ7is_evenIxEEEE10hipError_tPvRmT3_T4_T5_T6_T7_T9_mT8_P12ihipStream_tbDpT10_ENKUlT_T0_E_clISt17integral_constantIbLb0EES19_EEDaS14_S15_EUlS14_E_NS1_11comp_targetILNS1_3genE4ELNS1_11target_archE910ELNS1_3gpuE8ELNS1_3repE0EEENS1_30default_config_static_selectorELNS0_4arch9wavefront6targetE1EEEvT1_,"axG",@progbits,_ZN7rocprim17ROCPRIM_400000_NS6detail17trampoline_kernelINS0_14default_configENS1_25partition_config_selectorILNS1_17partition_subalgoE0ExNS0_10empty_typeEbEEZZNS1_14partition_implILS5_0ELb0ES3_jN6thrust23THRUST_200600_302600_NS6detail15normal_iteratorINSA_10device_ptrIxEEEEPS6_SG_NS0_5tupleIJSF_NSA_16discard_iteratorINSA_11use_defaultEEEEEENSH_IJSG_SG_EEES6_PlJ7is_evenIxEEEE10hipError_tPvRmT3_T4_T5_T6_T7_T9_mT8_P12ihipStream_tbDpT10_ENKUlT_T0_E_clISt17integral_constantIbLb0EES19_EEDaS14_S15_EUlS14_E_NS1_11comp_targetILNS1_3genE4ELNS1_11target_archE910ELNS1_3gpuE8ELNS1_3repE0EEENS1_30default_config_static_selectorELNS0_4arch9wavefront6targetE1EEEvT1_,comdat
	.protected	_ZN7rocprim17ROCPRIM_400000_NS6detail17trampoline_kernelINS0_14default_configENS1_25partition_config_selectorILNS1_17partition_subalgoE0ExNS0_10empty_typeEbEEZZNS1_14partition_implILS5_0ELb0ES3_jN6thrust23THRUST_200600_302600_NS6detail15normal_iteratorINSA_10device_ptrIxEEEEPS6_SG_NS0_5tupleIJSF_NSA_16discard_iteratorINSA_11use_defaultEEEEEENSH_IJSG_SG_EEES6_PlJ7is_evenIxEEEE10hipError_tPvRmT3_T4_T5_T6_T7_T9_mT8_P12ihipStream_tbDpT10_ENKUlT_T0_E_clISt17integral_constantIbLb0EES19_EEDaS14_S15_EUlS14_E_NS1_11comp_targetILNS1_3genE4ELNS1_11target_archE910ELNS1_3gpuE8ELNS1_3repE0EEENS1_30default_config_static_selectorELNS0_4arch9wavefront6targetE1EEEvT1_ ; -- Begin function _ZN7rocprim17ROCPRIM_400000_NS6detail17trampoline_kernelINS0_14default_configENS1_25partition_config_selectorILNS1_17partition_subalgoE0ExNS0_10empty_typeEbEEZZNS1_14partition_implILS5_0ELb0ES3_jN6thrust23THRUST_200600_302600_NS6detail15normal_iteratorINSA_10device_ptrIxEEEEPS6_SG_NS0_5tupleIJSF_NSA_16discard_iteratorINSA_11use_defaultEEEEEENSH_IJSG_SG_EEES6_PlJ7is_evenIxEEEE10hipError_tPvRmT3_T4_T5_T6_T7_T9_mT8_P12ihipStream_tbDpT10_ENKUlT_T0_E_clISt17integral_constantIbLb0EES19_EEDaS14_S15_EUlS14_E_NS1_11comp_targetILNS1_3genE4ELNS1_11target_archE910ELNS1_3gpuE8ELNS1_3repE0EEENS1_30default_config_static_selectorELNS0_4arch9wavefront6targetE1EEEvT1_
	.globl	_ZN7rocprim17ROCPRIM_400000_NS6detail17trampoline_kernelINS0_14default_configENS1_25partition_config_selectorILNS1_17partition_subalgoE0ExNS0_10empty_typeEbEEZZNS1_14partition_implILS5_0ELb0ES3_jN6thrust23THRUST_200600_302600_NS6detail15normal_iteratorINSA_10device_ptrIxEEEEPS6_SG_NS0_5tupleIJSF_NSA_16discard_iteratorINSA_11use_defaultEEEEEENSH_IJSG_SG_EEES6_PlJ7is_evenIxEEEE10hipError_tPvRmT3_T4_T5_T6_T7_T9_mT8_P12ihipStream_tbDpT10_ENKUlT_T0_E_clISt17integral_constantIbLb0EES19_EEDaS14_S15_EUlS14_E_NS1_11comp_targetILNS1_3genE4ELNS1_11target_archE910ELNS1_3gpuE8ELNS1_3repE0EEENS1_30default_config_static_selectorELNS0_4arch9wavefront6targetE1EEEvT1_
	.p2align	8
	.type	_ZN7rocprim17ROCPRIM_400000_NS6detail17trampoline_kernelINS0_14default_configENS1_25partition_config_selectorILNS1_17partition_subalgoE0ExNS0_10empty_typeEbEEZZNS1_14partition_implILS5_0ELb0ES3_jN6thrust23THRUST_200600_302600_NS6detail15normal_iteratorINSA_10device_ptrIxEEEEPS6_SG_NS0_5tupleIJSF_NSA_16discard_iteratorINSA_11use_defaultEEEEEENSH_IJSG_SG_EEES6_PlJ7is_evenIxEEEE10hipError_tPvRmT3_T4_T5_T6_T7_T9_mT8_P12ihipStream_tbDpT10_ENKUlT_T0_E_clISt17integral_constantIbLb0EES19_EEDaS14_S15_EUlS14_E_NS1_11comp_targetILNS1_3genE4ELNS1_11target_archE910ELNS1_3gpuE8ELNS1_3repE0EEENS1_30default_config_static_selectorELNS0_4arch9wavefront6targetE1EEEvT1_,@function
_ZN7rocprim17ROCPRIM_400000_NS6detail17trampoline_kernelINS0_14default_configENS1_25partition_config_selectorILNS1_17partition_subalgoE0ExNS0_10empty_typeEbEEZZNS1_14partition_implILS5_0ELb0ES3_jN6thrust23THRUST_200600_302600_NS6detail15normal_iteratorINSA_10device_ptrIxEEEEPS6_SG_NS0_5tupleIJSF_NSA_16discard_iteratorINSA_11use_defaultEEEEEENSH_IJSG_SG_EEES6_PlJ7is_evenIxEEEE10hipError_tPvRmT3_T4_T5_T6_T7_T9_mT8_P12ihipStream_tbDpT10_ENKUlT_T0_E_clISt17integral_constantIbLb0EES19_EEDaS14_S15_EUlS14_E_NS1_11comp_targetILNS1_3genE4ELNS1_11target_archE910ELNS1_3gpuE8ELNS1_3repE0EEENS1_30default_config_static_selectorELNS0_4arch9wavefront6targetE1EEEvT1_: ; @_ZN7rocprim17ROCPRIM_400000_NS6detail17trampoline_kernelINS0_14default_configENS1_25partition_config_selectorILNS1_17partition_subalgoE0ExNS0_10empty_typeEbEEZZNS1_14partition_implILS5_0ELb0ES3_jN6thrust23THRUST_200600_302600_NS6detail15normal_iteratorINSA_10device_ptrIxEEEEPS6_SG_NS0_5tupleIJSF_NSA_16discard_iteratorINSA_11use_defaultEEEEEENSH_IJSG_SG_EEES6_PlJ7is_evenIxEEEE10hipError_tPvRmT3_T4_T5_T6_T7_T9_mT8_P12ihipStream_tbDpT10_ENKUlT_T0_E_clISt17integral_constantIbLb0EES19_EEDaS14_S15_EUlS14_E_NS1_11comp_targetILNS1_3genE4ELNS1_11target_archE910ELNS1_3gpuE8ELNS1_3repE0EEENS1_30default_config_static_selectorELNS0_4arch9wavefront6targetE1EEEvT1_
; %bb.0:
	s_load_dwordx2 s[8:9], s[4:5], 0x60
	s_load_dwordx4 s[0:3], s[4:5], 0x8
	s_load_dwordx4 s[24:27], s[4:5], 0x50
	s_load_dword s7, s[4:5], 0x78
	v_lshlrev_b32_e32 v1, 3, v0
	s_waitcnt lgkmcnt(0)
	v_mov_b32_e32 v3, s9
	s_lshl_b64 s[10:11], s[2:3], 3
	s_add_u32 s9, s0, s10
	s_addc_u32 s10, s1, s11
	s_add_i32 s11, s7, -1
	s_mulk_i32 s7, 0x300
	s_add_i32 s1, s7, s2
	s_sub_i32 s33, s8, s1
	s_add_u32 s2, s2, s7
	s_addc_u32 s3, s3, 0
	s_cmp_eq_u32 s6, s11
	v_mov_b32_e32 v2, s8
	s_load_dwordx2 s[22:23], s[26:27], 0x0
	s_cselect_b64 s[26:27], -1, 0
	s_cmp_lg_u32 s6, s11
	s_mul_i32 s0, s6, 0x300
	s_mov_b32 s1, 0
	v_cmp_lt_u64_e32 vcc, s[2:3], v[2:3]
	s_cselect_b64 s[2:3], -1, 0
	s_or_b64 s[2:3], s[2:3], vcc
	s_lshl_b64 s[0:1], s[0:1], 3
	s_add_u32 s7, s9, s0
	s_addc_u32 s8, s10, s1
	s_mov_b64 s[0:1], -1
	s_and_b64 vcc, exec, s[2:3]
	v_lshrrev_b32_e32 v10, 2, v0
	s_cbranch_vccz .LBB2621_2
; %bb.1:
	v_mov_b32_e32 v3, s8
	v_add_co_u32_e32 v2, vcc, s7, v1
	v_addc_co_u32_e32 v3, vcc, 0, v3, vcc
	v_add_co_u32_e32 v4, vcc, 0x1000, v2
	v_addc_co_u32_e32 v5, vcc, 0, v3, vcc
	flat_load_dwordx2 v[6:7], v[2:3]
	flat_load_dwordx2 v[8:9], v[2:3] offset:1536
	flat_load_dwordx2 v[12:13], v[2:3] offset:3072
	;; [unrolled: 1-line block ×3, first 2 shown]
	v_add_u32_e32 v3, 0xc0, v0
	v_add_u32_e32 v4, 0x180, v0
	;; [unrolled: 1-line block ×3, first 2 shown]
	v_and_b32_e32 v2, 56, v10
	v_lshrrev_b32_e32 v3, 2, v3
	v_lshrrev_b32_e32 v4, 2, v4
	;; [unrolled: 1-line block ×3, first 2 shown]
	v_add_u32_e32 v2, v2, v1
	v_and_b32_e32 v3, 0x78, v3
	v_and_b32_e32 v4, 0xf8, v4
	;; [unrolled: 1-line block ×3, first 2 shown]
	v_add_u32_e32 v3, v3, v1
	v_add_u32_e32 v4, v4, v1
	;; [unrolled: 1-line block ×3, first 2 shown]
	s_mov_b64 s[0:1], 0
	s_waitcnt vmcnt(0) lgkmcnt(0)
	ds_write_b64 v2, v[6:7]
	ds_write_b64 v3, v[8:9] offset:1536
	ds_write_b64 v4, v[12:13] offset:3072
	;; [unrolled: 1-line block ×3, first 2 shown]
	s_waitcnt lgkmcnt(0)
	s_barrier
.LBB2621_2:
	s_andn2_b64 vcc, exec, s[0:1]
	s_addk_i32 s33, 0x300
	s_cbranch_vccnz .LBB2621_12
; %bb.3:
	v_cmp_gt_u32_e32 vcc, s33, v0
                                        ; implicit-def: $vgpr2_vgpr3_vgpr4_vgpr5_vgpr6_vgpr7_vgpr8_vgpr9
	s_and_saveexec_b64 s[0:1], vcc
	s_cbranch_execz .LBB2621_5
; %bb.4:
	v_mov_b32_e32 v3, s8
	v_add_co_u32_e32 v2, vcc, s7, v1
	v_addc_co_u32_e32 v3, vcc, 0, v3, vcc
	flat_load_dwordx2 v[2:3], v[2:3]
.LBB2621_5:
	s_or_b64 exec, exec, s[0:1]
	v_add_u32_e32 v11, 0xc0, v0
	v_cmp_gt_u32_e32 vcc, s33, v11
	s_and_saveexec_b64 s[0:1], vcc
	s_cbranch_execz .LBB2621_7
; %bb.6:
	v_mov_b32_e32 v5, s8
	v_add_co_u32_e32 v4, vcc, s7, v1
	v_addc_co_u32_e32 v5, vcc, 0, v5, vcc
	flat_load_dwordx2 v[4:5], v[4:5] offset:1536
.LBB2621_7:
	s_or_b64 exec, exec, s[0:1]
	v_add_u32_e32 v12, 0x180, v0
	v_cmp_gt_u32_e32 vcc, s33, v12
	s_and_saveexec_b64 s[0:1], vcc
	s_cbranch_execz .LBB2621_9
; %bb.8:
	v_mov_b32_e32 v7, s8
	v_add_co_u32_e32 v6, vcc, s7, v1
	v_addc_co_u32_e32 v7, vcc, 0, v7, vcc
	flat_load_dwordx2 v[6:7], v[6:7] offset:3072
.LBB2621_9:
	s_or_b64 exec, exec, s[0:1]
	v_add_u32_e32 v13, 0x240, v0
	v_cmp_gt_u32_e32 vcc, s33, v13
	s_and_saveexec_b64 s[0:1], vcc
	s_cbranch_execz .LBB2621_11
; %bb.10:
	v_lshlrev_b32_e32 v8, 3, v13
	v_mov_b32_e32 v9, s8
	v_add_co_u32_e32 v8, vcc, s7, v8
	v_addc_co_u32_e32 v9, vcc, 0, v9, vcc
	flat_load_dwordx2 v[8:9], v[8:9]
.LBB2621_11:
	s_or_b64 exec, exec, s[0:1]
	v_and_b32_e32 v10, 56, v10
	v_add_u32_e32 v10, v10, v1
	s_waitcnt vmcnt(0) lgkmcnt(0)
	ds_write_b64 v10, v[2:3]
	v_lshrrev_b32_e32 v2, 2, v11
	v_and_b32_e32 v2, 0x78, v2
	v_add_u32_e32 v2, v2, v1
	ds_write_b64 v2, v[4:5] offset:1536
	v_lshrrev_b32_e32 v2, 2, v12
	v_and_b32_e32 v2, 0xf8, v2
	v_add_u32_e32 v2, v2, v1
	ds_write_b64 v2, v[6:7] offset:3072
	;; [unrolled: 4-line block ×3, first 2 shown]
	s_waitcnt lgkmcnt(0)
	s_barrier
.LBB2621_12:
	v_lshlrev_b32_e32 v20, 2, v0
	v_lshrrev_b32_e32 v2, 3, v0
	v_add_lshl_u32 v2, v2, v20, 3
	s_waitcnt lgkmcnt(0)
	ds_read2_b64 v[6:9], v2 offset1:1
	ds_read2_b64 v[2:5], v2 offset0:2 offset1:3
	v_cndmask_b32_e64 v10, 0, 1, s[2:3]
	v_cmp_ne_u32_e64 s[0:1], 1, v10
	s_andn2_b64 vcc, exec, s[2:3]
	s_waitcnt lgkmcnt(1)
	v_xor_b32_e32 v13, -1, v6
	v_xor_b32_e32 v12, -1, v8
	s_waitcnt lgkmcnt(0)
	v_xor_b32_e32 v11, -1, v2
	v_xor_b32_e32 v10, -1, v4
	s_barrier
	s_cbranch_vccnz .LBB2621_14
; %bb.13:
	v_mov_b32_e32 v15, 1
	v_and_b32_e32 v14, 1, v13
	v_and_b32_sdwa v16, v12, v15 dst_sel:BYTE_1 dst_unused:UNUSED_PAD src0_sel:DWORD src1_sel:DWORD
	v_and_b32_e32 v17, 1, v11
	v_and_b32_sdwa v15, v10, v15 dst_sel:BYTE_1 dst_unused:UNUSED_PAD src0_sel:DWORD src1_sel:DWORD
	v_or_b32_e32 v14, v14, v16
	v_or_b32_sdwa v15, v17, v15 dst_sel:WORD_1 dst_unused:UNUSED_PAD src0_sel:DWORD src1_sel:DWORD
	v_or_b32_sdwa v21, v14, v15 dst_sel:DWORD dst_unused:UNUSED_PAD src0_sel:WORD_0 src1_sel:DWORD
	s_load_dwordx2 s[28:29], s[4:5], 0x70
	s_cbranch_execz .LBB2621_15
	s_branch .LBB2621_16
.LBB2621_14:
                                        ; implicit-def: $vgpr21
	s_load_dwordx2 s[28:29], s[4:5], 0x70
.LBB2621_15:
	v_cmp_gt_u32_e32 vcc, s33, v20
	v_cndmask_b32_e64 v14, 0, 1, vcc
	v_and_b32_e32 v13, v14, v13
	v_or_b32_e32 v14, 1, v20
	v_cmp_gt_u32_e32 vcc, s33, v14
	v_cndmask_b32_e64 v14, 0, 1, vcc
	v_and_b32_sdwa v12, v14, v12 dst_sel:BYTE_1 dst_unused:UNUSED_PAD src0_sel:DWORD src1_sel:DWORD
	v_or_b32_e32 v14, 2, v20
	v_cmp_gt_u32_e32 vcc, s33, v14
	v_cndmask_b32_e64 v14, 0, 1, vcc
	v_and_b32_e32 v11, v14, v11
	v_or_b32_e32 v14, 3, v20
	v_cmp_gt_u32_e32 vcc, s33, v14
	v_cndmask_b32_e64 v14, 0, 1, vcc
	v_and_b32_sdwa v10, v14, v10 dst_sel:BYTE_1 dst_unused:UNUSED_PAD src0_sel:DWORD src1_sel:DWORD
	v_or_b32_e32 v12, v13, v12
	v_or_b32_sdwa v10, v11, v10 dst_sel:WORD_1 dst_unused:UNUSED_PAD src0_sel:DWORD src1_sel:DWORD
	v_or_b32_sdwa v21, v12, v10 dst_sel:DWORD dst_unused:UNUSED_PAD src0_sel:WORD_0 src1_sel:DWORD
.LBB2621_16:
	v_bfe_u32 v23, v21, 16, 8
	v_lshrrev_b32_e32 v22, 24, v21
	v_add_u32_sdwa v10, v21, v21 dst_sel:DWORD dst_unused:UNUSED_PAD src0_sel:BYTE_1 src1_sel:BYTE_0
	v_add3_u32 v26, v10, v23, v22
	v_mbcnt_lo_u32_b32 v10, -1, 0
	v_mbcnt_hi_u32_b32 v24, -1, v10
	v_and_b32_e32 v10, 15, v24
	v_cmp_eq_u32_e64 s[16:17], 0, v10
	v_cmp_lt_u32_e64 s[14:15], 1, v10
	v_cmp_lt_u32_e64 s[12:13], 3, v10
	;; [unrolled: 1-line block ×3, first 2 shown]
	v_and_b32_e32 v10, 16, v24
	v_cmp_eq_u32_e64 s[20:21], 0, v10
	v_and_b32_e32 v10, 0xc0, v0
	v_min_u32_e32 v10, 0x80, v10
	v_or_b32_e32 v10, 63, v10
	s_cmp_lg_u32 s6, 0
	v_cmp_lt_u32_e64 s[2:3], 31, v24
	v_lshrrev_b32_e32 v25, 6, v0
	v_cmp_eq_u32_e64 s[8:9], v10, v0
	s_cbranch_scc0 .LBB2621_43
; %bb.17:
	v_mov_b32_dpp v10, v26 row_shr:1 row_mask:0xf bank_mask:0xf
	v_cndmask_b32_e64 v10, v10, 0, s[16:17]
	v_add_u32_e32 v10, v10, v26
	s_nop 1
	v_mov_b32_dpp v11, v10 row_shr:2 row_mask:0xf bank_mask:0xf
	v_cndmask_b32_e64 v11, 0, v11, s[14:15]
	v_add_u32_e32 v10, v10, v11
	s_nop 1
	;; [unrolled: 4-line block ×4, first 2 shown]
	v_mov_b32_dpp v11, v10 row_bcast:15 row_mask:0xf bank_mask:0xf
	v_cndmask_b32_e64 v11, v11, 0, s[20:21]
	v_add_u32_e32 v10, v10, v11
	s_nop 1
	v_mov_b32_dpp v11, v10 row_bcast:31 row_mask:0xf bank_mask:0xf
	v_cndmask_b32_e64 v11, 0, v11, s[2:3]
	v_add_u32_e32 v10, v10, v11
	s_and_saveexec_b64 s[18:19], s[8:9]
	s_cbranch_execz .LBB2621_19
; %bb.18:
	v_lshlrev_b32_e32 v11, 2, v25
	ds_write_b32 v11, v10
.LBB2621_19:
	s_or_b64 exec, exec, s[18:19]
	v_cmp_gt_u32_e32 vcc, 3, v0
	s_waitcnt lgkmcnt(0)
	s_barrier
	s_and_saveexec_b64 s[18:19], vcc
	s_cbranch_execz .LBB2621_21
; %bb.20:
	ds_read_b32 v11, v20
	v_and_b32_e32 v12, 3, v24
	v_cmp_ne_u32_e32 vcc, 0, v12
	s_waitcnt lgkmcnt(0)
	v_mov_b32_dpp v13, v11 row_shr:1 row_mask:0xf bank_mask:0xf
	v_cndmask_b32_e32 v13, 0, v13, vcc
	v_add_u32_e32 v11, v13, v11
	v_cmp_lt_u32_e32 vcc, 1, v12
	s_nop 0
	v_mov_b32_dpp v13, v11 row_shr:2 row_mask:0xf bank_mask:0xf
	v_cndmask_b32_e32 v12, 0, v13, vcc
	v_add_u32_e32 v11, v11, v12
	ds_write_b32 v20, v11
.LBB2621_21:
	s_or_b64 exec, exec, s[18:19]
	v_cmp_gt_u32_e32 vcc, 64, v0
	v_cmp_lt_u32_e64 s[18:19], 63, v0
	s_waitcnt lgkmcnt(0)
	s_barrier
	s_waitcnt lgkmcnt(0)
                                        ; implicit-def: $vgpr27
	s_and_saveexec_b64 s[30:31], s[18:19]
	s_cbranch_execz .LBB2621_23
; %bb.22:
	v_lshl_add_u32 v11, v25, 2, -4
	ds_read_b32 v27, v11
	s_waitcnt lgkmcnt(0)
	v_add_u32_e32 v10, v27, v10
.LBB2621_23:
	s_or_b64 exec, exec, s[30:31]
	v_add_u32_e32 v11, -1, v24
	v_and_b32_e32 v12, 64, v24
	v_cmp_lt_i32_e64 s[18:19], v11, v12
	v_cndmask_b32_e64 v11, v11, v24, s[18:19]
	v_lshlrev_b32_e32 v11, 2, v11
	ds_bpermute_b32 v28, v11, v10
	v_cmp_eq_u32_e64 s[18:19], 0, v24
	s_and_saveexec_b64 s[30:31], vcc
	s_cbranch_execz .LBB2621_42
; %bb.24:
	v_mov_b32_e32 v17, 0
	ds_read_b32 v10, v17 offset:8
	s_and_saveexec_b64 s[34:35], s[18:19]
	s_cbranch_execz .LBB2621_26
; %bb.25:
	s_add_i32 s36, s6, 64
	s_mov_b32 s37, 0
	s_lshl_b64 s[36:37], s[36:37], 3
	s_add_u32 s36, s28, s36
	v_mov_b32_e32 v11, 1
	s_addc_u32 s37, s29, s37
	s_waitcnt lgkmcnt(0)
	global_store_dwordx2 v17, v[10:11], s[36:37]
.LBB2621_26:
	s_or_b64 exec, exec, s[34:35]
	v_xad_u32 v12, v24, -1, s6
	v_add_u32_e32 v16, 64, v12
	v_lshlrev_b64 v[14:15], 3, v[16:17]
	v_mov_b32_e32 v11, s29
	v_add_co_u32_e32 v18, vcc, s28, v14
	v_addc_co_u32_e32 v19, vcc, v11, v15, vcc
	global_load_dwordx2 v[14:15], v[18:19], off glc
	s_waitcnt vmcnt(0)
	v_cmp_eq_u16_sdwa s[36:37], v15, v17 src0_sel:BYTE_0 src1_sel:DWORD
	s_and_saveexec_b64 s[34:35], s[36:37]
	s_cbranch_execz .LBB2621_30
; %bb.27:
	s_mov_b64 s[36:37], 0
	v_mov_b32_e32 v11, 0
.LBB2621_28:                            ; =>This Inner Loop Header: Depth=1
	global_load_dwordx2 v[14:15], v[18:19], off glc
	s_waitcnt vmcnt(0)
	v_cmp_ne_u16_sdwa s[38:39], v15, v11 src0_sel:BYTE_0 src1_sel:DWORD
	s_or_b64 s[36:37], s[38:39], s[36:37]
	s_andn2_b64 exec, exec, s[36:37]
	s_cbranch_execnz .LBB2621_28
; %bb.29:
	s_or_b64 exec, exec, s[36:37]
.LBB2621_30:
	s_or_b64 exec, exec, s[34:35]
	v_and_b32_e32 v30, 63, v24
	v_mov_b32_e32 v29, 2
	v_cmp_ne_u32_e32 vcc, 63, v30
	v_cmp_eq_u16_sdwa s[34:35], v15, v29 src0_sel:BYTE_0 src1_sel:DWORD
	v_lshlrev_b64 v[16:17], v24, -1
	v_addc_co_u32_e32 v18, vcc, 0, v24, vcc
	v_and_b32_e32 v11, s35, v17
	v_lshlrev_b32_e32 v31, 2, v18
	v_or_b32_e32 v11, 0x80000000, v11
	ds_bpermute_b32 v18, v31, v14
	v_and_b32_e32 v13, s34, v16
	v_ffbl_b32_e32 v11, v11
	v_add_u32_e32 v11, 32, v11
	v_ffbl_b32_e32 v13, v13
	v_min_u32_e32 v11, v13, v11
	v_cmp_lt_u32_e32 vcc, v30, v11
	s_waitcnt lgkmcnt(0)
	v_cndmask_b32_e32 v13, 0, v18, vcc
	v_cmp_gt_u32_e32 vcc, 62, v30
	v_add_u32_e32 v13, v13, v14
	v_cndmask_b32_e64 v14, 0, 1, vcc
	v_lshlrev_b32_e32 v14, 1, v14
	v_add_lshl_u32 v32, v14, v24, 2
	ds_bpermute_b32 v14, v32, v13
	v_add_u32_e32 v33, 2, v30
	v_cmp_le_u32_e32 vcc, v33, v11
	v_add_u32_e32 v35, 4, v30
	v_add_u32_e32 v37, 8, v30
	s_waitcnt lgkmcnt(0)
	v_cndmask_b32_e32 v14, 0, v14, vcc
	v_cmp_gt_u32_e32 vcc, 60, v30
	v_add_u32_e32 v13, v13, v14
	v_cndmask_b32_e64 v14, 0, 1, vcc
	v_lshlrev_b32_e32 v14, 2, v14
	v_add_lshl_u32 v34, v14, v24, 2
	ds_bpermute_b32 v14, v34, v13
	v_cmp_le_u32_e32 vcc, v35, v11
	v_add_u32_e32 v39, 16, v30
	v_add_u32_e32 v41, 32, v30
	s_waitcnt lgkmcnt(0)
	v_cndmask_b32_e32 v14, 0, v14, vcc
	v_cmp_gt_u32_e32 vcc, 56, v30
	v_add_u32_e32 v13, v13, v14
	v_cndmask_b32_e64 v14, 0, 1, vcc
	v_lshlrev_b32_e32 v14, 3, v14
	v_add_lshl_u32 v36, v14, v24, 2
	ds_bpermute_b32 v14, v36, v13
	v_cmp_le_u32_e32 vcc, v37, v11
	s_waitcnt lgkmcnt(0)
	v_cndmask_b32_e32 v14, 0, v14, vcc
	v_cmp_gt_u32_e32 vcc, 48, v30
	v_add_u32_e32 v13, v13, v14
	v_cndmask_b32_e64 v14, 0, 1, vcc
	v_lshlrev_b32_e32 v14, 4, v14
	v_add_lshl_u32 v38, v14, v24, 2
	ds_bpermute_b32 v14, v38, v13
	v_cmp_le_u32_e32 vcc, v39, v11
	;; [unrolled: 9-line block ×3, first 2 shown]
	s_waitcnt lgkmcnt(0)
	v_cndmask_b32_e32 v11, 0, v14, vcc
	v_add_u32_e32 v14, v13, v11
	v_mov_b32_e32 v13, 0
	s_branch .LBB2621_32
.LBB2621_31:                            ;   in Loop: Header=BB2621_32 Depth=1
	s_or_b64 exec, exec, s[34:35]
	v_cmp_eq_u16_sdwa s[34:35], v15, v29 src0_sel:BYTE_0 src1_sel:DWORD
	v_and_b32_e32 v18, s35, v17
	v_or_b32_e32 v18, 0x80000000, v18
	ds_bpermute_b32 v42, v31, v14
	v_and_b32_e32 v19, s34, v16
	v_ffbl_b32_e32 v18, v18
	v_add_u32_e32 v18, 32, v18
	v_ffbl_b32_e32 v19, v19
	v_min_u32_e32 v18, v19, v18
	v_cmp_lt_u32_e32 vcc, v30, v18
	s_waitcnt lgkmcnt(0)
	v_cndmask_b32_e32 v19, 0, v42, vcc
	v_add_u32_e32 v14, v19, v14
	ds_bpermute_b32 v19, v32, v14
	v_cmp_le_u32_e32 vcc, v33, v18
	v_subrev_u32_e32 v12, 64, v12
	s_waitcnt lgkmcnt(0)
	v_cndmask_b32_e32 v19, 0, v19, vcc
	v_add_u32_e32 v14, v14, v19
	ds_bpermute_b32 v19, v34, v14
	v_cmp_le_u32_e32 vcc, v35, v18
	s_waitcnt lgkmcnt(0)
	v_cndmask_b32_e32 v19, 0, v19, vcc
	v_add_u32_e32 v14, v14, v19
	ds_bpermute_b32 v19, v36, v14
	v_cmp_le_u32_e32 vcc, v37, v18
	;; [unrolled: 5-line block ×4, first 2 shown]
	s_waitcnt lgkmcnt(0)
	v_cndmask_b32_e32 v18, 0, v19, vcc
	v_add3_u32 v14, v18, v11, v14
.LBB2621_32:                            ; =>This Loop Header: Depth=1
                                        ;     Child Loop BB2621_35 Depth 2
	v_cmp_ne_u16_sdwa s[34:35], v15, v29 src0_sel:BYTE_0 src1_sel:DWORD
	v_cndmask_b32_e64 v11, 0, 1, s[34:35]
	;;#ASMSTART
	;;#ASMEND
	v_cmp_ne_u32_e32 vcc, 0, v11
	s_cmp_lg_u64 vcc, exec
	v_mov_b32_e32 v11, v14
	s_cbranch_scc1 .LBB2621_37
; %bb.33:                               ;   in Loop: Header=BB2621_32 Depth=1
	v_lshlrev_b64 v[14:15], 3, v[12:13]
	v_mov_b32_e32 v19, s29
	v_add_co_u32_e32 v18, vcc, s28, v14
	v_addc_co_u32_e32 v19, vcc, v19, v15, vcc
	global_load_dwordx2 v[14:15], v[18:19], off glc
	s_waitcnt vmcnt(0)
	v_cmp_eq_u16_sdwa s[36:37], v15, v13 src0_sel:BYTE_0 src1_sel:DWORD
	s_and_saveexec_b64 s[34:35], s[36:37]
	s_cbranch_execz .LBB2621_31
; %bb.34:                               ;   in Loop: Header=BB2621_32 Depth=1
	s_mov_b64 s[36:37], 0
.LBB2621_35:                            ;   Parent Loop BB2621_32 Depth=1
                                        ; =>  This Inner Loop Header: Depth=2
	global_load_dwordx2 v[14:15], v[18:19], off glc
	s_waitcnt vmcnt(0)
	v_cmp_ne_u16_sdwa s[38:39], v15, v13 src0_sel:BYTE_0 src1_sel:DWORD
	s_or_b64 s[36:37], s[38:39], s[36:37]
	s_andn2_b64 exec, exec, s[36:37]
	s_cbranch_execnz .LBB2621_35
; %bb.36:                               ;   in Loop: Header=BB2621_32 Depth=1
	s_or_b64 exec, exec, s[36:37]
	s_branch .LBB2621_31
.LBB2621_37:                            ;   in Loop: Header=BB2621_32 Depth=1
                                        ; implicit-def: $vgpr14
                                        ; implicit-def: $vgpr15
	s_cbranch_execz .LBB2621_32
; %bb.38:
	s_and_saveexec_b64 s[34:35], s[18:19]
	s_cbranch_execz .LBB2621_40
; %bb.39:
	s_add_i32 s6, s6, 64
	s_mov_b32 s7, 0
	s_lshl_b64 s[6:7], s[6:7], 3
	s_add_u32 s6, s28, s6
	v_add_u32_e32 v12, v11, v10
	v_mov_b32_e32 v13, 2
	s_addc_u32 s7, s29, s7
	v_mov_b32_e32 v14, 0
	global_store_dwordx2 v14, v[12:13], s[6:7]
	ds_write_b64 v14, v[10:11] offset:6336
.LBB2621_40:
	s_or_b64 exec, exec, s[34:35]
	v_cmp_eq_u32_e32 vcc, 0, v0
	s_and_b64 exec, exec, vcc
	s_cbranch_execz .LBB2621_42
; %bb.41:
	v_mov_b32_e32 v10, 0
	ds_write_b32 v10, v11 offset:8
.LBB2621_42:
	s_or_b64 exec, exec, s[30:31]
	v_mov_b32_e32 v10, 0
	s_waitcnt lgkmcnt(0)
	s_barrier
	ds_read_b32 v11, v10 offset:8
	v_cndmask_b32_e64 v12, v28, v27, s[18:19]
	v_cmp_ne_u32_e32 vcc, 0, v0
	v_cndmask_b32_e32 v12, 0, v12, vcc
	s_waitcnt lgkmcnt(0)
	v_add_u32_e32 v15, v11, v12
	s_barrier
	ds_read_b64 v[10:11], v10 offset:6336
	v_add_u32_sdwa v16, v15, v21 dst_sel:DWORD dst_unused:UNUSED_PAD src0_sel:DWORD src1_sel:BYTE_0
	v_add_u32_sdwa v14, v16, v21 dst_sel:DWORD dst_unused:UNUSED_PAD src0_sel:DWORD src1_sel:BYTE_1
	v_add_u32_e32 v13, v14, v23
	s_waitcnt lgkmcnt(0)
	v_mov_b32_e32 v12, v11
	s_load_dwordx2 s[4:5], s[4:5], 0x28
	s_branch .LBB2621_53
.LBB2621_43:
                                        ; implicit-def: $vgpr12
                                        ; implicit-def: $vgpr10
                                        ; implicit-def: $vgpr13
                                        ; implicit-def: $vgpr14
                                        ; implicit-def: $vgpr16
                                        ; implicit-def: $vgpr15
	s_load_dwordx2 s[4:5], s[4:5], 0x28
	s_cbranch_execz .LBB2621_53
; %bb.44:
	v_mov_b32_dpp v10, v26 row_shr:1 row_mask:0xf bank_mask:0xf
	v_cndmask_b32_e64 v10, v10, 0, s[16:17]
	v_add_u32_e32 v10, v10, v26
	s_nop 1
	v_mov_b32_dpp v11, v10 row_shr:2 row_mask:0xf bank_mask:0xf
	v_cndmask_b32_e64 v11, 0, v11, s[14:15]
	v_add_u32_e32 v10, v10, v11
	s_nop 1
	;; [unrolled: 4-line block ×4, first 2 shown]
	v_mov_b32_dpp v11, v10 row_bcast:15 row_mask:0xf bank_mask:0xf
	v_cndmask_b32_e64 v11, v11, 0, s[20:21]
	v_add_u32_e32 v10, v10, v11
	s_nop 1
	v_mov_b32_dpp v11, v10 row_bcast:31 row_mask:0xf bank_mask:0xf
	v_cndmask_b32_e64 v11, 0, v11, s[2:3]
	v_add_u32_e32 v10, v10, v11
	s_and_saveexec_b64 s[2:3], s[8:9]
	s_cbranch_execz .LBB2621_46
; %bb.45:
	v_lshlrev_b32_e32 v11, 2, v25
	ds_write_b32 v11, v10
.LBB2621_46:
	s_or_b64 exec, exec, s[2:3]
	v_cmp_gt_u32_e32 vcc, 3, v0
	s_waitcnt lgkmcnt(0)
	s_barrier
	s_and_saveexec_b64 s[2:3], vcc
	s_cbranch_execz .LBB2621_48
; %bb.47:
	ds_read_b32 v11, v20
	v_and_b32_e32 v12, 3, v24
	v_cmp_ne_u32_e32 vcc, 0, v12
	s_waitcnt lgkmcnt(0)
	v_mov_b32_dpp v13, v11 row_shr:1 row_mask:0xf bank_mask:0xf
	v_cndmask_b32_e32 v13, 0, v13, vcc
	v_add_u32_e32 v11, v13, v11
	v_cmp_lt_u32_e32 vcc, 1, v12
	s_nop 0
	v_mov_b32_dpp v13, v11 row_shr:2 row_mask:0xf bank_mask:0xf
	v_cndmask_b32_e32 v12, 0, v13, vcc
	v_add_u32_e32 v11, v11, v12
	ds_write_b32 v20, v11
.LBB2621_48:
	s_or_b64 exec, exec, s[2:3]
	v_cmp_lt_u32_e32 vcc, 63, v0
	v_mov_b32_e32 v11, 0
	v_mov_b32_e32 v12, 0
	s_waitcnt lgkmcnt(0)
	s_barrier
	s_and_saveexec_b64 s[2:3], vcc
	s_cbranch_execz .LBB2621_50
; %bb.49:
	v_lshl_add_u32 v12, v25, 2, -4
	ds_read_b32 v12, v12
.LBB2621_50:
	s_or_b64 exec, exec, s[2:3]
	v_add_u32_e32 v13, -1, v24
	v_and_b32_e32 v14, 64, v24
	v_cmp_lt_i32_e32 vcc, v13, v14
	v_cndmask_b32_e32 v13, v13, v24, vcc
	s_waitcnt lgkmcnt(0)
	v_add_u32_e32 v10, v12, v10
	v_lshlrev_b32_e32 v13, 2, v13
	ds_bpermute_b32 v13, v13, v10
	ds_read_b32 v10, v11 offset:8
	v_cmp_eq_u32_e32 vcc, 0, v0
	s_and_saveexec_b64 s[2:3], vcc
	s_cbranch_execz .LBB2621_52
; %bb.51:
	v_mov_b32_e32 v14, 0
	v_mov_b32_e32 v11, 2
	s_waitcnt lgkmcnt(0)
	global_store_dwordx2 v14, v[10:11], s[28:29] offset:512
.LBB2621_52:
	s_or_b64 exec, exec, s[2:3]
	v_cmp_eq_u32_e64 s[2:3], 0, v24
	s_waitcnt lgkmcnt(1)
	v_cndmask_b32_e64 v11, v13, v12, s[2:3]
	v_cndmask_b32_e64 v15, v11, 0, vcc
	v_add_u32_sdwa v16, v15, v21 dst_sel:DWORD dst_unused:UNUSED_PAD src0_sel:DWORD src1_sel:BYTE_0
	v_add_u32_sdwa v14, v16, v21 dst_sel:DWORD dst_unused:UNUSED_PAD src0_sel:DWORD src1_sel:BYTE_1
	v_mov_b32_e32 v12, 0
	v_add_u32_e32 v13, v14, v23
	s_waitcnt lgkmcnt(0)
	s_barrier
.LBB2621_53:
	v_add_u32_e32 v17, v10, v20
	v_sub_u32_e32 v15, v15, v12
	v_and_b32_e32 v19, 1, v21
	v_sub_u32_e32 v18, v17, v15
	v_cmp_eq_u32_e32 vcc, 1, v19
	v_cndmask_b32_e32 v15, v18, v15, vcc
	v_lshlrev_b32_e32 v15, 3, v15
	v_lshrrev_b32_e32 v11, 8, v21
	ds_write_b64 v15, v[6:7]
	v_sub_u32_e32 v6, v16, v12
	v_sub_u32_e32 v7, v17, v6
	v_and_b32_e32 v11, 1, v11
	v_add_u32_e32 v7, 1, v7
	v_cmp_eq_u32_e32 vcc, 1, v11
	v_cndmask_b32_e32 v6, v7, v6, vcc
	v_lshlrev_b32_e32 v6, 3, v6
	ds_write_b64 v6, v[8:9]
	v_sub_u32_e32 v6, v14, v12
	v_mov_b32_e32 v8, 1
	v_sub_u32_e32 v7, v17, v6
	v_and_b32_sdwa v8, v8, v21 dst_sel:DWORD dst_unused:UNUSED_PAD src0_sel:DWORD src1_sel:WORD_1
	v_add_u32_e32 v7, 2, v7
	v_cmp_eq_u32_e32 vcc, 1, v8
	v_cndmask_b32_e32 v6, v7, v6, vcc
	v_lshlrev_b32_e32 v6, 3, v6
	ds_write_b64 v6, v[2:3]
	v_sub_u32_e32 v2, v13, v12
	v_sub_u32_e32 v3, v17, v2
	v_and_b32_e32 v6, 1, v22
	v_add_u32_e32 v3, 3, v3
	v_cmp_eq_u32_e32 vcc, 1, v6
	v_cndmask_b32_e32 v2, v3, v2, vcc
	v_lshlrev_b32_e32 v2, 3, v2
	ds_write_b64 v2, v[4:5]
	s_waitcnt lgkmcnt(0)
	s_barrier
	ds_read2st64_b64 v[6:9], v1 offset1:3
	ds_read2st64_b64 v[2:5], v1 offset0:6 offset1:9
	v_add_u32_e32 v17, 0xc0, v0
	v_add_u32_e32 v16, 0x180, v0
	s_and_b64 vcc, exec, s[0:1]
	v_add_u32_e32 v11, 0x240, v0
	s_cbranch_vccnz .LBB2621_59
; %bb.54:
	s_lshl_b64 s[0:1], s[22:23], 3
	v_mov_b32_e32 v13, 0
	s_add_u32 s0, s4, s0
	s_addc_u32 s1, s5, s1
	v_lshlrev_b64 v[14:15], 3, v[12:13]
	v_mov_b32_e32 v13, s1
	v_add_co_u32_e32 v14, vcc, s0, v14
	v_addc_co_u32_e32 v15, vcc, v13, v15, vcc
	v_cmp_lt_u32_e32 vcc, v0, v10
	s_and_saveexec_b64 s[0:1], vcc
	s_cbranch_execnz .LBB2621_70
; %bb.55:
	s_or_b64 exec, exec, s[0:1]
	v_cmp_lt_u32_e32 vcc, v17, v10
	s_and_saveexec_b64 s[0:1], vcc
	s_cbranch_execnz .LBB2621_71
.LBB2621_56:
	s_or_b64 exec, exec, s[0:1]
	v_cmp_lt_u32_e32 vcc, v16, v10
	s_and_saveexec_b64 s[0:1], vcc
	s_cbranch_execz .LBB2621_58
.LBB2621_57:
	v_readfirstlane_b32 s2, v14
	v_readfirstlane_b32 s3, v15
	s_waitcnt lgkmcnt(0)
	s_nop 3
	global_store_dwordx2 v1, v[2:3], s[2:3] offset:3072
.LBB2621_58:
	s_or_b64 exec, exec, s[0:1]
	v_cmp_lt_u32_e64 s[0:1], v11, v10
	s_branch .LBB2621_65
.LBB2621_59:
	s_mov_b64 s[0:1], 0
                                        ; implicit-def: $vgpr14_vgpr15
	s_cbranch_execz .LBB2621_65
; %bb.60:
	s_lshl_b64 s[0:1], s[22:23], 3
	v_mov_b32_e32 v13, 0
	s_add_u32 s0, s4, s0
	s_addc_u32 s1, s5, s1
	v_lshlrev_b64 v[14:15], 3, v[12:13]
	v_mov_b32_e32 v13, s1
	v_add_co_u32_e32 v14, vcc, s0, v14
	v_min_u32_e32 v18, s33, v10
	v_addc_co_u32_e32 v15, vcc, v13, v15, vcc
	v_cmp_gt_u32_e32 vcc, v18, v0
	s_and_saveexec_b64 s[0:1], vcc
	s_cbranch_execnz .LBB2621_72
; %bb.61:
	s_or_b64 exec, exec, s[0:1]
	v_cmp_lt_u32_e32 vcc, v17, v18
	s_and_saveexec_b64 s[0:1], vcc
	s_cbranch_execnz .LBB2621_73
.LBB2621_62:
	s_or_b64 exec, exec, s[0:1]
	v_cmp_lt_u32_e32 vcc, v16, v18
	s_and_saveexec_b64 s[0:1], vcc
	s_cbranch_execz .LBB2621_64
.LBB2621_63:
	v_readfirstlane_b32 s2, v14
	v_readfirstlane_b32 s3, v15
	s_waitcnt lgkmcnt(0)
	s_nop 3
	global_store_dwordx2 v1, v[2:3], s[2:3] offset:3072
.LBB2621_64:
	s_or_b64 exec, exec, s[0:1]
	v_cmp_lt_u32_e64 s[0:1], v11, v18
.LBB2621_65:
	s_and_saveexec_b64 s[2:3], s[0:1]
	s_cbranch_execz .LBB2621_67
; %bb.66:
	v_lshlrev_b32_e32 v1, 3, v11
	v_readfirstlane_b32 s0, v14
	v_readfirstlane_b32 s1, v15
	s_waitcnt lgkmcnt(0)
	s_nop 3
	global_store_dwordx2 v1, v[4:5], s[0:1]
.LBB2621_67:
	s_or_b64 exec, exec, s[2:3]
	v_cmp_eq_u32_e32 vcc, 0, v0
	s_and_b64 s[0:1], vcc, s[26:27]
	s_and_saveexec_b64 s[2:3], s[0:1]
	s_cbranch_execz .LBB2621_69
; %bb.68:
	v_mov_b32_e32 v0, s23
	v_add_co_u32_e32 v1, vcc, s22, v10
	s_waitcnt lgkmcnt(0)
	v_addc_co_u32_e32 v3, vcc, 0, v0, vcc
	v_add_co_u32_e32 v0, vcc, v1, v12
	v_mov_b32_e32 v2, 0
	v_addc_co_u32_e32 v1, vcc, 0, v3, vcc
	global_store_dwordx2 v2, v[0:1], s[24:25]
.LBB2621_69:
	s_endpgm
.LBB2621_70:
	v_readfirstlane_b32 s2, v14
	v_readfirstlane_b32 s3, v15
	s_waitcnt lgkmcnt(1)
	s_nop 3
	global_store_dwordx2 v1, v[6:7], s[2:3]
	s_or_b64 exec, exec, s[0:1]
	v_cmp_lt_u32_e32 vcc, v17, v10
	s_and_saveexec_b64 s[0:1], vcc
	s_cbranch_execz .LBB2621_56
.LBB2621_71:
	v_readfirstlane_b32 s2, v14
	v_readfirstlane_b32 s3, v15
	s_waitcnt lgkmcnt(1)
	s_nop 3
	global_store_dwordx2 v1, v[8:9], s[2:3] offset:1536
	s_or_b64 exec, exec, s[0:1]
	v_cmp_lt_u32_e32 vcc, v16, v10
	s_and_saveexec_b64 s[0:1], vcc
	s_cbranch_execnz .LBB2621_57
	s_branch .LBB2621_58
.LBB2621_72:
	v_readfirstlane_b32 s2, v14
	v_readfirstlane_b32 s3, v15
	s_waitcnt lgkmcnt(1)
	s_nop 3
	global_store_dwordx2 v1, v[6:7], s[2:3]
	s_or_b64 exec, exec, s[0:1]
	v_cmp_lt_u32_e32 vcc, v17, v18
	s_and_saveexec_b64 s[0:1], vcc
	s_cbranch_execz .LBB2621_62
.LBB2621_73:
	v_readfirstlane_b32 s2, v14
	v_readfirstlane_b32 s3, v15
	s_waitcnt lgkmcnt(1)
	s_nop 3
	global_store_dwordx2 v1, v[8:9], s[2:3] offset:1536
	s_or_b64 exec, exec, s[0:1]
	v_cmp_lt_u32_e32 vcc, v16, v18
	s_and_saveexec_b64 s[0:1], vcc
	s_cbranch_execnz .LBB2621_63
	s_branch .LBB2621_64
	.section	.rodata,"a",@progbits
	.p2align	6, 0x0
	.amdhsa_kernel _ZN7rocprim17ROCPRIM_400000_NS6detail17trampoline_kernelINS0_14default_configENS1_25partition_config_selectorILNS1_17partition_subalgoE0ExNS0_10empty_typeEbEEZZNS1_14partition_implILS5_0ELb0ES3_jN6thrust23THRUST_200600_302600_NS6detail15normal_iteratorINSA_10device_ptrIxEEEEPS6_SG_NS0_5tupleIJSF_NSA_16discard_iteratorINSA_11use_defaultEEEEEENSH_IJSG_SG_EEES6_PlJ7is_evenIxEEEE10hipError_tPvRmT3_T4_T5_T6_T7_T9_mT8_P12ihipStream_tbDpT10_ENKUlT_T0_E_clISt17integral_constantIbLb0EES19_EEDaS14_S15_EUlS14_E_NS1_11comp_targetILNS1_3genE4ELNS1_11target_archE910ELNS1_3gpuE8ELNS1_3repE0EEENS1_30default_config_static_selectorELNS0_4arch9wavefront6targetE1EEEvT1_
		.amdhsa_group_segment_fixed_size 6344
		.amdhsa_private_segment_fixed_size 0
		.amdhsa_kernarg_size 128
		.amdhsa_user_sgpr_count 6
		.amdhsa_user_sgpr_private_segment_buffer 1
		.amdhsa_user_sgpr_dispatch_ptr 0
		.amdhsa_user_sgpr_queue_ptr 0
		.amdhsa_user_sgpr_kernarg_segment_ptr 1
		.amdhsa_user_sgpr_dispatch_id 0
		.amdhsa_user_sgpr_flat_scratch_init 0
		.amdhsa_user_sgpr_kernarg_preload_length 0
		.amdhsa_user_sgpr_kernarg_preload_offset 0
		.amdhsa_user_sgpr_private_segment_size 0
		.amdhsa_uses_dynamic_stack 0
		.amdhsa_system_sgpr_private_segment_wavefront_offset 0
		.amdhsa_system_sgpr_workgroup_id_x 1
		.amdhsa_system_sgpr_workgroup_id_y 0
		.amdhsa_system_sgpr_workgroup_id_z 0
		.amdhsa_system_sgpr_workgroup_info 0
		.amdhsa_system_vgpr_workitem_id 0
		.amdhsa_next_free_vgpr 43
		.amdhsa_next_free_sgpr 40
		.amdhsa_accum_offset 44
		.amdhsa_reserve_vcc 1
		.amdhsa_reserve_flat_scratch 0
		.amdhsa_float_round_mode_32 0
		.amdhsa_float_round_mode_16_64 0
		.amdhsa_float_denorm_mode_32 3
		.amdhsa_float_denorm_mode_16_64 3
		.amdhsa_dx10_clamp 1
		.amdhsa_ieee_mode 1
		.amdhsa_fp16_overflow 0
		.amdhsa_tg_split 0
		.amdhsa_exception_fp_ieee_invalid_op 0
		.amdhsa_exception_fp_denorm_src 0
		.amdhsa_exception_fp_ieee_div_zero 0
		.amdhsa_exception_fp_ieee_overflow 0
		.amdhsa_exception_fp_ieee_underflow 0
		.amdhsa_exception_fp_ieee_inexact 0
		.amdhsa_exception_int_div_zero 0
	.end_amdhsa_kernel
	.section	.text._ZN7rocprim17ROCPRIM_400000_NS6detail17trampoline_kernelINS0_14default_configENS1_25partition_config_selectorILNS1_17partition_subalgoE0ExNS0_10empty_typeEbEEZZNS1_14partition_implILS5_0ELb0ES3_jN6thrust23THRUST_200600_302600_NS6detail15normal_iteratorINSA_10device_ptrIxEEEEPS6_SG_NS0_5tupleIJSF_NSA_16discard_iteratorINSA_11use_defaultEEEEEENSH_IJSG_SG_EEES6_PlJ7is_evenIxEEEE10hipError_tPvRmT3_T4_T5_T6_T7_T9_mT8_P12ihipStream_tbDpT10_ENKUlT_T0_E_clISt17integral_constantIbLb0EES19_EEDaS14_S15_EUlS14_E_NS1_11comp_targetILNS1_3genE4ELNS1_11target_archE910ELNS1_3gpuE8ELNS1_3repE0EEENS1_30default_config_static_selectorELNS0_4arch9wavefront6targetE1EEEvT1_,"axG",@progbits,_ZN7rocprim17ROCPRIM_400000_NS6detail17trampoline_kernelINS0_14default_configENS1_25partition_config_selectorILNS1_17partition_subalgoE0ExNS0_10empty_typeEbEEZZNS1_14partition_implILS5_0ELb0ES3_jN6thrust23THRUST_200600_302600_NS6detail15normal_iteratorINSA_10device_ptrIxEEEEPS6_SG_NS0_5tupleIJSF_NSA_16discard_iteratorINSA_11use_defaultEEEEEENSH_IJSG_SG_EEES6_PlJ7is_evenIxEEEE10hipError_tPvRmT3_T4_T5_T6_T7_T9_mT8_P12ihipStream_tbDpT10_ENKUlT_T0_E_clISt17integral_constantIbLb0EES19_EEDaS14_S15_EUlS14_E_NS1_11comp_targetILNS1_3genE4ELNS1_11target_archE910ELNS1_3gpuE8ELNS1_3repE0EEENS1_30default_config_static_selectorELNS0_4arch9wavefront6targetE1EEEvT1_,comdat
.Lfunc_end2621:
	.size	_ZN7rocprim17ROCPRIM_400000_NS6detail17trampoline_kernelINS0_14default_configENS1_25partition_config_selectorILNS1_17partition_subalgoE0ExNS0_10empty_typeEbEEZZNS1_14partition_implILS5_0ELb0ES3_jN6thrust23THRUST_200600_302600_NS6detail15normal_iteratorINSA_10device_ptrIxEEEEPS6_SG_NS0_5tupleIJSF_NSA_16discard_iteratorINSA_11use_defaultEEEEEENSH_IJSG_SG_EEES6_PlJ7is_evenIxEEEE10hipError_tPvRmT3_T4_T5_T6_T7_T9_mT8_P12ihipStream_tbDpT10_ENKUlT_T0_E_clISt17integral_constantIbLb0EES19_EEDaS14_S15_EUlS14_E_NS1_11comp_targetILNS1_3genE4ELNS1_11target_archE910ELNS1_3gpuE8ELNS1_3repE0EEENS1_30default_config_static_selectorELNS0_4arch9wavefront6targetE1EEEvT1_, .Lfunc_end2621-_ZN7rocprim17ROCPRIM_400000_NS6detail17trampoline_kernelINS0_14default_configENS1_25partition_config_selectorILNS1_17partition_subalgoE0ExNS0_10empty_typeEbEEZZNS1_14partition_implILS5_0ELb0ES3_jN6thrust23THRUST_200600_302600_NS6detail15normal_iteratorINSA_10device_ptrIxEEEEPS6_SG_NS0_5tupleIJSF_NSA_16discard_iteratorINSA_11use_defaultEEEEEENSH_IJSG_SG_EEES6_PlJ7is_evenIxEEEE10hipError_tPvRmT3_T4_T5_T6_T7_T9_mT8_P12ihipStream_tbDpT10_ENKUlT_T0_E_clISt17integral_constantIbLb0EES19_EEDaS14_S15_EUlS14_E_NS1_11comp_targetILNS1_3genE4ELNS1_11target_archE910ELNS1_3gpuE8ELNS1_3repE0EEENS1_30default_config_static_selectorELNS0_4arch9wavefront6targetE1EEEvT1_
                                        ; -- End function
	.section	.AMDGPU.csdata,"",@progbits
; Kernel info:
; codeLenInByte = 3612
; NumSgprs: 44
; NumVgprs: 43
; NumAgprs: 0
; TotalNumVgprs: 43
; ScratchSize: 0
; MemoryBound: 0
; FloatMode: 240
; IeeeMode: 1
; LDSByteSize: 6344 bytes/workgroup (compile time only)
; SGPRBlocks: 5
; VGPRBlocks: 5
; NumSGPRsForWavesPerEU: 44
; NumVGPRsForWavesPerEU: 43
; AccumOffset: 44
; Occupancy: 8
; WaveLimiterHint : 1
; COMPUTE_PGM_RSRC2:SCRATCH_EN: 0
; COMPUTE_PGM_RSRC2:USER_SGPR: 6
; COMPUTE_PGM_RSRC2:TRAP_HANDLER: 0
; COMPUTE_PGM_RSRC2:TGID_X_EN: 1
; COMPUTE_PGM_RSRC2:TGID_Y_EN: 0
; COMPUTE_PGM_RSRC2:TGID_Z_EN: 0
; COMPUTE_PGM_RSRC2:TIDIG_COMP_CNT: 0
; COMPUTE_PGM_RSRC3_GFX90A:ACCUM_OFFSET: 10
; COMPUTE_PGM_RSRC3_GFX90A:TG_SPLIT: 0
	.section	.text._ZN7rocprim17ROCPRIM_400000_NS6detail17trampoline_kernelINS0_14default_configENS1_25partition_config_selectorILNS1_17partition_subalgoE0ExNS0_10empty_typeEbEEZZNS1_14partition_implILS5_0ELb0ES3_jN6thrust23THRUST_200600_302600_NS6detail15normal_iteratorINSA_10device_ptrIxEEEEPS6_SG_NS0_5tupleIJSF_NSA_16discard_iteratorINSA_11use_defaultEEEEEENSH_IJSG_SG_EEES6_PlJ7is_evenIxEEEE10hipError_tPvRmT3_T4_T5_T6_T7_T9_mT8_P12ihipStream_tbDpT10_ENKUlT_T0_E_clISt17integral_constantIbLb0EES19_EEDaS14_S15_EUlS14_E_NS1_11comp_targetILNS1_3genE3ELNS1_11target_archE908ELNS1_3gpuE7ELNS1_3repE0EEENS1_30default_config_static_selectorELNS0_4arch9wavefront6targetE1EEEvT1_,"axG",@progbits,_ZN7rocprim17ROCPRIM_400000_NS6detail17trampoline_kernelINS0_14default_configENS1_25partition_config_selectorILNS1_17partition_subalgoE0ExNS0_10empty_typeEbEEZZNS1_14partition_implILS5_0ELb0ES3_jN6thrust23THRUST_200600_302600_NS6detail15normal_iteratorINSA_10device_ptrIxEEEEPS6_SG_NS0_5tupleIJSF_NSA_16discard_iteratorINSA_11use_defaultEEEEEENSH_IJSG_SG_EEES6_PlJ7is_evenIxEEEE10hipError_tPvRmT3_T4_T5_T6_T7_T9_mT8_P12ihipStream_tbDpT10_ENKUlT_T0_E_clISt17integral_constantIbLb0EES19_EEDaS14_S15_EUlS14_E_NS1_11comp_targetILNS1_3genE3ELNS1_11target_archE908ELNS1_3gpuE7ELNS1_3repE0EEENS1_30default_config_static_selectorELNS0_4arch9wavefront6targetE1EEEvT1_,comdat
	.protected	_ZN7rocprim17ROCPRIM_400000_NS6detail17trampoline_kernelINS0_14default_configENS1_25partition_config_selectorILNS1_17partition_subalgoE0ExNS0_10empty_typeEbEEZZNS1_14partition_implILS5_0ELb0ES3_jN6thrust23THRUST_200600_302600_NS6detail15normal_iteratorINSA_10device_ptrIxEEEEPS6_SG_NS0_5tupleIJSF_NSA_16discard_iteratorINSA_11use_defaultEEEEEENSH_IJSG_SG_EEES6_PlJ7is_evenIxEEEE10hipError_tPvRmT3_T4_T5_T6_T7_T9_mT8_P12ihipStream_tbDpT10_ENKUlT_T0_E_clISt17integral_constantIbLb0EES19_EEDaS14_S15_EUlS14_E_NS1_11comp_targetILNS1_3genE3ELNS1_11target_archE908ELNS1_3gpuE7ELNS1_3repE0EEENS1_30default_config_static_selectorELNS0_4arch9wavefront6targetE1EEEvT1_ ; -- Begin function _ZN7rocprim17ROCPRIM_400000_NS6detail17trampoline_kernelINS0_14default_configENS1_25partition_config_selectorILNS1_17partition_subalgoE0ExNS0_10empty_typeEbEEZZNS1_14partition_implILS5_0ELb0ES3_jN6thrust23THRUST_200600_302600_NS6detail15normal_iteratorINSA_10device_ptrIxEEEEPS6_SG_NS0_5tupleIJSF_NSA_16discard_iteratorINSA_11use_defaultEEEEEENSH_IJSG_SG_EEES6_PlJ7is_evenIxEEEE10hipError_tPvRmT3_T4_T5_T6_T7_T9_mT8_P12ihipStream_tbDpT10_ENKUlT_T0_E_clISt17integral_constantIbLb0EES19_EEDaS14_S15_EUlS14_E_NS1_11comp_targetILNS1_3genE3ELNS1_11target_archE908ELNS1_3gpuE7ELNS1_3repE0EEENS1_30default_config_static_selectorELNS0_4arch9wavefront6targetE1EEEvT1_
	.globl	_ZN7rocprim17ROCPRIM_400000_NS6detail17trampoline_kernelINS0_14default_configENS1_25partition_config_selectorILNS1_17partition_subalgoE0ExNS0_10empty_typeEbEEZZNS1_14partition_implILS5_0ELb0ES3_jN6thrust23THRUST_200600_302600_NS6detail15normal_iteratorINSA_10device_ptrIxEEEEPS6_SG_NS0_5tupleIJSF_NSA_16discard_iteratorINSA_11use_defaultEEEEEENSH_IJSG_SG_EEES6_PlJ7is_evenIxEEEE10hipError_tPvRmT3_T4_T5_T6_T7_T9_mT8_P12ihipStream_tbDpT10_ENKUlT_T0_E_clISt17integral_constantIbLb0EES19_EEDaS14_S15_EUlS14_E_NS1_11comp_targetILNS1_3genE3ELNS1_11target_archE908ELNS1_3gpuE7ELNS1_3repE0EEENS1_30default_config_static_selectorELNS0_4arch9wavefront6targetE1EEEvT1_
	.p2align	8
	.type	_ZN7rocprim17ROCPRIM_400000_NS6detail17trampoline_kernelINS0_14default_configENS1_25partition_config_selectorILNS1_17partition_subalgoE0ExNS0_10empty_typeEbEEZZNS1_14partition_implILS5_0ELb0ES3_jN6thrust23THRUST_200600_302600_NS6detail15normal_iteratorINSA_10device_ptrIxEEEEPS6_SG_NS0_5tupleIJSF_NSA_16discard_iteratorINSA_11use_defaultEEEEEENSH_IJSG_SG_EEES6_PlJ7is_evenIxEEEE10hipError_tPvRmT3_T4_T5_T6_T7_T9_mT8_P12ihipStream_tbDpT10_ENKUlT_T0_E_clISt17integral_constantIbLb0EES19_EEDaS14_S15_EUlS14_E_NS1_11comp_targetILNS1_3genE3ELNS1_11target_archE908ELNS1_3gpuE7ELNS1_3repE0EEENS1_30default_config_static_selectorELNS0_4arch9wavefront6targetE1EEEvT1_,@function
_ZN7rocprim17ROCPRIM_400000_NS6detail17trampoline_kernelINS0_14default_configENS1_25partition_config_selectorILNS1_17partition_subalgoE0ExNS0_10empty_typeEbEEZZNS1_14partition_implILS5_0ELb0ES3_jN6thrust23THRUST_200600_302600_NS6detail15normal_iteratorINSA_10device_ptrIxEEEEPS6_SG_NS0_5tupleIJSF_NSA_16discard_iteratorINSA_11use_defaultEEEEEENSH_IJSG_SG_EEES6_PlJ7is_evenIxEEEE10hipError_tPvRmT3_T4_T5_T6_T7_T9_mT8_P12ihipStream_tbDpT10_ENKUlT_T0_E_clISt17integral_constantIbLb0EES19_EEDaS14_S15_EUlS14_E_NS1_11comp_targetILNS1_3genE3ELNS1_11target_archE908ELNS1_3gpuE7ELNS1_3repE0EEENS1_30default_config_static_selectorELNS0_4arch9wavefront6targetE1EEEvT1_: ; @_ZN7rocprim17ROCPRIM_400000_NS6detail17trampoline_kernelINS0_14default_configENS1_25partition_config_selectorILNS1_17partition_subalgoE0ExNS0_10empty_typeEbEEZZNS1_14partition_implILS5_0ELb0ES3_jN6thrust23THRUST_200600_302600_NS6detail15normal_iteratorINSA_10device_ptrIxEEEEPS6_SG_NS0_5tupleIJSF_NSA_16discard_iteratorINSA_11use_defaultEEEEEENSH_IJSG_SG_EEES6_PlJ7is_evenIxEEEE10hipError_tPvRmT3_T4_T5_T6_T7_T9_mT8_P12ihipStream_tbDpT10_ENKUlT_T0_E_clISt17integral_constantIbLb0EES19_EEDaS14_S15_EUlS14_E_NS1_11comp_targetILNS1_3genE3ELNS1_11target_archE908ELNS1_3gpuE7ELNS1_3repE0EEENS1_30default_config_static_selectorELNS0_4arch9wavefront6targetE1EEEvT1_
; %bb.0:
	.section	.rodata,"a",@progbits
	.p2align	6, 0x0
	.amdhsa_kernel _ZN7rocprim17ROCPRIM_400000_NS6detail17trampoline_kernelINS0_14default_configENS1_25partition_config_selectorILNS1_17partition_subalgoE0ExNS0_10empty_typeEbEEZZNS1_14partition_implILS5_0ELb0ES3_jN6thrust23THRUST_200600_302600_NS6detail15normal_iteratorINSA_10device_ptrIxEEEEPS6_SG_NS0_5tupleIJSF_NSA_16discard_iteratorINSA_11use_defaultEEEEEENSH_IJSG_SG_EEES6_PlJ7is_evenIxEEEE10hipError_tPvRmT3_T4_T5_T6_T7_T9_mT8_P12ihipStream_tbDpT10_ENKUlT_T0_E_clISt17integral_constantIbLb0EES19_EEDaS14_S15_EUlS14_E_NS1_11comp_targetILNS1_3genE3ELNS1_11target_archE908ELNS1_3gpuE7ELNS1_3repE0EEENS1_30default_config_static_selectorELNS0_4arch9wavefront6targetE1EEEvT1_
		.amdhsa_group_segment_fixed_size 0
		.amdhsa_private_segment_fixed_size 0
		.amdhsa_kernarg_size 128
		.amdhsa_user_sgpr_count 6
		.amdhsa_user_sgpr_private_segment_buffer 1
		.amdhsa_user_sgpr_dispatch_ptr 0
		.amdhsa_user_sgpr_queue_ptr 0
		.amdhsa_user_sgpr_kernarg_segment_ptr 1
		.amdhsa_user_sgpr_dispatch_id 0
		.amdhsa_user_sgpr_flat_scratch_init 0
		.amdhsa_user_sgpr_kernarg_preload_length 0
		.amdhsa_user_sgpr_kernarg_preload_offset 0
		.amdhsa_user_sgpr_private_segment_size 0
		.amdhsa_uses_dynamic_stack 0
		.amdhsa_system_sgpr_private_segment_wavefront_offset 0
		.amdhsa_system_sgpr_workgroup_id_x 1
		.amdhsa_system_sgpr_workgroup_id_y 0
		.amdhsa_system_sgpr_workgroup_id_z 0
		.amdhsa_system_sgpr_workgroup_info 0
		.amdhsa_system_vgpr_workitem_id 0
		.amdhsa_next_free_vgpr 1
		.amdhsa_next_free_sgpr 0
		.amdhsa_accum_offset 4
		.amdhsa_reserve_vcc 0
		.amdhsa_reserve_flat_scratch 0
		.amdhsa_float_round_mode_32 0
		.amdhsa_float_round_mode_16_64 0
		.amdhsa_float_denorm_mode_32 3
		.amdhsa_float_denorm_mode_16_64 3
		.amdhsa_dx10_clamp 1
		.amdhsa_ieee_mode 1
		.amdhsa_fp16_overflow 0
		.amdhsa_tg_split 0
		.amdhsa_exception_fp_ieee_invalid_op 0
		.amdhsa_exception_fp_denorm_src 0
		.amdhsa_exception_fp_ieee_div_zero 0
		.amdhsa_exception_fp_ieee_overflow 0
		.amdhsa_exception_fp_ieee_underflow 0
		.amdhsa_exception_fp_ieee_inexact 0
		.amdhsa_exception_int_div_zero 0
	.end_amdhsa_kernel
	.section	.text._ZN7rocprim17ROCPRIM_400000_NS6detail17trampoline_kernelINS0_14default_configENS1_25partition_config_selectorILNS1_17partition_subalgoE0ExNS0_10empty_typeEbEEZZNS1_14partition_implILS5_0ELb0ES3_jN6thrust23THRUST_200600_302600_NS6detail15normal_iteratorINSA_10device_ptrIxEEEEPS6_SG_NS0_5tupleIJSF_NSA_16discard_iteratorINSA_11use_defaultEEEEEENSH_IJSG_SG_EEES6_PlJ7is_evenIxEEEE10hipError_tPvRmT3_T4_T5_T6_T7_T9_mT8_P12ihipStream_tbDpT10_ENKUlT_T0_E_clISt17integral_constantIbLb0EES19_EEDaS14_S15_EUlS14_E_NS1_11comp_targetILNS1_3genE3ELNS1_11target_archE908ELNS1_3gpuE7ELNS1_3repE0EEENS1_30default_config_static_selectorELNS0_4arch9wavefront6targetE1EEEvT1_,"axG",@progbits,_ZN7rocprim17ROCPRIM_400000_NS6detail17trampoline_kernelINS0_14default_configENS1_25partition_config_selectorILNS1_17partition_subalgoE0ExNS0_10empty_typeEbEEZZNS1_14partition_implILS5_0ELb0ES3_jN6thrust23THRUST_200600_302600_NS6detail15normal_iteratorINSA_10device_ptrIxEEEEPS6_SG_NS0_5tupleIJSF_NSA_16discard_iteratorINSA_11use_defaultEEEEEENSH_IJSG_SG_EEES6_PlJ7is_evenIxEEEE10hipError_tPvRmT3_T4_T5_T6_T7_T9_mT8_P12ihipStream_tbDpT10_ENKUlT_T0_E_clISt17integral_constantIbLb0EES19_EEDaS14_S15_EUlS14_E_NS1_11comp_targetILNS1_3genE3ELNS1_11target_archE908ELNS1_3gpuE7ELNS1_3repE0EEENS1_30default_config_static_selectorELNS0_4arch9wavefront6targetE1EEEvT1_,comdat
.Lfunc_end2622:
	.size	_ZN7rocprim17ROCPRIM_400000_NS6detail17trampoline_kernelINS0_14default_configENS1_25partition_config_selectorILNS1_17partition_subalgoE0ExNS0_10empty_typeEbEEZZNS1_14partition_implILS5_0ELb0ES3_jN6thrust23THRUST_200600_302600_NS6detail15normal_iteratorINSA_10device_ptrIxEEEEPS6_SG_NS0_5tupleIJSF_NSA_16discard_iteratorINSA_11use_defaultEEEEEENSH_IJSG_SG_EEES6_PlJ7is_evenIxEEEE10hipError_tPvRmT3_T4_T5_T6_T7_T9_mT8_P12ihipStream_tbDpT10_ENKUlT_T0_E_clISt17integral_constantIbLb0EES19_EEDaS14_S15_EUlS14_E_NS1_11comp_targetILNS1_3genE3ELNS1_11target_archE908ELNS1_3gpuE7ELNS1_3repE0EEENS1_30default_config_static_selectorELNS0_4arch9wavefront6targetE1EEEvT1_, .Lfunc_end2622-_ZN7rocprim17ROCPRIM_400000_NS6detail17trampoline_kernelINS0_14default_configENS1_25partition_config_selectorILNS1_17partition_subalgoE0ExNS0_10empty_typeEbEEZZNS1_14partition_implILS5_0ELb0ES3_jN6thrust23THRUST_200600_302600_NS6detail15normal_iteratorINSA_10device_ptrIxEEEEPS6_SG_NS0_5tupleIJSF_NSA_16discard_iteratorINSA_11use_defaultEEEEEENSH_IJSG_SG_EEES6_PlJ7is_evenIxEEEE10hipError_tPvRmT3_T4_T5_T6_T7_T9_mT8_P12ihipStream_tbDpT10_ENKUlT_T0_E_clISt17integral_constantIbLb0EES19_EEDaS14_S15_EUlS14_E_NS1_11comp_targetILNS1_3genE3ELNS1_11target_archE908ELNS1_3gpuE7ELNS1_3repE0EEENS1_30default_config_static_selectorELNS0_4arch9wavefront6targetE1EEEvT1_
                                        ; -- End function
	.section	.AMDGPU.csdata,"",@progbits
; Kernel info:
; codeLenInByte = 0
; NumSgprs: 4
; NumVgprs: 0
; NumAgprs: 0
; TotalNumVgprs: 0
; ScratchSize: 0
; MemoryBound: 0
; FloatMode: 240
; IeeeMode: 1
; LDSByteSize: 0 bytes/workgroup (compile time only)
; SGPRBlocks: 0
; VGPRBlocks: 0
; NumSGPRsForWavesPerEU: 4
; NumVGPRsForWavesPerEU: 1
; AccumOffset: 4
; Occupancy: 8
; WaveLimiterHint : 0
; COMPUTE_PGM_RSRC2:SCRATCH_EN: 0
; COMPUTE_PGM_RSRC2:USER_SGPR: 6
; COMPUTE_PGM_RSRC2:TRAP_HANDLER: 0
; COMPUTE_PGM_RSRC2:TGID_X_EN: 1
; COMPUTE_PGM_RSRC2:TGID_Y_EN: 0
; COMPUTE_PGM_RSRC2:TGID_Z_EN: 0
; COMPUTE_PGM_RSRC2:TIDIG_COMP_CNT: 0
; COMPUTE_PGM_RSRC3_GFX90A:ACCUM_OFFSET: 0
; COMPUTE_PGM_RSRC3_GFX90A:TG_SPLIT: 0
	.section	.text._ZN7rocprim17ROCPRIM_400000_NS6detail17trampoline_kernelINS0_14default_configENS1_25partition_config_selectorILNS1_17partition_subalgoE0ExNS0_10empty_typeEbEEZZNS1_14partition_implILS5_0ELb0ES3_jN6thrust23THRUST_200600_302600_NS6detail15normal_iteratorINSA_10device_ptrIxEEEEPS6_SG_NS0_5tupleIJSF_NSA_16discard_iteratorINSA_11use_defaultEEEEEENSH_IJSG_SG_EEES6_PlJ7is_evenIxEEEE10hipError_tPvRmT3_T4_T5_T6_T7_T9_mT8_P12ihipStream_tbDpT10_ENKUlT_T0_E_clISt17integral_constantIbLb0EES19_EEDaS14_S15_EUlS14_E_NS1_11comp_targetILNS1_3genE2ELNS1_11target_archE906ELNS1_3gpuE6ELNS1_3repE0EEENS1_30default_config_static_selectorELNS0_4arch9wavefront6targetE1EEEvT1_,"axG",@progbits,_ZN7rocprim17ROCPRIM_400000_NS6detail17trampoline_kernelINS0_14default_configENS1_25partition_config_selectorILNS1_17partition_subalgoE0ExNS0_10empty_typeEbEEZZNS1_14partition_implILS5_0ELb0ES3_jN6thrust23THRUST_200600_302600_NS6detail15normal_iteratorINSA_10device_ptrIxEEEEPS6_SG_NS0_5tupleIJSF_NSA_16discard_iteratorINSA_11use_defaultEEEEEENSH_IJSG_SG_EEES6_PlJ7is_evenIxEEEE10hipError_tPvRmT3_T4_T5_T6_T7_T9_mT8_P12ihipStream_tbDpT10_ENKUlT_T0_E_clISt17integral_constantIbLb0EES19_EEDaS14_S15_EUlS14_E_NS1_11comp_targetILNS1_3genE2ELNS1_11target_archE906ELNS1_3gpuE6ELNS1_3repE0EEENS1_30default_config_static_selectorELNS0_4arch9wavefront6targetE1EEEvT1_,comdat
	.protected	_ZN7rocprim17ROCPRIM_400000_NS6detail17trampoline_kernelINS0_14default_configENS1_25partition_config_selectorILNS1_17partition_subalgoE0ExNS0_10empty_typeEbEEZZNS1_14partition_implILS5_0ELb0ES3_jN6thrust23THRUST_200600_302600_NS6detail15normal_iteratorINSA_10device_ptrIxEEEEPS6_SG_NS0_5tupleIJSF_NSA_16discard_iteratorINSA_11use_defaultEEEEEENSH_IJSG_SG_EEES6_PlJ7is_evenIxEEEE10hipError_tPvRmT3_T4_T5_T6_T7_T9_mT8_P12ihipStream_tbDpT10_ENKUlT_T0_E_clISt17integral_constantIbLb0EES19_EEDaS14_S15_EUlS14_E_NS1_11comp_targetILNS1_3genE2ELNS1_11target_archE906ELNS1_3gpuE6ELNS1_3repE0EEENS1_30default_config_static_selectorELNS0_4arch9wavefront6targetE1EEEvT1_ ; -- Begin function _ZN7rocprim17ROCPRIM_400000_NS6detail17trampoline_kernelINS0_14default_configENS1_25partition_config_selectorILNS1_17partition_subalgoE0ExNS0_10empty_typeEbEEZZNS1_14partition_implILS5_0ELb0ES3_jN6thrust23THRUST_200600_302600_NS6detail15normal_iteratorINSA_10device_ptrIxEEEEPS6_SG_NS0_5tupleIJSF_NSA_16discard_iteratorINSA_11use_defaultEEEEEENSH_IJSG_SG_EEES6_PlJ7is_evenIxEEEE10hipError_tPvRmT3_T4_T5_T6_T7_T9_mT8_P12ihipStream_tbDpT10_ENKUlT_T0_E_clISt17integral_constantIbLb0EES19_EEDaS14_S15_EUlS14_E_NS1_11comp_targetILNS1_3genE2ELNS1_11target_archE906ELNS1_3gpuE6ELNS1_3repE0EEENS1_30default_config_static_selectorELNS0_4arch9wavefront6targetE1EEEvT1_
	.globl	_ZN7rocprim17ROCPRIM_400000_NS6detail17trampoline_kernelINS0_14default_configENS1_25partition_config_selectorILNS1_17partition_subalgoE0ExNS0_10empty_typeEbEEZZNS1_14partition_implILS5_0ELb0ES3_jN6thrust23THRUST_200600_302600_NS6detail15normal_iteratorINSA_10device_ptrIxEEEEPS6_SG_NS0_5tupleIJSF_NSA_16discard_iteratorINSA_11use_defaultEEEEEENSH_IJSG_SG_EEES6_PlJ7is_evenIxEEEE10hipError_tPvRmT3_T4_T5_T6_T7_T9_mT8_P12ihipStream_tbDpT10_ENKUlT_T0_E_clISt17integral_constantIbLb0EES19_EEDaS14_S15_EUlS14_E_NS1_11comp_targetILNS1_3genE2ELNS1_11target_archE906ELNS1_3gpuE6ELNS1_3repE0EEENS1_30default_config_static_selectorELNS0_4arch9wavefront6targetE1EEEvT1_
	.p2align	8
	.type	_ZN7rocprim17ROCPRIM_400000_NS6detail17trampoline_kernelINS0_14default_configENS1_25partition_config_selectorILNS1_17partition_subalgoE0ExNS0_10empty_typeEbEEZZNS1_14partition_implILS5_0ELb0ES3_jN6thrust23THRUST_200600_302600_NS6detail15normal_iteratorINSA_10device_ptrIxEEEEPS6_SG_NS0_5tupleIJSF_NSA_16discard_iteratorINSA_11use_defaultEEEEEENSH_IJSG_SG_EEES6_PlJ7is_evenIxEEEE10hipError_tPvRmT3_T4_T5_T6_T7_T9_mT8_P12ihipStream_tbDpT10_ENKUlT_T0_E_clISt17integral_constantIbLb0EES19_EEDaS14_S15_EUlS14_E_NS1_11comp_targetILNS1_3genE2ELNS1_11target_archE906ELNS1_3gpuE6ELNS1_3repE0EEENS1_30default_config_static_selectorELNS0_4arch9wavefront6targetE1EEEvT1_,@function
_ZN7rocprim17ROCPRIM_400000_NS6detail17trampoline_kernelINS0_14default_configENS1_25partition_config_selectorILNS1_17partition_subalgoE0ExNS0_10empty_typeEbEEZZNS1_14partition_implILS5_0ELb0ES3_jN6thrust23THRUST_200600_302600_NS6detail15normal_iteratorINSA_10device_ptrIxEEEEPS6_SG_NS0_5tupleIJSF_NSA_16discard_iteratorINSA_11use_defaultEEEEEENSH_IJSG_SG_EEES6_PlJ7is_evenIxEEEE10hipError_tPvRmT3_T4_T5_T6_T7_T9_mT8_P12ihipStream_tbDpT10_ENKUlT_T0_E_clISt17integral_constantIbLb0EES19_EEDaS14_S15_EUlS14_E_NS1_11comp_targetILNS1_3genE2ELNS1_11target_archE906ELNS1_3gpuE6ELNS1_3repE0EEENS1_30default_config_static_selectorELNS0_4arch9wavefront6targetE1EEEvT1_: ; @_ZN7rocprim17ROCPRIM_400000_NS6detail17trampoline_kernelINS0_14default_configENS1_25partition_config_selectorILNS1_17partition_subalgoE0ExNS0_10empty_typeEbEEZZNS1_14partition_implILS5_0ELb0ES3_jN6thrust23THRUST_200600_302600_NS6detail15normal_iteratorINSA_10device_ptrIxEEEEPS6_SG_NS0_5tupleIJSF_NSA_16discard_iteratorINSA_11use_defaultEEEEEENSH_IJSG_SG_EEES6_PlJ7is_evenIxEEEE10hipError_tPvRmT3_T4_T5_T6_T7_T9_mT8_P12ihipStream_tbDpT10_ENKUlT_T0_E_clISt17integral_constantIbLb0EES19_EEDaS14_S15_EUlS14_E_NS1_11comp_targetILNS1_3genE2ELNS1_11target_archE906ELNS1_3gpuE6ELNS1_3repE0EEENS1_30default_config_static_selectorELNS0_4arch9wavefront6targetE1EEEvT1_
; %bb.0:
	.section	.rodata,"a",@progbits
	.p2align	6, 0x0
	.amdhsa_kernel _ZN7rocprim17ROCPRIM_400000_NS6detail17trampoline_kernelINS0_14default_configENS1_25partition_config_selectorILNS1_17partition_subalgoE0ExNS0_10empty_typeEbEEZZNS1_14partition_implILS5_0ELb0ES3_jN6thrust23THRUST_200600_302600_NS6detail15normal_iteratorINSA_10device_ptrIxEEEEPS6_SG_NS0_5tupleIJSF_NSA_16discard_iteratorINSA_11use_defaultEEEEEENSH_IJSG_SG_EEES6_PlJ7is_evenIxEEEE10hipError_tPvRmT3_T4_T5_T6_T7_T9_mT8_P12ihipStream_tbDpT10_ENKUlT_T0_E_clISt17integral_constantIbLb0EES19_EEDaS14_S15_EUlS14_E_NS1_11comp_targetILNS1_3genE2ELNS1_11target_archE906ELNS1_3gpuE6ELNS1_3repE0EEENS1_30default_config_static_selectorELNS0_4arch9wavefront6targetE1EEEvT1_
		.amdhsa_group_segment_fixed_size 0
		.amdhsa_private_segment_fixed_size 0
		.amdhsa_kernarg_size 128
		.amdhsa_user_sgpr_count 6
		.amdhsa_user_sgpr_private_segment_buffer 1
		.amdhsa_user_sgpr_dispatch_ptr 0
		.amdhsa_user_sgpr_queue_ptr 0
		.amdhsa_user_sgpr_kernarg_segment_ptr 1
		.amdhsa_user_sgpr_dispatch_id 0
		.amdhsa_user_sgpr_flat_scratch_init 0
		.amdhsa_user_sgpr_kernarg_preload_length 0
		.amdhsa_user_sgpr_kernarg_preload_offset 0
		.amdhsa_user_sgpr_private_segment_size 0
		.amdhsa_uses_dynamic_stack 0
		.amdhsa_system_sgpr_private_segment_wavefront_offset 0
		.amdhsa_system_sgpr_workgroup_id_x 1
		.amdhsa_system_sgpr_workgroup_id_y 0
		.amdhsa_system_sgpr_workgroup_id_z 0
		.amdhsa_system_sgpr_workgroup_info 0
		.amdhsa_system_vgpr_workitem_id 0
		.amdhsa_next_free_vgpr 1
		.amdhsa_next_free_sgpr 0
		.amdhsa_accum_offset 4
		.amdhsa_reserve_vcc 0
		.amdhsa_reserve_flat_scratch 0
		.amdhsa_float_round_mode_32 0
		.amdhsa_float_round_mode_16_64 0
		.amdhsa_float_denorm_mode_32 3
		.amdhsa_float_denorm_mode_16_64 3
		.amdhsa_dx10_clamp 1
		.amdhsa_ieee_mode 1
		.amdhsa_fp16_overflow 0
		.amdhsa_tg_split 0
		.amdhsa_exception_fp_ieee_invalid_op 0
		.amdhsa_exception_fp_denorm_src 0
		.amdhsa_exception_fp_ieee_div_zero 0
		.amdhsa_exception_fp_ieee_overflow 0
		.amdhsa_exception_fp_ieee_underflow 0
		.amdhsa_exception_fp_ieee_inexact 0
		.amdhsa_exception_int_div_zero 0
	.end_amdhsa_kernel
	.section	.text._ZN7rocprim17ROCPRIM_400000_NS6detail17trampoline_kernelINS0_14default_configENS1_25partition_config_selectorILNS1_17partition_subalgoE0ExNS0_10empty_typeEbEEZZNS1_14partition_implILS5_0ELb0ES3_jN6thrust23THRUST_200600_302600_NS6detail15normal_iteratorINSA_10device_ptrIxEEEEPS6_SG_NS0_5tupleIJSF_NSA_16discard_iteratorINSA_11use_defaultEEEEEENSH_IJSG_SG_EEES6_PlJ7is_evenIxEEEE10hipError_tPvRmT3_T4_T5_T6_T7_T9_mT8_P12ihipStream_tbDpT10_ENKUlT_T0_E_clISt17integral_constantIbLb0EES19_EEDaS14_S15_EUlS14_E_NS1_11comp_targetILNS1_3genE2ELNS1_11target_archE906ELNS1_3gpuE6ELNS1_3repE0EEENS1_30default_config_static_selectorELNS0_4arch9wavefront6targetE1EEEvT1_,"axG",@progbits,_ZN7rocprim17ROCPRIM_400000_NS6detail17trampoline_kernelINS0_14default_configENS1_25partition_config_selectorILNS1_17partition_subalgoE0ExNS0_10empty_typeEbEEZZNS1_14partition_implILS5_0ELb0ES3_jN6thrust23THRUST_200600_302600_NS6detail15normal_iteratorINSA_10device_ptrIxEEEEPS6_SG_NS0_5tupleIJSF_NSA_16discard_iteratorINSA_11use_defaultEEEEEENSH_IJSG_SG_EEES6_PlJ7is_evenIxEEEE10hipError_tPvRmT3_T4_T5_T6_T7_T9_mT8_P12ihipStream_tbDpT10_ENKUlT_T0_E_clISt17integral_constantIbLb0EES19_EEDaS14_S15_EUlS14_E_NS1_11comp_targetILNS1_3genE2ELNS1_11target_archE906ELNS1_3gpuE6ELNS1_3repE0EEENS1_30default_config_static_selectorELNS0_4arch9wavefront6targetE1EEEvT1_,comdat
.Lfunc_end2623:
	.size	_ZN7rocprim17ROCPRIM_400000_NS6detail17trampoline_kernelINS0_14default_configENS1_25partition_config_selectorILNS1_17partition_subalgoE0ExNS0_10empty_typeEbEEZZNS1_14partition_implILS5_0ELb0ES3_jN6thrust23THRUST_200600_302600_NS6detail15normal_iteratorINSA_10device_ptrIxEEEEPS6_SG_NS0_5tupleIJSF_NSA_16discard_iteratorINSA_11use_defaultEEEEEENSH_IJSG_SG_EEES6_PlJ7is_evenIxEEEE10hipError_tPvRmT3_T4_T5_T6_T7_T9_mT8_P12ihipStream_tbDpT10_ENKUlT_T0_E_clISt17integral_constantIbLb0EES19_EEDaS14_S15_EUlS14_E_NS1_11comp_targetILNS1_3genE2ELNS1_11target_archE906ELNS1_3gpuE6ELNS1_3repE0EEENS1_30default_config_static_selectorELNS0_4arch9wavefront6targetE1EEEvT1_, .Lfunc_end2623-_ZN7rocprim17ROCPRIM_400000_NS6detail17trampoline_kernelINS0_14default_configENS1_25partition_config_selectorILNS1_17partition_subalgoE0ExNS0_10empty_typeEbEEZZNS1_14partition_implILS5_0ELb0ES3_jN6thrust23THRUST_200600_302600_NS6detail15normal_iteratorINSA_10device_ptrIxEEEEPS6_SG_NS0_5tupleIJSF_NSA_16discard_iteratorINSA_11use_defaultEEEEEENSH_IJSG_SG_EEES6_PlJ7is_evenIxEEEE10hipError_tPvRmT3_T4_T5_T6_T7_T9_mT8_P12ihipStream_tbDpT10_ENKUlT_T0_E_clISt17integral_constantIbLb0EES19_EEDaS14_S15_EUlS14_E_NS1_11comp_targetILNS1_3genE2ELNS1_11target_archE906ELNS1_3gpuE6ELNS1_3repE0EEENS1_30default_config_static_selectorELNS0_4arch9wavefront6targetE1EEEvT1_
                                        ; -- End function
	.section	.AMDGPU.csdata,"",@progbits
; Kernel info:
; codeLenInByte = 0
; NumSgprs: 4
; NumVgprs: 0
; NumAgprs: 0
; TotalNumVgprs: 0
; ScratchSize: 0
; MemoryBound: 0
; FloatMode: 240
; IeeeMode: 1
; LDSByteSize: 0 bytes/workgroup (compile time only)
; SGPRBlocks: 0
; VGPRBlocks: 0
; NumSGPRsForWavesPerEU: 4
; NumVGPRsForWavesPerEU: 1
; AccumOffset: 4
; Occupancy: 8
; WaveLimiterHint : 0
; COMPUTE_PGM_RSRC2:SCRATCH_EN: 0
; COMPUTE_PGM_RSRC2:USER_SGPR: 6
; COMPUTE_PGM_RSRC2:TRAP_HANDLER: 0
; COMPUTE_PGM_RSRC2:TGID_X_EN: 1
; COMPUTE_PGM_RSRC2:TGID_Y_EN: 0
; COMPUTE_PGM_RSRC2:TGID_Z_EN: 0
; COMPUTE_PGM_RSRC2:TIDIG_COMP_CNT: 0
; COMPUTE_PGM_RSRC3_GFX90A:ACCUM_OFFSET: 0
; COMPUTE_PGM_RSRC3_GFX90A:TG_SPLIT: 0
	.section	.text._ZN7rocprim17ROCPRIM_400000_NS6detail17trampoline_kernelINS0_14default_configENS1_25partition_config_selectorILNS1_17partition_subalgoE0ExNS0_10empty_typeEbEEZZNS1_14partition_implILS5_0ELb0ES3_jN6thrust23THRUST_200600_302600_NS6detail15normal_iteratorINSA_10device_ptrIxEEEEPS6_SG_NS0_5tupleIJSF_NSA_16discard_iteratorINSA_11use_defaultEEEEEENSH_IJSG_SG_EEES6_PlJ7is_evenIxEEEE10hipError_tPvRmT3_T4_T5_T6_T7_T9_mT8_P12ihipStream_tbDpT10_ENKUlT_T0_E_clISt17integral_constantIbLb0EES19_EEDaS14_S15_EUlS14_E_NS1_11comp_targetILNS1_3genE10ELNS1_11target_archE1200ELNS1_3gpuE4ELNS1_3repE0EEENS1_30default_config_static_selectorELNS0_4arch9wavefront6targetE1EEEvT1_,"axG",@progbits,_ZN7rocprim17ROCPRIM_400000_NS6detail17trampoline_kernelINS0_14default_configENS1_25partition_config_selectorILNS1_17partition_subalgoE0ExNS0_10empty_typeEbEEZZNS1_14partition_implILS5_0ELb0ES3_jN6thrust23THRUST_200600_302600_NS6detail15normal_iteratorINSA_10device_ptrIxEEEEPS6_SG_NS0_5tupleIJSF_NSA_16discard_iteratorINSA_11use_defaultEEEEEENSH_IJSG_SG_EEES6_PlJ7is_evenIxEEEE10hipError_tPvRmT3_T4_T5_T6_T7_T9_mT8_P12ihipStream_tbDpT10_ENKUlT_T0_E_clISt17integral_constantIbLb0EES19_EEDaS14_S15_EUlS14_E_NS1_11comp_targetILNS1_3genE10ELNS1_11target_archE1200ELNS1_3gpuE4ELNS1_3repE0EEENS1_30default_config_static_selectorELNS0_4arch9wavefront6targetE1EEEvT1_,comdat
	.protected	_ZN7rocprim17ROCPRIM_400000_NS6detail17trampoline_kernelINS0_14default_configENS1_25partition_config_selectorILNS1_17partition_subalgoE0ExNS0_10empty_typeEbEEZZNS1_14partition_implILS5_0ELb0ES3_jN6thrust23THRUST_200600_302600_NS6detail15normal_iteratorINSA_10device_ptrIxEEEEPS6_SG_NS0_5tupleIJSF_NSA_16discard_iteratorINSA_11use_defaultEEEEEENSH_IJSG_SG_EEES6_PlJ7is_evenIxEEEE10hipError_tPvRmT3_T4_T5_T6_T7_T9_mT8_P12ihipStream_tbDpT10_ENKUlT_T0_E_clISt17integral_constantIbLb0EES19_EEDaS14_S15_EUlS14_E_NS1_11comp_targetILNS1_3genE10ELNS1_11target_archE1200ELNS1_3gpuE4ELNS1_3repE0EEENS1_30default_config_static_selectorELNS0_4arch9wavefront6targetE1EEEvT1_ ; -- Begin function _ZN7rocprim17ROCPRIM_400000_NS6detail17trampoline_kernelINS0_14default_configENS1_25partition_config_selectorILNS1_17partition_subalgoE0ExNS0_10empty_typeEbEEZZNS1_14partition_implILS5_0ELb0ES3_jN6thrust23THRUST_200600_302600_NS6detail15normal_iteratorINSA_10device_ptrIxEEEEPS6_SG_NS0_5tupleIJSF_NSA_16discard_iteratorINSA_11use_defaultEEEEEENSH_IJSG_SG_EEES6_PlJ7is_evenIxEEEE10hipError_tPvRmT3_T4_T5_T6_T7_T9_mT8_P12ihipStream_tbDpT10_ENKUlT_T0_E_clISt17integral_constantIbLb0EES19_EEDaS14_S15_EUlS14_E_NS1_11comp_targetILNS1_3genE10ELNS1_11target_archE1200ELNS1_3gpuE4ELNS1_3repE0EEENS1_30default_config_static_selectorELNS0_4arch9wavefront6targetE1EEEvT1_
	.globl	_ZN7rocprim17ROCPRIM_400000_NS6detail17trampoline_kernelINS0_14default_configENS1_25partition_config_selectorILNS1_17partition_subalgoE0ExNS0_10empty_typeEbEEZZNS1_14partition_implILS5_0ELb0ES3_jN6thrust23THRUST_200600_302600_NS6detail15normal_iteratorINSA_10device_ptrIxEEEEPS6_SG_NS0_5tupleIJSF_NSA_16discard_iteratorINSA_11use_defaultEEEEEENSH_IJSG_SG_EEES6_PlJ7is_evenIxEEEE10hipError_tPvRmT3_T4_T5_T6_T7_T9_mT8_P12ihipStream_tbDpT10_ENKUlT_T0_E_clISt17integral_constantIbLb0EES19_EEDaS14_S15_EUlS14_E_NS1_11comp_targetILNS1_3genE10ELNS1_11target_archE1200ELNS1_3gpuE4ELNS1_3repE0EEENS1_30default_config_static_selectorELNS0_4arch9wavefront6targetE1EEEvT1_
	.p2align	8
	.type	_ZN7rocprim17ROCPRIM_400000_NS6detail17trampoline_kernelINS0_14default_configENS1_25partition_config_selectorILNS1_17partition_subalgoE0ExNS0_10empty_typeEbEEZZNS1_14partition_implILS5_0ELb0ES3_jN6thrust23THRUST_200600_302600_NS6detail15normal_iteratorINSA_10device_ptrIxEEEEPS6_SG_NS0_5tupleIJSF_NSA_16discard_iteratorINSA_11use_defaultEEEEEENSH_IJSG_SG_EEES6_PlJ7is_evenIxEEEE10hipError_tPvRmT3_T4_T5_T6_T7_T9_mT8_P12ihipStream_tbDpT10_ENKUlT_T0_E_clISt17integral_constantIbLb0EES19_EEDaS14_S15_EUlS14_E_NS1_11comp_targetILNS1_3genE10ELNS1_11target_archE1200ELNS1_3gpuE4ELNS1_3repE0EEENS1_30default_config_static_selectorELNS0_4arch9wavefront6targetE1EEEvT1_,@function
_ZN7rocprim17ROCPRIM_400000_NS6detail17trampoline_kernelINS0_14default_configENS1_25partition_config_selectorILNS1_17partition_subalgoE0ExNS0_10empty_typeEbEEZZNS1_14partition_implILS5_0ELb0ES3_jN6thrust23THRUST_200600_302600_NS6detail15normal_iteratorINSA_10device_ptrIxEEEEPS6_SG_NS0_5tupleIJSF_NSA_16discard_iteratorINSA_11use_defaultEEEEEENSH_IJSG_SG_EEES6_PlJ7is_evenIxEEEE10hipError_tPvRmT3_T4_T5_T6_T7_T9_mT8_P12ihipStream_tbDpT10_ENKUlT_T0_E_clISt17integral_constantIbLb0EES19_EEDaS14_S15_EUlS14_E_NS1_11comp_targetILNS1_3genE10ELNS1_11target_archE1200ELNS1_3gpuE4ELNS1_3repE0EEENS1_30default_config_static_selectorELNS0_4arch9wavefront6targetE1EEEvT1_: ; @_ZN7rocprim17ROCPRIM_400000_NS6detail17trampoline_kernelINS0_14default_configENS1_25partition_config_selectorILNS1_17partition_subalgoE0ExNS0_10empty_typeEbEEZZNS1_14partition_implILS5_0ELb0ES3_jN6thrust23THRUST_200600_302600_NS6detail15normal_iteratorINSA_10device_ptrIxEEEEPS6_SG_NS0_5tupleIJSF_NSA_16discard_iteratorINSA_11use_defaultEEEEEENSH_IJSG_SG_EEES6_PlJ7is_evenIxEEEE10hipError_tPvRmT3_T4_T5_T6_T7_T9_mT8_P12ihipStream_tbDpT10_ENKUlT_T0_E_clISt17integral_constantIbLb0EES19_EEDaS14_S15_EUlS14_E_NS1_11comp_targetILNS1_3genE10ELNS1_11target_archE1200ELNS1_3gpuE4ELNS1_3repE0EEENS1_30default_config_static_selectorELNS0_4arch9wavefront6targetE1EEEvT1_
; %bb.0:
	.section	.rodata,"a",@progbits
	.p2align	6, 0x0
	.amdhsa_kernel _ZN7rocprim17ROCPRIM_400000_NS6detail17trampoline_kernelINS0_14default_configENS1_25partition_config_selectorILNS1_17partition_subalgoE0ExNS0_10empty_typeEbEEZZNS1_14partition_implILS5_0ELb0ES3_jN6thrust23THRUST_200600_302600_NS6detail15normal_iteratorINSA_10device_ptrIxEEEEPS6_SG_NS0_5tupleIJSF_NSA_16discard_iteratorINSA_11use_defaultEEEEEENSH_IJSG_SG_EEES6_PlJ7is_evenIxEEEE10hipError_tPvRmT3_T4_T5_T6_T7_T9_mT8_P12ihipStream_tbDpT10_ENKUlT_T0_E_clISt17integral_constantIbLb0EES19_EEDaS14_S15_EUlS14_E_NS1_11comp_targetILNS1_3genE10ELNS1_11target_archE1200ELNS1_3gpuE4ELNS1_3repE0EEENS1_30default_config_static_selectorELNS0_4arch9wavefront6targetE1EEEvT1_
		.amdhsa_group_segment_fixed_size 0
		.amdhsa_private_segment_fixed_size 0
		.amdhsa_kernarg_size 128
		.amdhsa_user_sgpr_count 6
		.amdhsa_user_sgpr_private_segment_buffer 1
		.amdhsa_user_sgpr_dispatch_ptr 0
		.amdhsa_user_sgpr_queue_ptr 0
		.amdhsa_user_sgpr_kernarg_segment_ptr 1
		.amdhsa_user_sgpr_dispatch_id 0
		.amdhsa_user_sgpr_flat_scratch_init 0
		.amdhsa_user_sgpr_kernarg_preload_length 0
		.amdhsa_user_sgpr_kernarg_preload_offset 0
		.amdhsa_user_sgpr_private_segment_size 0
		.amdhsa_uses_dynamic_stack 0
		.amdhsa_system_sgpr_private_segment_wavefront_offset 0
		.amdhsa_system_sgpr_workgroup_id_x 1
		.amdhsa_system_sgpr_workgroup_id_y 0
		.amdhsa_system_sgpr_workgroup_id_z 0
		.amdhsa_system_sgpr_workgroup_info 0
		.amdhsa_system_vgpr_workitem_id 0
		.amdhsa_next_free_vgpr 1
		.amdhsa_next_free_sgpr 0
		.amdhsa_accum_offset 4
		.amdhsa_reserve_vcc 0
		.amdhsa_reserve_flat_scratch 0
		.amdhsa_float_round_mode_32 0
		.amdhsa_float_round_mode_16_64 0
		.amdhsa_float_denorm_mode_32 3
		.amdhsa_float_denorm_mode_16_64 3
		.amdhsa_dx10_clamp 1
		.amdhsa_ieee_mode 1
		.amdhsa_fp16_overflow 0
		.amdhsa_tg_split 0
		.amdhsa_exception_fp_ieee_invalid_op 0
		.amdhsa_exception_fp_denorm_src 0
		.amdhsa_exception_fp_ieee_div_zero 0
		.amdhsa_exception_fp_ieee_overflow 0
		.amdhsa_exception_fp_ieee_underflow 0
		.amdhsa_exception_fp_ieee_inexact 0
		.amdhsa_exception_int_div_zero 0
	.end_amdhsa_kernel
	.section	.text._ZN7rocprim17ROCPRIM_400000_NS6detail17trampoline_kernelINS0_14default_configENS1_25partition_config_selectorILNS1_17partition_subalgoE0ExNS0_10empty_typeEbEEZZNS1_14partition_implILS5_0ELb0ES3_jN6thrust23THRUST_200600_302600_NS6detail15normal_iteratorINSA_10device_ptrIxEEEEPS6_SG_NS0_5tupleIJSF_NSA_16discard_iteratorINSA_11use_defaultEEEEEENSH_IJSG_SG_EEES6_PlJ7is_evenIxEEEE10hipError_tPvRmT3_T4_T5_T6_T7_T9_mT8_P12ihipStream_tbDpT10_ENKUlT_T0_E_clISt17integral_constantIbLb0EES19_EEDaS14_S15_EUlS14_E_NS1_11comp_targetILNS1_3genE10ELNS1_11target_archE1200ELNS1_3gpuE4ELNS1_3repE0EEENS1_30default_config_static_selectorELNS0_4arch9wavefront6targetE1EEEvT1_,"axG",@progbits,_ZN7rocprim17ROCPRIM_400000_NS6detail17trampoline_kernelINS0_14default_configENS1_25partition_config_selectorILNS1_17partition_subalgoE0ExNS0_10empty_typeEbEEZZNS1_14partition_implILS5_0ELb0ES3_jN6thrust23THRUST_200600_302600_NS6detail15normal_iteratorINSA_10device_ptrIxEEEEPS6_SG_NS0_5tupleIJSF_NSA_16discard_iteratorINSA_11use_defaultEEEEEENSH_IJSG_SG_EEES6_PlJ7is_evenIxEEEE10hipError_tPvRmT3_T4_T5_T6_T7_T9_mT8_P12ihipStream_tbDpT10_ENKUlT_T0_E_clISt17integral_constantIbLb0EES19_EEDaS14_S15_EUlS14_E_NS1_11comp_targetILNS1_3genE10ELNS1_11target_archE1200ELNS1_3gpuE4ELNS1_3repE0EEENS1_30default_config_static_selectorELNS0_4arch9wavefront6targetE1EEEvT1_,comdat
.Lfunc_end2624:
	.size	_ZN7rocprim17ROCPRIM_400000_NS6detail17trampoline_kernelINS0_14default_configENS1_25partition_config_selectorILNS1_17partition_subalgoE0ExNS0_10empty_typeEbEEZZNS1_14partition_implILS5_0ELb0ES3_jN6thrust23THRUST_200600_302600_NS6detail15normal_iteratorINSA_10device_ptrIxEEEEPS6_SG_NS0_5tupleIJSF_NSA_16discard_iteratorINSA_11use_defaultEEEEEENSH_IJSG_SG_EEES6_PlJ7is_evenIxEEEE10hipError_tPvRmT3_T4_T5_T6_T7_T9_mT8_P12ihipStream_tbDpT10_ENKUlT_T0_E_clISt17integral_constantIbLb0EES19_EEDaS14_S15_EUlS14_E_NS1_11comp_targetILNS1_3genE10ELNS1_11target_archE1200ELNS1_3gpuE4ELNS1_3repE0EEENS1_30default_config_static_selectorELNS0_4arch9wavefront6targetE1EEEvT1_, .Lfunc_end2624-_ZN7rocprim17ROCPRIM_400000_NS6detail17trampoline_kernelINS0_14default_configENS1_25partition_config_selectorILNS1_17partition_subalgoE0ExNS0_10empty_typeEbEEZZNS1_14partition_implILS5_0ELb0ES3_jN6thrust23THRUST_200600_302600_NS6detail15normal_iteratorINSA_10device_ptrIxEEEEPS6_SG_NS0_5tupleIJSF_NSA_16discard_iteratorINSA_11use_defaultEEEEEENSH_IJSG_SG_EEES6_PlJ7is_evenIxEEEE10hipError_tPvRmT3_T4_T5_T6_T7_T9_mT8_P12ihipStream_tbDpT10_ENKUlT_T0_E_clISt17integral_constantIbLb0EES19_EEDaS14_S15_EUlS14_E_NS1_11comp_targetILNS1_3genE10ELNS1_11target_archE1200ELNS1_3gpuE4ELNS1_3repE0EEENS1_30default_config_static_selectorELNS0_4arch9wavefront6targetE1EEEvT1_
                                        ; -- End function
	.section	.AMDGPU.csdata,"",@progbits
; Kernel info:
; codeLenInByte = 0
; NumSgprs: 4
; NumVgprs: 0
; NumAgprs: 0
; TotalNumVgprs: 0
; ScratchSize: 0
; MemoryBound: 0
; FloatMode: 240
; IeeeMode: 1
; LDSByteSize: 0 bytes/workgroup (compile time only)
; SGPRBlocks: 0
; VGPRBlocks: 0
; NumSGPRsForWavesPerEU: 4
; NumVGPRsForWavesPerEU: 1
; AccumOffset: 4
; Occupancy: 8
; WaveLimiterHint : 0
; COMPUTE_PGM_RSRC2:SCRATCH_EN: 0
; COMPUTE_PGM_RSRC2:USER_SGPR: 6
; COMPUTE_PGM_RSRC2:TRAP_HANDLER: 0
; COMPUTE_PGM_RSRC2:TGID_X_EN: 1
; COMPUTE_PGM_RSRC2:TGID_Y_EN: 0
; COMPUTE_PGM_RSRC2:TGID_Z_EN: 0
; COMPUTE_PGM_RSRC2:TIDIG_COMP_CNT: 0
; COMPUTE_PGM_RSRC3_GFX90A:ACCUM_OFFSET: 0
; COMPUTE_PGM_RSRC3_GFX90A:TG_SPLIT: 0
	.section	.text._ZN7rocprim17ROCPRIM_400000_NS6detail17trampoline_kernelINS0_14default_configENS1_25partition_config_selectorILNS1_17partition_subalgoE0ExNS0_10empty_typeEbEEZZNS1_14partition_implILS5_0ELb0ES3_jN6thrust23THRUST_200600_302600_NS6detail15normal_iteratorINSA_10device_ptrIxEEEEPS6_SG_NS0_5tupleIJSF_NSA_16discard_iteratorINSA_11use_defaultEEEEEENSH_IJSG_SG_EEES6_PlJ7is_evenIxEEEE10hipError_tPvRmT3_T4_T5_T6_T7_T9_mT8_P12ihipStream_tbDpT10_ENKUlT_T0_E_clISt17integral_constantIbLb0EES19_EEDaS14_S15_EUlS14_E_NS1_11comp_targetILNS1_3genE9ELNS1_11target_archE1100ELNS1_3gpuE3ELNS1_3repE0EEENS1_30default_config_static_selectorELNS0_4arch9wavefront6targetE1EEEvT1_,"axG",@progbits,_ZN7rocprim17ROCPRIM_400000_NS6detail17trampoline_kernelINS0_14default_configENS1_25partition_config_selectorILNS1_17partition_subalgoE0ExNS0_10empty_typeEbEEZZNS1_14partition_implILS5_0ELb0ES3_jN6thrust23THRUST_200600_302600_NS6detail15normal_iteratorINSA_10device_ptrIxEEEEPS6_SG_NS0_5tupleIJSF_NSA_16discard_iteratorINSA_11use_defaultEEEEEENSH_IJSG_SG_EEES6_PlJ7is_evenIxEEEE10hipError_tPvRmT3_T4_T5_T6_T7_T9_mT8_P12ihipStream_tbDpT10_ENKUlT_T0_E_clISt17integral_constantIbLb0EES19_EEDaS14_S15_EUlS14_E_NS1_11comp_targetILNS1_3genE9ELNS1_11target_archE1100ELNS1_3gpuE3ELNS1_3repE0EEENS1_30default_config_static_selectorELNS0_4arch9wavefront6targetE1EEEvT1_,comdat
	.protected	_ZN7rocprim17ROCPRIM_400000_NS6detail17trampoline_kernelINS0_14default_configENS1_25partition_config_selectorILNS1_17partition_subalgoE0ExNS0_10empty_typeEbEEZZNS1_14partition_implILS5_0ELb0ES3_jN6thrust23THRUST_200600_302600_NS6detail15normal_iteratorINSA_10device_ptrIxEEEEPS6_SG_NS0_5tupleIJSF_NSA_16discard_iteratorINSA_11use_defaultEEEEEENSH_IJSG_SG_EEES6_PlJ7is_evenIxEEEE10hipError_tPvRmT3_T4_T5_T6_T7_T9_mT8_P12ihipStream_tbDpT10_ENKUlT_T0_E_clISt17integral_constantIbLb0EES19_EEDaS14_S15_EUlS14_E_NS1_11comp_targetILNS1_3genE9ELNS1_11target_archE1100ELNS1_3gpuE3ELNS1_3repE0EEENS1_30default_config_static_selectorELNS0_4arch9wavefront6targetE1EEEvT1_ ; -- Begin function _ZN7rocprim17ROCPRIM_400000_NS6detail17trampoline_kernelINS0_14default_configENS1_25partition_config_selectorILNS1_17partition_subalgoE0ExNS0_10empty_typeEbEEZZNS1_14partition_implILS5_0ELb0ES3_jN6thrust23THRUST_200600_302600_NS6detail15normal_iteratorINSA_10device_ptrIxEEEEPS6_SG_NS0_5tupleIJSF_NSA_16discard_iteratorINSA_11use_defaultEEEEEENSH_IJSG_SG_EEES6_PlJ7is_evenIxEEEE10hipError_tPvRmT3_T4_T5_T6_T7_T9_mT8_P12ihipStream_tbDpT10_ENKUlT_T0_E_clISt17integral_constantIbLb0EES19_EEDaS14_S15_EUlS14_E_NS1_11comp_targetILNS1_3genE9ELNS1_11target_archE1100ELNS1_3gpuE3ELNS1_3repE0EEENS1_30default_config_static_selectorELNS0_4arch9wavefront6targetE1EEEvT1_
	.globl	_ZN7rocprim17ROCPRIM_400000_NS6detail17trampoline_kernelINS0_14default_configENS1_25partition_config_selectorILNS1_17partition_subalgoE0ExNS0_10empty_typeEbEEZZNS1_14partition_implILS5_0ELb0ES3_jN6thrust23THRUST_200600_302600_NS6detail15normal_iteratorINSA_10device_ptrIxEEEEPS6_SG_NS0_5tupleIJSF_NSA_16discard_iteratorINSA_11use_defaultEEEEEENSH_IJSG_SG_EEES6_PlJ7is_evenIxEEEE10hipError_tPvRmT3_T4_T5_T6_T7_T9_mT8_P12ihipStream_tbDpT10_ENKUlT_T0_E_clISt17integral_constantIbLb0EES19_EEDaS14_S15_EUlS14_E_NS1_11comp_targetILNS1_3genE9ELNS1_11target_archE1100ELNS1_3gpuE3ELNS1_3repE0EEENS1_30default_config_static_selectorELNS0_4arch9wavefront6targetE1EEEvT1_
	.p2align	8
	.type	_ZN7rocprim17ROCPRIM_400000_NS6detail17trampoline_kernelINS0_14default_configENS1_25partition_config_selectorILNS1_17partition_subalgoE0ExNS0_10empty_typeEbEEZZNS1_14partition_implILS5_0ELb0ES3_jN6thrust23THRUST_200600_302600_NS6detail15normal_iteratorINSA_10device_ptrIxEEEEPS6_SG_NS0_5tupleIJSF_NSA_16discard_iteratorINSA_11use_defaultEEEEEENSH_IJSG_SG_EEES6_PlJ7is_evenIxEEEE10hipError_tPvRmT3_T4_T5_T6_T7_T9_mT8_P12ihipStream_tbDpT10_ENKUlT_T0_E_clISt17integral_constantIbLb0EES19_EEDaS14_S15_EUlS14_E_NS1_11comp_targetILNS1_3genE9ELNS1_11target_archE1100ELNS1_3gpuE3ELNS1_3repE0EEENS1_30default_config_static_selectorELNS0_4arch9wavefront6targetE1EEEvT1_,@function
_ZN7rocprim17ROCPRIM_400000_NS6detail17trampoline_kernelINS0_14default_configENS1_25partition_config_selectorILNS1_17partition_subalgoE0ExNS0_10empty_typeEbEEZZNS1_14partition_implILS5_0ELb0ES3_jN6thrust23THRUST_200600_302600_NS6detail15normal_iteratorINSA_10device_ptrIxEEEEPS6_SG_NS0_5tupleIJSF_NSA_16discard_iteratorINSA_11use_defaultEEEEEENSH_IJSG_SG_EEES6_PlJ7is_evenIxEEEE10hipError_tPvRmT3_T4_T5_T6_T7_T9_mT8_P12ihipStream_tbDpT10_ENKUlT_T0_E_clISt17integral_constantIbLb0EES19_EEDaS14_S15_EUlS14_E_NS1_11comp_targetILNS1_3genE9ELNS1_11target_archE1100ELNS1_3gpuE3ELNS1_3repE0EEENS1_30default_config_static_selectorELNS0_4arch9wavefront6targetE1EEEvT1_: ; @_ZN7rocprim17ROCPRIM_400000_NS6detail17trampoline_kernelINS0_14default_configENS1_25partition_config_selectorILNS1_17partition_subalgoE0ExNS0_10empty_typeEbEEZZNS1_14partition_implILS5_0ELb0ES3_jN6thrust23THRUST_200600_302600_NS6detail15normal_iteratorINSA_10device_ptrIxEEEEPS6_SG_NS0_5tupleIJSF_NSA_16discard_iteratorINSA_11use_defaultEEEEEENSH_IJSG_SG_EEES6_PlJ7is_evenIxEEEE10hipError_tPvRmT3_T4_T5_T6_T7_T9_mT8_P12ihipStream_tbDpT10_ENKUlT_T0_E_clISt17integral_constantIbLb0EES19_EEDaS14_S15_EUlS14_E_NS1_11comp_targetILNS1_3genE9ELNS1_11target_archE1100ELNS1_3gpuE3ELNS1_3repE0EEENS1_30default_config_static_selectorELNS0_4arch9wavefront6targetE1EEEvT1_
; %bb.0:
	.section	.rodata,"a",@progbits
	.p2align	6, 0x0
	.amdhsa_kernel _ZN7rocprim17ROCPRIM_400000_NS6detail17trampoline_kernelINS0_14default_configENS1_25partition_config_selectorILNS1_17partition_subalgoE0ExNS0_10empty_typeEbEEZZNS1_14partition_implILS5_0ELb0ES3_jN6thrust23THRUST_200600_302600_NS6detail15normal_iteratorINSA_10device_ptrIxEEEEPS6_SG_NS0_5tupleIJSF_NSA_16discard_iteratorINSA_11use_defaultEEEEEENSH_IJSG_SG_EEES6_PlJ7is_evenIxEEEE10hipError_tPvRmT3_T4_T5_T6_T7_T9_mT8_P12ihipStream_tbDpT10_ENKUlT_T0_E_clISt17integral_constantIbLb0EES19_EEDaS14_S15_EUlS14_E_NS1_11comp_targetILNS1_3genE9ELNS1_11target_archE1100ELNS1_3gpuE3ELNS1_3repE0EEENS1_30default_config_static_selectorELNS0_4arch9wavefront6targetE1EEEvT1_
		.amdhsa_group_segment_fixed_size 0
		.amdhsa_private_segment_fixed_size 0
		.amdhsa_kernarg_size 128
		.amdhsa_user_sgpr_count 6
		.amdhsa_user_sgpr_private_segment_buffer 1
		.amdhsa_user_sgpr_dispatch_ptr 0
		.amdhsa_user_sgpr_queue_ptr 0
		.amdhsa_user_sgpr_kernarg_segment_ptr 1
		.amdhsa_user_sgpr_dispatch_id 0
		.amdhsa_user_sgpr_flat_scratch_init 0
		.amdhsa_user_sgpr_kernarg_preload_length 0
		.amdhsa_user_sgpr_kernarg_preload_offset 0
		.amdhsa_user_sgpr_private_segment_size 0
		.amdhsa_uses_dynamic_stack 0
		.amdhsa_system_sgpr_private_segment_wavefront_offset 0
		.amdhsa_system_sgpr_workgroup_id_x 1
		.amdhsa_system_sgpr_workgroup_id_y 0
		.amdhsa_system_sgpr_workgroup_id_z 0
		.amdhsa_system_sgpr_workgroup_info 0
		.amdhsa_system_vgpr_workitem_id 0
		.amdhsa_next_free_vgpr 1
		.amdhsa_next_free_sgpr 0
		.amdhsa_accum_offset 4
		.amdhsa_reserve_vcc 0
		.amdhsa_reserve_flat_scratch 0
		.amdhsa_float_round_mode_32 0
		.amdhsa_float_round_mode_16_64 0
		.amdhsa_float_denorm_mode_32 3
		.amdhsa_float_denorm_mode_16_64 3
		.amdhsa_dx10_clamp 1
		.amdhsa_ieee_mode 1
		.amdhsa_fp16_overflow 0
		.amdhsa_tg_split 0
		.amdhsa_exception_fp_ieee_invalid_op 0
		.amdhsa_exception_fp_denorm_src 0
		.amdhsa_exception_fp_ieee_div_zero 0
		.amdhsa_exception_fp_ieee_overflow 0
		.amdhsa_exception_fp_ieee_underflow 0
		.amdhsa_exception_fp_ieee_inexact 0
		.amdhsa_exception_int_div_zero 0
	.end_amdhsa_kernel
	.section	.text._ZN7rocprim17ROCPRIM_400000_NS6detail17trampoline_kernelINS0_14default_configENS1_25partition_config_selectorILNS1_17partition_subalgoE0ExNS0_10empty_typeEbEEZZNS1_14partition_implILS5_0ELb0ES3_jN6thrust23THRUST_200600_302600_NS6detail15normal_iteratorINSA_10device_ptrIxEEEEPS6_SG_NS0_5tupleIJSF_NSA_16discard_iteratorINSA_11use_defaultEEEEEENSH_IJSG_SG_EEES6_PlJ7is_evenIxEEEE10hipError_tPvRmT3_T4_T5_T6_T7_T9_mT8_P12ihipStream_tbDpT10_ENKUlT_T0_E_clISt17integral_constantIbLb0EES19_EEDaS14_S15_EUlS14_E_NS1_11comp_targetILNS1_3genE9ELNS1_11target_archE1100ELNS1_3gpuE3ELNS1_3repE0EEENS1_30default_config_static_selectorELNS0_4arch9wavefront6targetE1EEEvT1_,"axG",@progbits,_ZN7rocprim17ROCPRIM_400000_NS6detail17trampoline_kernelINS0_14default_configENS1_25partition_config_selectorILNS1_17partition_subalgoE0ExNS0_10empty_typeEbEEZZNS1_14partition_implILS5_0ELb0ES3_jN6thrust23THRUST_200600_302600_NS6detail15normal_iteratorINSA_10device_ptrIxEEEEPS6_SG_NS0_5tupleIJSF_NSA_16discard_iteratorINSA_11use_defaultEEEEEENSH_IJSG_SG_EEES6_PlJ7is_evenIxEEEE10hipError_tPvRmT3_T4_T5_T6_T7_T9_mT8_P12ihipStream_tbDpT10_ENKUlT_T0_E_clISt17integral_constantIbLb0EES19_EEDaS14_S15_EUlS14_E_NS1_11comp_targetILNS1_3genE9ELNS1_11target_archE1100ELNS1_3gpuE3ELNS1_3repE0EEENS1_30default_config_static_selectorELNS0_4arch9wavefront6targetE1EEEvT1_,comdat
.Lfunc_end2625:
	.size	_ZN7rocprim17ROCPRIM_400000_NS6detail17trampoline_kernelINS0_14default_configENS1_25partition_config_selectorILNS1_17partition_subalgoE0ExNS0_10empty_typeEbEEZZNS1_14partition_implILS5_0ELb0ES3_jN6thrust23THRUST_200600_302600_NS6detail15normal_iteratorINSA_10device_ptrIxEEEEPS6_SG_NS0_5tupleIJSF_NSA_16discard_iteratorINSA_11use_defaultEEEEEENSH_IJSG_SG_EEES6_PlJ7is_evenIxEEEE10hipError_tPvRmT3_T4_T5_T6_T7_T9_mT8_P12ihipStream_tbDpT10_ENKUlT_T0_E_clISt17integral_constantIbLb0EES19_EEDaS14_S15_EUlS14_E_NS1_11comp_targetILNS1_3genE9ELNS1_11target_archE1100ELNS1_3gpuE3ELNS1_3repE0EEENS1_30default_config_static_selectorELNS0_4arch9wavefront6targetE1EEEvT1_, .Lfunc_end2625-_ZN7rocprim17ROCPRIM_400000_NS6detail17trampoline_kernelINS0_14default_configENS1_25partition_config_selectorILNS1_17partition_subalgoE0ExNS0_10empty_typeEbEEZZNS1_14partition_implILS5_0ELb0ES3_jN6thrust23THRUST_200600_302600_NS6detail15normal_iteratorINSA_10device_ptrIxEEEEPS6_SG_NS0_5tupleIJSF_NSA_16discard_iteratorINSA_11use_defaultEEEEEENSH_IJSG_SG_EEES6_PlJ7is_evenIxEEEE10hipError_tPvRmT3_T4_T5_T6_T7_T9_mT8_P12ihipStream_tbDpT10_ENKUlT_T0_E_clISt17integral_constantIbLb0EES19_EEDaS14_S15_EUlS14_E_NS1_11comp_targetILNS1_3genE9ELNS1_11target_archE1100ELNS1_3gpuE3ELNS1_3repE0EEENS1_30default_config_static_selectorELNS0_4arch9wavefront6targetE1EEEvT1_
                                        ; -- End function
	.section	.AMDGPU.csdata,"",@progbits
; Kernel info:
; codeLenInByte = 0
; NumSgprs: 4
; NumVgprs: 0
; NumAgprs: 0
; TotalNumVgprs: 0
; ScratchSize: 0
; MemoryBound: 0
; FloatMode: 240
; IeeeMode: 1
; LDSByteSize: 0 bytes/workgroup (compile time only)
; SGPRBlocks: 0
; VGPRBlocks: 0
; NumSGPRsForWavesPerEU: 4
; NumVGPRsForWavesPerEU: 1
; AccumOffset: 4
; Occupancy: 8
; WaveLimiterHint : 0
; COMPUTE_PGM_RSRC2:SCRATCH_EN: 0
; COMPUTE_PGM_RSRC2:USER_SGPR: 6
; COMPUTE_PGM_RSRC2:TRAP_HANDLER: 0
; COMPUTE_PGM_RSRC2:TGID_X_EN: 1
; COMPUTE_PGM_RSRC2:TGID_Y_EN: 0
; COMPUTE_PGM_RSRC2:TGID_Z_EN: 0
; COMPUTE_PGM_RSRC2:TIDIG_COMP_CNT: 0
; COMPUTE_PGM_RSRC3_GFX90A:ACCUM_OFFSET: 0
; COMPUTE_PGM_RSRC3_GFX90A:TG_SPLIT: 0
	.section	.text._ZN7rocprim17ROCPRIM_400000_NS6detail17trampoline_kernelINS0_14default_configENS1_25partition_config_selectorILNS1_17partition_subalgoE0ExNS0_10empty_typeEbEEZZNS1_14partition_implILS5_0ELb0ES3_jN6thrust23THRUST_200600_302600_NS6detail15normal_iteratorINSA_10device_ptrIxEEEEPS6_SG_NS0_5tupleIJSF_NSA_16discard_iteratorINSA_11use_defaultEEEEEENSH_IJSG_SG_EEES6_PlJ7is_evenIxEEEE10hipError_tPvRmT3_T4_T5_T6_T7_T9_mT8_P12ihipStream_tbDpT10_ENKUlT_T0_E_clISt17integral_constantIbLb0EES19_EEDaS14_S15_EUlS14_E_NS1_11comp_targetILNS1_3genE8ELNS1_11target_archE1030ELNS1_3gpuE2ELNS1_3repE0EEENS1_30default_config_static_selectorELNS0_4arch9wavefront6targetE1EEEvT1_,"axG",@progbits,_ZN7rocprim17ROCPRIM_400000_NS6detail17trampoline_kernelINS0_14default_configENS1_25partition_config_selectorILNS1_17partition_subalgoE0ExNS0_10empty_typeEbEEZZNS1_14partition_implILS5_0ELb0ES3_jN6thrust23THRUST_200600_302600_NS6detail15normal_iteratorINSA_10device_ptrIxEEEEPS6_SG_NS0_5tupleIJSF_NSA_16discard_iteratorINSA_11use_defaultEEEEEENSH_IJSG_SG_EEES6_PlJ7is_evenIxEEEE10hipError_tPvRmT3_T4_T5_T6_T7_T9_mT8_P12ihipStream_tbDpT10_ENKUlT_T0_E_clISt17integral_constantIbLb0EES19_EEDaS14_S15_EUlS14_E_NS1_11comp_targetILNS1_3genE8ELNS1_11target_archE1030ELNS1_3gpuE2ELNS1_3repE0EEENS1_30default_config_static_selectorELNS0_4arch9wavefront6targetE1EEEvT1_,comdat
	.protected	_ZN7rocprim17ROCPRIM_400000_NS6detail17trampoline_kernelINS0_14default_configENS1_25partition_config_selectorILNS1_17partition_subalgoE0ExNS0_10empty_typeEbEEZZNS1_14partition_implILS5_0ELb0ES3_jN6thrust23THRUST_200600_302600_NS6detail15normal_iteratorINSA_10device_ptrIxEEEEPS6_SG_NS0_5tupleIJSF_NSA_16discard_iteratorINSA_11use_defaultEEEEEENSH_IJSG_SG_EEES6_PlJ7is_evenIxEEEE10hipError_tPvRmT3_T4_T5_T6_T7_T9_mT8_P12ihipStream_tbDpT10_ENKUlT_T0_E_clISt17integral_constantIbLb0EES19_EEDaS14_S15_EUlS14_E_NS1_11comp_targetILNS1_3genE8ELNS1_11target_archE1030ELNS1_3gpuE2ELNS1_3repE0EEENS1_30default_config_static_selectorELNS0_4arch9wavefront6targetE1EEEvT1_ ; -- Begin function _ZN7rocprim17ROCPRIM_400000_NS6detail17trampoline_kernelINS0_14default_configENS1_25partition_config_selectorILNS1_17partition_subalgoE0ExNS0_10empty_typeEbEEZZNS1_14partition_implILS5_0ELb0ES3_jN6thrust23THRUST_200600_302600_NS6detail15normal_iteratorINSA_10device_ptrIxEEEEPS6_SG_NS0_5tupleIJSF_NSA_16discard_iteratorINSA_11use_defaultEEEEEENSH_IJSG_SG_EEES6_PlJ7is_evenIxEEEE10hipError_tPvRmT3_T4_T5_T6_T7_T9_mT8_P12ihipStream_tbDpT10_ENKUlT_T0_E_clISt17integral_constantIbLb0EES19_EEDaS14_S15_EUlS14_E_NS1_11comp_targetILNS1_3genE8ELNS1_11target_archE1030ELNS1_3gpuE2ELNS1_3repE0EEENS1_30default_config_static_selectorELNS0_4arch9wavefront6targetE1EEEvT1_
	.globl	_ZN7rocprim17ROCPRIM_400000_NS6detail17trampoline_kernelINS0_14default_configENS1_25partition_config_selectorILNS1_17partition_subalgoE0ExNS0_10empty_typeEbEEZZNS1_14partition_implILS5_0ELb0ES3_jN6thrust23THRUST_200600_302600_NS6detail15normal_iteratorINSA_10device_ptrIxEEEEPS6_SG_NS0_5tupleIJSF_NSA_16discard_iteratorINSA_11use_defaultEEEEEENSH_IJSG_SG_EEES6_PlJ7is_evenIxEEEE10hipError_tPvRmT3_T4_T5_T6_T7_T9_mT8_P12ihipStream_tbDpT10_ENKUlT_T0_E_clISt17integral_constantIbLb0EES19_EEDaS14_S15_EUlS14_E_NS1_11comp_targetILNS1_3genE8ELNS1_11target_archE1030ELNS1_3gpuE2ELNS1_3repE0EEENS1_30default_config_static_selectorELNS0_4arch9wavefront6targetE1EEEvT1_
	.p2align	8
	.type	_ZN7rocprim17ROCPRIM_400000_NS6detail17trampoline_kernelINS0_14default_configENS1_25partition_config_selectorILNS1_17partition_subalgoE0ExNS0_10empty_typeEbEEZZNS1_14partition_implILS5_0ELb0ES3_jN6thrust23THRUST_200600_302600_NS6detail15normal_iteratorINSA_10device_ptrIxEEEEPS6_SG_NS0_5tupleIJSF_NSA_16discard_iteratorINSA_11use_defaultEEEEEENSH_IJSG_SG_EEES6_PlJ7is_evenIxEEEE10hipError_tPvRmT3_T4_T5_T6_T7_T9_mT8_P12ihipStream_tbDpT10_ENKUlT_T0_E_clISt17integral_constantIbLb0EES19_EEDaS14_S15_EUlS14_E_NS1_11comp_targetILNS1_3genE8ELNS1_11target_archE1030ELNS1_3gpuE2ELNS1_3repE0EEENS1_30default_config_static_selectorELNS0_4arch9wavefront6targetE1EEEvT1_,@function
_ZN7rocprim17ROCPRIM_400000_NS6detail17trampoline_kernelINS0_14default_configENS1_25partition_config_selectorILNS1_17partition_subalgoE0ExNS0_10empty_typeEbEEZZNS1_14partition_implILS5_0ELb0ES3_jN6thrust23THRUST_200600_302600_NS6detail15normal_iteratorINSA_10device_ptrIxEEEEPS6_SG_NS0_5tupleIJSF_NSA_16discard_iteratorINSA_11use_defaultEEEEEENSH_IJSG_SG_EEES6_PlJ7is_evenIxEEEE10hipError_tPvRmT3_T4_T5_T6_T7_T9_mT8_P12ihipStream_tbDpT10_ENKUlT_T0_E_clISt17integral_constantIbLb0EES19_EEDaS14_S15_EUlS14_E_NS1_11comp_targetILNS1_3genE8ELNS1_11target_archE1030ELNS1_3gpuE2ELNS1_3repE0EEENS1_30default_config_static_selectorELNS0_4arch9wavefront6targetE1EEEvT1_: ; @_ZN7rocprim17ROCPRIM_400000_NS6detail17trampoline_kernelINS0_14default_configENS1_25partition_config_selectorILNS1_17partition_subalgoE0ExNS0_10empty_typeEbEEZZNS1_14partition_implILS5_0ELb0ES3_jN6thrust23THRUST_200600_302600_NS6detail15normal_iteratorINSA_10device_ptrIxEEEEPS6_SG_NS0_5tupleIJSF_NSA_16discard_iteratorINSA_11use_defaultEEEEEENSH_IJSG_SG_EEES6_PlJ7is_evenIxEEEE10hipError_tPvRmT3_T4_T5_T6_T7_T9_mT8_P12ihipStream_tbDpT10_ENKUlT_T0_E_clISt17integral_constantIbLb0EES19_EEDaS14_S15_EUlS14_E_NS1_11comp_targetILNS1_3genE8ELNS1_11target_archE1030ELNS1_3gpuE2ELNS1_3repE0EEENS1_30default_config_static_selectorELNS0_4arch9wavefront6targetE1EEEvT1_
; %bb.0:
	.section	.rodata,"a",@progbits
	.p2align	6, 0x0
	.amdhsa_kernel _ZN7rocprim17ROCPRIM_400000_NS6detail17trampoline_kernelINS0_14default_configENS1_25partition_config_selectorILNS1_17partition_subalgoE0ExNS0_10empty_typeEbEEZZNS1_14partition_implILS5_0ELb0ES3_jN6thrust23THRUST_200600_302600_NS6detail15normal_iteratorINSA_10device_ptrIxEEEEPS6_SG_NS0_5tupleIJSF_NSA_16discard_iteratorINSA_11use_defaultEEEEEENSH_IJSG_SG_EEES6_PlJ7is_evenIxEEEE10hipError_tPvRmT3_T4_T5_T6_T7_T9_mT8_P12ihipStream_tbDpT10_ENKUlT_T0_E_clISt17integral_constantIbLb0EES19_EEDaS14_S15_EUlS14_E_NS1_11comp_targetILNS1_3genE8ELNS1_11target_archE1030ELNS1_3gpuE2ELNS1_3repE0EEENS1_30default_config_static_selectorELNS0_4arch9wavefront6targetE1EEEvT1_
		.amdhsa_group_segment_fixed_size 0
		.amdhsa_private_segment_fixed_size 0
		.amdhsa_kernarg_size 128
		.amdhsa_user_sgpr_count 6
		.amdhsa_user_sgpr_private_segment_buffer 1
		.amdhsa_user_sgpr_dispatch_ptr 0
		.amdhsa_user_sgpr_queue_ptr 0
		.amdhsa_user_sgpr_kernarg_segment_ptr 1
		.amdhsa_user_sgpr_dispatch_id 0
		.amdhsa_user_sgpr_flat_scratch_init 0
		.amdhsa_user_sgpr_kernarg_preload_length 0
		.amdhsa_user_sgpr_kernarg_preload_offset 0
		.amdhsa_user_sgpr_private_segment_size 0
		.amdhsa_uses_dynamic_stack 0
		.amdhsa_system_sgpr_private_segment_wavefront_offset 0
		.amdhsa_system_sgpr_workgroup_id_x 1
		.amdhsa_system_sgpr_workgroup_id_y 0
		.amdhsa_system_sgpr_workgroup_id_z 0
		.amdhsa_system_sgpr_workgroup_info 0
		.amdhsa_system_vgpr_workitem_id 0
		.amdhsa_next_free_vgpr 1
		.amdhsa_next_free_sgpr 0
		.amdhsa_accum_offset 4
		.amdhsa_reserve_vcc 0
		.amdhsa_reserve_flat_scratch 0
		.amdhsa_float_round_mode_32 0
		.amdhsa_float_round_mode_16_64 0
		.amdhsa_float_denorm_mode_32 3
		.amdhsa_float_denorm_mode_16_64 3
		.amdhsa_dx10_clamp 1
		.amdhsa_ieee_mode 1
		.amdhsa_fp16_overflow 0
		.amdhsa_tg_split 0
		.amdhsa_exception_fp_ieee_invalid_op 0
		.amdhsa_exception_fp_denorm_src 0
		.amdhsa_exception_fp_ieee_div_zero 0
		.amdhsa_exception_fp_ieee_overflow 0
		.amdhsa_exception_fp_ieee_underflow 0
		.amdhsa_exception_fp_ieee_inexact 0
		.amdhsa_exception_int_div_zero 0
	.end_amdhsa_kernel
	.section	.text._ZN7rocprim17ROCPRIM_400000_NS6detail17trampoline_kernelINS0_14default_configENS1_25partition_config_selectorILNS1_17partition_subalgoE0ExNS0_10empty_typeEbEEZZNS1_14partition_implILS5_0ELb0ES3_jN6thrust23THRUST_200600_302600_NS6detail15normal_iteratorINSA_10device_ptrIxEEEEPS6_SG_NS0_5tupleIJSF_NSA_16discard_iteratorINSA_11use_defaultEEEEEENSH_IJSG_SG_EEES6_PlJ7is_evenIxEEEE10hipError_tPvRmT3_T4_T5_T6_T7_T9_mT8_P12ihipStream_tbDpT10_ENKUlT_T0_E_clISt17integral_constantIbLb0EES19_EEDaS14_S15_EUlS14_E_NS1_11comp_targetILNS1_3genE8ELNS1_11target_archE1030ELNS1_3gpuE2ELNS1_3repE0EEENS1_30default_config_static_selectorELNS0_4arch9wavefront6targetE1EEEvT1_,"axG",@progbits,_ZN7rocprim17ROCPRIM_400000_NS6detail17trampoline_kernelINS0_14default_configENS1_25partition_config_selectorILNS1_17partition_subalgoE0ExNS0_10empty_typeEbEEZZNS1_14partition_implILS5_0ELb0ES3_jN6thrust23THRUST_200600_302600_NS6detail15normal_iteratorINSA_10device_ptrIxEEEEPS6_SG_NS0_5tupleIJSF_NSA_16discard_iteratorINSA_11use_defaultEEEEEENSH_IJSG_SG_EEES6_PlJ7is_evenIxEEEE10hipError_tPvRmT3_T4_T5_T6_T7_T9_mT8_P12ihipStream_tbDpT10_ENKUlT_T0_E_clISt17integral_constantIbLb0EES19_EEDaS14_S15_EUlS14_E_NS1_11comp_targetILNS1_3genE8ELNS1_11target_archE1030ELNS1_3gpuE2ELNS1_3repE0EEENS1_30default_config_static_selectorELNS0_4arch9wavefront6targetE1EEEvT1_,comdat
.Lfunc_end2626:
	.size	_ZN7rocprim17ROCPRIM_400000_NS6detail17trampoline_kernelINS0_14default_configENS1_25partition_config_selectorILNS1_17partition_subalgoE0ExNS0_10empty_typeEbEEZZNS1_14partition_implILS5_0ELb0ES3_jN6thrust23THRUST_200600_302600_NS6detail15normal_iteratorINSA_10device_ptrIxEEEEPS6_SG_NS0_5tupleIJSF_NSA_16discard_iteratorINSA_11use_defaultEEEEEENSH_IJSG_SG_EEES6_PlJ7is_evenIxEEEE10hipError_tPvRmT3_T4_T5_T6_T7_T9_mT8_P12ihipStream_tbDpT10_ENKUlT_T0_E_clISt17integral_constantIbLb0EES19_EEDaS14_S15_EUlS14_E_NS1_11comp_targetILNS1_3genE8ELNS1_11target_archE1030ELNS1_3gpuE2ELNS1_3repE0EEENS1_30default_config_static_selectorELNS0_4arch9wavefront6targetE1EEEvT1_, .Lfunc_end2626-_ZN7rocprim17ROCPRIM_400000_NS6detail17trampoline_kernelINS0_14default_configENS1_25partition_config_selectorILNS1_17partition_subalgoE0ExNS0_10empty_typeEbEEZZNS1_14partition_implILS5_0ELb0ES3_jN6thrust23THRUST_200600_302600_NS6detail15normal_iteratorINSA_10device_ptrIxEEEEPS6_SG_NS0_5tupleIJSF_NSA_16discard_iteratorINSA_11use_defaultEEEEEENSH_IJSG_SG_EEES6_PlJ7is_evenIxEEEE10hipError_tPvRmT3_T4_T5_T6_T7_T9_mT8_P12ihipStream_tbDpT10_ENKUlT_T0_E_clISt17integral_constantIbLb0EES19_EEDaS14_S15_EUlS14_E_NS1_11comp_targetILNS1_3genE8ELNS1_11target_archE1030ELNS1_3gpuE2ELNS1_3repE0EEENS1_30default_config_static_selectorELNS0_4arch9wavefront6targetE1EEEvT1_
                                        ; -- End function
	.section	.AMDGPU.csdata,"",@progbits
; Kernel info:
; codeLenInByte = 0
; NumSgprs: 4
; NumVgprs: 0
; NumAgprs: 0
; TotalNumVgprs: 0
; ScratchSize: 0
; MemoryBound: 0
; FloatMode: 240
; IeeeMode: 1
; LDSByteSize: 0 bytes/workgroup (compile time only)
; SGPRBlocks: 0
; VGPRBlocks: 0
; NumSGPRsForWavesPerEU: 4
; NumVGPRsForWavesPerEU: 1
; AccumOffset: 4
; Occupancy: 8
; WaveLimiterHint : 0
; COMPUTE_PGM_RSRC2:SCRATCH_EN: 0
; COMPUTE_PGM_RSRC2:USER_SGPR: 6
; COMPUTE_PGM_RSRC2:TRAP_HANDLER: 0
; COMPUTE_PGM_RSRC2:TGID_X_EN: 1
; COMPUTE_PGM_RSRC2:TGID_Y_EN: 0
; COMPUTE_PGM_RSRC2:TGID_Z_EN: 0
; COMPUTE_PGM_RSRC2:TIDIG_COMP_CNT: 0
; COMPUTE_PGM_RSRC3_GFX90A:ACCUM_OFFSET: 0
; COMPUTE_PGM_RSRC3_GFX90A:TG_SPLIT: 0
	.section	.text._ZN7rocprim17ROCPRIM_400000_NS6detail17trampoline_kernelINS0_14default_configENS1_25partition_config_selectorILNS1_17partition_subalgoE0ExNS0_10empty_typeEbEEZZNS1_14partition_implILS5_0ELb0ES3_jN6thrust23THRUST_200600_302600_NS6detail15normal_iteratorINSA_10device_ptrIxEEEEPS6_SG_NS0_5tupleIJSF_NSA_16discard_iteratorINSA_11use_defaultEEEEEENSH_IJSG_SG_EEES6_PlJ7is_evenIxEEEE10hipError_tPvRmT3_T4_T5_T6_T7_T9_mT8_P12ihipStream_tbDpT10_ENKUlT_T0_E_clISt17integral_constantIbLb1EES19_EEDaS14_S15_EUlS14_E_NS1_11comp_targetILNS1_3genE0ELNS1_11target_archE4294967295ELNS1_3gpuE0ELNS1_3repE0EEENS1_30default_config_static_selectorELNS0_4arch9wavefront6targetE1EEEvT1_,"axG",@progbits,_ZN7rocprim17ROCPRIM_400000_NS6detail17trampoline_kernelINS0_14default_configENS1_25partition_config_selectorILNS1_17partition_subalgoE0ExNS0_10empty_typeEbEEZZNS1_14partition_implILS5_0ELb0ES3_jN6thrust23THRUST_200600_302600_NS6detail15normal_iteratorINSA_10device_ptrIxEEEEPS6_SG_NS0_5tupleIJSF_NSA_16discard_iteratorINSA_11use_defaultEEEEEENSH_IJSG_SG_EEES6_PlJ7is_evenIxEEEE10hipError_tPvRmT3_T4_T5_T6_T7_T9_mT8_P12ihipStream_tbDpT10_ENKUlT_T0_E_clISt17integral_constantIbLb1EES19_EEDaS14_S15_EUlS14_E_NS1_11comp_targetILNS1_3genE0ELNS1_11target_archE4294967295ELNS1_3gpuE0ELNS1_3repE0EEENS1_30default_config_static_selectorELNS0_4arch9wavefront6targetE1EEEvT1_,comdat
	.protected	_ZN7rocprim17ROCPRIM_400000_NS6detail17trampoline_kernelINS0_14default_configENS1_25partition_config_selectorILNS1_17partition_subalgoE0ExNS0_10empty_typeEbEEZZNS1_14partition_implILS5_0ELb0ES3_jN6thrust23THRUST_200600_302600_NS6detail15normal_iteratorINSA_10device_ptrIxEEEEPS6_SG_NS0_5tupleIJSF_NSA_16discard_iteratorINSA_11use_defaultEEEEEENSH_IJSG_SG_EEES6_PlJ7is_evenIxEEEE10hipError_tPvRmT3_T4_T5_T6_T7_T9_mT8_P12ihipStream_tbDpT10_ENKUlT_T0_E_clISt17integral_constantIbLb1EES19_EEDaS14_S15_EUlS14_E_NS1_11comp_targetILNS1_3genE0ELNS1_11target_archE4294967295ELNS1_3gpuE0ELNS1_3repE0EEENS1_30default_config_static_selectorELNS0_4arch9wavefront6targetE1EEEvT1_ ; -- Begin function _ZN7rocprim17ROCPRIM_400000_NS6detail17trampoline_kernelINS0_14default_configENS1_25partition_config_selectorILNS1_17partition_subalgoE0ExNS0_10empty_typeEbEEZZNS1_14partition_implILS5_0ELb0ES3_jN6thrust23THRUST_200600_302600_NS6detail15normal_iteratorINSA_10device_ptrIxEEEEPS6_SG_NS0_5tupleIJSF_NSA_16discard_iteratorINSA_11use_defaultEEEEEENSH_IJSG_SG_EEES6_PlJ7is_evenIxEEEE10hipError_tPvRmT3_T4_T5_T6_T7_T9_mT8_P12ihipStream_tbDpT10_ENKUlT_T0_E_clISt17integral_constantIbLb1EES19_EEDaS14_S15_EUlS14_E_NS1_11comp_targetILNS1_3genE0ELNS1_11target_archE4294967295ELNS1_3gpuE0ELNS1_3repE0EEENS1_30default_config_static_selectorELNS0_4arch9wavefront6targetE1EEEvT1_
	.globl	_ZN7rocprim17ROCPRIM_400000_NS6detail17trampoline_kernelINS0_14default_configENS1_25partition_config_selectorILNS1_17partition_subalgoE0ExNS0_10empty_typeEbEEZZNS1_14partition_implILS5_0ELb0ES3_jN6thrust23THRUST_200600_302600_NS6detail15normal_iteratorINSA_10device_ptrIxEEEEPS6_SG_NS0_5tupleIJSF_NSA_16discard_iteratorINSA_11use_defaultEEEEEENSH_IJSG_SG_EEES6_PlJ7is_evenIxEEEE10hipError_tPvRmT3_T4_T5_T6_T7_T9_mT8_P12ihipStream_tbDpT10_ENKUlT_T0_E_clISt17integral_constantIbLb1EES19_EEDaS14_S15_EUlS14_E_NS1_11comp_targetILNS1_3genE0ELNS1_11target_archE4294967295ELNS1_3gpuE0ELNS1_3repE0EEENS1_30default_config_static_selectorELNS0_4arch9wavefront6targetE1EEEvT1_
	.p2align	8
	.type	_ZN7rocprim17ROCPRIM_400000_NS6detail17trampoline_kernelINS0_14default_configENS1_25partition_config_selectorILNS1_17partition_subalgoE0ExNS0_10empty_typeEbEEZZNS1_14partition_implILS5_0ELb0ES3_jN6thrust23THRUST_200600_302600_NS6detail15normal_iteratorINSA_10device_ptrIxEEEEPS6_SG_NS0_5tupleIJSF_NSA_16discard_iteratorINSA_11use_defaultEEEEEENSH_IJSG_SG_EEES6_PlJ7is_evenIxEEEE10hipError_tPvRmT3_T4_T5_T6_T7_T9_mT8_P12ihipStream_tbDpT10_ENKUlT_T0_E_clISt17integral_constantIbLb1EES19_EEDaS14_S15_EUlS14_E_NS1_11comp_targetILNS1_3genE0ELNS1_11target_archE4294967295ELNS1_3gpuE0ELNS1_3repE0EEENS1_30default_config_static_selectorELNS0_4arch9wavefront6targetE1EEEvT1_,@function
_ZN7rocprim17ROCPRIM_400000_NS6detail17trampoline_kernelINS0_14default_configENS1_25partition_config_selectorILNS1_17partition_subalgoE0ExNS0_10empty_typeEbEEZZNS1_14partition_implILS5_0ELb0ES3_jN6thrust23THRUST_200600_302600_NS6detail15normal_iteratorINSA_10device_ptrIxEEEEPS6_SG_NS0_5tupleIJSF_NSA_16discard_iteratorINSA_11use_defaultEEEEEENSH_IJSG_SG_EEES6_PlJ7is_evenIxEEEE10hipError_tPvRmT3_T4_T5_T6_T7_T9_mT8_P12ihipStream_tbDpT10_ENKUlT_T0_E_clISt17integral_constantIbLb1EES19_EEDaS14_S15_EUlS14_E_NS1_11comp_targetILNS1_3genE0ELNS1_11target_archE4294967295ELNS1_3gpuE0ELNS1_3repE0EEENS1_30default_config_static_selectorELNS0_4arch9wavefront6targetE1EEEvT1_: ; @_ZN7rocprim17ROCPRIM_400000_NS6detail17trampoline_kernelINS0_14default_configENS1_25partition_config_selectorILNS1_17partition_subalgoE0ExNS0_10empty_typeEbEEZZNS1_14partition_implILS5_0ELb0ES3_jN6thrust23THRUST_200600_302600_NS6detail15normal_iteratorINSA_10device_ptrIxEEEEPS6_SG_NS0_5tupleIJSF_NSA_16discard_iteratorINSA_11use_defaultEEEEEENSH_IJSG_SG_EEES6_PlJ7is_evenIxEEEE10hipError_tPvRmT3_T4_T5_T6_T7_T9_mT8_P12ihipStream_tbDpT10_ENKUlT_T0_E_clISt17integral_constantIbLb1EES19_EEDaS14_S15_EUlS14_E_NS1_11comp_targetILNS1_3genE0ELNS1_11target_archE4294967295ELNS1_3gpuE0ELNS1_3repE0EEENS1_30default_config_static_selectorELNS0_4arch9wavefront6targetE1EEEvT1_
; %bb.0:
	.section	.rodata,"a",@progbits
	.p2align	6, 0x0
	.amdhsa_kernel _ZN7rocprim17ROCPRIM_400000_NS6detail17trampoline_kernelINS0_14default_configENS1_25partition_config_selectorILNS1_17partition_subalgoE0ExNS0_10empty_typeEbEEZZNS1_14partition_implILS5_0ELb0ES3_jN6thrust23THRUST_200600_302600_NS6detail15normal_iteratorINSA_10device_ptrIxEEEEPS6_SG_NS0_5tupleIJSF_NSA_16discard_iteratorINSA_11use_defaultEEEEEENSH_IJSG_SG_EEES6_PlJ7is_evenIxEEEE10hipError_tPvRmT3_T4_T5_T6_T7_T9_mT8_P12ihipStream_tbDpT10_ENKUlT_T0_E_clISt17integral_constantIbLb1EES19_EEDaS14_S15_EUlS14_E_NS1_11comp_targetILNS1_3genE0ELNS1_11target_archE4294967295ELNS1_3gpuE0ELNS1_3repE0EEENS1_30default_config_static_selectorELNS0_4arch9wavefront6targetE1EEEvT1_
		.amdhsa_group_segment_fixed_size 0
		.amdhsa_private_segment_fixed_size 0
		.amdhsa_kernarg_size 144
		.amdhsa_user_sgpr_count 6
		.amdhsa_user_sgpr_private_segment_buffer 1
		.amdhsa_user_sgpr_dispatch_ptr 0
		.amdhsa_user_sgpr_queue_ptr 0
		.amdhsa_user_sgpr_kernarg_segment_ptr 1
		.amdhsa_user_sgpr_dispatch_id 0
		.amdhsa_user_sgpr_flat_scratch_init 0
		.amdhsa_user_sgpr_kernarg_preload_length 0
		.amdhsa_user_sgpr_kernarg_preload_offset 0
		.amdhsa_user_sgpr_private_segment_size 0
		.amdhsa_uses_dynamic_stack 0
		.amdhsa_system_sgpr_private_segment_wavefront_offset 0
		.amdhsa_system_sgpr_workgroup_id_x 1
		.amdhsa_system_sgpr_workgroup_id_y 0
		.amdhsa_system_sgpr_workgroup_id_z 0
		.amdhsa_system_sgpr_workgroup_info 0
		.amdhsa_system_vgpr_workitem_id 0
		.amdhsa_next_free_vgpr 1
		.amdhsa_next_free_sgpr 0
		.amdhsa_accum_offset 4
		.amdhsa_reserve_vcc 0
		.amdhsa_reserve_flat_scratch 0
		.amdhsa_float_round_mode_32 0
		.amdhsa_float_round_mode_16_64 0
		.amdhsa_float_denorm_mode_32 3
		.amdhsa_float_denorm_mode_16_64 3
		.amdhsa_dx10_clamp 1
		.amdhsa_ieee_mode 1
		.amdhsa_fp16_overflow 0
		.amdhsa_tg_split 0
		.amdhsa_exception_fp_ieee_invalid_op 0
		.amdhsa_exception_fp_denorm_src 0
		.amdhsa_exception_fp_ieee_div_zero 0
		.amdhsa_exception_fp_ieee_overflow 0
		.amdhsa_exception_fp_ieee_underflow 0
		.amdhsa_exception_fp_ieee_inexact 0
		.amdhsa_exception_int_div_zero 0
	.end_amdhsa_kernel
	.section	.text._ZN7rocprim17ROCPRIM_400000_NS6detail17trampoline_kernelINS0_14default_configENS1_25partition_config_selectorILNS1_17partition_subalgoE0ExNS0_10empty_typeEbEEZZNS1_14partition_implILS5_0ELb0ES3_jN6thrust23THRUST_200600_302600_NS6detail15normal_iteratorINSA_10device_ptrIxEEEEPS6_SG_NS0_5tupleIJSF_NSA_16discard_iteratorINSA_11use_defaultEEEEEENSH_IJSG_SG_EEES6_PlJ7is_evenIxEEEE10hipError_tPvRmT3_T4_T5_T6_T7_T9_mT8_P12ihipStream_tbDpT10_ENKUlT_T0_E_clISt17integral_constantIbLb1EES19_EEDaS14_S15_EUlS14_E_NS1_11comp_targetILNS1_3genE0ELNS1_11target_archE4294967295ELNS1_3gpuE0ELNS1_3repE0EEENS1_30default_config_static_selectorELNS0_4arch9wavefront6targetE1EEEvT1_,"axG",@progbits,_ZN7rocprim17ROCPRIM_400000_NS6detail17trampoline_kernelINS0_14default_configENS1_25partition_config_selectorILNS1_17partition_subalgoE0ExNS0_10empty_typeEbEEZZNS1_14partition_implILS5_0ELb0ES3_jN6thrust23THRUST_200600_302600_NS6detail15normal_iteratorINSA_10device_ptrIxEEEEPS6_SG_NS0_5tupleIJSF_NSA_16discard_iteratorINSA_11use_defaultEEEEEENSH_IJSG_SG_EEES6_PlJ7is_evenIxEEEE10hipError_tPvRmT3_T4_T5_T6_T7_T9_mT8_P12ihipStream_tbDpT10_ENKUlT_T0_E_clISt17integral_constantIbLb1EES19_EEDaS14_S15_EUlS14_E_NS1_11comp_targetILNS1_3genE0ELNS1_11target_archE4294967295ELNS1_3gpuE0ELNS1_3repE0EEENS1_30default_config_static_selectorELNS0_4arch9wavefront6targetE1EEEvT1_,comdat
.Lfunc_end2627:
	.size	_ZN7rocprim17ROCPRIM_400000_NS6detail17trampoline_kernelINS0_14default_configENS1_25partition_config_selectorILNS1_17partition_subalgoE0ExNS0_10empty_typeEbEEZZNS1_14partition_implILS5_0ELb0ES3_jN6thrust23THRUST_200600_302600_NS6detail15normal_iteratorINSA_10device_ptrIxEEEEPS6_SG_NS0_5tupleIJSF_NSA_16discard_iteratorINSA_11use_defaultEEEEEENSH_IJSG_SG_EEES6_PlJ7is_evenIxEEEE10hipError_tPvRmT3_T4_T5_T6_T7_T9_mT8_P12ihipStream_tbDpT10_ENKUlT_T0_E_clISt17integral_constantIbLb1EES19_EEDaS14_S15_EUlS14_E_NS1_11comp_targetILNS1_3genE0ELNS1_11target_archE4294967295ELNS1_3gpuE0ELNS1_3repE0EEENS1_30default_config_static_selectorELNS0_4arch9wavefront6targetE1EEEvT1_, .Lfunc_end2627-_ZN7rocprim17ROCPRIM_400000_NS6detail17trampoline_kernelINS0_14default_configENS1_25partition_config_selectorILNS1_17partition_subalgoE0ExNS0_10empty_typeEbEEZZNS1_14partition_implILS5_0ELb0ES3_jN6thrust23THRUST_200600_302600_NS6detail15normal_iteratorINSA_10device_ptrIxEEEEPS6_SG_NS0_5tupleIJSF_NSA_16discard_iteratorINSA_11use_defaultEEEEEENSH_IJSG_SG_EEES6_PlJ7is_evenIxEEEE10hipError_tPvRmT3_T4_T5_T6_T7_T9_mT8_P12ihipStream_tbDpT10_ENKUlT_T0_E_clISt17integral_constantIbLb1EES19_EEDaS14_S15_EUlS14_E_NS1_11comp_targetILNS1_3genE0ELNS1_11target_archE4294967295ELNS1_3gpuE0ELNS1_3repE0EEENS1_30default_config_static_selectorELNS0_4arch9wavefront6targetE1EEEvT1_
                                        ; -- End function
	.section	.AMDGPU.csdata,"",@progbits
; Kernel info:
; codeLenInByte = 0
; NumSgprs: 4
; NumVgprs: 0
; NumAgprs: 0
; TotalNumVgprs: 0
; ScratchSize: 0
; MemoryBound: 0
; FloatMode: 240
; IeeeMode: 1
; LDSByteSize: 0 bytes/workgroup (compile time only)
; SGPRBlocks: 0
; VGPRBlocks: 0
; NumSGPRsForWavesPerEU: 4
; NumVGPRsForWavesPerEU: 1
; AccumOffset: 4
; Occupancy: 8
; WaveLimiterHint : 0
; COMPUTE_PGM_RSRC2:SCRATCH_EN: 0
; COMPUTE_PGM_RSRC2:USER_SGPR: 6
; COMPUTE_PGM_RSRC2:TRAP_HANDLER: 0
; COMPUTE_PGM_RSRC2:TGID_X_EN: 1
; COMPUTE_PGM_RSRC2:TGID_Y_EN: 0
; COMPUTE_PGM_RSRC2:TGID_Z_EN: 0
; COMPUTE_PGM_RSRC2:TIDIG_COMP_CNT: 0
; COMPUTE_PGM_RSRC3_GFX90A:ACCUM_OFFSET: 0
; COMPUTE_PGM_RSRC3_GFX90A:TG_SPLIT: 0
	.section	.text._ZN7rocprim17ROCPRIM_400000_NS6detail17trampoline_kernelINS0_14default_configENS1_25partition_config_selectorILNS1_17partition_subalgoE0ExNS0_10empty_typeEbEEZZNS1_14partition_implILS5_0ELb0ES3_jN6thrust23THRUST_200600_302600_NS6detail15normal_iteratorINSA_10device_ptrIxEEEEPS6_SG_NS0_5tupleIJSF_NSA_16discard_iteratorINSA_11use_defaultEEEEEENSH_IJSG_SG_EEES6_PlJ7is_evenIxEEEE10hipError_tPvRmT3_T4_T5_T6_T7_T9_mT8_P12ihipStream_tbDpT10_ENKUlT_T0_E_clISt17integral_constantIbLb1EES19_EEDaS14_S15_EUlS14_E_NS1_11comp_targetILNS1_3genE5ELNS1_11target_archE942ELNS1_3gpuE9ELNS1_3repE0EEENS1_30default_config_static_selectorELNS0_4arch9wavefront6targetE1EEEvT1_,"axG",@progbits,_ZN7rocprim17ROCPRIM_400000_NS6detail17trampoline_kernelINS0_14default_configENS1_25partition_config_selectorILNS1_17partition_subalgoE0ExNS0_10empty_typeEbEEZZNS1_14partition_implILS5_0ELb0ES3_jN6thrust23THRUST_200600_302600_NS6detail15normal_iteratorINSA_10device_ptrIxEEEEPS6_SG_NS0_5tupleIJSF_NSA_16discard_iteratorINSA_11use_defaultEEEEEENSH_IJSG_SG_EEES6_PlJ7is_evenIxEEEE10hipError_tPvRmT3_T4_T5_T6_T7_T9_mT8_P12ihipStream_tbDpT10_ENKUlT_T0_E_clISt17integral_constantIbLb1EES19_EEDaS14_S15_EUlS14_E_NS1_11comp_targetILNS1_3genE5ELNS1_11target_archE942ELNS1_3gpuE9ELNS1_3repE0EEENS1_30default_config_static_selectorELNS0_4arch9wavefront6targetE1EEEvT1_,comdat
	.protected	_ZN7rocprim17ROCPRIM_400000_NS6detail17trampoline_kernelINS0_14default_configENS1_25partition_config_selectorILNS1_17partition_subalgoE0ExNS0_10empty_typeEbEEZZNS1_14partition_implILS5_0ELb0ES3_jN6thrust23THRUST_200600_302600_NS6detail15normal_iteratorINSA_10device_ptrIxEEEEPS6_SG_NS0_5tupleIJSF_NSA_16discard_iteratorINSA_11use_defaultEEEEEENSH_IJSG_SG_EEES6_PlJ7is_evenIxEEEE10hipError_tPvRmT3_T4_T5_T6_T7_T9_mT8_P12ihipStream_tbDpT10_ENKUlT_T0_E_clISt17integral_constantIbLb1EES19_EEDaS14_S15_EUlS14_E_NS1_11comp_targetILNS1_3genE5ELNS1_11target_archE942ELNS1_3gpuE9ELNS1_3repE0EEENS1_30default_config_static_selectorELNS0_4arch9wavefront6targetE1EEEvT1_ ; -- Begin function _ZN7rocprim17ROCPRIM_400000_NS6detail17trampoline_kernelINS0_14default_configENS1_25partition_config_selectorILNS1_17partition_subalgoE0ExNS0_10empty_typeEbEEZZNS1_14partition_implILS5_0ELb0ES3_jN6thrust23THRUST_200600_302600_NS6detail15normal_iteratorINSA_10device_ptrIxEEEEPS6_SG_NS0_5tupleIJSF_NSA_16discard_iteratorINSA_11use_defaultEEEEEENSH_IJSG_SG_EEES6_PlJ7is_evenIxEEEE10hipError_tPvRmT3_T4_T5_T6_T7_T9_mT8_P12ihipStream_tbDpT10_ENKUlT_T0_E_clISt17integral_constantIbLb1EES19_EEDaS14_S15_EUlS14_E_NS1_11comp_targetILNS1_3genE5ELNS1_11target_archE942ELNS1_3gpuE9ELNS1_3repE0EEENS1_30default_config_static_selectorELNS0_4arch9wavefront6targetE1EEEvT1_
	.globl	_ZN7rocprim17ROCPRIM_400000_NS6detail17trampoline_kernelINS0_14default_configENS1_25partition_config_selectorILNS1_17partition_subalgoE0ExNS0_10empty_typeEbEEZZNS1_14partition_implILS5_0ELb0ES3_jN6thrust23THRUST_200600_302600_NS6detail15normal_iteratorINSA_10device_ptrIxEEEEPS6_SG_NS0_5tupleIJSF_NSA_16discard_iteratorINSA_11use_defaultEEEEEENSH_IJSG_SG_EEES6_PlJ7is_evenIxEEEE10hipError_tPvRmT3_T4_T5_T6_T7_T9_mT8_P12ihipStream_tbDpT10_ENKUlT_T0_E_clISt17integral_constantIbLb1EES19_EEDaS14_S15_EUlS14_E_NS1_11comp_targetILNS1_3genE5ELNS1_11target_archE942ELNS1_3gpuE9ELNS1_3repE0EEENS1_30default_config_static_selectorELNS0_4arch9wavefront6targetE1EEEvT1_
	.p2align	8
	.type	_ZN7rocprim17ROCPRIM_400000_NS6detail17trampoline_kernelINS0_14default_configENS1_25partition_config_selectorILNS1_17partition_subalgoE0ExNS0_10empty_typeEbEEZZNS1_14partition_implILS5_0ELb0ES3_jN6thrust23THRUST_200600_302600_NS6detail15normal_iteratorINSA_10device_ptrIxEEEEPS6_SG_NS0_5tupleIJSF_NSA_16discard_iteratorINSA_11use_defaultEEEEEENSH_IJSG_SG_EEES6_PlJ7is_evenIxEEEE10hipError_tPvRmT3_T4_T5_T6_T7_T9_mT8_P12ihipStream_tbDpT10_ENKUlT_T0_E_clISt17integral_constantIbLb1EES19_EEDaS14_S15_EUlS14_E_NS1_11comp_targetILNS1_3genE5ELNS1_11target_archE942ELNS1_3gpuE9ELNS1_3repE0EEENS1_30default_config_static_selectorELNS0_4arch9wavefront6targetE1EEEvT1_,@function
_ZN7rocprim17ROCPRIM_400000_NS6detail17trampoline_kernelINS0_14default_configENS1_25partition_config_selectorILNS1_17partition_subalgoE0ExNS0_10empty_typeEbEEZZNS1_14partition_implILS5_0ELb0ES3_jN6thrust23THRUST_200600_302600_NS6detail15normal_iteratorINSA_10device_ptrIxEEEEPS6_SG_NS0_5tupleIJSF_NSA_16discard_iteratorINSA_11use_defaultEEEEEENSH_IJSG_SG_EEES6_PlJ7is_evenIxEEEE10hipError_tPvRmT3_T4_T5_T6_T7_T9_mT8_P12ihipStream_tbDpT10_ENKUlT_T0_E_clISt17integral_constantIbLb1EES19_EEDaS14_S15_EUlS14_E_NS1_11comp_targetILNS1_3genE5ELNS1_11target_archE942ELNS1_3gpuE9ELNS1_3repE0EEENS1_30default_config_static_selectorELNS0_4arch9wavefront6targetE1EEEvT1_: ; @_ZN7rocprim17ROCPRIM_400000_NS6detail17trampoline_kernelINS0_14default_configENS1_25partition_config_selectorILNS1_17partition_subalgoE0ExNS0_10empty_typeEbEEZZNS1_14partition_implILS5_0ELb0ES3_jN6thrust23THRUST_200600_302600_NS6detail15normal_iteratorINSA_10device_ptrIxEEEEPS6_SG_NS0_5tupleIJSF_NSA_16discard_iteratorINSA_11use_defaultEEEEEENSH_IJSG_SG_EEES6_PlJ7is_evenIxEEEE10hipError_tPvRmT3_T4_T5_T6_T7_T9_mT8_P12ihipStream_tbDpT10_ENKUlT_T0_E_clISt17integral_constantIbLb1EES19_EEDaS14_S15_EUlS14_E_NS1_11comp_targetILNS1_3genE5ELNS1_11target_archE942ELNS1_3gpuE9ELNS1_3repE0EEENS1_30default_config_static_selectorELNS0_4arch9wavefront6targetE1EEEvT1_
; %bb.0:
	.section	.rodata,"a",@progbits
	.p2align	6, 0x0
	.amdhsa_kernel _ZN7rocprim17ROCPRIM_400000_NS6detail17trampoline_kernelINS0_14default_configENS1_25partition_config_selectorILNS1_17partition_subalgoE0ExNS0_10empty_typeEbEEZZNS1_14partition_implILS5_0ELb0ES3_jN6thrust23THRUST_200600_302600_NS6detail15normal_iteratorINSA_10device_ptrIxEEEEPS6_SG_NS0_5tupleIJSF_NSA_16discard_iteratorINSA_11use_defaultEEEEEENSH_IJSG_SG_EEES6_PlJ7is_evenIxEEEE10hipError_tPvRmT3_T4_T5_T6_T7_T9_mT8_P12ihipStream_tbDpT10_ENKUlT_T0_E_clISt17integral_constantIbLb1EES19_EEDaS14_S15_EUlS14_E_NS1_11comp_targetILNS1_3genE5ELNS1_11target_archE942ELNS1_3gpuE9ELNS1_3repE0EEENS1_30default_config_static_selectorELNS0_4arch9wavefront6targetE1EEEvT1_
		.amdhsa_group_segment_fixed_size 0
		.amdhsa_private_segment_fixed_size 0
		.amdhsa_kernarg_size 144
		.amdhsa_user_sgpr_count 6
		.amdhsa_user_sgpr_private_segment_buffer 1
		.amdhsa_user_sgpr_dispatch_ptr 0
		.amdhsa_user_sgpr_queue_ptr 0
		.amdhsa_user_sgpr_kernarg_segment_ptr 1
		.amdhsa_user_sgpr_dispatch_id 0
		.amdhsa_user_sgpr_flat_scratch_init 0
		.amdhsa_user_sgpr_kernarg_preload_length 0
		.amdhsa_user_sgpr_kernarg_preload_offset 0
		.amdhsa_user_sgpr_private_segment_size 0
		.amdhsa_uses_dynamic_stack 0
		.amdhsa_system_sgpr_private_segment_wavefront_offset 0
		.amdhsa_system_sgpr_workgroup_id_x 1
		.amdhsa_system_sgpr_workgroup_id_y 0
		.amdhsa_system_sgpr_workgroup_id_z 0
		.amdhsa_system_sgpr_workgroup_info 0
		.amdhsa_system_vgpr_workitem_id 0
		.amdhsa_next_free_vgpr 1
		.amdhsa_next_free_sgpr 0
		.amdhsa_accum_offset 4
		.amdhsa_reserve_vcc 0
		.amdhsa_reserve_flat_scratch 0
		.amdhsa_float_round_mode_32 0
		.amdhsa_float_round_mode_16_64 0
		.amdhsa_float_denorm_mode_32 3
		.amdhsa_float_denorm_mode_16_64 3
		.amdhsa_dx10_clamp 1
		.amdhsa_ieee_mode 1
		.amdhsa_fp16_overflow 0
		.amdhsa_tg_split 0
		.amdhsa_exception_fp_ieee_invalid_op 0
		.amdhsa_exception_fp_denorm_src 0
		.amdhsa_exception_fp_ieee_div_zero 0
		.amdhsa_exception_fp_ieee_overflow 0
		.amdhsa_exception_fp_ieee_underflow 0
		.amdhsa_exception_fp_ieee_inexact 0
		.amdhsa_exception_int_div_zero 0
	.end_amdhsa_kernel
	.section	.text._ZN7rocprim17ROCPRIM_400000_NS6detail17trampoline_kernelINS0_14default_configENS1_25partition_config_selectorILNS1_17partition_subalgoE0ExNS0_10empty_typeEbEEZZNS1_14partition_implILS5_0ELb0ES3_jN6thrust23THRUST_200600_302600_NS6detail15normal_iteratorINSA_10device_ptrIxEEEEPS6_SG_NS0_5tupleIJSF_NSA_16discard_iteratorINSA_11use_defaultEEEEEENSH_IJSG_SG_EEES6_PlJ7is_evenIxEEEE10hipError_tPvRmT3_T4_T5_T6_T7_T9_mT8_P12ihipStream_tbDpT10_ENKUlT_T0_E_clISt17integral_constantIbLb1EES19_EEDaS14_S15_EUlS14_E_NS1_11comp_targetILNS1_3genE5ELNS1_11target_archE942ELNS1_3gpuE9ELNS1_3repE0EEENS1_30default_config_static_selectorELNS0_4arch9wavefront6targetE1EEEvT1_,"axG",@progbits,_ZN7rocprim17ROCPRIM_400000_NS6detail17trampoline_kernelINS0_14default_configENS1_25partition_config_selectorILNS1_17partition_subalgoE0ExNS0_10empty_typeEbEEZZNS1_14partition_implILS5_0ELb0ES3_jN6thrust23THRUST_200600_302600_NS6detail15normal_iteratorINSA_10device_ptrIxEEEEPS6_SG_NS0_5tupleIJSF_NSA_16discard_iteratorINSA_11use_defaultEEEEEENSH_IJSG_SG_EEES6_PlJ7is_evenIxEEEE10hipError_tPvRmT3_T4_T5_T6_T7_T9_mT8_P12ihipStream_tbDpT10_ENKUlT_T0_E_clISt17integral_constantIbLb1EES19_EEDaS14_S15_EUlS14_E_NS1_11comp_targetILNS1_3genE5ELNS1_11target_archE942ELNS1_3gpuE9ELNS1_3repE0EEENS1_30default_config_static_selectorELNS0_4arch9wavefront6targetE1EEEvT1_,comdat
.Lfunc_end2628:
	.size	_ZN7rocprim17ROCPRIM_400000_NS6detail17trampoline_kernelINS0_14default_configENS1_25partition_config_selectorILNS1_17partition_subalgoE0ExNS0_10empty_typeEbEEZZNS1_14partition_implILS5_0ELb0ES3_jN6thrust23THRUST_200600_302600_NS6detail15normal_iteratorINSA_10device_ptrIxEEEEPS6_SG_NS0_5tupleIJSF_NSA_16discard_iteratorINSA_11use_defaultEEEEEENSH_IJSG_SG_EEES6_PlJ7is_evenIxEEEE10hipError_tPvRmT3_T4_T5_T6_T7_T9_mT8_P12ihipStream_tbDpT10_ENKUlT_T0_E_clISt17integral_constantIbLb1EES19_EEDaS14_S15_EUlS14_E_NS1_11comp_targetILNS1_3genE5ELNS1_11target_archE942ELNS1_3gpuE9ELNS1_3repE0EEENS1_30default_config_static_selectorELNS0_4arch9wavefront6targetE1EEEvT1_, .Lfunc_end2628-_ZN7rocprim17ROCPRIM_400000_NS6detail17trampoline_kernelINS0_14default_configENS1_25partition_config_selectorILNS1_17partition_subalgoE0ExNS0_10empty_typeEbEEZZNS1_14partition_implILS5_0ELb0ES3_jN6thrust23THRUST_200600_302600_NS6detail15normal_iteratorINSA_10device_ptrIxEEEEPS6_SG_NS0_5tupleIJSF_NSA_16discard_iteratorINSA_11use_defaultEEEEEENSH_IJSG_SG_EEES6_PlJ7is_evenIxEEEE10hipError_tPvRmT3_T4_T5_T6_T7_T9_mT8_P12ihipStream_tbDpT10_ENKUlT_T0_E_clISt17integral_constantIbLb1EES19_EEDaS14_S15_EUlS14_E_NS1_11comp_targetILNS1_3genE5ELNS1_11target_archE942ELNS1_3gpuE9ELNS1_3repE0EEENS1_30default_config_static_selectorELNS0_4arch9wavefront6targetE1EEEvT1_
                                        ; -- End function
	.section	.AMDGPU.csdata,"",@progbits
; Kernel info:
; codeLenInByte = 0
; NumSgprs: 4
; NumVgprs: 0
; NumAgprs: 0
; TotalNumVgprs: 0
; ScratchSize: 0
; MemoryBound: 0
; FloatMode: 240
; IeeeMode: 1
; LDSByteSize: 0 bytes/workgroup (compile time only)
; SGPRBlocks: 0
; VGPRBlocks: 0
; NumSGPRsForWavesPerEU: 4
; NumVGPRsForWavesPerEU: 1
; AccumOffset: 4
; Occupancy: 8
; WaveLimiterHint : 0
; COMPUTE_PGM_RSRC2:SCRATCH_EN: 0
; COMPUTE_PGM_RSRC2:USER_SGPR: 6
; COMPUTE_PGM_RSRC2:TRAP_HANDLER: 0
; COMPUTE_PGM_RSRC2:TGID_X_EN: 1
; COMPUTE_PGM_RSRC2:TGID_Y_EN: 0
; COMPUTE_PGM_RSRC2:TGID_Z_EN: 0
; COMPUTE_PGM_RSRC2:TIDIG_COMP_CNT: 0
; COMPUTE_PGM_RSRC3_GFX90A:ACCUM_OFFSET: 0
; COMPUTE_PGM_RSRC3_GFX90A:TG_SPLIT: 0
	.section	.text._ZN7rocprim17ROCPRIM_400000_NS6detail17trampoline_kernelINS0_14default_configENS1_25partition_config_selectorILNS1_17partition_subalgoE0ExNS0_10empty_typeEbEEZZNS1_14partition_implILS5_0ELb0ES3_jN6thrust23THRUST_200600_302600_NS6detail15normal_iteratorINSA_10device_ptrIxEEEEPS6_SG_NS0_5tupleIJSF_NSA_16discard_iteratorINSA_11use_defaultEEEEEENSH_IJSG_SG_EEES6_PlJ7is_evenIxEEEE10hipError_tPvRmT3_T4_T5_T6_T7_T9_mT8_P12ihipStream_tbDpT10_ENKUlT_T0_E_clISt17integral_constantIbLb1EES19_EEDaS14_S15_EUlS14_E_NS1_11comp_targetILNS1_3genE4ELNS1_11target_archE910ELNS1_3gpuE8ELNS1_3repE0EEENS1_30default_config_static_selectorELNS0_4arch9wavefront6targetE1EEEvT1_,"axG",@progbits,_ZN7rocprim17ROCPRIM_400000_NS6detail17trampoline_kernelINS0_14default_configENS1_25partition_config_selectorILNS1_17partition_subalgoE0ExNS0_10empty_typeEbEEZZNS1_14partition_implILS5_0ELb0ES3_jN6thrust23THRUST_200600_302600_NS6detail15normal_iteratorINSA_10device_ptrIxEEEEPS6_SG_NS0_5tupleIJSF_NSA_16discard_iteratorINSA_11use_defaultEEEEEENSH_IJSG_SG_EEES6_PlJ7is_evenIxEEEE10hipError_tPvRmT3_T4_T5_T6_T7_T9_mT8_P12ihipStream_tbDpT10_ENKUlT_T0_E_clISt17integral_constantIbLb1EES19_EEDaS14_S15_EUlS14_E_NS1_11comp_targetILNS1_3genE4ELNS1_11target_archE910ELNS1_3gpuE8ELNS1_3repE0EEENS1_30default_config_static_selectorELNS0_4arch9wavefront6targetE1EEEvT1_,comdat
	.protected	_ZN7rocprim17ROCPRIM_400000_NS6detail17trampoline_kernelINS0_14default_configENS1_25partition_config_selectorILNS1_17partition_subalgoE0ExNS0_10empty_typeEbEEZZNS1_14partition_implILS5_0ELb0ES3_jN6thrust23THRUST_200600_302600_NS6detail15normal_iteratorINSA_10device_ptrIxEEEEPS6_SG_NS0_5tupleIJSF_NSA_16discard_iteratorINSA_11use_defaultEEEEEENSH_IJSG_SG_EEES6_PlJ7is_evenIxEEEE10hipError_tPvRmT3_T4_T5_T6_T7_T9_mT8_P12ihipStream_tbDpT10_ENKUlT_T0_E_clISt17integral_constantIbLb1EES19_EEDaS14_S15_EUlS14_E_NS1_11comp_targetILNS1_3genE4ELNS1_11target_archE910ELNS1_3gpuE8ELNS1_3repE0EEENS1_30default_config_static_selectorELNS0_4arch9wavefront6targetE1EEEvT1_ ; -- Begin function _ZN7rocprim17ROCPRIM_400000_NS6detail17trampoline_kernelINS0_14default_configENS1_25partition_config_selectorILNS1_17partition_subalgoE0ExNS0_10empty_typeEbEEZZNS1_14partition_implILS5_0ELb0ES3_jN6thrust23THRUST_200600_302600_NS6detail15normal_iteratorINSA_10device_ptrIxEEEEPS6_SG_NS0_5tupleIJSF_NSA_16discard_iteratorINSA_11use_defaultEEEEEENSH_IJSG_SG_EEES6_PlJ7is_evenIxEEEE10hipError_tPvRmT3_T4_T5_T6_T7_T9_mT8_P12ihipStream_tbDpT10_ENKUlT_T0_E_clISt17integral_constantIbLb1EES19_EEDaS14_S15_EUlS14_E_NS1_11comp_targetILNS1_3genE4ELNS1_11target_archE910ELNS1_3gpuE8ELNS1_3repE0EEENS1_30default_config_static_selectorELNS0_4arch9wavefront6targetE1EEEvT1_
	.globl	_ZN7rocprim17ROCPRIM_400000_NS6detail17trampoline_kernelINS0_14default_configENS1_25partition_config_selectorILNS1_17partition_subalgoE0ExNS0_10empty_typeEbEEZZNS1_14partition_implILS5_0ELb0ES3_jN6thrust23THRUST_200600_302600_NS6detail15normal_iteratorINSA_10device_ptrIxEEEEPS6_SG_NS0_5tupleIJSF_NSA_16discard_iteratorINSA_11use_defaultEEEEEENSH_IJSG_SG_EEES6_PlJ7is_evenIxEEEE10hipError_tPvRmT3_T4_T5_T6_T7_T9_mT8_P12ihipStream_tbDpT10_ENKUlT_T0_E_clISt17integral_constantIbLb1EES19_EEDaS14_S15_EUlS14_E_NS1_11comp_targetILNS1_3genE4ELNS1_11target_archE910ELNS1_3gpuE8ELNS1_3repE0EEENS1_30default_config_static_selectorELNS0_4arch9wavefront6targetE1EEEvT1_
	.p2align	8
	.type	_ZN7rocprim17ROCPRIM_400000_NS6detail17trampoline_kernelINS0_14default_configENS1_25partition_config_selectorILNS1_17partition_subalgoE0ExNS0_10empty_typeEbEEZZNS1_14partition_implILS5_0ELb0ES3_jN6thrust23THRUST_200600_302600_NS6detail15normal_iteratorINSA_10device_ptrIxEEEEPS6_SG_NS0_5tupleIJSF_NSA_16discard_iteratorINSA_11use_defaultEEEEEENSH_IJSG_SG_EEES6_PlJ7is_evenIxEEEE10hipError_tPvRmT3_T4_T5_T6_T7_T9_mT8_P12ihipStream_tbDpT10_ENKUlT_T0_E_clISt17integral_constantIbLb1EES19_EEDaS14_S15_EUlS14_E_NS1_11comp_targetILNS1_3genE4ELNS1_11target_archE910ELNS1_3gpuE8ELNS1_3repE0EEENS1_30default_config_static_selectorELNS0_4arch9wavefront6targetE1EEEvT1_,@function
_ZN7rocprim17ROCPRIM_400000_NS6detail17trampoline_kernelINS0_14default_configENS1_25partition_config_selectorILNS1_17partition_subalgoE0ExNS0_10empty_typeEbEEZZNS1_14partition_implILS5_0ELb0ES3_jN6thrust23THRUST_200600_302600_NS6detail15normal_iteratorINSA_10device_ptrIxEEEEPS6_SG_NS0_5tupleIJSF_NSA_16discard_iteratorINSA_11use_defaultEEEEEENSH_IJSG_SG_EEES6_PlJ7is_evenIxEEEE10hipError_tPvRmT3_T4_T5_T6_T7_T9_mT8_P12ihipStream_tbDpT10_ENKUlT_T0_E_clISt17integral_constantIbLb1EES19_EEDaS14_S15_EUlS14_E_NS1_11comp_targetILNS1_3genE4ELNS1_11target_archE910ELNS1_3gpuE8ELNS1_3repE0EEENS1_30default_config_static_selectorELNS0_4arch9wavefront6targetE1EEEvT1_: ; @_ZN7rocprim17ROCPRIM_400000_NS6detail17trampoline_kernelINS0_14default_configENS1_25partition_config_selectorILNS1_17partition_subalgoE0ExNS0_10empty_typeEbEEZZNS1_14partition_implILS5_0ELb0ES3_jN6thrust23THRUST_200600_302600_NS6detail15normal_iteratorINSA_10device_ptrIxEEEEPS6_SG_NS0_5tupleIJSF_NSA_16discard_iteratorINSA_11use_defaultEEEEEENSH_IJSG_SG_EEES6_PlJ7is_evenIxEEEE10hipError_tPvRmT3_T4_T5_T6_T7_T9_mT8_P12ihipStream_tbDpT10_ENKUlT_T0_E_clISt17integral_constantIbLb1EES19_EEDaS14_S15_EUlS14_E_NS1_11comp_targetILNS1_3genE4ELNS1_11target_archE910ELNS1_3gpuE8ELNS1_3repE0EEENS1_30default_config_static_selectorELNS0_4arch9wavefront6targetE1EEEvT1_
; %bb.0:
	s_load_dwordx2 s[24:25], s[4:5], 0x28
	s_load_dwordx4 s[20:23], s[4:5], 0x50
	s_load_dwordx2 s[2:3], s[4:5], 0x60
	s_load_dwordx2 s[26:27], s[4:5], 0x70
	v_cmp_eq_u32_e64 s[0:1], 0, v0
	s_and_saveexec_b64 s[6:7], s[0:1]
	s_cbranch_execz .LBB2629_4
; %bb.1:
	s_mov_b64 s[10:11], exec
	v_mbcnt_lo_u32_b32 v1, s10, 0
	v_mbcnt_hi_u32_b32 v1, s11, v1
	v_cmp_eq_u32_e32 vcc, 0, v1
                                        ; implicit-def: $vgpr2
	s_and_saveexec_b64 s[8:9], vcc
	s_cbranch_execz .LBB2629_3
; %bb.2:
	s_load_dwordx2 s[12:13], s[4:5], 0x80
	s_bcnt1_i32_b64 s10, s[10:11]
	v_mov_b32_e32 v2, 0
	v_mov_b32_e32 v3, s10
	s_waitcnt lgkmcnt(0)
	global_atomic_add v2, v2, v3, s[12:13] glc
.LBB2629_3:
	s_or_b64 exec, exec, s[8:9]
	s_waitcnt vmcnt(0)
	v_readfirstlane_b32 s8, v2
	v_add_u32_e32 v1, s8, v1
	v_mov_b32_e32 v2, 0
	ds_write_b32 v2, v1
.LBB2629_4:
	s_or_b64 exec, exec, s[6:7]
	v_mov_b32_e32 v3, 0
	s_load_dwordx4 s[8:11], s[4:5], 0x8
	s_load_dword s6, s[4:5], 0x78
	s_waitcnt lgkmcnt(0)
	s_barrier
	ds_read_b32 v1, v3
	s_waitcnt lgkmcnt(0)
	s_barrier
	global_load_dwordx2 v[10:11], v3, s[22:23]
	v_mov_b32_e32 v5, s3
	s_lshl_b64 s[4:5], s[10:11], 3
	s_movk_i32 s3, 0x300
	s_add_u32 s7, s8, s4
	v_mul_lo_u32 v2, v1, s3
	s_mul_i32 s3, s6, 0x300
	s_addc_u32 s8, s9, s5
	s_add_i32 s5, s3, s10
	s_add_i32 s4, s6, -1
	s_sub_i32 s33, s2, s5
	v_mov_b32_e32 v4, s2
	s_add_u32 s2, s10, s3
	v_readfirstlane_b32 s36, v1
	s_addc_u32 s3, s11, 0
	s_cmp_eq_u32 s36, s4
	s_cselect_b64 s[22:23], -1, 0
	s_cmp_lg_u32 s36, s4
	v_cmp_lt_u64_e32 vcc, s[2:3], v[4:5]
	s_cselect_b64 s[2:3], -1, 0
	v_lshlrev_b64 v[2:3], 3, v[2:3]
	s_or_b64 s[4:5], vcc, s[2:3]
	v_mov_b32_e32 v1, s8
	v_add_co_u32_e32 v13, vcc, s7, v2
	v_addc_co_u32_e32 v14, vcc, v1, v3, vcc
	s_mov_b64 s[2:3], -1
	s_and_b64 vcc, exec, s[4:5]
	v_lshlrev_b32_e32 v1, 3, v0
	v_lshrrev_b32_e32 v12, 2, v0
	s_cbranch_vccz .LBB2629_6
; %bb.5:
	v_add_co_u32_e32 v2, vcc, v13, v1
	v_addc_co_u32_e32 v3, vcc, 0, v14, vcc
	v_add_co_u32_e32 v4, vcc, 0x1000, v2
	v_addc_co_u32_e32 v5, vcc, 0, v3, vcc
	flat_load_dwordx2 v[6:7], v[2:3]
	flat_load_dwordx2 v[8:9], v[2:3] offset:1536
	flat_load_dwordx2 v[16:17], v[2:3] offset:3072
	;; [unrolled: 1-line block ×3, first 2 shown]
	v_add_u32_e32 v3, 0xc0, v0
	v_add_u32_e32 v4, 0x180, v0
	;; [unrolled: 1-line block ×3, first 2 shown]
	v_and_b32_e32 v2, 56, v12
	v_lshrrev_b32_e32 v3, 2, v3
	v_lshrrev_b32_e32 v4, 2, v4
	;; [unrolled: 1-line block ×3, first 2 shown]
	v_add_u32_e32 v2, v2, v1
	v_and_b32_e32 v3, 0x78, v3
	v_and_b32_e32 v4, 0xf8, v4
	;; [unrolled: 1-line block ×3, first 2 shown]
	v_add_u32_e32 v3, v3, v1
	v_add_u32_e32 v4, v4, v1
	v_add_u32_e32 v5, v5, v1
	s_mov_b64 s[2:3], 0
	s_waitcnt vmcnt(0) lgkmcnt(0)
	ds_write_b64 v2, v[6:7]
	ds_write_b64 v3, v[8:9] offset:1536
	ds_write_b64 v4, v[16:17] offset:3072
	;; [unrolled: 1-line block ×3, first 2 shown]
	s_waitcnt lgkmcnt(0)
	s_barrier
.LBB2629_6:
	s_andn2_b64 vcc, exec, s[2:3]
	s_addk_i32 s33, 0x300
	s_cbranch_vccnz .LBB2629_16
; %bb.7:
	v_cmp_gt_u32_e32 vcc, s33, v0
                                        ; implicit-def: $vgpr2_vgpr3_vgpr4_vgpr5_vgpr6_vgpr7_vgpr8_vgpr9
	s_and_saveexec_b64 s[2:3], vcc
	s_cbranch_execz .LBB2629_9
; %bb.8:
	v_add_co_u32_e32 v2, vcc, v13, v1
	v_addc_co_u32_e32 v3, vcc, 0, v14, vcc
	flat_load_dwordx2 v[2:3], v[2:3]
.LBB2629_9:
	s_or_b64 exec, exec, s[2:3]
	v_add_u32_e32 v15, 0xc0, v0
	v_cmp_gt_u32_e32 vcc, s33, v15
	s_and_saveexec_b64 s[2:3], vcc
	s_cbranch_execz .LBB2629_11
; %bb.10:
	v_add_co_u32_e32 v4, vcc, v13, v1
	v_addc_co_u32_e32 v5, vcc, 0, v14, vcc
	flat_load_dwordx2 v[4:5], v[4:5] offset:1536
.LBB2629_11:
	s_or_b64 exec, exec, s[2:3]
	v_add_u32_e32 v16, 0x180, v0
	v_cmp_gt_u32_e32 vcc, s33, v16
	s_and_saveexec_b64 s[2:3], vcc
	s_cbranch_execz .LBB2629_13
; %bb.12:
	v_add_co_u32_e32 v6, vcc, v13, v1
	v_addc_co_u32_e32 v7, vcc, 0, v14, vcc
	flat_load_dwordx2 v[6:7], v[6:7] offset:3072
.LBB2629_13:
	s_or_b64 exec, exec, s[2:3]
	v_add_u32_e32 v17, 0x240, v0
	v_cmp_gt_u32_e32 vcc, s33, v17
	s_and_saveexec_b64 s[2:3], vcc
	s_cbranch_execz .LBB2629_15
; %bb.14:
	v_lshlrev_b32_e32 v8, 3, v17
	v_add_co_u32_e32 v8, vcc, v13, v8
	v_addc_co_u32_e32 v9, vcc, 0, v14, vcc
	flat_load_dwordx2 v[8:9], v[8:9]
.LBB2629_15:
	s_or_b64 exec, exec, s[2:3]
	v_and_b32_e32 v12, 56, v12
	v_add_u32_e32 v12, v12, v1
	s_waitcnt vmcnt(0) lgkmcnt(0)
	ds_write_b64 v12, v[2:3]
	v_lshrrev_b32_e32 v2, 2, v15
	v_and_b32_e32 v2, 0x78, v2
	v_add_u32_e32 v2, v2, v1
	ds_write_b64 v2, v[4:5] offset:1536
	v_lshrrev_b32_e32 v2, 2, v16
	v_and_b32_e32 v2, 0xf8, v2
	v_add_u32_e32 v2, v2, v1
	ds_write_b64 v2, v[6:7] offset:3072
	;; [unrolled: 4-line block ×3, first 2 shown]
	s_waitcnt lgkmcnt(0)
	s_barrier
.LBB2629_16:
	v_lshlrev_b32_e32 v22, 2, v0
	v_lshrrev_b32_e32 v2, 3, v0
	v_add_lshl_u32 v2, v2, v22, 3
	ds_read2_b64 v[6:9], v2 offset1:1
	ds_read2_b64 v[2:5], v2 offset0:2 offset1:3
	v_cndmask_b32_e64 v12, 0, 1, s[4:5]
	v_cmp_ne_u32_e64 s[2:3], 1, v12
	s_andn2_b64 vcc, exec, s[4:5]
	s_waitcnt lgkmcnt(1)
	v_xor_b32_e32 v15, -1, v6
	v_xor_b32_e32 v14, -1, v8
	s_waitcnt lgkmcnt(0)
	v_xor_b32_e32 v13, -1, v2
	v_xor_b32_e32 v12, -1, v4
	s_barrier
	s_cbranch_vccnz .LBB2629_18
; %bb.17:
	v_mov_b32_e32 v17, 1
	v_and_b32_e32 v16, 1, v15
	v_and_b32_sdwa v18, v14, v17 dst_sel:BYTE_1 dst_unused:UNUSED_PAD src0_sel:DWORD src1_sel:DWORD
	v_and_b32_e32 v19, 1, v13
	v_and_b32_sdwa v17, v12, v17 dst_sel:BYTE_1 dst_unused:UNUSED_PAD src0_sel:DWORD src1_sel:DWORD
	v_or_b32_e32 v16, v16, v18
	v_or_b32_sdwa v17, v19, v17 dst_sel:WORD_1 dst_unused:UNUSED_PAD src0_sel:DWORD src1_sel:DWORD
	v_or_b32_sdwa v23, v16, v17 dst_sel:DWORD dst_unused:UNUSED_PAD src0_sel:WORD_0 src1_sel:DWORD
	s_cbranch_execz .LBB2629_19
	s_branch .LBB2629_20
.LBB2629_18:
                                        ; implicit-def: $vgpr23
.LBB2629_19:
	v_cmp_gt_u32_e32 vcc, s33, v22
	v_cndmask_b32_e64 v16, 0, 1, vcc
	v_and_b32_e32 v15, v16, v15
	v_or_b32_e32 v16, 1, v22
	v_cmp_gt_u32_e32 vcc, s33, v16
	v_cndmask_b32_e64 v16, 0, 1, vcc
	v_and_b32_sdwa v14, v16, v14 dst_sel:BYTE_1 dst_unused:UNUSED_PAD src0_sel:DWORD src1_sel:DWORD
	v_or_b32_e32 v16, 2, v22
	v_cmp_gt_u32_e32 vcc, s33, v16
	v_cndmask_b32_e64 v16, 0, 1, vcc
	v_and_b32_e32 v13, v16, v13
	v_or_b32_e32 v16, 3, v22
	v_cmp_gt_u32_e32 vcc, s33, v16
	v_cndmask_b32_e64 v16, 0, 1, vcc
	v_and_b32_sdwa v12, v16, v12 dst_sel:BYTE_1 dst_unused:UNUSED_PAD src0_sel:DWORD src1_sel:DWORD
	v_or_b32_e32 v14, v15, v14
	v_or_b32_sdwa v12, v13, v12 dst_sel:WORD_1 dst_unused:UNUSED_PAD src0_sel:DWORD src1_sel:DWORD
	v_or_b32_sdwa v23, v14, v12 dst_sel:DWORD dst_unused:UNUSED_PAD src0_sel:WORD_0 src1_sel:DWORD
.LBB2629_20:
	v_bfe_u32 v25, v23, 16, 8
	v_lshrrev_b32_e32 v24, 24, v23
	v_add_u32_sdwa v12, v23, v23 dst_sel:DWORD dst_unused:UNUSED_PAD src0_sel:BYTE_1 src1_sel:BYTE_0
	v_add3_u32 v28, v12, v25, v24
	v_mbcnt_lo_u32_b32 v12, -1, 0
	v_mbcnt_hi_u32_b32 v26, -1, v12
	v_and_b32_e32 v12, 15, v26
	v_cmp_eq_u32_e64 s[16:17], 0, v12
	v_cmp_lt_u32_e64 s[14:15], 1, v12
	v_cmp_lt_u32_e64 s[12:13], 3, v12
	;; [unrolled: 1-line block ×3, first 2 shown]
	v_and_b32_e32 v12, 16, v26
	v_cmp_eq_u32_e64 s[6:7], 0, v12
	v_and_b32_e32 v12, 0xc0, v0
	v_min_u32_e32 v12, 0x80, v12
	v_or_b32_e32 v12, 63, v12
	s_cmp_lg_u32 s36, 0
	v_cmp_lt_u32_e64 s[4:5], 31, v26
	v_lshrrev_b32_e32 v27, 6, v0
	v_cmp_eq_u32_e64 s[8:9], v12, v0
	s_cbranch_scc0 .LBB2629_51
; %bb.21:
	v_mov_b32_dpp v12, v28 row_shr:1 row_mask:0xf bank_mask:0xf
	v_cndmask_b32_e64 v12, v12, 0, s[16:17]
	v_add_u32_e32 v12, v12, v28
	s_nop 1
	v_mov_b32_dpp v13, v12 row_shr:2 row_mask:0xf bank_mask:0xf
	v_cndmask_b32_e64 v13, 0, v13, s[14:15]
	v_add_u32_e32 v12, v12, v13
	s_nop 1
	;; [unrolled: 4-line block ×4, first 2 shown]
	v_mov_b32_dpp v13, v12 row_bcast:15 row_mask:0xf bank_mask:0xf
	v_cndmask_b32_e64 v13, v13, 0, s[6:7]
	v_add_u32_e32 v12, v12, v13
	s_nop 1
	v_mov_b32_dpp v13, v12 row_bcast:31 row_mask:0xf bank_mask:0xf
	v_cndmask_b32_e64 v13, 0, v13, s[4:5]
	v_add_u32_e32 v12, v12, v13
	s_and_saveexec_b64 s[18:19], s[8:9]
	s_cbranch_execz .LBB2629_23
; %bb.22:
	v_lshlrev_b32_e32 v13, 2, v27
	ds_write_b32 v13, v12
.LBB2629_23:
	s_or_b64 exec, exec, s[18:19]
	v_cmp_gt_u32_e32 vcc, 3, v0
	s_waitcnt lgkmcnt(0)
	s_barrier
	s_and_saveexec_b64 s[18:19], vcc
	s_cbranch_execz .LBB2629_25
; %bb.24:
	ds_read_b32 v13, v22
	v_and_b32_e32 v14, 3, v26
	v_cmp_ne_u32_e32 vcc, 0, v14
	s_waitcnt lgkmcnt(0)
	v_mov_b32_dpp v15, v13 row_shr:1 row_mask:0xf bank_mask:0xf
	v_cndmask_b32_e32 v15, 0, v15, vcc
	v_add_u32_e32 v13, v15, v13
	v_cmp_lt_u32_e32 vcc, 1, v14
	s_nop 0
	v_mov_b32_dpp v15, v13 row_shr:2 row_mask:0xf bank_mask:0xf
	v_cndmask_b32_e32 v14, 0, v15, vcc
	v_add_u32_e32 v13, v13, v14
	ds_write_b32 v22, v13
.LBB2629_25:
	s_or_b64 exec, exec, s[18:19]
	v_cmp_gt_u32_e32 vcc, 64, v0
	v_cmp_lt_u32_e64 s[18:19], 63, v0
	s_waitcnt lgkmcnt(0)
	s_barrier
	s_waitcnt lgkmcnt(0)
                                        ; implicit-def: $vgpr29
	s_and_saveexec_b64 s[28:29], s[18:19]
	s_cbranch_execz .LBB2629_27
; %bb.26:
	v_lshl_add_u32 v13, v27, 2, -4
	ds_read_b32 v29, v13
	s_waitcnt lgkmcnt(0)
	v_add_u32_e32 v12, v29, v12
.LBB2629_27:
	s_or_b64 exec, exec, s[28:29]
	v_add_u32_e32 v13, -1, v26
	v_and_b32_e32 v14, 64, v26
	v_cmp_lt_i32_e64 s[18:19], v13, v14
	v_cndmask_b32_e64 v13, v13, v26, s[18:19]
	v_lshlrev_b32_e32 v13, 2, v13
	ds_bpermute_b32 v30, v13, v12
	v_cmp_eq_u32_e64 s[18:19], 0, v26
	s_and_saveexec_b64 s[28:29], vcc
	s_cbranch_execz .LBB2629_50
; %bb.28:
	v_mov_b32_e32 v21, 0
	ds_read_b32 v12, v21 offset:8
	s_and_saveexec_b64 s[30:31], s[18:19]
	s_cbranch_execz .LBB2629_30
; %bb.29:
	s_add_i32 s34, s36, 64
	s_mov_b32 s35, 0
	s_lshl_b64 s[34:35], s[34:35], 3
	s_add_u32 s34, s26, s34
	v_mov_b32_e32 v13, 1
	s_addc_u32 s35, s27, s35
	s_waitcnt lgkmcnt(0)
	global_store_dwordx2 v21, v[12:13], s[34:35]
.LBB2629_30:
	s_or_b64 exec, exec, s[30:31]
	v_xad_u32 v14, v26, -1, s36
	v_add_u32_e32 v20, 64, v14
	v_lshlrev_b64 v[16:17], 3, v[20:21]
	v_mov_b32_e32 v13, s27
	v_add_co_u32_e32 v16, vcc, s26, v16
	v_addc_co_u32_e32 v17, vcc, v13, v17, vcc
	global_load_dwordx2 v[18:19], v[16:17], off glc
	s_waitcnt vmcnt(0)
	v_cmp_eq_u16_sdwa s[34:35], v19, v21 src0_sel:BYTE_0 src1_sel:DWORD
	s_and_saveexec_b64 s[30:31], s[34:35]
	s_cbranch_execz .LBB2629_36
; %bb.31:
	s_mov_b32 s37, 1
	s_mov_b64 s[34:35], 0
	v_mov_b32_e32 v13, 0
.LBB2629_32:                            ; =>This Loop Header: Depth=1
                                        ;     Child Loop BB2629_33 Depth 2
	s_max_u32 s38, s37, 1
.LBB2629_33:                            ;   Parent Loop BB2629_32 Depth=1
                                        ; =>  This Inner Loop Header: Depth=2
	s_add_i32 s38, s38, -1
	s_cmp_eq_u32 s38, 0
	s_sleep 1
	s_cbranch_scc0 .LBB2629_33
; %bb.34:                               ;   in Loop: Header=BB2629_32 Depth=1
	global_load_dwordx2 v[18:19], v[16:17], off glc
	s_cmp_lt_u32 s37, 32
	s_cselect_b64 s[38:39], -1, 0
	s_cmp_lg_u64 s[38:39], 0
	s_addc_u32 s37, s37, 0
	s_waitcnt vmcnt(0)
	v_cmp_ne_u16_sdwa s[38:39], v19, v13 src0_sel:BYTE_0 src1_sel:DWORD
	s_or_b64 s[34:35], s[38:39], s[34:35]
	s_andn2_b64 exec, exec, s[34:35]
	s_cbranch_execnz .LBB2629_32
; %bb.35:
	s_or_b64 exec, exec, s[34:35]
.LBB2629_36:
	s_or_b64 exec, exec, s[30:31]
	v_and_b32_e32 v32, 63, v26
	v_mov_b32_e32 v31, 2
	v_cmp_ne_u32_e32 vcc, 63, v32
	v_cmp_eq_u16_sdwa s[30:31], v19, v31 src0_sel:BYTE_0 src1_sel:DWORD
	v_lshlrev_b64 v[16:17], v26, -1
	v_addc_co_u32_e32 v20, vcc, 0, v26, vcc
	v_and_b32_e32 v13, s31, v17
	v_lshlrev_b32_e32 v33, 2, v20
	v_or_b32_e32 v13, 0x80000000, v13
	ds_bpermute_b32 v20, v33, v18
	v_and_b32_e32 v15, s30, v16
	v_ffbl_b32_e32 v13, v13
	v_add_u32_e32 v13, 32, v13
	v_ffbl_b32_e32 v15, v15
	v_min_u32_e32 v13, v15, v13
	v_cmp_lt_u32_e32 vcc, v32, v13
	s_waitcnt lgkmcnt(0)
	v_cndmask_b32_e32 v15, 0, v20, vcc
	v_cmp_gt_u32_e32 vcc, 62, v32
	v_add_u32_e32 v15, v15, v18
	v_cndmask_b32_e64 v18, 0, 1, vcc
	v_lshlrev_b32_e32 v18, 1, v18
	v_add_lshl_u32 v34, v18, v26, 2
	ds_bpermute_b32 v18, v34, v15
	v_add_u32_e32 v35, 2, v32
	v_cmp_le_u32_e32 vcc, v35, v13
	v_add_u32_e32 v37, 4, v32
	v_add_u32_e32 v39, 8, v32
	s_waitcnt lgkmcnt(0)
	v_cndmask_b32_e32 v18, 0, v18, vcc
	v_cmp_gt_u32_e32 vcc, 60, v32
	v_add_u32_e32 v15, v15, v18
	v_cndmask_b32_e64 v18, 0, 1, vcc
	v_lshlrev_b32_e32 v18, 2, v18
	v_add_lshl_u32 v36, v18, v26, 2
	ds_bpermute_b32 v18, v36, v15
	v_cmp_le_u32_e32 vcc, v37, v13
	v_add_u32_e32 v41, 16, v32
	v_add_u32_e32 v43, 32, v32
	s_waitcnt lgkmcnt(0)
	v_cndmask_b32_e32 v18, 0, v18, vcc
	v_cmp_gt_u32_e32 vcc, 56, v32
	v_add_u32_e32 v15, v15, v18
	v_cndmask_b32_e64 v18, 0, 1, vcc
	v_lshlrev_b32_e32 v18, 3, v18
	v_add_lshl_u32 v38, v18, v26, 2
	ds_bpermute_b32 v18, v38, v15
	v_cmp_le_u32_e32 vcc, v39, v13
	s_waitcnt lgkmcnt(0)
	v_cndmask_b32_e32 v18, 0, v18, vcc
	v_cmp_gt_u32_e32 vcc, 48, v32
	v_add_u32_e32 v15, v15, v18
	v_cndmask_b32_e64 v18, 0, 1, vcc
	v_lshlrev_b32_e32 v18, 4, v18
	v_add_lshl_u32 v40, v18, v26, 2
	ds_bpermute_b32 v18, v40, v15
	v_cmp_le_u32_e32 vcc, v41, v13
	;; [unrolled: 9-line block ×3, first 2 shown]
	s_waitcnt lgkmcnt(0)
	v_cndmask_b32_e32 v13, 0, v18, vcc
	v_add_u32_e32 v18, v15, v13
	v_mov_b32_e32 v15, 0
	s_branch .LBB2629_38
.LBB2629_37:                            ;   in Loop: Header=BB2629_38 Depth=1
	s_or_b64 exec, exec, s[30:31]
	v_cmp_eq_u16_sdwa s[30:31], v19, v31 src0_sel:BYTE_0 src1_sel:DWORD
	v_and_b32_e32 v20, s31, v17
	v_or_b32_e32 v20, 0x80000000, v20
	ds_bpermute_b32 v44, v33, v18
	v_and_b32_e32 v21, s30, v16
	v_ffbl_b32_e32 v20, v20
	v_add_u32_e32 v20, 32, v20
	v_ffbl_b32_e32 v21, v21
	v_min_u32_e32 v20, v21, v20
	v_cmp_lt_u32_e32 vcc, v32, v20
	s_waitcnt lgkmcnt(0)
	v_cndmask_b32_e32 v21, 0, v44, vcc
	v_add_u32_e32 v18, v21, v18
	ds_bpermute_b32 v21, v34, v18
	v_cmp_le_u32_e32 vcc, v35, v20
	v_subrev_u32_e32 v14, 64, v14
	s_waitcnt lgkmcnt(0)
	v_cndmask_b32_e32 v21, 0, v21, vcc
	v_add_u32_e32 v18, v18, v21
	ds_bpermute_b32 v21, v36, v18
	v_cmp_le_u32_e32 vcc, v37, v20
	s_waitcnt lgkmcnt(0)
	v_cndmask_b32_e32 v21, 0, v21, vcc
	v_add_u32_e32 v18, v18, v21
	ds_bpermute_b32 v21, v38, v18
	v_cmp_le_u32_e32 vcc, v39, v20
	;; [unrolled: 5-line block ×4, first 2 shown]
	s_waitcnt lgkmcnt(0)
	v_cndmask_b32_e32 v20, 0, v21, vcc
	v_add3_u32 v18, v20, v13, v18
.LBB2629_38:                            ; =>This Loop Header: Depth=1
                                        ;     Child Loop BB2629_41 Depth 2
                                        ;       Child Loop BB2629_42 Depth 3
	v_cmp_ne_u16_sdwa s[30:31], v19, v31 src0_sel:BYTE_0 src1_sel:DWORD
	v_cndmask_b32_e64 v13, 0, 1, s[30:31]
	;;#ASMSTART
	;;#ASMEND
	v_cmp_ne_u32_e32 vcc, 0, v13
	s_cmp_lg_u64 vcc, exec
	v_mov_b32_e32 v13, v18
	s_cbranch_scc1 .LBB2629_45
; %bb.39:                               ;   in Loop: Header=BB2629_38 Depth=1
	v_lshlrev_b64 v[18:19], 3, v[14:15]
	v_mov_b32_e32 v21, s27
	v_add_co_u32_e32 v20, vcc, s26, v18
	v_addc_co_u32_e32 v21, vcc, v21, v19, vcc
	global_load_dwordx2 v[18:19], v[20:21], off glc
	s_waitcnt vmcnt(0)
	v_cmp_eq_u16_sdwa s[34:35], v19, v15 src0_sel:BYTE_0 src1_sel:DWORD
	s_and_saveexec_b64 s[30:31], s[34:35]
	s_cbranch_execz .LBB2629_37
; %bb.40:                               ;   in Loop: Header=BB2629_38 Depth=1
	s_mov_b32 s37, 1
	s_mov_b64 s[34:35], 0
.LBB2629_41:                            ;   Parent Loop BB2629_38 Depth=1
                                        ; =>  This Loop Header: Depth=2
                                        ;       Child Loop BB2629_42 Depth 3
	s_max_u32 s38, s37, 1
.LBB2629_42:                            ;   Parent Loop BB2629_38 Depth=1
                                        ;     Parent Loop BB2629_41 Depth=2
                                        ; =>    This Inner Loop Header: Depth=3
	s_add_i32 s38, s38, -1
	s_cmp_eq_u32 s38, 0
	s_sleep 1
	s_cbranch_scc0 .LBB2629_42
; %bb.43:                               ;   in Loop: Header=BB2629_41 Depth=2
	global_load_dwordx2 v[18:19], v[20:21], off glc
	s_cmp_lt_u32 s37, 32
	s_cselect_b64 s[38:39], -1, 0
	s_cmp_lg_u64 s[38:39], 0
	s_addc_u32 s37, s37, 0
	s_waitcnt vmcnt(0)
	v_cmp_ne_u16_sdwa s[38:39], v19, v15 src0_sel:BYTE_0 src1_sel:DWORD
	s_or_b64 s[34:35], s[38:39], s[34:35]
	s_andn2_b64 exec, exec, s[34:35]
	s_cbranch_execnz .LBB2629_41
; %bb.44:                               ;   in Loop: Header=BB2629_38 Depth=1
	s_or_b64 exec, exec, s[34:35]
	s_branch .LBB2629_37
.LBB2629_45:                            ;   in Loop: Header=BB2629_38 Depth=1
                                        ; implicit-def: $vgpr18
                                        ; implicit-def: $vgpr19
	s_cbranch_execz .LBB2629_38
; %bb.46:
	s_and_saveexec_b64 s[30:31], s[18:19]
	s_cbranch_execz .LBB2629_48
; %bb.47:
	s_add_i32 s34, s36, 64
	s_mov_b32 s35, 0
	s_lshl_b64 s[34:35], s[34:35], 3
	s_add_u32 s34, s26, s34
	v_add_u32_e32 v14, v13, v12
	v_mov_b32_e32 v15, 2
	s_addc_u32 s35, s27, s35
	v_mov_b32_e32 v16, 0
	global_store_dwordx2 v16, v[14:15], s[34:35]
	ds_write_b64 v16, v[12:13] offset:6336
.LBB2629_48:
	s_or_b64 exec, exec, s[30:31]
	s_and_b64 exec, exec, s[0:1]
	s_cbranch_execz .LBB2629_50
; %bb.49:
	v_mov_b32_e32 v12, 0
	ds_write_b32 v12, v13 offset:8
.LBB2629_50:
	s_or_b64 exec, exec, s[28:29]
	v_mov_b32_e32 v12, 0
	s_waitcnt lgkmcnt(0)
	s_barrier
	ds_read_b32 v13, v12 offset:8
	v_cndmask_b32_e64 v14, v30, v29, s[18:19]
	v_cndmask_b32_e64 v14, v14, 0, s[0:1]
	s_waitcnt lgkmcnt(0)
	s_barrier
	v_add_u32_e32 v17, v13, v14
	ds_read_b64 v[12:13], v12 offset:6336
	v_add_u32_sdwa v18, v17, v23 dst_sel:DWORD dst_unused:UNUSED_PAD src0_sel:DWORD src1_sel:BYTE_0
	v_add_u32_sdwa v16, v18, v23 dst_sel:DWORD dst_unused:UNUSED_PAD src0_sel:DWORD src1_sel:BYTE_1
	v_add_u32_e32 v15, v16, v25
	s_waitcnt lgkmcnt(0)
	v_mov_b32_e32 v14, v13
	s_branch .LBB2629_61
.LBB2629_51:
                                        ; implicit-def: $vgpr14
                                        ; implicit-def: $vgpr12
                                        ; implicit-def: $vgpr15
                                        ; implicit-def: $vgpr16
                                        ; implicit-def: $vgpr18
                                        ; implicit-def: $vgpr17
	s_cbranch_execz .LBB2629_61
; %bb.52:
	s_nop 0
	v_mov_b32_dpp v12, v28 row_shr:1 row_mask:0xf bank_mask:0xf
	v_cndmask_b32_e64 v12, v12, 0, s[16:17]
	v_add_u32_e32 v12, v12, v28
	s_nop 1
	v_mov_b32_dpp v13, v12 row_shr:2 row_mask:0xf bank_mask:0xf
	v_cndmask_b32_e64 v13, 0, v13, s[14:15]
	v_add_u32_e32 v12, v12, v13
	;; [unrolled: 4-line block ×4, first 2 shown]
	s_nop 1
	v_mov_b32_dpp v13, v12 row_bcast:15 row_mask:0xf bank_mask:0xf
	v_cndmask_b32_e64 v13, v13, 0, s[6:7]
	v_add_u32_e32 v12, v12, v13
	s_nop 1
	v_mov_b32_dpp v13, v12 row_bcast:31 row_mask:0xf bank_mask:0xf
	v_cndmask_b32_e64 v13, 0, v13, s[4:5]
	v_add_u32_e32 v12, v12, v13
	s_and_saveexec_b64 s[4:5], s[8:9]
	s_cbranch_execz .LBB2629_54
; %bb.53:
	v_lshlrev_b32_e32 v13, 2, v27
	ds_write_b32 v13, v12
.LBB2629_54:
	s_or_b64 exec, exec, s[4:5]
	v_cmp_gt_u32_e32 vcc, 3, v0
	s_waitcnt lgkmcnt(0)
	s_barrier
	s_and_saveexec_b64 s[4:5], vcc
	s_cbranch_execz .LBB2629_56
; %bb.55:
	ds_read_b32 v13, v22
	v_and_b32_e32 v14, 3, v26
	v_cmp_ne_u32_e32 vcc, 0, v14
	s_waitcnt lgkmcnt(0)
	v_mov_b32_dpp v15, v13 row_shr:1 row_mask:0xf bank_mask:0xf
	v_cndmask_b32_e32 v15, 0, v15, vcc
	v_add_u32_e32 v13, v15, v13
	v_cmp_lt_u32_e32 vcc, 1, v14
	s_nop 0
	v_mov_b32_dpp v15, v13 row_shr:2 row_mask:0xf bank_mask:0xf
	v_cndmask_b32_e32 v14, 0, v15, vcc
	v_add_u32_e32 v13, v13, v14
	ds_write_b32 v22, v13
.LBB2629_56:
	s_or_b64 exec, exec, s[4:5]
	v_cmp_lt_u32_e32 vcc, 63, v0
	v_mov_b32_e32 v13, 0
	v_mov_b32_e32 v14, 0
	s_waitcnt lgkmcnt(0)
	s_barrier
	s_and_saveexec_b64 s[4:5], vcc
	s_cbranch_execz .LBB2629_58
; %bb.57:
	v_lshl_add_u32 v14, v27, 2, -4
	ds_read_b32 v14, v14
.LBB2629_58:
	s_or_b64 exec, exec, s[4:5]
	v_add_u32_e32 v15, -1, v26
	v_and_b32_e32 v16, 64, v26
	v_cmp_lt_i32_e32 vcc, v15, v16
	v_cndmask_b32_e32 v15, v15, v26, vcc
	s_waitcnt lgkmcnt(0)
	v_add_u32_e32 v12, v14, v12
	v_lshlrev_b32_e32 v15, 2, v15
	ds_bpermute_b32 v15, v15, v12
	ds_read_b32 v12, v13 offset:8
	s_and_saveexec_b64 s[4:5], s[0:1]
	s_cbranch_execz .LBB2629_60
; %bb.59:
	v_mov_b32_e32 v16, 0
	v_mov_b32_e32 v13, 2
	s_waitcnt lgkmcnt(0)
	global_store_dwordx2 v16, v[12:13], s[26:27] offset:512
.LBB2629_60:
	s_or_b64 exec, exec, s[4:5]
	v_cmp_eq_u32_e32 vcc, 0, v26
	s_waitcnt lgkmcnt(1)
	v_cndmask_b32_e32 v13, v15, v14, vcc
	v_cndmask_b32_e64 v17, v13, 0, s[0:1]
	v_add_u32_sdwa v18, v17, v23 dst_sel:DWORD dst_unused:UNUSED_PAD src0_sel:DWORD src1_sel:BYTE_0
	v_add_u32_sdwa v16, v18, v23 dst_sel:DWORD dst_unused:UNUSED_PAD src0_sel:DWORD src1_sel:BYTE_1
	v_mov_b32_e32 v14, 0
	v_add_u32_e32 v15, v16, v25
	s_waitcnt lgkmcnt(0)
	s_barrier
.LBB2629_61:
	v_add_u32_e32 v19, v12, v22
	v_sub_u32_e32 v17, v17, v14
	v_and_b32_e32 v21, 1, v23
	v_sub_u32_e32 v20, v19, v17
	v_cmp_eq_u32_e32 vcc, 1, v21
	v_cndmask_b32_e32 v17, v20, v17, vcc
	v_lshlrev_b32_e32 v17, 3, v17
	v_lshrrev_b32_e32 v13, 8, v23
	ds_write_b64 v17, v[6:7]
	v_sub_u32_e32 v6, v18, v14
	v_sub_u32_e32 v7, v19, v6
	v_and_b32_e32 v13, 1, v13
	v_add_u32_e32 v7, 1, v7
	v_cmp_eq_u32_e32 vcc, 1, v13
	v_cndmask_b32_e32 v6, v7, v6, vcc
	v_lshlrev_b32_e32 v6, 3, v6
	ds_write_b64 v6, v[8:9]
	v_sub_u32_e32 v6, v16, v14
	v_mov_b32_e32 v8, 1
	v_sub_u32_e32 v7, v19, v6
	v_and_b32_sdwa v8, v8, v23 dst_sel:DWORD dst_unused:UNUSED_PAD src0_sel:DWORD src1_sel:WORD_1
	v_add_u32_e32 v7, 2, v7
	v_cmp_eq_u32_e32 vcc, 1, v8
	v_cndmask_b32_e32 v6, v7, v6, vcc
	v_lshlrev_b32_e32 v6, 3, v6
	ds_write_b64 v6, v[2:3]
	v_sub_u32_e32 v2, v15, v14
	v_sub_u32_e32 v3, v19, v2
	v_and_b32_e32 v6, 1, v24
	v_add_u32_e32 v3, 3, v3
	v_cmp_eq_u32_e32 vcc, 1, v6
	v_cndmask_b32_e32 v2, v3, v2, vcc
	v_lshlrev_b32_e32 v2, 3, v2
	ds_write_b64 v2, v[4:5]
	s_waitcnt lgkmcnt(0)
	s_barrier
	ds_read2st64_b64 v[6:9], v1 offset1:3
	ds_read2st64_b64 v[2:5], v1 offset0:6 offset1:9
	v_add_u32_e32 v21, 0xc0, v0
	v_add_u32_e32 v20, 0x180, v0
	;; [unrolled: 1-line block ×3, first 2 shown]
	s_and_b64 vcc, exec, s[2:3]
	s_waitcnt vmcnt(0)
	v_lshlrev_b64 v[18:19], 3, v[10:11]
	s_cbranch_vccnz .LBB2629_67
; %bb.62:
	v_mov_b32_e32 v15, 0
	v_mov_b32_e32 v16, s25
	v_add_co_u32_e32 v22, vcc, s24, v18
	v_addc_co_u32_e32 v23, vcc, v16, v19, vcc
	v_lshlrev_b64 v[16:17], 3, v[14:15]
	v_add_co_u32_e32 v16, vcc, v22, v16
	v_addc_co_u32_e32 v17, vcc, v23, v17, vcc
	v_cmp_lt_u32_e32 vcc, v0, v12
	s_and_saveexec_b64 s[2:3], vcc
	s_cbranch_execnz .LBB2629_78
; %bb.63:
	s_or_b64 exec, exec, s[2:3]
	v_cmp_lt_u32_e32 vcc, v21, v12
	s_and_saveexec_b64 s[2:3], vcc
	s_cbranch_execnz .LBB2629_79
.LBB2629_64:
	s_or_b64 exec, exec, s[2:3]
	v_cmp_lt_u32_e32 vcc, v20, v12
	s_and_saveexec_b64 s[2:3], vcc
	s_cbranch_execz .LBB2629_66
.LBB2629_65:
	v_readfirstlane_b32 s4, v16
	v_readfirstlane_b32 s5, v17
	s_waitcnt lgkmcnt(0)
	s_nop 3
	global_store_dwordx2 v1, v[2:3], s[4:5] offset:3072
.LBB2629_66:
	s_or_b64 exec, exec, s[2:3]
	v_cmp_lt_u32_e64 s[2:3], v13, v12
	s_branch .LBB2629_73
.LBB2629_67:
	s_mov_b64 s[2:3], 0
                                        ; implicit-def: $vgpr16_vgpr17
	s_cbranch_execz .LBB2629_73
; %bb.68:
	v_mov_b32_e32 v15, 0
	v_mov_b32_e32 v16, s25
	v_add_co_u32_e32 v18, vcc, s24, v18
	v_addc_co_u32_e32 v19, vcc, v16, v19, vcc
	v_lshlrev_b64 v[16:17], 3, v[14:15]
	v_add_co_u32_e32 v16, vcc, v18, v16
	v_min_u32_e32 v22, s33, v12
	v_addc_co_u32_e32 v17, vcc, v19, v17, vcc
	v_cmp_gt_u32_e32 vcc, v22, v0
	s_and_saveexec_b64 s[2:3], vcc
	s_cbranch_execnz .LBB2629_80
; %bb.69:
	s_or_b64 exec, exec, s[2:3]
	v_cmp_lt_u32_e32 vcc, v21, v22
	s_and_saveexec_b64 s[2:3], vcc
	s_cbranch_execnz .LBB2629_81
.LBB2629_70:
	s_or_b64 exec, exec, s[2:3]
	v_cmp_lt_u32_e32 vcc, v20, v22
	s_and_saveexec_b64 s[2:3], vcc
	s_cbranch_execz .LBB2629_72
.LBB2629_71:
	v_readfirstlane_b32 s4, v16
	v_readfirstlane_b32 s5, v17
	s_waitcnt lgkmcnt(0)
	s_nop 3
	global_store_dwordx2 v1, v[2:3], s[4:5] offset:3072
.LBB2629_72:
	s_or_b64 exec, exec, s[2:3]
	v_cmp_lt_u32_e64 s[2:3], v13, v22
.LBB2629_73:
	s_and_saveexec_b64 s[4:5], s[2:3]
	s_cbranch_execnz .LBB2629_76
; %bb.74:
	s_or_b64 exec, exec, s[4:5]
	s_and_b64 s[0:1], s[0:1], s[22:23]
	s_and_saveexec_b64 s[2:3], s[0:1]
	s_cbranch_execnz .LBB2629_77
.LBB2629_75:
	s_endpgm
.LBB2629_76:
	v_lshlrev_b32_e32 v0, 3, v13
	v_readfirstlane_b32 s2, v16
	v_readfirstlane_b32 s3, v17
	s_waitcnt lgkmcnt(0)
	s_nop 3
	global_store_dwordx2 v0, v[4:5], s[2:3]
	s_or_b64 exec, exec, s[4:5]
	s_and_b64 s[0:1], s[0:1], s[22:23]
	s_and_saveexec_b64 s[2:3], s[0:1]
	s_cbranch_execz .LBB2629_75
.LBB2629_77:
	v_add_co_u32_e32 v0, vcc, v10, v12
	v_addc_co_u32_e32 v1, vcc, 0, v11, vcc
	v_add_co_u32_e32 v0, vcc, v0, v14
	s_waitcnt lgkmcnt(0)
	v_mov_b32_e32 v2, 0
	v_addc_co_u32_e32 v1, vcc, 0, v1, vcc
	global_store_dwordx2 v2, v[0:1], s[20:21]
	s_endpgm
.LBB2629_78:
	v_readfirstlane_b32 s4, v16
	v_readfirstlane_b32 s5, v17
	s_waitcnt lgkmcnt(1)
	s_nop 3
	global_store_dwordx2 v1, v[6:7], s[4:5]
	s_or_b64 exec, exec, s[2:3]
	v_cmp_lt_u32_e32 vcc, v21, v12
	s_and_saveexec_b64 s[2:3], vcc
	s_cbranch_execz .LBB2629_64
.LBB2629_79:
	v_readfirstlane_b32 s4, v16
	v_readfirstlane_b32 s5, v17
	s_waitcnt lgkmcnt(1)
	s_nop 3
	global_store_dwordx2 v1, v[8:9], s[4:5] offset:1536
	s_or_b64 exec, exec, s[2:3]
	v_cmp_lt_u32_e32 vcc, v20, v12
	s_and_saveexec_b64 s[2:3], vcc
	s_cbranch_execnz .LBB2629_65
	s_branch .LBB2629_66
.LBB2629_80:
	v_readfirstlane_b32 s4, v16
	v_readfirstlane_b32 s5, v17
	s_waitcnt lgkmcnt(1)
	s_nop 3
	global_store_dwordx2 v1, v[6:7], s[4:5]
	s_or_b64 exec, exec, s[2:3]
	v_cmp_lt_u32_e32 vcc, v21, v22
	s_and_saveexec_b64 s[2:3], vcc
	s_cbranch_execz .LBB2629_70
.LBB2629_81:
	v_readfirstlane_b32 s4, v16
	v_readfirstlane_b32 s5, v17
	s_waitcnt lgkmcnt(1)
	s_nop 3
	global_store_dwordx2 v1, v[8:9], s[4:5] offset:1536
	s_or_b64 exec, exec, s[2:3]
	v_cmp_lt_u32_e32 vcc, v20, v22
	s_and_saveexec_b64 s[2:3], vcc
	s_cbranch_execnz .LBB2629_71
	s_branch .LBB2629_72
	.section	.rodata,"a",@progbits
	.p2align	6, 0x0
	.amdhsa_kernel _ZN7rocprim17ROCPRIM_400000_NS6detail17trampoline_kernelINS0_14default_configENS1_25partition_config_selectorILNS1_17partition_subalgoE0ExNS0_10empty_typeEbEEZZNS1_14partition_implILS5_0ELb0ES3_jN6thrust23THRUST_200600_302600_NS6detail15normal_iteratorINSA_10device_ptrIxEEEEPS6_SG_NS0_5tupleIJSF_NSA_16discard_iteratorINSA_11use_defaultEEEEEENSH_IJSG_SG_EEES6_PlJ7is_evenIxEEEE10hipError_tPvRmT3_T4_T5_T6_T7_T9_mT8_P12ihipStream_tbDpT10_ENKUlT_T0_E_clISt17integral_constantIbLb1EES19_EEDaS14_S15_EUlS14_E_NS1_11comp_targetILNS1_3genE4ELNS1_11target_archE910ELNS1_3gpuE8ELNS1_3repE0EEENS1_30default_config_static_selectorELNS0_4arch9wavefront6targetE1EEEvT1_
		.amdhsa_group_segment_fixed_size 6344
		.amdhsa_private_segment_fixed_size 0
		.amdhsa_kernarg_size 144
		.amdhsa_user_sgpr_count 6
		.amdhsa_user_sgpr_private_segment_buffer 1
		.amdhsa_user_sgpr_dispatch_ptr 0
		.amdhsa_user_sgpr_queue_ptr 0
		.amdhsa_user_sgpr_kernarg_segment_ptr 1
		.amdhsa_user_sgpr_dispatch_id 0
		.amdhsa_user_sgpr_flat_scratch_init 0
		.amdhsa_user_sgpr_kernarg_preload_length 0
		.amdhsa_user_sgpr_kernarg_preload_offset 0
		.amdhsa_user_sgpr_private_segment_size 0
		.amdhsa_uses_dynamic_stack 0
		.amdhsa_system_sgpr_private_segment_wavefront_offset 0
		.amdhsa_system_sgpr_workgroup_id_x 1
		.amdhsa_system_sgpr_workgroup_id_y 0
		.amdhsa_system_sgpr_workgroup_id_z 0
		.amdhsa_system_sgpr_workgroup_info 0
		.amdhsa_system_vgpr_workitem_id 0
		.amdhsa_next_free_vgpr 45
		.amdhsa_next_free_sgpr 40
		.amdhsa_accum_offset 48
		.amdhsa_reserve_vcc 1
		.amdhsa_reserve_flat_scratch 0
		.amdhsa_float_round_mode_32 0
		.amdhsa_float_round_mode_16_64 0
		.amdhsa_float_denorm_mode_32 3
		.amdhsa_float_denorm_mode_16_64 3
		.amdhsa_dx10_clamp 1
		.amdhsa_ieee_mode 1
		.amdhsa_fp16_overflow 0
		.amdhsa_tg_split 0
		.amdhsa_exception_fp_ieee_invalid_op 0
		.amdhsa_exception_fp_denorm_src 0
		.amdhsa_exception_fp_ieee_div_zero 0
		.amdhsa_exception_fp_ieee_overflow 0
		.amdhsa_exception_fp_ieee_underflow 0
		.amdhsa_exception_fp_ieee_inexact 0
		.amdhsa_exception_int_div_zero 0
	.end_amdhsa_kernel
	.section	.text._ZN7rocprim17ROCPRIM_400000_NS6detail17trampoline_kernelINS0_14default_configENS1_25partition_config_selectorILNS1_17partition_subalgoE0ExNS0_10empty_typeEbEEZZNS1_14partition_implILS5_0ELb0ES3_jN6thrust23THRUST_200600_302600_NS6detail15normal_iteratorINSA_10device_ptrIxEEEEPS6_SG_NS0_5tupleIJSF_NSA_16discard_iteratorINSA_11use_defaultEEEEEENSH_IJSG_SG_EEES6_PlJ7is_evenIxEEEE10hipError_tPvRmT3_T4_T5_T6_T7_T9_mT8_P12ihipStream_tbDpT10_ENKUlT_T0_E_clISt17integral_constantIbLb1EES19_EEDaS14_S15_EUlS14_E_NS1_11comp_targetILNS1_3genE4ELNS1_11target_archE910ELNS1_3gpuE8ELNS1_3repE0EEENS1_30default_config_static_selectorELNS0_4arch9wavefront6targetE1EEEvT1_,"axG",@progbits,_ZN7rocprim17ROCPRIM_400000_NS6detail17trampoline_kernelINS0_14default_configENS1_25partition_config_selectorILNS1_17partition_subalgoE0ExNS0_10empty_typeEbEEZZNS1_14partition_implILS5_0ELb0ES3_jN6thrust23THRUST_200600_302600_NS6detail15normal_iteratorINSA_10device_ptrIxEEEEPS6_SG_NS0_5tupleIJSF_NSA_16discard_iteratorINSA_11use_defaultEEEEEENSH_IJSG_SG_EEES6_PlJ7is_evenIxEEEE10hipError_tPvRmT3_T4_T5_T6_T7_T9_mT8_P12ihipStream_tbDpT10_ENKUlT_T0_E_clISt17integral_constantIbLb1EES19_EEDaS14_S15_EUlS14_E_NS1_11comp_targetILNS1_3genE4ELNS1_11target_archE910ELNS1_3gpuE8ELNS1_3repE0EEENS1_30default_config_static_selectorELNS0_4arch9wavefront6targetE1EEEvT1_,comdat
.Lfunc_end2629:
	.size	_ZN7rocprim17ROCPRIM_400000_NS6detail17trampoline_kernelINS0_14default_configENS1_25partition_config_selectorILNS1_17partition_subalgoE0ExNS0_10empty_typeEbEEZZNS1_14partition_implILS5_0ELb0ES3_jN6thrust23THRUST_200600_302600_NS6detail15normal_iteratorINSA_10device_ptrIxEEEEPS6_SG_NS0_5tupleIJSF_NSA_16discard_iteratorINSA_11use_defaultEEEEEENSH_IJSG_SG_EEES6_PlJ7is_evenIxEEEE10hipError_tPvRmT3_T4_T5_T6_T7_T9_mT8_P12ihipStream_tbDpT10_ENKUlT_T0_E_clISt17integral_constantIbLb1EES19_EEDaS14_S15_EUlS14_E_NS1_11comp_targetILNS1_3genE4ELNS1_11target_archE910ELNS1_3gpuE8ELNS1_3repE0EEENS1_30default_config_static_selectorELNS0_4arch9wavefront6targetE1EEEvT1_, .Lfunc_end2629-_ZN7rocprim17ROCPRIM_400000_NS6detail17trampoline_kernelINS0_14default_configENS1_25partition_config_selectorILNS1_17partition_subalgoE0ExNS0_10empty_typeEbEEZZNS1_14partition_implILS5_0ELb0ES3_jN6thrust23THRUST_200600_302600_NS6detail15normal_iteratorINSA_10device_ptrIxEEEEPS6_SG_NS0_5tupleIJSF_NSA_16discard_iteratorINSA_11use_defaultEEEEEENSH_IJSG_SG_EEES6_PlJ7is_evenIxEEEE10hipError_tPvRmT3_T4_T5_T6_T7_T9_mT8_P12ihipStream_tbDpT10_ENKUlT_T0_E_clISt17integral_constantIbLb1EES19_EEDaS14_S15_EUlS14_E_NS1_11comp_targetILNS1_3genE4ELNS1_11target_archE910ELNS1_3gpuE8ELNS1_3repE0EEENS1_30default_config_static_selectorELNS0_4arch9wavefront6targetE1EEEvT1_
                                        ; -- End function
	.section	.AMDGPU.csdata,"",@progbits
; Kernel info:
; codeLenInByte = 3808
; NumSgprs: 44
; NumVgprs: 45
; NumAgprs: 0
; TotalNumVgprs: 45
; ScratchSize: 0
; MemoryBound: 0
; FloatMode: 240
; IeeeMode: 1
; LDSByteSize: 6344 bytes/workgroup (compile time only)
; SGPRBlocks: 5
; VGPRBlocks: 5
; NumSGPRsForWavesPerEU: 44
; NumVGPRsForWavesPerEU: 45
; AccumOffset: 48
; Occupancy: 8
; WaveLimiterHint : 1
; COMPUTE_PGM_RSRC2:SCRATCH_EN: 0
; COMPUTE_PGM_RSRC2:USER_SGPR: 6
; COMPUTE_PGM_RSRC2:TRAP_HANDLER: 0
; COMPUTE_PGM_RSRC2:TGID_X_EN: 1
; COMPUTE_PGM_RSRC2:TGID_Y_EN: 0
; COMPUTE_PGM_RSRC2:TGID_Z_EN: 0
; COMPUTE_PGM_RSRC2:TIDIG_COMP_CNT: 0
; COMPUTE_PGM_RSRC3_GFX90A:ACCUM_OFFSET: 11
; COMPUTE_PGM_RSRC3_GFX90A:TG_SPLIT: 0
	.section	.text._ZN7rocprim17ROCPRIM_400000_NS6detail17trampoline_kernelINS0_14default_configENS1_25partition_config_selectorILNS1_17partition_subalgoE0ExNS0_10empty_typeEbEEZZNS1_14partition_implILS5_0ELb0ES3_jN6thrust23THRUST_200600_302600_NS6detail15normal_iteratorINSA_10device_ptrIxEEEEPS6_SG_NS0_5tupleIJSF_NSA_16discard_iteratorINSA_11use_defaultEEEEEENSH_IJSG_SG_EEES6_PlJ7is_evenIxEEEE10hipError_tPvRmT3_T4_T5_T6_T7_T9_mT8_P12ihipStream_tbDpT10_ENKUlT_T0_E_clISt17integral_constantIbLb1EES19_EEDaS14_S15_EUlS14_E_NS1_11comp_targetILNS1_3genE3ELNS1_11target_archE908ELNS1_3gpuE7ELNS1_3repE0EEENS1_30default_config_static_selectorELNS0_4arch9wavefront6targetE1EEEvT1_,"axG",@progbits,_ZN7rocprim17ROCPRIM_400000_NS6detail17trampoline_kernelINS0_14default_configENS1_25partition_config_selectorILNS1_17partition_subalgoE0ExNS0_10empty_typeEbEEZZNS1_14partition_implILS5_0ELb0ES3_jN6thrust23THRUST_200600_302600_NS6detail15normal_iteratorINSA_10device_ptrIxEEEEPS6_SG_NS0_5tupleIJSF_NSA_16discard_iteratorINSA_11use_defaultEEEEEENSH_IJSG_SG_EEES6_PlJ7is_evenIxEEEE10hipError_tPvRmT3_T4_T5_T6_T7_T9_mT8_P12ihipStream_tbDpT10_ENKUlT_T0_E_clISt17integral_constantIbLb1EES19_EEDaS14_S15_EUlS14_E_NS1_11comp_targetILNS1_3genE3ELNS1_11target_archE908ELNS1_3gpuE7ELNS1_3repE0EEENS1_30default_config_static_selectorELNS0_4arch9wavefront6targetE1EEEvT1_,comdat
	.protected	_ZN7rocprim17ROCPRIM_400000_NS6detail17trampoline_kernelINS0_14default_configENS1_25partition_config_selectorILNS1_17partition_subalgoE0ExNS0_10empty_typeEbEEZZNS1_14partition_implILS5_0ELb0ES3_jN6thrust23THRUST_200600_302600_NS6detail15normal_iteratorINSA_10device_ptrIxEEEEPS6_SG_NS0_5tupleIJSF_NSA_16discard_iteratorINSA_11use_defaultEEEEEENSH_IJSG_SG_EEES6_PlJ7is_evenIxEEEE10hipError_tPvRmT3_T4_T5_T6_T7_T9_mT8_P12ihipStream_tbDpT10_ENKUlT_T0_E_clISt17integral_constantIbLb1EES19_EEDaS14_S15_EUlS14_E_NS1_11comp_targetILNS1_3genE3ELNS1_11target_archE908ELNS1_3gpuE7ELNS1_3repE0EEENS1_30default_config_static_selectorELNS0_4arch9wavefront6targetE1EEEvT1_ ; -- Begin function _ZN7rocprim17ROCPRIM_400000_NS6detail17trampoline_kernelINS0_14default_configENS1_25partition_config_selectorILNS1_17partition_subalgoE0ExNS0_10empty_typeEbEEZZNS1_14partition_implILS5_0ELb0ES3_jN6thrust23THRUST_200600_302600_NS6detail15normal_iteratorINSA_10device_ptrIxEEEEPS6_SG_NS0_5tupleIJSF_NSA_16discard_iteratorINSA_11use_defaultEEEEEENSH_IJSG_SG_EEES6_PlJ7is_evenIxEEEE10hipError_tPvRmT3_T4_T5_T6_T7_T9_mT8_P12ihipStream_tbDpT10_ENKUlT_T0_E_clISt17integral_constantIbLb1EES19_EEDaS14_S15_EUlS14_E_NS1_11comp_targetILNS1_3genE3ELNS1_11target_archE908ELNS1_3gpuE7ELNS1_3repE0EEENS1_30default_config_static_selectorELNS0_4arch9wavefront6targetE1EEEvT1_
	.globl	_ZN7rocprim17ROCPRIM_400000_NS6detail17trampoline_kernelINS0_14default_configENS1_25partition_config_selectorILNS1_17partition_subalgoE0ExNS0_10empty_typeEbEEZZNS1_14partition_implILS5_0ELb0ES3_jN6thrust23THRUST_200600_302600_NS6detail15normal_iteratorINSA_10device_ptrIxEEEEPS6_SG_NS0_5tupleIJSF_NSA_16discard_iteratorINSA_11use_defaultEEEEEENSH_IJSG_SG_EEES6_PlJ7is_evenIxEEEE10hipError_tPvRmT3_T4_T5_T6_T7_T9_mT8_P12ihipStream_tbDpT10_ENKUlT_T0_E_clISt17integral_constantIbLb1EES19_EEDaS14_S15_EUlS14_E_NS1_11comp_targetILNS1_3genE3ELNS1_11target_archE908ELNS1_3gpuE7ELNS1_3repE0EEENS1_30default_config_static_selectorELNS0_4arch9wavefront6targetE1EEEvT1_
	.p2align	8
	.type	_ZN7rocprim17ROCPRIM_400000_NS6detail17trampoline_kernelINS0_14default_configENS1_25partition_config_selectorILNS1_17partition_subalgoE0ExNS0_10empty_typeEbEEZZNS1_14partition_implILS5_0ELb0ES3_jN6thrust23THRUST_200600_302600_NS6detail15normal_iteratorINSA_10device_ptrIxEEEEPS6_SG_NS0_5tupleIJSF_NSA_16discard_iteratorINSA_11use_defaultEEEEEENSH_IJSG_SG_EEES6_PlJ7is_evenIxEEEE10hipError_tPvRmT3_T4_T5_T6_T7_T9_mT8_P12ihipStream_tbDpT10_ENKUlT_T0_E_clISt17integral_constantIbLb1EES19_EEDaS14_S15_EUlS14_E_NS1_11comp_targetILNS1_3genE3ELNS1_11target_archE908ELNS1_3gpuE7ELNS1_3repE0EEENS1_30default_config_static_selectorELNS0_4arch9wavefront6targetE1EEEvT1_,@function
_ZN7rocprim17ROCPRIM_400000_NS6detail17trampoline_kernelINS0_14default_configENS1_25partition_config_selectorILNS1_17partition_subalgoE0ExNS0_10empty_typeEbEEZZNS1_14partition_implILS5_0ELb0ES3_jN6thrust23THRUST_200600_302600_NS6detail15normal_iteratorINSA_10device_ptrIxEEEEPS6_SG_NS0_5tupleIJSF_NSA_16discard_iteratorINSA_11use_defaultEEEEEENSH_IJSG_SG_EEES6_PlJ7is_evenIxEEEE10hipError_tPvRmT3_T4_T5_T6_T7_T9_mT8_P12ihipStream_tbDpT10_ENKUlT_T0_E_clISt17integral_constantIbLb1EES19_EEDaS14_S15_EUlS14_E_NS1_11comp_targetILNS1_3genE3ELNS1_11target_archE908ELNS1_3gpuE7ELNS1_3repE0EEENS1_30default_config_static_selectorELNS0_4arch9wavefront6targetE1EEEvT1_: ; @_ZN7rocprim17ROCPRIM_400000_NS6detail17trampoline_kernelINS0_14default_configENS1_25partition_config_selectorILNS1_17partition_subalgoE0ExNS0_10empty_typeEbEEZZNS1_14partition_implILS5_0ELb0ES3_jN6thrust23THRUST_200600_302600_NS6detail15normal_iteratorINSA_10device_ptrIxEEEEPS6_SG_NS0_5tupleIJSF_NSA_16discard_iteratorINSA_11use_defaultEEEEEENSH_IJSG_SG_EEES6_PlJ7is_evenIxEEEE10hipError_tPvRmT3_T4_T5_T6_T7_T9_mT8_P12ihipStream_tbDpT10_ENKUlT_T0_E_clISt17integral_constantIbLb1EES19_EEDaS14_S15_EUlS14_E_NS1_11comp_targetILNS1_3genE3ELNS1_11target_archE908ELNS1_3gpuE7ELNS1_3repE0EEENS1_30default_config_static_selectorELNS0_4arch9wavefront6targetE1EEEvT1_
; %bb.0:
	.section	.rodata,"a",@progbits
	.p2align	6, 0x0
	.amdhsa_kernel _ZN7rocprim17ROCPRIM_400000_NS6detail17trampoline_kernelINS0_14default_configENS1_25partition_config_selectorILNS1_17partition_subalgoE0ExNS0_10empty_typeEbEEZZNS1_14partition_implILS5_0ELb0ES3_jN6thrust23THRUST_200600_302600_NS6detail15normal_iteratorINSA_10device_ptrIxEEEEPS6_SG_NS0_5tupleIJSF_NSA_16discard_iteratorINSA_11use_defaultEEEEEENSH_IJSG_SG_EEES6_PlJ7is_evenIxEEEE10hipError_tPvRmT3_T4_T5_T6_T7_T9_mT8_P12ihipStream_tbDpT10_ENKUlT_T0_E_clISt17integral_constantIbLb1EES19_EEDaS14_S15_EUlS14_E_NS1_11comp_targetILNS1_3genE3ELNS1_11target_archE908ELNS1_3gpuE7ELNS1_3repE0EEENS1_30default_config_static_selectorELNS0_4arch9wavefront6targetE1EEEvT1_
		.amdhsa_group_segment_fixed_size 0
		.amdhsa_private_segment_fixed_size 0
		.amdhsa_kernarg_size 144
		.amdhsa_user_sgpr_count 6
		.amdhsa_user_sgpr_private_segment_buffer 1
		.amdhsa_user_sgpr_dispatch_ptr 0
		.amdhsa_user_sgpr_queue_ptr 0
		.amdhsa_user_sgpr_kernarg_segment_ptr 1
		.amdhsa_user_sgpr_dispatch_id 0
		.amdhsa_user_sgpr_flat_scratch_init 0
		.amdhsa_user_sgpr_kernarg_preload_length 0
		.amdhsa_user_sgpr_kernarg_preload_offset 0
		.amdhsa_user_sgpr_private_segment_size 0
		.amdhsa_uses_dynamic_stack 0
		.amdhsa_system_sgpr_private_segment_wavefront_offset 0
		.amdhsa_system_sgpr_workgroup_id_x 1
		.amdhsa_system_sgpr_workgroup_id_y 0
		.amdhsa_system_sgpr_workgroup_id_z 0
		.amdhsa_system_sgpr_workgroup_info 0
		.amdhsa_system_vgpr_workitem_id 0
		.amdhsa_next_free_vgpr 1
		.amdhsa_next_free_sgpr 0
		.amdhsa_accum_offset 4
		.amdhsa_reserve_vcc 0
		.amdhsa_reserve_flat_scratch 0
		.amdhsa_float_round_mode_32 0
		.amdhsa_float_round_mode_16_64 0
		.amdhsa_float_denorm_mode_32 3
		.amdhsa_float_denorm_mode_16_64 3
		.amdhsa_dx10_clamp 1
		.amdhsa_ieee_mode 1
		.amdhsa_fp16_overflow 0
		.amdhsa_tg_split 0
		.amdhsa_exception_fp_ieee_invalid_op 0
		.amdhsa_exception_fp_denorm_src 0
		.amdhsa_exception_fp_ieee_div_zero 0
		.amdhsa_exception_fp_ieee_overflow 0
		.amdhsa_exception_fp_ieee_underflow 0
		.amdhsa_exception_fp_ieee_inexact 0
		.amdhsa_exception_int_div_zero 0
	.end_amdhsa_kernel
	.section	.text._ZN7rocprim17ROCPRIM_400000_NS6detail17trampoline_kernelINS0_14default_configENS1_25partition_config_selectorILNS1_17partition_subalgoE0ExNS0_10empty_typeEbEEZZNS1_14partition_implILS5_0ELb0ES3_jN6thrust23THRUST_200600_302600_NS6detail15normal_iteratorINSA_10device_ptrIxEEEEPS6_SG_NS0_5tupleIJSF_NSA_16discard_iteratorINSA_11use_defaultEEEEEENSH_IJSG_SG_EEES6_PlJ7is_evenIxEEEE10hipError_tPvRmT3_T4_T5_T6_T7_T9_mT8_P12ihipStream_tbDpT10_ENKUlT_T0_E_clISt17integral_constantIbLb1EES19_EEDaS14_S15_EUlS14_E_NS1_11comp_targetILNS1_3genE3ELNS1_11target_archE908ELNS1_3gpuE7ELNS1_3repE0EEENS1_30default_config_static_selectorELNS0_4arch9wavefront6targetE1EEEvT1_,"axG",@progbits,_ZN7rocprim17ROCPRIM_400000_NS6detail17trampoline_kernelINS0_14default_configENS1_25partition_config_selectorILNS1_17partition_subalgoE0ExNS0_10empty_typeEbEEZZNS1_14partition_implILS5_0ELb0ES3_jN6thrust23THRUST_200600_302600_NS6detail15normal_iteratorINSA_10device_ptrIxEEEEPS6_SG_NS0_5tupleIJSF_NSA_16discard_iteratorINSA_11use_defaultEEEEEENSH_IJSG_SG_EEES6_PlJ7is_evenIxEEEE10hipError_tPvRmT3_T4_T5_T6_T7_T9_mT8_P12ihipStream_tbDpT10_ENKUlT_T0_E_clISt17integral_constantIbLb1EES19_EEDaS14_S15_EUlS14_E_NS1_11comp_targetILNS1_3genE3ELNS1_11target_archE908ELNS1_3gpuE7ELNS1_3repE0EEENS1_30default_config_static_selectorELNS0_4arch9wavefront6targetE1EEEvT1_,comdat
.Lfunc_end2630:
	.size	_ZN7rocprim17ROCPRIM_400000_NS6detail17trampoline_kernelINS0_14default_configENS1_25partition_config_selectorILNS1_17partition_subalgoE0ExNS0_10empty_typeEbEEZZNS1_14partition_implILS5_0ELb0ES3_jN6thrust23THRUST_200600_302600_NS6detail15normal_iteratorINSA_10device_ptrIxEEEEPS6_SG_NS0_5tupleIJSF_NSA_16discard_iteratorINSA_11use_defaultEEEEEENSH_IJSG_SG_EEES6_PlJ7is_evenIxEEEE10hipError_tPvRmT3_T4_T5_T6_T7_T9_mT8_P12ihipStream_tbDpT10_ENKUlT_T0_E_clISt17integral_constantIbLb1EES19_EEDaS14_S15_EUlS14_E_NS1_11comp_targetILNS1_3genE3ELNS1_11target_archE908ELNS1_3gpuE7ELNS1_3repE0EEENS1_30default_config_static_selectorELNS0_4arch9wavefront6targetE1EEEvT1_, .Lfunc_end2630-_ZN7rocprim17ROCPRIM_400000_NS6detail17trampoline_kernelINS0_14default_configENS1_25partition_config_selectorILNS1_17partition_subalgoE0ExNS0_10empty_typeEbEEZZNS1_14partition_implILS5_0ELb0ES3_jN6thrust23THRUST_200600_302600_NS6detail15normal_iteratorINSA_10device_ptrIxEEEEPS6_SG_NS0_5tupleIJSF_NSA_16discard_iteratorINSA_11use_defaultEEEEEENSH_IJSG_SG_EEES6_PlJ7is_evenIxEEEE10hipError_tPvRmT3_T4_T5_T6_T7_T9_mT8_P12ihipStream_tbDpT10_ENKUlT_T0_E_clISt17integral_constantIbLb1EES19_EEDaS14_S15_EUlS14_E_NS1_11comp_targetILNS1_3genE3ELNS1_11target_archE908ELNS1_3gpuE7ELNS1_3repE0EEENS1_30default_config_static_selectorELNS0_4arch9wavefront6targetE1EEEvT1_
                                        ; -- End function
	.section	.AMDGPU.csdata,"",@progbits
; Kernel info:
; codeLenInByte = 0
; NumSgprs: 4
; NumVgprs: 0
; NumAgprs: 0
; TotalNumVgprs: 0
; ScratchSize: 0
; MemoryBound: 0
; FloatMode: 240
; IeeeMode: 1
; LDSByteSize: 0 bytes/workgroup (compile time only)
; SGPRBlocks: 0
; VGPRBlocks: 0
; NumSGPRsForWavesPerEU: 4
; NumVGPRsForWavesPerEU: 1
; AccumOffset: 4
; Occupancy: 8
; WaveLimiterHint : 0
; COMPUTE_PGM_RSRC2:SCRATCH_EN: 0
; COMPUTE_PGM_RSRC2:USER_SGPR: 6
; COMPUTE_PGM_RSRC2:TRAP_HANDLER: 0
; COMPUTE_PGM_RSRC2:TGID_X_EN: 1
; COMPUTE_PGM_RSRC2:TGID_Y_EN: 0
; COMPUTE_PGM_RSRC2:TGID_Z_EN: 0
; COMPUTE_PGM_RSRC2:TIDIG_COMP_CNT: 0
; COMPUTE_PGM_RSRC3_GFX90A:ACCUM_OFFSET: 0
; COMPUTE_PGM_RSRC3_GFX90A:TG_SPLIT: 0
	.section	.text._ZN7rocprim17ROCPRIM_400000_NS6detail17trampoline_kernelINS0_14default_configENS1_25partition_config_selectorILNS1_17partition_subalgoE0ExNS0_10empty_typeEbEEZZNS1_14partition_implILS5_0ELb0ES3_jN6thrust23THRUST_200600_302600_NS6detail15normal_iteratorINSA_10device_ptrIxEEEEPS6_SG_NS0_5tupleIJSF_NSA_16discard_iteratorINSA_11use_defaultEEEEEENSH_IJSG_SG_EEES6_PlJ7is_evenIxEEEE10hipError_tPvRmT3_T4_T5_T6_T7_T9_mT8_P12ihipStream_tbDpT10_ENKUlT_T0_E_clISt17integral_constantIbLb1EES19_EEDaS14_S15_EUlS14_E_NS1_11comp_targetILNS1_3genE2ELNS1_11target_archE906ELNS1_3gpuE6ELNS1_3repE0EEENS1_30default_config_static_selectorELNS0_4arch9wavefront6targetE1EEEvT1_,"axG",@progbits,_ZN7rocprim17ROCPRIM_400000_NS6detail17trampoline_kernelINS0_14default_configENS1_25partition_config_selectorILNS1_17partition_subalgoE0ExNS0_10empty_typeEbEEZZNS1_14partition_implILS5_0ELb0ES3_jN6thrust23THRUST_200600_302600_NS6detail15normal_iteratorINSA_10device_ptrIxEEEEPS6_SG_NS0_5tupleIJSF_NSA_16discard_iteratorINSA_11use_defaultEEEEEENSH_IJSG_SG_EEES6_PlJ7is_evenIxEEEE10hipError_tPvRmT3_T4_T5_T6_T7_T9_mT8_P12ihipStream_tbDpT10_ENKUlT_T0_E_clISt17integral_constantIbLb1EES19_EEDaS14_S15_EUlS14_E_NS1_11comp_targetILNS1_3genE2ELNS1_11target_archE906ELNS1_3gpuE6ELNS1_3repE0EEENS1_30default_config_static_selectorELNS0_4arch9wavefront6targetE1EEEvT1_,comdat
	.protected	_ZN7rocprim17ROCPRIM_400000_NS6detail17trampoline_kernelINS0_14default_configENS1_25partition_config_selectorILNS1_17partition_subalgoE0ExNS0_10empty_typeEbEEZZNS1_14partition_implILS5_0ELb0ES3_jN6thrust23THRUST_200600_302600_NS6detail15normal_iteratorINSA_10device_ptrIxEEEEPS6_SG_NS0_5tupleIJSF_NSA_16discard_iteratorINSA_11use_defaultEEEEEENSH_IJSG_SG_EEES6_PlJ7is_evenIxEEEE10hipError_tPvRmT3_T4_T5_T6_T7_T9_mT8_P12ihipStream_tbDpT10_ENKUlT_T0_E_clISt17integral_constantIbLb1EES19_EEDaS14_S15_EUlS14_E_NS1_11comp_targetILNS1_3genE2ELNS1_11target_archE906ELNS1_3gpuE6ELNS1_3repE0EEENS1_30default_config_static_selectorELNS0_4arch9wavefront6targetE1EEEvT1_ ; -- Begin function _ZN7rocprim17ROCPRIM_400000_NS6detail17trampoline_kernelINS0_14default_configENS1_25partition_config_selectorILNS1_17partition_subalgoE0ExNS0_10empty_typeEbEEZZNS1_14partition_implILS5_0ELb0ES3_jN6thrust23THRUST_200600_302600_NS6detail15normal_iteratorINSA_10device_ptrIxEEEEPS6_SG_NS0_5tupleIJSF_NSA_16discard_iteratorINSA_11use_defaultEEEEEENSH_IJSG_SG_EEES6_PlJ7is_evenIxEEEE10hipError_tPvRmT3_T4_T5_T6_T7_T9_mT8_P12ihipStream_tbDpT10_ENKUlT_T0_E_clISt17integral_constantIbLb1EES19_EEDaS14_S15_EUlS14_E_NS1_11comp_targetILNS1_3genE2ELNS1_11target_archE906ELNS1_3gpuE6ELNS1_3repE0EEENS1_30default_config_static_selectorELNS0_4arch9wavefront6targetE1EEEvT1_
	.globl	_ZN7rocprim17ROCPRIM_400000_NS6detail17trampoline_kernelINS0_14default_configENS1_25partition_config_selectorILNS1_17partition_subalgoE0ExNS0_10empty_typeEbEEZZNS1_14partition_implILS5_0ELb0ES3_jN6thrust23THRUST_200600_302600_NS6detail15normal_iteratorINSA_10device_ptrIxEEEEPS6_SG_NS0_5tupleIJSF_NSA_16discard_iteratorINSA_11use_defaultEEEEEENSH_IJSG_SG_EEES6_PlJ7is_evenIxEEEE10hipError_tPvRmT3_T4_T5_T6_T7_T9_mT8_P12ihipStream_tbDpT10_ENKUlT_T0_E_clISt17integral_constantIbLb1EES19_EEDaS14_S15_EUlS14_E_NS1_11comp_targetILNS1_3genE2ELNS1_11target_archE906ELNS1_3gpuE6ELNS1_3repE0EEENS1_30default_config_static_selectorELNS0_4arch9wavefront6targetE1EEEvT1_
	.p2align	8
	.type	_ZN7rocprim17ROCPRIM_400000_NS6detail17trampoline_kernelINS0_14default_configENS1_25partition_config_selectorILNS1_17partition_subalgoE0ExNS0_10empty_typeEbEEZZNS1_14partition_implILS5_0ELb0ES3_jN6thrust23THRUST_200600_302600_NS6detail15normal_iteratorINSA_10device_ptrIxEEEEPS6_SG_NS0_5tupleIJSF_NSA_16discard_iteratorINSA_11use_defaultEEEEEENSH_IJSG_SG_EEES6_PlJ7is_evenIxEEEE10hipError_tPvRmT3_T4_T5_T6_T7_T9_mT8_P12ihipStream_tbDpT10_ENKUlT_T0_E_clISt17integral_constantIbLb1EES19_EEDaS14_S15_EUlS14_E_NS1_11comp_targetILNS1_3genE2ELNS1_11target_archE906ELNS1_3gpuE6ELNS1_3repE0EEENS1_30default_config_static_selectorELNS0_4arch9wavefront6targetE1EEEvT1_,@function
_ZN7rocprim17ROCPRIM_400000_NS6detail17trampoline_kernelINS0_14default_configENS1_25partition_config_selectorILNS1_17partition_subalgoE0ExNS0_10empty_typeEbEEZZNS1_14partition_implILS5_0ELb0ES3_jN6thrust23THRUST_200600_302600_NS6detail15normal_iteratorINSA_10device_ptrIxEEEEPS6_SG_NS0_5tupleIJSF_NSA_16discard_iteratorINSA_11use_defaultEEEEEENSH_IJSG_SG_EEES6_PlJ7is_evenIxEEEE10hipError_tPvRmT3_T4_T5_T6_T7_T9_mT8_P12ihipStream_tbDpT10_ENKUlT_T0_E_clISt17integral_constantIbLb1EES19_EEDaS14_S15_EUlS14_E_NS1_11comp_targetILNS1_3genE2ELNS1_11target_archE906ELNS1_3gpuE6ELNS1_3repE0EEENS1_30default_config_static_selectorELNS0_4arch9wavefront6targetE1EEEvT1_: ; @_ZN7rocprim17ROCPRIM_400000_NS6detail17trampoline_kernelINS0_14default_configENS1_25partition_config_selectorILNS1_17partition_subalgoE0ExNS0_10empty_typeEbEEZZNS1_14partition_implILS5_0ELb0ES3_jN6thrust23THRUST_200600_302600_NS6detail15normal_iteratorINSA_10device_ptrIxEEEEPS6_SG_NS0_5tupleIJSF_NSA_16discard_iteratorINSA_11use_defaultEEEEEENSH_IJSG_SG_EEES6_PlJ7is_evenIxEEEE10hipError_tPvRmT3_T4_T5_T6_T7_T9_mT8_P12ihipStream_tbDpT10_ENKUlT_T0_E_clISt17integral_constantIbLb1EES19_EEDaS14_S15_EUlS14_E_NS1_11comp_targetILNS1_3genE2ELNS1_11target_archE906ELNS1_3gpuE6ELNS1_3repE0EEENS1_30default_config_static_selectorELNS0_4arch9wavefront6targetE1EEEvT1_
; %bb.0:
	.section	.rodata,"a",@progbits
	.p2align	6, 0x0
	.amdhsa_kernel _ZN7rocprim17ROCPRIM_400000_NS6detail17trampoline_kernelINS0_14default_configENS1_25partition_config_selectorILNS1_17partition_subalgoE0ExNS0_10empty_typeEbEEZZNS1_14partition_implILS5_0ELb0ES3_jN6thrust23THRUST_200600_302600_NS6detail15normal_iteratorINSA_10device_ptrIxEEEEPS6_SG_NS0_5tupleIJSF_NSA_16discard_iteratorINSA_11use_defaultEEEEEENSH_IJSG_SG_EEES6_PlJ7is_evenIxEEEE10hipError_tPvRmT3_T4_T5_T6_T7_T9_mT8_P12ihipStream_tbDpT10_ENKUlT_T0_E_clISt17integral_constantIbLb1EES19_EEDaS14_S15_EUlS14_E_NS1_11comp_targetILNS1_3genE2ELNS1_11target_archE906ELNS1_3gpuE6ELNS1_3repE0EEENS1_30default_config_static_selectorELNS0_4arch9wavefront6targetE1EEEvT1_
		.amdhsa_group_segment_fixed_size 0
		.amdhsa_private_segment_fixed_size 0
		.amdhsa_kernarg_size 144
		.amdhsa_user_sgpr_count 6
		.amdhsa_user_sgpr_private_segment_buffer 1
		.amdhsa_user_sgpr_dispatch_ptr 0
		.amdhsa_user_sgpr_queue_ptr 0
		.amdhsa_user_sgpr_kernarg_segment_ptr 1
		.amdhsa_user_sgpr_dispatch_id 0
		.amdhsa_user_sgpr_flat_scratch_init 0
		.amdhsa_user_sgpr_kernarg_preload_length 0
		.amdhsa_user_sgpr_kernarg_preload_offset 0
		.amdhsa_user_sgpr_private_segment_size 0
		.amdhsa_uses_dynamic_stack 0
		.amdhsa_system_sgpr_private_segment_wavefront_offset 0
		.amdhsa_system_sgpr_workgroup_id_x 1
		.amdhsa_system_sgpr_workgroup_id_y 0
		.amdhsa_system_sgpr_workgroup_id_z 0
		.amdhsa_system_sgpr_workgroup_info 0
		.amdhsa_system_vgpr_workitem_id 0
		.amdhsa_next_free_vgpr 1
		.amdhsa_next_free_sgpr 0
		.amdhsa_accum_offset 4
		.amdhsa_reserve_vcc 0
		.amdhsa_reserve_flat_scratch 0
		.amdhsa_float_round_mode_32 0
		.amdhsa_float_round_mode_16_64 0
		.amdhsa_float_denorm_mode_32 3
		.amdhsa_float_denorm_mode_16_64 3
		.amdhsa_dx10_clamp 1
		.amdhsa_ieee_mode 1
		.amdhsa_fp16_overflow 0
		.amdhsa_tg_split 0
		.amdhsa_exception_fp_ieee_invalid_op 0
		.amdhsa_exception_fp_denorm_src 0
		.amdhsa_exception_fp_ieee_div_zero 0
		.amdhsa_exception_fp_ieee_overflow 0
		.amdhsa_exception_fp_ieee_underflow 0
		.amdhsa_exception_fp_ieee_inexact 0
		.amdhsa_exception_int_div_zero 0
	.end_amdhsa_kernel
	.section	.text._ZN7rocprim17ROCPRIM_400000_NS6detail17trampoline_kernelINS0_14default_configENS1_25partition_config_selectorILNS1_17partition_subalgoE0ExNS0_10empty_typeEbEEZZNS1_14partition_implILS5_0ELb0ES3_jN6thrust23THRUST_200600_302600_NS6detail15normal_iteratorINSA_10device_ptrIxEEEEPS6_SG_NS0_5tupleIJSF_NSA_16discard_iteratorINSA_11use_defaultEEEEEENSH_IJSG_SG_EEES6_PlJ7is_evenIxEEEE10hipError_tPvRmT3_T4_T5_T6_T7_T9_mT8_P12ihipStream_tbDpT10_ENKUlT_T0_E_clISt17integral_constantIbLb1EES19_EEDaS14_S15_EUlS14_E_NS1_11comp_targetILNS1_3genE2ELNS1_11target_archE906ELNS1_3gpuE6ELNS1_3repE0EEENS1_30default_config_static_selectorELNS0_4arch9wavefront6targetE1EEEvT1_,"axG",@progbits,_ZN7rocprim17ROCPRIM_400000_NS6detail17trampoline_kernelINS0_14default_configENS1_25partition_config_selectorILNS1_17partition_subalgoE0ExNS0_10empty_typeEbEEZZNS1_14partition_implILS5_0ELb0ES3_jN6thrust23THRUST_200600_302600_NS6detail15normal_iteratorINSA_10device_ptrIxEEEEPS6_SG_NS0_5tupleIJSF_NSA_16discard_iteratorINSA_11use_defaultEEEEEENSH_IJSG_SG_EEES6_PlJ7is_evenIxEEEE10hipError_tPvRmT3_T4_T5_T6_T7_T9_mT8_P12ihipStream_tbDpT10_ENKUlT_T0_E_clISt17integral_constantIbLb1EES19_EEDaS14_S15_EUlS14_E_NS1_11comp_targetILNS1_3genE2ELNS1_11target_archE906ELNS1_3gpuE6ELNS1_3repE0EEENS1_30default_config_static_selectorELNS0_4arch9wavefront6targetE1EEEvT1_,comdat
.Lfunc_end2631:
	.size	_ZN7rocprim17ROCPRIM_400000_NS6detail17trampoline_kernelINS0_14default_configENS1_25partition_config_selectorILNS1_17partition_subalgoE0ExNS0_10empty_typeEbEEZZNS1_14partition_implILS5_0ELb0ES3_jN6thrust23THRUST_200600_302600_NS6detail15normal_iteratorINSA_10device_ptrIxEEEEPS6_SG_NS0_5tupleIJSF_NSA_16discard_iteratorINSA_11use_defaultEEEEEENSH_IJSG_SG_EEES6_PlJ7is_evenIxEEEE10hipError_tPvRmT3_T4_T5_T6_T7_T9_mT8_P12ihipStream_tbDpT10_ENKUlT_T0_E_clISt17integral_constantIbLb1EES19_EEDaS14_S15_EUlS14_E_NS1_11comp_targetILNS1_3genE2ELNS1_11target_archE906ELNS1_3gpuE6ELNS1_3repE0EEENS1_30default_config_static_selectorELNS0_4arch9wavefront6targetE1EEEvT1_, .Lfunc_end2631-_ZN7rocprim17ROCPRIM_400000_NS6detail17trampoline_kernelINS0_14default_configENS1_25partition_config_selectorILNS1_17partition_subalgoE0ExNS0_10empty_typeEbEEZZNS1_14partition_implILS5_0ELb0ES3_jN6thrust23THRUST_200600_302600_NS6detail15normal_iteratorINSA_10device_ptrIxEEEEPS6_SG_NS0_5tupleIJSF_NSA_16discard_iteratorINSA_11use_defaultEEEEEENSH_IJSG_SG_EEES6_PlJ7is_evenIxEEEE10hipError_tPvRmT3_T4_T5_T6_T7_T9_mT8_P12ihipStream_tbDpT10_ENKUlT_T0_E_clISt17integral_constantIbLb1EES19_EEDaS14_S15_EUlS14_E_NS1_11comp_targetILNS1_3genE2ELNS1_11target_archE906ELNS1_3gpuE6ELNS1_3repE0EEENS1_30default_config_static_selectorELNS0_4arch9wavefront6targetE1EEEvT1_
                                        ; -- End function
	.section	.AMDGPU.csdata,"",@progbits
; Kernel info:
; codeLenInByte = 0
; NumSgprs: 4
; NumVgprs: 0
; NumAgprs: 0
; TotalNumVgprs: 0
; ScratchSize: 0
; MemoryBound: 0
; FloatMode: 240
; IeeeMode: 1
; LDSByteSize: 0 bytes/workgroup (compile time only)
; SGPRBlocks: 0
; VGPRBlocks: 0
; NumSGPRsForWavesPerEU: 4
; NumVGPRsForWavesPerEU: 1
; AccumOffset: 4
; Occupancy: 8
; WaveLimiterHint : 0
; COMPUTE_PGM_RSRC2:SCRATCH_EN: 0
; COMPUTE_PGM_RSRC2:USER_SGPR: 6
; COMPUTE_PGM_RSRC2:TRAP_HANDLER: 0
; COMPUTE_PGM_RSRC2:TGID_X_EN: 1
; COMPUTE_PGM_RSRC2:TGID_Y_EN: 0
; COMPUTE_PGM_RSRC2:TGID_Z_EN: 0
; COMPUTE_PGM_RSRC2:TIDIG_COMP_CNT: 0
; COMPUTE_PGM_RSRC3_GFX90A:ACCUM_OFFSET: 0
; COMPUTE_PGM_RSRC3_GFX90A:TG_SPLIT: 0
	.section	.text._ZN7rocprim17ROCPRIM_400000_NS6detail17trampoline_kernelINS0_14default_configENS1_25partition_config_selectorILNS1_17partition_subalgoE0ExNS0_10empty_typeEbEEZZNS1_14partition_implILS5_0ELb0ES3_jN6thrust23THRUST_200600_302600_NS6detail15normal_iteratorINSA_10device_ptrIxEEEEPS6_SG_NS0_5tupleIJSF_NSA_16discard_iteratorINSA_11use_defaultEEEEEENSH_IJSG_SG_EEES6_PlJ7is_evenIxEEEE10hipError_tPvRmT3_T4_T5_T6_T7_T9_mT8_P12ihipStream_tbDpT10_ENKUlT_T0_E_clISt17integral_constantIbLb1EES19_EEDaS14_S15_EUlS14_E_NS1_11comp_targetILNS1_3genE10ELNS1_11target_archE1200ELNS1_3gpuE4ELNS1_3repE0EEENS1_30default_config_static_selectorELNS0_4arch9wavefront6targetE1EEEvT1_,"axG",@progbits,_ZN7rocprim17ROCPRIM_400000_NS6detail17trampoline_kernelINS0_14default_configENS1_25partition_config_selectorILNS1_17partition_subalgoE0ExNS0_10empty_typeEbEEZZNS1_14partition_implILS5_0ELb0ES3_jN6thrust23THRUST_200600_302600_NS6detail15normal_iteratorINSA_10device_ptrIxEEEEPS6_SG_NS0_5tupleIJSF_NSA_16discard_iteratorINSA_11use_defaultEEEEEENSH_IJSG_SG_EEES6_PlJ7is_evenIxEEEE10hipError_tPvRmT3_T4_T5_T6_T7_T9_mT8_P12ihipStream_tbDpT10_ENKUlT_T0_E_clISt17integral_constantIbLb1EES19_EEDaS14_S15_EUlS14_E_NS1_11comp_targetILNS1_3genE10ELNS1_11target_archE1200ELNS1_3gpuE4ELNS1_3repE0EEENS1_30default_config_static_selectorELNS0_4arch9wavefront6targetE1EEEvT1_,comdat
	.protected	_ZN7rocprim17ROCPRIM_400000_NS6detail17trampoline_kernelINS0_14default_configENS1_25partition_config_selectorILNS1_17partition_subalgoE0ExNS0_10empty_typeEbEEZZNS1_14partition_implILS5_0ELb0ES3_jN6thrust23THRUST_200600_302600_NS6detail15normal_iteratorINSA_10device_ptrIxEEEEPS6_SG_NS0_5tupleIJSF_NSA_16discard_iteratorINSA_11use_defaultEEEEEENSH_IJSG_SG_EEES6_PlJ7is_evenIxEEEE10hipError_tPvRmT3_T4_T5_T6_T7_T9_mT8_P12ihipStream_tbDpT10_ENKUlT_T0_E_clISt17integral_constantIbLb1EES19_EEDaS14_S15_EUlS14_E_NS1_11comp_targetILNS1_3genE10ELNS1_11target_archE1200ELNS1_3gpuE4ELNS1_3repE0EEENS1_30default_config_static_selectorELNS0_4arch9wavefront6targetE1EEEvT1_ ; -- Begin function _ZN7rocprim17ROCPRIM_400000_NS6detail17trampoline_kernelINS0_14default_configENS1_25partition_config_selectorILNS1_17partition_subalgoE0ExNS0_10empty_typeEbEEZZNS1_14partition_implILS5_0ELb0ES3_jN6thrust23THRUST_200600_302600_NS6detail15normal_iteratorINSA_10device_ptrIxEEEEPS6_SG_NS0_5tupleIJSF_NSA_16discard_iteratorINSA_11use_defaultEEEEEENSH_IJSG_SG_EEES6_PlJ7is_evenIxEEEE10hipError_tPvRmT3_T4_T5_T6_T7_T9_mT8_P12ihipStream_tbDpT10_ENKUlT_T0_E_clISt17integral_constantIbLb1EES19_EEDaS14_S15_EUlS14_E_NS1_11comp_targetILNS1_3genE10ELNS1_11target_archE1200ELNS1_3gpuE4ELNS1_3repE0EEENS1_30default_config_static_selectorELNS0_4arch9wavefront6targetE1EEEvT1_
	.globl	_ZN7rocprim17ROCPRIM_400000_NS6detail17trampoline_kernelINS0_14default_configENS1_25partition_config_selectorILNS1_17partition_subalgoE0ExNS0_10empty_typeEbEEZZNS1_14partition_implILS5_0ELb0ES3_jN6thrust23THRUST_200600_302600_NS6detail15normal_iteratorINSA_10device_ptrIxEEEEPS6_SG_NS0_5tupleIJSF_NSA_16discard_iteratorINSA_11use_defaultEEEEEENSH_IJSG_SG_EEES6_PlJ7is_evenIxEEEE10hipError_tPvRmT3_T4_T5_T6_T7_T9_mT8_P12ihipStream_tbDpT10_ENKUlT_T0_E_clISt17integral_constantIbLb1EES19_EEDaS14_S15_EUlS14_E_NS1_11comp_targetILNS1_3genE10ELNS1_11target_archE1200ELNS1_3gpuE4ELNS1_3repE0EEENS1_30default_config_static_selectorELNS0_4arch9wavefront6targetE1EEEvT1_
	.p2align	8
	.type	_ZN7rocprim17ROCPRIM_400000_NS6detail17trampoline_kernelINS0_14default_configENS1_25partition_config_selectorILNS1_17partition_subalgoE0ExNS0_10empty_typeEbEEZZNS1_14partition_implILS5_0ELb0ES3_jN6thrust23THRUST_200600_302600_NS6detail15normal_iteratorINSA_10device_ptrIxEEEEPS6_SG_NS0_5tupleIJSF_NSA_16discard_iteratorINSA_11use_defaultEEEEEENSH_IJSG_SG_EEES6_PlJ7is_evenIxEEEE10hipError_tPvRmT3_T4_T5_T6_T7_T9_mT8_P12ihipStream_tbDpT10_ENKUlT_T0_E_clISt17integral_constantIbLb1EES19_EEDaS14_S15_EUlS14_E_NS1_11comp_targetILNS1_3genE10ELNS1_11target_archE1200ELNS1_3gpuE4ELNS1_3repE0EEENS1_30default_config_static_selectorELNS0_4arch9wavefront6targetE1EEEvT1_,@function
_ZN7rocprim17ROCPRIM_400000_NS6detail17trampoline_kernelINS0_14default_configENS1_25partition_config_selectorILNS1_17partition_subalgoE0ExNS0_10empty_typeEbEEZZNS1_14partition_implILS5_0ELb0ES3_jN6thrust23THRUST_200600_302600_NS6detail15normal_iteratorINSA_10device_ptrIxEEEEPS6_SG_NS0_5tupleIJSF_NSA_16discard_iteratorINSA_11use_defaultEEEEEENSH_IJSG_SG_EEES6_PlJ7is_evenIxEEEE10hipError_tPvRmT3_T4_T5_T6_T7_T9_mT8_P12ihipStream_tbDpT10_ENKUlT_T0_E_clISt17integral_constantIbLb1EES19_EEDaS14_S15_EUlS14_E_NS1_11comp_targetILNS1_3genE10ELNS1_11target_archE1200ELNS1_3gpuE4ELNS1_3repE0EEENS1_30default_config_static_selectorELNS0_4arch9wavefront6targetE1EEEvT1_: ; @_ZN7rocprim17ROCPRIM_400000_NS6detail17trampoline_kernelINS0_14default_configENS1_25partition_config_selectorILNS1_17partition_subalgoE0ExNS0_10empty_typeEbEEZZNS1_14partition_implILS5_0ELb0ES3_jN6thrust23THRUST_200600_302600_NS6detail15normal_iteratorINSA_10device_ptrIxEEEEPS6_SG_NS0_5tupleIJSF_NSA_16discard_iteratorINSA_11use_defaultEEEEEENSH_IJSG_SG_EEES6_PlJ7is_evenIxEEEE10hipError_tPvRmT3_T4_T5_T6_T7_T9_mT8_P12ihipStream_tbDpT10_ENKUlT_T0_E_clISt17integral_constantIbLb1EES19_EEDaS14_S15_EUlS14_E_NS1_11comp_targetILNS1_3genE10ELNS1_11target_archE1200ELNS1_3gpuE4ELNS1_3repE0EEENS1_30default_config_static_selectorELNS0_4arch9wavefront6targetE1EEEvT1_
; %bb.0:
	.section	.rodata,"a",@progbits
	.p2align	6, 0x0
	.amdhsa_kernel _ZN7rocprim17ROCPRIM_400000_NS6detail17trampoline_kernelINS0_14default_configENS1_25partition_config_selectorILNS1_17partition_subalgoE0ExNS0_10empty_typeEbEEZZNS1_14partition_implILS5_0ELb0ES3_jN6thrust23THRUST_200600_302600_NS6detail15normal_iteratorINSA_10device_ptrIxEEEEPS6_SG_NS0_5tupleIJSF_NSA_16discard_iteratorINSA_11use_defaultEEEEEENSH_IJSG_SG_EEES6_PlJ7is_evenIxEEEE10hipError_tPvRmT3_T4_T5_T6_T7_T9_mT8_P12ihipStream_tbDpT10_ENKUlT_T0_E_clISt17integral_constantIbLb1EES19_EEDaS14_S15_EUlS14_E_NS1_11comp_targetILNS1_3genE10ELNS1_11target_archE1200ELNS1_3gpuE4ELNS1_3repE0EEENS1_30default_config_static_selectorELNS0_4arch9wavefront6targetE1EEEvT1_
		.amdhsa_group_segment_fixed_size 0
		.amdhsa_private_segment_fixed_size 0
		.amdhsa_kernarg_size 144
		.amdhsa_user_sgpr_count 6
		.amdhsa_user_sgpr_private_segment_buffer 1
		.amdhsa_user_sgpr_dispatch_ptr 0
		.amdhsa_user_sgpr_queue_ptr 0
		.amdhsa_user_sgpr_kernarg_segment_ptr 1
		.amdhsa_user_sgpr_dispatch_id 0
		.amdhsa_user_sgpr_flat_scratch_init 0
		.amdhsa_user_sgpr_kernarg_preload_length 0
		.amdhsa_user_sgpr_kernarg_preload_offset 0
		.amdhsa_user_sgpr_private_segment_size 0
		.amdhsa_uses_dynamic_stack 0
		.amdhsa_system_sgpr_private_segment_wavefront_offset 0
		.amdhsa_system_sgpr_workgroup_id_x 1
		.amdhsa_system_sgpr_workgroup_id_y 0
		.amdhsa_system_sgpr_workgroup_id_z 0
		.amdhsa_system_sgpr_workgroup_info 0
		.amdhsa_system_vgpr_workitem_id 0
		.amdhsa_next_free_vgpr 1
		.amdhsa_next_free_sgpr 0
		.amdhsa_accum_offset 4
		.amdhsa_reserve_vcc 0
		.amdhsa_reserve_flat_scratch 0
		.amdhsa_float_round_mode_32 0
		.amdhsa_float_round_mode_16_64 0
		.amdhsa_float_denorm_mode_32 3
		.amdhsa_float_denorm_mode_16_64 3
		.amdhsa_dx10_clamp 1
		.amdhsa_ieee_mode 1
		.amdhsa_fp16_overflow 0
		.amdhsa_tg_split 0
		.amdhsa_exception_fp_ieee_invalid_op 0
		.amdhsa_exception_fp_denorm_src 0
		.amdhsa_exception_fp_ieee_div_zero 0
		.amdhsa_exception_fp_ieee_overflow 0
		.amdhsa_exception_fp_ieee_underflow 0
		.amdhsa_exception_fp_ieee_inexact 0
		.amdhsa_exception_int_div_zero 0
	.end_amdhsa_kernel
	.section	.text._ZN7rocprim17ROCPRIM_400000_NS6detail17trampoline_kernelINS0_14default_configENS1_25partition_config_selectorILNS1_17partition_subalgoE0ExNS0_10empty_typeEbEEZZNS1_14partition_implILS5_0ELb0ES3_jN6thrust23THRUST_200600_302600_NS6detail15normal_iteratorINSA_10device_ptrIxEEEEPS6_SG_NS0_5tupleIJSF_NSA_16discard_iteratorINSA_11use_defaultEEEEEENSH_IJSG_SG_EEES6_PlJ7is_evenIxEEEE10hipError_tPvRmT3_T4_T5_T6_T7_T9_mT8_P12ihipStream_tbDpT10_ENKUlT_T0_E_clISt17integral_constantIbLb1EES19_EEDaS14_S15_EUlS14_E_NS1_11comp_targetILNS1_3genE10ELNS1_11target_archE1200ELNS1_3gpuE4ELNS1_3repE0EEENS1_30default_config_static_selectorELNS0_4arch9wavefront6targetE1EEEvT1_,"axG",@progbits,_ZN7rocprim17ROCPRIM_400000_NS6detail17trampoline_kernelINS0_14default_configENS1_25partition_config_selectorILNS1_17partition_subalgoE0ExNS0_10empty_typeEbEEZZNS1_14partition_implILS5_0ELb0ES3_jN6thrust23THRUST_200600_302600_NS6detail15normal_iteratorINSA_10device_ptrIxEEEEPS6_SG_NS0_5tupleIJSF_NSA_16discard_iteratorINSA_11use_defaultEEEEEENSH_IJSG_SG_EEES6_PlJ7is_evenIxEEEE10hipError_tPvRmT3_T4_T5_T6_T7_T9_mT8_P12ihipStream_tbDpT10_ENKUlT_T0_E_clISt17integral_constantIbLb1EES19_EEDaS14_S15_EUlS14_E_NS1_11comp_targetILNS1_3genE10ELNS1_11target_archE1200ELNS1_3gpuE4ELNS1_3repE0EEENS1_30default_config_static_selectorELNS0_4arch9wavefront6targetE1EEEvT1_,comdat
.Lfunc_end2632:
	.size	_ZN7rocprim17ROCPRIM_400000_NS6detail17trampoline_kernelINS0_14default_configENS1_25partition_config_selectorILNS1_17partition_subalgoE0ExNS0_10empty_typeEbEEZZNS1_14partition_implILS5_0ELb0ES3_jN6thrust23THRUST_200600_302600_NS6detail15normal_iteratorINSA_10device_ptrIxEEEEPS6_SG_NS0_5tupleIJSF_NSA_16discard_iteratorINSA_11use_defaultEEEEEENSH_IJSG_SG_EEES6_PlJ7is_evenIxEEEE10hipError_tPvRmT3_T4_T5_T6_T7_T9_mT8_P12ihipStream_tbDpT10_ENKUlT_T0_E_clISt17integral_constantIbLb1EES19_EEDaS14_S15_EUlS14_E_NS1_11comp_targetILNS1_3genE10ELNS1_11target_archE1200ELNS1_3gpuE4ELNS1_3repE0EEENS1_30default_config_static_selectorELNS0_4arch9wavefront6targetE1EEEvT1_, .Lfunc_end2632-_ZN7rocprim17ROCPRIM_400000_NS6detail17trampoline_kernelINS0_14default_configENS1_25partition_config_selectorILNS1_17partition_subalgoE0ExNS0_10empty_typeEbEEZZNS1_14partition_implILS5_0ELb0ES3_jN6thrust23THRUST_200600_302600_NS6detail15normal_iteratorINSA_10device_ptrIxEEEEPS6_SG_NS0_5tupleIJSF_NSA_16discard_iteratorINSA_11use_defaultEEEEEENSH_IJSG_SG_EEES6_PlJ7is_evenIxEEEE10hipError_tPvRmT3_T4_T5_T6_T7_T9_mT8_P12ihipStream_tbDpT10_ENKUlT_T0_E_clISt17integral_constantIbLb1EES19_EEDaS14_S15_EUlS14_E_NS1_11comp_targetILNS1_3genE10ELNS1_11target_archE1200ELNS1_3gpuE4ELNS1_3repE0EEENS1_30default_config_static_selectorELNS0_4arch9wavefront6targetE1EEEvT1_
                                        ; -- End function
	.section	.AMDGPU.csdata,"",@progbits
; Kernel info:
; codeLenInByte = 0
; NumSgprs: 4
; NumVgprs: 0
; NumAgprs: 0
; TotalNumVgprs: 0
; ScratchSize: 0
; MemoryBound: 0
; FloatMode: 240
; IeeeMode: 1
; LDSByteSize: 0 bytes/workgroup (compile time only)
; SGPRBlocks: 0
; VGPRBlocks: 0
; NumSGPRsForWavesPerEU: 4
; NumVGPRsForWavesPerEU: 1
; AccumOffset: 4
; Occupancy: 8
; WaveLimiterHint : 0
; COMPUTE_PGM_RSRC2:SCRATCH_EN: 0
; COMPUTE_PGM_RSRC2:USER_SGPR: 6
; COMPUTE_PGM_RSRC2:TRAP_HANDLER: 0
; COMPUTE_PGM_RSRC2:TGID_X_EN: 1
; COMPUTE_PGM_RSRC2:TGID_Y_EN: 0
; COMPUTE_PGM_RSRC2:TGID_Z_EN: 0
; COMPUTE_PGM_RSRC2:TIDIG_COMP_CNT: 0
; COMPUTE_PGM_RSRC3_GFX90A:ACCUM_OFFSET: 0
; COMPUTE_PGM_RSRC3_GFX90A:TG_SPLIT: 0
	.section	.text._ZN7rocprim17ROCPRIM_400000_NS6detail17trampoline_kernelINS0_14default_configENS1_25partition_config_selectorILNS1_17partition_subalgoE0ExNS0_10empty_typeEbEEZZNS1_14partition_implILS5_0ELb0ES3_jN6thrust23THRUST_200600_302600_NS6detail15normal_iteratorINSA_10device_ptrIxEEEEPS6_SG_NS0_5tupleIJSF_NSA_16discard_iteratorINSA_11use_defaultEEEEEENSH_IJSG_SG_EEES6_PlJ7is_evenIxEEEE10hipError_tPvRmT3_T4_T5_T6_T7_T9_mT8_P12ihipStream_tbDpT10_ENKUlT_T0_E_clISt17integral_constantIbLb1EES19_EEDaS14_S15_EUlS14_E_NS1_11comp_targetILNS1_3genE9ELNS1_11target_archE1100ELNS1_3gpuE3ELNS1_3repE0EEENS1_30default_config_static_selectorELNS0_4arch9wavefront6targetE1EEEvT1_,"axG",@progbits,_ZN7rocprim17ROCPRIM_400000_NS6detail17trampoline_kernelINS0_14default_configENS1_25partition_config_selectorILNS1_17partition_subalgoE0ExNS0_10empty_typeEbEEZZNS1_14partition_implILS5_0ELb0ES3_jN6thrust23THRUST_200600_302600_NS6detail15normal_iteratorINSA_10device_ptrIxEEEEPS6_SG_NS0_5tupleIJSF_NSA_16discard_iteratorINSA_11use_defaultEEEEEENSH_IJSG_SG_EEES6_PlJ7is_evenIxEEEE10hipError_tPvRmT3_T4_T5_T6_T7_T9_mT8_P12ihipStream_tbDpT10_ENKUlT_T0_E_clISt17integral_constantIbLb1EES19_EEDaS14_S15_EUlS14_E_NS1_11comp_targetILNS1_3genE9ELNS1_11target_archE1100ELNS1_3gpuE3ELNS1_3repE0EEENS1_30default_config_static_selectorELNS0_4arch9wavefront6targetE1EEEvT1_,comdat
	.protected	_ZN7rocprim17ROCPRIM_400000_NS6detail17trampoline_kernelINS0_14default_configENS1_25partition_config_selectorILNS1_17partition_subalgoE0ExNS0_10empty_typeEbEEZZNS1_14partition_implILS5_0ELb0ES3_jN6thrust23THRUST_200600_302600_NS6detail15normal_iteratorINSA_10device_ptrIxEEEEPS6_SG_NS0_5tupleIJSF_NSA_16discard_iteratorINSA_11use_defaultEEEEEENSH_IJSG_SG_EEES6_PlJ7is_evenIxEEEE10hipError_tPvRmT3_T4_T5_T6_T7_T9_mT8_P12ihipStream_tbDpT10_ENKUlT_T0_E_clISt17integral_constantIbLb1EES19_EEDaS14_S15_EUlS14_E_NS1_11comp_targetILNS1_3genE9ELNS1_11target_archE1100ELNS1_3gpuE3ELNS1_3repE0EEENS1_30default_config_static_selectorELNS0_4arch9wavefront6targetE1EEEvT1_ ; -- Begin function _ZN7rocprim17ROCPRIM_400000_NS6detail17trampoline_kernelINS0_14default_configENS1_25partition_config_selectorILNS1_17partition_subalgoE0ExNS0_10empty_typeEbEEZZNS1_14partition_implILS5_0ELb0ES3_jN6thrust23THRUST_200600_302600_NS6detail15normal_iteratorINSA_10device_ptrIxEEEEPS6_SG_NS0_5tupleIJSF_NSA_16discard_iteratorINSA_11use_defaultEEEEEENSH_IJSG_SG_EEES6_PlJ7is_evenIxEEEE10hipError_tPvRmT3_T4_T5_T6_T7_T9_mT8_P12ihipStream_tbDpT10_ENKUlT_T0_E_clISt17integral_constantIbLb1EES19_EEDaS14_S15_EUlS14_E_NS1_11comp_targetILNS1_3genE9ELNS1_11target_archE1100ELNS1_3gpuE3ELNS1_3repE0EEENS1_30default_config_static_selectorELNS0_4arch9wavefront6targetE1EEEvT1_
	.globl	_ZN7rocprim17ROCPRIM_400000_NS6detail17trampoline_kernelINS0_14default_configENS1_25partition_config_selectorILNS1_17partition_subalgoE0ExNS0_10empty_typeEbEEZZNS1_14partition_implILS5_0ELb0ES3_jN6thrust23THRUST_200600_302600_NS6detail15normal_iteratorINSA_10device_ptrIxEEEEPS6_SG_NS0_5tupleIJSF_NSA_16discard_iteratorINSA_11use_defaultEEEEEENSH_IJSG_SG_EEES6_PlJ7is_evenIxEEEE10hipError_tPvRmT3_T4_T5_T6_T7_T9_mT8_P12ihipStream_tbDpT10_ENKUlT_T0_E_clISt17integral_constantIbLb1EES19_EEDaS14_S15_EUlS14_E_NS1_11comp_targetILNS1_3genE9ELNS1_11target_archE1100ELNS1_3gpuE3ELNS1_3repE0EEENS1_30default_config_static_selectorELNS0_4arch9wavefront6targetE1EEEvT1_
	.p2align	8
	.type	_ZN7rocprim17ROCPRIM_400000_NS6detail17trampoline_kernelINS0_14default_configENS1_25partition_config_selectorILNS1_17partition_subalgoE0ExNS0_10empty_typeEbEEZZNS1_14partition_implILS5_0ELb0ES3_jN6thrust23THRUST_200600_302600_NS6detail15normal_iteratorINSA_10device_ptrIxEEEEPS6_SG_NS0_5tupleIJSF_NSA_16discard_iteratorINSA_11use_defaultEEEEEENSH_IJSG_SG_EEES6_PlJ7is_evenIxEEEE10hipError_tPvRmT3_T4_T5_T6_T7_T9_mT8_P12ihipStream_tbDpT10_ENKUlT_T0_E_clISt17integral_constantIbLb1EES19_EEDaS14_S15_EUlS14_E_NS1_11comp_targetILNS1_3genE9ELNS1_11target_archE1100ELNS1_3gpuE3ELNS1_3repE0EEENS1_30default_config_static_selectorELNS0_4arch9wavefront6targetE1EEEvT1_,@function
_ZN7rocprim17ROCPRIM_400000_NS6detail17trampoline_kernelINS0_14default_configENS1_25partition_config_selectorILNS1_17partition_subalgoE0ExNS0_10empty_typeEbEEZZNS1_14partition_implILS5_0ELb0ES3_jN6thrust23THRUST_200600_302600_NS6detail15normal_iteratorINSA_10device_ptrIxEEEEPS6_SG_NS0_5tupleIJSF_NSA_16discard_iteratorINSA_11use_defaultEEEEEENSH_IJSG_SG_EEES6_PlJ7is_evenIxEEEE10hipError_tPvRmT3_T4_T5_T6_T7_T9_mT8_P12ihipStream_tbDpT10_ENKUlT_T0_E_clISt17integral_constantIbLb1EES19_EEDaS14_S15_EUlS14_E_NS1_11comp_targetILNS1_3genE9ELNS1_11target_archE1100ELNS1_3gpuE3ELNS1_3repE0EEENS1_30default_config_static_selectorELNS0_4arch9wavefront6targetE1EEEvT1_: ; @_ZN7rocprim17ROCPRIM_400000_NS6detail17trampoline_kernelINS0_14default_configENS1_25partition_config_selectorILNS1_17partition_subalgoE0ExNS0_10empty_typeEbEEZZNS1_14partition_implILS5_0ELb0ES3_jN6thrust23THRUST_200600_302600_NS6detail15normal_iteratorINSA_10device_ptrIxEEEEPS6_SG_NS0_5tupleIJSF_NSA_16discard_iteratorINSA_11use_defaultEEEEEENSH_IJSG_SG_EEES6_PlJ7is_evenIxEEEE10hipError_tPvRmT3_T4_T5_T6_T7_T9_mT8_P12ihipStream_tbDpT10_ENKUlT_T0_E_clISt17integral_constantIbLb1EES19_EEDaS14_S15_EUlS14_E_NS1_11comp_targetILNS1_3genE9ELNS1_11target_archE1100ELNS1_3gpuE3ELNS1_3repE0EEENS1_30default_config_static_selectorELNS0_4arch9wavefront6targetE1EEEvT1_
; %bb.0:
	.section	.rodata,"a",@progbits
	.p2align	6, 0x0
	.amdhsa_kernel _ZN7rocprim17ROCPRIM_400000_NS6detail17trampoline_kernelINS0_14default_configENS1_25partition_config_selectorILNS1_17partition_subalgoE0ExNS0_10empty_typeEbEEZZNS1_14partition_implILS5_0ELb0ES3_jN6thrust23THRUST_200600_302600_NS6detail15normal_iteratorINSA_10device_ptrIxEEEEPS6_SG_NS0_5tupleIJSF_NSA_16discard_iteratorINSA_11use_defaultEEEEEENSH_IJSG_SG_EEES6_PlJ7is_evenIxEEEE10hipError_tPvRmT3_T4_T5_T6_T7_T9_mT8_P12ihipStream_tbDpT10_ENKUlT_T0_E_clISt17integral_constantIbLb1EES19_EEDaS14_S15_EUlS14_E_NS1_11comp_targetILNS1_3genE9ELNS1_11target_archE1100ELNS1_3gpuE3ELNS1_3repE0EEENS1_30default_config_static_selectorELNS0_4arch9wavefront6targetE1EEEvT1_
		.amdhsa_group_segment_fixed_size 0
		.amdhsa_private_segment_fixed_size 0
		.amdhsa_kernarg_size 144
		.amdhsa_user_sgpr_count 6
		.amdhsa_user_sgpr_private_segment_buffer 1
		.amdhsa_user_sgpr_dispatch_ptr 0
		.amdhsa_user_sgpr_queue_ptr 0
		.amdhsa_user_sgpr_kernarg_segment_ptr 1
		.amdhsa_user_sgpr_dispatch_id 0
		.amdhsa_user_sgpr_flat_scratch_init 0
		.amdhsa_user_sgpr_kernarg_preload_length 0
		.amdhsa_user_sgpr_kernarg_preload_offset 0
		.amdhsa_user_sgpr_private_segment_size 0
		.amdhsa_uses_dynamic_stack 0
		.amdhsa_system_sgpr_private_segment_wavefront_offset 0
		.amdhsa_system_sgpr_workgroup_id_x 1
		.amdhsa_system_sgpr_workgroup_id_y 0
		.amdhsa_system_sgpr_workgroup_id_z 0
		.amdhsa_system_sgpr_workgroup_info 0
		.amdhsa_system_vgpr_workitem_id 0
		.amdhsa_next_free_vgpr 1
		.amdhsa_next_free_sgpr 0
		.amdhsa_accum_offset 4
		.amdhsa_reserve_vcc 0
		.amdhsa_reserve_flat_scratch 0
		.amdhsa_float_round_mode_32 0
		.amdhsa_float_round_mode_16_64 0
		.amdhsa_float_denorm_mode_32 3
		.amdhsa_float_denorm_mode_16_64 3
		.amdhsa_dx10_clamp 1
		.amdhsa_ieee_mode 1
		.amdhsa_fp16_overflow 0
		.amdhsa_tg_split 0
		.amdhsa_exception_fp_ieee_invalid_op 0
		.amdhsa_exception_fp_denorm_src 0
		.amdhsa_exception_fp_ieee_div_zero 0
		.amdhsa_exception_fp_ieee_overflow 0
		.amdhsa_exception_fp_ieee_underflow 0
		.amdhsa_exception_fp_ieee_inexact 0
		.amdhsa_exception_int_div_zero 0
	.end_amdhsa_kernel
	.section	.text._ZN7rocprim17ROCPRIM_400000_NS6detail17trampoline_kernelINS0_14default_configENS1_25partition_config_selectorILNS1_17partition_subalgoE0ExNS0_10empty_typeEbEEZZNS1_14partition_implILS5_0ELb0ES3_jN6thrust23THRUST_200600_302600_NS6detail15normal_iteratorINSA_10device_ptrIxEEEEPS6_SG_NS0_5tupleIJSF_NSA_16discard_iteratorINSA_11use_defaultEEEEEENSH_IJSG_SG_EEES6_PlJ7is_evenIxEEEE10hipError_tPvRmT3_T4_T5_T6_T7_T9_mT8_P12ihipStream_tbDpT10_ENKUlT_T0_E_clISt17integral_constantIbLb1EES19_EEDaS14_S15_EUlS14_E_NS1_11comp_targetILNS1_3genE9ELNS1_11target_archE1100ELNS1_3gpuE3ELNS1_3repE0EEENS1_30default_config_static_selectorELNS0_4arch9wavefront6targetE1EEEvT1_,"axG",@progbits,_ZN7rocprim17ROCPRIM_400000_NS6detail17trampoline_kernelINS0_14default_configENS1_25partition_config_selectorILNS1_17partition_subalgoE0ExNS0_10empty_typeEbEEZZNS1_14partition_implILS5_0ELb0ES3_jN6thrust23THRUST_200600_302600_NS6detail15normal_iteratorINSA_10device_ptrIxEEEEPS6_SG_NS0_5tupleIJSF_NSA_16discard_iteratorINSA_11use_defaultEEEEEENSH_IJSG_SG_EEES6_PlJ7is_evenIxEEEE10hipError_tPvRmT3_T4_T5_T6_T7_T9_mT8_P12ihipStream_tbDpT10_ENKUlT_T0_E_clISt17integral_constantIbLb1EES19_EEDaS14_S15_EUlS14_E_NS1_11comp_targetILNS1_3genE9ELNS1_11target_archE1100ELNS1_3gpuE3ELNS1_3repE0EEENS1_30default_config_static_selectorELNS0_4arch9wavefront6targetE1EEEvT1_,comdat
.Lfunc_end2633:
	.size	_ZN7rocprim17ROCPRIM_400000_NS6detail17trampoline_kernelINS0_14default_configENS1_25partition_config_selectorILNS1_17partition_subalgoE0ExNS0_10empty_typeEbEEZZNS1_14partition_implILS5_0ELb0ES3_jN6thrust23THRUST_200600_302600_NS6detail15normal_iteratorINSA_10device_ptrIxEEEEPS6_SG_NS0_5tupleIJSF_NSA_16discard_iteratorINSA_11use_defaultEEEEEENSH_IJSG_SG_EEES6_PlJ7is_evenIxEEEE10hipError_tPvRmT3_T4_T5_T6_T7_T9_mT8_P12ihipStream_tbDpT10_ENKUlT_T0_E_clISt17integral_constantIbLb1EES19_EEDaS14_S15_EUlS14_E_NS1_11comp_targetILNS1_3genE9ELNS1_11target_archE1100ELNS1_3gpuE3ELNS1_3repE0EEENS1_30default_config_static_selectorELNS0_4arch9wavefront6targetE1EEEvT1_, .Lfunc_end2633-_ZN7rocprim17ROCPRIM_400000_NS6detail17trampoline_kernelINS0_14default_configENS1_25partition_config_selectorILNS1_17partition_subalgoE0ExNS0_10empty_typeEbEEZZNS1_14partition_implILS5_0ELb0ES3_jN6thrust23THRUST_200600_302600_NS6detail15normal_iteratorINSA_10device_ptrIxEEEEPS6_SG_NS0_5tupleIJSF_NSA_16discard_iteratorINSA_11use_defaultEEEEEENSH_IJSG_SG_EEES6_PlJ7is_evenIxEEEE10hipError_tPvRmT3_T4_T5_T6_T7_T9_mT8_P12ihipStream_tbDpT10_ENKUlT_T0_E_clISt17integral_constantIbLb1EES19_EEDaS14_S15_EUlS14_E_NS1_11comp_targetILNS1_3genE9ELNS1_11target_archE1100ELNS1_3gpuE3ELNS1_3repE0EEENS1_30default_config_static_selectorELNS0_4arch9wavefront6targetE1EEEvT1_
                                        ; -- End function
	.section	.AMDGPU.csdata,"",@progbits
; Kernel info:
; codeLenInByte = 0
; NumSgprs: 4
; NumVgprs: 0
; NumAgprs: 0
; TotalNumVgprs: 0
; ScratchSize: 0
; MemoryBound: 0
; FloatMode: 240
; IeeeMode: 1
; LDSByteSize: 0 bytes/workgroup (compile time only)
; SGPRBlocks: 0
; VGPRBlocks: 0
; NumSGPRsForWavesPerEU: 4
; NumVGPRsForWavesPerEU: 1
; AccumOffset: 4
; Occupancy: 8
; WaveLimiterHint : 0
; COMPUTE_PGM_RSRC2:SCRATCH_EN: 0
; COMPUTE_PGM_RSRC2:USER_SGPR: 6
; COMPUTE_PGM_RSRC2:TRAP_HANDLER: 0
; COMPUTE_PGM_RSRC2:TGID_X_EN: 1
; COMPUTE_PGM_RSRC2:TGID_Y_EN: 0
; COMPUTE_PGM_RSRC2:TGID_Z_EN: 0
; COMPUTE_PGM_RSRC2:TIDIG_COMP_CNT: 0
; COMPUTE_PGM_RSRC3_GFX90A:ACCUM_OFFSET: 0
; COMPUTE_PGM_RSRC3_GFX90A:TG_SPLIT: 0
	.section	.text._ZN7rocprim17ROCPRIM_400000_NS6detail17trampoline_kernelINS0_14default_configENS1_25partition_config_selectorILNS1_17partition_subalgoE0ExNS0_10empty_typeEbEEZZNS1_14partition_implILS5_0ELb0ES3_jN6thrust23THRUST_200600_302600_NS6detail15normal_iteratorINSA_10device_ptrIxEEEEPS6_SG_NS0_5tupleIJSF_NSA_16discard_iteratorINSA_11use_defaultEEEEEENSH_IJSG_SG_EEES6_PlJ7is_evenIxEEEE10hipError_tPvRmT3_T4_T5_T6_T7_T9_mT8_P12ihipStream_tbDpT10_ENKUlT_T0_E_clISt17integral_constantIbLb1EES19_EEDaS14_S15_EUlS14_E_NS1_11comp_targetILNS1_3genE8ELNS1_11target_archE1030ELNS1_3gpuE2ELNS1_3repE0EEENS1_30default_config_static_selectorELNS0_4arch9wavefront6targetE1EEEvT1_,"axG",@progbits,_ZN7rocprim17ROCPRIM_400000_NS6detail17trampoline_kernelINS0_14default_configENS1_25partition_config_selectorILNS1_17partition_subalgoE0ExNS0_10empty_typeEbEEZZNS1_14partition_implILS5_0ELb0ES3_jN6thrust23THRUST_200600_302600_NS6detail15normal_iteratorINSA_10device_ptrIxEEEEPS6_SG_NS0_5tupleIJSF_NSA_16discard_iteratorINSA_11use_defaultEEEEEENSH_IJSG_SG_EEES6_PlJ7is_evenIxEEEE10hipError_tPvRmT3_T4_T5_T6_T7_T9_mT8_P12ihipStream_tbDpT10_ENKUlT_T0_E_clISt17integral_constantIbLb1EES19_EEDaS14_S15_EUlS14_E_NS1_11comp_targetILNS1_3genE8ELNS1_11target_archE1030ELNS1_3gpuE2ELNS1_3repE0EEENS1_30default_config_static_selectorELNS0_4arch9wavefront6targetE1EEEvT1_,comdat
	.protected	_ZN7rocprim17ROCPRIM_400000_NS6detail17trampoline_kernelINS0_14default_configENS1_25partition_config_selectorILNS1_17partition_subalgoE0ExNS0_10empty_typeEbEEZZNS1_14partition_implILS5_0ELb0ES3_jN6thrust23THRUST_200600_302600_NS6detail15normal_iteratorINSA_10device_ptrIxEEEEPS6_SG_NS0_5tupleIJSF_NSA_16discard_iteratorINSA_11use_defaultEEEEEENSH_IJSG_SG_EEES6_PlJ7is_evenIxEEEE10hipError_tPvRmT3_T4_T5_T6_T7_T9_mT8_P12ihipStream_tbDpT10_ENKUlT_T0_E_clISt17integral_constantIbLb1EES19_EEDaS14_S15_EUlS14_E_NS1_11comp_targetILNS1_3genE8ELNS1_11target_archE1030ELNS1_3gpuE2ELNS1_3repE0EEENS1_30default_config_static_selectorELNS0_4arch9wavefront6targetE1EEEvT1_ ; -- Begin function _ZN7rocprim17ROCPRIM_400000_NS6detail17trampoline_kernelINS0_14default_configENS1_25partition_config_selectorILNS1_17partition_subalgoE0ExNS0_10empty_typeEbEEZZNS1_14partition_implILS5_0ELb0ES3_jN6thrust23THRUST_200600_302600_NS6detail15normal_iteratorINSA_10device_ptrIxEEEEPS6_SG_NS0_5tupleIJSF_NSA_16discard_iteratorINSA_11use_defaultEEEEEENSH_IJSG_SG_EEES6_PlJ7is_evenIxEEEE10hipError_tPvRmT3_T4_T5_T6_T7_T9_mT8_P12ihipStream_tbDpT10_ENKUlT_T0_E_clISt17integral_constantIbLb1EES19_EEDaS14_S15_EUlS14_E_NS1_11comp_targetILNS1_3genE8ELNS1_11target_archE1030ELNS1_3gpuE2ELNS1_3repE0EEENS1_30default_config_static_selectorELNS0_4arch9wavefront6targetE1EEEvT1_
	.globl	_ZN7rocprim17ROCPRIM_400000_NS6detail17trampoline_kernelINS0_14default_configENS1_25partition_config_selectorILNS1_17partition_subalgoE0ExNS0_10empty_typeEbEEZZNS1_14partition_implILS5_0ELb0ES3_jN6thrust23THRUST_200600_302600_NS6detail15normal_iteratorINSA_10device_ptrIxEEEEPS6_SG_NS0_5tupleIJSF_NSA_16discard_iteratorINSA_11use_defaultEEEEEENSH_IJSG_SG_EEES6_PlJ7is_evenIxEEEE10hipError_tPvRmT3_T4_T5_T6_T7_T9_mT8_P12ihipStream_tbDpT10_ENKUlT_T0_E_clISt17integral_constantIbLb1EES19_EEDaS14_S15_EUlS14_E_NS1_11comp_targetILNS1_3genE8ELNS1_11target_archE1030ELNS1_3gpuE2ELNS1_3repE0EEENS1_30default_config_static_selectorELNS0_4arch9wavefront6targetE1EEEvT1_
	.p2align	8
	.type	_ZN7rocprim17ROCPRIM_400000_NS6detail17trampoline_kernelINS0_14default_configENS1_25partition_config_selectorILNS1_17partition_subalgoE0ExNS0_10empty_typeEbEEZZNS1_14partition_implILS5_0ELb0ES3_jN6thrust23THRUST_200600_302600_NS6detail15normal_iteratorINSA_10device_ptrIxEEEEPS6_SG_NS0_5tupleIJSF_NSA_16discard_iteratorINSA_11use_defaultEEEEEENSH_IJSG_SG_EEES6_PlJ7is_evenIxEEEE10hipError_tPvRmT3_T4_T5_T6_T7_T9_mT8_P12ihipStream_tbDpT10_ENKUlT_T0_E_clISt17integral_constantIbLb1EES19_EEDaS14_S15_EUlS14_E_NS1_11comp_targetILNS1_3genE8ELNS1_11target_archE1030ELNS1_3gpuE2ELNS1_3repE0EEENS1_30default_config_static_selectorELNS0_4arch9wavefront6targetE1EEEvT1_,@function
_ZN7rocprim17ROCPRIM_400000_NS6detail17trampoline_kernelINS0_14default_configENS1_25partition_config_selectorILNS1_17partition_subalgoE0ExNS0_10empty_typeEbEEZZNS1_14partition_implILS5_0ELb0ES3_jN6thrust23THRUST_200600_302600_NS6detail15normal_iteratorINSA_10device_ptrIxEEEEPS6_SG_NS0_5tupleIJSF_NSA_16discard_iteratorINSA_11use_defaultEEEEEENSH_IJSG_SG_EEES6_PlJ7is_evenIxEEEE10hipError_tPvRmT3_T4_T5_T6_T7_T9_mT8_P12ihipStream_tbDpT10_ENKUlT_T0_E_clISt17integral_constantIbLb1EES19_EEDaS14_S15_EUlS14_E_NS1_11comp_targetILNS1_3genE8ELNS1_11target_archE1030ELNS1_3gpuE2ELNS1_3repE0EEENS1_30default_config_static_selectorELNS0_4arch9wavefront6targetE1EEEvT1_: ; @_ZN7rocprim17ROCPRIM_400000_NS6detail17trampoline_kernelINS0_14default_configENS1_25partition_config_selectorILNS1_17partition_subalgoE0ExNS0_10empty_typeEbEEZZNS1_14partition_implILS5_0ELb0ES3_jN6thrust23THRUST_200600_302600_NS6detail15normal_iteratorINSA_10device_ptrIxEEEEPS6_SG_NS0_5tupleIJSF_NSA_16discard_iteratorINSA_11use_defaultEEEEEENSH_IJSG_SG_EEES6_PlJ7is_evenIxEEEE10hipError_tPvRmT3_T4_T5_T6_T7_T9_mT8_P12ihipStream_tbDpT10_ENKUlT_T0_E_clISt17integral_constantIbLb1EES19_EEDaS14_S15_EUlS14_E_NS1_11comp_targetILNS1_3genE8ELNS1_11target_archE1030ELNS1_3gpuE2ELNS1_3repE0EEENS1_30default_config_static_selectorELNS0_4arch9wavefront6targetE1EEEvT1_
; %bb.0:
	.section	.rodata,"a",@progbits
	.p2align	6, 0x0
	.amdhsa_kernel _ZN7rocprim17ROCPRIM_400000_NS6detail17trampoline_kernelINS0_14default_configENS1_25partition_config_selectorILNS1_17partition_subalgoE0ExNS0_10empty_typeEbEEZZNS1_14partition_implILS5_0ELb0ES3_jN6thrust23THRUST_200600_302600_NS6detail15normal_iteratorINSA_10device_ptrIxEEEEPS6_SG_NS0_5tupleIJSF_NSA_16discard_iteratorINSA_11use_defaultEEEEEENSH_IJSG_SG_EEES6_PlJ7is_evenIxEEEE10hipError_tPvRmT3_T4_T5_T6_T7_T9_mT8_P12ihipStream_tbDpT10_ENKUlT_T0_E_clISt17integral_constantIbLb1EES19_EEDaS14_S15_EUlS14_E_NS1_11comp_targetILNS1_3genE8ELNS1_11target_archE1030ELNS1_3gpuE2ELNS1_3repE0EEENS1_30default_config_static_selectorELNS0_4arch9wavefront6targetE1EEEvT1_
		.amdhsa_group_segment_fixed_size 0
		.amdhsa_private_segment_fixed_size 0
		.amdhsa_kernarg_size 144
		.amdhsa_user_sgpr_count 6
		.amdhsa_user_sgpr_private_segment_buffer 1
		.amdhsa_user_sgpr_dispatch_ptr 0
		.amdhsa_user_sgpr_queue_ptr 0
		.amdhsa_user_sgpr_kernarg_segment_ptr 1
		.amdhsa_user_sgpr_dispatch_id 0
		.amdhsa_user_sgpr_flat_scratch_init 0
		.amdhsa_user_sgpr_kernarg_preload_length 0
		.amdhsa_user_sgpr_kernarg_preload_offset 0
		.amdhsa_user_sgpr_private_segment_size 0
		.amdhsa_uses_dynamic_stack 0
		.amdhsa_system_sgpr_private_segment_wavefront_offset 0
		.amdhsa_system_sgpr_workgroup_id_x 1
		.amdhsa_system_sgpr_workgroup_id_y 0
		.amdhsa_system_sgpr_workgroup_id_z 0
		.amdhsa_system_sgpr_workgroup_info 0
		.amdhsa_system_vgpr_workitem_id 0
		.amdhsa_next_free_vgpr 1
		.amdhsa_next_free_sgpr 0
		.amdhsa_accum_offset 4
		.amdhsa_reserve_vcc 0
		.amdhsa_reserve_flat_scratch 0
		.amdhsa_float_round_mode_32 0
		.amdhsa_float_round_mode_16_64 0
		.amdhsa_float_denorm_mode_32 3
		.amdhsa_float_denorm_mode_16_64 3
		.amdhsa_dx10_clamp 1
		.amdhsa_ieee_mode 1
		.amdhsa_fp16_overflow 0
		.amdhsa_tg_split 0
		.amdhsa_exception_fp_ieee_invalid_op 0
		.amdhsa_exception_fp_denorm_src 0
		.amdhsa_exception_fp_ieee_div_zero 0
		.amdhsa_exception_fp_ieee_overflow 0
		.amdhsa_exception_fp_ieee_underflow 0
		.amdhsa_exception_fp_ieee_inexact 0
		.amdhsa_exception_int_div_zero 0
	.end_amdhsa_kernel
	.section	.text._ZN7rocprim17ROCPRIM_400000_NS6detail17trampoline_kernelINS0_14default_configENS1_25partition_config_selectorILNS1_17partition_subalgoE0ExNS0_10empty_typeEbEEZZNS1_14partition_implILS5_0ELb0ES3_jN6thrust23THRUST_200600_302600_NS6detail15normal_iteratorINSA_10device_ptrIxEEEEPS6_SG_NS0_5tupleIJSF_NSA_16discard_iteratorINSA_11use_defaultEEEEEENSH_IJSG_SG_EEES6_PlJ7is_evenIxEEEE10hipError_tPvRmT3_T4_T5_T6_T7_T9_mT8_P12ihipStream_tbDpT10_ENKUlT_T0_E_clISt17integral_constantIbLb1EES19_EEDaS14_S15_EUlS14_E_NS1_11comp_targetILNS1_3genE8ELNS1_11target_archE1030ELNS1_3gpuE2ELNS1_3repE0EEENS1_30default_config_static_selectorELNS0_4arch9wavefront6targetE1EEEvT1_,"axG",@progbits,_ZN7rocprim17ROCPRIM_400000_NS6detail17trampoline_kernelINS0_14default_configENS1_25partition_config_selectorILNS1_17partition_subalgoE0ExNS0_10empty_typeEbEEZZNS1_14partition_implILS5_0ELb0ES3_jN6thrust23THRUST_200600_302600_NS6detail15normal_iteratorINSA_10device_ptrIxEEEEPS6_SG_NS0_5tupleIJSF_NSA_16discard_iteratorINSA_11use_defaultEEEEEENSH_IJSG_SG_EEES6_PlJ7is_evenIxEEEE10hipError_tPvRmT3_T4_T5_T6_T7_T9_mT8_P12ihipStream_tbDpT10_ENKUlT_T0_E_clISt17integral_constantIbLb1EES19_EEDaS14_S15_EUlS14_E_NS1_11comp_targetILNS1_3genE8ELNS1_11target_archE1030ELNS1_3gpuE2ELNS1_3repE0EEENS1_30default_config_static_selectorELNS0_4arch9wavefront6targetE1EEEvT1_,comdat
.Lfunc_end2634:
	.size	_ZN7rocprim17ROCPRIM_400000_NS6detail17trampoline_kernelINS0_14default_configENS1_25partition_config_selectorILNS1_17partition_subalgoE0ExNS0_10empty_typeEbEEZZNS1_14partition_implILS5_0ELb0ES3_jN6thrust23THRUST_200600_302600_NS6detail15normal_iteratorINSA_10device_ptrIxEEEEPS6_SG_NS0_5tupleIJSF_NSA_16discard_iteratorINSA_11use_defaultEEEEEENSH_IJSG_SG_EEES6_PlJ7is_evenIxEEEE10hipError_tPvRmT3_T4_T5_T6_T7_T9_mT8_P12ihipStream_tbDpT10_ENKUlT_T0_E_clISt17integral_constantIbLb1EES19_EEDaS14_S15_EUlS14_E_NS1_11comp_targetILNS1_3genE8ELNS1_11target_archE1030ELNS1_3gpuE2ELNS1_3repE0EEENS1_30default_config_static_selectorELNS0_4arch9wavefront6targetE1EEEvT1_, .Lfunc_end2634-_ZN7rocprim17ROCPRIM_400000_NS6detail17trampoline_kernelINS0_14default_configENS1_25partition_config_selectorILNS1_17partition_subalgoE0ExNS0_10empty_typeEbEEZZNS1_14partition_implILS5_0ELb0ES3_jN6thrust23THRUST_200600_302600_NS6detail15normal_iteratorINSA_10device_ptrIxEEEEPS6_SG_NS0_5tupleIJSF_NSA_16discard_iteratorINSA_11use_defaultEEEEEENSH_IJSG_SG_EEES6_PlJ7is_evenIxEEEE10hipError_tPvRmT3_T4_T5_T6_T7_T9_mT8_P12ihipStream_tbDpT10_ENKUlT_T0_E_clISt17integral_constantIbLb1EES19_EEDaS14_S15_EUlS14_E_NS1_11comp_targetILNS1_3genE8ELNS1_11target_archE1030ELNS1_3gpuE2ELNS1_3repE0EEENS1_30default_config_static_selectorELNS0_4arch9wavefront6targetE1EEEvT1_
                                        ; -- End function
	.section	.AMDGPU.csdata,"",@progbits
; Kernel info:
; codeLenInByte = 0
; NumSgprs: 4
; NumVgprs: 0
; NumAgprs: 0
; TotalNumVgprs: 0
; ScratchSize: 0
; MemoryBound: 0
; FloatMode: 240
; IeeeMode: 1
; LDSByteSize: 0 bytes/workgroup (compile time only)
; SGPRBlocks: 0
; VGPRBlocks: 0
; NumSGPRsForWavesPerEU: 4
; NumVGPRsForWavesPerEU: 1
; AccumOffset: 4
; Occupancy: 8
; WaveLimiterHint : 0
; COMPUTE_PGM_RSRC2:SCRATCH_EN: 0
; COMPUTE_PGM_RSRC2:USER_SGPR: 6
; COMPUTE_PGM_RSRC2:TRAP_HANDLER: 0
; COMPUTE_PGM_RSRC2:TGID_X_EN: 1
; COMPUTE_PGM_RSRC2:TGID_Y_EN: 0
; COMPUTE_PGM_RSRC2:TGID_Z_EN: 0
; COMPUTE_PGM_RSRC2:TIDIG_COMP_CNT: 0
; COMPUTE_PGM_RSRC3_GFX90A:ACCUM_OFFSET: 0
; COMPUTE_PGM_RSRC3_GFX90A:TG_SPLIT: 0
	.section	.text._ZN7rocprim17ROCPRIM_400000_NS6detail17trampoline_kernelINS0_14default_configENS1_25partition_config_selectorILNS1_17partition_subalgoE0ExNS0_10empty_typeEbEEZZNS1_14partition_implILS5_0ELb0ES3_jN6thrust23THRUST_200600_302600_NS6detail15normal_iteratorINSA_10device_ptrIxEEEEPS6_SG_NS0_5tupleIJSF_NSA_16discard_iteratorINSA_11use_defaultEEEEEENSH_IJSG_SG_EEES6_PlJ7is_evenIxEEEE10hipError_tPvRmT3_T4_T5_T6_T7_T9_mT8_P12ihipStream_tbDpT10_ENKUlT_T0_E_clISt17integral_constantIbLb1EES18_IbLb0EEEEDaS14_S15_EUlS14_E_NS1_11comp_targetILNS1_3genE0ELNS1_11target_archE4294967295ELNS1_3gpuE0ELNS1_3repE0EEENS1_30default_config_static_selectorELNS0_4arch9wavefront6targetE1EEEvT1_,"axG",@progbits,_ZN7rocprim17ROCPRIM_400000_NS6detail17trampoline_kernelINS0_14default_configENS1_25partition_config_selectorILNS1_17partition_subalgoE0ExNS0_10empty_typeEbEEZZNS1_14partition_implILS5_0ELb0ES3_jN6thrust23THRUST_200600_302600_NS6detail15normal_iteratorINSA_10device_ptrIxEEEEPS6_SG_NS0_5tupleIJSF_NSA_16discard_iteratorINSA_11use_defaultEEEEEENSH_IJSG_SG_EEES6_PlJ7is_evenIxEEEE10hipError_tPvRmT3_T4_T5_T6_T7_T9_mT8_P12ihipStream_tbDpT10_ENKUlT_T0_E_clISt17integral_constantIbLb1EES18_IbLb0EEEEDaS14_S15_EUlS14_E_NS1_11comp_targetILNS1_3genE0ELNS1_11target_archE4294967295ELNS1_3gpuE0ELNS1_3repE0EEENS1_30default_config_static_selectorELNS0_4arch9wavefront6targetE1EEEvT1_,comdat
	.protected	_ZN7rocprim17ROCPRIM_400000_NS6detail17trampoline_kernelINS0_14default_configENS1_25partition_config_selectorILNS1_17partition_subalgoE0ExNS0_10empty_typeEbEEZZNS1_14partition_implILS5_0ELb0ES3_jN6thrust23THRUST_200600_302600_NS6detail15normal_iteratorINSA_10device_ptrIxEEEEPS6_SG_NS0_5tupleIJSF_NSA_16discard_iteratorINSA_11use_defaultEEEEEENSH_IJSG_SG_EEES6_PlJ7is_evenIxEEEE10hipError_tPvRmT3_T4_T5_T6_T7_T9_mT8_P12ihipStream_tbDpT10_ENKUlT_T0_E_clISt17integral_constantIbLb1EES18_IbLb0EEEEDaS14_S15_EUlS14_E_NS1_11comp_targetILNS1_3genE0ELNS1_11target_archE4294967295ELNS1_3gpuE0ELNS1_3repE0EEENS1_30default_config_static_selectorELNS0_4arch9wavefront6targetE1EEEvT1_ ; -- Begin function _ZN7rocprim17ROCPRIM_400000_NS6detail17trampoline_kernelINS0_14default_configENS1_25partition_config_selectorILNS1_17partition_subalgoE0ExNS0_10empty_typeEbEEZZNS1_14partition_implILS5_0ELb0ES3_jN6thrust23THRUST_200600_302600_NS6detail15normal_iteratorINSA_10device_ptrIxEEEEPS6_SG_NS0_5tupleIJSF_NSA_16discard_iteratorINSA_11use_defaultEEEEEENSH_IJSG_SG_EEES6_PlJ7is_evenIxEEEE10hipError_tPvRmT3_T4_T5_T6_T7_T9_mT8_P12ihipStream_tbDpT10_ENKUlT_T0_E_clISt17integral_constantIbLb1EES18_IbLb0EEEEDaS14_S15_EUlS14_E_NS1_11comp_targetILNS1_3genE0ELNS1_11target_archE4294967295ELNS1_3gpuE0ELNS1_3repE0EEENS1_30default_config_static_selectorELNS0_4arch9wavefront6targetE1EEEvT1_
	.globl	_ZN7rocprim17ROCPRIM_400000_NS6detail17trampoline_kernelINS0_14default_configENS1_25partition_config_selectorILNS1_17partition_subalgoE0ExNS0_10empty_typeEbEEZZNS1_14partition_implILS5_0ELb0ES3_jN6thrust23THRUST_200600_302600_NS6detail15normal_iteratorINSA_10device_ptrIxEEEEPS6_SG_NS0_5tupleIJSF_NSA_16discard_iteratorINSA_11use_defaultEEEEEENSH_IJSG_SG_EEES6_PlJ7is_evenIxEEEE10hipError_tPvRmT3_T4_T5_T6_T7_T9_mT8_P12ihipStream_tbDpT10_ENKUlT_T0_E_clISt17integral_constantIbLb1EES18_IbLb0EEEEDaS14_S15_EUlS14_E_NS1_11comp_targetILNS1_3genE0ELNS1_11target_archE4294967295ELNS1_3gpuE0ELNS1_3repE0EEENS1_30default_config_static_selectorELNS0_4arch9wavefront6targetE1EEEvT1_
	.p2align	8
	.type	_ZN7rocprim17ROCPRIM_400000_NS6detail17trampoline_kernelINS0_14default_configENS1_25partition_config_selectorILNS1_17partition_subalgoE0ExNS0_10empty_typeEbEEZZNS1_14partition_implILS5_0ELb0ES3_jN6thrust23THRUST_200600_302600_NS6detail15normal_iteratorINSA_10device_ptrIxEEEEPS6_SG_NS0_5tupleIJSF_NSA_16discard_iteratorINSA_11use_defaultEEEEEENSH_IJSG_SG_EEES6_PlJ7is_evenIxEEEE10hipError_tPvRmT3_T4_T5_T6_T7_T9_mT8_P12ihipStream_tbDpT10_ENKUlT_T0_E_clISt17integral_constantIbLb1EES18_IbLb0EEEEDaS14_S15_EUlS14_E_NS1_11comp_targetILNS1_3genE0ELNS1_11target_archE4294967295ELNS1_3gpuE0ELNS1_3repE0EEENS1_30default_config_static_selectorELNS0_4arch9wavefront6targetE1EEEvT1_,@function
_ZN7rocprim17ROCPRIM_400000_NS6detail17trampoline_kernelINS0_14default_configENS1_25partition_config_selectorILNS1_17partition_subalgoE0ExNS0_10empty_typeEbEEZZNS1_14partition_implILS5_0ELb0ES3_jN6thrust23THRUST_200600_302600_NS6detail15normal_iteratorINSA_10device_ptrIxEEEEPS6_SG_NS0_5tupleIJSF_NSA_16discard_iteratorINSA_11use_defaultEEEEEENSH_IJSG_SG_EEES6_PlJ7is_evenIxEEEE10hipError_tPvRmT3_T4_T5_T6_T7_T9_mT8_P12ihipStream_tbDpT10_ENKUlT_T0_E_clISt17integral_constantIbLb1EES18_IbLb0EEEEDaS14_S15_EUlS14_E_NS1_11comp_targetILNS1_3genE0ELNS1_11target_archE4294967295ELNS1_3gpuE0ELNS1_3repE0EEENS1_30default_config_static_selectorELNS0_4arch9wavefront6targetE1EEEvT1_: ; @_ZN7rocprim17ROCPRIM_400000_NS6detail17trampoline_kernelINS0_14default_configENS1_25partition_config_selectorILNS1_17partition_subalgoE0ExNS0_10empty_typeEbEEZZNS1_14partition_implILS5_0ELb0ES3_jN6thrust23THRUST_200600_302600_NS6detail15normal_iteratorINSA_10device_ptrIxEEEEPS6_SG_NS0_5tupleIJSF_NSA_16discard_iteratorINSA_11use_defaultEEEEEENSH_IJSG_SG_EEES6_PlJ7is_evenIxEEEE10hipError_tPvRmT3_T4_T5_T6_T7_T9_mT8_P12ihipStream_tbDpT10_ENKUlT_T0_E_clISt17integral_constantIbLb1EES18_IbLb0EEEEDaS14_S15_EUlS14_E_NS1_11comp_targetILNS1_3genE0ELNS1_11target_archE4294967295ELNS1_3gpuE0ELNS1_3repE0EEENS1_30default_config_static_selectorELNS0_4arch9wavefront6targetE1EEEvT1_
; %bb.0:
	.section	.rodata,"a",@progbits
	.p2align	6, 0x0
	.amdhsa_kernel _ZN7rocprim17ROCPRIM_400000_NS6detail17trampoline_kernelINS0_14default_configENS1_25partition_config_selectorILNS1_17partition_subalgoE0ExNS0_10empty_typeEbEEZZNS1_14partition_implILS5_0ELb0ES3_jN6thrust23THRUST_200600_302600_NS6detail15normal_iteratorINSA_10device_ptrIxEEEEPS6_SG_NS0_5tupleIJSF_NSA_16discard_iteratorINSA_11use_defaultEEEEEENSH_IJSG_SG_EEES6_PlJ7is_evenIxEEEE10hipError_tPvRmT3_T4_T5_T6_T7_T9_mT8_P12ihipStream_tbDpT10_ENKUlT_T0_E_clISt17integral_constantIbLb1EES18_IbLb0EEEEDaS14_S15_EUlS14_E_NS1_11comp_targetILNS1_3genE0ELNS1_11target_archE4294967295ELNS1_3gpuE0ELNS1_3repE0EEENS1_30default_config_static_selectorELNS0_4arch9wavefront6targetE1EEEvT1_
		.amdhsa_group_segment_fixed_size 0
		.amdhsa_private_segment_fixed_size 0
		.amdhsa_kernarg_size 128
		.amdhsa_user_sgpr_count 6
		.amdhsa_user_sgpr_private_segment_buffer 1
		.amdhsa_user_sgpr_dispatch_ptr 0
		.amdhsa_user_sgpr_queue_ptr 0
		.amdhsa_user_sgpr_kernarg_segment_ptr 1
		.amdhsa_user_sgpr_dispatch_id 0
		.amdhsa_user_sgpr_flat_scratch_init 0
		.amdhsa_user_sgpr_kernarg_preload_length 0
		.amdhsa_user_sgpr_kernarg_preload_offset 0
		.amdhsa_user_sgpr_private_segment_size 0
		.amdhsa_uses_dynamic_stack 0
		.amdhsa_system_sgpr_private_segment_wavefront_offset 0
		.amdhsa_system_sgpr_workgroup_id_x 1
		.amdhsa_system_sgpr_workgroup_id_y 0
		.amdhsa_system_sgpr_workgroup_id_z 0
		.amdhsa_system_sgpr_workgroup_info 0
		.amdhsa_system_vgpr_workitem_id 0
		.amdhsa_next_free_vgpr 1
		.amdhsa_next_free_sgpr 0
		.amdhsa_accum_offset 4
		.amdhsa_reserve_vcc 0
		.amdhsa_reserve_flat_scratch 0
		.amdhsa_float_round_mode_32 0
		.amdhsa_float_round_mode_16_64 0
		.amdhsa_float_denorm_mode_32 3
		.amdhsa_float_denorm_mode_16_64 3
		.amdhsa_dx10_clamp 1
		.amdhsa_ieee_mode 1
		.amdhsa_fp16_overflow 0
		.amdhsa_tg_split 0
		.amdhsa_exception_fp_ieee_invalid_op 0
		.amdhsa_exception_fp_denorm_src 0
		.amdhsa_exception_fp_ieee_div_zero 0
		.amdhsa_exception_fp_ieee_overflow 0
		.amdhsa_exception_fp_ieee_underflow 0
		.amdhsa_exception_fp_ieee_inexact 0
		.amdhsa_exception_int_div_zero 0
	.end_amdhsa_kernel
	.section	.text._ZN7rocprim17ROCPRIM_400000_NS6detail17trampoline_kernelINS0_14default_configENS1_25partition_config_selectorILNS1_17partition_subalgoE0ExNS0_10empty_typeEbEEZZNS1_14partition_implILS5_0ELb0ES3_jN6thrust23THRUST_200600_302600_NS6detail15normal_iteratorINSA_10device_ptrIxEEEEPS6_SG_NS0_5tupleIJSF_NSA_16discard_iteratorINSA_11use_defaultEEEEEENSH_IJSG_SG_EEES6_PlJ7is_evenIxEEEE10hipError_tPvRmT3_T4_T5_T6_T7_T9_mT8_P12ihipStream_tbDpT10_ENKUlT_T0_E_clISt17integral_constantIbLb1EES18_IbLb0EEEEDaS14_S15_EUlS14_E_NS1_11comp_targetILNS1_3genE0ELNS1_11target_archE4294967295ELNS1_3gpuE0ELNS1_3repE0EEENS1_30default_config_static_selectorELNS0_4arch9wavefront6targetE1EEEvT1_,"axG",@progbits,_ZN7rocprim17ROCPRIM_400000_NS6detail17trampoline_kernelINS0_14default_configENS1_25partition_config_selectorILNS1_17partition_subalgoE0ExNS0_10empty_typeEbEEZZNS1_14partition_implILS5_0ELb0ES3_jN6thrust23THRUST_200600_302600_NS6detail15normal_iteratorINSA_10device_ptrIxEEEEPS6_SG_NS0_5tupleIJSF_NSA_16discard_iteratorINSA_11use_defaultEEEEEENSH_IJSG_SG_EEES6_PlJ7is_evenIxEEEE10hipError_tPvRmT3_T4_T5_T6_T7_T9_mT8_P12ihipStream_tbDpT10_ENKUlT_T0_E_clISt17integral_constantIbLb1EES18_IbLb0EEEEDaS14_S15_EUlS14_E_NS1_11comp_targetILNS1_3genE0ELNS1_11target_archE4294967295ELNS1_3gpuE0ELNS1_3repE0EEENS1_30default_config_static_selectorELNS0_4arch9wavefront6targetE1EEEvT1_,comdat
.Lfunc_end2635:
	.size	_ZN7rocprim17ROCPRIM_400000_NS6detail17trampoline_kernelINS0_14default_configENS1_25partition_config_selectorILNS1_17partition_subalgoE0ExNS0_10empty_typeEbEEZZNS1_14partition_implILS5_0ELb0ES3_jN6thrust23THRUST_200600_302600_NS6detail15normal_iteratorINSA_10device_ptrIxEEEEPS6_SG_NS0_5tupleIJSF_NSA_16discard_iteratorINSA_11use_defaultEEEEEENSH_IJSG_SG_EEES6_PlJ7is_evenIxEEEE10hipError_tPvRmT3_T4_T5_T6_T7_T9_mT8_P12ihipStream_tbDpT10_ENKUlT_T0_E_clISt17integral_constantIbLb1EES18_IbLb0EEEEDaS14_S15_EUlS14_E_NS1_11comp_targetILNS1_3genE0ELNS1_11target_archE4294967295ELNS1_3gpuE0ELNS1_3repE0EEENS1_30default_config_static_selectorELNS0_4arch9wavefront6targetE1EEEvT1_, .Lfunc_end2635-_ZN7rocprim17ROCPRIM_400000_NS6detail17trampoline_kernelINS0_14default_configENS1_25partition_config_selectorILNS1_17partition_subalgoE0ExNS0_10empty_typeEbEEZZNS1_14partition_implILS5_0ELb0ES3_jN6thrust23THRUST_200600_302600_NS6detail15normal_iteratorINSA_10device_ptrIxEEEEPS6_SG_NS0_5tupleIJSF_NSA_16discard_iteratorINSA_11use_defaultEEEEEENSH_IJSG_SG_EEES6_PlJ7is_evenIxEEEE10hipError_tPvRmT3_T4_T5_T6_T7_T9_mT8_P12ihipStream_tbDpT10_ENKUlT_T0_E_clISt17integral_constantIbLb1EES18_IbLb0EEEEDaS14_S15_EUlS14_E_NS1_11comp_targetILNS1_3genE0ELNS1_11target_archE4294967295ELNS1_3gpuE0ELNS1_3repE0EEENS1_30default_config_static_selectorELNS0_4arch9wavefront6targetE1EEEvT1_
                                        ; -- End function
	.section	.AMDGPU.csdata,"",@progbits
; Kernel info:
; codeLenInByte = 0
; NumSgprs: 4
; NumVgprs: 0
; NumAgprs: 0
; TotalNumVgprs: 0
; ScratchSize: 0
; MemoryBound: 0
; FloatMode: 240
; IeeeMode: 1
; LDSByteSize: 0 bytes/workgroup (compile time only)
; SGPRBlocks: 0
; VGPRBlocks: 0
; NumSGPRsForWavesPerEU: 4
; NumVGPRsForWavesPerEU: 1
; AccumOffset: 4
; Occupancy: 8
; WaveLimiterHint : 0
; COMPUTE_PGM_RSRC2:SCRATCH_EN: 0
; COMPUTE_PGM_RSRC2:USER_SGPR: 6
; COMPUTE_PGM_RSRC2:TRAP_HANDLER: 0
; COMPUTE_PGM_RSRC2:TGID_X_EN: 1
; COMPUTE_PGM_RSRC2:TGID_Y_EN: 0
; COMPUTE_PGM_RSRC2:TGID_Z_EN: 0
; COMPUTE_PGM_RSRC2:TIDIG_COMP_CNT: 0
; COMPUTE_PGM_RSRC3_GFX90A:ACCUM_OFFSET: 0
; COMPUTE_PGM_RSRC3_GFX90A:TG_SPLIT: 0
	.section	.text._ZN7rocprim17ROCPRIM_400000_NS6detail17trampoline_kernelINS0_14default_configENS1_25partition_config_selectorILNS1_17partition_subalgoE0ExNS0_10empty_typeEbEEZZNS1_14partition_implILS5_0ELb0ES3_jN6thrust23THRUST_200600_302600_NS6detail15normal_iteratorINSA_10device_ptrIxEEEEPS6_SG_NS0_5tupleIJSF_NSA_16discard_iteratorINSA_11use_defaultEEEEEENSH_IJSG_SG_EEES6_PlJ7is_evenIxEEEE10hipError_tPvRmT3_T4_T5_T6_T7_T9_mT8_P12ihipStream_tbDpT10_ENKUlT_T0_E_clISt17integral_constantIbLb1EES18_IbLb0EEEEDaS14_S15_EUlS14_E_NS1_11comp_targetILNS1_3genE5ELNS1_11target_archE942ELNS1_3gpuE9ELNS1_3repE0EEENS1_30default_config_static_selectorELNS0_4arch9wavefront6targetE1EEEvT1_,"axG",@progbits,_ZN7rocprim17ROCPRIM_400000_NS6detail17trampoline_kernelINS0_14default_configENS1_25partition_config_selectorILNS1_17partition_subalgoE0ExNS0_10empty_typeEbEEZZNS1_14partition_implILS5_0ELb0ES3_jN6thrust23THRUST_200600_302600_NS6detail15normal_iteratorINSA_10device_ptrIxEEEEPS6_SG_NS0_5tupleIJSF_NSA_16discard_iteratorINSA_11use_defaultEEEEEENSH_IJSG_SG_EEES6_PlJ7is_evenIxEEEE10hipError_tPvRmT3_T4_T5_T6_T7_T9_mT8_P12ihipStream_tbDpT10_ENKUlT_T0_E_clISt17integral_constantIbLb1EES18_IbLb0EEEEDaS14_S15_EUlS14_E_NS1_11comp_targetILNS1_3genE5ELNS1_11target_archE942ELNS1_3gpuE9ELNS1_3repE0EEENS1_30default_config_static_selectorELNS0_4arch9wavefront6targetE1EEEvT1_,comdat
	.protected	_ZN7rocprim17ROCPRIM_400000_NS6detail17trampoline_kernelINS0_14default_configENS1_25partition_config_selectorILNS1_17partition_subalgoE0ExNS0_10empty_typeEbEEZZNS1_14partition_implILS5_0ELb0ES3_jN6thrust23THRUST_200600_302600_NS6detail15normal_iteratorINSA_10device_ptrIxEEEEPS6_SG_NS0_5tupleIJSF_NSA_16discard_iteratorINSA_11use_defaultEEEEEENSH_IJSG_SG_EEES6_PlJ7is_evenIxEEEE10hipError_tPvRmT3_T4_T5_T6_T7_T9_mT8_P12ihipStream_tbDpT10_ENKUlT_T0_E_clISt17integral_constantIbLb1EES18_IbLb0EEEEDaS14_S15_EUlS14_E_NS1_11comp_targetILNS1_3genE5ELNS1_11target_archE942ELNS1_3gpuE9ELNS1_3repE0EEENS1_30default_config_static_selectorELNS0_4arch9wavefront6targetE1EEEvT1_ ; -- Begin function _ZN7rocprim17ROCPRIM_400000_NS6detail17trampoline_kernelINS0_14default_configENS1_25partition_config_selectorILNS1_17partition_subalgoE0ExNS0_10empty_typeEbEEZZNS1_14partition_implILS5_0ELb0ES3_jN6thrust23THRUST_200600_302600_NS6detail15normal_iteratorINSA_10device_ptrIxEEEEPS6_SG_NS0_5tupleIJSF_NSA_16discard_iteratorINSA_11use_defaultEEEEEENSH_IJSG_SG_EEES6_PlJ7is_evenIxEEEE10hipError_tPvRmT3_T4_T5_T6_T7_T9_mT8_P12ihipStream_tbDpT10_ENKUlT_T0_E_clISt17integral_constantIbLb1EES18_IbLb0EEEEDaS14_S15_EUlS14_E_NS1_11comp_targetILNS1_3genE5ELNS1_11target_archE942ELNS1_3gpuE9ELNS1_3repE0EEENS1_30default_config_static_selectorELNS0_4arch9wavefront6targetE1EEEvT1_
	.globl	_ZN7rocprim17ROCPRIM_400000_NS6detail17trampoline_kernelINS0_14default_configENS1_25partition_config_selectorILNS1_17partition_subalgoE0ExNS0_10empty_typeEbEEZZNS1_14partition_implILS5_0ELb0ES3_jN6thrust23THRUST_200600_302600_NS6detail15normal_iteratorINSA_10device_ptrIxEEEEPS6_SG_NS0_5tupleIJSF_NSA_16discard_iteratorINSA_11use_defaultEEEEEENSH_IJSG_SG_EEES6_PlJ7is_evenIxEEEE10hipError_tPvRmT3_T4_T5_T6_T7_T9_mT8_P12ihipStream_tbDpT10_ENKUlT_T0_E_clISt17integral_constantIbLb1EES18_IbLb0EEEEDaS14_S15_EUlS14_E_NS1_11comp_targetILNS1_3genE5ELNS1_11target_archE942ELNS1_3gpuE9ELNS1_3repE0EEENS1_30default_config_static_selectorELNS0_4arch9wavefront6targetE1EEEvT1_
	.p2align	8
	.type	_ZN7rocprim17ROCPRIM_400000_NS6detail17trampoline_kernelINS0_14default_configENS1_25partition_config_selectorILNS1_17partition_subalgoE0ExNS0_10empty_typeEbEEZZNS1_14partition_implILS5_0ELb0ES3_jN6thrust23THRUST_200600_302600_NS6detail15normal_iteratorINSA_10device_ptrIxEEEEPS6_SG_NS0_5tupleIJSF_NSA_16discard_iteratorINSA_11use_defaultEEEEEENSH_IJSG_SG_EEES6_PlJ7is_evenIxEEEE10hipError_tPvRmT3_T4_T5_T6_T7_T9_mT8_P12ihipStream_tbDpT10_ENKUlT_T0_E_clISt17integral_constantIbLb1EES18_IbLb0EEEEDaS14_S15_EUlS14_E_NS1_11comp_targetILNS1_3genE5ELNS1_11target_archE942ELNS1_3gpuE9ELNS1_3repE0EEENS1_30default_config_static_selectorELNS0_4arch9wavefront6targetE1EEEvT1_,@function
_ZN7rocprim17ROCPRIM_400000_NS6detail17trampoline_kernelINS0_14default_configENS1_25partition_config_selectorILNS1_17partition_subalgoE0ExNS0_10empty_typeEbEEZZNS1_14partition_implILS5_0ELb0ES3_jN6thrust23THRUST_200600_302600_NS6detail15normal_iteratorINSA_10device_ptrIxEEEEPS6_SG_NS0_5tupleIJSF_NSA_16discard_iteratorINSA_11use_defaultEEEEEENSH_IJSG_SG_EEES6_PlJ7is_evenIxEEEE10hipError_tPvRmT3_T4_T5_T6_T7_T9_mT8_P12ihipStream_tbDpT10_ENKUlT_T0_E_clISt17integral_constantIbLb1EES18_IbLb0EEEEDaS14_S15_EUlS14_E_NS1_11comp_targetILNS1_3genE5ELNS1_11target_archE942ELNS1_3gpuE9ELNS1_3repE0EEENS1_30default_config_static_selectorELNS0_4arch9wavefront6targetE1EEEvT1_: ; @_ZN7rocprim17ROCPRIM_400000_NS6detail17trampoline_kernelINS0_14default_configENS1_25partition_config_selectorILNS1_17partition_subalgoE0ExNS0_10empty_typeEbEEZZNS1_14partition_implILS5_0ELb0ES3_jN6thrust23THRUST_200600_302600_NS6detail15normal_iteratorINSA_10device_ptrIxEEEEPS6_SG_NS0_5tupleIJSF_NSA_16discard_iteratorINSA_11use_defaultEEEEEENSH_IJSG_SG_EEES6_PlJ7is_evenIxEEEE10hipError_tPvRmT3_T4_T5_T6_T7_T9_mT8_P12ihipStream_tbDpT10_ENKUlT_T0_E_clISt17integral_constantIbLb1EES18_IbLb0EEEEDaS14_S15_EUlS14_E_NS1_11comp_targetILNS1_3genE5ELNS1_11target_archE942ELNS1_3gpuE9ELNS1_3repE0EEENS1_30default_config_static_selectorELNS0_4arch9wavefront6targetE1EEEvT1_
; %bb.0:
	.section	.rodata,"a",@progbits
	.p2align	6, 0x0
	.amdhsa_kernel _ZN7rocprim17ROCPRIM_400000_NS6detail17trampoline_kernelINS0_14default_configENS1_25partition_config_selectorILNS1_17partition_subalgoE0ExNS0_10empty_typeEbEEZZNS1_14partition_implILS5_0ELb0ES3_jN6thrust23THRUST_200600_302600_NS6detail15normal_iteratorINSA_10device_ptrIxEEEEPS6_SG_NS0_5tupleIJSF_NSA_16discard_iteratorINSA_11use_defaultEEEEEENSH_IJSG_SG_EEES6_PlJ7is_evenIxEEEE10hipError_tPvRmT3_T4_T5_T6_T7_T9_mT8_P12ihipStream_tbDpT10_ENKUlT_T0_E_clISt17integral_constantIbLb1EES18_IbLb0EEEEDaS14_S15_EUlS14_E_NS1_11comp_targetILNS1_3genE5ELNS1_11target_archE942ELNS1_3gpuE9ELNS1_3repE0EEENS1_30default_config_static_selectorELNS0_4arch9wavefront6targetE1EEEvT1_
		.amdhsa_group_segment_fixed_size 0
		.amdhsa_private_segment_fixed_size 0
		.amdhsa_kernarg_size 128
		.amdhsa_user_sgpr_count 6
		.amdhsa_user_sgpr_private_segment_buffer 1
		.amdhsa_user_sgpr_dispatch_ptr 0
		.amdhsa_user_sgpr_queue_ptr 0
		.amdhsa_user_sgpr_kernarg_segment_ptr 1
		.amdhsa_user_sgpr_dispatch_id 0
		.amdhsa_user_sgpr_flat_scratch_init 0
		.amdhsa_user_sgpr_kernarg_preload_length 0
		.amdhsa_user_sgpr_kernarg_preload_offset 0
		.amdhsa_user_sgpr_private_segment_size 0
		.amdhsa_uses_dynamic_stack 0
		.amdhsa_system_sgpr_private_segment_wavefront_offset 0
		.amdhsa_system_sgpr_workgroup_id_x 1
		.amdhsa_system_sgpr_workgroup_id_y 0
		.amdhsa_system_sgpr_workgroup_id_z 0
		.amdhsa_system_sgpr_workgroup_info 0
		.amdhsa_system_vgpr_workitem_id 0
		.amdhsa_next_free_vgpr 1
		.amdhsa_next_free_sgpr 0
		.amdhsa_accum_offset 4
		.amdhsa_reserve_vcc 0
		.amdhsa_reserve_flat_scratch 0
		.amdhsa_float_round_mode_32 0
		.amdhsa_float_round_mode_16_64 0
		.amdhsa_float_denorm_mode_32 3
		.amdhsa_float_denorm_mode_16_64 3
		.amdhsa_dx10_clamp 1
		.amdhsa_ieee_mode 1
		.amdhsa_fp16_overflow 0
		.amdhsa_tg_split 0
		.amdhsa_exception_fp_ieee_invalid_op 0
		.amdhsa_exception_fp_denorm_src 0
		.amdhsa_exception_fp_ieee_div_zero 0
		.amdhsa_exception_fp_ieee_overflow 0
		.amdhsa_exception_fp_ieee_underflow 0
		.amdhsa_exception_fp_ieee_inexact 0
		.amdhsa_exception_int_div_zero 0
	.end_amdhsa_kernel
	.section	.text._ZN7rocprim17ROCPRIM_400000_NS6detail17trampoline_kernelINS0_14default_configENS1_25partition_config_selectorILNS1_17partition_subalgoE0ExNS0_10empty_typeEbEEZZNS1_14partition_implILS5_0ELb0ES3_jN6thrust23THRUST_200600_302600_NS6detail15normal_iteratorINSA_10device_ptrIxEEEEPS6_SG_NS0_5tupleIJSF_NSA_16discard_iteratorINSA_11use_defaultEEEEEENSH_IJSG_SG_EEES6_PlJ7is_evenIxEEEE10hipError_tPvRmT3_T4_T5_T6_T7_T9_mT8_P12ihipStream_tbDpT10_ENKUlT_T0_E_clISt17integral_constantIbLb1EES18_IbLb0EEEEDaS14_S15_EUlS14_E_NS1_11comp_targetILNS1_3genE5ELNS1_11target_archE942ELNS1_3gpuE9ELNS1_3repE0EEENS1_30default_config_static_selectorELNS0_4arch9wavefront6targetE1EEEvT1_,"axG",@progbits,_ZN7rocprim17ROCPRIM_400000_NS6detail17trampoline_kernelINS0_14default_configENS1_25partition_config_selectorILNS1_17partition_subalgoE0ExNS0_10empty_typeEbEEZZNS1_14partition_implILS5_0ELb0ES3_jN6thrust23THRUST_200600_302600_NS6detail15normal_iteratorINSA_10device_ptrIxEEEEPS6_SG_NS0_5tupleIJSF_NSA_16discard_iteratorINSA_11use_defaultEEEEEENSH_IJSG_SG_EEES6_PlJ7is_evenIxEEEE10hipError_tPvRmT3_T4_T5_T6_T7_T9_mT8_P12ihipStream_tbDpT10_ENKUlT_T0_E_clISt17integral_constantIbLb1EES18_IbLb0EEEEDaS14_S15_EUlS14_E_NS1_11comp_targetILNS1_3genE5ELNS1_11target_archE942ELNS1_3gpuE9ELNS1_3repE0EEENS1_30default_config_static_selectorELNS0_4arch9wavefront6targetE1EEEvT1_,comdat
.Lfunc_end2636:
	.size	_ZN7rocprim17ROCPRIM_400000_NS6detail17trampoline_kernelINS0_14default_configENS1_25partition_config_selectorILNS1_17partition_subalgoE0ExNS0_10empty_typeEbEEZZNS1_14partition_implILS5_0ELb0ES3_jN6thrust23THRUST_200600_302600_NS6detail15normal_iteratorINSA_10device_ptrIxEEEEPS6_SG_NS0_5tupleIJSF_NSA_16discard_iteratorINSA_11use_defaultEEEEEENSH_IJSG_SG_EEES6_PlJ7is_evenIxEEEE10hipError_tPvRmT3_T4_T5_T6_T7_T9_mT8_P12ihipStream_tbDpT10_ENKUlT_T0_E_clISt17integral_constantIbLb1EES18_IbLb0EEEEDaS14_S15_EUlS14_E_NS1_11comp_targetILNS1_3genE5ELNS1_11target_archE942ELNS1_3gpuE9ELNS1_3repE0EEENS1_30default_config_static_selectorELNS0_4arch9wavefront6targetE1EEEvT1_, .Lfunc_end2636-_ZN7rocprim17ROCPRIM_400000_NS6detail17trampoline_kernelINS0_14default_configENS1_25partition_config_selectorILNS1_17partition_subalgoE0ExNS0_10empty_typeEbEEZZNS1_14partition_implILS5_0ELb0ES3_jN6thrust23THRUST_200600_302600_NS6detail15normal_iteratorINSA_10device_ptrIxEEEEPS6_SG_NS0_5tupleIJSF_NSA_16discard_iteratorINSA_11use_defaultEEEEEENSH_IJSG_SG_EEES6_PlJ7is_evenIxEEEE10hipError_tPvRmT3_T4_T5_T6_T7_T9_mT8_P12ihipStream_tbDpT10_ENKUlT_T0_E_clISt17integral_constantIbLb1EES18_IbLb0EEEEDaS14_S15_EUlS14_E_NS1_11comp_targetILNS1_3genE5ELNS1_11target_archE942ELNS1_3gpuE9ELNS1_3repE0EEENS1_30default_config_static_selectorELNS0_4arch9wavefront6targetE1EEEvT1_
                                        ; -- End function
	.section	.AMDGPU.csdata,"",@progbits
; Kernel info:
; codeLenInByte = 0
; NumSgprs: 4
; NumVgprs: 0
; NumAgprs: 0
; TotalNumVgprs: 0
; ScratchSize: 0
; MemoryBound: 0
; FloatMode: 240
; IeeeMode: 1
; LDSByteSize: 0 bytes/workgroup (compile time only)
; SGPRBlocks: 0
; VGPRBlocks: 0
; NumSGPRsForWavesPerEU: 4
; NumVGPRsForWavesPerEU: 1
; AccumOffset: 4
; Occupancy: 8
; WaveLimiterHint : 0
; COMPUTE_PGM_RSRC2:SCRATCH_EN: 0
; COMPUTE_PGM_RSRC2:USER_SGPR: 6
; COMPUTE_PGM_RSRC2:TRAP_HANDLER: 0
; COMPUTE_PGM_RSRC2:TGID_X_EN: 1
; COMPUTE_PGM_RSRC2:TGID_Y_EN: 0
; COMPUTE_PGM_RSRC2:TGID_Z_EN: 0
; COMPUTE_PGM_RSRC2:TIDIG_COMP_CNT: 0
; COMPUTE_PGM_RSRC3_GFX90A:ACCUM_OFFSET: 0
; COMPUTE_PGM_RSRC3_GFX90A:TG_SPLIT: 0
	.section	.text._ZN7rocprim17ROCPRIM_400000_NS6detail17trampoline_kernelINS0_14default_configENS1_25partition_config_selectorILNS1_17partition_subalgoE0ExNS0_10empty_typeEbEEZZNS1_14partition_implILS5_0ELb0ES3_jN6thrust23THRUST_200600_302600_NS6detail15normal_iteratorINSA_10device_ptrIxEEEEPS6_SG_NS0_5tupleIJSF_NSA_16discard_iteratorINSA_11use_defaultEEEEEENSH_IJSG_SG_EEES6_PlJ7is_evenIxEEEE10hipError_tPvRmT3_T4_T5_T6_T7_T9_mT8_P12ihipStream_tbDpT10_ENKUlT_T0_E_clISt17integral_constantIbLb1EES18_IbLb0EEEEDaS14_S15_EUlS14_E_NS1_11comp_targetILNS1_3genE4ELNS1_11target_archE910ELNS1_3gpuE8ELNS1_3repE0EEENS1_30default_config_static_selectorELNS0_4arch9wavefront6targetE1EEEvT1_,"axG",@progbits,_ZN7rocprim17ROCPRIM_400000_NS6detail17trampoline_kernelINS0_14default_configENS1_25partition_config_selectorILNS1_17partition_subalgoE0ExNS0_10empty_typeEbEEZZNS1_14partition_implILS5_0ELb0ES3_jN6thrust23THRUST_200600_302600_NS6detail15normal_iteratorINSA_10device_ptrIxEEEEPS6_SG_NS0_5tupleIJSF_NSA_16discard_iteratorINSA_11use_defaultEEEEEENSH_IJSG_SG_EEES6_PlJ7is_evenIxEEEE10hipError_tPvRmT3_T4_T5_T6_T7_T9_mT8_P12ihipStream_tbDpT10_ENKUlT_T0_E_clISt17integral_constantIbLb1EES18_IbLb0EEEEDaS14_S15_EUlS14_E_NS1_11comp_targetILNS1_3genE4ELNS1_11target_archE910ELNS1_3gpuE8ELNS1_3repE0EEENS1_30default_config_static_selectorELNS0_4arch9wavefront6targetE1EEEvT1_,comdat
	.protected	_ZN7rocprim17ROCPRIM_400000_NS6detail17trampoline_kernelINS0_14default_configENS1_25partition_config_selectorILNS1_17partition_subalgoE0ExNS0_10empty_typeEbEEZZNS1_14partition_implILS5_0ELb0ES3_jN6thrust23THRUST_200600_302600_NS6detail15normal_iteratorINSA_10device_ptrIxEEEEPS6_SG_NS0_5tupleIJSF_NSA_16discard_iteratorINSA_11use_defaultEEEEEENSH_IJSG_SG_EEES6_PlJ7is_evenIxEEEE10hipError_tPvRmT3_T4_T5_T6_T7_T9_mT8_P12ihipStream_tbDpT10_ENKUlT_T0_E_clISt17integral_constantIbLb1EES18_IbLb0EEEEDaS14_S15_EUlS14_E_NS1_11comp_targetILNS1_3genE4ELNS1_11target_archE910ELNS1_3gpuE8ELNS1_3repE0EEENS1_30default_config_static_selectorELNS0_4arch9wavefront6targetE1EEEvT1_ ; -- Begin function _ZN7rocprim17ROCPRIM_400000_NS6detail17trampoline_kernelINS0_14default_configENS1_25partition_config_selectorILNS1_17partition_subalgoE0ExNS0_10empty_typeEbEEZZNS1_14partition_implILS5_0ELb0ES3_jN6thrust23THRUST_200600_302600_NS6detail15normal_iteratorINSA_10device_ptrIxEEEEPS6_SG_NS0_5tupleIJSF_NSA_16discard_iteratorINSA_11use_defaultEEEEEENSH_IJSG_SG_EEES6_PlJ7is_evenIxEEEE10hipError_tPvRmT3_T4_T5_T6_T7_T9_mT8_P12ihipStream_tbDpT10_ENKUlT_T0_E_clISt17integral_constantIbLb1EES18_IbLb0EEEEDaS14_S15_EUlS14_E_NS1_11comp_targetILNS1_3genE4ELNS1_11target_archE910ELNS1_3gpuE8ELNS1_3repE0EEENS1_30default_config_static_selectorELNS0_4arch9wavefront6targetE1EEEvT1_
	.globl	_ZN7rocprim17ROCPRIM_400000_NS6detail17trampoline_kernelINS0_14default_configENS1_25partition_config_selectorILNS1_17partition_subalgoE0ExNS0_10empty_typeEbEEZZNS1_14partition_implILS5_0ELb0ES3_jN6thrust23THRUST_200600_302600_NS6detail15normal_iteratorINSA_10device_ptrIxEEEEPS6_SG_NS0_5tupleIJSF_NSA_16discard_iteratorINSA_11use_defaultEEEEEENSH_IJSG_SG_EEES6_PlJ7is_evenIxEEEE10hipError_tPvRmT3_T4_T5_T6_T7_T9_mT8_P12ihipStream_tbDpT10_ENKUlT_T0_E_clISt17integral_constantIbLb1EES18_IbLb0EEEEDaS14_S15_EUlS14_E_NS1_11comp_targetILNS1_3genE4ELNS1_11target_archE910ELNS1_3gpuE8ELNS1_3repE0EEENS1_30default_config_static_selectorELNS0_4arch9wavefront6targetE1EEEvT1_
	.p2align	8
	.type	_ZN7rocprim17ROCPRIM_400000_NS6detail17trampoline_kernelINS0_14default_configENS1_25partition_config_selectorILNS1_17partition_subalgoE0ExNS0_10empty_typeEbEEZZNS1_14partition_implILS5_0ELb0ES3_jN6thrust23THRUST_200600_302600_NS6detail15normal_iteratorINSA_10device_ptrIxEEEEPS6_SG_NS0_5tupleIJSF_NSA_16discard_iteratorINSA_11use_defaultEEEEEENSH_IJSG_SG_EEES6_PlJ7is_evenIxEEEE10hipError_tPvRmT3_T4_T5_T6_T7_T9_mT8_P12ihipStream_tbDpT10_ENKUlT_T0_E_clISt17integral_constantIbLb1EES18_IbLb0EEEEDaS14_S15_EUlS14_E_NS1_11comp_targetILNS1_3genE4ELNS1_11target_archE910ELNS1_3gpuE8ELNS1_3repE0EEENS1_30default_config_static_selectorELNS0_4arch9wavefront6targetE1EEEvT1_,@function
_ZN7rocprim17ROCPRIM_400000_NS6detail17trampoline_kernelINS0_14default_configENS1_25partition_config_selectorILNS1_17partition_subalgoE0ExNS0_10empty_typeEbEEZZNS1_14partition_implILS5_0ELb0ES3_jN6thrust23THRUST_200600_302600_NS6detail15normal_iteratorINSA_10device_ptrIxEEEEPS6_SG_NS0_5tupleIJSF_NSA_16discard_iteratorINSA_11use_defaultEEEEEENSH_IJSG_SG_EEES6_PlJ7is_evenIxEEEE10hipError_tPvRmT3_T4_T5_T6_T7_T9_mT8_P12ihipStream_tbDpT10_ENKUlT_T0_E_clISt17integral_constantIbLb1EES18_IbLb0EEEEDaS14_S15_EUlS14_E_NS1_11comp_targetILNS1_3genE4ELNS1_11target_archE910ELNS1_3gpuE8ELNS1_3repE0EEENS1_30default_config_static_selectorELNS0_4arch9wavefront6targetE1EEEvT1_: ; @_ZN7rocprim17ROCPRIM_400000_NS6detail17trampoline_kernelINS0_14default_configENS1_25partition_config_selectorILNS1_17partition_subalgoE0ExNS0_10empty_typeEbEEZZNS1_14partition_implILS5_0ELb0ES3_jN6thrust23THRUST_200600_302600_NS6detail15normal_iteratorINSA_10device_ptrIxEEEEPS6_SG_NS0_5tupleIJSF_NSA_16discard_iteratorINSA_11use_defaultEEEEEENSH_IJSG_SG_EEES6_PlJ7is_evenIxEEEE10hipError_tPvRmT3_T4_T5_T6_T7_T9_mT8_P12ihipStream_tbDpT10_ENKUlT_T0_E_clISt17integral_constantIbLb1EES18_IbLb0EEEEDaS14_S15_EUlS14_E_NS1_11comp_targetILNS1_3genE4ELNS1_11target_archE910ELNS1_3gpuE8ELNS1_3repE0EEENS1_30default_config_static_selectorELNS0_4arch9wavefront6targetE1EEEvT1_
; %bb.0:
	s_load_dwordx2 s[8:9], s[4:5], 0x60
	s_load_dwordx4 s[0:3], s[4:5], 0x8
	s_load_dwordx4 s[24:27], s[4:5], 0x50
	s_load_dword s7, s[4:5], 0x78
	v_lshlrev_b32_e32 v1, 3, v0
	s_waitcnt lgkmcnt(0)
	v_mov_b32_e32 v3, s9
	s_lshl_b64 s[10:11], s[2:3], 3
	s_add_u32 s9, s0, s10
	s_addc_u32 s10, s1, s11
	s_add_i32 s11, s7, -1
	s_mulk_i32 s7, 0x300
	s_add_i32 s1, s7, s2
	s_sub_i32 s33, s8, s1
	s_add_u32 s2, s2, s7
	s_addc_u32 s3, s3, 0
	s_cmp_eq_u32 s6, s11
	v_mov_b32_e32 v2, s8
	s_load_dwordx2 s[22:23], s[26:27], 0x0
	s_cselect_b64 s[26:27], -1, 0
	s_cmp_lg_u32 s6, s11
	s_mul_i32 s0, s6, 0x300
	s_mov_b32 s1, 0
	v_cmp_lt_u64_e32 vcc, s[2:3], v[2:3]
	s_cselect_b64 s[2:3], -1, 0
	s_or_b64 s[2:3], s[2:3], vcc
	s_lshl_b64 s[0:1], s[0:1], 3
	s_add_u32 s7, s9, s0
	s_addc_u32 s8, s10, s1
	s_mov_b64 s[0:1], -1
	s_and_b64 vcc, exec, s[2:3]
	v_lshrrev_b32_e32 v10, 2, v0
	s_cbranch_vccz .LBB2637_2
; %bb.1:
	v_mov_b32_e32 v3, s8
	v_add_co_u32_e32 v2, vcc, s7, v1
	v_addc_co_u32_e32 v3, vcc, 0, v3, vcc
	v_add_co_u32_e32 v4, vcc, 0x1000, v2
	v_addc_co_u32_e32 v5, vcc, 0, v3, vcc
	flat_load_dwordx2 v[6:7], v[2:3]
	flat_load_dwordx2 v[8:9], v[2:3] offset:1536
	flat_load_dwordx2 v[12:13], v[2:3] offset:3072
	;; [unrolled: 1-line block ×3, first 2 shown]
	v_add_u32_e32 v3, 0xc0, v0
	v_add_u32_e32 v4, 0x180, v0
	v_add_u32_e32 v5, 0x240, v0
	v_and_b32_e32 v2, 56, v10
	v_lshrrev_b32_e32 v3, 2, v3
	v_lshrrev_b32_e32 v4, 2, v4
	;; [unrolled: 1-line block ×3, first 2 shown]
	v_add_u32_e32 v2, v2, v1
	v_and_b32_e32 v3, 0x78, v3
	v_and_b32_e32 v4, 0xf8, v4
	;; [unrolled: 1-line block ×3, first 2 shown]
	v_add_u32_e32 v3, v3, v1
	v_add_u32_e32 v4, v4, v1
	;; [unrolled: 1-line block ×3, first 2 shown]
	s_mov_b64 s[0:1], 0
	s_waitcnt vmcnt(0) lgkmcnt(0)
	ds_write_b64 v2, v[6:7]
	ds_write_b64 v3, v[8:9] offset:1536
	ds_write_b64 v4, v[12:13] offset:3072
	;; [unrolled: 1-line block ×3, first 2 shown]
	s_waitcnt lgkmcnt(0)
	s_barrier
.LBB2637_2:
	s_andn2_b64 vcc, exec, s[0:1]
	s_addk_i32 s33, 0x300
	s_cbranch_vccnz .LBB2637_12
; %bb.3:
	v_cmp_gt_u32_e32 vcc, s33, v0
                                        ; implicit-def: $vgpr2_vgpr3_vgpr4_vgpr5_vgpr6_vgpr7_vgpr8_vgpr9
	s_and_saveexec_b64 s[0:1], vcc
	s_cbranch_execz .LBB2637_5
; %bb.4:
	v_mov_b32_e32 v3, s8
	v_add_co_u32_e32 v2, vcc, s7, v1
	v_addc_co_u32_e32 v3, vcc, 0, v3, vcc
	flat_load_dwordx2 v[2:3], v[2:3]
.LBB2637_5:
	s_or_b64 exec, exec, s[0:1]
	v_add_u32_e32 v11, 0xc0, v0
	v_cmp_gt_u32_e32 vcc, s33, v11
	s_and_saveexec_b64 s[0:1], vcc
	s_cbranch_execz .LBB2637_7
; %bb.6:
	v_mov_b32_e32 v5, s8
	v_add_co_u32_e32 v4, vcc, s7, v1
	v_addc_co_u32_e32 v5, vcc, 0, v5, vcc
	flat_load_dwordx2 v[4:5], v[4:5] offset:1536
.LBB2637_7:
	s_or_b64 exec, exec, s[0:1]
	v_add_u32_e32 v12, 0x180, v0
	v_cmp_gt_u32_e32 vcc, s33, v12
	s_and_saveexec_b64 s[0:1], vcc
	s_cbranch_execz .LBB2637_9
; %bb.8:
	v_mov_b32_e32 v7, s8
	v_add_co_u32_e32 v6, vcc, s7, v1
	v_addc_co_u32_e32 v7, vcc, 0, v7, vcc
	flat_load_dwordx2 v[6:7], v[6:7] offset:3072
.LBB2637_9:
	s_or_b64 exec, exec, s[0:1]
	v_add_u32_e32 v13, 0x240, v0
	v_cmp_gt_u32_e32 vcc, s33, v13
	s_and_saveexec_b64 s[0:1], vcc
	s_cbranch_execz .LBB2637_11
; %bb.10:
	v_lshlrev_b32_e32 v8, 3, v13
	v_mov_b32_e32 v9, s8
	v_add_co_u32_e32 v8, vcc, s7, v8
	v_addc_co_u32_e32 v9, vcc, 0, v9, vcc
	flat_load_dwordx2 v[8:9], v[8:9]
.LBB2637_11:
	s_or_b64 exec, exec, s[0:1]
	v_and_b32_e32 v10, 56, v10
	v_add_u32_e32 v10, v10, v1
	s_waitcnt vmcnt(0) lgkmcnt(0)
	ds_write_b64 v10, v[2:3]
	v_lshrrev_b32_e32 v2, 2, v11
	v_and_b32_e32 v2, 0x78, v2
	v_add_u32_e32 v2, v2, v1
	ds_write_b64 v2, v[4:5] offset:1536
	v_lshrrev_b32_e32 v2, 2, v12
	v_and_b32_e32 v2, 0xf8, v2
	v_add_u32_e32 v2, v2, v1
	ds_write_b64 v2, v[6:7] offset:3072
	;; [unrolled: 4-line block ×3, first 2 shown]
	s_waitcnt lgkmcnt(0)
	s_barrier
.LBB2637_12:
	v_lshlrev_b32_e32 v20, 2, v0
	v_lshrrev_b32_e32 v2, 3, v0
	v_add_lshl_u32 v2, v2, v20, 3
	s_waitcnt lgkmcnt(0)
	ds_read2_b64 v[6:9], v2 offset1:1
	ds_read2_b64 v[2:5], v2 offset0:2 offset1:3
	v_cndmask_b32_e64 v10, 0, 1, s[2:3]
	v_cmp_ne_u32_e64 s[0:1], 1, v10
	s_andn2_b64 vcc, exec, s[2:3]
	s_waitcnt lgkmcnt(1)
	v_xor_b32_e32 v13, -1, v6
	v_xor_b32_e32 v12, -1, v8
	s_waitcnt lgkmcnt(0)
	v_xor_b32_e32 v11, -1, v2
	v_xor_b32_e32 v10, -1, v4
	s_barrier
	s_cbranch_vccnz .LBB2637_14
; %bb.13:
	v_mov_b32_e32 v15, 1
	v_and_b32_e32 v14, 1, v13
	v_and_b32_sdwa v16, v12, v15 dst_sel:BYTE_1 dst_unused:UNUSED_PAD src0_sel:DWORD src1_sel:DWORD
	v_and_b32_e32 v17, 1, v11
	v_and_b32_sdwa v15, v10, v15 dst_sel:BYTE_1 dst_unused:UNUSED_PAD src0_sel:DWORD src1_sel:DWORD
	v_or_b32_e32 v14, v14, v16
	v_or_b32_sdwa v15, v17, v15 dst_sel:WORD_1 dst_unused:UNUSED_PAD src0_sel:DWORD src1_sel:DWORD
	v_or_b32_sdwa v21, v14, v15 dst_sel:DWORD dst_unused:UNUSED_PAD src0_sel:WORD_0 src1_sel:DWORD
	s_load_dwordx2 s[28:29], s[4:5], 0x70
	s_cbranch_execz .LBB2637_15
	s_branch .LBB2637_16
.LBB2637_14:
                                        ; implicit-def: $vgpr21
	s_load_dwordx2 s[28:29], s[4:5], 0x70
.LBB2637_15:
	v_cmp_gt_u32_e32 vcc, s33, v20
	v_cndmask_b32_e64 v14, 0, 1, vcc
	v_and_b32_e32 v13, v14, v13
	v_or_b32_e32 v14, 1, v20
	v_cmp_gt_u32_e32 vcc, s33, v14
	v_cndmask_b32_e64 v14, 0, 1, vcc
	v_and_b32_sdwa v12, v14, v12 dst_sel:BYTE_1 dst_unused:UNUSED_PAD src0_sel:DWORD src1_sel:DWORD
	v_or_b32_e32 v14, 2, v20
	v_cmp_gt_u32_e32 vcc, s33, v14
	v_cndmask_b32_e64 v14, 0, 1, vcc
	v_and_b32_e32 v11, v14, v11
	v_or_b32_e32 v14, 3, v20
	v_cmp_gt_u32_e32 vcc, s33, v14
	v_cndmask_b32_e64 v14, 0, 1, vcc
	v_and_b32_sdwa v10, v14, v10 dst_sel:BYTE_1 dst_unused:UNUSED_PAD src0_sel:DWORD src1_sel:DWORD
	v_or_b32_e32 v12, v13, v12
	v_or_b32_sdwa v10, v11, v10 dst_sel:WORD_1 dst_unused:UNUSED_PAD src0_sel:DWORD src1_sel:DWORD
	v_or_b32_sdwa v21, v12, v10 dst_sel:DWORD dst_unused:UNUSED_PAD src0_sel:WORD_0 src1_sel:DWORD
.LBB2637_16:
	v_bfe_u32 v23, v21, 16, 8
	v_lshrrev_b32_e32 v22, 24, v21
	v_add_u32_sdwa v10, v21, v21 dst_sel:DWORD dst_unused:UNUSED_PAD src0_sel:BYTE_1 src1_sel:BYTE_0
	v_add3_u32 v26, v10, v23, v22
	v_mbcnt_lo_u32_b32 v10, -1, 0
	v_mbcnt_hi_u32_b32 v24, -1, v10
	v_and_b32_e32 v10, 15, v24
	v_cmp_eq_u32_e64 s[16:17], 0, v10
	v_cmp_lt_u32_e64 s[14:15], 1, v10
	v_cmp_lt_u32_e64 s[12:13], 3, v10
	;; [unrolled: 1-line block ×3, first 2 shown]
	v_and_b32_e32 v10, 16, v24
	v_cmp_eq_u32_e64 s[20:21], 0, v10
	v_and_b32_e32 v10, 0xc0, v0
	v_min_u32_e32 v10, 0x80, v10
	v_or_b32_e32 v10, 63, v10
	s_cmp_lg_u32 s6, 0
	v_cmp_lt_u32_e64 s[2:3], 31, v24
	v_lshrrev_b32_e32 v25, 6, v0
	v_cmp_eq_u32_e64 s[8:9], v10, v0
	s_cbranch_scc0 .LBB2637_47
; %bb.17:
	v_mov_b32_dpp v10, v26 row_shr:1 row_mask:0xf bank_mask:0xf
	v_cndmask_b32_e64 v10, v10, 0, s[16:17]
	v_add_u32_e32 v10, v10, v26
	s_nop 1
	v_mov_b32_dpp v11, v10 row_shr:2 row_mask:0xf bank_mask:0xf
	v_cndmask_b32_e64 v11, 0, v11, s[14:15]
	v_add_u32_e32 v10, v10, v11
	s_nop 1
	;; [unrolled: 4-line block ×4, first 2 shown]
	v_mov_b32_dpp v11, v10 row_bcast:15 row_mask:0xf bank_mask:0xf
	v_cndmask_b32_e64 v11, v11, 0, s[20:21]
	v_add_u32_e32 v10, v10, v11
	s_nop 1
	v_mov_b32_dpp v11, v10 row_bcast:31 row_mask:0xf bank_mask:0xf
	v_cndmask_b32_e64 v11, 0, v11, s[2:3]
	v_add_u32_e32 v10, v10, v11
	s_and_saveexec_b64 s[18:19], s[8:9]
	s_cbranch_execz .LBB2637_19
; %bb.18:
	v_lshlrev_b32_e32 v11, 2, v25
	ds_write_b32 v11, v10
.LBB2637_19:
	s_or_b64 exec, exec, s[18:19]
	v_cmp_gt_u32_e32 vcc, 3, v0
	s_waitcnt lgkmcnt(0)
	s_barrier
	s_and_saveexec_b64 s[18:19], vcc
	s_cbranch_execz .LBB2637_21
; %bb.20:
	ds_read_b32 v11, v20
	v_and_b32_e32 v12, 3, v24
	v_cmp_ne_u32_e32 vcc, 0, v12
	s_waitcnt lgkmcnt(0)
	v_mov_b32_dpp v13, v11 row_shr:1 row_mask:0xf bank_mask:0xf
	v_cndmask_b32_e32 v13, 0, v13, vcc
	v_add_u32_e32 v11, v13, v11
	v_cmp_lt_u32_e32 vcc, 1, v12
	s_nop 0
	v_mov_b32_dpp v13, v11 row_shr:2 row_mask:0xf bank_mask:0xf
	v_cndmask_b32_e32 v12, 0, v13, vcc
	v_add_u32_e32 v11, v11, v12
	ds_write_b32 v20, v11
.LBB2637_21:
	s_or_b64 exec, exec, s[18:19]
	v_cmp_gt_u32_e32 vcc, 64, v0
	v_cmp_lt_u32_e64 s[18:19], 63, v0
	s_waitcnt lgkmcnt(0)
	s_barrier
	s_waitcnt lgkmcnt(0)
                                        ; implicit-def: $vgpr27
	s_and_saveexec_b64 s[30:31], s[18:19]
	s_cbranch_execz .LBB2637_23
; %bb.22:
	v_lshl_add_u32 v11, v25, 2, -4
	ds_read_b32 v27, v11
	s_waitcnt lgkmcnt(0)
	v_add_u32_e32 v10, v27, v10
.LBB2637_23:
	s_or_b64 exec, exec, s[30:31]
	v_add_u32_e32 v11, -1, v24
	v_and_b32_e32 v12, 64, v24
	v_cmp_lt_i32_e64 s[18:19], v11, v12
	v_cndmask_b32_e64 v11, v11, v24, s[18:19]
	v_lshlrev_b32_e32 v11, 2, v11
	ds_bpermute_b32 v28, v11, v10
	v_cmp_eq_u32_e64 s[18:19], 0, v24
	s_and_saveexec_b64 s[30:31], vcc
	s_cbranch_execz .LBB2637_46
; %bb.24:
	v_mov_b32_e32 v19, 0
	ds_read_b32 v10, v19 offset:8
	s_and_saveexec_b64 s[34:35], s[18:19]
	s_cbranch_execz .LBB2637_26
; %bb.25:
	s_add_i32 s36, s6, 64
	s_mov_b32 s37, 0
	s_lshl_b64 s[36:37], s[36:37], 3
	s_add_u32 s36, s28, s36
	v_mov_b32_e32 v11, 1
	s_addc_u32 s37, s29, s37
	s_waitcnt lgkmcnt(0)
	global_store_dwordx2 v19, v[10:11], s[36:37]
.LBB2637_26:
	s_or_b64 exec, exec, s[34:35]
	v_xad_u32 v12, v24, -1, s6
	v_add_u32_e32 v18, 64, v12
	v_lshlrev_b64 v[14:15], 3, v[18:19]
	v_mov_b32_e32 v11, s29
	v_add_co_u32_e32 v14, vcc, s28, v14
	v_addc_co_u32_e32 v15, vcc, v11, v15, vcc
	global_load_dwordx2 v[16:17], v[14:15], off glc
	s_waitcnt vmcnt(0)
	v_cmp_eq_u16_sdwa s[36:37], v17, v19 src0_sel:BYTE_0 src1_sel:DWORD
	s_and_saveexec_b64 s[34:35], s[36:37]
	s_cbranch_execz .LBB2637_32
; %bb.27:
	s_mov_b32 s7, 1
	s_mov_b64 s[36:37], 0
	v_mov_b32_e32 v11, 0
.LBB2637_28:                            ; =>This Loop Header: Depth=1
                                        ;     Child Loop BB2637_29 Depth 2
	s_max_u32 s38, s7, 1
.LBB2637_29:                            ;   Parent Loop BB2637_28 Depth=1
                                        ; =>  This Inner Loop Header: Depth=2
	s_add_i32 s38, s38, -1
	s_cmp_eq_u32 s38, 0
	s_sleep 1
	s_cbranch_scc0 .LBB2637_29
; %bb.30:                               ;   in Loop: Header=BB2637_28 Depth=1
	global_load_dwordx2 v[16:17], v[14:15], off glc
	s_cmp_lt_u32 s7, 32
	s_cselect_b64 s[38:39], -1, 0
	s_cmp_lg_u64 s[38:39], 0
	s_addc_u32 s7, s7, 0
	s_waitcnt vmcnt(0)
	v_cmp_ne_u16_sdwa s[38:39], v17, v11 src0_sel:BYTE_0 src1_sel:DWORD
	s_or_b64 s[36:37], s[38:39], s[36:37]
	s_andn2_b64 exec, exec, s[36:37]
	s_cbranch_execnz .LBB2637_28
; %bb.31:
	s_or_b64 exec, exec, s[36:37]
.LBB2637_32:
	s_or_b64 exec, exec, s[34:35]
	v_and_b32_e32 v30, 63, v24
	v_mov_b32_e32 v29, 2
	v_cmp_ne_u32_e32 vcc, 63, v30
	v_cmp_eq_u16_sdwa s[34:35], v17, v29 src0_sel:BYTE_0 src1_sel:DWORD
	v_lshlrev_b64 v[14:15], v24, -1
	v_addc_co_u32_e32 v18, vcc, 0, v24, vcc
	v_and_b32_e32 v11, s35, v15
	v_lshlrev_b32_e32 v31, 2, v18
	v_or_b32_e32 v11, 0x80000000, v11
	ds_bpermute_b32 v18, v31, v16
	v_and_b32_e32 v13, s34, v14
	v_ffbl_b32_e32 v11, v11
	v_add_u32_e32 v11, 32, v11
	v_ffbl_b32_e32 v13, v13
	v_min_u32_e32 v11, v13, v11
	v_cmp_lt_u32_e32 vcc, v30, v11
	s_waitcnt lgkmcnt(0)
	v_cndmask_b32_e32 v13, 0, v18, vcc
	v_cmp_gt_u32_e32 vcc, 62, v30
	v_add_u32_e32 v13, v13, v16
	v_cndmask_b32_e64 v16, 0, 1, vcc
	v_lshlrev_b32_e32 v16, 1, v16
	v_add_lshl_u32 v32, v16, v24, 2
	ds_bpermute_b32 v16, v32, v13
	v_add_u32_e32 v33, 2, v30
	v_cmp_le_u32_e32 vcc, v33, v11
	v_add_u32_e32 v35, 4, v30
	v_add_u32_e32 v37, 8, v30
	s_waitcnt lgkmcnt(0)
	v_cndmask_b32_e32 v16, 0, v16, vcc
	v_cmp_gt_u32_e32 vcc, 60, v30
	v_add_u32_e32 v13, v13, v16
	v_cndmask_b32_e64 v16, 0, 1, vcc
	v_lshlrev_b32_e32 v16, 2, v16
	v_add_lshl_u32 v34, v16, v24, 2
	ds_bpermute_b32 v16, v34, v13
	v_cmp_le_u32_e32 vcc, v35, v11
	v_add_u32_e32 v39, 16, v30
	v_add_u32_e32 v41, 32, v30
	s_waitcnt lgkmcnt(0)
	v_cndmask_b32_e32 v16, 0, v16, vcc
	v_cmp_gt_u32_e32 vcc, 56, v30
	v_add_u32_e32 v13, v13, v16
	v_cndmask_b32_e64 v16, 0, 1, vcc
	v_lshlrev_b32_e32 v16, 3, v16
	v_add_lshl_u32 v36, v16, v24, 2
	ds_bpermute_b32 v16, v36, v13
	v_cmp_le_u32_e32 vcc, v37, v11
	s_waitcnt lgkmcnt(0)
	v_cndmask_b32_e32 v16, 0, v16, vcc
	v_cmp_gt_u32_e32 vcc, 48, v30
	v_add_u32_e32 v13, v13, v16
	v_cndmask_b32_e64 v16, 0, 1, vcc
	v_lshlrev_b32_e32 v16, 4, v16
	v_add_lshl_u32 v38, v16, v24, 2
	ds_bpermute_b32 v16, v38, v13
	v_cmp_le_u32_e32 vcc, v39, v11
	;; [unrolled: 9-line block ×3, first 2 shown]
	s_waitcnt lgkmcnt(0)
	v_cndmask_b32_e32 v11, 0, v16, vcc
	v_add_u32_e32 v16, v13, v11
	v_mov_b32_e32 v13, 0
	s_branch .LBB2637_34
.LBB2637_33:                            ;   in Loop: Header=BB2637_34 Depth=1
	s_or_b64 exec, exec, s[34:35]
	v_cmp_eq_u16_sdwa s[34:35], v17, v29 src0_sel:BYTE_0 src1_sel:DWORD
	v_and_b32_e32 v18, s35, v15
	v_or_b32_e32 v18, 0x80000000, v18
	ds_bpermute_b32 v42, v31, v16
	v_and_b32_e32 v19, s34, v14
	v_ffbl_b32_e32 v18, v18
	v_add_u32_e32 v18, 32, v18
	v_ffbl_b32_e32 v19, v19
	v_min_u32_e32 v18, v19, v18
	v_cmp_lt_u32_e32 vcc, v30, v18
	s_waitcnt lgkmcnt(0)
	v_cndmask_b32_e32 v19, 0, v42, vcc
	v_add_u32_e32 v16, v19, v16
	ds_bpermute_b32 v19, v32, v16
	v_cmp_le_u32_e32 vcc, v33, v18
	v_subrev_u32_e32 v12, 64, v12
	s_waitcnt lgkmcnt(0)
	v_cndmask_b32_e32 v19, 0, v19, vcc
	v_add_u32_e32 v16, v16, v19
	ds_bpermute_b32 v19, v34, v16
	v_cmp_le_u32_e32 vcc, v35, v18
	s_waitcnt lgkmcnt(0)
	v_cndmask_b32_e32 v19, 0, v19, vcc
	v_add_u32_e32 v16, v16, v19
	ds_bpermute_b32 v19, v36, v16
	v_cmp_le_u32_e32 vcc, v37, v18
	s_waitcnt lgkmcnt(0)
	v_cndmask_b32_e32 v19, 0, v19, vcc
	v_add_u32_e32 v16, v16, v19
	ds_bpermute_b32 v19, v38, v16
	v_cmp_le_u32_e32 vcc, v39, v18
	s_waitcnt lgkmcnt(0)
	v_cndmask_b32_e32 v19, 0, v19, vcc
	v_add_u32_e32 v16, v16, v19
	ds_bpermute_b32 v19, v40, v16
	v_cmp_le_u32_e32 vcc, v41, v18
	s_waitcnt lgkmcnt(0)
	v_cndmask_b32_e32 v18, 0, v19, vcc
	v_add3_u32 v16, v18, v11, v16
.LBB2637_34:                            ; =>This Loop Header: Depth=1
                                        ;     Child Loop BB2637_37 Depth 2
                                        ;       Child Loop BB2637_38 Depth 3
	v_cmp_ne_u16_sdwa s[34:35], v17, v29 src0_sel:BYTE_0 src1_sel:DWORD
	v_cndmask_b32_e64 v11, 0, 1, s[34:35]
	;;#ASMSTART
	;;#ASMEND
	v_cmp_ne_u32_e32 vcc, 0, v11
	s_cmp_lg_u64 vcc, exec
	v_mov_b32_e32 v11, v16
	s_cbranch_scc1 .LBB2637_41
; %bb.35:                               ;   in Loop: Header=BB2637_34 Depth=1
	v_lshlrev_b64 v[16:17], 3, v[12:13]
	v_mov_b32_e32 v19, s29
	v_add_co_u32_e32 v18, vcc, s28, v16
	v_addc_co_u32_e32 v19, vcc, v19, v17, vcc
	global_load_dwordx2 v[16:17], v[18:19], off glc
	s_waitcnt vmcnt(0)
	v_cmp_eq_u16_sdwa s[36:37], v17, v13 src0_sel:BYTE_0 src1_sel:DWORD
	s_and_saveexec_b64 s[34:35], s[36:37]
	s_cbranch_execz .LBB2637_33
; %bb.36:                               ;   in Loop: Header=BB2637_34 Depth=1
	s_mov_b32 s7, 1
	s_mov_b64 s[36:37], 0
.LBB2637_37:                            ;   Parent Loop BB2637_34 Depth=1
                                        ; =>  This Loop Header: Depth=2
                                        ;       Child Loop BB2637_38 Depth 3
	s_max_u32 s38, s7, 1
.LBB2637_38:                            ;   Parent Loop BB2637_34 Depth=1
                                        ;     Parent Loop BB2637_37 Depth=2
                                        ; =>    This Inner Loop Header: Depth=3
	s_add_i32 s38, s38, -1
	s_cmp_eq_u32 s38, 0
	s_sleep 1
	s_cbranch_scc0 .LBB2637_38
; %bb.39:                               ;   in Loop: Header=BB2637_37 Depth=2
	global_load_dwordx2 v[16:17], v[18:19], off glc
	s_cmp_lt_u32 s7, 32
	s_cselect_b64 s[38:39], -1, 0
	s_cmp_lg_u64 s[38:39], 0
	s_addc_u32 s7, s7, 0
	s_waitcnt vmcnt(0)
	v_cmp_ne_u16_sdwa s[38:39], v17, v13 src0_sel:BYTE_0 src1_sel:DWORD
	s_or_b64 s[36:37], s[38:39], s[36:37]
	s_andn2_b64 exec, exec, s[36:37]
	s_cbranch_execnz .LBB2637_37
; %bb.40:                               ;   in Loop: Header=BB2637_34 Depth=1
	s_or_b64 exec, exec, s[36:37]
	s_branch .LBB2637_33
.LBB2637_41:                            ;   in Loop: Header=BB2637_34 Depth=1
                                        ; implicit-def: $vgpr16
                                        ; implicit-def: $vgpr17
	s_cbranch_execz .LBB2637_34
; %bb.42:
	s_and_saveexec_b64 s[34:35], s[18:19]
	s_cbranch_execz .LBB2637_44
; %bb.43:
	s_add_i32 s6, s6, 64
	s_mov_b32 s7, 0
	s_lshl_b64 s[6:7], s[6:7], 3
	s_add_u32 s6, s28, s6
	v_add_u32_e32 v12, v11, v10
	v_mov_b32_e32 v13, 2
	s_addc_u32 s7, s29, s7
	v_mov_b32_e32 v14, 0
	global_store_dwordx2 v14, v[12:13], s[6:7]
	ds_write_b64 v14, v[10:11] offset:6336
.LBB2637_44:
	s_or_b64 exec, exec, s[34:35]
	v_cmp_eq_u32_e32 vcc, 0, v0
	s_and_b64 exec, exec, vcc
	s_cbranch_execz .LBB2637_46
; %bb.45:
	v_mov_b32_e32 v10, 0
	ds_write_b32 v10, v11 offset:8
.LBB2637_46:
	s_or_b64 exec, exec, s[30:31]
	v_mov_b32_e32 v10, 0
	s_waitcnt lgkmcnt(0)
	s_barrier
	ds_read_b32 v11, v10 offset:8
	v_cndmask_b32_e64 v12, v28, v27, s[18:19]
	v_cmp_ne_u32_e32 vcc, 0, v0
	v_cndmask_b32_e32 v12, 0, v12, vcc
	s_waitcnt lgkmcnt(0)
	v_add_u32_e32 v15, v11, v12
	s_barrier
	ds_read_b64 v[10:11], v10 offset:6336
	v_add_u32_sdwa v16, v15, v21 dst_sel:DWORD dst_unused:UNUSED_PAD src0_sel:DWORD src1_sel:BYTE_0
	v_add_u32_sdwa v14, v16, v21 dst_sel:DWORD dst_unused:UNUSED_PAD src0_sel:DWORD src1_sel:BYTE_1
	v_add_u32_e32 v13, v14, v23
	s_waitcnt lgkmcnt(0)
	v_mov_b32_e32 v12, v11
	s_load_dwordx2 s[4:5], s[4:5], 0x28
	s_branch .LBB2637_57
.LBB2637_47:
                                        ; implicit-def: $vgpr12
                                        ; implicit-def: $vgpr10
                                        ; implicit-def: $vgpr13
                                        ; implicit-def: $vgpr14
                                        ; implicit-def: $vgpr16
                                        ; implicit-def: $vgpr15
	s_load_dwordx2 s[4:5], s[4:5], 0x28
	s_cbranch_execz .LBB2637_57
; %bb.48:
	v_mov_b32_dpp v10, v26 row_shr:1 row_mask:0xf bank_mask:0xf
	v_cndmask_b32_e64 v10, v10, 0, s[16:17]
	v_add_u32_e32 v10, v10, v26
	s_nop 1
	v_mov_b32_dpp v11, v10 row_shr:2 row_mask:0xf bank_mask:0xf
	v_cndmask_b32_e64 v11, 0, v11, s[14:15]
	v_add_u32_e32 v10, v10, v11
	s_nop 1
	;; [unrolled: 4-line block ×4, first 2 shown]
	v_mov_b32_dpp v11, v10 row_bcast:15 row_mask:0xf bank_mask:0xf
	v_cndmask_b32_e64 v11, v11, 0, s[20:21]
	v_add_u32_e32 v10, v10, v11
	s_nop 1
	v_mov_b32_dpp v11, v10 row_bcast:31 row_mask:0xf bank_mask:0xf
	v_cndmask_b32_e64 v11, 0, v11, s[2:3]
	v_add_u32_e32 v10, v10, v11
	s_and_saveexec_b64 s[2:3], s[8:9]
	s_cbranch_execz .LBB2637_50
; %bb.49:
	v_lshlrev_b32_e32 v11, 2, v25
	ds_write_b32 v11, v10
.LBB2637_50:
	s_or_b64 exec, exec, s[2:3]
	v_cmp_gt_u32_e32 vcc, 3, v0
	s_waitcnt lgkmcnt(0)
	s_barrier
	s_and_saveexec_b64 s[2:3], vcc
	s_cbranch_execz .LBB2637_52
; %bb.51:
	ds_read_b32 v11, v20
	v_and_b32_e32 v12, 3, v24
	v_cmp_ne_u32_e32 vcc, 0, v12
	s_waitcnt lgkmcnt(0)
	v_mov_b32_dpp v13, v11 row_shr:1 row_mask:0xf bank_mask:0xf
	v_cndmask_b32_e32 v13, 0, v13, vcc
	v_add_u32_e32 v11, v13, v11
	v_cmp_lt_u32_e32 vcc, 1, v12
	s_nop 0
	v_mov_b32_dpp v13, v11 row_shr:2 row_mask:0xf bank_mask:0xf
	v_cndmask_b32_e32 v12, 0, v13, vcc
	v_add_u32_e32 v11, v11, v12
	ds_write_b32 v20, v11
.LBB2637_52:
	s_or_b64 exec, exec, s[2:3]
	v_cmp_lt_u32_e32 vcc, 63, v0
	v_mov_b32_e32 v11, 0
	v_mov_b32_e32 v12, 0
	s_waitcnt lgkmcnt(0)
	s_barrier
	s_and_saveexec_b64 s[2:3], vcc
	s_cbranch_execz .LBB2637_54
; %bb.53:
	v_lshl_add_u32 v12, v25, 2, -4
	ds_read_b32 v12, v12
.LBB2637_54:
	s_or_b64 exec, exec, s[2:3]
	v_add_u32_e32 v13, -1, v24
	v_and_b32_e32 v14, 64, v24
	v_cmp_lt_i32_e32 vcc, v13, v14
	v_cndmask_b32_e32 v13, v13, v24, vcc
	s_waitcnt lgkmcnt(0)
	v_add_u32_e32 v10, v12, v10
	v_lshlrev_b32_e32 v13, 2, v13
	ds_bpermute_b32 v13, v13, v10
	ds_read_b32 v10, v11 offset:8
	v_cmp_eq_u32_e32 vcc, 0, v0
	s_and_saveexec_b64 s[2:3], vcc
	s_cbranch_execz .LBB2637_56
; %bb.55:
	v_mov_b32_e32 v14, 0
	v_mov_b32_e32 v11, 2
	s_waitcnt lgkmcnt(0)
	global_store_dwordx2 v14, v[10:11], s[28:29] offset:512
.LBB2637_56:
	s_or_b64 exec, exec, s[2:3]
	v_cmp_eq_u32_e64 s[2:3], 0, v24
	s_waitcnt lgkmcnt(1)
	v_cndmask_b32_e64 v11, v13, v12, s[2:3]
	v_cndmask_b32_e64 v15, v11, 0, vcc
	v_add_u32_sdwa v16, v15, v21 dst_sel:DWORD dst_unused:UNUSED_PAD src0_sel:DWORD src1_sel:BYTE_0
	v_add_u32_sdwa v14, v16, v21 dst_sel:DWORD dst_unused:UNUSED_PAD src0_sel:DWORD src1_sel:BYTE_1
	v_mov_b32_e32 v12, 0
	v_add_u32_e32 v13, v14, v23
	s_waitcnt lgkmcnt(0)
	s_barrier
.LBB2637_57:
	v_add_u32_e32 v17, v10, v20
	v_sub_u32_e32 v15, v15, v12
	v_and_b32_e32 v19, 1, v21
	v_sub_u32_e32 v18, v17, v15
	v_cmp_eq_u32_e32 vcc, 1, v19
	v_cndmask_b32_e32 v15, v18, v15, vcc
	v_lshlrev_b32_e32 v15, 3, v15
	v_lshrrev_b32_e32 v11, 8, v21
	ds_write_b64 v15, v[6:7]
	v_sub_u32_e32 v6, v16, v12
	v_sub_u32_e32 v7, v17, v6
	v_and_b32_e32 v11, 1, v11
	v_add_u32_e32 v7, 1, v7
	v_cmp_eq_u32_e32 vcc, 1, v11
	v_cndmask_b32_e32 v6, v7, v6, vcc
	v_lshlrev_b32_e32 v6, 3, v6
	ds_write_b64 v6, v[8:9]
	v_sub_u32_e32 v6, v14, v12
	v_mov_b32_e32 v8, 1
	v_sub_u32_e32 v7, v17, v6
	v_and_b32_sdwa v8, v8, v21 dst_sel:DWORD dst_unused:UNUSED_PAD src0_sel:DWORD src1_sel:WORD_1
	v_add_u32_e32 v7, 2, v7
	v_cmp_eq_u32_e32 vcc, 1, v8
	v_cndmask_b32_e32 v6, v7, v6, vcc
	v_lshlrev_b32_e32 v6, 3, v6
	ds_write_b64 v6, v[2:3]
	v_sub_u32_e32 v2, v13, v12
	v_sub_u32_e32 v3, v17, v2
	v_and_b32_e32 v6, 1, v22
	v_add_u32_e32 v3, 3, v3
	v_cmp_eq_u32_e32 vcc, 1, v6
	v_cndmask_b32_e32 v2, v3, v2, vcc
	v_lshlrev_b32_e32 v2, 3, v2
	ds_write_b64 v2, v[4:5]
	s_waitcnt lgkmcnt(0)
	s_barrier
	ds_read2st64_b64 v[6:9], v1 offset1:3
	ds_read2st64_b64 v[2:5], v1 offset0:6 offset1:9
	v_add_u32_e32 v17, 0xc0, v0
	v_add_u32_e32 v16, 0x180, v0
	s_and_b64 vcc, exec, s[0:1]
	v_add_u32_e32 v11, 0x240, v0
	s_cbranch_vccnz .LBB2637_63
; %bb.58:
	s_lshl_b64 s[0:1], s[22:23], 3
	v_mov_b32_e32 v13, 0
	s_add_u32 s0, s4, s0
	s_addc_u32 s1, s5, s1
	v_lshlrev_b64 v[14:15], 3, v[12:13]
	v_mov_b32_e32 v13, s1
	v_add_co_u32_e32 v14, vcc, s0, v14
	v_addc_co_u32_e32 v15, vcc, v13, v15, vcc
	v_cmp_lt_u32_e32 vcc, v0, v10
	s_and_saveexec_b64 s[0:1], vcc
	s_cbranch_execnz .LBB2637_74
; %bb.59:
	s_or_b64 exec, exec, s[0:1]
	v_cmp_lt_u32_e32 vcc, v17, v10
	s_and_saveexec_b64 s[0:1], vcc
	s_cbranch_execnz .LBB2637_75
.LBB2637_60:
	s_or_b64 exec, exec, s[0:1]
	v_cmp_lt_u32_e32 vcc, v16, v10
	s_and_saveexec_b64 s[0:1], vcc
	s_cbranch_execz .LBB2637_62
.LBB2637_61:
	v_readfirstlane_b32 s2, v14
	v_readfirstlane_b32 s3, v15
	s_waitcnt lgkmcnt(0)
	s_nop 3
	global_store_dwordx2 v1, v[2:3], s[2:3] offset:3072
.LBB2637_62:
	s_or_b64 exec, exec, s[0:1]
	v_cmp_lt_u32_e64 s[0:1], v11, v10
	s_branch .LBB2637_69
.LBB2637_63:
	s_mov_b64 s[0:1], 0
                                        ; implicit-def: $vgpr14_vgpr15
	s_cbranch_execz .LBB2637_69
; %bb.64:
	s_lshl_b64 s[0:1], s[22:23], 3
	v_mov_b32_e32 v13, 0
	s_add_u32 s0, s4, s0
	s_addc_u32 s1, s5, s1
	v_lshlrev_b64 v[14:15], 3, v[12:13]
	v_mov_b32_e32 v13, s1
	v_add_co_u32_e32 v14, vcc, s0, v14
	v_min_u32_e32 v18, s33, v10
	v_addc_co_u32_e32 v15, vcc, v13, v15, vcc
	v_cmp_gt_u32_e32 vcc, v18, v0
	s_and_saveexec_b64 s[0:1], vcc
	s_cbranch_execnz .LBB2637_76
; %bb.65:
	s_or_b64 exec, exec, s[0:1]
	v_cmp_lt_u32_e32 vcc, v17, v18
	s_and_saveexec_b64 s[0:1], vcc
	s_cbranch_execnz .LBB2637_77
.LBB2637_66:
	s_or_b64 exec, exec, s[0:1]
	v_cmp_lt_u32_e32 vcc, v16, v18
	s_and_saveexec_b64 s[0:1], vcc
	s_cbranch_execz .LBB2637_68
.LBB2637_67:
	v_readfirstlane_b32 s2, v14
	v_readfirstlane_b32 s3, v15
	s_waitcnt lgkmcnt(0)
	s_nop 3
	global_store_dwordx2 v1, v[2:3], s[2:3] offset:3072
.LBB2637_68:
	s_or_b64 exec, exec, s[0:1]
	v_cmp_lt_u32_e64 s[0:1], v11, v18
.LBB2637_69:
	s_and_saveexec_b64 s[2:3], s[0:1]
	s_cbranch_execz .LBB2637_71
; %bb.70:
	v_lshlrev_b32_e32 v1, 3, v11
	v_readfirstlane_b32 s0, v14
	v_readfirstlane_b32 s1, v15
	s_waitcnt lgkmcnt(0)
	s_nop 3
	global_store_dwordx2 v1, v[4:5], s[0:1]
.LBB2637_71:
	s_or_b64 exec, exec, s[2:3]
	v_cmp_eq_u32_e32 vcc, 0, v0
	s_and_b64 s[0:1], vcc, s[26:27]
	s_and_saveexec_b64 s[2:3], s[0:1]
	s_cbranch_execz .LBB2637_73
; %bb.72:
	v_mov_b32_e32 v0, s23
	v_add_co_u32_e32 v1, vcc, s22, v10
	s_waitcnt lgkmcnt(0)
	v_addc_co_u32_e32 v3, vcc, 0, v0, vcc
	v_add_co_u32_e32 v0, vcc, v1, v12
	v_mov_b32_e32 v2, 0
	v_addc_co_u32_e32 v1, vcc, 0, v3, vcc
	global_store_dwordx2 v2, v[0:1], s[24:25]
.LBB2637_73:
	s_endpgm
.LBB2637_74:
	v_readfirstlane_b32 s2, v14
	v_readfirstlane_b32 s3, v15
	s_waitcnt lgkmcnt(1)
	s_nop 3
	global_store_dwordx2 v1, v[6:7], s[2:3]
	s_or_b64 exec, exec, s[0:1]
	v_cmp_lt_u32_e32 vcc, v17, v10
	s_and_saveexec_b64 s[0:1], vcc
	s_cbranch_execz .LBB2637_60
.LBB2637_75:
	v_readfirstlane_b32 s2, v14
	v_readfirstlane_b32 s3, v15
	s_waitcnt lgkmcnt(1)
	s_nop 3
	global_store_dwordx2 v1, v[8:9], s[2:3] offset:1536
	s_or_b64 exec, exec, s[0:1]
	v_cmp_lt_u32_e32 vcc, v16, v10
	s_and_saveexec_b64 s[0:1], vcc
	s_cbranch_execnz .LBB2637_61
	s_branch .LBB2637_62
.LBB2637_76:
	v_readfirstlane_b32 s2, v14
	v_readfirstlane_b32 s3, v15
	s_waitcnt lgkmcnt(1)
	s_nop 3
	global_store_dwordx2 v1, v[6:7], s[2:3]
	s_or_b64 exec, exec, s[0:1]
	v_cmp_lt_u32_e32 vcc, v17, v18
	s_and_saveexec_b64 s[0:1], vcc
	s_cbranch_execz .LBB2637_66
.LBB2637_77:
	v_readfirstlane_b32 s2, v14
	v_readfirstlane_b32 s3, v15
	s_waitcnt lgkmcnt(1)
	s_nop 3
	global_store_dwordx2 v1, v[8:9], s[2:3] offset:1536
	s_or_b64 exec, exec, s[0:1]
	v_cmp_lt_u32_e32 vcc, v16, v18
	s_and_saveexec_b64 s[0:1], vcc
	s_cbranch_execnz .LBB2637_67
	s_branch .LBB2637_68
	.section	.rodata,"a",@progbits
	.p2align	6, 0x0
	.amdhsa_kernel _ZN7rocprim17ROCPRIM_400000_NS6detail17trampoline_kernelINS0_14default_configENS1_25partition_config_selectorILNS1_17partition_subalgoE0ExNS0_10empty_typeEbEEZZNS1_14partition_implILS5_0ELb0ES3_jN6thrust23THRUST_200600_302600_NS6detail15normal_iteratorINSA_10device_ptrIxEEEEPS6_SG_NS0_5tupleIJSF_NSA_16discard_iteratorINSA_11use_defaultEEEEEENSH_IJSG_SG_EEES6_PlJ7is_evenIxEEEE10hipError_tPvRmT3_T4_T5_T6_T7_T9_mT8_P12ihipStream_tbDpT10_ENKUlT_T0_E_clISt17integral_constantIbLb1EES18_IbLb0EEEEDaS14_S15_EUlS14_E_NS1_11comp_targetILNS1_3genE4ELNS1_11target_archE910ELNS1_3gpuE8ELNS1_3repE0EEENS1_30default_config_static_selectorELNS0_4arch9wavefront6targetE1EEEvT1_
		.amdhsa_group_segment_fixed_size 6344
		.amdhsa_private_segment_fixed_size 0
		.amdhsa_kernarg_size 128
		.amdhsa_user_sgpr_count 6
		.amdhsa_user_sgpr_private_segment_buffer 1
		.amdhsa_user_sgpr_dispatch_ptr 0
		.amdhsa_user_sgpr_queue_ptr 0
		.amdhsa_user_sgpr_kernarg_segment_ptr 1
		.amdhsa_user_sgpr_dispatch_id 0
		.amdhsa_user_sgpr_flat_scratch_init 0
		.amdhsa_user_sgpr_kernarg_preload_length 0
		.amdhsa_user_sgpr_kernarg_preload_offset 0
		.amdhsa_user_sgpr_private_segment_size 0
		.amdhsa_uses_dynamic_stack 0
		.amdhsa_system_sgpr_private_segment_wavefront_offset 0
		.amdhsa_system_sgpr_workgroup_id_x 1
		.amdhsa_system_sgpr_workgroup_id_y 0
		.amdhsa_system_sgpr_workgroup_id_z 0
		.amdhsa_system_sgpr_workgroup_info 0
		.amdhsa_system_vgpr_workitem_id 0
		.amdhsa_next_free_vgpr 43
		.amdhsa_next_free_sgpr 40
		.amdhsa_accum_offset 44
		.amdhsa_reserve_vcc 1
		.amdhsa_reserve_flat_scratch 0
		.amdhsa_float_round_mode_32 0
		.amdhsa_float_round_mode_16_64 0
		.amdhsa_float_denorm_mode_32 3
		.amdhsa_float_denorm_mode_16_64 3
		.amdhsa_dx10_clamp 1
		.amdhsa_ieee_mode 1
		.amdhsa_fp16_overflow 0
		.amdhsa_tg_split 0
		.amdhsa_exception_fp_ieee_invalid_op 0
		.amdhsa_exception_fp_denorm_src 0
		.amdhsa_exception_fp_ieee_div_zero 0
		.amdhsa_exception_fp_ieee_overflow 0
		.amdhsa_exception_fp_ieee_underflow 0
		.amdhsa_exception_fp_ieee_inexact 0
		.amdhsa_exception_int_div_zero 0
	.end_amdhsa_kernel
	.section	.text._ZN7rocprim17ROCPRIM_400000_NS6detail17trampoline_kernelINS0_14default_configENS1_25partition_config_selectorILNS1_17partition_subalgoE0ExNS0_10empty_typeEbEEZZNS1_14partition_implILS5_0ELb0ES3_jN6thrust23THRUST_200600_302600_NS6detail15normal_iteratorINSA_10device_ptrIxEEEEPS6_SG_NS0_5tupleIJSF_NSA_16discard_iteratorINSA_11use_defaultEEEEEENSH_IJSG_SG_EEES6_PlJ7is_evenIxEEEE10hipError_tPvRmT3_T4_T5_T6_T7_T9_mT8_P12ihipStream_tbDpT10_ENKUlT_T0_E_clISt17integral_constantIbLb1EES18_IbLb0EEEEDaS14_S15_EUlS14_E_NS1_11comp_targetILNS1_3genE4ELNS1_11target_archE910ELNS1_3gpuE8ELNS1_3repE0EEENS1_30default_config_static_selectorELNS0_4arch9wavefront6targetE1EEEvT1_,"axG",@progbits,_ZN7rocprim17ROCPRIM_400000_NS6detail17trampoline_kernelINS0_14default_configENS1_25partition_config_selectorILNS1_17partition_subalgoE0ExNS0_10empty_typeEbEEZZNS1_14partition_implILS5_0ELb0ES3_jN6thrust23THRUST_200600_302600_NS6detail15normal_iteratorINSA_10device_ptrIxEEEEPS6_SG_NS0_5tupleIJSF_NSA_16discard_iteratorINSA_11use_defaultEEEEEENSH_IJSG_SG_EEES6_PlJ7is_evenIxEEEE10hipError_tPvRmT3_T4_T5_T6_T7_T9_mT8_P12ihipStream_tbDpT10_ENKUlT_T0_E_clISt17integral_constantIbLb1EES18_IbLb0EEEEDaS14_S15_EUlS14_E_NS1_11comp_targetILNS1_3genE4ELNS1_11target_archE910ELNS1_3gpuE8ELNS1_3repE0EEENS1_30default_config_static_selectorELNS0_4arch9wavefront6targetE1EEEvT1_,comdat
.Lfunc_end2637:
	.size	_ZN7rocprim17ROCPRIM_400000_NS6detail17trampoline_kernelINS0_14default_configENS1_25partition_config_selectorILNS1_17partition_subalgoE0ExNS0_10empty_typeEbEEZZNS1_14partition_implILS5_0ELb0ES3_jN6thrust23THRUST_200600_302600_NS6detail15normal_iteratorINSA_10device_ptrIxEEEEPS6_SG_NS0_5tupleIJSF_NSA_16discard_iteratorINSA_11use_defaultEEEEEENSH_IJSG_SG_EEES6_PlJ7is_evenIxEEEE10hipError_tPvRmT3_T4_T5_T6_T7_T9_mT8_P12ihipStream_tbDpT10_ENKUlT_T0_E_clISt17integral_constantIbLb1EES18_IbLb0EEEEDaS14_S15_EUlS14_E_NS1_11comp_targetILNS1_3genE4ELNS1_11target_archE910ELNS1_3gpuE8ELNS1_3repE0EEENS1_30default_config_static_selectorELNS0_4arch9wavefront6targetE1EEEvT1_, .Lfunc_end2637-_ZN7rocprim17ROCPRIM_400000_NS6detail17trampoline_kernelINS0_14default_configENS1_25partition_config_selectorILNS1_17partition_subalgoE0ExNS0_10empty_typeEbEEZZNS1_14partition_implILS5_0ELb0ES3_jN6thrust23THRUST_200600_302600_NS6detail15normal_iteratorINSA_10device_ptrIxEEEEPS6_SG_NS0_5tupleIJSF_NSA_16discard_iteratorINSA_11use_defaultEEEEEENSH_IJSG_SG_EEES6_PlJ7is_evenIxEEEE10hipError_tPvRmT3_T4_T5_T6_T7_T9_mT8_P12ihipStream_tbDpT10_ENKUlT_T0_E_clISt17integral_constantIbLb1EES18_IbLb0EEEEDaS14_S15_EUlS14_E_NS1_11comp_targetILNS1_3genE4ELNS1_11target_archE910ELNS1_3gpuE8ELNS1_3repE0EEENS1_30default_config_static_selectorELNS0_4arch9wavefront6targetE1EEEvT1_
                                        ; -- End function
	.section	.AMDGPU.csdata,"",@progbits
; Kernel info:
; codeLenInByte = 3692
; NumSgprs: 44
; NumVgprs: 43
; NumAgprs: 0
; TotalNumVgprs: 43
; ScratchSize: 0
; MemoryBound: 0
; FloatMode: 240
; IeeeMode: 1
; LDSByteSize: 6344 bytes/workgroup (compile time only)
; SGPRBlocks: 5
; VGPRBlocks: 5
; NumSGPRsForWavesPerEU: 44
; NumVGPRsForWavesPerEU: 43
; AccumOffset: 44
; Occupancy: 8
; WaveLimiterHint : 1
; COMPUTE_PGM_RSRC2:SCRATCH_EN: 0
; COMPUTE_PGM_RSRC2:USER_SGPR: 6
; COMPUTE_PGM_RSRC2:TRAP_HANDLER: 0
; COMPUTE_PGM_RSRC2:TGID_X_EN: 1
; COMPUTE_PGM_RSRC2:TGID_Y_EN: 0
; COMPUTE_PGM_RSRC2:TGID_Z_EN: 0
; COMPUTE_PGM_RSRC2:TIDIG_COMP_CNT: 0
; COMPUTE_PGM_RSRC3_GFX90A:ACCUM_OFFSET: 10
; COMPUTE_PGM_RSRC3_GFX90A:TG_SPLIT: 0
	.section	.text._ZN7rocprim17ROCPRIM_400000_NS6detail17trampoline_kernelINS0_14default_configENS1_25partition_config_selectorILNS1_17partition_subalgoE0ExNS0_10empty_typeEbEEZZNS1_14partition_implILS5_0ELb0ES3_jN6thrust23THRUST_200600_302600_NS6detail15normal_iteratorINSA_10device_ptrIxEEEEPS6_SG_NS0_5tupleIJSF_NSA_16discard_iteratorINSA_11use_defaultEEEEEENSH_IJSG_SG_EEES6_PlJ7is_evenIxEEEE10hipError_tPvRmT3_T4_T5_T6_T7_T9_mT8_P12ihipStream_tbDpT10_ENKUlT_T0_E_clISt17integral_constantIbLb1EES18_IbLb0EEEEDaS14_S15_EUlS14_E_NS1_11comp_targetILNS1_3genE3ELNS1_11target_archE908ELNS1_3gpuE7ELNS1_3repE0EEENS1_30default_config_static_selectorELNS0_4arch9wavefront6targetE1EEEvT1_,"axG",@progbits,_ZN7rocprim17ROCPRIM_400000_NS6detail17trampoline_kernelINS0_14default_configENS1_25partition_config_selectorILNS1_17partition_subalgoE0ExNS0_10empty_typeEbEEZZNS1_14partition_implILS5_0ELb0ES3_jN6thrust23THRUST_200600_302600_NS6detail15normal_iteratorINSA_10device_ptrIxEEEEPS6_SG_NS0_5tupleIJSF_NSA_16discard_iteratorINSA_11use_defaultEEEEEENSH_IJSG_SG_EEES6_PlJ7is_evenIxEEEE10hipError_tPvRmT3_T4_T5_T6_T7_T9_mT8_P12ihipStream_tbDpT10_ENKUlT_T0_E_clISt17integral_constantIbLb1EES18_IbLb0EEEEDaS14_S15_EUlS14_E_NS1_11comp_targetILNS1_3genE3ELNS1_11target_archE908ELNS1_3gpuE7ELNS1_3repE0EEENS1_30default_config_static_selectorELNS0_4arch9wavefront6targetE1EEEvT1_,comdat
	.protected	_ZN7rocprim17ROCPRIM_400000_NS6detail17trampoline_kernelINS0_14default_configENS1_25partition_config_selectorILNS1_17partition_subalgoE0ExNS0_10empty_typeEbEEZZNS1_14partition_implILS5_0ELb0ES3_jN6thrust23THRUST_200600_302600_NS6detail15normal_iteratorINSA_10device_ptrIxEEEEPS6_SG_NS0_5tupleIJSF_NSA_16discard_iteratorINSA_11use_defaultEEEEEENSH_IJSG_SG_EEES6_PlJ7is_evenIxEEEE10hipError_tPvRmT3_T4_T5_T6_T7_T9_mT8_P12ihipStream_tbDpT10_ENKUlT_T0_E_clISt17integral_constantIbLb1EES18_IbLb0EEEEDaS14_S15_EUlS14_E_NS1_11comp_targetILNS1_3genE3ELNS1_11target_archE908ELNS1_3gpuE7ELNS1_3repE0EEENS1_30default_config_static_selectorELNS0_4arch9wavefront6targetE1EEEvT1_ ; -- Begin function _ZN7rocprim17ROCPRIM_400000_NS6detail17trampoline_kernelINS0_14default_configENS1_25partition_config_selectorILNS1_17partition_subalgoE0ExNS0_10empty_typeEbEEZZNS1_14partition_implILS5_0ELb0ES3_jN6thrust23THRUST_200600_302600_NS6detail15normal_iteratorINSA_10device_ptrIxEEEEPS6_SG_NS0_5tupleIJSF_NSA_16discard_iteratorINSA_11use_defaultEEEEEENSH_IJSG_SG_EEES6_PlJ7is_evenIxEEEE10hipError_tPvRmT3_T4_T5_T6_T7_T9_mT8_P12ihipStream_tbDpT10_ENKUlT_T0_E_clISt17integral_constantIbLb1EES18_IbLb0EEEEDaS14_S15_EUlS14_E_NS1_11comp_targetILNS1_3genE3ELNS1_11target_archE908ELNS1_3gpuE7ELNS1_3repE0EEENS1_30default_config_static_selectorELNS0_4arch9wavefront6targetE1EEEvT1_
	.globl	_ZN7rocprim17ROCPRIM_400000_NS6detail17trampoline_kernelINS0_14default_configENS1_25partition_config_selectorILNS1_17partition_subalgoE0ExNS0_10empty_typeEbEEZZNS1_14partition_implILS5_0ELb0ES3_jN6thrust23THRUST_200600_302600_NS6detail15normal_iteratorINSA_10device_ptrIxEEEEPS6_SG_NS0_5tupleIJSF_NSA_16discard_iteratorINSA_11use_defaultEEEEEENSH_IJSG_SG_EEES6_PlJ7is_evenIxEEEE10hipError_tPvRmT3_T4_T5_T6_T7_T9_mT8_P12ihipStream_tbDpT10_ENKUlT_T0_E_clISt17integral_constantIbLb1EES18_IbLb0EEEEDaS14_S15_EUlS14_E_NS1_11comp_targetILNS1_3genE3ELNS1_11target_archE908ELNS1_3gpuE7ELNS1_3repE0EEENS1_30default_config_static_selectorELNS0_4arch9wavefront6targetE1EEEvT1_
	.p2align	8
	.type	_ZN7rocprim17ROCPRIM_400000_NS6detail17trampoline_kernelINS0_14default_configENS1_25partition_config_selectorILNS1_17partition_subalgoE0ExNS0_10empty_typeEbEEZZNS1_14partition_implILS5_0ELb0ES3_jN6thrust23THRUST_200600_302600_NS6detail15normal_iteratorINSA_10device_ptrIxEEEEPS6_SG_NS0_5tupleIJSF_NSA_16discard_iteratorINSA_11use_defaultEEEEEENSH_IJSG_SG_EEES6_PlJ7is_evenIxEEEE10hipError_tPvRmT3_T4_T5_T6_T7_T9_mT8_P12ihipStream_tbDpT10_ENKUlT_T0_E_clISt17integral_constantIbLb1EES18_IbLb0EEEEDaS14_S15_EUlS14_E_NS1_11comp_targetILNS1_3genE3ELNS1_11target_archE908ELNS1_3gpuE7ELNS1_3repE0EEENS1_30default_config_static_selectorELNS0_4arch9wavefront6targetE1EEEvT1_,@function
_ZN7rocprim17ROCPRIM_400000_NS6detail17trampoline_kernelINS0_14default_configENS1_25partition_config_selectorILNS1_17partition_subalgoE0ExNS0_10empty_typeEbEEZZNS1_14partition_implILS5_0ELb0ES3_jN6thrust23THRUST_200600_302600_NS6detail15normal_iteratorINSA_10device_ptrIxEEEEPS6_SG_NS0_5tupleIJSF_NSA_16discard_iteratorINSA_11use_defaultEEEEEENSH_IJSG_SG_EEES6_PlJ7is_evenIxEEEE10hipError_tPvRmT3_T4_T5_T6_T7_T9_mT8_P12ihipStream_tbDpT10_ENKUlT_T0_E_clISt17integral_constantIbLb1EES18_IbLb0EEEEDaS14_S15_EUlS14_E_NS1_11comp_targetILNS1_3genE3ELNS1_11target_archE908ELNS1_3gpuE7ELNS1_3repE0EEENS1_30default_config_static_selectorELNS0_4arch9wavefront6targetE1EEEvT1_: ; @_ZN7rocprim17ROCPRIM_400000_NS6detail17trampoline_kernelINS0_14default_configENS1_25partition_config_selectorILNS1_17partition_subalgoE0ExNS0_10empty_typeEbEEZZNS1_14partition_implILS5_0ELb0ES3_jN6thrust23THRUST_200600_302600_NS6detail15normal_iteratorINSA_10device_ptrIxEEEEPS6_SG_NS0_5tupleIJSF_NSA_16discard_iteratorINSA_11use_defaultEEEEEENSH_IJSG_SG_EEES6_PlJ7is_evenIxEEEE10hipError_tPvRmT3_T4_T5_T6_T7_T9_mT8_P12ihipStream_tbDpT10_ENKUlT_T0_E_clISt17integral_constantIbLb1EES18_IbLb0EEEEDaS14_S15_EUlS14_E_NS1_11comp_targetILNS1_3genE3ELNS1_11target_archE908ELNS1_3gpuE7ELNS1_3repE0EEENS1_30default_config_static_selectorELNS0_4arch9wavefront6targetE1EEEvT1_
; %bb.0:
	.section	.rodata,"a",@progbits
	.p2align	6, 0x0
	.amdhsa_kernel _ZN7rocprim17ROCPRIM_400000_NS6detail17trampoline_kernelINS0_14default_configENS1_25partition_config_selectorILNS1_17partition_subalgoE0ExNS0_10empty_typeEbEEZZNS1_14partition_implILS5_0ELb0ES3_jN6thrust23THRUST_200600_302600_NS6detail15normal_iteratorINSA_10device_ptrIxEEEEPS6_SG_NS0_5tupleIJSF_NSA_16discard_iteratorINSA_11use_defaultEEEEEENSH_IJSG_SG_EEES6_PlJ7is_evenIxEEEE10hipError_tPvRmT3_T4_T5_T6_T7_T9_mT8_P12ihipStream_tbDpT10_ENKUlT_T0_E_clISt17integral_constantIbLb1EES18_IbLb0EEEEDaS14_S15_EUlS14_E_NS1_11comp_targetILNS1_3genE3ELNS1_11target_archE908ELNS1_3gpuE7ELNS1_3repE0EEENS1_30default_config_static_selectorELNS0_4arch9wavefront6targetE1EEEvT1_
		.amdhsa_group_segment_fixed_size 0
		.amdhsa_private_segment_fixed_size 0
		.amdhsa_kernarg_size 128
		.amdhsa_user_sgpr_count 6
		.amdhsa_user_sgpr_private_segment_buffer 1
		.amdhsa_user_sgpr_dispatch_ptr 0
		.amdhsa_user_sgpr_queue_ptr 0
		.amdhsa_user_sgpr_kernarg_segment_ptr 1
		.amdhsa_user_sgpr_dispatch_id 0
		.amdhsa_user_sgpr_flat_scratch_init 0
		.amdhsa_user_sgpr_kernarg_preload_length 0
		.amdhsa_user_sgpr_kernarg_preload_offset 0
		.amdhsa_user_sgpr_private_segment_size 0
		.amdhsa_uses_dynamic_stack 0
		.amdhsa_system_sgpr_private_segment_wavefront_offset 0
		.amdhsa_system_sgpr_workgroup_id_x 1
		.amdhsa_system_sgpr_workgroup_id_y 0
		.amdhsa_system_sgpr_workgroup_id_z 0
		.amdhsa_system_sgpr_workgroup_info 0
		.amdhsa_system_vgpr_workitem_id 0
		.amdhsa_next_free_vgpr 1
		.amdhsa_next_free_sgpr 0
		.amdhsa_accum_offset 4
		.amdhsa_reserve_vcc 0
		.amdhsa_reserve_flat_scratch 0
		.amdhsa_float_round_mode_32 0
		.amdhsa_float_round_mode_16_64 0
		.amdhsa_float_denorm_mode_32 3
		.amdhsa_float_denorm_mode_16_64 3
		.amdhsa_dx10_clamp 1
		.amdhsa_ieee_mode 1
		.amdhsa_fp16_overflow 0
		.amdhsa_tg_split 0
		.amdhsa_exception_fp_ieee_invalid_op 0
		.amdhsa_exception_fp_denorm_src 0
		.amdhsa_exception_fp_ieee_div_zero 0
		.amdhsa_exception_fp_ieee_overflow 0
		.amdhsa_exception_fp_ieee_underflow 0
		.amdhsa_exception_fp_ieee_inexact 0
		.amdhsa_exception_int_div_zero 0
	.end_amdhsa_kernel
	.section	.text._ZN7rocprim17ROCPRIM_400000_NS6detail17trampoline_kernelINS0_14default_configENS1_25partition_config_selectorILNS1_17partition_subalgoE0ExNS0_10empty_typeEbEEZZNS1_14partition_implILS5_0ELb0ES3_jN6thrust23THRUST_200600_302600_NS6detail15normal_iteratorINSA_10device_ptrIxEEEEPS6_SG_NS0_5tupleIJSF_NSA_16discard_iteratorINSA_11use_defaultEEEEEENSH_IJSG_SG_EEES6_PlJ7is_evenIxEEEE10hipError_tPvRmT3_T4_T5_T6_T7_T9_mT8_P12ihipStream_tbDpT10_ENKUlT_T0_E_clISt17integral_constantIbLb1EES18_IbLb0EEEEDaS14_S15_EUlS14_E_NS1_11comp_targetILNS1_3genE3ELNS1_11target_archE908ELNS1_3gpuE7ELNS1_3repE0EEENS1_30default_config_static_selectorELNS0_4arch9wavefront6targetE1EEEvT1_,"axG",@progbits,_ZN7rocprim17ROCPRIM_400000_NS6detail17trampoline_kernelINS0_14default_configENS1_25partition_config_selectorILNS1_17partition_subalgoE0ExNS0_10empty_typeEbEEZZNS1_14partition_implILS5_0ELb0ES3_jN6thrust23THRUST_200600_302600_NS6detail15normal_iteratorINSA_10device_ptrIxEEEEPS6_SG_NS0_5tupleIJSF_NSA_16discard_iteratorINSA_11use_defaultEEEEEENSH_IJSG_SG_EEES6_PlJ7is_evenIxEEEE10hipError_tPvRmT3_T4_T5_T6_T7_T9_mT8_P12ihipStream_tbDpT10_ENKUlT_T0_E_clISt17integral_constantIbLb1EES18_IbLb0EEEEDaS14_S15_EUlS14_E_NS1_11comp_targetILNS1_3genE3ELNS1_11target_archE908ELNS1_3gpuE7ELNS1_3repE0EEENS1_30default_config_static_selectorELNS0_4arch9wavefront6targetE1EEEvT1_,comdat
.Lfunc_end2638:
	.size	_ZN7rocprim17ROCPRIM_400000_NS6detail17trampoline_kernelINS0_14default_configENS1_25partition_config_selectorILNS1_17partition_subalgoE0ExNS0_10empty_typeEbEEZZNS1_14partition_implILS5_0ELb0ES3_jN6thrust23THRUST_200600_302600_NS6detail15normal_iteratorINSA_10device_ptrIxEEEEPS6_SG_NS0_5tupleIJSF_NSA_16discard_iteratorINSA_11use_defaultEEEEEENSH_IJSG_SG_EEES6_PlJ7is_evenIxEEEE10hipError_tPvRmT3_T4_T5_T6_T7_T9_mT8_P12ihipStream_tbDpT10_ENKUlT_T0_E_clISt17integral_constantIbLb1EES18_IbLb0EEEEDaS14_S15_EUlS14_E_NS1_11comp_targetILNS1_3genE3ELNS1_11target_archE908ELNS1_3gpuE7ELNS1_3repE0EEENS1_30default_config_static_selectorELNS0_4arch9wavefront6targetE1EEEvT1_, .Lfunc_end2638-_ZN7rocprim17ROCPRIM_400000_NS6detail17trampoline_kernelINS0_14default_configENS1_25partition_config_selectorILNS1_17partition_subalgoE0ExNS0_10empty_typeEbEEZZNS1_14partition_implILS5_0ELb0ES3_jN6thrust23THRUST_200600_302600_NS6detail15normal_iteratorINSA_10device_ptrIxEEEEPS6_SG_NS0_5tupleIJSF_NSA_16discard_iteratorINSA_11use_defaultEEEEEENSH_IJSG_SG_EEES6_PlJ7is_evenIxEEEE10hipError_tPvRmT3_T4_T5_T6_T7_T9_mT8_P12ihipStream_tbDpT10_ENKUlT_T0_E_clISt17integral_constantIbLb1EES18_IbLb0EEEEDaS14_S15_EUlS14_E_NS1_11comp_targetILNS1_3genE3ELNS1_11target_archE908ELNS1_3gpuE7ELNS1_3repE0EEENS1_30default_config_static_selectorELNS0_4arch9wavefront6targetE1EEEvT1_
                                        ; -- End function
	.section	.AMDGPU.csdata,"",@progbits
; Kernel info:
; codeLenInByte = 0
; NumSgprs: 4
; NumVgprs: 0
; NumAgprs: 0
; TotalNumVgprs: 0
; ScratchSize: 0
; MemoryBound: 0
; FloatMode: 240
; IeeeMode: 1
; LDSByteSize: 0 bytes/workgroup (compile time only)
; SGPRBlocks: 0
; VGPRBlocks: 0
; NumSGPRsForWavesPerEU: 4
; NumVGPRsForWavesPerEU: 1
; AccumOffset: 4
; Occupancy: 8
; WaveLimiterHint : 0
; COMPUTE_PGM_RSRC2:SCRATCH_EN: 0
; COMPUTE_PGM_RSRC2:USER_SGPR: 6
; COMPUTE_PGM_RSRC2:TRAP_HANDLER: 0
; COMPUTE_PGM_RSRC2:TGID_X_EN: 1
; COMPUTE_PGM_RSRC2:TGID_Y_EN: 0
; COMPUTE_PGM_RSRC2:TGID_Z_EN: 0
; COMPUTE_PGM_RSRC2:TIDIG_COMP_CNT: 0
; COMPUTE_PGM_RSRC3_GFX90A:ACCUM_OFFSET: 0
; COMPUTE_PGM_RSRC3_GFX90A:TG_SPLIT: 0
	.section	.text._ZN7rocprim17ROCPRIM_400000_NS6detail17trampoline_kernelINS0_14default_configENS1_25partition_config_selectorILNS1_17partition_subalgoE0ExNS0_10empty_typeEbEEZZNS1_14partition_implILS5_0ELb0ES3_jN6thrust23THRUST_200600_302600_NS6detail15normal_iteratorINSA_10device_ptrIxEEEEPS6_SG_NS0_5tupleIJSF_NSA_16discard_iteratorINSA_11use_defaultEEEEEENSH_IJSG_SG_EEES6_PlJ7is_evenIxEEEE10hipError_tPvRmT3_T4_T5_T6_T7_T9_mT8_P12ihipStream_tbDpT10_ENKUlT_T0_E_clISt17integral_constantIbLb1EES18_IbLb0EEEEDaS14_S15_EUlS14_E_NS1_11comp_targetILNS1_3genE2ELNS1_11target_archE906ELNS1_3gpuE6ELNS1_3repE0EEENS1_30default_config_static_selectorELNS0_4arch9wavefront6targetE1EEEvT1_,"axG",@progbits,_ZN7rocprim17ROCPRIM_400000_NS6detail17trampoline_kernelINS0_14default_configENS1_25partition_config_selectorILNS1_17partition_subalgoE0ExNS0_10empty_typeEbEEZZNS1_14partition_implILS5_0ELb0ES3_jN6thrust23THRUST_200600_302600_NS6detail15normal_iteratorINSA_10device_ptrIxEEEEPS6_SG_NS0_5tupleIJSF_NSA_16discard_iteratorINSA_11use_defaultEEEEEENSH_IJSG_SG_EEES6_PlJ7is_evenIxEEEE10hipError_tPvRmT3_T4_T5_T6_T7_T9_mT8_P12ihipStream_tbDpT10_ENKUlT_T0_E_clISt17integral_constantIbLb1EES18_IbLb0EEEEDaS14_S15_EUlS14_E_NS1_11comp_targetILNS1_3genE2ELNS1_11target_archE906ELNS1_3gpuE6ELNS1_3repE0EEENS1_30default_config_static_selectorELNS0_4arch9wavefront6targetE1EEEvT1_,comdat
	.protected	_ZN7rocprim17ROCPRIM_400000_NS6detail17trampoline_kernelINS0_14default_configENS1_25partition_config_selectorILNS1_17partition_subalgoE0ExNS0_10empty_typeEbEEZZNS1_14partition_implILS5_0ELb0ES3_jN6thrust23THRUST_200600_302600_NS6detail15normal_iteratorINSA_10device_ptrIxEEEEPS6_SG_NS0_5tupleIJSF_NSA_16discard_iteratorINSA_11use_defaultEEEEEENSH_IJSG_SG_EEES6_PlJ7is_evenIxEEEE10hipError_tPvRmT3_T4_T5_T6_T7_T9_mT8_P12ihipStream_tbDpT10_ENKUlT_T0_E_clISt17integral_constantIbLb1EES18_IbLb0EEEEDaS14_S15_EUlS14_E_NS1_11comp_targetILNS1_3genE2ELNS1_11target_archE906ELNS1_3gpuE6ELNS1_3repE0EEENS1_30default_config_static_selectorELNS0_4arch9wavefront6targetE1EEEvT1_ ; -- Begin function _ZN7rocprim17ROCPRIM_400000_NS6detail17trampoline_kernelINS0_14default_configENS1_25partition_config_selectorILNS1_17partition_subalgoE0ExNS0_10empty_typeEbEEZZNS1_14partition_implILS5_0ELb0ES3_jN6thrust23THRUST_200600_302600_NS6detail15normal_iteratorINSA_10device_ptrIxEEEEPS6_SG_NS0_5tupleIJSF_NSA_16discard_iteratorINSA_11use_defaultEEEEEENSH_IJSG_SG_EEES6_PlJ7is_evenIxEEEE10hipError_tPvRmT3_T4_T5_T6_T7_T9_mT8_P12ihipStream_tbDpT10_ENKUlT_T0_E_clISt17integral_constantIbLb1EES18_IbLb0EEEEDaS14_S15_EUlS14_E_NS1_11comp_targetILNS1_3genE2ELNS1_11target_archE906ELNS1_3gpuE6ELNS1_3repE0EEENS1_30default_config_static_selectorELNS0_4arch9wavefront6targetE1EEEvT1_
	.globl	_ZN7rocprim17ROCPRIM_400000_NS6detail17trampoline_kernelINS0_14default_configENS1_25partition_config_selectorILNS1_17partition_subalgoE0ExNS0_10empty_typeEbEEZZNS1_14partition_implILS5_0ELb0ES3_jN6thrust23THRUST_200600_302600_NS6detail15normal_iteratorINSA_10device_ptrIxEEEEPS6_SG_NS0_5tupleIJSF_NSA_16discard_iteratorINSA_11use_defaultEEEEEENSH_IJSG_SG_EEES6_PlJ7is_evenIxEEEE10hipError_tPvRmT3_T4_T5_T6_T7_T9_mT8_P12ihipStream_tbDpT10_ENKUlT_T0_E_clISt17integral_constantIbLb1EES18_IbLb0EEEEDaS14_S15_EUlS14_E_NS1_11comp_targetILNS1_3genE2ELNS1_11target_archE906ELNS1_3gpuE6ELNS1_3repE0EEENS1_30default_config_static_selectorELNS0_4arch9wavefront6targetE1EEEvT1_
	.p2align	8
	.type	_ZN7rocprim17ROCPRIM_400000_NS6detail17trampoline_kernelINS0_14default_configENS1_25partition_config_selectorILNS1_17partition_subalgoE0ExNS0_10empty_typeEbEEZZNS1_14partition_implILS5_0ELb0ES3_jN6thrust23THRUST_200600_302600_NS6detail15normal_iteratorINSA_10device_ptrIxEEEEPS6_SG_NS0_5tupleIJSF_NSA_16discard_iteratorINSA_11use_defaultEEEEEENSH_IJSG_SG_EEES6_PlJ7is_evenIxEEEE10hipError_tPvRmT3_T4_T5_T6_T7_T9_mT8_P12ihipStream_tbDpT10_ENKUlT_T0_E_clISt17integral_constantIbLb1EES18_IbLb0EEEEDaS14_S15_EUlS14_E_NS1_11comp_targetILNS1_3genE2ELNS1_11target_archE906ELNS1_3gpuE6ELNS1_3repE0EEENS1_30default_config_static_selectorELNS0_4arch9wavefront6targetE1EEEvT1_,@function
_ZN7rocprim17ROCPRIM_400000_NS6detail17trampoline_kernelINS0_14default_configENS1_25partition_config_selectorILNS1_17partition_subalgoE0ExNS0_10empty_typeEbEEZZNS1_14partition_implILS5_0ELb0ES3_jN6thrust23THRUST_200600_302600_NS6detail15normal_iteratorINSA_10device_ptrIxEEEEPS6_SG_NS0_5tupleIJSF_NSA_16discard_iteratorINSA_11use_defaultEEEEEENSH_IJSG_SG_EEES6_PlJ7is_evenIxEEEE10hipError_tPvRmT3_T4_T5_T6_T7_T9_mT8_P12ihipStream_tbDpT10_ENKUlT_T0_E_clISt17integral_constantIbLb1EES18_IbLb0EEEEDaS14_S15_EUlS14_E_NS1_11comp_targetILNS1_3genE2ELNS1_11target_archE906ELNS1_3gpuE6ELNS1_3repE0EEENS1_30default_config_static_selectorELNS0_4arch9wavefront6targetE1EEEvT1_: ; @_ZN7rocprim17ROCPRIM_400000_NS6detail17trampoline_kernelINS0_14default_configENS1_25partition_config_selectorILNS1_17partition_subalgoE0ExNS0_10empty_typeEbEEZZNS1_14partition_implILS5_0ELb0ES3_jN6thrust23THRUST_200600_302600_NS6detail15normal_iteratorINSA_10device_ptrIxEEEEPS6_SG_NS0_5tupleIJSF_NSA_16discard_iteratorINSA_11use_defaultEEEEEENSH_IJSG_SG_EEES6_PlJ7is_evenIxEEEE10hipError_tPvRmT3_T4_T5_T6_T7_T9_mT8_P12ihipStream_tbDpT10_ENKUlT_T0_E_clISt17integral_constantIbLb1EES18_IbLb0EEEEDaS14_S15_EUlS14_E_NS1_11comp_targetILNS1_3genE2ELNS1_11target_archE906ELNS1_3gpuE6ELNS1_3repE0EEENS1_30default_config_static_selectorELNS0_4arch9wavefront6targetE1EEEvT1_
; %bb.0:
	.section	.rodata,"a",@progbits
	.p2align	6, 0x0
	.amdhsa_kernel _ZN7rocprim17ROCPRIM_400000_NS6detail17trampoline_kernelINS0_14default_configENS1_25partition_config_selectorILNS1_17partition_subalgoE0ExNS0_10empty_typeEbEEZZNS1_14partition_implILS5_0ELb0ES3_jN6thrust23THRUST_200600_302600_NS6detail15normal_iteratorINSA_10device_ptrIxEEEEPS6_SG_NS0_5tupleIJSF_NSA_16discard_iteratorINSA_11use_defaultEEEEEENSH_IJSG_SG_EEES6_PlJ7is_evenIxEEEE10hipError_tPvRmT3_T4_T5_T6_T7_T9_mT8_P12ihipStream_tbDpT10_ENKUlT_T0_E_clISt17integral_constantIbLb1EES18_IbLb0EEEEDaS14_S15_EUlS14_E_NS1_11comp_targetILNS1_3genE2ELNS1_11target_archE906ELNS1_3gpuE6ELNS1_3repE0EEENS1_30default_config_static_selectorELNS0_4arch9wavefront6targetE1EEEvT1_
		.amdhsa_group_segment_fixed_size 0
		.amdhsa_private_segment_fixed_size 0
		.amdhsa_kernarg_size 128
		.amdhsa_user_sgpr_count 6
		.amdhsa_user_sgpr_private_segment_buffer 1
		.amdhsa_user_sgpr_dispatch_ptr 0
		.amdhsa_user_sgpr_queue_ptr 0
		.amdhsa_user_sgpr_kernarg_segment_ptr 1
		.amdhsa_user_sgpr_dispatch_id 0
		.amdhsa_user_sgpr_flat_scratch_init 0
		.amdhsa_user_sgpr_kernarg_preload_length 0
		.amdhsa_user_sgpr_kernarg_preload_offset 0
		.amdhsa_user_sgpr_private_segment_size 0
		.amdhsa_uses_dynamic_stack 0
		.amdhsa_system_sgpr_private_segment_wavefront_offset 0
		.amdhsa_system_sgpr_workgroup_id_x 1
		.amdhsa_system_sgpr_workgroup_id_y 0
		.amdhsa_system_sgpr_workgroup_id_z 0
		.amdhsa_system_sgpr_workgroup_info 0
		.amdhsa_system_vgpr_workitem_id 0
		.amdhsa_next_free_vgpr 1
		.amdhsa_next_free_sgpr 0
		.amdhsa_accum_offset 4
		.amdhsa_reserve_vcc 0
		.amdhsa_reserve_flat_scratch 0
		.amdhsa_float_round_mode_32 0
		.amdhsa_float_round_mode_16_64 0
		.amdhsa_float_denorm_mode_32 3
		.amdhsa_float_denorm_mode_16_64 3
		.amdhsa_dx10_clamp 1
		.amdhsa_ieee_mode 1
		.amdhsa_fp16_overflow 0
		.amdhsa_tg_split 0
		.amdhsa_exception_fp_ieee_invalid_op 0
		.amdhsa_exception_fp_denorm_src 0
		.amdhsa_exception_fp_ieee_div_zero 0
		.amdhsa_exception_fp_ieee_overflow 0
		.amdhsa_exception_fp_ieee_underflow 0
		.amdhsa_exception_fp_ieee_inexact 0
		.amdhsa_exception_int_div_zero 0
	.end_amdhsa_kernel
	.section	.text._ZN7rocprim17ROCPRIM_400000_NS6detail17trampoline_kernelINS0_14default_configENS1_25partition_config_selectorILNS1_17partition_subalgoE0ExNS0_10empty_typeEbEEZZNS1_14partition_implILS5_0ELb0ES3_jN6thrust23THRUST_200600_302600_NS6detail15normal_iteratorINSA_10device_ptrIxEEEEPS6_SG_NS0_5tupleIJSF_NSA_16discard_iteratorINSA_11use_defaultEEEEEENSH_IJSG_SG_EEES6_PlJ7is_evenIxEEEE10hipError_tPvRmT3_T4_T5_T6_T7_T9_mT8_P12ihipStream_tbDpT10_ENKUlT_T0_E_clISt17integral_constantIbLb1EES18_IbLb0EEEEDaS14_S15_EUlS14_E_NS1_11comp_targetILNS1_3genE2ELNS1_11target_archE906ELNS1_3gpuE6ELNS1_3repE0EEENS1_30default_config_static_selectorELNS0_4arch9wavefront6targetE1EEEvT1_,"axG",@progbits,_ZN7rocprim17ROCPRIM_400000_NS6detail17trampoline_kernelINS0_14default_configENS1_25partition_config_selectorILNS1_17partition_subalgoE0ExNS0_10empty_typeEbEEZZNS1_14partition_implILS5_0ELb0ES3_jN6thrust23THRUST_200600_302600_NS6detail15normal_iteratorINSA_10device_ptrIxEEEEPS6_SG_NS0_5tupleIJSF_NSA_16discard_iteratorINSA_11use_defaultEEEEEENSH_IJSG_SG_EEES6_PlJ7is_evenIxEEEE10hipError_tPvRmT3_T4_T5_T6_T7_T9_mT8_P12ihipStream_tbDpT10_ENKUlT_T0_E_clISt17integral_constantIbLb1EES18_IbLb0EEEEDaS14_S15_EUlS14_E_NS1_11comp_targetILNS1_3genE2ELNS1_11target_archE906ELNS1_3gpuE6ELNS1_3repE0EEENS1_30default_config_static_selectorELNS0_4arch9wavefront6targetE1EEEvT1_,comdat
.Lfunc_end2639:
	.size	_ZN7rocprim17ROCPRIM_400000_NS6detail17trampoline_kernelINS0_14default_configENS1_25partition_config_selectorILNS1_17partition_subalgoE0ExNS0_10empty_typeEbEEZZNS1_14partition_implILS5_0ELb0ES3_jN6thrust23THRUST_200600_302600_NS6detail15normal_iteratorINSA_10device_ptrIxEEEEPS6_SG_NS0_5tupleIJSF_NSA_16discard_iteratorINSA_11use_defaultEEEEEENSH_IJSG_SG_EEES6_PlJ7is_evenIxEEEE10hipError_tPvRmT3_T4_T5_T6_T7_T9_mT8_P12ihipStream_tbDpT10_ENKUlT_T0_E_clISt17integral_constantIbLb1EES18_IbLb0EEEEDaS14_S15_EUlS14_E_NS1_11comp_targetILNS1_3genE2ELNS1_11target_archE906ELNS1_3gpuE6ELNS1_3repE0EEENS1_30default_config_static_selectorELNS0_4arch9wavefront6targetE1EEEvT1_, .Lfunc_end2639-_ZN7rocprim17ROCPRIM_400000_NS6detail17trampoline_kernelINS0_14default_configENS1_25partition_config_selectorILNS1_17partition_subalgoE0ExNS0_10empty_typeEbEEZZNS1_14partition_implILS5_0ELb0ES3_jN6thrust23THRUST_200600_302600_NS6detail15normal_iteratorINSA_10device_ptrIxEEEEPS6_SG_NS0_5tupleIJSF_NSA_16discard_iteratorINSA_11use_defaultEEEEEENSH_IJSG_SG_EEES6_PlJ7is_evenIxEEEE10hipError_tPvRmT3_T4_T5_T6_T7_T9_mT8_P12ihipStream_tbDpT10_ENKUlT_T0_E_clISt17integral_constantIbLb1EES18_IbLb0EEEEDaS14_S15_EUlS14_E_NS1_11comp_targetILNS1_3genE2ELNS1_11target_archE906ELNS1_3gpuE6ELNS1_3repE0EEENS1_30default_config_static_selectorELNS0_4arch9wavefront6targetE1EEEvT1_
                                        ; -- End function
	.section	.AMDGPU.csdata,"",@progbits
; Kernel info:
; codeLenInByte = 0
; NumSgprs: 4
; NumVgprs: 0
; NumAgprs: 0
; TotalNumVgprs: 0
; ScratchSize: 0
; MemoryBound: 0
; FloatMode: 240
; IeeeMode: 1
; LDSByteSize: 0 bytes/workgroup (compile time only)
; SGPRBlocks: 0
; VGPRBlocks: 0
; NumSGPRsForWavesPerEU: 4
; NumVGPRsForWavesPerEU: 1
; AccumOffset: 4
; Occupancy: 8
; WaveLimiterHint : 0
; COMPUTE_PGM_RSRC2:SCRATCH_EN: 0
; COMPUTE_PGM_RSRC2:USER_SGPR: 6
; COMPUTE_PGM_RSRC2:TRAP_HANDLER: 0
; COMPUTE_PGM_RSRC2:TGID_X_EN: 1
; COMPUTE_PGM_RSRC2:TGID_Y_EN: 0
; COMPUTE_PGM_RSRC2:TGID_Z_EN: 0
; COMPUTE_PGM_RSRC2:TIDIG_COMP_CNT: 0
; COMPUTE_PGM_RSRC3_GFX90A:ACCUM_OFFSET: 0
; COMPUTE_PGM_RSRC3_GFX90A:TG_SPLIT: 0
	.section	.text._ZN7rocprim17ROCPRIM_400000_NS6detail17trampoline_kernelINS0_14default_configENS1_25partition_config_selectorILNS1_17partition_subalgoE0ExNS0_10empty_typeEbEEZZNS1_14partition_implILS5_0ELb0ES3_jN6thrust23THRUST_200600_302600_NS6detail15normal_iteratorINSA_10device_ptrIxEEEEPS6_SG_NS0_5tupleIJSF_NSA_16discard_iteratorINSA_11use_defaultEEEEEENSH_IJSG_SG_EEES6_PlJ7is_evenIxEEEE10hipError_tPvRmT3_T4_T5_T6_T7_T9_mT8_P12ihipStream_tbDpT10_ENKUlT_T0_E_clISt17integral_constantIbLb1EES18_IbLb0EEEEDaS14_S15_EUlS14_E_NS1_11comp_targetILNS1_3genE10ELNS1_11target_archE1200ELNS1_3gpuE4ELNS1_3repE0EEENS1_30default_config_static_selectorELNS0_4arch9wavefront6targetE1EEEvT1_,"axG",@progbits,_ZN7rocprim17ROCPRIM_400000_NS6detail17trampoline_kernelINS0_14default_configENS1_25partition_config_selectorILNS1_17partition_subalgoE0ExNS0_10empty_typeEbEEZZNS1_14partition_implILS5_0ELb0ES3_jN6thrust23THRUST_200600_302600_NS6detail15normal_iteratorINSA_10device_ptrIxEEEEPS6_SG_NS0_5tupleIJSF_NSA_16discard_iteratorINSA_11use_defaultEEEEEENSH_IJSG_SG_EEES6_PlJ7is_evenIxEEEE10hipError_tPvRmT3_T4_T5_T6_T7_T9_mT8_P12ihipStream_tbDpT10_ENKUlT_T0_E_clISt17integral_constantIbLb1EES18_IbLb0EEEEDaS14_S15_EUlS14_E_NS1_11comp_targetILNS1_3genE10ELNS1_11target_archE1200ELNS1_3gpuE4ELNS1_3repE0EEENS1_30default_config_static_selectorELNS0_4arch9wavefront6targetE1EEEvT1_,comdat
	.protected	_ZN7rocprim17ROCPRIM_400000_NS6detail17trampoline_kernelINS0_14default_configENS1_25partition_config_selectorILNS1_17partition_subalgoE0ExNS0_10empty_typeEbEEZZNS1_14partition_implILS5_0ELb0ES3_jN6thrust23THRUST_200600_302600_NS6detail15normal_iteratorINSA_10device_ptrIxEEEEPS6_SG_NS0_5tupleIJSF_NSA_16discard_iteratorINSA_11use_defaultEEEEEENSH_IJSG_SG_EEES6_PlJ7is_evenIxEEEE10hipError_tPvRmT3_T4_T5_T6_T7_T9_mT8_P12ihipStream_tbDpT10_ENKUlT_T0_E_clISt17integral_constantIbLb1EES18_IbLb0EEEEDaS14_S15_EUlS14_E_NS1_11comp_targetILNS1_3genE10ELNS1_11target_archE1200ELNS1_3gpuE4ELNS1_3repE0EEENS1_30default_config_static_selectorELNS0_4arch9wavefront6targetE1EEEvT1_ ; -- Begin function _ZN7rocprim17ROCPRIM_400000_NS6detail17trampoline_kernelINS0_14default_configENS1_25partition_config_selectorILNS1_17partition_subalgoE0ExNS0_10empty_typeEbEEZZNS1_14partition_implILS5_0ELb0ES3_jN6thrust23THRUST_200600_302600_NS6detail15normal_iteratorINSA_10device_ptrIxEEEEPS6_SG_NS0_5tupleIJSF_NSA_16discard_iteratorINSA_11use_defaultEEEEEENSH_IJSG_SG_EEES6_PlJ7is_evenIxEEEE10hipError_tPvRmT3_T4_T5_T6_T7_T9_mT8_P12ihipStream_tbDpT10_ENKUlT_T0_E_clISt17integral_constantIbLb1EES18_IbLb0EEEEDaS14_S15_EUlS14_E_NS1_11comp_targetILNS1_3genE10ELNS1_11target_archE1200ELNS1_3gpuE4ELNS1_3repE0EEENS1_30default_config_static_selectorELNS0_4arch9wavefront6targetE1EEEvT1_
	.globl	_ZN7rocprim17ROCPRIM_400000_NS6detail17trampoline_kernelINS0_14default_configENS1_25partition_config_selectorILNS1_17partition_subalgoE0ExNS0_10empty_typeEbEEZZNS1_14partition_implILS5_0ELb0ES3_jN6thrust23THRUST_200600_302600_NS6detail15normal_iteratorINSA_10device_ptrIxEEEEPS6_SG_NS0_5tupleIJSF_NSA_16discard_iteratorINSA_11use_defaultEEEEEENSH_IJSG_SG_EEES6_PlJ7is_evenIxEEEE10hipError_tPvRmT3_T4_T5_T6_T7_T9_mT8_P12ihipStream_tbDpT10_ENKUlT_T0_E_clISt17integral_constantIbLb1EES18_IbLb0EEEEDaS14_S15_EUlS14_E_NS1_11comp_targetILNS1_3genE10ELNS1_11target_archE1200ELNS1_3gpuE4ELNS1_3repE0EEENS1_30default_config_static_selectorELNS0_4arch9wavefront6targetE1EEEvT1_
	.p2align	8
	.type	_ZN7rocprim17ROCPRIM_400000_NS6detail17trampoline_kernelINS0_14default_configENS1_25partition_config_selectorILNS1_17partition_subalgoE0ExNS0_10empty_typeEbEEZZNS1_14partition_implILS5_0ELb0ES3_jN6thrust23THRUST_200600_302600_NS6detail15normal_iteratorINSA_10device_ptrIxEEEEPS6_SG_NS0_5tupleIJSF_NSA_16discard_iteratorINSA_11use_defaultEEEEEENSH_IJSG_SG_EEES6_PlJ7is_evenIxEEEE10hipError_tPvRmT3_T4_T5_T6_T7_T9_mT8_P12ihipStream_tbDpT10_ENKUlT_T0_E_clISt17integral_constantIbLb1EES18_IbLb0EEEEDaS14_S15_EUlS14_E_NS1_11comp_targetILNS1_3genE10ELNS1_11target_archE1200ELNS1_3gpuE4ELNS1_3repE0EEENS1_30default_config_static_selectorELNS0_4arch9wavefront6targetE1EEEvT1_,@function
_ZN7rocprim17ROCPRIM_400000_NS6detail17trampoline_kernelINS0_14default_configENS1_25partition_config_selectorILNS1_17partition_subalgoE0ExNS0_10empty_typeEbEEZZNS1_14partition_implILS5_0ELb0ES3_jN6thrust23THRUST_200600_302600_NS6detail15normal_iteratorINSA_10device_ptrIxEEEEPS6_SG_NS0_5tupleIJSF_NSA_16discard_iteratorINSA_11use_defaultEEEEEENSH_IJSG_SG_EEES6_PlJ7is_evenIxEEEE10hipError_tPvRmT3_T4_T5_T6_T7_T9_mT8_P12ihipStream_tbDpT10_ENKUlT_T0_E_clISt17integral_constantIbLb1EES18_IbLb0EEEEDaS14_S15_EUlS14_E_NS1_11comp_targetILNS1_3genE10ELNS1_11target_archE1200ELNS1_3gpuE4ELNS1_3repE0EEENS1_30default_config_static_selectorELNS0_4arch9wavefront6targetE1EEEvT1_: ; @_ZN7rocprim17ROCPRIM_400000_NS6detail17trampoline_kernelINS0_14default_configENS1_25partition_config_selectorILNS1_17partition_subalgoE0ExNS0_10empty_typeEbEEZZNS1_14partition_implILS5_0ELb0ES3_jN6thrust23THRUST_200600_302600_NS6detail15normal_iteratorINSA_10device_ptrIxEEEEPS6_SG_NS0_5tupleIJSF_NSA_16discard_iteratorINSA_11use_defaultEEEEEENSH_IJSG_SG_EEES6_PlJ7is_evenIxEEEE10hipError_tPvRmT3_T4_T5_T6_T7_T9_mT8_P12ihipStream_tbDpT10_ENKUlT_T0_E_clISt17integral_constantIbLb1EES18_IbLb0EEEEDaS14_S15_EUlS14_E_NS1_11comp_targetILNS1_3genE10ELNS1_11target_archE1200ELNS1_3gpuE4ELNS1_3repE0EEENS1_30default_config_static_selectorELNS0_4arch9wavefront6targetE1EEEvT1_
; %bb.0:
	.section	.rodata,"a",@progbits
	.p2align	6, 0x0
	.amdhsa_kernel _ZN7rocprim17ROCPRIM_400000_NS6detail17trampoline_kernelINS0_14default_configENS1_25partition_config_selectorILNS1_17partition_subalgoE0ExNS0_10empty_typeEbEEZZNS1_14partition_implILS5_0ELb0ES3_jN6thrust23THRUST_200600_302600_NS6detail15normal_iteratorINSA_10device_ptrIxEEEEPS6_SG_NS0_5tupleIJSF_NSA_16discard_iteratorINSA_11use_defaultEEEEEENSH_IJSG_SG_EEES6_PlJ7is_evenIxEEEE10hipError_tPvRmT3_T4_T5_T6_T7_T9_mT8_P12ihipStream_tbDpT10_ENKUlT_T0_E_clISt17integral_constantIbLb1EES18_IbLb0EEEEDaS14_S15_EUlS14_E_NS1_11comp_targetILNS1_3genE10ELNS1_11target_archE1200ELNS1_3gpuE4ELNS1_3repE0EEENS1_30default_config_static_selectorELNS0_4arch9wavefront6targetE1EEEvT1_
		.amdhsa_group_segment_fixed_size 0
		.amdhsa_private_segment_fixed_size 0
		.amdhsa_kernarg_size 128
		.amdhsa_user_sgpr_count 6
		.amdhsa_user_sgpr_private_segment_buffer 1
		.amdhsa_user_sgpr_dispatch_ptr 0
		.amdhsa_user_sgpr_queue_ptr 0
		.amdhsa_user_sgpr_kernarg_segment_ptr 1
		.amdhsa_user_sgpr_dispatch_id 0
		.amdhsa_user_sgpr_flat_scratch_init 0
		.amdhsa_user_sgpr_kernarg_preload_length 0
		.amdhsa_user_sgpr_kernarg_preload_offset 0
		.amdhsa_user_sgpr_private_segment_size 0
		.amdhsa_uses_dynamic_stack 0
		.amdhsa_system_sgpr_private_segment_wavefront_offset 0
		.amdhsa_system_sgpr_workgroup_id_x 1
		.amdhsa_system_sgpr_workgroup_id_y 0
		.amdhsa_system_sgpr_workgroup_id_z 0
		.amdhsa_system_sgpr_workgroup_info 0
		.amdhsa_system_vgpr_workitem_id 0
		.amdhsa_next_free_vgpr 1
		.amdhsa_next_free_sgpr 0
		.amdhsa_accum_offset 4
		.amdhsa_reserve_vcc 0
		.amdhsa_reserve_flat_scratch 0
		.amdhsa_float_round_mode_32 0
		.amdhsa_float_round_mode_16_64 0
		.amdhsa_float_denorm_mode_32 3
		.amdhsa_float_denorm_mode_16_64 3
		.amdhsa_dx10_clamp 1
		.amdhsa_ieee_mode 1
		.amdhsa_fp16_overflow 0
		.amdhsa_tg_split 0
		.amdhsa_exception_fp_ieee_invalid_op 0
		.amdhsa_exception_fp_denorm_src 0
		.amdhsa_exception_fp_ieee_div_zero 0
		.amdhsa_exception_fp_ieee_overflow 0
		.amdhsa_exception_fp_ieee_underflow 0
		.amdhsa_exception_fp_ieee_inexact 0
		.amdhsa_exception_int_div_zero 0
	.end_amdhsa_kernel
	.section	.text._ZN7rocprim17ROCPRIM_400000_NS6detail17trampoline_kernelINS0_14default_configENS1_25partition_config_selectorILNS1_17partition_subalgoE0ExNS0_10empty_typeEbEEZZNS1_14partition_implILS5_0ELb0ES3_jN6thrust23THRUST_200600_302600_NS6detail15normal_iteratorINSA_10device_ptrIxEEEEPS6_SG_NS0_5tupleIJSF_NSA_16discard_iteratorINSA_11use_defaultEEEEEENSH_IJSG_SG_EEES6_PlJ7is_evenIxEEEE10hipError_tPvRmT3_T4_T5_T6_T7_T9_mT8_P12ihipStream_tbDpT10_ENKUlT_T0_E_clISt17integral_constantIbLb1EES18_IbLb0EEEEDaS14_S15_EUlS14_E_NS1_11comp_targetILNS1_3genE10ELNS1_11target_archE1200ELNS1_3gpuE4ELNS1_3repE0EEENS1_30default_config_static_selectorELNS0_4arch9wavefront6targetE1EEEvT1_,"axG",@progbits,_ZN7rocprim17ROCPRIM_400000_NS6detail17trampoline_kernelINS0_14default_configENS1_25partition_config_selectorILNS1_17partition_subalgoE0ExNS0_10empty_typeEbEEZZNS1_14partition_implILS5_0ELb0ES3_jN6thrust23THRUST_200600_302600_NS6detail15normal_iteratorINSA_10device_ptrIxEEEEPS6_SG_NS0_5tupleIJSF_NSA_16discard_iteratorINSA_11use_defaultEEEEEENSH_IJSG_SG_EEES6_PlJ7is_evenIxEEEE10hipError_tPvRmT3_T4_T5_T6_T7_T9_mT8_P12ihipStream_tbDpT10_ENKUlT_T0_E_clISt17integral_constantIbLb1EES18_IbLb0EEEEDaS14_S15_EUlS14_E_NS1_11comp_targetILNS1_3genE10ELNS1_11target_archE1200ELNS1_3gpuE4ELNS1_3repE0EEENS1_30default_config_static_selectorELNS0_4arch9wavefront6targetE1EEEvT1_,comdat
.Lfunc_end2640:
	.size	_ZN7rocprim17ROCPRIM_400000_NS6detail17trampoline_kernelINS0_14default_configENS1_25partition_config_selectorILNS1_17partition_subalgoE0ExNS0_10empty_typeEbEEZZNS1_14partition_implILS5_0ELb0ES3_jN6thrust23THRUST_200600_302600_NS6detail15normal_iteratorINSA_10device_ptrIxEEEEPS6_SG_NS0_5tupleIJSF_NSA_16discard_iteratorINSA_11use_defaultEEEEEENSH_IJSG_SG_EEES6_PlJ7is_evenIxEEEE10hipError_tPvRmT3_T4_T5_T6_T7_T9_mT8_P12ihipStream_tbDpT10_ENKUlT_T0_E_clISt17integral_constantIbLb1EES18_IbLb0EEEEDaS14_S15_EUlS14_E_NS1_11comp_targetILNS1_3genE10ELNS1_11target_archE1200ELNS1_3gpuE4ELNS1_3repE0EEENS1_30default_config_static_selectorELNS0_4arch9wavefront6targetE1EEEvT1_, .Lfunc_end2640-_ZN7rocprim17ROCPRIM_400000_NS6detail17trampoline_kernelINS0_14default_configENS1_25partition_config_selectorILNS1_17partition_subalgoE0ExNS0_10empty_typeEbEEZZNS1_14partition_implILS5_0ELb0ES3_jN6thrust23THRUST_200600_302600_NS6detail15normal_iteratorINSA_10device_ptrIxEEEEPS6_SG_NS0_5tupleIJSF_NSA_16discard_iteratorINSA_11use_defaultEEEEEENSH_IJSG_SG_EEES6_PlJ7is_evenIxEEEE10hipError_tPvRmT3_T4_T5_T6_T7_T9_mT8_P12ihipStream_tbDpT10_ENKUlT_T0_E_clISt17integral_constantIbLb1EES18_IbLb0EEEEDaS14_S15_EUlS14_E_NS1_11comp_targetILNS1_3genE10ELNS1_11target_archE1200ELNS1_3gpuE4ELNS1_3repE0EEENS1_30default_config_static_selectorELNS0_4arch9wavefront6targetE1EEEvT1_
                                        ; -- End function
	.section	.AMDGPU.csdata,"",@progbits
; Kernel info:
; codeLenInByte = 0
; NumSgprs: 4
; NumVgprs: 0
; NumAgprs: 0
; TotalNumVgprs: 0
; ScratchSize: 0
; MemoryBound: 0
; FloatMode: 240
; IeeeMode: 1
; LDSByteSize: 0 bytes/workgroup (compile time only)
; SGPRBlocks: 0
; VGPRBlocks: 0
; NumSGPRsForWavesPerEU: 4
; NumVGPRsForWavesPerEU: 1
; AccumOffset: 4
; Occupancy: 8
; WaveLimiterHint : 0
; COMPUTE_PGM_RSRC2:SCRATCH_EN: 0
; COMPUTE_PGM_RSRC2:USER_SGPR: 6
; COMPUTE_PGM_RSRC2:TRAP_HANDLER: 0
; COMPUTE_PGM_RSRC2:TGID_X_EN: 1
; COMPUTE_PGM_RSRC2:TGID_Y_EN: 0
; COMPUTE_PGM_RSRC2:TGID_Z_EN: 0
; COMPUTE_PGM_RSRC2:TIDIG_COMP_CNT: 0
; COMPUTE_PGM_RSRC3_GFX90A:ACCUM_OFFSET: 0
; COMPUTE_PGM_RSRC3_GFX90A:TG_SPLIT: 0
	.section	.text._ZN7rocprim17ROCPRIM_400000_NS6detail17trampoline_kernelINS0_14default_configENS1_25partition_config_selectorILNS1_17partition_subalgoE0ExNS0_10empty_typeEbEEZZNS1_14partition_implILS5_0ELb0ES3_jN6thrust23THRUST_200600_302600_NS6detail15normal_iteratorINSA_10device_ptrIxEEEEPS6_SG_NS0_5tupleIJSF_NSA_16discard_iteratorINSA_11use_defaultEEEEEENSH_IJSG_SG_EEES6_PlJ7is_evenIxEEEE10hipError_tPvRmT3_T4_T5_T6_T7_T9_mT8_P12ihipStream_tbDpT10_ENKUlT_T0_E_clISt17integral_constantIbLb1EES18_IbLb0EEEEDaS14_S15_EUlS14_E_NS1_11comp_targetILNS1_3genE9ELNS1_11target_archE1100ELNS1_3gpuE3ELNS1_3repE0EEENS1_30default_config_static_selectorELNS0_4arch9wavefront6targetE1EEEvT1_,"axG",@progbits,_ZN7rocprim17ROCPRIM_400000_NS6detail17trampoline_kernelINS0_14default_configENS1_25partition_config_selectorILNS1_17partition_subalgoE0ExNS0_10empty_typeEbEEZZNS1_14partition_implILS5_0ELb0ES3_jN6thrust23THRUST_200600_302600_NS6detail15normal_iteratorINSA_10device_ptrIxEEEEPS6_SG_NS0_5tupleIJSF_NSA_16discard_iteratorINSA_11use_defaultEEEEEENSH_IJSG_SG_EEES6_PlJ7is_evenIxEEEE10hipError_tPvRmT3_T4_T5_T6_T7_T9_mT8_P12ihipStream_tbDpT10_ENKUlT_T0_E_clISt17integral_constantIbLb1EES18_IbLb0EEEEDaS14_S15_EUlS14_E_NS1_11comp_targetILNS1_3genE9ELNS1_11target_archE1100ELNS1_3gpuE3ELNS1_3repE0EEENS1_30default_config_static_selectorELNS0_4arch9wavefront6targetE1EEEvT1_,comdat
	.protected	_ZN7rocprim17ROCPRIM_400000_NS6detail17trampoline_kernelINS0_14default_configENS1_25partition_config_selectorILNS1_17partition_subalgoE0ExNS0_10empty_typeEbEEZZNS1_14partition_implILS5_0ELb0ES3_jN6thrust23THRUST_200600_302600_NS6detail15normal_iteratorINSA_10device_ptrIxEEEEPS6_SG_NS0_5tupleIJSF_NSA_16discard_iteratorINSA_11use_defaultEEEEEENSH_IJSG_SG_EEES6_PlJ7is_evenIxEEEE10hipError_tPvRmT3_T4_T5_T6_T7_T9_mT8_P12ihipStream_tbDpT10_ENKUlT_T0_E_clISt17integral_constantIbLb1EES18_IbLb0EEEEDaS14_S15_EUlS14_E_NS1_11comp_targetILNS1_3genE9ELNS1_11target_archE1100ELNS1_3gpuE3ELNS1_3repE0EEENS1_30default_config_static_selectorELNS0_4arch9wavefront6targetE1EEEvT1_ ; -- Begin function _ZN7rocprim17ROCPRIM_400000_NS6detail17trampoline_kernelINS0_14default_configENS1_25partition_config_selectorILNS1_17partition_subalgoE0ExNS0_10empty_typeEbEEZZNS1_14partition_implILS5_0ELb0ES3_jN6thrust23THRUST_200600_302600_NS6detail15normal_iteratorINSA_10device_ptrIxEEEEPS6_SG_NS0_5tupleIJSF_NSA_16discard_iteratorINSA_11use_defaultEEEEEENSH_IJSG_SG_EEES6_PlJ7is_evenIxEEEE10hipError_tPvRmT3_T4_T5_T6_T7_T9_mT8_P12ihipStream_tbDpT10_ENKUlT_T0_E_clISt17integral_constantIbLb1EES18_IbLb0EEEEDaS14_S15_EUlS14_E_NS1_11comp_targetILNS1_3genE9ELNS1_11target_archE1100ELNS1_3gpuE3ELNS1_3repE0EEENS1_30default_config_static_selectorELNS0_4arch9wavefront6targetE1EEEvT1_
	.globl	_ZN7rocprim17ROCPRIM_400000_NS6detail17trampoline_kernelINS0_14default_configENS1_25partition_config_selectorILNS1_17partition_subalgoE0ExNS0_10empty_typeEbEEZZNS1_14partition_implILS5_0ELb0ES3_jN6thrust23THRUST_200600_302600_NS6detail15normal_iteratorINSA_10device_ptrIxEEEEPS6_SG_NS0_5tupleIJSF_NSA_16discard_iteratorINSA_11use_defaultEEEEEENSH_IJSG_SG_EEES6_PlJ7is_evenIxEEEE10hipError_tPvRmT3_T4_T5_T6_T7_T9_mT8_P12ihipStream_tbDpT10_ENKUlT_T0_E_clISt17integral_constantIbLb1EES18_IbLb0EEEEDaS14_S15_EUlS14_E_NS1_11comp_targetILNS1_3genE9ELNS1_11target_archE1100ELNS1_3gpuE3ELNS1_3repE0EEENS1_30default_config_static_selectorELNS0_4arch9wavefront6targetE1EEEvT1_
	.p2align	8
	.type	_ZN7rocprim17ROCPRIM_400000_NS6detail17trampoline_kernelINS0_14default_configENS1_25partition_config_selectorILNS1_17partition_subalgoE0ExNS0_10empty_typeEbEEZZNS1_14partition_implILS5_0ELb0ES3_jN6thrust23THRUST_200600_302600_NS6detail15normal_iteratorINSA_10device_ptrIxEEEEPS6_SG_NS0_5tupleIJSF_NSA_16discard_iteratorINSA_11use_defaultEEEEEENSH_IJSG_SG_EEES6_PlJ7is_evenIxEEEE10hipError_tPvRmT3_T4_T5_T6_T7_T9_mT8_P12ihipStream_tbDpT10_ENKUlT_T0_E_clISt17integral_constantIbLb1EES18_IbLb0EEEEDaS14_S15_EUlS14_E_NS1_11comp_targetILNS1_3genE9ELNS1_11target_archE1100ELNS1_3gpuE3ELNS1_3repE0EEENS1_30default_config_static_selectorELNS0_4arch9wavefront6targetE1EEEvT1_,@function
_ZN7rocprim17ROCPRIM_400000_NS6detail17trampoline_kernelINS0_14default_configENS1_25partition_config_selectorILNS1_17partition_subalgoE0ExNS0_10empty_typeEbEEZZNS1_14partition_implILS5_0ELb0ES3_jN6thrust23THRUST_200600_302600_NS6detail15normal_iteratorINSA_10device_ptrIxEEEEPS6_SG_NS0_5tupleIJSF_NSA_16discard_iteratorINSA_11use_defaultEEEEEENSH_IJSG_SG_EEES6_PlJ7is_evenIxEEEE10hipError_tPvRmT3_T4_T5_T6_T7_T9_mT8_P12ihipStream_tbDpT10_ENKUlT_T0_E_clISt17integral_constantIbLb1EES18_IbLb0EEEEDaS14_S15_EUlS14_E_NS1_11comp_targetILNS1_3genE9ELNS1_11target_archE1100ELNS1_3gpuE3ELNS1_3repE0EEENS1_30default_config_static_selectorELNS0_4arch9wavefront6targetE1EEEvT1_: ; @_ZN7rocprim17ROCPRIM_400000_NS6detail17trampoline_kernelINS0_14default_configENS1_25partition_config_selectorILNS1_17partition_subalgoE0ExNS0_10empty_typeEbEEZZNS1_14partition_implILS5_0ELb0ES3_jN6thrust23THRUST_200600_302600_NS6detail15normal_iteratorINSA_10device_ptrIxEEEEPS6_SG_NS0_5tupleIJSF_NSA_16discard_iteratorINSA_11use_defaultEEEEEENSH_IJSG_SG_EEES6_PlJ7is_evenIxEEEE10hipError_tPvRmT3_T4_T5_T6_T7_T9_mT8_P12ihipStream_tbDpT10_ENKUlT_T0_E_clISt17integral_constantIbLb1EES18_IbLb0EEEEDaS14_S15_EUlS14_E_NS1_11comp_targetILNS1_3genE9ELNS1_11target_archE1100ELNS1_3gpuE3ELNS1_3repE0EEENS1_30default_config_static_selectorELNS0_4arch9wavefront6targetE1EEEvT1_
; %bb.0:
	.section	.rodata,"a",@progbits
	.p2align	6, 0x0
	.amdhsa_kernel _ZN7rocprim17ROCPRIM_400000_NS6detail17trampoline_kernelINS0_14default_configENS1_25partition_config_selectorILNS1_17partition_subalgoE0ExNS0_10empty_typeEbEEZZNS1_14partition_implILS5_0ELb0ES3_jN6thrust23THRUST_200600_302600_NS6detail15normal_iteratorINSA_10device_ptrIxEEEEPS6_SG_NS0_5tupleIJSF_NSA_16discard_iteratorINSA_11use_defaultEEEEEENSH_IJSG_SG_EEES6_PlJ7is_evenIxEEEE10hipError_tPvRmT3_T4_T5_T6_T7_T9_mT8_P12ihipStream_tbDpT10_ENKUlT_T0_E_clISt17integral_constantIbLb1EES18_IbLb0EEEEDaS14_S15_EUlS14_E_NS1_11comp_targetILNS1_3genE9ELNS1_11target_archE1100ELNS1_3gpuE3ELNS1_3repE0EEENS1_30default_config_static_selectorELNS0_4arch9wavefront6targetE1EEEvT1_
		.amdhsa_group_segment_fixed_size 0
		.amdhsa_private_segment_fixed_size 0
		.amdhsa_kernarg_size 128
		.amdhsa_user_sgpr_count 6
		.amdhsa_user_sgpr_private_segment_buffer 1
		.amdhsa_user_sgpr_dispatch_ptr 0
		.amdhsa_user_sgpr_queue_ptr 0
		.amdhsa_user_sgpr_kernarg_segment_ptr 1
		.amdhsa_user_sgpr_dispatch_id 0
		.amdhsa_user_sgpr_flat_scratch_init 0
		.amdhsa_user_sgpr_kernarg_preload_length 0
		.amdhsa_user_sgpr_kernarg_preload_offset 0
		.amdhsa_user_sgpr_private_segment_size 0
		.amdhsa_uses_dynamic_stack 0
		.amdhsa_system_sgpr_private_segment_wavefront_offset 0
		.amdhsa_system_sgpr_workgroup_id_x 1
		.amdhsa_system_sgpr_workgroup_id_y 0
		.amdhsa_system_sgpr_workgroup_id_z 0
		.amdhsa_system_sgpr_workgroup_info 0
		.amdhsa_system_vgpr_workitem_id 0
		.amdhsa_next_free_vgpr 1
		.amdhsa_next_free_sgpr 0
		.amdhsa_accum_offset 4
		.amdhsa_reserve_vcc 0
		.amdhsa_reserve_flat_scratch 0
		.amdhsa_float_round_mode_32 0
		.amdhsa_float_round_mode_16_64 0
		.amdhsa_float_denorm_mode_32 3
		.amdhsa_float_denorm_mode_16_64 3
		.amdhsa_dx10_clamp 1
		.amdhsa_ieee_mode 1
		.amdhsa_fp16_overflow 0
		.amdhsa_tg_split 0
		.amdhsa_exception_fp_ieee_invalid_op 0
		.amdhsa_exception_fp_denorm_src 0
		.amdhsa_exception_fp_ieee_div_zero 0
		.amdhsa_exception_fp_ieee_overflow 0
		.amdhsa_exception_fp_ieee_underflow 0
		.amdhsa_exception_fp_ieee_inexact 0
		.amdhsa_exception_int_div_zero 0
	.end_amdhsa_kernel
	.section	.text._ZN7rocprim17ROCPRIM_400000_NS6detail17trampoline_kernelINS0_14default_configENS1_25partition_config_selectorILNS1_17partition_subalgoE0ExNS0_10empty_typeEbEEZZNS1_14partition_implILS5_0ELb0ES3_jN6thrust23THRUST_200600_302600_NS6detail15normal_iteratorINSA_10device_ptrIxEEEEPS6_SG_NS0_5tupleIJSF_NSA_16discard_iteratorINSA_11use_defaultEEEEEENSH_IJSG_SG_EEES6_PlJ7is_evenIxEEEE10hipError_tPvRmT3_T4_T5_T6_T7_T9_mT8_P12ihipStream_tbDpT10_ENKUlT_T0_E_clISt17integral_constantIbLb1EES18_IbLb0EEEEDaS14_S15_EUlS14_E_NS1_11comp_targetILNS1_3genE9ELNS1_11target_archE1100ELNS1_3gpuE3ELNS1_3repE0EEENS1_30default_config_static_selectorELNS0_4arch9wavefront6targetE1EEEvT1_,"axG",@progbits,_ZN7rocprim17ROCPRIM_400000_NS6detail17trampoline_kernelINS0_14default_configENS1_25partition_config_selectorILNS1_17partition_subalgoE0ExNS0_10empty_typeEbEEZZNS1_14partition_implILS5_0ELb0ES3_jN6thrust23THRUST_200600_302600_NS6detail15normal_iteratorINSA_10device_ptrIxEEEEPS6_SG_NS0_5tupleIJSF_NSA_16discard_iteratorINSA_11use_defaultEEEEEENSH_IJSG_SG_EEES6_PlJ7is_evenIxEEEE10hipError_tPvRmT3_T4_T5_T6_T7_T9_mT8_P12ihipStream_tbDpT10_ENKUlT_T0_E_clISt17integral_constantIbLb1EES18_IbLb0EEEEDaS14_S15_EUlS14_E_NS1_11comp_targetILNS1_3genE9ELNS1_11target_archE1100ELNS1_3gpuE3ELNS1_3repE0EEENS1_30default_config_static_selectorELNS0_4arch9wavefront6targetE1EEEvT1_,comdat
.Lfunc_end2641:
	.size	_ZN7rocprim17ROCPRIM_400000_NS6detail17trampoline_kernelINS0_14default_configENS1_25partition_config_selectorILNS1_17partition_subalgoE0ExNS0_10empty_typeEbEEZZNS1_14partition_implILS5_0ELb0ES3_jN6thrust23THRUST_200600_302600_NS6detail15normal_iteratorINSA_10device_ptrIxEEEEPS6_SG_NS0_5tupleIJSF_NSA_16discard_iteratorINSA_11use_defaultEEEEEENSH_IJSG_SG_EEES6_PlJ7is_evenIxEEEE10hipError_tPvRmT3_T4_T5_T6_T7_T9_mT8_P12ihipStream_tbDpT10_ENKUlT_T0_E_clISt17integral_constantIbLb1EES18_IbLb0EEEEDaS14_S15_EUlS14_E_NS1_11comp_targetILNS1_3genE9ELNS1_11target_archE1100ELNS1_3gpuE3ELNS1_3repE0EEENS1_30default_config_static_selectorELNS0_4arch9wavefront6targetE1EEEvT1_, .Lfunc_end2641-_ZN7rocprim17ROCPRIM_400000_NS6detail17trampoline_kernelINS0_14default_configENS1_25partition_config_selectorILNS1_17partition_subalgoE0ExNS0_10empty_typeEbEEZZNS1_14partition_implILS5_0ELb0ES3_jN6thrust23THRUST_200600_302600_NS6detail15normal_iteratorINSA_10device_ptrIxEEEEPS6_SG_NS0_5tupleIJSF_NSA_16discard_iteratorINSA_11use_defaultEEEEEENSH_IJSG_SG_EEES6_PlJ7is_evenIxEEEE10hipError_tPvRmT3_T4_T5_T6_T7_T9_mT8_P12ihipStream_tbDpT10_ENKUlT_T0_E_clISt17integral_constantIbLb1EES18_IbLb0EEEEDaS14_S15_EUlS14_E_NS1_11comp_targetILNS1_3genE9ELNS1_11target_archE1100ELNS1_3gpuE3ELNS1_3repE0EEENS1_30default_config_static_selectorELNS0_4arch9wavefront6targetE1EEEvT1_
                                        ; -- End function
	.section	.AMDGPU.csdata,"",@progbits
; Kernel info:
; codeLenInByte = 0
; NumSgprs: 4
; NumVgprs: 0
; NumAgprs: 0
; TotalNumVgprs: 0
; ScratchSize: 0
; MemoryBound: 0
; FloatMode: 240
; IeeeMode: 1
; LDSByteSize: 0 bytes/workgroup (compile time only)
; SGPRBlocks: 0
; VGPRBlocks: 0
; NumSGPRsForWavesPerEU: 4
; NumVGPRsForWavesPerEU: 1
; AccumOffset: 4
; Occupancy: 8
; WaveLimiterHint : 0
; COMPUTE_PGM_RSRC2:SCRATCH_EN: 0
; COMPUTE_PGM_RSRC2:USER_SGPR: 6
; COMPUTE_PGM_RSRC2:TRAP_HANDLER: 0
; COMPUTE_PGM_RSRC2:TGID_X_EN: 1
; COMPUTE_PGM_RSRC2:TGID_Y_EN: 0
; COMPUTE_PGM_RSRC2:TGID_Z_EN: 0
; COMPUTE_PGM_RSRC2:TIDIG_COMP_CNT: 0
; COMPUTE_PGM_RSRC3_GFX90A:ACCUM_OFFSET: 0
; COMPUTE_PGM_RSRC3_GFX90A:TG_SPLIT: 0
	.section	.text._ZN7rocprim17ROCPRIM_400000_NS6detail17trampoline_kernelINS0_14default_configENS1_25partition_config_selectorILNS1_17partition_subalgoE0ExNS0_10empty_typeEbEEZZNS1_14partition_implILS5_0ELb0ES3_jN6thrust23THRUST_200600_302600_NS6detail15normal_iteratorINSA_10device_ptrIxEEEEPS6_SG_NS0_5tupleIJSF_NSA_16discard_iteratorINSA_11use_defaultEEEEEENSH_IJSG_SG_EEES6_PlJ7is_evenIxEEEE10hipError_tPvRmT3_T4_T5_T6_T7_T9_mT8_P12ihipStream_tbDpT10_ENKUlT_T0_E_clISt17integral_constantIbLb1EES18_IbLb0EEEEDaS14_S15_EUlS14_E_NS1_11comp_targetILNS1_3genE8ELNS1_11target_archE1030ELNS1_3gpuE2ELNS1_3repE0EEENS1_30default_config_static_selectorELNS0_4arch9wavefront6targetE1EEEvT1_,"axG",@progbits,_ZN7rocprim17ROCPRIM_400000_NS6detail17trampoline_kernelINS0_14default_configENS1_25partition_config_selectorILNS1_17partition_subalgoE0ExNS0_10empty_typeEbEEZZNS1_14partition_implILS5_0ELb0ES3_jN6thrust23THRUST_200600_302600_NS6detail15normal_iteratorINSA_10device_ptrIxEEEEPS6_SG_NS0_5tupleIJSF_NSA_16discard_iteratorINSA_11use_defaultEEEEEENSH_IJSG_SG_EEES6_PlJ7is_evenIxEEEE10hipError_tPvRmT3_T4_T5_T6_T7_T9_mT8_P12ihipStream_tbDpT10_ENKUlT_T0_E_clISt17integral_constantIbLb1EES18_IbLb0EEEEDaS14_S15_EUlS14_E_NS1_11comp_targetILNS1_3genE8ELNS1_11target_archE1030ELNS1_3gpuE2ELNS1_3repE0EEENS1_30default_config_static_selectorELNS0_4arch9wavefront6targetE1EEEvT1_,comdat
	.protected	_ZN7rocprim17ROCPRIM_400000_NS6detail17trampoline_kernelINS0_14default_configENS1_25partition_config_selectorILNS1_17partition_subalgoE0ExNS0_10empty_typeEbEEZZNS1_14partition_implILS5_0ELb0ES3_jN6thrust23THRUST_200600_302600_NS6detail15normal_iteratorINSA_10device_ptrIxEEEEPS6_SG_NS0_5tupleIJSF_NSA_16discard_iteratorINSA_11use_defaultEEEEEENSH_IJSG_SG_EEES6_PlJ7is_evenIxEEEE10hipError_tPvRmT3_T4_T5_T6_T7_T9_mT8_P12ihipStream_tbDpT10_ENKUlT_T0_E_clISt17integral_constantIbLb1EES18_IbLb0EEEEDaS14_S15_EUlS14_E_NS1_11comp_targetILNS1_3genE8ELNS1_11target_archE1030ELNS1_3gpuE2ELNS1_3repE0EEENS1_30default_config_static_selectorELNS0_4arch9wavefront6targetE1EEEvT1_ ; -- Begin function _ZN7rocprim17ROCPRIM_400000_NS6detail17trampoline_kernelINS0_14default_configENS1_25partition_config_selectorILNS1_17partition_subalgoE0ExNS0_10empty_typeEbEEZZNS1_14partition_implILS5_0ELb0ES3_jN6thrust23THRUST_200600_302600_NS6detail15normal_iteratorINSA_10device_ptrIxEEEEPS6_SG_NS0_5tupleIJSF_NSA_16discard_iteratorINSA_11use_defaultEEEEEENSH_IJSG_SG_EEES6_PlJ7is_evenIxEEEE10hipError_tPvRmT3_T4_T5_T6_T7_T9_mT8_P12ihipStream_tbDpT10_ENKUlT_T0_E_clISt17integral_constantIbLb1EES18_IbLb0EEEEDaS14_S15_EUlS14_E_NS1_11comp_targetILNS1_3genE8ELNS1_11target_archE1030ELNS1_3gpuE2ELNS1_3repE0EEENS1_30default_config_static_selectorELNS0_4arch9wavefront6targetE1EEEvT1_
	.globl	_ZN7rocprim17ROCPRIM_400000_NS6detail17trampoline_kernelINS0_14default_configENS1_25partition_config_selectorILNS1_17partition_subalgoE0ExNS0_10empty_typeEbEEZZNS1_14partition_implILS5_0ELb0ES3_jN6thrust23THRUST_200600_302600_NS6detail15normal_iteratorINSA_10device_ptrIxEEEEPS6_SG_NS0_5tupleIJSF_NSA_16discard_iteratorINSA_11use_defaultEEEEEENSH_IJSG_SG_EEES6_PlJ7is_evenIxEEEE10hipError_tPvRmT3_T4_T5_T6_T7_T9_mT8_P12ihipStream_tbDpT10_ENKUlT_T0_E_clISt17integral_constantIbLb1EES18_IbLb0EEEEDaS14_S15_EUlS14_E_NS1_11comp_targetILNS1_3genE8ELNS1_11target_archE1030ELNS1_3gpuE2ELNS1_3repE0EEENS1_30default_config_static_selectorELNS0_4arch9wavefront6targetE1EEEvT1_
	.p2align	8
	.type	_ZN7rocprim17ROCPRIM_400000_NS6detail17trampoline_kernelINS0_14default_configENS1_25partition_config_selectorILNS1_17partition_subalgoE0ExNS0_10empty_typeEbEEZZNS1_14partition_implILS5_0ELb0ES3_jN6thrust23THRUST_200600_302600_NS6detail15normal_iteratorINSA_10device_ptrIxEEEEPS6_SG_NS0_5tupleIJSF_NSA_16discard_iteratorINSA_11use_defaultEEEEEENSH_IJSG_SG_EEES6_PlJ7is_evenIxEEEE10hipError_tPvRmT3_T4_T5_T6_T7_T9_mT8_P12ihipStream_tbDpT10_ENKUlT_T0_E_clISt17integral_constantIbLb1EES18_IbLb0EEEEDaS14_S15_EUlS14_E_NS1_11comp_targetILNS1_3genE8ELNS1_11target_archE1030ELNS1_3gpuE2ELNS1_3repE0EEENS1_30default_config_static_selectorELNS0_4arch9wavefront6targetE1EEEvT1_,@function
_ZN7rocprim17ROCPRIM_400000_NS6detail17trampoline_kernelINS0_14default_configENS1_25partition_config_selectorILNS1_17partition_subalgoE0ExNS0_10empty_typeEbEEZZNS1_14partition_implILS5_0ELb0ES3_jN6thrust23THRUST_200600_302600_NS6detail15normal_iteratorINSA_10device_ptrIxEEEEPS6_SG_NS0_5tupleIJSF_NSA_16discard_iteratorINSA_11use_defaultEEEEEENSH_IJSG_SG_EEES6_PlJ7is_evenIxEEEE10hipError_tPvRmT3_T4_T5_T6_T7_T9_mT8_P12ihipStream_tbDpT10_ENKUlT_T0_E_clISt17integral_constantIbLb1EES18_IbLb0EEEEDaS14_S15_EUlS14_E_NS1_11comp_targetILNS1_3genE8ELNS1_11target_archE1030ELNS1_3gpuE2ELNS1_3repE0EEENS1_30default_config_static_selectorELNS0_4arch9wavefront6targetE1EEEvT1_: ; @_ZN7rocprim17ROCPRIM_400000_NS6detail17trampoline_kernelINS0_14default_configENS1_25partition_config_selectorILNS1_17partition_subalgoE0ExNS0_10empty_typeEbEEZZNS1_14partition_implILS5_0ELb0ES3_jN6thrust23THRUST_200600_302600_NS6detail15normal_iteratorINSA_10device_ptrIxEEEEPS6_SG_NS0_5tupleIJSF_NSA_16discard_iteratorINSA_11use_defaultEEEEEENSH_IJSG_SG_EEES6_PlJ7is_evenIxEEEE10hipError_tPvRmT3_T4_T5_T6_T7_T9_mT8_P12ihipStream_tbDpT10_ENKUlT_T0_E_clISt17integral_constantIbLb1EES18_IbLb0EEEEDaS14_S15_EUlS14_E_NS1_11comp_targetILNS1_3genE8ELNS1_11target_archE1030ELNS1_3gpuE2ELNS1_3repE0EEENS1_30default_config_static_selectorELNS0_4arch9wavefront6targetE1EEEvT1_
; %bb.0:
	.section	.rodata,"a",@progbits
	.p2align	6, 0x0
	.amdhsa_kernel _ZN7rocprim17ROCPRIM_400000_NS6detail17trampoline_kernelINS0_14default_configENS1_25partition_config_selectorILNS1_17partition_subalgoE0ExNS0_10empty_typeEbEEZZNS1_14partition_implILS5_0ELb0ES3_jN6thrust23THRUST_200600_302600_NS6detail15normal_iteratorINSA_10device_ptrIxEEEEPS6_SG_NS0_5tupleIJSF_NSA_16discard_iteratorINSA_11use_defaultEEEEEENSH_IJSG_SG_EEES6_PlJ7is_evenIxEEEE10hipError_tPvRmT3_T4_T5_T6_T7_T9_mT8_P12ihipStream_tbDpT10_ENKUlT_T0_E_clISt17integral_constantIbLb1EES18_IbLb0EEEEDaS14_S15_EUlS14_E_NS1_11comp_targetILNS1_3genE8ELNS1_11target_archE1030ELNS1_3gpuE2ELNS1_3repE0EEENS1_30default_config_static_selectorELNS0_4arch9wavefront6targetE1EEEvT1_
		.amdhsa_group_segment_fixed_size 0
		.amdhsa_private_segment_fixed_size 0
		.amdhsa_kernarg_size 128
		.amdhsa_user_sgpr_count 6
		.amdhsa_user_sgpr_private_segment_buffer 1
		.amdhsa_user_sgpr_dispatch_ptr 0
		.amdhsa_user_sgpr_queue_ptr 0
		.amdhsa_user_sgpr_kernarg_segment_ptr 1
		.amdhsa_user_sgpr_dispatch_id 0
		.amdhsa_user_sgpr_flat_scratch_init 0
		.amdhsa_user_sgpr_kernarg_preload_length 0
		.amdhsa_user_sgpr_kernarg_preload_offset 0
		.amdhsa_user_sgpr_private_segment_size 0
		.amdhsa_uses_dynamic_stack 0
		.amdhsa_system_sgpr_private_segment_wavefront_offset 0
		.amdhsa_system_sgpr_workgroup_id_x 1
		.amdhsa_system_sgpr_workgroup_id_y 0
		.amdhsa_system_sgpr_workgroup_id_z 0
		.amdhsa_system_sgpr_workgroup_info 0
		.amdhsa_system_vgpr_workitem_id 0
		.amdhsa_next_free_vgpr 1
		.amdhsa_next_free_sgpr 0
		.amdhsa_accum_offset 4
		.amdhsa_reserve_vcc 0
		.amdhsa_reserve_flat_scratch 0
		.amdhsa_float_round_mode_32 0
		.amdhsa_float_round_mode_16_64 0
		.amdhsa_float_denorm_mode_32 3
		.amdhsa_float_denorm_mode_16_64 3
		.amdhsa_dx10_clamp 1
		.amdhsa_ieee_mode 1
		.amdhsa_fp16_overflow 0
		.amdhsa_tg_split 0
		.amdhsa_exception_fp_ieee_invalid_op 0
		.amdhsa_exception_fp_denorm_src 0
		.amdhsa_exception_fp_ieee_div_zero 0
		.amdhsa_exception_fp_ieee_overflow 0
		.amdhsa_exception_fp_ieee_underflow 0
		.amdhsa_exception_fp_ieee_inexact 0
		.amdhsa_exception_int_div_zero 0
	.end_amdhsa_kernel
	.section	.text._ZN7rocprim17ROCPRIM_400000_NS6detail17trampoline_kernelINS0_14default_configENS1_25partition_config_selectorILNS1_17partition_subalgoE0ExNS0_10empty_typeEbEEZZNS1_14partition_implILS5_0ELb0ES3_jN6thrust23THRUST_200600_302600_NS6detail15normal_iteratorINSA_10device_ptrIxEEEEPS6_SG_NS0_5tupleIJSF_NSA_16discard_iteratorINSA_11use_defaultEEEEEENSH_IJSG_SG_EEES6_PlJ7is_evenIxEEEE10hipError_tPvRmT3_T4_T5_T6_T7_T9_mT8_P12ihipStream_tbDpT10_ENKUlT_T0_E_clISt17integral_constantIbLb1EES18_IbLb0EEEEDaS14_S15_EUlS14_E_NS1_11comp_targetILNS1_3genE8ELNS1_11target_archE1030ELNS1_3gpuE2ELNS1_3repE0EEENS1_30default_config_static_selectorELNS0_4arch9wavefront6targetE1EEEvT1_,"axG",@progbits,_ZN7rocprim17ROCPRIM_400000_NS6detail17trampoline_kernelINS0_14default_configENS1_25partition_config_selectorILNS1_17partition_subalgoE0ExNS0_10empty_typeEbEEZZNS1_14partition_implILS5_0ELb0ES3_jN6thrust23THRUST_200600_302600_NS6detail15normal_iteratorINSA_10device_ptrIxEEEEPS6_SG_NS0_5tupleIJSF_NSA_16discard_iteratorINSA_11use_defaultEEEEEENSH_IJSG_SG_EEES6_PlJ7is_evenIxEEEE10hipError_tPvRmT3_T4_T5_T6_T7_T9_mT8_P12ihipStream_tbDpT10_ENKUlT_T0_E_clISt17integral_constantIbLb1EES18_IbLb0EEEEDaS14_S15_EUlS14_E_NS1_11comp_targetILNS1_3genE8ELNS1_11target_archE1030ELNS1_3gpuE2ELNS1_3repE0EEENS1_30default_config_static_selectorELNS0_4arch9wavefront6targetE1EEEvT1_,comdat
.Lfunc_end2642:
	.size	_ZN7rocprim17ROCPRIM_400000_NS6detail17trampoline_kernelINS0_14default_configENS1_25partition_config_selectorILNS1_17partition_subalgoE0ExNS0_10empty_typeEbEEZZNS1_14partition_implILS5_0ELb0ES3_jN6thrust23THRUST_200600_302600_NS6detail15normal_iteratorINSA_10device_ptrIxEEEEPS6_SG_NS0_5tupleIJSF_NSA_16discard_iteratorINSA_11use_defaultEEEEEENSH_IJSG_SG_EEES6_PlJ7is_evenIxEEEE10hipError_tPvRmT3_T4_T5_T6_T7_T9_mT8_P12ihipStream_tbDpT10_ENKUlT_T0_E_clISt17integral_constantIbLb1EES18_IbLb0EEEEDaS14_S15_EUlS14_E_NS1_11comp_targetILNS1_3genE8ELNS1_11target_archE1030ELNS1_3gpuE2ELNS1_3repE0EEENS1_30default_config_static_selectorELNS0_4arch9wavefront6targetE1EEEvT1_, .Lfunc_end2642-_ZN7rocprim17ROCPRIM_400000_NS6detail17trampoline_kernelINS0_14default_configENS1_25partition_config_selectorILNS1_17partition_subalgoE0ExNS0_10empty_typeEbEEZZNS1_14partition_implILS5_0ELb0ES3_jN6thrust23THRUST_200600_302600_NS6detail15normal_iteratorINSA_10device_ptrIxEEEEPS6_SG_NS0_5tupleIJSF_NSA_16discard_iteratorINSA_11use_defaultEEEEEENSH_IJSG_SG_EEES6_PlJ7is_evenIxEEEE10hipError_tPvRmT3_T4_T5_T6_T7_T9_mT8_P12ihipStream_tbDpT10_ENKUlT_T0_E_clISt17integral_constantIbLb1EES18_IbLb0EEEEDaS14_S15_EUlS14_E_NS1_11comp_targetILNS1_3genE8ELNS1_11target_archE1030ELNS1_3gpuE2ELNS1_3repE0EEENS1_30default_config_static_selectorELNS0_4arch9wavefront6targetE1EEEvT1_
                                        ; -- End function
	.section	.AMDGPU.csdata,"",@progbits
; Kernel info:
; codeLenInByte = 0
; NumSgprs: 4
; NumVgprs: 0
; NumAgprs: 0
; TotalNumVgprs: 0
; ScratchSize: 0
; MemoryBound: 0
; FloatMode: 240
; IeeeMode: 1
; LDSByteSize: 0 bytes/workgroup (compile time only)
; SGPRBlocks: 0
; VGPRBlocks: 0
; NumSGPRsForWavesPerEU: 4
; NumVGPRsForWavesPerEU: 1
; AccumOffset: 4
; Occupancy: 8
; WaveLimiterHint : 0
; COMPUTE_PGM_RSRC2:SCRATCH_EN: 0
; COMPUTE_PGM_RSRC2:USER_SGPR: 6
; COMPUTE_PGM_RSRC2:TRAP_HANDLER: 0
; COMPUTE_PGM_RSRC2:TGID_X_EN: 1
; COMPUTE_PGM_RSRC2:TGID_Y_EN: 0
; COMPUTE_PGM_RSRC2:TGID_Z_EN: 0
; COMPUTE_PGM_RSRC2:TIDIG_COMP_CNT: 0
; COMPUTE_PGM_RSRC3_GFX90A:ACCUM_OFFSET: 0
; COMPUTE_PGM_RSRC3_GFX90A:TG_SPLIT: 0
	.section	.text._ZN7rocprim17ROCPRIM_400000_NS6detail17trampoline_kernelINS0_14default_configENS1_25partition_config_selectorILNS1_17partition_subalgoE0ExNS0_10empty_typeEbEEZZNS1_14partition_implILS5_0ELb0ES3_jN6thrust23THRUST_200600_302600_NS6detail15normal_iteratorINSA_10device_ptrIxEEEEPS6_SG_NS0_5tupleIJSF_NSA_16discard_iteratorINSA_11use_defaultEEEEEENSH_IJSG_SG_EEES6_PlJ7is_evenIxEEEE10hipError_tPvRmT3_T4_T5_T6_T7_T9_mT8_P12ihipStream_tbDpT10_ENKUlT_T0_E_clISt17integral_constantIbLb0EES18_IbLb1EEEEDaS14_S15_EUlS14_E_NS1_11comp_targetILNS1_3genE0ELNS1_11target_archE4294967295ELNS1_3gpuE0ELNS1_3repE0EEENS1_30default_config_static_selectorELNS0_4arch9wavefront6targetE1EEEvT1_,"axG",@progbits,_ZN7rocprim17ROCPRIM_400000_NS6detail17trampoline_kernelINS0_14default_configENS1_25partition_config_selectorILNS1_17partition_subalgoE0ExNS0_10empty_typeEbEEZZNS1_14partition_implILS5_0ELb0ES3_jN6thrust23THRUST_200600_302600_NS6detail15normal_iteratorINSA_10device_ptrIxEEEEPS6_SG_NS0_5tupleIJSF_NSA_16discard_iteratorINSA_11use_defaultEEEEEENSH_IJSG_SG_EEES6_PlJ7is_evenIxEEEE10hipError_tPvRmT3_T4_T5_T6_T7_T9_mT8_P12ihipStream_tbDpT10_ENKUlT_T0_E_clISt17integral_constantIbLb0EES18_IbLb1EEEEDaS14_S15_EUlS14_E_NS1_11comp_targetILNS1_3genE0ELNS1_11target_archE4294967295ELNS1_3gpuE0ELNS1_3repE0EEENS1_30default_config_static_selectorELNS0_4arch9wavefront6targetE1EEEvT1_,comdat
	.protected	_ZN7rocprim17ROCPRIM_400000_NS6detail17trampoline_kernelINS0_14default_configENS1_25partition_config_selectorILNS1_17partition_subalgoE0ExNS0_10empty_typeEbEEZZNS1_14partition_implILS5_0ELb0ES3_jN6thrust23THRUST_200600_302600_NS6detail15normal_iteratorINSA_10device_ptrIxEEEEPS6_SG_NS0_5tupleIJSF_NSA_16discard_iteratorINSA_11use_defaultEEEEEENSH_IJSG_SG_EEES6_PlJ7is_evenIxEEEE10hipError_tPvRmT3_T4_T5_T6_T7_T9_mT8_P12ihipStream_tbDpT10_ENKUlT_T0_E_clISt17integral_constantIbLb0EES18_IbLb1EEEEDaS14_S15_EUlS14_E_NS1_11comp_targetILNS1_3genE0ELNS1_11target_archE4294967295ELNS1_3gpuE0ELNS1_3repE0EEENS1_30default_config_static_selectorELNS0_4arch9wavefront6targetE1EEEvT1_ ; -- Begin function _ZN7rocprim17ROCPRIM_400000_NS6detail17trampoline_kernelINS0_14default_configENS1_25partition_config_selectorILNS1_17partition_subalgoE0ExNS0_10empty_typeEbEEZZNS1_14partition_implILS5_0ELb0ES3_jN6thrust23THRUST_200600_302600_NS6detail15normal_iteratorINSA_10device_ptrIxEEEEPS6_SG_NS0_5tupleIJSF_NSA_16discard_iteratorINSA_11use_defaultEEEEEENSH_IJSG_SG_EEES6_PlJ7is_evenIxEEEE10hipError_tPvRmT3_T4_T5_T6_T7_T9_mT8_P12ihipStream_tbDpT10_ENKUlT_T0_E_clISt17integral_constantIbLb0EES18_IbLb1EEEEDaS14_S15_EUlS14_E_NS1_11comp_targetILNS1_3genE0ELNS1_11target_archE4294967295ELNS1_3gpuE0ELNS1_3repE0EEENS1_30default_config_static_selectorELNS0_4arch9wavefront6targetE1EEEvT1_
	.globl	_ZN7rocprim17ROCPRIM_400000_NS6detail17trampoline_kernelINS0_14default_configENS1_25partition_config_selectorILNS1_17partition_subalgoE0ExNS0_10empty_typeEbEEZZNS1_14partition_implILS5_0ELb0ES3_jN6thrust23THRUST_200600_302600_NS6detail15normal_iteratorINSA_10device_ptrIxEEEEPS6_SG_NS0_5tupleIJSF_NSA_16discard_iteratorINSA_11use_defaultEEEEEENSH_IJSG_SG_EEES6_PlJ7is_evenIxEEEE10hipError_tPvRmT3_T4_T5_T6_T7_T9_mT8_P12ihipStream_tbDpT10_ENKUlT_T0_E_clISt17integral_constantIbLb0EES18_IbLb1EEEEDaS14_S15_EUlS14_E_NS1_11comp_targetILNS1_3genE0ELNS1_11target_archE4294967295ELNS1_3gpuE0ELNS1_3repE0EEENS1_30default_config_static_selectorELNS0_4arch9wavefront6targetE1EEEvT1_
	.p2align	8
	.type	_ZN7rocprim17ROCPRIM_400000_NS6detail17trampoline_kernelINS0_14default_configENS1_25partition_config_selectorILNS1_17partition_subalgoE0ExNS0_10empty_typeEbEEZZNS1_14partition_implILS5_0ELb0ES3_jN6thrust23THRUST_200600_302600_NS6detail15normal_iteratorINSA_10device_ptrIxEEEEPS6_SG_NS0_5tupleIJSF_NSA_16discard_iteratorINSA_11use_defaultEEEEEENSH_IJSG_SG_EEES6_PlJ7is_evenIxEEEE10hipError_tPvRmT3_T4_T5_T6_T7_T9_mT8_P12ihipStream_tbDpT10_ENKUlT_T0_E_clISt17integral_constantIbLb0EES18_IbLb1EEEEDaS14_S15_EUlS14_E_NS1_11comp_targetILNS1_3genE0ELNS1_11target_archE4294967295ELNS1_3gpuE0ELNS1_3repE0EEENS1_30default_config_static_selectorELNS0_4arch9wavefront6targetE1EEEvT1_,@function
_ZN7rocprim17ROCPRIM_400000_NS6detail17trampoline_kernelINS0_14default_configENS1_25partition_config_selectorILNS1_17partition_subalgoE0ExNS0_10empty_typeEbEEZZNS1_14partition_implILS5_0ELb0ES3_jN6thrust23THRUST_200600_302600_NS6detail15normal_iteratorINSA_10device_ptrIxEEEEPS6_SG_NS0_5tupleIJSF_NSA_16discard_iteratorINSA_11use_defaultEEEEEENSH_IJSG_SG_EEES6_PlJ7is_evenIxEEEE10hipError_tPvRmT3_T4_T5_T6_T7_T9_mT8_P12ihipStream_tbDpT10_ENKUlT_T0_E_clISt17integral_constantIbLb0EES18_IbLb1EEEEDaS14_S15_EUlS14_E_NS1_11comp_targetILNS1_3genE0ELNS1_11target_archE4294967295ELNS1_3gpuE0ELNS1_3repE0EEENS1_30default_config_static_selectorELNS0_4arch9wavefront6targetE1EEEvT1_: ; @_ZN7rocprim17ROCPRIM_400000_NS6detail17trampoline_kernelINS0_14default_configENS1_25partition_config_selectorILNS1_17partition_subalgoE0ExNS0_10empty_typeEbEEZZNS1_14partition_implILS5_0ELb0ES3_jN6thrust23THRUST_200600_302600_NS6detail15normal_iteratorINSA_10device_ptrIxEEEEPS6_SG_NS0_5tupleIJSF_NSA_16discard_iteratorINSA_11use_defaultEEEEEENSH_IJSG_SG_EEES6_PlJ7is_evenIxEEEE10hipError_tPvRmT3_T4_T5_T6_T7_T9_mT8_P12ihipStream_tbDpT10_ENKUlT_T0_E_clISt17integral_constantIbLb0EES18_IbLb1EEEEDaS14_S15_EUlS14_E_NS1_11comp_targetILNS1_3genE0ELNS1_11target_archE4294967295ELNS1_3gpuE0ELNS1_3repE0EEENS1_30default_config_static_selectorELNS0_4arch9wavefront6targetE1EEEvT1_
; %bb.0:
	.section	.rodata,"a",@progbits
	.p2align	6, 0x0
	.amdhsa_kernel _ZN7rocprim17ROCPRIM_400000_NS6detail17trampoline_kernelINS0_14default_configENS1_25partition_config_selectorILNS1_17partition_subalgoE0ExNS0_10empty_typeEbEEZZNS1_14partition_implILS5_0ELb0ES3_jN6thrust23THRUST_200600_302600_NS6detail15normal_iteratorINSA_10device_ptrIxEEEEPS6_SG_NS0_5tupleIJSF_NSA_16discard_iteratorINSA_11use_defaultEEEEEENSH_IJSG_SG_EEES6_PlJ7is_evenIxEEEE10hipError_tPvRmT3_T4_T5_T6_T7_T9_mT8_P12ihipStream_tbDpT10_ENKUlT_T0_E_clISt17integral_constantIbLb0EES18_IbLb1EEEEDaS14_S15_EUlS14_E_NS1_11comp_targetILNS1_3genE0ELNS1_11target_archE4294967295ELNS1_3gpuE0ELNS1_3repE0EEENS1_30default_config_static_selectorELNS0_4arch9wavefront6targetE1EEEvT1_
		.amdhsa_group_segment_fixed_size 0
		.amdhsa_private_segment_fixed_size 0
		.amdhsa_kernarg_size 144
		.amdhsa_user_sgpr_count 6
		.amdhsa_user_sgpr_private_segment_buffer 1
		.amdhsa_user_sgpr_dispatch_ptr 0
		.amdhsa_user_sgpr_queue_ptr 0
		.amdhsa_user_sgpr_kernarg_segment_ptr 1
		.amdhsa_user_sgpr_dispatch_id 0
		.amdhsa_user_sgpr_flat_scratch_init 0
		.amdhsa_user_sgpr_kernarg_preload_length 0
		.amdhsa_user_sgpr_kernarg_preload_offset 0
		.amdhsa_user_sgpr_private_segment_size 0
		.amdhsa_uses_dynamic_stack 0
		.amdhsa_system_sgpr_private_segment_wavefront_offset 0
		.amdhsa_system_sgpr_workgroup_id_x 1
		.amdhsa_system_sgpr_workgroup_id_y 0
		.amdhsa_system_sgpr_workgroup_id_z 0
		.amdhsa_system_sgpr_workgroup_info 0
		.amdhsa_system_vgpr_workitem_id 0
		.amdhsa_next_free_vgpr 1
		.amdhsa_next_free_sgpr 0
		.amdhsa_accum_offset 4
		.amdhsa_reserve_vcc 0
		.amdhsa_reserve_flat_scratch 0
		.amdhsa_float_round_mode_32 0
		.amdhsa_float_round_mode_16_64 0
		.amdhsa_float_denorm_mode_32 3
		.amdhsa_float_denorm_mode_16_64 3
		.amdhsa_dx10_clamp 1
		.amdhsa_ieee_mode 1
		.amdhsa_fp16_overflow 0
		.amdhsa_tg_split 0
		.amdhsa_exception_fp_ieee_invalid_op 0
		.amdhsa_exception_fp_denorm_src 0
		.amdhsa_exception_fp_ieee_div_zero 0
		.amdhsa_exception_fp_ieee_overflow 0
		.amdhsa_exception_fp_ieee_underflow 0
		.amdhsa_exception_fp_ieee_inexact 0
		.amdhsa_exception_int_div_zero 0
	.end_amdhsa_kernel
	.section	.text._ZN7rocprim17ROCPRIM_400000_NS6detail17trampoline_kernelINS0_14default_configENS1_25partition_config_selectorILNS1_17partition_subalgoE0ExNS0_10empty_typeEbEEZZNS1_14partition_implILS5_0ELb0ES3_jN6thrust23THRUST_200600_302600_NS6detail15normal_iteratorINSA_10device_ptrIxEEEEPS6_SG_NS0_5tupleIJSF_NSA_16discard_iteratorINSA_11use_defaultEEEEEENSH_IJSG_SG_EEES6_PlJ7is_evenIxEEEE10hipError_tPvRmT3_T4_T5_T6_T7_T9_mT8_P12ihipStream_tbDpT10_ENKUlT_T0_E_clISt17integral_constantIbLb0EES18_IbLb1EEEEDaS14_S15_EUlS14_E_NS1_11comp_targetILNS1_3genE0ELNS1_11target_archE4294967295ELNS1_3gpuE0ELNS1_3repE0EEENS1_30default_config_static_selectorELNS0_4arch9wavefront6targetE1EEEvT1_,"axG",@progbits,_ZN7rocprim17ROCPRIM_400000_NS6detail17trampoline_kernelINS0_14default_configENS1_25partition_config_selectorILNS1_17partition_subalgoE0ExNS0_10empty_typeEbEEZZNS1_14partition_implILS5_0ELb0ES3_jN6thrust23THRUST_200600_302600_NS6detail15normal_iteratorINSA_10device_ptrIxEEEEPS6_SG_NS0_5tupleIJSF_NSA_16discard_iteratorINSA_11use_defaultEEEEEENSH_IJSG_SG_EEES6_PlJ7is_evenIxEEEE10hipError_tPvRmT3_T4_T5_T6_T7_T9_mT8_P12ihipStream_tbDpT10_ENKUlT_T0_E_clISt17integral_constantIbLb0EES18_IbLb1EEEEDaS14_S15_EUlS14_E_NS1_11comp_targetILNS1_3genE0ELNS1_11target_archE4294967295ELNS1_3gpuE0ELNS1_3repE0EEENS1_30default_config_static_selectorELNS0_4arch9wavefront6targetE1EEEvT1_,comdat
.Lfunc_end2643:
	.size	_ZN7rocprim17ROCPRIM_400000_NS6detail17trampoline_kernelINS0_14default_configENS1_25partition_config_selectorILNS1_17partition_subalgoE0ExNS0_10empty_typeEbEEZZNS1_14partition_implILS5_0ELb0ES3_jN6thrust23THRUST_200600_302600_NS6detail15normal_iteratorINSA_10device_ptrIxEEEEPS6_SG_NS0_5tupleIJSF_NSA_16discard_iteratorINSA_11use_defaultEEEEEENSH_IJSG_SG_EEES6_PlJ7is_evenIxEEEE10hipError_tPvRmT3_T4_T5_T6_T7_T9_mT8_P12ihipStream_tbDpT10_ENKUlT_T0_E_clISt17integral_constantIbLb0EES18_IbLb1EEEEDaS14_S15_EUlS14_E_NS1_11comp_targetILNS1_3genE0ELNS1_11target_archE4294967295ELNS1_3gpuE0ELNS1_3repE0EEENS1_30default_config_static_selectorELNS0_4arch9wavefront6targetE1EEEvT1_, .Lfunc_end2643-_ZN7rocprim17ROCPRIM_400000_NS6detail17trampoline_kernelINS0_14default_configENS1_25partition_config_selectorILNS1_17partition_subalgoE0ExNS0_10empty_typeEbEEZZNS1_14partition_implILS5_0ELb0ES3_jN6thrust23THRUST_200600_302600_NS6detail15normal_iteratorINSA_10device_ptrIxEEEEPS6_SG_NS0_5tupleIJSF_NSA_16discard_iteratorINSA_11use_defaultEEEEEENSH_IJSG_SG_EEES6_PlJ7is_evenIxEEEE10hipError_tPvRmT3_T4_T5_T6_T7_T9_mT8_P12ihipStream_tbDpT10_ENKUlT_T0_E_clISt17integral_constantIbLb0EES18_IbLb1EEEEDaS14_S15_EUlS14_E_NS1_11comp_targetILNS1_3genE0ELNS1_11target_archE4294967295ELNS1_3gpuE0ELNS1_3repE0EEENS1_30default_config_static_selectorELNS0_4arch9wavefront6targetE1EEEvT1_
                                        ; -- End function
	.section	.AMDGPU.csdata,"",@progbits
; Kernel info:
; codeLenInByte = 0
; NumSgprs: 4
; NumVgprs: 0
; NumAgprs: 0
; TotalNumVgprs: 0
; ScratchSize: 0
; MemoryBound: 0
; FloatMode: 240
; IeeeMode: 1
; LDSByteSize: 0 bytes/workgroup (compile time only)
; SGPRBlocks: 0
; VGPRBlocks: 0
; NumSGPRsForWavesPerEU: 4
; NumVGPRsForWavesPerEU: 1
; AccumOffset: 4
; Occupancy: 8
; WaveLimiterHint : 0
; COMPUTE_PGM_RSRC2:SCRATCH_EN: 0
; COMPUTE_PGM_RSRC2:USER_SGPR: 6
; COMPUTE_PGM_RSRC2:TRAP_HANDLER: 0
; COMPUTE_PGM_RSRC2:TGID_X_EN: 1
; COMPUTE_PGM_RSRC2:TGID_Y_EN: 0
; COMPUTE_PGM_RSRC2:TGID_Z_EN: 0
; COMPUTE_PGM_RSRC2:TIDIG_COMP_CNT: 0
; COMPUTE_PGM_RSRC3_GFX90A:ACCUM_OFFSET: 0
; COMPUTE_PGM_RSRC3_GFX90A:TG_SPLIT: 0
	.section	.text._ZN7rocprim17ROCPRIM_400000_NS6detail17trampoline_kernelINS0_14default_configENS1_25partition_config_selectorILNS1_17partition_subalgoE0ExNS0_10empty_typeEbEEZZNS1_14partition_implILS5_0ELb0ES3_jN6thrust23THRUST_200600_302600_NS6detail15normal_iteratorINSA_10device_ptrIxEEEEPS6_SG_NS0_5tupleIJSF_NSA_16discard_iteratorINSA_11use_defaultEEEEEENSH_IJSG_SG_EEES6_PlJ7is_evenIxEEEE10hipError_tPvRmT3_T4_T5_T6_T7_T9_mT8_P12ihipStream_tbDpT10_ENKUlT_T0_E_clISt17integral_constantIbLb0EES18_IbLb1EEEEDaS14_S15_EUlS14_E_NS1_11comp_targetILNS1_3genE5ELNS1_11target_archE942ELNS1_3gpuE9ELNS1_3repE0EEENS1_30default_config_static_selectorELNS0_4arch9wavefront6targetE1EEEvT1_,"axG",@progbits,_ZN7rocprim17ROCPRIM_400000_NS6detail17trampoline_kernelINS0_14default_configENS1_25partition_config_selectorILNS1_17partition_subalgoE0ExNS0_10empty_typeEbEEZZNS1_14partition_implILS5_0ELb0ES3_jN6thrust23THRUST_200600_302600_NS6detail15normal_iteratorINSA_10device_ptrIxEEEEPS6_SG_NS0_5tupleIJSF_NSA_16discard_iteratorINSA_11use_defaultEEEEEENSH_IJSG_SG_EEES6_PlJ7is_evenIxEEEE10hipError_tPvRmT3_T4_T5_T6_T7_T9_mT8_P12ihipStream_tbDpT10_ENKUlT_T0_E_clISt17integral_constantIbLb0EES18_IbLb1EEEEDaS14_S15_EUlS14_E_NS1_11comp_targetILNS1_3genE5ELNS1_11target_archE942ELNS1_3gpuE9ELNS1_3repE0EEENS1_30default_config_static_selectorELNS0_4arch9wavefront6targetE1EEEvT1_,comdat
	.protected	_ZN7rocprim17ROCPRIM_400000_NS6detail17trampoline_kernelINS0_14default_configENS1_25partition_config_selectorILNS1_17partition_subalgoE0ExNS0_10empty_typeEbEEZZNS1_14partition_implILS5_0ELb0ES3_jN6thrust23THRUST_200600_302600_NS6detail15normal_iteratorINSA_10device_ptrIxEEEEPS6_SG_NS0_5tupleIJSF_NSA_16discard_iteratorINSA_11use_defaultEEEEEENSH_IJSG_SG_EEES6_PlJ7is_evenIxEEEE10hipError_tPvRmT3_T4_T5_T6_T7_T9_mT8_P12ihipStream_tbDpT10_ENKUlT_T0_E_clISt17integral_constantIbLb0EES18_IbLb1EEEEDaS14_S15_EUlS14_E_NS1_11comp_targetILNS1_3genE5ELNS1_11target_archE942ELNS1_3gpuE9ELNS1_3repE0EEENS1_30default_config_static_selectorELNS0_4arch9wavefront6targetE1EEEvT1_ ; -- Begin function _ZN7rocprim17ROCPRIM_400000_NS6detail17trampoline_kernelINS0_14default_configENS1_25partition_config_selectorILNS1_17partition_subalgoE0ExNS0_10empty_typeEbEEZZNS1_14partition_implILS5_0ELb0ES3_jN6thrust23THRUST_200600_302600_NS6detail15normal_iteratorINSA_10device_ptrIxEEEEPS6_SG_NS0_5tupleIJSF_NSA_16discard_iteratorINSA_11use_defaultEEEEEENSH_IJSG_SG_EEES6_PlJ7is_evenIxEEEE10hipError_tPvRmT3_T4_T5_T6_T7_T9_mT8_P12ihipStream_tbDpT10_ENKUlT_T0_E_clISt17integral_constantIbLb0EES18_IbLb1EEEEDaS14_S15_EUlS14_E_NS1_11comp_targetILNS1_3genE5ELNS1_11target_archE942ELNS1_3gpuE9ELNS1_3repE0EEENS1_30default_config_static_selectorELNS0_4arch9wavefront6targetE1EEEvT1_
	.globl	_ZN7rocprim17ROCPRIM_400000_NS6detail17trampoline_kernelINS0_14default_configENS1_25partition_config_selectorILNS1_17partition_subalgoE0ExNS0_10empty_typeEbEEZZNS1_14partition_implILS5_0ELb0ES3_jN6thrust23THRUST_200600_302600_NS6detail15normal_iteratorINSA_10device_ptrIxEEEEPS6_SG_NS0_5tupleIJSF_NSA_16discard_iteratorINSA_11use_defaultEEEEEENSH_IJSG_SG_EEES6_PlJ7is_evenIxEEEE10hipError_tPvRmT3_T4_T5_T6_T7_T9_mT8_P12ihipStream_tbDpT10_ENKUlT_T0_E_clISt17integral_constantIbLb0EES18_IbLb1EEEEDaS14_S15_EUlS14_E_NS1_11comp_targetILNS1_3genE5ELNS1_11target_archE942ELNS1_3gpuE9ELNS1_3repE0EEENS1_30default_config_static_selectorELNS0_4arch9wavefront6targetE1EEEvT1_
	.p2align	8
	.type	_ZN7rocprim17ROCPRIM_400000_NS6detail17trampoline_kernelINS0_14default_configENS1_25partition_config_selectorILNS1_17partition_subalgoE0ExNS0_10empty_typeEbEEZZNS1_14partition_implILS5_0ELb0ES3_jN6thrust23THRUST_200600_302600_NS6detail15normal_iteratorINSA_10device_ptrIxEEEEPS6_SG_NS0_5tupleIJSF_NSA_16discard_iteratorINSA_11use_defaultEEEEEENSH_IJSG_SG_EEES6_PlJ7is_evenIxEEEE10hipError_tPvRmT3_T4_T5_T6_T7_T9_mT8_P12ihipStream_tbDpT10_ENKUlT_T0_E_clISt17integral_constantIbLb0EES18_IbLb1EEEEDaS14_S15_EUlS14_E_NS1_11comp_targetILNS1_3genE5ELNS1_11target_archE942ELNS1_3gpuE9ELNS1_3repE0EEENS1_30default_config_static_selectorELNS0_4arch9wavefront6targetE1EEEvT1_,@function
_ZN7rocprim17ROCPRIM_400000_NS6detail17trampoline_kernelINS0_14default_configENS1_25partition_config_selectorILNS1_17partition_subalgoE0ExNS0_10empty_typeEbEEZZNS1_14partition_implILS5_0ELb0ES3_jN6thrust23THRUST_200600_302600_NS6detail15normal_iteratorINSA_10device_ptrIxEEEEPS6_SG_NS0_5tupleIJSF_NSA_16discard_iteratorINSA_11use_defaultEEEEEENSH_IJSG_SG_EEES6_PlJ7is_evenIxEEEE10hipError_tPvRmT3_T4_T5_T6_T7_T9_mT8_P12ihipStream_tbDpT10_ENKUlT_T0_E_clISt17integral_constantIbLb0EES18_IbLb1EEEEDaS14_S15_EUlS14_E_NS1_11comp_targetILNS1_3genE5ELNS1_11target_archE942ELNS1_3gpuE9ELNS1_3repE0EEENS1_30default_config_static_selectorELNS0_4arch9wavefront6targetE1EEEvT1_: ; @_ZN7rocprim17ROCPRIM_400000_NS6detail17trampoline_kernelINS0_14default_configENS1_25partition_config_selectorILNS1_17partition_subalgoE0ExNS0_10empty_typeEbEEZZNS1_14partition_implILS5_0ELb0ES3_jN6thrust23THRUST_200600_302600_NS6detail15normal_iteratorINSA_10device_ptrIxEEEEPS6_SG_NS0_5tupleIJSF_NSA_16discard_iteratorINSA_11use_defaultEEEEEENSH_IJSG_SG_EEES6_PlJ7is_evenIxEEEE10hipError_tPvRmT3_T4_T5_T6_T7_T9_mT8_P12ihipStream_tbDpT10_ENKUlT_T0_E_clISt17integral_constantIbLb0EES18_IbLb1EEEEDaS14_S15_EUlS14_E_NS1_11comp_targetILNS1_3genE5ELNS1_11target_archE942ELNS1_3gpuE9ELNS1_3repE0EEENS1_30default_config_static_selectorELNS0_4arch9wavefront6targetE1EEEvT1_
; %bb.0:
	.section	.rodata,"a",@progbits
	.p2align	6, 0x0
	.amdhsa_kernel _ZN7rocprim17ROCPRIM_400000_NS6detail17trampoline_kernelINS0_14default_configENS1_25partition_config_selectorILNS1_17partition_subalgoE0ExNS0_10empty_typeEbEEZZNS1_14partition_implILS5_0ELb0ES3_jN6thrust23THRUST_200600_302600_NS6detail15normal_iteratorINSA_10device_ptrIxEEEEPS6_SG_NS0_5tupleIJSF_NSA_16discard_iteratorINSA_11use_defaultEEEEEENSH_IJSG_SG_EEES6_PlJ7is_evenIxEEEE10hipError_tPvRmT3_T4_T5_T6_T7_T9_mT8_P12ihipStream_tbDpT10_ENKUlT_T0_E_clISt17integral_constantIbLb0EES18_IbLb1EEEEDaS14_S15_EUlS14_E_NS1_11comp_targetILNS1_3genE5ELNS1_11target_archE942ELNS1_3gpuE9ELNS1_3repE0EEENS1_30default_config_static_selectorELNS0_4arch9wavefront6targetE1EEEvT1_
		.amdhsa_group_segment_fixed_size 0
		.amdhsa_private_segment_fixed_size 0
		.amdhsa_kernarg_size 144
		.amdhsa_user_sgpr_count 6
		.amdhsa_user_sgpr_private_segment_buffer 1
		.amdhsa_user_sgpr_dispatch_ptr 0
		.amdhsa_user_sgpr_queue_ptr 0
		.amdhsa_user_sgpr_kernarg_segment_ptr 1
		.amdhsa_user_sgpr_dispatch_id 0
		.amdhsa_user_sgpr_flat_scratch_init 0
		.amdhsa_user_sgpr_kernarg_preload_length 0
		.amdhsa_user_sgpr_kernarg_preload_offset 0
		.amdhsa_user_sgpr_private_segment_size 0
		.amdhsa_uses_dynamic_stack 0
		.amdhsa_system_sgpr_private_segment_wavefront_offset 0
		.amdhsa_system_sgpr_workgroup_id_x 1
		.amdhsa_system_sgpr_workgroup_id_y 0
		.amdhsa_system_sgpr_workgroup_id_z 0
		.amdhsa_system_sgpr_workgroup_info 0
		.amdhsa_system_vgpr_workitem_id 0
		.amdhsa_next_free_vgpr 1
		.amdhsa_next_free_sgpr 0
		.amdhsa_accum_offset 4
		.amdhsa_reserve_vcc 0
		.amdhsa_reserve_flat_scratch 0
		.amdhsa_float_round_mode_32 0
		.amdhsa_float_round_mode_16_64 0
		.amdhsa_float_denorm_mode_32 3
		.amdhsa_float_denorm_mode_16_64 3
		.amdhsa_dx10_clamp 1
		.amdhsa_ieee_mode 1
		.amdhsa_fp16_overflow 0
		.amdhsa_tg_split 0
		.amdhsa_exception_fp_ieee_invalid_op 0
		.amdhsa_exception_fp_denorm_src 0
		.amdhsa_exception_fp_ieee_div_zero 0
		.amdhsa_exception_fp_ieee_overflow 0
		.amdhsa_exception_fp_ieee_underflow 0
		.amdhsa_exception_fp_ieee_inexact 0
		.amdhsa_exception_int_div_zero 0
	.end_amdhsa_kernel
	.section	.text._ZN7rocprim17ROCPRIM_400000_NS6detail17trampoline_kernelINS0_14default_configENS1_25partition_config_selectorILNS1_17partition_subalgoE0ExNS0_10empty_typeEbEEZZNS1_14partition_implILS5_0ELb0ES3_jN6thrust23THRUST_200600_302600_NS6detail15normal_iteratorINSA_10device_ptrIxEEEEPS6_SG_NS0_5tupleIJSF_NSA_16discard_iteratorINSA_11use_defaultEEEEEENSH_IJSG_SG_EEES6_PlJ7is_evenIxEEEE10hipError_tPvRmT3_T4_T5_T6_T7_T9_mT8_P12ihipStream_tbDpT10_ENKUlT_T0_E_clISt17integral_constantIbLb0EES18_IbLb1EEEEDaS14_S15_EUlS14_E_NS1_11comp_targetILNS1_3genE5ELNS1_11target_archE942ELNS1_3gpuE9ELNS1_3repE0EEENS1_30default_config_static_selectorELNS0_4arch9wavefront6targetE1EEEvT1_,"axG",@progbits,_ZN7rocprim17ROCPRIM_400000_NS6detail17trampoline_kernelINS0_14default_configENS1_25partition_config_selectorILNS1_17partition_subalgoE0ExNS0_10empty_typeEbEEZZNS1_14partition_implILS5_0ELb0ES3_jN6thrust23THRUST_200600_302600_NS6detail15normal_iteratorINSA_10device_ptrIxEEEEPS6_SG_NS0_5tupleIJSF_NSA_16discard_iteratorINSA_11use_defaultEEEEEENSH_IJSG_SG_EEES6_PlJ7is_evenIxEEEE10hipError_tPvRmT3_T4_T5_T6_T7_T9_mT8_P12ihipStream_tbDpT10_ENKUlT_T0_E_clISt17integral_constantIbLb0EES18_IbLb1EEEEDaS14_S15_EUlS14_E_NS1_11comp_targetILNS1_3genE5ELNS1_11target_archE942ELNS1_3gpuE9ELNS1_3repE0EEENS1_30default_config_static_selectorELNS0_4arch9wavefront6targetE1EEEvT1_,comdat
.Lfunc_end2644:
	.size	_ZN7rocprim17ROCPRIM_400000_NS6detail17trampoline_kernelINS0_14default_configENS1_25partition_config_selectorILNS1_17partition_subalgoE0ExNS0_10empty_typeEbEEZZNS1_14partition_implILS5_0ELb0ES3_jN6thrust23THRUST_200600_302600_NS6detail15normal_iteratorINSA_10device_ptrIxEEEEPS6_SG_NS0_5tupleIJSF_NSA_16discard_iteratorINSA_11use_defaultEEEEEENSH_IJSG_SG_EEES6_PlJ7is_evenIxEEEE10hipError_tPvRmT3_T4_T5_T6_T7_T9_mT8_P12ihipStream_tbDpT10_ENKUlT_T0_E_clISt17integral_constantIbLb0EES18_IbLb1EEEEDaS14_S15_EUlS14_E_NS1_11comp_targetILNS1_3genE5ELNS1_11target_archE942ELNS1_3gpuE9ELNS1_3repE0EEENS1_30default_config_static_selectorELNS0_4arch9wavefront6targetE1EEEvT1_, .Lfunc_end2644-_ZN7rocprim17ROCPRIM_400000_NS6detail17trampoline_kernelINS0_14default_configENS1_25partition_config_selectorILNS1_17partition_subalgoE0ExNS0_10empty_typeEbEEZZNS1_14partition_implILS5_0ELb0ES3_jN6thrust23THRUST_200600_302600_NS6detail15normal_iteratorINSA_10device_ptrIxEEEEPS6_SG_NS0_5tupleIJSF_NSA_16discard_iteratorINSA_11use_defaultEEEEEENSH_IJSG_SG_EEES6_PlJ7is_evenIxEEEE10hipError_tPvRmT3_T4_T5_T6_T7_T9_mT8_P12ihipStream_tbDpT10_ENKUlT_T0_E_clISt17integral_constantIbLb0EES18_IbLb1EEEEDaS14_S15_EUlS14_E_NS1_11comp_targetILNS1_3genE5ELNS1_11target_archE942ELNS1_3gpuE9ELNS1_3repE0EEENS1_30default_config_static_selectorELNS0_4arch9wavefront6targetE1EEEvT1_
                                        ; -- End function
	.section	.AMDGPU.csdata,"",@progbits
; Kernel info:
; codeLenInByte = 0
; NumSgprs: 4
; NumVgprs: 0
; NumAgprs: 0
; TotalNumVgprs: 0
; ScratchSize: 0
; MemoryBound: 0
; FloatMode: 240
; IeeeMode: 1
; LDSByteSize: 0 bytes/workgroup (compile time only)
; SGPRBlocks: 0
; VGPRBlocks: 0
; NumSGPRsForWavesPerEU: 4
; NumVGPRsForWavesPerEU: 1
; AccumOffset: 4
; Occupancy: 8
; WaveLimiterHint : 0
; COMPUTE_PGM_RSRC2:SCRATCH_EN: 0
; COMPUTE_PGM_RSRC2:USER_SGPR: 6
; COMPUTE_PGM_RSRC2:TRAP_HANDLER: 0
; COMPUTE_PGM_RSRC2:TGID_X_EN: 1
; COMPUTE_PGM_RSRC2:TGID_Y_EN: 0
; COMPUTE_PGM_RSRC2:TGID_Z_EN: 0
; COMPUTE_PGM_RSRC2:TIDIG_COMP_CNT: 0
; COMPUTE_PGM_RSRC3_GFX90A:ACCUM_OFFSET: 0
; COMPUTE_PGM_RSRC3_GFX90A:TG_SPLIT: 0
	.section	.text._ZN7rocprim17ROCPRIM_400000_NS6detail17trampoline_kernelINS0_14default_configENS1_25partition_config_selectorILNS1_17partition_subalgoE0ExNS0_10empty_typeEbEEZZNS1_14partition_implILS5_0ELb0ES3_jN6thrust23THRUST_200600_302600_NS6detail15normal_iteratorINSA_10device_ptrIxEEEEPS6_SG_NS0_5tupleIJSF_NSA_16discard_iteratorINSA_11use_defaultEEEEEENSH_IJSG_SG_EEES6_PlJ7is_evenIxEEEE10hipError_tPvRmT3_T4_T5_T6_T7_T9_mT8_P12ihipStream_tbDpT10_ENKUlT_T0_E_clISt17integral_constantIbLb0EES18_IbLb1EEEEDaS14_S15_EUlS14_E_NS1_11comp_targetILNS1_3genE4ELNS1_11target_archE910ELNS1_3gpuE8ELNS1_3repE0EEENS1_30default_config_static_selectorELNS0_4arch9wavefront6targetE1EEEvT1_,"axG",@progbits,_ZN7rocprim17ROCPRIM_400000_NS6detail17trampoline_kernelINS0_14default_configENS1_25partition_config_selectorILNS1_17partition_subalgoE0ExNS0_10empty_typeEbEEZZNS1_14partition_implILS5_0ELb0ES3_jN6thrust23THRUST_200600_302600_NS6detail15normal_iteratorINSA_10device_ptrIxEEEEPS6_SG_NS0_5tupleIJSF_NSA_16discard_iteratorINSA_11use_defaultEEEEEENSH_IJSG_SG_EEES6_PlJ7is_evenIxEEEE10hipError_tPvRmT3_T4_T5_T6_T7_T9_mT8_P12ihipStream_tbDpT10_ENKUlT_T0_E_clISt17integral_constantIbLb0EES18_IbLb1EEEEDaS14_S15_EUlS14_E_NS1_11comp_targetILNS1_3genE4ELNS1_11target_archE910ELNS1_3gpuE8ELNS1_3repE0EEENS1_30default_config_static_selectorELNS0_4arch9wavefront6targetE1EEEvT1_,comdat
	.protected	_ZN7rocprim17ROCPRIM_400000_NS6detail17trampoline_kernelINS0_14default_configENS1_25partition_config_selectorILNS1_17partition_subalgoE0ExNS0_10empty_typeEbEEZZNS1_14partition_implILS5_0ELb0ES3_jN6thrust23THRUST_200600_302600_NS6detail15normal_iteratorINSA_10device_ptrIxEEEEPS6_SG_NS0_5tupleIJSF_NSA_16discard_iteratorINSA_11use_defaultEEEEEENSH_IJSG_SG_EEES6_PlJ7is_evenIxEEEE10hipError_tPvRmT3_T4_T5_T6_T7_T9_mT8_P12ihipStream_tbDpT10_ENKUlT_T0_E_clISt17integral_constantIbLb0EES18_IbLb1EEEEDaS14_S15_EUlS14_E_NS1_11comp_targetILNS1_3genE4ELNS1_11target_archE910ELNS1_3gpuE8ELNS1_3repE0EEENS1_30default_config_static_selectorELNS0_4arch9wavefront6targetE1EEEvT1_ ; -- Begin function _ZN7rocprim17ROCPRIM_400000_NS6detail17trampoline_kernelINS0_14default_configENS1_25partition_config_selectorILNS1_17partition_subalgoE0ExNS0_10empty_typeEbEEZZNS1_14partition_implILS5_0ELb0ES3_jN6thrust23THRUST_200600_302600_NS6detail15normal_iteratorINSA_10device_ptrIxEEEEPS6_SG_NS0_5tupleIJSF_NSA_16discard_iteratorINSA_11use_defaultEEEEEENSH_IJSG_SG_EEES6_PlJ7is_evenIxEEEE10hipError_tPvRmT3_T4_T5_T6_T7_T9_mT8_P12ihipStream_tbDpT10_ENKUlT_T0_E_clISt17integral_constantIbLb0EES18_IbLb1EEEEDaS14_S15_EUlS14_E_NS1_11comp_targetILNS1_3genE4ELNS1_11target_archE910ELNS1_3gpuE8ELNS1_3repE0EEENS1_30default_config_static_selectorELNS0_4arch9wavefront6targetE1EEEvT1_
	.globl	_ZN7rocprim17ROCPRIM_400000_NS6detail17trampoline_kernelINS0_14default_configENS1_25partition_config_selectorILNS1_17partition_subalgoE0ExNS0_10empty_typeEbEEZZNS1_14partition_implILS5_0ELb0ES3_jN6thrust23THRUST_200600_302600_NS6detail15normal_iteratorINSA_10device_ptrIxEEEEPS6_SG_NS0_5tupleIJSF_NSA_16discard_iteratorINSA_11use_defaultEEEEEENSH_IJSG_SG_EEES6_PlJ7is_evenIxEEEE10hipError_tPvRmT3_T4_T5_T6_T7_T9_mT8_P12ihipStream_tbDpT10_ENKUlT_T0_E_clISt17integral_constantIbLb0EES18_IbLb1EEEEDaS14_S15_EUlS14_E_NS1_11comp_targetILNS1_3genE4ELNS1_11target_archE910ELNS1_3gpuE8ELNS1_3repE0EEENS1_30default_config_static_selectorELNS0_4arch9wavefront6targetE1EEEvT1_
	.p2align	8
	.type	_ZN7rocprim17ROCPRIM_400000_NS6detail17trampoline_kernelINS0_14default_configENS1_25partition_config_selectorILNS1_17partition_subalgoE0ExNS0_10empty_typeEbEEZZNS1_14partition_implILS5_0ELb0ES3_jN6thrust23THRUST_200600_302600_NS6detail15normal_iteratorINSA_10device_ptrIxEEEEPS6_SG_NS0_5tupleIJSF_NSA_16discard_iteratorINSA_11use_defaultEEEEEENSH_IJSG_SG_EEES6_PlJ7is_evenIxEEEE10hipError_tPvRmT3_T4_T5_T6_T7_T9_mT8_P12ihipStream_tbDpT10_ENKUlT_T0_E_clISt17integral_constantIbLb0EES18_IbLb1EEEEDaS14_S15_EUlS14_E_NS1_11comp_targetILNS1_3genE4ELNS1_11target_archE910ELNS1_3gpuE8ELNS1_3repE0EEENS1_30default_config_static_selectorELNS0_4arch9wavefront6targetE1EEEvT1_,@function
_ZN7rocprim17ROCPRIM_400000_NS6detail17trampoline_kernelINS0_14default_configENS1_25partition_config_selectorILNS1_17partition_subalgoE0ExNS0_10empty_typeEbEEZZNS1_14partition_implILS5_0ELb0ES3_jN6thrust23THRUST_200600_302600_NS6detail15normal_iteratorINSA_10device_ptrIxEEEEPS6_SG_NS0_5tupleIJSF_NSA_16discard_iteratorINSA_11use_defaultEEEEEENSH_IJSG_SG_EEES6_PlJ7is_evenIxEEEE10hipError_tPvRmT3_T4_T5_T6_T7_T9_mT8_P12ihipStream_tbDpT10_ENKUlT_T0_E_clISt17integral_constantIbLb0EES18_IbLb1EEEEDaS14_S15_EUlS14_E_NS1_11comp_targetILNS1_3genE4ELNS1_11target_archE910ELNS1_3gpuE8ELNS1_3repE0EEENS1_30default_config_static_selectorELNS0_4arch9wavefront6targetE1EEEvT1_: ; @_ZN7rocprim17ROCPRIM_400000_NS6detail17trampoline_kernelINS0_14default_configENS1_25partition_config_selectorILNS1_17partition_subalgoE0ExNS0_10empty_typeEbEEZZNS1_14partition_implILS5_0ELb0ES3_jN6thrust23THRUST_200600_302600_NS6detail15normal_iteratorINSA_10device_ptrIxEEEEPS6_SG_NS0_5tupleIJSF_NSA_16discard_iteratorINSA_11use_defaultEEEEEENSH_IJSG_SG_EEES6_PlJ7is_evenIxEEEE10hipError_tPvRmT3_T4_T5_T6_T7_T9_mT8_P12ihipStream_tbDpT10_ENKUlT_T0_E_clISt17integral_constantIbLb0EES18_IbLb1EEEEDaS14_S15_EUlS14_E_NS1_11comp_targetILNS1_3genE4ELNS1_11target_archE910ELNS1_3gpuE8ELNS1_3repE0EEENS1_30default_config_static_selectorELNS0_4arch9wavefront6targetE1EEEvT1_
; %bb.0:
	s_load_dwordx2 s[24:25], s[4:5], 0x28
	s_load_dwordx4 s[20:23], s[4:5], 0x50
	s_load_dwordx2 s[2:3], s[4:5], 0x60
	s_load_dwordx2 s[26:27], s[4:5], 0x70
	v_cmp_eq_u32_e64 s[0:1], 0, v0
	s_and_saveexec_b64 s[6:7], s[0:1]
	s_cbranch_execz .LBB2645_4
; %bb.1:
	s_mov_b64 s[10:11], exec
	v_mbcnt_lo_u32_b32 v1, s10, 0
	v_mbcnt_hi_u32_b32 v1, s11, v1
	v_cmp_eq_u32_e32 vcc, 0, v1
                                        ; implicit-def: $vgpr2
	s_and_saveexec_b64 s[8:9], vcc
	s_cbranch_execz .LBB2645_3
; %bb.2:
	s_load_dwordx2 s[12:13], s[4:5], 0x80
	s_bcnt1_i32_b64 s10, s[10:11]
	v_mov_b32_e32 v2, 0
	v_mov_b32_e32 v3, s10
	s_waitcnt lgkmcnt(0)
	global_atomic_add v2, v2, v3, s[12:13] glc
.LBB2645_3:
	s_or_b64 exec, exec, s[8:9]
	s_waitcnt vmcnt(0)
	v_readfirstlane_b32 s8, v2
	v_add_u32_e32 v1, s8, v1
	v_mov_b32_e32 v2, 0
	ds_write_b32 v2, v1
.LBB2645_4:
	s_or_b64 exec, exec, s[6:7]
	v_mov_b32_e32 v3, 0
	s_load_dwordx4 s[8:11], s[4:5], 0x8
	s_load_dword s6, s[4:5], 0x78
	s_waitcnt lgkmcnt(0)
	s_barrier
	ds_read_b32 v1, v3
	s_waitcnt lgkmcnt(0)
	s_barrier
	global_load_dwordx2 v[10:11], v3, s[22:23]
	v_mov_b32_e32 v5, s3
	s_lshl_b64 s[4:5], s[10:11], 3
	s_movk_i32 s3, 0x300
	s_add_u32 s7, s8, s4
	v_mul_lo_u32 v2, v1, s3
	s_mul_i32 s3, s6, 0x300
	s_addc_u32 s8, s9, s5
	s_add_i32 s5, s3, s10
	s_add_i32 s4, s6, -1
	s_sub_i32 s33, s2, s5
	v_mov_b32_e32 v4, s2
	s_add_u32 s2, s10, s3
	v_readfirstlane_b32 s36, v1
	s_addc_u32 s3, s11, 0
	s_cmp_eq_u32 s36, s4
	s_cselect_b64 s[22:23], -1, 0
	s_cmp_lg_u32 s36, s4
	v_cmp_lt_u64_e32 vcc, s[2:3], v[4:5]
	s_cselect_b64 s[2:3], -1, 0
	v_lshlrev_b64 v[2:3], 3, v[2:3]
	s_or_b64 s[4:5], vcc, s[2:3]
	v_mov_b32_e32 v1, s8
	v_add_co_u32_e32 v13, vcc, s7, v2
	v_addc_co_u32_e32 v14, vcc, v1, v3, vcc
	s_mov_b64 s[2:3], -1
	s_and_b64 vcc, exec, s[4:5]
	v_lshlrev_b32_e32 v1, 3, v0
	v_lshrrev_b32_e32 v12, 2, v0
	s_cbranch_vccz .LBB2645_6
; %bb.5:
	v_add_co_u32_e32 v2, vcc, v13, v1
	v_addc_co_u32_e32 v3, vcc, 0, v14, vcc
	v_add_co_u32_e32 v4, vcc, 0x1000, v2
	v_addc_co_u32_e32 v5, vcc, 0, v3, vcc
	flat_load_dwordx2 v[6:7], v[2:3]
	flat_load_dwordx2 v[8:9], v[2:3] offset:1536
	flat_load_dwordx2 v[16:17], v[2:3] offset:3072
	;; [unrolled: 1-line block ×3, first 2 shown]
	v_add_u32_e32 v3, 0xc0, v0
	v_add_u32_e32 v4, 0x180, v0
	;; [unrolled: 1-line block ×3, first 2 shown]
	v_and_b32_e32 v2, 56, v12
	v_lshrrev_b32_e32 v3, 2, v3
	v_lshrrev_b32_e32 v4, 2, v4
	;; [unrolled: 1-line block ×3, first 2 shown]
	v_add_u32_e32 v2, v2, v1
	v_and_b32_e32 v3, 0x78, v3
	v_and_b32_e32 v4, 0xf8, v4
	v_and_b32_e32 v5, 0xf8, v5
	v_add_u32_e32 v3, v3, v1
	v_add_u32_e32 v4, v4, v1
	;; [unrolled: 1-line block ×3, first 2 shown]
	s_mov_b64 s[2:3], 0
	s_waitcnt vmcnt(0) lgkmcnt(0)
	ds_write_b64 v2, v[6:7]
	ds_write_b64 v3, v[8:9] offset:1536
	ds_write_b64 v4, v[16:17] offset:3072
	;; [unrolled: 1-line block ×3, first 2 shown]
	s_waitcnt lgkmcnt(0)
	s_barrier
.LBB2645_6:
	s_andn2_b64 vcc, exec, s[2:3]
	s_addk_i32 s33, 0x300
	s_cbranch_vccnz .LBB2645_16
; %bb.7:
	v_cmp_gt_u32_e32 vcc, s33, v0
                                        ; implicit-def: $vgpr2_vgpr3_vgpr4_vgpr5_vgpr6_vgpr7_vgpr8_vgpr9
	s_and_saveexec_b64 s[2:3], vcc
	s_cbranch_execz .LBB2645_9
; %bb.8:
	v_add_co_u32_e32 v2, vcc, v13, v1
	v_addc_co_u32_e32 v3, vcc, 0, v14, vcc
	flat_load_dwordx2 v[2:3], v[2:3]
.LBB2645_9:
	s_or_b64 exec, exec, s[2:3]
	v_add_u32_e32 v15, 0xc0, v0
	v_cmp_gt_u32_e32 vcc, s33, v15
	s_and_saveexec_b64 s[2:3], vcc
	s_cbranch_execz .LBB2645_11
; %bb.10:
	v_add_co_u32_e32 v4, vcc, v13, v1
	v_addc_co_u32_e32 v5, vcc, 0, v14, vcc
	flat_load_dwordx2 v[4:5], v[4:5] offset:1536
.LBB2645_11:
	s_or_b64 exec, exec, s[2:3]
	v_add_u32_e32 v16, 0x180, v0
	v_cmp_gt_u32_e32 vcc, s33, v16
	s_and_saveexec_b64 s[2:3], vcc
	s_cbranch_execz .LBB2645_13
; %bb.12:
	v_add_co_u32_e32 v6, vcc, v13, v1
	v_addc_co_u32_e32 v7, vcc, 0, v14, vcc
	flat_load_dwordx2 v[6:7], v[6:7] offset:3072
.LBB2645_13:
	s_or_b64 exec, exec, s[2:3]
	v_add_u32_e32 v17, 0x240, v0
	v_cmp_gt_u32_e32 vcc, s33, v17
	s_and_saveexec_b64 s[2:3], vcc
	s_cbranch_execz .LBB2645_15
; %bb.14:
	v_lshlrev_b32_e32 v8, 3, v17
	v_add_co_u32_e32 v8, vcc, v13, v8
	v_addc_co_u32_e32 v9, vcc, 0, v14, vcc
	flat_load_dwordx2 v[8:9], v[8:9]
.LBB2645_15:
	s_or_b64 exec, exec, s[2:3]
	v_and_b32_e32 v12, 56, v12
	v_add_u32_e32 v12, v12, v1
	s_waitcnt vmcnt(0) lgkmcnt(0)
	ds_write_b64 v12, v[2:3]
	v_lshrrev_b32_e32 v2, 2, v15
	v_and_b32_e32 v2, 0x78, v2
	v_add_u32_e32 v2, v2, v1
	ds_write_b64 v2, v[4:5] offset:1536
	v_lshrrev_b32_e32 v2, 2, v16
	v_and_b32_e32 v2, 0xf8, v2
	v_add_u32_e32 v2, v2, v1
	ds_write_b64 v2, v[6:7] offset:3072
	;; [unrolled: 4-line block ×3, first 2 shown]
	s_waitcnt lgkmcnt(0)
	s_barrier
.LBB2645_16:
	v_lshlrev_b32_e32 v22, 2, v0
	v_lshrrev_b32_e32 v2, 3, v0
	v_add_lshl_u32 v2, v2, v22, 3
	ds_read2_b64 v[6:9], v2 offset1:1
	ds_read2_b64 v[2:5], v2 offset0:2 offset1:3
	v_cndmask_b32_e64 v12, 0, 1, s[4:5]
	v_cmp_ne_u32_e64 s[2:3], 1, v12
	s_andn2_b64 vcc, exec, s[4:5]
	s_waitcnt lgkmcnt(1)
	v_xor_b32_e32 v15, -1, v6
	v_xor_b32_e32 v14, -1, v8
	s_waitcnt lgkmcnt(0)
	v_xor_b32_e32 v13, -1, v2
	v_xor_b32_e32 v12, -1, v4
	s_barrier
	s_cbranch_vccnz .LBB2645_18
; %bb.17:
	v_mov_b32_e32 v17, 1
	v_and_b32_e32 v16, 1, v15
	v_and_b32_sdwa v18, v14, v17 dst_sel:BYTE_1 dst_unused:UNUSED_PAD src0_sel:DWORD src1_sel:DWORD
	v_and_b32_e32 v19, 1, v13
	v_and_b32_sdwa v17, v12, v17 dst_sel:BYTE_1 dst_unused:UNUSED_PAD src0_sel:DWORD src1_sel:DWORD
	v_or_b32_e32 v16, v16, v18
	v_or_b32_sdwa v17, v19, v17 dst_sel:WORD_1 dst_unused:UNUSED_PAD src0_sel:DWORD src1_sel:DWORD
	v_or_b32_sdwa v23, v16, v17 dst_sel:DWORD dst_unused:UNUSED_PAD src0_sel:WORD_0 src1_sel:DWORD
	s_cbranch_execz .LBB2645_19
	s_branch .LBB2645_20
.LBB2645_18:
                                        ; implicit-def: $vgpr23
.LBB2645_19:
	v_cmp_gt_u32_e32 vcc, s33, v22
	v_cndmask_b32_e64 v16, 0, 1, vcc
	v_and_b32_e32 v15, v16, v15
	v_or_b32_e32 v16, 1, v22
	v_cmp_gt_u32_e32 vcc, s33, v16
	v_cndmask_b32_e64 v16, 0, 1, vcc
	v_and_b32_sdwa v14, v16, v14 dst_sel:BYTE_1 dst_unused:UNUSED_PAD src0_sel:DWORD src1_sel:DWORD
	v_or_b32_e32 v16, 2, v22
	v_cmp_gt_u32_e32 vcc, s33, v16
	v_cndmask_b32_e64 v16, 0, 1, vcc
	v_and_b32_e32 v13, v16, v13
	v_or_b32_e32 v16, 3, v22
	v_cmp_gt_u32_e32 vcc, s33, v16
	v_cndmask_b32_e64 v16, 0, 1, vcc
	v_and_b32_sdwa v12, v16, v12 dst_sel:BYTE_1 dst_unused:UNUSED_PAD src0_sel:DWORD src1_sel:DWORD
	v_or_b32_e32 v14, v15, v14
	v_or_b32_sdwa v12, v13, v12 dst_sel:WORD_1 dst_unused:UNUSED_PAD src0_sel:DWORD src1_sel:DWORD
	v_or_b32_sdwa v23, v14, v12 dst_sel:DWORD dst_unused:UNUSED_PAD src0_sel:WORD_0 src1_sel:DWORD
.LBB2645_20:
	v_bfe_u32 v25, v23, 16, 8
	v_lshrrev_b32_e32 v24, 24, v23
	v_add_u32_sdwa v12, v23, v23 dst_sel:DWORD dst_unused:UNUSED_PAD src0_sel:BYTE_1 src1_sel:BYTE_0
	v_add3_u32 v28, v12, v25, v24
	v_mbcnt_lo_u32_b32 v12, -1, 0
	v_mbcnt_hi_u32_b32 v26, -1, v12
	v_and_b32_e32 v12, 15, v26
	v_cmp_eq_u32_e64 s[16:17], 0, v12
	v_cmp_lt_u32_e64 s[14:15], 1, v12
	v_cmp_lt_u32_e64 s[12:13], 3, v12
	;; [unrolled: 1-line block ×3, first 2 shown]
	v_and_b32_e32 v12, 16, v26
	v_cmp_eq_u32_e64 s[6:7], 0, v12
	v_and_b32_e32 v12, 0xc0, v0
	v_min_u32_e32 v12, 0x80, v12
	v_or_b32_e32 v12, 63, v12
	s_cmp_lg_u32 s36, 0
	v_cmp_lt_u32_e64 s[4:5], 31, v26
	v_lshrrev_b32_e32 v27, 6, v0
	v_cmp_eq_u32_e64 s[8:9], v12, v0
	s_cbranch_scc0 .LBB2645_47
; %bb.21:
	v_mov_b32_dpp v12, v28 row_shr:1 row_mask:0xf bank_mask:0xf
	v_cndmask_b32_e64 v12, v12, 0, s[16:17]
	v_add_u32_e32 v12, v12, v28
	s_nop 1
	v_mov_b32_dpp v13, v12 row_shr:2 row_mask:0xf bank_mask:0xf
	v_cndmask_b32_e64 v13, 0, v13, s[14:15]
	v_add_u32_e32 v12, v12, v13
	s_nop 1
	;; [unrolled: 4-line block ×4, first 2 shown]
	v_mov_b32_dpp v13, v12 row_bcast:15 row_mask:0xf bank_mask:0xf
	v_cndmask_b32_e64 v13, v13, 0, s[6:7]
	v_add_u32_e32 v12, v12, v13
	s_nop 1
	v_mov_b32_dpp v13, v12 row_bcast:31 row_mask:0xf bank_mask:0xf
	v_cndmask_b32_e64 v13, 0, v13, s[4:5]
	v_add_u32_e32 v12, v12, v13
	s_and_saveexec_b64 s[18:19], s[8:9]
	s_cbranch_execz .LBB2645_23
; %bb.22:
	v_lshlrev_b32_e32 v13, 2, v27
	ds_write_b32 v13, v12
.LBB2645_23:
	s_or_b64 exec, exec, s[18:19]
	v_cmp_gt_u32_e32 vcc, 3, v0
	s_waitcnt lgkmcnt(0)
	s_barrier
	s_and_saveexec_b64 s[18:19], vcc
	s_cbranch_execz .LBB2645_25
; %bb.24:
	ds_read_b32 v13, v22
	v_and_b32_e32 v14, 3, v26
	v_cmp_ne_u32_e32 vcc, 0, v14
	s_waitcnt lgkmcnt(0)
	v_mov_b32_dpp v15, v13 row_shr:1 row_mask:0xf bank_mask:0xf
	v_cndmask_b32_e32 v15, 0, v15, vcc
	v_add_u32_e32 v13, v15, v13
	v_cmp_lt_u32_e32 vcc, 1, v14
	s_nop 0
	v_mov_b32_dpp v15, v13 row_shr:2 row_mask:0xf bank_mask:0xf
	v_cndmask_b32_e32 v14, 0, v15, vcc
	v_add_u32_e32 v13, v13, v14
	ds_write_b32 v22, v13
.LBB2645_25:
	s_or_b64 exec, exec, s[18:19]
	v_cmp_gt_u32_e32 vcc, 64, v0
	v_cmp_lt_u32_e64 s[18:19], 63, v0
	s_waitcnt lgkmcnt(0)
	s_barrier
	s_waitcnt lgkmcnt(0)
                                        ; implicit-def: $vgpr29
	s_and_saveexec_b64 s[28:29], s[18:19]
	s_cbranch_execz .LBB2645_27
; %bb.26:
	v_lshl_add_u32 v13, v27, 2, -4
	ds_read_b32 v29, v13
	s_waitcnt lgkmcnt(0)
	v_add_u32_e32 v12, v29, v12
.LBB2645_27:
	s_or_b64 exec, exec, s[28:29]
	v_add_u32_e32 v13, -1, v26
	v_and_b32_e32 v14, 64, v26
	v_cmp_lt_i32_e64 s[18:19], v13, v14
	v_cndmask_b32_e64 v13, v13, v26, s[18:19]
	v_lshlrev_b32_e32 v13, 2, v13
	ds_bpermute_b32 v30, v13, v12
	v_cmp_eq_u32_e64 s[18:19], 0, v26
	s_and_saveexec_b64 s[28:29], vcc
	s_cbranch_execz .LBB2645_46
; %bb.28:
	v_mov_b32_e32 v19, 0
	ds_read_b32 v12, v19 offset:8
	s_and_saveexec_b64 s[30:31], s[18:19]
	s_cbranch_execz .LBB2645_30
; %bb.29:
	s_add_i32 s34, s36, 64
	s_mov_b32 s35, 0
	s_lshl_b64 s[34:35], s[34:35], 3
	s_add_u32 s34, s26, s34
	v_mov_b32_e32 v13, 1
	s_addc_u32 s35, s27, s35
	s_waitcnt lgkmcnt(0)
	global_store_dwordx2 v19, v[12:13], s[34:35]
.LBB2645_30:
	s_or_b64 exec, exec, s[30:31]
	v_xad_u32 v14, v26, -1, s36
	v_add_u32_e32 v18, 64, v14
	v_lshlrev_b64 v[16:17], 3, v[18:19]
	v_mov_b32_e32 v13, s27
	v_add_co_u32_e32 v20, vcc, s26, v16
	v_addc_co_u32_e32 v21, vcc, v13, v17, vcc
	global_load_dwordx2 v[16:17], v[20:21], off glc
	s_waitcnt vmcnt(0)
	v_cmp_eq_u16_sdwa s[34:35], v17, v19 src0_sel:BYTE_0 src1_sel:DWORD
	s_and_saveexec_b64 s[30:31], s[34:35]
	s_cbranch_execz .LBB2645_34
; %bb.31:
	s_mov_b64 s[34:35], 0
	v_mov_b32_e32 v13, 0
.LBB2645_32:                            ; =>This Inner Loop Header: Depth=1
	global_load_dwordx2 v[16:17], v[20:21], off glc
	s_waitcnt vmcnt(0)
	v_cmp_ne_u16_sdwa s[38:39], v17, v13 src0_sel:BYTE_0 src1_sel:DWORD
	s_or_b64 s[34:35], s[38:39], s[34:35]
	s_andn2_b64 exec, exec, s[34:35]
	s_cbranch_execnz .LBB2645_32
; %bb.33:
	s_or_b64 exec, exec, s[34:35]
.LBB2645_34:
	s_or_b64 exec, exec, s[30:31]
	v_and_b32_e32 v32, 63, v26
	v_mov_b32_e32 v31, 2
	v_cmp_ne_u32_e32 vcc, 63, v32
	v_cmp_eq_u16_sdwa s[30:31], v17, v31 src0_sel:BYTE_0 src1_sel:DWORD
	v_lshlrev_b64 v[18:19], v26, -1
	v_addc_co_u32_e32 v20, vcc, 0, v26, vcc
	v_and_b32_e32 v13, s31, v19
	v_lshlrev_b32_e32 v33, 2, v20
	v_or_b32_e32 v13, 0x80000000, v13
	ds_bpermute_b32 v20, v33, v16
	v_and_b32_e32 v15, s30, v18
	v_ffbl_b32_e32 v13, v13
	v_add_u32_e32 v13, 32, v13
	v_ffbl_b32_e32 v15, v15
	v_min_u32_e32 v13, v15, v13
	v_cmp_lt_u32_e32 vcc, v32, v13
	s_waitcnt lgkmcnt(0)
	v_cndmask_b32_e32 v15, 0, v20, vcc
	v_cmp_gt_u32_e32 vcc, 62, v32
	v_add_u32_e32 v15, v15, v16
	v_cndmask_b32_e64 v16, 0, 1, vcc
	v_lshlrev_b32_e32 v16, 1, v16
	v_add_lshl_u32 v34, v16, v26, 2
	ds_bpermute_b32 v16, v34, v15
	v_add_u32_e32 v35, 2, v32
	v_cmp_le_u32_e32 vcc, v35, v13
	v_add_u32_e32 v37, 4, v32
	v_add_u32_e32 v39, 8, v32
	s_waitcnt lgkmcnt(0)
	v_cndmask_b32_e32 v16, 0, v16, vcc
	v_cmp_gt_u32_e32 vcc, 60, v32
	v_add_u32_e32 v15, v15, v16
	v_cndmask_b32_e64 v16, 0, 1, vcc
	v_lshlrev_b32_e32 v16, 2, v16
	v_add_lshl_u32 v36, v16, v26, 2
	ds_bpermute_b32 v16, v36, v15
	v_cmp_le_u32_e32 vcc, v37, v13
	v_add_u32_e32 v41, 16, v32
	v_add_u32_e32 v43, 32, v32
	s_waitcnt lgkmcnt(0)
	v_cndmask_b32_e32 v16, 0, v16, vcc
	v_cmp_gt_u32_e32 vcc, 56, v32
	v_add_u32_e32 v15, v15, v16
	v_cndmask_b32_e64 v16, 0, 1, vcc
	v_lshlrev_b32_e32 v16, 3, v16
	v_add_lshl_u32 v38, v16, v26, 2
	ds_bpermute_b32 v16, v38, v15
	v_cmp_le_u32_e32 vcc, v39, v13
	s_waitcnt lgkmcnt(0)
	v_cndmask_b32_e32 v16, 0, v16, vcc
	v_cmp_gt_u32_e32 vcc, 48, v32
	v_add_u32_e32 v15, v15, v16
	v_cndmask_b32_e64 v16, 0, 1, vcc
	v_lshlrev_b32_e32 v16, 4, v16
	v_add_lshl_u32 v40, v16, v26, 2
	ds_bpermute_b32 v16, v40, v15
	v_cmp_le_u32_e32 vcc, v41, v13
	;; [unrolled: 9-line block ×3, first 2 shown]
	s_waitcnt lgkmcnt(0)
	v_cndmask_b32_e32 v13, 0, v16, vcc
	v_add_u32_e32 v16, v15, v13
	v_mov_b32_e32 v15, 0
	s_branch .LBB2645_36
.LBB2645_35:                            ;   in Loop: Header=BB2645_36 Depth=1
	s_or_b64 exec, exec, s[30:31]
	v_cmp_eq_u16_sdwa s[30:31], v17, v31 src0_sel:BYTE_0 src1_sel:DWORD
	v_and_b32_e32 v20, s31, v19
	v_or_b32_e32 v20, 0x80000000, v20
	ds_bpermute_b32 v44, v33, v16
	v_and_b32_e32 v21, s30, v18
	v_ffbl_b32_e32 v20, v20
	v_add_u32_e32 v20, 32, v20
	v_ffbl_b32_e32 v21, v21
	v_min_u32_e32 v20, v21, v20
	v_cmp_lt_u32_e32 vcc, v32, v20
	s_waitcnt lgkmcnt(0)
	v_cndmask_b32_e32 v21, 0, v44, vcc
	v_add_u32_e32 v16, v21, v16
	ds_bpermute_b32 v21, v34, v16
	v_cmp_le_u32_e32 vcc, v35, v20
	v_subrev_u32_e32 v14, 64, v14
	s_waitcnt lgkmcnt(0)
	v_cndmask_b32_e32 v21, 0, v21, vcc
	v_add_u32_e32 v16, v16, v21
	ds_bpermute_b32 v21, v36, v16
	v_cmp_le_u32_e32 vcc, v37, v20
	s_waitcnt lgkmcnt(0)
	v_cndmask_b32_e32 v21, 0, v21, vcc
	v_add_u32_e32 v16, v16, v21
	ds_bpermute_b32 v21, v38, v16
	v_cmp_le_u32_e32 vcc, v39, v20
	;; [unrolled: 5-line block ×4, first 2 shown]
	s_waitcnt lgkmcnt(0)
	v_cndmask_b32_e32 v20, 0, v21, vcc
	v_add3_u32 v16, v20, v13, v16
.LBB2645_36:                            ; =>This Loop Header: Depth=1
                                        ;     Child Loop BB2645_39 Depth 2
	v_cmp_ne_u16_sdwa s[30:31], v17, v31 src0_sel:BYTE_0 src1_sel:DWORD
	v_cndmask_b32_e64 v13, 0, 1, s[30:31]
	;;#ASMSTART
	;;#ASMEND
	v_cmp_ne_u32_e32 vcc, 0, v13
	s_cmp_lg_u64 vcc, exec
	v_mov_b32_e32 v13, v16
	s_cbranch_scc1 .LBB2645_41
; %bb.37:                               ;   in Loop: Header=BB2645_36 Depth=1
	v_lshlrev_b64 v[16:17], 3, v[14:15]
	v_mov_b32_e32 v21, s27
	v_add_co_u32_e32 v20, vcc, s26, v16
	v_addc_co_u32_e32 v21, vcc, v21, v17, vcc
	global_load_dwordx2 v[16:17], v[20:21], off glc
	s_waitcnt vmcnt(0)
	v_cmp_eq_u16_sdwa s[34:35], v17, v15 src0_sel:BYTE_0 src1_sel:DWORD
	s_and_saveexec_b64 s[30:31], s[34:35]
	s_cbranch_execz .LBB2645_35
; %bb.38:                               ;   in Loop: Header=BB2645_36 Depth=1
	s_mov_b64 s[34:35], 0
.LBB2645_39:                            ;   Parent Loop BB2645_36 Depth=1
                                        ; =>  This Inner Loop Header: Depth=2
	global_load_dwordx2 v[16:17], v[20:21], off glc
	s_waitcnt vmcnt(0)
	v_cmp_ne_u16_sdwa s[38:39], v17, v15 src0_sel:BYTE_0 src1_sel:DWORD
	s_or_b64 s[34:35], s[38:39], s[34:35]
	s_andn2_b64 exec, exec, s[34:35]
	s_cbranch_execnz .LBB2645_39
; %bb.40:                               ;   in Loop: Header=BB2645_36 Depth=1
	s_or_b64 exec, exec, s[34:35]
	s_branch .LBB2645_35
.LBB2645_41:                            ;   in Loop: Header=BB2645_36 Depth=1
                                        ; implicit-def: $vgpr16
                                        ; implicit-def: $vgpr17
	s_cbranch_execz .LBB2645_36
; %bb.42:
	s_and_saveexec_b64 s[30:31], s[18:19]
	s_cbranch_execz .LBB2645_44
; %bb.43:
	s_add_i32 s34, s36, 64
	s_mov_b32 s35, 0
	s_lshl_b64 s[34:35], s[34:35], 3
	s_add_u32 s34, s26, s34
	v_add_u32_e32 v14, v13, v12
	v_mov_b32_e32 v15, 2
	s_addc_u32 s35, s27, s35
	v_mov_b32_e32 v16, 0
	global_store_dwordx2 v16, v[14:15], s[34:35]
	ds_write_b64 v16, v[12:13] offset:6336
.LBB2645_44:
	s_or_b64 exec, exec, s[30:31]
	s_and_b64 exec, exec, s[0:1]
	s_cbranch_execz .LBB2645_46
; %bb.45:
	v_mov_b32_e32 v12, 0
	ds_write_b32 v12, v13 offset:8
.LBB2645_46:
	s_or_b64 exec, exec, s[28:29]
	v_mov_b32_e32 v12, 0
	s_waitcnt lgkmcnt(0)
	s_barrier
	ds_read_b32 v13, v12 offset:8
	v_cndmask_b32_e64 v14, v30, v29, s[18:19]
	v_cndmask_b32_e64 v14, v14, 0, s[0:1]
	s_waitcnt lgkmcnt(0)
	s_barrier
	v_add_u32_e32 v17, v13, v14
	ds_read_b64 v[12:13], v12 offset:6336
	v_add_u32_sdwa v18, v17, v23 dst_sel:DWORD dst_unused:UNUSED_PAD src0_sel:DWORD src1_sel:BYTE_0
	v_add_u32_sdwa v16, v18, v23 dst_sel:DWORD dst_unused:UNUSED_PAD src0_sel:DWORD src1_sel:BYTE_1
	v_add_u32_e32 v15, v16, v25
	s_waitcnt lgkmcnt(0)
	v_mov_b32_e32 v14, v13
	s_branch .LBB2645_57
.LBB2645_47:
                                        ; implicit-def: $vgpr14
                                        ; implicit-def: $vgpr12
                                        ; implicit-def: $vgpr15
                                        ; implicit-def: $vgpr16
                                        ; implicit-def: $vgpr18
                                        ; implicit-def: $vgpr17
	s_cbranch_execz .LBB2645_57
; %bb.48:
	s_nop 0
	v_mov_b32_dpp v12, v28 row_shr:1 row_mask:0xf bank_mask:0xf
	v_cndmask_b32_e64 v12, v12, 0, s[16:17]
	v_add_u32_e32 v12, v12, v28
	s_nop 1
	v_mov_b32_dpp v13, v12 row_shr:2 row_mask:0xf bank_mask:0xf
	v_cndmask_b32_e64 v13, 0, v13, s[14:15]
	v_add_u32_e32 v12, v12, v13
	;; [unrolled: 4-line block ×4, first 2 shown]
	s_nop 1
	v_mov_b32_dpp v13, v12 row_bcast:15 row_mask:0xf bank_mask:0xf
	v_cndmask_b32_e64 v13, v13, 0, s[6:7]
	v_add_u32_e32 v12, v12, v13
	s_nop 1
	v_mov_b32_dpp v13, v12 row_bcast:31 row_mask:0xf bank_mask:0xf
	v_cndmask_b32_e64 v13, 0, v13, s[4:5]
	v_add_u32_e32 v12, v12, v13
	s_and_saveexec_b64 s[4:5], s[8:9]
	s_cbranch_execz .LBB2645_50
; %bb.49:
	v_lshlrev_b32_e32 v13, 2, v27
	ds_write_b32 v13, v12
.LBB2645_50:
	s_or_b64 exec, exec, s[4:5]
	v_cmp_gt_u32_e32 vcc, 3, v0
	s_waitcnt lgkmcnt(0)
	s_barrier
	s_and_saveexec_b64 s[4:5], vcc
	s_cbranch_execz .LBB2645_52
; %bb.51:
	ds_read_b32 v13, v22
	v_and_b32_e32 v14, 3, v26
	v_cmp_ne_u32_e32 vcc, 0, v14
	s_waitcnt lgkmcnt(0)
	v_mov_b32_dpp v15, v13 row_shr:1 row_mask:0xf bank_mask:0xf
	v_cndmask_b32_e32 v15, 0, v15, vcc
	v_add_u32_e32 v13, v15, v13
	v_cmp_lt_u32_e32 vcc, 1, v14
	s_nop 0
	v_mov_b32_dpp v15, v13 row_shr:2 row_mask:0xf bank_mask:0xf
	v_cndmask_b32_e32 v14, 0, v15, vcc
	v_add_u32_e32 v13, v13, v14
	ds_write_b32 v22, v13
.LBB2645_52:
	s_or_b64 exec, exec, s[4:5]
	v_cmp_lt_u32_e32 vcc, 63, v0
	v_mov_b32_e32 v13, 0
	v_mov_b32_e32 v14, 0
	s_waitcnt lgkmcnt(0)
	s_barrier
	s_and_saveexec_b64 s[4:5], vcc
	s_cbranch_execz .LBB2645_54
; %bb.53:
	v_lshl_add_u32 v14, v27, 2, -4
	ds_read_b32 v14, v14
.LBB2645_54:
	s_or_b64 exec, exec, s[4:5]
	v_add_u32_e32 v15, -1, v26
	v_and_b32_e32 v16, 64, v26
	v_cmp_lt_i32_e32 vcc, v15, v16
	v_cndmask_b32_e32 v15, v15, v26, vcc
	s_waitcnt lgkmcnt(0)
	v_add_u32_e32 v12, v14, v12
	v_lshlrev_b32_e32 v15, 2, v15
	ds_bpermute_b32 v15, v15, v12
	ds_read_b32 v12, v13 offset:8
	s_and_saveexec_b64 s[4:5], s[0:1]
	s_cbranch_execz .LBB2645_56
; %bb.55:
	v_mov_b32_e32 v16, 0
	v_mov_b32_e32 v13, 2
	s_waitcnt lgkmcnt(0)
	global_store_dwordx2 v16, v[12:13], s[26:27] offset:512
.LBB2645_56:
	s_or_b64 exec, exec, s[4:5]
	v_cmp_eq_u32_e32 vcc, 0, v26
	s_waitcnt lgkmcnt(1)
	v_cndmask_b32_e32 v13, v15, v14, vcc
	v_cndmask_b32_e64 v17, v13, 0, s[0:1]
	v_add_u32_sdwa v18, v17, v23 dst_sel:DWORD dst_unused:UNUSED_PAD src0_sel:DWORD src1_sel:BYTE_0
	v_add_u32_sdwa v16, v18, v23 dst_sel:DWORD dst_unused:UNUSED_PAD src0_sel:DWORD src1_sel:BYTE_1
	v_mov_b32_e32 v14, 0
	v_add_u32_e32 v15, v16, v25
	s_waitcnt lgkmcnt(0)
	s_barrier
.LBB2645_57:
	v_add_u32_e32 v19, v12, v22
	v_sub_u32_e32 v17, v17, v14
	v_and_b32_e32 v21, 1, v23
	v_sub_u32_e32 v20, v19, v17
	v_cmp_eq_u32_e32 vcc, 1, v21
	v_cndmask_b32_e32 v17, v20, v17, vcc
	v_lshlrev_b32_e32 v17, 3, v17
	v_lshrrev_b32_e32 v13, 8, v23
	ds_write_b64 v17, v[6:7]
	v_sub_u32_e32 v6, v18, v14
	v_sub_u32_e32 v7, v19, v6
	v_and_b32_e32 v13, 1, v13
	v_add_u32_e32 v7, 1, v7
	v_cmp_eq_u32_e32 vcc, 1, v13
	v_cndmask_b32_e32 v6, v7, v6, vcc
	v_lshlrev_b32_e32 v6, 3, v6
	ds_write_b64 v6, v[8:9]
	v_sub_u32_e32 v6, v16, v14
	v_mov_b32_e32 v8, 1
	v_sub_u32_e32 v7, v19, v6
	v_and_b32_sdwa v8, v8, v23 dst_sel:DWORD dst_unused:UNUSED_PAD src0_sel:DWORD src1_sel:WORD_1
	v_add_u32_e32 v7, 2, v7
	v_cmp_eq_u32_e32 vcc, 1, v8
	v_cndmask_b32_e32 v6, v7, v6, vcc
	v_lshlrev_b32_e32 v6, 3, v6
	ds_write_b64 v6, v[2:3]
	v_sub_u32_e32 v2, v15, v14
	v_sub_u32_e32 v3, v19, v2
	v_and_b32_e32 v6, 1, v24
	v_add_u32_e32 v3, 3, v3
	v_cmp_eq_u32_e32 vcc, 1, v6
	v_cndmask_b32_e32 v2, v3, v2, vcc
	v_lshlrev_b32_e32 v2, 3, v2
	ds_write_b64 v2, v[4:5]
	s_waitcnt lgkmcnt(0)
	s_barrier
	ds_read2st64_b64 v[6:9], v1 offset1:3
	ds_read2st64_b64 v[2:5], v1 offset0:6 offset1:9
	v_add_u32_e32 v21, 0xc0, v0
	v_add_u32_e32 v20, 0x180, v0
	;; [unrolled: 1-line block ×3, first 2 shown]
	s_and_b64 vcc, exec, s[2:3]
	s_waitcnt vmcnt(0)
	v_lshlrev_b64 v[18:19], 3, v[10:11]
	s_cbranch_vccnz .LBB2645_63
; %bb.58:
	v_mov_b32_e32 v15, 0
	v_mov_b32_e32 v16, s25
	v_add_co_u32_e32 v22, vcc, s24, v18
	v_addc_co_u32_e32 v23, vcc, v16, v19, vcc
	v_lshlrev_b64 v[16:17], 3, v[14:15]
	v_add_co_u32_e32 v16, vcc, v22, v16
	v_addc_co_u32_e32 v17, vcc, v23, v17, vcc
	v_cmp_lt_u32_e32 vcc, v0, v12
	s_and_saveexec_b64 s[2:3], vcc
	s_cbranch_execnz .LBB2645_74
; %bb.59:
	s_or_b64 exec, exec, s[2:3]
	v_cmp_lt_u32_e32 vcc, v21, v12
	s_and_saveexec_b64 s[2:3], vcc
	s_cbranch_execnz .LBB2645_75
.LBB2645_60:
	s_or_b64 exec, exec, s[2:3]
	v_cmp_lt_u32_e32 vcc, v20, v12
	s_and_saveexec_b64 s[2:3], vcc
	s_cbranch_execz .LBB2645_62
.LBB2645_61:
	v_readfirstlane_b32 s4, v16
	v_readfirstlane_b32 s5, v17
	s_waitcnt lgkmcnt(0)
	s_nop 3
	global_store_dwordx2 v1, v[2:3], s[4:5] offset:3072
.LBB2645_62:
	s_or_b64 exec, exec, s[2:3]
	v_cmp_lt_u32_e64 s[2:3], v13, v12
	s_branch .LBB2645_69
.LBB2645_63:
	s_mov_b64 s[2:3], 0
                                        ; implicit-def: $vgpr16_vgpr17
	s_cbranch_execz .LBB2645_69
; %bb.64:
	v_mov_b32_e32 v15, 0
	v_mov_b32_e32 v16, s25
	v_add_co_u32_e32 v18, vcc, s24, v18
	v_addc_co_u32_e32 v19, vcc, v16, v19, vcc
	v_lshlrev_b64 v[16:17], 3, v[14:15]
	v_add_co_u32_e32 v16, vcc, v18, v16
	v_min_u32_e32 v22, s33, v12
	v_addc_co_u32_e32 v17, vcc, v19, v17, vcc
	v_cmp_gt_u32_e32 vcc, v22, v0
	s_and_saveexec_b64 s[2:3], vcc
	s_cbranch_execnz .LBB2645_76
; %bb.65:
	s_or_b64 exec, exec, s[2:3]
	v_cmp_lt_u32_e32 vcc, v21, v22
	s_and_saveexec_b64 s[2:3], vcc
	s_cbranch_execnz .LBB2645_77
.LBB2645_66:
	s_or_b64 exec, exec, s[2:3]
	v_cmp_lt_u32_e32 vcc, v20, v22
	s_and_saveexec_b64 s[2:3], vcc
	s_cbranch_execz .LBB2645_68
.LBB2645_67:
	v_readfirstlane_b32 s4, v16
	v_readfirstlane_b32 s5, v17
	s_waitcnt lgkmcnt(0)
	s_nop 3
	global_store_dwordx2 v1, v[2:3], s[4:5] offset:3072
.LBB2645_68:
	s_or_b64 exec, exec, s[2:3]
	v_cmp_lt_u32_e64 s[2:3], v13, v22
.LBB2645_69:
	s_and_saveexec_b64 s[4:5], s[2:3]
	s_cbranch_execnz .LBB2645_72
; %bb.70:
	s_or_b64 exec, exec, s[4:5]
	s_and_b64 s[0:1], s[0:1], s[22:23]
	s_and_saveexec_b64 s[2:3], s[0:1]
	s_cbranch_execnz .LBB2645_73
.LBB2645_71:
	s_endpgm
.LBB2645_72:
	v_lshlrev_b32_e32 v0, 3, v13
	v_readfirstlane_b32 s2, v16
	v_readfirstlane_b32 s3, v17
	s_waitcnt lgkmcnt(0)
	s_nop 3
	global_store_dwordx2 v0, v[4:5], s[2:3]
	s_or_b64 exec, exec, s[4:5]
	s_and_b64 s[0:1], s[0:1], s[22:23]
	s_and_saveexec_b64 s[2:3], s[0:1]
	s_cbranch_execz .LBB2645_71
.LBB2645_73:
	v_add_co_u32_e32 v0, vcc, v10, v12
	v_addc_co_u32_e32 v1, vcc, 0, v11, vcc
	v_add_co_u32_e32 v0, vcc, v0, v14
	s_waitcnt lgkmcnt(0)
	v_mov_b32_e32 v2, 0
	v_addc_co_u32_e32 v1, vcc, 0, v1, vcc
	global_store_dwordx2 v2, v[0:1], s[20:21]
	s_endpgm
.LBB2645_74:
	v_readfirstlane_b32 s4, v16
	v_readfirstlane_b32 s5, v17
	s_waitcnt lgkmcnt(1)
	s_nop 3
	global_store_dwordx2 v1, v[6:7], s[4:5]
	s_or_b64 exec, exec, s[2:3]
	v_cmp_lt_u32_e32 vcc, v21, v12
	s_and_saveexec_b64 s[2:3], vcc
	s_cbranch_execz .LBB2645_60
.LBB2645_75:
	v_readfirstlane_b32 s4, v16
	v_readfirstlane_b32 s5, v17
	s_waitcnt lgkmcnt(1)
	s_nop 3
	global_store_dwordx2 v1, v[8:9], s[4:5] offset:1536
	s_or_b64 exec, exec, s[2:3]
	v_cmp_lt_u32_e32 vcc, v20, v12
	s_and_saveexec_b64 s[2:3], vcc
	s_cbranch_execnz .LBB2645_61
	s_branch .LBB2645_62
.LBB2645_76:
	v_readfirstlane_b32 s4, v16
	v_readfirstlane_b32 s5, v17
	s_waitcnt lgkmcnt(1)
	s_nop 3
	global_store_dwordx2 v1, v[6:7], s[4:5]
	s_or_b64 exec, exec, s[2:3]
	v_cmp_lt_u32_e32 vcc, v21, v22
	s_and_saveexec_b64 s[2:3], vcc
	s_cbranch_execz .LBB2645_66
.LBB2645_77:
	v_readfirstlane_b32 s4, v16
	v_readfirstlane_b32 s5, v17
	s_waitcnt lgkmcnt(1)
	s_nop 3
	global_store_dwordx2 v1, v[8:9], s[4:5] offset:1536
	s_or_b64 exec, exec, s[2:3]
	v_cmp_lt_u32_e32 vcc, v20, v22
	s_and_saveexec_b64 s[2:3], vcc
	s_cbranch_execnz .LBB2645_67
	s_branch .LBB2645_68
	.section	.rodata,"a",@progbits
	.p2align	6, 0x0
	.amdhsa_kernel _ZN7rocprim17ROCPRIM_400000_NS6detail17trampoline_kernelINS0_14default_configENS1_25partition_config_selectorILNS1_17partition_subalgoE0ExNS0_10empty_typeEbEEZZNS1_14partition_implILS5_0ELb0ES3_jN6thrust23THRUST_200600_302600_NS6detail15normal_iteratorINSA_10device_ptrIxEEEEPS6_SG_NS0_5tupleIJSF_NSA_16discard_iteratorINSA_11use_defaultEEEEEENSH_IJSG_SG_EEES6_PlJ7is_evenIxEEEE10hipError_tPvRmT3_T4_T5_T6_T7_T9_mT8_P12ihipStream_tbDpT10_ENKUlT_T0_E_clISt17integral_constantIbLb0EES18_IbLb1EEEEDaS14_S15_EUlS14_E_NS1_11comp_targetILNS1_3genE4ELNS1_11target_archE910ELNS1_3gpuE8ELNS1_3repE0EEENS1_30default_config_static_selectorELNS0_4arch9wavefront6targetE1EEEvT1_
		.amdhsa_group_segment_fixed_size 6344
		.amdhsa_private_segment_fixed_size 0
		.amdhsa_kernarg_size 144
		.amdhsa_user_sgpr_count 6
		.amdhsa_user_sgpr_private_segment_buffer 1
		.amdhsa_user_sgpr_dispatch_ptr 0
		.amdhsa_user_sgpr_queue_ptr 0
		.amdhsa_user_sgpr_kernarg_segment_ptr 1
		.amdhsa_user_sgpr_dispatch_id 0
		.amdhsa_user_sgpr_flat_scratch_init 0
		.amdhsa_user_sgpr_kernarg_preload_length 0
		.amdhsa_user_sgpr_kernarg_preload_offset 0
		.amdhsa_user_sgpr_private_segment_size 0
		.amdhsa_uses_dynamic_stack 0
		.amdhsa_system_sgpr_private_segment_wavefront_offset 0
		.amdhsa_system_sgpr_workgroup_id_x 1
		.amdhsa_system_sgpr_workgroup_id_y 0
		.amdhsa_system_sgpr_workgroup_id_z 0
		.amdhsa_system_sgpr_workgroup_info 0
		.amdhsa_system_vgpr_workitem_id 0
		.amdhsa_next_free_vgpr 45
		.amdhsa_next_free_sgpr 40
		.amdhsa_accum_offset 48
		.amdhsa_reserve_vcc 1
		.amdhsa_reserve_flat_scratch 0
		.amdhsa_float_round_mode_32 0
		.amdhsa_float_round_mode_16_64 0
		.amdhsa_float_denorm_mode_32 3
		.amdhsa_float_denorm_mode_16_64 3
		.amdhsa_dx10_clamp 1
		.amdhsa_ieee_mode 1
		.amdhsa_fp16_overflow 0
		.amdhsa_tg_split 0
		.amdhsa_exception_fp_ieee_invalid_op 0
		.amdhsa_exception_fp_denorm_src 0
		.amdhsa_exception_fp_ieee_div_zero 0
		.amdhsa_exception_fp_ieee_overflow 0
		.amdhsa_exception_fp_ieee_underflow 0
		.amdhsa_exception_fp_ieee_inexact 0
		.amdhsa_exception_int_div_zero 0
	.end_amdhsa_kernel
	.section	.text._ZN7rocprim17ROCPRIM_400000_NS6detail17trampoline_kernelINS0_14default_configENS1_25partition_config_selectorILNS1_17partition_subalgoE0ExNS0_10empty_typeEbEEZZNS1_14partition_implILS5_0ELb0ES3_jN6thrust23THRUST_200600_302600_NS6detail15normal_iteratorINSA_10device_ptrIxEEEEPS6_SG_NS0_5tupleIJSF_NSA_16discard_iteratorINSA_11use_defaultEEEEEENSH_IJSG_SG_EEES6_PlJ7is_evenIxEEEE10hipError_tPvRmT3_T4_T5_T6_T7_T9_mT8_P12ihipStream_tbDpT10_ENKUlT_T0_E_clISt17integral_constantIbLb0EES18_IbLb1EEEEDaS14_S15_EUlS14_E_NS1_11comp_targetILNS1_3genE4ELNS1_11target_archE910ELNS1_3gpuE8ELNS1_3repE0EEENS1_30default_config_static_selectorELNS0_4arch9wavefront6targetE1EEEvT1_,"axG",@progbits,_ZN7rocprim17ROCPRIM_400000_NS6detail17trampoline_kernelINS0_14default_configENS1_25partition_config_selectorILNS1_17partition_subalgoE0ExNS0_10empty_typeEbEEZZNS1_14partition_implILS5_0ELb0ES3_jN6thrust23THRUST_200600_302600_NS6detail15normal_iteratorINSA_10device_ptrIxEEEEPS6_SG_NS0_5tupleIJSF_NSA_16discard_iteratorINSA_11use_defaultEEEEEENSH_IJSG_SG_EEES6_PlJ7is_evenIxEEEE10hipError_tPvRmT3_T4_T5_T6_T7_T9_mT8_P12ihipStream_tbDpT10_ENKUlT_T0_E_clISt17integral_constantIbLb0EES18_IbLb1EEEEDaS14_S15_EUlS14_E_NS1_11comp_targetILNS1_3genE4ELNS1_11target_archE910ELNS1_3gpuE8ELNS1_3repE0EEENS1_30default_config_static_selectorELNS0_4arch9wavefront6targetE1EEEvT1_,comdat
.Lfunc_end2645:
	.size	_ZN7rocprim17ROCPRIM_400000_NS6detail17trampoline_kernelINS0_14default_configENS1_25partition_config_selectorILNS1_17partition_subalgoE0ExNS0_10empty_typeEbEEZZNS1_14partition_implILS5_0ELb0ES3_jN6thrust23THRUST_200600_302600_NS6detail15normal_iteratorINSA_10device_ptrIxEEEEPS6_SG_NS0_5tupleIJSF_NSA_16discard_iteratorINSA_11use_defaultEEEEEENSH_IJSG_SG_EEES6_PlJ7is_evenIxEEEE10hipError_tPvRmT3_T4_T5_T6_T7_T9_mT8_P12ihipStream_tbDpT10_ENKUlT_T0_E_clISt17integral_constantIbLb0EES18_IbLb1EEEEDaS14_S15_EUlS14_E_NS1_11comp_targetILNS1_3genE4ELNS1_11target_archE910ELNS1_3gpuE8ELNS1_3repE0EEENS1_30default_config_static_selectorELNS0_4arch9wavefront6targetE1EEEvT1_, .Lfunc_end2645-_ZN7rocprim17ROCPRIM_400000_NS6detail17trampoline_kernelINS0_14default_configENS1_25partition_config_selectorILNS1_17partition_subalgoE0ExNS0_10empty_typeEbEEZZNS1_14partition_implILS5_0ELb0ES3_jN6thrust23THRUST_200600_302600_NS6detail15normal_iteratorINSA_10device_ptrIxEEEEPS6_SG_NS0_5tupleIJSF_NSA_16discard_iteratorINSA_11use_defaultEEEEEENSH_IJSG_SG_EEES6_PlJ7is_evenIxEEEE10hipError_tPvRmT3_T4_T5_T6_T7_T9_mT8_P12ihipStream_tbDpT10_ENKUlT_T0_E_clISt17integral_constantIbLb0EES18_IbLb1EEEEDaS14_S15_EUlS14_E_NS1_11comp_targetILNS1_3genE4ELNS1_11target_archE910ELNS1_3gpuE8ELNS1_3repE0EEENS1_30default_config_static_selectorELNS0_4arch9wavefront6targetE1EEEvT1_
                                        ; -- End function
	.section	.AMDGPU.csdata,"",@progbits
; Kernel info:
; codeLenInByte = 3728
; NumSgprs: 44
; NumVgprs: 45
; NumAgprs: 0
; TotalNumVgprs: 45
; ScratchSize: 0
; MemoryBound: 0
; FloatMode: 240
; IeeeMode: 1
; LDSByteSize: 6344 bytes/workgroup (compile time only)
; SGPRBlocks: 5
; VGPRBlocks: 5
; NumSGPRsForWavesPerEU: 44
; NumVGPRsForWavesPerEU: 45
; AccumOffset: 48
; Occupancy: 8
; WaveLimiterHint : 1
; COMPUTE_PGM_RSRC2:SCRATCH_EN: 0
; COMPUTE_PGM_RSRC2:USER_SGPR: 6
; COMPUTE_PGM_RSRC2:TRAP_HANDLER: 0
; COMPUTE_PGM_RSRC2:TGID_X_EN: 1
; COMPUTE_PGM_RSRC2:TGID_Y_EN: 0
; COMPUTE_PGM_RSRC2:TGID_Z_EN: 0
; COMPUTE_PGM_RSRC2:TIDIG_COMP_CNT: 0
; COMPUTE_PGM_RSRC3_GFX90A:ACCUM_OFFSET: 11
; COMPUTE_PGM_RSRC3_GFX90A:TG_SPLIT: 0
	.section	.text._ZN7rocprim17ROCPRIM_400000_NS6detail17trampoline_kernelINS0_14default_configENS1_25partition_config_selectorILNS1_17partition_subalgoE0ExNS0_10empty_typeEbEEZZNS1_14partition_implILS5_0ELb0ES3_jN6thrust23THRUST_200600_302600_NS6detail15normal_iteratorINSA_10device_ptrIxEEEEPS6_SG_NS0_5tupleIJSF_NSA_16discard_iteratorINSA_11use_defaultEEEEEENSH_IJSG_SG_EEES6_PlJ7is_evenIxEEEE10hipError_tPvRmT3_T4_T5_T6_T7_T9_mT8_P12ihipStream_tbDpT10_ENKUlT_T0_E_clISt17integral_constantIbLb0EES18_IbLb1EEEEDaS14_S15_EUlS14_E_NS1_11comp_targetILNS1_3genE3ELNS1_11target_archE908ELNS1_3gpuE7ELNS1_3repE0EEENS1_30default_config_static_selectorELNS0_4arch9wavefront6targetE1EEEvT1_,"axG",@progbits,_ZN7rocprim17ROCPRIM_400000_NS6detail17trampoline_kernelINS0_14default_configENS1_25partition_config_selectorILNS1_17partition_subalgoE0ExNS0_10empty_typeEbEEZZNS1_14partition_implILS5_0ELb0ES3_jN6thrust23THRUST_200600_302600_NS6detail15normal_iteratorINSA_10device_ptrIxEEEEPS6_SG_NS0_5tupleIJSF_NSA_16discard_iteratorINSA_11use_defaultEEEEEENSH_IJSG_SG_EEES6_PlJ7is_evenIxEEEE10hipError_tPvRmT3_T4_T5_T6_T7_T9_mT8_P12ihipStream_tbDpT10_ENKUlT_T0_E_clISt17integral_constantIbLb0EES18_IbLb1EEEEDaS14_S15_EUlS14_E_NS1_11comp_targetILNS1_3genE3ELNS1_11target_archE908ELNS1_3gpuE7ELNS1_3repE0EEENS1_30default_config_static_selectorELNS0_4arch9wavefront6targetE1EEEvT1_,comdat
	.protected	_ZN7rocprim17ROCPRIM_400000_NS6detail17trampoline_kernelINS0_14default_configENS1_25partition_config_selectorILNS1_17partition_subalgoE0ExNS0_10empty_typeEbEEZZNS1_14partition_implILS5_0ELb0ES3_jN6thrust23THRUST_200600_302600_NS6detail15normal_iteratorINSA_10device_ptrIxEEEEPS6_SG_NS0_5tupleIJSF_NSA_16discard_iteratorINSA_11use_defaultEEEEEENSH_IJSG_SG_EEES6_PlJ7is_evenIxEEEE10hipError_tPvRmT3_T4_T5_T6_T7_T9_mT8_P12ihipStream_tbDpT10_ENKUlT_T0_E_clISt17integral_constantIbLb0EES18_IbLb1EEEEDaS14_S15_EUlS14_E_NS1_11comp_targetILNS1_3genE3ELNS1_11target_archE908ELNS1_3gpuE7ELNS1_3repE0EEENS1_30default_config_static_selectorELNS0_4arch9wavefront6targetE1EEEvT1_ ; -- Begin function _ZN7rocprim17ROCPRIM_400000_NS6detail17trampoline_kernelINS0_14default_configENS1_25partition_config_selectorILNS1_17partition_subalgoE0ExNS0_10empty_typeEbEEZZNS1_14partition_implILS5_0ELb0ES3_jN6thrust23THRUST_200600_302600_NS6detail15normal_iteratorINSA_10device_ptrIxEEEEPS6_SG_NS0_5tupleIJSF_NSA_16discard_iteratorINSA_11use_defaultEEEEEENSH_IJSG_SG_EEES6_PlJ7is_evenIxEEEE10hipError_tPvRmT3_T4_T5_T6_T7_T9_mT8_P12ihipStream_tbDpT10_ENKUlT_T0_E_clISt17integral_constantIbLb0EES18_IbLb1EEEEDaS14_S15_EUlS14_E_NS1_11comp_targetILNS1_3genE3ELNS1_11target_archE908ELNS1_3gpuE7ELNS1_3repE0EEENS1_30default_config_static_selectorELNS0_4arch9wavefront6targetE1EEEvT1_
	.globl	_ZN7rocprim17ROCPRIM_400000_NS6detail17trampoline_kernelINS0_14default_configENS1_25partition_config_selectorILNS1_17partition_subalgoE0ExNS0_10empty_typeEbEEZZNS1_14partition_implILS5_0ELb0ES3_jN6thrust23THRUST_200600_302600_NS6detail15normal_iteratorINSA_10device_ptrIxEEEEPS6_SG_NS0_5tupleIJSF_NSA_16discard_iteratorINSA_11use_defaultEEEEEENSH_IJSG_SG_EEES6_PlJ7is_evenIxEEEE10hipError_tPvRmT3_T4_T5_T6_T7_T9_mT8_P12ihipStream_tbDpT10_ENKUlT_T0_E_clISt17integral_constantIbLb0EES18_IbLb1EEEEDaS14_S15_EUlS14_E_NS1_11comp_targetILNS1_3genE3ELNS1_11target_archE908ELNS1_3gpuE7ELNS1_3repE0EEENS1_30default_config_static_selectorELNS0_4arch9wavefront6targetE1EEEvT1_
	.p2align	8
	.type	_ZN7rocprim17ROCPRIM_400000_NS6detail17trampoline_kernelINS0_14default_configENS1_25partition_config_selectorILNS1_17partition_subalgoE0ExNS0_10empty_typeEbEEZZNS1_14partition_implILS5_0ELb0ES3_jN6thrust23THRUST_200600_302600_NS6detail15normal_iteratorINSA_10device_ptrIxEEEEPS6_SG_NS0_5tupleIJSF_NSA_16discard_iteratorINSA_11use_defaultEEEEEENSH_IJSG_SG_EEES6_PlJ7is_evenIxEEEE10hipError_tPvRmT3_T4_T5_T6_T7_T9_mT8_P12ihipStream_tbDpT10_ENKUlT_T0_E_clISt17integral_constantIbLb0EES18_IbLb1EEEEDaS14_S15_EUlS14_E_NS1_11comp_targetILNS1_3genE3ELNS1_11target_archE908ELNS1_3gpuE7ELNS1_3repE0EEENS1_30default_config_static_selectorELNS0_4arch9wavefront6targetE1EEEvT1_,@function
_ZN7rocprim17ROCPRIM_400000_NS6detail17trampoline_kernelINS0_14default_configENS1_25partition_config_selectorILNS1_17partition_subalgoE0ExNS0_10empty_typeEbEEZZNS1_14partition_implILS5_0ELb0ES3_jN6thrust23THRUST_200600_302600_NS6detail15normal_iteratorINSA_10device_ptrIxEEEEPS6_SG_NS0_5tupleIJSF_NSA_16discard_iteratorINSA_11use_defaultEEEEEENSH_IJSG_SG_EEES6_PlJ7is_evenIxEEEE10hipError_tPvRmT3_T4_T5_T6_T7_T9_mT8_P12ihipStream_tbDpT10_ENKUlT_T0_E_clISt17integral_constantIbLb0EES18_IbLb1EEEEDaS14_S15_EUlS14_E_NS1_11comp_targetILNS1_3genE3ELNS1_11target_archE908ELNS1_3gpuE7ELNS1_3repE0EEENS1_30default_config_static_selectorELNS0_4arch9wavefront6targetE1EEEvT1_: ; @_ZN7rocprim17ROCPRIM_400000_NS6detail17trampoline_kernelINS0_14default_configENS1_25partition_config_selectorILNS1_17partition_subalgoE0ExNS0_10empty_typeEbEEZZNS1_14partition_implILS5_0ELb0ES3_jN6thrust23THRUST_200600_302600_NS6detail15normal_iteratorINSA_10device_ptrIxEEEEPS6_SG_NS0_5tupleIJSF_NSA_16discard_iteratorINSA_11use_defaultEEEEEENSH_IJSG_SG_EEES6_PlJ7is_evenIxEEEE10hipError_tPvRmT3_T4_T5_T6_T7_T9_mT8_P12ihipStream_tbDpT10_ENKUlT_T0_E_clISt17integral_constantIbLb0EES18_IbLb1EEEEDaS14_S15_EUlS14_E_NS1_11comp_targetILNS1_3genE3ELNS1_11target_archE908ELNS1_3gpuE7ELNS1_3repE0EEENS1_30default_config_static_selectorELNS0_4arch9wavefront6targetE1EEEvT1_
; %bb.0:
	.section	.rodata,"a",@progbits
	.p2align	6, 0x0
	.amdhsa_kernel _ZN7rocprim17ROCPRIM_400000_NS6detail17trampoline_kernelINS0_14default_configENS1_25partition_config_selectorILNS1_17partition_subalgoE0ExNS0_10empty_typeEbEEZZNS1_14partition_implILS5_0ELb0ES3_jN6thrust23THRUST_200600_302600_NS6detail15normal_iteratorINSA_10device_ptrIxEEEEPS6_SG_NS0_5tupleIJSF_NSA_16discard_iteratorINSA_11use_defaultEEEEEENSH_IJSG_SG_EEES6_PlJ7is_evenIxEEEE10hipError_tPvRmT3_T4_T5_T6_T7_T9_mT8_P12ihipStream_tbDpT10_ENKUlT_T0_E_clISt17integral_constantIbLb0EES18_IbLb1EEEEDaS14_S15_EUlS14_E_NS1_11comp_targetILNS1_3genE3ELNS1_11target_archE908ELNS1_3gpuE7ELNS1_3repE0EEENS1_30default_config_static_selectorELNS0_4arch9wavefront6targetE1EEEvT1_
		.amdhsa_group_segment_fixed_size 0
		.amdhsa_private_segment_fixed_size 0
		.amdhsa_kernarg_size 144
		.amdhsa_user_sgpr_count 6
		.amdhsa_user_sgpr_private_segment_buffer 1
		.amdhsa_user_sgpr_dispatch_ptr 0
		.amdhsa_user_sgpr_queue_ptr 0
		.amdhsa_user_sgpr_kernarg_segment_ptr 1
		.amdhsa_user_sgpr_dispatch_id 0
		.amdhsa_user_sgpr_flat_scratch_init 0
		.amdhsa_user_sgpr_kernarg_preload_length 0
		.amdhsa_user_sgpr_kernarg_preload_offset 0
		.amdhsa_user_sgpr_private_segment_size 0
		.amdhsa_uses_dynamic_stack 0
		.amdhsa_system_sgpr_private_segment_wavefront_offset 0
		.amdhsa_system_sgpr_workgroup_id_x 1
		.amdhsa_system_sgpr_workgroup_id_y 0
		.amdhsa_system_sgpr_workgroup_id_z 0
		.amdhsa_system_sgpr_workgroup_info 0
		.amdhsa_system_vgpr_workitem_id 0
		.amdhsa_next_free_vgpr 1
		.amdhsa_next_free_sgpr 0
		.amdhsa_accum_offset 4
		.amdhsa_reserve_vcc 0
		.amdhsa_reserve_flat_scratch 0
		.amdhsa_float_round_mode_32 0
		.amdhsa_float_round_mode_16_64 0
		.amdhsa_float_denorm_mode_32 3
		.amdhsa_float_denorm_mode_16_64 3
		.amdhsa_dx10_clamp 1
		.amdhsa_ieee_mode 1
		.amdhsa_fp16_overflow 0
		.amdhsa_tg_split 0
		.amdhsa_exception_fp_ieee_invalid_op 0
		.amdhsa_exception_fp_denorm_src 0
		.amdhsa_exception_fp_ieee_div_zero 0
		.amdhsa_exception_fp_ieee_overflow 0
		.amdhsa_exception_fp_ieee_underflow 0
		.amdhsa_exception_fp_ieee_inexact 0
		.amdhsa_exception_int_div_zero 0
	.end_amdhsa_kernel
	.section	.text._ZN7rocprim17ROCPRIM_400000_NS6detail17trampoline_kernelINS0_14default_configENS1_25partition_config_selectorILNS1_17partition_subalgoE0ExNS0_10empty_typeEbEEZZNS1_14partition_implILS5_0ELb0ES3_jN6thrust23THRUST_200600_302600_NS6detail15normal_iteratorINSA_10device_ptrIxEEEEPS6_SG_NS0_5tupleIJSF_NSA_16discard_iteratorINSA_11use_defaultEEEEEENSH_IJSG_SG_EEES6_PlJ7is_evenIxEEEE10hipError_tPvRmT3_T4_T5_T6_T7_T9_mT8_P12ihipStream_tbDpT10_ENKUlT_T0_E_clISt17integral_constantIbLb0EES18_IbLb1EEEEDaS14_S15_EUlS14_E_NS1_11comp_targetILNS1_3genE3ELNS1_11target_archE908ELNS1_3gpuE7ELNS1_3repE0EEENS1_30default_config_static_selectorELNS0_4arch9wavefront6targetE1EEEvT1_,"axG",@progbits,_ZN7rocprim17ROCPRIM_400000_NS6detail17trampoline_kernelINS0_14default_configENS1_25partition_config_selectorILNS1_17partition_subalgoE0ExNS0_10empty_typeEbEEZZNS1_14partition_implILS5_0ELb0ES3_jN6thrust23THRUST_200600_302600_NS6detail15normal_iteratorINSA_10device_ptrIxEEEEPS6_SG_NS0_5tupleIJSF_NSA_16discard_iteratorINSA_11use_defaultEEEEEENSH_IJSG_SG_EEES6_PlJ7is_evenIxEEEE10hipError_tPvRmT3_T4_T5_T6_T7_T9_mT8_P12ihipStream_tbDpT10_ENKUlT_T0_E_clISt17integral_constantIbLb0EES18_IbLb1EEEEDaS14_S15_EUlS14_E_NS1_11comp_targetILNS1_3genE3ELNS1_11target_archE908ELNS1_3gpuE7ELNS1_3repE0EEENS1_30default_config_static_selectorELNS0_4arch9wavefront6targetE1EEEvT1_,comdat
.Lfunc_end2646:
	.size	_ZN7rocprim17ROCPRIM_400000_NS6detail17trampoline_kernelINS0_14default_configENS1_25partition_config_selectorILNS1_17partition_subalgoE0ExNS0_10empty_typeEbEEZZNS1_14partition_implILS5_0ELb0ES3_jN6thrust23THRUST_200600_302600_NS6detail15normal_iteratorINSA_10device_ptrIxEEEEPS6_SG_NS0_5tupleIJSF_NSA_16discard_iteratorINSA_11use_defaultEEEEEENSH_IJSG_SG_EEES6_PlJ7is_evenIxEEEE10hipError_tPvRmT3_T4_T5_T6_T7_T9_mT8_P12ihipStream_tbDpT10_ENKUlT_T0_E_clISt17integral_constantIbLb0EES18_IbLb1EEEEDaS14_S15_EUlS14_E_NS1_11comp_targetILNS1_3genE3ELNS1_11target_archE908ELNS1_3gpuE7ELNS1_3repE0EEENS1_30default_config_static_selectorELNS0_4arch9wavefront6targetE1EEEvT1_, .Lfunc_end2646-_ZN7rocprim17ROCPRIM_400000_NS6detail17trampoline_kernelINS0_14default_configENS1_25partition_config_selectorILNS1_17partition_subalgoE0ExNS0_10empty_typeEbEEZZNS1_14partition_implILS5_0ELb0ES3_jN6thrust23THRUST_200600_302600_NS6detail15normal_iteratorINSA_10device_ptrIxEEEEPS6_SG_NS0_5tupleIJSF_NSA_16discard_iteratorINSA_11use_defaultEEEEEENSH_IJSG_SG_EEES6_PlJ7is_evenIxEEEE10hipError_tPvRmT3_T4_T5_T6_T7_T9_mT8_P12ihipStream_tbDpT10_ENKUlT_T0_E_clISt17integral_constantIbLb0EES18_IbLb1EEEEDaS14_S15_EUlS14_E_NS1_11comp_targetILNS1_3genE3ELNS1_11target_archE908ELNS1_3gpuE7ELNS1_3repE0EEENS1_30default_config_static_selectorELNS0_4arch9wavefront6targetE1EEEvT1_
                                        ; -- End function
	.section	.AMDGPU.csdata,"",@progbits
; Kernel info:
; codeLenInByte = 0
; NumSgprs: 4
; NumVgprs: 0
; NumAgprs: 0
; TotalNumVgprs: 0
; ScratchSize: 0
; MemoryBound: 0
; FloatMode: 240
; IeeeMode: 1
; LDSByteSize: 0 bytes/workgroup (compile time only)
; SGPRBlocks: 0
; VGPRBlocks: 0
; NumSGPRsForWavesPerEU: 4
; NumVGPRsForWavesPerEU: 1
; AccumOffset: 4
; Occupancy: 8
; WaveLimiterHint : 0
; COMPUTE_PGM_RSRC2:SCRATCH_EN: 0
; COMPUTE_PGM_RSRC2:USER_SGPR: 6
; COMPUTE_PGM_RSRC2:TRAP_HANDLER: 0
; COMPUTE_PGM_RSRC2:TGID_X_EN: 1
; COMPUTE_PGM_RSRC2:TGID_Y_EN: 0
; COMPUTE_PGM_RSRC2:TGID_Z_EN: 0
; COMPUTE_PGM_RSRC2:TIDIG_COMP_CNT: 0
; COMPUTE_PGM_RSRC3_GFX90A:ACCUM_OFFSET: 0
; COMPUTE_PGM_RSRC3_GFX90A:TG_SPLIT: 0
	.section	.text._ZN7rocprim17ROCPRIM_400000_NS6detail17trampoline_kernelINS0_14default_configENS1_25partition_config_selectorILNS1_17partition_subalgoE0ExNS0_10empty_typeEbEEZZNS1_14partition_implILS5_0ELb0ES3_jN6thrust23THRUST_200600_302600_NS6detail15normal_iteratorINSA_10device_ptrIxEEEEPS6_SG_NS0_5tupleIJSF_NSA_16discard_iteratorINSA_11use_defaultEEEEEENSH_IJSG_SG_EEES6_PlJ7is_evenIxEEEE10hipError_tPvRmT3_T4_T5_T6_T7_T9_mT8_P12ihipStream_tbDpT10_ENKUlT_T0_E_clISt17integral_constantIbLb0EES18_IbLb1EEEEDaS14_S15_EUlS14_E_NS1_11comp_targetILNS1_3genE2ELNS1_11target_archE906ELNS1_3gpuE6ELNS1_3repE0EEENS1_30default_config_static_selectorELNS0_4arch9wavefront6targetE1EEEvT1_,"axG",@progbits,_ZN7rocprim17ROCPRIM_400000_NS6detail17trampoline_kernelINS0_14default_configENS1_25partition_config_selectorILNS1_17partition_subalgoE0ExNS0_10empty_typeEbEEZZNS1_14partition_implILS5_0ELb0ES3_jN6thrust23THRUST_200600_302600_NS6detail15normal_iteratorINSA_10device_ptrIxEEEEPS6_SG_NS0_5tupleIJSF_NSA_16discard_iteratorINSA_11use_defaultEEEEEENSH_IJSG_SG_EEES6_PlJ7is_evenIxEEEE10hipError_tPvRmT3_T4_T5_T6_T7_T9_mT8_P12ihipStream_tbDpT10_ENKUlT_T0_E_clISt17integral_constantIbLb0EES18_IbLb1EEEEDaS14_S15_EUlS14_E_NS1_11comp_targetILNS1_3genE2ELNS1_11target_archE906ELNS1_3gpuE6ELNS1_3repE0EEENS1_30default_config_static_selectorELNS0_4arch9wavefront6targetE1EEEvT1_,comdat
	.protected	_ZN7rocprim17ROCPRIM_400000_NS6detail17trampoline_kernelINS0_14default_configENS1_25partition_config_selectorILNS1_17partition_subalgoE0ExNS0_10empty_typeEbEEZZNS1_14partition_implILS5_0ELb0ES3_jN6thrust23THRUST_200600_302600_NS6detail15normal_iteratorINSA_10device_ptrIxEEEEPS6_SG_NS0_5tupleIJSF_NSA_16discard_iteratorINSA_11use_defaultEEEEEENSH_IJSG_SG_EEES6_PlJ7is_evenIxEEEE10hipError_tPvRmT3_T4_T5_T6_T7_T9_mT8_P12ihipStream_tbDpT10_ENKUlT_T0_E_clISt17integral_constantIbLb0EES18_IbLb1EEEEDaS14_S15_EUlS14_E_NS1_11comp_targetILNS1_3genE2ELNS1_11target_archE906ELNS1_3gpuE6ELNS1_3repE0EEENS1_30default_config_static_selectorELNS0_4arch9wavefront6targetE1EEEvT1_ ; -- Begin function _ZN7rocprim17ROCPRIM_400000_NS6detail17trampoline_kernelINS0_14default_configENS1_25partition_config_selectorILNS1_17partition_subalgoE0ExNS0_10empty_typeEbEEZZNS1_14partition_implILS5_0ELb0ES3_jN6thrust23THRUST_200600_302600_NS6detail15normal_iteratorINSA_10device_ptrIxEEEEPS6_SG_NS0_5tupleIJSF_NSA_16discard_iteratorINSA_11use_defaultEEEEEENSH_IJSG_SG_EEES6_PlJ7is_evenIxEEEE10hipError_tPvRmT3_T4_T5_T6_T7_T9_mT8_P12ihipStream_tbDpT10_ENKUlT_T0_E_clISt17integral_constantIbLb0EES18_IbLb1EEEEDaS14_S15_EUlS14_E_NS1_11comp_targetILNS1_3genE2ELNS1_11target_archE906ELNS1_3gpuE6ELNS1_3repE0EEENS1_30default_config_static_selectorELNS0_4arch9wavefront6targetE1EEEvT1_
	.globl	_ZN7rocprim17ROCPRIM_400000_NS6detail17trampoline_kernelINS0_14default_configENS1_25partition_config_selectorILNS1_17partition_subalgoE0ExNS0_10empty_typeEbEEZZNS1_14partition_implILS5_0ELb0ES3_jN6thrust23THRUST_200600_302600_NS6detail15normal_iteratorINSA_10device_ptrIxEEEEPS6_SG_NS0_5tupleIJSF_NSA_16discard_iteratorINSA_11use_defaultEEEEEENSH_IJSG_SG_EEES6_PlJ7is_evenIxEEEE10hipError_tPvRmT3_T4_T5_T6_T7_T9_mT8_P12ihipStream_tbDpT10_ENKUlT_T0_E_clISt17integral_constantIbLb0EES18_IbLb1EEEEDaS14_S15_EUlS14_E_NS1_11comp_targetILNS1_3genE2ELNS1_11target_archE906ELNS1_3gpuE6ELNS1_3repE0EEENS1_30default_config_static_selectorELNS0_4arch9wavefront6targetE1EEEvT1_
	.p2align	8
	.type	_ZN7rocprim17ROCPRIM_400000_NS6detail17trampoline_kernelINS0_14default_configENS1_25partition_config_selectorILNS1_17partition_subalgoE0ExNS0_10empty_typeEbEEZZNS1_14partition_implILS5_0ELb0ES3_jN6thrust23THRUST_200600_302600_NS6detail15normal_iteratorINSA_10device_ptrIxEEEEPS6_SG_NS0_5tupleIJSF_NSA_16discard_iteratorINSA_11use_defaultEEEEEENSH_IJSG_SG_EEES6_PlJ7is_evenIxEEEE10hipError_tPvRmT3_T4_T5_T6_T7_T9_mT8_P12ihipStream_tbDpT10_ENKUlT_T0_E_clISt17integral_constantIbLb0EES18_IbLb1EEEEDaS14_S15_EUlS14_E_NS1_11comp_targetILNS1_3genE2ELNS1_11target_archE906ELNS1_3gpuE6ELNS1_3repE0EEENS1_30default_config_static_selectorELNS0_4arch9wavefront6targetE1EEEvT1_,@function
_ZN7rocprim17ROCPRIM_400000_NS6detail17trampoline_kernelINS0_14default_configENS1_25partition_config_selectorILNS1_17partition_subalgoE0ExNS0_10empty_typeEbEEZZNS1_14partition_implILS5_0ELb0ES3_jN6thrust23THRUST_200600_302600_NS6detail15normal_iteratorINSA_10device_ptrIxEEEEPS6_SG_NS0_5tupleIJSF_NSA_16discard_iteratorINSA_11use_defaultEEEEEENSH_IJSG_SG_EEES6_PlJ7is_evenIxEEEE10hipError_tPvRmT3_T4_T5_T6_T7_T9_mT8_P12ihipStream_tbDpT10_ENKUlT_T0_E_clISt17integral_constantIbLb0EES18_IbLb1EEEEDaS14_S15_EUlS14_E_NS1_11comp_targetILNS1_3genE2ELNS1_11target_archE906ELNS1_3gpuE6ELNS1_3repE0EEENS1_30default_config_static_selectorELNS0_4arch9wavefront6targetE1EEEvT1_: ; @_ZN7rocprim17ROCPRIM_400000_NS6detail17trampoline_kernelINS0_14default_configENS1_25partition_config_selectorILNS1_17partition_subalgoE0ExNS0_10empty_typeEbEEZZNS1_14partition_implILS5_0ELb0ES3_jN6thrust23THRUST_200600_302600_NS6detail15normal_iteratorINSA_10device_ptrIxEEEEPS6_SG_NS0_5tupleIJSF_NSA_16discard_iteratorINSA_11use_defaultEEEEEENSH_IJSG_SG_EEES6_PlJ7is_evenIxEEEE10hipError_tPvRmT3_T4_T5_T6_T7_T9_mT8_P12ihipStream_tbDpT10_ENKUlT_T0_E_clISt17integral_constantIbLb0EES18_IbLb1EEEEDaS14_S15_EUlS14_E_NS1_11comp_targetILNS1_3genE2ELNS1_11target_archE906ELNS1_3gpuE6ELNS1_3repE0EEENS1_30default_config_static_selectorELNS0_4arch9wavefront6targetE1EEEvT1_
; %bb.0:
	.section	.rodata,"a",@progbits
	.p2align	6, 0x0
	.amdhsa_kernel _ZN7rocprim17ROCPRIM_400000_NS6detail17trampoline_kernelINS0_14default_configENS1_25partition_config_selectorILNS1_17partition_subalgoE0ExNS0_10empty_typeEbEEZZNS1_14partition_implILS5_0ELb0ES3_jN6thrust23THRUST_200600_302600_NS6detail15normal_iteratorINSA_10device_ptrIxEEEEPS6_SG_NS0_5tupleIJSF_NSA_16discard_iteratorINSA_11use_defaultEEEEEENSH_IJSG_SG_EEES6_PlJ7is_evenIxEEEE10hipError_tPvRmT3_T4_T5_T6_T7_T9_mT8_P12ihipStream_tbDpT10_ENKUlT_T0_E_clISt17integral_constantIbLb0EES18_IbLb1EEEEDaS14_S15_EUlS14_E_NS1_11comp_targetILNS1_3genE2ELNS1_11target_archE906ELNS1_3gpuE6ELNS1_3repE0EEENS1_30default_config_static_selectorELNS0_4arch9wavefront6targetE1EEEvT1_
		.amdhsa_group_segment_fixed_size 0
		.amdhsa_private_segment_fixed_size 0
		.amdhsa_kernarg_size 144
		.amdhsa_user_sgpr_count 6
		.amdhsa_user_sgpr_private_segment_buffer 1
		.amdhsa_user_sgpr_dispatch_ptr 0
		.amdhsa_user_sgpr_queue_ptr 0
		.amdhsa_user_sgpr_kernarg_segment_ptr 1
		.amdhsa_user_sgpr_dispatch_id 0
		.amdhsa_user_sgpr_flat_scratch_init 0
		.amdhsa_user_sgpr_kernarg_preload_length 0
		.amdhsa_user_sgpr_kernarg_preload_offset 0
		.amdhsa_user_sgpr_private_segment_size 0
		.amdhsa_uses_dynamic_stack 0
		.amdhsa_system_sgpr_private_segment_wavefront_offset 0
		.amdhsa_system_sgpr_workgroup_id_x 1
		.amdhsa_system_sgpr_workgroup_id_y 0
		.amdhsa_system_sgpr_workgroup_id_z 0
		.amdhsa_system_sgpr_workgroup_info 0
		.amdhsa_system_vgpr_workitem_id 0
		.amdhsa_next_free_vgpr 1
		.amdhsa_next_free_sgpr 0
		.amdhsa_accum_offset 4
		.amdhsa_reserve_vcc 0
		.amdhsa_reserve_flat_scratch 0
		.amdhsa_float_round_mode_32 0
		.amdhsa_float_round_mode_16_64 0
		.amdhsa_float_denorm_mode_32 3
		.amdhsa_float_denorm_mode_16_64 3
		.amdhsa_dx10_clamp 1
		.amdhsa_ieee_mode 1
		.amdhsa_fp16_overflow 0
		.amdhsa_tg_split 0
		.amdhsa_exception_fp_ieee_invalid_op 0
		.amdhsa_exception_fp_denorm_src 0
		.amdhsa_exception_fp_ieee_div_zero 0
		.amdhsa_exception_fp_ieee_overflow 0
		.amdhsa_exception_fp_ieee_underflow 0
		.amdhsa_exception_fp_ieee_inexact 0
		.amdhsa_exception_int_div_zero 0
	.end_amdhsa_kernel
	.section	.text._ZN7rocprim17ROCPRIM_400000_NS6detail17trampoline_kernelINS0_14default_configENS1_25partition_config_selectorILNS1_17partition_subalgoE0ExNS0_10empty_typeEbEEZZNS1_14partition_implILS5_0ELb0ES3_jN6thrust23THRUST_200600_302600_NS6detail15normal_iteratorINSA_10device_ptrIxEEEEPS6_SG_NS0_5tupleIJSF_NSA_16discard_iteratorINSA_11use_defaultEEEEEENSH_IJSG_SG_EEES6_PlJ7is_evenIxEEEE10hipError_tPvRmT3_T4_T5_T6_T7_T9_mT8_P12ihipStream_tbDpT10_ENKUlT_T0_E_clISt17integral_constantIbLb0EES18_IbLb1EEEEDaS14_S15_EUlS14_E_NS1_11comp_targetILNS1_3genE2ELNS1_11target_archE906ELNS1_3gpuE6ELNS1_3repE0EEENS1_30default_config_static_selectorELNS0_4arch9wavefront6targetE1EEEvT1_,"axG",@progbits,_ZN7rocprim17ROCPRIM_400000_NS6detail17trampoline_kernelINS0_14default_configENS1_25partition_config_selectorILNS1_17partition_subalgoE0ExNS0_10empty_typeEbEEZZNS1_14partition_implILS5_0ELb0ES3_jN6thrust23THRUST_200600_302600_NS6detail15normal_iteratorINSA_10device_ptrIxEEEEPS6_SG_NS0_5tupleIJSF_NSA_16discard_iteratorINSA_11use_defaultEEEEEENSH_IJSG_SG_EEES6_PlJ7is_evenIxEEEE10hipError_tPvRmT3_T4_T5_T6_T7_T9_mT8_P12ihipStream_tbDpT10_ENKUlT_T0_E_clISt17integral_constantIbLb0EES18_IbLb1EEEEDaS14_S15_EUlS14_E_NS1_11comp_targetILNS1_3genE2ELNS1_11target_archE906ELNS1_3gpuE6ELNS1_3repE0EEENS1_30default_config_static_selectorELNS0_4arch9wavefront6targetE1EEEvT1_,comdat
.Lfunc_end2647:
	.size	_ZN7rocprim17ROCPRIM_400000_NS6detail17trampoline_kernelINS0_14default_configENS1_25partition_config_selectorILNS1_17partition_subalgoE0ExNS0_10empty_typeEbEEZZNS1_14partition_implILS5_0ELb0ES3_jN6thrust23THRUST_200600_302600_NS6detail15normal_iteratorINSA_10device_ptrIxEEEEPS6_SG_NS0_5tupleIJSF_NSA_16discard_iteratorINSA_11use_defaultEEEEEENSH_IJSG_SG_EEES6_PlJ7is_evenIxEEEE10hipError_tPvRmT3_T4_T5_T6_T7_T9_mT8_P12ihipStream_tbDpT10_ENKUlT_T0_E_clISt17integral_constantIbLb0EES18_IbLb1EEEEDaS14_S15_EUlS14_E_NS1_11comp_targetILNS1_3genE2ELNS1_11target_archE906ELNS1_3gpuE6ELNS1_3repE0EEENS1_30default_config_static_selectorELNS0_4arch9wavefront6targetE1EEEvT1_, .Lfunc_end2647-_ZN7rocprim17ROCPRIM_400000_NS6detail17trampoline_kernelINS0_14default_configENS1_25partition_config_selectorILNS1_17partition_subalgoE0ExNS0_10empty_typeEbEEZZNS1_14partition_implILS5_0ELb0ES3_jN6thrust23THRUST_200600_302600_NS6detail15normal_iteratorINSA_10device_ptrIxEEEEPS6_SG_NS0_5tupleIJSF_NSA_16discard_iteratorINSA_11use_defaultEEEEEENSH_IJSG_SG_EEES6_PlJ7is_evenIxEEEE10hipError_tPvRmT3_T4_T5_T6_T7_T9_mT8_P12ihipStream_tbDpT10_ENKUlT_T0_E_clISt17integral_constantIbLb0EES18_IbLb1EEEEDaS14_S15_EUlS14_E_NS1_11comp_targetILNS1_3genE2ELNS1_11target_archE906ELNS1_3gpuE6ELNS1_3repE0EEENS1_30default_config_static_selectorELNS0_4arch9wavefront6targetE1EEEvT1_
                                        ; -- End function
	.section	.AMDGPU.csdata,"",@progbits
; Kernel info:
; codeLenInByte = 0
; NumSgprs: 4
; NumVgprs: 0
; NumAgprs: 0
; TotalNumVgprs: 0
; ScratchSize: 0
; MemoryBound: 0
; FloatMode: 240
; IeeeMode: 1
; LDSByteSize: 0 bytes/workgroup (compile time only)
; SGPRBlocks: 0
; VGPRBlocks: 0
; NumSGPRsForWavesPerEU: 4
; NumVGPRsForWavesPerEU: 1
; AccumOffset: 4
; Occupancy: 8
; WaveLimiterHint : 0
; COMPUTE_PGM_RSRC2:SCRATCH_EN: 0
; COMPUTE_PGM_RSRC2:USER_SGPR: 6
; COMPUTE_PGM_RSRC2:TRAP_HANDLER: 0
; COMPUTE_PGM_RSRC2:TGID_X_EN: 1
; COMPUTE_PGM_RSRC2:TGID_Y_EN: 0
; COMPUTE_PGM_RSRC2:TGID_Z_EN: 0
; COMPUTE_PGM_RSRC2:TIDIG_COMP_CNT: 0
; COMPUTE_PGM_RSRC3_GFX90A:ACCUM_OFFSET: 0
; COMPUTE_PGM_RSRC3_GFX90A:TG_SPLIT: 0
	.section	.text._ZN7rocprim17ROCPRIM_400000_NS6detail17trampoline_kernelINS0_14default_configENS1_25partition_config_selectorILNS1_17partition_subalgoE0ExNS0_10empty_typeEbEEZZNS1_14partition_implILS5_0ELb0ES3_jN6thrust23THRUST_200600_302600_NS6detail15normal_iteratorINSA_10device_ptrIxEEEEPS6_SG_NS0_5tupleIJSF_NSA_16discard_iteratorINSA_11use_defaultEEEEEENSH_IJSG_SG_EEES6_PlJ7is_evenIxEEEE10hipError_tPvRmT3_T4_T5_T6_T7_T9_mT8_P12ihipStream_tbDpT10_ENKUlT_T0_E_clISt17integral_constantIbLb0EES18_IbLb1EEEEDaS14_S15_EUlS14_E_NS1_11comp_targetILNS1_3genE10ELNS1_11target_archE1200ELNS1_3gpuE4ELNS1_3repE0EEENS1_30default_config_static_selectorELNS0_4arch9wavefront6targetE1EEEvT1_,"axG",@progbits,_ZN7rocprim17ROCPRIM_400000_NS6detail17trampoline_kernelINS0_14default_configENS1_25partition_config_selectorILNS1_17partition_subalgoE0ExNS0_10empty_typeEbEEZZNS1_14partition_implILS5_0ELb0ES3_jN6thrust23THRUST_200600_302600_NS6detail15normal_iteratorINSA_10device_ptrIxEEEEPS6_SG_NS0_5tupleIJSF_NSA_16discard_iteratorINSA_11use_defaultEEEEEENSH_IJSG_SG_EEES6_PlJ7is_evenIxEEEE10hipError_tPvRmT3_T4_T5_T6_T7_T9_mT8_P12ihipStream_tbDpT10_ENKUlT_T0_E_clISt17integral_constantIbLb0EES18_IbLb1EEEEDaS14_S15_EUlS14_E_NS1_11comp_targetILNS1_3genE10ELNS1_11target_archE1200ELNS1_3gpuE4ELNS1_3repE0EEENS1_30default_config_static_selectorELNS0_4arch9wavefront6targetE1EEEvT1_,comdat
	.protected	_ZN7rocprim17ROCPRIM_400000_NS6detail17trampoline_kernelINS0_14default_configENS1_25partition_config_selectorILNS1_17partition_subalgoE0ExNS0_10empty_typeEbEEZZNS1_14partition_implILS5_0ELb0ES3_jN6thrust23THRUST_200600_302600_NS6detail15normal_iteratorINSA_10device_ptrIxEEEEPS6_SG_NS0_5tupleIJSF_NSA_16discard_iteratorINSA_11use_defaultEEEEEENSH_IJSG_SG_EEES6_PlJ7is_evenIxEEEE10hipError_tPvRmT3_T4_T5_T6_T7_T9_mT8_P12ihipStream_tbDpT10_ENKUlT_T0_E_clISt17integral_constantIbLb0EES18_IbLb1EEEEDaS14_S15_EUlS14_E_NS1_11comp_targetILNS1_3genE10ELNS1_11target_archE1200ELNS1_3gpuE4ELNS1_3repE0EEENS1_30default_config_static_selectorELNS0_4arch9wavefront6targetE1EEEvT1_ ; -- Begin function _ZN7rocprim17ROCPRIM_400000_NS6detail17trampoline_kernelINS0_14default_configENS1_25partition_config_selectorILNS1_17partition_subalgoE0ExNS0_10empty_typeEbEEZZNS1_14partition_implILS5_0ELb0ES3_jN6thrust23THRUST_200600_302600_NS6detail15normal_iteratorINSA_10device_ptrIxEEEEPS6_SG_NS0_5tupleIJSF_NSA_16discard_iteratorINSA_11use_defaultEEEEEENSH_IJSG_SG_EEES6_PlJ7is_evenIxEEEE10hipError_tPvRmT3_T4_T5_T6_T7_T9_mT8_P12ihipStream_tbDpT10_ENKUlT_T0_E_clISt17integral_constantIbLb0EES18_IbLb1EEEEDaS14_S15_EUlS14_E_NS1_11comp_targetILNS1_3genE10ELNS1_11target_archE1200ELNS1_3gpuE4ELNS1_3repE0EEENS1_30default_config_static_selectorELNS0_4arch9wavefront6targetE1EEEvT1_
	.globl	_ZN7rocprim17ROCPRIM_400000_NS6detail17trampoline_kernelINS0_14default_configENS1_25partition_config_selectorILNS1_17partition_subalgoE0ExNS0_10empty_typeEbEEZZNS1_14partition_implILS5_0ELb0ES3_jN6thrust23THRUST_200600_302600_NS6detail15normal_iteratorINSA_10device_ptrIxEEEEPS6_SG_NS0_5tupleIJSF_NSA_16discard_iteratorINSA_11use_defaultEEEEEENSH_IJSG_SG_EEES6_PlJ7is_evenIxEEEE10hipError_tPvRmT3_T4_T5_T6_T7_T9_mT8_P12ihipStream_tbDpT10_ENKUlT_T0_E_clISt17integral_constantIbLb0EES18_IbLb1EEEEDaS14_S15_EUlS14_E_NS1_11comp_targetILNS1_3genE10ELNS1_11target_archE1200ELNS1_3gpuE4ELNS1_3repE0EEENS1_30default_config_static_selectorELNS0_4arch9wavefront6targetE1EEEvT1_
	.p2align	8
	.type	_ZN7rocprim17ROCPRIM_400000_NS6detail17trampoline_kernelINS0_14default_configENS1_25partition_config_selectorILNS1_17partition_subalgoE0ExNS0_10empty_typeEbEEZZNS1_14partition_implILS5_0ELb0ES3_jN6thrust23THRUST_200600_302600_NS6detail15normal_iteratorINSA_10device_ptrIxEEEEPS6_SG_NS0_5tupleIJSF_NSA_16discard_iteratorINSA_11use_defaultEEEEEENSH_IJSG_SG_EEES6_PlJ7is_evenIxEEEE10hipError_tPvRmT3_T4_T5_T6_T7_T9_mT8_P12ihipStream_tbDpT10_ENKUlT_T0_E_clISt17integral_constantIbLb0EES18_IbLb1EEEEDaS14_S15_EUlS14_E_NS1_11comp_targetILNS1_3genE10ELNS1_11target_archE1200ELNS1_3gpuE4ELNS1_3repE0EEENS1_30default_config_static_selectorELNS0_4arch9wavefront6targetE1EEEvT1_,@function
_ZN7rocprim17ROCPRIM_400000_NS6detail17trampoline_kernelINS0_14default_configENS1_25partition_config_selectorILNS1_17partition_subalgoE0ExNS0_10empty_typeEbEEZZNS1_14partition_implILS5_0ELb0ES3_jN6thrust23THRUST_200600_302600_NS6detail15normal_iteratorINSA_10device_ptrIxEEEEPS6_SG_NS0_5tupleIJSF_NSA_16discard_iteratorINSA_11use_defaultEEEEEENSH_IJSG_SG_EEES6_PlJ7is_evenIxEEEE10hipError_tPvRmT3_T4_T5_T6_T7_T9_mT8_P12ihipStream_tbDpT10_ENKUlT_T0_E_clISt17integral_constantIbLb0EES18_IbLb1EEEEDaS14_S15_EUlS14_E_NS1_11comp_targetILNS1_3genE10ELNS1_11target_archE1200ELNS1_3gpuE4ELNS1_3repE0EEENS1_30default_config_static_selectorELNS0_4arch9wavefront6targetE1EEEvT1_: ; @_ZN7rocprim17ROCPRIM_400000_NS6detail17trampoline_kernelINS0_14default_configENS1_25partition_config_selectorILNS1_17partition_subalgoE0ExNS0_10empty_typeEbEEZZNS1_14partition_implILS5_0ELb0ES3_jN6thrust23THRUST_200600_302600_NS6detail15normal_iteratorINSA_10device_ptrIxEEEEPS6_SG_NS0_5tupleIJSF_NSA_16discard_iteratorINSA_11use_defaultEEEEEENSH_IJSG_SG_EEES6_PlJ7is_evenIxEEEE10hipError_tPvRmT3_T4_T5_T6_T7_T9_mT8_P12ihipStream_tbDpT10_ENKUlT_T0_E_clISt17integral_constantIbLb0EES18_IbLb1EEEEDaS14_S15_EUlS14_E_NS1_11comp_targetILNS1_3genE10ELNS1_11target_archE1200ELNS1_3gpuE4ELNS1_3repE0EEENS1_30default_config_static_selectorELNS0_4arch9wavefront6targetE1EEEvT1_
; %bb.0:
	.section	.rodata,"a",@progbits
	.p2align	6, 0x0
	.amdhsa_kernel _ZN7rocprim17ROCPRIM_400000_NS6detail17trampoline_kernelINS0_14default_configENS1_25partition_config_selectorILNS1_17partition_subalgoE0ExNS0_10empty_typeEbEEZZNS1_14partition_implILS5_0ELb0ES3_jN6thrust23THRUST_200600_302600_NS6detail15normal_iteratorINSA_10device_ptrIxEEEEPS6_SG_NS0_5tupleIJSF_NSA_16discard_iteratorINSA_11use_defaultEEEEEENSH_IJSG_SG_EEES6_PlJ7is_evenIxEEEE10hipError_tPvRmT3_T4_T5_T6_T7_T9_mT8_P12ihipStream_tbDpT10_ENKUlT_T0_E_clISt17integral_constantIbLb0EES18_IbLb1EEEEDaS14_S15_EUlS14_E_NS1_11comp_targetILNS1_3genE10ELNS1_11target_archE1200ELNS1_3gpuE4ELNS1_3repE0EEENS1_30default_config_static_selectorELNS0_4arch9wavefront6targetE1EEEvT1_
		.amdhsa_group_segment_fixed_size 0
		.amdhsa_private_segment_fixed_size 0
		.amdhsa_kernarg_size 144
		.amdhsa_user_sgpr_count 6
		.amdhsa_user_sgpr_private_segment_buffer 1
		.amdhsa_user_sgpr_dispatch_ptr 0
		.amdhsa_user_sgpr_queue_ptr 0
		.amdhsa_user_sgpr_kernarg_segment_ptr 1
		.amdhsa_user_sgpr_dispatch_id 0
		.amdhsa_user_sgpr_flat_scratch_init 0
		.amdhsa_user_sgpr_kernarg_preload_length 0
		.amdhsa_user_sgpr_kernarg_preload_offset 0
		.amdhsa_user_sgpr_private_segment_size 0
		.amdhsa_uses_dynamic_stack 0
		.amdhsa_system_sgpr_private_segment_wavefront_offset 0
		.amdhsa_system_sgpr_workgroup_id_x 1
		.amdhsa_system_sgpr_workgroup_id_y 0
		.amdhsa_system_sgpr_workgroup_id_z 0
		.amdhsa_system_sgpr_workgroup_info 0
		.amdhsa_system_vgpr_workitem_id 0
		.amdhsa_next_free_vgpr 1
		.amdhsa_next_free_sgpr 0
		.amdhsa_accum_offset 4
		.amdhsa_reserve_vcc 0
		.amdhsa_reserve_flat_scratch 0
		.amdhsa_float_round_mode_32 0
		.amdhsa_float_round_mode_16_64 0
		.amdhsa_float_denorm_mode_32 3
		.amdhsa_float_denorm_mode_16_64 3
		.amdhsa_dx10_clamp 1
		.amdhsa_ieee_mode 1
		.amdhsa_fp16_overflow 0
		.amdhsa_tg_split 0
		.amdhsa_exception_fp_ieee_invalid_op 0
		.amdhsa_exception_fp_denorm_src 0
		.amdhsa_exception_fp_ieee_div_zero 0
		.amdhsa_exception_fp_ieee_overflow 0
		.amdhsa_exception_fp_ieee_underflow 0
		.amdhsa_exception_fp_ieee_inexact 0
		.amdhsa_exception_int_div_zero 0
	.end_amdhsa_kernel
	.section	.text._ZN7rocprim17ROCPRIM_400000_NS6detail17trampoline_kernelINS0_14default_configENS1_25partition_config_selectorILNS1_17partition_subalgoE0ExNS0_10empty_typeEbEEZZNS1_14partition_implILS5_0ELb0ES3_jN6thrust23THRUST_200600_302600_NS6detail15normal_iteratorINSA_10device_ptrIxEEEEPS6_SG_NS0_5tupleIJSF_NSA_16discard_iteratorINSA_11use_defaultEEEEEENSH_IJSG_SG_EEES6_PlJ7is_evenIxEEEE10hipError_tPvRmT3_T4_T5_T6_T7_T9_mT8_P12ihipStream_tbDpT10_ENKUlT_T0_E_clISt17integral_constantIbLb0EES18_IbLb1EEEEDaS14_S15_EUlS14_E_NS1_11comp_targetILNS1_3genE10ELNS1_11target_archE1200ELNS1_3gpuE4ELNS1_3repE0EEENS1_30default_config_static_selectorELNS0_4arch9wavefront6targetE1EEEvT1_,"axG",@progbits,_ZN7rocprim17ROCPRIM_400000_NS6detail17trampoline_kernelINS0_14default_configENS1_25partition_config_selectorILNS1_17partition_subalgoE0ExNS0_10empty_typeEbEEZZNS1_14partition_implILS5_0ELb0ES3_jN6thrust23THRUST_200600_302600_NS6detail15normal_iteratorINSA_10device_ptrIxEEEEPS6_SG_NS0_5tupleIJSF_NSA_16discard_iteratorINSA_11use_defaultEEEEEENSH_IJSG_SG_EEES6_PlJ7is_evenIxEEEE10hipError_tPvRmT3_T4_T5_T6_T7_T9_mT8_P12ihipStream_tbDpT10_ENKUlT_T0_E_clISt17integral_constantIbLb0EES18_IbLb1EEEEDaS14_S15_EUlS14_E_NS1_11comp_targetILNS1_3genE10ELNS1_11target_archE1200ELNS1_3gpuE4ELNS1_3repE0EEENS1_30default_config_static_selectorELNS0_4arch9wavefront6targetE1EEEvT1_,comdat
.Lfunc_end2648:
	.size	_ZN7rocprim17ROCPRIM_400000_NS6detail17trampoline_kernelINS0_14default_configENS1_25partition_config_selectorILNS1_17partition_subalgoE0ExNS0_10empty_typeEbEEZZNS1_14partition_implILS5_0ELb0ES3_jN6thrust23THRUST_200600_302600_NS6detail15normal_iteratorINSA_10device_ptrIxEEEEPS6_SG_NS0_5tupleIJSF_NSA_16discard_iteratorINSA_11use_defaultEEEEEENSH_IJSG_SG_EEES6_PlJ7is_evenIxEEEE10hipError_tPvRmT3_T4_T5_T6_T7_T9_mT8_P12ihipStream_tbDpT10_ENKUlT_T0_E_clISt17integral_constantIbLb0EES18_IbLb1EEEEDaS14_S15_EUlS14_E_NS1_11comp_targetILNS1_3genE10ELNS1_11target_archE1200ELNS1_3gpuE4ELNS1_3repE0EEENS1_30default_config_static_selectorELNS0_4arch9wavefront6targetE1EEEvT1_, .Lfunc_end2648-_ZN7rocprim17ROCPRIM_400000_NS6detail17trampoline_kernelINS0_14default_configENS1_25partition_config_selectorILNS1_17partition_subalgoE0ExNS0_10empty_typeEbEEZZNS1_14partition_implILS5_0ELb0ES3_jN6thrust23THRUST_200600_302600_NS6detail15normal_iteratorINSA_10device_ptrIxEEEEPS6_SG_NS0_5tupleIJSF_NSA_16discard_iteratorINSA_11use_defaultEEEEEENSH_IJSG_SG_EEES6_PlJ7is_evenIxEEEE10hipError_tPvRmT3_T4_T5_T6_T7_T9_mT8_P12ihipStream_tbDpT10_ENKUlT_T0_E_clISt17integral_constantIbLb0EES18_IbLb1EEEEDaS14_S15_EUlS14_E_NS1_11comp_targetILNS1_3genE10ELNS1_11target_archE1200ELNS1_3gpuE4ELNS1_3repE0EEENS1_30default_config_static_selectorELNS0_4arch9wavefront6targetE1EEEvT1_
                                        ; -- End function
	.section	.AMDGPU.csdata,"",@progbits
; Kernel info:
; codeLenInByte = 0
; NumSgprs: 4
; NumVgprs: 0
; NumAgprs: 0
; TotalNumVgprs: 0
; ScratchSize: 0
; MemoryBound: 0
; FloatMode: 240
; IeeeMode: 1
; LDSByteSize: 0 bytes/workgroup (compile time only)
; SGPRBlocks: 0
; VGPRBlocks: 0
; NumSGPRsForWavesPerEU: 4
; NumVGPRsForWavesPerEU: 1
; AccumOffset: 4
; Occupancy: 8
; WaveLimiterHint : 0
; COMPUTE_PGM_RSRC2:SCRATCH_EN: 0
; COMPUTE_PGM_RSRC2:USER_SGPR: 6
; COMPUTE_PGM_RSRC2:TRAP_HANDLER: 0
; COMPUTE_PGM_RSRC2:TGID_X_EN: 1
; COMPUTE_PGM_RSRC2:TGID_Y_EN: 0
; COMPUTE_PGM_RSRC2:TGID_Z_EN: 0
; COMPUTE_PGM_RSRC2:TIDIG_COMP_CNT: 0
; COMPUTE_PGM_RSRC3_GFX90A:ACCUM_OFFSET: 0
; COMPUTE_PGM_RSRC3_GFX90A:TG_SPLIT: 0
	.section	.text._ZN7rocprim17ROCPRIM_400000_NS6detail17trampoline_kernelINS0_14default_configENS1_25partition_config_selectorILNS1_17partition_subalgoE0ExNS0_10empty_typeEbEEZZNS1_14partition_implILS5_0ELb0ES3_jN6thrust23THRUST_200600_302600_NS6detail15normal_iteratorINSA_10device_ptrIxEEEEPS6_SG_NS0_5tupleIJSF_NSA_16discard_iteratorINSA_11use_defaultEEEEEENSH_IJSG_SG_EEES6_PlJ7is_evenIxEEEE10hipError_tPvRmT3_T4_T5_T6_T7_T9_mT8_P12ihipStream_tbDpT10_ENKUlT_T0_E_clISt17integral_constantIbLb0EES18_IbLb1EEEEDaS14_S15_EUlS14_E_NS1_11comp_targetILNS1_3genE9ELNS1_11target_archE1100ELNS1_3gpuE3ELNS1_3repE0EEENS1_30default_config_static_selectorELNS0_4arch9wavefront6targetE1EEEvT1_,"axG",@progbits,_ZN7rocprim17ROCPRIM_400000_NS6detail17trampoline_kernelINS0_14default_configENS1_25partition_config_selectorILNS1_17partition_subalgoE0ExNS0_10empty_typeEbEEZZNS1_14partition_implILS5_0ELb0ES3_jN6thrust23THRUST_200600_302600_NS6detail15normal_iteratorINSA_10device_ptrIxEEEEPS6_SG_NS0_5tupleIJSF_NSA_16discard_iteratorINSA_11use_defaultEEEEEENSH_IJSG_SG_EEES6_PlJ7is_evenIxEEEE10hipError_tPvRmT3_T4_T5_T6_T7_T9_mT8_P12ihipStream_tbDpT10_ENKUlT_T0_E_clISt17integral_constantIbLb0EES18_IbLb1EEEEDaS14_S15_EUlS14_E_NS1_11comp_targetILNS1_3genE9ELNS1_11target_archE1100ELNS1_3gpuE3ELNS1_3repE0EEENS1_30default_config_static_selectorELNS0_4arch9wavefront6targetE1EEEvT1_,comdat
	.protected	_ZN7rocprim17ROCPRIM_400000_NS6detail17trampoline_kernelINS0_14default_configENS1_25partition_config_selectorILNS1_17partition_subalgoE0ExNS0_10empty_typeEbEEZZNS1_14partition_implILS5_0ELb0ES3_jN6thrust23THRUST_200600_302600_NS6detail15normal_iteratorINSA_10device_ptrIxEEEEPS6_SG_NS0_5tupleIJSF_NSA_16discard_iteratorINSA_11use_defaultEEEEEENSH_IJSG_SG_EEES6_PlJ7is_evenIxEEEE10hipError_tPvRmT3_T4_T5_T6_T7_T9_mT8_P12ihipStream_tbDpT10_ENKUlT_T0_E_clISt17integral_constantIbLb0EES18_IbLb1EEEEDaS14_S15_EUlS14_E_NS1_11comp_targetILNS1_3genE9ELNS1_11target_archE1100ELNS1_3gpuE3ELNS1_3repE0EEENS1_30default_config_static_selectorELNS0_4arch9wavefront6targetE1EEEvT1_ ; -- Begin function _ZN7rocprim17ROCPRIM_400000_NS6detail17trampoline_kernelINS0_14default_configENS1_25partition_config_selectorILNS1_17partition_subalgoE0ExNS0_10empty_typeEbEEZZNS1_14partition_implILS5_0ELb0ES3_jN6thrust23THRUST_200600_302600_NS6detail15normal_iteratorINSA_10device_ptrIxEEEEPS6_SG_NS0_5tupleIJSF_NSA_16discard_iteratorINSA_11use_defaultEEEEEENSH_IJSG_SG_EEES6_PlJ7is_evenIxEEEE10hipError_tPvRmT3_T4_T5_T6_T7_T9_mT8_P12ihipStream_tbDpT10_ENKUlT_T0_E_clISt17integral_constantIbLb0EES18_IbLb1EEEEDaS14_S15_EUlS14_E_NS1_11comp_targetILNS1_3genE9ELNS1_11target_archE1100ELNS1_3gpuE3ELNS1_3repE0EEENS1_30default_config_static_selectorELNS0_4arch9wavefront6targetE1EEEvT1_
	.globl	_ZN7rocprim17ROCPRIM_400000_NS6detail17trampoline_kernelINS0_14default_configENS1_25partition_config_selectorILNS1_17partition_subalgoE0ExNS0_10empty_typeEbEEZZNS1_14partition_implILS5_0ELb0ES3_jN6thrust23THRUST_200600_302600_NS6detail15normal_iteratorINSA_10device_ptrIxEEEEPS6_SG_NS0_5tupleIJSF_NSA_16discard_iteratorINSA_11use_defaultEEEEEENSH_IJSG_SG_EEES6_PlJ7is_evenIxEEEE10hipError_tPvRmT3_T4_T5_T6_T7_T9_mT8_P12ihipStream_tbDpT10_ENKUlT_T0_E_clISt17integral_constantIbLb0EES18_IbLb1EEEEDaS14_S15_EUlS14_E_NS1_11comp_targetILNS1_3genE9ELNS1_11target_archE1100ELNS1_3gpuE3ELNS1_3repE0EEENS1_30default_config_static_selectorELNS0_4arch9wavefront6targetE1EEEvT1_
	.p2align	8
	.type	_ZN7rocprim17ROCPRIM_400000_NS6detail17trampoline_kernelINS0_14default_configENS1_25partition_config_selectorILNS1_17partition_subalgoE0ExNS0_10empty_typeEbEEZZNS1_14partition_implILS5_0ELb0ES3_jN6thrust23THRUST_200600_302600_NS6detail15normal_iteratorINSA_10device_ptrIxEEEEPS6_SG_NS0_5tupleIJSF_NSA_16discard_iteratorINSA_11use_defaultEEEEEENSH_IJSG_SG_EEES6_PlJ7is_evenIxEEEE10hipError_tPvRmT3_T4_T5_T6_T7_T9_mT8_P12ihipStream_tbDpT10_ENKUlT_T0_E_clISt17integral_constantIbLb0EES18_IbLb1EEEEDaS14_S15_EUlS14_E_NS1_11comp_targetILNS1_3genE9ELNS1_11target_archE1100ELNS1_3gpuE3ELNS1_3repE0EEENS1_30default_config_static_selectorELNS0_4arch9wavefront6targetE1EEEvT1_,@function
_ZN7rocprim17ROCPRIM_400000_NS6detail17trampoline_kernelINS0_14default_configENS1_25partition_config_selectorILNS1_17partition_subalgoE0ExNS0_10empty_typeEbEEZZNS1_14partition_implILS5_0ELb0ES3_jN6thrust23THRUST_200600_302600_NS6detail15normal_iteratorINSA_10device_ptrIxEEEEPS6_SG_NS0_5tupleIJSF_NSA_16discard_iteratorINSA_11use_defaultEEEEEENSH_IJSG_SG_EEES6_PlJ7is_evenIxEEEE10hipError_tPvRmT3_T4_T5_T6_T7_T9_mT8_P12ihipStream_tbDpT10_ENKUlT_T0_E_clISt17integral_constantIbLb0EES18_IbLb1EEEEDaS14_S15_EUlS14_E_NS1_11comp_targetILNS1_3genE9ELNS1_11target_archE1100ELNS1_3gpuE3ELNS1_3repE0EEENS1_30default_config_static_selectorELNS0_4arch9wavefront6targetE1EEEvT1_: ; @_ZN7rocprim17ROCPRIM_400000_NS6detail17trampoline_kernelINS0_14default_configENS1_25partition_config_selectorILNS1_17partition_subalgoE0ExNS0_10empty_typeEbEEZZNS1_14partition_implILS5_0ELb0ES3_jN6thrust23THRUST_200600_302600_NS6detail15normal_iteratorINSA_10device_ptrIxEEEEPS6_SG_NS0_5tupleIJSF_NSA_16discard_iteratorINSA_11use_defaultEEEEEENSH_IJSG_SG_EEES6_PlJ7is_evenIxEEEE10hipError_tPvRmT3_T4_T5_T6_T7_T9_mT8_P12ihipStream_tbDpT10_ENKUlT_T0_E_clISt17integral_constantIbLb0EES18_IbLb1EEEEDaS14_S15_EUlS14_E_NS1_11comp_targetILNS1_3genE9ELNS1_11target_archE1100ELNS1_3gpuE3ELNS1_3repE0EEENS1_30default_config_static_selectorELNS0_4arch9wavefront6targetE1EEEvT1_
; %bb.0:
	.section	.rodata,"a",@progbits
	.p2align	6, 0x0
	.amdhsa_kernel _ZN7rocprim17ROCPRIM_400000_NS6detail17trampoline_kernelINS0_14default_configENS1_25partition_config_selectorILNS1_17partition_subalgoE0ExNS0_10empty_typeEbEEZZNS1_14partition_implILS5_0ELb0ES3_jN6thrust23THRUST_200600_302600_NS6detail15normal_iteratorINSA_10device_ptrIxEEEEPS6_SG_NS0_5tupleIJSF_NSA_16discard_iteratorINSA_11use_defaultEEEEEENSH_IJSG_SG_EEES6_PlJ7is_evenIxEEEE10hipError_tPvRmT3_T4_T5_T6_T7_T9_mT8_P12ihipStream_tbDpT10_ENKUlT_T0_E_clISt17integral_constantIbLb0EES18_IbLb1EEEEDaS14_S15_EUlS14_E_NS1_11comp_targetILNS1_3genE9ELNS1_11target_archE1100ELNS1_3gpuE3ELNS1_3repE0EEENS1_30default_config_static_selectorELNS0_4arch9wavefront6targetE1EEEvT1_
		.amdhsa_group_segment_fixed_size 0
		.amdhsa_private_segment_fixed_size 0
		.amdhsa_kernarg_size 144
		.amdhsa_user_sgpr_count 6
		.amdhsa_user_sgpr_private_segment_buffer 1
		.amdhsa_user_sgpr_dispatch_ptr 0
		.amdhsa_user_sgpr_queue_ptr 0
		.amdhsa_user_sgpr_kernarg_segment_ptr 1
		.amdhsa_user_sgpr_dispatch_id 0
		.amdhsa_user_sgpr_flat_scratch_init 0
		.amdhsa_user_sgpr_kernarg_preload_length 0
		.amdhsa_user_sgpr_kernarg_preload_offset 0
		.amdhsa_user_sgpr_private_segment_size 0
		.amdhsa_uses_dynamic_stack 0
		.amdhsa_system_sgpr_private_segment_wavefront_offset 0
		.amdhsa_system_sgpr_workgroup_id_x 1
		.amdhsa_system_sgpr_workgroup_id_y 0
		.amdhsa_system_sgpr_workgroup_id_z 0
		.amdhsa_system_sgpr_workgroup_info 0
		.amdhsa_system_vgpr_workitem_id 0
		.amdhsa_next_free_vgpr 1
		.amdhsa_next_free_sgpr 0
		.amdhsa_accum_offset 4
		.amdhsa_reserve_vcc 0
		.amdhsa_reserve_flat_scratch 0
		.amdhsa_float_round_mode_32 0
		.amdhsa_float_round_mode_16_64 0
		.amdhsa_float_denorm_mode_32 3
		.amdhsa_float_denorm_mode_16_64 3
		.amdhsa_dx10_clamp 1
		.amdhsa_ieee_mode 1
		.amdhsa_fp16_overflow 0
		.amdhsa_tg_split 0
		.amdhsa_exception_fp_ieee_invalid_op 0
		.amdhsa_exception_fp_denorm_src 0
		.amdhsa_exception_fp_ieee_div_zero 0
		.amdhsa_exception_fp_ieee_overflow 0
		.amdhsa_exception_fp_ieee_underflow 0
		.amdhsa_exception_fp_ieee_inexact 0
		.amdhsa_exception_int_div_zero 0
	.end_amdhsa_kernel
	.section	.text._ZN7rocprim17ROCPRIM_400000_NS6detail17trampoline_kernelINS0_14default_configENS1_25partition_config_selectorILNS1_17partition_subalgoE0ExNS0_10empty_typeEbEEZZNS1_14partition_implILS5_0ELb0ES3_jN6thrust23THRUST_200600_302600_NS6detail15normal_iteratorINSA_10device_ptrIxEEEEPS6_SG_NS0_5tupleIJSF_NSA_16discard_iteratorINSA_11use_defaultEEEEEENSH_IJSG_SG_EEES6_PlJ7is_evenIxEEEE10hipError_tPvRmT3_T4_T5_T6_T7_T9_mT8_P12ihipStream_tbDpT10_ENKUlT_T0_E_clISt17integral_constantIbLb0EES18_IbLb1EEEEDaS14_S15_EUlS14_E_NS1_11comp_targetILNS1_3genE9ELNS1_11target_archE1100ELNS1_3gpuE3ELNS1_3repE0EEENS1_30default_config_static_selectorELNS0_4arch9wavefront6targetE1EEEvT1_,"axG",@progbits,_ZN7rocprim17ROCPRIM_400000_NS6detail17trampoline_kernelINS0_14default_configENS1_25partition_config_selectorILNS1_17partition_subalgoE0ExNS0_10empty_typeEbEEZZNS1_14partition_implILS5_0ELb0ES3_jN6thrust23THRUST_200600_302600_NS6detail15normal_iteratorINSA_10device_ptrIxEEEEPS6_SG_NS0_5tupleIJSF_NSA_16discard_iteratorINSA_11use_defaultEEEEEENSH_IJSG_SG_EEES6_PlJ7is_evenIxEEEE10hipError_tPvRmT3_T4_T5_T6_T7_T9_mT8_P12ihipStream_tbDpT10_ENKUlT_T0_E_clISt17integral_constantIbLb0EES18_IbLb1EEEEDaS14_S15_EUlS14_E_NS1_11comp_targetILNS1_3genE9ELNS1_11target_archE1100ELNS1_3gpuE3ELNS1_3repE0EEENS1_30default_config_static_selectorELNS0_4arch9wavefront6targetE1EEEvT1_,comdat
.Lfunc_end2649:
	.size	_ZN7rocprim17ROCPRIM_400000_NS6detail17trampoline_kernelINS0_14default_configENS1_25partition_config_selectorILNS1_17partition_subalgoE0ExNS0_10empty_typeEbEEZZNS1_14partition_implILS5_0ELb0ES3_jN6thrust23THRUST_200600_302600_NS6detail15normal_iteratorINSA_10device_ptrIxEEEEPS6_SG_NS0_5tupleIJSF_NSA_16discard_iteratorINSA_11use_defaultEEEEEENSH_IJSG_SG_EEES6_PlJ7is_evenIxEEEE10hipError_tPvRmT3_T4_T5_T6_T7_T9_mT8_P12ihipStream_tbDpT10_ENKUlT_T0_E_clISt17integral_constantIbLb0EES18_IbLb1EEEEDaS14_S15_EUlS14_E_NS1_11comp_targetILNS1_3genE9ELNS1_11target_archE1100ELNS1_3gpuE3ELNS1_3repE0EEENS1_30default_config_static_selectorELNS0_4arch9wavefront6targetE1EEEvT1_, .Lfunc_end2649-_ZN7rocprim17ROCPRIM_400000_NS6detail17trampoline_kernelINS0_14default_configENS1_25partition_config_selectorILNS1_17partition_subalgoE0ExNS0_10empty_typeEbEEZZNS1_14partition_implILS5_0ELb0ES3_jN6thrust23THRUST_200600_302600_NS6detail15normal_iteratorINSA_10device_ptrIxEEEEPS6_SG_NS0_5tupleIJSF_NSA_16discard_iteratorINSA_11use_defaultEEEEEENSH_IJSG_SG_EEES6_PlJ7is_evenIxEEEE10hipError_tPvRmT3_T4_T5_T6_T7_T9_mT8_P12ihipStream_tbDpT10_ENKUlT_T0_E_clISt17integral_constantIbLb0EES18_IbLb1EEEEDaS14_S15_EUlS14_E_NS1_11comp_targetILNS1_3genE9ELNS1_11target_archE1100ELNS1_3gpuE3ELNS1_3repE0EEENS1_30default_config_static_selectorELNS0_4arch9wavefront6targetE1EEEvT1_
                                        ; -- End function
	.section	.AMDGPU.csdata,"",@progbits
; Kernel info:
; codeLenInByte = 0
; NumSgprs: 4
; NumVgprs: 0
; NumAgprs: 0
; TotalNumVgprs: 0
; ScratchSize: 0
; MemoryBound: 0
; FloatMode: 240
; IeeeMode: 1
; LDSByteSize: 0 bytes/workgroup (compile time only)
; SGPRBlocks: 0
; VGPRBlocks: 0
; NumSGPRsForWavesPerEU: 4
; NumVGPRsForWavesPerEU: 1
; AccumOffset: 4
; Occupancy: 8
; WaveLimiterHint : 0
; COMPUTE_PGM_RSRC2:SCRATCH_EN: 0
; COMPUTE_PGM_RSRC2:USER_SGPR: 6
; COMPUTE_PGM_RSRC2:TRAP_HANDLER: 0
; COMPUTE_PGM_RSRC2:TGID_X_EN: 1
; COMPUTE_PGM_RSRC2:TGID_Y_EN: 0
; COMPUTE_PGM_RSRC2:TGID_Z_EN: 0
; COMPUTE_PGM_RSRC2:TIDIG_COMP_CNT: 0
; COMPUTE_PGM_RSRC3_GFX90A:ACCUM_OFFSET: 0
; COMPUTE_PGM_RSRC3_GFX90A:TG_SPLIT: 0
	.section	.text._ZN7rocprim17ROCPRIM_400000_NS6detail17trampoline_kernelINS0_14default_configENS1_25partition_config_selectorILNS1_17partition_subalgoE0ExNS0_10empty_typeEbEEZZNS1_14partition_implILS5_0ELb0ES3_jN6thrust23THRUST_200600_302600_NS6detail15normal_iteratorINSA_10device_ptrIxEEEEPS6_SG_NS0_5tupleIJSF_NSA_16discard_iteratorINSA_11use_defaultEEEEEENSH_IJSG_SG_EEES6_PlJ7is_evenIxEEEE10hipError_tPvRmT3_T4_T5_T6_T7_T9_mT8_P12ihipStream_tbDpT10_ENKUlT_T0_E_clISt17integral_constantIbLb0EES18_IbLb1EEEEDaS14_S15_EUlS14_E_NS1_11comp_targetILNS1_3genE8ELNS1_11target_archE1030ELNS1_3gpuE2ELNS1_3repE0EEENS1_30default_config_static_selectorELNS0_4arch9wavefront6targetE1EEEvT1_,"axG",@progbits,_ZN7rocprim17ROCPRIM_400000_NS6detail17trampoline_kernelINS0_14default_configENS1_25partition_config_selectorILNS1_17partition_subalgoE0ExNS0_10empty_typeEbEEZZNS1_14partition_implILS5_0ELb0ES3_jN6thrust23THRUST_200600_302600_NS6detail15normal_iteratorINSA_10device_ptrIxEEEEPS6_SG_NS0_5tupleIJSF_NSA_16discard_iteratorINSA_11use_defaultEEEEEENSH_IJSG_SG_EEES6_PlJ7is_evenIxEEEE10hipError_tPvRmT3_T4_T5_T6_T7_T9_mT8_P12ihipStream_tbDpT10_ENKUlT_T0_E_clISt17integral_constantIbLb0EES18_IbLb1EEEEDaS14_S15_EUlS14_E_NS1_11comp_targetILNS1_3genE8ELNS1_11target_archE1030ELNS1_3gpuE2ELNS1_3repE0EEENS1_30default_config_static_selectorELNS0_4arch9wavefront6targetE1EEEvT1_,comdat
	.protected	_ZN7rocprim17ROCPRIM_400000_NS6detail17trampoline_kernelINS0_14default_configENS1_25partition_config_selectorILNS1_17partition_subalgoE0ExNS0_10empty_typeEbEEZZNS1_14partition_implILS5_0ELb0ES3_jN6thrust23THRUST_200600_302600_NS6detail15normal_iteratorINSA_10device_ptrIxEEEEPS6_SG_NS0_5tupleIJSF_NSA_16discard_iteratorINSA_11use_defaultEEEEEENSH_IJSG_SG_EEES6_PlJ7is_evenIxEEEE10hipError_tPvRmT3_T4_T5_T6_T7_T9_mT8_P12ihipStream_tbDpT10_ENKUlT_T0_E_clISt17integral_constantIbLb0EES18_IbLb1EEEEDaS14_S15_EUlS14_E_NS1_11comp_targetILNS1_3genE8ELNS1_11target_archE1030ELNS1_3gpuE2ELNS1_3repE0EEENS1_30default_config_static_selectorELNS0_4arch9wavefront6targetE1EEEvT1_ ; -- Begin function _ZN7rocprim17ROCPRIM_400000_NS6detail17trampoline_kernelINS0_14default_configENS1_25partition_config_selectorILNS1_17partition_subalgoE0ExNS0_10empty_typeEbEEZZNS1_14partition_implILS5_0ELb0ES3_jN6thrust23THRUST_200600_302600_NS6detail15normal_iteratorINSA_10device_ptrIxEEEEPS6_SG_NS0_5tupleIJSF_NSA_16discard_iteratorINSA_11use_defaultEEEEEENSH_IJSG_SG_EEES6_PlJ7is_evenIxEEEE10hipError_tPvRmT3_T4_T5_T6_T7_T9_mT8_P12ihipStream_tbDpT10_ENKUlT_T0_E_clISt17integral_constantIbLb0EES18_IbLb1EEEEDaS14_S15_EUlS14_E_NS1_11comp_targetILNS1_3genE8ELNS1_11target_archE1030ELNS1_3gpuE2ELNS1_3repE0EEENS1_30default_config_static_selectorELNS0_4arch9wavefront6targetE1EEEvT1_
	.globl	_ZN7rocprim17ROCPRIM_400000_NS6detail17trampoline_kernelINS0_14default_configENS1_25partition_config_selectorILNS1_17partition_subalgoE0ExNS0_10empty_typeEbEEZZNS1_14partition_implILS5_0ELb0ES3_jN6thrust23THRUST_200600_302600_NS6detail15normal_iteratorINSA_10device_ptrIxEEEEPS6_SG_NS0_5tupleIJSF_NSA_16discard_iteratorINSA_11use_defaultEEEEEENSH_IJSG_SG_EEES6_PlJ7is_evenIxEEEE10hipError_tPvRmT3_T4_T5_T6_T7_T9_mT8_P12ihipStream_tbDpT10_ENKUlT_T0_E_clISt17integral_constantIbLb0EES18_IbLb1EEEEDaS14_S15_EUlS14_E_NS1_11comp_targetILNS1_3genE8ELNS1_11target_archE1030ELNS1_3gpuE2ELNS1_3repE0EEENS1_30default_config_static_selectorELNS0_4arch9wavefront6targetE1EEEvT1_
	.p2align	8
	.type	_ZN7rocprim17ROCPRIM_400000_NS6detail17trampoline_kernelINS0_14default_configENS1_25partition_config_selectorILNS1_17partition_subalgoE0ExNS0_10empty_typeEbEEZZNS1_14partition_implILS5_0ELb0ES3_jN6thrust23THRUST_200600_302600_NS6detail15normal_iteratorINSA_10device_ptrIxEEEEPS6_SG_NS0_5tupleIJSF_NSA_16discard_iteratorINSA_11use_defaultEEEEEENSH_IJSG_SG_EEES6_PlJ7is_evenIxEEEE10hipError_tPvRmT3_T4_T5_T6_T7_T9_mT8_P12ihipStream_tbDpT10_ENKUlT_T0_E_clISt17integral_constantIbLb0EES18_IbLb1EEEEDaS14_S15_EUlS14_E_NS1_11comp_targetILNS1_3genE8ELNS1_11target_archE1030ELNS1_3gpuE2ELNS1_3repE0EEENS1_30default_config_static_selectorELNS0_4arch9wavefront6targetE1EEEvT1_,@function
_ZN7rocprim17ROCPRIM_400000_NS6detail17trampoline_kernelINS0_14default_configENS1_25partition_config_selectorILNS1_17partition_subalgoE0ExNS0_10empty_typeEbEEZZNS1_14partition_implILS5_0ELb0ES3_jN6thrust23THRUST_200600_302600_NS6detail15normal_iteratorINSA_10device_ptrIxEEEEPS6_SG_NS0_5tupleIJSF_NSA_16discard_iteratorINSA_11use_defaultEEEEEENSH_IJSG_SG_EEES6_PlJ7is_evenIxEEEE10hipError_tPvRmT3_T4_T5_T6_T7_T9_mT8_P12ihipStream_tbDpT10_ENKUlT_T0_E_clISt17integral_constantIbLb0EES18_IbLb1EEEEDaS14_S15_EUlS14_E_NS1_11comp_targetILNS1_3genE8ELNS1_11target_archE1030ELNS1_3gpuE2ELNS1_3repE0EEENS1_30default_config_static_selectorELNS0_4arch9wavefront6targetE1EEEvT1_: ; @_ZN7rocprim17ROCPRIM_400000_NS6detail17trampoline_kernelINS0_14default_configENS1_25partition_config_selectorILNS1_17partition_subalgoE0ExNS0_10empty_typeEbEEZZNS1_14partition_implILS5_0ELb0ES3_jN6thrust23THRUST_200600_302600_NS6detail15normal_iteratorINSA_10device_ptrIxEEEEPS6_SG_NS0_5tupleIJSF_NSA_16discard_iteratorINSA_11use_defaultEEEEEENSH_IJSG_SG_EEES6_PlJ7is_evenIxEEEE10hipError_tPvRmT3_T4_T5_T6_T7_T9_mT8_P12ihipStream_tbDpT10_ENKUlT_T0_E_clISt17integral_constantIbLb0EES18_IbLb1EEEEDaS14_S15_EUlS14_E_NS1_11comp_targetILNS1_3genE8ELNS1_11target_archE1030ELNS1_3gpuE2ELNS1_3repE0EEENS1_30default_config_static_selectorELNS0_4arch9wavefront6targetE1EEEvT1_
; %bb.0:
	.section	.rodata,"a",@progbits
	.p2align	6, 0x0
	.amdhsa_kernel _ZN7rocprim17ROCPRIM_400000_NS6detail17trampoline_kernelINS0_14default_configENS1_25partition_config_selectorILNS1_17partition_subalgoE0ExNS0_10empty_typeEbEEZZNS1_14partition_implILS5_0ELb0ES3_jN6thrust23THRUST_200600_302600_NS6detail15normal_iteratorINSA_10device_ptrIxEEEEPS6_SG_NS0_5tupleIJSF_NSA_16discard_iteratorINSA_11use_defaultEEEEEENSH_IJSG_SG_EEES6_PlJ7is_evenIxEEEE10hipError_tPvRmT3_T4_T5_T6_T7_T9_mT8_P12ihipStream_tbDpT10_ENKUlT_T0_E_clISt17integral_constantIbLb0EES18_IbLb1EEEEDaS14_S15_EUlS14_E_NS1_11comp_targetILNS1_3genE8ELNS1_11target_archE1030ELNS1_3gpuE2ELNS1_3repE0EEENS1_30default_config_static_selectorELNS0_4arch9wavefront6targetE1EEEvT1_
		.amdhsa_group_segment_fixed_size 0
		.amdhsa_private_segment_fixed_size 0
		.amdhsa_kernarg_size 144
		.amdhsa_user_sgpr_count 6
		.amdhsa_user_sgpr_private_segment_buffer 1
		.amdhsa_user_sgpr_dispatch_ptr 0
		.amdhsa_user_sgpr_queue_ptr 0
		.amdhsa_user_sgpr_kernarg_segment_ptr 1
		.amdhsa_user_sgpr_dispatch_id 0
		.amdhsa_user_sgpr_flat_scratch_init 0
		.amdhsa_user_sgpr_kernarg_preload_length 0
		.amdhsa_user_sgpr_kernarg_preload_offset 0
		.amdhsa_user_sgpr_private_segment_size 0
		.amdhsa_uses_dynamic_stack 0
		.amdhsa_system_sgpr_private_segment_wavefront_offset 0
		.amdhsa_system_sgpr_workgroup_id_x 1
		.amdhsa_system_sgpr_workgroup_id_y 0
		.amdhsa_system_sgpr_workgroup_id_z 0
		.amdhsa_system_sgpr_workgroup_info 0
		.amdhsa_system_vgpr_workitem_id 0
		.amdhsa_next_free_vgpr 1
		.amdhsa_next_free_sgpr 0
		.amdhsa_accum_offset 4
		.amdhsa_reserve_vcc 0
		.amdhsa_reserve_flat_scratch 0
		.amdhsa_float_round_mode_32 0
		.amdhsa_float_round_mode_16_64 0
		.amdhsa_float_denorm_mode_32 3
		.amdhsa_float_denorm_mode_16_64 3
		.amdhsa_dx10_clamp 1
		.amdhsa_ieee_mode 1
		.amdhsa_fp16_overflow 0
		.amdhsa_tg_split 0
		.amdhsa_exception_fp_ieee_invalid_op 0
		.amdhsa_exception_fp_denorm_src 0
		.amdhsa_exception_fp_ieee_div_zero 0
		.amdhsa_exception_fp_ieee_overflow 0
		.amdhsa_exception_fp_ieee_underflow 0
		.amdhsa_exception_fp_ieee_inexact 0
		.amdhsa_exception_int_div_zero 0
	.end_amdhsa_kernel
	.section	.text._ZN7rocprim17ROCPRIM_400000_NS6detail17trampoline_kernelINS0_14default_configENS1_25partition_config_selectorILNS1_17partition_subalgoE0ExNS0_10empty_typeEbEEZZNS1_14partition_implILS5_0ELb0ES3_jN6thrust23THRUST_200600_302600_NS6detail15normal_iteratorINSA_10device_ptrIxEEEEPS6_SG_NS0_5tupleIJSF_NSA_16discard_iteratorINSA_11use_defaultEEEEEENSH_IJSG_SG_EEES6_PlJ7is_evenIxEEEE10hipError_tPvRmT3_T4_T5_T6_T7_T9_mT8_P12ihipStream_tbDpT10_ENKUlT_T0_E_clISt17integral_constantIbLb0EES18_IbLb1EEEEDaS14_S15_EUlS14_E_NS1_11comp_targetILNS1_3genE8ELNS1_11target_archE1030ELNS1_3gpuE2ELNS1_3repE0EEENS1_30default_config_static_selectorELNS0_4arch9wavefront6targetE1EEEvT1_,"axG",@progbits,_ZN7rocprim17ROCPRIM_400000_NS6detail17trampoline_kernelINS0_14default_configENS1_25partition_config_selectorILNS1_17partition_subalgoE0ExNS0_10empty_typeEbEEZZNS1_14partition_implILS5_0ELb0ES3_jN6thrust23THRUST_200600_302600_NS6detail15normal_iteratorINSA_10device_ptrIxEEEEPS6_SG_NS0_5tupleIJSF_NSA_16discard_iteratorINSA_11use_defaultEEEEEENSH_IJSG_SG_EEES6_PlJ7is_evenIxEEEE10hipError_tPvRmT3_T4_T5_T6_T7_T9_mT8_P12ihipStream_tbDpT10_ENKUlT_T0_E_clISt17integral_constantIbLb0EES18_IbLb1EEEEDaS14_S15_EUlS14_E_NS1_11comp_targetILNS1_3genE8ELNS1_11target_archE1030ELNS1_3gpuE2ELNS1_3repE0EEENS1_30default_config_static_selectorELNS0_4arch9wavefront6targetE1EEEvT1_,comdat
.Lfunc_end2650:
	.size	_ZN7rocprim17ROCPRIM_400000_NS6detail17trampoline_kernelINS0_14default_configENS1_25partition_config_selectorILNS1_17partition_subalgoE0ExNS0_10empty_typeEbEEZZNS1_14partition_implILS5_0ELb0ES3_jN6thrust23THRUST_200600_302600_NS6detail15normal_iteratorINSA_10device_ptrIxEEEEPS6_SG_NS0_5tupleIJSF_NSA_16discard_iteratorINSA_11use_defaultEEEEEENSH_IJSG_SG_EEES6_PlJ7is_evenIxEEEE10hipError_tPvRmT3_T4_T5_T6_T7_T9_mT8_P12ihipStream_tbDpT10_ENKUlT_T0_E_clISt17integral_constantIbLb0EES18_IbLb1EEEEDaS14_S15_EUlS14_E_NS1_11comp_targetILNS1_3genE8ELNS1_11target_archE1030ELNS1_3gpuE2ELNS1_3repE0EEENS1_30default_config_static_selectorELNS0_4arch9wavefront6targetE1EEEvT1_, .Lfunc_end2650-_ZN7rocprim17ROCPRIM_400000_NS6detail17trampoline_kernelINS0_14default_configENS1_25partition_config_selectorILNS1_17partition_subalgoE0ExNS0_10empty_typeEbEEZZNS1_14partition_implILS5_0ELb0ES3_jN6thrust23THRUST_200600_302600_NS6detail15normal_iteratorINSA_10device_ptrIxEEEEPS6_SG_NS0_5tupleIJSF_NSA_16discard_iteratorINSA_11use_defaultEEEEEENSH_IJSG_SG_EEES6_PlJ7is_evenIxEEEE10hipError_tPvRmT3_T4_T5_T6_T7_T9_mT8_P12ihipStream_tbDpT10_ENKUlT_T0_E_clISt17integral_constantIbLb0EES18_IbLb1EEEEDaS14_S15_EUlS14_E_NS1_11comp_targetILNS1_3genE8ELNS1_11target_archE1030ELNS1_3gpuE2ELNS1_3repE0EEENS1_30default_config_static_selectorELNS0_4arch9wavefront6targetE1EEEvT1_
                                        ; -- End function
	.section	.AMDGPU.csdata,"",@progbits
; Kernel info:
; codeLenInByte = 0
; NumSgprs: 4
; NumVgprs: 0
; NumAgprs: 0
; TotalNumVgprs: 0
; ScratchSize: 0
; MemoryBound: 0
; FloatMode: 240
; IeeeMode: 1
; LDSByteSize: 0 bytes/workgroup (compile time only)
; SGPRBlocks: 0
; VGPRBlocks: 0
; NumSGPRsForWavesPerEU: 4
; NumVGPRsForWavesPerEU: 1
; AccumOffset: 4
; Occupancy: 8
; WaveLimiterHint : 0
; COMPUTE_PGM_RSRC2:SCRATCH_EN: 0
; COMPUTE_PGM_RSRC2:USER_SGPR: 6
; COMPUTE_PGM_RSRC2:TRAP_HANDLER: 0
; COMPUTE_PGM_RSRC2:TGID_X_EN: 1
; COMPUTE_PGM_RSRC2:TGID_Y_EN: 0
; COMPUTE_PGM_RSRC2:TGID_Z_EN: 0
; COMPUTE_PGM_RSRC2:TIDIG_COMP_CNT: 0
; COMPUTE_PGM_RSRC3_GFX90A:ACCUM_OFFSET: 0
; COMPUTE_PGM_RSRC3_GFX90A:TG_SPLIT: 0
	.section	.text._ZN7rocprim17ROCPRIM_400000_NS6detail17trampoline_kernelINS0_14default_configENS1_25partition_config_selectorILNS1_17partition_subalgoE0ExNS0_10empty_typeEbEEZZNS1_14partition_implILS5_0ELb0ES3_jN6thrust23THRUST_200600_302600_NS6detail15normal_iteratorINSA_10device_ptrIxEEEEPS6_SG_NS0_5tupleIJNSA_16discard_iteratorINSA_11use_defaultEEESF_EEENSH_IJSG_SG_EEES6_PlJ7is_evenIxEEEE10hipError_tPvRmT3_T4_T5_T6_T7_T9_mT8_P12ihipStream_tbDpT10_ENKUlT_T0_E_clISt17integral_constantIbLb0EES19_EEDaS14_S15_EUlS14_E_NS1_11comp_targetILNS1_3genE0ELNS1_11target_archE4294967295ELNS1_3gpuE0ELNS1_3repE0EEENS1_30default_config_static_selectorELNS0_4arch9wavefront6targetE1EEEvT1_,"axG",@progbits,_ZN7rocprim17ROCPRIM_400000_NS6detail17trampoline_kernelINS0_14default_configENS1_25partition_config_selectorILNS1_17partition_subalgoE0ExNS0_10empty_typeEbEEZZNS1_14partition_implILS5_0ELb0ES3_jN6thrust23THRUST_200600_302600_NS6detail15normal_iteratorINSA_10device_ptrIxEEEEPS6_SG_NS0_5tupleIJNSA_16discard_iteratorINSA_11use_defaultEEESF_EEENSH_IJSG_SG_EEES6_PlJ7is_evenIxEEEE10hipError_tPvRmT3_T4_T5_T6_T7_T9_mT8_P12ihipStream_tbDpT10_ENKUlT_T0_E_clISt17integral_constantIbLb0EES19_EEDaS14_S15_EUlS14_E_NS1_11comp_targetILNS1_3genE0ELNS1_11target_archE4294967295ELNS1_3gpuE0ELNS1_3repE0EEENS1_30default_config_static_selectorELNS0_4arch9wavefront6targetE1EEEvT1_,comdat
	.protected	_ZN7rocprim17ROCPRIM_400000_NS6detail17trampoline_kernelINS0_14default_configENS1_25partition_config_selectorILNS1_17partition_subalgoE0ExNS0_10empty_typeEbEEZZNS1_14partition_implILS5_0ELb0ES3_jN6thrust23THRUST_200600_302600_NS6detail15normal_iteratorINSA_10device_ptrIxEEEEPS6_SG_NS0_5tupleIJNSA_16discard_iteratorINSA_11use_defaultEEESF_EEENSH_IJSG_SG_EEES6_PlJ7is_evenIxEEEE10hipError_tPvRmT3_T4_T5_T6_T7_T9_mT8_P12ihipStream_tbDpT10_ENKUlT_T0_E_clISt17integral_constantIbLb0EES19_EEDaS14_S15_EUlS14_E_NS1_11comp_targetILNS1_3genE0ELNS1_11target_archE4294967295ELNS1_3gpuE0ELNS1_3repE0EEENS1_30default_config_static_selectorELNS0_4arch9wavefront6targetE1EEEvT1_ ; -- Begin function _ZN7rocprim17ROCPRIM_400000_NS6detail17trampoline_kernelINS0_14default_configENS1_25partition_config_selectorILNS1_17partition_subalgoE0ExNS0_10empty_typeEbEEZZNS1_14partition_implILS5_0ELb0ES3_jN6thrust23THRUST_200600_302600_NS6detail15normal_iteratorINSA_10device_ptrIxEEEEPS6_SG_NS0_5tupleIJNSA_16discard_iteratorINSA_11use_defaultEEESF_EEENSH_IJSG_SG_EEES6_PlJ7is_evenIxEEEE10hipError_tPvRmT3_T4_T5_T6_T7_T9_mT8_P12ihipStream_tbDpT10_ENKUlT_T0_E_clISt17integral_constantIbLb0EES19_EEDaS14_S15_EUlS14_E_NS1_11comp_targetILNS1_3genE0ELNS1_11target_archE4294967295ELNS1_3gpuE0ELNS1_3repE0EEENS1_30default_config_static_selectorELNS0_4arch9wavefront6targetE1EEEvT1_
	.globl	_ZN7rocprim17ROCPRIM_400000_NS6detail17trampoline_kernelINS0_14default_configENS1_25partition_config_selectorILNS1_17partition_subalgoE0ExNS0_10empty_typeEbEEZZNS1_14partition_implILS5_0ELb0ES3_jN6thrust23THRUST_200600_302600_NS6detail15normal_iteratorINSA_10device_ptrIxEEEEPS6_SG_NS0_5tupleIJNSA_16discard_iteratorINSA_11use_defaultEEESF_EEENSH_IJSG_SG_EEES6_PlJ7is_evenIxEEEE10hipError_tPvRmT3_T4_T5_T6_T7_T9_mT8_P12ihipStream_tbDpT10_ENKUlT_T0_E_clISt17integral_constantIbLb0EES19_EEDaS14_S15_EUlS14_E_NS1_11comp_targetILNS1_3genE0ELNS1_11target_archE4294967295ELNS1_3gpuE0ELNS1_3repE0EEENS1_30default_config_static_selectorELNS0_4arch9wavefront6targetE1EEEvT1_
	.p2align	8
	.type	_ZN7rocprim17ROCPRIM_400000_NS6detail17trampoline_kernelINS0_14default_configENS1_25partition_config_selectorILNS1_17partition_subalgoE0ExNS0_10empty_typeEbEEZZNS1_14partition_implILS5_0ELb0ES3_jN6thrust23THRUST_200600_302600_NS6detail15normal_iteratorINSA_10device_ptrIxEEEEPS6_SG_NS0_5tupleIJNSA_16discard_iteratorINSA_11use_defaultEEESF_EEENSH_IJSG_SG_EEES6_PlJ7is_evenIxEEEE10hipError_tPvRmT3_T4_T5_T6_T7_T9_mT8_P12ihipStream_tbDpT10_ENKUlT_T0_E_clISt17integral_constantIbLb0EES19_EEDaS14_S15_EUlS14_E_NS1_11comp_targetILNS1_3genE0ELNS1_11target_archE4294967295ELNS1_3gpuE0ELNS1_3repE0EEENS1_30default_config_static_selectorELNS0_4arch9wavefront6targetE1EEEvT1_,@function
_ZN7rocprim17ROCPRIM_400000_NS6detail17trampoline_kernelINS0_14default_configENS1_25partition_config_selectorILNS1_17partition_subalgoE0ExNS0_10empty_typeEbEEZZNS1_14partition_implILS5_0ELb0ES3_jN6thrust23THRUST_200600_302600_NS6detail15normal_iteratorINSA_10device_ptrIxEEEEPS6_SG_NS0_5tupleIJNSA_16discard_iteratorINSA_11use_defaultEEESF_EEENSH_IJSG_SG_EEES6_PlJ7is_evenIxEEEE10hipError_tPvRmT3_T4_T5_T6_T7_T9_mT8_P12ihipStream_tbDpT10_ENKUlT_T0_E_clISt17integral_constantIbLb0EES19_EEDaS14_S15_EUlS14_E_NS1_11comp_targetILNS1_3genE0ELNS1_11target_archE4294967295ELNS1_3gpuE0ELNS1_3repE0EEENS1_30default_config_static_selectorELNS0_4arch9wavefront6targetE1EEEvT1_: ; @_ZN7rocprim17ROCPRIM_400000_NS6detail17trampoline_kernelINS0_14default_configENS1_25partition_config_selectorILNS1_17partition_subalgoE0ExNS0_10empty_typeEbEEZZNS1_14partition_implILS5_0ELb0ES3_jN6thrust23THRUST_200600_302600_NS6detail15normal_iteratorINSA_10device_ptrIxEEEEPS6_SG_NS0_5tupleIJNSA_16discard_iteratorINSA_11use_defaultEEESF_EEENSH_IJSG_SG_EEES6_PlJ7is_evenIxEEEE10hipError_tPvRmT3_T4_T5_T6_T7_T9_mT8_P12ihipStream_tbDpT10_ENKUlT_T0_E_clISt17integral_constantIbLb0EES19_EEDaS14_S15_EUlS14_E_NS1_11comp_targetILNS1_3genE0ELNS1_11target_archE4294967295ELNS1_3gpuE0ELNS1_3repE0EEENS1_30default_config_static_selectorELNS0_4arch9wavefront6targetE1EEEvT1_
; %bb.0:
	.section	.rodata,"a",@progbits
	.p2align	6, 0x0
	.amdhsa_kernel _ZN7rocprim17ROCPRIM_400000_NS6detail17trampoline_kernelINS0_14default_configENS1_25partition_config_selectorILNS1_17partition_subalgoE0ExNS0_10empty_typeEbEEZZNS1_14partition_implILS5_0ELb0ES3_jN6thrust23THRUST_200600_302600_NS6detail15normal_iteratorINSA_10device_ptrIxEEEEPS6_SG_NS0_5tupleIJNSA_16discard_iteratorINSA_11use_defaultEEESF_EEENSH_IJSG_SG_EEES6_PlJ7is_evenIxEEEE10hipError_tPvRmT3_T4_T5_T6_T7_T9_mT8_P12ihipStream_tbDpT10_ENKUlT_T0_E_clISt17integral_constantIbLb0EES19_EEDaS14_S15_EUlS14_E_NS1_11comp_targetILNS1_3genE0ELNS1_11target_archE4294967295ELNS1_3gpuE0ELNS1_3repE0EEENS1_30default_config_static_selectorELNS0_4arch9wavefront6targetE1EEEvT1_
		.amdhsa_group_segment_fixed_size 0
		.amdhsa_private_segment_fixed_size 0
		.amdhsa_kernarg_size 128
		.amdhsa_user_sgpr_count 6
		.amdhsa_user_sgpr_private_segment_buffer 1
		.amdhsa_user_sgpr_dispatch_ptr 0
		.amdhsa_user_sgpr_queue_ptr 0
		.amdhsa_user_sgpr_kernarg_segment_ptr 1
		.amdhsa_user_sgpr_dispatch_id 0
		.amdhsa_user_sgpr_flat_scratch_init 0
		.amdhsa_user_sgpr_kernarg_preload_length 0
		.amdhsa_user_sgpr_kernarg_preload_offset 0
		.amdhsa_user_sgpr_private_segment_size 0
		.amdhsa_uses_dynamic_stack 0
		.amdhsa_system_sgpr_private_segment_wavefront_offset 0
		.amdhsa_system_sgpr_workgroup_id_x 1
		.amdhsa_system_sgpr_workgroup_id_y 0
		.amdhsa_system_sgpr_workgroup_id_z 0
		.amdhsa_system_sgpr_workgroup_info 0
		.amdhsa_system_vgpr_workitem_id 0
		.amdhsa_next_free_vgpr 1
		.amdhsa_next_free_sgpr 0
		.amdhsa_accum_offset 4
		.amdhsa_reserve_vcc 0
		.amdhsa_reserve_flat_scratch 0
		.amdhsa_float_round_mode_32 0
		.amdhsa_float_round_mode_16_64 0
		.amdhsa_float_denorm_mode_32 3
		.amdhsa_float_denorm_mode_16_64 3
		.amdhsa_dx10_clamp 1
		.amdhsa_ieee_mode 1
		.amdhsa_fp16_overflow 0
		.amdhsa_tg_split 0
		.amdhsa_exception_fp_ieee_invalid_op 0
		.amdhsa_exception_fp_denorm_src 0
		.amdhsa_exception_fp_ieee_div_zero 0
		.amdhsa_exception_fp_ieee_overflow 0
		.amdhsa_exception_fp_ieee_underflow 0
		.amdhsa_exception_fp_ieee_inexact 0
		.amdhsa_exception_int_div_zero 0
	.end_amdhsa_kernel
	.section	.text._ZN7rocprim17ROCPRIM_400000_NS6detail17trampoline_kernelINS0_14default_configENS1_25partition_config_selectorILNS1_17partition_subalgoE0ExNS0_10empty_typeEbEEZZNS1_14partition_implILS5_0ELb0ES3_jN6thrust23THRUST_200600_302600_NS6detail15normal_iteratorINSA_10device_ptrIxEEEEPS6_SG_NS0_5tupleIJNSA_16discard_iteratorINSA_11use_defaultEEESF_EEENSH_IJSG_SG_EEES6_PlJ7is_evenIxEEEE10hipError_tPvRmT3_T4_T5_T6_T7_T9_mT8_P12ihipStream_tbDpT10_ENKUlT_T0_E_clISt17integral_constantIbLb0EES19_EEDaS14_S15_EUlS14_E_NS1_11comp_targetILNS1_3genE0ELNS1_11target_archE4294967295ELNS1_3gpuE0ELNS1_3repE0EEENS1_30default_config_static_selectorELNS0_4arch9wavefront6targetE1EEEvT1_,"axG",@progbits,_ZN7rocprim17ROCPRIM_400000_NS6detail17trampoline_kernelINS0_14default_configENS1_25partition_config_selectorILNS1_17partition_subalgoE0ExNS0_10empty_typeEbEEZZNS1_14partition_implILS5_0ELb0ES3_jN6thrust23THRUST_200600_302600_NS6detail15normal_iteratorINSA_10device_ptrIxEEEEPS6_SG_NS0_5tupleIJNSA_16discard_iteratorINSA_11use_defaultEEESF_EEENSH_IJSG_SG_EEES6_PlJ7is_evenIxEEEE10hipError_tPvRmT3_T4_T5_T6_T7_T9_mT8_P12ihipStream_tbDpT10_ENKUlT_T0_E_clISt17integral_constantIbLb0EES19_EEDaS14_S15_EUlS14_E_NS1_11comp_targetILNS1_3genE0ELNS1_11target_archE4294967295ELNS1_3gpuE0ELNS1_3repE0EEENS1_30default_config_static_selectorELNS0_4arch9wavefront6targetE1EEEvT1_,comdat
.Lfunc_end2651:
	.size	_ZN7rocprim17ROCPRIM_400000_NS6detail17trampoline_kernelINS0_14default_configENS1_25partition_config_selectorILNS1_17partition_subalgoE0ExNS0_10empty_typeEbEEZZNS1_14partition_implILS5_0ELb0ES3_jN6thrust23THRUST_200600_302600_NS6detail15normal_iteratorINSA_10device_ptrIxEEEEPS6_SG_NS0_5tupleIJNSA_16discard_iteratorINSA_11use_defaultEEESF_EEENSH_IJSG_SG_EEES6_PlJ7is_evenIxEEEE10hipError_tPvRmT3_T4_T5_T6_T7_T9_mT8_P12ihipStream_tbDpT10_ENKUlT_T0_E_clISt17integral_constantIbLb0EES19_EEDaS14_S15_EUlS14_E_NS1_11comp_targetILNS1_3genE0ELNS1_11target_archE4294967295ELNS1_3gpuE0ELNS1_3repE0EEENS1_30default_config_static_selectorELNS0_4arch9wavefront6targetE1EEEvT1_, .Lfunc_end2651-_ZN7rocprim17ROCPRIM_400000_NS6detail17trampoline_kernelINS0_14default_configENS1_25partition_config_selectorILNS1_17partition_subalgoE0ExNS0_10empty_typeEbEEZZNS1_14partition_implILS5_0ELb0ES3_jN6thrust23THRUST_200600_302600_NS6detail15normal_iteratorINSA_10device_ptrIxEEEEPS6_SG_NS0_5tupleIJNSA_16discard_iteratorINSA_11use_defaultEEESF_EEENSH_IJSG_SG_EEES6_PlJ7is_evenIxEEEE10hipError_tPvRmT3_T4_T5_T6_T7_T9_mT8_P12ihipStream_tbDpT10_ENKUlT_T0_E_clISt17integral_constantIbLb0EES19_EEDaS14_S15_EUlS14_E_NS1_11comp_targetILNS1_3genE0ELNS1_11target_archE4294967295ELNS1_3gpuE0ELNS1_3repE0EEENS1_30default_config_static_selectorELNS0_4arch9wavefront6targetE1EEEvT1_
                                        ; -- End function
	.section	.AMDGPU.csdata,"",@progbits
; Kernel info:
; codeLenInByte = 0
; NumSgprs: 4
; NumVgprs: 0
; NumAgprs: 0
; TotalNumVgprs: 0
; ScratchSize: 0
; MemoryBound: 0
; FloatMode: 240
; IeeeMode: 1
; LDSByteSize: 0 bytes/workgroup (compile time only)
; SGPRBlocks: 0
; VGPRBlocks: 0
; NumSGPRsForWavesPerEU: 4
; NumVGPRsForWavesPerEU: 1
; AccumOffset: 4
; Occupancy: 8
; WaveLimiterHint : 0
; COMPUTE_PGM_RSRC2:SCRATCH_EN: 0
; COMPUTE_PGM_RSRC2:USER_SGPR: 6
; COMPUTE_PGM_RSRC2:TRAP_HANDLER: 0
; COMPUTE_PGM_RSRC2:TGID_X_EN: 1
; COMPUTE_PGM_RSRC2:TGID_Y_EN: 0
; COMPUTE_PGM_RSRC2:TGID_Z_EN: 0
; COMPUTE_PGM_RSRC2:TIDIG_COMP_CNT: 0
; COMPUTE_PGM_RSRC3_GFX90A:ACCUM_OFFSET: 0
; COMPUTE_PGM_RSRC3_GFX90A:TG_SPLIT: 0
	.section	.text._ZN7rocprim17ROCPRIM_400000_NS6detail17trampoline_kernelINS0_14default_configENS1_25partition_config_selectorILNS1_17partition_subalgoE0ExNS0_10empty_typeEbEEZZNS1_14partition_implILS5_0ELb0ES3_jN6thrust23THRUST_200600_302600_NS6detail15normal_iteratorINSA_10device_ptrIxEEEEPS6_SG_NS0_5tupleIJNSA_16discard_iteratorINSA_11use_defaultEEESF_EEENSH_IJSG_SG_EEES6_PlJ7is_evenIxEEEE10hipError_tPvRmT3_T4_T5_T6_T7_T9_mT8_P12ihipStream_tbDpT10_ENKUlT_T0_E_clISt17integral_constantIbLb0EES19_EEDaS14_S15_EUlS14_E_NS1_11comp_targetILNS1_3genE5ELNS1_11target_archE942ELNS1_3gpuE9ELNS1_3repE0EEENS1_30default_config_static_selectorELNS0_4arch9wavefront6targetE1EEEvT1_,"axG",@progbits,_ZN7rocprim17ROCPRIM_400000_NS6detail17trampoline_kernelINS0_14default_configENS1_25partition_config_selectorILNS1_17partition_subalgoE0ExNS0_10empty_typeEbEEZZNS1_14partition_implILS5_0ELb0ES3_jN6thrust23THRUST_200600_302600_NS6detail15normal_iteratorINSA_10device_ptrIxEEEEPS6_SG_NS0_5tupleIJNSA_16discard_iteratorINSA_11use_defaultEEESF_EEENSH_IJSG_SG_EEES6_PlJ7is_evenIxEEEE10hipError_tPvRmT3_T4_T5_T6_T7_T9_mT8_P12ihipStream_tbDpT10_ENKUlT_T0_E_clISt17integral_constantIbLb0EES19_EEDaS14_S15_EUlS14_E_NS1_11comp_targetILNS1_3genE5ELNS1_11target_archE942ELNS1_3gpuE9ELNS1_3repE0EEENS1_30default_config_static_selectorELNS0_4arch9wavefront6targetE1EEEvT1_,comdat
	.protected	_ZN7rocprim17ROCPRIM_400000_NS6detail17trampoline_kernelINS0_14default_configENS1_25partition_config_selectorILNS1_17partition_subalgoE0ExNS0_10empty_typeEbEEZZNS1_14partition_implILS5_0ELb0ES3_jN6thrust23THRUST_200600_302600_NS6detail15normal_iteratorINSA_10device_ptrIxEEEEPS6_SG_NS0_5tupleIJNSA_16discard_iteratorINSA_11use_defaultEEESF_EEENSH_IJSG_SG_EEES6_PlJ7is_evenIxEEEE10hipError_tPvRmT3_T4_T5_T6_T7_T9_mT8_P12ihipStream_tbDpT10_ENKUlT_T0_E_clISt17integral_constantIbLb0EES19_EEDaS14_S15_EUlS14_E_NS1_11comp_targetILNS1_3genE5ELNS1_11target_archE942ELNS1_3gpuE9ELNS1_3repE0EEENS1_30default_config_static_selectorELNS0_4arch9wavefront6targetE1EEEvT1_ ; -- Begin function _ZN7rocprim17ROCPRIM_400000_NS6detail17trampoline_kernelINS0_14default_configENS1_25partition_config_selectorILNS1_17partition_subalgoE0ExNS0_10empty_typeEbEEZZNS1_14partition_implILS5_0ELb0ES3_jN6thrust23THRUST_200600_302600_NS6detail15normal_iteratorINSA_10device_ptrIxEEEEPS6_SG_NS0_5tupleIJNSA_16discard_iteratorINSA_11use_defaultEEESF_EEENSH_IJSG_SG_EEES6_PlJ7is_evenIxEEEE10hipError_tPvRmT3_T4_T5_T6_T7_T9_mT8_P12ihipStream_tbDpT10_ENKUlT_T0_E_clISt17integral_constantIbLb0EES19_EEDaS14_S15_EUlS14_E_NS1_11comp_targetILNS1_3genE5ELNS1_11target_archE942ELNS1_3gpuE9ELNS1_3repE0EEENS1_30default_config_static_selectorELNS0_4arch9wavefront6targetE1EEEvT1_
	.globl	_ZN7rocprim17ROCPRIM_400000_NS6detail17trampoline_kernelINS0_14default_configENS1_25partition_config_selectorILNS1_17partition_subalgoE0ExNS0_10empty_typeEbEEZZNS1_14partition_implILS5_0ELb0ES3_jN6thrust23THRUST_200600_302600_NS6detail15normal_iteratorINSA_10device_ptrIxEEEEPS6_SG_NS0_5tupleIJNSA_16discard_iteratorINSA_11use_defaultEEESF_EEENSH_IJSG_SG_EEES6_PlJ7is_evenIxEEEE10hipError_tPvRmT3_T4_T5_T6_T7_T9_mT8_P12ihipStream_tbDpT10_ENKUlT_T0_E_clISt17integral_constantIbLb0EES19_EEDaS14_S15_EUlS14_E_NS1_11comp_targetILNS1_3genE5ELNS1_11target_archE942ELNS1_3gpuE9ELNS1_3repE0EEENS1_30default_config_static_selectorELNS0_4arch9wavefront6targetE1EEEvT1_
	.p2align	8
	.type	_ZN7rocprim17ROCPRIM_400000_NS6detail17trampoline_kernelINS0_14default_configENS1_25partition_config_selectorILNS1_17partition_subalgoE0ExNS0_10empty_typeEbEEZZNS1_14partition_implILS5_0ELb0ES3_jN6thrust23THRUST_200600_302600_NS6detail15normal_iteratorINSA_10device_ptrIxEEEEPS6_SG_NS0_5tupleIJNSA_16discard_iteratorINSA_11use_defaultEEESF_EEENSH_IJSG_SG_EEES6_PlJ7is_evenIxEEEE10hipError_tPvRmT3_T4_T5_T6_T7_T9_mT8_P12ihipStream_tbDpT10_ENKUlT_T0_E_clISt17integral_constantIbLb0EES19_EEDaS14_S15_EUlS14_E_NS1_11comp_targetILNS1_3genE5ELNS1_11target_archE942ELNS1_3gpuE9ELNS1_3repE0EEENS1_30default_config_static_selectorELNS0_4arch9wavefront6targetE1EEEvT1_,@function
_ZN7rocprim17ROCPRIM_400000_NS6detail17trampoline_kernelINS0_14default_configENS1_25partition_config_selectorILNS1_17partition_subalgoE0ExNS0_10empty_typeEbEEZZNS1_14partition_implILS5_0ELb0ES3_jN6thrust23THRUST_200600_302600_NS6detail15normal_iteratorINSA_10device_ptrIxEEEEPS6_SG_NS0_5tupleIJNSA_16discard_iteratorINSA_11use_defaultEEESF_EEENSH_IJSG_SG_EEES6_PlJ7is_evenIxEEEE10hipError_tPvRmT3_T4_T5_T6_T7_T9_mT8_P12ihipStream_tbDpT10_ENKUlT_T0_E_clISt17integral_constantIbLb0EES19_EEDaS14_S15_EUlS14_E_NS1_11comp_targetILNS1_3genE5ELNS1_11target_archE942ELNS1_3gpuE9ELNS1_3repE0EEENS1_30default_config_static_selectorELNS0_4arch9wavefront6targetE1EEEvT1_: ; @_ZN7rocprim17ROCPRIM_400000_NS6detail17trampoline_kernelINS0_14default_configENS1_25partition_config_selectorILNS1_17partition_subalgoE0ExNS0_10empty_typeEbEEZZNS1_14partition_implILS5_0ELb0ES3_jN6thrust23THRUST_200600_302600_NS6detail15normal_iteratorINSA_10device_ptrIxEEEEPS6_SG_NS0_5tupleIJNSA_16discard_iteratorINSA_11use_defaultEEESF_EEENSH_IJSG_SG_EEES6_PlJ7is_evenIxEEEE10hipError_tPvRmT3_T4_T5_T6_T7_T9_mT8_P12ihipStream_tbDpT10_ENKUlT_T0_E_clISt17integral_constantIbLb0EES19_EEDaS14_S15_EUlS14_E_NS1_11comp_targetILNS1_3genE5ELNS1_11target_archE942ELNS1_3gpuE9ELNS1_3repE0EEENS1_30default_config_static_selectorELNS0_4arch9wavefront6targetE1EEEvT1_
; %bb.0:
	.section	.rodata,"a",@progbits
	.p2align	6, 0x0
	.amdhsa_kernel _ZN7rocprim17ROCPRIM_400000_NS6detail17trampoline_kernelINS0_14default_configENS1_25partition_config_selectorILNS1_17partition_subalgoE0ExNS0_10empty_typeEbEEZZNS1_14partition_implILS5_0ELb0ES3_jN6thrust23THRUST_200600_302600_NS6detail15normal_iteratorINSA_10device_ptrIxEEEEPS6_SG_NS0_5tupleIJNSA_16discard_iteratorINSA_11use_defaultEEESF_EEENSH_IJSG_SG_EEES6_PlJ7is_evenIxEEEE10hipError_tPvRmT3_T4_T5_T6_T7_T9_mT8_P12ihipStream_tbDpT10_ENKUlT_T0_E_clISt17integral_constantIbLb0EES19_EEDaS14_S15_EUlS14_E_NS1_11comp_targetILNS1_3genE5ELNS1_11target_archE942ELNS1_3gpuE9ELNS1_3repE0EEENS1_30default_config_static_selectorELNS0_4arch9wavefront6targetE1EEEvT1_
		.amdhsa_group_segment_fixed_size 0
		.amdhsa_private_segment_fixed_size 0
		.amdhsa_kernarg_size 128
		.amdhsa_user_sgpr_count 6
		.amdhsa_user_sgpr_private_segment_buffer 1
		.amdhsa_user_sgpr_dispatch_ptr 0
		.amdhsa_user_sgpr_queue_ptr 0
		.amdhsa_user_sgpr_kernarg_segment_ptr 1
		.amdhsa_user_sgpr_dispatch_id 0
		.amdhsa_user_sgpr_flat_scratch_init 0
		.amdhsa_user_sgpr_kernarg_preload_length 0
		.amdhsa_user_sgpr_kernarg_preload_offset 0
		.amdhsa_user_sgpr_private_segment_size 0
		.amdhsa_uses_dynamic_stack 0
		.amdhsa_system_sgpr_private_segment_wavefront_offset 0
		.amdhsa_system_sgpr_workgroup_id_x 1
		.amdhsa_system_sgpr_workgroup_id_y 0
		.amdhsa_system_sgpr_workgroup_id_z 0
		.amdhsa_system_sgpr_workgroup_info 0
		.amdhsa_system_vgpr_workitem_id 0
		.amdhsa_next_free_vgpr 1
		.amdhsa_next_free_sgpr 0
		.amdhsa_accum_offset 4
		.amdhsa_reserve_vcc 0
		.amdhsa_reserve_flat_scratch 0
		.amdhsa_float_round_mode_32 0
		.amdhsa_float_round_mode_16_64 0
		.amdhsa_float_denorm_mode_32 3
		.amdhsa_float_denorm_mode_16_64 3
		.amdhsa_dx10_clamp 1
		.amdhsa_ieee_mode 1
		.amdhsa_fp16_overflow 0
		.amdhsa_tg_split 0
		.amdhsa_exception_fp_ieee_invalid_op 0
		.amdhsa_exception_fp_denorm_src 0
		.amdhsa_exception_fp_ieee_div_zero 0
		.amdhsa_exception_fp_ieee_overflow 0
		.amdhsa_exception_fp_ieee_underflow 0
		.amdhsa_exception_fp_ieee_inexact 0
		.amdhsa_exception_int_div_zero 0
	.end_amdhsa_kernel
	.section	.text._ZN7rocprim17ROCPRIM_400000_NS6detail17trampoline_kernelINS0_14default_configENS1_25partition_config_selectorILNS1_17partition_subalgoE0ExNS0_10empty_typeEbEEZZNS1_14partition_implILS5_0ELb0ES3_jN6thrust23THRUST_200600_302600_NS6detail15normal_iteratorINSA_10device_ptrIxEEEEPS6_SG_NS0_5tupleIJNSA_16discard_iteratorINSA_11use_defaultEEESF_EEENSH_IJSG_SG_EEES6_PlJ7is_evenIxEEEE10hipError_tPvRmT3_T4_T5_T6_T7_T9_mT8_P12ihipStream_tbDpT10_ENKUlT_T0_E_clISt17integral_constantIbLb0EES19_EEDaS14_S15_EUlS14_E_NS1_11comp_targetILNS1_3genE5ELNS1_11target_archE942ELNS1_3gpuE9ELNS1_3repE0EEENS1_30default_config_static_selectorELNS0_4arch9wavefront6targetE1EEEvT1_,"axG",@progbits,_ZN7rocprim17ROCPRIM_400000_NS6detail17trampoline_kernelINS0_14default_configENS1_25partition_config_selectorILNS1_17partition_subalgoE0ExNS0_10empty_typeEbEEZZNS1_14partition_implILS5_0ELb0ES3_jN6thrust23THRUST_200600_302600_NS6detail15normal_iteratorINSA_10device_ptrIxEEEEPS6_SG_NS0_5tupleIJNSA_16discard_iteratorINSA_11use_defaultEEESF_EEENSH_IJSG_SG_EEES6_PlJ7is_evenIxEEEE10hipError_tPvRmT3_T4_T5_T6_T7_T9_mT8_P12ihipStream_tbDpT10_ENKUlT_T0_E_clISt17integral_constantIbLb0EES19_EEDaS14_S15_EUlS14_E_NS1_11comp_targetILNS1_3genE5ELNS1_11target_archE942ELNS1_3gpuE9ELNS1_3repE0EEENS1_30default_config_static_selectorELNS0_4arch9wavefront6targetE1EEEvT1_,comdat
.Lfunc_end2652:
	.size	_ZN7rocprim17ROCPRIM_400000_NS6detail17trampoline_kernelINS0_14default_configENS1_25partition_config_selectorILNS1_17partition_subalgoE0ExNS0_10empty_typeEbEEZZNS1_14partition_implILS5_0ELb0ES3_jN6thrust23THRUST_200600_302600_NS6detail15normal_iteratorINSA_10device_ptrIxEEEEPS6_SG_NS0_5tupleIJNSA_16discard_iteratorINSA_11use_defaultEEESF_EEENSH_IJSG_SG_EEES6_PlJ7is_evenIxEEEE10hipError_tPvRmT3_T4_T5_T6_T7_T9_mT8_P12ihipStream_tbDpT10_ENKUlT_T0_E_clISt17integral_constantIbLb0EES19_EEDaS14_S15_EUlS14_E_NS1_11comp_targetILNS1_3genE5ELNS1_11target_archE942ELNS1_3gpuE9ELNS1_3repE0EEENS1_30default_config_static_selectorELNS0_4arch9wavefront6targetE1EEEvT1_, .Lfunc_end2652-_ZN7rocprim17ROCPRIM_400000_NS6detail17trampoline_kernelINS0_14default_configENS1_25partition_config_selectorILNS1_17partition_subalgoE0ExNS0_10empty_typeEbEEZZNS1_14partition_implILS5_0ELb0ES3_jN6thrust23THRUST_200600_302600_NS6detail15normal_iteratorINSA_10device_ptrIxEEEEPS6_SG_NS0_5tupleIJNSA_16discard_iteratorINSA_11use_defaultEEESF_EEENSH_IJSG_SG_EEES6_PlJ7is_evenIxEEEE10hipError_tPvRmT3_T4_T5_T6_T7_T9_mT8_P12ihipStream_tbDpT10_ENKUlT_T0_E_clISt17integral_constantIbLb0EES19_EEDaS14_S15_EUlS14_E_NS1_11comp_targetILNS1_3genE5ELNS1_11target_archE942ELNS1_3gpuE9ELNS1_3repE0EEENS1_30default_config_static_selectorELNS0_4arch9wavefront6targetE1EEEvT1_
                                        ; -- End function
	.section	.AMDGPU.csdata,"",@progbits
; Kernel info:
; codeLenInByte = 0
; NumSgprs: 4
; NumVgprs: 0
; NumAgprs: 0
; TotalNumVgprs: 0
; ScratchSize: 0
; MemoryBound: 0
; FloatMode: 240
; IeeeMode: 1
; LDSByteSize: 0 bytes/workgroup (compile time only)
; SGPRBlocks: 0
; VGPRBlocks: 0
; NumSGPRsForWavesPerEU: 4
; NumVGPRsForWavesPerEU: 1
; AccumOffset: 4
; Occupancy: 8
; WaveLimiterHint : 0
; COMPUTE_PGM_RSRC2:SCRATCH_EN: 0
; COMPUTE_PGM_RSRC2:USER_SGPR: 6
; COMPUTE_PGM_RSRC2:TRAP_HANDLER: 0
; COMPUTE_PGM_RSRC2:TGID_X_EN: 1
; COMPUTE_PGM_RSRC2:TGID_Y_EN: 0
; COMPUTE_PGM_RSRC2:TGID_Z_EN: 0
; COMPUTE_PGM_RSRC2:TIDIG_COMP_CNT: 0
; COMPUTE_PGM_RSRC3_GFX90A:ACCUM_OFFSET: 0
; COMPUTE_PGM_RSRC3_GFX90A:TG_SPLIT: 0
	.section	.text._ZN7rocprim17ROCPRIM_400000_NS6detail17trampoline_kernelINS0_14default_configENS1_25partition_config_selectorILNS1_17partition_subalgoE0ExNS0_10empty_typeEbEEZZNS1_14partition_implILS5_0ELb0ES3_jN6thrust23THRUST_200600_302600_NS6detail15normal_iteratorINSA_10device_ptrIxEEEEPS6_SG_NS0_5tupleIJNSA_16discard_iteratorINSA_11use_defaultEEESF_EEENSH_IJSG_SG_EEES6_PlJ7is_evenIxEEEE10hipError_tPvRmT3_T4_T5_T6_T7_T9_mT8_P12ihipStream_tbDpT10_ENKUlT_T0_E_clISt17integral_constantIbLb0EES19_EEDaS14_S15_EUlS14_E_NS1_11comp_targetILNS1_3genE4ELNS1_11target_archE910ELNS1_3gpuE8ELNS1_3repE0EEENS1_30default_config_static_selectorELNS0_4arch9wavefront6targetE1EEEvT1_,"axG",@progbits,_ZN7rocprim17ROCPRIM_400000_NS6detail17trampoline_kernelINS0_14default_configENS1_25partition_config_selectorILNS1_17partition_subalgoE0ExNS0_10empty_typeEbEEZZNS1_14partition_implILS5_0ELb0ES3_jN6thrust23THRUST_200600_302600_NS6detail15normal_iteratorINSA_10device_ptrIxEEEEPS6_SG_NS0_5tupleIJNSA_16discard_iteratorINSA_11use_defaultEEESF_EEENSH_IJSG_SG_EEES6_PlJ7is_evenIxEEEE10hipError_tPvRmT3_T4_T5_T6_T7_T9_mT8_P12ihipStream_tbDpT10_ENKUlT_T0_E_clISt17integral_constantIbLb0EES19_EEDaS14_S15_EUlS14_E_NS1_11comp_targetILNS1_3genE4ELNS1_11target_archE910ELNS1_3gpuE8ELNS1_3repE0EEENS1_30default_config_static_selectorELNS0_4arch9wavefront6targetE1EEEvT1_,comdat
	.protected	_ZN7rocprim17ROCPRIM_400000_NS6detail17trampoline_kernelINS0_14default_configENS1_25partition_config_selectorILNS1_17partition_subalgoE0ExNS0_10empty_typeEbEEZZNS1_14partition_implILS5_0ELb0ES3_jN6thrust23THRUST_200600_302600_NS6detail15normal_iteratorINSA_10device_ptrIxEEEEPS6_SG_NS0_5tupleIJNSA_16discard_iteratorINSA_11use_defaultEEESF_EEENSH_IJSG_SG_EEES6_PlJ7is_evenIxEEEE10hipError_tPvRmT3_T4_T5_T6_T7_T9_mT8_P12ihipStream_tbDpT10_ENKUlT_T0_E_clISt17integral_constantIbLb0EES19_EEDaS14_S15_EUlS14_E_NS1_11comp_targetILNS1_3genE4ELNS1_11target_archE910ELNS1_3gpuE8ELNS1_3repE0EEENS1_30default_config_static_selectorELNS0_4arch9wavefront6targetE1EEEvT1_ ; -- Begin function _ZN7rocprim17ROCPRIM_400000_NS6detail17trampoline_kernelINS0_14default_configENS1_25partition_config_selectorILNS1_17partition_subalgoE0ExNS0_10empty_typeEbEEZZNS1_14partition_implILS5_0ELb0ES3_jN6thrust23THRUST_200600_302600_NS6detail15normal_iteratorINSA_10device_ptrIxEEEEPS6_SG_NS0_5tupleIJNSA_16discard_iteratorINSA_11use_defaultEEESF_EEENSH_IJSG_SG_EEES6_PlJ7is_evenIxEEEE10hipError_tPvRmT3_T4_T5_T6_T7_T9_mT8_P12ihipStream_tbDpT10_ENKUlT_T0_E_clISt17integral_constantIbLb0EES19_EEDaS14_S15_EUlS14_E_NS1_11comp_targetILNS1_3genE4ELNS1_11target_archE910ELNS1_3gpuE8ELNS1_3repE0EEENS1_30default_config_static_selectorELNS0_4arch9wavefront6targetE1EEEvT1_
	.globl	_ZN7rocprim17ROCPRIM_400000_NS6detail17trampoline_kernelINS0_14default_configENS1_25partition_config_selectorILNS1_17partition_subalgoE0ExNS0_10empty_typeEbEEZZNS1_14partition_implILS5_0ELb0ES3_jN6thrust23THRUST_200600_302600_NS6detail15normal_iteratorINSA_10device_ptrIxEEEEPS6_SG_NS0_5tupleIJNSA_16discard_iteratorINSA_11use_defaultEEESF_EEENSH_IJSG_SG_EEES6_PlJ7is_evenIxEEEE10hipError_tPvRmT3_T4_T5_T6_T7_T9_mT8_P12ihipStream_tbDpT10_ENKUlT_T0_E_clISt17integral_constantIbLb0EES19_EEDaS14_S15_EUlS14_E_NS1_11comp_targetILNS1_3genE4ELNS1_11target_archE910ELNS1_3gpuE8ELNS1_3repE0EEENS1_30default_config_static_selectorELNS0_4arch9wavefront6targetE1EEEvT1_
	.p2align	8
	.type	_ZN7rocprim17ROCPRIM_400000_NS6detail17trampoline_kernelINS0_14default_configENS1_25partition_config_selectorILNS1_17partition_subalgoE0ExNS0_10empty_typeEbEEZZNS1_14partition_implILS5_0ELb0ES3_jN6thrust23THRUST_200600_302600_NS6detail15normal_iteratorINSA_10device_ptrIxEEEEPS6_SG_NS0_5tupleIJNSA_16discard_iteratorINSA_11use_defaultEEESF_EEENSH_IJSG_SG_EEES6_PlJ7is_evenIxEEEE10hipError_tPvRmT3_T4_T5_T6_T7_T9_mT8_P12ihipStream_tbDpT10_ENKUlT_T0_E_clISt17integral_constantIbLb0EES19_EEDaS14_S15_EUlS14_E_NS1_11comp_targetILNS1_3genE4ELNS1_11target_archE910ELNS1_3gpuE8ELNS1_3repE0EEENS1_30default_config_static_selectorELNS0_4arch9wavefront6targetE1EEEvT1_,@function
_ZN7rocprim17ROCPRIM_400000_NS6detail17trampoline_kernelINS0_14default_configENS1_25partition_config_selectorILNS1_17partition_subalgoE0ExNS0_10empty_typeEbEEZZNS1_14partition_implILS5_0ELb0ES3_jN6thrust23THRUST_200600_302600_NS6detail15normal_iteratorINSA_10device_ptrIxEEEEPS6_SG_NS0_5tupleIJNSA_16discard_iteratorINSA_11use_defaultEEESF_EEENSH_IJSG_SG_EEES6_PlJ7is_evenIxEEEE10hipError_tPvRmT3_T4_T5_T6_T7_T9_mT8_P12ihipStream_tbDpT10_ENKUlT_T0_E_clISt17integral_constantIbLb0EES19_EEDaS14_S15_EUlS14_E_NS1_11comp_targetILNS1_3genE4ELNS1_11target_archE910ELNS1_3gpuE8ELNS1_3repE0EEENS1_30default_config_static_selectorELNS0_4arch9wavefront6targetE1EEEvT1_: ; @_ZN7rocprim17ROCPRIM_400000_NS6detail17trampoline_kernelINS0_14default_configENS1_25partition_config_selectorILNS1_17partition_subalgoE0ExNS0_10empty_typeEbEEZZNS1_14partition_implILS5_0ELb0ES3_jN6thrust23THRUST_200600_302600_NS6detail15normal_iteratorINSA_10device_ptrIxEEEEPS6_SG_NS0_5tupleIJNSA_16discard_iteratorINSA_11use_defaultEEESF_EEENSH_IJSG_SG_EEES6_PlJ7is_evenIxEEEE10hipError_tPvRmT3_T4_T5_T6_T7_T9_mT8_P12ihipStream_tbDpT10_ENKUlT_T0_E_clISt17integral_constantIbLb0EES19_EEDaS14_S15_EUlS14_E_NS1_11comp_targetILNS1_3genE4ELNS1_11target_archE910ELNS1_3gpuE8ELNS1_3repE0EEENS1_30default_config_static_selectorELNS0_4arch9wavefront6targetE1EEEvT1_
; %bb.0:
	s_load_dwordx2 s[0:1], s[4:5], 0x60
	s_load_dwordx4 s[20:23], s[4:5], 0x8
	s_load_dwordx4 s[24:27], s[4:5], 0x50
	s_load_dword s7, s[4:5], 0x78
	s_mul_i32 s8, s6, 0x300
	s_waitcnt lgkmcnt(0)
	v_mov_b32_e32 v3, s1
	s_lshl_b64 s[2:3], s[22:23], 3
	s_add_u32 s10, s20, s2
	s_mul_i32 s1, s7, 0x300
	s_addc_u32 s11, s21, s3
	s_add_i32 s3, s1, s22
	s_sub_i32 s33, s0, s3
	s_add_i32 s2, s7, -1
	s_addk_i32 s33, 0x300
	v_mov_b32_e32 v2, s0
	s_add_u32 s0, s22, s1
	s_addc_u32 s1, s23, 0
	s_cmp_eq_u32 s6, s2
	s_load_dwordx2 s[28:29], s[26:27], 0x0
	s_cselect_b64 s[26:27], -1, 0
	s_cmp_lg_u32 s6, s2
	s_mov_b32 s9, 0
	v_cmp_lt_u64_e32 vcc, s[0:1], v[2:3]
	s_cselect_b64 s[0:1], -1, 0
	s_or_b64 s[2:3], s[0:1], vcc
	s_lshl_b64 s[30:31], s[8:9], 3
	s_add_u32 s7, s10, s30
	s_addc_u32 s10, s11, s31
	s_mov_b64 s[0:1], -1
	s_and_b64 vcc, exec, s[2:3]
	v_lshlrev_b32_e32 v20, 3, v0
	v_lshrrev_b32_e32 v1, 2, v0
	s_cbranch_vccz .LBB2653_2
; %bb.1:
	v_mov_b32_e32 v3, s10
	v_add_co_u32_e32 v2, vcc, s7, v20
	v_addc_co_u32_e32 v3, vcc, 0, v3, vcc
	v_add_co_u32_e32 v4, vcc, 0x1000, v2
	v_addc_co_u32_e32 v5, vcc, 0, v3, vcc
	flat_load_dwordx2 v[6:7], v[2:3]
	flat_load_dwordx2 v[8:9], v[2:3] offset:1536
	flat_load_dwordx2 v[10:11], v[2:3] offset:3072
	;; [unrolled: 1-line block ×3, first 2 shown]
	v_add_u32_e32 v3, 0xc0, v0
	v_add_u32_e32 v4, 0x180, v0
	;; [unrolled: 1-line block ×3, first 2 shown]
	v_and_b32_e32 v2, 56, v1
	v_lshrrev_b32_e32 v3, 2, v3
	v_lshrrev_b32_e32 v4, 2, v4
	;; [unrolled: 1-line block ×3, first 2 shown]
	v_add_u32_e32 v2, v2, v20
	v_and_b32_e32 v3, 0x78, v3
	v_and_b32_e32 v4, 0xf8, v4
	;; [unrolled: 1-line block ×3, first 2 shown]
	v_add_u32_e32 v3, v3, v20
	v_add_u32_e32 v4, v4, v20
	;; [unrolled: 1-line block ×3, first 2 shown]
	s_mov_b64 s[0:1], 0
	s_waitcnt vmcnt(0) lgkmcnt(0)
	ds_write_b64 v2, v[6:7]
	ds_write_b64 v3, v[8:9] offset:1536
	ds_write_b64 v4, v[10:11] offset:3072
	;; [unrolled: 1-line block ×3, first 2 shown]
	s_waitcnt lgkmcnt(0)
	s_barrier
.LBB2653_2:
	s_andn2_b64 vcc, exec, s[0:1]
	v_cmp_gt_u32_e64 s[0:1], s33, v0
	s_cbranch_vccnz .LBB2653_12
; %bb.3:
                                        ; implicit-def: $vgpr2_vgpr3_vgpr4_vgpr5_vgpr6_vgpr7_vgpr8_vgpr9
	s_and_saveexec_b64 s[8:9], s[0:1]
	s_cbranch_execz .LBB2653_5
; %bb.4:
	v_mov_b32_e32 v3, s10
	v_add_co_u32_e32 v2, vcc, s7, v20
	v_addc_co_u32_e32 v3, vcc, 0, v3, vcc
	flat_load_dwordx2 v[2:3], v[2:3]
.LBB2653_5:
	s_or_b64 exec, exec, s[8:9]
	v_add_u32_e32 v10, 0xc0, v0
	v_cmp_gt_u32_e32 vcc, s33, v10
	s_and_saveexec_b64 s[0:1], vcc
	s_cbranch_execz .LBB2653_7
; %bb.6:
	v_mov_b32_e32 v5, s10
	v_add_co_u32_e32 v4, vcc, s7, v20
	v_addc_co_u32_e32 v5, vcc, 0, v5, vcc
	flat_load_dwordx2 v[4:5], v[4:5] offset:1536
.LBB2653_7:
	s_or_b64 exec, exec, s[0:1]
	v_add_u32_e32 v11, 0x180, v0
	v_cmp_gt_u32_e32 vcc, s33, v11
	s_and_saveexec_b64 s[0:1], vcc
	s_cbranch_execz .LBB2653_9
; %bb.8:
	v_mov_b32_e32 v7, s10
	v_add_co_u32_e32 v6, vcc, s7, v20
	v_addc_co_u32_e32 v7, vcc, 0, v7, vcc
	flat_load_dwordx2 v[6:7], v[6:7] offset:3072
.LBB2653_9:
	s_or_b64 exec, exec, s[0:1]
	v_add_u32_e32 v12, 0x240, v0
	v_cmp_gt_u32_e32 vcc, s33, v12
	s_and_saveexec_b64 s[0:1], vcc
	s_cbranch_execz .LBB2653_11
; %bb.10:
	v_lshlrev_b32_e32 v8, 3, v12
	v_mov_b32_e32 v9, s10
	v_add_co_u32_e32 v8, vcc, s7, v8
	v_addc_co_u32_e32 v9, vcc, 0, v9, vcc
	flat_load_dwordx2 v[8:9], v[8:9]
.LBB2653_11:
	s_or_b64 exec, exec, s[0:1]
	v_and_b32_e32 v1, 56, v1
	v_add_u32_e32 v1, v1, v20
	s_waitcnt vmcnt(0) lgkmcnt(0)
	ds_write_b64 v1, v[2:3]
	v_lshrrev_b32_e32 v1, 2, v10
	v_and_b32_e32 v1, 0x78, v1
	v_add_u32_e32 v1, v1, v20
	ds_write_b64 v1, v[4:5] offset:1536
	v_lshrrev_b32_e32 v1, 2, v11
	v_and_b32_e32 v1, 0xf8, v1
	v_add_u32_e32 v1, v1, v20
	ds_write_b64 v1, v[6:7] offset:3072
	;; [unrolled: 4-line block ×3, first 2 shown]
	s_waitcnt lgkmcnt(0)
	s_barrier
.LBB2653_12:
	v_lshlrev_b32_e32 v1, 2, v0
	v_lshrrev_b32_e32 v2, 3, v0
	v_add_lshl_u32 v2, v2, v1, 3
	s_waitcnt lgkmcnt(0)
	ds_read2_b64 v[6:9], v2 offset1:1
	ds_read2_b64 v[2:5], v2 offset0:2 offset1:3
	v_cndmask_b32_e64 v10, 0, 1, s[2:3]
	v_cmp_ne_u32_e64 s[0:1], 1, v10
	s_andn2_b64 vcc, exec, s[2:3]
	s_waitcnt lgkmcnt(1)
	v_xor_b32_e32 v13, -1, v6
	v_xor_b32_e32 v12, -1, v8
	s_waitcnt lgkmcnt(0)
	v_xor_b32_e32 v11, -1, v2
	v_xor_b32_e32 v10, -1, v4
	s_barrier
	s_cbranch_vccnz .LBB2653_14
; %bb.13:
	v_mov_b32_e32 v15, 1
	v_and_b32_e32 v14, 1, v13
	v_and_b32_sdwa v16, v12, v15 dst_sel:BYTE_1 dst_unused:UNUSED_PAD src0_sel:DWORD src1_sel:DWORD
	v_and_b32_e32 v17, 1, v11
	v_and_b32_sdwa v15, v10, v15 dst_sel:BYTE_1 dst_unused:UNUSED_PAD src0_sel:DWORD src1_sel:DWORD
	v_or_b32_e32 v14, v14, v16
	v_or_b32_sdwa v15, v17, v15 dst_sel:WORD_1 dst_unused:UNUSED_PAD src0_sel:DWORD src1_sel:DWORD
	v_or_b32_sdwa v21, v14, v15 dst_sel:DWORD dst_unused:UNUSED_PAD src0_sel:WORD_0 src1_sel:DWORD
	s_load_dwordx2 s[34:35], s[4:5], 0x70
	s_cbranch_execz .LBB2653_15
	s_branch .LBB2653_16
.LBB2653_14:
                                        ; implicit-def: $vgpr21
	s_load_dwordx2 s[34:35], s[4:5], 0x70
.LBB2653_15:
	v_cmp_gt_u32_e32 vcc, s33, v1
	v_cndmask_b32_e64 v14, 0, 1, vcc
	v_and_b32_e32 v13, v14, v13
	v_or_b32_e32 v14, 1, v1
	v_cmp_gt_u32_e32 vcc, s33, v14
	v_cndmask_b32_e64 v14, 0, 1, vcc
	v_and_b32_sdwa v12, v14, v12 dst_sel:BYTE_1 dst_unused:UNUSED_PAD src0_sel:DWORD src1_sel:DWORD
	v_or_b32_e32 v14, 2, v1
	v_cmp_gt_u32_e32 vcc, s33, v14
	v_cndmask_b32_e64 v14, 0, 1, vcc
	v_and_b32_e32 v11, v14, v11
	v_or_b32_e32 v14, 3, v1
	v_cmp_gt_u32_e32 vcc, s33, v14
	v_cndmask_b32_e64 v14, 0, 1, vcc
	v_and_b32_sdwa v10, v14, v10 dst_sel:BYTE_1 dst_unused:UNUSED_PAD src0_sel:DWORD src1_sel:DWORD
	v_or_b32_e32 v12, v13, v12
	v_or_b32_sdwa v10, v11, v10 dst_sel:WORD_1 dst_unused:UNUSED_PAD src0_sel:DWORD src1_sel:DWORD
	v_or_b32_sdwa v21, v12, v10 dst_sel:DWORD dst_unused:UNUSED_PAD src0_sel:WORD_0 src1_sel:DWORD
.LBB2653_16:
	v_bfe_u32 v23, v21, 16, 8
	v_lshrrev_b32_e32 v22, 24, v21
	v_add_u32_sdwa v10, v21, v21 dst_sel:DWORD dst_unused:UNUSED_PAD src0_sel:BYTE_1 src1_sel:BYTE_0
	v_add3_u32 v26, v10, v23, v22
	v_mbcnt_lo_u32_b32 v10, -1, 0
	v_mbcnt_hi_u32_b32 v24, -1, v10
	v_and_b32_e32 v10, 15, v24
	v_cmp_eq_u32_e64 s[16:17], 0, v10
	v_cmp_lt_u32_e64 s[14:15], 1, v10
	v_cmp_lt_u32_e64 s[12:13], 3, v10
	v_cmp_lt_u32_e64 s[10:11], 7, v10
	v_and_b32_e32 v10, 16, v24
	v_cmp_eq_u32_e64 s[20:21], 0, v10
	v_and_b32_e32 v10, 0xc0, v0
	v_min_u32_e32 v10, 0x80, v10
	v_or_b32_e32 v10, 63, v10
	s_cmp_lg_u32 s6, 0
	v_cmp_lt_u32_e64 s[2:3], 31, v24
	v_lshrrev_b32_e32 v25, 6, v0
	v_cmp_eq_u32_e64 s[8:9], v10, v0
	s_cbranch_scc0 .LBB2653_43
; %bb.17:
	v_mov_b32_dpp v10, v26 row_shr:1 row_mask:0xf bank_mask:0xf
	v_cndmask_b32_e64 v10, v10, 0, s[16:17]
	v_add_u32_e32 v10, v10, v26
	s_nop 1
	v_mov_b32_dpp v11, v10 row_shr:2 row_mask:0xf bank_mask:0xf
	v_cndmask_b32_e64 v11, 0, v11, s[14:15]
	v_add_u32_e32 v10, v10, v11
	s_nop 1
	;; [unrolled: 4-line block ×4, first 2 shown]
	v_mov_b32_dpp v11, v10 row_bcast:15 row_mask:0xf bank_mask:0xf
	v_cndmask_b32_e64 v11, v11, 0, s[20:21]
	v_add_u32_e32 v10, v10, v11
	s_nop 1
	v_mov_b32_dpp v11, v10 row_bcast:31 row_mask:0xf bank_mask:0xf
	v_cndmask_b32_e64 v11, 0, v11, s[2:3]
	v_add_u32_e32 v10, v10, v11
	s_and_saveexec_b64 s[18:19], s[8:9]
	s_cbranch_execz .LBB2653_19
; %bb.18:
	v_lshlrev_b32_e32 v11, 2, v25
	ds_write_b32 v11, v10
.LBB2653_19:
	s_or_b64 exec, exec, s[18:19]
	v_cmp_gt_u32_e32 vcc, 3, v0
	s_waitcnt lgkmcnt(0)
	s_barrier
	s_and_saveexec_b64 s[18:19], vcc
	s_cbranch_execz .LBB2653_21
; %bb.20:
	ds_read_b32 v11, v1
	v_and_b32_e32 v12, 3, v24
	v_cmp_ne_u32_e32 vcc, 0, v12
	s_waitcnt lgkmcnt(0)
	v_mov_b32_dpp v13, v11 row_shr:1 row_mask:0xf bank_mask:0xf
	v_cndmask_b32_e32 v13, 0, v13, vcc
	v_add_u32_e32 v11, v13, v11
	v_cmp_lt_u32_e32 vcc, 1, v12
	s_nop 0
	v_mov_b32_dpp v13, v11 row_shr:2 row_mask:0xf bank_mask:0xf
	v_cndmask_b32_e32 v12, 0, v13, vcc
	v_add_u32_e32 v11, v11, v12
	ds_write_b32 v1, v11
.LBB2653_21:
	s_or_b64 exec, exec, s[18:19]
	v_cmp_gt_u32_e32 vcc, 64, v0
	v_cmp_lt_u32_e64 s[18:19], 63, v0
	s_waitcnt lgkmcnt(0)
	s_barrier
	s_waitcnt lgkmcnt(0)
                                        ; implicit-def: $vgpr27
	s_and_saveexec_b64 s[36:37], s[18:19]
	s_cbranch_execz .LBB2653_23
; %bb.22:
	v_lshl_add_u32 v11, v25, 2, -4
	ds_read_b32 v27, v11
	s_waitcnt lgkmcnt(0)
	v_add_u32_e32 v10, v27, v10
.LBB2653_23:
	s_or_b64 exec, exec, s[36:37]
	v_add_u32_e32 v11, -1, v24
	v_and_b32_e32 v12, 64, v24
	v_cmp_lt_i32_e64 s[18:19], v11, v12
	v_cndmask_b32_e64 v11, v11, v24, s[18:19]
	v_lshlrev_b32_e32 v11, 2, v11
	ds_bpermute_b32 v28, v11, v10
	v_cmp_eq_u32_e64 s[18:19], 0, v24
	s_and_saveexec_b64 s[36:37], vcc
	s_cbranch_execz .LBB2653_42
; %bb.24:
	v_mov_b32_e32 v17, 0
	ds_read_b32 v10, v17 offset:8
	s_and_saveexec_b64 s[38:39], s[18:19]
	s_cbranch_execz .LBB2653_26
; %bb.25:
	s_add_i32 s40, s6, 64
	s_mov_b32 s41, 0
	s_lshl_b64 s[40:41], s[40:41], 3
	s_add_u32 s40, s34, s40
	v_mov_b32_e32 v11, 1
	s_addc_u32 s41, s35, s41
	s_waitcnt lgkmcnt(0)
	global_store_dwordx2 v17, v[10:11], s[40:41]
.LBB2653_26:
	s_or_b64 exec, exec, s[38:39]
	v_xad_u32 v12, v24, -1, s6
	v_add_u32_e32 v16, 64, v12
	v_lshlrev_b64 v[14:15], 3, v[16:17]
	v_mov_b32_e32 v11, s35
	v_add_co_u32_e32 v18, vcc, s34, v14
	v_addc_co_u32_e32 v19, vcc, v11, v15, vcc
	global_load_dwordx2 v[14:15], v[18:19], off glc
	s_waitcnt vmcnt(0)
	v_cmp_eq_u16_sdwa s[40:41], v15, v17 src0_sel:BYTE_0 src1_sel:DWORD
	s_and_saveexec_b64 s[38:39], s[40:41]
	s_cbranch_execz .LBB2653_30
; %bb.27:
	s_mov_b64 s[40:41], 0
	v_mov_b32_e32 v11, 0
.LBB2653_28:                            ; =>This Inner Loop Header: Depth=1
	global_load_dwordx2 v[14:15], v[18:19], off glc
	s_waitcnt vmcnt(0)
	v_cmp_ne_u16_sdwa s[42:43], v15, v11 src0_sel:BYTE_0 src1_sel:DWORD
	s_or_b64 s[40:41], s[42:43], s[40:41]
	s_andn2_b64 exec, exec, s[40:41]
	s_cbranch_execnz .LBB2653_28
; %bb.29:
	s_or_b64 exec, exec, s[40:41]
.LBB2653_30:
	s_or_b64 exec, exec, s[38:39]
	v_and_b32_e32 v30, 63, v24
	v_mov_b32_e32 v29, 2
	v_cmp_ne_u32_e32 vcc, 63, v30
	v_cmp_eq_u16_sdwa s[38:39], v15, v29 src0_sel:BYTE_0 src1_sel:DWORD
	v_lshlrev_b64 v[16:17], v24, -1
	v_addc_co_u32_e32 v18, vcc, 0, v24, vcc
	v_and_b32_e32 v11, s39, v17
	v_lshlrev_b32_e32 v31, 2, v18
	v_or_b32_e32 v11, 0x80000000, v11
	ds_bpermute_b32 v18, v31, v14
	v_and_b32_e32 v13, s38, v16
	v_ffbl_b32_e32 v11, v11
	v_add_u32_e32 v11, 32, v11
	v_ffbl_b32_e32 v13, v13
	v_min_u32_e32 v11, v13, v11
	v_cmp_lt_u32_e32 vcc, v30, v11
	s_waitcnt lgkmcnt(0)
	v_cndmask_b32_e32 v13, 0, v18, vcc
	v_cmp_gt_u32_e32 vcc, 62, v30
	v_add_u32_e32 v13, v13, v14
	v_cndmask_b32_e64 v14, 0, 1, vcc
	v_lshlrev_b32_e32 v14, 1, v14
	v_add_lshl_u32 v32, v14, v24, 2
	ds_bpermute_b32 v14, v32, v13
	v_add_u32_e32 v33, 2, v30
	v_cmp_le_u32_e32 vcc, v33, v11
	v_add_u32_e32 v35, 4, v30
	v_add_u32_e32 v37, 8, v30
	s_waitcnt lgkmcnt(0)
	v_cndmask_b32_e32 v14, 0, v14, vcc
	v_cmp_gt_u32_e32 vcc, 60, v30
	v_add_u32_e32 v13, v13, v14
	v_cndmask_b32_e64 v14, 0, 1, vcc
	v_lshlrev_b32_e32 v14, 2, v14
	v_add_lshl_u32 v34, v14, v24, 2
	ds_bpermute_b32 v14, v34, v13
	v_cmp_le_u32_e32 vcc, v35, v11
	v_add_u32_e32 v39, 16, v30
	v_add_u32_e32 v41, 32, v30
	s_waitcnt lgkmcnt(0)
	v_cndmask_b32_e32 v14, 0, v14, vcc
	v_cmp_gt_u32_e32 vcc, 56, v30
	v_add_u32_e32 v13, v13, v14
	v_cndmask_b32_e64 v14, 0, 1, vcc
	v_lshlrev_b32_e32 v14, 3, v14
	v_add_lshl_u32 v36, v14, v24, 2
	ds_bpermute_b32 v14, v36, v13
	v_cmp_le_u32_e32 vcc, v37, v11
	s_waitcnt lgkmcnt(0)
	v_cndmask_b32_e32 v14, 0, v14, vcc
	v_cmp_gt_u32_e32 vcc, 48, v30
	v_add_u32_e32 v13, v13, v14
	v_cndmask_b32_e64 v14, 0, 1, vcc
	v_lshlrev_b32_e32 v14, 4, v14
	v_add_lshl_u32 v38, v14, v24, 2
	ds_bpermute_b32 v14, v38, v13
	v_cmp_le_u32_e32 vcc, v39, v11
	;; [unrolled: 9-line block ×3, first 2 shown]
	s_waitcnt lgkmcnt(0)
	v_cndmask_b32_e32 v11, 0, v14, vcc
	v_add_u32_e32 v14, v13, v11
	v_mov_b32_e32 v13, 0
	s_branch .LBB2653_32
.LBB2653_31:                            ;   in Loop: Header=BB2653_32 Depth=1
	s_or_b64 exec, exec, s[38:39]
	v_cmp_eq_u16_sdwa s[38:39], v15, v29 src0_sel:BYTE_0 src1_sel:DWORD
	v_and_b32_e32 v18, s39, v17
	v_or_b32_e32 v18, 0x80000000, v18
	ds_bpermute_b32 v42, v31, v14
	v_and_b32_e32 v19, s38, v16
	v_ffbl_b32_e32 v18, v18
	v_add_u32_e32 v18, 32, v18
	v_ffbl_b32_e32 v19, v19
	v_min_u32_e32 v18, v19, v18
	v_cmp_lt_u32_e32 vcc, v30, v18
	s_waitcnt lgkmcnt(0)
	v_cndmask_b32_e32 v19, 0, v42, vcc
	v_add_u32_e32 v14, v19, v14
	ds_bpermute_b32 v19, v32, v14
	v_cmp_le_u32_e32 vcc, v33, v18
	v_subrev_u32_e32 v12, 64, v12
	s_waitcnt lgkmcnt(0)
	v_cndmask_b32_e32 v19, 0, v19, vcc
	v_add_u32_e32 v14, v14, v19
	ds_bpermute_b32 v19, v34, v14
	v_cmp_le_u32_e32 vcc, v35, v18
	s_waitcnt lgkmcnt(0)
	v_cndmask_b32_e32 v19, 0, v19, vcc
	v_add_u32_e32 v14, v14, v19
	ds_bpermute_b32 v19, v36, v14
	v_cmp_le_u32_e32 vcc, v37, v18
	;; [unrolled: 5-line block ×4, first 2 shown]
	s_waitcnt lgkmcnt(0)
	v_cndmask_b32_e32 v18, 0, v19, vcc
	v_add3_u32 v14, v18, v11, v14
.LBB2653_32:                            ; =>This Loop Header: Depth=1
                                        ;     Child Loop BB2653_35 Depth 2
	v_cmp_ne_u16_sdwa s[38:39], v15, v29 src0_sel:BYTE_0 src1_sel:DWORD
	v_cndmask_b32_e64 v11, 0, 1, s[38:39]
	;;#ASMSTART
	;;#ASMEND
	v_cmp_ne_u32_e32 vcc, 0, v11
	s_cmp_lg_u64 vcc, exec
	v_mov_b32_e32 v11, v14
	s_cbranch_scc1 .LBB2653_37
; %bb.33:                               ;   in Loop: Header=BB2653_32 Depth=1
	v_lshlrev_b64 v[14:15], 3, v[12:13]
	v_mov_b32_e32 v19, s35
	v_add_co_u32_e32 v18, vcc, s34, v14
	v_addc_co_u32_e32 v19, vcc, v19, v15, vcc
	global_load_dwordx2 v[14:15], v[18:19], off glc
	s_waitcnt vmcnt(0)
	v_cmp_eq_u16_sdwa s[40:41], v15, v13 src0_sel:BYTE_0 src1_sel:DWORD
	s_and_saveexec_b64 s[38:39], s[40:41]
	s_cbranch_execz .LBB2653_31
; %bb.34:                               ;   in Loop: Header=BB2653_32 Depth=1
	s_mov_b64 s[40:41], 0
.LBB2653_35:                            ;   Parent Loop BB2653_32 Depth=1
                                        ; =>  This Inner Loop Header: Depth=2
	global_load_dwordx2 v[14:15], v[18:19], off glc
	s_waitcnt vmcnt(0)
	v_cmp_ne_u16_sdwa s[42:43], v15, v13 src0_sel:BYTE_0 src1_sel:DWORD
	s_or_b64 s[40:41], s[42:43], s[40:41]
	s_andn2_b64 exec, exec, s[40:41]
	s_cbranch_execnz .LBB2653_35
; %bb.36:                               ;   in Loop: Header=BB2653_32 Depth=1
	s_or_b64 exec, exec, s[40:41]
	s_branch .LBB2653_31
.LBB2653_37:                            ;   in Loop: Header=BB2653_32 Depth=1
                                        ; implicit-def: $vgpr14
                                        ; implicit-def: $vgpr15
	s_cbranch_execz .LBB2653_32
; %bb.38:
	s_and_saveexec_b64 s[38:39], s[18:19]
	s_cbranch_execz .LBB2653_40
; %bb.39:
	s_add_i32 s6, s6, 64
	s_mov_b32 s7, 0
	s_lshl_b64 s[6:7], s[6:7], 3
	s_add_u32 s6, s34, s6
	v_add_u32_e32 v12, v11, v10
	v_mov_b32_e32 v13, 2
	s_addc_u32 s7, s35, s7
	v_mov_b32_e32 v14, 0
	global_store_dwordx2 v14, v[12:13], s[6:7]
	ds_write_b64 v14, v[10:11] offset:6336
.LBB2653_40:
	s_or_b64 exec, exec, s[38:39]
	v_cmp_eq_u32_e32 vcc, 0, v0
	s_and_b64 exec, exec, vcc
	s_cbranch_execz .LBB2653_42
; %bb.41:
	v_mov_b32_e32 v10, 0
	ds_write_b32 v10, v11 offset:8
.LBB2653_42:
	s_or_b64 exec, exec, s[36:37]
	v_mov_b32_e32 v10, 0
	s_waitcnt lgkmcnt(0)
	s_barrier
	ds_read_b32 v11, v10 offset:8
	v_cndmask_b32_e64 v12, v28, v27, s[18:19]
	v_cmp_ne_u32_e32 vcc, 0, v0
	v_cndmask_b32_e32 v12, 0, v12, vcc
	s_waitcnt lgkmcnt(0)
	v_add_u32_e32 v14, v11, v12
	s_barrier
	ds_read_b64 v[10:11], v10 offset:6336
	v_add_u32_sdwa v15, v14, v21 dst_sel:DWORD dst_unused:UNUSED_PAD src0_sel:DWORD src1_sel:BYTE_0
	v_add_u32_sdwa v13, v15, v21 dst_sel:DWORD dst_unused:UNUSED_PAD src0_sel:DWORD src1_sel:BYTE_1
	v_add_u32_e32 v12, v13, v23
	s_load_dwordx2 s[4:5], s[4:5], 0x38
	s_branch .LBB2653_53
.LBB2653_43:
                                        ; implicit-def: $vgpr11
                                        ; implicit-def: $vgpr12
                                        ; implicit-def: $vgpr13
                                        ; implicit-def: $vgpr15
                                        ; implicit-def: $vgpr14
	s_load_dwordx2 s[4:5], s[4:5], 0x38
	s_cbranch_execz .LBB2653_53
; %bb.44:
	s_waitcnt lgkmcnt(0)
	v_mov_b32_dpp v10, v26 row_shr:1 row_mask:0xf bank_mask:0xf
	v_cndmask_b32_e64 v10, v10, 0, s[16:17]
	v_add_u32_e32 v10, v10, v26
	s_nop 1
	v_mov_b32_dpp v11, v10 row_shr:2 row_mask:0xf bank_mask:0xf
	v_cndmask_b32_e64 v11, 0, v11, s[14:15]
	v_add_u32_e32 v10, v10, v11
	s_nop 1
	;; [unrolled: 4-line block ×4, first 2 shown]
	v_mov_b32_dpp v11, v10 row_bcast:15 row_mask:0xf bank_mask:0xf
	v_cndmask_b32_e64 v11, v11, 0, s[20:21]
	v_add_u32_e32 v10, v10, v11
	s_nop 1
	v_mov_b32_dpp v11, v10 row_bcast:31 row_mask:0xf bank_mask:0xf
	v_cndmask_b32_e64 v11, 0, v11, s[2:3]
	v_add_u32_e32 v10, v10, v11
	s_and_saveexec_b64 s[2:3], s[8:9]
	s_cbranch_execz .LBB2653_46
; %bb.45:
	v_lshlrev_b32_e32 v11, 2, v25
	ds_write_b32 v11, v10
.LBB2653_46:
	s_or_b64 exec, exec, s[2:3]
	v_cmp_gt_u32_e32 vcc, 3, v0
	s_waitcnt lgkmcnt(0)
	s_barrier
	s_and_saveexec_b64 s[2:3], vcc
	s_cbranch_execz .LBB2653_48
; %bb.47:
	ds_read_b32 v11, v1
	v_and_b32_e32 v12, 3, v24
	v_cmp_ne_u32_e32 vcc, 0, v12
	s_waitcnt lgkmcnt(0)
	v_mov_b32_dpp v13, v11 row_shr:1 row_mask:0xf bank_mask:0xf
	v_cndmask_b32_e32 v13, 0, v13, vcc
	v_add_u32_e32 v11, v13, v11
	v_cmp_lt_u32_e32 vcc, 1, v12
	s_nop 0
	v_mov_b32_dpp v13, v11 row_shr:2 row_mask:0xf bank_mask:0xf
	v_cndmask_b32_e32 v12, 0, v13, vcc
	v_add_u32_e32 v11, v11, v12
	ds_write_b32 v1, v11
.LBB2653_48:
	s_or_b64 exec, exec, s[2:3]
	v_cmp_lt_u32_e32 vcc, 63, v0
	v_mov_b32_e32 v11, 0
	v_mov_b32_e32 v12, 0
	s_waitcnt lgkmcnt(0)
	s_barrier
	s_and_saveexec_b64 s[2:3], vcc
	s_cbranch_execz .LBB2653_50
; %bb.49:
	v_lshl_add_u32 v12, v25, 2, -4
	ds_read_b32 v12, v12
.LBB2653_50:
	s_or_b64 exec, exec, s[2:3]
	v_add_u32_e32 v13, -1, v24
	v_and_b32_e32 v14, 64, v24
	v_cmp_lt_i32_e32 vcc, v13, v14
	v_cndmask_b32_e32 v13, v13, v24, vcc
	s_waitcnt lgkmcnt(0)
	v_add_u32_e32 v10, v12, v10
	v_lshlrev_b32_e32 v13, 2, v13
	ds_bpermute_b32 v13, v13, v10
	ds_read_b32 v10, v11 offset:8
	v_cmp_eq_u32_e32 vcc, 0, v0
	s_and_saveexec_b64 s[2:3], vcc
	s_cbranch_execz .LBB2653_52
; %bb.51:
	v_mov_b32_e32 v14, 0
	v_mov_b32_e32 v11, 2
	s_waitcnt lgkmcnt(0)
	global_store_dwordx2 v14, v[10:11], s[34:35] offset:512
.LBB2653_52:
	s_or_b64 exec, exec, s[2:3]
	v_cmp_eq_u32_e64 s[2:3], 0, v24
	s_waitcnt lgkmcnt(1)
	v_cndmask_b32_e64 v12, v13, v12, s[2:3]
	v_cndmask_b32_e64 v14, v12, 0, vcc
	v_add_u32_sdwa v15, v14, v21 dst_sel:DWORD dst_unused:UNUSED_PAD src0_sel:DWORD src1_sel:BYTE_0
	v_add_u32_sdwa v13, v15, v21 dst_sel:DWORD dst_unused:UNUSED_PAD src0_sel:DWORD src1_sel:BYTE_1
	v_mov_b32_e32 v11, 0
	v_add_u32_e32 v12, v13, v23
	s_waitcnt lgkmcnt(0)
	s_barrier
.LBB2653_53:
	s_waitcnt lgkmcnt(0)
	v_add_u32_e32 v1, v10, v1
	v_sub_u32_e32 v14, v14, v11
	v_and_b32_e32 v18, 1, v21
	v_sub_u32_e32 v17, v1, v14
	v_cmp_eq_u32_e32 vcc, 1, v18
	v_cndmask_b32_e32 v14, v17, v14, vcc
	v_lshlrev_b32_e32 v14, 3, v14
	v_lshrrev_b32_e32 v16, 8, v21
	ds_write_b64 v14, v[6:7]
	v_sub_u32_e32 v6, v15, v11
	v_sub_u32_e32 v7, v1, v6
	v_and_b32_e32 v14, 1, v16
	v_add_u32_e32 v7, 1, v7
	v_cmp_eq_u32_e32 vcc, 1, v14
	v_cndmask_b32_e32 v6, v7, v6, vcc
	v_lshlrev_b32_e32 v6, 3, v6
	ds_write_b64 v6, v[8:9]
	v_sub_u32_e32 v6, v13, v11
	v_mov_b32_e32 v8, 1
	v_sub_u32_e32 v7, v1, v6
	v_and_b32_sdwa v8, v8, v21 dst_sel:DWORD dst_unused:UNUSED_PAD src0_sel:DWORD src1_sel:WORD_1
	v_add_u32_e32 v7, 2, v7
	v_cmp_eq_u32_e32 vcc, 1, v8
	v_cndmask_b32_e32 v6, v7, v6, vcc
	v_lshlrev_b32_e32 v6, 3, v6
	ds_write_b64 v6, v[2:3]
	v_sub_u32_e32 v2, v12, v11
	v_sub_u32_e32 v1, v1, v2
	v_and_b32_e32 v3, 1, v22
	v_add_u32_e32 v1, 3, v1
	v_cmp_eq_u32_e32 vcc, 1, v3
	v_cndmask_b32_e32 v1, v1, v2, vcc
	v_lshlrev_b32_e32 v1, 3, v1
	ds_write_b64 v1, v[4:5]
	v_mov_b32_e32 v1, s29
	v_add_co_u32_e32 v12, vcc, s28, v10
	v_addc_co_u32_e32 v1, vcc, 0, v1, vcc
	v_add_co_u32_e32 v12, vcc, v12, v11
	v_addc_co_u32_e32 v13, vcc, 0, v1, vcc
	v_mov_b32_e32 v1, s23
	v_sub_co_u32_e32 v18, vcc, s22, v12
	v_subb_co_u32_e32 v19, vcc, v1, v13, vcc
	v_lshlrev_b64 v[18:19], 3, v[18:19]
	s_waitcnt lgkmcnt(0)
	s_barrier
	ds_read2st64_b64 v[6:9], v20 offset1:3
	ds_read2st64_b64 v[2:5], v20 offset0:6 offset1:9
	v_mov_b32_e32 v1, s5
	v_add_co_u32_e32 v11, vcc, s4, v18
	v_addc_co_u32_e32 v1, vcc, v1, v19, vcc
	v_mov_b32_e32 v18, s31
	v_add_co_u32_e32 v14, vcc, s30, v11
	v_addc_co_u32_e32 v1, vcc, v1, v18, vcc
	v_add_u32_e32 v17, 0xc0, v0
	v_add_u32_e32 v16, 0x180, v0
	;; [unrolled: 1-line block ×3, first 2 shown]
	s_and_b64 vcc, exec, s[0:1]
	v_cmp_ge_u32_e64 s[0:1], v0, v10
	s_cbranch_vccnz .LBB2653_59
; %bb.54:
	s_and_saveexec_b64 s[2:3], s[0:1]
	s_cbranch_execnz .LBB2653_72
; %bb.55:
	s_or_b64 exec, exec, s[2:3]
	v_cmp_ge_u32_e32 vcc, v17, v10
	s_and_saveexec_b64 s[0:1], vcc
	s_cbranch_execnz .LBB2653_73
.LBB2653_56:
	s_or_b64 exec, exec, s[0:1]
	v_cmp_ge_u32_e32 vcc, v16, v10
	s_and_saveexec_b64 s[0:1], vcc
	s_cbranch_execz .LBB2653_58
.LBB2653_57:
	v_readfirstlane_b32 s2, v14
	v_readfirstlane_b32 s3, v1
	s_waitcnt lgkmcnt(0)
	s_nop 3
	global_store_dwordx2 v20, v[2:3], s[2:3] offset:3072
.LBB2653_58:
	s_or_b64 exec, exec, s[0:1]
	v_cmp_ge_u32_e64 s[0:1], v15, v10
	s_branch .LBB2653_67
.LBB2653_59:
	s_mov_b64 s[0:1], 0
	s_cbranch_execz .LBB2653_67
; %bb.60:
	v_cmp_gt_u32_e32 vcc, s33, v0
	v_cmp_ge_u32_e64 s[0:1], v0, v10
	s_and_b64 s[2:3], vcc, s[0:1]
	s_and_saveexec_b64 s[0:1], s[2:3]
	s_cbranch_execz .LBB2653_62
; %bb.61:
	v_readfirstlane_b32 s2, v14
	v_readfirstlane_b32 s3, v1
	s_waitcnt lgkmcnt(1)
	s_nop 3
	global_store_dwordx2 v20, v[6:7], s[2:3]
.LBB2653_62:
	s_or_b64 exec, exec, s[0:1]
	v_cmp_gt_u32_e32 vcc, s33, v17
	v_cmp_ge_u32_e64 s[0:1], v17, v10
	s_and_b64 s[2:3], vcc, s[0:1]
	s_and_saveexec_b64 s[0:1], s[2:3]
	s_cbranch_execz .LBB2653_64
; %bb.63:
	v_readfirstlane_b32 s2, v14
	v_readfirstlane_b32 s3, v1
	s_waitcnt lgkmcnt(1)
	s_nop 3
	global_store_dwordx2 v20, v[8:9], s[2:3] offset:1536
.LBB2653_64:
	s_or_b64 exec, exec, s[0:1]
	v_cmp_gt_u32_e32 vcc, s33, v16
	v_cmp_ge_u32_e64 s[0:1], v16, v10
	s_and_b64 s[2:3], vcc, s[0:1]
	s_and_saveexec_b64 s[0:1], s[2:3]
	s_cbranch_execz .LBB2653_66
; %bb.65:
	v_readfirstlane_b32 s2, v14
	v_readfirstlane_b32 s3, v1
	s_waitcnt lgkmcnt(0)
	s_nop 3
	global_store_dwordx2 v20, v[2:3], s[2:3] offset:3072
.LBB2653_66:
	s_or_b64 exec, exec, s[0:1]
	v_cmp_gt_u32_e32 vcc, s33, v15
	v_cmp_ge_u32_e64 s[0:1], v15, v10
	s_and_b64 s[0:1], vcc, s[0:1]
.LBB2653_67:
	s_and_saveexec_b64 s[2:3], s[0:1]
	s_cbranch_execz .LBB2653_69
; %bb.68:
	s_waitcnt lgkmcnt(0)
	v_lshlrev_b32_e32 v2, 3, v15
	v_readfirstlane_b32 s0, v14
	v_readfirstlane_b32 s1, v1
	s_nop 4
	global_store_dwordx2 v2, v[4:5], s[0:1]
.LBB2653_69:
	s_or_b64 exec, exec, s[2:3]
	v_cmp_eq_u32_e32 vcc, 0, v0
	s_and_b64 s[0:1], vcc, s[26:27]
	s_and_saveexec_b64 s[2:3], s[0:1]
	s_cbranch_execz .LBB2653_71
; %bb.70:
	v_mov_b32_e32 v0, 0
	global_store_dwordx2 v0, v[12:13], s[24:25]
.LBB2653_71:
	s_endpgm
.LBB2653_72:
	v_readfirstlane_b32 s0, v14
	v_readfirstlane_b32 s1, v1
	s_waitcnt lgkmcnt(1)
	s_nop 3
	global_store_dwordx2 v20, v[6:7], s[0:1]
	s_or_b64 exec, exec, s[2:3]
	v_cmp_ge_u32_e32 vcc, v17, v10
	s_and_saveexec_b64 s[0:1], vcc
	s_cbranch_execz .LBB2653_56
.LBB2653_73:
	v_readfirstlane_b32 s2, v14
	v_readfirstlane_b32 s3, v1
	s_waitcnt lgkmcnt(1)
	s_nop 3
	global_store_dwordx2 v20, v[8:9], s[2:3] offset:1536
	s_or_b64 exec, exec, s[0:1]
	v_cmp_ge_u32_e32 vcc, v16, v10
	s_and_saveexec_b64 s[0:1], vcc
	s_cbranch_execnz .LBB2653_57
	s_branch .LBB2653_58
	.section	.rodata,"a",@progbits
	.p2align	6, 0x0
	.amdhsa_kernel _ZN7rocprim17ROCPRIM_400000_NS6detail17trampoline_kernelINS0_14default_configENS1_25partition_config_selectorILNS1_17partition_subalgoE0ExNS0_10empty_typeEbEEZZNS1_14partition_implILS5_0ELb0ES3_jN6thrust23THRUST_200600_302600_NS6detail15normal_iteratorINSA_10device_ptrIxEEEEPS6_SG_NS0_5tupleIJNSA_16discard_iteratorINSA_11use_defaultEEESF_EEENSH_IJSG_SG_EEES6_PlJ7is_evenIxEEEE10hipError_tPvRmT3_T4_T5_T6_T7_T9_mT8_P12ihipStream_tbDpT10_ENKUlT_T0_E_clISt17integral_constantIbLb0EES19_EEDaS14_S15_EUlS14_E_NS1_11comp_targetILNS1_3genE4ELNS1_11target_archE910ELNS1_3gpuE8ELNS1_3repE0EEENS1_30default_config_static_selectorELNS0_4arch9wavefront6targetE1EEEvT1_
		.amdhsa_group_segment_fixed_size 6344
		.amdhsa_private_segment_fixed_size 0
		.amdhsa_kernarg_size 128
		.amdhsa_user_sgpr_count 6
		.amdhsa_user_sgpr_private_segment_buffer 1
		.amdhsa_user_sgpr_dispatch_ptr 0
		.amdhsa_user_sgpr_queue_ptr 0
		.amdhsa_user_sgpr_kernarg_segment_ptr 1
		.amdhsa_user_sgpr_dispatch_id 0
		.amdhsa_user_sgpr_flat_scratch_init 0
		.amdhsa_user_sgpr_kernarg_preload_length 0
		.amdhsa_user_sgpr_kernarg_preload_offset 0
		.amdhsa_user_sgpr_private_segment_size 0
		.amdhsa_uses_dynamic_stack 0
		.amdhsa_system_sgpr_private_segment_wavefront_offset 0
		.amdhsa_system_sgpr_workgroup_id_x 1
		.amdhsa_system_sgpr_workgroup_id_y 0
		.amdhsa_system_sgpr_workgroup_id_z 0
		.amdhsa_system_sgpr_workgroup_info 0
		.amdhsa_system_vgpr_workitem_id 0
		.amdhsa_next_free_vgpr 43
		.amdhsa_next_free_sgpr 44
		.amdhsa_accum_offset 44
		.amdhsa_reserve_vcc 1
		.amdhsa_reserve_flat_scratch 0
		.amdhsa_float_round_mode_32 0
		.amdhsa_float_round_mode_16_64 0
		.amdhsa_float_denorm_mode_32 3
		.amdhsa_float_denorm_mode_16_64 3
		.amdhsa_dx10_clamp 1
		.amdhsa_ieee_mode 1
		.amdhsa_fp16_overflow 0
		.amdhsa_tg_split 0
		.amdhsa_exception_fp_ieee_invalid_op 0
		.amdhsa_exception_fp_denorm_src 0
		.amdhsa_exception_fp_ieee_div_zero 0
		.amdhsa_exception_fp_ieee_overflow 0
		.amdhsa_exception_fp_ieee_underflow 0
		.amdhsa_exception_fp_ieee_inexact 0
		.amdhsa_exception_int_div_zero 0
	.end_amdhsa_kernel
	.section	.text._ZN7rocprim17ROCPRIM_400000_NS6detail17trampoline_kernelINS0_14default_configENS1_25partition_config_selectorILNS1_17partition_subalgoE0ExNS0_10empty_typeEbEEZZNS1_14partition_implILS5_0ELb0ES3_jN6thrust23THRUST_200600_302600_NS6detail15normal_iteratorINSA_10device_ptrIxEEEEPS6_SG_NS0_5tupleIJNSA_16discard_iteratorINSA_11use_defaultEEESF_EEENSH_IJSG_SG_EEES6_PlJ7is_evenIxEEEE10hipError_tPvRmT3_T4_T5_T6_T7_T9_mT8_P12ihipStream_tbDpT10_ENKUlT_T0_E_clISt17integral_constantIbLb0EES19_EEDaS14_S15_EUlS14_E_NS1_11comp_targetILNS1_3genE4ELNS1_11target_archE910ELNS1_3gpuE8ELNS1_3repE0EEENS1_30default_config_static_selectorELNS0_4arch9wavefront6targetE1EEEvT1_,"axG",@progbits,_ZN7rocprim17ROCPRIM_400000_NS6detail17trampoline_kernelINS0_14default_configENS1_25partition_config_selectorILNS1_17partition_subalgoE0ExNS0_10empty_typeEbEEZZNS1_14partition_implILS5_0ELb0ES3_jN6thrust23THRUST_200600_302600_NS6detail15normal_iteratorINSA_10device_ptrIxEEEEPS6_SG_NS0_5tupleIJNSA_16discard_iteratorINSA_11use_defaultEEESF_EEENSH_IJSG_SG_EEES6_PlJ7is_evenIxEEEE10hipError_tPvRmT3_T4_T5_T6_T7_T9_mT8_P12ihipStream_tbDpT10_ENKUlT_T0_E_clISt17integral_constantIbLb0EES19_EEDaS14_S15_EUlS14_E_NS1_11comp_targetILNS1_3genE4ELNS1_11target_archE910ELNS1_3gpuE8ELNS1_3repE0EEENS1_30default_config_static_selectorELNS0_4arch9wavefront6targetE1EEEvT1_,comdat
.Lfunc_end2653:
	.size	_ZN7rocprim17ROCPRIM_400000_NS6detail17trampoline_kernelINS0_14default_configENS1_25partition_config_selectorILNS1_17partition_subalgoE0ExNS0_10empty_typeEbEEZZNS1_14partition_implILS5_0ELb0ES3_jN6thrust23THRUST_200600_302600_NS6detail15normal_iteratorINSA_10device_ptrIxEEEEPS6_SG_NS0_5tupleIJNSA_16discard_iteratorINSA_11use_defaultEEESF_EEENSH_IJSG_SG_EEES6_PlJ7is_evenIxEEEE10hipError_tPvRmT3_T4_T5_T6_T7_T9_mT8_P12ihipStream_tbDpT10_ENKUlT_T0_E_clISt17integral_constantIbLb0EES19_EEDaS14_S15_EUlS14_E_NS1_11comp_targetILNS1_3genE4ELNS1_11target_archE910ELNS1_3gpuE8ELNS1_3repE0EEENS1_30default_config_static_selectorELNS0_4arch9wavefront6targetE1EEEvT1_, .Lfunc_end2653-_ZN7rocprim17ROCPRIM_400000_NS6detail17trampoline_kernelINS0_14default_configENS1_25partition_config_selectorILNS1_17partition_subalgoE0ExNS0_10empty_typeEbEEZZNS1_14partition_implILS5_0ELb0ES3_jN6thrust23THRUST_200600_302600_NS6detail15normal_iteratorINSA_10device_ptrIxEEEEPS6_SG_NS0_5tupleIJNSA_16discard_iteratorINSA_11use_defaultEEESF_EEENSH_IJSG_SG_EEES6_PlJ7is_evenIxEEEE10hipError_tPvRmT3_T4_T5_T6_T7_T9_mT8_P12ihipStream_tbDpT10_ENKUlT_T0_E_clISt17integral_constantIbLb0EES19_EEDaS14_S15_EUlS14_E_NS1_11comp_targetILNS1_3genE4ELNS1_11target_archE910ELNS1_3gpuE8ELNS1_3repE0EEENS1_30default_config_static_selectorELNS0_4arch9wavefront6targetE1EEEvT1_
                                        ; -- End function
	.section	.AMDGPU.csdata,"",@progbits
; Kernel info:
; codeLenInByte = 3596
; NumSgprs: 48
; NumVgprs: 43
; NumAgprs: 0
; TotalNumVgprs: 43
; ScratchSize: 0
; MemoryBound: 0
; FloatMode: 240
; IeeeMode: 1
; LDSByteSize: 6344 bytes/workgroup (compile time only)
; SGPRBlocks: 5
; VGPRBlocks: 5
; NumSGPRsForWavesPerEU: 48
; NumVGPRsForWavesPerEU: 43
; AccumOffset: 44
; Occupancy: 8
; WaveLimiterHint : 1
; COMPUTE_PGM_RSRC2:SCRATCH_EN: 0
; COMPUTE_PGM_RSRC2:USER_SGPR: 6
; COMPUTE_PGM_RSRC2:TRAP_HANDLER: 0
; COMPUTE_PGM_RSRC2:TGID_X_EN: 1
; COMPUTE_PGM_RSRC2:TGID_Y_EN: 0
; COMPUTE_PGM_RSRC2:TGID_Z_EN: 0
; COMPUTE_PGM_RSRC2:TIDIG_COMP_CNT: 0
; COMPUTE_PGM_RSRC3_GFX90A:ACCUM_OFFSET: 10
; COMPUTE_PGM_RSRC3_GFX90A:TG_SPLIT: 0
	.section	.text._ZN7rocprim17ROCPRIM_400000_NS6detail17trampoline_kernelINS0_14default_configENS1_25partition_config_selectorILNS1_17partition_subalgoE0ExNS0_10empty_typeEbEEZZNS1_14partition_implILS5_0ELb0ES3_jN6thrust23THRUST_200600_302600_NS6detail15normal_iteratorINSA_10device_ptrIxEEEEPS6_SG_NS0_5tupleIJNSA_16discard_iteratorINSA_11use_defaultEEESF_EEENSH_IJSG_SG_EEES6_PlJ7is_evenIxEEEE10hipError_tPvRmT3_T4_T5_T6_T7_T9_mT8_P12ihipStream_tbDpT10_ENKUlT_T0_E_clISt17integral_constantIbLb0EES19_EEDaS14_S15_EUlS14_E_NS1_11comp_targetILNS1_3genE3ELNS1_11target_archE908ELNS1_3gpuE7ELNS1_3repE0EEENS1_30default_config_static_selectorELNS0_4arch9wavefront6targetE1EEEvT1_,"axG",@progbits,_ZN7rocprim17ROCPRIM_400000_NS6detail17trampoline_kernelINS0_14default_configENS1_25partition_config_selectorILNS1_17partition_subalgoE0ExNS0_10empty_typeEbEEZZNS1_14partition_implILS5_0ELb0ES3_jN6thrust23THRUST_200600_302600_NS6detail15normal_iteratorINSA_10device_ptrIxEEEEPS6_SG_NS0_5tupleIJNSA_16discard_iteratorINSA_11use_defaultEEESF_EEENSH_IJSG_SG_EEES6_PlJ7is_evenIxEEEE10hipError_tPvRmT3_T4_T5_T6_T7_T9_mT8_P12ihipStream_tbDpT10_ENKUlT_T0_E_clISt17integral_constantIbLb0EES19_EEDaS14_S15_EUlS14_E_NS1_11comp_targetILNS1_3genE3ELNS1_11target_archE908ELNS1_3gpuE7ELNS1_3repE0EEENS1_30default_config_static_selectorELNS0_4arch9wavefront6targetE1EEEvT1_,comdat
	.protected	_ZN7rocprim17ROCPRIM_400000_NS6detail17trampoline_kernelINS0_14default_configENS1_25partition_config_selectorILNS1_17partition_subalgoE0ExNS0_10empty_typeEbEEZZNS1_14partition_implILS5_0ELb0ES3_jN6thrust23THRUST_200600_302600_NS6detail15normal_iteratorINSA_10device_ptrIxEEEEPS6_SG_NS0_5tupleIJNSA_16discard_iteratorINSA_11use_defaultEEESF_EEENSH_IJSG_SG_EEES6_PlJ7is_evenIxEEEE10hipError_tPvRmT3_T4_T5_T6_T7_T9_mT8_P12ihipStream_tbDpT10_ENKUlT_T0_E_clISt17integral_constantIbLb0EES19_EEDaS14_S15_EUlS14_E_NS1_11comp_targetILNS1_3genE3ELNS1_11target_archE908ELNS1_3gpuE7ELNS1_3repE0EEENS1_30default_config_static_selectorELNS0_4arch9wavefront6targetE1EEEvT1_ ; -- Begin function _ZN7rocprim17ROCPRIM_400000_NS6detail17trampoline_kernelINS0_14default_configENS1_25partition_config_selectorILNS1_17partition_subalgoE0ExNS0_10empty_typeEbEEZZNS1_14partition_implILS5_0ELb0ES3_jN6thrust23THRUST_200600_302600_NS6detail15normal_iteratorINSA_10device_ptrIxEEEEPS6_SG_NS0_5tupleIJNSA_16discard_iteratorINSA_11use_defaultEEESF_EEENSH_IJSG_SG_EEES6_PlJ7is_evenIxEEEE10hipError_tPvRmT3_T4_T5_T6_T7_T9_mT8_P12ihipStream_tbDpT10_ENKUlT_T0_E_clISt17integral_constantIbLb0EES19_EEDaS14_S15_EUlS14_E_NS1_11comp_targetILNS1_3genE3ELNS1_11target_archE908ELNS1_3gpuE7ELNS1_3repE0EEENS1_30default_config_static_selectorELNS0_4arch9wavefront6targetE1EEEvT1_
	.globl	_ZN7rocprim17ROCPRIM_400000_NS6detail17trampoline_kernelINS0_14default_configENS1_25partition_config_selectorILNS1_17partition_subalgoE0ExNS0_10empty_typeEbEEZZNS1_14partition_implILS5_0ELb0ES3_jN6thrust23THRUST_200600_302600_NS6detail15normal_iteratorINSA_10device_ptrIxEEEEPS6_SG_NS0_5tupleIJNSA_16discard_iteratorINSA_11use_defaultEEESF_EEENSH_IJSG_SG_EEES6_PlJ7is_evenIxEEEE10hipError_tPvRmT3_T4_T5_T6_T7_T9_mT8_P12ihipStream_tbDpT10_ENKUlT_T0_E_clISt17integral_constantIbLb0EES19_EEDaS14_S15_EUlS14_E_NS1_11comp_targetILNS1_3genE3ELNS1_11target_archE908ELNS1_3gpuE7ELNS1_3repE0EEENS1_30default_config_static_selectorELNS0_4arch9wavefront6targetE1EEEvT1_
	.p2align	8
	.type	_ZN7rocprim17ROCPRIM_400000_NS6detail17trampoline_kernelINS0_14default_configENS1_25partition_config_selectorILNS1_17partition_subalgoE0ExNS0_10empty_typeEbEEZZNS1_14partition_implILS5_0ELb0ES3_jN6thrust23THRUST_200600_302600_NS6detail15normal_iteratorINSA_10device_ptrIxEEEEPS6_SG_NS0_5tupleIJNSA_16discard_iteratorINSA_11use_defaultEEESF_EEENSH_IJSG_SG_EEES6_PlJ7is_evenIxEEEE10hipError_tPvRmT3_T4_T5_T6_T7_T9_mT8_P12ihipStream_tbDpT10_ENKUlT_T0_E_clISt17integral_constantIbLb0EES19_EEDaS14_S15_EUlS14_E_NS1_11comp_targetILNS1_3genE3ELNS1_11target_archE908ELNS1_3gpuE7ELNS1_3repE0EEENS1_30default_config_static_selectorELNS0_4arch9wavefront6targetE1EEEvT1_,@function
_ZN7rocprim17ROCPRIM_400000_NS6detail17trampoline_kernelINS0_14default_configENS1_25partition_config_selectorILNS1_17partition_subalgoE0ExNS0_10empty_typeEbEEZZNS1_14partition_implILS5_0ELb0ES3_jN6thrust23THRUST_200600_302600_NS6detail15normal_iteratorINSA_10device_ptrIxEEEEPS6_SG_NS0_5tupleIJNSA_16discard_iteratorINSA_11use_defaultEEESF_EEENSH_IJSG_SG_EEES6_PlJ7is_evenIxEEEE10hipError_tPvRmT3_T4_T5_T6_T7_T9_mT8_P12ihipStream_tbDpT10_ENKUlT_T0_E_clISt17integral_constantIbLb0EES19_EEDaS14_S15_EUlS14_E_NS1_11comp_targetILNS1_3genE3ELNS1_11target_archE908ELNS1_3gpuE7ELNS1_3repE0EEENS1_30default_config_static_selectorELNS0_4arch9wavefront6targetE1EEEvT1_: ; @_ZN7rocprim17ROCPRIM_400000_NS6detail17trampoline_kernelINS0_14default_configENS1_25partition_config_selectorILNS1_17partition_subalgoE0ExNS0_10empty_typeEbEEZZNS1_14partition_implILS5_0ELb0ES3_jN6thrust23THRUST_200600_302600_NS6detail15normal_iteratorINSA_10device_ptrIxEEEEPS6_SG_NS0_5tupleIJNSA_16discard_iteratorINSA_11use_defaultEEESF_EEENSH_IJSG_SG_EEES6_PlJ7is_evenIxEEEE10hipError_tPvRmT3_T4_T5_T6_T7_T9_mT8_P12ihipStream_tbDpT10_ENKUlT_T0_E_clISt17integral_constantIbLb0EES19_EEDaS14_S15_EUlS14_E_NS1_11comp_targetILNS1_3genE3ELNS1_11target_archE908ELNS1_3gpuE7ELNS1_3repE0EEENS1_30default_config_static_selectorELNS0_4arch9wavefront6targetE1EEEvT1_
; %bb.0:
	.section	.rodata,"a",@progbits
	.p2align	6, 0x0
	.amdhsa_kernel _ZN7rocprim17ROCPRIM_400000_NS6detail17trampoline_kernelINS0_14default_configENS1_25partition_config_selectorILNS1_17partition_subalgoE0ExNS0_10empty_typeEbEEZZNS1_14partition_implILS5_0ELb0ES3_jN6thrust23THRUST_200600_302600_NS6detail15normal_iteratorINSA_10device_ptrIxEEEEPS6_SG_NS0_5tupleIJNSA_16discard_iteratorINSA_11use_defaultEEESF_EEENSH_IJSG_SG_EEES6_PlJ7is_evenIxEEEE10hipError_tPvRmT3_T4_T5_T6_T7_T9_mT8_P12ihipStream_tbDpT10_ENKUlT_T0_E_clISt17integral_constantIbLb0EES19_EEDaS14_S15_EUlS14_E_NS1_11comp_targetILNS1_3genE3ELNS1_11target_archE908ELNS1_3gpuE7ELNS1_3repE0EEENS1_30default_config_static_selectorELNS0_4arch9wavefront6targetE1EEEvT1_
		.amdhsa_group_segment_fixed_size 0
		.amdhsa_private_segment_fixed_size 0
		.amdhsa_kernarg_size 128
		.amdhsa_user_sgpr_count 6
		.amdhsa_user_sgpr_private_segment_buffer 1
		.amdhsa_user_sgpr_dispatch_ptr 0
		.amdhsa_user_sgpr_queue_ptr 0
		.amdhsa_user_sgpr_kernarg_segment_ptr 1
		.amdhsa_user_sgpr_dispatch_id 0
		.amdhsa_user_sgpr_flat_scratch_init 0
		.amdhsa_user_sgpr_kernarg_preload_length 0
		.amdhsa_user_sgpr_kernarg_preload_offset 0
		.amdhsa_user_sgpr_private_segment_size 0
		.amdhsa_uses_dynamic_stack 0
		.amdhsa_system_sgpr_private_segment_wavefront_offset 0
		.amdhsa_system_sgpr_workgroup_id_x 1
		.amdhsa_system_sgpr_workgroup_id_y 0
		.amdhsa_system_sgpr_workgroup_id_z 0
		.amdhsa_system_sgpr_workgroup_info 0
		.amdhsa_system_vgpr_workitem_id 0
		.amdhsa_next_free_vgpr 1
		.amdhsa_next_free_sgpr 0
		.amdhsa_accum_offset 4
		.amdhsa_reserve_vcc 0
		.amdhsa_reserve_flat_scratch 0
		.amdhsa_float_round_mode_32 0
		.amdhsa_float_round_mode_16_64 0
		.amdhsa_float_denorm_mode_32 3
		.amdhsa_float_denorm_mode_16_64 3
		.amdhsa_dx10_clamp 1
		.amdhsa_ieee_mode 1
		.amdhsa_fp16_overflow 0
		.amdhsa_tg_split 0
		.amdhsa_exception_fp_ieee_invalid_op 0
		.amdhsa_exception_fp_denorm_src 0
		.amdhsa_exception_fp_ieee_div_zero 0
		.amdhsa_exception_fp_ieee_overflow 0
		.amdhsa_exception_fp_ieee_underflow 0
		.amdhsa_exception_fp_ieee_inexact 0
		.amdhsa_exception_int_div_zero 0
	.end_amdhsa_kernel
	.section	.text._ZN7rocprim17ROCPRIM_400000_NS6detail17trampoline_kernelINS0_14default_configENS1_25partition_config_selectorILNS1_17partition_subalgoE0ExNS0_10empty_typeEbEEZZNS1_14partition_implILS5_0ELb0ES3_jN6thrust23THRUST_200600_302600_NS6detail15normal_iteratorINSA_10device_ptrIxEEEEPS6_SG_NS0_5tupleIJNSA_16discard_iteratorINSA_11use_defaultEEESF_EEENSH_IJSG_SG_EEES6_PlJ7is_evenIxEEEE10hipError_tPvRmT3_T4_T5_T6_T7_T9_mT8_P12ihipStream_tbDpT10_ENKUlT_T0_E_clISt17integral_constantIbLb0EES19_EEDaS14_S15_EUlS14_E_NS1_11comp_targetILNS1_3genE3ELNS1_11target_archE908ELNS1_3gpuE7ELNS1_3repE0EEENS1_30default_config_static_selectorELNS0_4arch9wavefront6targetE1EEEvT1_,"axG",@progbits,_ZN7rocprim17ROCPRIM_400000_NS6detail17trampoline_kernelINS0_14default_configENS1_25partition_config_selectorILNS1_17partition_subalgoE0ExNS0_10empty_typeEbEEZZNS1_14partition_implILS5_0ELb0ES3_jN6thrust23THRUST_200600_302600_NS6detail15normal_iteratorINSA_10device_ptrIxEEEEPS6_SG_NS0_5tupleIJNSA_16discard_iteratorINSA_11use_defaultEEESF_EEENSH_IJSG_SG_EEES6_PlJ7is_evenIxEEEE10hipError_tPvRmT3_T4_T5_T6_T7_T9_mT8_P12ihipStream_tbDpT10_ENKUlT_T0_E_clISt17integral_constantIbLb0EES19_EEDaS14_S15_EUlS14_E_NS1_11comp_targetILNS1_3genE3ELNS1_11target_archE908ELNS1_3gpuE7ELNS1_3repE0EEENS1_30default_config_static_selectorELNS0_4arch9wavefront6targetE1EEEvT1_,comdat
.Lfunc_end2654:
	.size	_ZN7rocprim17ROCPRIM_400000_NS6detail17trampoline_kernelINS0_14default_configENS1_25partition_config_selectorILNS1_17partition_subalgoE0ExNS0_10empty_typeEbEEZZNS1_14partition_implILS5_0ELb0ES3_jN6thrust23THRUST_200600_302600_NS6detail15normal_iteratorINSA_10device_ptrIxEEEEPS6_SG_NS0_5tupleIJNSA_16discard_iteratorINSA_11use_defaultEEESF_EEENSH_IJSG_SG_EEES6_PlJ7is_evenIxEEEE10hipError_tPvRmT3_T4_T5_T6_T7_T9_mT8_P12ihipStream_tbDpT10_ENKUlT_T0_E_clISt17integral_constantIbLb0EES19_EEDaS14_S15_EUlS14_E_NS1_11comp_targetILNS1_3genE3ELNS1_11target_archE908ELNS1_3gpuE7ELNS1_3repE0EEENS1_30default_config_static_selectorELNS0_4arch9wavefront6targetE1EEEvT1_, .Lfunc_end2654-_ZN7rocprim17ROCPRIM_400000_NS6detail17trampoline_kernelINS0_14default_configENS1_25partition_config_selectorILNS1_17partition_subalgoE0ExNS0_10empty_typeEbEEZZNS1_14partition_implILS5_0ELb0ES3_jN6thrust23THRUST_200600_302600_NS6detail15normal_iteratorINSA_10device_ptrIxEEEEPS6_SG_NS0_5tupleIJNSA_16discard_iteratorINSA_11use_defaultEEESF_EEENSH_IJSG_SG_EEES6_PlJ7is_evenIxEEEE10hipError_tPvRmT3_T4_T5_T6_T7_T9_mT8_P12ihipStream_tbDpT10_ENKUlT_T0_E_clISt17integral_constantIbLb0EES19_EEDaS14_S15_EUlS14_E_NS1_11comp_targetILNS1_3genE3ELNS1_11target_archE908ELNS1_3gpuE7ELNS1_3repE0EEENS1_30default_config_static_selectorELNS0_4arch9wavefront6targetE1EEEvT1_
                                        ; -- End function
	.section	.AMDGPU.csdata,"",@progbits
; Kernel info:
; codeLenInByte = 0
; NumSgprs: 4
; NumVgprs: 0
; NumAgprs: 0
; TotalNumVgprs: 0
; ScratchSize: 0
; MemoryBound: 0
; FloatMode: 240
; IeeeMode: 1
; LDSByteSize: 0 bytes/workgroup (compile time only)
; SGPRBlocks: 0
; VGPRBlocks: 0
; NumSGPRsForWavesPerEU: 4
; NumVGPRsForWavesPerEU: 1
; AccumOffset: 4
; Occupancy: 8
; WaveLimiterHint : 0
; COMPUTE_PGM_RSRC2:SCRATCH_EN: 0
; COMPUTE_PGM_RSRC2:USER_SGPR: 6
; COMPUTE_PGM_RSRC2:TRAP_HANDLER: 0
; COMPUTE_PGM_RSRC2:TGID_X_EN: 1
; COMPUTE_PGM_RSRC2:TGID_Y_EN: 0
; COMPUTE_PGM_RSRC2:TGID_Z_EN: 0
; COMPUTE_PGM_RSRC2:TIDIG_COMP_CNT: 0
; COMPUTE_PGM_RSRC3_GFX90A:ACCUM_OFFSET: 0
; COMPUTE_PGM_RSRC3_GFX90A:TG_SPLIT: 0
	.section	.text._ZN7rocprim17ROCPRIM_400000_NS6detail17trampoline_kernelINS0_14default_configENS1_25partition_config_selectorILNS1_17partition_subalgoE0ExNS0_10empty_typeEbEEZZNS1_14partition_implILS5_0ELb0ES3_jN6thrust23THRUST_200600_302600_NS6detail15normal_iteratorINSA_10device_ptrIxEEEEPS6_SG_NS0_5tupleIJNSA_16discard_iteratorINSA_11use_defaultEEESF_EEENSH_IJSG_SG_EEES6_PlJ7is_evenIxEEEE10hipError_tPvRmT3_T4_T5_T6_T7_T9_mT8_P12ihipStream_tbDpT10_ENKUlT_T0_E_clISt17integral_constantIbLb0EES19_EEDaS14_S15_EUlS14_E_NS1_11comp_targetILNS1_3genE2ELNS1_11target_archE906ELNS1_3gpuE6ELNS1_3repE0EEENS1_30default_config_static_selectorELNS0_4arch9wavefront6targetE1EEEvT1_,"axG",@progbits,_ZN7rocprim17ROCPRIM_400000_NS6detail17trampoline_kernelINS0_14default_configENS1_25partition_config_selectorILNS1_17partition_subalgoE0ExNS0_10empty_typeEbEEZZNS1_14partition_implILS5_0ELb0ES3_jN6thrust23THRUST_200600_302600_NS6detail15normal_iteratorINSA_10device_ptrIxEEEEPS6_SG_NS0_5tupleIJNSA_16discard_iteratorINSA_11use_defaultEEESF_EEENSH_IJSG_SG_EEES6_PlJ7is_evenIxEEEE10hipError_tPvRmT3_T4_T5_T6_T7_T9_mT8_P12ihipStream_tbDpT10_ENKUlT_T0_E_clISt17integral_constantIbLb0EES19_EEDaS14_S15_EUlS14_E_NS1_11comp_targetILNS1_3genE2ELNS1_11target_archE906ELNS1_3gpuE6ELNS1_3repE0EEENS1_30default_config_static_selectorELNS0_4arch9wavefront6targetE1EEEvT1_,comdat
	.protected	_ZN7rocprim17ROCPRIM_400000_NS6detail17trampoline_kernelINS0_14default_configENS1_25partition_config_selectorILNS1_17partition_subalgoE0ExNS0_10empty_typeEbEEZZNS1_14partition_implILS5_0ELb0ES3_jN6thrust23THRUST_200600_302600_NS6detail15normal_iteratorINSA_10device_ptrIxEEEEPS6_SG_NS0_5tupleIJNSA_16discard_iteratorINSA_11use_defaultEEESF_EEENSH_IJSG_SG_EEES6_PlJ7is_evenIxEEEE10hipError_tPvRmT3_T4_T5_T6_T7_T9_mT8_P12ihipStream_tbDpT10_ENKUlT_T0_E_clISt17integral_constantIbLb0EES19_EEDaS14_S15_EUlS14_E_NS1_11comp_targetILNS1_3genE2ELNS1_11target_archE906ELNS1_3gpuE6ELNS1_3repE0EEENS1_30default_config_static_selectorELNS0_4arch9wavefront6targetE1EEEvT1_ ; -- Begin function _ZN7rocprim17ROCPRIM_400000_NS6detail17trampoline_kernelINS0_14default_configENS1_25partition_config_selectorILNS1_17partition_subalgoE0ExNS0_10empty_typeEbEEZZNS1_14partition_implILS5_0ELb0ES3_jN6thrust23THRUST_200600_302600_NS6detail15normal_iteratorINSA_10device_ptrIxEEEEPS6_SG_NS0_5tupleIJNSA_16discard_iteratorINSA_11use_defaultEEESF_EEENSH_IJSG_SG_EEES6_PlJ7is_evenIxEEEE10hipError_tPvRmT3_T4_T5_T6_T7_T9_mT8_P12ihipStream_tbDpT10_ENKUlT_T0_E_clISt17integral_constantIbLb0EES19_EEDaS14_S15_EUlS14_E_NS1_11comp_targetILNS1_3genE2ELNS1_11target_archE906ELNS1_3gpuE6ELNS1_3repE0EEENS1_30default_config_static_selectorELNS0_4arch9wavefront6targetE1EEEvT1_
	.globl	_ZN7rocprim17ROCPRIM_400000_NS6detail17trampoline_kernelINS0_14default_configENS1_25partition_config_selectorILNS1_17partition_subalgoE0ExNS0_10empty_typeEbEEZZNS1_14partition_implILS5_0ELb0ES3_jN6thrust23THRUST_200600_302600_NS6detail15normal_iteratorINSA_10device_ptrIxEEEEPS6_SG_NS0_5tupleIJNSA_16discard_iteratorINSA_11use_defaultEEESF_EEENSH_IJSG_SG_EEES6_PlJ7is_evenIxEEEE10hipError_tPvRmT3_T4_T5_T6_T7_T9_mT8_P12ihipStream_tbDpT10_ENKUlT_T0_E_clISt17integral_constantIbLb0EES19_EEDaS14_S15_EUlS14_E_NS1_11comp_targetILNS1_3genE2ELNS1_11target_archE906ELNS1_3gpuE6ELNS1_3repE0EEENS1_30default_config_static_selectorELNS0_4arch9wavefront6targetE1EEEvT1_
	.p2align	8
	.type	_ZN7rocprim17ROCPRIM_400000_NS6detail17trampoline_kernelINS0_14default_configENS1_25partition_config_selectorILNS1_17partition_subalgoE0ExNS0_10empty_typeEbEEZZNS1_14partition_implILS5_0ELb0ES3_jN6thrust23THRUST_200600_302600_NS6detail15normal_iteratorINSA_10device_ptrIxEEEEPS6_SG_NS0_5tupleIJNSA_16discard_iteratorINSA_11use_defaultEEESF_EEENSH_IJSG_SG_EEES6_PlJ7is_evenIxEEEE10hipError_tPvRmT3_T4_T5_T6_T7_T9_mT8_P12ihipStream_tbDpT10_ENKUlT_T0_E_clISt17integral_constantIbLb0EES19_EEDaS14_S15_EUlS14_E_NS1_11comp_targetILNS1_3genE2ELNS1_11target_archE906ELNS1_3gpuE6ELNS1_3repE0EEENS1_30default_config_static_selectorELNS0_4arch9wavefront6targetE1EEEvT1_,@function
_ZN7rocprim17ROCPRIM_400000_NS6detail17trampoline_kernelINS0_14default_configENS1_25partition_config_selectorILNS1_17partition_subalgoE0ExNS0_10empty_typeEbEEZZNS1_14partition_implILS5_0ELb0ES3_jN6thrust23THRUST_200600_302600_NS6detail15normal_iteratorINSA_10device_ptrIxEEEEPS6_SG_NS0_5tupleIJNSA_16discard_iteratorINSA_11use_defaultEEESF_EEENSH_IJSG_SG_EEES6_PlJ7is_evenIxEEEE10hipError_tPvRmT3_T4_T5_T6_T7_T9_mT8_P12ihipStream_tbDpT10_ENKUlT_T0_E_clISt17integral_constantIbLb0EES19_EEDaS14_S15_EUlS14_E_NS1_11comp_targetILNS1_3genE2ELNS1_11target_archE906ELNS1_3gpuE6ELNS1_3repE0EEENS1_30default_config_static_selectorELNS0_4arch9wavefront6targetE1EEEvT1_: ; @_ZN7rocprim17ROCPRIM_400000_NS6detail17trampoline_kernelINS0_14default_configENS1_25partition_config_selectorILNS1_17partition_subalgoE0ExNS0_10empty_typeEbEEZZNS1_14partition_implILS5_0ELb0ES3_jN6thrust23THRUST_200600_302600_NS6detail15normal_iteratorINSA_10device_ptrIxEEEEPS6_SG_NS0_5tupleIJNSA_16discard_iteratorINSA_11use_defaultEEESF_EEENSH_IJSG_SG_EEES6_PlJ7is_evenIxEEEE10hipError_tPvRmT3_T4_T5_T6_T7_T9_mT8_P12ihipStream_tbDpT10_ENKUlT_T0_E_clISt17integral_constantIbLb0EES19_EEDaS14_S15_EUlS14_E_NS1_11comp_targetILNS1_3genE2ELNS1_11target_archE906ELNS1_3gpuE6ELNS1_3repE0EEENS1_30default_config_static_selectorELNS0_4arch9wavefront6targetE1EEEvT1_
; %bb.0:
	.section	.rodata,"a",@progbits
	.p2align	6, 0x0
	.amdhsa_kernel _ZN7rocprim17ROCPRIM_400000_NS6detail17trampoline_kernelINS0_14default_configENS1_25partition_config_selectorILNS1_17partition_subalgoE0ExNS0_10empty_typeEbEEZZNS1_14partition_implILS5_0ELb0ES3_jN6thrust23THRUST_200600_302600_NS6detail15normal_iteratorINSA_10device_ptrIxEEEEPS6_SG_NS0_5tupleIJNSA_16discard_iteratorINSA_11use_defaultEEESF_EEENSH_IJSG_SG_EEES6_PlJ7is_evenIxEEEE10hipError_tPvRmT3_T4_T5_T6_T7_T9_mT8_P12ihipStream_tbDpT10_ENKUlT_T0_E_clISt17integral_constantIbLb0EES19_EEDaS14_S15_EUlS14_E_NS1_11comp_targetILNS1_3genE2ELNS1_11target_archE906ELNS1_3gpuE6ELNS1_3repE0EEENS1_30default_config_static_selectorELNS0_4arch9wavefront6targetE1EEEvT1_
		.amdhsa_group_segment_fixed_size 0
		.amdhsa_private_segment_fixed_size 0
		.amdhsa_kernarg_size 128
		.amdhsa_user_sgpr_count 6
		.amdhsa_user_sgpr_private_segment_buffer 1
		.amdhsa_user_sgpr_dispatch_ptr 0
		.amdhsa_user_sgpr_queue_ptr 0
		.amdhsa_user_sgpr_kernarg_segment_ptr 1
		.amdhsa_user_sgpr_dispatch_id 0
		.amdhsa_user_sgpr_flat_scratch_init 0
		.amdhsa_user_sgpr_kernarg_preload_length 0
		.amdhsa_user_sgpr_kernarg_preload_offset 0
		.amdhsa_user_sgpr_private_segment_size 0
		.amdhsa_uses_dynamic_stack 0
		.amdhsa_system_sgpr_private_segment_wavefront_offset 0
		.amdhsa_system_sgpr_workgroup_id_x 1
		.amdhsa_system_sgpr_workgroup_id_y 0
		.amdhsa_system_sgpr_workgroup_id_z 0
		.amdhsa_system_sgpr_workgroup_info 0
		.amdhsa_system_vgpr_workitem_id 0
		.amdhsa_next_free_vgpr 1
		.amdhsa_next_free_sgpr 0
		.amdhsa_accum_offset 4
		.amdhsa_reserve_vcc 0
		.amdhsa_reserve_flat_scratch 0
		.amdhsa_float_round_mode_32 0
		.amdhsa_float_round_mode_16_64 0
		.amdhsa_float_denorm_mode_32 3
		.amdhsa_float_denorm_mode_16_64 3
		.amdhsa_dx10_clamp 1
		.amdhsa_ieee_mode 1
		.amdhsa_fp16_overflow 0
		.amdhsa_tg_split 0
		.amdhsa_exception_fp_ieee_invalid_op 0
		.amdhsa_exception_fp_denorm_src 0
		.amdhsa_exception_fp_ieee_div_zero 0
		.amdhsa_exception_fp_ieee_overflow 0
		.amdhsa_exception_fp_ieee_underflow 0
		.amdhsa_exception_fp_ieee_inexact 0
		.amdhsa_exception_int_div_zero 0
	.end_amdhsa_kernel
	.section	.text._ZN7rocprim17ROCPRIM_400000_NS6detail17trampoline_kernelINS0_14default_configENS1_25partition_config_selectorILNS1_17partition_subalgoE0ExNS0_10empty_typeEbEEZZNS1_14partition_implILS5_0ELb0ES3_jN6thrust23THRUST_200600_302600_NS6detail15normal_iteratorINSA_10device_ptrIxEEEEPS6_SG_NS0_5tupleIJNSA_16discard_iteratorINSA_11use_defaultEEESF_EEENSH_IJSG_SG_EEES6_PlJ7is_evenIxEEEE10hipError_tPvRmT3_T4_T5_T6_T7_T9_mT8_P12ihipStream_tbDpT10_ENKUlT_T0_E_clISt17integral_constantIbLb0EES19_EEDaS14_S15_EUlS14_E_NS1_11comp_targetILNS1_3genE2ELNS1_11target_archE906ELNS1_3gpuE6ELNS1_3repE0EEENS1_30default_config_static_selectorELNS0_4arch9wavefront6targetE1EEEvT1_,"axG",@progbits,_ZN7rocprim17ROCPRIM_400000_NS6detail17trampoline_kernelINS0_14default_configENS1_25partition_config_selectorILNS1_17partition_subalgoE0ExNS0_10empty_typeEbEEZZNS1_14partition_implILS5_0ELb0ES3_jN6thrust23THRUST_200600_302600_NS6detail15normal_iteratorINSA_10device_ptrIxEEEEPS6_SG_NS0_5tupleIJNSA_16discard_iteratorINSA_11use_defaultEEESF_EEENSH_IJSG_SG_EEES6_PlJ7is_evenIxEEEE10hipError_tPvRmT3_T4_T5_T6_T7_T9_mT8_P12ihipStream_tbDpT10_ENKUlT_T0_E_clISt17integral_constantIbLb0EES19_EEDaS14_S15_EUlS14_E_NS1_11comp_targetILNS1_3genE2ELNS1_11target_archE906ELNS1_3gpuE6ELNS1_3repE0EEENS1_30default_config_static_selectorELNS0_4arch9wavefront6targetE1EEEvT1_,comdat
.Lfunc_end2655:
	.size	_ZN7rocprim17ROCPRIM_400000_NS6detail17trampoline_kernelINS0_14default_configENS1_25partition_config_selectorILNS1_17partition_subalgoE0ExNS0_10empty_typeEbEEZZNS1_14partition_implILS5_0ELb0ES3_jN6thrust23THRUST_200600_302600_NS6detail15normal_iteratorINSA_10device_ptrIxEEEEPS6_SG_NS0_5tupleIJNSA_16discard_iteratorINSA_11use_defaultEEESF_EEENSH_IJSG_SG_EEES6_PlJ7is_evenIxEEEE10hipError_tPvRmT3_T4_T5_T6_T7_T9_mT8_P12ihipStream_tbDpT10_ENKUlT_T0_E_clISt17integral_constantIbLb0EES19_EEDaS14_S15_EUlS14_E_NS1_11comp_targetILNS1_3genE2ELNS1_11target_archE906ELNS1_3gpuE6ELNS1_3repE0EEENS1_30default_config_static_selectorELNS0_4arch9wavefront6targetE1EEEvT1_, .Lfunc_end2655-_ZN7rocprim17ROCPRIM_400000_NS6detail17trampoline_kernelINS0_14default_configENS1_25partition_config_selectorILNS1_17partition_subalgoE0ExNS0_10empty_typeEbEEZZNS1_14partition_implILS5_0ELb0ES3_jN6thrust23THRUST_200600_302600_NS6detail15normal_iteratorINSA_10device_ptrIxEEEEPS6_SG_NS0_5tupleIJNSA_16discard_iteratorINSA_11use_defaultEEESF_EEENSH_IJSG_SG_EEES6_PlJ7is_evenIxEEEE10hipError_tPvRmT3_T4_T5_T6_T7_T9_mT8_P12ihipStream_tbDpT10_ENKUlT_T0_E_clISt17integral_constantIbLb0EES19_EEDaS14_S15_EUlS14_E_NS1_11comp_targetILNS1_3genE2ELNS1_11target_archE906ELNS1_3gpuE6ELNS1_3repE0EEENS1_30default_config_static_selectorELNS0_4arch9wavefront6targetE1EEEvT1_
                                        ; -- End function
	.section	.AMDGPU.csdata,"",@progbits
; Kernel info:
; codeLenInByte = 0
; NumSgprs: 4
; NumVgprs: 0
; NumAgprs: 0
; TotalNumVgprs: 0
; ScratchSize: 0
; MemoryBound: 0
; FloatMode: 240
; IeeeMode: 1
; LDSByteSize: 0 bytes/workgroup (compile time only)
; SGPRBlocks: 0
; VGPRBlocks: 0
; NumSGPRsForWavesPerEU: 4
; NumVGPRsForWavesPerEU: 1
; AccumOffset: 4
; Occupancy: 8
; WaveLimiterHint : 0
; COMPUTE_PGM_RSRC2:SCRATCH_EN: 0
; COMPUTE_PGM_RSRC2:USER_SGPR: 6
; COMPUTE_PGM_RSRC2:TRAP_HANDLER: 0
; COMPUTE_PGM_RSRC2:TGID_X_EN: 1
; COMPUTE_PGM_RSRC2:TGID_Y_EN: 0
; COMPUTE_PGM_RSRC2:TGID_Z_EN: 0
; COMPUTE_PGM_RSRC2:TIDIG_COMP_CNT: 0
; COMPUTE_PGM_RSRC3_GFX90A:ACCUM_OFFSET: 0
; COMPUTE_PGM_RSRC3_GFX90A:TG_SPLIT: 0
	.section	.text._ZN7rocprim17ROCPRIM_400000_NS6detail17trampoline_kernelINS0_14default_configENS1_25partition_config_selectorILNS1_17partition_subalgoE0ExNS0_10empty_typeEbEEZZNS1_14partition_implILS5_0ELb0ES3_jN6thrust23THRUST_200600_302600_NS6detail15normal_iteratorINSA_10device_ptrIxEEEEPS6_SG_NS0_5tupleIJNSA_16discard_iteratorINSA_11use_defaultEEESF_EEENSH_IJSG_SG_EEES6_PlJ7is_evenIxEEEE10hipError_tPvRmT3_T4_T5_T6_T7_T9_mT8_P12ihipStream_tbDpT10_ENKUlT_T0_E_clISt17integral_constantIbLb0EES19_EEDaS14_S15_EUlS14_E_NS1_11comp_targetILNS1_3genE10ELNS1_11target_archE1200ELNS1_3gpuE4ELNS1_3repE0EEENS1_30default_config_static_selectorELNS0_4arch9wavefront6targetE1EEEvT1_,"axG",@progbits,_ZN7rocprim17ROCPRIM_400000_NS6detail17trampoline_kernelINS0_14default_configENS1_25partition_config_selectorILNS1_17partition_subalgoE0ExNS0_10empty_typeEbEEZZNS1_14partition_implILS5_0ELb0ES3_jN6thrust23THRUST_200600_302600_NS6detail15normal_iteratorINSA_10device_ptrIxEEEEPS6_SG_NS0_5tupleIJNSA_16discard_iteratorINSA_11use_defaultEEESF_EEENSH_IJSG_SG_EEES6_PlJ7is_evenIxEEEE10hipError_tPvRmT3_T4_T5_T6_T7_T9_mT8_P12ihipStream_tbDpT10_ENKUlT_T0_E_clISt17integral_constantIbLb0EES19_EEDaS14_S15_EUlS14_E_NS1_11comp_targetILNS1_3genE10ELNS1_11target_archE1200ELNS1_3gpuE4ELNS1_3repE0EEENS1_30default_config_static_selectorELNS0_4arch9wavefront6targetE1EEEvT1_,comdat
	.protected	_ZN7rocprim17ROCPRIM_400000_NS6detail17trampoline_kernelINS0_14default_configENS1_25partition_config_selectorILNS1_17partition_subalgoE0ExNS0_10empty_typeEbEEZZNS1_14partition_implILS5_0ELb0ES3_jN6thrust23THRUST_200600_302600_NS6detail15normal_iteratorINSA_10device_ptrIxEEEEPS6_SG_NS0_5tupleIJNSA_16discard_iteratorINSA_11use_defaultEEESF_EEENSH_IJSG_SG_EEES6_PlJ7is_evenIxEEEE10hipError_tPvRmT3_T4_T5_T6_T7_T9_mT8_P12ihipStream_tbDpT10_ENKUlT_T0_E_clISt17integral_constantIbLb0EES19_EEDaS14_S15_EUlS14_E_NS1_11comp_targetILNS1_3genE10ELNS1_11target_archE1200ELNS1_3gpuE4ELNS1_3repE0EEENS1_30default_config_static_selectorELNS0_4arch9wavefront6targetE1EEEvT1_ ; -- Begin function _ZN7rocprim17ROCPRIM_400000_NS6detail17trampoline_kernelINS0_14default_configENS1_25partition_config_selectorILNS1_17partition_subalgoE0ExNS0_10empty_typeEbEEZZNS1_14partition_implILS5_0ELb0ES3_jN6thrust23THRUST_200600_302600_NS6detail15normal_iteratorINSA_10device_ptrIxEEEEPS6_SG_NS0_5tupleIJNSA_16discard_iteratorINSA_11use_defaultEEESF_EEENSH_IJSG_SG_EEES6_PlJ7is_evenIxEEEE10hipError_tPvRmT3_T4_T5_T6_T7_T9_mT8_P12ihipStream_tbDpT10_ENKUlT_T0_E_clISt17integral_constantIbLb0EES19_EEDaS14_S15_EUlS14_E_NS1_11comp_targetILNS1_3genE10ELNS1_11target_archE1200ELNS1_3gpuE4ELNS1_3repE0EEENS1_30default_config_static_selectorELNS0_4arch9wavefront6targetE1EEEvT1_
	.globl	_ZN7rocprim17ROCPRIM_400000_NS6detail17trampoline_kernelINS0_14default_configENS1_25partition_config_selectorILNS1_17partition_subalgoE0ExNS0_10empty_typeEbEEZZNS1_14partition_implILS5_0ELb0ES3_jN6thrust23THRUST_200600_302600_NS6detail15normal_iteratorINSA_10device_ptrIxEEEEPS6_SG_NS0_5tupleIJNSA_16discard_iteratorINSA_11use_defaultEEESF_EEENSH_IJSG_SG_EEES6_PlJ7is_evenIxEEEE10hipError_tPvRmT3_T4_T5_T6_T7_T9_mT8_P12ihipStream_tbDpT10_ENKUlT_T0_E_clISt17integral_constantIbLb0EES19_EEDaS14_S15_EUlS14_E_NS1_11comp_targetILNS1_3genE10ELNS1_11target_archE1200ELNS1_3gpuE4ELNS1_3repE0EEENS1_30default_config_static_selectorELNS0_4arch9wavefront6targetE1EEEvT1_
	.p2align	8
	.type	_ZN7rocprim17ROCPRIM_400000_NS6detail17trampoline_kernelINS0_14default_configENS1_25partition_config_selectorILNS1_17partition_subalgoE0ExNS0_10empty_typeEbEEZZNS1_14partition_implILS5_0ELb0ES3_jN6thrust23THRUST_200600_302600_NS6detail15normal_iteratorINSA_10device_ptrIxEEEEPS6_SG_NS0_5tupleIJNSA_16discard_iteratorINSA_11use_defaultEEESF_EEENSH_IJSG_SG_EEES6_PlJ7is_evenIxEEEE10hipError_tPvRmT3_T4_T5_T6_T7_T9_mT8_P12ihipStream_tbDpT10_ENKUlT_T0_E_clISt17integral_constantIbLb0EES19_EEDaS14_S15_EUlS14_E_NS1_11comp_targetILNS1_3genE10ELNS1_11target_archE1200ELNS1_3gpuE4ELNS1_3repE0EEENS1_30default_config_static_selectorELNS0_4arch9wavefront6targetE1EEEvT1_,@function
_ZN7rocprim17ROCPRIM_400000_NS6detail17trampoline_kernelINS0_14default_configENS1_25partition_config_selectorILNS1_17partition_subalgoE0ExNS0_10empty_typeEbEEZZNS1_14partition_implILS5_0ELb0ES3_jN6thrust23THRUST_200600_302600_NS6detail15normal_iteratorINSA_10device_ptrIxEEEEPS6_SG_NS0_5tupleIJNSA_16discard_iteratorINSA_11use_defaultEEESF_EEENSH_IJSG_SG_EEES6_PlJ7is_evenIxEEEE10hipError_tPvRmT3_T4_T5_T6_T7_T9_mT8_P12ihipStream_tbDpT10_ENKUlT_T0_E_clISt17integral_constantIbLb0EES19_EEDaS14_S15_EUlS14_E_NS1_11comp_targetILNS1_3genE10ELNS1_11target_archE1200ELNS1_3gpuE4ELNS1_3repE0EEENS1_30default_config_static_selectorELNS0_4arch9wavefront6targetE1EEEvT1_: ; @_ZN7rocprim17ROCPRIM_400000_NS6detail17trampoline_kernelINS0_14default_configENS1_25partition_config_selectorILNS1_17partition_subalgoE0ExNS0_10empty_typeEbEEZZNS1_14partition_implILS5_0ELb0ES3_jN6thrust23THRUST_200600_302600_NS6detail15normal_iteratorINSA_10device_ptrIxEEEEPS6_SG_NS0_5tupleIJNSA_16discard_iteratorINSA_11use_defaultEEESF_EEENSH_IJSG_SG_EEES6_PlJ7is_evenIxEEEE10hipError_tPvRmT3_T4_T5_T6_T7_T9_mT8_P12ihipStream_tbDpT10_ENKUlT_T0_E_clISt17integral_constantIbLb0EES19_EEDaS14_S15_EUlS14_E_NS1_11comp_targetILNS1_3genE10ELNS1_11target_archE1200ELNS1_3gpuE4ELNS1_3repE0EEENS1_30default_config_static_selectorELNS0_4arch9wavefront6targetE1EEEvT1_
; %bb.0:
	.section	.rodata,"a",@progbits
	.p2align	6, 0x0
	.amdhsa_kernel _ZN7rocprim17ROCPRIM_400000_NS6detail17trampoline_kernelINS0_14default_configENS1_25partition_config_selectorILNS1_17partition_subalgoE0ExNS0_10empty_typeEbEEZZNS1_14partition_implILS5_0ELb0ES3_jN6thrust23THRUST_200600_302600_NS6detail15normal_iteratorINSA_10device_ptrIxEEEEPS6_SG_NS0_5tupleIJNSA_16discard_iteratorINSA_11use_defaultEEESF_EEENSH_IJSG_SG_EEES6_PlJ7is_evenIxEEEE10hipError_tPvRmT3_T4_T5_T6_T7_T9_mT8_P12ihipStream_tbDpT10_ENKUlT_T0_E_clISt17integral_constantIbLb0EES19_EEDaS14_S15_EUlS14_E_NS1_11comp_targetILNS1_3genE10ELNS1_11target_archE1200ELNS1_3gpuE4ELNS1_3repE0EEENS1_30default_config_static_selectorELNS0_4arch9wavefront6targetE1EEEvT1_
		.amdhsa_group_segment_fixed_size 0
		.amdhsa_private_segment_fixed_size 0
		.amdhsa_kernarg_size 128
		.amdhsa_user_sgpr_count 6
		.amdhsa_user_sgpr_private_segment_buffer 1
		.amdhsa_user_sgpr_dispatch_ptr 0
		.amdhsa_user_sgpr_queue_ptr 0
		.amdhsa_user_sgpr_kernarg_segment_ptr 1
		.amdhsa_user_sgpr_dispatch_id 0
		.amdhsa_user_sgpr_flat_scratch_init 0
		.amdhsa_user_sgpr_kernarg_preload_length 0
		.amdhsa_user_sgpr_kernarg_preload_offset 0
		.amdhsa_user_sgpr_private_segment_size 0
		.amdhsa_uses_dynamic_stack 0
		.amdhsa_system_sgpr_private_segment_wavefront_offset 0
		.amdhsa_system_sgpr_workgroup_id_x 1
		.amdhsa_system_sgpr_workgroup_id_y 0
		.amdhsa_system_sgpr_workgroup_id_z 0
		.amdhsa_system_sgpr_workgroup_info 0
		.amdhsa_system_vgpr_workitem_id 0
		.amdhsa_next_free_vgpr 1
		.amdhsa_next_free_sgpr 0
		.amdhsa_accum_offset 4
		.amdhsa_reserve_vcc 0
		.amdhsa_reserve_flat_scratch 0
		.amdhsa_float_round_mode_32 0
		.amdhsa_float_round_mode_16_64 0
		.amdhsa_float_denorm_mode_32 3
		.amdhsa_float_denorm_mode_16_64 3
		.amdhsa_dx10_clamp 1
		.amdhsa_ieee_mode 1
		.amdhsa_fp16_overflow 0
		.amdhsa_tg_split 0
		.amdhsa_exception_fp_ieee_invalid_op 0
		.amdhsa_exception_fp_denorm_src 0
		.amdhsa_exception_fp_ieee_div_zero 0
		.amdhsa_exception_fp_ieee_overflow 0
		.amdhsa_exception_fp_ieee_underflow 0
		.amdhsa_exception_fp_ieee_inexact 0
		.amdhsa_exception_int_div_zero 0
	.end_amdhsa_kernel
	.section	.text._ZN7rocprim17ROCPRIM_400000_NS6detail17trampoline_kernelINS0_14default_configENS1_25partition_config_selectorILNS1_17partition_subalgoE0ExNS0_10empty_typeEbEEZZNS1_14partition_implILS5_0ELb0ES3_jN6thrust23THRUST_200600_302600_NS6detail15normal_iteratorINSA_10device_ptrIxEEEEPS6_SG_NS0_5tupleIJNSA_16discard_iteratorINSA_11use_defaultEEESF_EEENSH_IJSG_SG_EEES6_PlJ7is_evenIxEEEE10hipError_tPvRmT3_T4_T5_T6_T7_T9_mT8_P12ihipStream_tbDpT10_ENKUlT_T0_E_clISt17integral_constantIbLb0EES19_EEDaS14_S15_EUlS14_E_NS1_11comp_targetILNS1_3genE10ELNS1_11target_archE1200ELNS1_3gpuE4ELNS1_3repE0EEENS1_30default_config_static_selectorELNS0_4arch9wavefront6targetE1EEEvT1_,"axG",@progbits,_ZN7rocprim17ROCPRIM_400000_NS6detail17trampoline_kernelINS0_14default_configENS1_25partition_config_selectorILNS1_17partition_subalgoE0ExNS0_10empty_typeEbEEZZNS1_14partition_implILS5_0ELb0ES3_jN6thrust23THRUST_200600_302600_NS6detail15normal_iteratorINSA_10device_ptrIxEEEEPS6_SG_NS0_5tupleIJNSA_16discard_iteratorINSA_11use_defaultEEESF_EEENSH_IJSG_SG_EEES6_PlJ7is_evenIxEEEE10hipError_tPvRmT3_T4_T5_T6_T7_T9_mT8_P12ihipStream_tbDpT10_ENKUlT_T0_E_clISt17integral_constantIbLb0EES19_EEDaS14_S15_EUlS14_E_NS1_11comp_targetILNS1_3genE10ELNS1_11target_archE1200ELNS1_3gpuE4ELNS1_3repE0EEENS1_30default_config_static_selectorELNS0_4arch9wavefront6targetE1EEEvT1_,comdat
.Lfunc_end2656:
	.size	_ZN7rocprim17ROCPRIM_400000_NS6detail17trampoline_kernelINS0_14default_configENS1_25partition_config_selectorILNS1_17partition_subalgoE0ExNS0_10empty_typeEbEEZZNS1_14partition_implILS5_0ELb0ES3_jN6thrust23THRUST_200600_302600_NS6detail15normal_iteratorINSA_10device_ptrIxEEEEPS6_SG_NS0_5tupleIJNSA_16discard_iteratorINSA_11use_defaultEEESF_EEENSH_IJSG_SG_EEES6_PlJ7is_evenIxEEEE10hipError_tPvRmT3_T4_T5_T6_T7_T9_mT8_P12ihipStream_tbDpT10_ENKUlT_T0_E_clISt17integral_constantIbLb0EES19_EEDaS14_S15_EUlS14_E_NS1_11comp_targetILNS1_3genE10ELNS1_11target_archE1200ELNS1_3gpuE4ELNS1_3repE0EEENS1_30default_config_static_selectorELNS0_4arch9wavefront6targetE1EEEvT1_, .Lfunc_end2656-_ZN7rocprim17ROCPRIM_400000_NS6detail17trampoline_kernelINS0_14default_configENS1_25partition_config_selectorILNS1_17partition_subalgoE0ExNS0_10empty_typeEbEEZZNS1_14partition_implILS5_0ELb0ES3_jN6thrust23THRUST_200600_302600_NS6detail15normal_iteratorINSA_10device_ptrIxEEEEPS6_SG_NS0_5tupleIJNSA_16discard_iteratorINSA_11use_defaultEEESF_EEENSH_IJSG_SG_EEES6_PlJ7is_evenIxEEEE10hipError_tPvRmT3_T4_T5_T6_T7_T9_mT8_P12ihipStream_tbDpT10_ENKUlT_T0_E_clISt17integral_constantIbLb0EES19_EEDaS14_S15_EUlS14_E_NS1_11comp_targetILNS1_3genE10ELNS1_11target_archE1200ELNS1_3gpuE4ELNS1_3repE0EEENS1_30default_config_static_selectorELNS0_4arch9wavefront6targetE1EEEvT1_
                                        ; -- End function
	.section	.AMDGPU.csdata,"",@progbits
; Kernel info:
; codeLenInByte = 0
; NumSgprs: 4
; NumVgprs: 0
; NumAgprs: 0
; TotalNumVgprs: 0
; ScratchSize: 0
; MemoryBound: 0
; FloatMode: 240
; IeeeMode: 1
; LDSByteSize: 0 bytes/workgroup (compile time only)
; SGPRBlocks: 0
; VGPRBlocks: 0
; NumSGPRsForWavesPerEU: 4
; NumVGPRsForWavesPerEU: 1
; AccumOffset: 4
; Occupancy: 8
; WaveLimiterHint : 0
; COMPUTE_PGM_RSRC2:SCRATCH_EN: 0
; COMPUTE_PGM_RSRC2:USER_SGPR: 6
; COMPUTE_PGM_RSRC2:TRAP_HANDLER: 0
; COMPUTE_PGM_RSRC2:TGID_X_EN: 1
; COMPUTE_PGM_RSRC2:TGID_Y_EN: 0
; COMPUTE_PGM_RSRC2:TGID_Z_EN: 0
; COMPUTE_PGM_RSRC2:TIDIG_COMP_CNT: 0
; COMPUTE_PGM_RSRC3_GFX90A:ACCUM_OFFSET: 0
; COMPUTE_PGM_RSRC3_GFX90A:TG_SPLIT: 0
	.section	.text._ZN7rocprim17ROCPRIM_400000_NS6detail17trampoline_kernelINS0_14default_configENS1_25partition_config_selectorILNS1_17partition_subalgoE0ExNS0_10empty_typeEbEEZZNS1_14partition_implILS5_0ELb0ES3_jN6thrust23THRUST_200600_302600_NS6detail15normal_iteratorINSA_10device_ptrIxEEEEPS6_SG_NS0_5tupleIJNSA_16discard_iteratorINSA_11use_defaultEEESF_EEENSH_IJSG_SG_EEES6_PlJ7is_evenIxEEEE10hipError_tPvRmT3_T4_T5_T6_T7_T9_mT8_P12ihipStream_tbDpT10_ENKUlT_T0_E_clISt17integral_constantIbLb0EES19_EEDaS14_S15_EUlS14_E_NS1_11comp_targetILNS1_3genE9ELNS1_11target_archE1100ELNS1_3gpuE3ELNS1_3repE0EEENS1_30default_config_static_selectorELNS0_4arch9wavefront6targetE1EEEvT1_,"axG",@progbits,_ZN7rocprim17ROCPRIM_400000_NS6detail17trampoline_kernelINS0_14default_configENS1_25partition_config_selectorILNS1_17partition_subalgoE0ExNS0_10empty_typeEbEEZZNS1_14partition_implILS5_0ELb0ES3_jN6thrust23THRUST_200600_302600_NS6detail15normal_iteratorINSA_10device_ptrIxEEEEPS6_SG_NS0_5tupleIJNSA_16discard_iteratorINSA_11use_defaultEEESF_EEENSH_IJSG_SG_EEES6_PlJ7is_evenIxEEEE10hipError_tPvRmT3_T4_T5_T6_T7_T9_mT8_P12ihipStream_tbDpT10_ENKUlT_T0_E_clISt17integral_constantIbLb0EES19_EEDaS14_S15_EUlS14_E_NS1_11comp_targetILNS1_3genE9ELNS1_11target_archE1100ELNS1_3gpuE3ELNS1_3repE0EEENS1_30default_config_static_selectorELNS0_4arch9wavefront6targetE1EEEvT1_,comdat
	.protected	_ZN7rocprim17ROCPRIM_400000_NS6detail17trampoline_kernelINS0_14default_configENS1_25partition_config_selectorILNS1_17partition_subalgoE0ExNS0_10empty_typeEbEEZZNS1_14partition_implILS5_0ELb0ES3_jN6thrust23THRUST_200600_302600_NS6detail15normal_iteratorINSA_10device_ptrIxEEEEPS6_SG_NS0_5tupleIJNSA_16discard_iteratorINSA_11use_defaultEEESF_EEENSH_IJSG_SG_EEES6_PlJ7is_evenIxEEEE10hipError_tPvRmT3_T4_T5_T6_T7_T9_mT8_P12ihipStream_tbDpT10_ENKUlT_T0_E_clISt17integral_constantIbLb0EES19_EEDaS14_S15_EUlS14_E_NS1_11comp_targetILNS1_3genE9ELNS1_11target_archE1100ELNS1_3gpuE3ELNS1_3repE0EEENS1_30default_config_static_selectorELNS0_4arch9wavefront6targetE1EEEvT1_ ; -- Begin function _ZN7rocprim17ROCPRIM_400000_NS6detail17trampoline_kernelINS0_14default_configENS1_25partition_config_selectorILNS1_17partition_subalgoE0ExNS0_10empty_typeEbEEZZNS1_14partition_implILS5_0ELb0ES3_jN6thrust23THRUST_200600_302600_NS6detail15normal_iteratorINSA_10device_ptrIxEEEEPS6_SG_NS0_5tupleIJNSA_16discard_iteratorINSA_11use_defaultEEESF_EEENSH_IJSG_SG_EEES6_PlJ7is_evenIxEEEE10hipError_tPvRmT3_T4_T5_T6_T7_T9_mT8_P12ihipStream_tbDpT10_ENKUlT_T0_E_clISt17integral_constantIbLb0EES19_EEDaS14_S15_EUlS14_E_NS1_11comp_targetILNS1_3genE9ELNS1_11target_archE1100ELNS1_3gpuE3ELNS1_3repE0EEENS1_30default_config_static_selectorELNS0_4arch9wavefront6targetE1EEEvT1_
	.globl	_ZN7rocprim17ROCPRIM_400000_NS6detail17trampoline_kernelINS0_14default_configENS1_25partition_config_selectorILNS1_17partition_subalgoE0ExNS0_10empty_typeEbEEZZNS1_14partition_implILS5_0ELb0ES3_jN6thrust23THRUST_200600_302600_NS6detail15normal_iteratorINSA_10device_ptrIxEEEEPS6_SG_NS0_5tupleIJNSA_16discard_iteratorINSA_11use_defaultEEESF_EEENSH_IJSG_SG_EEES6_PlJ7is_evenIxEEEE10hipError_tPvRmT3_T4_T5_T6_T7_T9_mT8_P12ihipStream_tbDpT10_ENKUlT_T0_E_clISt17integral_constantIbLb0EES19_EEDaS14_S15_EUlS14_E_NS1_11comp_targetILNS1_3genE9ELNS1_11target_archE1100ELNS1_3gpuE3ELNS1_3repE0EEENS1_30default_config_static_selectorELNS0_4arch9wavefront6targetE1EEEvT1_
	.p2align	8
	.type	_ZN7rocprim17ROCPRIM_400000_NS6detail17trampoline_kernelINS0_14default_configENS1_25partition_config_selectorILNS1_17partition_subalgoE0ExNS0_10empty_typeEbEEZZNS1_14partition_implILS5_0ELb0ES3_jN6thrust23THRUST_200600_302600_NS6detail15normal_iteratorINSA_10device_ptrIxEEEEPS6_SG_NS0_5tupleIJNSA_16discard_iteratorINSA_11use_defaultEEESF_EEENSH_IJSG_SG_EEES6_PlJ7is_evenIxEEEE10hipError_tPvRmT3_T4_T5_T6_T7_T9_mT8_P12ihipStream_tbDpT10_ENKUlT_T0_E_clISt17integral_constantIbLb0EES19_EEDaS14_S15_EUlS14_E_NS1_11comp_targetILNS1_3genE9ELNS1_11target_archE1100ELNS1_3gpuE3ELNS1_3repE0EEENS1_30default_config_static_selectorELNS0_4arch9wavefront6targetE1EEEvT1_,@function
_ZN7rocprim17ROCPRIM_400000_NS6detail17trampoline_kernelINS0_14default_configENS1_25partition_config_selectorILNS1_17partition_subalgoE0ExNS0_10empty_typeEbEEZZNS1_14partition_implILS5_0ELb0ES3_jN6thrust23THRUST_200600_302600_NS6detail15normal_iteratorINSA_10device_ptrIxEEEEPS6_SG_NS0_5tupleIJNSA_16discard_iteratorINSA_11use_defaultEEESF_EEENSH_IJSG_SG_EEES6_PlJ7is_evenIxEEEE10hipError_tPvRmT3_T4_T5_T6_T7_T9_mT8_P12ihipStream_tbDpT10_ENKUlT_T0_E_clISt17integral_constantIbLb0EES19_EEDaS14_S15_EUlS14_E_NS1_11comp_targetILNS1_3genE9ELNS1_11target_archE1100ELNS1_3gpuE3ELNS1_3repE0EEENS1_30default_config_static_selectorELNS0_4arch9wavefront6targetE1EEEvT1_: ; @_ZN7rocprim17ROCPRIM_400000_NS6detail17trampoline_kernelINS0_14default_configENS1_25partition_config_selectorILNS1_17partition_subalgoE0ExNS0_10empty_typeEbEEZZNS1_14partition_implILS5_0ELb0ES3_jN6thrust23THRUST_200600_302600_NS6detail15normal_iteratorINSA_10device_ptrIxEEEEPS6_SG_NS0_5tupleIJNSA_16discard_iteratorINSA_11use_defaultEEESF_EEENSH_IJSG_SG_EEES6_PlJ7is_evenIxEEEE10hipError_tPvRmT3_T4_T5_T6_T7_T9_mT8_P12ihipStream_tbDpT10_ENKUlT_T0_E_clISt17integral_constantIbLb0EES19_EEDaS14_S15_EUlS14_E_NS1_11comp_targetILNS1_3genE9ELNS1_11target_archE1100ELNS1_3gpuE3ELNS1_3repE0EEENS1_30default_config_static_selectorELNS0_4arch9wavefront6targetE1EEEvT1_
; %bb.0:
	.section	.rodata,"a",@progbits
	.p2align	6, 0x0
	.amdhsa_kernel _ZN7rocprim17ROCPRIM_400000_NS6detail17trampoline_kernelINS0_14default_configENS1_25partition_config_selectorILNS1_17partition_subalgoE0ExNS0_10empty_typeEbEEZZNS1_14partition_implILS5_0ELb0ES3_jN6thrust23THRUST_200600_302600_NS6detail15normal_iteratorINSA_10device_ptrIxEEEEPS6_SG_NS0_5tupleIJNSA_16discard_iteratorINSA_11use_defaultEEESF_EEENSH_IJSG_SG_EEES6_PlJ7is_evenIxEEEE10hipError_tPvRmT3_T4_T5_T6_T7_T9_mT8_P12ihipStream_tbDpT10_ENKUlT_T0_E_clISt17integral_constantIbLb0EES19_EEDaS14_S15_EUlS14_E_NS1_11comp_targetILNS1_3genE9ELNS1_11target_archE1100ELNS1_3gpuE3ELNS1_3repE0EEENS1_30default_config_static_selectorELNS0_4arch9wavefront6targetE1EEEvT1_
		.amdhsa_group_segment_fixed_size 0
		.amdhsa_private_segment_fixed_size 0
		.amdhsa_kernarg_size 128
		.amdhsa_user_sgpr_count 6
		.amdhsa_user_sgpr_private_segment_buffer 1
		.amdhsa_user_sgpr_dispatch_ptr 0
		.amdhsa_user_sgpr_queue_ptr 0
		.amdhsa_user_sgpr_kernarg_segment_ptr 1
		.amdhsa_user_sgpr_dispatch_id 0
		.amdhsa_user_sgpr_flat_scratch_init 0
		.amdhsa_user_sgpr_kernarg_preload_length 0
		.amdhsa_user_sgpr_kernarg_preload_offset 0
		.amdhsa_user_sgpr_private_segment_size 0
		.amdhsa_uses_dynamic_stack 0
		.amdhsa_system_sgpr_private_segment_wavefront_offset 0
		.amdhsa_system_sgpr_workgroup_id_x 1
		.amdhsa_system_sgpr_workgroup_id_y 0
		.amdhsa_system_sgpr_workgroup_id_z 0
		.amdhsa_system_sgpr_workgroup_info 0
		.amdhsa_system_vgpr_workitem_id 0
		.amdhsa_next_free_vgpr 1
		.amdhsa_next_free_sgpr 0
		.amdhsa_accum_offset 4
		.amdhsa_reserve_vcc 0
		.amdhsa_reserve_flat_scratch 0
		.amdhsa_float_round_mode_32 0
		.amdhsa_float_round_mode_16_64 0
		.amdhsa_float_denorm_mode_32 3
		.amdhsa_float_denorm_mode_16_64 3
		.amdhsa_dx10_clamp 1
		.amdhsa_ieee_mode 1
		.amdhsa_fp16_overflow 0
		.amdhsa_tg_split 0
		.amdhsa_exception_fp_ieee_invalid_op 0
		.amdhsa_exception_fp_denorm_src 0
		.amdhsa_exception_fp_ieee_div_zero 0
		.amdhsa_exception_fp_ieee_overflow 0
		.amdhsa_exception_fp_ieee_underflow 0
		.amdhsa_exception_fp_ieee_inexact 0
		.amdhsa_exception_int_div_zero 0
	.end_amdhsa_kernel
	.section	.text._ZN7rocprim17ROCPRIM_400000_NS6detail17trampoline_kernelINS0_14default_configENS1_25partition_config_selectorILNS1_17partition_subalgoE0ExNS0_10empty_typeEbEEZZNS1_14partition_implILS5_0ELb0ES3_jN6thrust23THRUST_200600_302600_NS6detail15normal_iteratorINSA_10device_ptrIxEEEEPS6_SG_NS0_5tupleIJNSA_16discard_iteratorINSA_11use_defaultEEESF_EEENSH_IJSG_SG_EEES6_PlJ7is_evenIxEEEE10hipError_tPvRmT3_T4_T5_T6_T7_T9_mT8_P12ihipStream_tbDpT10_ENKUlT_T0_E_clISt17integral_constantIbLb0EES19_EEDaS14_S15_EUlS14_E_NS1_11comp_targetILNS1_3genE9ELNS1_11target_archE1100ELNS1_3gpuE3ELNS1_3repE0EEENS1_30default_config_static_selectorELNS0_4arch9wavefront6targetE1EEEvT1_,"axG",@progbits,_ZN7rocprim17ROCPRIM_400000_NS6detail17trampoline_kernelINS0_14default_configENS1_25partition_config_selectorILNS1_17partition_subalgoE0ExNS0_10empty_typeEbEEZZNS1_14partition_implILS5_0ELb0ES3_jN6thrust23THRUST_200600_302600_NS6detail15normal_iteratorINSA_10device_ptrIxEEEEPS6_SG_NS0_5tupleIJNSA_16discard_iteratorINSA_11use_defaultEEESF_EEENSH_IJSG_SG_EEES6_PlJ7is_evenIxEEEE10hipError_tPvRmT3_T4_T5_T6_T7_T9_mT8_P12ihipStream_tbDpT10_ENKUlT_T0_E_clISt17integral_constantIbLb0EES19_EEDaS14_S15_EUlS14_E_NS1_11comp_targetILNS1_3genE9ELNS1_11target_archE1100ELNS1_3gpuE3ELNS1_3repE0EEENS1_30default_config_static_selectorELNS0_4arch9wavefront6targetE1EEEvT1_,comdat
.Lfunc_end2657:
	.size	_ZN7rocprim17ROCPRIM_400000_NS6detail17trampoline_kernelINS0_14default_configENS1_25partition_config_selectorILNS1_17partition_subalgoE0ExNS0_10empty_typeEbEEZZNS1_14partition_implILS5_0ELb0ES3_jN6thrust23THRUST_200600_302600_NS6detail15normal_iteratorINSA_10device_ptrIxEEEEPS6_SG_NS0_5tupleIJNSA_16discard_iteratorINSA_11use_defaultEEESF_EEENSH_IJSG_SG_EEES6_PlJ7is_evenIxEEEE10hipError_tPvRmT3_T4_T5_T6_T7_T9_mT8_P12ihipStream_tbDpT10_ENKUlT_T0_E_clISt17integral_constantIbLb0EES19_EEDaS14_S15_EUlS14_E_NS1_11comp_targetILNS1_3genE9ELNS1_11target_archE1100ELNS1_3gpuE3ELNS1_3repE0EEENS1_30default_config_static_selectorELNS0_4arch9wavefront6targetE1EEEvT1_, .Lfunc_end2657-_ZN7rocprim17ROCPRIM_400000_NS6detail17trampoline_kernelINS0_14default_configENS1_25partition_config_selectorILNS1_17partition_subalgoE0ExNS0_10empty_typeEbEEZZNS1_14partition_implILS5_0ELb0ES3_jN6thrust23THRUST_200600_302600_NS6detail15normal_iteratorINSA_10device_ptrIxEEEEPS6_SG_NS0_5tupleIJNSA_16discard_iteratorINSA_11use_defaultEEESF_EEENSH_IJSG_SG_EEES6_PlJ7is_evenIxEEEE10hipError_tPvRmT3_T4_T5_T6_T7_T9_mT8_P12ihipStream_tbDpT10_ENKUlT_T0_E_clISt17integral_constantIbLb0EES19_EEDaS14_S15_EUlS14_E_NS1_11comp_targetILNS1_3genE9ELNS1_11target_archE1100ELNS1_3gpuE3ELNS1_3repE0EEENS1_30default_config_static_selectorELNS0_4arch9wavefront6targetE1EEEvT1_
                                        ; -- End function
	.section	.AMDGPU.csdata,"",@progbits
; Kernel info:
; codeLenInByte = 0
; NumSgprs: 4
; NumVgprs: 0
; NumAgprs: 0
; TotalNumVgprs: 0
; ScratchSize: 0
; MemoryBound: 0
; FloatMode: 240
; IeeeMode: 1
; LDSByteSize: 0 bytes/workgroup (compile time only)
; SGPRBlocks: 0
; VGPRBlocks: 0
; NumSGPRsForWavesPerEU: 4
; NumVGPRsForWavesPerEU: 1
; AccumOffset: 4
; Occupancy: 8
; WaveLimiterHint : 0
; COMPUTE_PGM_RSRC2:SCRATCH_EN: 0
; COMPUTE_PGM_RSRC2:USER_SGPR: 6
; COMPUTE_PGM_RSRC2:TRAP_HANDLER: 0
; COMPUTE_PGM_RSRC2:TGID_X_EN: 1
; COMPUTE_PGM_RSRC2:TGID_Y_EN: 0
; COMPUTE_PGM_RSRC2:TGID_Z_EN: 0
; COMPUTE_PGM_RSRC2:TIDIG_COMP_CNT: 0
; COMPUTE_PGM_RSRC3_GFX90A:ACCUM_OFFSET: 0
; COMPUTE_PGM_RSRC3_GFX90A:TG_SPLIT: 0
	.section	.text._ZN7rocprim17ROCPRIM_400000_NS6detail17trampoline_kernelINS0_14default_configENS1_25partition_config_selectorILNS1_17partition_subalgoE0ExNS0_10empty_typeEbEEZZNS1_14partition_implILS5_0ELb0ES3_jN6thrust23THRUST_200600_302600_NS6detail15normal_iteratorINSA_10device_ptrIxEEEEPS6_SG_NS0_5tupleIJNSA_16discard_iteratorINSA_11use_defaultEEESF_EEENSH_IJSG_SG_EEES6_PlJ7is_evenIxEEEE10hipError_tPvRmT3_T4_T5_T6_T7_T9_mT8_P12ihipStream_tbDpT10_ENKUlT_T0_E_clISt17integral_constantIbLb0EES19_EEDaS14_S15_EUlS14_E_NS1_11comp_targetILNS1_3genE8ELNS1_11target_archE1030ELNS1_3gpuE2ELNS1_3repE0EEENS1_30default_config_static_selectorELNS0_4arch9wavefront6targetE1EEEvT1_,"axG",@progbits,_ZN7rocprim17ROCPRIM_400000_NS6detail17trampoline_kernelINS0_14default_configENS1_25partition_config_selectorILNS1_17partition_subalgoE0ExNS0_10empty_typeEbEEZZNS1_14partition_implILS5_0ELb0ES3_jN6thrust23THRUST_200600_302600_NS6detail15normal_iteratorINSA_10device_ptrIxEEEEPS6_SG_NS0_5tupleIJNSA_16discard_iteratorINSA_11use_defaultEEESF_EEENSH_IJSG_SG_EEES6_PlJ7is_evenIxEEEE10hipError_tPvRmT3_T4_T5_T6_T7_T9_mT8_P12ihipStream_tbDpT10_ENKUlT_T0_E_clISt17integral_constantIbLb0EES19_EEDaS14_S15_EUlS14_E_NS1_11comp_targetILNS1_3genE8ELNS1_11target_archE1030ELNS1_3gpuE2ELNS1_3repE0EEENS1_30default_config_static_selectorELNS0_4arch9wavefront6targetE1EEEvT1_,comdat
	.protected	_ZN7rocprim17ROCPRIM_400000_NS6detail17trampoline_kernelINS0_14default_configENS1_25partition_config_selectorILNS1_17partition_subalgoE0ExNS0_10empty_typeEbEEZZNS1_14partition_implILS5_0ELb0ES3_jN6thrust23THRUST_200600_302600_NS6detail15normal_iteratorINSA_10device_ptrIxEEEEPS6_SG_NS0_5tupleIJNSA_16discard_iteratorINSA_11use_defaultEEESF_EEENSH_IJSG_SG_EEES6_PlJ7is_evenIxEEEE10hipError_tPvRmT3_T4_T5_T6_T7_T9_mT8_P12ihipStream_tbDpT10_ENKUlT_T0_E_clISt17integral_constantIbLb0EES19_EEDaS14_S15_EUlS14_E_NS1_11comp_targetILNS1_3genE8ELNS1_11target_archE1030ELNS1_3gpuE2ELNS1_3repE0EEENS1_30default_config_static_selectorELNS0_4arch9wavefront6targetE1EEEvT1_ ; -- Begin function _ZN7rocprim17ROCPRIM_400000_NS6detail17trampoline_kernelINS0_14default_configENS1_25partition_config_selectorILNS1_17partition_subalgoE0ExNS0_10empty_typeEbEEZZNS1_14partition_implILS5_0ELb0ES3_jN6thrust23THRUST_200600_302600_NS6detail15normal_iteratorINSA_10device_ptrIxEEEEPS6_SG_NS0_5tupleIJNSA_16discard_iteratorINSA_11use_defaultEEESF_EEENSH_IJSG_SG_EEES6_PlJ7is_evenIxEEEE10hipError_tPvRmT3_T4_T5_T6_T7_T9_mT8_P12ihipStream_tbDpT10_ENKUlT_T0_E_clISt17integral_constantIbLb0EES19_EEDaS14_S15_EUlS14_E_NS1_11comp_targetILNS1_3genE8ELNS1_11target_archE1030ELNS1_3gpuE2ELNS1_3repE0EEENS1_30default_config_static_selectorELNS0_4arch9wavefront6targetE1EEEvT1_
	.globl	_ZN7rocprim17ROCPRIM_400000_NS6detail17trampoline_kernelINS0_14default_configENS1_25partition_config_selectorILNS1_17partition_subalgoE0ExNS0_10empty_typeEbEEZZNS1_14partition_implILS5_0ELb0ES3_jN6thrust23THRUST_200600_302600_NS6detail15normal_iteratorINSA_10device_ptrIxEEEEPS6_SG_NS0_5tupleIJNSA_16discard_iteratorINSA_11use_defaultEEESF_EEENSH_IJSG_SG_EEES6_PlJ7is_evenIxEEEE10hipError_tPvRmT3_T4_T5_T6_T7_T9_mT8_P12ihipStream_tbDpT10_ENKUlT_T0_E_clISt17integral_constantIbLb0EES19_EEDaS14_S15_EUlS14_E_NS1_11comp_targetILNS1_3genE8ELNS1_11target_archE1030ELNS1_3gpuE2ELNS1_3repE0EEENS1_30default_config_static_selectorELNS0_4arch9wavefront6targetE1EEEvT1_
	.p2align	8
	.type	_ZN7rocprim17ROCPRIM_400000_NS6detail17trampoline_kernelINS0_14default_configENS1_25partition_config_selectorILNS1_17partition_subalgoE0ExNS0_10empty_typeEbEEZZNS1_14partition_implILS5_0ELb0ES3_jN6thrust23THRUST_200600_302600_NS6detail15normal_iteratorINSA_10device_ptrIxEEEEPS6_SG_NS0_5tupleIJNSA_16discard_iteratorINSA_11use_defaultEEESF_EEENSH_IJSG_SG_EEES6_PlJ7is_evenIxEEEE10hipError_tPvRmT3_T4_T5_T6_T7_T9_mT8_P12ihipStream_tbDpT10_ENKUlT_T0_E_clISt17integral_constantIbLb0EES19_EEDaS14_S15_EUlS14_E_NS1_11comp_targetILNS1_3genE8ELNS1_11target_archE1030ELNS1_3gpuE2ELNS1_3repE0EEENS1_30default_config_static_selectorELNS0_4arch9wavefront6targetE1EEEvT1_,@function
_ZN7rocprim17ROCPRIM_400000_NS6detail17trampoline_kernelINS0_14default_configENS1_25partition_config_selectorILNS1_17partition_subalgoE0ExNS0_10empty_typeEbEEZZNS1_14partition_implILS5_0ELb0ES3_jN6thrust23THRUST_200600_302600_NS6detail15normal_iteratorINSA_10device_ptrIxEEEEPS6_SG_NS0_5tupleIJNSA_16discard_iteratorINSA_11use_defaultEEESF_EEENSH_IJSG_SG_EEES6_PlJ7is_evenIxEEEE10hipError_tPvRmT3_T4_T5_T6_T7_T9_mT8_P12ihipStream_tbDpT10_ENKUlT_T0_E_clISt17integral_constantIbLb0EES19_EEDaS14_S15_EUlS14_E_NS1_11comp_targetILNS1_3genE8ELNS1_11target_archE1030ELNS1_3gpuE2ELNS1_3repE0EEENS1_30default_config_static_selectorELNS0_4arch9wavefront6targetE1EEEvT1_: ; @_ZN7rocprim17ROCPRIM_400000_NS6detail17trampoline_kernelINS0_14default_configENS1_25partition_config_selectorILNS1_17partition_subalgoE0ExNS0_10empty_typeEbEEZZNS1_14partition_implILS5_0ELb0ES3_jN6thrust23THRUST_200600_302600_NS6detail15normal_iteratorINSA_10device_ptrIxEEEEPS6_SG_NS0_5tupleIJNSA_16discard_iteratorINSA_11use_defaultEEESF_EEENSH_IJSG_SG_EEES6_PlJ7is_evenIxEEEE10hipError_tPvRmT3_T4_T5_T6_T7_T9_mT8_P12ihipStream_tbDpT10_ENKUlT_T0_E_clISt17integral_constantIbLb0EES19_EEDaS14_S15_EUlS14_E_NS1_11comp_targetILNS1_3genE8ELNS1_11target_archE1030ELNS1_3gpuE2ELNS1_3repE0EEENS1_30default_config_static_selectorELNS0_4arch9wavefront6targetE1EEEvT1_
; %bb.0:
	.section	.rodata,"a",@progbits
	.p2align	6, 0x0
	.amdhsa_kernel _ZN7rocprim17ROCPRIM_400000_NS6detail17trampoline_kernelINS0_14default_configENS1_25partition_config_selectorILNS1_17partition_subalgoE0ExNS0_10empty_typeEbEEZZNS1_14partition_implILS5_0ELb0ES3_jN6thrust23THRUST_200600_302600_NS6detail15normal_iteratorINSA_10device_ptrIxEEEEPS6_SG_NS0_5tupleIJNSA_16discard_iteratorINSA_11use_defaultEEESF_EEENSH_IJSG_SG_EEES6_PlJ7is_evenIxEEEE10hipError_tPvRmT3_T4_T5_T6_T7_T9_mT8_P12ihipStream_tbDpT10_ENKUlT_T0_E_clISt17integral_constantIbLb0EES19_EEDaS14_S15_EUlS14_E_NS1_11comp_targetILNS1_3genE8ELNS1_11target_archE1030ELNS1_3gpuE2ELNS1_3repE0EEENS1_30default_config_static_selectorELNS0_4arch9wavefront6targetE1EEEvT1_
		.amdhsa_group_segment_fixed_size 0
		.amdhsa_private_segment_fixed_size 0
		.amdhsa_kernarg_size 128
		.amdhsa_user_sgpr_count 6
		.amdhsa_user_sgpr_private_segment_buffer 1
		.amdhsa_user_sgpr_dispatch_ptr 0
		.amdhsa_user_sgpr_queue_ptr 0
		.amdhsa_user_sgpr_kernarg_segment_ptr 1
		.amdhsa_user_sgpr_dispatch_id 0
		.amdhsa_user_sgpr_flat_scratch_init 0
		.amdhsa_user_sgpr_kernarg_preload_length 0
		.amdhsa_user_sgpr_kernarg_preload_offset 0
		.amdhsa_user_sgpr_private_segment_size 0
		.amdhsa_uses_dynamic_stack 0
		.amdhsa_system_sgpr_private_segment_wavefront_offset 0
		.amdhsa_system_sgpr_workgroup_id_x 1
		.amdhsa_system_sgpr_workgroup_id_y 0
		.amdhsa_system_sgpr_workgroup_id_z 0
		.amdhsa_system_sgpr_workgroup_info 0
		.amdhsa_system_vgpr_workitem_id 0
		.amdhsa_next_free_vgpr 1
		.amdhsa_next_free_sgpr 0
		.amdhsa_accum_offset 4
		.amdhsa_reserve_vcc 0
		.amdhsa_reserve_flat_scratch 0
		.amdhsa_float_round_mode_32 0
		.amdhsa_float_round_mode_16_64 0
		.amdhsa_float_denorm_mode_32 3
		.amdhsa_float_denorm_mode_16_64 3
		.amdhsa_dx10_clamp 1
		.amdhsa_ieee_mode 1
		.amdhsa_fp16_overflow 0
		.amdhsa_tg_split 0
		.amdhsa_exception_fp_ieee_invalid_op 0
		.amdhsa_exception_fp_denorm_src 0
		.amdhsa_exception_fp_ieee_div_zero 0
		.amdhsa_exception_fp_ieee_overflow 0
		.amdhsa_exception_fp_ieee_underflow 0
		.amdhsa_exception_fp_ieee_inexact 0
		.amdhsa_exception_int_div_zero 0
	.end_amdhsa_kernel
	.section	.text._ZN7rocprim17ROCPRIM_400000_NS6detail17trampoline_kernelINS0_14default_configENS1_25partition_config_selectorILNS1_17partition_subalgoE0ExNS0_10empty_typeEbEEZZNS1_14partition_implILS5_0ELb0ES3_jN6thrust23THRUST_200600_302600_NS6detail15normal_iteratorINSA_10device_ptrIxEEEEPS6_SG_NS0_5tupleIJNSA_16discard_iteratorINSA_11use_defaultEEESF_EEENSH_IJSG_SG_EEES6_PlJ7is_evenIxEEEE10hipError_tPvRmT3_T4_T5_T6_T7_T9_mT8_P12ihipStream_tbDpT10_ENKUlT_T0_E_clISt17integral_constantIbLb0EES19_EEDaS14_S15_EUlS14_E_NS1_11comp_targetILNS1_3genE8ELNS1_11target_archE1030ELNS1_3gpuE2ELNS1_3repE0EEENS1_30default_config_static_selectorELNS0_4arch9wavefront6targetE1EEEvT1_,"axG",@progbits,_ZN7rocprim17ROCPRIM_400000_NS6detail17trampoline_kernelINS0_14default_configENS1_25partition_config_selectorILNS1_17partition_subalgoE0ExNS0_10empty_typeEbEEZZNS1_14partition_implILS5_0ELb0ES3_jN6thrust23THRUST_200600_302600_NS6detail15normal_iteratorINSA_10device_ptrIxEEEEPS6_SG_NS0_5tupleIJNSA_16discard_iteratorINSA_11use_defaultEEESF_EEENSH_IJSG_SG_EEES6_PlJ7is_evenIxEEEE10hipError_tPvRmT3_T4_T5_T6_T7_T9_mT8_P12ihipStream_tbDpT10_ENKUlT_T0_E_clISt17integral_constantIbLb0EES19_EEDaS14_S15_EUlS14_E_NS1_11comp_targetILNS1_3genE8ELNS1_11target_archE1030ELNS1_3gpuE2ELNS1_3repE0EEENS1_30default_config_static_selectorELNS0_4arch9wavefront6targetE1EEEvT1_,comdat
.Lfunc_end2658:
	.size	_ZN7rocprim17ROCPRIM_400000_NS6detail17trampoline_kernelINS0_14default_configENS1_25partition_config_selectorILNS1_17partition_subalgoE0ExNS0_10empty_typeEbEEZZNS1_14partition_implILS5_0ELb0ES3_jN6thrust23THRUST_200600_302600_NS6detail15normal_iteratorINSA_10device_ptrIxEEEEPS6_SG_NS0_5tupleIJNSA_16discard_iteratorINSA_11use_defaultEEESF_EEENSH_IJSG_SG_EEES6_PlJ7is_evenIxEEEE10hipError_tPvRmT3_T4_T5_T6_T7_T9_mT8_P12ihipStream_tbDpT10_ENKUlT_T0_E_clISt17integral_constantIbLb0EES19_EEDaS14_S15_EUlS14_E_NS1_11comp_targetILNS1_3genE8ELNS1_11target_archE1030ELNS1_3gpuE2ELNS1_3repE0EEENS1_30default_config_static_selectorELNS0_4arch9wavefront6targetE1EEEvT1_, .Lfunc_end2658-_ZN7rocprim17ROCPRIM_400000_NS6detail17trampoline_kernelINS0_14default_configENS1_25partition_config_selectorILNS1_17partition_subalgoE0ExNS0_10empty_typeEbEEZZNS1_14partition_implILS5_0ELb0ES3_jN6thrust23THRUST_200600_302600_NS6detail15normal_iteratorINSA_10device_ptrIxEEEEPS6_SG_NS0_5tupleIJNSA_16discard_iteratorINSA_11use_defaultEEESF_EEENSH_IJSG_SG_EEES6_PlJ7is_evenIxEEEE10hipError_tPvRmT3_T4_T5_T6_T7_T9_mT8_P12ihipStream_tbDpT10_ENKUlT_T0_E_clISt17integral_constantIbLb0EES19_EEDaS14_S15_EUlS14_E_NS1_11comp_targetILNS1_3genE8ELNS1_11target_archE1030ELNS1_3gpuE2ELNS1_3repE0EEENS1_30default_config_static_selectorELNS0_4arch9wavefront6targetE1EEEvT1_
                                        ; -- End function
	.section	.AMDGPU.csdata,"",@progbits
; Kernel info:
; codeLenInByte = 0
; NumSgprs: 4
; NumVgprs: 0
; NumAgprs: 0
; TotalNumVgprs: 0
; ScratchSize: 0
; MemoryBound: 0
; FloatMode: 240
; IeeeMode: 1
; LDSByteSize: 0 bytes/workgroup (compile time only)
; SGPRBlocks: 0
; VGPRBlocks: 0
; NumSGPRsForWavesPerEU: 4
; NumVGPRsForWavesPerEU: 1
; AccumOffset: 4
; Occupancy: 8
; WaveLimiterHint : 0
; COMPUTE_PGM_RSRC2:SCRATCH_EN: 0
; COMPUTE_PGM_RSRC2:USER_SGPR: 6
; COMPUTE_PGM_RSRC2:TRAP_HANDLER: 0
; COMPUTE_PGM_RSRC2:TGID_X_EN: 1
; COMPUTE_PGM_RSRC2:TGID_Y_EN: 0
; COMPUTE_PGM_RSRC2:TGID_Z_EN: 0
; COMPUTE_PGM_RSRC2:TIDIG_COMP_CNT: 0
; COMPUTE_PGM_RSRC3_GFX90A:ACCUM_OFFSET: 0
; COMPUTE_PGM_RSRC3_GFX90A:TG_SPLIT: 0
	.section	.text._ZN7rocprim17ROCPRIM_400000_NS6detail17trampoline_kernelINS0_14default_configENS1_25partition_config_selectorILNS1_17partition_subalgoE0ExNS0_10empty_typeEbEEZZNS1_14partition_implILS5_0ELb0ES3_jN6thrust23THRUST_200600_302600_NS6detail15normal_iteratorINSA_10device_ptrIxEEEEPS6_SG_NS0_5tupleIJNSA_16discard_iteratorINSA_11use_defaultEEESF_EEENSH_IJSG_SG_EEES6_PlJ7is_evenIxEEEE10hipError_tPvRmT3_T4_T5_T6_T7_T9_mT8_P12ihipStream_tbDpT10_ENKUlT_T0_E_clISt17integral_constantIbLb1EES19_EEDaS14_S15_EUlS14_E_NS1_11comp_targetILNS1_3genE0ELNS1_11target_archE4294967295ELNS1_3gpuE0ELNS1_3repE0EEENS1_30default_config_static_selectorELNS0_4arch9wavefront6targetE1EEEvT1_,"axG",@progbits,_ZN7rocprim17ROCPRIM_400000_NS6detail17trampoline_kernelINS0_14default_configENS1_25partition_config_selectorILNS1_17partition_subalgoE0ExNS0_10empty_typeEbEEZZNS1_14partition_implILS5_0ELb0ES3_jN6thrust23THRUST_200600_302600_NS6detail15normal_iteratorINSA_10device_ptrIxEEEEPS6_SG_NS0_5tupleIJNSA_16discard_iteratorINSA_11use_defaultEEESF_EEENSH_IJSG_SG_EEES6_PlJ7is_evenIxEEEE10hipError_tPvRmT3_T4_T5_T6_T7_T9_mT8_P12ihipStream_tbDpT10_ENKUlT_T0_E_clISt17integral_constantIbLb1EES19_EEDaS14_S15_EUlS14_E_NS1_11comp_targetILNS1_3genE0ELNS1_11target_archE4294967295ELNS1_3gpuE0ELNS1_3repE0EEENS1_30default_config_static_selectorELNS0_4arch9wavefront6targetE1EEEvT1_,comdat
	.protected	_ZN7rocprim17ROCPRIM_400000_NS6detail17trampoline_kernelINS0_14default_configENS1_25partition_config_selectorILNS1_17partition_subalgoE0ExNS0_10empty_typeEbEEZZNS1_14partition_implILS5_0ELb0ES3_jN6thrust23THRUST_200600_302600_NS6detail15normal_iteratorINSA_10device_ptrIxEEEEPS6_SG_NS0_5tupleIJNSA_16discard_iteratorINSA_11use_defaultEEESF_EEENSH_IJSG_SG_EEES6_PlJ7is_evenIxEEEE10hipError_tPvRmT3_T4_T5_T6_T7_T9_mT8_P12ihipStream_tbDpT10_ENKUlT_T0_E_clISt17integral_constantIbLb1EES19_EEDaS14_S15_EUlS14_E_NS1_11comp_targetILNS1_3genE0ELNS1_11target_archE4294967295ELNS1_3gpuE0ELNS1_3repE0EEENS1_30default_config_static_selectorELNS0_4arch9wavefront6targetE1EEEvT1_ ; -- Begin function _ZN7rocprim17ROCPRIM_400000_NS6detail17trampoline_kernelINS0_14default_configENS1_25partition_config_selectorILNS1_17partition_subalgoE0ExNS0_10empty_typeEbEEZZNS1_14partition_implILS5_0ELb0ES3_jN6thrust23THRUST_200600_302600_NS6detail15normal_iteratorINSA_10device_ptrIxEEEEPS6_SG_NS0_5tupleIJNSA_16discard_iteratorINSA_11use_defaultEEESF_EEENSH_IJSG_SG_EEES6_PlJ7is_evenIxEEEE10hipError_tPvRmT3_T4_T5_T6_T7_T9_mT8_P12ihipStream_tbDpT10_ENKUlT_T0_E_clISt17integral_constantIbLb1EES19_EEDaS14_S15_EUlS14_E_NS1_11comp_targetILNS1_3genE0ELNS1_11target_archE4294967295ELNS1_3gpuE0ELNS1_3repE0EEENS1_30default_config_static_selectorELNS0_4arch9wavefront6targetE1EEEvT1_
	.globl	_ZN7rocprim17ROCPRIM_400000_NS6detail17trampoline_kernelINS0_14default_configENS1_25partition_config_selectorILNS1_17partition_subalgoE0ExNS0_10empty_typeEbEEZZNS1_14partition_implILS5_0ELb0ES3_jN6thrust23THRUST_200600_302600_NS6detail15normal_iteratorINSA_10device_ptrIxEEEEPS6_SG_NS0_5tupleIJNSA_16discard_iteratorINSA_11use_defaultEEESF_EEENSH_IJSG_SG_EEES6_PlJ7is_evenIxEEEE10hipError_tPvRmT3_T4_T5_T6_T7_T9_mT8_P12ihipStream_tbDpT10_ENKUlT_T0_E_clISt17integral_constantIbLb1EES19_EEDaS14_S15_EUlS14_E_NS1_11comp_targetILNS1_3genE0ELNS1_11target_archE4294967295ELNS1_3gpuE0ELNS1_3repE0EEENS1_30default_config_static_selectorELNS0_4arch9wavefront6targetE1EEEvT1_
	.p2align	8
	.type	_ZN7rocprim17ROCPRIM_400000_NS6detail17trampoline_kernelINS0_14default_configENS1_25partition_config_selectorILNS1_17partition_subalgoE0ExNS0_10empty_typeEbEEZZNS1_14partition_implILS5_0ELb0ES3_jN6thrust23THRUST_200600_302600_NS6detail15normal_iteratorINSA_10device_ptrIxEEEEPS6_SG_NS0_5tupleIJNSA_16discard_iteratorINSA_11use_defaultEEESF_EEENSH_IJSG_SG_EEES6_PlJ7is_evenIxEEEE10hipError_tPvRmT3_T4_T5_T6_T7_T9_mT8_P12ihipStream_tbDpT10_ENKUlT_T0_E_clISt17integral_constantIbLb1EES19_EEDaS14_S15_EUlS14_E_NS1_11comp_targetILNS1_3genE0ELNS1_11target_archE4294967295ELNS1_3gpuE0ELNS1_3repE0EEENS1_30default_config_static_selectorELNS0_4arch9wavefront6targetE1EEEvT1_,@function
_ZN7rocprim17ROCPRIM_400000_NS6detail17trampoline_kernelINS0_14default_configENS1_25partition_config_selectorILNS1_17partition_subalgoE0ExNS0_10empty_typeEbEEZZNS1_14partition_implILS5_0ELb0ES3_jN6thrust23THRUST_200600_302600_NS6detail15normal_iteratorINSA_10device_ptrIxEEEEPS6_SG_NS0_5tupleIJNSA_16discard_iteratorINSA_11use_defaultEEESF_EEENSH_IJSG_SG_EEES6_PlJ7is_evenIxEEEE10hipError_tPvRmT3_T4_T5_T6_T7_T9_mT8_P12ihipStream_tbDpT10_ENKUlT_T0_E_clISt17integral_constantIbLb1EES19_EEDaS14_S15_EUlS14_E_NS1_11comp_targetILNS1_3genE0ELNS1_11target_archE4294967295ELNS1_3gpuE0ELNS1_3repE0EEENS1_30default_config_static_selectorELNS0_4arch9wavefront6targetE1EEEvT1_: ; @_ZN7rocprim17ROCPRIM_400000_NS6detail17trampoline_kernelINS0_14default_configENS1_25partition_config_selectorILNS1_17partition_subalgoE0ExNS0_10empty_typeEbEEZZNS1_14partition_implILS5_0ELb0ES3_jN6thrust23THRUST_200600_302600_NS6detail15normal_iteratorINSA_10device_ptrIxEEEEPS6_SG_NS0_5tupleIJNSA_16discard_iteratorINSA_11use_defaultEEESF_EEENSH_IJSG_SG_EEES6_PlJ7is_evenIxEEEE10hipError_tPvRmT3_T4_T5_T6_T7_T9_mT8_P12ihipStream_tbDpT10_ENKUlT_T0_E_clISt17integral_constantIbLb1EES19_EEDaS14_S15_EUlS14_E_NS1_11comp_targetILNS1_3genE0ELNS1_11target_archE4294967295ELNS1_3gpuE0ELNS1_3repE0EEENS1_30default_config_static_selectorELNS0_4arch9wavefront6targetE1EEEvT1_
; %bb.0:
	.section	.rodata,"a",@progbits
	.p2align	6, 0x0
	.amdhsa_kernel _ZN7rocprim17ROCPRIM_400000_NS6detail17trampoline_kernelINS0_14default_configENS1_25partition_config_selectorILNS1_17partition_subalgoE0ExNS0_10empty_typeEbEEZZNS1_14partition_implILS5_0ELb0ES3_jN6thrust23THRUST_200600_302600_NS6detail15normal_iteratorINSA_10device_ptrIxEEEEPS6_SG_NS0_5tupleIJNSA_16discard_iteratorINSA_11use_defaultEEESF_EEENSH_IJSG_SG_EEES6_PlJ7is_evenIxEEEE10hipError_tPvRmT3_T4_T5_T6_T7_T9_mT8_P12ihipStream_tbDpT10_ENKUlT_T0_E_clISt17integral_constantIbLb1EES19_EEDaS14_S15_EUlS14_E_NS1_11comp_targetILNS1_3genE0ELNS1_11target_archE4294967295ELNS1_3gpuE0ELNS1_3repE0EEENS1_30default_config_static_selectorELNS0_4arch9wavefront6targetE1EEEvT1_
		.amdhsa_group_segment_fixed_size 0
		.amdhsa_private_segment_fixed_size 0
		.amdhsa_kernarg_size 144
		.amdhsa_user_sgpr_count 6
		.amdhsa_user_sgpr_private_segment_buffer 1
		.amdhsa_user_sgpr_dispatch_ptr 0
		.amdhsa_user_sgpr_queue_ptr 0
		.amdhsa_user_sgpr_kernarg_segment_ptr 1
		.amdhsa_user_sgpr_dispatch_id 0
		.amdhsa_user_sgpr_flat_scratch_init 0
		.amdhsa_user_sgpr_kernarg_preload_length 0
		.amdhsa_user_sgpr_kernarg_preload_offset 0
		.amdhsa_user_sgpr_private_segment_size 0
		.amdhsa_uses_dynamic_stack 0
		.amdhsa_system_sgpr_private_segment_wavefront_offset 0
		.amdhsa_system_sgpr_workgroup_id_x 1
		.amdhsa_system_sgpr_workgroup_id_y 0
		.amdhsa_system_sgpr_workgroup_id_z 0
		.amdhsa_system_sgpr_workgroup_info 0
		.amdhsa_system_vgpr_workitem_id 0
		.amdhsa_next_free_vgpr 1
		.amdhsa_next_free_sgpr 0
		.amdhsa_accum_offset 4
		.amdhsa_reserve_vcc 0
		.amdhsa_reserve_flat_scratch 0
		.amdhsa_float_round_mode_32 0
		.amdhsa_float_round_mode_16_64 0
		.amdhsa_float_denorm_mode_32 3
		.amdhsa_float_denorm_mode_16_64 3
		.amdhsa_dx10_clamp 1
		.amdhsa_ieee_mode 1
		.amdhsa_fp16_overflow 0
		.amdhsa_tg_split 0
		.amdhsa_exception_fp_ieee_invalid_op 0
		.amdhsa_exception_fp_denorm_src 0
		.amdhsa_exception_fp_ieee_div_zero 0
		.amdhsa_exception_fp_ieee_overflow 0
		.amdhsa_exception_fp_ieee_underflow 0
		.amdhsa_exception_fp_ieee_inexact 0
		.amdhsa_exception_int_div_zero 0
	.end_amdhsa_kernel
	.section	.text._ZN7rocprim17ROCPRIM_400000_NS6detail17trampoline_kernelINS0_14default_configENS1_25partition_config_selectorILNS1_17partition_subalgoE0ExNS0_10empty_typeEbEEZZNS1_14partition_implILS5_0ELb0ES3_jN6thrust23THRUST_200600_302600_NS6detail15normal_iteratorINSA_10device_ptrIxEEEEPS6_SG_NS0_5tupleIJNSA_16discard_iteratorINSA_11use_defaultEEESF_EEENSH_IJSG_SG_EEES6_PlJ7is_evenIxEEEE10hipError_tPvRmT3_T4_T5_T6_T7_T9_mT8_P12ihipStream_tbDpT10_ENKUlT_T0_E_clISt17integral_constantIbLb1EES19_EEDaS14_S15_EUlS14_E_NS1_11comp_targetILNS1_3genE0ELNS1_11target_archE4294967295ELNS1_3gpuE0ELNS1_3repE0EEENS1_30default_config_static_selectorELNS0_4arch9wavefront6targetE1EEEvT1_,"axG",@progbits,_ZN7rocprim17ROCPRIM_400000_NS6detail17trampoline_kernelINS0_14default_configENS1_25partition_config_selectorILNS1_17partition_subalgoE0ExNS0_10empty_typeEbEEZZNS1_14partition_implILS5_0ELb0ES3_jN6thrust23THRUST_200600_302600_NS6detail15normal_iteratorINSA_10device_ptrIxEEEEPS6_SG_NS0_5tupleIJNSA_16discard_iteratorINSA_11use_defaultEEESF_EEENSH_IJSG_SG_EEES6_PlJ7is_evenIxEEEE10hipError_tPvRmT3_T4_T5_T6_T7_T9_mT8_P12ihipStream_tbDpT10_ENKUlT_T0_E_clISt17integral_constantIbLb1EES19_EEDaS14_S15_EUlS14_E_NS1_11comp_targetILNS1_3genE0ELNS1_11target_archE4294967295ELNS1_3gpuE0ELNS1_3repE0EEENS1_30default_config_static_selectorELNS0_4arch9wavefront6targetE1EEEvT1_,comdat
.Lfunc_end2659:
	.size	_ZN7rocprim17ROCPRIM_400000_NS6detail17trampoline_kernelINS0_14default_configENS1_25partition_config_selectorILNS1_17partition_subalgoE0ExNS0_10empty_typeEbEEZZNS1_14partition_implILS5_0ELb0ES3_jN6thrust23THRUST_200600_302600_NS6detail15normal_iteratorINSA_10device_ptrIxEEEEPS6_SG_NS0_5tupleIJNSA_16discard_iteratorINSA_11use_defaultEEESF_EEENSH_IJSG_SG_EEES6_PlJ7is_evenIxEEEE10hipError_tPvRmT3_T4_T5_T6_T7_T9_mT8_P12ihipStream_tbDpT10_ENKUlT_T0_E_clISt17integral_constantIbLb1EES19_EEDaS14_S15_EUlS14_E_NS1_11comp_targetILNS1_3genE0ELNS1_11target_archE4294967295ELNS1_3gpuE0ELNS1_3repE0EEENS1_30default_config_static_selectorELNS0_4arch9wavefront6targetE1EEEvT1_, .Lfunc_end2659-_ZN7rocprim17ROCPRIM_400000_NS6detail17trampoline_kernelINS0_14default_configENS1_25partition_config_selectorILNS1_17partition_subalgoE0ExNS0_10empty_typeEbEEZZNS1_14partition_implILS5_0ELb0ES3_jN6thrust23THRUST_200600_302600_NS6detail15normal_iteratorINSA_10device_ptrIxEEEEPS6_SG_NS0_5tupleIJNSA_16discard_iteratorINSA_11use_defaultEEESF_EEENSH_IJSG_SG_EEES6_PlJ7is_evenIxEEEE10hipError_tPvRmT3_T4_T5_T6_T7_T9_mT8_P12ihipStream_tbDpT10_ENKUlT_T0_E_clISt17integral_constantIbLb1EES19_EEDaS14_S15_EUlS14_E_NS1_11comp_targetILNS1_3genE0ELNS1_11target_archE4294967295ELNS1_3gpuE0ELNS1_3repE0EEENS1_30default_config_static_selectorELNS0_4arch9wavefront6targetE1EEEvT1_
                                        ; -- End function
	.section	.AMDGPU.csdata,"",@progbits
; Kernel info:
; codeLenInByte = 0
; NumSgprs: 4
; NumVgprs: 0
; NumAgprs: 0
; TotalNumVgprs: 0
; ScratchSize: 0
; MemoryBound: 0
; FloatMode: 240
; IeeeMode: 1
; LDSByteSize: 0 bytes/workgroup (compile time only)
; SGPRBlocks: 0
; VGPRBlocks: 0
; NumSGPRsForWavesPerEU: 4
; NumVGPRsForWavesPerEU: 1
; AccumOffset: 4
; Occupancy: 8
; WaveLimiterHint : 0
; COMPUTE_PGM_RSRC2:SCRATCH_EN: 0
; COMPUTE_PGM_RSRC2:USER_SGPR: 6
; COMPUTE_PGM_RSRC2:TRAP_HANDLER: 0
; COMPUTE_PGM_RSRC2:TGID_X_EN: 1
; COMPUTE_PGM_RSRC2:TGID_Y_EN: 0
; COMPUTE_PGM_RSRC2:TGID_Z_EN: 0
; COMPUTE_PGM_RSRC2:TIDIG_COMP_CNT: 0
; COMPUTE_PGM_RSRC3_GFX90A:ACCUM_OFFSET: 0
; COMPUTE_PGM_RSRC3_GFX90A:TG_SPLIT: 0
	.section	.text._ZN7rocprim17ROCPRIM_400000_NS6detail17trampoline_kernelINS0_14default_configENS1_25partition_config_selectorILNS1_17partition_subalgoE0ExNS0_10empty_typeEbEEZZNS1_14partition_implILS5_0ELb0ES3_jN6thrust23THRUST_200600_302600_NS6detail15normal_iteratorINSA_10device_ptrIxEEEEPS6_SG_NS0_5tupleIJNSA_16discard_iteratorINSA_11use_defaultEEESF_EEENSH_IJSG_SG_EEES6_PlJ7is_evenIxEEEE10hipError_tPvRmT3_T4_T5_T6_T7_T9_mT8_P12ihipStream_tbDpT10_ENKUlT_T0_E_clISt17integral_constantIbLb1EES19_EEDaS14_S15_EUlS14_E_NS1_11comp_targetILNS1_3genE5ELNS1_11target_archE942ELNS1_3gpuE9ELNS1_3repE0EEENS1_30default_config_static_selectorELNS0_4arch9wavefront6targetE1EEEvT1_,"axG",@progbits,_ZN7rocprim17ROCPRIM_400000_NS6detail17trampoline_kernelINS0_14default_configENS1_25partition_config_selectorILNS1_17partition_subalgoE0ExNS0_10empty_typeEbEEZZNS1_14partition_implILS5_0ELb0ES3_jN6thrust23THRUST_200600_302600_NS6detail15normal_iteratorINSA_10device_ptrIxEEEEPS6_SG_NS0_5tupleIJNSA_16discard_iteratorINSA_11use_defaultEEESF_EEENSH_IJSG_SG_EEES6_PlJ7is_evenIxEEEE10hipError_tPvRmT3_T4_T5_T6_T7_T9_mT8_P12ihipStream_tbDpT10_ENKUlT_T0_E_clISt17integral_constantIbLb1EES19_EEDaS14_S15_EUlS14_E_NS1_11comp_targetILNS1_3genE5ELNS1_11target_archE942ELNS1_3gpuE9ELNS1_3repE0EEENS1_30default_config_static_selectorELNS0_4arch9wavefront6targetE1EEEvT1_,comdat
	.protected	_ZN7rocprim17ROCPRIM_400000_NS6detail17trampoline_kernelINS0_14default_configENS1_25partition_config_selectorILNS1_17partition_subalgoE0ExNS0_10empty_typeEbEEZZNS1_14partition_implILS5_0ELb0ES3_jN6thrust23THRUST_200600_302600_NS6detail15normal_iteratorINSA_10device_ptrIxEEEEPS6_SG_NS0_5tupleIJNSA_16discard_iteratorINSA_11use_defaultEEESF_EEENSH_IJSG_SG_EEES6_PlJ7is_evenIxEEEE10hipError_tPvRmT3_T4_T5_T6_T7_T9_mT8_P12ihipStream_tbDpT10_ENKUlT_T0_E_clISt17integral_constantIbLb1EES19_EEDaS14_S15_EUlS14_E_NS1_11comp_targetILNS1_3genE5ELNS1_11target_archE942ELNS1_3gpuE9ELNS1_3repE0EEENS1_30default_config_static_selectorELNS0_4arch9wavefront6targetE1EEEvT1_ ; -- Begin function _ZN7rocprim17ROCPRIM_400000_NS6detail17trampoline_kernelINS0_14default_configENS1_25partition_config_selectorILNS1_17partition_subalgoE0ExNS0_10empty_typeEbEEZZNS1_14partition_implILS5_0ELb0ES3_jN6thrust23THRUST_200600_302600_NS6detail15normal_iteratorINSA_10device_ptrIxEEEEPS6_SG_NS0_5tupleIJNSA_16discard_iteratorINSA_11use_defaultEEESF_EEENSH_IJSG_SG_EEES6_PlJ7is_evenIxEEEE10hipError_tPvRmT3_T4_T5_T6_T7_T9_mT8_P12ihipStream_tbDpT10_ENKUlT_T0_E_clISt17integral_constantIbLb1EES19_EEDaS14_S15_EUlS14_E_NS1_11comp_targetILNS1_3genE5ELNS1_11target_archE942ELNS1_3gpuE9ELNS1_3repE0EEENS1_30default_config_static_selectorELNS0_4arch9wavefront6targetE1EEEvT1_
	.globl	_ZN7rocprim17ROCPRIM_400000_NS6detail17trampoline_kernelINS0_14default_configENS1_25partition_config_selectorILNS1_17partition_subalgoE0ExNS0_10empty_typeEbEEZZNS1_14partition_implILS5_0ELb0ES3_jN6thrust23THRUST_200600_302600_NS6detail15normal_iteratorINSA_10device_ptrIxEEEEPS6_SG_NS0_5tupleIJNSA_16discard_iteratorINSA_11use_defaultEEESF_EEENSH_IJSG_SG_EEES6_PlJ7is_evenIxEEEE10hipError_tPvRmT3_T4_T5_T6_T7_T9_mT8_P12ihipStream_tbDpT10_ENKUlT_T0_E_clISt17integral_constantIbLb1EES19_EEDaS14_S15_EUlS14_E_NS1_11comp_targetILNS1_3genE5ELNS1_11target_archE942ELNS1_3gpuE9ELNS1_3repE0EEENS1_30default_config_static_selectorELNS0_4arch9wavefront6targetE1EEEvT1_
	.p2align	8
	.type	_ZN7rocprim17ROCPRIM_400000_NS6detail17trampoline_kernelINS0_14default_configENS1_25partition_config_selectorILNS1_17partition_subalgoE0ExNS0_10empty_typeEbEEZZNS1_14partition_implILS5_0ELb0ES3_jN6thrust23THRUST_200600_302600_NS6detail15normal_iteratorINSA_10device_ptrIxEEEEPS6_SG_NS0_5tupleIJNSA_16discard_iteratorINSA_11use_defaultEEESF_EEENSH_IJSG_SG_EEES6_PlJ7is_evenIxEEEE10hipError_tPvRmT3_T4_T5_T6_T7_T9_mT8_P12ihipStream_tbDpT10_ENKUlT_T0_E_clISt17integral_constantIbLb1EES19_EEDaS14_S15_EUlS14_E_NS1_11comp_targetILNS1_3genE5ELNS1_11target_archE942ELNS1_3gpuE9ELNS1_3repE0EEENS1_30default_config_static_selectorELNS0_4arch9wavefront6targetE1EEEvT1_,@function
_ZN7rocprim17ROCPRIM_400000_NS6detail17trampoline_kernelINS0_14default_configENS1_25partition_config_selectorILNS1_17partition_subalgoE0ExNS0_10empty_typeEbEEZZNS1_14partition_implILS5_0ELb0ES3_jN6thrust23THRUST_200600_302600_NS6detail15normal_iteratorINSA_10device_ptrIxEEEEPS6_SG_NS0_5tupleIJNSA_16discard_iteratorINSA_11use_defaultEEESF_EEENSH_IJSG_SG_EEES6_PlJ7is_evenIxEEEE10hipError_tPvRmT3_T4_T5_T6_T7_T9_mT8_P12ihipStream_tbDpT10_ENKUlT_T0_E_clISt17integral_constantIbLb1EES19_EEDaS14_S15_EUlS14_E_NS1_11comp_targetILNS1_3genE5ELNS1_11target_archE942ELNS1_3gpuE9ELNS1_3repE0EEENS1_30default_config_static_selectorELNS0_4arch9wavefront6targetE1EEEvT1_: ; @_ZN7rocprim17ROCPRIM_400000_NS6detail17trampoline_kernelINS0_14default_configENS1_25partition_config_selectorILNS1_17partition_subalgoE0ExNS0_10empty_typeEbEEZZNS1_14partition_implILS5_0ELb0ES3_jN6thrust23THRUST_200600_302600_NS6detail15normal_iteratorINSA_10device_ptrIxEEEEPS6_SG_NS0_5tupleIJNSA_16discard_iteratorINSA_11use_defaultEEESF_EEENSH_IJSG_SG_EEES6_PlJ7is_evenIxEEEE10hipError_tPvRmT3_T4_T5_T6_T7_T9_mT8_P12ihipStream_tbDpT10_ENKUlT_T0_E_clISt17integral_constantIbLb1EES19_EEDaS14_S15_EUlS14_E_NS1_11comp_targetILNS1_3genE5ELNS1_11target_archE942ELNS1_3gpuE9ELNS1_3repE0EEENS1_30default_config_static_selectorELNS0_4arch9wavefront6targetE1EEEvT1_
; %bb.0:
	.section	.rodata,"a",@progbits
	.p2align	6, 0x0
	.amdhsa_kernel _ZN7rocprim17ROCPRIM_400000_NS6detail17trampoline_kernelINS0_14default_configENS1_25partition_config_selectorILNS1_17partition_subalgoE0ExNS0_10empty_typeEbEEZZNS1_14partition_implILS5_0ELb0ES3_jN6thrust23THRUST_200600_302600_NS6detail15normal_iteratorINSA_10device_ptrIxEEEEPS6_SG_NS0_5tupleIJNSA_16discard_iteratorINSA_11use_defaultEEESF_EEENSH_IJSG_SG_EEES6_PlJ7is_evenIxEEEE10hipError_tPvRmT3_T4_T5_T6_T7_T9_mT8_P12ihipStream_tbDpT10_ENKUlT_T0_E_clISt17integral_constantIbLb1EES19_EEDaS14_S15_EUlS14_E_NS1_11comp_targetILNS1_3genE5ELNS1_11target_archE942ELNS1_3gpuE9ELNS1_3repE0EEENS1_30default_config_static_selectorELNS0_4arch9wavefront6targetE1EEEvT1_
		.amdhsa_group_segment_fixed_size 0
		.amdhsa_private_segment_fixed_size 0
		.amdhsa_kernarg_size 144
		.amdhsa_user_sgpr_count 6
		.amdhsa_user_sgpr_private_segment_buffer 1
		.amdhsa_user_sgpr_dispatch_ptr 0
		.amdhsa_user_sgpr_queue_ptr 0
		.amdhsa_user_sgpr_kernarg_segment_ptr 1
		.amdhsa_user_sgpr_dispatch_id 0
		.amdhsa_user_sgpr_flat_scratch_init 0
		.amdhsa_user_sgpr_kernarg_preload_length 0
		.amdhsa_user_sgpr_kernarg_preload_offset 0
		.amdhsa_user_sgpr_private_segment_size 0
		.amdhsa_uses_dynamic_stack 0
		.amdhsa_system_sgpr_private_segment_wavefront_offset 0
		.amdhsa_system_sgpr_workgroup_id_x 1
		.amdhsa_system_sgpr_workgroup_id_y 0
		.amdhsa_system_sgpr_workgroup_id_z 0
		.amdhsa_system_sgpr_workgroup_info 0
		.amdhsa_system_vgpr_workitem_id 0
		.amdhsa_next_free_vgpr 1
		.amdhsa_next_free_sgpr 0
		.amdhsa_accum_offset 4
		.amdhsa_reserve_vcc 0
		.amdhsa_reserve_flat_scratch 0
		.amdhsa_float_round_mode_32 0
		.amdhsa_float_round_mode_16_64 0
		.amdhsa_float_denorm_mode_32 3
		.amdhsa_float_denorm_mode_16_64 3
		.amdhsa_dx10_clamp 1
		.amdhsa_ieee_mode 1
		.amdhsa_fp16_overflow 0
		.amdhsa_tg_split 0
		.amdhsa_exception_fp_ieee_invalid_op 0
		.amdhsa_exception_fp_denorm_src 0
		.amdhsa_exception_fp_ieee_div_zero 0
		.amdhsa_exception_fp_ieee_overflow 0
		.amdhsa_exception_fp_ieee_underflow 0
		.amdhsa_exception_fp_ieee_inexact 0
		.amdhsa_exception_int_div_zero 0
	.end_amdhsa_kernel
	.section	.text._ZN7rocprim17ROCPRIM_400000_NS6detail17trampoline_kernelINS0_14default_configENS1_25partition_config_selectorILNS1_17partition_subalgoE0ExNS0_10empty_typeEbEEZZNS1_14partition_implILS5_0ELb0ES3_jN6thrust23THRUST_200600_302600_NS6detail15normal_iteratorINSA_10device_ptrIxEEEEPS6_SG_NS0_5tupleIJNSA_16discard_iteratorINSA_11use_defaultEEESF_EEENSH_IJSG_SG_EEES6_PlJ7is_evenIxEEEE10hipError_tPvRmT3_T4_T5_T6_T7_T9_mT8_P12ihipStream_tbDpT10_ENKUlT_T0_E_clISt17integral_constantIbLb1EES19_EEDaS14_S15_EUlS14_E_NS1_11comp_targetILNS1_3genE5ELNS1_11target_archE942ELNS1_3gpuE9ELNS1_3repE0EEENS1_30default_config_static_selectorELNS0_4arch9wavefront6targetE1EEEvT1_,"axG",@progbits,_ZN7rocprim17ROCPRIM_400000_NS6detail17trampoline_kernelINS0_14default_configENS1_25partition_config_selectorILNS1_17partition_subalgoE0ExNS0_10empty_typeEbEEZZNS1_14partition_implILS5_0ELb0ES3_jN6thrust23THRUST_200600_302600_NS6detail15normal_iteratorINSA_10device_ptrIxEEEEPS6_SG_NS0_5tupleIJNSA_16discard_iteratorINSA_11use_defaultEEESF_EEENSH_IJSG_SG_EEES6_PlJ7is_evenIxEEEE10hipError_tPvRmT3_T4_T5_T6_T7_T9_mT8_P12ihipStream_tbDpT10_ENKUlT_T0_E_clISt17integral_constantIbLb1EES19_EEDaS14_S15_EUlS14_E_NS1_11comp_targetILNS1_3genE5ELNS1_11target_archE942ELNS1_3gpuE9ELNS1_3repE0EEENS1_30default_config_static_selectorELNS0_4arch9wavefront6targetE1EEEvT1_,comdat
.Lfunc_end2660:
	.size	_ZN7rocprim17ROCPRIM_400000_NS6detail17trampoline_kernelINS0_14default_configENS1_25partition_config_selectorILNS1_17partition_subalgoE0ExNS0_10empty_typeEbEEZZNS1_14partition_implILS5_0ELb0ES3_jN6thrust23THRUST_200600_302600_NS6detail15normal_iteratorINSA_10device_ptrIxEEEEPS6_SG_NS0_5tupleIJNSA_16discard_iteratorINSA_11use_defaultEEESF_EEENSH_IJSG_SG_EEES6_PlJ7is_evenIxEEEE10hipError_tPvRmT3_T4_T5_T6_T7_T9_mT8_P12ihipStream_tbDpT10_ENKUlT_T0_E_clISt17integral_constantIbLb1EES19_EEDaS14_S15_EUlS14_E_NS1_11comp_targetILNS1_3genE5ELNS1_11target_archE942ELNS1_3gpuE9ELNS1_3repE0EEENS1_30default_config_static_selectorELNS0_4arch9wavefront6targetE1EEEvT1_, .Lfunc_end2660-_ZN7rocprim17ROCPRIM_400000_NS6detail17trampoline_kernelINS0_14default_configENS1_25partition_config_selectorILNS1_17partition_subalgoE0ExNS0_10empty_typeEbEEZZNS1_14partition_implILS5_0ELb0ES3_jN6thrust23THRUST_200600_302600_NS6detail15normal_iteratorINSA_10device_ptrIxEEEEPS6_SG_NS0_5tupleIJNSA_16discard_iteratorINSA_11use_defaultEEESF_EEENSH_IJSG_SG_EEES6_PlJ7is_evenIxEEEE10hipError_tPvRmT3_T4_T5_T6_T7_T9_mT8_P12ihipStream_tbDpT10_ENKUlT_T0_E_clISt17integral_constantIbLb1EES19_EEDaS14_S15_EUlS14_E_NS1_11comp_targetILNS1_3genE5ELNS1_11target_archE942ELNS1_3gpuE9ELNS1_3repE0EEENS1_30default_config_static_selectorELNS0_4arch9wavefront6targetE1EEEvT1_
                                        ; -- End function
	.section	.AMDGPU.csdata,"",@progbits
; Kernel info:
; codeLenInByte = 0
; NumSgprs: 4
; NumVgprs: 0
; NumAgprs: 0
; TotalNumVgprs: 0
; ScratchSize: 0
; MemoryBound: 0
; FloatMode: 240
; IeeeMode: 1
; LDSByteSize: 0 bytes/workgroup (compile time only)
; SGPRBlocks: 0
; VGPRBlocks: 0
; NumSGPRsForWavesPerEU: 4
; NumVGPRsForWavesPerEU: 1
; AccumOffset: 4
; Occupancy: 8
; WaveLimiterHint : 0
; COMPUTE_PGM_RSRC2:SCRATCH_EN: 0
; COMPUTE_PGM_RSRC2:USER_SGPR: 6
; COMPUTE_PGM_RSRC2:TRAP_HANDLER: 0
; COMPUTE_PGM_RSRC2:TGID_X_EN: 1
; COMPUTE_PGM_RSRC2:TGID_Y_EN: 0
; COMPUTE_PGM_RSRC2:TGID_Z_EN: 0
; COMPUTE_PGM_RSRC2:TIDIG_COMP_CNT: 0
; COMPUTE_PGM_RSRC3_GFX90A:ACCUM_OFFSET: 0
; COMPUTE_PGM_RSRC3_GFX90A:TG_SPLIT: 0
	.section	.text._ZN7rocprim17ROCPRIM_400000_NS6detail17trampoline_kernelINS0_14default_configENS1_25partition_config_selectorILNS1_17partition_subalgoE0ExNS0_10empty_typeEbEEZZNS1_14partition_implILS5_0ELb0ES3_jN6thrust23THRUST_200600_302600_NS6detail15normal_iteratorINSA_10device_ptrIxEEEEPS6_SG_NS0_5tupleIJNSA_16discard_iteratorINSA_11use_defaultEEESF_EEENSH_IJSG_SG_EEES6_PlJ7is_evenIxEEEE10hipError_tPvRmT3_T4_T5_T6_T7_T9_mT8_P12ihipStream_tbDpT10_ENKUlT_T0_E_clISt17integral_constantIbLb1EES19_EEDaS14_S15_EUlS14_E_NS1_11comp_targetILNS1_3genE4ELNS1_11target_archE910ELNS1_3gpuE8ELNS1_3repE0EEENS1_30default_config_static_selectorELNS0_4arch9wavefront6targetE1EEEvT1_,"axG",@progbits,_ZN7rocprim17ROCPRIM_400000_NS6detail17trampoline_kernelINS0_14default_configENS1_25partition_config_selectorILNS1_17partition_subalgoE0ExNS0_10empty_typeEbEEZZNS1_14partition_implILS5_0ELb0ES3_jN6thrust23THRUST_200600_302600_NS6detail15normal_iteratorINSA_10device_ptrIxEEEEPS6_SG_NS0_5tupleIJNSA_16discard_iteratorINSA_11use_defaultEEESF_EEENSH_IJSG_SG_EEES6_PlJ7is_evenIxEEEE10hipError_tPvRmT3_T4_T5_T6_T7_T9_mT8_P12ihipStream_tbDpT10_ENKUlT_T0_E_clISt17integral_constantIbLb1EES19_EEDaS14_S15_EUlS14_E_NS1_11comp_targetILNS1_3genE4ELNS1_11target_archE910ELNS1_3gpuE8ELNS1_3repE0EEENS1_30default_config_static_selectorELNS0_4arch9wavefront6targetE1EEEvT1_,comdat
	.protected	_ZN7rocprim17ROCPRIM_400000_NS6detail17trampoline_kernelINS0_14default_configENS1_25partition_config_selectorILNS1_17partition_subalgoE0ExNS0_10empty_typeEbEEZZNS1_14partition_implILS5_0ELb0ES3_jN6thrust23THRUST_200600_302600_NS6detail15normal_iteratorINSA_10device_ptrIxEEEEPS6_SG_NS0_5tupleIJNSA_16discard_iteratorINSA_11use_defaultEEESF_EEENSH_IJSG_SG_EEES6_PlJ7is_evenIxEEEE10hipError_tPvRmT3_T4_T5_T6_T7_T9_mT8_P12ihipStream_tbDpT10_ENKUlT_T0_E_clISt17integral_constantIbLb1EES19_EEDaS14_S15_EUlS14_E_NS1_11comp_targetILNS1_3genE4ELNS1_11target_archE910ELNS1_3gpuE8ELNS1_3repE0EEENS1_30default_config_static_selectorELNS0_4arch9wavefront6targetE1EEEvT1_ ; -- Begin function _ZN7rocprim17ROCPRIM_400000_NS6detail17trampoline_kernelINS0_14default_configENS1_25partition_config_selectorILNS1_17partition_subalgoE0ExNS0_10empty_typeEbEEZZNS1_14partition_implILS5_0ELb0ES3_jN6thrust23THRUST_200600_302600_NS6detail15normal_iteratorINSA_10device_ptrIxEEEEPS6_SG_NS0_5tupleIJNSA_16discard_iteratorINSA_11use_defaultEEESF_EEENSH_IJSG_SG_EEES6_PlJ7is_evenIxEEEE10hipError_tPvRmT3_T4_T5_T6_T7_T9_mT8_P12ihipStream_tbDpT10_ENKUlT_T0_E_clISt17integral_constantIbLb1EES19_EEDaS14_S15_EUlS14_E_NS1_11comp_targetILNS1_3genE4ELNS1_11target_archE910ELNS1_3gpuE8ELNS1_3repE0EEENS1_30default_config_static_selectorELNS0_4arch9wavefront6targetE1EEEvT1_
	.globl	_ZN7rocprim17ROCPRIM_400000_NS6detail17trampoline_kernelINS0_14default_configENS1_25partition_config_selectorILNS1_17partition_subalgoE0ExNS0_10empty_typeEbEEZZNS1_14partition_implILS5_0ELb0ES3_jN6thrust23THRUST_200600_302600_NS6detail15normal_iteratorINSA_10device_ptrIxEEEEPS6_SG_NS0_5tupleIJNSA_16discard_iteratorINSA_11use_defaultEEESF_EEENSH_IJSG_SG_EEES6_PlJ7is_evenIxEEEE10hipError_tPvRmT3_T4_T5_T6_T7_T9_mT8_P12ihipStream_tbDpT10_ENKUlT_T0_E_clISt17integral_constantIbLb1EES19_EEDaS14_S15_EUlS14_E_NS1_11comp_targetILNS1_3genE4ELNS1_11target_archE910ELNS1_3gpuE8ELNS1_3repE0EEENS1_30default_config_static_selectorELNS0_4arch9wavefront6targetE1EEEvT1_
	.p2align	8
	.type	_ZN7rocprim17ROCPRIM_400000_NS6detail17trampoline_kernelINS0_14default_configENS1_25partition_config_selectorILNS1_17partition_subalgoE0ExNS0_10empty_typeEbEEZZNS1_14partition_implILS5_0ELb0ES3_jN6thrust23THRUST_200600_302600_NS6detail15normal_iteratorINSA_10device_ptrIxEEEEPS6_SG_NS0_5tupleIJNSA_16discard_iteratorINSA_11use_defaultEEESF_EEENSH_IJSG_SG_EEES6_PlJ7is_evenIxEEEE10hipError_tPvRmT3_T4_T5_T6_T7_T9_mT8_P12ihipStream_tbDpT10_ENKUlT_T0_E_clISt17integral_constantIbLb1EES19_EEDaS14_S15_EUlS14_E_NS1_11comp_targetILNS1_3genE4ELNS1_11target_archE910ELNS1_3gpuE8ELNS1_3repE0EEENS1_30default_config_static_selectorELNS0_4arch9wavefront6targetE1EEEvT1_,@function
_ZN7rocprim17ROCPRIM_400000_NS6detail17trampoline_kernelINS0_14default_configENS1_25partition_config_selectorILNS1_17partition_subalgoE0ExNS0_10empty_typeEbEEZZNS1_14partition_implILS5_0ELb0ES3_jN6thrust23THRUST_200600_302600_NS6detail15normal_iteratorINSA_10device_ptrIxEEEEPS6_SG_NS0_5tupleIJNSA_16discard_iteratorINSA_11use_defaultEEESF_EEENSH_IJSG_SG_EEES6_PlJ7is_evenIxEEEE10hipError_tPvRmT3_T4_T5_T6_T7_T9_mT8_P12ihipStream_tbDpT10_ENKUlT_T0_E_clISt17integral_constantIbLb1EES19_EEDaS14_S15_EUlS14_E_NS1_11comp_targetILNS1_3genE4ELNS1_11target_archE910ELNS1_3gpuE8ELNS1_3repE0EEENS1_30default_config_static_selectorELNS0_4arch9wavefront6targetE1EEEvT1_: ; @_ZN7rocprim17ROCPRIM_400000_NS6detail17trampoline_kernelINS0_14default_configENS1_25partition_config_selectorILNS1_17partition_subalgoE0ExNS0_10empty_typeEbEEZZNS1_14partition_implILS5_0ELb0ES3_jN6thrust23THRUST_200600_302600_NS6detail15normal_iteratorINSA_10device_ptrIxEEEEPS6_SG_NS0_5tupleIJNSA_16discard_iteratorINSA_11use_defaultEEESF_EEENSH_IJSG_SG_EEES6_PlJ7is_evenIxEEEE10hipError_tPvRmT3_T4_T5_T6_T7_T9_mT8_P12ihipStream_tbDpT10_ENKUlT_T0_E_clISt17integral_constantIbLb1EES19_EEDaS14_S15_EUlS14_E_NS1_11comp_targetILNS1_3genE4ELNS1_11target_archE910ELNS1_3gpuE8ELNS1_3repE0EEENS1_30default_config_static_selectorELNS0_4arch9wavefront6targetE1EEEvT1_
; %bb.0:
	s_load_dwordx2 s[28:29], s[4:5], 0x38
	s_load_dwordx4 s[20:23], s[4:5], 0x50
	s_load_dwordx2 s[2:3], s[4:5], 0x60
	s_load_dwordx2 s[30:31], s[4:5], 0x70
	v_cmp_eq_u32_e64 s[0:1], 0, v0
	s_and_saveexec_b64 s[6:7], s[0:1]
	s_cbranch_execz .LBB2661_4
; %bb.1:
	s_mov_b64 s[10:11], exec
	v_mbcnt_lo_u32_b32 v1, s10, 0
	v_mbcnt_hi_u32_b32 v1, s11, v1
	v_cmp_eq_u32_e32 vcc, 0, v1
                                        ; implicit-def: $vgpr2
	s_and_saveexec_b64 s[8:9], vcc
	s_cbranch_execz .LBB2661_3
; %bb.2:
	s_load_dwordx2 s[12:13], s[4:5], 0x80
	s_bcnt1_i32_b64 s10, s[10:11]
	v_mov_b32_e32 v2, 0
	v_mov_b32_e32 v3, s10
	s_waitcnt lgkmcnt(0)
	global_atomic_add v2, v2, v3, s[12:13] glc
.LBB2661_3:
	s_or_b64 exec, exec, s[8:9]
	s_waitcnt vmcnt(0)
	v_readfirstlane_b32 s8, v2
	v_add_u32_e32 v1, s8, v1
	v_mov_b32_e32 v2, 0
	ds_write_b32 v2, v1
.LBB2661_4:
	s_or_b64 exec, exec, s[6:7]
	v_mov_b32_e32 v3, 0
	s_load_dwordx4 s[24:27], s[4:5], 0x8
	s_load_dword s6, s[4:5], 0x78
	s_waitcnt lgkmcnt(0)
	s_barrier
	ds_read_b32 v1, v3
	s_waitcnt lgkmcnt(0)
	s_barrier
	global_load_dwordx2 v[10:11], v3, s[22:23]
	v_mov_b32_e32 v5, s3
	s_lshl_b64 s[4:5], s[26:27], 3
	s_movk_i32 s3, 0x300
	s_add_u32 s7, s24, s4
	v_mul_lo_u32 v2, v1, s3
	s_mul_i32 s3, s6, 0x300
	s_addc_u32 s8, s25, s5
	s_add_i32 s5, s3, s26
	s_sub_i32 s33, s2, s5
	s_add_i32 s4, s6, -1
	s_addk_i32 s33, 0x300
	v_mov_b32_e32 v4, s2
	s_add_u32 s2, s26, s3
	v_readfirstlane_b32 s38, v1
	s_addc_u32 s3, s27, 0
	s_cmp_eq_u32 s38, s4
	s_cselect_b64 s[22:23], -1, 0
	s_cmp_lg_u32 s38, s4
	v_cmp_lt_u64_e32 vcc, s[2:3], v[4:5]
	s_cselect_b64 s[2:3], -1, 0
	v_lshlrev_b64 v[12:13], 3, v[2:3]
	s_or_b64 s[4:5], vcc, s[2:3]
	v_mov_b32_e32 v1, s8
	v_add_co_u32_e32 v14, vcc, s7, v12
	v_addc_co_u32_e32 v15, vcc, v1, v13, vcc
	s_mov_b64 s[2:3], -1
	s_and_b64 vcc, exec, s[4:5]
	v_lshlrev_b32_e32 v24, 3, v0
	v_lshrrev_b32_e32 v1, 2, v0
	s_cbranch_vccz .LBB2661_6
; %bb.5:
	v_add_co_u32_e32 v2, vcc, v14, v24
	v_addc_co_u32_e32 v3, vcc, 0, v15, vcc
	v_add_co_u32_e32 v4, vcc, 0x1000, v2
	v_addc_co_u32_e32 v5, vcc, 0, v3, vcc
	flat_load_dwordx2 v[6:7], v[2:3]
	flat_load_dwordx2 v[8:9], v[2:3] offset:1536
	flat_load_dwordx2 v[16:17], v[2:3] offset:3072
	;; [unrolled: 1-line block ×3, first 2 shown]
	v_add_u32_e32 v3, 0xc0, v0
	v_add_u32_e32 v4, 0x180, v0
	;; [unrolled: 1-line block ×3, first 2 shown]
	v_and_b32_e32 v2, 56, v1
	v_lshrrev_b32_e32 v3, 2, v3
	v_lshrrev_b32_e32 v4, 2, v4
	;; [unrolled: 1-line block ×3, first 2 shown]
	v_add_u32_e32 v2, v2, v24
	v_and_b32_e32 v3, 0x78, v3
	v_and_b32_e32 v4, 0xf8, v4
	;; [unrolled: 1-line block ×3, first 2 shown]
	v_add_u32_e32 v3, v3, v24
	v_add_u32_e32 v4, v4, v24
	;; [unrolled: 1-line block ×3, first 2 shown]
	s_mov_b64 s[2:3], 0
	s_waitcnt vmcnt(0) lgkmcnt(0)
	ds_write_b64 v2, v[6:7]
	ds_write_b64 v3, v[8:9] offset:1536
	ds_write_b64 v4, v[16:17] offset:3072
	;; [unrolled: 1-line block ×3, first 2 shown]
	s_waitcnt lgkmcnt(0)
	s_barrier
.LBB2661_6:
	s_andn2_b64 vcc, exec, s[2:3]
	v_cmp_gt_u32_e64 s[2:3], s33, v0
	s_cbranch_vccnz .LBB2661_16
; %bb.7:
                                        ; implicit-def: $vgpr2_vgpr3_vgpr4_vgpr5_vgpr6_vgpr7_vgpr8_vgpr9
	s_and_saveexec_b64 s[6:7], s[2:3]
	s_cbranch_execz .LBB2661_9
; %bb.8:
	v_add_co_u32_e32 v2, vcc, v14, v24
	v_addc_co_u32_e32 v3, vcc, 0, v15, vcc
	flat_load_dwordx2 v[2:3], v[2:3]
.LBB2661_9:
	s_or_b64 exec, exec, s[6:7]
	v_add_u32_e32 v16, 0xc0, v0
	v_cmp_gt_u32_e32 vcc, s33, v16
	s_and_saveexec_b64 s[2:3], vcc
	s_cbranch_execz .LBB2661_11
; %bb.10:
	v_add_co_u32_e32 v4, vcc, v14, v24
	v_addc_co_u32_e32 v5, vcc, 0, v15, vcc
	flat_load_dwordx2 v[4:5], v[4:5] offset:1536
.LBB2661_11:
	s_or_b64 exec, exec, s[2:3]
	v_add_u32_e32 v17, 0x180, v0
	v_cmp_gt_u32_e32 vcc, s33, v17
	s_and_saveexec_b64 s[2:3], vcc
	s_cbranch_execz .LBB2661_13
; %bb.12:
	v_add_co_u32_e32 v6, vcc, v14, v24
	v_addc_co_u32_e32 v7, vcc, 0, v15, vcc
	flat_load_dwordx2 v[6:7], v[6:7] offset:3072
.LBB2661_13:
	s_or_b64 exec, exec, s[2:3]
	v_add_u32_e32 v18, 0x240, v0
	v_cmp_gt_u32_e32 vcc, s33, v18
	s_and_saveexec_b64 s[2:3], vcc
	s_cbranch_execz .LBB2661_15
; %bb.14:
	v_lshlrev_b32_e32 v8, 3, v18
	v_add_co_u32_e32 v8, vcc, v14, v8
	v_addc_co_u32_e32 v9, vcc, 0, v15, vcc
	flat_load_dwordx2 v[8:9], v[8:9]
.LBB2661_15:
	s_or_b64 exec, exec, s[2:3]
	v_and_b32_e32 v1, 56, v1
	v_add_u32_e32 v1, v1, v24
	s_waitcnt vmcnt(0) lgkmcnt(0)
	ds_write_b64 v1, v[2:3]
	v_lshrrev_b32_e32 v1, 2, v16
	v_and_b32_e32 v1, 0x78, v1
	v_add_u32_e32 v1, v1, v24
	ds_write_b64 v1, v[4:5] offset:1536
	v_lshrrev_b32_e32 v1, 2, v17
	v_and_b32_e32 v1, 0xf8, v1
	v_add_u32_e32 v1, v1, v24
	ds_write_b64 v1, v[6:7] offset:3072
	v_lshrrev_b32_e32 v1, 2, v18
	v_and_b32_e32 v1, 0xf8, v1
	v_add_u32_e32 v1, v1, v24
	ds_write_b64 v1, v[8:9] offset:4608
	s_waitcnt lgkmcnt(0)
	s_barrier
.LBB2661_16:
	v_lshlrev_b32_e32 v1, 2, v0
	v_lshrrev_b32_e32 v2, 3, v0
	v_add_lshl_u32 v2, v2, v1, 3
	ds_read2_b64 v[6:9], v2 offset1:1
	ds_read2_b64 v[2:5], v2 offset0:2 offset1:3
	v_cndmask_b32_e64 v14, 0, 1, s[4:5]
	v_cmp_ne_u32_e64 s[2:3], 1, v14
	s_andn2_b64 vcc, exec, s[4:5]
	s_waitcnt lgkmcnt(1)
	v_xor_b32_e32 v17, -1, v6
	v_xor_b32_e32 v16, -1, v8
	s_waitcnt lgkmcnt(0)
	v_xor_b32_e32 v15, -1, v2
	v_xor_b32_e32 v14, -1, v4
	s_barrier
	s_cbranch_vccnz .LBB2661_18
; %bb.17:
	v_mov_b32_e32 v19, 1
	v_and_b32_e32 v18, 1, v17
	v_and_b32_sdwa v20, v16, v19 dst_sel:BYTE_1 dst_unused:UNUSED_PAD src0_sel:DWORD src1_sel:DWORD
	v_and_b32_e32 v21, 1, v15
	v_and_b32_sdwa v19, v14, v19 dst_sel:BYTE_1 dst_unused:UNUSED_PAD src0_sel:DWORD src1_sel:DWORD
	v_or_b32_e32 v18, v18, v20
	v_or_b32_sdwa v19, v21, v19 dst_sel:WORD_1 dst_unused:UNUSED_PAD src0_sel:DWORD src1_sel:DWORD
	v_or_b32_sdwa v25, v18, v19 dst_sel:DWORD dst_unused:UNUSED_PAD src0_sel:WORD_0 src1_sel:DWORD
	s_cbranch_execz .LBB2661_19
	s_branch .LBB2661_20
.LBB2661_18:
                                        ; implicit-def: $vgpr25
.LBB2661_19:
	v_cmp_gt_u32_e32 vcc, s33, v1
	v_cndmask_b32_e64 v18, 0, 1, vcc
	v_and_b32_e32 v17, v18, v17
	v_or_b32_e32 v18, 1, v1
	v_cmp_gt_u32_e32 vcc, s33, v18
	v_cndmask_b32_e64 v18, 0, 1, vcc
	v_and_b32_sdwa v16, v18, v16 dst_sel:BYTE_1 dst_unused:UNUSED_PAD src0_sel:DWORD src1_sel:DWORD
	v_or_b32_e32 v18, 2, v1
	v_cmp_gt_u32_e32 vcc, s33, v18
	v_cndmask_b32_e64 v18, 0, 1, vcc
	v_and_b32_e32 v15, v18, v15
	v_or_b32_e32 v18, 3, v1
	v_cmp_gt_u32_e32 vcc, s33, v18
	v_cndmask_b32_e64 v18, 0, 1, vcc
	v_and_b32_sdwa v14, v18, v14 dst_sel:BYTE_1 dst_unused:UNUSED_PAD src0_sel:DWORD src1_sel:DWORD
	v_or_b32_e32 v16, v17, v16
	v_or_b32_sdwa v14, v15, v14 dst_sel:WORD_1 dst_unused:UNUSED_PAD src0_sel:DWORD src1_sel:DWORD
	v_or_b32_sdwa v25, v16, v14 dst_sel:DWORD dst_unused:UNUSED_PAD src0_sel:WORD_0 src1_sel:DWORD
.LBB2661_20:
	v_bfe_u32 v27, v25, 16, 8
	v_lshrrev_b32_e32 v26, 24, v25
	v_add_u32_sdwa v14, v25, v25 dst_sel:DWORD dst_unused:UNUSED_PAD src0_sel:BYTE_1 src1_sel:BYTE_0
	v_add3_u32 v30, v14, v27, v26
	v_mbcnt_lo_u32_b32 v14, -1, 0
	v_mbcnt_hi_u32_b32 v28, -1, v14
	v_and_b32_e32 v14, 15, v28
	v_cmp_eq_u32_e64 s[16:17], 0, v14
	v_cmp_lt_u32_e64 s[14:15], 1, v14
	v_cmp_lt_u32_e64 s[12:13], 3, v14
	;; [unrolled: 1-line block ×3, first 2 shown]
	v_and_b32_e32 v14, 16, v28
	v_cmp_eq_u32_e64 s[6:7], 0, v14
	v_and_b32_e32 v14, 0xc0, v0
	v_min_u32_e32 v14, 0x80, v14
	v_or_b32_e32 v14, 63, v14
	s_cmp_lg_u32 s38, 0
	v_cmp_lt_u32_e64 s[4:5], 31, v28
	v_lshrrev_b32_e32 v29, 6, v0
	v_cmp_eq_u32_e64 s[8:9], v14, v0
	s_cbranch_scc0 .LBB2661_51
; %bb.21:
	v_mov_b32_dpp v14, v30 row_shr:1 row_mask:0xf bank_mask:0xf
	v_cndmask_b32_e64 v14, v14, 0, s[16:17]
	v_add_u32_e32 v14, v14, v30
	s_nop 1
	v_mov_b32_dpp v15, v14 row_shr:2 row_mask:0xf bank_mask:0xf
	v_cndmask_b32_e64 v15, 0, v15, s[14:15]
	v_add_u32_e32 v14, v14, v15
	s_nop 1
	;; [unrolled: 4-line block ×4, first 2 shown]
	v_mov_b32_dpp v15, v14 row_bcast:15 row_mask:0xf bank_mask:0xf
	v_cndmask_b32_e64 v15, v15, 0, s[6:7]
	v_add_u32_e32 v14, v14, v15
	s_nop 1
	v_mov_b32_dpp v15, v14 row_bcast:31 row_mask:0xf bank_mask:0xf
	v_cndmask_b32_e64 v15, 0, v15, s[4:5]
	v_add_u32_e32 v14, v14, v15
	s_and_saveexec_b64 s[18:19], s[8:9]
	s_cbranch_execz .LBB2661_23
; %bb.22:
	v_lshlrev_b32_e32 v15, 2, v29
	ds_write_b32 v15, v14
.LBB2661_23:
	s_or_b64 exec, exec, s[18:19]
	v_cmp_gt_u32_e32 vcc, 3, v0
	s_waitcnt lgkmcnt(0)
	s_barrier
	s_and_saveexec_b64 s[18:19], vcc
	s_cbranch_execz .LBB2661_25
; %bb.24:
	ds_read_b32 v15, v1
	v_and_b32_e32 v16, 3, v28
	v_cmp_ne_u32_e32 vcc, 0, v16
	s_waitcnt lgkmcnt(0)
	v_mov_b32_dpp v17, v15 row_shr:1 row_mask:0xf bank_mask:0xf
	v_cndmask_b32_e32 v17, 0, v17, vcc
	v_add_u32_e32 v15, v17, v15
	v_cmp_lt_u32_e32 vcc, 1, v16
	s_nop 0
	v_mov_b32_dpp v17, v15 row_shr:2 row_mask:0xf bank_mask:0xf
	v_cndmask_b32_e32 v16, 0, v17, vcc
	v_add_u32_e32 v15, v15, v16
	ds_write_b32 v1, v15
.LBB2661_25:
	s_or_b64 exec, exec, s[18:19]
	v_cmp_gt_u32_e32 vcc, 64, v0
	v_cmp_lt_u32_e64 s[18:19], 63, v0
	s_waitcnt lgkmcnt(0)
	s_barrier
	s_waitcnt lgkmcnt(0)
                                        ; implicit-def: $vgpr31
	s_and_saveexec_b64 s[24:25], s[18:19]
	s_cbranch_execz .LBB2661_27
; %bb.26:
	v_lshl_add_u32 v15, v29, 2, -4
	ds_read_b32 v31, v15
	s_waitcnt lgkmcnt(0)
	v_add_u32_e32 v14, v31, v14
.LBB2661_27:
	s_or_b64 exec, exec, s[24:25]
	v_add_u32_e32 v15, -1, v28
	v_and_b32_e32 v16, 64, v28
	v_cmp_lt_i32_e64 s[18:19], v15, v16
	v_cndmask_b32_e64 v15, v15, v28, s[18:19]
	v_lshlrev_b32_e32 v15, 2, v15
	ds_bpermute_b32 v32, v15, v14
	v_cmp_eq_u32_e64 s[18:19], 0, v28
	s_and_saveexec_b64 s[24:25], vcc
	s_cbranch_execz .LBB2661_50
; %bb.28:
	v_mov_b32_e32 v23, 0
	ds_read_b32 v14, v23 offset:8
	s_and_saveexec_b64 s[34:35], s[18:19]
	s_cbranch_execz .LBB2661_30
; %bb.29:
	s_add_i32 s36, s38, 64
	s_mov_b32 s37, 0
	s_lshl_b64 s[36:37], s[36:37], 3
	s_add_u32 s36, s30, s36
	v_mov_b32_e32 v15, 1
	s_addc_u32 s37, s31, s37
	s_waitcnt lgkmcnt(0)
	global_store_dwordx2 v23, v[14:15], s[36:37]
.LBB2661_30:
	s_or_b64 exec, exec, s[34:35]
	v_xad_u32 v16, v28, -1, s38
	v_add_u32_e32 v22, 64, v16
	v_lshlrev_b64 v[18:19], 3, v[22:23]
	v_mov_b32_e32 v15, s31
	v_add_co_u32_e32 v18, vcc, s30, v18
	v_addc_co_u32_e32 v19, vcc, v15, v19, vcc
	global_load_dwordx2 v[20:21], v[18:19], off glc
	s_waitcnt vmcnt(0)
	v_cmp_eq_u16_sdwa s[36:37], v21, v23 src0_sel:BYTE_0 src1_sel:DWORD
	s_and_saveexec_b64 s[34:35], s[36:37]
	s_cbranch_execz .LBB2661_36
; %bb.31:
	s_mov_b32 s39, 1
	s_mov_b64 s[36:37], 0
	v_mov_b32_e32 v15, 0
.LBB2661_32:                            ; =>This Loop Header: Depth=1
                                        ;     Child Loop BB2661_33 Depth 2
	s_max_u32 s40, s39, 1
.LBB2661_33:                            ;   Parent Loop BB2661_32 Depth=1
                                        ; =>  This Inner Loop Header: Depth=2
	s_add_i32 s40, s40, -1
	s_cmp_eq_u32 s40, 0
	s_sleep 1
	s_cbranch_scc0 .LBB2661_33
; %bb.34:                               ;   in Loop: Header=BB2661_32 Depth=1
	global_load_dwordx2 v[20:21], v[18:19], off glc
	s_cmp_lt_u32 s39, 32
	s_cselect_b64 s[40:41], -1, 0
	s_cmp_lg_u64 s[40:41], 0
	s_addc_u32 s39, s39, 0
	s_waitcnt vmcnt(0)
	v_cmp_ne_u16_sdwa s[40:41], v21, v15 src0_sel:BYTE_0 src1_sel:DWORD
	s_or_b64 s[36:37], s[40:41], s[36:37]
	s_andn2_b64 exec, exec, s[36:37]
	s_cbranch_execnz .LBB2661_32
; %bb.35:
	s_or_b64 exec, exec, s[36:37]
.LBB2661_36:
	s_or_b64 exec, exec, s[34:35]
	v_and_b32_e32 v34, 63, v28
	v_mov_b32_e32 v33, 2
	v_cmp_ne_u32_e32 vcc, 63, v34
	v_cmp_eq_u16_sdwa s[34:35], v21, v33 src0_sel:BYTE_0 src1_sel:DWORD
	v_lshlrev_b64 v[18:19], v28, -1
	v_addc_co_u32_e32 v22, vcc, 0, v28, vcc
	v_and_b32_e32 v15, s35, v19
	v_lshlrev_b32_e32 v35, 2, v22
	v_or_b32_e32 v15, 0x80000000, v15
	ds_bpermute_b32 v22, v35, v20
	v_and_b32_e32 v17, s34, v18
	v_ffbl_b32_e32 v15, v15
	v_add_u32_e32 v15, 32, v15
	v_ffbl_b32_e32 v17, v17
	v_min_u32_e32 v15, v17, v15
	v_cmp_lt_u32_e32 vcc, v34, v15
	s_waitcnt lgkmcnt(0)
	v_cndmask_b32_e32 v17, 0, v22, vcc
	v_cmp_gt_u32_e32 vcc, 62, v34
	v_add_u32_e32 v17, v17, v20
	v_cndmask_b32_e64 v20, 0, 1, vcc
	v_lshlrev_b32_e32 v20, 1, v20
	v_add_lshl_u32 v36, v20, v28, 2
	ds_bpermute_b32 v20, v36, v17
	v_add_u32_e32 v37, 2, v34
	v_cmp_le_u32_e32 vcc, v37, v15
	v_add_u32_e32 v39, 4, v34
	v_add_u32_e32 v41, 8, v34
	s_waitcnt lgkmcnt(0)
	v_cndmask_b32_e32 v20, 0, v20, vcc
	v_cmp_gt_u32_e32 vcc, 60, v34
	v_add_u32_e32 v17, v17, v20
	v_cndmask_b32_e64 v20, 0, 1, vcc
	v_lshlrev_b32_e32 v20, 2, v20
	v_add_lshl_u32 v38, v20, v28, 2
	ds_bpermute_b32 v20, v38, v17
	v_cmp_le_u32_e32 vcc, v39, v15
	v_add_u32_e32 v43, 16, v34
	v_add_u32_e32 v45, 32, v34
	s_waitcnt lgkmcnt(0)
	v_cndmask_b32_e32 v20, 0, v20, vcc
	v_cmp_gt_u32_e32 vcc, 56, v34
	v_add_u32_e32 v17, v17, v20
	v_cndmask_b32_e64 v20, 0, 1, vcc
	v_lshlrev_b32_e32 v20, 3, v20
	v_add_lshl_u32 v40, v20, v28, 2
	ds_bpermute_b32 v20, v40, v17
	v_cmp_le_u32_e32 vcc, v41, v15
	s_waitcnt lgkmcnt(0)
	v_cndmask_b32_e32 v20, 0, v20, vcc
	v_cmp_gt_u32_e32 vcc, 48, v34
	v_add_u32_e32 v17, v17, v20
	v_cndmask_b32_e64 v20, 0, 1, vcc
	v_lshlrev_b32_e32 v20, 4, v20
	v_add_lshl_u32 v42, v20, v28, 2
	ds_bpermute_b32 v20, v42, v17
	v_cmp_le_u32_e32 vcc, v43, v15
	;; [unrolled: 9-line block ×3, first 2 shown]
	s_waitcnt lgkmcnt(0)
	v_cndmask_b32_e32 v15, 0, v20, vcc
	v_add_u32_e32 v20, v17, v15
	v_mov_b32_e32 v17, 0
	s_branch .LBB2661_38
.LBB2661_37:                            ;   in Loop: Header=BB2661_38 Depth=1
	s_or_b64 exec, exec, s[34:35]
	v_cmp_eq_u16_sdwa s[34:35], v21, v33 src0_sel:BYTE_0 src1_sel:DWORD
	v_and_b32_e32 v22, s35, v19
	v_or_b32_e32 v22, 0x80000000, v22
	ds_bpermute_b32 v46, v35, v20
	v_and_b32_e32 v23, s34, v18
	v_ffbl_b32_e32 v22, v22
	v_add_u32_e32 v22, 32, v22
	v_ffbl_b32_e32 v23, v23
	v_min_u32_e32 v22, v23, v22
	v_cmp_lt_u32_e32 vcc, v34, v22
	s_waitcnt lgkmcnt(0)
	v_cndmask_b32_e32 v23, 0, v46, vcc
	v_add_u32_e32 v20, v23, v20
	ds_bpermute_b32 v23, v36, v20
	v_cmp_le_u32_e32 vcc, v37, v22
	v_subrev_u32_e32 v16, 64, v16
	s_waitcnt lgkmcnt(0)
	v_cndmask_b32_e32 v23, 0, v23, vcc
	v_add_u32_e32 v20, v20, v23
	ds_bpermute_b32 v23, v38, v20
	v_cmp_le_u32_e32 vcc, v39, v22
	s_waitcnt lgkmcnt(0)
	v_cndmask_b32_e32 v23, 0, v23, vcc
	v_add_u32_e32 v20, v20, v23
	ds_bpermute_b32 v23, v40, v20
	v_cmp_le_u32_e32 vcc, v41, v22
	;; [unrolled: 5-line block ×4, first 2 shown]
	s_waitcnt lgkmcnt(0)
	v_cndmask_b32_e32 v22, 0, v23, vcc
	v_add3_u32 v20, v22, v15, v20
.LBB2661_38:                            ; =>This Loop Header: Depth=1
                                        ;     Child Loop BB2661_41 Depth 2
                                        ;       Child Loop BB2661_42 Depth 3
	v_cmp_ne_u16_sdwa s[34:35], v21, v33 src0_sel:BYTE_0 src1_sel:DWORD
	v_cndmask_b32_e64 v15, 0, 1, s[34:35]
	;;#ASMSTART
	;;#ASMEND
	v_cmp_ne_u32_e32 vcc, 0, v15
	s_cmp_lg_u64 vcc, exec
	v_mov_b32_e32 v15, v20
	s_cbranch_scc1 .LBB2661_45
; %bb.39:                               ;   in Loop: Header=BB2661_38 Depth=1
	v_lshlrev_b64 v[20:21], 3, v[16:17]
	v_mov_b32_e32 v23, s31
	v_add_co_u32_e32 v22, vcc, s30, v20
	v_addc_co_u32_e32 v23, vcc, v23, v21, vcc
	global_load_dwordx2 v[20:21], v[22:23], off glc
	s_waitcnt vmcnt(0)
	v_cmp_eq_u16_sdwa s[36:37], v21, v17 src0_sel:BYTE_0 src1_sel:DWORD
	s_and_saveexec_b64 s[34:35], s[36:37]
	s_cbranch_execz .LBB2661_37
; %bb.40:                               ;   in Loop: Header=BB2661_38 Depth=1
	s_mov_b32 s39, 1
	s_mov_b64 s[36:37], 0
.LBB2661_41:                            ;   Parent Loop BB2661_38 Depth=1
                                        ; =>  This Loop Header: Depth=2
                                        ;       Child Loop BB2661_42 Depth 3
	s_max_u32 s40, s39, 1
.LBB2661_42:                            ;   Parent Loop BB2661_38 Depth=1
                                        ;     Parent Loop BB2661_41 Depth=2
                                        ; =>    This Inner Loop Header: Depth=3
	s_add_i32 s40, s40, -1
	s_cmp_eq_u32 s40, 0
	s_sleep 1
	s_cbranch_scc0 .LBB2661_42
; %bb.43:                               ;   in Loop: Header=BB2661_41 Depth=2
	global_load_dwordx2 v[20:21], v[22:23], off glc
	s_cmp_lt_u32 s39, 32
	s_cselect_b64 s[40:41], -1, 0
	s_cmp_lg_u64 s[40:41], 0
	s_addc_u32 s39, s39, 0
	s_waitcnt vmcnt(0)
	v_cmp_ne_u16_sdwa s[40:41], v21, v17 src0_sel:BYTE_0 src1_sel:DWORD
	s_or_b64 s[36:37], s[40:41], s[36:37]
	s_andn2_b64 exec, exec, s[36:37]
	s_cbranch_execnz .LBB2661_41
; %bb.44:                               ;   in Loop: Header=BB2661_38 Depth=1
	s_or_b64 exec, exec, s[36:37]
	s_branch .LBB2661_37
.LBB2661_45:                            ;   in Loop: Header=BB2661_38 Depth=1
                                        ; implicit-def: $vgpr20
                                        ; implicit-def: $vgpr21
	s_cbranch_execz .LBB2661_38
; %bb.46:
	s_and_saveexec_b64 s[34:35], s[18:19]
	s_cbranch_execz .LBB2661_48
; %bb.47:
	s_add_i32 s36, s38, 64
	s_mov_b32 s37, 0
	s_lshl_b64 s[36:37], s[36:37], 3
	s_add_u32 s36, s30, s36
	v_add_u32_e32 v16, v15, v14
	v_mov_b32_e32 v17, 2
	s_addc_u32 s37, s31, s37
	v_mov_b32_e32 v18, 0
	global_store_dwordx2 v18, v[16:17], s[36:37]
	ds_write_b64 v18, v[14:15] offset:6336
.LBB2661_48:
	s_or_b64 exec, exec, s[34:35]
	s_and_b64 exec, exec, s[0:1]
	s_cbranch_execz .LBB2661_50
; %bb.49:
	v_mov_b32_e32 v14, 0
	ds_write_b32 v14, v15 offset:8
.LBB2661_50:
	s_or_b64 exec, exec, s[24:25]
	v_mov_b32_e32 v14, 0
	s_waitcnt lgkmcnt(0)
	s_barrier
	ds_read_b32 v15, v14 offset:8
	v_cndmask_b32_e64 v16, v32, v31, s[18:19]
	v_cndmask_b32_e64 v16, v16, 0, s[0:1]
	s_waitcnt lgkmcnt(0)
	s_barrier
	v_add_u32_e32 v18, v15, v16
	ds_read_b64 v[14:15], v14 offset:6336
	v_add_u32_sdwa v19, v18, v25 dst_sel:DWORD dst_unused:UNUSED_PAD src0_sel:DWORD src1_sel:BYTE_0
	v_add_u32_sdwa v17, v19, v25 dst_sel:DWORD dst_unused:UNUSED_PAD src0_sel:DWORD src1_sel:BYTE_1
	v_add_u32_e32 v16, v17, v27
	s_branch .LBB2661_61
.LBB2661_51:
                                        ; implicit-def: $vgpr15
                                        ; implicit-def: $vgpr16
                                        ; implicit-def: $vgpr17
                                        ; implicit-def: $vgpr19
                                        ; implicit-def: $vgpr18
	s_cbranch_execz .LBB2661_61
; %bb.52:
	s_waitcnt lgkmcnt(0)
	v_mov_b32_dpp v14, v30 row_shr:1 row_mask:0xf bank_mask:0xf
	v_cndmask_b32_e64 v14, v14, 0, s[16:17]
	v_add_u32_e32 v14, v14, v30
	s_nop 1
	v_mov_b32_dpp v15, v14 row_shr:2 row_mask:0xf bank_mask:0xf
	v_cndmask_b32_e64 v15, 0, v15, s[14:15]
	v_add_u32_e32 v14, v14, v15
	s_nop 1
	;; [unrolled: 4-line block ×4, first 2 shown]
	v_mov_b32_dpp v15, v14 row_bcast:15 row_mask:0xf bank_mask:0xf
	v_cndmask_b32_e64 v15, v15, 0, s[6:7]
	v_add_u32_e32 v14, v14, v15
	s_nop 1
	v_mov_b32_dpp v15, v14 row_bcast:31 row_mask:0xf bank_mask:0xf
	v_cndmask_b32_e64 v15, 0, v15, s[4:5]
	v_add_u32_e32 v14, v14, v15
	s_and_saveexec_b64 s[4:5], s[8:9]
	s_cbranch_execz .LBB2661_54
; %bb.53:
	v_lshlrev_b32_e32 v15, 2, v29
	ds_write_b32 v15, v14
.LBB2661_54:
	s_or_b64 exec, exec, s[4:5]
	v_cmp_gt_u32_e32 vcc, 3, v0
	s_waitcnt lgkmcnt(0)
	s_barrier
	s_and_saveexec_b64 s[4:5], vcc
	s_cbranch_execz .LBB2661_56
; %bb.55:
	ds_read_b32 v15, v1
	v_and_b32_e32 v16, 3, v28
	v_cmp_ne_u32_e32 vcc, 0, v16
	s_waitcnt lgkmcnt(0)
	v_mov_b32_dpp v17, v15 row_shr:1 row_mask:0xf bank_mask:0xf
	v_cndmask_b32_e32 v17, 0, v17, vcc
	v_add_u32_e32 v15, v17, v15
	v_cmp_lt_u32_e32 vcc, 1, v16
	s_nop 0
	v_mov_b32_dpp v17, v15 row_shr:2 row_mask:0xf bank_mask:0xf
	v_cndmask_b32_e32 v16, 0, v17, vcc
	v_add_u32_e32 v15, v15, v16
	ds_write_b32 v1, v15
.LBB2661_56:
	s_or_b64 exec, exec, s[4:5]
	v_cmp_lt_u32_e32 vcc, 63, v0
	v_mov_b32_e32 v15, 0
	v_mov_b32_e32 v16, 0
	s_waitcnt lgkmcnt(0)
	s_barrier
	s_and_saveexec_b64 s[4:5], vcc
	s_cbranch_execz .LBB2661_58
; %bb.57:
	v_lshl_add_u32 v16, v29, 2, -4
	ds_read_b32 v16, v16
.LBB2661_58:
	s_or_b64 exec, exec, s[4:5]
	v_add_u32_e32 v17, -1, v28
	v_and_b32_e32 v18, 64, v28
	v_cmp_lt_i32_e32 vcc, v17, v18
	v_cndmask_b32_e32 v17, v17, v28, vcc
	s_waitcnt lgkmcnt(0)
	v_add_u32_e32 v14, v16, v14
	v_lshlrev_b32_e32 v17, 2, v17
	ds_bpermute_b32 v17, v17, v14
	ds_read_b32 v14, v15 offset:8
	s_and_saveexec_b64 s[4:5], s[0:1]
	s_cbranch_execz .LBB2661_60
; %bb.59:
	v_mov_b32_e32 v18, 0
	v_mov_b32_e32 v15, 2
	s_waitcnt lgkmcnt(0)
	global_store_dwordx2 v18, v[14:15], s[30:31] offset:512
.LBB2661_60:
	s_or_b64 exec, exec, s[4:5]
	v_cmp_eq_u32_e32 vcc, 0, v28
	s_waitcnt lgkmcnt(1)
	v_cndmask_b32_e32 v16, v17, v16, vcc
	v_cndmask_b32_e64 v18, v16, 0, s[0:1]
	v_add_u32_sdwa v19, v18, v25 dst_sel:DWORD dst_unused:UNUSED_PAD src0_sel:DWORD src1_sel:BYTE_0
	v_add_u32_sdwa v17, v19, v25 dst_sel:DWORD dst_unused:UNUSED_PAD src0_sel:DWORD src1_sel:BYTE_1
	v_mov_b32_e32 v15, 0
	v_add_u32_e32 v16, v17, v27
	s_waitcnt lgkmcnt(0)
	s_barrier
.LBB2661_61:
	s_waitcnt lgkmcnt(0)
	v_add_u32_e32 v1, v14, v1
	v_sub_u32_e32 v18, v18, v15
	v_and_b32_e32 v22, 1, v25
	v_sub_u32_e32 v21, v1, v18
	v_cmp_eq_u32_e32 vcc, 1, v22
	v_cndmask_b32_e32 v18, v21, v18, vcc
	v_lshlrev_b32_e32 v18, 3, v18
	v_lshrrev_b32_e32 v20, 8, v25
	ds_write_b64 v18, v[6:7]
	v_sub_u32_e32 v6, v19, v15
	v_sub_u32_e32 v7, v1, v6
	v_and_b32_e32 v18, 1, v20
	v_add_u32_e32 v7, 1, v7
	v_cmp_eq_u32_e32 vcc, 1, v18
	v_cndmask_b32_e32 v6, v7, v6, vcc
	v_lshlrev_b32_e32 v6, 3, v6
	ds_write_b64 v6, v[8:9]
	v_sub_u32_e32 v6, v17, v15
	v_mov_b32_e32 v8, 1
	v_sub_u32_e32 v7, v1, v6
	v_and_b32_sdwa v8, v8, v25 dst_sel:DWORD dst_unused:UNUSED_PAD src0_sel:DWORD src1_sel:WORD_1
	v_add_u32_e32 v7, 2, v7
	v_cmp_eq_u32_e32 vcc, 1, v8
	v_cndmask_b32_e32 v6, v7, v6, vcc
	v_lshlrev_b32_e32 v6, 3, v6
	ds_write_b64 v6, v[2:3]
	v_sub_u32_e32 v2, v16, v15
	v_sub_u32_e32 v1, v1, v2
	v_and_b32_e32 v3, 1, v26
	v_add_u32_e32 v1, 3, v1
	v_cmp_eq_u32_e32 vcc, 1, v3
	v_cndmask_b32_e32 v1, v1, v2, vcc
	v_lshlrev_b32_e32 v1, 3, v1
	ds_write_b64 v1, v[4:5]
	s_waitcnt vmcnt(0)
	v_add_co_u32_e32 v1, vcc, v10, v14
	v_addc_co_u32_e32 v11, vcc, 0, v11, vcc
	v_add_co_u32_e32 v10, vcc, v1, v15
	v_addc_co_u32_e32 v11, vcc, 0, v11, vcc
	v_mov_b32_e32 v1, s27
	v_sub_co_u32_e32 v20, vcc, s26, v10
	v_subb_co_u32_e32 v21, vcc, v1, v11, vcc
	v_lshlrev_b64 v[20:21], 3, v[20:21]
	s_waitcnt lgkmcnt(0)
	s_barrier
	ds_read2st64_b64 v[6:9], v24 offset1:3
	ds_read2st64_b64 v[2:5], v24 offset0:6 offset1:9
	v_mov_b32_e32 v1, s29
	v_add_co_u32_e32 v15, vcc, s28, v20
	v_addc_co_u32_e32 v1, vcc, v1, v21, vcc
	v_add_co_u32_e32 v12, vcc, v15, v12
	v_addc_co_u32_e32 v1, vcc, v1, v13, vcc
	v_add_u32_e32 v18, 0xc0, v0
	v_add_u32_e32 v17, 0x180, v0
	;; [unrolled: 1-line block ×3, first 2 shown]
	s_and_b64 vcc, exec, s[2:3]
	v_cmp_ge_u32_e64 s[2:3], v0, v14
	s_cbranch_vccnz .LBB2661_67
; %bb.62:
	s_and_saveexec_b64 s[4:5], s[2:3]
	s_cbranch_execnz .LBB2661_80
; %bb.63:
	s_or_b64 exec, exec, s[4:5]
	v_cmp_ge_u32_e32 vcc, v18, v14
	s_and_saveexec_b64 s[2:3], vcc
	s_cbranch_execnz .LBB2661_81
.LBB2661_64:
	s_or_b64 exec, exec, s[2:3]
	v_cmp_ge_u32_e32 vcc, v17, v14
	s_and_saveexec_b64 s[2:3], vcc
	s_cbranch_execz .LBB2661_66
.LBB2661_65:
	v_readfirstlane_b32 s4, v12
	v_readfirstlane_b32 s5, v1
	s_waitcnt lgkmcnt(0)
	s_nop 3
	global_store_dwordx2 v24, v[2:3], s[4:5] offset:3072
.LBB2661_66:
	s_or_b64 exec, exec, s[2:3]
	v_cmp_ge_u32_e64 s[2:3], v16, v14
	s_branch .LBB2661_75
.LBB2661_67:
	s_mov_b64 s[2:3], 0
	s_cbranch_execz .LBB2661_75
; %bb.68:
	v_cmp_gt_u32_e32 vcc, s33, v0
	v_cmp_ge_u32_e64 s[2:3], v0, v14
	s_and_b64 s[4:5], vcc, s[2:3]
	s_and_saveexec_b64 s[2:3], s[4:5]
	s_cbranch_execz .LBB2661_70
; %bb.69:
	v_readfirstlane_b32 s4, v12
	v_readfirstlane_b32 s5, v1
	s_waitcnt lgkmcnt(1)
	s_nop 3
	global_store_dwordx2 v24, v[6:7], s[4:5]
.LBB2661_70:
	s_or_b64 exec, exec, s[2:3]
	v_cmp_gt_u32_e32 vcc, s33, v18
	v_cmp_ge_u32_e64 s[2:3], v18, v14
	s_and_b64 s[4:5], vcc, s[2:3]
	s_and_saveexec_b64 s[2:3], s[4:5]
	s_cbranch_execz .LBB2661_72
; %bb.71:
	v_readfirstlane_b32 s4, v12
	v_readfirstlane_b32 s5, v1
	s_waitcnt lgkmcnt(1)
	s_nop 3
	global_store_dwordx2 v24, v[8:9], s[4:5] offset:1536
.LBB2661_72:
	s_or_b64 exec, exec, s[2:3]
	v_cmp_gt_u32_e32 vcc, s33, v17
	v_cmp_ge_u32_e64 s[2:3], v17, v14
	s_and_b64 s[4:5], vcc, s[2:3]
	s_and_saveexec_b64 s[2:3], s[4:5]
	s_cbranch_execz .LBB2661_74
; %bb.73:
	v_readfirstlane_b32 s4, v12
	v_readfirstlane_b32 s5, v1
	s_waitcnt lgkmcnt(0)
	s_nop 3
	global_store_dwordx2 v24, v[2:3], s[4:5] offset:3072
.LBB2661_74:
	s_or_b64 exec, exec, s[2:3]
	v_cmp_gt_u32_e32 vcc, s33, v16
	v_cmp_ge_u32_e64 s[2:3], v16, v14
	s_and_b64 s[2:3], vcc, s[2:3]
.LBB2661_75:
	s_and_saveexec_b64 s[4:5], s[2:3]
	s_cbranch_execnz .LBB2661_78
; %bb.76:
	s_or_b64 exec, exec, s[4:5]
	s_and_b64 s[0:1], s[0:1], s[22:23]
	s_and_saveexec_b64 s[2:3], s[0:1]
	s_cbranch_execnz .LBB2661_79
.LBB2661_77:
	s_endpgm
.LBB2661_78:
	v_lshlrev_b32_e32 v0, 3, v16
	v_readfirstlane_b32 s2, v12
	v_readfirstlane_b32 s3, v1
	s_waitcnt lgkmcnt(0)
	s_nop 3
	global_store_dwordx2 v0, v[4:5], s[2:3]
	s_or_b64 exec, exec, s[4:5]
	s_and_b64 s[0:1], s[0:1], s[22:23]
	s_and_saveexec_b64 s[2:3], s[0:1]
	s_cbranch_execz .LBB2661_77
.LBB2661_79:
	v_mov_b32_e32 v0, 0
	global_store_dwordx2 v0, v[10:11], s[20:21]
	s_endpgm
.LBB2661_80:
	v_readfirstlane_b32 s2, v12
	v_readfirstlane_b32 s3, v1
	s_waitcnt lgkmcnt(1)
	s_nop 3
	global_store_dwordx2 v24, v[6:7], s[2:3]
	s_or_b64 exec, exec, s[4:5]
	v_cmp_ge_u32_e32 vcc, v18, v14
	s_and_saveexec_b64 s[2:3], vcc
	s_cbranch_execz .LBB2661_64
.LBB2661_81:
	v_readfirstlane_b32 s4, v12
	v_readfirstlane_b32 s5, v1
	s_waitcnt lgkmcnt(1)
	s_nop 3
	global_store_dwordx2 v24, v[8:9], s[4:5] offset:1536
	s_or_b64 exec, exec, s[2:3]
	v_cmp_ge_u32_e32 vcc, v17, v14
	s_and_saveexec_b64 s[2:3], vcc
	s_cbranch_execnz .LBB2661_65
	s_branch .LBB2661_66
	.section	.rodata,"a",@progbits
	.p2align	6, 0x0
	.amdhsa_kernel _ZN7rocprim17ROCPRIM_400000_NS6detail17trampoline_kernelINS0_14default_configENS1_25partition_config_selectorILNS1_17partition_subalgoE0ExNS0_10empty_typeEbEEZZNS1_14partition_implILS5_0ELb0ES3_jN6thrust23THRUST_200600_302600_NS6detail15normal_iteratorINSA_10device_ptrIxEEEEPS6_SG_NS0_5tupleIJNSA_16discard_iteratorINSA_11use_defaultEEESF_EEENSH_IJSG_SG_EEES6_PlJ7is_evenIxEEEE10hipError_tPvRmT3_T4_T5_T6_T7_T9_mT8_P12ihipStream_tbDpT10_ENKUlT_T0_E_clISt17integral_constantIbLb1EES19_EEDaS14_S15_EUlS14_E_NS1_11comp_targetILNS1_3genE4ELNS1_11target_archE910ELNS1_3gpuE8ELNS1_3repE0EEENS1_30default_config_static_selectorELNS0_4arch9wavefront6targetE1EEEvT1_
		.amdhsa_group_segment_fixed_size 6344
		.amdhsa_private_segment_fixed_size 0
		.amdhsa_kernarg_size 144
		.amdhsa_user_sgpr_count 6
		.amdhsa_user_sgpr_private_segment_buffer 1
		.amdhsa_user_sgpr_dispatch_ptr 0
		.amdhsa_user_sgpr_queue_ptr 0
		.amdhsa_user_sgpr_kernarg_segment_ptr 1
		.amdhsa_user_sgpr_dispatch_id 0
		.amdhsa_user_sgpr_flat_scratch_init 0
		.amdhsa_user_sgpr_kernarg_preload_length 0
		.amdhsa_user_sgpr_kernarg_preload_offset 0
		.amdhsa_user_sgpr_private_segment_size 0
		.amdhsa_uses_dynamic_stack 0
		.amdhsa_system_sgpr_private_segment_wavefront_offset 0
		.amdhsa_system_sgpr_workgroup_id_x 1
		.amdhsa_system_sgpr_workgroup_id_y 0
		.amdhsa_system_sgpr_workgroup_id_z 0
		.amdhsa_system_sgpr_workgroup_info 0
		.amdhsa_system_vgpr_workitem_id 0
		.amdhsa_next_free_vgpr 47
		.amdhsa_next_free_sgpr 42
		.amdhsa_accum_offset 48
		.amdhsa_reserve_vcc 1
		.amdhsa_reserve_flat_scratch 0
		.amdhsa_float_round_mode_32 0
		.amdhsa_float_round_mode_16_64 0
		.amdhsa_float_denorm_mode_32 3
		.amdhsa_float_denorm_mode_16_64 3
		.amdhsa_dx10_clamp 1
		.amdhsa_ieee_mode 1
		.amdhsa_fp16_overflow 0
		.amdhsa_tg_split 0
		.amdhsa_exception_fp_ieee_invalid_op 0
		.amdhsa_exception_fp_denorm_src 0
		.amdhsa_exception_fp_ieee_div_zero 0
		.amdhsa_exception_fp_ieee_overflow 0
		.amdhsa_exception_fp_ieee_underflow 0
		.amdhsa_exception_fp_ieee_inexact 0
		.amdhsa_exception_int_div_zero 0
	.end_amdhsa_kernel
	.section	.text._ZN7rocprim17ROCPRIM_400000_NS6detail17trampoline_kernelINS0_14default_configENS1_25partition_config_selectorILNS1_17partition_subalgoE0ExNS0_10empty_typeEbEEZZNS1_14partition_implILS5_0ELb0ES3_jN6thrust23THRUST_200600_302600_NS6detail15normal_iteratorINSA_10device_ptrIxEEEEPS6_SG_NS0_5tupleIJNSA_16discard_iteratorINSA_11use_defaultEEESF_EEENSH_IJSG_SG_EEES6_PlJ7is_evenIxEEEE10hipError_tPvRmT3_T4_T5_T6_T7_T9_mT8_P12ihipStream_tbDpT10_ENKUlT_T0_E_clISt17integral_constantIbLb1EES19_EEDaS14_S15_EUlS14_E_NS1_11comp_targetILNS1_3genE4ELNS1_11target_archE910ELNS1_3gpuE8ELNS1_3repE0EEENS1_30default_config_static_selectorELNS0_4arch9wavefront6targetE1EEEvT1_,"axG",@progbits,_ZN7rocprim17ROCPRIM_400000_NS6detail17trampoline_kernelINS0_14default_configENS1_25partition_config_selectorILNS1_17partition_subalgoE0ExNS0_10empty_typeEbEEZZNS1_14partition_implILS5_0ELb0ES3_jN6thrust23THRUST_200600_302600_NS6detail15normal_iteratorINSA_10device_ptrIxEEEEPS6_SG_NS0_5tupleIJNSA_16discard_iteratorINSA_11use_defaultEEESF_EEENSH_IJSG_SG_EEES6_PlJ7is_evenIxEEEE10hipError_tPvRmT3_T4_T5_T6_T7_T9_mT8_P12ihipStream_tbDpT10_ENKUlT_T0_E_clISt17integral_constantIbLb1EES19_EEDaS14_S15_EUlS14_E_NS1_11comp_targetILNS1_3genE4ELNS1_11target_archE910ELNS1_3gpuE8ELNS1_3repE0EEENS1_30default_config_static_selectorELNS0_4arch9wavefront6targetE1EEEvT1_,comdat
.Lfunc_end2661:
	.size	_ZN7rocprim17ROCPRIM_400000_NS6detail17trampoline_kernelINS0_14default_configENS1_25partition_config_selectorILNS1_17partition_subalgoE0ExNS0_10empty_typeEbEEZZNS1_14partition_implILS5_0ELb0ES3_jN6thrust23THRUST_200600_302600_NS6detail15normal_iteratorINSA_10device_ptrIxEEEEPS6_SG_NS0_5tupleIJNSA_16discard_iteratorINSA_11use_defaultEEESF_EEENSH_IJSG_SG_EEES6_PlJ7is_evenIxEEEE10hipError_tPvRmT3_T4_T5_T6_T7_T9_mT8_P12ihipStream_tbDpT10_ENKUlT_T0_E_clISt17integral_constantIbLb1EES19_EEDaS14_S15_EUlS14_E_NS1_11comp_targetILNS1_3genE4ELNS1_11target_archE910ELNS1_3gpuE8ELNS1_3repE0EEENS1_30default_config_static_selectorELNS0_4arch9wavefront6targetE1EEEvT1_, .Lfunc_end2661-_ZN7rocprim17ROCPRIM_400000_NS6detail17trampoline_kernelINS0_14default_configENS1_25partition_config_selectorILNS1_17partition_subalgoE0ExNS0_10empty_typeEbEEZZNS1_14partition_implILS5_0ELb0ES3_jN6thrust23THRUST_200600_302600_NS6detail15normal_iteratorINSA_10device_ptrIxEEEEPS6_SG_NS0_5tupleIJNSA_16discard_iteratorINSA_11use_defaultEEESF_EEENSH_IJSG_SG_EEES6_PlJ7is_evenIxEEEE10hipError_tPvRmT3_T4_T5_T6_T7_T9_mT8_P12ihipStream_tbDpT10_ENKUlT_T0_E_clISt17integral_constantIbLb1EES19_EEDaS14_S15_EUlS14_E_NS1_11comp_targetILNS1_3genE4ELNS1_11target_archE910ELNS1_3gpuE8ELNS1_3repE0EEENS1_30default_config_static_selectorELNS0_4arch9wavefront6targetE1EEEvT1_
                                        ; -- End function
	.section	.AMDGPU.csdata,"",@progbits
; Kernel info:
; codeLenInByte = 3780
; NumSgprs: 46
; NumVgprs: 47
; NumAgprs: 0
; TotalNumVgprs: 47
; ScratchSize: 0
; MemoryBound: 0
; FloatMode: 240
; IeeeMode: 1
; LDSByteSize: 6344 bytes/workgroup (compile time only)
; SGPRBlocks: 5
; VGPRBlocks: 5
; NumSGPRsForWavesPerEU: 46
; NumVGPRsForWavesPerEU: 47
; AccumOffset: 48
; Occupancy: 8
; WaveLimiterHint : 1
; COMPUTE_PGM_RSRC2:SCRATCH_EN: 0
; COMPUTE_PGM_RSRC2:USER_SGPR: 6
; COMPUTE_PGM_RSRC2:TRAP_HANDLER: 0
; COMPUTE_PGM_RSRC2:TGID_X_EN: 1
; COMPUTE_PGM_RSRC2:TGID_Y_EN: 0
; COMPUTE_PGM_RSRC2:TGID_Z_EN: 0
; COMPUTE_PGM_RSRC2:TIDIG_COMP_CNT: 0
; COMPUTE_PGM_RSRC3_GFX90A:ACCUM_OFFSET: 11
; COMPUTE_PGM_RSRC3_GFX90A:TG_SPLIT: 0
	.section	.text._ZN7rocprim17ROCPRIM_400000_NS6detail17trampoline_kernelINS0_14default_configENS1_25partition_config_selectorILNS1_17partition_subalgoE0ExNS0_10empty_typeEbEEZZNS1_14partition_implILS5_0ELb0ES3_jN6thrust23THRUST_200600_302600_NS6detail15normal_iteratorINSA_10device_ptrIxEEEEPS6_SG_NS0_5tupleIJNSA_16discard_iteratorINSA_11use_defaultEEESF_EEENSH_IJSG_SG_EEES6_PlJ7is_evenIxEEEE10hipError_tPvRmT3_T4_T5_T6_T7_T9_mT8_P12ihipStream_tbDpT10_ENKUlT_T0_E_clISt17integral_constantIbLb1EES19_EEDaS14_S15_EUlS14_E_NS1_11comp_targetILNS1_3genE3ELNS1_11target_archE908ELNS1_3gpuE7ELNS1_3repE0EEENS1_30default_config_static_selectorELNS0_4arch9wavefront6targetE1EEEvT1_,"axG",@progbits,_ZN7rocprim17ROCPRIM_400000_NS6detail17trampoline_kernelINS0_14default_configENS1_25partition_config_selectorILNS1_17partition_subalgoE0ExNS0_10empty_typeEbEEZZNS1_14partition_implILS5_0ELb0ES3_jN6thrust23THRUST_200600_302600_NS6detail15normal_iteratorINSA_10device_ptrIxEEEEPS6_SG_NS0_5tupleIJNSA_16discard_iteratorINSA_11use_defaultEEESF_EEENSH_IJSG_SG_EEES6_PlJ7is_evenIxEEEE10hipError_tPvRmT3_T4_T5_T6_T7_T9_mT8_P12ihipStream_tbDpT10_ENKUlT_T0_E_clISt17integral_constantIbLb1EES19_EEDaS14_S15_EUlS14_E_NS1_11comp_targetILNS1_3genE3ELNS1_11target_archE908ELNS1_3gpuE7ELNS1_3repE0EEENS1_30default_config_static_selectorELNS0_4arch9wavefront6targetE1EEEvT1_,comdat
	.protected	_ZN7rocprim17ROCPRIM_400000_NS6detail17trampoline_kernelINS0_14default_configENS1_25partition_config_selectorILNS1_17partition_subalgoE0ExNS0_10empty_typeEbEEZZNS1_14partition_implILS5_0ELb0ES3_jN6thrust23THRUST_200600_302600_NS6detail15normal_iteratorINSA_10device_ptrIxEEEEPS6_SG_NS0_5tupleIJNSA_16discard_iteratorINSA_11use_defaultEEESF_EEENSH_IJSG_SG_EEES6_PlJ7is_evenIxEEEE10hipError_tPvRmT3_T4_T5_T6_T7_T9_mT8_P12ihipStream_tbDpT10_ENKUlT_T0_E_clISt17integral_constantIbLb1EES19_EEDaS14_S15_EUlS14_E_NS1_11comp_targetILNS1_3genE3ELNS1_11target_archE908ELNS1_3gpuE7ELNS1_3repE0EEENS1_30default_config_static_selectorELNS0_4arch9wavefront6targetE1EEEvT1_ ; -- Begin function _ZN7rocprim17ROCPRIM_400000_NS6detail17trampoline_kernelINS0_14default_configENS1_25partition_config_selectorILNS1_17partition_subalgoE0ExNS0_10empty_typeEbEEZZNS1_14partition_implILS5_0ELb0ES3_jN6thrust23THRUST_200600_302600_NS6detail15normal_iteratorINSA_10device_ptrIxEEEEPS6_SG_NS0_5tupleIJNSA_16discard_iteratorINSA_11use_defaultEEESF_EEENSH_IJSG_SG_EEES6_PlJ7is_evenIxEEEE10hipError_tPvRmT3_T4_T5_T6_T7_T9_mT8_P12ihipStream_tbDpT10_ENKUlT_T0_E_clISt17integral_constantIbLb1EES19_EEDaS14_S15_EUlS14_E_NS1_11comp_targetILNS1_3genE3ELNS1_11target_archE908ELNS1_3gpuE7ELNS1_3repE0EEENS1_30default_config_static_selectorELNS0_4arch9wavefront6targetE1EEEvT1_
	.globl	_ZN7rocprim17ROCPRIM_400000_NS6detail17trampoline_kernelINS0_14default_configENS1_25partition_config_selectorILNS1_17partition_subalgoE0ExNS0_10empty_typeEbEEZZNS1_14partition_implILS5_0ELb0ES3_jN6thrust23THRUST_200600_302600_NS6detail15normal_iteratorINSA_10device_ptrIxEEEEPS6_SG_NS0_5tupleIJNSA_16discard_iteratorINSA_11use_defaultEEESF_EEENSH_IJSG_SG_EEES6_PlJ7is_evenIxEEEE10hipError_tPvRmT3_T4_T5_T6_T7_T9_mT8_P12ihipStream_tbDpT10_ENKUlT_T0_E_clISt17integral_constantIbLb1EES19_EEDaS14_S15_EUlS14_E_NS1_11comp_targetILNS1_3genE3ELNS1_11target_archE908ELNS1_3gpuE7ELNS1_3repE0EEENS1_30default_config_static_selectorELNS0_4arch9wavefront6targetE1EEEvT1_
	.p2align	8
	.type	_ZN7rocprim17ROCPRIM_400000_NS6detail17trampoline_kernelINS0_14default_configENS1_25partition_config_selectorILNS1_17partition_subalgoE0ExNS0_10empty_typeEbEEZZNS1_14partition_implILS5_0ELb0ES3_jN6thrust23THRUST_200600_302600_NS6detail15normal_iteratorINSA_10device_ptrIxEEEEPS6_SG_NS0_5tupleIJNSA_16discard_iteratorINSA_11use_defaultEEESF_EEENSH_IJSG_SG_EEES6_PlJ7is_evenIxEEEE10hipError_tPvRmT3_T4_T5_T6_T7_T9_mT8_P12ihipStream_tbDpT10_ENKUlT_T0_E_clISt17integral_constantIbLb1EES19_EEDaS14_S15_EUlS14_E_NS1_11comp_targetILNS1_3genE3ELNS1_11target_archE908ELNS1_3gpuE7ELNS1_3repE0EEENS1_30default_config_static_selectorELNS0_4arch9wavefront6targetE1EEEvT1_,@function
_ZN7rocprim17ROCPRIM_400000_NS6detail17trampoline_kernelINS0_14default_configENS1_25partition_config_selectorILNS1_17partition_subalgoE0ExNS0_10empty_typeEbEEZZNS1_14partition_implILS5_0ELb0ES3_jN6thrust23THRUST_200600_302600_NS6detail15normal_iteratorINSA_10device_ptrIxEEEEPS6_SG_NS0_5tupleIJNSA_16discard_iteratorINSA_11use_defaultEEESF_EEENSH_IJSG_SG_EEES6_PlJ7is_evenIxEEEE10hipError_tPvRmT3_T4_T5_T6_T7_T9_mT8_P12ihipStream_tbDpT10_ENKUlT_T0_E_clISt17integral_constantIbLb1EES19_EEDaS14_S15_EUlS14_E_NS1_11comp_targetILNS1_3genE3ELNS1_11target_archE908ELNS1_3gpuE7ELNS1_3repE0EEENS1_30default_config_static_selectorELNS0_4arch9wavefront6targetE1EEEvT1_: ; @_ZN7rocprim17ROCPRIM_400000_NS6detail17trampoline_kernelINS0_14default_configENS1_25partition_config_selectorILNS1_17partition_subalgoE0ExNS0_10empty_typeEbEEZZNS1_14partition_implILS5_0ELb0ES3_jN6thrust23THRUST_200600_302600_NS6detail15normal_iteratorINSA_10device_ptrIxEEEEPS6_SG_NS0_5tupleIJNSA_16discard_iteratorINSA_11use_defaultEEESF_EEENSH_IJSG_SG_EEES6_PlJ7is_evenIxEEEE10hipError_tPvRmT3_T4_T5_T6_T7_T9_mT8_P12ihipStream_tbDpT10_ENKUlT_T0_E_clISt17integral_constantIbLb1EES19_EEDaS14_S15_EUlS14_E_NS1_11comp_targetILNS1_3genE3ELNS1_11target_archE908ELNS1_3gpuE7ELNS1_3repE0EEENS1_30default_config_static_selectorELNS0_4arch9wavefront6targetE1EEEvT1_
; %bb.0:
	.section	.rodata,"a",@progbits
	.p2align	6, 0x0
	.amdhsa_kernel _ZN7rocprim17ROCPRIM_400000_NS6detail17trampoline_kernelINS0_14default_configENS1_25partition_config_selectorILNS1_17partition_subalgoE0ExNS0_10empty_typeEbEEZZNS1_14partition_implILS5_0ELb0ES3_jN6thrust23THRUST_200600_302600_NS6detail15normal_iteratorINSA_10device_ptrIxEEEEPS6_SG_NS0_5tupleIJNSA_16discard_iteratorINSA_11use_defaultEEESF_EEENSH_IJSG_SG_EEES6_PlJ7is_evenIxEEEE10hipError_tPvRmT3_T4_T5_T6_T7_T9_mT8_P12ihipStream_tbDpT10_ENKUlT_T0_E_clISt17integral_constantIbLb1EES19_EEDaS14_S15_EUlS14_E_NS1_11comp_targetILNS1_3genE3ELNS1_11target_archE908ELNS1_3gpuE7ELNS1_3repE0EEENS1_30default_config_static_selectorELNS0_4arch9wavefront6targetE1EEEvT1_
		.amdhsa_group_segment_fixed_size 0
		.amdhsa_private_segment_fixed_size 0
		.amdhsa_kernarg_size 144
		.amdhsa_user_sgpr_count 6
		.amdhsa_user_sgpr_private_segment_buffer 1
		.amdhsa_user_sgpr_dispatch_ptr 0
		.amdhsa_user_sgpr_queue_ptr 0
		.amdhsa_user_sgpr_kernarg_segment_ptr 1
		.amdhsa_user_sgpr_dispatch_id 0
		.amdhsa_user_sgpr_flat_scratch_init 0
		.amdhsa_user_sgpr_kernarg_preload_length 0
		.amdhsa_user_sgpr_kernarg_preload_offset 0
		.amdhsa_user_sgpr_private_segment_size 0
		.amdhsa_uses_dynamic_stack 0
		.amdhsa_system_sgpr_private_segment_wavefront_offset 0
		.amdhsa_system_sgpr_workgroup_id_x 1
		.amdhsa_system_sgpr_workgroup_id_y 0
		.amdhsa_system_sgpr_workgroup_id_z 0
		.amdhsa_system_sgpr_workgroup_info 0
		.amdhsa_system_vgpr_workitem_id 0
		.amdhsa_next_free_vgpr 1
		.amdhsa_next_free_sgpr 0
		.amdhsa_accum_offset 4
		.amdhsa_reserve_vcc 0
		.amdhsa_reserve_flat_scratch 0
		.amdhsa_float_round_mode_32 0
		.amdhsa_float_round_mode_16_64 0
		.amdhsa_float_denorm_mode_32 3
		.amdhsa_float_denorm_mode_16_64 3
		.amdhsa_dx10_clamp 1
		.amdhsa_ieee_mode 1
		.amdhsa_fp16_overflow 0
		.amdhsa_tg_split 0
		.amdhsa_exception_fp_ieee_invalid_op 0
		.amdhsa_exception_fp_denorm_src 0
		.amdhsa_exception_fp_ieee_div_zero 0
		.amdhsa_exception_fp_ieee_overflow 0
		.amdhsa_exception_fp_ieee_underflow 0
		.amdhsa_exception_fp_ieee_inexact 0
		.amdhsa_exception_int_div_zero 0
	.end_amdhsa_kernel
	.section	.text._ZN7rocprim17ROCPRIM_400000_NS6detail17trampoline_kernelINS0_14default_configENS1_25partition_config_selectorILNS1_17partition_subalgoE0ExNS0_10empty_typeEbEEZZNS1_14partition_implILS5_0ELb0ES3_jN6thrust23THRUST_200600_302600_NS6detail15normal_iteratorINSA_10device_ptrIxEEEEPS6_SG_NS0_5tupleIJNSA_16discard_iteratorINSA_11use_defaultEEESF_EEENSH_IJSG_SG_EEES6_PlJ7is_evenIxEEEE10hipError_tPvRmT3_T4_T5_T6_T7_T9_mT8_P12ihipStream_tbDpT10_ENKUlT_T0_E_clISt17integral_constantIbLb1EES19_EEDaS14_S15_EUlS14_E_NS1_11comp_targetILNS1_3genE3ELNS1_11target_archE908ELNS1_3gpuE7ELNS1_3repE0EEENS1_30default_config_static_selectorELNS0_4arch9wavefront6targetE1EEEvT1_,"axG",@progbits,_ZN7rocprim17ROCPRIM_400000_NS6detail17trampoline_kernelINS0_14default_configENS1_25partition_config_selectorILNS1_17partition_subalgoE0ExNS0_10empty_typeEbEEZZNS1_14partition_implILS5_0ELb0ES3_jN6thrust23THRUST_200600_302600_NS6detail15normal_iteratorINSA_10device_ptrIxEEEEPS6_SG_NS0_5tupleIJNSA_16discard_iteratorINSA_11use_defaultEEESF_EEENSH_IJSG_SG_EEES6_PlJ7is_evenIxEEEE10hipError_tPvRmT3_T4_T5_T6_T7_T9_mT8_P12ihipStream_tbDpT10_ENKUlT_T0_E_clISt17integral_constantIbLb1EES19_EEDaS14_S15_EUlS14_E_NS1_11comp_targetILNS1_3genE3ELNS1_11target_archE908ELNS1_3gpuE7ELNS1_3repE0EEENS1_30default_config_static_selectorELNS0_4arch9wavefront6targetE1EEEvT1_,comdat
.Lfunc_end2662:
	.size	_ZN7rocprim17ROCPRIM_400000_NS6detail17trampoline_kernelINS0_14default_configENS1_25partition_config_selectorILNS1_17partition_subalgoE0ExNS0_10empty_typeEbEEZZNS1_14partition_implILS5_0ELb0ES3_jN6thrust23THRUST_200600_302600_NS6detail15normal_iteratorINSA_10device_ptrIxEEEEPS6_SG_NS0_5tupleIJNSA_16discard_iteratorINSA_11use_defaultEEESF_EEENSH_IJSG_SG_EEES6_PlJ7is_evenIxEEEE10hipError_tPvRmT3_T4_T5_T6_T7_T9_mT8_P12ihipStream_tbDpT10_ENKUlT_T0_E_clISt17integral_constantIbLb1EES19_EEDaS14_S15_EUlS14_E_NS1_11comp_targetILNS1_3genE3ELNS1_11target_archE908ELNS1_3gpuE7ELNS1_3repE0EEENS1_30default_config_static_selectorELNS0_4arch9wavefront6targetE1EEEvT1_, .Lfunc_end2662-_ZN7rocprim17ROCPRIM_400000_NS6detail17trampoline_kernelINS0_14default_configENS1_25partition_config_selectorILNS1_17partition_subalgoE0ExNS0_10empty_typeEbEEZZNS1_14partition_implILS5_0ELb0ES3_jN6thrust23THRUST_200600_302600_NS6detail15normal_iteratorINSA_10device_ptrIxEEEEPS6_SG_NS0_5tupleIJNSA_16discard_iteratorINSA_11use_defaultEEESF_EEENSH_IJSG_SG_EEES6_PlJ7is_evenIxEEEE10hipError_tPvRmT3_T4_T5_T6_T7_T9_mT8_P12ihipStream_tbDpT10_ENKUlT_T0_E_clISt17integral_constantIbLb1EES19_EEDaS14_S15_EUlS14_E_NS1_11comp_targetILNS1_3genE3ELNS1_11target_archE908ELNS1_3gpuE7ELNS1_3repE0EEENS1_30default_config_static_selectorELNS0_4arch9wavefront6targetE1EEEvT1_
                                        ; -- End function
	.section	.AMDGPU.csdata,"",@progbits
; Kernel info:
; codeLenInByte = 0
; NumSgprs: 4
; NumVgprs: 0
; NumAgprs: 0
; TotalNumVgprs: 0
; ScratchSize: 0
; MemoryBound: 0
; FloatMode: 240
; IeeeMode: 1
; LDSByteSize: 0 bytes/workgroup (compile time only)
; SGPRBlocks: 0
; VGPRBlocks: 0
; NumSGPRsForWavesPerEU: 4
; NumVGPRsForWavesPerEU: 1
; AccumOffset: 4
; Occupancy: 8
; WaveLimiterHint : 0
; COMPUTE_PGM_RSRC2:SCRATCH_EN: 0
; COMPUTE_PGM_RSRC2:USER_SGPR: 6
; COMPUTE_PGM_RSRC2:TRAP_HANDLER: 0
; COMPUTE_PGM_RSRC2:TGID_X_EN: 1
; COMPUTE_PGM_RSRC2:TGID_Y_EN: 0
; COMPUTE_PGM_RSRC2:TGID_Z_EN: 0
; COMPUTE_PGM_RSRC2:TIDIG_COMP_CNT: 0
; COMPUTE_PGM_RSRC3_GFX90A:ACCUM_OFFSET: 0
; COMPUTE_PGM_RSRC3_GFX90A:TG_SPLIT: 0
	.section	.text._ZN7rocprim17ROCPRIM_400000_NS6detail17trampoline_kernelINS0_14default_configENS1_25partition_config_selectorILNS1_17partition_subalgoE0ExNS0_10empty_typeEbEEZZNS1_14partition_implILS5_0ELb0ES3_jN6thrust23THRUST_200600_302600_NS6detail15normal_iteratorINSA_10device_ptrIxEEEEPS6_SG_NS0_5tupleIJNSA_16discard_iteratorINSA_11use_defaultEEESF_EEENSH_IJSG_SG_EEES6_PlJ7is_evenIxEEEE10hipError_tPvRmT3_T4_T5_T6_T7_T9_mT8_P12ihipStream_tbDpT10_ENKUlT_T0_E_clISt17integral_constantIbLb1EES19_EEDaS14_S15_EUlS14_E_NS1_11comp_targetILNS1_3genE2ELNS1_11target_archE906ELNS1_3gpuE6ELNS1_3repE0EEENS1_30default_config_static_selectorELNS0_4arch9wavefront6targetE1EEEvT1_,"axG",@progbits,_ZN7rocprim17ROCPRIM_400000_NS6detail17trampoline_kernelINS0_14default_configENS1_25partition_config_selectorILNS1_17partition_subalgoE0ExNS0_10empty_typeEbEEZZNS1_14partition_implILS5_0ELb0ES3_jN6thrust23THRUST_200600_302600_NS6detail15normal_iteratorINSA_10device_ptrIxEEEEPS6_SG_NS0_5tupleIJNSA_16discard_iteratorINSA_11use_defaultEEESF_EEENSH_IJSG_SG_EEES6_PlJ7is_evenIxEEEE10hipError_tPvRmT3_T4_T5_T6_T7_T9_mT8_P12ihipStream_tbDpT10_ENKUlT_T0_E_clISt17integral_constantIbLb1EES19_EEDaS14_S15_EUlS14_E_NS1_11comp_targetILNS1_3genE2ELNS1_11target_archE906ELNS1_3gpuE6ELNS1_3repE0EEENS1_30default_config_static_selectorELNS0_4arch9wavefront6targetE1EEEvT1_,comdat
	.protected	_ZN7rocprim17ROCPRIM_400000_NS6detail17trampoline_kernelINS0_14default_configENS1_25partition_config_selectorILNS1_17partition_subalgoE0ExNS0_10empty_typeEbEEZZNS1_14partition_implILS5_0ELb0ES3_jN6thrust23THRUST_200600_302600_NS6detail15normal_iteratorINSA_10device_ptrIxEEEEPS6_SG_NS0_5tupleIJNSA_16discard_iteratorINSA_11use_defaultEEESF_EEENSH_IJSG_SG_EEES6_PlJ7is_evenIxEEEE10hipError_tPvRmT3_T4_T5_T6_T7_T9_mT8_P12ihipStream_tbDpT10_ENKUlT_T0_E_clISt17integral_constantIbLb1EES19_EEDaS14_S15_EUlS14_E_NS1_11comp_targetILNS1_3genE2ELNS1_11target_archE906ELNS1_3gpuE6ELNS1_3repE0EEENS1_30default_config_static_selectorELNS0_4arch9wavefront6targetE1EEEvT1_ ; -- Begin function _ZN7rocprim17ROCPRIM_400000_NS6detail17trampoline_kernelINS0_14default_configENS1_25partition_config_selectorILNS1_17partition_subalgoE0ExNS0_10empty_typeEbEEZZNS1_14partition_implILS5_0ELb0ES3_jN6thrust23THRUST_200600_302600_NS6detail15normal_iteratorINSA_10device_ptrIxEEEEPS6_SG_NS0_5tupleIJNSA_16discard_iteratorINSA_11use_defaultEEESF_EEENSH_IJSG_SG_EEES6_PlJ7is_evenIxEEEE10hipError_tPvRmT3_T4_T5_T6_T7_T9_mT8_P12ihipStream_tbDpT10_ENKUlT_T0_E_clISt17integral_constantIbLb1EES19_EEDaS14_S15_EUlS14_E_NS1_11comp_targetILNS1_3genE2ELNS1_11target_archE906ELNS1_3gpuE6ELNS1_3repE0EEENS1_30default_config_static_selectorELNS0_4arch9wavefront6targetE1EEEvT1_
	.globl	_ZN7rocprim17ROCPRIM_400000_NS6detail17trampoline_kernelINS0_14default_configENS1_25partition_config_selectorILNS1_17partition_subalgoE0ExNS0_10empty_typeEbEEZZNS1_14partition_implILS5_0ELb0ES3_jN6thrust23THRUST_200600_302600_NS6detail15normal_iteratorINSA_10device_ptrIxEEEEPS6_SG_NS0_5tupleIJNSA_16discard_iteratorINSA_11use_defaultEEESF_EEENSH_IJSG_SG_EEES6_PlJ7is_evenIxEEEE10hipError_tPvRmT3_T4_T5_T6_T7_T9_mT8_P12ihipStream_tbDpT10_ENKUlT_T0_E_clISt17integral_constantIbLb1EES19_EEDaS14_S15_EUlS14_E_NS1_11comp_targetILNS1_3genE2ELNS1_11target_archE906ELNS1_3gpuE6ELNS1_3repE0EEENS1_30default_config_static_selectorELNS0_4arch9wavefront6targetE1EEEvT1_
	.p2align	8
	.type	_ZN7rocprim17ROCPRIM_400000_NS6detail17trampoline_kernelINS0_14default_configENS1_25partition_config_selectorILNS1_17partition_subalgoE0ExNS0_10empty_typeEbEEZZNS1_14partition_implILS5_0ELb0ES3_jN6thrust23THRUST_200600_302600_NS6detail15normal_iteratorINSA_10device_ptrIxEEEEPS6_SG_NS0_5tupleIJNSA_16discard_iteratorINSA_11use_defaultEEESF_EEENSH_IJSG_SG_EEES6_PlJ7is_evenIxEEEE10hipError_tPvRmT3_T4_T5_T6_T7_T9_mT8_P12ihipStream_tbDpT10_ENKUlT_T0_E_clISt17integral_constantIbLb1EES19_EEDaS14_S15_EUlS14_E_NS1_11comp_targetILNS1_3genE2ELNS1_11target_archE906ELNS1_3gpuE6ELNS1_3repE0EEENS1_30default_config_static_selectorELNS0_4arch9wavefront6targetE1EEEvT1_,@function
_ZN7rocprim17ROCPRIM_400000_NS6detail17trampoline_kernelINS0_14default_configENS1_25partition_config_selectorILNS1_17partition_subalgoE0ExNS0_10empty_typeEbEEZZNS1_14partition_implILS5_0ELb0ES3_jN6thrust23THRUST_200600_302600_NS6detail15normal_iteratorINSA_10device_ptrIxEEEEPS6_SG_NS0_5tupleIJNSA_16discard_iteratorINSA_11use_defaultEEESF_EEENSH_IJSG_SG_EEES6_PlJ7is_evenIxEEEE10hipError_tPvRmT3_T4_T5_T6_T7_T9_mT8_P12ihipStream_tbDpT10_ENKUlT_T0_E_clISt17integral_constantIbLb1EES19_EEDaS14_S15_EUlS14_E_NS1_11comp_targetILNS1_3genE2ELNS1_11target_archE906ELNS1_3gpuE6ELNS1_3repE0EEENS1_30default_config_static_selectorELNS0_4arch9wavefront6targetE1EEEvT1_: ; @_ZN7rocprim17ROCPRIM_400000_NS6detail17trampoline_kernelINS0_14default_configENS1_25partition_config_selectorILNS1_17partition_subalgoE0ExNS0_10empty_typeEbEEZZNS1_14partition_implILS5_0ELb0ES3_jN6thrust23THRUST_200600_302600_NS6detail15normal_iteratorINSA_10device_ptrIxEEEEPS6_SG_NS0_5tupleIJNSA_16discard_iteratorINSA_11use_defaultEEESF_EEENSH_IJSG_SG_EEES6_PlJ7is_evenIxEEEE10hipError_tPvRmT3_T4_T5_T6_T7_T9_mT8_P12ihipStream_tbDpT10_ENKUlT_T0_E_clISt17integral_constantIbLb1EES19_EEDaS14_S15_EUlS14_E_NS1_11comp_targetILNS1_3genE2ELNS1_11target_archE906ELNS1_3gpuE6ELNS1_3repE0EEENS1_30default_config_static_selectorELNS0_4arch9wavefront6targetE1EEEvT1_
; %bb.0:
	.section	.rodata,"a",@progbits
	.p2align	6, 0x0
	.amdhsa_kernel _ZN7rocprim17ROCPRIM_400000_NS6detail17trampoline_kernelINS0_14default_configENS1_25partition_config_selectorILNS1_17partition_subalgoE0ExNS0_10empty_typeEbEEZZNS1_14partition_implILS5_0ELb0ES3_jN6thrust23THRUST_200600_302600_NS6detail15normal_iteratorINSA_10device_ptrIxEEEEPS6_SG_NS0_5tupleIJNSA_16discard_iteratorINSA_11use_defaultEEESF_EEENSH_IJSG_SG_EEES6_PlJ7is_evenIxEEEE10hipError_tPvRmT3_T4_T5_T6_T7_T9_mT8_P12ihipStream_tbDpT10_ENKUlT_T0_E_clISt17integral_constantIbLb1EES19_EEDaS14_S15_EUlS14_E_NS1_11comp_targetILNS1_3genE2ELNS1_11target_archE906ELNS1_3gpuE6ELNS1_3repE0EEENS1_30default_config_static_selectorELNS0_4arch9wavefront6targetE1EEEvT1_
		.amdhsa_group_segment_fixed_size 0
		.amdhsa_private_segment_fixed_size 0
		.amdhsa_kernarg_size 144
		.amdhsa_user_sgpr_count 6
		.amdhsa_user_sgpr_private_segment_buffer 1
		.amdhsa_user_sgpr_dispatch_ptr 0
		.amdhsa_user_sgpr_queue_ptr 0
		.amdhsa_user_sgpr_kernarg_segment_ptr 1
		.amdhsa_user_sgpr_dispatch_id 0
		.amdhsa_user_sgpr_flat_scratch_init 0
		.amdhsa_user_sgpr_kernarg_preload_length 0
		.amdhsa_user_sgpr_kernarg_preload_offset 0
		.amdhsa_user_sgpr_private_segment_size 0
		.amdhsa_uses_dynamic_stack 0
		.amdhsa_system_sgpr_private_segment_wavefront_offset 0
		.amdhsa_system_sgpr_workgroup_id_x 1
		.amdhsa_system_sgpr_workgroup_id_y 0
		.amdhsa_system_sgpr_workgroup_id_z 0
		.amdhsa_system_sgpr_workgroup_info 0
		.amdhsa_system_vgpr_workitem_id 0
		.amdhsa_next_free_vgpr 1
		.amdhsa_next_free_sgpr 0
		.amdhsa_accum_offset 4
		.amdhsa_reserve_vcc 0
		.amdhsa_reserve_flat_scratch 0
		.amdhsa_float_round_mode_32 0
		.amdhsa_float_round_mode_16_64 0
		.amdhsa_float_denorm_mode_32 3
		.amdhsa_float_denorm_mode_16_64 3
		.amdhsa_dx10_clamp 1
		.amdhsa_ieee_mode 1
		.amdhsa_fp16_overflow 0
		.amdhsa_tg_split 0
		.amdhsa_exception_fp_ieee_invalid_op 0
		.amdhsa_exception_fp_denorm_src 0
		.amdhsa_exception_fp_ieee_div_zero 0
		.amdhsa_exception_fp_ieee_overflow 0
		.amdhsa_exception_fp_ieee_underflow 0
		.amdhsa_exception_fp_ieee_inexact 0
		.amdhsa_exception_int_div_zero 0
	.end_amdhsa_kernel
	.section	.text._ZN7rocprim17ROCPRIM_400000_NS6detail17trampoline_kernelINS0_14default_configENS1_25partition_config_selectorILNS1_17partition_subalgoE0ExNS0_10empty_typeEbEEZZNS1_14partition_implILS5_0ELb0ES3_jN6thrust23THRUST_200600_302600_NS6detail15normal_iteratorINSA_10device_ptrIxEEEEPS6_SG_NS0_5tupleIJNSA_16discard_iteratorINSA_11use_defaultEEESF_EEENSH_IJSG_SG_EEES6_PlJ7is_evenIxEEEE10hipError_tPvRmT3_T4_T5_T6_T7_T9_mT8_P12ihipStream_tbDpT10_ENKUlT_T0_E_clISt17integral_constantIbLb1EES19_EEDaS14_S15_EUlS14_E_NS1_11comp_targetILNS1_3genE2ELNS1_11target_archE906ELNS1_3gpuE6ELNS1_3repE0EEENS1_30default_config_static_selectorELNS0_4arch9wavefront6targetE1EEEvT1_,"axG",@progbits,_ZN7rocprim17ROCPRIM_400000_NS6detail17trampoline_kernelINS0_14default_configENS1_25partition_config_selectorILNS1_17partition_subalgoE0ExNS0_10empty_typeEbEEZZNS1_14partition_implILS5_0ELb0ES3_jN6thrust23THRUST_200600_302600_NS6detail15normal_iteratorINSA_10device_ptrIxEEEEPS6_SG_NS0_5tupleIJNSA_16discard_iteratorINSA_11use_defaultEEESF_EEENSH_IJSG_SG_EEES6_PlJ7is_evenIxEEEE10hipError_tPvRmT3_T4_T5_T6_T7_T9_mT8_P12ihipStream_tbDpT10_ENKUlT_T0_E_clISt17integral_constantIbLb1EES19_EEDaS14_S15_EUlS14_E_NS1_11comp_targetILNS1_3genE2ELNS1_11target_archE906ELNS1_3gpuE6ELNS1_3repE0EEENS1_30default_config_static_selectorELNS0_4arch9wavefront6targetE1EEEvT1_,comdat
.Lfunc_end2663:
	.size	_ZN7rocprim17ROCPRIM_400000_NS6detail17trampoline_kernelINS0_14default_configENS1_25partition_config_selectorILNS1_17partition_subalgoE0ExNS0_10empty_typeEbEEZZNS1_14partition_implILS5_0ELb0ES3_jN6thrust23THRUST_200600_302600_NS6detail15normal_iteratorINSA_10device_ptrIxEEEEPS6_SG_NS0_5tupleIJNSA_16discard_iteratorINSA_11use_defaultEEESF_EEENSH_IJSG_SG_EEES6_PlJ7is_evenIxEEEE10hipError_tPvRmT3_T4_T5_T6_T7_T9_mT8_P12ihipStream_tbDpT10_ENKUlT_T0_E_clISt17integral_constantIbLb1EES19_EEDaS14_S15_EUlS14_E_NS1_11comp_targetILNS1_3genE2ELNS1_11target_archE906ELNS1_3gpuE6ELNS1_3repE0EEENS1_30default_config_static_selectorELNS0_4arch9wavefront6targetE1EEEvT1_, .Lfunc_end2663-_ZN7rocprim17ROCPRIM_400000_NS6detail17trampoline_kernelINS0_14default_configENS1_25partition_config_selectorILNS1_17partition_subalgoE0ExNS0_10empty_typeEbEEZZNS1_14partition_implILS5_0ELb0ES3_jN6thrust23THRUST_200600_302600_NS6detail15normal_iteratorINSA_10device_ptrIxEEEEPS6_SG_NS0_5tupleIJNSA_16discard_iteratorINSA_11use_defaultEEESF_EEENSH_IJSG_SG_EEES6_PlJ7is_evenIxEEEE10hipError_tPvRmT3_T4_T5_T6_T7_T9_mT8_P12ihipStream_tbDpT10_ENKUlT_T0_E_clISt17integral_constantIbLb1EES19_EEDaS14_S15_EUlS14_E_NS1_11comp_targetILNS1_3genE2ELNS1_11target_archE906ELNS1_3gpuE6ELNS1_3repE0EEENS1_30default_config_static_selectorELNS0_4arch9wavefront6targetE1EEEvT1_
                                        ; -- End function
	.section	.AMDGPU.csdata,"",@progbits
; Kernel info:
; codeLenInByte = 0
; NumSgprs: 4
; NumVgprs: 0
; NumAgprs: 0
; TotalNumVgprs: 0
; ScratchSize: 0
; MemoryBound: 0
; FloatMode: 240
; IeeeMode: 1
; LDSByteSize: 0 bytes/workgroup (compile time only)
; SGPRBlocks: 0
; VGPRBlocks: 0
; NumSGPRsForWavesPerEU: 4
; NumVGPRsForWavesPerEU: 1
; AccumOffset: 4
; Occupancy: 8
; WaveLimiterHint : 0
; COMPUTE_PGM_RSRC2:SCRATCH_EN: 0
; COMPUTE_PGM_RSRC2:USER_SGPR: 6
; COMPUTE_PGM_RSRC2:TRAP_HANDLER: 0
; COMPUTE_PGM_RSRC2:TGID_X_EN: 1
; COMPUTE_PGM_RSRC2:TGID_Y_EN: 0
; COMPUTE_PGM_RSRC2:TGID_Z_EN: 0
; COMPUTE_PGM_RSRC2:TIDIG_COMP_CNT: 0
; COMPUTE_PGM_RSRC3_GFX90A:ACCUM_OFFSET: 0
; COMPUTE_PGM_RSRC3_GFX90A:TG_SPLIT: 0
	.section	.text._ZN7rocprim17ROCPRIM_400000_NS6detail17trampoline_kernelINS0_14default_configENS1_25partition_config_selectorILNS1_17partition_subalgoE0ExNS0_10empty_typeEbEEZZNS1_14partition_implILS5_0ELb0ES3_jN6thrust23THRUST_200600_302600_NS6detail15normal_iteratorINSA_10device_ptrIxEEEEPS6_SG_NS0_5tupleIJNSA_16discard_iteratorINSA_11use_defaultEEESF_EEENSH_IJSG_SG_EEES6_PlJ7is_evenIxEEEE10hipError_tPvRmT3_T4_T5_T6_T7_T9_mT8_P12ihipStream_tbDpT10_ENKUlT_T0_E_clISt17integral_constantIbLb1EES19_EEDaS14_S15_EUlS14_E_NS1_11comp_targetILNS1_3genE10ELNS1_11target_archE1200ELNS1_3gpuE4ELNS1_3repE0EEENS1_30default_config_static_selectorELNS0_4arch9wavefront6targetE1EEEvT1_,"axG",@progbits,_ZN7rocprim17ROCPRIM_400000_NS6detail17trampoline_kernelINS0_14default_configENS1_25partition_config_selectorILNS1_17partition_subalgoE0ExNS0_10empty_typeEbEEZZNS1_14partition_implILS5_0ELb0ES3_jN6thrust23THRUST_200600_302600_NS6detail15normal_iteratorINSA_10device_ptrIxEEEEPS6_SG_NS0_5tupleIJNSA_16discard_iteratorINSA_11use_defaultEEESF_EEENSH_IJSG_SG_EEES6_PlJ7is_evenIxEEEE10hipError_tPvRmT3_T4_T5_T6_T7_T9_mT8_P12ihipStream_tbDpT10_ENKUlT_T0_E_clISt17integral_constantIbLb1EES19_EEDaS14_S15_EUlS14_E_NS1_11comp_targetILNS1_3genE10ELNS1_11target_archE1200ELNS1_3gpuE4ELNS1_3repE0EEENS1_30default_config_static_selectorELNS0_4arch9wavefront6targetE1EEEvT1_,comdat
	.protected	_ZN7rocprim17ROCPRIM_400000_NS6detail17trampoline_kernelINS0_14default_configENS1_25partition_config_selectorILNS1_17partition_subalgoE0ExNS0_10empty_typeEbEEZZNS1_14partition_implILS5_0ELb0ES3_jN6thrust23THRUST_200600_302600_NS6detail15normal_iteratorINSA_10device_ptrIxEEEEPS6_SG_NS0_5tupleIJNSA_16discard_iteratorINSA_11use_defaultEEESF_EEENSH_IJSG_SG_EEES6_PlJ7is_evenIxEEEE10hipError_tPvRmT3_T4_T5_T6_T7_T9_mT8_P12ihipStream_tbDpT10_ENKUlT_T0_E_clISt17integral_constantIbLb1EES19_EEDaS14_S15_EUlS14_E_NS1_11comp_targetILNS1_3genE10ELNS1_11target_archE1200ELNS1_3gpuE4ELNS1_3repE0EEENS1_30default_config_static_selectorELNS0_4arch9wavefront6targetE1EEEvT1_ ; -- Begin function _ZN7rocprim17ROCPRIM_400000_NS6detail17trampoline_kernelINS0_14default_configENS1_25partition_config_selectorILNS1_17partition_subalgoE0ExNS0_10empty_typeEbEEZZNS1_14partition_implILS5_0ELb0ES3_jN6thrust23THRUST_200600_302600_NS6detail15normal_iteratorINSA_10device_ptrIxEEEEPS6_SG_NS0_5tupleIJNSA_16discard_iteratorINSA_11use_defaultEEESF_EEENSH_IJSG_SG_EEES6_PlJ7is_evenIxEEEE10hipError_tPvRmT3_T4_T5_T6_T7_T9_mT8_P12ihipStream_tbDpT10_ENKUlT_T0_E_clISt17integral_constantIbLb1EES19_EEDaS14_S15_EUlS14_E_NS1_11comp_targetILNS1_3genE10ELNS1_11target_archE1200ELNS1_3gpuE4ELNS1_3repE0EEENS1_30default_config_static_selectorELNS0_4arch9wavefront6targetE1EEEvT1_
	.globl	_ZN7rocprim17ROCPRIM_400000_NS6detail17trampoline_kernelINS0_14default_configENS1_25partition_config_selectorILNS1_17partition_subalgoE0ExNS0_10empty_typeEbEEZZNS1_14partition_implILS5_0ELb0ES3_jN6thrust23THRUST_200600_302600_NS6detail15normal_iteratorINSA_10device_ptrIxEEEEPS6_SG_NS0_5tupleIJNSA_16discard_iteratorINSA_11use_defaultEEESF_EEENSH_IJSG_SG_EEES6_PlJ7is_evenIxEEEE10hipError_tPvRmT3_T4_T5_T6_T7_T9_mT8_P12ihipStream_tbDpT10_ENKUlT_T0_E_clISt17integral_constantIbLb1EES19_EEDaS14_S15_EUlS14_E_NS1_11comp_targetILNS1_3genE10ELNS1_11target_archE1200ELNS1_3gpuE4ELNS1_3repE0EEENS1_30default_config_static_selectorELNS0_4arch9wavefront6targetE1EEEvT1_
	.p2align	8
	.type	_ZN7rocprim17ROCPRIM_400000_NS6detail17trampoline_kernelINS0_14default_configENS1_25partition_config_selectorILNS1_17partition_subalgoE0ExNS0_10empty_typeEbEEZZNS1_14partition_implILS5_0ELb0ES3_jN6thrust23THRUST_200600_302600_NS6detail15normal_iteratorINSA_10device_ptrIxEEEEPS6_SG_NS0_5tupleIJNSA_16discard_iteratorINSA_11use_defaultEEESF_EEENSH_IJSG_SG_EEES6_PlJ7is_evenIxEEEE10hipError_tPvRmT3_T4_T5_T6_T7_T9_mT8_P12ihipStream_tbDpT10_ENKUlT_T0_E_clISt17integral_constantIbLb1EES19_EEDaS14_S15_EUlS14_E_NS1_11comp_targetILNS1_3genE10ELNS1_11target_archE1200ELNS1_3gpuE4ELNS1_3repE0EEENS1_30default_config_static_selectorELNS0_4arch9wavefront6targetE1EEEvT1_,@function
_ZN7rocprim17ROCPRIM_400000_NS6detail17trampoline_kernelINS0_14default_configENS1_25partition_config_selectorILNS1_17partition_subalgoE0ExNS0_10empty_typeEbEEZZNS1_14partition_implILS5_0ELb0ES3_jN6thrust23THRUST_200600_302600_NS6detail15normal_iteratorINSA_10device_ptrIxEEEEPS6_SG_NS0_5tupleIJNSA_16discard_iteratorINSA_11use_defaultEEESF_EEENSH_IJSG_SG_EEES6_PlJ7is_evenIxEEEE10hipError_tPvRmT3_T4_T5_T6_T7_T9_mT8_P12ihipStream_tbDpT10_ENKUlT_T0_E_clISt17integral_constantIbLb1EES19_EEDaS14_S15_EUlS14_E_NS1_11comp_targetILNS1_3genE10ELNS1_11target_archE1200ELNS1_3gpuE4ELNS1_3repE0EEENS1_30default_config_static_selectorELNS0_4arch9wavefront6targetE1EEEvT1_: ; @_ZN7rocprim17ROCPRIM_400000_NS6detail17trampoline_kernelINS0_14default_configENS1_25partition_config_selectorILNS1_17partition_subalgoE0ExNS0_10empty_typeEbEEZZNS1_14partition_implILS5_0ELb0ES3_jN6thrust23THRUST_200600_302600_NS6detail15normal_iteratorINSA_10device_ptrIxEEEEPS6_SG_NS0_5tupleIJNSA_16discard_iteratorINSA_11use_defaultEEESF_EEENSH_IJSG_SG_EEES6_PlJ7is_evenIxEEEE10hipError_tPvRmT3_T4_T5_T6_T7_T9_mT8_P12ihipStream_tbDpT10_ENKUlT_T0_E_clISt17integral_constantIbLb1EES19_EEDaS14_S15_EUlS14_E_NS1_11comp_targetILNS1_3genE10ELNS1_11target_archE1200ELNS1_3gpuE4ELNS1_3repE0EEENS1_30default_config_static_selectorELNS0_4arch9wavefront6targetE1EEEvT1_
; %bb.0:
	.section	.rodata,"a",@progbits
	.p2align	6, 0x0
	.amdhsa_kernel _ZN7rocprim17ROCPRIM_400000_NS6detail17trampoline_kernelINS0_14default_configENS1_25partition_config_selectorILNS1_17partition_subalgoE0ExNS0_10empty_typeEbEEZZNS1_14partition_implILS5_0ELb0ES3_jN6thrust23THRUST_200600_302600_NS6detail15normal_iteratorINSA_10device_ptrIxEEEEPS6_SG_NS0_5tupleIJNSA_16discard_iteratorINSA_11use_defaultEEESF_EEENSH_IJSG_SG_EEES6_PlJ7is_evenIxEEEE10hipError_tPvRmT3_T4_T5_T6_T7_T9_mT8_P12ihipStream_tbDpT10_ENKUlT_T0_E_clISt17integral_constantIbLb1EES19_EEDaS14_S15_EUlS14_E_NS1_11comp_targetILNS1_3genE10ELNS1_11target_archE1200ELNS1_3gpuE4ELNS1_3repE0EEENS1_30default_config_static_selectorELNS0_4arch9wavefront6targetE1EEEvT1_
		.amdhsa_group_segment_fixed_size 0
		.amdhsa_private_segment_fixed_size 0
		.amdhsa_kernarg_size 144
		.amdhsa_user_sgpr_count 6
		.amdhsa_user_sgpr_private_segment_buffer 1
		.amdhsa_user_sgpr_dispatch_ptr 0
		.amdhsa_user_sgpr_queue_ptr 0
		.amdhsa_user_sgpr_kernarg_segment_ptr 1
		.amdhsa_user_sgpr_dispatch_id 0
		.amdhsa_user_sgpr_flat_scratch_init 0
		.amdhsa_user_sgpr_kernarg_preload_length 0
		.amdhsa_user_sgpr_kernarg_preload_offset 0
		.amdhsa_user_sgpr_private_segment_size 0
		.amdhsa_uses_dynamic_stack 0
		.amdhsa_system_sgpr_private_segment_wavefront_offset 0
		.amdhsa_system_sgpr_workgroup_id_x 1
		.amdhsa_system_sgpr_workgroup_id_y 0
		.amdhsa_system_sgpr_workgroup_id_z 0
		.amdhsa_system_sgpr_workgroup_info 0
		.amdhsa_system_vgpr_workitem_id 0
		.amdhsa_next_free_vgpr 1
		.amdhsa_next_free_sgpr 0
		.amdhsa_accum_offset 4
		.amdhsa_reserve_vcc 0
		.amdhsa_reserve_flat_scratch 0
		.amdhsa_float_round_mode_32 0
		.amdhsa_float_round_mode_16_64 0
		.amdhsa_float_denorm_mode_32 3
		.amdhsa_float_denorm_mode_16_64 3
		.amdhsa_dx10_clamp 1
		.amdhsa_ieee_mode 1
		.amdhsa_fp16_overflow 0
		.amdhsa_tg_split 0
		.amdhsa_exception_fp_ieee_invalid_op 0
		.amdhsa_exception_fp_denorm_src 0
		.amdhsa_exception_fp_ieee_div_zero 0
		.amdhsa_exception_fp_ieee_overflow 0
		.amdhsa_exception_fp_ieee_underflow 0
		.amdhsa_exception_fp_ieee_inexact 0
		.amdhsa_exception_int_div_zero 0
	.end_amdhsa_kernel
	.section	.text._ZN7rocprim17ROCPRIM_400000_NS6detail17trampoline_kernelINS0_14default_configENS1_25partition_config_selectorILNS1_17partition_subalgoE0ExNS0_10empty_typeEbEEZZNS1_14partition_implILS5_0ELb0ES3_jN6thrust23THRUST_200600_302600_NS6detail15normal_iteratorINSA_10device_ptrIxEEEEPS6_SG_NS0_5tupleIJNSA_16discard_iteratorINSA_11use_defaultEEESF_EEENSH_IJSG_SG_EEES6_PlJ7is_evenIxEEEE10hipError_tPvRmT3_T4_T5_T6_T7_T9_mT8_P12ihipStream_tbDpT10_ENKUlT_T0_E_clISt17integral_constantIbLb1EES19_EEDaS14_S15_EUlS14_E_NS1_11comp_targetILNS1_3genE10ELNS1_11target_archE1200ELNS1_3gpuE4ELNS1_3repE0EEENS1_30default_config_static_selectorELNS0_4arch9wavefront6targetE1EEEvT1_,"axG",@progbits,_ZN7rocprim17ROCPRIM_400000_NS6detail17trampoline_kernelINS0_14default_configENS1_25partition_config_selectorILNS1_17partition_subalgoE0ExNS0_10empty_typeEbEEZZNS1_14partition_implILS5_0ELb0ES3_jN6thrust23THRUST_200600_302600_NS6detail15normal_iteratorINSA_10device_ptrIxEEEEPS6_SG_NS0_5tupleIJNSA_16discard_iteratorINSA_11use_defaultEEESF_EEENSH_IJSG_SG_EEES6_PlJ7is_evenIxEEEE10hipError_tPvRmT3_T4_T5_T6_T7_T9_mT8_P12ihipStream_tbDpT10_ENKUlT_T0_E_clISt17integral_constantIbLb1EES19_EEDaS14_S15_EUlS14_E_NS1_11comp_targetILNS1_3genE10ELNS1_11target_archE1200ELNS1_3gpuE4ELNS1_3repE0EEENS1_30default_config_static_selectorELNS0_4arch9wavefront6targetE1EEEvT1_,comdat
.Lfunc_end2664:
	.size	_ZN7rocprim17ROCPRIM_400000_NS6detail17trampoline_kernelINS0_14default_configENS1_25partition_config_selectorILNS1_17partition_subalgoE0ExNS0_10empty_typeEbEEZZNS1_14partition_implILS5_0ELb0ES3_jN6thrust23THRUST_200600_302600_NS6detail15normal_iteratorINSA_10device_ptrIxEEEEPS6_SG_NS0_5tupleIJNSA_16discard_iteratorINSA_11use_defaultEEESF_EEENSH_IJSG_SG_EEES6_PlJ7is_evenIxEEEE10hipError_tPvRmT3_T4_T5_T6_T7_T9_mT8_P12ihipStream_tbDpT10_ENKUlT_T0_E_clISt17integral_constantIbLb1EES19_EEDaS14_S15_EUlS14_E_NS1_11comp_targetILNS1_3genE10ELNS1_11target_archE1200ELNS1_3gpuE4ELNS1_3repE0EEENS1_30default_config_static_selectorELNS0_4arch9wavefront6targetE1EEEvT1_, .Lfunc_end2664-_ZN7rocprim17ROCPRIM_400000_NS6detail17trampoline_kernelINS0_14default_configENS1_25partition_config_selectorILNS1_17partition_subalgoE0ExNS0_10empty_typeEbEEZZNS1_14partition_implILS5_0ELb0ES3_jN6thrust23THRUST_200600_302600_NS6detail15normal_iteratorINSA_10device_ptrIxEEEEPS6_SG_NS0_5tupleIJNSA_16discard_iteratorINSA_11use_defaultEEESF_EEENSH_IJSG_SG_EEES6_PlJ7is_evenIxEEEE10hipError_tPvRmT3_T4_T5_T6_T7_T9_mT8_P12ihipStream_tbDpT10_ENKUlT_T0_E_clISt17integral_constantIbLb1EES19_EEDaS14_S15_EUlS14_E_NS1_11comp_targetILNS1_3genE10ELNS1_11target_archE1200ELNS1_3gpuE4ELNS1_3repE0EEENS1_30default_config_static_selectorELNS0_4arch9wavefront6targetE1EEEvT1_
                                        ; -- End function
	.section	.AMDGPU.csdata,"",@progbits
; Kernel info:
; codeLenInByte = 0
; NumSgprs: 4
; NumVgprs: 0
; NumAgprs: 0
; TotalNumVgprs: 0
; ScratchSize: 0
; MemoryBound: 0
; FloatMode: 240
; IeeeMode: 1
; LDSByteSize: 0 bytes/workgroup (compile time only)
; SGPRBlocks: 0
; VGPRBlocks: 0
; NumSGPRsForWavesPerEU: 4
; NumVGPRsForWavesPerEU: 1
; AccumOffset: 4
; Occupancy: 8
; WaveLimiterHint : 0
; COMPUTE_PGM_RSRC2:SCRATCH_EN: 0
; COMPUTE_PGM_RSRC2:USER_SGPR: 6
; COMPUTE_PGM_RSRC2:TRAP_HANDLER: 0
; COMPUTE_PGM_RSRC2:TGID_X_EN: 1
; COMPUTE_PGM_RSRC2:TGID_Y_EN: 0
; COMPUTE_PGM_RSRC2:TGID_Z_EN: 0
; COMPUTE_PGM_RSRC2:TIDIG_COMP_CNT: 0
; COMPUTE_PGM_RSRC3_GFX90A:ACCUM_OFFSET: 0
; COMPUTE_PGM_RSRC3_GFX90A:TG_SPLIT: 0
	.section	.text._ZN7rocprim17ROCPRIM_400000_NS6detail17trampoline_kernelINS0_14default_configENS1_25partition_config_selectorILNS1_17partition_subalgoE0ExNS0_10empty_typeEbEEZZNS1_14partition_implILS5_0ELb0ES3_jN6thrust23THRUST_200600_302600_NS6detail15normal_iteratorINSA_10device_ptrIxEEEEPS6_SG_NS0_5tupleIJNSA_16discard_iteratorINSA_11use_defaultEEESF_EEENSH_IJSG_SG_EEES6_PlJ7is_evenIxEEEE10hipError_tPvRmT3_T4_T5_T6_T7_T9_mT8_P12ihipStream_tbDpT10_ENKUlT_T0_E_clISt17integral_constantIbLb1EES19_EEDaS14_S15_EUlS14_E_NS1_11comp_targetILNS1_3genE9ELNS1_11target_archE1100ELNS1_3gpuE3ELNS1_3repE0EEENS1_30default_config_static_selectorELNS0_4arch9wavefront6targetE1EEEvT1_,"axG",@progbits,_ZN7rocprim17ROCPRIM_400000_NS6detail17trampoline_kernelINS0_14default_configENS1_25partition_config_selectorILNS1_17partition_subalgoE0ExNS0_10empty_typeEbEEZZNS1_14partition_implILS5_0ELb0ES3_jN6thrust23THRUST_200600_302600_NS6detail15normal_iteratorINSA_10device_ptrIxEEEEPS6_SG_NS0_5tupleIJNSA_16discard_iteratorINSA_11use_defaultEEESF_EEENSH_IJSG_SG_EEES6_PlJ7is_evenIxEEEE10hipError_tPvRmT3_T4_T5_T6_T7_T9_mT8_P12ihipStream_tbDpT10_ENKUlT_T0_E_clISt17integral_constantIbLb1EES19_EEDaS14_S15_EUlS14_E_NS1_11comp_targetILNS1_3genE9ELNS1_11target_archE1100ELNS1_3gpuE3ELNS1_3repE0EEENS1_30default_config_static_selectorELNS0_4arch9wavefront6targetE1EEEvT1_,comdat
	.protected	_ZN7rocprim17ROCPRIM_400000_NS6detail17trampoline_kernelINS0_14default_configENS1_25partition_config_selectorILNS1_17partition_subalgoE0ExNS0_10empty_typeEbEEZZNS1_14partition_implILS5_0ELb0ES3_jN6thrust23THRUST_200600_302600_NS6detail15normal_iteratorINSA_10device_ptrIxEEEEPS6_SG_NS0_5tupleIJNSA_16discard_iteratorINSA_11use_defaultEEESF_EEENSH_IJSG_SG_EEES6_PlJ7is_evenIxEEEE10hipError_tPvRmT3_T4_T5_T6_T7_T9_mT8_P12ihipStream_tbDpT10_ENKUlT_T0_E_clISt17integral_constantIbLb1EES19_EEDaS14_S15_EUlS14_E_NS1_11comp_targetILNS1_3genE9ELNS1_11target_archE1100ELNS1_3gpuE3ELNS1_3repE0EEENS1_30default_config_static_selectorELNS0_4arch9wavefront6targetE1EEEvT1_ ; -- Begin function _ZN7rocprim17ROCPRIM_400000_NS6detail17trampoline_kernelINS0_14default_configENS1_25partition_config_selectorILNS1_17partition_subalgoE0ExNS0_10empty_typeEbEEZZNS1_14partition_implILS5_0ELb0ES3_jN6thrust23THRUST_200600_302600_NS6detail15normal_iteratorINSA_10device_ptrIxEEEEPS6_SG_NS0_5tupleIJNSA_16discard_iteratorINSA_11use_defaultEEESF_EEENSH_IJSG_SG_EEES6_PlJ7is_evenIxEEEE10hipError_tPvRmT3_T4_T5_T6_T7_T9_mT8_P12ihipStream_tbDpT10_ENKUlT_T0_E_clISt17integral_constantIbLb1EES19_EEDaS14_S15_EUlS14_E_NS1_11comp_targetILNS1_3genE9ELNS1_11target_archE1100ELNS1_3gpuE3ELNS1_3repE0EEENS1_30default_config_static_selectorELNS0_4arch9wavefront6targetE1EEEvT1_
	.globl	_ZN7rocprim17ROCPRIM_400000_NS6detail17trampoline_kernelINS0_14default_configENS1_25partition_config_selectorILNS1_17partition_subalgoE0ExNS0_10empty_typeEbEEZZNS1_14partition_implILS5_0ELb0ES3_jN6thrust23THRUST_200600_302600_NS6detail15normal_iteratorINSA_10device_ptrIxEEEEPS6_SG_NS0_5tupleIJNSA_16discard_iteratorINSA_11use_defaultEEESF_EEENSH_IJSG_SG_EEES6_PlJ7is_evenIxEEEE10hipError_tPvRmT3_T4_T5_T6_T7_T9_mT8_P12ihipStream_tbDpT10_ENKUlT_T0_E_clISt17integral_constantIbLb1EES19_EEDaS14_S15_EUlS14_E_NS1_11comp_targetILNS1_3genE9ELNS1_11target_archE1100ELNS1_3gpuE3ELNS1_3repE0EEENS1_30default_config_static_selectorELNS0_4arch9wavefront6targetE1EEEvT1_
	.p2align	8
	.type	_ZN7rocprim17ROCPRIM_400000_NS6detail17trampoline_kernelINS0_14default_configENS1_25partition_config_selectorILNS1_17partition_subalgoE0ExNS0_10empty_typeEbEEZZNS1_14partition_implILS5_0ELb0ES3_jN6thrust23THRUST_200600_302600_NS6detail15normal_iteratorINSA_10device_ptrIxEEEEPS6_SG_NS0_5tupleIJNSA_16discard_iteratorINSA_11use_defaultEEESF_EEENSH_IJSG_SG_EEES6_PlJ7is_evenIxEEEE10hipError_tPvRmT3_T4_T5_T6_T7_T9_mT8_P12ihipStream_tbDpT10_ENKUlT_T0_E_clISt17integral_constantIbLb1EES19_EEDaS14_S15_EUlS14_E_NS1_11comp_targetILNS1_3genE9ELNS1_11target_archE1100ELNS1_3gpuE3ELNS1_3repE0EEENS1_30default_config_static_selectorELNS0_4arch9wavefront6targetE1EEEvT1_,@function
_ZN7rocprim17ROCPRIM_400000_NS6detail17trampoline_kernelINS0_14default_configENS1_25partition_config_selectorILNS1_17partition_subalgoE0ExNS0_10empty_typeEbEEZZNS1_14partition_implILS5_0ELb0ES3_jN6thrust23THRUST_200600_302600_NS6detail15normal_iteratorINSA_10device_ptrIxEEEEPS6_SG_NS0_5tupleIJNSA_16discard_iteratorINSA_11use_defaultEEESF_EEENSH_IJSG_SG_EEES6_PlJ7is_evenIxEEEE10hipError_tPvRmT3_T4_T5_T6_T7_T9_mT8_P12ihipStream_tbDpT10_ENKUlT_T0_E_clISt17integral_constantIbLb1EES19_EEDaS14_S15_EUlS14_E_NS1_11comp_targetILNS1_3genE9ELNS1_11target_archE1100ELNS1_3gpuE3ELNS1_3repE0EEENS1_30default_config_static_selectorELNS0_4arch9wavefront6targetE1EEEvT1_: ; @_ZN7rocprim17ROCPRIM_400000_NS6detail17trampoline_kernelINS0_14default_configENS1_25partition_config_selectorILNS1_17partition_subalgoE0ExNS0_10empty_typeEbEEZZNS1_14partition_implILS5_0ELb0ES3_jN6thrust23THRUST_200600_302600_NS6detail15normal_iteratorINSA_10device_ptrIxEEEEPS6_SG_NS0_5tupleIJNSA_16discard_iteratorINSA_11use_defaultEEESF_EEENSH_IJSG_SG_EEES6_PlJ7is_evenIxEEEE10hipError_tPvRmT3_T4_T5_T6_T7_T9_mT8_P12ihipStream_tbDpT10_ENKUlT_T0_E_clISt17integral_constantIbLb1EES19_EEDaS14_S15_EUlS14_E_NS1_11comp_targetILNS1_3genE9ELNS1_11target_archE1100ELNS1_3gpuE3ELNS1_3repE0EEENS1_30default_config_static_selectorELNS0_4arch9wavefront6targetE1EEEvT1_
; %bb.0:
	.section	.rodata,"a",@progbits
	.p2align	6, 0x0
	.amdhsa_kernel _ZN7rocprim17ROCPRIM_400000_NS6detail17trampoline_kernelINS0_14default_configENS1_25partition_config_selectorILNS1_17partition_subalgoE0ExNS0_10empty_typeEbEEZZNS1_14partition_implILS5_0ELb0ES3_jN6thrust23THRUST_200600_302600_NS6detail15normal_iteratorINSA_10device_ptrIxEEEEPS6_SG_NS0_5tupleIJNSA_16discard_iteratorINSA_11use_defaultEEESF_EEENSH_IJSG_SG_EEES6_PlJ7is_evenIxEEEE10hipError_tPvRmT3_T4_T5_T6_T7_T9_mT8_P12ihipStream_tbDpT10_ENKUlT_T0_E_clISt17integral_constantIbLb1EES19_EEDaS14_S15_EUlS14_E_NS1_11comp_targetILNS1_3genE9ELNS1_11target_archE1100ELNS1_3gpuE3ELNS1_3repE0EEENS1_30default_config_static_selectorELNS0_4arch9wavefront6targetE1EEEvT1_
		.amdhsa_group_segment_fixed_size 0
		.amdhsa_private_segment_fixed_size 0
		.amdhsa_kernarg_size 144
		.amdhsa_user_sgpr_count 6
		.amdhsa_user_sgpr_private_segment_buffer 1
		.amdhsa_user_sgpr_dispatch_ptr 0
		.amdhsa_user_sgpr_queue_ptr 0
		.amdhsa_user_sgpr_kernarg_segment_ptr 1
		.amdhsa_user_sgpr_dispatch_id 0
		.amdhsa_user_sgpr_flat_scratch_init 0
		.amdhsa_user_sgpr_kernarg_preload_length 0
		.amdhsa_user_sgpr_kernarg_preload_offset 0
		.amdhsa_user_sgpr_private_segment_size 0
		.amdhsa_uses_dynamic_stack 0
		.amdhsa_system_sgpr_private_segment_wavefront_offset 0
		.amdhsa_system_sgpr_workgroup_id_x 1
		.amdhsa_system_sgpr_workgroup_id_y 0
		.amdhsa_system_sgpr_workgroup_id_z 0
		.amdhsa_system_sgpr_workgroup_info 0
		.amdhsa_system_vgpr_workitem_id 0
		.amdhsa_next_free_vgpr 1
		.amdhsa_next_free_sgpr 0
		.amdhsa_accum_offset 4
		.amdhsa_reserve_vcc 0
		.amdhsa_reserve_flat_scratch 0
		.amdhsa_float_round_mode_32 0
		.amdhsa_float_round_mode_16_64 0
		.amdhsa_float_denorm_mode_32 3
		.amdhsa_float_denorm_mode_16_64 3
		.amdhsa_dx10_clamp 1
		.amdhsa_ieee_mode 1
		.amdhsa_fp16_overflow 0
		.amdhsa_tg_split 0
		.amdhsa_exception_fp_ieee_invalid_op 0
		.amdhsa_exception_fp_denorm_src 0
		.amdhsa_exception_fp_ieee_div_zero 0
		.amdhsa_exception_fp_ieee_overflow 0
		.amdhsa_exception_fp_ieee_underflow 0
		.amdhsa_exception_fp_ieee_inexact 0
		.amdhsa_exception_int_div_zero 0
	.end_amdhsa_kernel
	.section	.text._ZN7rocprim17ROCPRIM_400000_NS6detail17trampoline_kernelINS0_14default_configENS1_25partition_config_selectorILNS1_17partition_subalgoE0ExNS0_10empty_typeEbEEZZNS1_14partition_implILS5_0ELb0ES3_jN6thrust23THRUST_200600_302600_NS6detail15normal_iteratorINSA_10device_ptrIxEEEEPS6_SG_NS0_5tupleIJNSA_16discard_iteratorINSA_11use_defaultEEESF_EEENSH_IJSG_SG_EEES6_PlJ7is_evenIxEEEE10hipError_tPvRmT3_T4_T5_T6_T7_T9_mT8_P12ihipStream_tbDpT10_ENKUlT_T0_E_clISt17integral_constantIbLb1EES19_EEDaS14_S15_EUlS14_E_NS1_11comp_targetILNS1_3genE9ELNS1_11target_archE1100ELNS1_3gpuE3ELNS1_3repE0EEENS1_30default_config_static_selectorELNS0_4arch9wavefront6targetE1EEEvT1_,"axG",@progbits,_ZN7rocprim17ROCPRIM_400000_NS6detail17trampoline_kernelINS0_14default_configENS1_25partition_config_selectorILNS1_17partition_subalgoE0ExNS0_10empty_typeEbEEZZNS1_14partition_implILS5_0ELb0ES3_jN6thrust23THRUST_200600_302600_NS6detail15normal_iteratorINSA_10device_ptrIxEEEEPS6_SG_NS0_5tupleIJNSA_16discard_iteratorINSA_11use_defaultEEESF_EEENSH_IJSG_SG_EEES6_PlJ7is_evenIxEEEE10hipError_tPvRmT3_T4_T5_T6_T7_T9_mT8_P12ihipStream_tbDpT10_ENKUlT_T0_E_clISt17integral_constantIbLb1EES19_EEDaS14_S15_EUlS14_E_NS1_11comp_targetILNS1_3genE9ELNS1_11target_archE1100ELNS1_3gpuE3ELNS1_3repE0EEENS1_30default_config_static_selectorELNS0_4arch9wavefront6targetE1EEEvT1_,comdat
.Lfunc_end2665:
	.size	_ZN7rocprim17ROCPRIM_400000_NS6detail17trampoline_kernelINS0_14default_configENS1_25partition_config_selectorILNS1_17partition_subalgoE0ExNS0_10empty_typeEbEEZZNS1_14partition_implILS5_0ELb0ES3_jN6thrust23THRUST_200600_302600_NS6detail15normal_iteratorINSA_10device_ptrIxEEEEPS6_SG_NS0_5tupleIJNSA_16discard_iteratorINSA_11use_defaultEEESF_EEENSH_IJSG_SG_EEES6_PlJ7is_evenIxEEEE10hipError_tPvRmT3_T4_T5_T6_T7_T9_mT8_P12ihipStream_tbDpT10_ENKUlT_T0_E_clISt17integral_constantIbLb1EES19_EEDaS14_S15_EUlS14_E_NS1_11comp_targetILNS1_3genE9ELNS1_11target_archE1100ELNS1_3gpuE3ELNS1_3repE0EEENS1_30default_config_static_selectorELNS0_4arch9wavefront6targetE1EEEvT1_, .Lfunc_end2665-_ZN7rocprim17ROCPRIM_400000_NS6detail17trampoline_kernelINS0_14default_configENS1_25partition_config_selectorILNS1_17partition_subalgoE0ExNS0_10empty_typeEbEEZZNS1_14partition_implILS5_0ELb0ES3_jN6thrust23THRUST_200600_302600_NS6detail15normal_iteratorINSA_10device_ptrIxEEEEPS6_SG_NS0_5tupleIJNSA_16discard_iteratorINSA_11use_defaultEEESF_EEENSH_IJSG_SG_EEES6_PlJ7is_evenIxEEEE10hipError_tPvRmT3_T4_T5_T6_T7_T9_mT8_P12ihipStream_tbDpT10_ENKUlT_T0_E_clISt17integral_constantIbLb1EES19_EEDaS14_S15_EUlS14_E_NS1_11comp_targetILNS1_3genE9ELNS1_11target_archE1100ELNS1_3gpuE3ELNS1_3repE0EEENS1_30default_config_static_selectorELNS0_4arch9wavefront6targetE1EEEvT1_
                                        ; -- End function
	.section	.AMDGPU.csdata,"",@progbits
; Kernel info:
; codeLenInByte = 0
; NumSgprs: 4
; NumVgprs: 0
; NumAgprs: 0
; TotalNumVgprs: 0
; ScratchSize: 0
; MemoryBound: 0
; FloatMode: 240
; IeeeMode: 1
; LDSByteSize: 0 bytes/workgroup (compile time only)
; SGPRBlocks: 0
; VGPRBlocks: 0
; NumSGPRsForWavesPerEU: 4
; NumVGPRsForWavesPerEU: 1
; AccumOffset: 4
; Occupancy: 8
; WaveLimiterHint : 0
; COMPUTE_PGM_RSRC2:SCRATCH_EN: 0
; COMPUTE_PGM_RSRC2:USER_SGPR: 6
; COMPUTE_PGM_RSRC2:TRAP_HANDLER: 0
; COMPUTE_PGM_RSRC2:TGID_X_EN: 1
; COMPUTE_PGM_RSRC2:TGID_Y_EN: 0
; COMPUTE_PGM_RSRC2:TGID_Z_EN: 0
; COMPUTE_PGM_RSRC2:TIDIG_COMP_CNT: 0
; COMPUTE_PGM_RSRC3_GFX90A:ACCUM_OFFSET: 0
; COMPUTE_PGM_RSRC3_GFX90A:TG_SPLIT: 0
	.section	.text._ZN7rocprim17ROCPRIM_400000_NS6detail17trampoline_kernelINS0_14default_configENS1_25partition_config_selectorILNS1_17partition_subalgoE0ExNS0_10empty_typeEbEEZZNS1_14partition_implILS5_0ELb0ES3_jN6thrust23THRUST_200600_302600_NS6detail15normal_iteratorINSA_10device_ptrIxEEEEPS6_SG_NS0_5tupleIJNSA_16discard_iteratorINSA_11use_defaultEEESF_EEENSH_IJSG_SG_EEES6_PlJ7is_evenIxEEEE10hipError_tPvRmT3_T4_T5_T6_T7_T9_mT8_P12ihipStream_tbDpT10_ENKUlT_T0_E_clISt17integral_constantIbLb1EES19_EEDaS14_S15_EUlS14_E_NS1_11comp_targetILNS1_3genE8ELNS1_11target_archE1030ELNS1_3gpuE2ELNS1_3repE0EEENS1_30default_config_static_selectorELNS0_4arch9wavefront6targetE1EEEvT1_,"axG",@progbits,_ZN7rocprim17ROCPRIM_400000_NS6detail17trampoline_kernelINS0_14default_configENS1_25partition_config_selectorILNS1_17partition_subalgoE0ExNS0_10empty_typeEbEEZZNS1_14partition_implILS5_0ELb0ES3_jN6thrust23THRUST_200600_302600_NS6detail15normal_iteratorINSA_10device_ptrIxEEEEPS6_SG_NS0_5tupleIJNSA_16discard_iteratorINSA_11use_defaultEEESF_EEENSH_IJSG_SG_EEES6_PlJ7is_evenIxEEEE10hipError_tPvRmT3_T4_T5_T6_T7_T9_mT8_P12ihipStream_tbDpT10_ENKUlT_T0_E_clISt17integral_constantIbLb1EES19_EEDaS14_S15_EUlS14_E_NS1_11comp_targetILNS1_3genE8ELNS1_11target_archE1030ELNS1_3gpuE2ELNS1_3repE0EEENS1_30default_config_static_selectorELNS0_4arch9wavefront6targetE1EEEvT1_,comdat
	.protected	_ZN7rocprim17ROCPRIM_400000_NS6detail17trampoline_kernelINS0_14default_configENS1_25partition_config_selectorILNS1_17partition_subalgoE0ExNS0_10empty_typeEbEEZZNS1_14partition_implILS5_0ELb0ES3_jN6thrust23THRUST_200600_302600_NS6detail15normal_iteratorINSA_10device_ptrIxEEEEPS6_SG_NS0_5tupleIJNSA_16discard_iteratorINSA_11use_defaultEEESF_EEENSH_IJSG_SG_EEES6_PlJ7is_evenIxEEEE10hipError_tPvRmT3_T4_T5_T6_T7_T9_mT8_P12ihipStream_tbDpT10_ENKUlT_T0_E_clISt17integral_constantIbLb1EES19_EEDaS14_S15_EUlS14_E_NS1_11comp_targetILNS1_3genE8ELNS1_11target_archE1030ELNS1_3gpuE2ELNS1_3repE0EEENS1_30default_config_static_selectorELNS0_4arch9wavefront6targetE1EEEvT1_ ; -- Begin function _ZN7rocprim17ROCPRIM_400000_NS6detail17trampoline_kernelINS0_14default_configENS1_25partition_config_selectorILNS1_17partition_subalgoE0ExNS0_10empty_typeEbEEZZNS1_14partition_implILS5_0ELb0ES3_jN6thrust23THRUST_200600_302600_NS6detail15normal_iteratorINSA_10device_ptrIxEEEEPS6_SG_NS0_5tupleIJNSA_16discard_iteratorINSA_11use_defaultEEESF_EEENSH_IJSG_SG_EEES6_PlJ7is_evenIxEEEE10hipError_tPvRmT3_T4_T5_T6_T7_T9_mT8_P12ihipStream_tbDpT10_ENKUlT_T0_E_clISt17integral_constantIbLb1EES19_EEDaS14_S15_EUlS14_E_NS1_11comp_targetILNS1_3genE8ELNS1_11target_archE1030ELNS1_3gpuE2ELNS1_3repE0EEENS1_30default_config_static_selectorELNS0_4arch9wavefront6targetE1EEEvT1_
	.globl	_ZN7rocprim17ROCPRIM_400000_NS6detail17trampoline_kernelINS0_14default_configENS1_25partition_config_selectorILNS1_17partition_subalgoE0ExNS0_10empty_typeEbEEZZNS1_14partition_implILS5_0ELb0ES3_jN6thrust23THRUST_200600_302600_NS6detail15normal_iteratorINSA_10device_ptrIxEEEEPS6_SG_NS0_5tupleIJNSA_16discard_iteratorINSA_11use_defaultEEESF_EEENSH_IJSG_SG_EEES6_PlJ7is_evenIxEEEE10hipError_tPvRmT3_T4_T5_T6_T7_T9_mT8_P12ihipStream_tbDpT10_ENKUlT_T0_E_clISt17integral_constantIbLb1EES19_EEDaS14_S15_EUlS14_E_NS1_11comp_targetILNS1_3genE8ELNS1_11target_archE1030ELNS1_3gpuE2ELNS1_3repE0EEENS1_30default_config_static_selectorELNS0_4arch9wavefront6targetE1EEEvT1_
	.p2align	8
	.type	_ZN7rocprim17ROCPRIM_400000_NS6detail17trampoline_kernelINS0_14default_configENS1_25partition_config_selectorILNS1_17partition_subalgoE0ExNS0_10empty_typeEbEEZZNS1_14partition_implILS5_0ELb0ES3_jN6thrust23THRUST_200600_302600_NS6detail15normal_iteratorINSA_10device_ptrIxEEEEPS6_SG_NS0_5tupleIJNSA_16discard_iteratorINSA_11use_defaultEEESF_EEENSH_IJSG_SG_EEES6_PlJ7is_evenIxEEEE10hipError_tPvRmT3_T4_T5_T6_T7_T9_mT8_P12ihipStream_tbDpT10_ENKUlT_T0_E_clISt17integral_constantIbLb1EES19_EEDaS14_S15_EUlS14_E_NS1_11comp_targetILNS1_3genE8ELNS1_11target_archE1030ELNS1_3gpuE2ELNS1_3repE0EEENS1_30default_config_static_selectorELNS0_4arch9wavefront6targetE1EEEvT1_,@function
_ZN7rocprim17ROCPRIM_400000_NS6detail17trampoline_kernelINS0_14default_configENS1_25partition_config_selectorILNS1_17partition_subalgoE0ExNS0_10empty_typeEbEEZZNS1_14partition_implILS5_0ELb0ES3_jN6thrust23THRUST_200600_302600_NS6detail15normal_iteratorINSA_10device_ptrIxEEEEPS6_SG_NS0_5tupleIJNSA_16discard_iteratorINSA_11use_defaultEEESF_EEENSH_IJSG_SG_EEES6_PlJ7is_evenIxEEEE10hipError_tPvRmT3_T4_T5_T6_T7_T9_mT8_P12ihipStream_tbDpT10_ENKUlT_T0_E_clISt17integral_constantIbLb1EES19_EEDaS14_S15_EUlS14_E_NS1_11comp_targetILNS1_3genE8ELNS1_11target_archE1030ELNS1_3gpuE2ELNS1_3repE0EEENS1_30default_config_static_selectorELNS0_4arch9wavefront6targetE1EEEvT1_: ; @_ZN7rocprim17ROCPRIM_400000_NS6detail17trampoline_kernelINS0_14default_configENS1_25partition_config_selectorILNS1_17partition_subalgoE0ExNS0_10empty_typeEbEEZZNS1_14partition_implILS5_0ELb0ES3_jN6thrust23THRUST_200600_302600_NS6detail15normal_iteratorINSA_10device_ptrIxEEEEPS6_SG_NS0_5tupleIJNSA_16discard_iteratorINSA_11use_defaultEEESF_EEENSH_IJSG_SG_EEES6_PlJ7is_evenIxEEEE10hipError_tPvRmT3_T4_T5_T6_T7_T9_mT8_P12ihipStream_tbDpT10_ENKUlT_T0_E_clISt17integral_constantIbLb1EES19_EEDaS14_S15_EUlS14_E_NS1_11comp_targetILNS1_3genE8ELNS1_11target_archE1030ELNS1_3gpuE2ELNS1_3repE0EEENS1_30default_config_static_selectorELNS0_4arch9wavefront6targetE1EEEvT1_
; %bb.0:
	.section	.rodata,"a",@progbits
	.p2align	6, 0x0
	.amdhsa_kernel _ZN7rocprim17ROCPRIM_400000_NS6detail17trampoline_kernelINS0_14default_configENS1_25partition_config_selectorILNS1_17partition_subalgoE0ExNS0_10empty_typeEbEEZZNS1_14partition_implILS5_0ELb0ES3_jN6thrust23THRUST_200600_302600_NS6detail15normal_iteratorINSA_10device_ptrIxEEEEPS6_SG_NS0_5tupleIJNSA_16discard_iteratorINSA_11use_defaultEEESF_EEENSH_IJSG_SG_EEES6_PlJ7is_evenIxEEEE10hipError_tPvRmT3_T4_T5_T6_T7_T9_mT8_P12ihipStream_tbDpT10_ENKUlT_T0_E_clISt17integral_constantIbLb1EES19_EEDaS14_S15_EUlS14_E_NS1_11comp_targetILNS1_3genE8ELNS1_11target_archE1030ELNS1_3gpuE2ELNS1_3repE0EEENS1_30default_config_static_selectorELNS0_4arch9wavefront6targetE1EEEvT1_
		.amdhsa_group_segment_fixed_size 0
		.amdhsa_private_segment_fixed_size 0
		.amdhsa_kernarg_size 144
		.amdhsa_user_sgpr_count 6
		.amdhsa_user_sgpr_private_segment_buffer 1
		.amdhsa_user_sgpr_dispatch_ptr 0
		.amdhsa_user_sgpr_queue_ptr 0
		.amdhsa_user_sgpr_kernarg_segment_ptr 1
		.amdhsa_user_sgpr_dispatch_id 0
		.amdhsa_user_sgpr_flat_scratch_init 0
		.amdhsa_user_sgpr_kernarg_preload_length 0
		.amdhsa_user_sgpr_kernarg_preload_offset 0
		.amdhsa_user_sgpr_private_segment_size 0
		.amdhsa_uses_dynamic_stack 0
		.amdhsa_system_sgpr_private_segment_wavefront_offset 0
		.amdhsa_system_sgpr_workgroup_id_x 1
		.amdhsa_system_sgpr_workgroup_id_y 0
		.amdhsa_system_sgpr_workgroup_id_z 0
		.amdhsa_system_sgpr_workgroup_info 0
		.amdhsa_system_vgpr_workitem_id 0
		.amdhsa_next_free_vgpr 1
		.amdhsa_next_free_sgpr 0
		.amdhsa_accum_offset 4
		.amdhsa_reserve_vcc 0
		.amdhsa_reserve_flat_scratch 0
		.amdhsa_float_round_mode_32 0
		.amdhsa_float_round_mode_16_64 0
		.amdhsa_float_denorm_mode_32 3
		.amdhsa_float_denorm_mode_16_64 3
		.amdhsa_dx10_clamp 1
		.amdhsa_ieee_mode 1
		.amdhsa_fp16_overflow 0
		.amdhsa_tg_split 0
		.amdhsa_exception_fp_ieee_invalid_op 0
		.amdhsa_exception_fp_denorm_src 0
		.amdhsa_exception_fp_ieee_div_zero 0
		.amdhsa_exception_fp_ieee_overflow 0
		.amdhsa_exception_fp_ieee_underflow 0
		.amdhsa_exception_fp_ieee_inexact 0
		.amdhsa_exception_int_div_zero 0
	.end_amdhsa_kernel
	.section	.text._ZN7rocprim17ROCPRIM_400000_NS6detail17trampoline_kernelINS0_14default_configENS1_25partition_config_selectorILNS1_17partition_subalgoE0ExNS0_10empty_typeEbEEZZNS1_14partition_implILS5_0ELb0ES3_jN6thrust23THRUST_200600_302600_NS6detail15normal_iteratorINSA_10device_ptrIxEEEEPS6_SG_NS0_5tupleIJNSA_16discard_iteratorINSA_11use_defaultEEESF_EEENSH_IJSG_SG_EEES6_PlJ7is_evenIxEEEE10hipError_tPvRmT3_T4_T5_T6_T7_T9_mT8_P12ihipStream_tbDpT10_ENKUlT_T0_E_clISt17integral_constantIbLb1EES19_EEDaS14_S15_EUlS14_E_NS1_11comp_targetILNS1_3genE8ELNS1_11target_archE1030ELNS1_3gpuE2ELNS1_3repE0EEENS1_30default_config_static_selectorELNS0_4arch9wavefront6targetE1EEEvT1_,"axG",@progbits,_ZN7rocprim17ROCPRIM_400000_NS6detail17trampoline_kernelINS0_14default_configENS1_25partition_config_selectorILNS1_17partition_subalgoE0ExNS0_10empty_typeEbEEZZNS1_14partition_implILS5_0ELb0ES3_jN6thrust23THRUST_200600_302600_NS6detail15normal_iteratorINSA_10device_ptrIxEEEEPS6_SG_NS0_5tupleIJNSA_16discard_iteratorINSA_11use_defaultEEESF_EEENSH_IJSG_SG_EEES6_PlJ7is_evenIxEEEE10hipError_tPvRmT3_T4_T5_T6_T7_T9_mT8_P12ihipStream_tbDpT10_ENKUlT_T0_E_clISt17integral_constantIbLb1EES19_EEDaS14_S15_EUlS14_E_NS1_11comp_targetILNS1_3genE8ELNS1_11target_archE1030ELNS1_3gpuE2ELNS1_3repE0EEENS1_30default_config_static_selectorELNS0_4arch9wavefront6targetE1EEEvT1_,comdat
.Lfunc_end2666:
	.size	_ZN7rocprim17ROCPRIM_400000_NS6detail17trampoline_kernelINS0_14default_configENS1_25partition_config_selectorILNS1_17partition_subalgoE0ExNS0_10empty_typeEbEEZZNS1_14partition_implILS5_0ELb0ES3_jN6thrust23THRUST_200600_302600_NS6detail15normal_iteratorINSA_10device_ptrIxEEEEPS6_SG_NS0_5tupleIJNSA_16discard_iteratorINSA_11use_defaultEEESF_EEENSH_IJSG_SG_EEES6_PlJ7is_evenIxEEEE10hipError_tPvRmT3_T4_T5_T6_T7_T9_mT8_P12ihipStream_tbDpT10_ENKUlT_T0_E_clISt17integral_constantIbLb1EES19_EEDaS14_S15_EUlS14_E_NS1_11comp_targetILNS1_3genE8ELNS1_11target_archE1030ELNS1_3gpuE2ELNS1_3repE0EEENS1_30default_config_static_selectorELNS0_4arch9wavefront6targetE1EEEvT1_, .Lfunc_end2666-_ZN7rocprim17ROCPRIM_400000_NS6detail17trampoline_kernelINS0_14default_configENS1_25partition_config_selectorILNS1_17partition_subalgoE0ExNS0_10empty_typeEbEEZZNS1_14partition_implILS5_0ELb0ES3_jN6thrust23THRUST_200600_302600_NS6detail15normal_iteratorINSA_10device_ptrIxEEEEPS6_SG_NS0_5tupleIJNSA_16discard_iteratorINSA_11use_defaultEEESF_EEENSH_IJSG_SG_EEES6_PlJ7is_evenIxEEEE10hipError_tPvRmT3_T4_T5_T6_T7_T9_mT8_P12ihipStream_tbDpT10_ENKUlT_T0_E_clISt17integral_constantIbLb1EES19_EEDaS14_S15_EUlS14_E_NS1_11comp_targetILNS1_3genE8ELNS1_11target_archE1030ELNS1_3gpuE2ELNS1_3repE0EEENS1_30default_config_static_selectorELNS0_4arch9wavefront6targetE1EEEvT1_
                                        ; -- End function
	.section	.AMDGPU.csdata,"",@progbits
; Kernel info:
; codeLenInByte = 0
; NumSgprs: 4
; NumVgprs: 0
; NumAgprs: 0
; TotalNumVgprs: 0
; ScratchSize: 0
; MemoryBound: 0
; FloatMode: 240
; IeeeMode: 1
; LDSByteSize: 0 bytes/workgroup (compile time only)
; SGPRBlocks: 0
; VGPRBlocks: 0
; NumSGPRsForWavesPerEU: 4
; NumVGPRsForWavesPerEU: 1
; AccumOffset: 4
; Occupancy: 8
; WaveLimiterHint : 0
; COMPUTE_PGM_RSRC2:SCRATCH_EN: 0
; COMPUTE_PGM_RSRC2:USER_SGPR: 6
; COMPUTE_PGM_RSRC2:TRAP_HANDLER: 0
; COMPUTE_PGM_RSRC2:TGID_X_EN: 1
; COMPUTE_PGM_RSRC2:TGID_Y_EN: 0
; COMPUTE_PGM_RSRC2:TGID_Z_EN: 0
; COMPUTE_PGM_RSRC2:TIDIG_COMP_CNT: 0
; COMPUTE_PGM_RSRC3_GFX90A:ACCUM_OFFSET: 0
; COMPUTE_PGM_RSRC3_GFX90A:TG_SPLIT: 0
	.section	.text._ZN7rocprim17ROCPRIM_400000_NS6detail17trampoline_kernelINS0_14default_configENS1_25partition_config_selectorILNS1_17partition_subalgoE0ExNS0_10empty_typeEbEEZZNS1_14partition_implILS5_0ELb0ES3_jN6thrust23THRUST_200600_302600_NS6detail15normal_iteratorINSA_10device_ptrIxEEEEPS6_SG_NS0_5tupleIJNSA_16discard_iteratorINSA_11use_defaultEEESF_EEENSH_IJSG_SG_EEES6_PlJ7is_evenIxEEEE10hipError_tPvRmT3_T4_T5_T6_T7_T9_mT8_P12ihipStream_tbDpT10_ENKUlT_T0_E_clISt17integral_constantIbLb1EES18_IbLb0EEEEDaS14_S15_EUlS14_E_NS1_11comp_targetILNS1_3genE0ELNS1_11target_archE4294967295ELNS1_3gpuE0ELNS1_3repE0EEENS1_30default_config_static_selectorELNS0_4arch9wavefront6targetE1EEEvT1_,"axG",@progbits,_ZN7rocprim17ROCPRIM_400000_NS6detail17trampoline_kernelINS0_14default_configENS1_25partition_config_selectorILNS1_17partition_subalgoE0ExNS0_10empty_typeEbEEZZNS1_14partition_implILS5_0ELb0ES3_jN6thrust23THRUST_200600_302600_NS6detail15normal_iteratorINSA_10device_ptrIxEEEEPS6_SG_NS0_5tupleIJNSA_16discard_iteratorINSA_11use_defaultEEESF_EEENSH_IJSG_SG_EEES6_PlJ7is_evenIxEEEE10hipError_tPvRmT3_T4_T5_T6_T7_T9_mT8_P12ihipStream_tbDpT10_ENKUlT_T0_E_clISt17integral_constantIbLb1EES18_IbLb0EEEEDaS14_S15_EUlS14_E_NS1_11comp_targetILNS1_3genE0ELNS1_11target_archE4294967295ELNS1_3gpuE0ELNS1_3repE0EEENS1_30default_config_static_selectorELNS0_4arch9wavefront6targetE1EEEvT1_,comdat
	.protected	_ZN7rocprim17ROCPRIM_400000_NS6detail17trampoline_kernelINS0_14default_configENS1_25partition_config_selectorILNS1_17partition_subalgoE0ExNS0_10empty_typeEbEEZZNS1_14partition_implILS5_0ELb0ES3_jN6thrust23THRUST_200600_302600_NS6detail15normal_iteratorINSA_10device_ptrIxEEEEPS6_SG_NS0_5tupleIJNSA_16discard_iteratorINSA_11use_defaultEEESF_EEENSH_IJSG_SG_EEES6_PlJ7is_evenIxEEEE10hipError_tPvRmT3_T4_T5_T6_T7_T9_mT8_P12ihipStream_tbDpT10_ENKUlT_T0_E_clISt17integral_constantIbLb1EES18_IbLb0EEEEDaS14_S15_EUlS14_E_NS1_11comp_targetILNS1_3genE0ELNS1_11target_archE4294967295ELNS1_3gpuE0ELNS1_3repE0EEENS1_30default_config_static_selectorELNS0_4arch9wavefront6targetE1EEEvT1_ ; -- Begin function _ZN7rocprim17ROCPRIM_400000_NS6detail17trampoline_kernelINS0_14default_configENS1_25partition_config_selectorILNS1_17partition_subalgoE0ExNS0_10empty_typeEbEEZZNS1_14partition_implILS5_0ELb0ES3_jN6thrust23THRUST_200600_302600_NS6detail15normal_iteratorINSA_10device_ptrIxEEEEPS6_SG_NS0_5tupleIJNSA_16discard_iteratorINSA_11use_defaultEEESF_EEENSH_IJSG_SG_EEES6_PlJ7is_evenIxEEEE10hipError_tPvRmT3_T4_T5_T6_T7_T9_mT8_P12ihipStream_tbDpT10_ENKUlT_T0_E_clISt17integral_constantIbLb1EES18_IbLb0EEEEDaS14_S15_EUlS14_E_NS1_11comp_targetILNS1_3genE0ELNS1_11target_archE4294967295ELNS1_3gpuE0ELNS1_3repE0EEENS1_30default_config_static_selectorELNS0_4arch9wavefront6targetE1EEEvT1_
	.globl	_ZN7rocprim17ROCPRIM_400000_NS6detail17trampoline_kernelINS0_14default_configENS1_25partition_config_selectorILNS1_17partition_subalgoE0ExNS0_10empty_typeEbEEZZNS1_14partition_implILS5_0ELb0ES3_jN6thrust23THRUST_200600_302600_NS6detail15normal_iteratorINSA_10device_ptrIxEEEEPS6_SG_NS0_5tupleIJNSA_16discard_iteratorINSA_11use_defaultEEESF_EEENSH_IJSG_SG_EEES6_PlJ7is_evenIxEEEE10hipError_tPvRmT3_T4_T5_T6_T7_T9_mT8_P12ihipStream_tbDpT10_ENKUlT_T0_E_clISt17integral_constantIbLb1EES18_IbLb0EEEEDaS14_S15_EUlS14_E_NS1_11comp_targetILNS1_3genE0ELNS1_11target_archE4294967295ELNS1_3gpuE0ELNS1_3repE0EEENS1_30default_config_static_selectorELNS0_4arch9wavefront6targetE1EEEvT1_
	.p2align	8
	.type	_ZN7rocprim17ROCPRIM_400000_NS6detail17trampoline_kernelINS0_14default_configENS1_25partition_config_selectorILNS1_17partition_subalgoE0ExNS0_10empty_typeEbEEZZNS1_14partition_implILS5_0ELb0ES3_jN6thrust23THRUST_200600_302600_NS6detail15normal_iteratorINSA_10device_ptrIxEEEEPS6_SG_NS0_5tupleIJNSA_16discard_iteratorINSA_11use_defaultEEESF_EEENSH_IJSG_SG_EEES6_PlJ7is_evenIxEEEE10hipError_tPvRmT3_T4_T5_T6_T7_T9_mT8_P12ihipStream_tbDpT10_ENKUlT_T0_E_clISt17integral_constantIbLb1EES18_IbLb0EEEEDaS14_S15_EUlS14_E_NS1_11comp_targetILNS1_3genE0ELNS1_11target_archE4294967295ELNS1_3gpuE0ELNS1_3repE0EEENS1_30default_config_static_selectorELNS0_4arch9wavefront6targetE1EEEvT1_,@function
_ZN7rocprim17ROCPRIM_400000_NS6detail17trampoline_kernelINS0_14default_configENS1_25partition_config_selectorILNS1_17partition_subalgoE0ExNS0_10empty_typeEbEEZZNS1_14partition_implILS5_0ELb0ES3_jN6thrust23THRUST_200600_302600_NS6detail15normal_iteratorINSA_10device_ptrIxEEEEPS6_SG_NS0_5tupleIJNSA_16discard_iteratorINSA_11use_defaultEEESF_EEENSH_IJSG_SG_EEES6_PlJ7is_evenIxEEEE10hipError_tPvRmT3_T4_T5_T6_T7_T9_mT8_P12ihipStream_tbDpT10_ENKUlT_T0_E_clISt17integral_constantIbLb1EES18_IbLb0EEEEDaS14_S15_EUlS14_E_NS1_11comp_targetILNS1_3genE0ELNS1_11target_archE4294967295ELNS1_3gpuE0ELNS1_3repE0EEENS1_30default_config_static_selectorELNS0_4arch9wavefront6targetE1EEEvT1_: ; @_ZN7rocprim17ROCPRIM_400000_NS6detail17trampoline_kernelINS0_14default_configENS1_25partition_config_selectorILNS1_17partition_subalgoE0ExNS0_10empty_typeEbEEZZNS1_14partition_implILS5_0ELb0ES3_jN6thrust23THRUST_200600_302600_NS6detail15normal_iteratorINSA_10device_ptrIxEEEEPS6_SG_NS0_5tupleIJNSA_16discard_iteratorINSA_11use_defaultEEESF_EEENSH_IJSG_SG_EEES6_PlJ7is_evenIxEEEE10hipError_tPvRmT3_T4_T5_T6_T7_T9_mT8_P12ihipStream_tbDpT10_ENKUlT_T0_E_clISt17integral_constantIbLb1EES18_IbLb0EEEEDaS14_S15_EUlS14_E_NS1_11comp_targetILNS1_3genE0ELNS1_11target_archE4294967295ELNS1_3gpuE0ELNS1_3repE0EEENS1_30default_config_static_selectorELNS0_4arch9wavefront6targetE1EEEvT1_
; %bb.0:
	.section	.rodata,"a",@progbits
	.p2align	6, 0x0
	.amdhsa_kernel _ZN7rocprim17ROCPRIM_400000_NS6detail17trampoline_kernelINS0_14default_configENS1_25partition_config_selectorILNS1_17partition_subalgoE0ExNS0_10empty_typeEbEEZZNS1_14partition_implILS5_0ELb0ES3_jN6thrust23THRUST_200600_302600_NS6detail15normal_iteratorINSA_10device_ptrIxEEEEPS6_SG_NS0_5tupleIJNSA_16discard_iteratorINSA_11use_defaultEEESF_EEENSH_IJSG_SG_EEES6_PlJ7is_evenIxEEEE10hipError_tPvRmT3_T4_T5_T6_T7_T9_mT8_P12ihipStream_tbDpT10_ENKUlT_T0_E_clISt17integral_constantIbLb1EES18_IbLb0EEEEDaS14_S15_EUlS14_E_NS1_11comp_targetILNS1_3genE0ELNS1_11target_archE4294967295ELNS1_3gpuE0ELNS1_3repE0EEENS1_30default_config_static_selectorELNS0_4arch9wavefront6targetE1EEEvT1_
		.amdhsa_group_segment_fixed_size 0
		.amdhsa_private_segment_fixed_size 0
		.amdhsa_kernarg_size 128
		.amdhsa_user_sgpr_count 6
		.amdhsa_user_sgpr_private_segment_buffer 1
		.amdhsa_user_sgpr_dispatch_ptr 0
		.amdhsa_user_sgpr_queue_ptr 0
		.amdhsa_user_sgpr_kernarg_segment_ptr 1
		.amdhsa_user_sgpr_dispatch_id 0
		.amdhsa_user_sgpr_flat_scratch_init 0
		.amdhsa_user_sgpr_kernarg_preload_length 0
		.amdhsa_user_sgpr_kernarg_preload_offset 0
		.amdhsa_user_sgpr_private_segment_size 0
		.amdhsa_uses_dynamic_stack 0
		.amdhsa_system_sgpr_private_segment_wavefront_offset 0
		.amdhsa_system_sgpr_workgroup_id_x 1
		.amdhsa_system_sgpr_workgroup_id_y 0
		.amdhsa_system_sgpr_workgroup_id_z 0
		.amdhsa_system_sgpr_workgroup_info 0
		.amdhsa_system_vgpr_workitem_id 0
		.amdhsa_next_free_vgpr 1
		.amdhsa_next_free_sgpr 0
		.amdhsa_accum_offset 4
		.amdhsa_reserve_vcc 0
		.amdhsa_reserve_flat_scratch 0
		.amdhsa_float_round_mode_32 0
		.amdhsa_float_round_mode_16_64 0
		.amdhsa_float_denorm_mode_32 3
		.amdhsa_float_denorm_mode_16_64 3
		.amdhsa_dx10_clamp 1
		.amdhsa_ieee_mode 1
		.amdhsa_fp16_overflow 0
		.amdhsa_tg_split 0
		.amdhsa_exception_fp_ieee_invalid_op 0
		.amdhsa_exception_fp_denorm_src 0
		.amdhsa_exception_fp_ieee_div_zero 0
		.amdhsa_exception_fp_ieee_overflow 0
		.amdhsa_exception_fp_ieee_underflow 0
		.amdhsa_exception_fp_ieee_inexact 0
		.amdhsa_exception_int_div_zero 0
	.end_amdhsa_kernel
	.section	.text._ZN7rocprim17ROCPRIM_400000_NS6detail17trampoline_kernelINS0_14default_configENS1_25partition_config_selectorILNS1_17partition_subalgoE0ExNS0_10empty_typeEbEEZZNS1_14partition_implILS5_0ELb0ES3_jN6thrust23THRUST_200600_302600_NS6detail15normal_iteratorINSA_10device_ptrIxEEEEPS6_SG_NS0_5tupleIJNSA_16discard_iteratorINSA_11use_defaultEEESF_EEENSH_IJSG_SG_EEES6_PlJ7is_evenIxEEEE10hipError_tPvRmT3_T4_T5_T6_T7_T9_mT8_P12ihipStream_tbDpT10_ENKUlT_T0_E_clISt17integral_constantIbLb1EES18_IbLb0EEEEDaS14_S15_EUlS14_E_NS1_11comp_targetILNS1_3genE0ELNS1_11target_archE4294967295ELNS1_3gpuE0ELNS1_3repE0EEENS1_30default_config_static_selectorELNS0_4arch9wavefront6targetE1EEEvT1_,"axG",@progbits,_ZN7rocprim17ROCPRIM_400000_NS6detail17trampoline_kernelINS0_14default_configENS1_25partition_config_selectorILNS1_17partition_subalgoE0ExNS0_10empty_typeEbEEZZNS1_14partition_implILS5_0ELb0ES3_jN6thrust23THRUST_200600_302600_NS6detail15normal_iteratorINSA_10device_ptrIxEEEEPS6_SG_NS0_5tupleIJNSA_16discard_iteratorINSA_11use_defaultEEESF_EEENSH_IJSG_SG_EEES6_PlJ7is_evenIxEEEE10hipError_tPvRmT3_T4_T5_T6_T7_T9_mT8_P12ihipStream_tbDpT10_ENKUlT_T0_E_clISt17integral_constantIbLb1EES18_IbLb0EEEEDaS14_S15_EUlS14_E_NS1_11comp_targetILNS1_3genE0ELNS1_11target_archE4294967295ELNS1_3gpuE0ELNS1_3repE0EEENS1_30default_config_static_selectorELNS0_4arch9wavefront6targetE1EEEvT1_,comdat
.Lfunc_end2667:
	.size	_ZN7rocprim17ROCPRIM_400000_NS6detail17trampoline_kernelINS0_14default_configENS1_25partition_config_selectorILNS1_17partition_subalgoE0ExNS0_10empty_typeEbEEZZNS1_14partition_implILS5_0ELb0ES3_jN6thrust23THRUST_200600_302600_NS6detail15normal_iteratorINSA_10device_ptrIxEEEEPS6_SG_NS0_5tupleIJNSA_16discard_iteratorINSA_11use_defaultEEESF_EEENSH_IJSG_SG_EEES6_PlJ7is_evenIxEEEE10hipError_tPvRmT3_T4_T5_T6_T7_T9_mT8_P12ihipStream_tbDpT10_ENKUlT_T0_E_clISt17integral_constantIbLb1EES18_IbLb0EEEEDaS14_S15_EUlS14_E_NS1_11comp_targetILNS1_3genE0ELNS1_11target_archE4294967295ELNS1_3gpuE0ELNS1_3repE0EEENS1_30default_config_static_selectorELNS0_4arch9wavefront6targetE1EEEvT1_, .Lfunc_end2667-_ZN7rocprim17ROCPRIM_400000_NS6detail17trampoline_kernelINS0_14default_configENS1_25partition_config_selectorILNS1_17partition_subalgoE0ExNS0_10empty_typeEbEEZZNS1_14partition_implILS5_0ELb0ES3_jN6thrust23THRUST_200600_302600_NS6detail15normal_iteratorINSA_10device_ptrIxEEEEPS6_SG_NS0_5tupleIJNSA_16discard_iteratorINSA_11use_defaultEEESF_EEENSH_IJSG_SG_EEES6_PlJ7is_evenIxEEEE10hipError_tPvRmT3_T4_T5_T6_T7_T9_mT8_P12ihipStream_tbDpT10_ENKUlT_T0_E_clISt17integral_constantIbLb1EES18_IbLb0EEEEDaS14_S15_EUlS14_E_NS1_11comp_targetILNS1_3genE0ELNS1_11target_archE4294967295ELNS1_3gpuE0ELNS1_3repE0EEENS1_30default_config_static_selectorELNS0_4arch9wavefront6targetE1EEEvT1_
                                        ; -- End function
	.section	.AMDGPU.csdata,"",@progbits
; Kernel info:
; codeLenInByte = 0
; NumSgprs: 4
; NumVgprs: 0
; NumAgprs: 0
; TotalNumVgprs: 0
; ScratchSize: 0
; MemoryBound: 0
; FloatMode: 240
; IeeeMode: 1
; LDSByteSize: 0 bytes/workgroup (compile time only)
; SGPRBlocks: 0
; VGPRBlocks: 0
; NumSGPRsForWavesPerEU: 4
; NumVGPRsForWavesPerEU: 1
; AccumOffset: 4
; Occupancy: 8
; WaveLimiterHint : 0
; COMPUTE_PGM_RSRC2:SCRATCH_EN: 0
; COMPUTE_PGM_RSRC2:USER_SGPR: 6
; COMPUTE_PGM_RSRC2:TRAP_HANDLER: 0
; COMPUTE_PGM_RSRC2:TGID_X_EN: 1
; COMPUTE_PGM_RSRC2:TGID_Y_EN: 0
; COMPUTE_PGM_RSRC2:TGID_Z_EN: 0
; COMPUTE_PGM_RSRC2:TIDIG_COMP_CNT: 0
; COMPUTE_PGM_RSRC3_GFX90A:ACCUM_OFFSET: 0
; COMPUTE_PGM_RSRC3_GFX90A:TG_SPLIT: 0
	.section	.text._ZN7rocprim17ROCPRIM_400000_NS6detail17trampoline_kernelINS0_14default_configENS1_25partition_config_selectorILNS1_17partition_subalgoE0ExNS0_10empty_typeEbEEZZNS1_14partition_implILS5_0ELb0ES3_jN6thrust23THRUST_200600_302600_NS6detail15normal_iteratorINSA_10device_ptrIxEEEEPS6_SG_NS0_5tupleIJNSA_16discard_iteratorINSA_11use_defaultEEESF_EEENSH_IJSG_SG_EEES6_PlJ7is_evenIxEEEE10hipError_tPvRmT3_T4_T5_T6_T7_T9_mT8_P12ihipStream_tbDpT10_ENKUlT_T0_E_clISt17integral_constantIbLb1EES18_IbLb0EEEEDaS14_S15_EUlS14_E_NS1_11comp_targetILNS1_3genE5ELNS1_11target_archE942ELNS1_3gpuE9ELNS1_3repE0EEENS1_30default_config_static_selectorELNS0_4arch9wavefront6targetE1EEEvT1_,"axG",@progbits,_ZN7rocprim17ROCPRIM_400000_NS6detail17trampoline_kernelINS0_14default_configENS1_25partition_config_selectorILNS1_17partition_subalgoE0ExNS0_10empty_typeEbEEZZNS1_14partition_implILS5_0ELb0ES3_jN6thrust23THRUST_200600_302600_NS6detail15normal_iteratorINSA_10device_ptrIxEEEEPS6_SG_NS0_5tupleIJNSA_16discard_iteratorINSA_11use_defaultEEESF_EEENSH_IJSG_SG_EEES6_PlJ7is_evenIxEEEE10hipError_tPvRmT3_T4_T5_T6_T7_T9_mT8_P12ihipStream_tbDpT10_ENKUlT_T0_E_clISt17integral_constantIbLb1EES18_IbLb0EEEEDaS14_S15_EUlS14_E_NS1_11comp_targetILNS1_3genE5ELNS1_11target_archE942ELNS1_3gpuE9ELNS1_3repE0EEENS1_30default_config_static_selectorELNS0_4arch9wavefront6targetE1EEEvT1_,comdat
	.protected	_ZN7rocprim17ROCPRIM_400000_NS6detail17trampoline_kernelINS0_14default_configENS1_25partition_config_selectorILNS1_17partition_subalgoE0ExNS0_10empty_typeEbEEZZNS1_14partition_implILS5_0ELb0ES3_jN6thrust23THRUST_200600_302600_NS6detail15normal_iteratorINSA_10device_ptrIxEEEEPS6_SG_NS0_5tupleIJNSA_16discard_iteratorINSA_11use_defaultEEESF_EEENSH_IJSG_SG_EEES6_PlJ7is_evenIxEEEE10hipError_tPvRmT3_T4_T5_T6_T7_T9_mT8_P12ihipStream_tbDpT10_ENKUlT_T0_E_clISt17integral_constantIbLb1EES18_IbLb0EEEEDaS14_S15_EUlS14_E_NS1_11comp_targetILNS1_3genE5ELNS1_11target_archE942ELNS1_3gpuE9ELNS1_3repE0EEENS1_30default_config_static_selectorELNS0_4arch9wavefront6targetE1EEEvT1_ ; -- Begin function _ZN7rocprim17ROCPRIM_400000_NS6detail17trampoline_kernelINS0_14default_configENS1_25partition_config_selectorILNS1_17partition_subalgoE0ExNS0_10empty_typeEbEEZZNS1_14partition_implILS5_0ELb0ES3_jN6thrust23THRUST_200600_302600_NS6detail15normal_iteratorINSA_10device_ptrIxEEEEPS6_SG_NS0_5tupleIJNSA_16discard_iteratorINSA_11use_defaultEEESF_EEENSH_IJSG_SG_EEES6_PlJ7is_evenIxEEEE10hipError_tPvRmT3_T4_T5_T6_T7_T9_mT8_P12ihipStream_tbDpT10_ENKUlT_T0_E_clISt17integral_constantIbLb1EES18_IbLb0EEEEDaS14_S15_EUlS14_E_NS1_11comp_targetILNS1_3genE5ELNS1_11target_archE942ELNS1_3gpuE9ELNS1_3repE0EEENS1_30default_config_static_selectorELNS0_4arch9wavefront6targetE1EEEvT1_
	.globl	_ZN7rocprim17ROCPRIM_400000_NS6detail17trampoline_kernelINS0_14default_configENS1_25partition_config_selectorILNS1_17partition_subalgoE0ExNS0_10empty_typeEbEEZZNS1_14partition_implILS5_0ELb0ES3_jN6thrust23THRUST_200600_302600_NS6detail15normal_iteratorINSA_10device_ptrIxEEEEPS6_SG_NS0_5tupleIJNSA_16discard_iteratorINSA_11use_defaultEEESF_EEENSH_IJSG_SG_EEES6_PlJ7is_evenIxEEEE10hipError_tPvRmT3_T4_T5_T6_T7_T9_mT8_P12ihipStream_tbDpT10_ENKUlT_T0_E_clISt17integral_constantIbLb1EES18_IbLb0EEEEDaS14_S15_EUlS14_E_NS1_11comp_targetILNS1_3genE5ELNS1_11target_archE942ELNS1_3gpuE9ELNS1_3repE0EEENS1_30default_config_static_selectorELNS0_4arch9wavefront6targetE1EEEvT1_
	.p2align	8
	.type	_ZN7rocprim17ROCPRIM_400000_NS6detail17trampoline_kernelINS0_14default_configENS1_25partition_config_selectorILNS1_17partition_subalgoE0ExNS0_10empty_typeEbEEZZNS1_14partition_implILS5_0ELb0ES3_jN6thrust23THRUST_200600_302600_NS6detail15normal_iteratorINSA_10device_ptrIxEEEEPS6_SG_NS0_5tupleIJNSA_16discard_iteratorINSA_11use_defaultEEESF_EEENSH_IJSG_SG_EEES6_PlJ7is_evenIxEEEE10hipError_tPvRmT3_T4_T5_T6_T7_T9_mT8_P12ihipStream_tbDpT10_ENKUlT_T0_E_clISt17integral_constantIbLb1EES18_IbLb0EEEEDaS14_S15_EUlS14_E_NS1_11comp_targetILNS1_3genE5ELNS1_11target_archE942ELNS1_3gpuE9ELNS1_3repE0EEENS1_30default_config_static_selectorELNS0_4arch9wavefront6targetE1EEEvT1_,@function
_ZN7rocprim17ROCPRIM_400000_NS6detail17trampoline_kernelINS0_14default_configENS1_25partition_config_selectorILNS1_17partition_subalgoE0ExNS0_10empty_typeEbEEZZNS1_14partition_implILS5_0ELb0ES3_jN6thrust23THRUST_200600_302600_NS6detail15normal_iteratorINSA_10device_ptrIxEEEEPS6_SG_NS0_5tupleIJNSA_16discard_iteratorINSA_11use_defaultEEESF_EEENSH_IJSG_SG_EEES6_PlJ7is_evenIxEEEE10hipError_tPvRmT3_T4_T5_T6_T7_T9_mT8_P12ihipStream_tbDpT10_ENKUlT_T0_E_clISt17integral_constantIbLb1EES18_IbLb0EEEEDaS14_S15_EUlS14_E_NS1_11comp_targetILNS1_3genE5ELNS1_11target_archE942ELNS1_3gpuE9ELNS1_3repE0EEENS1_30default_config_static_selectorELNS0_4arch9wavefront6targetE1EEEvT1_: ; @_ZN7rocprim17ROCPRIM_400000_NS6detail17trampoline_kernelINS0_14default_configENS1_25partition_config_selectorILNS1_17partition_subalgoE0ExNS0_10empty_typeEbEEZZNS1_14partition_implILS5_0ELb0ES3_jN6thrust23THRUST_200600_302600_NS6detail15normal_iteratorINSA_10device_ptrIxEEEEPS6_SG_NS0_5tupleIJNSA_16discard_iteratorINSA_11use_defaultEEESF_EEENSH_IJSG_SG_EEES6_PlJ7is_evenIxEEEE10hipError_tPvRmT3_T4_T5_T6_T7_T9_mT8_P12ihipStream_tbDpT10_ENKUlT_T0_E_clISt17integral_constantIbLb1EES18_IbLb0EEEEDaS14_S15_EUlS14_E_NS1_11comp_targetILNS1_3genE5ELNS1_11target_archE942ELNS1_3gpuE9ELNS1_3repE0EEENS1_30default_config_static_selectorELNS0_4arch9wavefront6targetE1EEEvT1_
; %bb.0:
	.section	.rodata,"a",@progbits
	.p2align	6, 0x0
	.amdhsa_kernel _ZN7rocprim17ROCPRIM_400000_NS6detail17trampoline_kernelINS0_14default_configENS1_25partition_config_selectorILNS1_17partition_subalgoE0ExNS0_10empty_typeEbEEZZNS1_14partition_implILS5_0ELb0ES3_jN6thrust23THRUST_200600_302600_NS6detail15normal_iteratorINSA_10device_ptrIxEEEEPS6_SG_NS0_5tupleIJNSA_16discard_iteratorINSA_11use_defaultEEESF_EEENSH_IJSG_SG_EEES6_PlJ7is_evenIxEEEE10hipError_tPvRmT3_T4_T5_T6_T7_T9_mT8_P12ihipStream_tbDpT10_ENKUlT_T0_E_clISt17integral_constantIbLb1EES18_IbLb0EEEEDaS14_S15_EUlS14_E_NS1_11comp_targetILNS1_3genE5ELNS1_11target_archE942ELNS1_3gpuE9ELNS1_3repE0EEENS1_30default_config_static_selectorELNS0_4arch9wavefront6targetE1EEEvT1_
		.amdhsa_group_segment_fixed_size 0
		.amdhsa_private_segment_fixed_size 0
		.amdhsa_kernarg_size 128
		.amdhsa_user_sgpr_count 6
		.amdhsa_user_sgpr_private_segment_buffer 1
		.amdhsa_user_sgpr_dispatch_ptr 0
		.amdhsa_user_sgpr_queue_ptr 0
		.amdhsa_user_sgpr_kernarg_segment_ptr 1
		.amdhsa_user_sgpr_dispatch_id 0
		.amdhsa_user_sgpr_flat_scratch_init 0
		.amdhsa_user_sgpr_kernarg_preload_length 0
		.amdhsa_user_sgpr_kernarg_preload_offset 0
		.amdhsa_user_sgpr_private_segment_size 0
		.amdhsa_uses_dynamic_stack 0
		.amdhsa_system_sgpr_private_segment_wavefront_offset 0
		.amdhsa_system_sgpr_workgroup_id_x 1
		.amdhsa_system_sgpr_workgroup_id_y 0
		.amdhsa_system_sgpr_workgroup_id_z 0
		.amdhsa_system_sgpr_workgroup_info 0
		.amdhsa_system_vgpr_workitem_id 0
		.amdhsa_next_free_vgpr 1
		.amdhsa_next_free_sgpr 0
		.amdhsa_accum_offset 4
		.amdhsa_reserve_vcc 0
		.amdhsa_reserve_flat_scratch 0
		.amdhsa_float_round_mode_32 0
		.amdhsa_float_round_mode_16_64 0
		.amdhsa_float_denorm_mode_32 3
		.amdhsa_float_denorm_mode_16_64 3
		.amdhsa_dx10_clamp 1
		.amdhsa_ieee_mode 1
		.amdhsa_fp16_overflow 0
		.amdhsa_tg_split 0
		.amdhsa_exception_fp_ieee_invalid_op 0
		.amdhsa_exception_fp_denorm_src 0
		.amdhsa_exception_fp_ieee_div_zero 0
		.amdhsa_exception_fp_ieee_overflow 0
		.amdhsa_exception_fp_ieee_underflow 0
		.amdhsa_exception_fp_ieee_inexact 0
		.amdhsa_exception_int_div_zero 0
	.end_amdhsa_kernel
	.section	.text._ZN7rocprim17ROCPRIM_400000_NS6detail17trampoline_kernelINS0_14default_configENS1_25partition_config_selectorILNS1_17partition_subalgoE0ExNS0_10empty_typeEbEEZZNS1_14partition_implILS5_0ELb0ES3_jN6thrust23THRUST_200600_302600_NS6detail15normal_iteratorINSA_10device_ptrIxEEEEPS6_SG_NS0_5tupleIJNSA_16discard_iteratorINSA_11use_defaultEEESF_EEENSH_IJSG_SG_EEES6_PlJ7is_evenIxEEEE10hipError_tPvRmT3_T4_T5_T6_T7_T9_mT8_P12ihipStream_tbDpT10_ENKUlT_T0_E_clISt17integral_constantIbLb1EES18_IbLb0EEEEDaS14_S15_EUlS14_E_NS1_11comp_targetILNS1_3genE5ELNS1_11target_archE942ELNS1_3gpuE9ELNS1_3repE0EEENS1_30default_config_static_selectorELNS0_4arch9wavefront6targetE1EEEvT1_,"axG",@progbits,_ZN7rocprim17ROCPRIM_400000_NS6detail17trampoline_kernelINS0_14default_configENS1_25partition_config_selectorILNS1_17partition_subalgoE0ExNS0_10empty_typeEbEEZZNS1_14partition_implILS5_0ELb0ES3_jN6thrust23THRUST_200600_302600_NS6detail15normal_iteratorINSA_10device_ptrIxEEEEPS6_SG_NS0_5tupleIJNSA_16discard_iteratorINSA_11use_defaultEEESF_EEENSH_IJSG_SG_EEES6_PlJ7is_evenIxEEEE10hipError_tPvRmT3_T4_T5_T6_T7_T9_mT8_P12ihipStream_tbDpT10_ENKUlT_T0_E_clISt17integral_constantIbLb1EES18_IbLb0EEEEDaS14_S15_EUlS14_E_NS1_11comp_targetILNS1_3genE5ELNS1_11target_archE942ELNS1_3gpuE9ELNS1_3repE0EEENS1_30default_config_static_selectorELNS0_4arch9wavefront6targetE1EEEvT1_,comdat
.Lfunc_end2668:
	.size	_ZN7rocprim17ROCPRIM_400000_NS6detail17trampoline_kernelINS0_14default_configENS1_25partition_config_selectorILNS1_17partition_subalgoE0ExNS0_10empty_typeEbEEZZNS1_14partition_implILS5_0ELb0ES3_jN6thrust23THRUST_200600_302600_NS6detail15normal_iteratorINSA_10device_ptrIxEEEEPS6_SG_NS0_5tupleIJNSA_16discard_iteratorINSA_11use_defaultEEESF_EEENSH_IJSG_SG_EEES6_PlJ7is_evenIxEEEE10hipError_tPvRmT3_T4_T5_T6_T7_T9_mT8_P12ihipStream_tbDpT10_ENKUlT_T0_E_clISt17integral_constantIbLb1EES18_IbLb0EEEEDaS14_S15_EUlS14_E_NS1_11comp_targetILNS1_3genE5ELNS1_11target_archE942ELNS1_3gpuE9ELNS1_3repE0EEENS1_30default_config_static_selectorELNS0_4arch9wavefront6targetE1EEEvT1_, .Lfunc_end2668-_ZN7rocprim17ROCPRIM_400000_NS6detail17trampoline_kernelINS0_14default_configENS1_25partition_config_selectorILNS1_17partition_subalgoE0ExNS0_10empty_typeEbEEZZNS1_14partition_implILS5_0ELb0ES3_jN6thrust23THRUST_200600_302600_NS6detail15normal_iteratorINSA_10device_ptrIxEEEEPS6_SG_NS0_5tupleIJNSA_16discard_iteratorINSA_11use_defaultEEESF_EEENSH_IJSG_SG_EEES6_PlJ7is_evenIxEEEE10hipError_tPvRmT3_T4_T5_T6_T7_T9_mT8_P12ihipStream_tbDpT10_ENKUlT_T0_E_clISt17integral_constantIbLb1EES18_IbLb0EEEEDaS14_S15_EUlS14_E_NS1_11comp_targetILNS1_3genE5ELNS1_11target_archE942ELNS1_3gpuE9ELNS1_3repE0EEENS1_30default_config_static_selectorELNS0_4arch9wavefront6targetE1EEEvT1_
                                        ; -- End function
	.section	.AMDGPU.csdata,"",@progbits
; Kernel info:
; codeLenInByte = 0
; NumSgprs: 4
; NumVgprs: 0
; NumAgprs: 0
; TotalNumVgprs: 0
; ScratchSize: 0
; MemoryBound: 0
; FloatMode: 240
; IeeeMode: 1
; LDSByteSize: 0 bytes/workgroup (compile time only)
; SGPRBlocks: 0
; VGPRBlocks: 0
; NumSGPRsForWavesPerEU: 4
; NumVGPRsForWavesPerEU: 1
; AccumOffset: 4
; Occupancy: 8
; WaveLimiterHint : 0
; COMPUTE_PGM_RSRC2:SCRATCH_EN: 0
; COMPUTE_PGM_RSRC2:USER_SGPR: 6
; COMPUTE_PGM_RSRC2:TRAP_HANDLER: 0
; COMPUTE_PGM_RSRC2:TGID_X_EN: 1
; COMPUTE_PGM_RSRC2:TGID_Y_EN: 0
; COMPUTE_PGM_RSRC2:TGID_Z_EN: 0
; COMPUTE_PGM_RSRC2:TIDIG_COMP_CNT: 0
; COMPUTE_PGM_RSRC3_GFX90A:ACCUM_OFFSET: 0
; COMPUTE_PGM_RSRC3_GFX90A:TG_SPLIT: 0
	.section	.text._ZN7rocprim17ROCPRIM_400000_NS6detail17trampoline_kernelINS0_14default_configENS1_25partition_config_selectorILNS1_17partition_subalgoE0ExNS0_10empty_typeEbEEZZNS1_14partition_implILS5_0ELb0ES3_jN6thrust23THRUST_200600_302600_NS6detail15normal_iteratorINSA_10device_ptrIxEEEEPS6_SG_NS0_5tupleIJNSA_16discard_iteratorINSA_11use_defaultEEESF_EEENSH_IJSG_SG_EEES6_PlJ7is_evenIxEEEE10hipError_tPvRmT3_T4_T5_T6_T7_T9_mT8_P12ihipStream_tbDpT10_ENKUlT_T0_E_clISt17integral_constantIbLb1EES18_IbLb0EEEEDaS14_S15_EUlS14_E_NS1_11comp_targetILNS1_3genE4ELNS1_11target_archE910ELNS1_3gpuE8ELNS1_3repE0EEENS1_30default_config_static_selectorELNS0_4arch9wavefront6targetE1EEEvT1_,"axG",@progbits,_ZN7rocprim17ROCPRIM_400000_NS6detail17trampoline_kernelINS0_14default_configENS1_25partition_config_selectorILNS1_17partition_subalgoE0ExNS0_10empty_typeEbEEZZNS1_14partition_implILS5_0ELb0ES3_jN6thrust23THRUST_200600_302600_NS6detail15normal_iteratorINSA_10device_ptrIxEEEEPS6_SG_NS0_5tupleIJNSA_16discard_iteratorINSA_11use_defaultEEESF_EEENSH_IJSG_SG_EEES6_PlJ7is_evenIxEEEE10hipError_tPvRmT3_T4_T5_T6_T7_T9_mT8_P12ihipStream_tbDpT10_ENKUlT_T0_E_clISt17integral_constantIbLb1EES18_IbLb0EEEEDaS14_S15_EUlS14_E_NS1_11comp_targetILNS1_3genE4ELNS1_11target_archE910ELNS1_3gpuE8ELNS1_3repE0EEENS1_30default_config_static_selectorELNS0_4arch9wavefront6targetE1EEEvT1_,comdat
	.protected	_ZN7rocprim17ROCPRIM_400000_NS6detail17trampoline_kernelINS0_14default_configENS1_25partition_config_selectorILNS1_17partition_subalgoE0ExNS0_10empty_typeEbEEZZNS1_14partition_implILS5_0ELb0ES3_jN6thrust23THRUST_200600_302600_NS6detail15normal_iteratorINSA_10device_ptrIxEEEEPS6_SG_NS0_5tupleIJNSA_16discard_iteratorINSA_11use_defaultEEESF_EEENSH_IJSG_SG_EEES6_PlJ7is_evenIxEEEE10hipError_tPvRmT3_T4_T5_T6_T7_T9_mT8_P12ihipStream_tbDpT10_ENKUlT_T0_E_clISt17integral_constantIbLb1EES18_IbLb0EEEEDaS14_S15_EUlS14_E_NS1_11comp_targetILNS1_3genE4ELNS1_11target_archE910ELNS1_3gpuE8ELNS1_3repE0EEENS1_30default_config_static_selectorELNS0_4arch9wavefront6targetE1EEEvT1_ ; -- Begin function _ZN7rocprim17ROCPRIM_400000_NS6detail17trampoline_kernelINS0_14default_configENS1_25partition_config_selectorILNS1_17partition_subalgoE0ExNS0_10empty_typeEbEEZZNS1_14partition_implILS5_0ELb0ES3_jN6thrust23THRUST_200600_302600_NS6detail15normal_iteratorINSA_10device_ptrIxEEEEPS6_SG_NS0_5tupleIJNSA_16discard_iteratorINSA_11use_defaultEEESF_EEENSH_IJSG_SG_EEES6_PlJ7is_evenIxEEEE10hipError_tPvRmT3_T4_T5_T6_T7_T9_mT8_P12ihipStream_tbDpT10_ENKUlT_T0_E_clISt17integral_constantIbLb1EES18_IbLb0EEEEDaS14_S15_EUlS14_E_NS1_11comp_targetILNS1_3genE4ELNS1_11target_archE910ELNS1_3gpuE8ELNS1_3repE0EEENS1_30default_config_static_selectorELNS0_4arch9wavefront6targetE1EEEvT1_
	.globl	_ZN7rocprim17ROCPRIM_400000_NS6detail17trampoline_kernelINS0_14default_configENS1_25partition_config_selectorILNS1_17partition_subalgoE0ExNS0_10empty_typeEbEEZZNS1_14partition_implILS5_0ELb0ES3_jN6thrust23THRUST_200600_302600_NS6detail15normal_iteratorINSA_10device_ptrIxEEEEPS6_SG_NS0_5tupleIJNSA_16discard_iteratorINSA_11use_defaultEEESF_EEENSH_IJSG_SG_EEES6_PlJ7is_evenIxEEEE10hipError_tPvRmT3_T4_T5_T6_T7_T9_mT8_P12ihipStream_tbDpT10_ENKUlT_T0_E_clISt17integral_constantIbLb1EES18_IbLb0EEEEDaS14_S15_EUlS14_E_NS1_11comp_targetILNS1_3genE4ELNS1_11target_archE910ELNS1_3gpuE8ELNS1_3repE0EEENS1_30default_config_static_selectorELNS0_4arch9wavefront6targetE1EEEvT1_
	.p2align	8
	.type	_ZN7rocprim17ROCPRIM_400000_NS6detail17trampoline_kernelINS0_14default_configENS1_25partition_config_selectorILNS1_17partition_subalgoE0ExNS0_10empty_typeEbEEZZNS1_14partition_implILS5_0ELb0ES3_jN6thrust23THRUST_200600_302600_NS6detail15normal_iteratorINSA_10device_ptrIxEEEEPS6_SG_NS0_5tupleIJNSA_16discard_iteratorINSA_11use_defaultEEESF_EEENSH_IJSG_SG_EEES6_PlJ7is_evenIxEEEE10hipError_tPvRmT3_T4_T5_T6_T7_T9_mT8_P12ihipStream_tbDpT10_ENKUlT_T0_E_clISt17integral_constantIbLb1EES18_IbLb0EEEEDaS14_S15_EUlS14_E_NS1_11comp_targetILNS1_3genE4ELNS1_11target_archE910ELNS1_3gpuE8ELNS1_3repE0EEENS1_30default_config_static_selectorELNS0_4arch9wavefront6targetE1EEEvT1_,@function
_ZN7rocprim17ROCPRIM_400000_NS6detail17trampoline_kernelINS0_14default_configENS1_25partition_config_selectorILNS1_17partition_subalgoE0ExNS0_10empty_typeEbEEZZNS1_14partition_implILS5_0ELb0ES3_jN6thrust23THRUST_200600_302600_NS6detail15normal_iteratorINSA_10device_ptrIxEEEEPS6_SG_NS0_5tupleIJNSA_16discard_iteratorINSA_11use_defaultEEESF_EEENSH_IJSG_SG_EEES6_PlJ7is_evenIxEEEE10hipError_tPvRmT3_T4_T5_T6_T7_T9_mT8_P12ihipStream_tbDpT10_ENKUlT_T0_E_clISt17integral_constantIbLb1EES18_IbLb0EEEEDaS14_S15_EUlS14_E_NS1_11comp_targetILNS1_3genE4ELNS1_11target_archE910ELNS1_3gpuE8ELNS1_3repE0EEENS1_30default_config_static_selectorELNS0_4arch9wavefront6targetE1EEEvT1_: ; @_ZN7rocprim17ROCPRIM_400000_NS6detail17trampoline_kernelINS0_14default_configENS1_25partition_config_selectorILNS1_17partition_subalgoE0ExNS0_10empty_typeEbEEZZNS1_14partition_implILS5_0ELb0ES3_jN6thrust23THRUST_200600_302600_NS6detail15normal_iteratorINSA_10device_ptrIxEEEEPS6_SG_NS0_5tupleIJNSA_16discard_iteratorINSA_11use_defaultEEESF_EEENSH_IJSG_SG_EEES6_PlJ7is_evenIxEEEE10hipError_tPvRmT3_T4_T5_T6_T7_T9_mT8_P12ihipStream_tbDpT10_ENKUlT_T0_E_clISt17integral_constantIbLb1EES18_IbLb0EEEEDaS14_S15_EUlS14_E_NS1_11comp_targetILNS1_3genE4ELNS1_11target_archE910ELNS1_3gpuE8ELNS1_3repE0EEENS1_30default_config_static_selectorELNS0_4arch9wavefront6targetE1EEEvT1_
; %bb.0:
	s_load_dwordx2 s[0:1], s[4:5], 0x60
	s_load_dwordx4 s[20:23], s[4:5], 0x8
	s_load_dwordx4 s[24:27], s[4:5], 0x50
	s_load_dword s7, s[4:5], 0x78
	s_mul_i32 s8, s6, 0x300
	s_waitcnt lgkmcnt(0)
	v_mov_b32_e32 v3, s1
	s_lshl_b64 s[2:3], s[22:23], 3
	s_add_u32 s10, s20, s2
	s_mul_i32 s1, s7, 0x300
	s_addc_u32 s11, s21, s3
	s_add_i32 s3, s1, s22
	s_sub_i32 s33, s0, s3
	s_add_i32 s2, s7, -1
	s_addk_i32 s33, 0x300
	v_mov_b32_e32 v2, s0
	s_add_u32 s0, s22, s1
	s_addc_u32 s1, s23, 0
	s_cmp_eq_u32 s6, s2
	s_load_dwordx2 s[28:29], s[26:27], 0x0
	s_cselect_b64 s[26:27], -1, 0
	s_cmp_lg_u32 s6, s2
	s_mov_b32 s9, 0
	v_cmp_lt_u64_e32 vcc, s[0:1], v[2:3]
	s_cselect_b64 s[0:1], -1, 0
	s_or_b64 s[2:3], s[0:1], vcc
	s_lshl_b64 s[30:31], s[8:9], 3
	s_add_u32 s7, s10, s30
	s_addc_u32 s10, s11, s31
	s_mov_b64 s[0:1], -1
	s_and_b64 vcc, exec, s[2:3]
	v_lshlrev_b32_e32 v20, 3, v0
	v_lshrrev_b32_e32 v1, 2, v0
	s_cbranch_vccz .LBB2669_2
; %bb.1:
	v_mov_b32_e32 v3, s10
	v_add_co_u32_e32 v2, vcc, s7, v20
	v_addc_co_u32_e32 v3, vcc, 0, v3, vcc
	v_add_co_u32_e32 v4, vcc, 0x1000, v2
	v_addc_co_u32_e32 v5, vcc, 0, v3, vcc
	flat_load_dwordx2 v[6:7], v[2:3]
	flat_load_dwordx2 v[8:9], v[2:3] offset:1536
	flat_load_dwordx2 v[10:11], v[2:3] offset:3072
	;; [unrolled: 1-line block ×3, first 2 shown]
	v_add_u32_e32 v3, 0xc0, v0
	v_add_u32_e32 v4, 0x180, v0
	;; [unrolled: 1-line block ×3, first 2 shown]
	v_and_b32_e32 v2, 56, v1
	v_lshrrev_b32_e32 v3, 2, v3
	v_lshrrev_b32_e32 v4, 2, v4
	v_lshrrev_b32_e32 v5, 2, v5
	v_add_u32_e32 v2, v2, v20
	v_and_b32_e32 v3, 0x78, v3
	v_and_b32_e32 v4, 0xf8, v4
	;; [unrolled: 1-line block ×3, first 2 shown]
	v_add_u32_e32 v3, v3, v20
	v_add_u32_e32 v4, v4, v20
	;; [unrolled: 1-line block ×3, first 2 shown]
	s_mov_b64 s[0:1], 0
	s_waitcnt vmcnt(0) lgkmcnt(0)
	ds_write_b64 v2, v[6:7]
	ds_write_b64 v3, v[8:9] offset:1536
	ds_write_b64 v4, v[10:11] offset:3072
	;; [unrolled: 1-line block ×3, first 2 shown]
	s_waitcnt lgkmcnt(0)
	s_barrier
.LBB2669_2:
	s_andn2_b64 vcc, exec, s[0:1]
	v_cmp_gt_u32_e64 s[0:1], s33, v0
	s_cbranch_vccnz .LBB2669_12
; %bb.3:
                                        ; implicit-def: $vgpr2_vgpr3_vgpr4_vgpr5_vgpr6_vgpr7_vgpr8_vgpr9
	s_and_saveexec_b64 s[8:9], s[0:1]
	s_cbranch_execz .LBB2669_5
; %bb.4:
	v_mov_b32_e32 v3, s10
	v_add_co_u32_e32 v2, vcc, s7, v20
	v_addc_co_u32_e32 v3, vcc, 0, v3, vcc
	flat_load_dwordx2 v[2:3], v[2:3]
.LBB2669_5:
	s_or_b64 exec, exec, s[8:9]
	v_add_u32_e32 v10, 0xc0, v0
	v_cmp_gt_u32_e32 vcc, s33, v10
	s_and_saveexec_b64 s[0:1], vcc
	s_cbranch_execz .LBB2669_7
; %bb.6:
	v_mov_b32_e32 v5, s10
	v_add_co_u32_e32 v4, vcc, s7, v20
	v_addc_co_u32_e32 v5, vcc, 0, v5, vcc
	flat_load_dwordx2 v[4:5], v[4:5] offset:1536
.LBB2669_7:
	s_or_b64 exec, exec, s[0:1]
	v_add_u32_e32 v11, 0x180, v0
	v_cmp_gt_u32_e32 vcc, s33, v11
	s_and_saveexec_b64 s[0:1], vcc
	s_cbranch_execz .LBB2669_9
; %bb.8:
	v_mov_b32_e32 v7, s10
	v_add_co_u32_e32 v6, vcc, s7, v20
	v_addc_co_u32_e32 v7, vcc, 0, v7, vcc
	flat_load_dwordx2 v[6:7], v[6:7] offset:3072
.LBB2669_9:
	s_or_b64 exec, exec, s[0:1]
	v_add_u32_e32 v12, 0x240, v0
	v_cmp_gt_u32_e32 vcc, s33, v12
	s_and_saveexec_b64 s[0:1], vcc
	s_cbranch_execz .LBB2669_11
; %bb.10:
	v_lshlrev_b32_e32 v8, 3, v12
	v_mov_b32_e32 v9, s10
	v_add_co_u32_e32 v8, vcc, s7, v8
	v_addc_co_u32_e32 v9, vcc, 0, v9, vcc
	flat_load_dwordx2 v[8:9], v[8:9]
.LBB2669_11:
	s_or_b64 exec, exec, s[0:1]
	v_and_b32_e32 v1, 56, v1
	v_add_u32_e32 v1, v1, v20
	s_waitcnt vmcnt(0) lgkmcnt(0)
	ds_write_b64 v1, v[2:3]
	v_lshrrev_b32_e32 v1, 2, v10
	v_and_b32_e32 v1, 0x78, v1
	v_add_u32_e32 v1, v1, v20
	ds_write_b64 v1, v[4:5] offset:1536
	v_lshrrev_b32_e32 v1, 2, v11
	v_and_b32_e32 v1, 0xf8, v1
	v_add_u32_e32 v1, v1, v20
	ds_write_b64 v1, v[6:7] offset:3072
	;; [unrolled: 4-line block ×3, first 2 shown]
	s_waitcnt lgkmcnt(0)
	s_barrier
.LBB2669_12:
	v_lshlrev_b32_e32 v1, 2, v0
	v_lshrrev_b32_e32 v2, 3, v0
	v_add_lshl_u32 v2, v2, v1, 3
	s_waitcnt lgkmcnt(0)
	ds_read2_b64 v[6:9], v2 offset1:1
	ds_read2_b64 v[2:5], v2 offset0:2 offset1:3
	v_cndmask_b32_e64 v10, 0, 1, s[2:3]
	v_cmp_ne_u32_e64 s[0:1], 1, v10
	s_andn2_b64 vcc, exec, s[2:3]
	s_waitcnt lgkmcnt(1)
	v_xor_b32_e32 v13, -1, v6
	v_xor_b32_e32 v12, -1, v8
	s_waitcnt lgkmcnt(0)
	v_xor_b32_e32 v11, -1, v2
	v_xor_b32_e32 v10, -1, v4
	s_barrier
	s_cbranch_vccnz .LBB2669_14
; %bb.13:
	v_mov_b32_e32 v15, 1
	v_and_b32_e32 v14, 1, v13
	v_and_b32_sdwa v16, v12, v15 dst_sel:BYTE_1 dst_unused:UNUSED_PAD src0_sel:DWORD src1_sel:DWORD
	v_and_b32_e32 v17, 1, v11
	v_and_b32_sdwa v15, v10, v15 dst_sel:BYTE_1 dst_unused:UNUSED_PAD src0_sel:DWORD src1_sel:DWORD
	v_or_b32_e32 v14, v14, v16
	v_or_b32_sdwa v15, v17, v15 dst_sel:WORD_1 dst_unused:UNUSED_PAD src0_sel:DWORD src1_sel:DWORD
	v_or_b32_sdwa v21, v14, v15 dst_sel:DWORD dst_unused:UNUSED_PAD src0_sel:WORD_0 src1_sel:DWORD
	s_load_dwordx2 s[34:35], s[4:5], 0x70
	s_cbranch_execz .LBB2669_15
	s_branch .LBB2669_16
.LBB2669_14:
                                        ; implicit-def: $vgpr21
	s_load_dwordx2 s[34:35], s[4:5], 0x70
.LBB2669_15:
	v_cmp_gt_u32_e32 vcc, s33, v1
	v_cndmask_b32_e64 v14, 0, 1, vcc
	v_and_b32_e32 v13, v14, v13
	v_or_b32_e32 v14, 1, v1
	v_cmp_gt_u32_e32 vcc, s33, v14
	v_cndmask_b32_e64 v14, 0, 1, vcc
	v_and_b32_sdwa v12, v14, v12 dst_sel:BYTE_1 dst_unused:UNUSED_PAD src0_sel:DWORD src1_sel:DWORD
	v_or_b32_e32 v14, 2, v1
	v_cmp_gt_u32_e32 vcc, s33, v14
	v_cndmask_b32_e64 v14, 0, 1, vcc
	v_and_b32_e32 v11, v14, v11
	v_or_b32_e32 v14, 3, v1
	v_cmp_gt_u32_e32 vcc, s33, v14
	v_cndmask_b32_e64 v14, 0, 1, vcc
	v_and_b32_sdwa v10, v14, v10 dst_sel:BYTE_1 dst_unused:UNUSED_PAD src0_sel:DWORD src1_sel:DWORD
	v_or_b32_e32 v12, v13, v12
	v_or_b32_sdwa v10, v11, v10 dst_sel:WORD_1 dst_unused:UNUSED_PAD src0_sel:DWORD src1_sel:DWORD
	v_or_b32_sdwa v21, v12, v10 dst_sel:DWORD dst_unused:UNUSED_PAD src0_sel:WORD_0 src1_sel:DWORD
.LBB2669_16:
	v_bfe_u32 v23, v21, 16, 8
	v_lshrrev_b32_e32 v22, 24, v21
	v_add_u32_sdwa v10, v21, v21 dst_sel:DWORD dst_unused:UNUSED_PAD src0_sel:BYTE_1 src1_sel:BYTE_0
	v_add3_u32 v26, v10, v23, v22
	v_mbcnt_lo_u32_b32 v10, -1, 0
	v_mbcnt_hi_u32_b32 v24, -1, v10
	v_and_b32_e32 v10, 15, v24
	v_cmp_eq_u32_e64 s[16:17], 0, v10
	v_cmp_lt_u32_e64 s[14:15], 1, v10
	v_cmp_lt_u32_e64 s[12:13], 3, v10
	;; [unrolled: 1-line block ×3, first 2 shown]
	v_and_b32_e32 v10, 16, v24
	v_cmp_eq_u32_e64 s[20:21], 0, v10
	v_and_b32_e32 v10, 0xc0, v0
	v_min_u32_e32 v10, 0x80, v10
	v_or_b32_e32 v10, 63, v10
	s_cmp_lg_u32 s6, 0
	v_cmp_lt_u32_e64 s[2:3], 31, v24
	v_lshrrev_b32_e32 v25, 6, v0
	v_cmp_eq_u32_e64 s[8:9], v10, v0
	s_cbranch_scc0 .LBB2669_47
; %bb.17:
	v_mov_b32_dpp v10, v26 row_shr:1 row_mask:0xf bank_mask:0xf
	v_cndmask_b32_e64 v10, v10, 0, s[16:17]
	v_add_u32_e32 v10, v10, v26
	s_nop 1
	v_mov_b32_dpp v11, v10 row_shr:2 row_mask:0xf bank_mask:0xf
	v_cndmask_b32_e64 v11, 0, v11, s[14:15]
	v_add_u32_e32 v10, v10, v11
	s_nop 1
	;; [unrolled: 4-line block ×4, first 2 shown]
	v_mov_b32_dpp v11, v10 row_bcast:15 row_mask:0xf bank_mask:0xf
	v_cndmask_b32_e64 v11, v11, 0, s[20:21]
	v_add_u32_e32 v10, v10, v11
	s_nop 1
	v_mov_b32_dpp v11, v10 row_bcast:31 row_mask:0xf bank_mask:0xf
	v_cndmask_b32_e64 v11, 0, v11, s[2:3]
	v_add_u32_e32 v10, v10, v11
	s_and_saveexec_b64 s[18:19], s[8:9]
	s_cbranch_execz .LBB2669_19
; %bb.18:
	v_lshlrev_b32_e32 v11, 2, v25
	ds_write_b32 v11, v10
.LBB2669_19:
	s_or_b64 exec, exec, s[18:19]
	v_cmp_gt_u32_e32 vcc, 3, v0
	s_waitcnt lgkmcnt(0)
	s_barrier
	s_and_saveexec_b64 s[18:19], vcc
	s_cbranch_execz .LBB2669_21
; %bb.20:
	ds_read_b32 v11, v1
	v_and_b32_e32 v12, 3, v24
	v_cmp_ne_u32_e32 vcc, 0, v12
	s_waitcnt lgkmcnt(0)
	v_mov_b32_dpp v13, v11 row_shr:1 row_mask:0xf bank_mask:0xf
	v_cndmask_b32_e32 v13, 0, v13, vcc
	v_add_u32_e32 v11, v13, v11
	v_cmp_lt_u32_e32 vcc, 1, v12
	s_nop 0
	v_mov_b32_dpp v13, v11 row_shr:2 row_mask:0xf bank_mask:0xf
	v_cndmask_b32_e32 v12, 0, v13, vcc
	v_add_u32_e32 v11, v11, v12
	ds_write_b32 v1, v11
.LBB2669_21:
	s_or_b64 exec, exec, s[18:19]
	v_cmp_gt_u32_e32 vcc, 64, v0
	v_cmp_lt_u32_e64 s[18:19], 63, v0
	s_waitcnt lgkmcnt(0)
	s_barrier
	s_waitcnt lgkmcnt(0)
                                        ; implicit-def: $vgpr27
	s_and_saveexec_b64 s[36:37], s[18:19]
	s_cbranch_execz .LBB2669_23
; %bb.22:
	v_lshl_add_u32 v11, v25, 2, -4
	ds_read_b32 v27, v11
	s_waitcnt lgkmcnt(0)
	v_add_u32_e32 v10, v27, v10
.LBB2669_23:
	s_or_b64 exec, exec, s[36:37]
	v_add_u32_e32 v11, -1, v24
	v_and_b32_e32 v12, 64, v24
	v_cmp_lt_i32_e64 s[18:19], v11, v12
	v_cndmask_b32_e64 v11, v11, v24, s[18:19]
	v_lshlrev_b32_e32 v11, 2, v11
	ds_bpermute_b32 v28, v11, v10
	v_cmp_eq_u32_e64 s[18:19], 0, v24
	s_and_saveexec_b64 s[36:37], vcc
	s_cbranch_execz .LBB2669_46
; %bb.24:
	v_mov_b32_e32 v19, 0
	ds_read_b32 v10, v19 offset:8
	s_and_saveexec_b64 s[38:39], s[18:19]
	s_cbranch_execz .LBB2669_26
; %bb.25:
	s_add_i32 s40, s6, 64
	s_mov_b32 s41, 0
	s_lshl_b64 s[40:41], s[40:41], 3
	s_add_u32 s40, s34, s40
	v_mov_b32_e32 v11, 1
	s_addc_u32 s41, s35, s41
	s_waitcnt lgkmcnt(0)
	global_store_dwordx2 v19, v[10:11], s[40:41]
.LBB2669_26:
	s_or_b64 exec, exec, s[38:39]
	v_xad_u32 v12, v24, -1, s6
	v_add_u32_e32 v18, 64, v12
	v_lshlrev_b64 v[14:15], 3, v[18:19]
	v_mov_b32_e32 v11, s35
	v_add_co_u32_e32 v14, vcc, s34, v14
	v_addc_co_u32_e32 v15, vcc, v11, v15, vcc
	global_load_dwordx2 v[16:17], v[14:15], off glc
	s_waitcnt vmcnt(0)
	v_cmp_eq_u16_sdwa s[40:41], v17, v19 src0_sel:BYTE_0 src1_sel:DWORD
	s_and_saveexec_b64 s[38:39], s[40:41]
	s_cbranch_execz .LBB2669_32
; %bb.27:
	s_mov_b32 s7, 1
	s_mov_b64 s[40:41], 0
	v_mov_b32_e32 v11, 0
.LBB2669_28:                            ; =>This Loop Header: Depth=1
                                        ;     Child Loop BB2669_29 Depth 2
	s_max_u32 s42, s7, 1
.LBB2669_29:                            ;   Parent Loop BB2669_28 Depth=1
                                        ; =>  This Inner Loop Header: Depth=2
	s_add_i32 s42, s42, -1
	s_cmp_eq_u32 s42, 0
	s_sleep 1
	s_cbranch_scc0 .LBB2669_29
; %bb.30:                               ;   in Loop: Header=BB2669_28 Depth=1
	global_load_dwordx2 v[16:17], v[14:15], off glc
	s_cmp_lt_u32 s7, 32
	s_cselect_b64 s[42:43], -1, 0
	s_cmp_lg_u64 s[42:43], 0
	s_addc_u32 s7, s7, 0
	s_waitcnt vmcnt(0)
	v_cmp_ne_u16_sdwa s[42:43], v17, v11 src0_sel:BYTE_0 src1_sel:DWORD
	s_or_b64 s[40:41], s[42:43], s[40:41]
	s_andn2_b64 exec, exec, s[40:41]
	s_cbranch_execnz .LBB2669_28
; %bb.31:
	s_or_b64 exec, exec, s[40:41]
.LBB2669_32:
	s_or_b64 exec, exec, s[38:39]
	v_and_b32_e32 v30, 63, v24
	v_mov_b32_e32 v29, 2
	v_cmp_ne_u32_e32 vcc, 63, v30
	v_cmp_eq_u16_sdwa s[38:39], v17, v29 src0_sel:BYTE_0 src1_sel:DWORD
	v_lshlrev_b64 v[14:15], v24, -1
	v_addc_co_u32_e32 v18, vcc, 0, v24, vcc
	v_and_b32_e32 v11, s39, v15
	v_lshlrev_b32_e32 v31, 2, v18
	v_or_b32_e32 v11, 0x80000000, v11
	ds_bpermute_b32 v18, v31, v16
	v_and_b32_e32 v13, s38, v14
	v_ffbl_b32_e32 v11, v11
	v_add_u32_e32 v11, 32, v11
	v_ffbl_b32_e32 v13, v13
	v_min_u32_e32 v11, v13, v11
	v_cmp_lt_u32_e32 vcc, v30, v11
	s_waitcnt lgkmcnt(0)
	v_cndmask_b32_e32 v13, 0, v18, vcc
	v_cmp_gt_u32_e32 vcc, 62, v30
	v_add_u32_e32 v13, v13, v16
	v_cndmask_b32_e64 v16, 0, 1, vcc
	v_lshlrev_b32_e32 v16, 1, v16
	v_add_lshl_u32 v32, v16, v24, 2
	ds_bpermute_b32 v16, v32, v13
	v_add_u32_e32 v33, 2, v30
	v_cmp_le_u32_e32 vcc, v33, v11
	v_add_u32_e32 v35, 4, v30
	v_add_u32_e32 v37, 8, v30
	s_waitcnt lgkmcnt(0)
	v_cndmask_b32_e32 v16, 0, v16, vcc
	v_cmp_gt_u32_e32 vcc, 60, v30
	v_add_u32_e32 v13, v13, v16
	v_cndmask_b32_e64 v16, 0, 1, vcc
	v_lshlrev_b32_e32 v16, 2, v16
	v_add_lshl_u32 v34, v16, v24, 2
	ds_bpermute_b32 v16, v34, v13
	v_cmp_le_u32_e32 vcc, v35, v11
	v_add_u32_e32 v39, 16, v30
	v_add_u32_e32 v41, 32, v30
	s_waitcnt lgkmcnt(0)
	v_cndmask_b32_e32 v16, 0, v16, vcc
	v_cmp_gt_u32_e32 vcc, 56, v30
	v_add_u32_e32 v13, v13, v16
	v_cndmask_b32_e64 v16, 0, 1, vcc
	v_lshlrev_b32_e32 v16, 3, v16
	v_add_lshl_u32 v36, v16, v24, 2
	ds_bpermute_b32 v16, v36, v13
	v_cmp_le_u32_e32 vcc, v37, v11
	s_waitcnt lgkmcnt(0)
	v_cndmask_b32_e32 v16, 0, v16, vcc
	v_cmp_gt_u32_e32 vcc, 48, v30
	v_add_u32_e32 v13, v13, v16
	v_cndmask_b32_e64 v16, 0, 1, vcc
	v_lshlrev_b32_e32 v16, 4, v16
	v_add_lshl_u32 v38, v16, v24, 2
	ds_bpermute_b32 v16, v38, v13
	v_cmp_le_u32_e32 vcc, v39, v11
	;; [unrolled: 9-line block ×3, first 2 shown]
	s_waitcnt lgkmcnt(0)
	v_cndmask_b32_e32 v11, 0, v16, vcc
	v_add_u32_e32 v16, v13, v11
	v_mov_b32_e32 v13, 0
	s_branch .LBB2669_34
.LBB2669_33:                            ;   in Loop: Header=BB2669_34 Depth=1
	s_or_b64 exec, exec, s[38:39]
	v_cmp_eq_u16_sdwa s[38:39], v17, v29 src0_sel:BYTE_0 src1_sel:DWORD
	v_and_b32_e32 v18, s39, v15
	v_or_b32_e32 v18, 0x80000000, v18
	ds_bpermute_b32 v42, v31, v16
	v_and_b32_e32 v19, s38, v14
	v_ffbl_b32_e32 v18, v18
	v_add_u32_e32 v18, 32, v18
	v_ffbl_b32_e32 v19, v19
	v_min_u32_e32 v18, v19, v18
	v_cmp_lt_u32_e32 vcc, v30, v18
	s_waitcnt lgkmcnt(0)
	v_cndmask_b32_e32 v19, 0, v42, vcc
	v_add_u32_e32 v16, v19, v16
	ds_bpermute_b32 v19, v32, v16
	v_cmp_le_u32_e32 vcc, v33, v18
	v_subrev_u32_e32 v12, 64, v12
	s_waitcnt lgkmcnt(0)
	v_cndmask_b32_e32 v19, 0, v19, vcc
	v_add_u32_e32 v16, v16, v19
	ds_bpermute_b32 v19, v34, v16
	v_cmp_le_u32_e32 vcc, v35, v18
	s_waitcnt lgkmcnt(0)
	v_cndmask_b32_e32 v19, 0, v19, vcc
	v_add_u32_e32 v16, v16, v19
	ds_bpermute_b32 v19, v36, v16
	v_cmp_le_u32_e32 vcc, v37, v18
	;; [unrolled: 5-line block ×4, first 2 shown]
	s_waitcnt lgkmcnt(0)
	v_cndmask_b32_e32 v18, 0, v19, vcc
	v_add3_u32 v16, v18, v11, v16
.LBB2669_34:                            ; =>This Loop Header: Depth=1
                                        ;     Child Loop BB2669_37 Depth 2
                                        ;       Child Loop BB2669_38 Depth 3
	v_cmp_ne_u16_sdwa s[38:39], v17, v29 src0_sel:BYTE_0 src1_sel:DWORD
	v_cndmask_b32_e64 v11, 0, 1, s[38:39]
	;;#ASMSTART
	;;#ASMEND
	v_cmp_ne_u32_e32 vcc, 0, v11
	s_cmp_lg_u64 vcc, exec
	v_mov_b32_e32 v11, v16
	s_cbranch_scc1 .LBB2669_41
; %bb.35:                               ;   in Loop: Header=BB2669_34 Depth=1
	v_lshlrev_b64 v[16:17], 3, v[12:13]
	v_mov_b32_e32 v19, s35
	v_add_co_u32_e32 v18, vcc, s34, v16
	v_addc_co_u32_e32 v19, vcc, v19, v17, vcc
	global_load_dwordx2 v[16:17], v[18:19], off glc
	s_waitcnt vmcnt(0)
	v_cmp_eq_u16_sdwa s[40:41], v17, v13 src0_sel:BYTE_0 src1_sel:DWORD
	s_and_saveexec_b64 s[38:39], s[40:41]
	s_cbranch_execz .LBB2669_33
; %bb.36:                               ;   in Loop: Header=BB2669_34 Depth=1
	s_mov_b32 s7, 1
	s_mov_b64 s[40:41], 0
.LBB2669_37:                            ;   Parent Loop BB2669_34 Depth=1
                                        ; =>  This Loop Header: Depth=2
                                        ;       Child Loop BB2669_38 Depth 3
	s_max_u32 s42, s7, 1
.LBB2669_38:                            ;   Parent Loop BB2669_34 Depth=1
                                        ;     Parent Loop BB2669_37 Depth=2
                                        ; =>    This Inner Loop Header: Depth=3
	s_add_i32 s42, s42, -1
	s_cmp_eq_u32 s42, 0
	s_sleep 1
	s_cbranch_scc0 .LBB2669_38
; %bb.39:                               ;   in Loop: Header=BB2669_37 Depth=2
	global_load_dwordx2 v[16:17], v[18:19], off glc
	s_cmp_lt_u32 s7, 32
	s_cselect_b64 s[42:43], -1, 0
	s_cmp_lg_u64 s[42:43], 0
	s_addc_u32 s7, s7, 0
	s_waitcnt vmcnt(0)
	v_cmp_ne_u16_sdwa s[42:43], v17, v13 src0_sel:BYTE_0 src1_sel:DWORD
	s_or_b64 s[40:41], s[42:43], s[40:41]
	s_andn2_b64 exec, exec, s[40:41]
	s_cbranch_execnz .LBB2669_37
; %bb.40:                               ;   in Loop: Header=BB2669_34 Depth=1
	s_or_b64 exec, exec, s[40:41]
	s_branch .LBB2669_33
.LBB2669_41:                            ;   in Loop: Header=BB2669_34 Depth=1
                                        ; implicit-def: $vgpr16
                                        ; implicit-def: $vgpr17
	s_cbranch_execz .LBB2669_34
; %bb.42:
	s_and_saveexec_b64 s[38:39], s[18:19]
	s_cbranch_execz .LBB2669_44
; %bb.43:
	s_add_i32 s6, s6, 64
	s_mov_b32 s7, 0
	s_lshl_b64 s[6:7], s[6:7], 3
	s_add_u32 s6, s34, s6
	v_add_u32_e32 v12, v11, v10
	v_mov_b32_e32 v13, 2
	s_addc_u32 s7, s35, s7
	v_mov_b32_e32 v14, 0
	global_store_dwordx2 v14, v[12:13], s[6:7]
	ds_write_b64 v14, v[10:11] offset:6336
.LBB2669_44:
	s_or_b64 exec, exec, s[38:39]
	v_cmp_eq_u32_e32 vcc, 0, v0
	s_and_b64 exec, exec, vcc
	s_cbranch_execz .LBB2669_46
; %bb.45:
	v_mov_b32_e32 v10, 0
	ds_write_b32 v10, v11 offset:8
.LBB2669_46:
	s_or_b64 exec, exec, s[36:37]
	v_mov_b32_e32 v10, 0
	s_waitcnt lgkmcnt(0)
	s_barrier
	ds_read_b32 v11, v10 offset:8
	v_cndmask_b32_e64 v12, v28, v27, s[18:19]
	v_cmp_ne_u32_e32 vcc, 0, v0
	v_cndmask_b32_e32 v12, 0, v12, vcc
	s_waitcnt lgkmcnt(0)
	v_add_u32_e32 v14, v11, v12
	s_barrier
	ds_read_b64 v[10:11], v10 offset:6336
	v_add_u32_sdwa v15, v14, v21 dst_sel:DWORD dst_unused:UNUSED_PAD src0_sel:DWORD src1_sel:BYTE_0
	v_add_u32_sdwa v13, v15, v21 dst_sel:DWORD dst_unused:UNUSED_PAD src0_sel:DWORD src1_sel:BYTE_1
	v_add_u32_e32 v12, v13, v23
	s_load_dwordx2 s[4:5], s[4:5], 0x38
	s_branch .LBB2669_57
.LBB2669_47:
                                        ; implicit-def: $vgpr11
                                        ; implicit-def: $vgpr12
                                        ; implicit-def: $vgpr13
                                        ; implicit-def: $vgpr15
                                        ; implicit-def: $vgpr14
	s_load_dwordx2 s[4:5], s[4:5], 0x38
	s_cbranch_execz .LBB2669_57
; %bb.48:
	s_waitcnt lgkmcnt(0)
	v_mov_b32_dpp v10, v26 row_shr:1 row_mask:0xf bank_mask:0xf
	v_cndmask_b32_e64 v10, v10, 0, s[16:17]
	v_add_u32_e32 v10, v10, v26
	s_nop 1
	v_mov_b32_dpp v11, v10 row_shr:2 row_mask:0xf bank_mask:0xf
	v_cndmask_b32_e64 v11, 0, v11, s[14:15]
	v_add_u32_e32 v10, v10, v11
	s_nop 1
	;; [unrolled: 4-line block ×4, first 2 shown]
	v_mov_b32_dpp v11, v10 row_bcast:15 row_mask:0xf bank_mask:0xf
	v_cndmask_b32_e64 v11, v11, 0, s[20:21]
	v_add_u32_e32 v10, v10, v11
	s_nop 1
	v_mov_b32_dpp v11, v10 row_bcast:31 row_mask:0xf bank_mask:0xf
	v_cndmask_b32_e64 v11, 0, v11, s[2:3]
	v_add_u32_e32 v10, v10, v11
	s_and_saveexec_b64 s[2:3], s[8:9]
	s_cbranch_execz .LBB2669_50
; %bb.49:
	v_lshlrev_b32_e32 v11, 2, v25
	ds_write_b32 v11, v10
.LBB2669_50:
	s_or_b64 exec, exec, s[2:3]
	v_cmp_gt_u32_e32 vcc, 3, v0
	s_waitcnt lgkmcnt(0)
	s_barrier
	s_and_saveexec_b64 s[2:3], vcc
	s_cbranch_execz .LBB2669_52
; %bb.51:
	ds_read_b32 v11, v1
	v_and_b32_e32 v12, 3, v24
	v_cmp_ne_u32_e32 vcc, 0, v12
	s_waitcnt lgkmcnt(0)
	v_mov_b32_dpp v13, v11 row_shr:1 row_mask:0xf bank_mask:0xf
	v_cndmask_b32_e32 v13, 0, v13, vcc
	v_add_u32_e32 v11, v13, v11
	v_cmp_lt_u32_e32 vcc, 1, v12
	s_nop 0
	v_mov_b32_dpp v13, v11 row_shr:2 row_mask:0xf bank_mask:0xf
	v_cndmask_b32_e32 v12, 0, v13, vcc
	v_add_u32_e32 v11, v11, v12
	ds_write_b32 v1, v11
.LBB2669_52:
	s_or_b64 exec, exec, s[2:3]
	v_cmp_lt_u32_e32 vcc, 63, v0
	v_mov_b32_e32 v11, 0
	v_mov_b32_e32 v12, 0
	s_waitcnt lgkmcnt(0)
	s_barrier
	s_and_saveexec_b64 s[2:3], vcc
	s_cbranch_execz .LBB2669_54
; %bb.53:
	v_lshl_add_u32 v12, v25, 2, -4
	ds_read_b32 v12, v12
.LBB2669_54:
	s_or_b64 exec, exec, s[2:3]
	v_add_u32_e32 v13, -1, v24
	v_and_b32_e32 v14, 64, v24
	v_cmp_lt_i32_e32 vcc, v13, v14
	v_cndmask_b32_e32 v13, v13, v24, vcc
	s_waitcnt lgkmcnt(0)
	v_add_u32_e32 v10, v12, v10
	v_lshlrev_b32_e32 v13, 2, v13
	ds_bpermute_b32 v13, v13, v10
	ds_read_b32 v10, v11 offset:8
	v_cmp_eq_u32_e32 vcc, 0, v0
	s_and_saveexec_b64 s[2:3], vcc
	s_cbranch_execz .LBB2669_56
; %bb.55:
	v_mov_b32_e32 v14, 0
	v_mov_b32_e32 v11, 2
	s_waitcnt lgkmcnt(0)
	global_store_dwordx2 v14, v[10:11], s[34:35] offset:512
.LBB2669_56:
	s_or_b64 exec, exec, s[2:3]
	v_cmp_eq_u32_e64 s[2:3], 0, v24
	s_waitcnt lgkmcnt(1)
	v_cndmask_b32_e64 v12, v13, v12, s[2:3]
	v_cndmask_b32_e64 v14, v12, 0, vcc
	v_add_u32_sdwa v15, v14, v21 dst_sel:DWORD dst_unused:UNUSED_PAD src0_sel:DWORD src1_sel:BYTE_0
	v_add_u32_sdwa v13, v15, v21 dst_sel:DWORD dst_unused:UNUSED_PAD src0_sel:DWORD src1_sel:BYTE_1
	v_mov_b32_e32 v11, 0
	v_add_u32_e32 v12, v13, v23
	s_waitcnt lgkmcnt(0)
	s_barrier
.LBB2669_57:
	s_waitcnt lgkmcnt(0)
	v_add_u32_e32 v1, v10, v1
	v_sub_u32_e32 v14, v14, v11
	v_and_b32_e32 v18, 1, v21
	v_sub_u32_e32 v17, v1, v14
	v_cmp_eq_u32_e32 vcc, 1, v18
	v_cndmask_b32_e32 v14, v17, v14, vcc
	v_lshlrev_b32_e32 v14, 3, v14
	v_lshrrev_b32_e32 v16, 8, v21
	ds_write_b64 v14, v[6:7]
	v_sub_u32_e32 v6, v15, v11
	v_sub_u32_e32 v7, v1, v6
	v_and_b32_e32 v14, 1, v16
	v_add_u32_e32 v7, 1, v7
	v_cmp_eq_u32_e32 vcc, 1, v14
	v_cndmask_b32_e32 v6, v7, v6, vcc
	v_lshlrev_b32_e32 v6, 3, v6
	ds_write_b64 v6, v[8:9]
	v_sub_u32_e32 v6, v13, v11
	v_mov_b32_e32 v8, 1
	v_sub_u32_e32 v7, v1, v6
	v_and_b32_sdwa v8, v8, v21 dst_sel:DWORD dst_unused:UNUSED_PAD src0_sel:DWORD src1_sel:WORD_1
	v_add_u32_e32 v7, 2, v7
	v_cmp_eq_u32_e32 vcc, 1, v8
	v_cndmask_b32_e32 v6, v7, v6, vcc
	v_lshlrev_b32_e32 v6, 3, v6
	ds_write_b64 v6, v[2:3]
	v_sub_u32_e32 v2, v12, v11
	v_sub_u32_e32 v1, v1, v2
	v_and_b32_e32 v3, 1, v22
	v_add_u32_e32 v1, 3, v1
	v_cmp_eq_u32_e32 vcc, 1, v3
	v_cndmask_b32_e32 v1, v1, v2, vcc
	v_lshlrev_b32_e32 v1, 3, v1
	ds_write_b64 v1, v[4:5]
	v_mov_b32_e32 v1, s29
	v_add_co_u32_e32 v12, vcc, s28, v10
	v_addc_co_u32_e32 v1, vcc, 0, v1, vcc
	v_add_co_u32_e32 v12, vcc, v12, v11
	v_addc_co_u32_e32 v13, vcc, 0, v1, vcc
	v_mov_b32_e32 v1, s23
	v_sub_co_u32_e32 v18, vcc, s22, v12
	v_subb_co_u32_e32 v19, vcc, v1, v13, vcc
	v_lshlrev_b64 v[18:19], 3, v[18:19]
	s_waitcnt lgkmcnt(0)
	s_barrier
	ds_read2st64_b64 v[6:9], v20 offset1:3
	ds_read2st64_b64 v[2:5], v20 offset0:6 offset1:9
	v_mov_b32_e32 v1, s5
	v_add_co_u32_e32 v11, vcc, s4, v18
	v_addc_co_u32_e32 v1, vcc, v1, v19, vcc
	v_mov_b32_e32 v18, s31
	v_add_co_u32_e32 v14, vcc, s30, v11
	v_addc_co_u32_e32 v1, vcc, v1, v18, vcc
	v_add_u32_e32 v17, 0xc0, v0
	v_add_u32_e32 v16, 0x180, v0
	;; [unrolled: 1-line block ×3, first 2 shown]
	s_and_b64 vcc, exec, s[0:1]
	v_cmp_ge_u32_e64 s[0:1], v0, v10
	s_cbranch_vccnz .LBB2669_63
; %bb.58:
	s_and_saveexec_b64 s[2:3], s[0:1]
	s_cbranch_execnz .LBB2669_76
; %bb.59:
	s_or_b64 exec, exec, s[2:3]
	v_cmp_ge_u32_e32 vcc, v17, v10
	s_and_saveexec_b64 s[0:1], vcc
	s_cbranch_execnz .LBB2669_77
.LBB2669_60:
	s_or_b64 exec, exec, s[0:1]
	v_cmp_ge_u32_e32 vcc, v16, v10
	s_and_saveexec_b64 s[0:1], vcc
	s_cbranch_execz .LBB2669_62
.LBB2669_61:
	v_readfirstlane_b32 s2, v14
	v_readfirstlane_b32 s3, v1
	s_waitcnt lgkmcnt(0)
	s_nop 3
	global_store_dwordx2 v20, v[2:3], s[2:3] offset:3072
.LBB2669_62:
	s_or_b64 exec, exec, s[0:1]
	v_cmp_ge_u32_e64 s[0:1], v15, v10
	s_branch .LBB2669_71
.LBB2669_63:
	s_mov_b64 s[0:1], 0
	s_cbranch_execz .LBB2669_71
; %bb.64:
	v_cmp_gt_u32_e32 vcc, s33, v0
	v_cmp_ge_u32_e64 s[0:1], v0, v10
	s_and_b64 s[2:3], vcc, s[0:1]
	s_and_saveexec_b64 s[0:1], s[2:3]
	s_cbranch_execz .LBB2669_66
; %bb.65:
	v_readfirstlane_b32 s2, v14
	v_readfirstlane_b32 s3, v1
	s_waitcnt lgkmcnt(1)
	s_nop 3
	global_store_dwordx2 v20, v[6:7], s[2:3]
.LBB2669_66:
	s_or_b64 exec, exec, s[0:1]
	v_cmp_gt_u32_e32 vcc, s33, v17
	v_cmp_ge_u32_e64 s[0:1], v17, v10
	s_and_b64 s[2:3], vcc, s[0:1]
	s_and_saveexec_b64 s[0:1], s[2:3]
	s_cbranch_execz .LBB2669_68
; %bb.67:
	v_readfirstlane_b32 s2, v14
	v_readfirstlane_b32 s3, v1
	s_waitcnt lgkmcnt(1)
	s_nop 3
	global_store_dwordx2 v20, v[8:9], s[2:3] offset:1536
.LBB2669_68:
	s_or_b64 exec, exec, s[0:1]
	v_cmp_gt_u32_e32 vcc, s33, v16
	v_cmp_ge_u32_e64 s[0:1], v16, v10
	s_and_b64 s[2:3], vcc, s[0:1]
	s_and_saveexec_b64 s[0:1], s[2:3]
	s_cbranch_execz .LBB2669_70
; %bb.69:
	v_readfirstlane_b32 s2, v14
	v_readfirstlane_b32 s3, v1
	s_waitcnt lgkmcnt(0)
	s_nop 3
	global_store_dwordx2 v20, v[2:3], s[2:3] offset:3072
.LBB2669_70:
	s_or_b64 exec, exec, s[0:1]
	v_cmp_gt_u32_e32 vcc, s33, v15
	v_cmp_ge_u32_e64 s[0:1], v15, v10
	s_and_b64 s[0:1], vcc, s[0:1]
.LBB2669_71:
	s_and_saveexec_b64 s[2:3], s[0:1]
	s_cbranch_execz .LBB2669_73
; %bb.72:
	s_waitcnt lgkmcnt(0)
	v_lshlrev_b32_e32 v2, 3, v15
	v_readfirstlane_b32 s0, v14
	v_readfirstlane_b32 s1, v1
	s_nop 4
	global_store_dwordx2 v2, v[4:5], s[0:1]
.LBB2669_73:
	s_or_b64 exec, exec, s[2:3]
	v_cmp_eq_u32_e32 vcc, 0, v0
	s_and_b64 s[0:1], vcc, s[26:27]
	s_and_saveexec_b64 s[2:3], s[0:1]
	s_cbranch_execz .LBB2669_75
; %bb.74:
	v_mov_b32_e32 v0, 0
	global_store_dwordx2 v0, v[12:13], s[24:25]
.LBB2669_75:
	s_endpgm
.LBB2669_76:
	v_readfirstlane_b32 s0, v14
	v_readfirstlane_b32 s1, v1
	s_waitcnt lgkmcnt(1)
	s_nop 3
	global_store_dwordx2 v20, v[6:7], s[0:1]
	s_or_b64 exec, exec, s[2:3]
	v_cmp_ge_u32_e32 vcc, v17, v10
	s_and_saveexec_b64 s[0:1], vcc
	s_cbranch_execz .LBB2669_60
.LBB2669_77:
	v_readfirstlane_b32 s2, v14
	v_readfirstlane_b32 s3, v1
	s_waitcnt lgkmcnt(1)
	s_nop 3
	global_store_dwordx2 v20, v[8:9], s[2:3] offset:1536
	s_or_b64 exec, exec, s[0:1]
	v_cmp_ge_u32_e32 vcc, v16, v10
	s_and_saveexec_b64 s[0:1], vcc
	s_cbranch_execnz .LBB2669_61
	s_branch .LBB2669_62
	.section	.rodata,"a",@progbits
	.p2align	6, 0x0
	.amdhsa_kernel _ZN7rocprim17ROCPRIM_400000_NS6detail17trampoline_kernelINS0_14default_configENS1_25partition_config_selectorILNS1_17partition_subalgoE0ExNS0_10empty_typeEbEEZZNS1_14partition_implILS5_0ELb0ES3_jN6thrust23THRUST_200600_302600_NS6detail15normal_iteratorINSA_10device_ptrIxEEEEPS6_SG_NS0_5tupleIJNSA_16discard_iteratorINSA_11use_defaultEEESF_EEENSH_IJSG_SG_EEES6_PlJ7is_evenIxEEEE10hipError_tPvRmT3_T4_T5_T6_T7_T9_mT8_P12ihipStream_tbDpT10_ENKUlT_T0_E_clISt17integral_constantIbLb1EES18_IbLb0EEEEDaS14_S15_EUlS14_E_NS1_11comp_targetILNS1_3genE4ELNS1_11target_archE910ELNS1_3gpuE8ELNS1_3repE0EEENS1_30default_config_static_selectorELNS0_4arch9wavefront6targetE1EEEvT1_
		.amdhsa_group_segment_fixed_size 6344
		.amdhsa_private_segment_fixed_size 0
		.amdhsa_kernarg_size 128
		.amdhsa_user_sgpr_count 6
		.amdhsa_user_sgpr_private_segment_buffer 1
		.amdhsa_user_sgpr_dispatch_ptr 0
		.amdhsa_user_sgpr_queue_ptr 0
		.amdhsa_user_sgpr_kernarg_segment_ptr 1
		.amdhsa_user_sgpr_dispatch_id 0
		.amdhsa_user_sgpr_flat_scratch_init 0
		.amdhsa_user_sgpr_kernarg_preload_length 0
		.amdhsa_user_sgpr_kernarg_preload_offset 0
		.amdhsa_user_sgpr_private_segment_size 0
		.amdhsa_uses_dynamic_stack 0
		.amdhsa_system_sgpr_private_segment_wavefront_offset 0
		.amdhsa_system_sgpr_workgroup_id_x 1
		.amdhsa_system_sgpr_workgroup_id_y 0
		.amdhsa_system_sgpr_workgroup_id_z 0
		.amdhsa_system_sgpr_workgroup_info 0
		.amdhsa_system_vgpr_workitem_id 0
		.amdhsa_next_free_vgpr 43
		.amdhsa_next_free_sgpr 44
		.amdhsa_accum_offset 44
		.amdhsa_reserve_vcc 1
		.amdhsa_reserve_flat_scratch 0
		.amdhsa_float_round_mode_32 0
		.amdhsa_float_round_mode_16_64 0
		.amdhsa_float_denorm_mode_32 3
		.amdhsa_float_denorm_mode_16_64 3
		.amdhsa_dx10_clamp 1
		.amdhsa_ieee_mode 1
		.amdhsa_fp16_overflow 0
		.amdhsa_tg_split 0
		.amdhsa_exception_fp_ieee_invalid_op 0
		.amdhsa_exception_fp_denorm_src 0
		.amdhsa_exception_fp_ieee_div_zero 0
		.amdhsa_exception_fp_ieee_overflow 0
		.amdhsa_exception_fp_ieee_underflow 0
		.amdhsa_exception_fp_ieee_inexact 0
		.amdhsa_exception_int_div_zero 0
	.end_amdhsa_kernel
	.section	.text._ZN7rocprim17ROCPRIM_400000_NS6detail17trampoline_kernelINS0_14default_configENS1_25partition_config_selectorILNS1_17partition_subalgoE0ExNS0_10empty_typeEbEEZZNS1_14partition_implILS5_0ELb0ES3_jN6thrust23THRUST_200600_302600_NS6detail15normal_iteratorINSA_10device_ptrIxEEEEPS6_SG_NS0_5tupleIJNSA_16discard_iteratorINSA_11use_defaultEEESF_EEENSH_IJSG_SG_EEES6_PlJ7is_evenIxEEEE10hipError_tPvRmT3_T4_T5_T6_T7_T9_mT8_P12ihipStream_tbDpT10_ENKUlT_T0_E_clISt17integral_constantIbLb1EES18_IbLb0EEEEDaS14_S15_EUlS14_E_NS1_11comp_targetILNS1_3genE4ELNS1_11target_archE910ELNS1_3gpuE8ELNS1_3repE0EEENS1_30default_config_static_selectorELNS0_4arch9wavefront6targetE1EEEvT1_,"axG",@progbits,_ZN7rocprim17ROCPRIM_400000_NS6detail17trampoline_kernelINS0_14default_configENS1_25partition_config_selectorILNS1_17partition_subalgoE0ExNS0_10empty_typeEbEEZZNS1_14partition_implILS5_0ELb0ES3_jN6thrust23THRUST_200600_302600_NS6detail15normal_iteratorINSA_10device_ptrIxEEEEPS6_SG_NS0_5tupleIJNSA_16discard_iteratorINSA_11use_defaultEEESF_EEENSH_IJSG_SG_EEES6_PlJ7is_evenIxEEEE10hipError_tPvRmT3_T4_T5_T6_T7_T9_mT8_P12ihipStream_tbDpT10_ENKUlT_T0_E_clISt17integral_constantIbLb1EES18_IbLb0EEEEDaS14_S15_EUlS14_E_NS1_11comp_targetILNS1_3genE4ELNS1_11target_archE910ELNS1_3gpuE8ELNS1_3repE0EEENS1_30default_config_static_selectorELNS0_4arch9wavefront6targetE1EEEvT1_,comdat
.Lfunc_end2669:
	.size	_ZN7rocprim17ROCPRIM_400000_NS6detail17trampoline_kernelINS0_14default_configENS1_25partition_config_selectorILNS1_17partition_subalgoE0ExNS0_10empty_typeEbEEZZNS1_14partition_implILS5_0ELb0ES3_jN6thrust23THRUST_200600_302600_NS6detail15normal_iteratorINSA_10device_ptrIxEEEEPS6_SG_NS0_5tupleIJNSA_16discard_iteratorINSA_11use_defaultEEESF_EEENSH_IJSG_SG_EEES6_PlJ7is_evenIxEEEE10hipError_tPvRmT3_T4_T5_T6_T7_T9_mT8_P12ihipStream_tbDpT10_ENKUlT_T0_E_clISt17integral_constantIbLb1EES18_IbLb0EEEEDaS14_S15_EUlS14_E_NS1_11comp_targetILNS1_3genE4ELNS1_11target_archE910ELNS1_3gpuE8ELNS1_3repE0EEENS1_30default_config_static_selectorELNS0_4arch9wavefront6targetE1EEEvT1_, .Lfunc_end2669-_ZN7rocprim17ROCPRIM_400000_NS6detail17trampoline_kernelINS0_14default_configENS1_25partition_config_selectorILNS1_17partition_subalgoE0ExNS0_10empty_typeEbEEZZNS1_14partition_implILS5_0ELb0ES3_jN6thrust23THRUST_200600_302600_NS6detail15normal_iteratorINSA_10device_ptrIxEEEEPS6_SG_NS0_5tupleIJNSA_16discard_iteratorINSA_11use_defaultEEESF_EEENSH_IJSG_SG_EEES6_PlJ7is_evenIxEEEE10hipError_tPvRmT3_T4_T5_T6_T7_T9_mT8_P12ihipStream_tbDpT10_ENKUlT_T0_E_clISt17integral_constantIbLb1EES18_IbLb0EEEEDaS14_S15_EUlS14_E_NS1_11comp_targetILNS1_3genE4ELNS1_11target_archE910ELNS1_3gpuE8ELNS1_3repE0EEENS1_30default_config_static_selectorELNS0_4arch9wavefront6targetE1EEEvT1_
                                        ; -- End function
	.section	.AMDGPU.csdata,"",@progbits
; Kernel info:
; codeLenInByte = 3676
; NumSgprs: 48
; NumVgprs: 43
; NumAgprs: 0
; TotalNumVgprs: 43
; ScratchSize: 0
; MemoryBound: 0
; FloatMode: 240
; IeeeMode: 1
; LDSByteSize: 6344 bytes/workgroup (compile time only)
; SGPRBlocks: 5
; VGPRBlocks: 5
; NumSGPRsForWavesPerEU: 48
; NumVGPRsForWavesPerEU: 43
; AccumOffset: 44
; Occupancy: 8
; WaveLimiterHint : 1
; COMPUTE_PGM_RSRC2:SCRATCH_EN: 0
; COMPUTE_PGM_RSRC2:USER_SGPR: 6
; COMPUTE_PGM_RSRC2:TRAP_HANDLER: 0
; COMPUTE_PGM_RSRC2:TGID_X_EN: 1
; COMPUTE_PGM_RSRC2:TGID_Y_EN: 0
; COMPUTE_PGM_RSRC2:TGID_Z_EN: 0
; COMPUTE_PGM_RSRC2:TIDIG_COMP_CNT: 0
; COMPUTE_PGM_RSRC3_GFX90A:ACCUM_OFFSET: 10
; COMPUTE_PGM_RSRC3_GFX90A:TG_SPLIT: 0
	.section	.text._ZN7rocprim17ROCPRIM_400000_NS6detail17trampoline_kernelINS0_14default_configENS1_25partition_config_selectorILNS1_17partition_subalgoE0ExNS0_10empty_typeEbEEZZNS1_14partition_implILS5_0ELb0ES3_jN6thrust23THRUST_200600_302600_NS6detail15normal_iteratorINSA_10device_ptrIxEEEEPS6_SG_NS0_5tupleIJNSA_16discard_iteratorINSA_11use_defaultEEESF_EEENSH_IJSG_SG_EEES6_PlJ7is_evenIxEEEE10hipError_tPvRmT3_T4_T5_T6_T7_T9_mT8_P12ihipStream_tbDpT10_ENKUlT_T0_E_clISt17integral_constantIbLb1EES18_IbLb0EEEEDaS14_S15_EUlS14_E_NS1_11comp_targetILNS1_3genE3ELNS1_11target_archE908ELNS1_3gpuE7ELNS1_3repE0EEENS1_30default_config_static_selectorELNS0_4arch9wavefront6targetE1EEEvT1_,"axG",@progbits,_ZN7rocprim17ROCPRIM_400000_NS6detail17trampoline_kernelINS0_14default_configENS1_25partition_config_selectorILNS1_17partition_subalgoE0ExNS0_10empty_typeEbEEZZNS1_14partition_implILS5_0ELb0ES3_jN6thrust23THRUST_200600_302600_NS6detail15normal_iteratorINSA_10device_ptrIxEEEEPS6_SG_NS0_5tupleIJNSA_16discard_iteratorINSA_11use_defaultEEESF_EEENSH_IJSG_SG_EEES6_PlJ7is_evenIxEEEE10hipError_tPvRmT3_T4_T5_T6_T7_T9_mT8_P12ihipStream_tbDpT10_ENKUlT_T0_E_clISt17integral_constantIbLb1EES18_IbLb0EEEEDaS14_S15_EUlS14_E_NS1_11comp_targetILNS1_3genE3ELNS1_11target_archE908ELNS1_3gpuE7ELNS1_3repE0EEENS1_30default_config_static_selectorELNS0_4arch9wavefront6targetE1EEEvT1_,comdat
	.protected	_ZN7rocprim17ROCPRIM_400000_NS6detail17trampoline_kernelINS0_14default_configENS1_25partition_config_selectorILNS1_17partition_subalgoE0ExNS0_10empty_typeEbEEZZNS1_14partition_implILS5_0ELb0ES3_jN6thrust23THRUST_200600_302600_NS6detail15normal_iteratorINSA_10device_ptrIxEEEEPS6_SG_NS0_5tupleIJNSA_16discard_iteratorINSA_11use_defaultEEESF_EEENSH_IJSG_SG_EEES6_PlJ7is_evenIxEEEE10hipError_tPvRmT3_T4_T5_T6_T7_T9_mT8_P12ihipStream_tbDpT10_ENKUlT_T0_E_clISt17integral_constantIbLb1EES18_IbLb0EEEEDaS14_S15_EUlS14_E_NS1_11comp_targetILNS1_3genE3ELNS1_11target_archE908ELNS1_3gpuE7ELNS1_3repE0EEENS1_30default_config_static_selectorELNS0_4arch9wavefront6targetE1EEEvT1_ ; -- Begin function _ZN7rocprim17ROCPRIM_400000_NS6detail17trampoline_kernelINS0_14default_configENS1_25partition_config_selectorILNS1_17partition_subalgoE0ExNS0_10empty_typeEbEEZZNS1_14partition_implILS5_0ELb0ES3_jN6thrust23THRUST_200600_302600_NS6detail15normal_iteratorINSA_10device_ptrIxEEEEPS6_SG_NS0_5tupleIJNSA_16discard_iteratorINSA_11use_defaultEEESF_EEENSH_IJSG_SG_EEES6_PlJ7is_evenIxEEEE10hipError_tPvRmT3_T4_T5_T6_T7_T9_mT8_P12ihipStream_tbDpT10_ENKUlT_T0_E_clISt17integral_constantIbLb1EES18_IbLb0EEEEDaS14_S15_EUlS14_E_NS1_11comp_targetILNS1_3genE3ELNS1_11target_archE908ELNS1_3gpuE7ELNS1_3repE0EEENS1_30default_config_static_selectorELNS0_4arch9wavefront6targetE1EEEvT1_
	.globl	_ZN7rocprim17ROCPRIM_400000_NS6detail17trampoline_kernelINS0_14default_configENS1_25partition_config_selectorILNS1_17partition_subalgoE0ExNS0_10empty_typeEbEEZZNS1_14partition_implILS5_0ELb0ES3_jN6thrust23THRUST_200600_302600_NS6detail15normal_iteratorINSA_10device_ptrIxEEEEPS6_SG_NS0_5tupleIJNSA_16discard_iteratorINSA_11use_defaultEEESF_EEENSH_IJSG_SG_EEES6_PlJ7is_evenIxEEEE10hipError_tPvRmT3_T4_T5_T6_T7_T9_mT8_P12ihipStream_tbDpT10_ENKUlT_T0_E_clISt17integral_constantIbLb1EES18_IbLb0EEEEDaS14_S15_EUlS14_E_NS1_11comp_targetILNS1_3genE3ELNS1_11target_archE908ELNS1_3gpuE7ELNS1_3repE0EEENS1_30default_config_static_selectorELNS0_4arch9wavefront6targetE1EEEvT1_
	.p2align	8
	.type	_ZN7rocprim17ROCPRIM_400000_NS6detail17trampoline_kernelINS0_14default_configENS1_25partition_config_selectorILNS1_17partition_subalgoE0ExNS0_10empty_typeEbEEZZNS1_14partition_implILS5_0ELb0ES3_jN6thrust23THRUST_200600_302600_NS6detail15normal_iteratorINSA_10device_ptrIxEEEEPS6_SG_NS0_5tupleIJNSA_16discard_iteratorINSA_11use_defaultEEESF_EEENSH_IJSG_SG_EEES6_PlJ7is_evenIxEEEE10hipError_tPvRmT3_T4_T5_T6_T7_T9_mT8_P12ihipStream_tbDpT10_ENKUlT_T0_E_clISt17integral_constantIbLb1EES18_IbLb0EEEEDaS14_S15_EUlS14_E_NS1_11comp_targetILNS1_3genE3ELNS1_11target_archE908ELNS1_3gpuE7ELNS1_3repE0EEENS1_30default_config_static_selectorELNS0_4arch9wavefront6targetE1EEEvT1_,@function
_ZN7rocprim17ROCPRIM_400000_NS6detail17trampoline_kernelINS0_14default_configENS1_25partition_config_selectorILNS1_17partition_subalgoE0ExNS0_10empty_typeEbEEZZNS1_14partition_implILS5_0ELb0ES3_jN6thrust23THRUST_200600_302600_NS6detail15normal_iteratorINSA_10device_ptrIxEEEEPS6_SG_NS0_5tupleIJNSA_16discard_iteratorINSA_11use_defaultEEESF_EEENSH_IJSG_SG_EEES6_PlJ7is_evenIxEEEE10hipError_tPvRmT3_T4_T5_T6_T7_T9_mT8_P12ihipStream_tbDpT10_ENKUlT_T0_E_clISt17integral_constantIbLb1EES18_IbLb0EEEEDaS14_S15_EUlS14_E_NS1_11comp_targetILNS1_3genE3ELNS1_11target_archE908ELNS1_3gpuE7ELNS1_3repE0EEENS1_30default_config_static_selectorELNS0_4arch9wavefront6targetE1EEEvT1_: ; @_ZN7rocprim17ROCPRIM_400000_NS6detail17trampoline_kernelINS0_14default_configENS1_25partition_config_selectorILNS1_17partition_subalgoE0ExNS0_10empty_typeEbEEZZNS1_14partition_implILS5_0ELb0ES3_jN6thrust23THRUST_200600_302600_NS6detail15normal_iteratorINSA_10device_ptrIxEEEEPS6_SG_NS0_5tupleIJNSA_16discard_iteratorINSA_11use_defaultEEESF_EEENSH_IJSG_SG_EEES6_PlJ7is_evenIxEEEE10hipError_tPvRmT3_T4_T5_T6_T7_T9_mT8_P12ihipStream_tbDpT10_ENKUlT_T0_E_clISt17integral_constantIbLb1EES18_IbLb0EEEEDaS14_S15_EUlS14_E_NS1_11comp_targetILNS1_3genE3ELNS1_11target_archE908ELNS1_3gpuE7ELNS1_3repE0EEENS1_30default_config_static_selectorELNS0_4arch9wavefront6targetE1EEEvT1_
; %bb.0:
	.section	.rodata,"a",@progbits
	.p2align	6, 0x0
	.amdhsa_kernel _ZN7rocprim17ROCPRIM_400000_NS6detail17trampoline_kernelINS0_14default_configENS1_25partition_config_selectorILNS1_17partition_subalgoE0ExNS0_10empty_typeEbEEZZNS1_14partition_implILS5_0ELb0ES3_jN6thrust23THRUST_200600_302600_NS6detail15normal_iteratorINSA_10device_ptrIxEEEEPS6_SG_NS0_5tupleIJNSA_16discard_iteratorINSA_11use_defaultEEESF_EEENSH_IJSG_SG_EEES6_PlJ7is_evenIxEEEE10hipError_tPvRmT3_T4_T5_T6_T7_T9_mT8_P12ihipStream_tbDpT10_ENKUlT_T0_E_clISt17integral_constantIbLb1EES18_IbLb0EEEEDaS14_S15_EUlS14_E_NS1_11comp_targetILNS1_3genE3ELNS1_11target_archE908ELNS1_3gpuE7ELNS1_3repE0EEENS1_30default_config_static_selectorELNS0_4arch9wavefront6targetE1EEEvT1_
		.amdhsa_group_segment_fixed_size 0
		.amdhsa_private_segment_fixed_size 0
		.amdhsa_kernarg_size 128
		.amdhsa_user_sgpr_count 6
		.amdhsa_user_sgpr_private_segment_buffer 1
		.amdhsa_user_sgpr_dispatch_ptr 0
		.amdhsa_user_sgpr_queue_ptr 0
		.amdhsa_user_sgpr_kernarg_segment_ptr 1
		.amdhsa_user_sgpr_dispatch_id 0
		.amdhsa_user_sgpr_flat_scratch_init 0
		.amdhsa_user_sgpr_kernarg_preload_length 0
		.amdhsa_user_sgpr_kernarg_preload_offset 0
		.amdhsa_user_sgpr_private_segment_size 0
		.amdhsa_uses_dynamic_stack 0
		.amdhsa_system_sgpr_private_segment_wavefront_offset 0
		.amdhsa_system_sgpr_workgroup_id_x 1
		.amdhsa_system_sgpr_workgroup_id_y 0
		.amdhsa_system_sgpr_workgroup_id_z 0
		.amdhsa_system_sgpr_workgroup_info 0
		.amdhsa_system_vgpr_workitem_id 0
		.amdhsa_next_free_vgpr 1
		.amdhsa_next_free_sgpr 0
		.amdhsa_accum_offset 4
		.amdhsa_reserve_vcc 0
		.amdhsa_reserve_flat_scratch 0
		.amdhsa_float_round_mode_32 0
		.amdhsa_float_round_mode_16_64 0
		.amdhsa_float_denorm_mode_32 3
		.amdhsa_float_denorm_mode_16_64 3
		.amdhsa_dx10_clamp 1
		.amdhsa_ieee_mode 1
		.amdhsa_fp16_overflow 0
		.amdhsa_tg_split 0
		.amdhsa_exception_fp_ieee_invalid_op 0
		.amdhsa_exception_fp_denorm_src 0
		.amdhsa_exception_fp_ieee_div_zero 0
		.amdhsa_exception_fp_ieee_overflow 0
		.amdhsa_exception_fp_ieee_underflow 0
		.amdhsa_exception_fp_ieee_inexact 0
		.amdhsa_exception_int_div_zero 0
	.end_amdhsa_kernel
	.section	.text._ZN7rocprim17ROCPRIM_400000_NS6detail17trampoline_kernelINS0_14default_configENS1_25partition_config_selectorILNS1_17partition_subalgoE0ExNS0_10empty_typeEbEEZZNS1_14partition_implILS5_0ELb0ES3_jN6thrust23THRUST_200600_302600_NS6detail15normal_iteratorINSA_10device_ptrIxEEEEPS6_SG_NS0_5tupleIJNSA_16discard_iteratorINSA_11use_defaultEEESF_EEENSH_IJSG_SG_EEES6_PlJ7is_evenIxEEEE10hipError_tPvRmT3_T4_T5_T6_T7_T9_mT8_P12ihipStream_tbDpT10_ENKUlT_T0_E_clISt17integral_constantIbLb1EES18_IbLb0EEEEDaS14_S15_EUlS14_E_NS1_11comp_targetILNS1_3genE3ELNS1_11target_archE908ELNS1_3gpuE7ELNS1_3repE0EEENS1_30default_config_static_selectorELNS0_4arch9wavefront6targetE1EEEvT1_,"axG",@progbits,_ZN7rocprim17ROCPRIM_400000_NS6detail17trampoline_kernelINS0_14default_configENS1_25partition_config_selectorILNS1_17partition_subalgoE0ExNS0_10empty_typeEbEEZZNS1_14partition_implILS5_0ELb0ES3_jN6thrust23THRUST_200600_302600_NS6detail15normal_iteratorINSA_10device_ptrIxEEEEPS6_SG_NS0_5tupleIJNSA_16discard_iteratorINSA_11use_defaultEEESF_EEENSH_IJSG_SG_EEES6_PlJ7is_evenIxEEEE10hipError_tPvRmT3_T4_T5_T6_T7_T9_mT8_P12ihipStream_tbDpT10_ENKUlT_T0_E_clISt17integral_constantIbLb1EES18_IbLb0EEEEDaS14_S15_EUlS14_E_NS1_11comp_targetILNS1_3genE3ELNS1_11target_archE908ELNS1_3gpuE7ELNS1_3repE0EEENS1_30default_config_static_selectorELNS0_4arch9wavefront6targetE1EEEvT1_,comdat
.Lfunc_end2670:
	.size	_ZN7rocprim17ROCPRIM_400000_NS6detail17trampoline_kernelINS0_14default_configENS1_25partition_config_selectorILNS1_17partition_subalgoE0ExNS0_10empty_typeEbEEZZNS1_14partition_implILS5_0ELb0ES3_jN6thrust23THRUST_200600_302600_NS6detail15normal_iteratorINSA_10device_ptrIxEEEEPS6_SG_NS0_5tupleIJNSA_16discard_iteratorINSA_11use_defaultEEESF_EEENSH_IJSG_SG_EEES6_PlJ7is_evenIxEEEE10hipError_tPvRmT3_T4_T5_T6_T7_T9_mT8_P12ihipStream_tbDpT10_ENKUlT_T0_E_clISt17integral_constantIbLb1EES18_IbLb0EEEEDaS14_S15_EUlS14_E_NS1_11comp_targetILNS1_3genE3ELNS1_11target_archE908ELNS1_3gpuE7ELNS1_3repE0EEENS1_30default_config_static_selectorELNS0_4arch9wavefront6targetE1EEEvT1_, .Lfunc_end2670-_ZN7rocprim17ROCPRIM_400000_NS6detail17trampoline_kernelINS0_14default_configENS1_25partition_config_selectorILNS1_17partition_subalgoE0ExNS0_10empty_typeEbEEZZNS1_14partition_implILS5_0ELb0ES3_jN6thrust23THRUST_200600_302600_NS6detail15normal_iteratorINSA_10device_ptrIxEEEEPS6_SG_NS0_5tupleIJNSA_16discard_iteratorINSA_11use_defaultEEESF_EEENSH_IJSG_SG_EEES6_PlJ7is_evenIxEEEE10hipError_tPvRmT3_T4_T5_T6_T7_T9_mT8_P12ihipStream_tbDpT10_ENKUlT_T0_E_clISt17integral_constantIbLb1EES18_IbLb0EEEEDaS14_S15_EUlS14_E_NS1_11comp_targetILNS1_3genE3ELNS1_11target_archE908ELNS1_3gpuE7ELNS1_3repE0EEENS1_30default_config_static_selectorELNS0_4arch9wavefront6targetE1EEEvT1_
                                        ; -- End function
	.section	.AMDGPU.csdata,"",@progbits
; Kernel info:
; codeLenInByte = 0
; NumSgprs: 4
; NumVgprs: 0
; NumAgprs: 0
; TotalNumVgprs: 0
; ScratchSize: 0
; MemoryBound: 0
; FloatMode: 240
; IeeeMode: 1
; LDSByteSize: 0 bytes/workgroup (compile time only)
; SGPRBlocks: 0
; VGPRBlocks: 0
; NumSGPRsForWavesPerEU: 4
; NumVGPRsForWavesPerEU: 1
; AccumOffset: 4
; Occupancy: 8
; WaveLimiterHint : 0
; COMPUTE_PGM_RSRC2:SCRATCH_EN: 0
; COMPUTE_PGM_RSRC2:USER_SGPR: 6
; COMPUTE_PGM_RSRC2:TRAP_HANDLER: 0
; COMPUTE_PGM_RSRC2:TGID_X_EN: 1
; COMPUTE_PGM_RSRC2:TGID_Y_EN: 0
; COMPUTE_PGM_RSRC2:TGID_Z_EN: 0
; COMPUTE_PGM_RSRC2:TIDIG_COMP_CNT: 0
; COMPUTE_PGM_RSRC3_GFX90A:ACCUM_OFFSET: 0
; COMPUTE_PGM_RSRC3_GFX90A:TG_SPLIT: 0
	.section	.text._ZN7rocprim17ROCPRIM_400000_NS6detail17trampoline_kernelINS0_14default_configENS1_25partition_config_selectorILNS1_17partition_subalgoE0ExNS0_10empty_typeEbEEZZNS1_14partition_implILS5_0ELb0ES3_jN6thrust23THRUST_200600_302600_NS6detail15normal_iteratorINSA_10device_ptrIxEEEEPS6_SG_NS0_5tupleIJNSA_16discard_iteratorINSA_11use_defaultEEESF_EEENSH_IJSG_SG_EEES6_PlJ7is_evenIxEEEE10hipError_tPvRmT3_T4_T5_T6_T7_T9_mT8_P12ihipStream_tbDpT10_ENKUlT_T0_E_clISt17integral_constantIbLb1EES18_IbLb0EEEEDaS14_S15_EUlS14_E_NS1_11comp_targetILNS1_3genE2ELNS1_11target_archE906ELNS1_3gpuE6ELNS1_3repE0EEENS1_30default_config_static_selectorELNS0_4arch9wavefront6targetE1EEEvT1_,"axG",@progbits,_ZN7rocprim17ROCPRIM_400000_NS6detail17trampoline_kernelINS0_14default_configENS1_25partition_config_selectorILNS1_17partition_subalgoE0ExNS0_10empty_typeEbEEZZNS1_14partition_implILS5_0ELb0ES3_jN6thrust23THRUST_200600_302600_NS6detail15normal_iteratorINSA_10device_ptrIxEEEEPS6_SG_NS0_5tupleIJNSA_16discard_iteratorINSA_11use_defaultEEESF_EEENSH_IJSG_SG_EEES6_PlJ7is_evenIxEEEE10hipError_tPvRmT3_T4_T5_T6_T7_T9_mT8_P12ihipStream_tbDpT10_ENKUlT_T0_E_clISt17integral_constantIbLb1EES18_IbLb0EEEEDaS14_S15_EUlS14_E_NS1_11comp_targetILNS1_3genE2ELNS1_11target_archE906ELNS1_3gpuE6ELNS1_3repE0EEENS1_30default_config_static_selectorELNS0_4arch9wavefront6targetE1EEEvT1_,comdat
	.protected	_ZN7rocprim17ROCPRIM_400000_NS6detail17trampoline_kernelINS0_14default_configENS1_25partition_config_selectorILNS1_17partition_subalgoE0ExNS0_10empty_typeEbEEZZNS1_14partition_implILS5_0ELb0ES3_jN6thrust23THRUST_200600_302600_NS6detail15normal_iteratorINSA_10device_ptrIxEEEEPS6_SG_NS0_5tupleIJNSA_16discard_iteratorINSA_11use_defaultEEESF_EEENSH_IJSG_SG_EEES6_PlJ7is_evenIxEEEE10hipError_tPvRmT3_T4_T5_T6_T7_T9_mT8_P12ihipStream_tbDpT10_ENKUlT_T0_E_clISt17integral_constantIbLb1EES18_IbLb0EEEEDaS14_S15_EUlS14_E_NS1_11comp_targetILNS1_3genE2ELNS1_11target_archE906ELNS1_3gpuE6ELNS1_3repE0EEENS1_30default_config_static_selectorELNS0_4arch9wavefront6targetE1EEEvT1_ ; -- Begin function _ZN7rocprim17ROCPRIM_400000_NS6detail17trampoline_kernelINS0_14default_configENS1_25partition_config_selectorILNS1_17partition_subalgoE0ExNS0_10empty_typeEbEEZZNS1_14partition_implILS5_0ELb0ES3_jN6thrust23THRUST_200600_302600_NS6detail15normal_iteratorINSA_10device_ptrIxEEEEPS6_SG_NS0_5tupleIJNSA_16discard_iteratorINSA_11use_defaultEEESF_EEENSH_IJSG_SG_EEES6_PlJ7is_evenIxEEEE10hipError_tPvRmT3_T4_T5_T6_T7_T9_mT8_P12ihipStream_tbDpT10_ENKUlT_T0_E_clISt17integral_constantIbLb1EES18_IbLb0EEEEDaS14_S15_EUlS14_E_NS1_11comp_targetILNS1_3genE2ELNS1_11target_archE906ELNS1_3gpuE6ELNS1_3repE0EEENS1_30default_config_static_selectorELNS0_4arch9wavefront6targetE1EEEvT1_
	.globl	_ZN7rocprim17ROCPRIM_400000_NS6detail17trampoline_kernelINS0_14default_configENS1_25partition_config_selectorILNS1_17partition_subalgoE0ExNS0_10empty_typeEbEEZZNS1_14partition_implILS5_0ELb0ES3_jN6thrust23THRUST_200600_302600_NS6detail15normal_iteratorINSA_10device_ptrIxEEEEPS6_SG_NS0_5tupleIJNSA_16discard_iteratorINSA_11use_defaultEEESF_EEENSH_IJSG_SG_EEES6_PlJ7is_evenIxEEEE10hipError_tPvRmT3_T4_T5_T6_T7_T9_mT8_P12ihipStream_tbDpT10_ENKUlT_T0_E_clISt17integral_constantIbLb1EES18_IbLb0EEEEDaS14_S15_EUlS14_E_NS1_11comp_targetILNS1_3genE2ELNS1_11target_archE906ELNS1_3gpuE6ELNS1_3repE0EEENS1_30default_config_static_selectorELNS0_4arch9wavefront6targetE1EEEvT1_
	.p2align	8
	.type	_ZN7rocprim17ROCPRIM_400000_NS6detail17trampoline_kernelINS0_14default_configENS1_25partition_config_selectorILNS1_17partition_subalgoE0ExNS0_10empty_typeEbEEZZNS1_14partition_implILS5_0ELb0ES3_jN6thrust23THRUST_200600_302600_NS6detail15normal_iteratorINSA_10device_ptrIxEEEEPS6_SG_NS0_5tupleIJNSA_16discard_iteratorINSA_11use_defaultEEESF_EEENSH_IJSG_SG_EEES6_PlJ7is_evenIxEEEE10hipError_tPvRmT3_T4_T5_T6_T7_T9_mT8_P12ihipStream_tbDpT10_ENKUlT_T0_E_clISt17integral_constantIbLb1EES18_IbLb0EEEEDaS14_S15_EUlS14_E_NS1_11comp_targetILNS1_3genE2ELNS1_11target_archE906ELNS1_3gpuE6ELNS1_3repE0EEENS1_30default_config_static_selectorELNS0_4arch9wavefront6targetE1EEEvT1_,@function
_ZN7rocprim17ROCPRIM_400000_NS6detail17trampoline_kernelINS0_14default_configENS1_25partition_config_selectorILNS1_17partition_subalgoE0ExNS0_10empty_typeEbEEZZNS1_14partition_implILS5_0ELb0ES3_jN6thrust23THRUST_200600_302600_NS6detail15normal_iteratorINSA_10device_ptrIxEEEEPS6_SG_NS0_5tupleIJNSA_16discard_iteratorINSA_11use_defaultEEESF_EEENSH_IJSG_SG_EEES6_PlJ7is_evenIxEEEE10hipError_tPvRmT3_T4_T5_T6_T7_T9_mT8_P12ihipStream_tbDpT10_ENKUlT_T0_E_clISt17integral_constantIbLb1EES18_IbLb0EEEEDaS14_S15_EUlS14_E_NS1_11comp_targetILNS1_3genE2ELNS1_11target_archE906ELNS1_3gpuE6ELNS1_3repE0EEENS1_30default_config_static_selectorELNS0_4arch9wavefront6targetE1EEEvT1_: ; @_ZN7rocprim17ROCPRIM_400000_NS6detail17trampoline_kernelINS0_14default_configENS1_25partition_config_selectorILNS1_17partition_subalgoE0ExNS0_10empty_typeEbEEZZNS1_14partition_implILS5_0ELb0ES3_jN6thrust23THRUST_200600_302600_NS6detail15normal_iteratorINSA_10device_ptrIxEEEEPS6_SG_NS0_5tupleIJNSA_16discard_iteratorINSA_11use_defaultEEESF_EEENSH_IJSG_SG_EEES6_PlJ7is_evenIxEEEE10hipError_tPvRmT3_T4_T5_T6_T7_T9_mT8_P12ihipStream_tbDpT10_ENKUlT_T0_E_clISt17integral_constantIbLb1EES18_IbLb0EEEEDaS14_S15_EUlS14_E_NS1_11comp_targetILNS1_3genE2ELNS1_11target_archE906ELNS1_3gpuE6ELNS1_3repE0EEENS1_30default_config_static_selectorELNS0_4arch9wavefront6targetE1EEEvT1_
; %bb.0:
	.section	.rodata,"a",@progbits
	.p2align	6, 0x0
	.amdhsa_kernel _ZN7rocprim17ROCPRIM_400000_NS6detail17trampoline_kernelINS0_14default_configENS1_25partition_config_selectorILNS1_17partition_subalgoE0ExNS0_10empty_typeEbEEZZNS1_14partition_implILS5_0ELb0ES3_jN6thrust23THRUST_200600_302600_NS6detail15normal_iteratorINSA_10device_ptrIxEEEEPS6_SG_NS0_5tupleIJNSA_16discard_iteratorINSA_11use_defaultEEESF_EEENSH_IJSG_SG_EEES6_PlJ7is_evenIxEEEE10hipError_tPvRmT3_T4_T5_T6_T7_T9_mT8_P12ihipStream_tbDpT10_ENKUlT_T0_E_clISt17integral_constantIbLb1EES18_IbLb0EEEEDaS14_S15_EUlS14_E_NS1_11comp_targetILNS1_3genE2ELNS1_11target_archE906ELNS1_3gpuE6ELNS1_3repE0EEENS1_30default_config_static_selectorELNS0_4arch9wavefront6targetE1EEEvT1_
		.amdhsa_group_segment_fixed_size 0
		.amdhsa_private_segment_fixed_size 0
		.amdhsa_kernarg_size 128
		.amdhsa_user_sgpr_count 6
		.amdhsa_user_sgpr_private_segment_buffer 1
		.amdhsa_user_sgpr_dispatch_ptr 0
		.amdhsa_user_sgpr_queue_ptr 0
		.amdhsa_user_sgpr_kernarg_segment_ptr 1
		.amdhsa_user_sgpr_dispatch_id 0
		.amdhsa_user_sgpr_flat_scratch_init 0
		.amdhsa_user_sgpr_kernarg_preload_length 0
		.amdhsa_user_sgpr_kernarg_preload_offset 0
		.amdhsa_user_sgpr_private_segment_size 0
		.amdhsa_uses_dynamic_stack 0
		.amdhsa_system_sgpr_private_segment_wavefront_offset 0
		.amdhsa_system_sgpr_workgroup_id_x 1
		.amdhsa_system_sgpr_workgroup_id_y 0
		.amdhsa_system_sgpr_workgroup_id_z 0
		.amdhsa_system_sgpr_workgroup_info 0
		.amdhsa_system_vgpr_workitem_id 0
		.amdhsa_next_free_vgpr 1
		.amdhsa_next_free_sgpr 0
		.amdhsa_accum_offset 4
		.amdhsa_reserve_vcc 0
		.amdhsa_reserve_flat_scratch 0
		.amdhsa_float_round_mode_32 0
		.amdhsa_float_round_mode_16_64 0
		.amdhsa_float_denorm_mode_32 3
		.amdhsa_float_denorm_mode_16_64 3
		.amdhsa_dx10_clamp 1
		.amdhsa_ieee_mode 1
		.amdhsa_fp16_overflow 0
		.amdhsa_tg_split 0
		.amdhsa_exception_fp_ieee_invalid_op 0
		.amdhsa_exception_fp_denorm_src 0
		.amdhsa_exception_fp_ieee_div_zero 0
		.amdhsa_exception_fp_ieee_overflow 0
		.amdhsa_exception_fp_ieee_underflow 0
		.amdhsa_exception_fp_ieee_inexact 0
		.amdhsa_exception_int_div_zero 0
	.end_amdhsa_kernel
	.section	.text._ZN7rocprim17ROCPRIM_400000_NS6detail17trampoline_kernelINS0_14default_configENS1_25partition_config_selectorILNS1_17partition_subalgoE0ExNS0_10empty_typeEbEEZZNS1_14partition_implILS5_0ELb0ES3_jN6thrust23THRUST_200600_302600_NS6detail15normal_iteratorINSA_10device_ptrIxEEEEPS6_SG_NS0_5tupleIJNSA_16discard_iteratorINSA_11use_defaultEEESF_EEENSH_IJSG_SG_EEES6_PlJ7is_evenIxEEEE10hipError_tPvRmT3_T4_T5_T6_T7_T9_mT8_P12ihipStream_tbDpT10_ENKUlT_T0_E_clISt17integral_constantIbLb1EES18_IbLb0EEEEDaS14_S15_EUlS14_E_NS1_11comp_targetILNS1_3genE2ELNS1_11target_archE906ELNS1_3gpuE6ELNS1_3repE0EEENS1_30default_config_static_selectorELNS0_4arch9wavefront6targetE1EEEvT1_,"axG",@progbits,_ZN7rocprim17ROCPRIM_400000_NS6detail17trampoline_kernelINS0_14default_configENS1_25partition_config_selectorILNS1_17partition_subalgoE0ExNS0_10empty_typeEbEEZZNS1_14partition_implILS5_0ELb0ES3_jN6thrust23THRUST_200600_302600_NS6detail15normal_iteratorINSA_10device_ptrIxEEEEPS6_SG_NS0_5tupleIJNSA_16discard_iteratorINSA_11use_defaultEEESF_EEENSH_IJSG_SG_EEES6_PlJ7is_evenIxEEEE10hipError_tPvRmT3_T4_T5_T6_T7_T9_mT8_P12ihipStream_tbDpT10_ENKUlT_T0_E_clISt17integral_constantIbLb1EES18_IbLb0EEEEDaS14_S15_EUlS14_E_NS1_11comp_targetILNS1_3genE2ELNS1_11target_archE906ELNS1_3gpuE6ELNS1_3repE0EEENS1_30default_config_static_selectorELNS0_4arch9wavefront6targetE1EEEvT1_,comdat
.Lfunc_end2671:
	.size	_ZN7rocprim17ROCPRIM_400000_NS6detail17trampoline_kernelINS0_14default_configENS1_25partition_config_selectorILNS1_17partition_subalgoE0ExNS0_10empty_typeEbEEZZNS1_14partition_implILS5_0ELb0ES3_jN6thrust23THRUST_200600_302600_NS6detail15normal_iteratorINSA_10device_ptrIxEEEEPS6_SG_NS0_5tupleIJNSA_16discard_iteratorINSA_11use_defaultEEESF_EEENSH_IJSG_SG_EEES6_PlJ7is_evenIxEEEE10hipError_tPvRmT3_T4_T5_T6_T7_T9_mT8_P12ihipStream_tbDpT10_ENKUlT_T0_E_clISt17integral_constantIbLb1EES18_IbLb0EEEEDaS14_S15_EUlS14_E_NS1_11comp_targetILNS1_3genE2ELNS1_11target_archE906ELNS1_3gpuE6ELNS1_3repE0EEENS1_30default_config_static_selectorELNS0_4arch9wavefront6targetE1EEEvT1_, .Lfunc_end2671-_ZN7rocprim17ROCPRIM_400000_NS6detail17trampoline_kernelINS0_14default_configENS1_25partition_config_selectorILNS1_17partition_subalgoE0ExNS0_10empty_typeEbEEZZNS1_14partition_implILS5_0ELb0ES3_jN6thrust23THRUST_200600_302600_NS6detail15normal_iteratorINSA_10device_ptrIxEEEEPS6_SG_NS0_5tupleIJNSA_16discard_iteratorINSA_11use_defaultEEESF_EEENSH_IJSG_SG_EEES6_PlJ7is_evenIxEEEE10hipError_tPvRmT3_T4_T5_T6_T7_T9_mT8_P12ihipStream_tbDpT10_ENKUlT_T0_E_clISt17integral_constantIbLb1EES18_IbLb0EEEEDaS14_S15_EUlS14_E_NS1_11comp_targetILNS1_3genE2ELNS1_11target_archE906ELNS1_3gpuE6ELNS1_3repE0EEENS1_30default_config_static_selectorELNS0_4arch9wavefront6targetE1EEEvT1_
                                        ; -- End function
	.section	.AMDGPU.csdata,"",@progbits
; Kernel info:
; codeLenInByte = 0
; NumSgprs: 4
; NumVgprs: 0
; NumAgprs: 0
; TotalNumVgprs: 0
; ScratchSize: 0
; MemoryBound: 0
; FloatMode: 240
; IeeeMode: 1
; LDSByteSize: 0 bytes/workgroup (compile time only)
; SGPRBlocks: 0
; VGPRBlocks: 0
; NumSGPRsForWavesPerEU: 4
; NumVGPRsForWavesPerEU: 1
; AccumOffset: 4
; Occupancy: 8
; WaveLimiterHint : 0
; COMPUTE_PGM_RSRC2:SCRATCH_EN: 0
; COMPUTE_PGM_RSRC2:USER_SGPR: 6
; COMPUTE_PGM_RSRC2:TRAP_HANDLER: 0
; COMPUTE_PGM_RSRC2:TGID_X_EN: 1
; COMPUTE_PGM_RSRC2:TGID_Y_EN: 0
; COMPUTE_PGM_RSRC2:TGID_Z_EN: 0
; COMPUTE_PGM_RSRC2:TIDIG_COMP_CNT: 0
; COMPUTE_PGM_RSRC3_GFX90A:ACCUM_OFFSET: 0
; COMPUTE_PGM_RSRC3_GFX90A:TG_SPLIT: 0
	.section	.text._ZN7rocprim17ROCPRIM_400000_NS6detail17trampoline_kernelINS0_14default_configENS1_25partition_config_selectorILNS1_17partition_subalgoE0ExNS0_10empty_typeEbEEZZNS1_14partition_implILS5_0ELb0ES3_jN6thrust23THRUST_200600_302600_NS6detail15normal_iteratorINSA_10device_ptrIxEEEEPS6_SG_NS0_5tupleIJNSA_16discard_iteratorINSA_11use_defaultEEESF_EEENSH_IJSG_SG_EEES6_PlJ7is_evenIxEEEE10hipError_tPvRmT3_T4_T5_T6_T7_T9_mT8_P12ihipStream_tbDpT10_ENKUlT_T0_E_clISt17integral_constantIbLb1EES18_IbLb0EEEEDaS14_S15_EUlS14_E_NS1_11comp_targetILNS1_3genE10ELNS1_11target_archE1200ELNS1_3gpuE4ELNS1_3repE0EEENS1_30default_config_static_selectorELNS0_4arch9wavefront6targetE1EEEvT1_,"axG",@progbits,_ZN7rocprim17ROCPRIM_400000_NS6detail17trampoline_kernelINS0_14default_configENS1_25partition_config_selectorILNS1_17partition_subalgoE0ExNS0_10empty_typeEbEEZZNS1_14partition_implILS5_0ELb0ES3_jN6thrust23THRUST_200600_302600_NS6detail15normal_iteratorINSA_10device_ptrIxEEEEPS6_SG_NS0_5tupleIJNSA_16discard_iteratorINSA_11use_defaultEEESF_EEENSH_IJSG_SG_EEES6_PlJ7is_evenIxEEEE10hipError_tPvRmT3_T4_T5_T6_T7_T9_mT8_P12ihipStream_tbDpT10_ENKUlT_T0_E_clISt17integral_constantIbLb1EES18_IbLb0EEEEDaS14_S15_EUlS14_E_NS1_11comp_targetILNS1_3genE10ELNS1_11target_archE1200ELNS1_3gpuE4ELNS1_3repE0EEENS1_30default_config_static_selectorELNS0_4arch9wavefront6targetE1EEEvT1_,comdat
	.protected	_ZN7rocprim17ROCPRIM_400000_NS6detail17trampoline_kernelINS0_14default_configENS1_25partition_config_selectorILNS1_17partition_subalgoE0ExNS0_10empty_typeEbEEZZNS1_14partition_implILS5_0ELb0ES3_jN6thrust23THRUST_200600_302600_NS6detail15normal_iteratorINSA_10device_ptrIxEEEEPS6_SG_NS0_5tupleIJNSA_16discard_iteratorINSA_11use_defaultEEESF_EEENSH_IJSG_SG_EEES6_PlJ7is_evenIxEEEE10hipError_tPvRmT3_T4_T5_T6_T7_T9_mT8_P12ihipStream_tbDpT10_ENKUlT_T0_E_clISt17integral_constantIbLb1EES18_IbLb0EEEEDaS14_S15_EUlS14_E_NS1_11comp_targetILNS1_3genE10ELNS1_11target_archE1200ELNS1_3gpuE4ELNS1_3repE0EEENS1_30default_config_static_selectorELNS0_4arch9wavefront6targetE1EEEvT1_ ; -- Begin function _ZN7rocprim17ROCPRIM_400000_NS6detail17trampoline_kernelINS0_14default_configENS1_25partition_config_selectorILNS1_17partition_subalgoE0ExNS0_10empty_typeEbEEZZNS1_14partition_implILS5_0ELb0ES3_jN6thrust23THRUST_200600_302600_NS6detail15normal_iteratorINSA_10device_ptrIxEEEEPS6_SG_NS0_5tupleIJNSA_16discard_iteratorINSA_11use_defaultEEESF_EEENSH_IJSG_SG_EEES6_PlJ7is_evenIxEEEE10hipError_tPvRmT3_T4_T5_T6_T7_T9_mT8_P12ihipStream_tbDpT10_ENKUlT_T0_E_clISt17integral_constantIbLb1EES18_IbLb0EEEEDaS14_S15_EUlS14_E_NS1_11comp_targetILNS1_3genE10ELNS1_11target_archE1200ELNS1_3gpuE4ELNS1_3repE0EEENS1_30default_config_static_selectorELNS0_4arch9wavefront6targetE1EEEvT1_
	.globl	_ZN7rocprim17ROCPRIM_400000_NS6detail17trampoline_kernelINS0_14default_configENS1_25partition_config_selectorILNS1_17partition_subalgoE0ExNS0_10empty_typeEbEEZZNS1_14partition_implILS5_0ELb0ES3_jN6thrust23THRUST_200600_302600_NS6detail15normal_iteratorINSA_10device_ptrIxEEEEPS6_SG_NS0_5tupleIJNSA_16discard_iteratorINSA_11use_defaultEEESF_EEENSH_IJSG_SG_EEES6_PlJ7is_evenIxEEEE10hipError_tPvRmT3_T4_T5_T6_T7_T9_mT8_P12ihipStream_tbDpT10_ENKUlT_T0_E_clISt17integral_constantIbLb1EES18_IbLb0EEEEDaS14_S15_EUlS14_E_NS1_11comp_targetILNS1_3genE10ELNS1_11target_archE1200ELNS1_3gpuE4ELNS1_3repE0EEENS1_30default_config_static_selectorELNS0_4arch9wavefront6targetE1EEEvT1_
	.p2align	8
	.type	_ZN7rocprim17ROCPRIM_400000_NS6detail17trampoline_kernelINS0_14default_configENS1_25partition_config_selectorILNS1_17partition_subalgoE0ExNS0_10empty_typeEbEEZZNS1_14partition_implILS5_0ELb0ES3_jN6thrust23THRUST_200600_302600_NS6detail15normal_iteratorINSA_10device_ptrIxEEEEPS6_SG_NS0_5tupleIJNSA_16discard_iteratorINSA_11use_defaultEEESF_EEENSH_IJSG_SG_EEES6_PlJ7is_evenIxEEEE10hipError_tPvRmT3_T4_T5_T6_T7_T9_mT8_P12ihipStream_tbDpT10_ENKUlT_T0_E_clISt17integral_constantIbLb1EES18_IbLb0EEEEDaS14_S15_EUlS14_E_NS1_11comp_targetILNS1_3genE10ELNS1_11target_archE1200ELNS1_3gpuE4ELNS1_3repE0EEENS1_30default_config_static_selectorELNS0_4arch9wavefront6targetE1EEEvT1_,@function
_ZN7rocprim17ROCPRIM_400000_NS6detail17trampoline_kernelINS0_14default_configENS1_25partition_config_selectorILNS1_17partition_subalgoE0ExNS0_10empty_typeEbEEZZNS1_14partition_implILS5_0ELb0ES3_jN6thrust23THRUST_200600_302600_NS6detail15normal_iteratorINSA_10device_ptrIxEEEEPS6_SG_NS0_5tupleIJNSA_16discard_iteratorINSA_11use_defaultEEESF_EEENSH_IJSG_SG_EEES6_PlJ7is_evenIxEEEE10hipError_tPvRmT3_T4_T5_T6_T7_T9_mT8_P12ihipStream_tbDpT10_ENKUlT_T0_E_clISt17integral_constantIbLb1EES18_IbLb0EEEEDaS14_S15_EUlS14_E_NS1_11comp_targetILNS1_3genE10ELNS1_11target_archE1200ELNS1_3gpuE4ELNS1_3repE0EEENS1_30default_config_static_selectorELNS0_4arch9wavefront6targetE1EEEvT1_: ; @_ZN7rocprim17ROCPRIM_400000_NS6detail17trampoline_kernelINS0_14default_configENS1_25partition_config_selectorILNS1_17partition_subalgoE0ExNS0_10empty_typeEbEEZZNS1_14partition_implILS5_0ELb0ES3_jN6thrust23THRUST_200600_302600_NS6detail15normal_iteratorINSA_10device_ptrIxEEEEPS6_SG_NS0_5tupleIJNSA_16discard_iteratorINSA_11use_defaultEEESF_EEENSH_IJSG_SG_EEES6_PlJ7is_evenIxEEEE10hipError_tPvRmT3_T4_T5_T6_T7_T9_mT8_P12ihipStream_tbDpT10_ENKUlT_T0_E_clISt17integral_constantIbLb1EES18_IbLb0EEEEDaS14_S15_EUlS14_E_NS1_11comp_targetILNS1_3genE10ELNS1_11target_archE1200ELNS1_3gpuE4ELNS1_3repE0EEENS1_30default_config_static_selectorELNS0_4arch9wavefront6targetE1EEEvT1_
; %bb.0:
	.section	.rodata,"a",@progbits
	.p2align	6, 0x0
	.amdhsa_kernel _ZN7rocprim17ROCPRIM_400000_NS6detail17trampoline_kernelINS0_14default_configENS1_25partition_config_selectorILNS1_17partition_subalgoE0ExNS0_10empty_typeEbEEZZNS1_14partition_implILS5_0ELb0ES3_jN6thrust23THRUST_200600_302600_NS6detail15normal_iteratorINSA_10device_ptrIxEEEEPS6_SG_NS0_5tupleIJNSA_16discard_iteratorINSA_11use_defaultEEESF_EEENSH_IJSG_SG_EEES6_PlJ7is_evenIxEEEE10hipError_tPvRmT3_T4_T5_T6_T7_T9_mT8_P12ihipStream_tbDpT10_ENKUlT_T0_E_clISt17integral_constantIbLb1EES18_IbLb0EEEEDaS14_S15_EUlS14_E_NS1_11comp_targetILNS1_3genE10ELNS1_11target_archE1200ELNS1_3gpuE4ELNS1_3repE0EEENS1_30default_config_static_selectorELNS0_4arch9wavefront6targetE1EEEvT1_
		.amdhsa_group_segment_fixed_size 0
		.amdhsa_private_segment_fixed_size 0
		.amdhsa_kernarg_size 128
		.amdhsa_user_sgpr_count 6
		.amdhsa_user_sgpr_private_segment_buffer 1
		.amdhsa_user_sgpr_dispatch_ptr 0
		.amdhsa_user_sgpr_queue_ptr 0
		.amdhsa_user_sgpr_kernarg_segment_ptr 1
		.amdhsa_user_sgpr_dispatch_id 0
		.amdhsa_user_sgpr_flat_scratch_init 0
		.amdhsa_user_sgpr_kernarg_preload_length 0
		.amdhsa_user_sgpr_kernarg_preload_offset 0
		.amdhsa_user_sgpr_private_segment_size 0
		.amdhsa_uses_dynamic_stack 0
		.amdhsa_system_sgpr_private_segment_wavefront_offset 0
		.amdhsa_system_sgpr_workgroup_id_x 1
		.amdhsa_system_sgpr_workgroup_id_y 0
		.amdhsa_system_sgpr_workgroup_id_z 0
		.amdhsa_system_sgpr_workgroup_info 0
		.amdhsa_system_vgpr_workitem_id 0
		.amdhsa_next_free_vgpr 1
		.amdhsa_next_free_sgpr 0
		.amdhsa_accum_offset 4
		.amdhsa_reserve_vcc 0
		.amdhsa_reserve_flat_scratch 0
		.amdhsa_float_round_mode_32 0
		.amdhsa_float_round_mode_16_64 0
		.amdhsa_float_denorm_mode_32 3
		.amdhsa_float_denorm_mode_16_64 3
		.amdhsa_dx10_clamp 1
		.amdhsa_ieee_mode 1
		.amdhsa_fp16_overflow 0
		.amdhsa_tg_split 0
		.amdhsa_exception_fp_ieee_invalid_op 0
		.amdhsa_exception_fp_denorm_src 0
		.amdhsa_exception_fp_ieee_div_zero 0
		.amdhsa_exception_fp_ieee_overflow 0
		.amdhsa_exception_fp_ieee_underflow 0
		.amdhsa_exception_fp_ieee_inexact 0
		.amdhsa_exception_int_div_zero 0
	.end_amdhsa_kernel
	.section	.text._ZN7rocprim17ROCPRIM_400000_NS6detail17trampoline_kernelINS0_14default_configENS1_25partition_config_selectorILNS1_17partition_subalgoE0ExNS0_10empty_typeEbEEZZNS1_14partition_implILS5_0ELb0ES3_jN6thrust23THRUST_200600_302600_NS6detail15normal_iteratorINSA_10device_ptrIxEEEEPS6_SG_NS0_5tupleIJNSA_16discard_iteratorINSA_11use_defaultEEESF_EEENSH_IJSG_SG_EEES6_PlJ7is_evenIxEEEE10hipError_tPvRmT3_T4_T5_T6_T7_T9_mT8_P12ihipStream_tbDpT10_ENKUlT_T0_E_clISt17integral_constantIbLb1EES18_IbLb0EEEEDaS14_S15_EUlS14_E_NS1_11comp_targetILNS1_3genE10ELNS1_11target_archE1200ELNS1_3gpuE4ELNS1_3repE0EEENS1_30default_config_static_selectorELNS0_4arch9wavefront6targetE1EEEvT1_,"axG",@progbits,_ZN7rocprim17ROCPRIM_400000_NS6detail17trampoline_kernelINS0_14default_configENS1_25partition_config_selectorILNS1_17partition_subalgoE0ExNS0_10empty_typeEbEEZZNS1_14partition_implILS5_0ELb0ES3_jN6thrust23THRUST_200600_302600_NS6detail15normal_iteratorINSA_10device_ptrIxEEEEPS6_SG_NS0_5tupleIJNSA_16discard_iteratorINSA_11use_defaultEEESF_EEENSH_IJSG_SG_EEES6_PlJ7is_evenIxEEEE10hipError_tPvRmT3_T4_T5_T6_T7_T9_mT8_P12ihipStream_tbDpT10_ENKUlT_T0_E_clISt17integral_constantIbLb1EES18_IbLb0EEEEDaS14_S15_EUlS14_E_NS1_11comp_targetILNS1_3genE10ELNS1_11target_archE1200ELNS1_3gpuE4ELNS1_3repE0EEENS1_30default_config_static_selectorELNS0_4arch9wavefront6targetE1EEEvT1_,comdat
.Lfunc_end2672:
	.size	_ZN7rocprim17ROCPRIM_400000_NS6detail17trampoline_kernelINS0_14default_configENS1_25partition_config_selectorILNS1_17partition_subalgoE0ExNS0_10empty_typeEbEEZZNS1_14partition_implILS5_0ELb0ES3_jN6thrust23THRUST_200600_302600_NS6detail15normal_iteratorINSA_10device_ptrIxEEEEPS6_SG_NS0_5tupleIJNSA_16discard_iteratorINSA_11use_defaultEEESF_EEENSH_IJSG_SG_EEES6_PlJ7is_evenIxEEEE10hipError_tPvRmT3_T4_T5_T6_T7_T9_mT8_P12ihipStream_tbDpT10_ENKUlT_T0_E_clISt17integral_constantIbLb1EES18_IbLb0EEEEDaS14_S15_EUlS14_E_NS1_11comp_targetILNS1_3genE10ELNS1_11target_archE1200ELNS1_3gpuE4ELNS1_3repE0EEENS1_30default_config_static_selectorELNS0_4arch9wavefront6targetE1EEEvT1_, .Lfunc_end2672-_ZN7rocprim17ROCPRIM_400000_NS6detail17trampoline_kernelINS0_14default_configENS1_25partition_config_selectorILNS1_17partition_subalgoE0ExNS0_10empty_typeEbEEZZNS1_14partition_implILS5_0ELb0ES3_jN6thrust23THRUST_200600_302600_NS6detail15normal_iteratorINSA_10device_ptrIxEEEEPS6_SG_NS0_5tupleIJNSA_16discard_iteratorINSA_11use_defaultEEESF_EEENSH_IJSG_SG_EEES6_PlJ7is_evenIxEEEE10hipError_tPvRmT3_T4_T5_T6_T7_T9_mT8_P12ihipStream_tbDpT10_ENKUlT_T0_E_clISt17integral_constantIbLb1EES18_IbLb0EEEEDaS14_S15_EUlS14_E_NS1_11comp_targetILNS1_3genE10ELNS1_11target_archE1200ELNS1_3gpuE4ELNS1_3repE0EEENS1_30default_config_static_selectorELNS0_4arch9wavefront6targetE1EEEvT1_
                                        ; -- End function
	.section	.AMDGPU.csdata,"",@progbits
; Kernel info:
; codeLenInByte = 0
; NumSgprs: 4
; NumVgprs: 0
; NumAgprs: 0
; TotalNumVgprs: 0
; ScratchSize: 0
; MemoryBound: 0
; FloatMode: 240
; IeeeMode: 1
; LDSByteSize: 0 bytes/workgroup (compile time only)
; SGPRBlocks: 0
; VGPRBlocks: 0
; NumSGPRsForWavesPerEU: 4
; NumVGPRsForWavesPerEU: 1
; AccumOffset: 4
; Occupancy: 8
; WaveLimiterHint : 0
; COMPUTE_PGM_RSRC2:SCRATCH_EN: 0
; COMPUTE_PGM_RSRC2:USER_SGPR: 6
; COMPUTE_PGM_RSRC2:TRAP_HANDLER: 0
; COMPUTE_PGM_RSRC2:TGID_X_EN: 1
; COMPUTE_PGM_RSRC2:TGID_Y_EN: 0
; COMPUTE_PGM_RSRC2:TGID_Z_EN: 0
; COMPUTE_PGM_RSRC2:TIDIG_COMP_CNT: 0
; COMPUTE_PGM_RSRC3_GFX90A:ACCUM_OFFSET: 0
; COMPUTE_PGM_RSRC3_GFX90A:TG_SPLIT: 0
	.section	.text._ZN7rocprim17ROCPRIM_400000_NS6detail17trampoline_kernelINS0_14default_configENS1_25partition_config_selectorILNS1_17partition_subalgoE0ExNS0_10empty_typeEbEEZZNS1_14partition_implILS5_0ELb0ES3_jN6thrust23THRUST_200600_302600_NS6detail15normal_iteratorINSA_10device_ptrIxEEEEPS6_SG_NS0_5tupleIJNSA_16discard_iteratorINSA_11use_defaultEEESF_EEENSH_IJSG_SG_EEES6_PlJ7is_evenIxEEEE10hipError_tPvRmT3_T4_T5_T6_T7_T9_mT8_P12ihipStream_tbDpT10_ENKUlT_T0_E_clISt17integral_constantIbLb1EES18_IbLb0EEEEDaS14_S15_EUlS14_E_NS1_11comp_targetILNS1_3genE9ELNS1_11target_archE1100ELNS1_3gpuE3ELNS1_3repE0EEENS1_30default_config_static_selectorELNS0_4arch9wavefront6targetE1EEEvT1_,"axG",@progbits,_ZN7rocprim17ROCPRIM_400000_NS6detail17trampoline_kernelINS0_14default_configENS1_25partition_config_selectorILNS1_17partition_subalgoE0ExNS0_10empty_typeEbEEZZNS1_14partition_implILS5_0ELb0ES3_jN6thrust23THRUST_200600_302600_NS6detail15normal_iteratorINSA_10device_ptrIxEEEEPS6_SG_NS0_5tupleIJNSA_16discard_iteratorINSA_11use_defaultEEESF_EEENSH_IJSG_SG_EEES6_PlJ7is_evenIxEEEE10hipError_tPvRmT3_T4_T5_T6_T7_T9_mT8_P12ihipStream_tbDpT10_ENKUlT_T0_E_clISt17integral_constantIbLb1EES18_IbLb0EEEEDaS14_S15_EUlS14_E_NS1_11comp_targetILNS1_3genE9ELNS1_11target_archE1100ELNS1_3gpuE3ELNS1_3repE0EEENS1_30default_config_static_selectorELNS0_4arch9wavefront6targetE1EEEvT1_,comdat
	.protected	_ZN7rocprim17ROCPRIM_400000_NS6detail17trampoline_kernelINS0_14default_configENS1_25partition_config_selectorILNS1_17partition_subalgoE0ExNS0_10empty_typeEbEEZZNS1_14partition_implILS5_0ELb0ES3_jN6thrust23THRUST_200600_302600_NS6detail15normal_iteratorINSA_10device_ptrIxEEEEPS6_SG_NS0_5tupleIJNSA_16discard_iteratorINSA_11use_defaultEEESF_EEENSH_IJSG_SG_EEES6_PlJ7is_evenIxEEEE10hipError_tPvRmT3_T4_T5_T6_T7_T9_mT8_P12ihipStream_tbDpT10_ENKUlT_T0_E_clISt17integral_constantIbLb1EES18_IbLb0EEEEDaS14_S15_EUlS14_E_NS1_11comp_targetILNS1_3genE9ELNS1_11target_archE1100ELNS1_3gpuE3ELNS1_3repE0EEENS1_30default_config_static_selectorELNS0_4arch9wavefront6targetE1EEEvT1_ ; -- Begin function _ZN7rocprim17ROCPRIM_400000_NS6detail17trampoline_kernelINS0_14default_configENS1_25partition_config_selectorILNS1_17partition_subalgoE0ExNS0_10empty_typeEbEEZZNS1_14partition_implILS5_0ELb0ES3_jN6thrust23THRUST_200600_302600_NS6detail15normal_iteratorINSA_10device_ptrIxEEEEPS6_SG_NS0_5tupleIJNSA_16discard_iteratorINSA_11use_defaultEEESF_EEENSH_IJSG_SG_EEES6_PlJ7is_evenIxEEEE10hipError_tPvRmT3_T4_T5_T6_T7_T9_mT8_P12ihipStream_tbDpT10_ENKUlT_T0_E_clISt17integral_constantIbLb1EES18_IbLb0EEEEDaS14_S15_EUlS14_E_NS1_11comp_targetILNS1_3genE9ELNS1_11target_archE1100ELNS1_3gpuE3ELNS1_3repE0EEENS1_30default_config_static_selectorELNS0_4arch9wavefront6targetE1EEEvT1_
	.globl	_ZN7rocprim17ROCPRIM_400000_NS6detail17trampoline_kernelINS0_14default_configENS1_25partition_config_selectorILNS1_17partition_subalgoE0ExNS0_10empty_typeEbEEZZNS1_14partition_implILS5_0ELb0ES3_jN6thrust23THRUST_200600_302600_NS6detail15normal_iteratorINSA_10device_ptrIxEEEEPS6_SG_NS0_5tupleIJNSA_16discard_iteratorINSA_11use_defaultEEESF_EEENSH_IJSG_SG_EEES6_PlJ7is_evenIxEEEE10hipError_tPvRmT3_T4_T5_T6_T7_T9_mT8_P12ihipStream_tbDpT10_ENKUlT_T0_E_clISt17integral_constantIbLb1EES18_IbLb0EEEEDaS14_S15_EUlS14_E_NS1_11comp_targetILNS1_3genE9ELNS1_11target_archE1100ELNS1_3gpuE3ELNS1_3repE0EEENS1_30default_config_static_selectorELNS0_4arch9wavefront6targetE1EEEvT1_
	.p2align	8
	.type	_ZN7rocprim17ROCPRIM_400000_NS6detail17trampoline_kernelINS0_14default_configENS1_25partition_config_selectorILNS1_17partition_subalgoE0ExNS0_10empty_typeEbEEZZNS1_14partition_implILS5_0ELb0ES3_jN6thrust23THRUST_200600_302600_NS6detail15normal_iteratorINSA_10device_ptrIxEEEEPS6_SG_NS0_5tupleIJNSA_16discard_iteratorINSA_11use_defaultEEESF_EEENSH_IJSG_SG_EEES6_PlJ7is_evenIxEEEE10hipError_tPvRmT3_T4_T5_T6_T7_T9_mT8_P12ihipStream_tbDpT10_ENKUlT_T0_E_clISt17integral_constantIbLb1EES18_IbLb0EEEEDaS14_S15_EUlS14_E_NS1_11comp_targetILNS1_3genE9ELNS1_11target_archE1100ELNS1_3gpuE3ELNS1_3repE0EEENS1_30default_config_static_selectorELNS0_4arch9wavefront6targetE1EEEvT1_,@function
_ZN7rocprim17ROCPRIM_400000_NS6detail17trampoline_kernelINS0_14default_configENS1_25partition_config_selectorILNS1_17partition_subalgoE0ExNS0_10empty_typeEbEEZZNS1_14partition_implILS5_0ELb0ES3_jN6thrust23THRUST_200600_302600_NS6detail15normal_iteratorINSA_10device_ptrIxEEEEPS6_SG_NS0_5tupleIJNSA_16discard_iteratorINSA_11use_defaultEEESF_EEENSH_IJSG_SG_EEES6_PlJ7is_evenIxEEEE10hipError_tPvRmT3_T4_T5_T6_T7_T9_mT8_P12ihipStream_tbDpT10_ENKUlT_T0_E_clISt17integral_constantIbLb1EES18_IbLb0EEEEDaS14_S15_EUlS14_E_NS1_11comp_targetILNS1_3genE9ELNS1_11target_archE1100ELNS1_3gpuE3ELNS1_3repE0EEENS1_30default_config_static_selectorELNS0_4arch9wavefront6targetE1EEEvT1_: ; @_ZN7rocprim17ROCPRIM_400000_NS6detail17trampoline_kernelINS0_14default_configENS1_25partition_config_selectorILNS1_17partition_subalgoE0ExNS0_10empty_typeEbEEZZNS1_14partition_implILS5_0ELb0ES3_jN6thrust23THRUST_200600_302600_NS6detail15normal_iteratorINSA_10device_ptrIxEEEEPS6_SG_NS0_5tupleIJNSA_16discard_iteratorINSA_11use_defaultEEESF_EEENSH_IJSG_SG_EEES6_PlJ7is_evenIxEEEE10hipError_tPvRmT3_T4_T5_T6_T7_T9_mT8_P12ihipStream_tbDpT10_ENKUlT_T0_E_clISt17integral_constantIbLb1EES18_IbLb0EEEEDaS14_S15_EUlS14_E_NS1_11comp_targetILNS1_3genE9ELNS1_11target_archE1100ELNS1_3gpuE3ELNS1_3repE0EEENS1_30default_config_static_selectorELNS0_4arch9wavefront6targetE1EEEvT1_
; %bb.0:
	.section	.rodata,"a",@progbits
	.p2align	6, 0x0
	.amdhsa_kernel _ZN7rocprim17ROCPRIM_400000_NS6detail17trampoline_kernelINS0_14default_configENS1_25partition_config_selectorILNS1_17partition_subalgoE0ExNS0_10empty_typeEbEEZZNS1_14partition_implILS5_0ELb0ES3_jN6thrust23THRUST_200600_302600_NS6detail15normal_iteratorINSA_10device_ptrIxEEEEPS6_SG_NS0_5tupleIJNSA_16discard_iteratorINSA_11use_defaultEEESF_EEENSH_IJSG_SG_EEES6_PlJ7is_evenIxEEEE10hipError_tPvRmT3_T4_T5_T6_T7_T9_mT8_P12ihipStream_tbDpT10_ENKUlT_T0_E_clISt17integral_constantIbLb1EES18_IbLb0EEEEDaS14_S15_EUlS14_E_NS1_11comp_targetILNS1_3genE9ELNS1_11target_archE1100ELNS1_3gpuE3ELNS1_3repE0EEENS1_30default_config_static_selectorELNS0_4arch9wavefront6targetE1EEEvT1_
		.amdhsa_group_segment_fixed_size 0
		.amdhsa_private_segment_fixed_size 0
		.amdhsa_kernarg_size 128
		.amdhsa_user_sgpr_count 6
		.amdhsa_user_sgpr_private_segment_buffer 1
		.amdhsa_user_sgpr_dispatch_ptr 0
		.amdhsa_user_sgpr_queue_ptr 0
		.amdhsa_user_sgpr_kernarg_segment_ptr 1
		.amdhsa_user_sgpr_dispatch_id 0
		.amdhsa_user_sgpr_flat_scratch_init 0
		.amdhsa_user_sgpr_kernarg_preload_length 0
		.amdhsa_user_sgpr_kernarg_preload_offset 0
		.amdhsa_user_sgpr_private_segment_size 0
		.amdhsa_uses_dynamic_stack 0
		.amdhsa_system_sgpr_private_segment_wavefront_offset 0
		.amdhsa_system_sgpr_workgroup_id_x 1
		.amdhsa_system_sgpr_workgroup_id_y 0
		.amdhsa_system_sgpr_workgroup_id_z 0
		.amdhsa_system_sgpr_workgroup_info 0
		.amdhsa_system_vgpr_workitem_id 0
		.amdhsa_next_free_vgpr 1
		.amdhsa_next_free_sgpr 0
		.amdhsa_accum_offset 4
		.amdhsa_reserve_vcc 0
		.amdhsa_reserve_flat_scratch 0
		.amdhsa_float_round_mode_32 0
		.amdhsa_float_round_mode_16_64 0
		.amdhsa_float_denorm_mode_32 3
		.amdhsa_float_denorm_mode_16_64 3
		.amdhsa_dx10_clamp 1
		.amdhsa_ieee_mode 1
		.amdhsa_fp16_overflow 0
		.amdhsa_tg_split 0
		.amdhsa_exception_fp_ieee_invalid_op 0
		.amdhsa_exception_fp_denorm_src 0
		.amdhsa_exception_fp_ieee_div_zero 0
		.amdhsa_exception_fp_ieee_overflow 0
		.amdhsa_exception_fp_ieee_underflow 0
		.amdhsa_exception_fp_ieee_inexact 0
		.amdhsa_exception_int_div_zero 0
	.end_amdhsa_kernel
	.section	.text._ZN7rocprim17ROCPRIM_400000_NS6detail17trampoline_kernelINS0_14default_configENS1_25partition_config_selectorILNS1_17partition_subalgoE0ExNS0_10empty_typeEbEEZZNS1_14partition_implILS5_0ELb0ES3_jN6thrust23THRUST_200600_302600_NS6detail15normal_iteratorINSA_10device_ptrIxEEEEPS6_SG_NS0_5tupleIJNSA_16discard_iteratorINSA_11use_defaultEEESF_EEENSH_IJSG_SG_EEES6_PlJ7is_evenIxEEEE10hipError_tPvRmT3_T4_T5_T6_T7_T9_mT8_P12ihipStream_tbDpT10_ENKUlT_T0_E_clISt17integral_constantIbLb1EES18_IbLb0EEEEDaS14_S15_EUlS14_E_NS1_11comp_targetILNS1_3genE9ELNS1_11target_archE1100ELNS1_3gpuE3ELNS1_3repE0EEENS1_30default_config_static_selectorELNS0_4arch9wavefront6targetE1EEEvT1_,"axG",@progbits,_ZN7rocprim17ROCPRIM_400000_NS6detail17trampoline_kernelINS0_14default_configENS1_25partition_config_selectorILNS1_17partition_subalgoE0ExNS0_10empty_typeEbEEZZNS1_14partition_implILS5_0ELb0ES3_jN6thrust23THRUST_200600_302600_NS6detail15normal_iteratorINSA_10device_ptrIxEEEEPS6_SG_NS0_5tupleIJNSA_16discard_iteratorINSA_11use_defaultEEESF_EEENSH_IJSG_SG_EEES6_PlJ7is_evenIxEEEE10hipError_tPvRmT3_T4_T5_T6_T7_T9_mT8_P12ihipStream_tbDpT10_ENKUlT_T0_E_clISt17integral_constantIbLb1EES18_IbLb0EEEEDaS14_S15_EUlS14_E_NS1_11comp_targetILNS1_3genE9ELNS1_11target_archE1100ELNS1_3gpuE3ELNS1_3repE0EEENS1_30default_config_static_selectorELNS0_4arch9wavefront6targetE1EEEvT1_,comdat
.Lfunc_end2673:
	.size	_ZN7rocprim17ROCPRIM_400000_NS6detail17trampoline_kernelINS0_14default_configENS1_25partition_config_selectorILNS1_17partition_subalgoE0ExNS0_10empty_typeEbEEZZNS1_14partition_implILS5_0ELb0ES3_jN6thrust23THRUST_200600_302600_NS6detail15normal_iteratorINSA_10device_ptrIxEEEEPS6_SG_NS0_5tupleIJNSA_16discard_iteratorINSA_11use_defaultEEESF_EEENSH_IJSG_SG_EEES6_PlJ7is_evenIxEEEE10hipError_tPvRmT3_T4_T5_T6_T7_T9_mT8_P12ihipStream_tbDpT10_ENKUlT_T0_E_clISt17integral_constantIbLb1EES18_IbLb0EEEEDaS14_S15_EUlS14_E_NS1_11comp_targetILNS1_3genE9ELNS1_11target_archE1100ELNS1_3gpuE3ELNS1_3repE0EEENS1_30default_config_static_selectorELNS0_4arch9wavefront6targetE1EEEvT1_, .Lfunc_end2673-_ZN7rocprim17ROCPRIM_400000_NS6detail17trampoline_kernelINS0_14default_configENS1_25partition_config_selectorILNS1_17partition_subalgoE0ExNS0_10empty_typeEbEEZZNS1_14partition_implILS5_0ELb0ES3_jN6thrust23THRUST_200600_302600_NS6detail15normal_iteratorINSA_10device_ptrIxEEEEPS6_SG_NS0_5tupleIJNSA_16discard_iteratorINSA_11use_defaultEEESF_EEENSH_IJSG_SG_EEES6_PlJ7is_evenIxEEEE10hipError_tPvRmT3_T4_T5_T6_T7_T9_mT8_P12ihipStream_tbDpT10_ENKUlT_T0_E_clISt17integral_constantIbLb1EES18_IbLb0EEEEDaS14_S15_EUlS14_E_NS1_11comp_targetILNS1_3genE9ELNS1_11target_archE1100ELNS1_3gpuE3ELNS1_3repE0EEENS1_30default_config_static_selectorELNS0_4arch9wavefront6targetE1EEEvT1_
                                        ; -- End function
	.section	.AMDGPU.csdata,"",@progbits
; Kernel info:
; codeLenInByte = 0
; NumSgprs: 4
; NumVgprs: 0
; NumAgprs: 0
; TotalNumVgprs: 0
; ScratchSize: 0
; MemoryBound: 0
; FloatMode: 240
; IeeeMode: 1
; LDSByteSize: 0 bytes/workgroup (compile time only)
; SGPRBlocks: 0
; VGPRBlocks: 0
; NumSGPRsForWavesPerEU: 4
; NumVGPRsForWavesPerEU: 1
; AccumOffset: 4
; Occupancy: 8
; WaveLimiterHint : 0
; COMPUTE_PGM_RSRC2:SCRATCH_EN: 0
; COMPUTE_PGM_RSRC2:USER_SGPR: 6
; COMPUTE_PGM_RSRC2:TRAP_HANDLER: 0
; COMPUTE_PGM_RSRC2:TGID_X_EN: 1
; COMPUTE_PGM_RSRC2:TGID_Y_EN: 0
; COMPUTE_PGM_RSRC2:TGID_Z_EN: 0
; COMPUTE_PGM_RSRC2:TIDIG_COMP_CNT: 0
; COMPUTE_PGM_RSRC3_GFX90A:ACCUM_OFFSET: 0
; COMPUTE_PGM_RSRC3_GFX90A:TG_SPLIT: 0
	.section	.text._ZN7rocprim17ROCPRIM_400000_NS6detail17trampoline_kernelINS0_14default_configENS1_25partition_config_selectorILNS1_17partition_subalgoE0ExNS0_10empty_typeEbEEZZNS1_14partition_implILS5_0ELb0ES3_jN6thrust23THRUST_200600_302600_NS6detail15normal_iteratorINSA_10device_ptrIxEEEEPS6_SG_NS0_5tupleIJNSA_16discard_iteratorINSA_11use_defaultEEESF_EEENSH_IJSG_SG_EEES6_PlJ7is_evenIxEEEE10hipError_tPvRmT3_T4_T5_T6_T7_T9_mT8_P12ihipStream_tbDpT10_ENKUlT_T0_E_clISt17integral_constantIbLb1EES18_IbLb0EEEEDaS14_S15_EUlS14_E_NS1_11comp_targetILNS1_3genE8ELNS1_11target_archE1030ELNS1_3gpuE2ELNS1_3repE0EEENS1_30default_config_static_selectorELNS0_4arch9wavefront6targetE1EEEvT1_,"axG",@progbits,_ZN7rocprim17ROCPRIM_400000_NS6detail17trampoline_kernelINS0_14default_configENS1_25partition_config_selectorILNS1_17partition_subalgoE0ExNS0_10empty_typeEbEEZZNS1_14partition_implILS5_0ELb0ES3_jN6thrust23THRUST_200600_302600_NS6detail15normal_iteratorINSA_10device_ptrIxEEEEPS6_SG_NS0_5tupleIJNSA_16discard_iteratorINSA_11use_defaultEEESF_EEENSH_IJSG_SG_EEES6_PlJ7is_evenIxEEEE10hipError_tPvRmT3_T4_T5_T6_T7_T9_mT8_P12ihipStream_tbDpT10_ENKUlT_T0_E_clISt17integral_constantIbLb1EES18_IbLb0EEEEDaS14_S15_EUlS14_E_NS1_11comp_targetILNS1_3genE8ELNS1_11target_archE1030ELNS1_3gpuE2ELNS1_3repE0EEENS1_30default_config_static_selectorELNS0_4arch9wavefront6targetE1EEEvT1_,comdat
	.protected	_ZN7rocprim17ROCPRIM_400000_NS6detail17trampoline_kernelINS0_14default_configENS1_25partition_config_selectorILNS1_17partition_subalgoE0ExNS0_10empty_typeEbEEZZNS1_14partition_implILS5_0ELb0ES3_jN6thrust23THRUST_200600_302600_NS6detail15normal_iteratorINSA_10device_ptrIxEEEEPS6_SG_NS0_5tupleIJNSA_16discard_iteratorINSA_11use_defaultEEESF_EEENSH_IJSG_SG_EEES6_PlJ7is_evenIxEEEE10hipError_tPvRmT3_T4_T5_T6_T7_T9_mT8_P12ihipStream_tbDpT10_ENKUlT_T0_E_clISt17integral_constantIbLb1EES18_IbLb0EEEEDaS14_S15_EUlS14_E_NS1_11comp_targetILNS1_3genE8ELNS1_11target_archE1030ELNS1_3gpuE2ELNS1_3repE0EEENS1_30default_config_static_selectorELNS0_4arch9wavefront6targetE1EEEvT1_ ; -- Begin function _ZN7rocprim17ROCPRIM_400000_NS6detail17trampoline_kernelINS0_14default_configENS1_25partition_config_selectorILNS1_17partition_subalgoE0ExNS0_10empty_typeEbEEZZNS1_14partition_implILS5_0ELb0ES3_jN6thrust23THRUST_200600_302600_NS6detail15normal_iteratorINSA_10device_ptrIxEEEEPS6_SG_NS0_5tupleIJNSA_16discard_iteratorINSA_11use_defaultEEESF_EEENSH_IJSG_SG_EEES6_PlJ7is_evenIxEEEE10hipError_tPvRmT3_T4_T5_T6_T7_T9_mT8_P12ihipStream_tbDpT10_ENKUlT_T0_E_clISt17integral_constantIbLb1EES18_IbLb0EEEEDaS14_S15_EUlS14_E_NS1_11comp_targetILNS1_3genE8ELNS1_11target_archE1030ELNS1_3gpuE2ELNS1_3repE0EEENS1_30default_config_static_selectorELNS0_4arch9wavefront6targetE1EEEvT1_
	.globl	_ZN7rocprim17ROCPRIM_400000_NS6detail17trampoline_kernelINS0_14default_configENS1_25partition_config_selectorILNS1_17partition_subalgoE0ExNS0_10empty_typeEbEEZZNS1_14partition_implILS5_0ELb0ES3_jN6thrust23THRUST_200600_302600_NS6detail15normal_iteratorINSA_10device_ptrIxEEEEPS6_SG_NS0_5tupleIJNSA_16discard_iteratorINSA_11use_defaultEEESF_EEENSH_IJSG_SG_EEES6_PlJ7is_evenIxEEEE10hipError_tPvRmT3_T4_T5_T6_T7_T9_mT8_P12ihipStream_tbDpT10_ENKUlT_T0_E_clISt17integral_constantIbLb1EES18_IbLb0EEEEDaS14_S15_EUlS14_E_NS1_11comp_targetILNS1_3genE8ELNS1_11target_archE1030ELNS1_3gpuE2ELNS1_3repE0EEENS1_30default_config_static_selectorELNS0_4arch9wavefront6targetE1EEEvT1_
	.p2align	8
	.type	_ZN7rocprim17ROCPRIM_400000_NS6detail17trampoline_kernelINS0_14default_configENS1_25partition_config_selectorILNS1_17partition_subalgoE0ExNS0_10empty_typeEbEEZZNS1_14partition_implILS5_0ELb0ES3_jN6thrust23THRUST_200600_302600_NS6detail15normal_iteratorINSA_10device_ptrIxEEEEPS6_SG_NS0_5tupleIJNSA_16discard_iteratorINSA_11use_defaultEEESF_EEENSH_IJSG_SG_EEES6_PlJ7is_evenIxEEEE10hipError_tPvRmT3_T4_T5_T6_T7_T9_mT8_P12ihipStream_tbDpT10_ENKUlT_T0_E_clISt17integral_constantIbLb1EES18_IbLb0EEEEDaS14_S15_EUlS14_E_NS1_11comp_targetILNS1_3genE8ELNS1_11target_archE1030ELNS1_3gpuE2ELNS1_3repE0EEENS1_30default_config_static_selectorELNS0_4arch9wavefront6targetE1EEEvT1_,@function
_ZN7rocprim17ROCPRIM_400000_NS6detail17trampoline_kernelINS0_14default_configENS1_25partition_config_selectorILNS1_17partition_subalgoE0ExNS0_10empty_typeEbEEZZNS1_14partition_implILS5_0ELb0ES3_jN6thrust23THRUST_200600_302600_NS6detail15normal_iteratorINSA_10device_ptrIxEEEEPS6_SG_NS0_5tupleIJNSA_16discard_iteratorINSA_11use_defaultEEESF_EEENSH_IJSG_SG_EEES6_PlJ7is_evenIxEEEE10hipError_tPvRmT3_T4_T5_T6_T7_T9_mT8_P12ihipStream_tbDpT10_ENKUlT_T0_E_clISt17integral_constantIbLb1EES18_IbLb0EEEEDaS14_S15_EUlS14_E_NS1_11comp_targetILNS1_3genE8ELNS1_11target_archE1030ELNS1_3gpuE2ELNS1_3repE0EEENS1_30default_config_static_selectorELNS0_4arch9wavefront6targetE1EEEvT1_: ; @_ZN7rocprim17ROCPRIM_400000_NS6detail17trampoline_kernelINS0_14default_configENS1_25partition_config_selectorILNS1_17partition_subalgoE0ExNS0_10empty_typeEbEEZZNS1_14partition_implILS5_0ELb0ES3_jN6thrust23THRUST_200600_302600_NS6detail15normal_iteratorINSA_10device_ptrIxEEEEPS6_SG_NS0_5tupleIJNSA_16discard_iteratorINSA_11use_defaultEEESF_EEENSH_IJSG_SG_EEES6_PlJ7is_evenIxEEEE10hipError_tPvRmT3_T4_T5_T6_T7_T9_mT8_P12ihipStream_tbDpT10_ENKUlT_T0_E_clISt17integral_constantIbLb1EES18_IbLb0EEEEDaS14_S15_EUlS14_E_NS1_11comp_targetILNS1_3genE8ELNS1_11target_archE1030ELNS1_3gpuE2ELNS1_3repE0EEENS1_30default_config_static_selectorELNS0_4arch9wavefront6targetE1EEEvT1_
; %bb.0:
	.section	.rodata,"a",@progbits
	.p2align	6, 0x0
	.amdhsa_kernel _ZN7rocprim17ROCPRIM_400000_NS6detail17trampoline_kernelINS0_14default_configENS1_25partition_config_selectorILNS1_17partition_subalgoE0ExNS0_10empty_typeEbEEZZNS1_14partition_implILS5_0ELb0ES3_jN6thrust23THRUST_200600_302600_NS6detail15normal_iteratorINSA_10device_ptrIxEEEEPS6_SG_NS0_5tupleIJNSA_16discard_iteratorINSA_11use_defaultEEESF_EEENSH_IJSG_SG_EEES6_PlJ7is_evenIxEEEE10hipError_tPvRmT3_T4_T5_T6_T7_T9_mT8_P12ihipStream_tbDpT10_ENKUlT_T0_E_clISt17integral_constantIbLb1EES18_IbLb0EEEEDaS14_S15_EUlS14_E_NS1_11comp_targetILNS1_3genE8ELNS1_11target_archE1030ELNS1_3gpuE2ELNS1_3repE0EEENS1_30default_config_static_selectorELNS0_4arch9wavefront6targetE1EEEvT1_
		.amdhsa_group_segment_fixed_size 0
		.amdhsa_private_segment_fixed_size 0
		.amdhsa_kernarg_size 128
		.amdhsa_user_sgpr_count 6
		.amdhsa_user_sgpr_private_segment_buffer 1
		.amdhsa_user_sgpr_dispatch_ptr 0
		.amdhsa_user_sgpr_queue_ptr 0
		.amdhsa_user_sgpr_kernarg_segment_ptr 1
		.amdhsa_user_sgpr_dispatch_id 0
		.amdhsa_user_sgpr_flat_scratch_init 0
		.amdhsa_user_sgpr_kernarg_preload_length 0
		.amdhsa_user_sgpr_kernarg_preload_offset 0
		.amdhsa_user_sgpr_private_segment_size 0
		.amdhsa_uses_dynamic_stack 0
		.amdhsa_system_sgpr_private_segment_wavefront_offset 0
		.amdhsa_system_sgpr_workgroup_id_x 1
		.amdhsa_system_sgpr_workgroup_id_y 0
		.amdhsa_system_sgpr_workgroup_id_z 0
		.amdhsa_system_sgpr_workgroup_info 0
		.amdhsa_system_vgpr_workitem_id 0
		.amdhsa_next_free_vgpr 1
		.amdhsa_next_free_sgpr 0
		.amdhsa_accum_offset 4
		.amdhsa_reserve_vcc 0
		.amdhsa_reserve_flat_scratch 0
		.amdhsa_float_round_mode_32 0
		.amdhsa_float_round_mode_16_64 0
		.amdhsa_float_denorm_mode_32 3
		.amdhsa_float_denorm_mode_16_64 3
		.amdhsa_dx10_clamp 1
		.amdhsa_ieee_mode 1
		.amdhsa_fp16_overflow 0
		.amdhsa_tg_split 0
		.amdhsa_exception_fp_ieee_invalid_op 0
		.amdhsa_exception_fp_denorm_src 0
		.amdhsa_exception_fp_ieee_div_zero 0
		.amdhsa_exception_fp_ieee_overflow 0
		.amdhsa_exception_fp_ieee_underflow 0
		.amdhsa_exception_fp_ieee_inexact 0
		.amdhsa_exception_int_div_zero 0
	.end_amdhsa_kernel
	.section	.text._ZN7rocprim17ROCPRIM_400000_NS6detail17trampoline_kernelINS0_14default_configENS1_25partition_config_selectorILNS1_17partition_subalgoE0ExNS0_10empty_typeEbEEZZNS1_14partition_implILS5_0ELb0ES3_jN6thrust23THRUST_200600_302600_NS6detail15normal_iteratorINSA_10device_ptrIxEEEEPS6_SG_NS0_5tupleIJNSA_16discard_iteratorINSA_11use_defaultEEESF_EEENSH_IJSG_SG_EEES6_PlJ7is_evenIxEEEE10hipError_tPvRmT3_T4_T5_T6_T7_T9_mT8_P12ihipStream_tbDpT10_ENKUlT_T0_E_clISt17integral_constantIbLb1EES18_IbLb0EEEEDaS14_S15_EUlS14_E_NS1_11comp_targetILNS1_3genE8ELNS1_11target_archE1030ELNS1_3gpuE2ELNS1_3repE0EEENS1_30default_config_static_selectorELNS0_4arch9wavefront6targetE1EEEvT1_,"axG",@progbits,_ZN7rocprim17ROCPRIM_400000_NS6detail17trampoline_kernelINS0_14default_configENS1_25partition_config_selectorILNS1_17partition_subalgoE0ExNS0_10empty_typeEbEEZZNS1_14partition_implILS5_0ELb0ES3_jN6thrust23THRUST_200600_302600_NS6detail15normal_iteratorINSA_10device_ptrIxEEEEPS6_SG_NS0_5tupleIJNSA_16discard_iteratorINSA_11use_defaultEEESF_EEENSH_IJSG_SG_EEES6_PlJ7is_evenIxEEEE10hipError_tPvRmT3_T4_T5_T6_T7_T9_mT8_P12ihipStream_tbDpT10_ENKUlT_T0_E_clISt17integral_constantIbLb1EES18_IbLb0EEEEDaS14_S15_EUlS14_E_NS1_11comp_targetILNS1_3genE8ELNS1_11target_archE1030ELNS1_3gpuE2ELNS1_3repE0EEENS1_30default_config_static_selectorELNS0_4arch9wavefront6targetE1EEEvT1_,comdat
.Lfunc_end2674:
	.size	_ZN7rocprim17ROCPRIM_400000_NS6detail17trampoline_kernelINS0_14default_configENS1_25partition_config_selectorILNS1_17partition_subalgoE0ExNS0_10empty_typeEbEEZZNS1_14partition_implILS5_0ELb0ES3_jN6thrust23THRUST_200600_302600_NS6detail15normal_iteratorINSA_10device_ptrIxEEEEPS6_SG_NS0_5tupleIJNSA_16discard_iteratorINSA_11use_defaultEEESF_EEENSH_IJSG_SG_EEES6_PlJ7is_evenIxEEEE10hipError_tPvRmT3_T4_T5_T6_T7_T9_mT8_P12ihipStream_tbDpT10_ENKUlT_T0_E_clISt17integral_constantIbLb1EES18_IbLb0EEEEDaS14_S15_EUlS14_E_NS1_11comp_targetILNS1_3genE8ELNS1_11target_archE1030ELNS1_3gpuE2ELNS1_3repE0EEENS1_30default_config_static_selectorELNS0_4arch9wavefront6targetE1EEEvT1_, .Lfunc_end2674-_ZN7rocprim17ROCPRIM_400000_NS6detail17trampoline_kernelINS0_14default_configENS1_25partition_config_selectorILNS1_17partition_subalgoE0ExNS0_10empty_typeEbEEZZNS1_14partition_implILS5_0ELb0ES3_jN6thrust23THRUST_200600_302600_NS6detail15normal_iteratorINSA_10device_ptrIxEEEEPS6_SG_NS0_5tupleIJNSA_16discard_iteratorINSA_11use_defaultEEESF_EEENSH_IJSG_SG_EEES6_PlJ7is_evenIxEEEE10hipError_tPvRmT3_T4_T5_T6_T7_T9_mT8_P12ihipStream_tbDpT10_ENKUlT_T0_E_clISt17integral_constantIbLb1EES18_IbLb0EEEEDaS14_S15_EUlS14_E_NS1_11comp_targetILNS1_3genE8ELNS1_11target_archE1030ELNS1_3gpuE2ELNS1_3repE0EEENS1_30default_config_static_selectorELNS0_4arch9wavefront6targetE1EEEvT1_
                                        ; -- End function
	.section	.AMDGPU.csdata,"",@progbits
; Kernel info:
; codeLenInByte = 0
; NumSgprs: 4
; NumVgprs: 0
; NumAgprs: 0
; TotalNumVgprs: 0
; ScratchSize: 0
; MemoryBound: 0
; FloatMode: 240
; IeeeMode: 1
; LDSByteSize: 0 bytes/workgroup (compile time only)
; SGPRBlocks: 0
; VGPRBlocks: 0
; NumSGPRsForWavesPerEU: 4
; NumVGPRsForWavesPerEU: 1
; AccumOffset: 4
; Occupancy: 8
; WaveLimiterHint : 0
; COMPUTE_PGM_RSRC2:SCRATCH_EN: 0
; COMPUTE_PGM_RSRC2:USER_SGPR: 6
; COMPUTE_PGM_RSRC2:TRAP_HANDLER: 0
; COMPUTE_PGM_RSRC2:TGID_X_EN: 1
; COMPUTE_PGM_RSRC2:TGID_Y_EN: 0
; COMPUTE_PGM_RSRC2:TGID_Z_EN: 0
; COMPUTE_PGM_RSRC2:TIDIG_COMP_CNT: 0
; COMPUTE_PGM_RSRC3_GFX90A:ACCUM_OFFSET: 0
; COMPUTE_PGM_RSRC3_GFX90A:TG_SPLIT: 0
	.section	.text._ZN7rocprim17ROCPRIM_400000_NS6detail17trampoline_kernelINS0_14default_configENS1_25partition_config_selectorILNS1_17partition_subalgoE0ExNS0_10empty_typeEbEEZZNS1_14partition_implILS5_0ELb0ES3_jN6thrust23THRUST_200600_302600_NS6detail15normal_iteratorINSA_10device_ptrIxEEEEPS6_SG_NS0_5tupleIJNSA_16discard_iteratorINSA_11use_defaultEEESF_EEENSH_IJSG_SG_EEES6_PlJ7is_evenIxEEEE10hipError_tPvRmT3_T4_T5_T6_T7_T9_mT8_P12ihipStream_tbDpT10_ENKUlT_T0_E_clISt17integral_constantIbLb0EES18_IbLb1EEEEDaS14_S15_EUlS14_E_NS1_11comp_targetILNS1_3genE0ELNS1_11target_archE4294967295ELNS1_3gpuE0ELNS1_3repE0EEENS1_30default_config_static_selectorELNS0_4arch9wavefront6targetE1EEEvT1_,"axG",@progbits,_ZN7rocprim17ROCPRIM_400000_NS6detail17trampoline_kernelINS0_14default_configENS1_25partition_config_selectorILNS1_17partition_subalgoE0ExNS0_10empty_typeEbEEZZNS1_14partition_implILS5_0ELb0ES3_jN6thrust23THRUST_200600_302600_NS6detail15normal_iteratorINSA_10device_ptrIxEEEEPS6_SG_NS0_5tupleIJNSA_16discard_iteratorINSA_11use_defaultEEESF_EEENSH_IJSG_SG_EEES6_PlJ7is_evenIxEEEE10hipError_tPvRmT3_T4_T5_T6_T7_T9_mT8_P12ihipStream_tbDpT10_ENKUlT_T0_E_clISt17integral_constantIbLb0EES18_IbLb1EEEEDaS14_S15_EUlS14_E_NS1_11comp_targetILNS1_3genE0ELNS1_11target_archE4294967295ELNS1_3gpuE0ELNS1_3repE0EEENS1_30default_config_static_selectorELNS0_4arch9wavefront6targetE1EEEvT1_,comdat
	.protected	_ZN7rocprim17ROCPRIM_400000_NS6detail17trampoline_kernelINS0_14default_configENS1_25partition_config_selectorILNS1_17partition_subalgoE0ExNS0_10empty_typeEbEEZZNS1_14partition_implILS5_0ELb0ES3_jN6thrust23THRUST_200600_302600_NS6detail15normal_iteratorINSA_10device_ptrIxEEEEPS6_SG_NS0_5tupleIJNSA_16discard_iteratorINSA_11use_defaultEEESF_EEENSH_IJSG_SG_EEES6_PlJ7is_evenIxEEEE10hipError_tPvRmT3_T4_T5_T6_T7_T9_mT8_P12ihipStream_tbDpT10_ENKUlT_T0_E_clISt17integral_constantIbLb0EES18_IbLb1EEEEDaS14_S15_EUlS14_E_NS1_11comp_targetILNS1_3genE0ELNS1_11target_archE4294967295ELNS1_3gpuE0ELNS1_3repE0EEENS1_30default_config_static_selectorELNS0_4arch9wavefront6targetE1EEEvT1_ ; -- Begin function _ZN7rocprim17ROCPRIM_400000_NS6detail17trampoline_kernelINS0_14default_configENS1_25partition_config_selectorILNS1_17partition_subalgoE0ExNS0_10empty_typeEbEEZZNS1_14partition_implILS5_0ELb0ES3_jN6thrust23THRUST_200600_302600_NS6detail15normal_iteratorINSA_10device_ptrIxEEEEPS6_SG_NS0_5tupleIJNSA_16discard_iteratorINSA_11use_defaultEEESF_EEENSH_IJSG_SG_EEES6_PlJ7is_evenIxEEEE10hipError_tPvRmT3_T4_T5_T6_T7_T9_mT8_P12ihipStream_tbDpT10_ENKUlT_T0_E_clISt17integral_constantIbLb0EES18_IbLb1EEEEDaS14_S15_EUlS14_E_NS1_11comp_targetILNS1_3genE0ELNS1_11target_archE4294967295ELNS1_3gpuE0ELNS1_3repE0EEENS1_30default_config_static_selectorELNS0_4arch9wavefront6targetE1EEEvT1_
	.globl	_ZN7rocprim17ROCPRIM_400000_NS6detail17trampoline_kernelINS0_14default_configENS1_25partition_config_selectorILNS1_17partition_subalgoE0ExNS0_10empty_typeEbEEZZNS1_14partition_implILS5_0ELb0ES3_jN6thrust23THRUST_200600_302600_NS6detail15normal_iteratorINSA_10device_ptrIxEEEEPS6_SG_NS0_5tupleIJNSA_16discard_iteratorINSA_11use_defaultEEESF_EEENSH_IJSG_SG_EEES6_PlJ7is_evenIxEEEE10hipError_tPvRmT3_T4_T5_T6_T7_T9_mT8_P12ihipStream_tbDpT10_ENKUlT_T0_E_clISt17integral_constantIbLb0EES18_IbLb1EEEEDaS14_S15_EUlS14_E_NS1_11comp_targetILNS1_3genE0ELNS1_11target_archE4294967295ELNS1_3gpuE0ELNS1_3repE0EEENS1_30default_config_static_selectorELNS0_4arch9wavefront6targetE1EEEvT1_
	.p2align	8
	.type	_ZN7rocprim17ROCPRIM_400000_NS6detail17trampoline_kernelINS0_14default_configENS1_25partition_config_selectorILNS1_17partition_subalgoE0ExNS0_10empty_typeEbEEZZNS1_14partition_implILS5_0ELb0ES3_jN6thrust23THRUST_200600_302600_NS6detail15normal_iteratorINSA_10device_ptrIxEEEEPS6_SG_NS0_5tupleIJNSA_16discard_iteratorINSA_11use_defaultEEESF_EEENSH_IJSG_SG_EEES6_PlJ7is_evenIxEEEE10hipError_tPvRmT3_T4_T5_T6_T7_T9_mT8_P12ihipStream_tbDpT10_ENKUlT_T0_E_clISt17integral_constantIbLb0EES18_IbLb1EEEEDaS14_S15_EUlS14_E_NS1_11comp_targetILNS1_3genE0ELNS1_11target_archE4294967295ELNS1_3gpuE0ELNS1_3repE0EEENS1_30default_config_static_selectorELNS0_4arch9wavefront6targetE1EEEvT1_,@function
_ZN7rocprim17ROCPRIM_400000_NS6detail17trampoline_kernelINS0_14default_configENS1_25partition_config_selectorILNS1_17partition_subalgoE0ExNS0_10empty_typeEbEEZZNS1_14partition_implILS5_0ELb0ES3_jN6thrust23THRUST_200600_302600_NS6detail15normal_iteratorINSA_10device_ptrIxEEEEPS6_SG_NS0_5tupleIJNSA_16discard_iteratorINSA_11use_defaultEEESF_EEENSH_IJSG_SG_EEES6_PlJ7is_evenIxEEEE10hipError_tPvRmT3_T4_T5_T6_T7_T9_mT8_P12ihipStream_tbDpT10_ENKUlT_T0_E_clISt17integral_constantIbLb0EES18_IbLb1EEEEDaS14_S15_EUlS14_E_NS1_11comp_targetILNS1_3genE0ELNS1_11target_archE4294967295ELNS1_3gpuE0ELNS1_3repE0EEENS1_30default_config_static_selectorELNS0_4arch9wavefront6targetE1EEEvT1_: ; @_ZN7rocprim17ROCPRIM_400000_NS6detail17trampoline_kernelINS0_14default_configENS1_25partition_config_selectorILNS1_17partition_subalgoE0ExNS0_10empty_typeEbEEZZNS1_14partition_implILS5_0ELb0ES3_jN6thrust23THRUST_200600_302600_NS6detail15normal_iteratorINSA_10device_ptrIxEEEEPS6_SG_NS0_5tupleIJNSA_16discard_iteratorINSA_11use_defaultEEESF_EEENSH_IJSG_SG_EEES6_PlJ7is_evenIxEEEE10hipError_tPvRmT3_T4_T5_T6_T7_T9_mT8_P12ihipStream_tbDpT10_ENKUlT_T0_E_clISt17integral_constantIbLb0EES18_IbLb1EEEEDaS14_S15_EUlS14_E_NS1_11comp_targetILNS1_3genE0ELNS1_11target_archE4294967295ELNS1_3gpuE0ELNS1_3repE0EEENS1_30default_config_static_selectorELNS0_4arch9wavefront6targetE1EEEvT1_
; %bb.0:
	.section	.rodata,"a",@progbits
	.p2align	6, 0x0
	.amdhsa_kernel _ZN7rocprim17ROCPRIM_400000_NS6detail17trampoline_kernelINS0_14default_configENS1_25partition_config_selectorILNS1_17partition_subalgoE0ExNS0_10empty_typeEbEEZZNS1_14partition_implILS5_0ELb0ES3_jN6thrust23THRUST_200600_302600_NS6detail15normal_iteratorINSA_10device_ptrIxEEEEPS6_SG_NS0_5tupleIJNSA_16discard_iteratorINSA_11use_defaultEEESF_EEENSH_IJSG_SG_EEES6_PlJ7is_evenIxEEEE10hipError_tPvRmT3_T4_T5_T6_T7_T9_mT8_P12ihipStream_tbDpT10_ENKUlT_T0_E_clISt17integral_constantIbLb0EES18_IbLb1EEEEDaS14_S15_EUlS14_E_NS1_11comp_targetILNS1_3genE0ELNS1_11target_archE4294967295ELNS1_3gpuE0ELNS1_3repE0EEENS1_30default_config_static_selectorELNS0_4arch9wavefront6targetE1EEEvT1_
		.amdhsa_group_segment_fixed_size 0
		.amdhsa_private_segment_fixed_size 0
		.amdhsa_kernarg_size 144
		.amdhsa_user_sgpr_count 6
		.amdhsa_user_sgpr_private_segment_buffer 1
		.amdhsa_user_sgpr_dispatch_ptr 0
		.amdhsa_user_sgpr_queue_ptr 0
		.amdhsa_user_sgpr_kernarg_segment_ptr 1
		.amdhsa_user_sgpr_dispatch_id 0
		.amdhsa_user_sgpr_flat_scratch_init 0
		.amdhsa_user_sgpr_kernarg_preload_length 0
		.amdhsa_user_sgpr_kernarg_preload_offset 0
		.amdhsa_user_sgpr_private_segment_size 0
		.amdhsa_uses_dynamic_stack 0
		.amdhsa_system_sgpr_private_segment_wavefront_offset 0
		.amdhsa_system_sgpr_workgroup_id_x 1
		.amdhsa_system_sgpr_workgroup_id_y 0
		.amdhsa_system_sgpr_workgroup_id_z 0
		.amdhsa_system_sgpr_workgroup_info 0
		.amdhsa_system_vgpr_workitem_id 0
		.amdhsa_next_free_vgpr 1
		.amdhsa_next_free_sgpr 0
		.amdhsa_accum_offset 4
		.amdhsa_reserve_vcc 0
		.amdhsa_reserve_flat_scratch 0
		.amdhsa_float_round_mode_32 0
		.amdhsa_float_round_mode_16_64 0
		.amdhsa_float_denorm_mode_32 3
		.amdhsa_float_denorm_mode_16_64 3
		.amdhsa_dx10_clamp 1
		.amdhsa_ieee_mode 1
		.amdhsa_fp16_overflow 0
		.amdhsa_tg_split 0
		.amdhsa_exception_fp_ieee_invalid_op 0
		.amdhsa_exception_fp_denorm_src 0
		.amdhsa_exception_fp_ieee_div_zero 0
		.amdhsa_exception_fp_ieee_overflow 0
		.amdhsa_exception_fp_ieee_underflow 0
		.amdhsa_exception_fp_ieee_inexact 0
		.amdhsa_exception_int_div_zero 0
	.end_amdhsa_kernel
	.section	.text._ZN7rocprim17ROCPRIM_400000_NS6detail17trampoline_kernelINS0_14default_configENS1_25partition_config_selectorILNS1_17partition_subalgoE0ExNS0_10empty_typeEbEEZZNS1_14partition_implILS5_0ELb0ES3_jN6thrust23THRUST_200600_302600_NS6detail15normal_iteratorINSA_10device_ptrIxEEEEPS6_SG_NS0_5tupleIJNSA_16discard_iteratorINSA_11use_defaultEEESF_EEENSH_IJSG_SG_EEES6_PlJ7is_evenIxEEEE10hipError_tPvRmT3_T4_T5_T6_T7_T9_mT8_P12ihipStream_tbDpT10_ENKUlT_T0_E_clISt17integral_constantIbLb0EES18_IbLb1EEEEDaS14_S15_EUlS14_E_NS1_11comp_targetILNS1_3genE0ELNS1_11target_archE4294967295ELNS1_3gpuE0ELNS1_3repE0EEENS1_30default_config_static_selectorELNS0_4arch9wavefront6targetE1EEEvT1_,"axG",@progbits,_ZN7rocprim17ROCPRIM_400000_NS6detail17trampoline_kernelINS0_14default_configENS1_25partition_config_selectorILNS1_17partition_subalgoE0ExNS0_10empty_typeEbEEZZNS1_14partition_implILS5_0ELb0ES3_jN6thrust23THRUST_200600_302600_NS6detail15normal_iteratorINSA_10device_ptrIxEEEEPS6_SG_NS0_5tupleIJNSA_16discard_iteratorINSA_11use_defaultEEESF_EEENSH_IJSG_SG_EEES6_PlJ7is_evenIxEEEE10hipError_tPvRmT3_T4_T5_T6_T7_T9_mT8_P12ihipStream_tbDpT10_ENKUlT_T0_E_clISt17integral_constantIbLb0EES18_IbLb1EEEEDaS14_S15_EUlS14_E_NS1_11comp_targetILNS1_3genE0ELNS1_11target_archE4294967295ELNS1_3gpuE0ELNS1_3repE0EEENS1_30default_config_static_selectorELNS0_4arch9wavefront6targetE1EEEvT1_,comdat
.Lfunc_end2675:
	.size	_ZN7rocprim17ROCPRIM_400000_NS6detail17trampoline_kernelINS0_14default_configENS1_25partition_config_selectorILNS1_17partition_subalgoE0ExNS0_10empty_typeEbEEZZNS1_14partition_implILS5_0ELb0ES3_jN6thrust23THRUST_200600_302600_NS6detail15normal_iteratorINSA_10device_ptrIxEEEEPS6_SG_NS0_5tupleIJNSA_16discard_iteratorINSA_11use_defaultEEESF_EEENSH_IJSG_SG_EEES6_PlJ7is_evenIxEEEE10hipError_tPvRmT3_T4_T5_T6_T7_T9_mT8_P12ihipStream_tbDpT10_ENKUlT_T0_E_clISt17integral_constantIbLb0EES18_IbLb1EEEEDaS14_S15_EUlS14_E_NS1_11comp_targetILNS1_3genE0ELNS1_11target_archE4294967295ELNS1_3gpuE0ELNS1_3repE0EEENS1_30default_config_static_selectorELNS0_4arch9wavefront6targetE1EEEvT1_, .Lfunc_end2675-_ZN7rocprim17ROCPRIM_400000_NS6detail17trampoline_kernelINS0_14default_configENS1_25partition_config_selectorILNS1_17partition_subalgoE0ExNS0_10empty_typeEbEEZZNS1_14partition_implILS5_0ELb0ES3_jN6thrust23THRUST_200600_302600_NS6detail15normal_iteratorINSA_10device_ptrIxEEEEPS6_SG_NS0_5tupleIJNSA_16discard_iteratorINSA_11use_defaultEEESF_EEENSH_IJSG_SG_EEES6_PlJ7is_evenIxEEEE10hipError_tPvRmT3_T4_T5_T6_T7_T9_mT8_P12ihipStream_tbDpT10_ENKUlT_T0_E_clISt17integral_constantIbLb0EES18_IbLb1EEEEDaS14_S15_EUlS14_E_NS1_11comp_targetILNS1_3genE0ELNS1_11target_archE4294967295ELNS1_3gpuE0ELNS1_3repE0EEENS1_30default_config_static_selectorELNS0_4arch9wavefront6targetE1EEEvT1_
                                        ; -- End function
	.section	.AMDGPU.csdata,"",@progbits
; Kernel info:
; codeLenInByte = 0
; NumSgprs: 4
; NumVgprs: 0
; NumAgprs: 0
; TotalNumVgprs: 0
; ScratchSize: 0
; MemoryBound: 0
; FloatMode: 240
; IeeeMode: 1
; LDSByteSize: 0 bytes/workgroup (compile time only)
; SGPRBlocks: 0
; VGPRBlocks: 0
; NumSGPRsForWavesPerEU: 4
; NumVGPRsForWavesPerEU: 1
; AccumOffset: 4
; Occupancy: 8
; WaveLimiterHint : 0
; COMPUTE_PGM_RSRC2:SCRATCH_EN: 0
; COMPUTE_PGM_RSRC2:USER_SGPR: 6
; COMPUTE_PGM_RSRC2:TRAP_HANDLER: 0
; COMPUTE_PGM_RSRC2:TGID_X_EN: 1
; COMPUTE_PGM_RSRC2:TGID_Y_EN: 0
; COMPUTE_PGM_RSRC2:TGID_Z_EN: 0
; COMPUTE_PGM_RSRC2:TIDIG_COMP_CNT: 0
; COMPUTE_PGM_RSRC3_GFX90A:ACCUM_OFFSET: 0
; COMPUTE_PGM_RSRC3_GFX90A:TG_SPLIT: 0
	.section	.text._ZN7rocprim17ROCPRIM_400000_NS6detail17trampoline_kernelINS0_14default_configENS1_25partition_config_selectorILNS1_17partition_subalgoE0ExNS0_10empty_typeEbEEZZNS1_14partition_implILS5_0ELb0ES3_jN6thrust23THRUST_200600_302600_NS6detail15normal_iteratorINSA_10device_ptrIxEEEEPS6_SG_NS0_5tupleIJNSA_16discard_iteratorINSA_11use_defaultEEESF_EEENSH_IJSG_SG_EEES6_PlJ7is_evenIxEEEE10hipError_tPvRmT3_T4_T5_T6_T7_T9_mT8_P12ihipStream_tbDpT10_ENKUlT_T0_E_clISt17integral_constantIbLb0EES18_IbLb1EEEEDaS14_S15_EUlS14_E_NS1_11comp_targetILNS1_3genE5ELNS1_11target_archE942ELNS1_3gpuE9ELNS1_3repE0EEENS1_30default_config_static_selectorELNS0_4arch9wavefront6targetE1EEEvT1_,"axG",@progbits,_ZN7rocprim17ROCPRIM_400000_NS6detail17trampoline_kernelINS0_14default_configENS1_25partition_config_selectorILNS1_17partition_subalgoE0ExNS0_10empty_typeEbEEZZNS1_14partition_implILS5_0ELb0ES3_jN6thrust23THRUST_200600_302600_NS6detail15normal_iteratorINSA_10device_ptrIxEEEEPS6_SG_NS0_5tupleIJNSA_16discard_iteratorINSA_11use_defaultEEESF_EEENSH_IJSG_SG_EEES6_PlJ7is_evenIxEEEE10hipError_tPvRmT3_T4_T5_T6_T7_T9_mT8_P12ihipStream_tbDpT10_ENKUlT_T0_E_clISt17integral_constantIbLb0EES18_IbLb1EEEEDaS14_S15_EUlS14_E_NS1_11comp_targetILNS1_3genE5ELNS1_11target_archE942ELNS1_3gpuE9ELNS1_3repE0EEENS1_30default_config_static_selectorELNS0_4arch9wavefront6targetE1EEEvT1_,comdat
	.protected	_ZN7rocprim17ROCPRIM_400000_NS6detail17trampoline_kernelINS0_14default_configENS1_25partition_config_selectorILNS1_17partition_subalgoE0ExNS0_10empty_typeEbEEZZNS1_14partition_implILS5_0ELb0ES3_jN6thrust23THRUST_200600_302600_NS6detail15normal_iteratorINSA_10device_ptrIxEEEEPS6_SG_NS0_5tupleIJNSA_16discard_iteratorINSA_11use_defaultEEESF_EEENSH_IJSG_SG_EEES6_PlJ7is_evenIxEEEE10hipError_tPvRmT3_T4_T5_T6_T7_T9_mT8_P12ihipStream_tbDpT10_ENKUlT_T0_E_clISt17integral_constantIbLb0EES18_IbLb1EEEEDaS14_S15_EUlS14_E_NS1_11comp_targetILNS1_3genE5ELNS1_11target_archE942ELNS1_3gpuE9ELNS1_3repE0EEENS1_30default_config_static_selectorELNS0_4arch9wavefront6targetE1EEEvT1_ ; -- Begin function _ZN7rocprim17ROCPRIM_400000_NS6detail17trampoline_kernelINS0_14default_configENS1_25partition_config_selectorILNS1_17partition_subalgoE0ExNS0_10empty_typeEbEEZZNS1_14partition_implILS5_0ELb0ES3_jN6thrust23THRUST_200600_302600_NS6detail15normal_iteratorINSA_10device_ptrIxEEEEPS6_SG_NS0_5tupleIJNSA_16discard_iteratorINSA_11use_defaultEEESF_EEENSH_IJSG_SG_EEES6_PlJ7is_evenIxEEEE10hipError_tPvRmT3_T4_T5_T6_T7_T9_mT8_P12ihipStream_tbDpT10_ENKUlT_T0_E_clISt17integral_constantIbLb0EES18_IbLb1EEEEDaS14_S15_EUlS14_E_NS1_11comp_targetILNS1_3genE5ELNS1_11target_archE942ELNS1_3gpuE9ELNS1_3repE0EEENS1_30default_config_static_selectorELNS0_4arch9wavefront6targetE1EEEvT1_
	.globl	_ZN7rocprim17ROCPRIM_400000_NS6detail17trampoline_kernelINS0_14default_configENS1_25partition_config_selectorILNS1_17partition_subalgoE0ExNS0_10empty_typeEbEEZZNS1_14partition_implILS5_0ELb0ES3_jN6thrust23THRUST_200600_302600_NS6detail15normal_iteratorINSA_10device_ptrIxEEEEPS6_SG_NS0_5tupleIJNSA_16discard_iteratorINSA_11use_defaultEEESF_EEENSH_IJSG_SG_EEES6_PlJ7is_evenIxEEEE10hipError_tPvRmT3_T4_T5_T6_T7_T9_mT8_P12ihipStream_tbDpT10_ENKUlT_T0_E_clISt17integral_constantIbLb0EES18_IbLb1EEEEDaS14_S15_EUlS14_E_NS1_11comp_targetILNS1_3genE5ELNS1_11target_archE942ELNS1_3gpuE9ELNS1_3repE0EEENS1_30default_config_static_selectorELNS0_4arch9wavefront6targetE1EEEvT1_
	.p2align	8
	.type	_ZN7rocprim17ROCPRIM_400000_NS6detail17trampoline_kernelINS0_14default_configENS1_25partition_config_selectorILNS1_17partition_subalgoE0ExNS0_10empty_typeEbEEZZNS1_14partition_implILS5_0ELb0ES3_jN6thrust23THRUST_200600_302600_NS6detail15normal_iteratorINSA_10device_ptrIxEEEEPS6_SG_NS0_5tupleIJNSA_16discard_iteratorINSA_11use_defaultEEESF_EEENSH_IJSG_SG_EEES6_PlJ7is_evenIxEEEE10hipError_tPvRmT3_T4_T5_T6_T7_T9_mT8_P12ihipStream_tbDpT10_ENKUlT_T0_E_clISt17integral_constantIbLb0EES18_IbLb1EEEEDaS14_S15_EUlS14_E_NS1_11comp_targetILNS1_3genE5ELNS1_11target_archE942ELNS1_3gpuE9ELNS1_3repE0EEENS1_30default_config_static_selectorELNS0_4arch9wavefront6targetE1EEEvT1_,@function
_ZN7rocprim17ROCPRIM_400000_NS6detail17trampoline_kernelINS0_14default_configENS1_25partition_config_selectorILNS1_17partition_subalgoE0ExNS0_10empty_typeEbEEZZNS1_14partition_implILS5_0ELb0ES3_jN6thrust23THRUST_200600_302600_NS6detail15normal_iteratorINSA_10device_ptrIxEEEEPS6_SG_NS0_5tupleIJNSA_16discard_iteratorINSA_11use_defaultEEESF_EEENSH_IJSG_SG_EEES6_PlJ7is_evenIxEEEE10hipError_tPvRmT3_T4_T5_T6_T7_T9_mT8_P12ihipStream_tbDpT10_ENKUlT_T0_E_clISt17integral_constantIbLb0EES18_IbLb1EEEEDaS14_S15_EUlS14_E_NS1_11comp_targetILNS1_3genE5ELNS1_11target_archE942ELNS1_3gpuE9ELNS1_3repE0EEENS1_30default_config_static_selectorELNS0_4arch9wavefront6targetE1EEEvT1_: ; @_ZN7rocprim17ROCPRIM_400000_NS6detail17trampoline_kernelINS0_14default_configENS1_25partition_config_selectorILNS1_17partition_subalgoE0ExNS0_10empty_typeEbEEZZNS1_14partition_implILS5_0ELb0ES3_jN6thrust23THRUST_200600_302600_NS6detail15normal_iteratorINSA_10device_ptrIxEEEEPS6_SG_NS0_5tupleIJNSA_16discard_iteratorINSA_11use_defaultEEESF_EEENSH_IJSG_SG_EEES6_PlJ7is_evenIxEEEE10hipError_tPvRmT3_T4_T5_T6_T7_T9_mT8_P12ihipStream_tbDpT10_ENKUlT_T0_E_clISt17integral_constantIbLb0EES18_IbLb1EEEEDaS14_S15_EUlS14_E_NS1_11comp_targetILNS1_3genE5ELNS1_11target_archE942ELNS1_3gpuE9ELNS1_3repE0EEENS1_30default_config_static_selectorELNS0_4arch9wavefront6targetE1EEEvT1_
; %bb.0:
	.section	.rodata,"a",@progbits
	.p2align	6, 0x0
	.amdhsa_kernel _ZN7rocprim17ROCPRIM_400000_NS6detail17trampoline_kernelINS0_14default_configENS1_25partition_config_selectorILNS1_17partition_subalgoE0ExNS0_10empty_typeEbEEZZNS1_14partition_implILS5_0ELb0ES3_jN6thrust23THRUST_200600_302600_NS6detail15normal_iteratorINSA_10device_ptrIxEEEEPS6_SG_NS0_5tupleIJNSA_16discard_iteratorINSA_11use_defaultEEESF_EEENSH_IJSG_SG_EEES6_PlJ7is_evenIxEEEE10hipError_tPvRmT3_T4_T5_T6_T7_T9_mT8_P12ihipStream_tbDpT10_ENKUlT_T0_E_clISt17integral_constantIbLb0EES18_IbLb1EEEEDaS14_S15_EUlS14_E_NS1_11comp_targetILNS1_3genE5ELNS1_11target_archE942ELNS1_3gpuE9ELNS1_3repE0EEENS1_30default_config_static_selectorELNS0_4arch9wavefront6targetE1EEEvT1_
		.amdhsa_group_segment_fixed_size 0
		.amdhsa_private_segment_fixed_size 0
		.amdhsa_kernarg_size 144
		.amdhsa_user_sgpr_count 6
		.amdhsa_user_sgpr_private_segment_buffer 1
		.amdhsa_user_sgpr_dispatch_ptr 0
		.amdhsa_user_sgpr_queue_ptr 0
		.amdhsa_user_sgpr_kernarg_segment_ptr 1
		.amdhsa_user_sgpr_dispatch_id 0
		.amdhsa_user_sgpr_flat_scratch_init 0
		.amdhsa_user_sgpr_kernarg_preload_length 0
		.amdhsa_user_sgpr_kernarg_preload_offset 0
		.amdhsa_user_sgpr_private_segment_size 0
		.amdhsa_uses_dynamic_stack 0
		.amdhsa_system_sgpr_private_segment_wavefront_offset 0
		.amdhsa_system_sgpr_workgroup_id_x 1
		.amdhsa_system_sgpr_workgroup_id_y 0
		.amdhsa_system_sgpr_workgroup_id_z 0
		.amdhsa_system_sgpr_workgroup_info 0
		.amdhsa_system_vgpr_workitem_id 0
		.amdhsa_next_free_vgpr 1
		.amdhsa_next_free_sgpr 0
		.amdhsa_accum_offset 4
		.amdhsa_reserve_vcc 0
		.amdhsa_reserve_flat_scratch 0
		.amdhsa_float_round_mode_32 0
		.amdhsa_float_round_mode_16_64 0
		.amdhsa_float_denorm_mode_32 3
		.amdhsa_float_denorm_mode_16_64 3
		.amdhsa_dx10_clamp 1
		.amdhsa_ieee_mode 1
		.amdhsa_fp16_overflow 0
		.amdhsa_tg_split 0
		.amdhsa_exception_fp_ieee_invalid_op 0
		.amdhsa_exception_fp_denorm_src 0
		.amdhsa_exception_fp_ieee_div_zero 0
		.amdhsa_exception_fp_ieee_overflow 0
		.amdhsa_exception_fp_ieee_underflow 0
		.amdhsa_exception_fp_ieee_inexact 0
		.amdhsa_exception_int_div_zero 0
	.end_amdhsa_kernel
	.section	.text._ZN7rocprim17ROCPRIM_400000_NS6detail17trampoline_kernelINS0_14default_configENS1_25partition_config_selectorILNS1_17partition_subalgoE0ExNS0_10empty_typeEbEEZZNS1_14partition_implILS5_0ELb0ES3_jN6thrust23THRUST_200600_302600_NS6detail15normal_iteratorINSA_10device_ptrIxEEEEPS6_SG_NS0_5tupleIJNSA_16discard_iteratorINSA_11use_defaultEEESF_EEENSH_IJSG_SG_EEES6_PlJ7is_evenIxEEEE10hipError_tPvRmT3_T4_T5_T6_T7_T9_mT8_P12ihipStream_tbDpT10_ENKUlT_T0_E_clISt17integral_constantIbLb0EES18_IbLb1EEEEDaS14_S15_EUlS14_E_NS1_11comp_targetILNS1_3genE5ELNS1_11target_archE942ELNS1_3gpuE9ELNS1_3repE0EEENS1_30default_config_static_selectorELNS0_4arch9wavefront6targetE1EEEvT1_,"axG",@progbits,_ZN7rocprim17ROCPRIM_400000_NS6detail17trampoline_kernelINS0_14default_configENS1_25partition_config_selectorILNS1_17partition_subalgoE0ExNS0_10empty_typeEbEEZZNS1_14partition_implILS5_0ELb0ES3_jN6thrust23THRUST_200600_302600_NS6detail15normal_iteratorINSA_10device_ptrIxEEEEPS6_SG_NS0_5tupleIJNSA_16discard_iteratorINSA_11use_defaultEEESF_EEENSH_IJSG_SG_EEES6_PlJ7is_evenIxEEEE10hipError_tPvRmT3_T4_T5_T6_T7_T9_mT8_P12ihipStream_tbDpT10_ENKUlT_T0_E_clISt17integral_constantIbLb0EES18_IbLb1EEEEDaS14_S15_EUlS14_E_NS1_11comp_targetILNS1_3genE5ELNS1_11target_archE942ELNS1_3gpuE9ELNS1_3repE0EEENS1_30default_config_static_selectorELNS0_4arch9wavefront6targetE1EEEvT1_,comdat
.Lfunc_end2676:
	.size	_ZN7rocprim17ROCPRIM_400000_NS6detail17trampoline_kernelINS0_14default_configENS1_25partition_config_selectorILNS1_17partition_subalgoE0ExNS0_10empty_typeEbEEZZNS1_14partition_implILS5_0ELb0ES3_jN6thrust23THRUST_200600_302600_NS6detail15normal_iteratorINSA_10device_ptrIxEEEEPS6_SG_NS0_5tupleIJNSA_16discard_iteratorINSA_11use_defaultEEESF_EEENSH_IJSG_SG_EEES6_PlJ7is_evenIxEEEE10hipError_tPvRmT3_T4_T5_T6_T7_T9_mT8_P12ihipStream_tbDpT10_ENKUlT_T0_E_clISt17integral_constantIbLb0EES18_IbLb1EEEEDaS14_S15_EUlS14_E_NS1_11comp_targetILNS1_3genE5ELNS1_11target_archE942ELNS1_3gpuE9ELNS1_3repE0EEENS1_30default_config_static_selectorELNS0_4arch9wavefront6targetE1EEEvT1_, .Lfunc_end2676-_ZN7rocprim17ROCPRIM_400000_NS6detail17trampoline_kernelINS0_14default_configENS1_25partition_config_selectorILNS1_17partition_subalgoE0ExNS0_10empty_typeEbEEZZNS1_14partition_implILS5_0ELb0ES3_jN6thrust23THRUST_200600_302600_NS6detail15normal_iteratorINSA_10device_ptrIxEEEEPS6_SG_NS0_5tupleIJNSA_16discard_iteratorINSA_11use_defaultEEESF_EEENSH_IJSG_SG_EEES6_PlJ7is_evenIxEEEE10hipError_tPvRmT3_T4_T5_T6_T7_T9_mT8_P12ihipStream_tbDpT10_ENKUlT_T0_E_clISt17integral_constantIbLb0EES18_IbLb1EEEEDaS14_S15_EUlS14_E_NS1_11comp_targetILNS1_3genE5ELNS1_11target_archE942ELNS1_3gpuE9ELNS1_3repE0EEENS1_30default_config_static_selectorELNS0_4arch9wavefront6targetE1EEEvT1_
                                        ; -- End function
	.section	.AMDGPU.csdata,"",@progbits
; Kernel info:
; codeLenInByte = 0
; NumSgprs: 4
; NumVgprs: 0
; NumAgprs: 0
; TotalNumVgprs: 0
; ScratchSize: 0
; MemoryBound: 0
; FloatMode: 240
; IeeeMode: 1
; LDSByteSize: 0 bytes/workgroup (compile time only)
; SGPRBlocks: 0
; VGPRBlocks: 0
; NumSGPRsForWavesPerEU: 4
; NumVGPRsForWavesPerEU: 1
; AccumOffset: 4
; Occupancy: 8
; WaveLimiterHint : 0
; COMPUTE_PGM_RSRC2:SCRATCH_EN: 0
; COMPUTE_PGM_RSRC2:USER_SGPR: 6
; COMPUTE_PGM_RSRC2:TRAP_HANDLER: 0
; COMPUTE_PGM_RSRC2:TGID_X_EN: 1
; COMPUTE_PGM_RSRC2:TGID_Y_EN: 0
; COMPUTE_PGM_RSRC2:TGID_Z_EN: 0
; COMPUTE_PGM_RSRC2:TIDIG_COMP_CNT: 0
; COMPUTE_PGM_RSRC3_GFX90A:ACCUM_OFFSET: 0
; COMPUTE_PGM_RSRC3_GFX90A:TG_SPLIT: 0
	.section	.text._ZN7rocprim17ROCPRIM_400000_NS6detail17trampoline_kernelINS0_14default_configENS1_25partition_config_selectorILNS1_17partition_subalgoE0ExNS0_10empty_typeEbEEZZNS1_14partition_implILS5_0ELb0ES3_jN6thrust23THRUST_200600_302600_NS6detail15normal_iteratorINSA_10device_ptrIxEEEEPS6_SG_NS0_5tupleIJNSA_16discard_iteratorINSA_11use_defaultEEESF_EEENSH_IJSG_SG_EEES6_PlJ7is_evenIxEEEE10hipError_tPvRmT3_T4_T5_T6_T7_T9_mT8_P12ihipStream_tbDpT10_ENKUlT_T0_E_clISt17integral_constantIbLb0EES18_IbLb1EEEEDaS14_S15_EUlS14_E_NS1_11comp_targetILNS1_3genE4ELNS1_11target_archE910ELNS1_3gpuE8ELNS1_3repE0EEENS1_30default_config_static_selectorELNS0_4arch9wavefront6targetE1EEEvT1_,"axG",@progbits,_ZN7rocprim17ROCPRIM_400000_NS6detail17trampoline_kernelINS0_14default_configENS1_25partition_config_selectorILNS1_17partition_subalgoE0ExNS0_10empty_typeEbEEZZNS1_14partition_implILS5_0ELb0ES3_jN6thrust23THRUST_200600_302600_NS6detail15normal_iteratorINSA_10device_ptrIxEEEEPS6_SG_NS0_5tupleIJNSA_16discard_iteratorINSA_11use_defaultEEESF_EEENSH_IJSG_SG_EEES6_PlJ7is_evenIxEEEE10hipError_tPvRmT3_T4_T5_T6_T7_T9_mT8_P12ihipStream_tbDpT10_ENKUlT_T0_E_clISt17integral_constantIbLb0EES18_IbLb1EEEEDaS14_S15_EUlS14_E_NS1_11comp_targetILNS1_3genE4ELNS1_11target_archE910ELNS1_3gpuE8ELNS1_3repE0EEENS1_30default_config_static_selectorELNS0_4arch9wavefront6targetE1EEEvT1_,comdat
	.protected	_ZN7rocprim17ROCPRIM_400000_NS6detail17trampoline_kernelINS0_14default_configENS1_25partition_config_selectorILNS1_17partition_subalgoE0ExNS0_10empty_typeEbEEZZNS1_14partition_implILS5_0ELb0ES3_jN6thrust23THRUST_200600_302600_NS6detail15normal_iteratorINSA_10device_ptrIxEEEEPS6_SG_NS0_5tupleIJNSA_16discard_iteratorINSA_11use_defaultEEESF_EEENSH_IJSG_SG_EEES6_PlJ7is_evenIxEEEE10hipError_tPvRmT3_T4_T5_T6_T7_T9_mT8_P12ihipStream_tbDpT10_ENKUlT_T0_E_clISt17integral_constantIbLb0EES18_IbLb1EEEEDaS14_S15_EUlS14_E_NS1_11comp_targetILNS1_3genE4ELNS1_11target_archE910ELNS1_3gpuE8ELNS1_3repE0EEENS1_30default_config_static_selectorELNS0_4arch9wavefront6targetE1EEEvT1_ ; -- Begin function _ZN7rocprim17ROCPRIM_400000_NS6detail17trampoline_kernelINS0_14default_configENS1_25partition_config_selectorILNS1_17partition_subalgoE0ExNS0_10empty_typeEbEEZZNS1_14partition_implILS5_0ELb0ES3_jN6thrust23THRUST_200600_302600_NS6detail15normal_iteratorINSA_10device_ptrIxEEEEPS6_SG_NS0_5tupleIJNSA_16discard_iteratorINSA_11use_defaultEEESF_EEENSH_IJSG_SG_EEES6_PlJ7is_evenIxEEEE10hipError_tPvRmT3_T4_T5_T6_T7_T9_mT8_P12ihipStream_tbDpT10_ENKUlT_T0_E_clISt17integral_constantIbLb0EES18_IbLb1EEEEDaS14_S15_EUlS14_E_NS1_11comp_targetILNS1_3genE4ELNS1_11target_archE910ELNS1_3gpuE8ELNS1_3repE0EEENS1_30default_config_static_selectorELNS0_4arch9wavefront6targetE1EEEvT1_
	.globl	_ZN7rocprim17ROCPRIM_400000_NS6detail17trampoline_kernelINS0_14default_configENS1_25partition_config_selectorILNS1_17partition_subalgoE0ExNS0_10empty_typeEbEEZZNS1_14partition_implILS5_0ELb0ES3_jN6thrust23THRUST_200600_302600_NS6detail15normal_iteratorINSA_10device_ptrIxEEEEPS6_SG_NS0_5tupleIJNSA_16discard_iteratorINSA_11use_defaultEEESF_EEENSH_IJSG_SG_EEES6_PlJ7is_evenIxEEEE10hipError_tPvRmT3_T4_T5_T6_T7_T9_mT8_P12ihipStream_tbDpT10_ENKUlT_T0_E_clISt17integral_constantIbLb0EES18_IbLb1EEEEDaS14_S15_EUlS14_E_NS1_11comp_targetILNS1_3genE4ELNS1_11target_archE910ELNS1_3gpuE8ELNS1_3repE0EEENS1_30default_config_static_selectorELNS0_4arch9wavefront6targetE1EEEvT1_
	.p2align	8
	.type	_ZN7rocprim17ROCPRIM_400000_NS6detail17trampoline_kernelINS0_14default_configENS1_25partition_config_selectorILNS1_17partition_subalgoE0ExNS0_10empty_typeEbEEZZNS1_14partition_implILS5_0ELb0ES3_jN6thrust23THRUST_200600_302600_NS6detail15normal_iteratorINSA_10device_ptrIxEEEEPS6_SG_NS0_5tupleIJNSA_16discard_iteratorINSA_11use_defaultEEESF_EEENSH_IJSG_SG_EEES6_PlJ7is_evenIxEEEE10hipError_tPvRmT3_T4_T5_T6_T7_T9_mT8_P12ihipStream_tbDpT10_ENKUlT_T0_E_clISt17integral_constantIbLb0EES18_IbLb1EEEEDaS14_S15_EUlS14_E_NS1_11comp_targetILNS1_3genE4ELNS1_11target_archE910ELNS1_3gpuE8ELNS1_3repE0EEENS1_30default_config_static_selectorELNS0_4arch9wavefront6targetE1EEEvT1_,@function
_ZN7rocprim17ROCPRIM_400000_NS6detail17trampoline_kernelINS0_14default_configENS1_25partition_config_selectorILNS1_17partition_subalgoE0ExNS0_10empty_typeEbEEZZNS1_14partition_implILS5_0ELb0ES3_jN6thrust23THRUST_200600_302600_NS6detail15normal_iteratorINSA_10device_ptrIxEEEEPS6_SG_NS0_5tupleIJNSA_16discard_iteratorINSA_11use_defaultEEESF_EEENSH_IJSG_SG_EEES6_PlJ7is_evenIxEEEE10hipError_tPvRmT3_T4_T5_T6_T7_T9_mT8_P12ihipStream_tbDpT10_ENKUlT_T0_E_clISt17integral_constantIbLb0EES18_IbLb1EEEEDaS14_S15_EUlS14_E_NS1_11comp_targetILNS1_3genE4ELNS1_11target_archE910ELNS1_3gpuE8ELNS1_3repE0EEENS1_30default_config_static_selectorELNS0_4arch9wavefront6targetE1EEEvT1_: ; @_ZN7rocprim17ROCPRIM_400000_NS6detail17trampoline_kernelINS0_14default_configENS1_25partition_config_selectorILNS1_17partition_subalgoE0ExNS0_10empty_typeEbEEZZNS1_14partition_implILS5_0ELb0ES3_jN6thrust23THRUST_200600_302600_NS6detail15normal_iteratorINSA_10device_ptrIxEEEEPS6_SG_NS0_5tupleIJNSA_16discard_iteratorINSA_11use_defaultEEESF_EEENSH_IJSG_SG_EEES6_PlJ7is_evenIxEEEE10hipError_tPvRmT3_T4_T5_T6_T7_T9_mT8_P12ihipStream_tbDpT10_ENKUlT_T0_E_clISt17integral_constantIbLb0EES18_IbLb1EEEEDaS14_S15_EUlS14_E_NS1_11comp_targetILNS1_3genE4ELNS1_11target_archE910ELNS1_3gpuE8ELNS1_3repE0EEENS1_30default_config_static_selectorELNS0_4arch9wavefront6targetE1EEEvT1_
; %bb.0:
	s_load_dwordx2 s[28:29], s[4:5], 0x38
	s_load_dwordx4 s[20:23], s[4:5], 0x50
	s_load_dwordx2 s[2:3], s[4:5], 0x60
	s_load_dwordx2 s[30:31], s[4:5], 0x70
	v_cmp_eq_u32_e64 s[0:1], 0, v0
	s_and_saveexec_b64 s[6:7], s[0:1]
	s_cbranch_execz .LBB2677_4
; %bb.1:
	s_mov_b64 s[10:11], exec
	v_mbcnt_lo_u32_b32 v1, s10, 0
	v_mbcnt_hi_u32_b32 v1, s11, v1
	v_cmp_eq_u32_e32 vcc, 0, v1
                                        ; implicit-def: $vgpr2
	s_and_saveexec_b64 s[8:9], vcc
	s_cbranch_execz .LBB2677_3
; %bb.2:
	s_load_dwordx2 s[12:13], s[4:5], 0x80
	s_bcnt1_i32_b64 s10, s[10:11]
	v_mov_b32_e32 v2, 0
	v_mov_b32_e32 v3, s10
	s_waitcnt lgkmcnt(0)
	global_atomic_add v2, v2, v3, s[12:13] glc
.LBB2677_3:
	s_or_b64 exec, exec, s[8:9]
	s_waitcnt vmcnt(0)
	v_readfirstlane_b32 s8, v2
	v_add_u32_e32 v1, s8, v1
	v_mov_b32_e32 v2, 0
	ds_write_b32 v2, v1
.LBB2677_4:
	s_or_b64 exec, exec, s[6:7]
	v_mov_b32_e32 v3, 0
	s_load_dwordx4 s[24:27], s[4:5], 0x8
	s_load_dword s6, s[4:5], 0x78
	s_waitcnt lgkmcnt(0)
	s_barrier
	ds_read_b32 v1, v3
	s_waitcnt lgkmcnt(0)
	s_barrier
	global_load_dwordx2 v[10:11], v3, s[22:23]
	v_mov_b32_e32 v5, s3
	s_lshl_b64 s[4:5], s[26:27], 3
	s_movk_i32 s3, 0x300
	s_add_u32 s7, s24, s4
	v_mul_lo_u32 v2, v1, s3
	s_mul_i32 s3, s6, 0x300
	s_addc_u32 s8, s25, s5
	s_add_i32 s5, s3, s26
	s_sub_i32 s33, s2, s5
	s_add_i32 s4, s6, -1
	s_addk_i32 s33, 0x300
	v_mov_b32_e32 v4, s2
	s_add_u32 s2, s26, s3
	v_readfirstlane_b32 s38, v1
	s_addc_u32 s3, s27, 0
	s_cmp_eq_u32 s38, s4
	s_cselect_b64 s[22:23], -1, 0
	s_cmp_lg_u32 s38, s4
	v_cmp_lt_u64_e32 vcc, s[2:3], v[4:5]
	s_cselect_b64 s[2:3], -1, 0
	v_lshlrev_b64 v[12:13], 3, v[2:3]
	s_or_b64 s[4:5], vcc, s[2:3]
	v_mov_b32_e32 v1, s8
	v_add_co_u32_e32 v14, vcc, s7, v12
	v_addc_co_u32_e32 v15, vcc, v1, v13, vcc
	s_mov_b64 s[2:3], -1
	s_and_b64 vcc, exec, s[4:5]
	v_lshlrev_b32_e32 v24, 3, v0
	v_lshrrev_b32_e32 v1, 2, v0
	s_cbranch_vccz .LBB2677_6
; %bb.5:
	v_add_co_u32_e32 v2, vcc, v14, v24
	v_addc_co_u32_e32 v3, vcc, 0, v15, vcc
	v_add_co_u32_e32 v4, vcc, 0x1000, v2
	v_addc_co_u32_e32 v5, vcc, 0, v3, vcc
	flat_load_dwordx2 v[6:7], v[2:3]
	flat_load_dwordx2 v[8:9], v[2:3] offset:1536
	flat_load_dwordx2 v[16:17], v[2:3] offset:3072
	;; [unrolled: 1-line block ×3, first 2 shown]
	v_add_u32_e32 v3, 0xc0, v0
	v_add_u32_e32 v4, 0x180, v0
	;; [unrolled: 1-line block ×3, first 2 shown]
	v_and_b32_e32 v2, 56, v1
	v_lshrrev_b32_e32 v3, 2, v3
	v_lshrrev_b32_e32 v4, 2, v4
	;; [unrolled: 1-line block ×3, first 2 shown]
	v_add_u32_e32 v2, v2, v24
	v_and_b32_e32 v3, 0x78, v3
	v_and_b32_e32 v4, 0xf8, v4
	;; [unrolled: 1-line block ×3, first 2 shown]
	v_add_u32_e32 v3, v3, v24
	v_add_u32_e32 v4, v4, v24
	;; [unrolled: 1-line block ×3, first 2 shown]
	s_mov_b64 s[2:3], 0
	s_waitcnt vmcnt(0) lgkmcnt(0)
	ds_write_b64 v2, v[6:7]
	ds_write_b64 v3, v[8:9] offset:1536
	ds_write_b64 v4, v[16:17] offset:3072
	;; [unrolled: 1-line block ×3, first 2 shown]
	s_waitcnt lgkmcnt(0)
	s_barrier
.LBB2677_6:
	s_andn2_b64 vcc, exec, s[2:3]
	v_cmp_gt_u32_e64 s[2:3], s33, v0
	s_cbranch_vccnz .LBB2677_16
; %bb.7:
                                        ; implicit-def: $vgpr2_vgpr3_vgpr4_vgpr5_vgpr6_vgpr7_vgpr8_vgpr9
	s_and_saveexec_b64 s[6:7], s[2:3]
	s_cbranch_execz .LBB2677_9
; %bb.8:
	v_add_co_u32_e32 v2, vcc, v14, v24
	v_addc_co_u32_e32 v3, vcc, 0, v15, vcc
	flat_load_dwordx2 v[2:3], v[2:3]
.LBB2677_9:
	s_or_b64 exec, exec, s[6:7]
	v_add_u32_e32 v16, 0xc0, v0
	v_cmp_gt_u32_e32 vcc, s33, v16
	s_and_saveexec_b64 s[2:3], vcc
	s_cbranch_execz .LBB2677_11
; %bb.10:
	v_add_co_u32_e32 v4, vcc, v14, v24
	v_addc_co_u32_e32 v5, vcc, 0, v15, vcc
	flat_load_dwordx2 v[4:5], v[4:5] offset:1536
.LBB2677_11:
	s_or_b64 exec, exec, s[2:3]
	v_add_u32_e32 v17, 0x180, v0
	v_cmp_gt_u32_e32 vcc, s33, v17
	s_and_saveexec_b64 s[2:3], vcc
	s_cbranch_execz .LBB2677_13
; %bb.12:
	v_add_co_u32_e32 v6, vcc, v14, v24
	v_addc_co_u32_e32 v7, vcc, 0, v15, vcc
	flat_load_dwordx2 v[6:7], v[6:7] offset:3072
.LBB2677_13:
	s_or_b64 exec, exec, s[2:3]
	v_add_u32_e32 v18, 0x240, v0
	v_cmp_gt_u32_e32 vcc, s33, v18
	s_and_saveexec_b64 s[2:3], vcc
	s_cbranch_execz .LBB2677_15
; %bb.14:
	v_lshlrev_b32_e32 v8, 3, v18
	v_add_co_u32_e32 v8, vcc, v14, v8
	v_addc_co_u32_e32 v9, vcc, 0, v15, vcc
	flat_load_dwordx2 v[8:9], v[8:9]
.LBB2677_15:
	s_or_b64 exec, exec, s[2:3]
	v_and_b32_e32 v1, 56, v1
	v_add_u32_e32 v1, v1, v24
	s_waitcnt vmcnt(0) lgkmcnt(0)
	ds_write_b64 v1, v[2:3]
	v_lshrrev_b32_e32 v1, 2, v16
	v_and_b32_e32 v1, 0x78, v1
	v_add_u32_e32 v1, v1, v24
	ds_write_b64 v1, v[4:5] offset:1536
	v_lshrrev_b32_e32 v1, 2, v17
	v_and_b32_e32 v1, 0xf8, v1
	v_add_u32_e32 v1, v1, v24
	ds_write_b64 v1, v[6:7] offset:3072
	;; [unrolled: 4-line block ×3, first 2 shown]
	s_waitcnt lgkmcnt(0)
	s_barrier
.LBB2677_16:
	v_lshlrev_b32_e32 v1, 2, v0
	v_lshrrev_b32_e32 v2, 3, v0
	v_add_lshl_u32 v2, v2, v1, 3
	ds_read2_b64 v[6:9], v2 offset1:1
	ds_read2_b64 v[2:5], v2 offset0:2 offset1:3
	v_cndmask_b32_e64 v14, 0, 1, s[4:5]
	v_cmp_ne_u32_e64 s[2:3], 1, v14
	s_andn2_b64 vcc, exec, s[4:5]
	s_waitcnt lgkmcnt(1)
	v_xor_b32_e32 v17, -1, v6
	v_xor_b32_e32 v16, -1, v8
	s_waitcnt lgkmcnt(0)
	v_xor_b32_e32 v15, -1, v2
	v_xor_b32_e32 v14, -1, v4
	s_barrier
	s_cbranch_vccnz .LBB2677_18
; %bb.17:
	v_mov_b32_e32 v19, 1
	v_and_b32_e32 v18, 1, v17
	v_and_b32_sdwa v20, v16, v19 dst_sel:BYTE_1 dst_unused:UNUSED_PAD src0_sel:DWORD src1_sel:DWORD
	v_and_b32_e32 v21, 1, v15
	v_and_b32_sdwa v19, v14, v19 dst_sel:BYTE_1 dst_unused:UNUSED_PAD src0_sel:DWORD src1_sel:DWORD
	v_or_b32_e32 v18, v18, v20
	v_or_b32_sdwa v19, v21, v19 dst_sel:WORD_1 dst_unused:UNUSED_PAD src0_sel:DWORD src1_sel:DWORD
	v_or_b32_sdwa v25, v18, v19 dst_sel:DWORD dst_unused:UNUSED_PAD src0_sel:WORD_0 src1_sel:DWORD
	s_cbranch_execz .LBB2677_19
	s_branch .LBB2677_20
.LBB2677_18:
                                        ; implicit-def: $vgpr25
.LBB2677_19:
	v_cmp_gt_u32_e32 vcc, s33, v1
	v_cndmask_b32_e64 v18, 0, 1, vcc
	v_and_b32_e32 v17, v18, v17
	v_or_b32_e32 v18, 1, v1
	v_cmp_gt_u32_e32 vcc, s33, v18
	v_cndmask_b32_e64 v18, 0, 1, vcc
	v_and_b32_sdwa v16, v18, v16 dst_sel:BYTE_1 dst_unused:UNUSED_PAD src0_sel:DWORD src1_sel:DWORD
	v_or_b32_e32 v18, 2, v1
	v_cmp_gt_u32_e32 vcc, s33, v18
	v_cndmask_b32_e64 v18, 0, 1, vcc
	v_and_b32_e32 v15, v18, v15
	v_or_b32_e32 v18, 3, v1
	v_cmp_gt_u32_e32 vcc, s33, v18
	v_cndmask_b32_e64 v18, 0, 1, vcc
	v_and_b32_sdwa v14, v18, v14 dst_sel:BYTE_1 dst_unused:UNUSED_PAD src0_sel:DWORD src1_sel:DWORD
	v_or_b32_e32 v16, v17, v16
	v_or_b32_sdwa v14, v15, v14 dst_sel:WORD_1 dst_unused:UNUSED_PAD src0_sel:DWORD src1_sel:DWORD
	v_or_b32_sdwa v25, v16, v14 dst_sel:DWORD dst_unused:UNUSED_PAD src0_sel:WORD_0 src1_sel:DWORD
.LBB2677_20:
	v_bfe_u32 v27, v25, 16, 8
	v_lshrrev_b32_e32 v26, 24, v25
	v_add_u32_sdwa v14, v25, v25 dst_sel:DWORD dst_unused:UNUSED_PAD src0_sel:BYTE_1 src1_sel:BYTE_0
	v_add3_u32 v30, v14, v27, v26
	v_mbcnt_lo_u32_b32 v14, -1, 0
	v_mbcnt_hi_u32_b32 v28, -1, v14
	v_and_b32_e32 v14, 15, v28
	v_cmp_eq_u32_e64 s[16:17], 0, v14
	v_cmp_lt_u32_e64 s[14:15], 1, v14
	v_cmp_lt_u32_e64 s[12:13], 3, v14
	;; [unrolled: 1-line block ×3, first 2 shown]
	v_and_b32_e32 v14, 16, v28
	v_cmp_eq_u32_e64 s[6:7], 0, v14
	v_and_b32_e32 v14, 0xc0, v0
	v_min_u32_e32 v14, 0x80, v14
	v_or_b32_e32 v14, 63, v14
	s_cmp_lg_u32 s38, 0
	v_cmp_lt_u32_e64 s[4:5], 31, v28
	v_lshrrev_b32_e32 v29, 6, v0
	v_cmp_eq_u32_e64 s[8:9], v14, v0
	s_cbranch_scc0 .LBB2677_47
; %bb.21:
	v_mov_b32_dpp v14, v30 row_shr:1 row_mask:0xf bank_mask:0xf
	v_cndmask_b32_e64 v14, v14, 0, s[16:17]
	v_add_u32_e32 v14, v14, v30
	s_nop 1
	v_mov_b32_dpp v15, v14 row_shr:2 row_mask:0xf bank_mask:0xf
	v_cndmask_b32_e64 v15, 0, v15, s[14:15]
	v_add_u32_e32 v14, v14, v15
	s_nop 1
	v_mov_b32_dpp v15, v14 row_shr:4 row_mask:0xf bank_mask:0xf
	v_cndmask_b32_e64 v15, 0, v15, s[12:13]
	v_add_u32_e32 v14, v14, v15
	s_nop 1
	v_mov_b32_dpp v15, v14 row_shr:8 row_mask:0xf bank_mask:0xf
	v_cndmask_b32_e64 v15, 0, v15, s[10:11]
	v_add_u32_e32 v14, v14, v15
	s_nop 1
	v_mov_b32_dpp v15, v14 row_bcast:15 row_mask:0xf bank_mask:0xf
	v_cndmask_b32_e64 v15, v15, 0, s[6:7]
	v_add_u32_e32 v14, v14, v15
	s_nop 1
	v_mov_b32_dpp v15, v14 row_bcast:31 row_mask:0xf bank_mask:0xf
	v_cndmask_b32_e64 v15, 0, v15, s[4:5]
	v_add_u32_e32 v14, v14, v15
	s_and_saveexec_b64 s[18:19], s[8:9]
	s_cbranch_execz .LBB2677_23
; %bb.22:
	v_lshlrev_b32_e32 v15, 2, v29
	ds_write_b32 v15, v14
.LBB2677_23:
	s_or_b64 exec, exec, s[18:19]
	v_cmp_gt_u32_e32 vcc, 3, v0
	s_waitcnt lgkmcnt(0)
	s_barrier
	s_and_saveexec_b64 s[18:19], vcc
	s_cbranch_execz .LBB2677_25
; %bb.24:
	ds_read_b32 v15, v1
	v_and_b32_e32 v16, 3, v28
	v_cmp_ne_u32_e32 vcc, 0, v16
	s_waitcnt lgkmcnt(0)
	v_mov_b32_dpp v17, v15 row_shr:1 row_mask:0xf bank_mask:0xf
	v_cndmask_b32_e32 v17, 0, v17, vcc
	v_add_u32_e32 v15, v17, v15
	v_cmp_lt_u32_e32 vcc, 1, v16
	s_nop 0
	v_mov_b32_dpp v17, v15 row_shr:2 row_mask:0xf bank_mask:0xf
	v_cndmask_b32_e32 v16, 0, v17, vcc
	v_add_u32_e32 v15, v15, v16
	ds_write_b32 v1, v15
.LBB2677_25:
	s_or_b64 exec, exec, s[18:19]
	v_cmp_gt_u32_e32 vcc, 64, v0
	v_cmp_lt_u32_e64 s[18:19], 63, v0
	s_waitcnt lgkmcnt(0)
	s_barrier
	s_waitcnt lgkmcnt(0)
                                        ; implicit-def: $vgpr31
	s_and_saveexec_b64 s[24:25], s[18:19]
	s_cbranch_execz .LBB2677_27
; %bb.26:
	v_lshl_add_u32 v15, v29, 2, -4
	ds_read_b32 v31, v15
	s_waitcnt lgkmcnt(0)
	v_add_u32_e32 v14, v31, v14
.LBB2677_27:
	s_or_b64 exec, exec, s[24:25]
	v_add_u32_e32 v15, -1, v28
	v_and_b32_e32 v16, 64, v28
	v_cmp_lt_i32_e64 s[18:19], v15, v16
	v_cndmask_b32_e64 v15, v15, v28, s[18:19]
	v_lshlrev_b32_e32 v15, 2, v15
	ds_bpermute_b32 v32, v15, v14
	v_cmp_eq_u32_e64 s[18:19], 0, v28
	s_and_saveexec_b64 s[24:25], vcc
	s_cbranch_execz .LBB2677_46
; %bb.28:
	v_mov_b32_e32 v21, 0
	ds_read_b32 v14, v21 offset:8
	s_and_saveexec_b64 s[34:35], s[18:19]
	s_cbranch_execz .LBB2677_30
; %bb.29:
	s_add_i32 s36, s38, 64
	s_mov_b32 s37, 0
	s_lshl_b64 s[36:37], s[36:37], 3
	s_add_u32 s36, s30, s36
	v_mov_b32_e32 v15, 1
	s_addc_u32 s37, s31, s37
	s_waitcnt lgkmcnt(0)
	global_store_dwordx2 v21, v[14:15], s[36:37]
.LBB2677_30:
	s_or_b64 exec, exec, s[34:35]
	v_xad_u32 v16, v28, -1, s38
	v_add_u32_e32 v20, 64, v16
	v_lshlrev_b64 v[18:19], 3, v[20:21]
	v_mov_b32_e32 v15, s31
	v_add_co_u32_e32 v22, vcc, s30, v18
	v_addc_co_u32_e32 v23, vcc, v15, v19, vcc
	global_load_dwordx2 v[18:19], v[22:23], off glc
	s_waitcnt vmcnt(0)
	v_cmp_eq_u16_sdwa s[36:37], v19, v21 src0_sel:BYTE_0 src1_sel:DWORD
	s_and_saveexec_b64 s[34:35], s[36:37]
	s_cbranch_execz .LBB2677_34
; %bb.31:
	s_mov_b64 s[36:37], 0
	v_mov_b32_e32 v15, 0
.LBB2677_32:                            ; =>This Inner Loop Header: Depth=1
	global_load_dwordx2 v[18:19], v[22:23], off glc
	s_waitcnt vmcnt(0)
	v_cmp_ne_u16_sdwa s[40:41], v19, v15 src0_sel:BYTE_0 src1_sel:DWORD
	s_or_b64 s[36:37], s[40:41], s[36:37]
	s_andn2_b64 exec, exec, s[36:37]
	s_cbranch_execnz .LBB2677_32
; %bb.33:
	s_or_b64 exec, exec, s[36:37]
.LBB2677_34:
	s_or_b64 exec, exec, s[34:35]
	v_and_b32_e32 v34, 63, v28
	v_mov_b32_e32 v33, 2
	v_cmp_ne_u32_e32 vcc, 63, v34
	v_cmp_eq_u16_sdwa s[34:35], v19, v33 src0_sel:BYTE_0 src1_sel:DWORD
	v_lshlrev_b64 v[20:21], v28, -1
	v_addc_co_u32_e32 v22, vcc, 0, v28, vcc
	v_and_b32_e32 v15, s35, v21
	v_lshlrev_b32_e32 v35, 2, v22
	v_or_b32_e32 v15, 0x80000000, v15
	ds_bpermute_b32 v22, v35, v18
	v_and_b32_e32 v17, s34, v20
	v_ffbl_b32_e32 v15, v15
	v_add_u32_e32 v15, 32, v15
	v_ffbl_b32_e32 v17, v17
	v_min_u32_e32 v15, v17, v15
	v_cmp_lt_u32_e32 vcc, v34, v15
	s_waitcnt lgkmcnt(0)
	v_cndmask_b32_e32 v17, 0, v22, vcc
	v_cmp_gt_u32_e32 vcc, 62, v34
	v_add_u32_e32 v17, v17, v18
	v_cndmask_b32_e64 v18, 0, 1, vcc
	v_lshlrev_b32_e32 v18, 1, v18
	v_add_lshl_u32 v36, v18, v28, 2
	ds_bpermute_b32 v18, v36, v17
	v_add_u32_e32 v37, 2, v34
	v_cmp_le_u32_e32 vcc, v37, v15
	v_add_u32_e32 v39, 4, v34
	v_add_u32_e32 v41, 8, v34
	s_waitcnt lgkmcnt(0)
	v_cndmask_b32_e32 v18, 0, v18, vcc
	v_cmp_gt_u32_e32 vcc, 60, v34
	v_add_u32_e32 v17, v17, v18
	v_cndmask_b32_e64 v18, 0, 1, vcc
	v_lshlrev_b32_e32 v18, 2, v18
	v_add_lshl_u32 v38, v18, v28, 2
	ds_bpermute_b32 v18, v38, v17
	v_cmp_le_u32_e32 vcc, v39, v15
	v_add_u32_e32 v43, 16, v34
	v_add_u32_e32 v45, 32, v34
	s_waitcnt lgkmcnt(0)
	v_cndmask_b32_e32 v18, 0, v18, vcc
	v_cmp_gt_u32_e32 vcc, 56, v34
	v_add_u32_e32 v17, v17, v18
	v_cndmask_b32_e64 v18, 0, 1, vcc
	v_lshlrev_b32_e32 v18, 3, v18
	v_add_lshl_u32 v40, v18, v28, 2
	ds_bpermute_b32 v18, v40, v17
	v_cmp_le_u32_e32 vcc, v41, v15
	s_waitcnt lgkmcnt(0)
	v_cndmask_b32_e32 v18, 0, v18, vcc
	v_cmp_gt_u32_e32 vcc, 48, v34
	v_add_u32_e32 v17, v17, v18
	v_cndmask_b32_e64 v18, 0, 1, vcc
	v_lshlrev_b32_e32 v18, 4, v18
	v_add_lshl_u32 v42, v18, v28, 2
	ds_bpermute_b32 v18, v42, v17
	v_cmp_le_u32_e32 vcc, v43, v15
	;; [unrolled: 9-line block ×3, first 2 shown]
	s_waitcnt lgkmcnt(0)
	v_cndmask_b32_e32 v15, 0, v18, vcc
	v_add_u32_e32 v18, v17, v15
	v_mov_b32_e32 v17, 0
	s_branch .LBB2677_36
.LBB2677_35:                            ;   in Loop: Header=BB2677_36 Depth=1
	s_or_b64 exec, exec, s[34:35]
	v_cmp_eq_u16_sdwa s[34:35], v19, v33 src0_sel:BYTE_0 src1_sel:DWORD
	v_and_b32_e32 v22, s35, v21
	v_or_b32_e32 v22, 0x80000000, v22
	ds_bpermute_b32 v46, v35, v18
	v_and_b32_e32 v23, s34, v20
	v_ffbl_b32_e32 v22, v22
	v_add_u32_e32 v22, 32, v22
	v_ffbl_b32_e32 v23, v23
	v_min_u32_e32 v22, v23, v22
	v_cmp_lt_u32_e32 vcc, v34, v22
	s_waitcnt lgkmcnt(0)
	v_cndmask_b32_e32 v23, 0, v46, vcc
	v_add_u32_e32 v18, v23, v18
	ds_bpermute_b32 v23, v36, v18
	v_cmp_le_u32_e32 vcc, v37, v22
	v_subrev_u32_e32 v16, 64, v16
	s_waitcnt lgkmcnt(0)
	v_cndmask_b32_e32 v23, 0, v23, vcc
	v_add_u32_e32 v18, v18, v23
	ds_bpermute_b32 v23, v38, v18
	v_cmp_le_u32_e32 vcc, v39, v22
	s_waitcnt lgkmcnt(0)
	v_cndmask_b32_e32 v23, 0, v23, vcc
	v_add_u32_e32 v18, v18, v23
	ds_bpermute_b32 v23, v40, v18
	v_cmp_le_u32_e32 vcc, v41, v22
	;; [unrolled: 5-line block ×4, first 2 shown]
	s_waitcnt lgkmcnt(0)
	v_cndmask_b32_e32 v22, 0, v23, vcc
	v_add3_u32 v18, v22, v15, v18
.LBB2677_36:                            ; =>This Loop Header: Depth=1
                                        ;     Child Loop BB2677_39 Depth 2
	v_cmp_ne_u16_sdwa s[34:35], v19, v33 src0_sel:BYTE_0 src1_sel:DWORD
	v_cndmask_b32_e64 v15, 0, 1, s[34:35]
	;;#ASMSTART
	;;#ASMEND
	v_cmp_ne_u32_e32 vcc, 0, v15
	s_cmp_lg_u64 vcc, exec
	v_mov_b32_e32 v15, v18
	s_cbranch_scc1 .LBB2677_41
; %bb.37:                               ;   in Loop: Header=BB2677_36 Depth=1
	v_lshlrev_b64 v[18:19], 3, v[16:17]
	v_mov_b32_e32 v23, s31
	v_add_co_u32_e32 v22, vcc, s30, v18
	v_addc_co_u32_e32 v23, vcc, v23, v19, vcc
	global_load_dwordx2 v[18:19], v[22:23], off glc
	s_waitcnt vmcnt(0)
	v_cmp_eq_u16_sdwa s[36:37], v19, v17 src0_sel:BYTE_0 src1_sel:DWORD
	s_and_saveexec_b64 s[34:35], s[36:37]
	s_cbranch_execz .LBB2677_35
; %bb.38:                               ;   in Loop: Header=BB2677_36 Depth=1
	s_mov_b64 s[36:37], 0
.LBB2677_39:                            ;   Parent Loop BB2677_36 Depth=1
                                        ; =>  This Inner Loop Header: Depth=2
	global_load_dwordx2 v[18:19], v[22:23], off glc
	s_waitcnt vmcnt(0)
	v_cmp_ne_u16_sdwa s[40:41], v19, v17 src0_sel:BYTE_0 src1_sel:DWORD
	s_or_b64 s[36:37], s[40:41], s[36:37]
	s_andn2_b64 exec, exec, s[36:37]
	s_cbranch_execnz .LBB2677_39
; %bb.40:                               ;   in Loop: Header=BB2677_36 Depth=1
	s_or_b64 exec, exec, s[36:37]
	s_branch .LBB2677_35
.LBB2677_41:                            ;   in Loop: Header=BB2677_36 Depth=1
                                        ; implicit-def: $vgpr18
                                        ; implicit-def: $vgpr19
	s_cbranch_execz .LBB2677_36
; %bb.42:
	s_and_saveexec_b64 s[34:35], s[18:19]
	s_cbranch_execz .LBB2677_44
; %bb.43:
	s_add_i32 s36, s38, 64
	s_mov_b32 s37, 0
	s_lshl_b64 s[36:37], s[36:37], 3
	s_add_u32 s36, s30, s36
	v_add_u32_e32 v16, v15, v14
	v_mov_b32_e32 v17, 2
	s_addc_u32 s37, s31, s37
	v_mov_b32_e32 v18, 0
	global_store_dwordx2 v18, v[16:17], s[36:37]
	ds_write_b64 v18, v[14:15] offset:6336
.LBB2677_44:
	s_or_b64 exec, exec, s[34:35]
	s_and_b64 exec, exec, s[0:1]
	s_cbranch_execz .LBB2677_46
; %bb.45:
	v_mov_b32_e32 v14, 0
	ds_write_b32 v14, v15 offset:8
.LBB2677_46:
	s_or_b64 exec, exec, s[24:25]
	v_mov_b32_e32 v14, 0
	s_waitcnt lgkmcnt(0)
	s_barrier
	ds_read_b32 v15, v14 offset:8
	v_cndmask_b32_e64 v16, v32, v31, s[18:19]
	v_cndmask_b32_e64 v16, v16, 0, s[0:1]
	s_waitcnt lgkmcnt(0)
	s_barrier
	v_add_u32_e32 v18, v15, v16
	ds_read_b64 v[14:15], v14 offset:6336
	v_add_u32_sdwa v19, v18, v25 dst_sel:DWORD dst_unused:UNUSED_PAD src0_sel:DWORD src1_sel:BYTE_0
	v_add_u32_sdwa v17, v19, v25 dst_sel:DWORD dst_unused:UNUSED_PAD src0_sel:DWORD src1_sel:BYTE_1
	v_add_u32_e32 v16, v17, v27
	s_branch .LBB2677_57
.LBB2677_47:
                                        ; implicit-def: $vgpr15
                                        ; implicit-def: $vgpr16
                                        ; implicit-def: $vgpr17
                                        ; implicit-def: $vgpr19
                                        ; implicit-def: $vgpr18
	s_cbranch_execz .LBB2677_57
; %bb.48:
	s_waitcnt lgkmcnt(0)
	v_mov_b32_dpp v14, v30 row_shr:1 row_mask:0xf bank_mask:0xf
	v_cndmask_b32_e64 v14, v14, 0, s[16:17]
	v_add_u32_e32 v14, v14, v30
	s_nop 1
	v_mov_b32_dpp v15, v14 row_shr:2 row_mask:0xf bank_mask:0xf
	v_cndmask_b32_e64 v15, 0, v15, s[14:15]
	v_add_u32_e32 v14, v14, v15
	s_nop 1
	;; [unrolled: 4-line block ×4, first 2 shown]
	v_mov_b32_dpp v15, v14 row_bcast:15 row_mask:0xf bank_mask:0xf
	v_cndmask_b32_e64 v15, v15, 0, s[6:7]
	v_add_u32_e32 v14, v14, v15
	s_nop 1
	v_mov_b32_dpp v15, v14 row_bcast:31 row_mask:0xf bank_mask:0xf
	v_cndmask_b32_e64 v15, 0, v15, s[4:5]
	v_add_u32_e32 v14, v14, v15
	s_and_saveexec_b64 s[4:5], s[8:9]
	s_cbranch_execz .LBB2677_50
; %bb.49:
	v_lshlrev_b32_e32 v15, 2, v29
	ds_write_b32 v15, v14
.LBB2677_50:
	s_or_b64 exec, exec, s[4:5]
	v_cmp_gt_u32_e32 vcc, 3, v0
	s_waitcnt lgkmcnt(0)
	s_barrier
	s_and_saveexec_b64 s[4:5], vcc
	s_cbranch_execz .LBB2677_52
; %bb.51:
	ds_read_b32 v15, v1
	v_and_b32_e32 v16, 3, v28
	v_cmp_ne_u32_e32 vcc, 0, v16
	s_waitcnt lgkmcnt(0)
	v_mov_b32_dpp v17, v15 row_shr:1 row_mask:0xf bank_mask:0xf
	v_cndmask_b32_e32 v17, 0, v17, vcc
	v_add_u32_e32 v15, v17, v15
	v_cmp_lt_u32_e32 vcc, 1, v16
	s_nop 0
	v_mov_b32_dpp v17, v15 row_shr:2 row_mask:0xf bank_mask:0xf
	v_cndmask_b32_e32 v16, 0, v17, vcc
	v_add_u32_e32 v15, v15, v16
	ds_write_b32 v1, v15
.LBB2677_52:
	s_or_b64 exec, exec, s[4:5]
	v_cmp_lt_u32_e32 vcc, 63, v0
	v_mov_b32_e32 v15, 0
	v_mov_b32_e32 v16, 0
	s_waitcnt lgkmcnt(0)
	s_barrier
	s_and_saveexec_b64 s[4:5], vcc
	s_cbranch_execz .LBB2677_54
; %bb.53:
	v_lshl_add_u32 v16, v29, 2, -4
	ds_read_b32 v16, v16
.LBB2677_54:
	s_or_b64 exec, exec, s[4:5]
	v_add_u32_e32 v17, -1, v28
	v_and_b32_e32 v18, 64, v28
	v_cmp_lt_i32_e32 vcc, v17, v18
	v_cndmask_b32_e32 v17, v17, v28, vcc
	s_waitcnt lgkmcnt(0)
	v_add_u32_e32 v14, v16, v14
	v_lshlrev_b32_e32 v17, 2, v17
	ds_bpermute_b32 v17, v17, v14
	ds_read_b32 v14, v15 offset:8
	s_and_saveexec_b64 s[4:5], s[0:1]
	s_cbranch_execz .LBB2677_56
; %bb.55:
	v_mov_b32_e32 v18, 0
	v_mov_b32_e32 v15, 2
	s_waitcnt lgkmcnt(0)
	global_store_dwordx2 v18, v[14:15], s[30:31] offset:512
.LBB2677_56:
	s_or_b64 exec, exec, s[4:5]
	v_cmp_eq_u32_e32 vcc, 0, v28
	s_waitcnt lgkmcnt(1)
	v_cndmask_b32_e32 v16, v17, v16, vcc
	v_cndmask_b32_e64 v18, v16, 0, s[0:1]
	v_add_u32_sdwa v19, v18, v25 dst_sel:DWORD dst_unused:UNUSED_PAD src0_sel:DWORD src1_sel:BYTE_0
	v_add_u32_sdwa v17, v19, v25 dst_sel:DWORD dst_unused:UNUSED_PAD src0_sel:DWORD src1_sel:BYTE_1
	v_mov_b32_e32 v15, 0
	v_add_u32_e32 v16, v17, v27
	s_waitcnt lgkmcnt(0)
	s_barrier
.LBB2677_57:
	s_waitcnt lgkmcnt(0)
	v_add_u32_e32 v1, v14, v1
	v_sub_u32_e32 v18, v18, v15
	v_and_b32_e32 v22, 1, v25
	v_sub_u32_e32 v21, v1, v18
	v_cmp_eq_u32_e32 vcc, 1, v22
	v_cndmask_b32_e32 v18, v21, v18, vcc
	v_lshlrev_b32_e32 v18, 3, v18
	v_lshrrev_b32_e32 v20, 8, v25
	ds_write_b64 v18, v[6:7]
	v_sub_u32_e32 v6, v19, v15
	v_sub_u32_e32 v7, v1, v6
	v_and_b32_e32 v18, 1, v20
	v_add_u32_e32 v7, 1, v7
	v_cmp_eq_u32_e32 vcc, 1, v18
	v_cndmask_b32_e32 v6, v7, v6, vcc
	v_lshlrev_b32_e32 v6, 3, v6
	ds_write_b64 v6, v[8:9]
	v_sub_u32_e32 v6, v17, v15
	v_mov_b32_e32 v8, 1
	v_sub_u32_e32 v7, v1, v6
	v_and_b32_sdwa v8, v8, v25 dst_sel:DWORD dst_unused:UNUSED_PAD src0_sel:DWORD src1_sel:WORD_1
	v_add_u32_e32 v7, 2, v7
	v_cmp_eq_u32_e32 vcc, 1, v8
	v_cndmask_b32_e32 v6, v7, v6, vcc
	v_lshlrev_b32_e32 v6, 3, v6
	ds_write_b64 v6, v[2:3]
	v_sub_u32_e32 v2, v16, v15
	v_sub_u32_e32 v1, v1, v2
	v_and_b32_e32 v3, 1, v26
	v_add_u32_e32 v1, 3, v1
	v_cmp_eq_u32_e32 vcc, 1, v3
	v_cndmask_b32_e32 v1, v1, v2, vcc
	v_lshlrev_b32_e32 v1, 3, v1
	ds_write_b64 v1, v[4:5]
	s_waitcnt vmcnt(0)
	v_add_co_u32_e32 v1, vcc, v10, v14
	v_addc_co_u32_e32 v11, vcc, 0, v11, vcc
	v_add_co_u32_e32 v10, vcc, v1, v15
	v_addc_co_u32_e32 v11, vcc, 0, v11, vcc
	v_mov_b32_e32 v1, s27
	v_sub_co_u32_e32 v20, vcc, s26, v10
	v_subb_co_u32_e32 v21, vcc, v1, v11, vcc
	v_lshlrev_b64 v[20:21], 3, v[20:21]
	s_waitcnt lgkmcnt(0)
	s_barrier
	ds_read2st64_b64 v[6:9], v24 offset1:3
	ds_read2st64_b64 v[2:5], v24 offset0:6 offset1:9
	v_mov_b32_e32 v1, s29
	v_add_co_u32_e32 v15, vcc, s28, v20
	v_addc_co_u32_e32 v1, vcc, v1, v21, vcc
	v_add_co_u32_e32 v12, vcc, v15, v12
	v_addc_co_u32_e32 v1, vcc, v1, v13, vcc
	v_add_u32_e32 v18, 0xc0, v0
	v_add_u32_e32 v17, 0x180, v0
	;; [unrolled: 1-line block ×3, first 2 shown]
	s_and_b64 vcc, exec, s[2:3]
	v_cmp_ge_u32_e64 s[2:3], v0, v14
	s_cbranch_vccnz .LBB2677_63
; %bb.58:
	s_and_saveexec_b64 s[4:5], s[2:3]
	s_cbranch_execnz .LBB2677_76
; %bb.59:
	s_or_b64 exec, exec, s[4:5]
	v_cmp_ge_u32_e32 vcc, v18, v14
	s_and_saveexec_b64 s[2:3], vcc
	s_cbranch_execnz .LBB2677_77
.LBB2677_60:
	s_or_b64 exec, exec, s[2:3]
	v_cmp_ge_u32_e32 vcc, v17, v14
	s_and_saveexec_b64 s[2:3], vcc
	s_cbranch_execz .LBB2677_62
.LBB2677_61:
	v_readfirstlane_b32 s4, v12
	v_readfirstlane_b32 s5, v1
	s_waitcnt lgkmcnt(0)
	s_nop 3
	global_store_dwordx2 v24, v[2:3], s[4:5] offset:3072
.LBB2677_62:
	s_or_b64 exec, exec, s[2:3]
	v_cmp_ge_u32_e64 s[2:3], v16, v14
	s_branch .LBB2677_71
.LBB2677_63:
	s_mov_b64 s[2:3], 0
	s_cbranch_execz .LBB2677_71
; %bb.64:
	v_cmp_gt_u32_e32 vcc, s33, v0
	v_cmp_ge_u32_e64 s[2:3], v0, v14
	s_and_b64 s[4:5], vcc, s[2:3]
	s_and_saveexec_b64 s[2:3], s[4:5]
	s_cbranch_execz .LBB2677_66
; %bb.65:
	v_readfirstlane_b32 s4, v12
	v_readfirstlane_b32 s5, v1
	s_waitcnt lgkmcnt(1)
	s_nop 3
	global_store_dwordx2 v24, v[6:7], s[4:5]
.LBB2677_66:
	s_or_b64 exec, exec, s[2:3]
	v_cmp_gt_u32_e32 vcc, s33, v18
	v_cmp_ge_u32_e64 s[2:3], v18, v14
	s_and_b64 s[4:5], vcc, s[2:3]
	s_and_saveexec_b64 s[2:3], s[4:5]
	s_cbranch_execz .LBB2677_68
; %bb.67:
	v_readfirstlane_b32 s4, v12
	v_readfirstlane_b32 s5, v1
	s_waitcnt lgkmcnt(1)
	s_nop 3
	global_store_dwordx2 v24, v[8:9], s[4:5] offset:1536
.LBB2677_68:
	s_or_b64 exec, exec, s[2:3]
	v_cmp_gt_u32_e32 vcc, s33, v17
	v_cmp_ge_u32_e64 s[2:3], v17, v14
	s_and_b64 s[4:5], vcc, s[2:3]
	s_and_saveexec_b64 s[2:3], s[4:5]
	s_cbranch_execz .LBB2677_70
; %bb.69:
	v_readfirstlane_b32 s4, v12
	v_readfirstlane_b32 s5, v1
	s_waitcnt lgkmcnt(0)
	s_nop 3
	global_store_dwordx2 v24, v[2:3], s[4:5] offset:3072
.LBB2677_70:
	s_or_b64 exec, exec, s[2:3]
	v_cmp_gt_u32_e32 vcc, s33, v16
	v_cmp_ge_u32_e64 s[2:3], v16, v14
	s_and_b64 s[2:3], vcc, s[2:3]
.LBB2677_71:
	s_and_saveexec_b64 s[4:5], s[2:3]
	s_cbranch_execnz .LBB2677_74
; %bb.72:
	s_or_b64 exec, exec, s[4:5]
	s_and_b64 s[0:1], s[0:1], s[22:23]
	s_and_saveexec_b64 s[2:3], s[0:1]
	s_cbranch_execnz .LBB2677_75
.LBB2677_73:
	s_endpgm
.LBB2677_74:
	v_lshlrev_b32_e32 v0, 3, v16
	v_readfirstlane_b32 s2, v12
	v_readfirstlane_b32 s3, v1
	s_waitcnt lgkmcnt(0)
	s_nop 3
	global_store_dwordx2 v0, v[4:5], s[2:3]
	s_or_b64 exec, exec, s[4:5]
	s_and_b64 s[0:1], s[0:1], s[22:23]
	s_and_saveexec_b64 s[2:3], s[0:1]
	s_cbranch_execz .LBB2677_73
.LBB2677_75:
	v_mov_b32_e32 v0, 0
	global_store_dwordx2 v0, v[10:11], s[20:21]
	s_endpgm
.LBB2677_76:
	v_readfirstlane_b32 s2, v12
	v_readfirstlane_b32 s3, v1
	s_waitcnt lgkmcnt(1)
	s_nop 3
	global_store_dwordx2 v24, v[6:7], s[2:3]
	s_or_b64 exec, exec, s[4:5]
	v_cmp_ge_u32_e32 vcc, v18, v14
	s_and_saveexec_b64 s[2:3], vcc
	s_cbranch_execz .LBB2677_60
.LBB2677_77:
	v_readfirstlane_b32 s4, v12
	v_readfirstlane_b32 s5, v1
	s_waitcnt lgkmcnt(1)
	s_nop 3
	global_store_dwordx2 v24, v[8:9], s[4:5] offset:1536
	s_or_b64 exec, exec, s[2:3]
	v_cmp_ge_u32_e32 vcc, v17, v14
	s_and_saveexec_b64 s[2:3], vcc
	s_cbranch_execnz .LBB2677_61
	s_branch .LBB2677_62
	.section	.rodata,"a",@progbits
	.p2align	6, 0x0
	.amdhsa_kernel _ZN7rocprim17ROCPRIM_400000_NS6detail17trampoline_kernelINS0_14default_configENS1_25partition_config_selectorILNS1_17partition_subalgoE0ExNS0_10empty_typeEbEEZZNS1_14partition_implILS5_0ELb0ES3_jN6thrust23THRUST_200600_302600_NS6detail15normal_iteratorINSA_10device_ptrIxEEEEPS6_SG_NS0_5tupleIJNSA_16discard_iteratorINSA_11use_defaultEEESF_EEENSH_IJSG_SG_EEES6_PlJ7is_evenIxEEEE10hipError_tPvRmT3_T4_T5_T6_T7_T9_mT8_P12ihipStream_tbDpT10_ENKUlT_T0_E_clISt17integral_constantIbLb0EES18_IbLb1EEEEDaS14_S15_EUlS14_E_NS1_11comp_targetILNS1_3genE4ELNS1_11target_archE910ELNS1_3gpuE8ELNS1_3repE0EEENS1_30default_config_static_selectorELNS0_4arch9wavefront6targetE1EEEvT1_
		.amdhsa_group_segment_fixed_size 6344
		.amdhsa_private_segment_fixed_size 0
		.amdhsa_kernarg_size 144
		.amdhsa_user_sgpr_count 6
		.amdhsa_user_sgpr_private_segment_buffer 1
		.amdhsa_user_sgpr_dispatch_ptr 0
		.amdhsa_user_sgpr_queue_ptr 0
		.amdhsa_user_sgpr_kernarg_segment_ptr 1
		.amdhsa_user_sgpr_dispatch_id 0
		.amdhsa_user_sgpr_flat_scratch_init 0
		.amdhsa_user_sgpr_kernarg_preload_length 0
		.amdhsa_user_sgpr_kernarg_preload_offset 0
		.amdhsa_user_sgpr_private_segment_size 0
		.amdhsa_uses_dynamic_stack 0
		.amdhsa_system_sgpr_private_segment_wavefront_offset 0
		.amdhsa_system_sgpr_workgroup_id_x 1
		.amdhsa_system_sgpr_workgroup_id_y 0
		.amdhsa_system_sgpr_workgroup_id_z 0
		.amdhsa_system_sgpr_workgroup_info 0
		.amdhsa_system_vgpr_workitem_id 0
		.amdhsa_next_free_vgpr 47
		.amdhsa_next_free_sgpr 42
		.amdhsa_accum_offset 48
		.amdhsa_reserve_vcc 1
		.amdhsa_reserve_flat_scratch 0
		.amdhsa_float_round_mode_32 0
		.amdhsa_float_round_mode_16_64 0
		.amdhsa_float_denorm_mode_32 3
		.amdhsa_float_denorm_mode_16_64 3
		.amdhsa_dx10_clamp 1
		.amdhsa_ieee_mode 1
		.amdhsa_fp16_overflow 0
		.amdhsa_tg_split 0
		.amdhsa_exception_fp_ieee_invalid_op 0
		.amdhsa_exception_fp_denorm_src 0
		.amdhsa_exception_fp_ieee_div_zero 0
		.amdhsa_exception_fp_ieee_overflow 0
		.amdhsa_exception_fp_ieee_underflow 0
		.amdhsa_exception_fp_ieee_inexact 0
		.amdhsa_exception_int_div_zero 0
	.end_amdhsa_kernel
	.section	.text._ZN7rocprim17ROCPRIM_400000_NS6detail17trampoline_kernelINS0_14default_configENS1_25partition_config_selectorILNS1_17partition_subalgoE0ExNS0_10empty_typeEbEEZZNS1_14partition_implILS5_0ELb0ES3_jN6thrust23THRUST_200600_302600_NS6detail15normal_iteratorINSA_10device_ptrIxEEEEPS6_SG_NS0_5tupleIJNSA_16discard_iteratorINSA_11use_defaultEEESF_EEENSH_IJSG_SG_EEES6_PlJ7is_evenIxEEEE10hipError_tPvRmT3_T4_T5_T6_T7_T9_mT8_P12ihipStream_tbDpT10_ENKUlT_T0_E_clISt17integral_constantIbLb0EES18_IbLb1EEEEDaS14_S15_EUlS14_E_NS1_11comp_targetILNS1_3genE4ELNS1_11target_archE910ELNS1_3gpuE8ELNS1_3repE0EEENS1_30default_config_static_selectorELNS0_4arch9wavefront6targetE1EEEvT1_,"axG",@progbits,_ZN7rocprim17ROCPRIM_400000_NS6detail17trampoline_kernelINS0_14default_configENS1_25partition_config_selectorILNS1_17partition_subalgoE0ExNS0_10empty_typeEbEEZZNS1_14partition_implILS5_0ELb0ES3_jN6thrust23THRUST_200600_302600_NS6detail15normal_iteratorINSA_10device_ptrIxEEEEPS6_SG_NS0_5tupleIJNSA_16discard_iteratorINSA_11use_defaultEEESF_EEENSH_IJSG_SG_EEES6_PlJ7is_evenIxEEEE10hipError_tPvRmT3_T4_T5_T6_T7_T9_mT8_P12ihipStream_tbDpT10_ENKUlT_T0_E_clISt17integral_constantIbLb0EES18_IbLb1EEEEDaS14_S15_EUlS14_E_NS1_11comp_targetILNS1_3genE4ELNS1_11target_archE910ELNS1_3gpuE8ELNS1_3repE0EEENS1_30default_config_static_selectorELNS0_4arch9wavefront6targetE1EEEvT1_,comdat
.Lfunc_end2677:
	.size	_ZN7rocprim17ROCPRIM_400000_NS6detail17trampoline_kernelINS0_14default_configENS1_25partition_config_selectorILNS1_17partition_subalgoE0ExNS0_10empty_typeEbEEZZNS1_14partition_implILS5_0ELb0ES3_jN6thrust23THRUST_200600_302600_NS6detail15normal_iteratorINSA_10device_ptrIxEEEEPS6_SG_NS0_5tupleIJNSA_16discard_iteratorINSA_11use_defaultEEESF_EEENSH_IJSG_SG_EEES6_PlJ7is_evenIxEEEE10hipError_tPvRmT3_T4_T5_T6_T7_T9_mT8_P12ihipStream_tbDpT10_ENKUlT_T0_E_clISt17integral_constantIbLb0EES18_IbLb1EEEEDaS14_S15_EUlS14_E_NS1_11comp_targetILNS1_3genE4ELNS1_11target_archE910ELNS1_3gpuE8ELNS1_3repE0EEENS1_30default_config_static_selectorELNS0_4arch9wavefront6targetE1EEEvT1_, .Lfunc_end2677-_ZN7rocprim17ROCPRIM_400000_NS6detail17trampoline_kernelINS0_14default_configENS1_25partition_config_selectorILNS1_17partition_subalgoE0ExNS0_10empty_typeEbEEZZNS1_14partition_implILS5_0ELb0ES3_jN6thrust23THRUST_200600_302600_NS6detail15normal_iteratorINSA_10device_ptrIxEEEEPS6_SG_NS0_5tupleIJNSA_16discard_iteratorINSA_11use_defaultEEESF_EEENSH_IJSG_SG_EEES6_PlJ7is_evenIxEEEE10hipError_tPvRmT3_T4_T5_T6_T7_T9_mT8_P12ihipStream_tbDpT10_ENKUlT_T0_E_clISt17integral_constantIbLb0EES18_IbLb1EEEEDaS14_S15_EUlS14_E_NS1_11comp_targetILNS1_3genE4ELNS1_11target_archE910ELNS1_3gpuE8ELNS1_3repE0EEENS1_30default_config_static_selectorELNS0_4arch9wavefront6targetE1EEEvT1_
                                        ; -- End function
	.section	.AMDGPU.csdata,"",@progbits
; Kernel info:
; codeLenInByte = 3700
; NumSgprs: 46
; NumVgprs: 47
; NumAgprs: 0
; TotalNumVgprs: 47
; ScratchSize: 0
; MemoryBound: 0
; FloatMode: 240
; IeeeMode: 1
; LDSByteSize: 6344 bytes/workgroup (compile time only)
; SGPRBlocks: 5
; VGPRBlocks: 5
; NumSGPRsForWavesPerEU: 46
; NumVGPRsForWavesPerEU: 47
; AccumOffset: 48
; Occupancy: 8
; WaveLimiterHint : 1
; COMPUTE_PGM_RSRC2:SCRATCH_EN: 0
; COMPUTE_PGM_RSRC2:USER_SGPR: 6
; COMPUTE_PGM_RSRC2:TRAP_HANDLER: 0
; COMPUTE_PGM_RSRC2:TGID_X_EN: 1
; COMPUTE_PGM_RSRC2:TGID_Y_EN: 0
; COMPUTE_PGM_RSRC2:TGID_Z_EN: 0
; COMPUTE_PGM_RSRC2:TIDIG_COMP_CNT: 0
; COMPUTE_PGM_RSRC3_GFX90A:ACCUM_OFFSET: 11
; COMPUTE_PGM_RSRC3_GFX90A:TG_SPLIT: 0
	.section	.text._ZN7rocprim17ROCPRIM_400000_NS6detail17trampoline_kernelINS0_14default_configENS1_25partition_config_selectorILNS1_17partition_subalgoE0ExNS0_10empty_typeEbEEZZNS1_14partition_implILS5_0ELb0ES3_jN6thrust23THRUST_200600_302600_NS6detail15normal_iteratorINSA_10device_ptrIxEEEEPS6_SG_NS0_5tupleIJNSA_16discard_iteratorINSA_11use_defaultEEESF_EEENSH_IJSG_SG_EEES6_PlJ7is_evenIxEEEE10hipError_tPvRmT3_T4_T5_T6_T7_T9_mT8_P12ihipStream_tbDpT10_ENKUlT_T0_E_clISt17integral_constantIbLb0EES18_IbLb1EEEEDaS14_S15_EUlS14_E_NS1_11comp_targetILNS1_3genE3ELNS1_11target_archE908ELNS1_3gpuE7ELNS1_3repE0EEENS1_30default_config_static_selectorELNS0_4arch9wavefront6targetE1EEEvT1_,"axG",@progbits,_ZN7rocprim17ROCPRIM_400000_NS6detail17trampoline_kernelINS0_14default_configENS1_25partition_config_selectorILNS1_17partition_subalgoE0ExNS0_10empty_typeEbEEZZNS1_14partition_implILS5_0ELb0ES3_jN6thrust23THRUST_200600_302600_NS6detail15normal_iteratorINSA_10device_ptrIxEEEEPS6_SG_NS0_5tupleIJNSA_16discard_iteratorINSA_11use_defaultEEESF_EEENSH_IJSG_SG_EEES6_PlJ7is_evenIxEEEE10hipError_tPvRmT3_T4_T5_T6_T7_T9_mT8_P12ihipStream_tbDpT10_ENKUlT_T0_E_clISt17integral_constantIbLb0EES18_IbLb1EEEEDaS14_S15_EUlS14_E_NS1_11comp_targetILNS1_3genE3ELNS1_11target_archE908ELNS1_3gpuE7ELNS1_3repE0EEENS1_30default_config_static_selectorELNS0_4arch9wavefront6targetE1EEEvT1_,comdat
	.protected	_ZN7rocprim17ROCPRIM_400000_NS6detail17trampoline_kernelINS0_14default_configENS1_25partition_config_selectorILNS1_17partition_subalgoE0ExNS0_10empty_typeEbEEZZNS1_14partition_implILS5_0ELb0ES3_jN6thrust23THRUST_200600_302600_NS6detail15normal_iteratorINSA_10device_ptrIxEEEEPS6_SG_NS0_5tupleIJNSA_16discard_iteratorINSA_11use_defaultEEESF_EEENSH_IJSG_SG_EEES6_PlJ7is_evenIxEEEE10hipError_tPvRmT3_T4_T5_T6_T7_T9_mT8_P12ihipStream_tbDpT10_ENKUlT_T0_E_clISt17integral_constantIbLb0EES18_IbLb1EEEEDaS14_S15_EUlS14_E_NS1_11comp_targetILNS1_3genE3ELNS1_11target_archE908ELNS1_3gpuE7ELNS1_3repE0EEENS1_30default_config_static_selectorELNS0_4arch9wavefront6targetE1EEEvT1_ ; -- Begin function _ZN7rocprim17ROCPRIM_400000_NS6detail17trampoline_kernelINS0_14default_configENS1_25partition_config_selectorILNS1_17partition_subalgoE0ExNS0_10empty_typeEbEEZZNS1_14partition_implILS5_0ELb0ES3_jN6thrust23THRUST_200600_302600_NS6detail15normal_iteratorINSA_10device_ptrIxEEEEPS6_SG_NS0_5tupleIJNSA_16discard_iteratorINSA_11use_defaultEEESF_EEENSH_IJSG_SG_EEES6_PlJ7is_evenIxEEEE10hipError_tPvRmT3_T4_T5_T6_T7_T9_mT8_P12ihipStream_tbDpT10_ENKUlT_T0_E_clISt17integral_constantIbLb0EES18_IbLb1EEEEDaS14_S15_EUlS14_E_NS1_11comp_targetILNS1_3genE3ELNS1_11target_archE908ELNS1_3gpuE7ELNS1_3repE0EEENS1_30default_config_static_selectorELNS0_4arch9wavefront6targetE1EEEvT1_
	.globl	_ZN7rocprim17ROCPRIM_400000_NS6detail17trampoline_kernelINS0_14default_configENS1_25partition_config_selectorILNS1_17partition_subalgoE0ExNS0_10empty_typeEbEEZZNS1_14partition_implILS5_0ELb0ES3_jN6thrust23THRUST_200600_302600_NS6detail15normal_iteratorINSA_10device_ptrIxEEEEPS6_SG_NS0_5tupleIJNSA_16discard_iteratorINSA_11use_defaultEEESF_EEENSH_IJSG_SG_EEES6_PlJ7is_evenIxEEEE10hipError_tPvRmT3_T4_T5_T6_T7_T9_mT8_P12ihipStream_tbDpT10_ENKUlT_T0_E_clISt17integral_constantIbLb0EES18_IbLb1EEEEDaS14_S15_EUlS14_E_NS1_11comp_targetILNS1_3genE3ELNS1_11target_archE908ELNS1_3gpuE7ELNS1_3repE0EEENS1_30default_config_static_selectorELNS0_4arch9wavefront6targetE1EEEvT1_
	.p2align	8
	.type	_ZN7rocprim17ROCPRIM_400000_NS6detail17trampoline_kernelINS0_14default_configENS1_25partition_config_selectorILNS1_17partition_subalgoE0ExNS0_10empty_typeEbEEZZNS1_14partition_implILS5_0ELb0ES3_jN6thrust23THRUST_200600_302600_NS6detail15normal_iteratorINSA_10device_ptrIxEEEEPS6_SG_NS0_5tupleIJNSA_16discard_iteratorINSA_11use_defaultEEESF_EEENSH_IJSG_SG_EEES6_PlJ7is_evenIxEEEE10hipError_tPvRmT3_T4_T5_T6_T7_T9_mT8_P12ihipStream_tbDpT10_ENKUlT_T0_E_clISt17integral_constantIbLb0EES18_IbLb1EEEEDaS14_S15_EUlS14_E_NS1_11comp_targetILNS1_3genE3ELNS1_11target_archE908ELNS1_3gpuE7ELNS1_3repE0EEENS1_30default_config_static_selectorELNS0_4arch9wavefront6targetE1EEEvT1_,@function
_ZN7rocprim17ROCPRIM_400000_NS6detail17trampoline_kernelINS0_14default_configENS1_25partition_config_selectorILNS1_17partition_subalgoE0ExNS0_10empty_typeEbEEZZNS1_14partition_implILS5_0ELb0ES3_jN6thrust23THRUST_200600_302600_NS6detail15normal_iteratorINSA_10device_ptrIxEEEEPS6_SG_NS0_5tupleIJNSA_16discard_iteratorINSA_11use_defaultEEESF_EEENSH_IJSG_SG_EEES6_PlJ7is_evenIxEEEE10hipError_tPvRmT3_T4_T5_T6_T7_T9_mT8_P12ihipStream_tbDpT10_ENKUlT_T0_E_clISt17integral_constantIbLb0EES18_IbLb1EEEEDaS14_S15_EUlS14_E_NS1_11comp_targetILNS1_3genE3ELNS1_11target_archE908ELNS1_3gpuE7ELNS1_3repE0EEENS1_30default_config_static_selectorELNS0_4arch9wavefront6targetE1EEEvT1_: ; @_ZN7rocprim17ROCPRIM_400000_NS6detail17trampoline_kernelINS0_14default_configENS1_25partition_config_selectorILNS1_17partition_subalgoE0ExNS0_10empty_typeEbEEZZNS1_14partition_implILS5_0ELb0ES3_jN6thrust23THRUST_200600_302600_NS6detail15normal_iteratorINSA_10device_ptrIxEEEEPS6_SG_NS0_5tupleIJNSA_16discard_iteratorINSA_11use_defaultEEESF_EEENSH_IJSG_SG_EEES6_PlJ7is_evenIxEEEE10hipError_tPvRmT3_T4_T5_T6_T7_T9_mT8_P12ihipStream_tbDpT10_ENKUlT_T0_E_clISt17integral_constantIbLb0EES18_IbLb1EEEEDaS14_S15_EUlS14_E_NS1_11comp_targetILNS1_3genE3ELNS1_11target_archE908ELNS1_3gpuE7ELNS1_3repE0EEENS1_30default_config_static_selectorELNS0_4arch9wavefront6targetE1EEEvT1_
; %bb.0:
	.section	.rodata,"a",@progbits
	.p2align	6, 0x0
	.amdhsa_kernel _ZN7rocprim17ROCPRIM_400000_NS6detail17trampoline_kernelINS0_14default_configENS1_25partition_config_selectorILNS1_17partition_subalgoE0ExNS0_10empty_typeEbEEZZNS1_14partition_implILS5_0ELb0ES3_jN6thrust23THRUST_200600_302600_NS6detail15normal_iteratorINSA_10device_ptrIxEEEEPS6_SG_NS0_5tupleIJNSA_16discard_iteratorINSA_11use_defaultEEESF_EEENSH_IJSG_SG_EEES6_PlJ7is_evenIxEEEE10hipError_tPvRmT3_T4_T5_T6_T7_T9_mT8_P12ihipStream_tbDpT10_ENKUlT_T0_E_clISt17integral_constantIbLb0EES18_IbLb1EEEEDaS14_S15_EUlS14_E_NS1_11comp_targetILNS1_3genE3ELNS1_11target_archE908ELNS1_3gpuE7ELNS1_3repE0EEENS1_30default_config_static_selectorELNS0_4arch9wavefront6targetE1EEEvT1_
		.amdhsa_group_segment_fixed_size 0
		.amdhsa_private_segment_fixed_size 0
		.amdhsa_kernarg_size 144
		.amdhsa_user_sgpr_count 6
		.amdhsa_user_sgpr_private_segment_buffer 1
		.amdhsa_user_sgpr_dispatch_ptr 0
		.amdhsa_user_sgpr_queue_ptr 0
		.amdhsa_user_sgpr_kernarg_segment_ptr 1
		.amdhsa_user_sgpr_dispatch_id 0
		.amdhsa_user_sgpr_flat_scratch_init 0
		.amdhsa_user_sgpr_kernarg_preload_length 0
		.amdhsa_user_sgpr_kernarg_preload_offset 0
		.amdhsa_user_sgpr_private_segment_size 0
		.amdhsa_uses_dynamic_stack 0
		.amdhsa_system_sgpr_private_segment_wavefront_offset 0
		.amdhsa_system_sgpr_workgroup_id_x 1
		.amdhsa_system_sgpr_workgroup_id_y 0
		.amdhsa_system_sgpr_workgroup_id_z 0
		.amdhsa_system_sgpr_workgroup_info 0
		.amdhsa_system_vgpr_workitem_id 0
		.amdhsa_next_free_vgpr 1
		.amdhsa_next_free_sgpr 0
		.amdhsa_accum_offset 4
		.amdhsa_reserve_vcc 0
		.amdhsa_reserve_flat_scratch 0
		.amdhsa_float_round_mode_32 0
		.amdhsa_float_round_mode_16_64 0
		.amdhsa_float_denorm_mode_32 3
		.amdhsa_float_denorm_mode_16_64 3
		.amdhsa_dx10_clamp 1
		.amdhsa_ieee_mode 1
		.amdhsa_fp16_overflow 0
		.amdhsa_tg_split 0
		.amdhsa_exception_fp_ieee_invalid_op 0
		.amdhsa_exception_fp_denorm_src 0
		.amdhsa_exception_fp_ieee_div_zero 0
		.amdhsa_exception_fp_ieee_overflow 0
		.amdhsa_exception_fp_ieee_underflow 0
		.amdhsa_exception_fp_ieee_inexact 0
		.amdhsa_exception_int_div_zero 0
	.end_amdhsa_kernel
	.section	.text._ZN7rocprim17ROCPRIM_400000_NS6detail17trampoline_kernelINS0_14default_configENS1_25partition_config_selectorILNS1_17partition_subalgoE0ExNS0_10empty_typeEbEEZZNS1_14partition_implILS5_0ELb0ES3_jN6thrust23THRUST_200600_302600_NS6detail15normal_iteratorINSA_10device_ptrIxEEEEPS6_SG_NS0_5tupleIJNSA_16discard_iteratorINSA_11use_defaultEEESF_EEENSH_IJSG_SG_EEES6_PlJ7is_evenIxEEEE10hipError_tPvRmT3_T4_T5_T6_T7_T9_mT8_P12ihipStream_tbDpT10_ENKUlT_T0_E_clISt17integral_constantIbLb0EES18_IbLb1EEEEDaS14_S15_EUlS14_E_NS1_11comp_targetILNS1_3genE3ELNS1_11target_archE908ELNS1_3gpuE7ELNS1_3repE0EEENS1_30default_config_static_selectorELNS0_4arch9wavefront6targetE1EEEvT1_,"axG",@progbits,_ZN7rocprim17ROCPRIM_400000_NS6detail17trampoline_kernelINS0_14default_configENS1_25partition_config_selectorILNS1_17partition_subalgoE0ExNS0_10empty_typeEbEEZZNS1_14partition_implILS5_0ELb0ES3_jN6thrust23THRUST_200600_302600_NS6detail15normal_iteratorINSA_10device_ptrIxEEEEPS6_SG_NS0_5tupleIJNSA_16discard_iteratorINSA_11use_defaultEEESF_EEENSH_IJSG_SG_EEES6_PlJ7is_evenIxEEEE10hipError_tPvRmT3_T4_T5_T6_T7_T9_mT8_P12ihipStream_tbDpT10_ENKUlT_T0_E_clISt17integral_constantIbLb0EES18_IbLb1EEEEDaS14_S15_EUlS14_E_NS1_11comp_targetILNS1_3genE3ELNS1_11target_archE908ELNS1_3gpuE7ELNS1_3repE0EEENS1_30default_config_static_selectorELNS0_4arch9wavefront6targetE1EEEvT1_,comdat
.Lfunc_end2678:
	.size	_ZN7rocprim17ROCPRIM_400000_NS6detail17trampoline_kernelINS0_14default_configENS1_25partition_config_selectorILNS1_17partition_subalgoE0ExNS0_10empty_typeEbEEZZNS1_14partition_implILS5_0ELb0ES3_jN6thrust23THRUST_200600_302600_NS6detail15normal_iteratorINSA_10device_ptrIxEEEEPS6_SG_NS0_5tupleIJNSA_16discard_iteratorINSA_11use_defaultEEESF_EEENSH_IJSG_SG_EEES6_PlJ7is_evenIxEEEE10hipError_tPvRmT3_T4_T5_T6_T7_T9_mT8_P12ihipStream_tbDpT10_ENKUlT_T0_E_clISt17integral_constantIbLb0EES18_IbLb1EEEEDaS14_S15_EUlS14_E_NS1_11comp_targetILNS1_3genE3ELNS1_11target_archE908ELNS1_3gpuE7ELNS1_3repE0EEENS1_30default_config_static_selectorELNS0_4arch9wavefront6targetE1EEEvT1_, .Lfunc_end2678-_ZN7rocprim17ROCPRIM_400000_NS6detail17trampoline_kernelINS0_14default_configENS1_25partition_config_selectorILNS1_17partition_subalgoE0ExNS0_10empty_typeEbEEZZNS1_14partition_implILS5_0ELb0ES3_jN6thrust23THRUST_200600_302600_NS6detail15normal_iteratorINSA_10device_ptrIxEEEEPS6_SG_NS0_5tupleIJNSA_16discard_iteratorINSA_11use_defaultEEESF_EEENSH_IJSG_SG_EEES6_PlJ7is_evenIxEEEE10hipError_tPvRmT3_T4_T5_T6_T7_T9_mT8_P12ihipStream_tbDpT10_ENKUlT_T0_E_clISt17integral_constantIbLb0EES18_IbLb1EEEEDaS14_S15_EUlS14_E_NS1_11comp_targetILNS1_3genE3ELNS1_11target_archE908ELNS1_3gpuE7ELNS1_3repE0EEENS1_30default_config_static_selectorELNS0_4arch9wavefront6targetE1EEEvT1_
                                        ; -- End function
	.section	.AMDGPU.csdata,"",@progbits
; Kernel info:
; codeLenInByte = 0
; NumSgprs: 4
; NumVgprs: 0
; NumAgprs: 0
; TotalNumVgprs: 0
; ScratchSize: 0
; MemoryBound: 0
; FloatMode: 240
; IeeeMode: 1
; LDSByteSize: 0 bytes/workgroup (compile time only)
; SGPRBlocks: 0
; VGPRBlocks: 0
; NumSGPRsForWavesPerEU: 4
; NumVGPRsForWavesPerEU: 1
; AccumOffset: 4
; Occupancy: 8
; WaveLimiterHint : 0
; COMPUTE_PGM_RSRC2:SCRATCH_EN: 0
; COMPUTE_PGM_RSRC2:USER_SGPR: 6
; COMPUTE_PGM_RSRC2:TRAP_HANDLER: 0
; COMPUTE_PGM_RSRC2:TGID_X_EN: 1
; COMPUTE_PGM_RSRC2:TGID_Y_EN: 0
; COMPUTE_PGM_RSRC2:TGID_Z_EN: 0
; COMPUTE_PGM_RSRC2:TIDIG_COMP_CNT: 0
; COMPUTE_PGM_RSRC3_GFX90A:ACCUM_OFFSET: 0
; COMPUTE_PGM_RSRC3_GFX90A:TG_SPLIT: 0
	.section	.text._ZN7rocprim17ROCPRIM_400000_NS6detail17trampoline_kernelINS0_14default_configENS1_25partition_config_selectorILNS1_17partition_subalgoE0ExNS0_10empty_typeEbEEZZNS1_14partition_implILS5_0ELb0ES3_jN6thrust23THRUST_200600_302600_NS6detail15normal_iteratorINSA_10device_ptrIxEEEEPS6_SG_NS0_5tupleIJNSA_16discard_iteratorINSA_11use_defaultEEESF_EEENSH_IJSG_SG_EEES6_PlJ7is_evenIxEEEE10hipError_tPvRmT3_T4_T5_T6_T7_T9_mT8_P12ihipStream_tbDpT10_ENKUlT_T0_E_clISt17integral_constantIbLb0EES18_IbLb1EEEEDaS14_S15_EUlS14_E_NS1_11comp_targetILNS1_3genE2ELNS1_11target_archE906ELNS1_3gpuE6ELNS1_3repE0EEENS1_30default_config_static_selectorELNS0_4arch9wavefront6targetE1EEEvT1_,"axG",@progbits,_ZN7rocprim17ROCPRIM_400000_NS6detail17trampoline_kernelINS0_14default_configENS1_25partition_config_selectorILNS1_17partition_subalgoE0ExNS0_10empty_typeEbEEZZNS1_14partition_implILS5_0ELb0ES3_jN6thrust23THRUST_200600_302600_NS6detail15normal_iteratorINSA_10device_ptrIxEEEEPS6_SG_NS0_5tupleIJNSA_16discard_iteratorINSA_11use_defaultEEESF_EEENSH_IJSG_SG_EEES6_PlJ7is_evenIxEEEE10hipError_tPvRmT3_T4_T5_T6_T7_T9_mT8_P12ihipStream_tbDpT10_ENKUlT_T0_E_clISt17integral_constantIbLb0EES18_IbLb1EEEEDaS14_S15_EUlS14_E_NS1_11comp_targetILNS1_3genE2ELNS1_11target_archE906ELNS1_3gpuE6ELNS1_3repE0EEENS1_30default_config_static_selectorELNS0_4arch9wavefront6targetE1EEEvT1_,comdat
	.protected	_ZN7rocprim17ROCPRIM_400000_NS6detail17trampoline_kernelINS0_14default_configENS1_25partition_config_selectorILNS1_17partition_subalgoE0ExNS0_10empty_typeEbEEZZNS1_14partition_implILS5_0ELb0ES3_jN6thrust23THRUST_200600_302600_NS6detail15normal_iteratorINSA_10device_ptrIxEEEEPS6_SG_NS0_5tupleIJNSA_16discard_iteratorINSA_11use_defaultEEESF_EEENSH_IJSG_SG_EEES6_PlJ7is_evenIxEEEE10hipError_tPvRmT3_T4_T5_T6_T7_T9_mT8_P12ihipStream_tbDpT10_ENKUlT_T0_E_clISt17integral_constantIbLb0EES18_IbLb1EEEEDaS14_S15_EUlS14_E_NS1_11comp_targetILNS1_3genE2ELNS1_11target_archE906ELNS1_3gpuE6ELNS1_3repE0EEENS1_30default_config_static_selectorELNS0_4arch9wavefront6targetE1EEEvT1_ ; -- Begin function _ZN7rocprim17ROCPRIM_400000_NS6detail17trampoline_kernelINS0_14default_configENS1_25partition_config_selectorILNS1_17partition_subalgoE0ExNS0_10empty_typeEbEEZZNS1_14partition_implILS5_0ELb0ES3_jN6thrust23THRUST_200600_302600_NS6detail15normal_iteratorINSA_10device_ptrIxEEEEPS6_SG_NS0_5tupleIJNSA_16discard_iteratorINSA_11use_defaultEEESF_EEENSH_IJSG_SG_EEES6_PlJ7is_evenIxEEEE10hipError_tPvRmT3_T4_T5_T6_T7_T9_mT8_P12ihipStream_tbDpT10_ENKUlT_T0_E_clISt17integral_constantIbLb0EES18_IbLb1EEEEDaS14_S15_EUlS14_E_NS1_11comp_targetILNS1_3genE2ELNS1_11target_archE906ELNS1_3gpuE6ELNS1_3repE0EEENS1_30default_config_static_selectorELNS0_4arch9wavefront6targetE1EEEvT1_
	.globl	_ZN7rocprim17ROCPRIM_400000_NS6detail17trampoline_kernelINS0_14default_configENS1_25partition_config_selectorILNS1_17partition_subalgoE0ExNS0_10empty_typeEbEEZZNS1_14partition_implILS5_0ELb0ES3_jN6thrust23THRUST_200600_302600_NS6detail15normal_iteratorINSA_10device_ptrIxEEEEPS6_SG_NS0_5tupleIJNSA_16discard_iteratorINSA_11use_defaultEEESF_EEENSH_IJSG_SG_EEES6_PlJ7is_evenIxEEEE10hipError_tPvRmT3_T4_T5_T6_T7_T9_mT8_P12ihipStream_tbDpT10_ENKUlT_T0_E_clISt17integral_constantIbLb0EES18_IbLb1EEEEDaS14_S15_EUlS14_E_NS1_11comp_targetILNS1_3genE2ELNS1_11target_archE906ELNS1_3gpuE6ELNS1_3repE0EEENS1_30default_config_static_selectorELNS0_4arch9wavefront6targetE1EEEvT1_
	.p2align	8
	.type	_ZN7rocprim17ROCPRIM_400000_NS6detail17trampoline_kernelINS0_14default_configENS1_25partition_config_selectorILNS1_17partition_subalgoE0ExNS0_10empty_typeEbEEZZNS1_14partition_implILS5_0ELb0ES3_jN6thrust23THRUST_200600_302600_NS6detail15normal_iteratorINSA_10device_ptrIxEEEEPS6_SG_NS0_5tupleIJNSA_16discard_iteratorINSA_11use_defaultEEESF_EEENSH_IJSG_SG_EEES6_PlJ7is_evenIxEEEE10hipError_tPvRmT3_T4_T5_T6_T7_T9_mT8_P12ihipStream_tbDpT10_ENKUlT_T0_E_clISt17integral_constantIbLb0EES18_IbLb1EEEEDaS14_S15_EUlS14_E_NS1_11comp_targetILNS1_3genE2ELNS1_11target_archE906ELNS1_3gpuE6ELNS1_3repE0EEENS1_30default_config_static_selectorELNS0_4arch9wavefront6targetE1EEEvT1_,@function
_ZN7rocprim17ROCPRIM_400000_NS6detail17trampoline_kernelINS0_14default_configENS1_25partition_config_selectorILNS1_17partition_subalgoE0ExNS0_10empty_typeEbEEZZNS1_14partition_implILS5_0ELb0ES3_jN6thrust23THRUST_200600_302600_NS6detail15normal_iteratorINSA_10device_ptrIxEEEEPS6_SG_NS0_5tupleIJNSA_16discard_iteratorINSA_11use_defaultEEESF_EEENSH_IJSG_SG_EEES6_PlJ7is_evenIxEEEE10hipError_tPvRmT3_T4_T5_T6_T7_T9_mT8_P12ihipStream_tbDpT10_ENKUlT_T0_E_clISt17integral_constantIbLb0EES18_IbLb1EEEEDaS14_S15_EUlS14_E_NS1_11comp_targetILNS1_3genE2ELNS1_11target_archE906ELNS1_3gpuE6ELNS1_3repE0EEENS1_30default_config_static_selectorELNS0_4arch9wavefront6targetE1EEEvT1_: ; @_ZN7rocprim17ROCPRIM_400000_NS6detail17trampoline_kernelINS0_14default_configENS1_25partition_config_selectorILNS1_17partition_subalgoE0ExNS0_10empty_typeEbEEZZNS1_14partition_implILS5_0ELb0ES3_jN6thrust23THRUST_200600_302600_NS6detail15normal_iteratorINSA_10device_ptrIxEEEEPS6_SG_NS0_5tupleIJNSA_16discard_iteratorINSA_11use_defaultEEESF_EEENSH_IJSG_SG_EEES6_PlJ7is_evenIxEEEE10hipError_tPvRmT3_T4_T5_T6_T7_T9_mT8_P12ihipStream_tbDpT10_ENKUlT_T0_E_clISt17integral_constantIbLb0EES18_IbLb1EEEEDaS14_S15_EUlS14_E_NS1_11comp_targetILNS1_3genE2ELNS1_11target_archE906ELNS1_3gpuE6ELNS1_3repE0EEENS1_30default_config_static_selectorELNS0_4arch9wavefront6targetE1EEEvT1_
; %bb.0:
	.section	.rodata,"a",@progbits
	.p2align	6, 0x0
	.amdhsa_kernel _ZN7rocprim17ROCPRIM_400000_NS6detail17trampoline_kernelINS0_14default_configENS1_25partition_config_selectorILNS1_17partition_subalgoE0ExNS0_10empty_typeEbEEZZNS1_14partition_implILS5_0ELb0ES3_jN6thrust23THRUST_200600_302600_NS6detail15normal_iteratorINSA_10device_ptrIxEEEEPS6_SG_NS0_5tupleIJNSA_16discard_iteratorINSA_11use_defaultEEESF_EEENSH_IJSG_SG_EEES6_PlJ7is_evenIxEEEE10hipError_tPvRmT3_T4_T5_T6_T7_T9_mT8_P12ihipStream_tbDpT10_ENKUlT_T0_E_clISt17integral_constantIbLb0EES18_IbLb1EEEEDaS14_S15_EUlS14_E_NS1_11comp_targetILNS1_3genE2ELNS1_11target_archE906ELNS1_3gpuE6ELNS1_3repE0EEENS1_30default_config_static_selectorELNS0_4arch9wavefront6targetE1EEEvT1_
		.amdhsa_group_segment_fixed_size 0
		.amdhsa_private_segment_fixed_size 0
		.amdhsa_kernarg_size 144
		.amdhsa_user_sgpr_count 6
		.amdhsa_user_sgpr_private_segment_buffer 1
		.amdhsa_user_sgpr_dispatch_ptr 0
		.amdhsa_user_sgpr_queue_ptr 0
		.amdhsa_user_sgpr_kernarg_segment_ptr 1
		.amdhsa_user_sgpr_dispatch_id 0
		.amdhsa_user_sgpr_flat_scratch_init 0
		.amdhsa_user_sgpr_kernarg_preload_length 0
		.amdhsa_user_sgpr_kernarg_preload_offset 0
		.amdhsa_user_sgpr_private_segment_size 0
		.amdhsa_uses_dynamic_stack 0
		.amdhsa_system_sgpr_private_segment_wavefront_offset 0
		.amdhsa_system_sgpr_workgroup_id_x 1
		.amdhsa_system_sgpr_workgroup_id_y 0
		.amdhsa_system_sgpr_workgroup_id_z 0
		.amdhsa_system_sgpr_workgroup_info 0
		.amdhsa_system_vgpr_workitem_id 0
		.amdhsa_next_free_vgpr 1
		.amdhsa_next_free_sgpr 0
		.amdhsa_accum_offset 4
		.amdhsa_reserve_vcc 0
		.amdhsa_reserve_flat_scratch 0
		.amdhsa_float_round_mode_32 0
		.amdhsa_float_round_mode_16_64 0
		.amdhsa_float_denorm_mode_32 3
		.amdhsa_float_denorm_mode_16_64 3
		.amdhsa_dx10_clamp 1
		.amdhsa_ieee_mode 1
		.amdhsa_fp16_overflow 0
		.amdhsa_tg_split 0
		.amdhsa_exception_fp_ieee_invalid_op 0
		.amdhsa_exception_fp_denorm_src 0
		.amdhsa_exception_fp_ieee_div_zero 0
		.amdhsa_exception_fp_ieee_overflow 0
		.amdhsa_exception_fp_ieee_underflow 0
		.amdhsa_exception_fp_ieee_inexact 0
		.amdhsa_exception_int_div_zero 0
	.end_amdhsa_kernel
	.section	.text._ZN7rocprim17ROCPRIM_400000_NS6detail17trampoline_kernelINS0_14default_configENS1_25partition_config_selectorILNS1_17partition_subalgoE0ExNS0_10empty_typeEbEEZZNS1_14partition_implILS5_0ELb0ES3_jN6thrust23THRUST_200600_302600_NS6detail15normal_iteratorINSA_10device_ptrIxEEEEPS6_SG_NS0_5tupleIJNSA_16discard_iteratorINSA_11use_defaultEEESF_EEENSH_IJSG_SG_EEES6_PlJ7is_evenIxEEEE10hipError_tPvRmT3_T4_T5_T6_T7_T9_mT8_P12ihipStream_tbDpT10_ENKUlT_T0_E_clISt17integral_constantIbLb0EES18_IbLb1EEEEDaS14_S15_EUlS14_E_NS1_11comp_targetILNS1_3genE2ELNS1_11target_archE906ELNS1_3gpuE6ELNS1_3repE0EEENS1_30default_config_static_selectorELNS0_4arch9wavefront6targetE1EEEvT1_,"axG",@progbits,_ZN7rocprim17ROCPRIM_400000_NS6detail17trampoline_kernelINS0_14default_configENS1_25partition_config_selectorILNS1_17partition_subalgoE0ExNS0_10empty_typeEbEEZZNS1_14partition_implILS5_0ELb0ES3_jN6thrust23THRUST_200600_302600_NS6detail15normal_iteratorINSA_10device_ptrIxEEEEPS6_SG_NS0_5tupleIJNSA_16discard_iteratorINSA_11use_defaultEEESF_EEENSH_IJSG_SG_EEES6_PlJ7is_evenIxEEEE10hipError_tPvRmT3_T4_T5_T6_T7_T9_mT8_P12ihipStream_tbDpT10_ENKUlT_T0_E_clISt17integral_constantIbLb0EES18_IbLb1EEEEDaS14_S15_EUlS14_E_NS1_11comp_targetILNS1_3genE2ELNS1_11target_archE906ELNS1_3gpuE6ELNS1_3repE0EEENS1_30default_config_static_selectorELNS0_4arch9wavefront6targetE1EEEvT1_,comdat
.Lfunc_end2679:
	.size	_ZN7rocprim17ROCPRIM_400000_NS6detail17trampoline_kernelINS0_14default_configENS1_25partition_config_selectorILNS1_17partition_subalgoE0ExNS0_10empty_typeEbEEZZNS1_14partition_implILS5_0ELb0ES3_jN6thrust23THRUST_200600_302600_NS6detail15normal_iteratorINSA_10device_ptrIxEEEEPS6_SG_NS0_5tupleIJNSA_16discard_iteratorINSA_11use_defaultEEESF_EEENSH_IJSG_SG_EEES6_PlJ7is_evenIxEEEE10hipError_tPvRmT3_T4_T5_T6_T7_T9_mT8_P12ihipStream_tbDpT10_ENKUlT_T0_E_clISt17integral_constantIbLb0EES18_IbLb1EEEEDaS14_S15_EUlS14_E_NS1_11comp_targetILNS1_3genE2ELNS1_11target_archE906ELNS1_3gpuE6ELNS1_3repE0EEENS1_30default_config_static_selectorELNS0_4arch9wavefront6targetE1EEEvT1_, .Lfunc_end2679-_ZN7rocprim17ROCPRIM_400000_NS6detail17trampoline_kernelINS0_14default_configENS1_25partition_config_selectorILNS1_17partition_subalgoE0ExNS0_10empty_typeEbEEZZNS1_14partition_implILS5_0ELb0ES3_jN6thrust23THRUST_200600_302600_NS6detail15normal_iteratorINSA_10device_ptrIxEEEEPS6_SG_NS0_5tupleIJNSA_16discard_iteratorINSA_11use_defaultEEESF_EEENSH_IJSG_SG_EEES6_PlJ7is_evenIxEEEE10hipError_tPvRmT3_T4_T5_T6_T7_T9_mT8_P12ihipStream_tbDpT10_ENKUlT_T0_E_clISt17integral_constantIbLb0EES18_IbLb1EEEEDaS14_S15_EUlS14_E_NS1_11comp_targetILNS1_3genE2ELNS1_11target_archE906ELNS1_3gpuE6ELNS1_3repE0EEENS1_30default_config_static_selectorELNS0_4arch9wavefront6targetE1EEEvT1_
                                        ; -- End function
	.section	.AMDGPU.csdata,"",@progbits
; Kernel info:
; codeLenInByte = 0
; NumSgprs: 4
; NumVgprs: 0
; NumAgprs: 0
; TotalNumVgprs: 0
; ScratchSize: 0
; MemoryBound: 0
; FloatMode: 240
; IeeeMode: 1
; LDSByteSize: 0 bytes/workgroup (compile time only)
; SGPRBlocks: 0
; VGPRBlocks: 0
; NumSGPRsForWavesPerEU: 4
; NumVGPRsForWavesPerEU: 1
; AccumOffset: 4
; Occupancy: 8
; WaveLimiterHint : 0
; COMPUTE_PGM_RSRC2:SCRATCH_EN: 0
; COMPUTE_PGM_RSRC2:USER_SGPR: 6
; COMPUTE_PGM_RSRC2:TRAP_HANDLER: 0
; COMPUTE_PGM_RSRC2:TGID_X_EN: 1
; COMPUTE_PGM_RSRC2:TGID_Y_EN: 0
; COMPUTE_PGM_RSRC2:TGID_Z_EN: 0
; COMPUTE_PGM_RSRC2:TIDIG_COMP_CNT: 0
; COMPUTE_PGM_RSRC3_GFX90A:ACCUM_OFFSET: 0
; COMPUTE_PGM_RSRC3_GFX90A:TG_SPLIT: 0
	.section	.text._ZN7rocprim17ROCPRIM_400000_NS6detail17trampoline_kernelINS0_14default_configENS1_25partition_config_selectorILNS1_17partition_subalgoE0ExNS0_10empty_typeEbEEZZNS1_14partition_implILS5_0ELb0ES3_jN6thrust23THRUST_200600_302600_NS6detail15normal_iteratorINSA_10device_ptrIxEEEEPS6_SG_NS0_5tupleIJNSA_16discard_iteratorINSA_11use_defaultEEESF_EEENSH_IJSG_SG_EEES6_PlJ7is_evenIxEEEE10hipError_tPvRmT3_T4_T5_T6_T7_T9_mT8_P12ihipStream_tbDpT10_ENKUlT_T0_E_clISt17integral_constantIbLb0EES18_IbLb1EEEEDaS14_S15_EUlS14_E_NS1_11comp_targetILNS1_3genE10ELNS1_11target_archE1200ELNS1_3gpuE4ELNS1_3repE0EEENS1_30default_config_static_selectorELNS0_4arch9wavefront6targetE1EEEvT1_,"axG",@progbits,_ZN7rocprim17ROCPRIM_400000_NS6detail17trampoline_kernelINS0_14default_configENS1_25partition_config_selectorILNS1_17partition_subalgoE0ExNS0_10empty_typeEbEEZZNS1_14partition_implILS5_0ELb0ES3_jN6thrust23THRUST_200600_302600_NS6detail15normal_iteratorINSA_10device_ptrIxEEEEPS6_SG_NS0_5tupleIJNSA_16discard_iteratorINSA_11use_defaultEEESF_EEENSH_IJSG_SG_EEES6_PlJ7is_evenIxEEEE10hipError_tPvRmT3_T4_T5_T6_T7_T9_mT8_P12ihipStream_tbDpT10_ENKUlT_T0_E_clISt17integral_constantIbLb0EES18_IbLb1EEEEDaS14_S15_EUlS14_E_NS1_11comp_targetILNS1_3genE10ELNS1_11target_archE1200ELNS1_3gpuE4ELNS1_3repE0EEENS1_30default_config_static_selectorELNS0_4arch9wavefront6targetE1EEEvT1_,comdat
	.protected	_ZN7rocprim17ROCPRIM_400000_NS6detail17trampoline_kernelINS0_14default_configENS1_25partition_config_selectorILNS1_17partition_subalgoE0ExNS0_10empty_typeEbEEZZNS1_14partition_implILS5_0ELb0ES3_jN6thrust23THRUST_200600_302600_NS6detail15normal_iteratorINSA_10device_ptrIxEEEEPS6_SG_NS0_5tupleIJNSA_16discard_iteratorINSA_11use_defaultEEESF_EEENSH_IJSG_SG_EEES6_PlJ7is_evenIxEEEE10hipError_tPvRmT3_T4_T5_T6_T7_T9_mT8_P12ihipStream_tbDpT10_ENKUlT_T0_E_clISt17integral_constantIbLb0EES18_IbLb1EEEEDaS14_S15_EUlS14_E_NS1_11comp_targetILNS1_3genE10ELNS1_11target_archE1200ELNS1_3gpuE4ELNS1_3repE0EEENS1_30default_config_static_selectorELNS0_4arch9wavefront6targetE1EEEvT1_ ; -- Begin function _ZN7rocprim17ROCPRIM_400000_NS6detail17trampoline_kernelINS0_14default_configENS1_25partition_config_selectorILNS1_17partition_subalgoE0ExNS0_10empty_typeEbEEZZNS1_14partition_implILS5_0ELb0ES3_jN6thrust23THRUST_200600_302600_NS6detail15normal_iteratorINSA_10device_ptrIxEEEEPS6_SG_NS0_5tupleIJNSA_16discard_iteratorINSA_11use_defaultEEESF_EEENSH_IJSG_SG_EEES6_PlJ7is_evenIxEEEE10hipError_tPvRmT3_T4_T5_T6_T7_T9_mT8_P12ihipStream_tbDpT10_ENKUlT_T0_E_clISt17integral_constantIbLb0EES18_IbLb1EEEEDaS14_S15_EUlS14_E_NS1_11comp_targetILNS1_3genE10ELNS1_11target_archE1200ELNS1_3gpuE4ELNS1_3repE0EEENS1_30default_config_static_selectorELNS0_4arch9wavefront6targetE1EEEvT1_
	.globl	_ZN7rocprim17ROCPRIM_400000_NS6detail17trampoline_kernelINS0_14default_configENS1_25partition_config_selectorILNS1_17partition_subalgoE0ExNS0_10empty_typeEbEEZZNS1_14partition_implILS5_0ELb0ES3_jN6thrust23THRUST_200600_302600_NS6detail15normal_iteratorINSA_10device_ptrIxEEEEPS6_SG_NS0_5tupleIJNSA_16discard_iteratorINSA_11use_defaultEEESF_EEENSH_IJSG_SG_EEES6_PlJ7is_evenIxEEEE10hipError_tPvRmT3_T4_T5_T6_T7_T9_mT8_P12ihipStream_tbDpT10_ENKUlT_T0_E_clISt17integral_constantIbLb0EES18_IbLb1EEEEDaS14_S15_EUlS14_E_NS1_11comp_targetILNS1_3genE10ELNS1_11target_archE1200ELNS1_3gpuE4ELNS1_3repE0EEENS1_30default_config_static_selectorELNS0_4arch9wavefront6targetE1EEEvT1_
	.p2align	8
	.type	_ZN7rocprim17ROCPRIM_400000_NS6detail17trampoline_kernelINS0_14default_configENS1_25partition_config_selectorILNS1_17partition_subalgoE0ExNS0_10empty_typeEbEEZZNS1_14partition_implILS5_0ELb0ES3_jN6thrust23THRUST_200600_302600_NS6detail15normal_iteratorINSA_10device_ptrIxEEEEPS6_SG_NS0_5tupleIJNSA_16discard_iteratorINSA_11use_defaultEEESF_EEENSH_IJSG_SG_EEES6_PlJ7is_evenIxEEEE10hipError_tPvRmT3_T4_T5_T6_T7_T9_mT8_P12ihipStream_tbDpT10_ENKUlT_T0_E_clISt17integral_constantIbLb0EES18_IbLb1EEEEDaS14_S15_EUlS14_E_NS1_11comp_targetILNS1_3genE10ELNS1_11target_archE1200ELNS1_3gpuE4ELNS1_3repE0EEENS1_30default_config_static_selectorELNS0_4arch9wavefront6targetE1EEEvT1_,@function
_ZN7rocprim17ROCPRIM_400000_NS6detail17trampoline_kernelINS0_14default_configENS1_25partition_config_selectorILNS1_17partition_subalgoE0ExNS0_10empty_typeEbEEZZNS1_14partition_implILS5_0ELb0ES3_jN6thrust23THRUST_200600_302600_NS6detail15normal_iteratorINSA_10device_ptrIxEEEEPS6_SG_NS0_5tupleIJNSA_16discard_iteratorINSA_11use_defaultEEESF_EEENSH_IJSG_SG_EEES6_PlJ7is_evenIxEEEE10hipError_tPvRmT3_T4_T5_T6_T7_T9_mT8_P12ihipStream_tbDpT10_ENKUlT_T0_E_clISt17integral_constantIbLb0EES18_IbLb1EEEEDaS14_S15_EUlS14_E_NS1_11comp_targetILNS1_3genE10ELNS1_11target_archE1200ELNS1_3gpuE4ELNS1_3repE0EEENS1_30default_config_static_selectorELNS0_4arch9wavefront6targetE1EEEvT1_: ; @_ZN7rocprim17ROCPRIM_400000_NS6detail17trampoline_kernelINS0_14default_configENS1_25partition_config_selectorILNS1_17partition_subalgoE0ExNS0_10empty_typeEbEEZZNS1_14partition_implILS5_0ELb0ES3_jN6thrust23THRUST_200600_302600_NS6detail15normal_iteratorINSA_10device_ptrIxEEEEPS6_SG_NS0_5tupleIJNSA_16discard_iteratorINSA_11use_defaultEEESF_EEENSH_IJSG_SG_EEES6_PlJ7is_evenIxEEEE10hipError_tPvRmT3_T4_T5_T6_T7_T9_mT8_P12ihipStream_tbDpT10_ENKUlT_T0_E_clISt17integral_constantIbLb0EES18_IbLb1EEEEDaS14_S15_EUlS14_E_NS1_11comp_targetILNS1_3genE10ELNS1_11target_archE1200ELNS1_3gpuE4ELNS1_3repE0EEENS1_30default_config_static_selectorELNS0_4arch9wavefront6targetE1EEEvT1_
; %bb.0:
	.section	.rodata,"a",@progbits
	.p2align	6, 0x0
	.amdhsa_kernel _ZN7rocprim17ROCPRIM_400000_NS6detail17trampoline_kernelINS0_14default_configENS1_25partition_config_selectorILNS1_17partition_subalgoE0ExNS0_10empty_typeEbEEZZNS1_14partition_implILS5_0ELb0ES3_jN6thrust23THRUST_200600_302600_NS6detail15normal_iteratorINSA_10device_ptrIxEEEEPS6_SG_NS0_5tupleIJNSA_16discard_iteratorINSA_11use_defaultEEESF_EEENSH_IJSG_SG_EEES6_PlJ7is_evenIxEEEE10hipError_tPvRmT3_T4_T5_T6_T7_T9_mT8_P12ihipStream_tbDpT10_ENKUlT_T0_E_clISt17integral_constantIbLb0EES18_IbLb1EEEEDaS14_S15_EUlS14_E_NS1_11comp_targetILNS1_3genE10ELNS1_11target_archE1200ELNS1_3gpuE4ELNS1_3repE0EEENS1_30default_config_static_selectorELNS0_4arch9wavefront6targetE1EEEvT1_
		.amdhsa_group_segment_fixed_size 0
		.amdhsa_private_segment_fixed_size 0
		.amdhsa_kernarg_size 144
		.amdhsa_user_sgpr_count 6
		.amdhsa_user_sgpr_private_segment_buffer 1
		.amdhsa_user_sgpr_dispatch_ptr 0
		.amdhsa_user_sgpr_queue_ptr 0
		.amdhsa_user_sgpr_kernarg_segment_ptr 1
		.amdhsa_user_sgpr_dispatch_id 0
		.amdhsa_user_sgpr_flat_scratch_init 0
		.amdhsa_user_sgpr_kernarg_preload_length 0
		.amdhsa_user_sgpr_kernarg_preload_offset 0
		.amdhsa_user_sgpr_private_segment_size 0
		.amdhsa_uses_dynamic_stack 0
		.amdhsa_system_sgpr_private_segment_wavefront_offset 0
		.amdhsa_system_sgpr_workgroup_id_x 1
		.amdhsa_system_sgpr_workgroup_id_y 0
		.amdhsa_system_sgpr_workgroup_id_z 0
		.amdhsa_system_sgpr_workgroup_info 0
		.amdhsa_system_vgpr_workitem_id 0
		.amdhsa_next_free_vgpr 1
		.amdhsa_next_free_sgpr 0
		.amdhsa_accum_offset 4
		.amdhsa_reserve_vcc 0
		.amdhsa_reserve_flat_scratch 0
		.amdhsa_float_round_mode_32 0
		.amdhsa_float_round_mode_16_64 0
		.amdhsa_float_denorm_mode_32 3
		.amdhsa_float_denorm_mode_16_64 3
		.amdhsa_dx10_clamp 1
		.amdhsa_ieee_mode 1
		.amdhsa_fp16_overflow 0
		.amdhsa_tg_split 0
		.amdhsa_exception_fp_ieee_invalid_op 0
		.amdhsa_exception_fp_denorm_src 0
		.amdhsa_exception_fp_ieee_div_zero 0
		.amdhsa_exception_fp_ieee_overflow 0
		.amdhsa_exception_fp_ieee_underflow 0
		.amdhsa_exception_fp_ieee_inexact 0
		.amdhsa_exception_int_div_zero 0
	.end_amdhsa_kernel
	.section	.text._ZN7rocprim17ROCPRIM_400000_NS6detail17trampoline_kernelINS0_14default_configENS1_25partition_config_selectorILNS1_17partition_subalgoE0ExNS0_10empty_typeEbEEZZNS1_14partition_implILS5_0ELb0ES3_jN6thrust23THRUST_200600_302600_NS6detail15normal_iteratorINSA_10device_ptrIxEEEEPS6_SG_NS0_5tupleIJNSA_16discard_iteratorINSA_11use_defaultEEESF_EEENSH_IJSG_SG_EEES6_PlJ7is_evenIxEEEE10hipError_tPvRmT3_T4_T5_T6_T7_T9_mT8_P12ihipStream_tbDpT10_ENKUlT_T0_E_clISt17integral_constantIbLb0EES18_IbLb1EEEEDaS14_S15_EUlS14_E_NS1_11comp_targetILNS1_3genE10ELNS1_11target_archE1200ELNS1_3gpuE4ELNS1_3repE0EEENS1_30default_config_static_selectorELNS0_4arch9wavefront6targetE1EEEvT1_,"axG",@progbits,_ZN7rocprim17ROCPRIM_400000_NS6detail17trampoline_kernelINS0_14default_configENS1_25partition_config_selectorILNS1_17partition_subalgoE0ExNS0_10empty_typeEbEEZZNS1_14partition_implILS5_0ELb0ES3_jN6thrust23THRUST_200600_302600_NS6detail15normal_iteratorINSA_10device_ptrIxEEEEPS6_SG_NS0_5tupleIJNSA_16discard_iteratorINSA_11use_defaultEEESF_EEENSH_IJSG_SG_EEES6_PlJ7is_evenIxEEEE10hipError_tPvRmT3_T4_T5_T6_T7_T9_mT8_P12ihipStream_tbDpT10_ENKUlT_T0_E_clISt17integral_constantIbLb0EES18_IbLb1EEEEDaS14_S15_EUlS14_E_NS1_11comp_targetILNS1_3genE10ELNS1_11target_archE1200ELNS1_3gpuE4ELNS1_3repE0EEENS1_30default_config_static_selectorELNS0_4arch9wavefront6targetE1EEEvT1_,comdat
.Lfunc_end2680:
	.size	_ZN7rocprim17ROCPRIM_400000_NS6detail17trampoline_kernelINS0_14default_configENS1_25partition_config_selectorILNS1_17partition_subalgoE0ExNS0_10empty_typeEbEEZZNS1_14partition_implILS5_0ELb0ES3_jN6thrust23THRUST_200600_302600_NS6detail15normal_iteratorINSA_10device_ptrIxEEEEPS6_SG_NS0_5tupleIJNSA_16discard_iteratorINSA_11use_defaultEEESF_EEENSH_IJSG_SG_EEES6_PlJ7is_evenIxEEEE10hipError_tPvRmT3_T4_T5_T6_T7_T9_mT8_P12ihipStream_tbDpT10_ENKUlT_T0_E_clISt17integral_constantIbLb0EES18_IbLb1EEEEDaS14_S15_EUlS14_E_NS1_11comp_targetILNS1_3genE10ELNS1_11target_archE1200ELNS1_3gpuE4ELNS1_3repE0EEENS1_30default_config_static_selectorELNS0_4arch9wavefront6targetE1EEEvT1_, .Lfunc_end2680-_ZN7rocprim17ROCPRIM_400000_NS6detail17trampoline_kernelINS0_14default_configENS1_25partition_config_selectorILNS1_17partition_subalgoE0ExNS0_10empty_typeEbEEZZNS1_14partition_implILS5_0ELb0ES3_jN6thrust23THRUST_200600_302600_NS6detail15normal_iteratorINSA_10device_ptrIxEEEEPS6_SG_NS0_5tupleIJNSA_16discard_iteratorINSA_11use_defaultEEESF_EEENSH_IJSG_SG_EEES6_PlJ7is_evenIxEEEE10hipError_tPvRmT3_T4_T5_T6_T7_T9_mT8_P12ihipStream_tbDpT10_ENKUlT_T0_E_clISt17integral_constantIbLb0EES18_IbLb1EEEEDaS14_S15_EUlS14_E_NS1_11comp_targetILNS1_3genE10ELNS1_11target_archE1200ELNS1_3gpuE4ELNS1_3repE0EEENS1_30default_config_static_selectorELNS0_4arch9wavefront6targetE1EEEvT1_
                                        ; -- End function
	.section	.AMDGPU.csdata,"",@progbits
; Kernel info:
; codeLenInByte = 0
; NumSgprs: 4
; NumVgprs: 0
; NumAgprs: 0
; TotalNumVgprs: 0
; ScratchSize: 0
; MemoryBound: 0
; FloatMode: 240
; IeeeMode: 1
; LDSByteSize: 0 bytes/workgroup (compile time only)
; SGPRBlocks: 0
; VGPRBlocks: 0
; NumSGPRsForWavesPerEU: 4
; NumVGPRsForWavesPerEU: 1
; AccumOffset: 4
; Occupancy: 8
; WaveLimiterHint : 0
; COMPUTE_PGM_RSRC2:SCRATCH_EN: 0
; COMPUTE_PGM_RSRC2:USER_SGPR: 6
; COMPUTE_PGM_RSRC2:TRAP_HANDLER: 0
; COMPUTE_PGM_RSRC2:TGID_X_EN: 1
; COMPUTE_PGM_RSRC2:TGID_Y_EN: 0
; COMPUTE_PGM_RSRC2:TGID_Z_EN: 0
; COMPUTE_PGM_RSRC2:TIDIG_COMP_CNT: 0
; COMPUTE_PGM_RSRC3_GFX90A:ACCUM_OFFSET: 0
; COMPUTE_PGM_RSRC3_GFX90A:TG_SPLIT: 0
	.section	.text._ZN7rocprim17ROCPRIM_400000_NS6detail17trampoline_kernelINS0_14default_configENS1_25partition_config_selectorILNS1_17partition_subalgoE0ExNS0_10empty_typeEbEEZZNS1_14partition_implILS5_0ELb0ES3_jN6thrust23THRUST_200600_302600_NS6detail15normal_iteratorINSA_10device_ptrIxEEEEPS6_SG_NS0_5tupleIJNSA_16discard_iteratorINSA_11use_defaultEEESF_EEENSH_IJSG_SG_EEES6_PlJ7is_evenIxEEEE10hipError_tPvRmT3_T4_T5_T6_T7_T9_mT8_P12ihipStream_tbDpT10_ENKUlT_T0_E_clISt17integral_constantIbLb0EES18_IbLb1EEEEDaS14_S15_EUlS14_E_NS1_11comp_targetILNS1_3genE9ELNS1_11target_archE1100ELNS1_3gpuE3ELNS1_3repE0EEENS1_30default_config_static_selectorELNS0_4arch9wavefront6targetE1EEEvT1_,"axG",@progbits,_ZN7rocprim17ROCPRIM_400000_NS6detail17trampoline_kernelINS0_14default_configENS1_25partition_config_selectorILNS1_17partition_subalgoE0ExNS0_10empty_typeEbEEZZNS1_14partition_implILS5_0ELb0ES3_jN6thrust23THRUST_200600_302600_NS6detail15normal_iteratorINSA_10device_ptrIxEEEEPS6_SG_NS0_5tupleIJNSA_16discard_iteratorINSA_11use_defaultEEESF_EEENSH_IJSG_SG_EEES6_PlJ7is_evenIxEEEE10hipError_tPvRmT3_T4_T5_T6_T7_T9_mT8_P12ihipStream_tbDpT10_ENKUlT_T0_E_clISt17integral_constantIbLb0EES18_IbLb1EEEEDaS14_S15_EUlS14_E_NS1_11comp_targetILNS1_3genE9ELNS1_11target_archE1100ELNS1_3gpuE3ELNS1_3repE0EEENS1_30default_config_static_selectorELNS0_4arch9wavefront6targetE1EEEvT1_,comdat
	.protected	_ZN7rocprim17ROCPRIM_400000_NS6detail17trampoline_kernelINS0_14default_configENS1_25partition_config_selectorILNS1_17partition_subalgoE0ExNS0_10empty_typeEbEEZZNS1_14partition_implILS5_0ELb0ES3_jN6thrust23THRUST_200600_302600_NS6detail15normal_iteratorINSA_10device_ptrIxEEEEPS6_SG_NS0_5tupleIJNSA_16discard_iteratorINSA_11use_defaultEEESF_EEENSH_IJSG_SG_EEES6_PlJ7is_evenIxEEEE10hipError_tPvRmT3_T4_T5_T6_T7_T9_mT8_P12ihipStream_tbDpT10_ENKUlT_T0_E_clISt17integral_constantIbLb0EES18_IbLb1EEEEDaS14_S15_EUlS14_E_NS1_11comp_targetILNS1_3genE9ELNS1_11target_archE1100ELNS1_3gpuE3ELNS1_3repE0EEENS1_30default_config_static_selectorELNS0_4arch9wavefront6targetE1EEEvT1_ ; -- Begin function _ZN7rocprim17ROCPRIM_400000_NS6detail17trampoline_kernelINS0_14default_configENS1_25partition_config_selectorILNS1_17partition_subalgoE0ExNS0_10empty_typeEbEEZZNS1_14partition_implILS5_0ELb0ES3_jN6thrust23THRUST_200600_302600_NS6detail15normal_iteratorINSA_10device_ptrIxEEEEPS6_SG_NS0_5tupleIJNSA_16discard_iteratorINSA_11use_defaultEEESF_EEENSH_IJSG_SG_EEES6_PlJ7is_evenIxEEEE10hipError_tPvRmT3_T4_T5_T6_T7_T9_mT8_P12ihipStream_tbDpT10_ENKUlT_T0_E_clISt17integral_constantIbLb0EES18_IbLb1EEEEDaS14_S15_EUlS14_E_NS1_11comp_targetILNS1_3genE9ELNS1_11target_archE1100ELNS1_3gpuE3ELNS1_3repE0EEENS1_30default_config_static_selectorELNS0_4arch9wavefront6targetE1EEEvT1_
	.globl	_ZN7rocprim17ROCPRIM_400000_NS6detail17trampoline_kernelINS0_14default_configENS1_25partition_config_selectorILNS1_17partition_subalgoE0ExNS0_10empty_typeEbEEZZNS1_14partition_implILS5_0ELb0ES3_jN6thrust23THRUST_200600_302600_NS6detail15normal_iteratorINSA_10device_ptrIxEEEEPS6_SG_NS0_5tupleIJNSA_16discard_iteratorINSA_11use_defaultEEESF_EEENSH_IJSG_SG_EEES6_PlJ7is_evenIxEEEE10hipError_tPvRmT3_T4_T5_T6_T7_T9_mT8_P12ihipStream_tbDpT10_ENKUlT_T0_E_clISt17integral_constantIbLb0EES18_IbLb1EEEEDaS14_S15_EUlS14_E_NS1_11comp_targetILNS1_3genE9ELNS1_11target_archE1100ELNS1_3gpuE3ELNS1_3repE0EEENS1_30default_config_static_selectorELNS0_4arch9wavefront6targetE1EEEvT1_
	.p2align	8
	.type	_ZN7rocprim17ROCPRIM_400000_NS6detail17trampoline_kernelINS0_14default_configENS1_25partition_config_selectorILNS1_17partition_subalgoE0ExNS0_10empty_typeEbEEZZNS1_14partition_implILS5_0ELb0ES3_jN6thrust23THRUST_200600_302600_NS6detail15normal_iteratorINSA_10device_ptrIxEEEEPS6_SG_NS0_5tupleIJNSA_16discard_iteratorINSA_11use_defaultEEESF_EEENSH_IJSG_SG_EEES6_PlJ7is_evenIxEEEE10hipError_tPvRmT3_T4_T5_T6_T7_T9_mT8_P12ihipStream_tbDpT10_ENKUlT_T0_E_clISt17integral_constantIbLb0EES18_IbLb1EEEEDaS14_S15_EUlS14_E_NS1_11comp_targetILNS1_3genE9ELNS1_11target_archE1100ELNS1_3gpuE3ELNS1_3repE0EEENS1_30default_config_static_selectorELNS0_4arch9wavefront6targetE1EEEvT1_,@function
_ZN7rocprim17ROCPRIM_400000_NS6detail17trampoline_kernelINS0_14default_configENS1_25partition_config_selectorILNS1_17partition_subalgoE0ExNS0_10empty_typeEbEEZZNS1_14partition_implILS5_0ELb0ES3_jN6thrust23THRUST_200600_302600_NS6detail15normal_iteratorINSA_10device_ptrIxEEEEPS6_SG_NS0_5tupleIJNSA_16discard_iteratorINSA_11use_defaultEEESF_EEENSH_IJSG_SG_EEES6_PlJ7is_evenIxEEEE10hipError_tPvRmT3_T4_T5_T6_T7_T9_mT8_P12ihipStream_tbDpT10_ENKUlT_T0_E_clISt17integral_constantIbLb0EES18_IbLb1EEEEDaS14_S15_EUlS14_E_NS1_11comp_targetILNS1_3genE9ELNS1_11target_archE1100ELNS1_3gpuE3ELNS1_3repE0EEENS1_30default_config_static_selectorELNS0_4arch9wavefront6targetE1EEEvT1_: ; @_ZN7rocprim17ROCPRIM_400000_NS6detail17trampoline_kernelINS0_14default_configENS1_25partition_config_selectorILNS1_17partition_subalgoE0ExNS0_10empty_typeEbEEZZNS1_14partition_implILS5_0ELb0ES3_jN6thrust23THRUST_200600_302600_NS6detail15normal_iteratorINSA_10device_ptrIxEEEEPS6_SG_NS0_5tupleIJNSA_16discard_iteratorINSA_11use_defaultEEESF_EEENSH_IJSG_SG_EEES6_PlJ7is_evenIxEEEE10hipError_tPvRmT3_T4_T5_T6_T7_T9_mT8_P12ihipStream_tbDpT10_ENKUlT_T0_E_clISt17integral_constantIbLb0EES18_IbLb1EEEEDaS14_S15_EUlS14_E_NS1_11comp_targetILNS1_3genE9ELNS1_11target_archE1100ELNS1_3gpuE3ELNS1_3repE0EEENS1_30default_config_static_selectorELNS0_4arch9wavefront6targetE1EEEvT1_
; %bb.0:
	.section	.rodata,"a",@progbits
	.p2align	6, 0x0
	.amdhsa_kernel _ZN7rocprim17ROCPRIM_400000_NS6detail17trampoline_kernelINS0_14default_configENS1_25partition_config_selectorILNS1_17partition_subalgoE0ExNS0_10empty_typeEbEEZZNS1_14partition_implILS5_0ELb0ES3_jN6thrust23THRUST_200600_302600_NS6detail15normal_iteratorINSA_10device_ptrIxEEEEPS6_SG_NS0_5tupleIJNSA_16discard_iteratorINSA_11use_defaultEEESF_EEENSH_IJSG_SG_EEES6_PlJ7is_evenIxEEEE10hipError_tPvRmT3_T4_T5_T6_T7_T9_mT8_P12ihipStream_tbDpT10_ENKUlT_T0_E_clISt17integral_constantIbLb0EES18_IbLb1EEEEDaS14_S15_EUlS14_E_NS1_11comp_targetILNS1_3genE9ELNS1_11target_archE1100ELNS1_3gpuE3ELNS1_3repE0EEENS1_30default_config_static_selectorELNS0_4arch9wavefront6targetE1EEEvT1_
		.amdhsa_group_segment_fixed_size 0
		.amdhsa_private_segment_fixed_size 0
		.amdhsa_kernarg_size 144
		.amdhsa_user_sgpr_count 6
		.amdhsa_user_sgpr_private_segment_buffer 1
		.amdhsa_user_sgpr_dispatch_ptr 0
		.amdhsa_user_sgpr_queue_ptr 0
		.amdhsa_user_sgpr_kernarg_segment_ptr 1
		.amdhsa_user_sgpr_dispatch_id 0
		.amdhsa_user_sgpr_flat_scratch_init 0
		.amdhsa_user_sgpr_kernarg_preload_length 0
		.amdhsa_user_sgpr_kernarg_preload_offset 0
		.amdhsa_user_sgpr_private_segment_size 0
		.amdhsa_uses_dynamic_stack 0
		.amdhsa_system_sgpr_private_segment_wavefront_offset 0
		.amdhsa_system_sgpr_workgroup_id_x 1
		.amdhsa_system_sgpr_workgroup_id_y 0
		.amdhsa_system_sgpr_workgroup_id_z 0
		.amdhsa_system_sgpr_workgroup_info 0
		.amdhsa_system_vgpr_workitem_id 0
		.amdhsa_next_free_vgpr 1
		.amdhsa_next_free_sgpr 0
		.amdhsa_accum_offset 4
		.amdhsa_reserve_vcc 0
		.amdhsa_reserve_flat_scratch 0
		.amdhsa_float_round_mode_32 0
		.amdhsa_float_round_mode_16_64 0
		.amdhsa_float_denorm_mode_32 3
		.amdhsa_float_denorm_mode_16_64 3
		.amdhsa_dx10_clamp 1
		.amdhsa_ieee_mode 1
		.amdhsa_fp16_overflow 0
		.amdhsa_tg_split 0
		.amdhsa_exception_fp_ieee_invalid_op 0
		.amdhsa_exception_fp_denorm_src 0
		.amdhsa_exception_fp_ieee_div_zero 0
		.amdhsa_exception_fp_ieee_overflow 0
		.amdhsa_exception_fp_ieee_underflow 0
		.amdhsa_exception_fp_ieee_inexact 0
		.amdhsa_exception_int_div_zero 0
	.end_amdhsa_kernel
	.section	.text._ZN7rocprim17ROCPRIM_400000_NS6detail17trampoline_kernelINS0_14default_configENS1_25partition_config_selectorILNS1_17partition_subalgoE0ExNS0_10empty_typeEbEEZZNS1_14partition_implILS5_0ELb0ES3_jN6thrust23THRUST_200600_302600_NS6detail15normal_iteratorINSA_10device_ptrIxEEEEPS6_SG_NS0_5tupleIJNSA_16discard_iteratorINSA_11use_defaultEEESF_EEENSH_IJSG_SG_EEES6_PlJ7is_evenIxEEEE10hipError_tPvRmT3_T4_T5_T6_T7_T9_mT8_P12ihipStream_tbDpT10_ENKUlT_T0_E_clISt17integral_constantIbLb0EES18_IbLb1EEEEDaS14_S15_EUlS14_E_NS1_11comp_targetILNS1_3genE9ELNS1_11target_archE1100ELNS1_3gpuE3ELNS1_3repE0EEENS1_30default_config_static_selectorELNS0_4arch9wavefront6targetE1EEEvT1_,"axG",@progbits,_ZN7rocprim17ROCPRIM_400000_NS6detail17trampoline_kernelINS0_14default_configENS1_25partition_config_selectorILNS1_17partition_subalgoE0ExNS0_10empty_typeEbEEZZNS1_14partition_implILS5_0ELb0ES3_jN6thrust23THRUST_200600_302600_NS6detail15normal_iteratorINSA_10device_ptrIxEEEEPS6_SG_NS0_5tupleIJNSA_16discard_iteratorINSA_11use_defaultEEESF_EEENSH_IJSG_SG_EEES6_PlJ7is_evenIxEEEE10hipError_tPvRmT3_T4_T5_T6_T7_T9_mT8_P12ihipStream_tbDpT10_ENKUlT_T0_E_clISt17integral_constantIbLb0EES18_IbLb1EEEEDaS14_S15_EUlS14_E_NS1_11comp_targetILNS1_3genE9ELNS1_11target_archE1100ELNS1_3gpuE3ELNS1_3repE0EEENS1_30default_config_static_selectorELNS0_4arch9wavefront6targetE1EEEvT1_,comdat
.Lfunc_end2681:
	.size	_ZN7rocprim17ROCPRIM_400000_NS6detail17trampoline_kernelINS0_14default_configENS1_25partition_config_selectorILNS1_17partition_subalgoE0ExNS0_10empty_typeEbEEZZNS1_14partition_implILS5_0ELb0ES3_jN6thrust23THRUST_200600_302600_NS6detail15normal_iteratorINSA_10device_ptrIxEEEEPS6_SG_NS0_5tupleIJNSA_16discard_iteratorINSA_11use_defaultEEESF_EEENSH_IJSG_SG_EEES6_PlJ7is_evenIxEEEE10hipError_tPvRmT3_T4_T5_T6_T7_T9_mT8_P12ihipStream_tbDpT10_ENKUlT_T0_E_clISt17integral_constantIbLb0EES18_IbLb1EEEEDaS14_S15_EUlS14_E_NS1_11comp_targetILNS1_3genE9ELNS1_11target_archE1100ELNS1_3gpuE3ELNS1_3repE0EEENS1_30default_config_static_selectorELNS0_4arch9wavefront6targetE1EEEvT1_, .Lfunc_end2681-_ZN7rocprim17ROCPRIM_400000_NS6detail17trampoline_kernelINS0_14default_configENS1_25partition_config_selectorILNS1_17partition_subalgoE0ExNS0_10empty_typeEbEEZZNS1_14partition_implILS5_0ELb0ES3_jN6thrust23THRUST_200600_302600_NS6detail15normal_iteratorINSA_10device_ptrIxEEEEPS6_SG_NS0_5tupleIJNSA_16discard_iteratorINSA_11use_defaultEEESF_EEENSH_IJSG_SG_EEES6_PlJ7is_evenIxEEEE10hipError_tPvRmT3_T4_T5_T6_T7_T9_mT8_P12ihipStream_tbDpT10_ENKUlT_T0_E_clISt17integral_constantIbLb0EES18_IbLb1EEEEDaS14_S15_EUlS14_E_NS1_11comp_targetILNS1_3genE9ELNS1_11target_archE1100ELNS1_3gpuE3ELNS1_3repE0EEENS1_30default_config_static_selectorELNS0_4arch9wavefront6targetE1EEEvT1_
                                        ; -- End function
	.section	.AMDGPU.csdata,"",@progbits
; Kernel info:
; codeLenInByte = 0
; NumSgprs: 4
; NumVgprs: 0
; NumAgprs: 0
; TotalNumVgprs: 0
; ScratchSize: 0
; MemoryBound: 0
; FloatMode: 240
; IeeeMode: 1
; LDSByteSize: 0 bytes/workgroup (compile time only)
; SGPRBlocks: 0
; VGPRBlocks: 0
; NumSGPRsForWavesPerEU: 4
; NumVGPRsForWavesPerEU: 1
; AccumOffset: 4
; Occupancy: 8
; WaveLimiterHint : 0
; COMPUTE_PGM_RSRC2:SCRATCH_EN: 0
; COMPUTE_PGM_RSRC2:USER_SGPR: 6
; COMPUTE_PGM_RSRC2:TRAP_HANDLER: 0
; COMPUTE_PGM_RSRC2:TGID_X_EN: 1
; COMPUTE_PGM_RSRC2:TGID_Y_EN: 0
; COMPUTE_PGM_RSRC2:TGID_Z_EN: 0
; COMPUTE_PGM_RSRC2:TIDIG_COMP_CNT: 0
; COMPUTE_PGM_RSRC3_GFX90A:ACCUM_OFFSET: 0
; COMPUTE_PGM_RSRC3_GFX90A:TG_SPLIT: 0
	.section	.text._ZN7rocprim17ROCPRIM_400000_NS6detail17trampoline_kernelINS0_14default_configENS1_25partition_config_selectorILNS1_17partition_subalgoE0ExNS0_10empty_typeEbEEZZNS1_14partition_implILS5_0ELb0ES3_jN6thrust23THRUST_200600_302600_NS6detail15normal_iteratorINSA_10device_ptrIxEEEEPS6_SG_NS0_5tupleIJNSA_16discard_iteratorINSA_11use_defaultEEESF_EEENSH_IJSG_SG_EEES6_PlJ7is_evenIxEEEE10hipError_tPvRmT3_T4_T5_T6_T7_T9_mT8_P12ihipStream_tbDpT10_ENKUlT_T0_E_clISt17integral_constantIbLb0EES18_IbLb1EEEEDaS14_S15_EUlS14_E_NS1_11comp_targetILNS1_3genE8ELNS1_11target_archE1030ELNS1_3gpuE2ELNS1_3repE0EEENS1_30default_config_static_selectorELNS0_4arch9wavefront6targetE1EEEvT1_,"axG",@progbits,_ZN7rocprim17ROCPRIM_400000_NS6detail17trampoline_kernelINS0_14default_configENS1_25partition_config_selectorILNS1_17partition_subalgoE0ExNS0_10empty_typeEbEEZZNS1_14partition_implILS5_0ELb0ES3_jN6thrust23THRUST_200600_302600_NS6detail15normal_iteratorINSA_10device_ptrIxEEEEPS6_SG_NS0_5tupleIJNSA_16discard_iteratorINSA_11use_defaultEEESF_EEENSH_IJSG_SG_EEES6_PlJ7is_evenIxEEEE10hipError_tPvRmT3_T4_T5_T6_T7_T9_mT8_P12ihipStream_tbDpT10_ENKUlT_T0_E_clISt17integral_constantIbLb0EES18_IbLb1EEEEDaS14_S15_EUlS14_E_NS1_11comp_targetILNS1_3genE8ELNS1_11target_archE1030ELNS1_3gpuE2ELNS1_3repE0EEENS1_30default_config_static_selectorELNS0_4arch9wavefront6targetE1EEEvT1_,comdat
	.protected	_ZN7rocprim17ROCPRIM_400000_NS6detail17trampoline_kernelINS0_14default_configENS1_25partition_config_selectorILNS1_17partition_subalgoE0ExNS0_10empty_typeEbEEZZNS1_14partition_implILS5_0ELb0ES3_jN6thrust23THRUST_200600_302600_NS6detail15normal_iteratorINSA_10device_ptrIxEEEEPS6_SG_NS0_5tupleIJNSA_16discard_iteratorINSA_11use_defaultEEESF_EEENSH_IJSG_SG_EEES6_PlJ7is_evenIxEEEE10hipError_tPvRmT3_T4_T5_T6_T7_T9_mT8_P12ihipStream_tbDpT10_ENKUlT_T0_E_clISt17integral_constantIbLb0EES18_IbLb1EEEEDaS14_S15_EUlS14_E_NS1_11comp_targetILNS1_3genE8ELNS1_11target_archE1030ELNS1_3gpuE2ELNS1_3repE0EEENS1_30default_config_static_selectorELNS0_4arch9wavefront6targetE1EEEvT1_ ; -- Begin function _ZN7rocprim17ROCPRIM_400000_NS6detail17trampoline_kernelINS0_14default_configENS1_25partition_config_selectorILNS1_17partition_subalgoE0ExNS0_10empty_typeEbEEZZNS1_14partition_implILS5_0ELb0ES3_jN6thrust23THRUST_200600_302600_NS6detail15normal_iteratorINSA_10device_ptrIxEEEEPS6_SG_NS0_5tupleIJNSA_16discard_iteratorINSA_11use_defaultEEESF_EEENSH_IJSG_SG_EEES6_PlJ7is_evenIxEEEE10hipError_tPvRmT3_T4_T5_T6_T7_T9_mT8_P12ihipStream_tbDpT10_ENKUlT_T0_E_clISt17integral_constantIbLb0EES18_IbLb1EEEEDaS14_S15_EUlS14_E_NS1_11comp_targetILNS1_3genE8ELNS1_11target_archE1030ELNS1_3gpuE2ELNS1_3repE0EEENS1_30default_config_static_selectorELNS0_4arch9wavefront6targetE1EEEvT1_
	.globl	_ZN7rocprim17ROCPRIM_400000_NS6detail17trampoline_kernelINS0_14default_configENS1_25partition_config_selectorILNS1_17partition_subalgoE0ExNS0_10empty_typeEbEEZZNS1_14partition_implILS5_0ELb0ES3_jN6thrust23THRUST_200600_302600_NS6detail15normal_iteratorINSA_10device_ptrIxEEEEPS6_SG_NS0_5tupleIJNSA_16discard_iteratorINSA_11use_defaultEEESF_EEENSH_IJSG_SG_EEES6_PlJ7is_evenIxEEEE10hipError_tPvRmT3_T4_T5_T6_T7_T9_mT8_P12ihipStream_tbDpT10_ENKUlT_T0_E_clISt17integral_constantIbLb0EES18_IbLb1EEEEDaS14_S15_EUlS14_E_NS1_11comp_targetILNS1_3genE8ELNS1_11target_archE1030ELNS1_3gpuE2ELNS1_3repE0EEENS1_30default_config_static_selectorELNS0_4arch9wavefront6targetE1EEEvT1_
	.p2align	8
	.type	_ZN7rocprim17ROCPRIM_400000_NS6detail17trampoline_kernelINS0_14default_configENS1_25partition_config_selectorILNS1_17partition_subalgoE0ExNS0_10empty_typeEbEEZZNS1_14partition_implILS5_0ELb0ES3_jN6thrust23THRUST_200600_302600_NS6detail15normal_iteratorINSA_10device_ptrIxEEEEPS6_SG_NS0_5tupleIJNSA_16discard_iteratorINSA_11use_defaultEEESF_EEENSH_IJSG_SG_EEES6_PlJ7is_evenIxEEEE10hipError_tPvRmT3_T4_T5_T6_T7_T9_mT8_P12ihipStream_tbDpT10_ENKUlT_T0_E_clISt17integral_constantIbLb0EES18_IbLb1EEEEDaS14_S15_EUlS14_E_NS1_11comp_targetILNS1_3genE8ELNS1_11target_archE1030ELNS1_3gpuE2ELNS1_3repE0EEENS1_30default_config_static_selectorELNS0_4arch9wavefront6targetE1EEEvT1_,@function
_ZN7rocprim17ROCPRIM_400000_NS6detail17trampoline_kernelINS0_14default_configENS1_25partition_config_selectorILNS1_17partition_subalgoE0ExNS0_10empty_typeEbEEZZNS1_14partition_implILS5_0ELb0ES3_jN6thrust23THRUST_200600_302600_NS6detail15normal_iteratorINSA_10device_ptrIxEEEEPS6_SG_NS0_5tupleIJNSA_16discard_iteratorINSA_11use_defaultEEESF_EEENSH_IJSG_SG_EEES6_PlJ7is_evenIxEEEE10hipError_tPvRmT3_T4_T5_T6_T7_T9_mT8_P12ihipStream_tbDpT10_ENKUlT_T0_E_clISt17integral_constantIbLb0EES18_IbLb1EEEEDaS14_S15_EUlS14_E_NS1_11comp_targetILNS1_3genE8ELNS1_11target_archE1030ELNS1_3gpuE2ELNS1_3repE0EEENS1_30default_config_static_selectorELNS0_4arch9wavefront6targetE1EEEvT1_: ; @_ZN7rocprim17ROCPRIM_400000_NS6detail17trampoline_kernelINS0_14default_configENS1_25partition_config_selectorILNS1_17partition_subalgoE0ExNS0_10empty_typeEbEEZZNS1_14partition_implILS5_0ELb0ES3_jN6thrust23THRUST_200600_302600_NS6detail15normal_iteratorINSA_10device_ptrIxEEEEPS6_SG_NS0_5tupleIJNSA_16discard_iteratorINSA_11use_defaultEEESF_EEENSH_IJSG_SG_EEES6_PlJ7is_evenIxEEEE10hipError_tPvRmT3_T4_T5_T6_T7_T9_mT8_P12ihipStream_tbDpT10_ENKUlT_T0_E_clISt17integral_constantIbLb0EES18_IbLb1EEEEDaS14_S15_EUlS14_E_NS1_11comp_targetILNS1_3genE8ELNS1_11target_archE1030ELNS1_3gpuE2ELNS1_3repE0EEENS1_30default_config_static_selectorELNS0_4arch9wavefront6targetE1EEEvT1_
; %bb.0:
	.section	.rodata,"a",@progbits
	.p2align	6, 0x0
	.amdhsa_kernel _ZN7rocprim17ROCPRIM_400000_NS6detail17trampoline_kernelINS0_14default_configENS1_25partition_config_selectorILNS1_17partition_subalgoE0ExNS0_10empty_typeEbEEZZNS1_14partition_implILS5_0ELb0ES3_jN6thrust23THRUST_200600_302600_NS6detail15normal_iteratorINSA_10device_ptrIxEEEEPS6_SG_NS0_5tupleIJNSA_16discard_iteratorINSA_11use_defaultEEESF_EEENSH_IJSG_SG_EEES6_PlJ7is_evenIxEEEE10hipError_tPvRmT3_T4_T5_T6_T7_T9_mT8_P12ihipStream_tbDpT10_ENKUlT_T0_E_clISt17integral_constantIbLb0EES18_IbLb1EEEEDaS14_S15_EUlS14_E_NS1_11comp_targetILNS1_3genE8ELNS1_11target_archE1030ELNS1_3gpuE2ELNS1_3repE0EEENS1_30default_config_static_selectorELNS0_4arch9wavefront6targetE1EEEvT1_
		.amdhsa_group_segment_fixed_size 0
		.amdhsa_private_segment_fixed_size 0
		.amdhsa_kernarg_size 144
		.amdhsa_user_sgpr_count 6
		.amdhsa_user_sgpr_private_segment_buffer 1
		.amdhsa_user_sgpr_dispatch_ptr 0
		.amdhsa_user_sgpr_queue_ptr 0
		.amdhsa_user_sgpr_kernarg_segment_ptr 1
		.amdhsa_user_sgpr_dispatch_id 0
		.amdhsa_user_sgpr_flat_scratch_init 0
		.amdhsa_user_sgpr_kernarg_preload_length 0
		.amdhsa_user_sgpr_kernarg_preload_offset 0
		.amdhsa_user_sgpr_private_segment_size 0
		.amdhsa_uses_dynamic_stack 0
		.amdhsa_system_sgpr_private_segment_wavefront_offset 0
		.amdhsa_system_sgpr_workgroup_id_x 1
		.amdhsa_system_sgpr_workgroup_id_y 0
		.amdhsa_system_sgpr_workgroup_id_z 0
		.amdhsa_system_sgpr_workgroup_info 0
		.amdhsa_system_vgpr_workitem_id 0
		.amdhsa_next_free_vgpr 1
		.amdhsa_next_free_sgpr 0
		.amdhsa_accum_offset 4
		.amdhsa_reserve_vcc 0
		.amdhsa_reserve_flat_scratch 0
		.amdhsa_float_round_mode_32 0
		.amdhsa_float_round_mode_16_64 0
		.amdhsa_float_denorm_mode_32 3
		.amdhsa_float_denorm_mode_16_64 3
		.amdhsa_dx10_clamp 1
		.amdhsa_ieee_mode 1
		.amdhsa_fp16_overflow 0
		.amdhsa_tg_split 0
		.amdhsa_exception_fp_ieee_invalid_op 0
		.amdhsa_exception_fp_denorm_src 0
		.amdhsa_exception_fp_ieee_div_zero 0
		.amdhsa_exception_fp_ieee_overflow 0
		.amdhsa_exception_fp_ieee_underflow 0
		.amdhsa_exception_fp_ieee_inexact 0
		.amdhsa_exception_int_div_zero 0
	.end_amdhsa_kernel
	.section	.text._ZN7rocprim17ROCPRIM_400000_NS6detail17trampoline_kernelINS0_14default_configENS1_25partition_config_selectorILNS1_17partition_subalgoE0ExNS0_10empty_typeEbEEZZNS1_14partition_implILS5_0ELb0ES3_jN6thrust23THRUST_200600_302600_NS6detail15normal_iteratorINSA_10device_ptrIxEEEEPS6_SG_NS0_5tupleIJNSA_16discard_iteratorINSA_11use_defaultEEESF_EEENSH_IJSG_SG_EEES6_PlJ7is_evenIxEEEE10hipError_tPvRmT3_T4_T5_T6_T7_T9_mT8_P12ihipStream_tbDpT10_ENKUlT_T0_E_clISt17integral_constantIbLb0EES18_IbLb1EEEEDaS14_S15_EUlS14_E_NS1_11comp_targetILNS1_3genE8ELNS1_11target_archE1030ELNS1_3gpuE2ELNS1_3repE0EEENS1_30default_config_static_selectorELNS0_4arch9wavefront6targetE1EEEvT1_,"axG",@progbits,_ZN7rocprim17ROCPRIM_400000_NS6detail17trampoline_kernelINS0_14default_configENS1_25partition_config_selectorILNS1_17partition_subalgoE0ExNS0_10empty_typeEbEEZZNS1_14partition_implILS5_0ELb0ES3_jN6thrust23THRUST_200600_302600_NS6detail15normal_iteratorINSA_10device_ptrIxEEEEPS6_SG_NS0_5tupleIJNSA_16discard_iteratorINSA_11use_defaultEEESF_EEENSH_IJSG_SG_EEES6_PlJ7is_evenIxEEEE10hipError_tPvRmT3_T4_T5_T6_T7_T9_mT8_P12ihipStream_tbDpT10_ENKUlT_T0_E_clISt17integral_constantIbLb0EES18_IbLb1EEEEDaS14_S15_EUlS14_E_NS1_11comp_targetILNS1_3genE8ELNS1_11target_archE1030ELNS1_3gpuE2ELNS1_3repE0EEENS1_30default_config_static_selectorELNS0_4arch9wavefront6targetE1EEEvT1_,comdat
.Lfunc_end2682:
	.size	_ZN7rocprim17ROCPRIM_400000_NS6detail17trampoline_kernelINS0_14default_configENS1_25partition_config_selectorILNS1_17partition_subalgoE0ExNS0_10empty_typeEbEEZZNS1_14partition_implILS5_0ELb0ES3_jN6thrust23THRUST_200600_302600_NS6detail15normal_iteratorINSA_10device_ptrIxEEEEPS6_SG_NS0_5tupleIJNSA_16discard_iteratorINSA_11use_defaultEEESF_EEENSH_IJSG_SG_EEES6_PlJ7is_evenIxEEEE10hipError_tPvRmT3_T4_T5_T6_T7_T9_mT8_P12ihipStream_tbDpT10_ENKUlT_T0_E_clISt17integral_constantIbLb0EES18_IbLb1EEEEDaS14_S15_EUlS14_E_NS1_11comp_targetILNS1_3genE8ELNS1_11target_archE1030ELNS1_3gpuE2ELNS1_3repE0EEENS1_30default_config_static_selectorELNS0_4arch9wavefront6targetE1EEEvT1_, .Lfunc_end2682-_ZN7rocprim17ROCPRIM_400000_NS6detail17trampoline_kernelINS0_14default_configENS1_25partition_config_selectorILNS1_17partition_subalgoE0ExNS0_10empty_typeEbEEZZNS1_14partition_implILS5_0ELb0ES3_jN6thrust23THRUST_200600_302600_NS6detail15normal_iteratorINSA_10device_ptrIxEEEEPS6_SG_NS0_5tupleIJNSA_16discard_iteratorINSA_11use_defaultEEESF_EEENSH_IJSG_SG_EEES6_PlJ7is_evenIxEEEE10hipError_tPvRmT3_T4_T5_T6_T7_T9_mT8_P12ihipStream_tbDpT10_ENKUlT_T0_E_clISt17integral_constantIbLb0EES18_IbLb1EEEEDaS14_S15_EUlS14_E_NS1_11comp_targetILNS1_3genE8ELNS1_11target_archE1030ELNS1_3gpuE2ELNS1_3repE0EEENS1_30default_config_static_selectorELNS0_4arch9wavefront6targetE1EEEvT1_
                                        ; -- End function
	.section	.AMDGPU.csdata,"",@progbits
; Kernel info:
; codeLenInByte = 0
; NumSgprs: 4
; NumVgprs: 0
; NumAgprs: 0
; TotalNumVgprs: 0
; ScratchSize: 0
; MemoryBound: 0
; FloatMode: 240
; IeeeMode: 1
; LDSByteSize: 0 bytes/workgroup (compile time only)
; SGPRBlocks: 0
; VGPRBlocks: 0
; NumSGPRsForWavesPerEU: 4
; NumVGPRsForWavesPerEU: 1
; AccumOffset: 4
; Occupancy: 8
; WaveLimiterHint : 0
; COMPUTE_PGM_RSRC2:SCRATCH_EN: 0
; COMPUTE_PGM_RSRC2:USER_SGPR: 6
; COMPUTE_PGM_RSRC2:TRAP_HANDLER: 0
; COMPUTE_PGM_RSRC2:TGID_X_EN: 1
; COMPUTE_PGM_RSRC2:TGID_Y_EN: 0
; COMPUTE_PGM_RSRC2:TGID_Z_EN: 0
; COMPUTE_PGM_RSRC2:TIDIG_COMP_CNT: 0
; COMPUTE_PGM_RSRC3_GFX90A:ACCUM_OFFSET: 0
; COMPUTE_PGM_RSRC3_GFX90A:TG_SPLIT: 0
	.section	.text._ZN7rocprim17ROCPRIM_400000_NS6detail17trampoline_kernelINS0_14default_configENS1_25partition_config_selectorILNS1_17partition_subalgoE0EiNS0_10empty_typeEbEEZZNS1_14partition_implILS5_0ELb0ES3_jN6thrust23THRUST_200600_302600_NS6detail15normal_iteratorINSA_10device_ptrIiEEEEPS6_SG_NS0_5tupleIJNSA_16discard_iteratorINSA_11use_defaultEEESK_EEENSH_IJSG_SG_EEES6_PlJ7is_evenIiEEEE10hipError_tPvRmT3_T4_T5_T6_T7_T9_mT8_P12ihipStream_tbDpT10_ENKUlT_T0_E_clISt17integral_constantIbLb0EES19_EEDaS14_S15_EUlS14_E_NS1_11comp_targetILNS1_3genE0ELNS1_11target_archE4294967295ELNS1_3gpuE0ELNS1_3repE0EEENS1_30default_config_static_selectorELNS0_4arch9wavefront6targetE1EEEvT1_,"axG",@progbits,_ZN7rocprim17ROCPRIM_400000_NS6detail17trampoline_kernelINS0_14default_configENS1_25partition_config_selectorILNS1_17partition_subalgoE0EiNS0_10empty_typeEbEEZZNS1_14partition_implILS5_0ELb0ES3_jN6thrust23THRUST_200600_302600_NS6detail15normal_iteratorINSA_10device_ptrIiEEEEPS6_SG_NS0_5tupleIJNSA_16discard_iteratorINSA_11use_defaultEEESK_EEENSH_IJSG_SG_EEES6_PlJ7is_evenIiEEEE10hipError_tPvRmT3_T4_T5_T6_T7_T9_mT8_P12ihipStream_tbDpT10_ENKUlT_T0_E_clISt17integral_constantIbLb0EES19_EEDaS14_S15_EUlS14_E_NS1_11comp_targetILNS1_3genE0ELNS1_11target_archE4294967295ELNS1_3gpuE0ELNS1_3repE0EEENS1_30default_config_static_selectorELNS0_4arch9wavefront6targetE1EEEvT1_,comdat
	.protected	_ZN7rocprim17ROCPRIM_400000_NS6detail17trampoline_kernelINS0_14default_configENS1_25partition_config_selectorILNS1_17partition_subalgoE0EiNS0_10empty_typeEbEEZZNS1_14partition_implILS5_0ELb0ES3_jN6thrust23THRUST_200600_302600_NS6detail15normal_iteratorINSA_10device_ptrIiEEEEPS6_SG_NS0_5tupleIJNSA_16discard_iteratorINSA_11use_defaultEEESK_EEENSH_IJSG_SG_EEES6_PlJ7is_evenIiEEEE10hipError_tPvRmT3_T4_T5_T6_T7_T9_mT8_P12ihipStream_tbDpT10_ENKUlT_T0_E_clISt17integral_constantIbLb0EES19_EEDaS14_S15_EUlS14_E_NS1_11comp_targetILNS1_3genE0ELNS1_11target_archE4294967295ELNS1_3gpuE0ELNS1_3repE0EEENS1_30default_config_static_selectorELNS0_4arch9wavefront6targetE1EEEvT1_ ; -- Begin function _ZN7rocprim17ROCPRIM_400000_NS6detail17trampoline_kernelINS0_14default_configENS1_25partition_config_selectorILNS1_17partition_subalgoE0EiNS0_10empty_typeEbEEZZNS1_14partition_implILS5_0ELb0ES3_jN6thrust23THRUST_200600_302600_NS6detail15normal_iteratorINSA_10device_ptrIiEEEEPS6_SG_NS0_5tupleIJNSA_16discard_iteratorINSA_11use_defaultEEESK_EEENSH_IJSG_SG_EEES6_PlJ7is_evenIiEEEE10hipError_tPvRmT3_T4_T5_T6_T7_T9_mT8_P12ihipStream_tbDpT10_ENKUlT_T0_E_clISt17integral_constantIbLb0EES19_EEDaS14_S15_EUlS14_E_NS1_11comp_targetILNS1_3genE0ELNS1_11target_archE4294967295ELNS1_3gpuE0ELNS1_3repE0EEENS1_30default_config_static_selectorELNS0_4arch9wavefront6targetE1EEEvT1_
	.globl	_ZN7rocprim17ROCPRIM_400000_NS6detail17trampoline_kernelINS0_14default_configENS1_25partition_config_selectorILNS1_17partition_subalgoE0EiNS0_10empty_typeEbEEZZNS1_14partition_implILS5_0ELb0ES3_jN6thrust23THRUST_200600_302600_NS6detail15normal_iteratorINSA_10device_ptrIiEEEEPS6_SG_NS0_5tupleIJNSA_16discard_iteratorINSA_11use_defaultEEESK_EEENSH_IJSG_SG_EEES6_PlJ7is_evenIiEEEE10hipError_tPvRmT3_T4_T5_T6_T7_T9_mT8_P12ihipStream_tbDpT10_ENKUlT_T0_E_clISt17integral_constantIbLb0EES19_EEDaS14_S15_EUlS14_E_NS1_11comp_targetILNS1_3genE0ELNS1_11target_archE4294967295ELNS1_3gpuE0ELNS1_3repE0EEENS1_30default_config_static_selectorELNS0_4arch9wavefront6targetE1EEEvT1_
	.p2align	8
	.type	_ZN7rocprim17ROCPRIM_400000_NS6detail17trampoline_kernelINS0_14default_configENS1_25partition_config_selectorILNS1_17partition_subalgoE0EiNS0_10empty_typeEbEEZZNS1_14partition_implILS5_0ELb0ES3_jN6thrust23THRUST_200600_302600_NS6detail15normal_iteratorINSA_10device_ptrIiEEEEPS6_SG_NS0_5tupleIJNSA_16discard_iteratorINSA_11use_defaultEEESK_EEENSH_IJSG_SG_EEES6_PlJ7is_evenIiEEEE10hipError_tPvRmT3_T4_T5_T6_T7_T9_mT8_P12ihipStream_tbDpT10_ENKUlT_T0_E_clISt17integral_constantIbLb0EES19_EEDaS14_S15_EUlS14_E_NS1_11comp_targetILNS1_3genE0ELNS1_11target_archE4294967295ELNS1_3gpuE0ELNS1_3repE0EEENS1_30default_config_static_selectorELNS0_4arch9wavefront6targetE1EEEvT1_,@function
_ZN7rocprim17ROCPRIM_400000_NS6detail17trampoline_kernelINS0_14default_configENS1_25partition_config_selectorILNS1_17partition_subalgoE0EiNS0_10empty_typeEbEEZZNS1_14partition_implILS5_0ELb0ES3_jN6thrust23THRUST_200600_302600_NS6detail15normal_iteratorINSA_10device_ptrIiEEEEPS6_SG_NS0_5tupleIJNSA_16discard_iteratorINSA_11use_defaultEEESK_EEENSH_IJSG_SG_EEES6_PlJ7is_evenIiEEEE10hipError_tPvRmT3_T4_T5_T6_T7_T9_mT8_P12ihipStream_tbDpT10_ENKUlT_T0_E_clISt17integral_constantIbLb0EES19_EEDaS14_S15_EUlS14_E_NS1_11comp_targetILNS1_3genE0ELNS1_11target_archE4294967295ELNS1_3gpuE0ELNS1_3repE0EEENS1_30default_config_static_selectorELNS0_4arch9wavefront6targetE1EEEvT1_: ; @_ZN7rocprim17ROCPRIM_400000_NS6detail17trampoline_kernelINS0_14default_configENS1_25partition_config_selectorILNS1_17partition_subalgoE0EiNS0_10empty_typeEbEEZZNS1_14partition_implILS5_0ELb0ES3_jN6thrust23THRUST_200600_302600_NS6detail15normal_iteratorINSA_10device_ptrIiEEEEPS6_SG_NS0_5tupleIJNSA_16discard_iteratorINSA_11use_defaultEEESK_EEENSH_IJSG_SG_EEES6_PlJ7is_evenIiEEEE10hipError_tPvRmT3_T4_T5_T6_T7_T9_mT8_P12ihipStream_tbDpT10_ENKUlT_T0_E_clISt17integral_constantIbLb0EES19_EEDaS14_S15_EUlS14_E_NS1_11comp_targetILNS1_3genE0ELNS1_11target_archE4294967295ELNS1_3gpuE0ELNS1_3repE0EEENS1_30default_config_static_selectorELNS0_4arch9wavefront6targetE1EEEvT1_
; %bb.0:
	.section	.rodata,"a",@progbits
	.p2align	6, 0x0
	.amdhsa_kernel _ZN7rocprim17ROCPRIM_400000_NS6detail17trampoline_kernelINS0_14default_configENS1_25partition_config_selectorILNS1_17partition_subalgoE0EiNS0_10empty_typeEbEEZZNS1_14partition_implILS5_0ELb0ES3_jN6thrust23THRUST_200600_302600_NS6detail15normal_iteratorINSA_10device_ptrIiEEEEPS6_SG_NS0_5tupleIJNSA_16discard_iteratorINSA_11use_defaultEEESK_EEENSH_IJSG_SG_EEES6_PlJ7is_evenIiEEEE10hipError_tPvRmT3_T4_T5_T6_T7_T9_mT8_P12ihipStream_tbDpT10_ENKUlT_T0_E_clISt17integral_constantIbLb0EES19_EEDaS14_S15_EUlS14_E_NS1_11comp_targetILNS1_3genE0ELNS1_11target_archE4294967295ELNS1_3gpuE0ELNS1_3repE0EEENS1_30default_config_static_selectorELNS0_4arch9wavefront6targetE1EEEvT1_
		.amdhsa_group_segment_fixed_size 0
		.amdhsa_private_segment_fixed_size 0
		.amdhsa_kernarg_size 136
		.amdhsa_user_sgpr_count 6
		.amdhsa_user_sgpr_private_segment_buffer 1
		.amdhsa_user_sgpr_dispatch_ptr 0
		.amdhsa_user_sgpr_queue_ptr 0
		.amdhsa_user_sgpr_kernarg_segment_ptr 1
		.amdhsa_user_sgpr_dispatch_id 0
		.amdhsa_user_sgpr_flat_scratch_init 0
		.amdhsa_user_sgpr_kernarg_preload_length 0
		.amdhsa_user_sgpr_kernarg_preload_offset 0
		.amdhsa_user_sgpr_private_segment_size 0
		.amdhsa_uses_dynamic_stack 0
		.amdhsa_system_sgpr_private_segment_wavefront_offset 0
		.amdhsa_system_sgpr_workgroup_id_x 1
		.amdhsa_system_sgpr_workgroup_id_y 0
		.amdhsa_system_sgpr_workgroup_id_z 0
		.amdhsa_system_sgpr_workgroup_info 0
		.amdhsa_system_vgpr_workitem_id 0
		.amdhsa_next_free_vgpr 1
		.amdhsa_next_free_sgpr 0
		.amdhsa_accum_offset 4
		.amdhsa_reserve_vcc 0
		.amdhsa_reserve_flat_scratch 0
		.amdhsa_float_round_mode_32 0
		.amdhsa_float_round_mode_16_64 0
		.amdhsa_float_denorm_mode_32 3
		.amdhsa_float_denorm_mode_16_64 3
		.amdhsa_dx10_clamp 1
		.amdhsa_ieee_mode 1
		.amdhsa_fp16_overflow 0
		.amdhsa_tg_split 0
		.amdhsa_exception_fp_ieee_invalid_op 0
		.amdhsa_exception_fp_denorm_src 0
		.amdhsa_exception_fp_ieee_div_zero 0
		.amdhsa_exception_fp_ieee_overflow 0
		.amdhsa_exception_fp_ieee_underflow 0
		.amdhsa_exception_fp_ieee_inexact 0
		.amdhsa_exception_int_div_zero 0
	.end_amdhsa_kernel
	.section	.text._ZN7rocprim17ROCPRIM_400000_NS6detail17trampoline_kernelINS0_14default_configENS1_25partition_config_selectorILNS1_17partition_subalgoE0EiNS0_10empty_typeEbEEZZNS1_14partition_implILS5_0ELb0ES3_jN6thrust23THRUST_200600_302600_NS6detail15normal_iteratorINSA_10device_ptrIiEEEEPS6_SG_NS0_5tupleIJNSA_16discard_iteratorINSA_11use_defaultEEESK_EEENSH_IJSG_SG_EEES6_PlJ7is_evenIiEEEE10hipError_tPvRmT3_T4_T5_T6_T7_T9_mT8_P12ihipStream_tbDpT10_ENKUlT_T0_E_clISt17integral_constantIbLb0EES19_EEDaS14_S15_EUlS14_E_NS1_11comp_targetILNS1_3genE0ELNS1_11target_archE4294967295ELNS1_3gpuE0ELNS1_3repE0EEENS1_30default_config_static_selectorELNS0_4arch9wavefront6targetE1EEEvT1_,"axG",@progbits,_ZN7rocprim17ROCPRIM_400000_NS6detail17trampoline_kernelINS0_14default_configENS1_25partition_config_selectorILNS1_17partition_subalgoE0EiNS0_10empty_typeEbEEZZNS1_14partition_implILS5_0ELb0ES3_jN6thrust23THRUST_200600_302600_NS6detail15normal_iteratorINSA_10device_ptrIiEEEEPS6_SG_NS0_5tupleIJNSA_16discard_iteratorINSA_11use_defaultEEESK_EEENSH_IJSG_SG_EEES6_PlJ7is_evenIiEEEE10hipError_tPvRmT3_T4_T5_T6_T7_T9_mT8_P12ihipStream_tbDpT10_ENKUlT_T0_E_clISt17integral_constantIbLb0EES19_EEDaS14_S15_EUlS14_E_NS1_11comp_targetILNS1_3genE0ELNS1_11target_archE4294967295ELNS1_3gpuE0ELNS1_3repE0EEENS1_30default_config_static_selectorELNS0_4arch9wavefront6targetE1EEEvT1_,comdat
.Lfunc_end2683:
	.size	_ZN7rocprim17ROCPRIM_400000_NS6detail17trampoline_kernelINS0_14default_configENS1_25partition_config_selectorILNS1_17partition_subalgoE0EiNS0_10empty_typeEbEEZZNS1_14partition_implILS5_0ELb0ES3_jN6thrust23THRUST_200600_302600_NS6detail15normal_iteratorINSA_10device_ptrIiEEEEPS6_SG_NS0_5tupleIJNSA_16discard_iteratorINSA_11use_defaultEEESK_EEENSH_IJSG_SG_EEES6_PlJ7is_evenIiEEEE10hipError_tPvRmT3_T4_T5_T6_T7_T9_mT8_P12ihipStream_tbDpT10_ENKUlT_T0_E_clISt17integral_constantIbLb0EES19_EEDaS14_S15_EUlS14_E_NS1_11comp_targetILNS1_3genE0ELNS1_11target_archE4294967295ELNS1_3gpuE0ELNS1_3repE0EEENS1_30default_config_static_selectorELNS0_4arch9wavefront6targetE1EEEvT1_, .Lfunc_end2683-_ZN7rocprim17ROCPRIM_400000_NS6detail17trampoline_kernelINS0_14default_configENS1_25partition_config_selectorILNS1_17partition_subalgoE0EiNS0_10empty_typeEbEEZZNS1_14partition_implILS5_0ELb0ES3_jN6thrust23THRUST_200600_302600_NS6detail15normal_iteratorINSA_10device_ptrIiEEEEPS6_SG_NS0_5tupleIJNSA_16discard_iteratorINSA_11use_defaultEEESK_EEENSH_IJSG_SG_EEES6_PlJ7is_evenIiEEEE10hipError_tPvRmT3_T4_T5_T6_T7_T9_mT8_P12ihipStream_tbDpT10_ENKUlT_T0_E_clISt17integral_constantIbLb0EES19_EEDaS14_S15_EUlS14_E_NS1_11comp_targetILNS1_3genE0ELNS1_11target_archE4294967295ELNS1_3gpuE0ELNS1_3repE0EEENS1_30default_config_static_selectorELNS0_4arch9wavefront6targetE1EEEvT1_
                                        ; -- End function
	.section	.AMDGPU.csdata,"",@progbits
; Kernel info:
; codeLenInByte = 0
; NumSgprs: 4
; NumVgprs: 0
; NumAgprs: 0
; TotalNumVgprs: 0
; ScratchSize: 0
; MemoryBound: 0
; FloatMode: 240
; IeeeMode: 1
; LDSByteSize: 0 bytes/workgroup (compile time only)
; SGPRBlocks: 0
; VGPRBlocks: 0
; NumSGPRsForWavesPerEU: 4
; NumVGPRsForWavesPerEU: 1
; AccumOffset: 4
; Occupancy: 8
; WaveLimiterHint : 0
; COMPUTE_PGM_RSRC2:SCRATCH_EN: 0
; COMPUTE_PGM_RSRC2:USER_SGPR: 6
; COMPUTE_PGM_RSRC2:TRAP_HANDLER: 0
; COMPUTE_PGM_RSRC2:TGID_X_EN: 1
; COMPUTE_PGM_RSRC2:TGID_Y_EN: 0
; COMPUTE_PGM_RSRC2:TGID_Z_EN: 0
; COMPUTE_PGM_RSRC2:TIDIG_COMP_CNT: 0
; COMPUTE_PGM_RSRC3_GFX90A:ACCUM_OFFSET: 0
; COMPUTE_PGM_RSRC3_GFX90A:TG_SPLIT: 0
	.section	.text._ZN7rocprim17ROCPRIM_400000_NS6detail17trampoline_kernelINS0_14default_configENS1_25partition_config_selectorILNS1_17partition_subalgoE0EiNS0_10empty_typeEbEEZZNS1_14partition_implILS5_0ELb0ES3_jN6thrust23THRUST_200600_302600_NS6detail15normal_iteratorINSA_10device_ptrIiEEEEPS6_SG_NS0_5tupleIJNSA_16discard_iteratorINSA_11use_defaultEEESK_EEENSH_IJSG_SG_EEES6_PlJ7is_evenIiEEEE10hipError_tPvRmT3_T4_T5_T6_T7_T9_mT8_P12ihipStream_tbDpT10_ENKUlT_T0_E_clISt17integral_constantIbLb0EES19_EEDaS14_S15_EUlS14_E_NS1_11comp_targetILNS1_3genE5ELNS1_11target_archE942ELNS1_3gpuE9ELNS1_3repE0EEENS1_30default_config_static_selectorELNS0_4arch9wavefront6targetE1EEEvT1_,"axG",@progbits,_ZN7rocprim17ROCPRIM_400000_NS6detail17trampoline_kernelINS0_14default_configENS1_25partition_config_selectorILNS1_17partition_subalgoE0EiNS0_10empty_typeEbEEZZNS1_14partition_implILS5_0ELb0ES3_jN6thrust23THRUST_200600_302600_NS6detail15normal_iteratorINSA_10device_ptrIiEEEEPS6_SG_NS0_5tupleIJNSA_16discard_iteratorINSA_11use_defaultEEESK_EEENSH_IJSG_SG_EEES6_PlJ7is_evenIiEEEE10hipError_tPvRmT3_T4_T5_T6_T7_T9_mT8_P12ihipStream_tbDpT10_ENKUlT_T0_E_clISt17integral_constantIbLb0EES19_EEDaS14_S15_EUlS14_E_NS1_11comp_targetILNS1_3genE5ELNS1_11target_archE942ELNS1_3gpuE9ELNS1_3repE0EEENS1_30default_config_static_selectorELNS0_4arch9wavefront6targetE1EEEvT1_,comdat
	.protected	_ZN7rocprim17ROCPRIM_400000_NS6detail17trampoline_kernelINS0_14default_configENS1_25partition_config_selectorILNS1_17partition_subalgoE0EiNS0_10empty_typeEbEEZZNS1_14partition_implILS5_0ELb0ES3_jN6thrust23THRUST_200600_302600_NS6detail15normal_iteratorINSA_10device_ptrIiEEEEPS6_SG_NS0_5tupleIJNSA_16discard_iteratorINSA_11use_defaultEEESK_EEENSH_IJSG_SG_EEES6_PlJ7is_evenIiEEEE10hipError_tPvRmT3_T4_T5_T6_T7_T9_mT8_P12ihipStream_tbDpT10_ENKUlT_T0_E_clISt17integral_constantIbLb0EES19_EEDaS14_S15_EUlS14_E_NS1_11comp_targetILNS1_3genE5ELNS1_11target_archE942ELNS1_3gpuE9ELNS1_3repE0EEENS1_30default_config_static_selectorELNS0_4arch9wavefront6targetE1EEEvT1_ ; -- Begin function _ZN7rocprim17ROCPRIM_400000_NS6detail17trampoline_kernelINS0_14default_configENS1_25partition_config_selectorILNS1_17partition_subalgoE0EiNS0_10empty_typeEbEEZZNS1_14partition_implILS5_0ELb0ES3_jN6thrust23THRUST_200600_302600_NS6detail15normal_iteratorINSA_10device_ptrIiEEEEPS6_SG_NS0_5tupleIJNSA_16discard_iteratorINSA_11use_defaultEEESK_EEENSH_IJSG_SG_EEES6_PlJ7is_evenIiEEEE10hipError_tPvRmT3_T4_T5_T6_T7_T9_mT8_P12ihipStream_tbDpT10_ENKUlT_T0_E_clISt17integral_constantIbLb0EES19_EEDaS14_S15_EUlS14_E_NS1_11comp_targetILNS1_3genE5ELNS1_11target_archE942ELNS1_3gpuE9ELNS1_3repE0EEENS1_30default_config_static_selectorELNS0_4arch9wavefront6targetE1EEEvT1_
	.globl	_ZN7rocprim17ROCPRIM_400000_NS6detail17trampoline_kernelINS0_14default_configENS1_25partition_config_selectorILNS1_17partition_subalgoE0EiNS0_10empty_typeEbEEZZNS1_14partition_implILS5_0ELb0ES3_jN6thrust23THRUST_200600_302600_NS6detail15normal_iteratorINSA_10device_ptrIiEEEEPS6_SG_NS0_5tupleIJNSA_16discard_iteratorINSA_11use_defaultEEESK_EEENSH_IJSG_SG_EEES6_PlJ7is_evenIiEEEE10hipError_tPvRmT3_T4_T5_T6_T7_T9_mT8_P12ihipStream_tbDpT10_ENKUlT_T0_E_clISt17integral_constantIbLb0EES19_EEDaS14_S15_EUlS14_E_NS1_11comp_targetILNS1_3genE5ELNS1_11target_archE942ELNS1_3gpuE9ELNS1_3repE0EEENS1_30default_config_static_selectorELNS0_4arch9wavefront6targetE1EEEvT1_
	.p2align	8
	.type	_ZN7rocprim17ROCPRIM_400000_NS6detail17trampoline_kernelINS0_14default_configENS1_25partition_config_selectorILNS1_17partition_subalgoE0EiNS0_10empty_typeEbEEZZNS1_14partition_implILS5_0ELb0ES3_jN6thrust23THRUST_200600_302600_NS6detail15normal_iteratorINSA_10device_ptrIiEEEEPS6_SG_NS0_5tupleIJNSA_16discard_iteratorINSA_11use_defaultEEESK_EEENSH_IJSG_SG_EEES6_PlJ7is_evenIiEEEE10hipError_tPvRmT3_T4_T5_T6_T7_T9_mT8_P12ihipStream_tbDpT10_ENKUlT_T0_E_clISt17integral_constantIbLb0EES19_EEDaS14_S15_EUlS14_E_NS1_11comp_targetILNS1_3genE5ELNS1_11target_archE942ELNS1_3gpuE9ELNS1_3repE0EEENS1_30default_config_static_selectorELNS0_4arch9wavefront6targetE1EEEvT1_,@function
_ZN7rocprim17ROCPRIM_400000_NS6detail17trampoline_kernelINS0_14default_configENS1_25partition_config_selectorILNS1_17partition_subalgoE0EiNS0_10empty_typeEbEEZZNS1_14partition_implILS5_0ELb0ES3_jN6thrust23THRUST_200600_302600_NS6detail15normal_iteratorINSA_10device_ptrIiEEEEPS6_SG_NS0_5tupleIJNSA_16discard_iteratorINSA_11use_defaultEEESK_EEENSH_IJSG_SG_EEES6_PlJ7is_evenIiEEEE10hipError_tPvRmT3_T4_T5_T6_T7_T9_mT8_P12ihipStream_tbDpT10_ENKUlT_T0_E_clISt17integral_constantIbLb0EES19_EEDaS14_S15_EUlS14_E_NS1_11comp_targetILNS1_3genE5ELNS1_11target_archE942ELNS1_3gpuE9ELNS1_3repE0EEENS1_30default_config_static_selectorELNS0_4arch9wavefront6targetE1EEEvT1_: ; @_ZN7rocprim17ROCPRIM_400000_NS6detail17trampoline_kernelINS0_14default_configENS1_25partition_config_selectorILNS1_17partition_subalgoE0EiNS0_10empty_typeEbEEZZNS1_14partition_implILS5_0ELb0ES3_jN6thrust23THRUST_200600_302600_NS6detail15normal_iteratorINSA_10device_ptrIiEEEEPS6_SG_NS0_5tupleIJNSA_16discard_iteratorINSA_11use_defaultEEESK_EEENSH_IJSG_SG_EEES6_PlJ7is_evenIiEEEE10hipError_tPvRmT3_T4_T5_T6_T7_T9_mT8_P12ihipStream_tbDpT10_ENKUlT_T0_E_clISt17integral_constantIbLb0EES19_EEDaS14_S15_EUlS14_E_NS1_11comp_targetILNS1_3genE5ELNS1_11target_archE942ELNS1_3gpuE9ELNS1_3repE0EEENS1_30default_config_static_selectorELNS0_4arch9wavefront6targetE1EEEvT1_
; %bb.0:
	.section	.rodata,"a",@progbits
	.p2align	6, 0x0
	.amdhsa_kernel _ZN7rocprim17ROCPRIM_400000_NS6detail17trampoline_kernelINS0_14default_configENS1_25partition_config_selectorILNS1_17partition_subalgoE0EiNS0_10empty_typeEbEEZZNS1_14partition_implILS5_0ELb0ES3_jN6thrust23THRUST_200600_302600_NS6detail15normal_iteratorINSA_10device_ptrIiEEEEPS6_SG_NS0_5tupleIJNSA_16discard_iteratorINSA_11use_defaultEEESK_EEENSH_IJSG_SG_EEES6_PlJ7is_evenIiEEEE10hipError_tPvRmT3_T4_T5_T6_T7_T9_mT8_P12ihipStream_tbDpT10_ENKUlT_T0_E_clISt17integral_constantIbLb0EES19_EEDaS14_S15_EUlS14_E_NS1_11comp_targetILNS1_3genE5ELNS1_11target_archE942ELNS1_3gpuE9ELNS1_3repE0EEENS1_30default_config_static_selectorELNS0_4arch9wavefront6targetE1EEEvT1_
		.amdhsa_group_segment_fixed_size 0
		.amdhsa_private_segment_fixed_size 0
		.amdhsa_kernarg_size 136
		.amdhsa_user_sgpr_count 6
		.amdhsa_user_sgpr_private_segment_buffer 1
		.amdhsa_user_sgpr_dispatch_ptr 0
		.amdhsa_user_sgpr_queue_ptr 0
		.amdhsa_user_sgpr_kernarg_segment_ptr 1
		.amdhsa_user_sgpr_dispatch_id 0
		.amdhsa_user_sgpr_flat_scratch_init 0
		.amdhsa_user_sgpr_kernarg_preload_length 0
		.amdhsa_user_sgpr_kernarg_preload_offset 0
		.amdhsa_user_sgpr_private_segment_size 0
		.amdhsa_uses_dynamic_stack 0
		.amdhsa_system_sgpr_private_segment_wavefront_offset 0
		.amdhsa_system_sgpr_workgroup_id_x 1
		.amdhsa_system_sgpr_workgroup_id_y 0
		.amdhsa_system_sgpr_workgroup_id_z 0
		.amdhsa_system_sgpr_workgroup_info 0
		.amdhsa_system_vgpr_workitem_id 0
		.amdhsa_next_free_vgpr 1
		.amdhsa_next_free_sgpr 0
		.amdhsa_accum_offset 4
		.amdhsa_reserve_vcc 0
		.amdhsa_reserve_flat_scratch 0
		.amdhsa_float_round_mode_32 0
		.amdhsa_float_round_mode_16_64 0
		.amdhsa_float_denorm_mode_32 3
		.amdhsa_float_denorm_mode_16_64 3
		.amdhsa_dx10_clamp 1
		.amdhsa_ieee_mode 1
		.amdhsa_fp16_overflow 0
		.amdhsa_tg_split 0
		.amdhsa_exception_fp_ieee_invalid_op 0
		.amdhsa_exception_fp_denorm_src 0
		.amdhsa_exception_fp_ieee_div_zero 0
		.amdhsa_exception_fp_ieee_overflow 0
		.amdhsa_exception_fp_ieee_underflow 0
		.amdhsa_exception_fp_ieee_inexact 0
		.amdhsa_exception_int_div_zero 0
	.end_amdhsa_kernel
	.section	.text._ZN7rocprim17ROCPRIM_400000_NS6detail17trampoline_kernelINS0_14default_configENS1_25partition_config_selectorILNS1_17partition_subalgoE0EiNS0_10empty_typeEbEEZZNS1_14partition_implILS5_0ELb0ES3_jN6thrust23THRUST_200600_302600_NS6detail15normal_iteratorINSA_10device_ptrIiEEEEPS6_SG_NS0_5tupleIJNSA_16discard_iteratorINSA_11use_defaultEEESK_EEENSH_IJSG_SG_EEES6_PlJ7is_evenIiEEEE10hipError_tPvRmT3_T4_T5_T6_T7_T9_mT8_P12ihipStream_tbDpT10_ENKUlT_T0_E_clISt17integral_constantIbLb0EES19_EEDaS14_S15_EUlS14_E_NS1_11comp_targetILNS1_3genE5ELNS1_11target_archE942ELNS1_3gpuE9ELNS1_3repE0EEENS1_30default_config_static_selectorELNS0_4arch9wavefront6targetE1EEEvT1_,"axG",@progbits,_ZN7rocprim17ROCPRIM_400000_NS6detail17trampoline_kernelINS0_14default_configENS1_25partition_config_selectorILNS1_17partition_subalgoE0EiNS0_10empty_typeEbEEZZNS1_14partition_implILS5_0ELb0ES3_jN6thrust23THRUST_200600_302600_NS6detail15normal_iteratorINSA_10device_ptrIiEEEEPS6_SG_NS0_5tupleIJNSA_16discard_iteratorINSA_11use_defaultEEESK_EEENSH_IJSG_SG_EEES6_PlJ7is_evenIiEEEE10hipError_tPvRmT3_T4_T5_T6_T7_T9_mT8_P12ihipStream_tbDpT10_ENKUlT_T0_E_clISt17integral_constantIbLb0EES19_EEDaS14_S15_EUlS14_E_NS1_11comp_targetILNS1_3genE5ELNS1_11target_archE942ELNS1_3gpuE9ELNS1_3repE0EEENS1_30default_config_static_selectorELNS0_4arch9wavefront6targetE1EEEvT1_,comdat
.Lfunc_end2684:
	.size	_ZN7rocprim17ROCPRIM_400000_NS6detail17trampoline_kernelINS0_14default_configENS1_25partition_config_selectorILNS1_17partition_subalgoE0EiNS0_10empty_typeEbEEZZNS1_14partition_implILS5_0ELb0ES3_jN6thrust23THRUST_200600_302600_NS6detail15normal_iteratorINSA_10device_ptrIiEEEEPS6_SG_NS0_5tupleIJNSA_16discard_iteratorINSA_11use_defaultEEESK_EEENSH_IJSG_SG_EEES6_PlJ7is_evenIiEEEE10hipError_tPvRmT3_T4_T5_T6_T7_T9_mT8_P12ihipStream_tbDpT10_ENKUlT_T0_E_clISt17integral_constantIbLb0EES19_EEDaS14_S15_EUlS14_E_NS1_11comp_targetILNS1_3genE5ELNS1_11target_archE942ELNS1_3gpuE9ELNS1_3repE0EEENS1_30default_config_static_selectorELNS0_4arch9wavefront6targetE1EEEvT1_, .Lfunc_end2684-_ZN7rocprim17ROCPRIM_400000_NS6detail17trampoline_kernelINS0_14default_configENS1_25partition_config_selectorILNS1_17partition_subalgoE0EiNS0_10empty_typeEbEEZZNS1_14partition_implILS5_0ELb0ES3_jN6thrust23THRUST_200600_302600_NS6detail15normal_iteratorINSA_10device_ptrIiEEEEPS6_SG_NS0_5tupleIJNSA_16discard_iteratorINSA_11use_defaultEEESK_EEENSH_IJSG_SG_EEES6_PlJ7is_evenIiEEEE10hipError_tPvRmT3_T4_T5_T6_T7_T9_mT8_P12ihipStream_tbDpT10_ENKUlT_T0_E_clISt17integral_constantIbLb0EES19_EEDaS14_S15_EUlS14_E_NS1_11comp_targetILNS1_3genE5ELNS1_11target_archE942ELNS1_3gpuE9ELNS1_3repE0EEENS1_30default_config_static_selectorELNS0_4arch9wavefront6targetE1EEEvT1_
                                        ; -- End function
	.section	.AMDGPU.csdata,"",@progbits
; Kernel info:
; codeLenInByte = 0
; NumSgprs: 4
; NumVgprs: 0
; NumAgprs: 0
; TotalNumVgprs: 0
; ScratchSize: 0
; MemoryBound: 0
; FloatMode: 240
; IeeeMode: 1
; LDSByteSize: 0 bytes/workgroup (compile time only)
; SGPRBlocks: 0
; VGPRBlocks: 0
; NumSGPRsForWavesPerEU: 4
; NumVGPRsForWavesPerEU: 1
; AccumOffset: 4
; Occupancy: 8
; WaveLimiterHint : 0
; COMPUTE_PGM_RSRC2:SCRATCH_EN: 0
; COMPUTE_PGM_RSRC2:USER_SGPR: 6
; COMPUTE_PGM_RSRC2:TRAP_HANDLER: 0
; COMPUTE_PGM_RSRC2:TGID_X_EN: 1
; COMPUTE_PGM_RSRC2:TGID_Y_EN: 0
; COMPUTE_PGM_RSRC2:TGID_Z_EN: 0
; COMPUTE_PGM_RSRC2:TIDIG_COMP_CNT: 0
; COMPUTE_PGM_RSRC3_GFX90A:ACCUM_OFFSET: 0
; COMPUTE_PGM_RSRC3_GFX90A:TG_SPLIT: 0
	.section	.text._ZN7rocprim17ROCPRIM_400000_NS6detail17trampoline_kernelINS0_14default_configENS1_25partition_config_selectorILNS1_17partition_subalgoE0EiNS0_10empty_typeEbEEZZNS1_14partition_implILS5_0ELb0ES3_jN6thrust23THRUST_200600_302600_NS6detail15normal_iteratorINSA_10device_ptrIiEEEEPS6_SG_NS0_5tupleIJNSA_16discard_iteratorINSA_11use_defaultEEESK_EEENSH_IJSG_SG_EEES6_PlJ7is_evenIiEEEE10hipError_tPvRmT3_T4_T5_T6_T7_T9_mT8_P12ihipStream_tbDpT10_ENKUlT_T0_E_clISt17integral_constantIbLb0EES19_EEDaS14_S15_EUlS14_E_NS1_11comp_targetILNS1_3genE4ELNS1_11target_archE910ELNS1_3gpuE8ELNS1_3repE0EEENS1_30default_config_static_selectorELNS0_4arch9wavefront6targetE1EEEvT1_,"axG",@progbits,_ZN7rocprim17ROCPRIM_400000_NS6detail17trampoline_kernelINS0_14default_configENS1_25partition_config_selectorILNS1_17partition_subalgoE0EiNS0_10empty_typeEbEEZZNS1_14partition_implILS5_0ELb0ES3_jN6thrust23THRUST_200600_302600_NS6detail15normal_iteratorINSA_10device_ptrIiEEEEPS6_SG_NS0_5tupleIJNSA_16discard_iteratorINSA_11use_defaultEEESK_EEENSH_IJSG_SG_EEES6_PlJ7is_evenIiEEEE10hipError_tPvRmT3_T4_T5_T6_T7_T9_mT8_P12ihipStream_tbDpT10_ENKUlT_T0_E_clISt17integral_constantIbLb0EES19_EEDaS14_S15_EUlS14_E_NS1_11comp_targetILNS1_3genE4ELNS1_11target_archE910ELNS1_3gpuE8ELNS1_3repE0EEENS1_30default_config_static_selectorELNS0_4arch9wavefront6targetE1EEEvT1_,comdat
	.protected	_ZN7rocprim17ROCPRIM_400000_NS6detail17trampoline_kernelINS0_14default_configENS1_25partition_config_selectorILNS1_17partition_subalgoE0EiNS0_10empty_typeEbEEZZNS1_14partition_implILS5_0ELb0ES3_jN6thrust23THRUST_200600_302600_NS6detail15normal_iteratorINSA_10device_ptrIiEEEEPS6_SG_NS0_5tupleIJNSA_16discard_iteratorINSA_11use_defaultEEESK_EEENSH_IJSG_SG_EEES6_PlJ7is_evenIiEEEE10hipError_tPvRmT3_T4_T5_T6_T7_T9_mT8_P12ihipStream_tbDpT10_ENKUlT_T0_E_clISt17integral_constantIbLb0EES19_EEDaS14_S15_EUlS14_E_NS1_11comp_targetILNS1_3genE4ELNS1_11target_archE910ELNS1_3gpuE8ELNS1_3repE0EEENS1_30default_config_static_selectorELNS0_4arch9wavefront6targetE1EEEvT1_ ; -- Begin function _ZN7rocprim17ROCPRIM_400000_NS6detail17trampoline_kernelINS0_14default_configENS1_25partition_config_selectorILNS1_17partition_subalgoE0EiNS0_10empty_typeEbEEZZNS1_14partition_implILS5_0ELb0ES3_jN6thrust23THRUST_200600_302600_NS6detail15normal_iteratorINSA_10device_ptrIiEEEEPS6_SG_NS0_5tupleIJNSA_16discard_iteratorINSA_11use_defaultEEESK_EEENSH_IJSG_SG_EEES6_PlJ7is_evenIiEEEE10hipError_tPvRmT3_T4_T5_T6_T7_T9_mT8_P12ihipStream_tbDpT10_ENKUlT_T0_E_clISt17integral_constantIbLb0EES19_EEDaS14_S15_EUlS14_E_NS1_11comp_targetILNS1_3genE4ELNS1_11target_archE910ELNS1_3gpuE8ELNS1_3repE0EEENS1_30default_config_static_selectorELNS0_4arch9wavefront6targetE1EEEvT1_
	.globl	_ZN7rocprim17ROCPRIM_400000_NS6detail17trampoline_kernelINS0_14default_configENS1_25partition_config_selectorILNS1_17partition_subalgoE0EiNS0_10empty_typeEbEEZZNS1_14partition_implILS5_0ELb0ES3_jN6thrust23THRUST_200600_302600_NS6detail15normal_iteratorINSA_10device_ptrIiEEEEPS6_SG_NS0_5tupleIJNSA_16discard_iteratorINSA_11use_defaultEEESK_EEENSH_IJSG_SG_EEES6_PlJ7is_evenIiEEEE10hipError_tPvRmT3_T4_T5_T6_T7_T9_mT8_P12ihipStream_tbDpT10_ENKUlT_T0_E_clISt17integral_constantIbLb0EES19_EEDaS14_S15_EUlS14_E_NS1_11comp_targetILNS1_3genE4ELNS1_11target_archE910ELNS1_3gpuE8ELNS1_3repE0EEENS1_30default_config_static_selectorELNS0_4arch9wavefront6targetE1EEEvT1_
	.p2align	8
	.type	_ZN7rocprim17ROCPRIM_400000_NS6detail17trampoline_kernelINS0_14default_configENS1_25partition_config_selectorILNS1_17partition_subalgoE0EiNS0_10empty_typeEbEEZZNS1_14partition_implILS5_0ELb0ES3_jN6thrust23THRUST_200600_302600_NS6detail15normal_iteratorINSA_10device_ptrIiEEEEPS6_SG_NS0_5tupleIJNSA_16discard_iteratorINSA_11use_defaultEEESK_EEENSH_IJSG_SG_EEES6_PlJ7is_evenIiEEEE10hipError_tPvRmT3_T4_T5_T6_T7_T9_mT8_P12ihipStream_tbDpT10_ENKUlT_T0_E_clISt17integral_constantIbLb0EES19_EEDaS14_S15_EUlS14_E_NS1_11comp_targetILNS1_3genE4ELNS1_11target_archE910ELNS1_3gpuE8ELNS1_3repE0EEENS1_30default_config_static_selectorELNS0_4arch9wavefront6targetE1EEEvT1_,@function
_ZN7rocprim17ROCPRIM_400000_NS6detail17trampoline_kernelINS0_14default_configENS1_25partition_config_selectorILNS1_17partition_subalgoE0EiNS0_10empty_typeEbEEZZNS1_14partition_implILS5_0ELb0ES3_jN6thrust23THRUST_200600_302600_NS6detail15normal_iteratorINSA_10device_ptrIiEEEEPS6_SG_NS0_5tupleIJNSA_16discard_iteratorINSA_11use_defaultEEESK_EEENSH_IJSG_SG_EEES6_PlJ7is_evenIiEEEE10hipError_tPvRmT3_T4_T5_T6_T7_T9_mT8_P12ihipStream_tbDpT10_ENKUlT_T0_E_clISt17integral_constantIbLb0EES19_EEDaS14_S15_EUlS14_E_NS1_11comp_targetILNS1_3genE4ELNS1_11target_archE910ELNS1_3gpuE8ELNS1_3repE0EEENS1_30default_config_static_selectorELNS0_4arch9wavefront6targetE1EEEvT1_: ; @_ZN7rocprim17ROCPRIM_400000_NS6detail17trampoline_kernelINS0_14default_configENS1_25partition_config_selectorILNS1_17partition_subalgoE0EiNS0_10empty_typeEbEEZZNS1_14partition_implILS5_0ELb0ES3_jN6thrust23THRUST_200600_302600_NS6detail15normal_iteratorINSA_10device_ptrIiEEEEPS6_SG_NS0_5tupleIJNSA_16discard_iteratorINSA_11use_defaultEEESK_EEENSH_IJSG_SG_EEES6_PlJ7is_evenIiEEEE10hipError_tPvRmT3_T4_T5_T6_T7_T9_mT8_P12ihipStream_tbDpT10_ENKUlT_T0_E_clISt17integral_constantIbLb0EES19_EEDaS14_S15_EUlS14_E_NS1_11comp_targetILNS1_3genE4ELNS1_11target_archE910ELNS1_3gpuE8ELNS1_3repE0EEENS1_30default_config_static_selectorELNS0_4arch9wavefront6targetE1EEEvT1_
; %bb.0:
	s_load_dwordx2 s[8:9], s[4:5], 0x68
	s_load_dwordx4 s[0:3], s[4:5], 0x8
	s_load_dwordx4 s[20:23], s[4:5], 0x58
	s_load_dword s7, s[4:5], 0x80
	s_waitcnt lgkmcnt(0)
	v_mov_b32_e32 v3, s9
	s_lshl_b64 s[10:11], s[2:3], 2
	s_add_u32 s9, s0, s10
	s_mul_i32 s0, s7, 0xa00
	s_addc_u32 s12, s1, s11
	s_add_i32 s1, s0, s2
	s_add_i32 s13, s7, -1
	s_sub_i32 s7, s8, s1
	s_add_u32 s0, s2, s0
	s_addc_u32 s1, s3, 0
	s_cmp_eq_u32 s6, s13
	v_mov_b32_e32 v2, s8
	s_load_dwordx2 s[18:19], s[22:23], 0x0
	s_cselect_b64 s[22:23], -1, 0
	s_cmp_lg_u32 s6, s13
	s_mul_i32 s10, s6, 0xa00
	s_mov_b32 s11, 0
	v_cmp_lt_u64_e32 vcc, s[0:1], v[2:3]
	s_cselect_b64 s[0:1], -1, 0
	s_or_b64 s[0:1], s[0:1], vcc
	s_lshl_b64 s[2:3], s[10:11], 2
	s_add_u32 s8, s9, s2
	s_addc_u32 s9, s12, s3
	s_mov_b64 s[2:3], -1
	s_and_b64 vcc, exec, s[0:1]
	s_cbranch_vccz .LBB2685_2
; %bb.1:
	v_lshlrev_b32_e32 v1, 2, v0
	v_mov_b32_e32 v3, s9
	v_add_co_u32_e32 v2, vcc, s8, v1
	v_addc_co_u32_e32 v3, vcc, 0, v3, vcc
	v_add_co_u32_e32 v4, vcc, 0x1000, v2
	v_addc_co_u32_e32 v5, vcc, 0, v3, vcc
	flat_load_dword v6, v[2:3]
	flat_load_dword v7, v[2:3] offset:1024
	flat_load_dword v8, v[2:3] offset:2048
	flat_load_dword v9, v[2:3] offset:3072
	flat_load_dword v10, v[4:5]
	flat_load_dword v11, v[4:5] offset:1024
	flat_load_dword v12, v[4:5] offset:2048
	;; [unrolled: 1-line block ×3, first 2 shown]
	v_add_co_u32_e32 v2, vcc, 0x2000, v2
	v_addc_co_u32_e32 v3, vcc, 0, v3, vcc
	flat_load_dword v4, v[2:3]
	flat_load_dword v5, v[2:3] offset:1024
	s_mov_b64 s[2:3], 0
	s_waitcnt vmcnt(0) lgkmcnt(0)
	ds_write2st64_b32 v1, v6, v7 offset1:4
	ds_write2st64_b32 v1, v8, v9 offset0:8 offset1:12
	ds_write2st64_b32 v1, v10, v11 offset0:16 offset1:20
	;; [unrolled: 1-line block ×4, first 2 shown]
	s_waitcnt lgkmcnt(0)
	s_barrier
.LBB2685_2:
	s_andn2_b64 vcc, exec, s[2:3]
	s_addk_i32 s7, 0xa00
	s_cbranch_vccnz .LBB2685_24
; %bb.3:
	v_cmp_gt_u32_e32 vcc, s7, v0
                                        ; implicit-def: $vgpr2_vgpr3_vgpr4_vgpr5_vgpr6_vgpr7_vgpr8_vgpr9_vgpr10_vgpr11
	s_and_saveexec_b64 s[2:3], vcc
	s_cbranch_execz .LBB2685_5
; %bb.4:
	v_lshlrev_b32_e32 v1, 2, v0
	v_mov_b32_e32 v3, s9
	v_add_co_u32_e32 v2, vcc, s8, v1
	v_addc_co_u32_e32 v3, vcc, 0, v3, vcc
	flat_load_dword v2, v[2:3]
.LBB2685_5:
	s_or_b64 exec, exec, s[2:3]
	v_or_b32_e32 v1, 0x100, v0
	v_cmp_gt_u32_e32 vcc, s7, v1
	s_and_saveexec_b64 s[2:3], vcc
	s_cbranch_execz .LBB2685_7
; %bb.6:
	v_lshlrev_b32_e32 v1, 2, v0
	v_mov_b32_e32 v3, s9
	v_add_co_u32_e32 v12, vcc, s8, v1
	v_addc_co_u32_e32 v13, vcc, 0, v3, vcc
	flat_load_dword v3, v[12:13] offset:1024
.LBB2685_7:
	s_or_b64 exec, exec, s[2:3]
	v_or_b32_e32 v1, 0x200, v0
	v_cmp_gt_u32_e32 vcc, s7, v1
	s_and_saveexec_b64 s[2:3], vcc
	s_cbranch_execz .LBB2685_9
; %bb.8:
	v_lshlrev_b32_e32 v1, 2, v0
	v_mov_b32_e32 v4, s9
	v_add_co_u32_e32 v12, vcc, s8, v1
	v_addc_co_u32_e32 v13, vcc, 0, v4, vcc
	flat_load_dword v4, v[12:13] offset:2048
.LBB2685_9:
	;; [unrolled: 12-line block ×3, first 2 shown]
	s_or_b64 exec, exec, s[2:3]
	v_or_b32_e32 v1, 0x400, v0
	v_cmp_gt_u32_e32 vcc, s7, v1
	s_and_saveexec_b64 s[2:3], vcc
	s_cbranch_execz .LBB2685_13
; %bb.12:
	v_lshlrev_b32_e32 v1, 2, v1
	v_mov_b32_e32 v6, s9
	v_add_co_u32_e32 v12, vcc, s8, v1
	v_addc_co_u32_e32 v13, vcc, 0, v6, vcc
	flat_load_dword v6, v[12:13]
.LBB2685_13:
	s_or_b64 exec, exec, s[2:3]
	v_or_b32_e32 v1, 0x500, v0
	v_cmp_gt_u32_e32 vcc, s7, v1
	s_and_saveexec_b64 s[2:3], vcc
	s_cbranch_execz .LBB2685_15
; %bb.14:
	v_lshlrev_b32_e32 v1, 2, v1
	v_mov_b32_e32 v7, s9
	v_add_co_u32_e32 v12, vcc, s8, v1
	v_addc_co_u32_e32 v13, vcc, 0, v7, vcc
	flat_load_dword v7, v[12:13]
.LBB2685_15:
	;; [unrolled: 12-line block ×6, first 2 shown]
	s_or_b64 exec, exec, s[2:3]
	v_lshlrev_b32_e32 v1, 2, v0
	s_waitcnt vmcnt(0) lgkmcnt(0)
	ds_write2st64_b32 v1, v2, v3 offset1:4
	ds_write2st64_b32 v1, v4, v5 offset0:8 offset1:12
	ds_write2st64_b32 v1, v6, v7 offset0:16 offset1:20
	;; [unrolled: 1-line block ×4, first 2 shown]
	s_waitcnt lgkmcnt(0)
	s_barrier
.LBB2685_24:
	v_mul_u32_u24_e32 v22, 10, v0
	v_lshlrev_b32_e32 v28, 2, v22
	s_waitcnt lgkmcnt(0)
	ds_read2_b64 v[6:9], v28 offset1:1
	ds_read2_b64 v[2:5], v28 offset0:2 offset1:3
	ds_read_b64 v[10:11], v28 offset:32
	s_andn2_b64 vcc, exec, s[0:1]
	s_waitcnt lgkmcnt(0)
	v_xor_b32_e32 v21, -1, v6
	v_xor_b32_e32 v20, -1, v7
	;; [unrolled: 1-line block ×10, first 2 shown]
	s_barrier
	s_cbranch_vccnz .LBB2685_26
; %bb.25:
	v_mov_b32_e32 v1, 1
	v_and_b32_e32 v24, 1, v21
	v_and_b32_sdwa v25, v20, v1 dst_sel:BYTE_1 dst_unused:UNUSED_PAD src0_sel:DWORD src1_sel:DWORD
	v_and_b32_e32 v26, 1, v19
	v_and_b32_sdwa v27, v18, v1 dst_sel:BYTE_1 dst_unused:UNUSED_PAD src0_sel:DWORD src1_sel:DWORD
	;; [unrolled: 2-line block ×4, first 2 shown]
	v_or_b32_e32 v24, v24, v25
	v_or_b32_sdwa v25, v26, v27 dst_sel:WORD_1 dst_unused:UNUSED_PAD src0_sel:DWORD src1_sel:DWORD
	v_or_b32_sdwa v25, v24, v25 dst_sel:DWORD dst_unused:UNUSED_PAD src0_sel:WORD_0 src1_sel:DWORD
	v_or_b32_e32 v24, v29, v30
	v_or_b32_sdwa v26, v31, v32 dst_sel:WORD_1 dst_unused:UNUSED_PAD src0_sel:DWORD src1_sel:DWORD
	v_and_b32_e32 v23, 1, v13
	v_and_b32_e32 v1, 1, v12
	v_or_b32_sdwa v24, v24, v26 dst_sel:DWORD dst_unused:UNUSED_PAD src0_sel:WORD_0 src1_sel:DWORD
	s_load_dwordx2 s[24:25], s[4:5], 0x78
	s_cbranch_execz .LBB2685_27
	s_branch .LBB2685_28
.LBB2685_26:
                                        ; implicit-def: $vgpr1
                                        ; implicit-def: $vgpr23
                                        ; implicit-def: $vgpr24
                                        ; implicit-def: $vgpr25
	s_load_dwordx2 s[24:25], s[4:5], 0x78
.LBB2685_27:
	v_or_b32_e32 v31, 1, v22
	v_cmp_gt_u32_e32 vcc, s7, v22
	v_add_u32_e32 v1, 2, v22
	v_cndmask_b32_e64 v32, 0, 1, vcc
	v_cmp_gt_u32_e32 vcc, s7, v31
	v_add_u32_e32 v30, 3, v22
	v_cndmask_b32_e64 v31, 0, 1, vcc
	;; [unrolled: 3-line block ×3, first 2 shown]
	v_cmp_gt_u32_e32 vcc, s7, v30
	v_add_u32_e32 v29, 5, v22
	v_and_b32_e32 v19, v1, v19
	v_cndmask_b32_e64 v1, 0, 1, vcc
	v_cmp_gt_u32_e32 vcc, s7, v23
	v_add_u32_e32 v24, 6, v22
	v_and_b32_sdwa v18, v1, v18 dst_sel:BYTE_1 dst_unused:UNUSED_PAD src0_sel:DWORD src1_sel:DWORD
	v_cndmask_b32_e64 v1, 0, 1, vcc
	v_cmp_gt_u32_e32 vcc, s7, v29
	v_add_u32_e32 v27, 7, v22
	v_and_b32_e32 v17, v1, v17
	v_cndmask_b32_e64 v1, 0, 1, vcc
	v_cmp_gt_u32_e32 vcc, s7, v24
	v_add_u32_e32 v25, 8, v22
	v_and_b32_sdwa v16, v1, v16 dst_sel:BYTE_1 dst_unused:UNUSED_PAD src0_sel:DWORD src1_sel:DWORD
	v_cndmask_b32_e64 v1, 0, 1, vcc
	v_cmp_gt_u32_e32 vcc, s7, v27
	v_add_u32_e32 v26, 9, v22
	v_and_b32_e32 v15, v1, v15
	v_cndmask_b32_e64 v1, 0, 1, vcc
	v_cmp_gt_u32_e32 vcc, s7, v25
	v_and_b32_sdwa v14, v1, v14 dst_sel:BYTE_1 dst_unused:UNUSED_PAD src0_sel:DWORD src1_sel:DWORD
	v_cndmask_b32_e64 v1, 0, 1, vcc
	v_cmp_gt_u32_e32 vcc, s7, v26
	v_and_b32_e32 v21, v32, v21
	v_and_b32_sdwa v20, v31, v20 dst_sel:BYTE_1 dst_unused:UNUSED_PAD src0_sel:DWORD src1_sel:DWORD
	v_and_b32_e32 v23, v1, v13
	v_cndmask_b32_e64 v1, 0, 1, vcc
	v_and_b32_e32 v1, v1, v12
	v_or_b32_e32 v12, v21, v20
	v_or_b32_sdwa v13, v19, v18 dst_sel:WORD_1 dst_unused:UNUSED_PAD src0_sel:DWORD src1_sel:DWORD
	v_or_b32_sdwa v25, v12, v13 dst_sel:DWORD dst_unused:UNUSED_PAD src0_sel:WORD_0 src1_sel:DWORD
	v_or_b32_e32 v12, v17, v16
	v_or_b32_sdwa v13, v15, v14 dst_sel:WORD_1 dst_unused:UNUSED_PAD src0_sel:DWORD src1_sel:DWORD
	v_or_b32_sdwa v24, v12, v13 dst_sel:DWORD dst_unused:UNUSED_PAD src0_sel:WORD_0 src1_sel:DWORD
.LBB2685_28:
	v_bfe_u32 v29, v25, 16, 8
	v_lshrrev_b32_e32 v27, 24, v25
	v_add_u32_sdwa v13, v25, v25 dst_sel:DWORD dst_unused:UNUSED_PAD src0_sel:BYTE_1 src1_sel:BYTE_0
	v_and_b32_e32 v30, 0xff, v24
	v_bfe_u32 v31, v24, 8, 8
	v_add3_u32 v13, v13, v29, v27
	v_bfe_u32 v32, v24, 16, 8
	v_lshrrev_b32_e32 v26, 24, v24
	v_add3_u32 v13, v13, v30, v31
	v_and_b32_e32 v33, 0xff, v23
	v_and_b32_e32 v12, 0xff, v1
	v_add3_u32 v13, v13, v32, v26
	v_add3_u32 v36, v13, v33, v12
	v_mbcnt_lo_u32_b32 v12, -1, 0
	v_mbcnt_hi_u32_b32 v34, -1, v12
	v_and_b32_e32 v12, 15, v34
	v_cmp_eq_u32_e64 s[12:13], 0, v12
	v_cmp_lt_u32_e64 s[10:11], 1, v12
	v_cmp_lt_u32_e64 s[8:9], 3, v12
	;; [unrolled: 1-line block ×3, first 2 shown]
	v_and_b32_e32 v12, 16, v34
	v_cmp_eq_u32_e64 s[4:5], 0, v12
	v_or_b32_e32 v12, 63, v0
	s_cmp_lg_u32 s6, 0
	v_cmp_lt_u32_e64 s[0:1], 31, v34
	v_lshrrev_b32_e32 v35, 6, v0
	v_cmp_eq_u32_e64 s[2:3], v12, v0
	s_cbranch_scc0 .LBB2685_55
; %bb.29:
	v_mov_b32_dpp v12, v36 row_shr:1 row_mask:0xf bank_mask:0xf
	v_cndmask_b32_e64 v12, v12, 0, s[12:13]
	v_add_u32_e32 v12, v12, v36
	s_nop 1
	v_mov_b32_dpp v13, v12 row_shr:2 row_mask:0xf bank_mask:0xf
	v_cndmask_b32_e64 v13, 0, v13, s[10:11]
	v_add_u32_e32 v12, v12, v13
	s_nop 1
	;; [unrolled: 4-line block ×4, first 2 shown]
	v_mov_b32_dpp v13, v12 row_bcast:15 row_mask:0xf bank_mask:0xf
	v_cndmask_b32_e64 v13, v13, 0, s[4:5]
	v_add_u32_e32 v12, v12, v13
	s_nop 1
	v_mov_b32_dpp v13, v12 row_bcast:31 row_mask:0xf bank_mask:0xf
	v_cndmask_b32_e64 v13, 0, v13, s[0:1]
	v_add_u32_e32 v12, v12, v13
	s_and_saveexec_b64 s[14:15], s[2:3]
	s_cbranch_execz .LBB2685_31
; %bb.30:
	v_lshlrev_b32_e32 v13, 2, v35
	ds_write_b32 v13, v12
.LBB2685_31:
	s_or_b64 exec, exec, s[14:15]
	v_cmp_gt_u32_e32 vcc, 4, v0
	s_waitcnt lgkmcnt(0)
	s_barrier
	s_and_saveexec_b64 s[14:15], vcc
	s_cbranch_execz .LBB2685_33
; %bb.32:
	v_lshlrev_b32_e32 v13, 2, v0
	ds_read_b32 v14, v13
	v_and_b32_e32 v15, 3, v34
	v_cmp_ne_u32_e32 vcc, 0, v15
	s_waitcnt lgkmcnt(0)
	v_mov_b32_dpp v16, v14 row_shr:1 row_mask:0xf bank_mask:0xf
	v_cndmask_b32_e32 v16, 0, v16, vcc
	v_add_u32_e32 v14, v16, v14
	v_cmp_lt_u32_e32 vcc, 1, v15
	s_nop 0
	v_mov_b32_dpp v16, v14 row_shr:2 row_mask:0xf bank_mask:0xf
	v_cndmask_b32_e32 v15, 0, v16, vcc
	v_add_u32_e32 v14, v14, v15
	ds_write_b32 v13, v14
.LBB2685_33:
	s_or_b64 exec, exec, s[14:15]
	v_cmp_gt_u32_e32 vcc, 64, v0
	v_cmp_lt_u32_e64 s[14:15], 63, v0
	s_waitcnt lgkmcnt(0)
	s_barrier
	s_waitcnt lgkmcnt(0)
                                        ; implicit-def: $vgpr37
	s_and_saveexec_b64 s[26:27], s[14:15]
	s_cbranch_execz .LBB2685_35
; %bb.34:
	v_lshl_add_u32 v13, v35, 2, -4
	ds_read_b32 v37, v13
	s_waitcnt lgkmcnt(0)
	v_add_u32_e32 v12, v37, v12
.LBB2685_35:
	s_or_b64 exec, exec, s[26:27]
	v_add_u32_e32 v13, -1, v34
	v_and_b32_e32 v14, 64, v34
	v_cmp_lt_i32_e64 s[14:15], v13, v14
	v_cndmask_b32_e64 v13, v13, v34, s[14:15]
	v_lshlrev_b32_e32 v13, 2, v13
	ds_bpermute_b32 v38, v13, v12
	v_cmp_eq_u32_e64 s[14:15], 0, v34
	s_and_saveexec_b64 s[26:27], vcc
	s_cbranch_execz .LBB2685_54
; %bb.36:
	v_mov_b32_e32 v19, 0
	ds_read_b32 v12, v19 offset:12
	s_and_saveexec_b64 s[28:29], s[14:15]
	s_cbranch_execz .LBB2685_38
; %bb.37:
	s_add_i32 s30, s6, 64
	s_mov_b32 s31, 0
	s_lshl_b64 s[30:31], s[30:31], 3
	s_add_u32 s30, s24, s30
	v_mov_b32_e32 v13, 1
	s_addc_u32 s31, s25, s31
	s_waitcnt lgkmcnt(0)
	global_store_dwordx2 v19, v[12:13], s[30:31]
.LBB2685_38:
	s_or_b64 exec, exec, s[28:29]
	v_xad_u32 v14, v34, -1, s6
	v_add_u32_e32 v18, 64, v14
	v_lshlrev_b64 v[16:17], 3, v[18:19]
	v_mov_b32_e32 v13, s25
	v_add_co_u32_e32 v20, vcc, s24, v16
	v_addc_co_u32_e32 v21, vcc, v13, v17, vcc
	global_load_dwordx2 v[16:17], v[20:21], off glc
	s_waitcnt vmcnt(0)
	v_cmp_eq_u16_sdwa s[30:31], v17, v19 src0_sel:BYTE_0 src1_sel:DWORD
	s_and_saveexec_b64 s[28:29], s[30:31]
	s_cbranch_execz .LBB2685_42
; %bb.39:
	s_mov_b64 s[30:31], 0
	v_mov_b32_e32 v13, 0
.LBB2685_40:                            ; =>This Inner Loop Header: Depth=1
	global_load_dwordx2 v[16:17], v[20:21], off glc
	s_waitcnt vmcnt(0)
	v_cmp_ne_u16_sdwa s[34:35], v17, v13 src0_sel:BYTE_0 src1_sel:DWORD
	s_or_b64 s[30:31], s[34:35], s[30:31]
	s_andn2_b64 exec, exec, s[30:31]
	s_cbranch_execnz .LBB2685_40
; %bb.41:
	s_or_b64 exec, exec, s[30:31]
.LBB2685_42:
	s_or_b64 exec, exec, s[28:29]
	v_and_b32_e32 v40, 63, v34
	v_mov_b32_e32 v39, 2
	v_cmp_ne_u32_e32 vcc, 63, v40
	v_cmp_eq_u16_sdwa s[28:29], v17, v39 src0_sel:BYTE_0 src1_sel:DWORD
	v_lshlrev_b64 v[18:19], v34, -1
	v_addc_co_u32_e32 v20, vcc, 0, v34, vcc
	v_and_b32_e32 v13, s29, v19
	v_lshlrev_b32_e32 v41, 2, v20
	v_or_b32_e32 v13, 0x80000000, v13
	ds_bpermute_b32 v20, v41, v16
	v_and_b32_e32 v15, s28, v18
	v_ffbl_b32_e32 v13, v13
	v_add_u32_e32 v13, 32, v13
	v_ffbl_b32_e32 v15, v15
	v_min_u32_e32 v13, v15, v13
	v_cmp_lt_u32_e32 vcc, v40, v13
	s_waitcnt lgkmcnt(0)
	v_cndmask_b32_e32 v15, 0, v20, vcc
	v_cmp_gt_u32_e32 vcc, 62, v40
	v_add_u32_e32 v15, v15, v16
	v_cndmask_b32_e64 v16, 0, 1, vcc
	v_lshlrev_b32_e32 v16, 1, v16
	v_add_lshl_u32 v42, v16, v34, 2
	ds_bpermute_b32 v16, v42, v15
	v_add_u32_e32 v43, 2, v40
	v_cmp_le_u32_e32 vcc, v43, v13
	v_add_u32_e32 v45, 4, v40
	v_add_u32_e32 v47, 8, v40
	s_waitcnt lgkmcnt(0)
	v_cndmask_b32_e32 v16, 0, v16, vcc
	v_cmp_gt_u32_e32 vcc, 60, v40
	v_add_u32_e32 v15, v15, v16
	v_cndmask_b32_e64 v16, 0, 1, vcc
	v_lshlrev_b32_e32 v16, 2, v16
	v_add_lshl_u32 v44, v16, v34, 2
	ds_bpermute_b32 v16, v44, v15
	v_cmp_le_u32_e32 vcc, v45, v13
	v_add_u32_e32 v49, 16, v40
	v_add_u32_e32 v51, 32, v40
	s_waitcnt lgkmcnt(0)
	v_cndmask_b32_e32 v16, 0, v16, vcc
	v_cmp_gt_u32_e32 vcc, 56, v40
	v_add_u32_e32 v15, v15, v16
	v_cndmask_b32_e64 v16, 0, 1, vcc
	v_lshlrev_b32_e32 v16, 3, v16
	v_add_lshl_u32 v46, v16, v34, 2
	ds_bpermute_b32 v16, v46, v15
	v_cmp_le_u32_e32 vcc, v47, v13
	s_waitcnt lgkmcnt(0)
	v_cndmask_b32_e32 v16, 0, v16, vcc
	v_cmp_gt_u32_e32 vcc, 48, v40
	v_add_u32_e32 v15, v15, v16
	v_cndmask_b32_e64 v16, 0, 1, vcc
	v_lshlrev_b32_e32 v16, 4, v16
	v_add_lshl_u32 v48, v16, v34, 2
	ds_bpermute_b32 v16, v48, v15
	v_cmp_le_u32_e32 vcc, v49, v13
	;; [unrolled: 9-line block ×3, first 2 shown]
	s_waitcnt lgkmcnt(0)
	v_cndmask_b32_e32 v13, 0, v16, vcc
	v_add_u32_e32 v16, v15, v13
	v_mov_b32_e32 v15, 0
	s_branch .LBB2685_44
.LBB2685_43:                            ;   in Loop: Header=BB2685_44 Depth=1
	s_or_b64 exec, exec, s[28:29]
	v_cmp_eq_u16_sdwa s[28:29], v17, v39 src0_sel:BYTE_0 src1_sel:DWORD
	v_and_b32_e32 v20, s29, v19
	v_or_b32_e32 v20, 0x80000000, v20
	ds_bpermute_b32 v52, v41, v16
	v_and_b32_e32 v21, s28, v18
	v_ffbl_b32_e32 v20, v20
	v_add_u32_e32 v20, 32, v20
	v_ffbl_b32_e32 v21, v21
	v_min_u32_e32 v20, v21, v20
	v_cmp_lt_u32_e32 vcc, v40, v20
	s_waitcnt lgkmcnt(0)
	v_cndmask_b32_e32 v21, 0, v52, vcc
	v_add_u32_e32 v16, v21, v16
	ds_bpermute_b32 v21, v42, v16
	v_cmp_le_u32_e32 vcc, v43, v20
	v_subrev_u32_e32 v14, 64, v14
	s_waitcnt lgkmcnt(0)
	v_cndmask_b32_e32 v21, 0, v21, vcc
	v_add_u32_e32 v16, v16, v21
	ds_bpermute_b32 v21, v44, v16
	v_cmp_le_u32_e32 vcc, v45, v20
	s_waitcnt lgkmcnt(0)
	v_cndmask_b32_e32 v21, 0, v21, vcc
	v_add_u32_e32 v16, v16, v21
	ds_bpermute_b32 v21, v46, v16
	v_cmp_le_u32_e32 vcc, v47, v20
	;; [unrolled: 5-line block ×4, first 2 shown]
	s_waitcnt lgkmcnt(0)
	v_cndmask_b32_e32 v20, 0, v21, vcc
	v_add3_u32 v16, v20, v13, v16
.LBB2685_44:                            ; =>This Loop Header: Depth=1
                                        ;     Child Loop BB2685_47 Depth 2
	v_cmp_ne_u16_sdwa s[28:29], v17, v39 src0_sel:BYTE_0 src1_sel:DWORD
	v_cndmask_b32_e64 v13, 0, 1, s[28:29]
	;;#ASMSTART
	;;#ASMEND
	v_cmp_ne_u32_e32 vcc, 0, v13
	s_cmp_lg_u64 vcc, exec
	v_mov_b32_e32 v13, v16
	s_cbranch_scc1 .LBB2685_49
; %bb.45:                               ;   in Loop: Header=BB2685_44 Depth=1
	v_lshlrev_b64 v[16:17], 3, v[14:15]
	v_mov_b32_e32 v21, s25
	v_add_co_u32_e32 v20, vcc, s24, v16
	v_addc_co_u32_e32 v21, vcc, v21, v17, vcc
	global_load_dwordx2 v[16:17], v[20:21], off glc
	s_waitcnt vmcnt(0)
	v_cmp_eq_u16_sdwa s[30:31], v17, v15 src0_sel:BYTE_0 src1_sel:DWORD
	s_and_saveexec_b64 s[28:29], s[30:31]
	s_cbranch_execz .LBB2685_43
; %bb.46:                               ;   in Loop: Header=BB2685_44 Depth=1
	s_mov_b64 s[30:31], 0
.LBB2685_47:                            ;   Parent Loop BB2685_44 Depth=1
                                        ; =>  This Inner Loop Header: Depth=2
	global_load_dwordx2 v[16:17], v[20:21], off glc
	s_waitcnt vmcnt(0)
	v_cmp_ne_u16_sdwa s[34:35], v17, v15 src0_sel:BYTE_0 src1_sel:DWORD
	s_or_b64 s[30:31], s[34:35], s[30:31]
	s_andn2_b64 exec, exec, s[30:31]
	s_cbranch_execnz .LBB2685_47
; %bb.48:                               ;   in Loop: Header=BB2685_44 Depth=1
	s_or_b64 exec, exec, s[30:31]
	s_branch .LBB2685_43
.LBB2685_49:                            ;   in Loop: Header=BB2685_44 Depth=1
                                        ; implicit-def: $vgpr16
                                        ; implicit-def: $vgpr17
	s_cbranch_execz .LBB2685_44
; %bb.50:
	s_and_saveexec_b64 s[28:29], s[14:15]
	s_cbranch_execz .LBB2685_52
; %bb.51:
	s_add_i32 s6, s6, 64
	s_mov_b32 s7, 0
	s_lshl_b64 s[6:7], s[6:7], 3
	s_add_u32 s6, s24, s6
	v_add_u32_e32 v14, v13, v12
	v_mov_b32_e32 v15, 2
	s_addc_u32 s7, s25, s7
	v_mov_b32_e32 v16, 0
	global_store_dwordx2 v16, v[14:15], s[6:7]
	ds_write_b64 v16, v[12:13] offset:10240
.LBB2685_52:
	s_or_b64 exec, exec, s[28:29]
	v_cmp_eq_u32_e32 vcc, 0, v0
	s_and_b64 exec, exec, vcc
	s_cbranch_execz .LBB2685_54
; %bb.53:
	v_mov_b32_e32 v12, 0
	ds_write_b32 v12, v13 offset:12
.LBB2685_54:
	s_or_b64 exec, exec, s[26:27]
	v_mov_b32_e32 v12, 0
	s_waitcnt lgkmcnt(0)
	s_barrier
	ds_read_b32 v13, v12 offset:12
	v_cndmask_b32_e64 v14, v38, v37, s[14:15]
	v_cmp_ne_u32_e32 vcc, 0, v0
	v_cndmask_b32_e32 v14, 0, v14, vcc
	s_waitcnt lgkmcnt(0)
	v_add_u32_e32 v38, v13, v14
	v_add_u32_sdwa v37, v38, v25 dst_sel:DWORD dst_unused:UNUSED_PAD src0_sel:DWORD src1_sel:BYTE_0
	v_add_u32_sdwa v21, v37, v25 dst_sel:DWORD dst_unused:UNUSED_PAD src0_sel:DWORD src1_sel:BYTE_1
	v_add_u32_e32 v20, v21, v29
	v_add_u32_e32 v19, v20, v27
	;; [unrolled: 1-line block ×3, first 2 shown]
	s_barrier
	ds_read_b64 v[12:13], v12 offset:10240
	v_add_u32_e32 v17, v18, v31
	v_add_u32_e32 v16, v17, v32
	;; [unrolled: 1-line block ×4, first 2 shown]
	s_branch .LBB2685_65
.LBB2685_55:
                                        ; implicit-def: $vgpr13
                                        ; implicit-def: $vgpr14
                                        ; implicit-def: $vgpr15
                                        ; implicit-def: $vgpr16
                                        ; implicit-def: $vgpr17
                                        ; implicit-def: $vgpr18
                                        ; implicit-def: $vgpr19
                                        ; implicit-def: $vgpr20
                                        ; implicit-def: $vgpr21
                                        ; implicit-def: $vgpr37
                                        ; implicit-def: $vgpr38
	s_cbranch_execz .LBB2685_65
; %bb.56:
	s_waitcnt lgkmcnt(0)
	v_mov_b32_dpp v12, v36 row_shr:1 row_mask:0xf bank_mask:0xf
	v_cndmask_b32_e64 v12, v12, 0, s[12:13]
	v_add_u32_e32 v12, v12, v36
	s_nop 1
	v_mov_b32_dpp v13, v12 row_shr:2 row_mask:0xf bank_mask:0xf
	v_cndmask_b32_e64 v13, 0, v13, s[10:11]
	v_add_u32_e32 v12, v12, v13
	s_nop 1
	;; [unrolled: 4-line block ×4, first 2 shown]
	v_mov_b32_dpp v13, v12 row_bcast:15 row_mask:0xf bank_mask:0xf
	v_cndmask_b32_e64 v13, v13, 0, s[4:5]
	v_add_u32_e32 v12, v12, v13
	s_nop 1
	v_mov_b32_dpp v13, v12 row_bcast:31 row_mask:0xf bank_mask:0xf
	v_cndmask_b32_e64 v13, 0, v13, s[0:1]
	v_add_u32_e32 v12, v12, v13
	s_and_saveexec_b64 s[0:1], s[2:3]
	s_cbranch_execz .LBB2685_58
; %bb.57:
	v_lshlrev_b32_e32 v13, 2, v35
	ds_write_b32 v13, v12
.LBB2685_58:
	s_or_b64 exec, exec, s[0:1]
	v_cmp_gt_u32_e32 vcc, 4, v0
	s_waitcnt lgkmcnt(0)
	s_barrier
	s_and_saveexec_b64 s[0:1], vcc
	s_cbranch_execz .LBB2685_60
; %bb.59:
	s_movk_i32 s2, 0xffdc
	v_mad_i32_i24 v13, v0, s2, v28
	ds_read_b32 v14, v13
	v_and_b32_e32 v15, 3, v34
	v_cmp_ne_u32_e32 vcc, 0, v15
	s_waitcnt lgkmcnt(0)
	v_mov_b32_dpp v16, v14 row_shr:1 row_mask:0xf bank_mask:0xf
	v_cndmask_b32_e32 v16, 0, v16, vcc
	v_add_u32_e32 v14, v16, v14
	v_cmp_lt_u32_e32 vcc, 1, v15
	s_nop 0
	v_mov_b32_dpp v16, v14 row_shr:2 row_mask:0xf bank_mask:0xf
	v_cndmask_b32_e32 v15, 0, v16, vcc
	v_add_u32_e32 v14, v14, v15
	ds_write_b32 v13, v14
.LBB2685_60:
	s_or_b64 exec, exec, s[0:1]
	v_cmp_lt_u32_e32 vcc, 63, v0
	v_mov_b32_e32 v13, 0
	v_mov_b32_e32 v14, 0
	s_waitcnt lgkmcnt(0)
	s_barrier
	s_and_saveexec_b64 s[0:1], vcc
	s_cbranch_execz .LBB2685_62
; %bb.61:
	v_lshl_add_u32 v14, v35, 2, -4
	ds_read_b32 v14, v14
.LBB2685_62:
	s_or_b64 exec, exec, s[0:1]
	v_add_u32_e32 v15, -1, v34
	v_and_b32_e32 v16, 64, v34
	v_cmp_lt_i32_e32 vcc, v15, v16
	v_cndmask_b32_e32 v15, v15, v34, vcc
	s_waitcnt lgkmcnt(0)
	v_add_u32_e32 v12, v14, v12
	v_lshlrev_b32_e32 v15, 2, v15
	ds_bpermute_b32 v15, v15, v12
	ds_read_b32 v12, v13 offset:12
	v_cmp_eq_u32_e32 vcc, 0, v0
	s_and_saveexec_b64 s[0:1], vcc
	s_cbranch_execz .LBB2685_64
; %bb.63:
	v_mov_b32_e32 v16, 0
	v_mov_b32_e32 v13, 2
	s_waitcnt lgkmcnt(0)
	global_store_dwordx2 v16, v[12:13], s[24:25] offset:512
.LBB2685_64:
	s_or_b64 exec, exec, s[0:1]
	v_cmp_eq_u32_e64 s[0:1], 0, v34
	s_waitcnt lgkmcnt(1)
	v_cndmask_b32_e64 v14, v15, v14, s[0:1]
	v_cndmask_b32_e64 v38, v14, 0, vcc
	v_add_u32_sdwa v37, v38, v25 dst_sel:DWORD dst_unused:UNUSED_PAD src0_sel:DWORD src1_sel:BYTE_0
	v_add_u32_sdwa v21, v37, v25 dst_sel:DWORD dst_unused:UNUSED_PAD src0_sel:DWORD src1_sel:BYTE_1
	v_add_u32_e32 v20, v21, v29
	v_add_u32_e32 v19, v20, v27
	;; [unrolled: 1-line block ×6, first 2 shown]
	v_mov_b32_e32 v13, 0
	v_add_u32_e32 v14, v15, v33
	s_waitcnt lgkmcnt(0)
	s_barrier
.LBB2685_65:
	s_waitcnt lgkmcnt(0)
	v_add_u32_e32 v22, v12, v22
	v_sub_u32_e32 v30, v38, v13
	v_and_b32_e32 v32, 1, v25
	v_sub_u32_e32 v31, v22, v30
	v_cmp_eq_u32_e32 vcc, 1, v32
	v_cndmask_b32_e32 v30, v31, v30, vcc
	v_lshlrev_b32_e32 v30, 2, v30
	v_lshrrev_b32_e32 v29, 8, v25
	ds_write_b32 v30, v6
	v_sub_u32_e32 v6, v37, v13
	v_sub_u32_e32 v30, v22, v6
	v_and_b32_e32 v29, 1, v29
	v_add_u32_e32 v30, 1, v30
	v_cmp_eq_u32_e32 vcc, 1, v29
	v_cndmask_b32_e32 v6, v30, v6, vcc
	v_lshlrev_b32_e32 v6, 2, v6
	ds_write_b32 v6, v7
	v_sub_u32_e32 v6, v21, v13
	v_mov_b32_e32 v21, 1
	v_sub_u32_e32 v7, v22, v6
	v_and_b32_sdwa v25, v21, v25 dst_sel:DWORD dst_unused:UNUSED_PAD src0_sel:DWORD src1_sel:WORD_1
	v_add_u32_e32 v7, 2, v7
	v_cmp_eq_u32_e32 vcc, 1, v25
	v_cndmask_b32_e32 v6, v7, v6, vcc
	v_lshlrev_b32_e32 v6, 2, v6
	ds_write_b32 v6, v8
	v_sub_u32_e32 v6, v20, v13
	v_sub_u32_e32 v7, v22, v6
	v_and_b32_e32 v8, 1, v27
	v_add_u32_e32 v7, 3, v7
	v_cmp_eq_u32_e32 vcc, 1, v8
	v_cndmask_b32_e32 v6, v7, v6, vcc
	v_lshlrev_b32_e32 v6, 2, v6
	ds_write_b32 v6, v9
	v_sub_u32_e32 v6, v19, v13
	v_sub_u32_e32 v7, v22, v6
	v_and_b32_e32 v8, 1, v24
	v_add_u32_e32 v7, 4, v7
	v_cmp_eq_u32_e32 vcc, 1, v8
	v_cndmask_b32_e32 v6, v7, v6, vcc
	v_lshlrev_b32_e32 v6, 2, v6
	v_lshrrev_b32_e32 v28, 8, v24
	ds_write_b32 v6, v2
	v_sub_u32_e32 v2, v18, v13
	v_sub_u32_e32 v6, v22, v2
	v_and_b32_e32 v7, 1, v28
	v_add_u32_e32 v6, 5, v6
	v_cmp_eq_u32_e32 vcc, 1, v7
	v_cndmask_b32_e32 v2, v6, v2, vcc
	v_lshlrev_b32_e32 v2, 2, v2
	ds_write_b32 v2, v3
	v_sub_u32_e32 v2, v17, v13
	v_sub_u32_e32 v3, v22, v2
	v_and_b32_sdwa v6, v21, v24 dst_sel:DWORD dst_unused:UNUSED_PAD src0_sel:DWORD src1_sel:WORD_1
	v_add_u32_e32 v3, 6, v3
	v_cmp_eq_u32_e32 vcc, 1, v6
	v_cndmask_b32_e32 v2, v3, v2, vcc
	v_lshlrev_b32_e32 v2, 2, v2
	ds_write_b32 v2, v4
	v_sub_u32_e32 v2, v16, v13
	v_sub_u32_e32 v3, v22, v2
	v_and_b32_e32 v4, 1, v26
	v_add_u32_e32 v3, 7, v3
	v_cmp_eq_u32_e32 vcc, 1, v4
	v_cndmask_b32_e32 v2, v3, v2, vcc
	v_lshlrev_b32_e32 v2, 2, v2
	ds_write_b32 v2, v5
	v_sub_u32_e32 v2, v15, v13
	v_sub_u32_e32 v3, v22, v2
	v_and_b32_e32 v4, 1, v23
	;; [unrolled: 8-line block ×3, first 2 shown]
	v_add_u32_e32 v3, 9, v3
	v_cmp_eq_u32_e32 vcc, 1, v1
	v_cndmask_b32_e32 v1, v3, v2, vcc
	v_cmp_eq_u32_e32 vcc, 0, v0
	v_lshlrev_b32_e32 v1, 2, v1
	s_and_b64 s[0:1], vcc, s[22:23]
	ds_write_b32 v1, v11
	s_waitcnt lgkmcnt(0)
	s_barrier
	s_and_saveexec_b64 s[2:3], s[0:1]
	s_cbranch_execz .LBB2685_67
; %bb.66:
	v_mov_b32_e32 v0, s19
	v_add_co_u32_e32 v1, vcc, s18, v12
	v_addc_co_u32_e32 v3, vcc, 0, v0, vcc
	v_add_co_u32_e32 v0, vcc, v1, v13
	v_mov_b32_e32 v2, 0
	v_addc_co_u32_e32 v1, vcc, 0, v3, vcc
	global_store_dwordx2 v2, v[0:1], s[20:21]
.LBB2685_67:
	s_endpgm
	.section	.rodata,"a",@progbits
	.p2align	6, 0x0
	.amdhsa_kernel _ZN7rocprim17ROCPRIM_400000_NS6detail17trampoline_kernelINS0_14default_configENS1_25partition_config_selectorILNS1_17partition_subalgoE0EiNS0_10empty_typeEbEEZZNS1_14partition_implILS5_0ELb0ES3_jN6thrust23THRUST_200600_302600_NS6detail15normal_iteratorINSA_10device_ptrIiEEEEPS6_SG_NS0_5tupleIJNSA_16discard_iteratorINSA_11use_defaultEEESK_EEENSH_IJSG_SG_EEES6_PlJ7is_evenIiEEEE10hipError_tPvRmT3_T4_T5_T6_T7_T9_mT8_P12ihipStream_tbDpT10_ENKUlT_T0_E_clISt17integral_constantIbLb0EES19_EEDaS14_S15_EUlS14_E_NS1_11comp_targetILNS1_3genE4ELNS1_11target_archE910ELNS1_3gpuE8ELNS1_3repE0EEENS1_30default_config_static_selectorELNS0_4arch9wavefront6targetE1EEEvT1_
		.amdhsa_group_segment_fixed_size 10248
		.amdhsa_private_segment_fixed_size 0
		.amdhsa_kernarg_size 136
		.amdhsa_user_sgpr_count 6
		.amdhsa_user_sgpr_private_segment_buffer 1
		.amdhsa_user_sgpr_dispatch_ptr 0
		.amdhsa_user_sgpr_queue_ptr 0
		.amdhsa_user_sgpr_kernarg_segment_ptr 1
		.amdhsa_user_sgpr_dispatch_id 0
		.amdhsa_user_sgpr_flat_scratch_init 0
		.amdhsa_user_sgpr_kernarg_preload_length 0
		.amdhsa_user_sgpr_kernarg_preload_offset 0
		.amdhsa_user_sgpr_private_segment_size 0
		.amdhsa_uses_dynamic_stack 0
		.amdhsa_system_sgpr_private_segment_wavefront_offset 0
		.amdhsa_system_sgpr_workgroup_id_x 1
		.amdhsa_system_sgpr_workgroup_id_y 0
		.amdhsa_system_sgpr_workgroup_id_z 0
		.amdhsa_system_sgpr_workgroup_info 0
		.amdhsa_system_vgpr_workitem_id 0
		.amdhsa_next_free_vgpr 53
		.amdhsa_next_free_sgpr 36
		.amdhsa_accum_offset 56
		.amdhsa_reserve_vcc 1
		.amdhsa_reserve_flat_scratch 0
		.amdhsa_float_round_mode_32 0
		.amdhsa_float_round_mode_16_64 0
		.amdhsa_float_denorm_mode_32 3
		.amdhsa_float_denorm_mode_16_64 3
		.amdhsa_dx10_clamp 1
		.amdhsa_ieee_mode 1
		.amdhsa_fp16_overflow 0
		.amdhsa_tg_split 0
		.amdhsa_exception_fp_ieee_invalid_op 0
		.amdhsa_exception_fp_denorm_src 0
		.amdhsa_exception_fp_ieee_div_zero 0
		.amdhsa_exception_fp_ieee_overflow 0
		.amdhsa_exception_fp_ieee_underflow 0
		.amdhsa_exception_fp_ieee_inexact 0
		.amdhsa_exception_int_div_zero 0
	.end_amdhsa_kernel
	.section	.text._ZN7rocprim17ROCPRIM_400000_NS6detail17trampoline_kernelINS0_14default_configENS1_25partition_config_selectorILNS1_17partition_subalgoE0EiNS0_10empty_typeEbEEZZNS1_14partition_implILS5_0ELb0ES3_jN6thrust23THRUST_200600_302600_NS6detail15normal_iteratorINSA_10device_ptrIiEEEEPS6_SG_NS0_5tupleIJNSA_16discard_iteratorINSA_11use_defaultEEESK_EEENSH_IJSG_SG_EEES6_PlJ7is_evenIiEEEE10hipError_tPvRmT3_T4_T5_T6_T7_T9_mT8_P12ihipStream_tbDpT10_ENKUlT_T0_E_clISt17integral_constantIbLb0EES19_EEDaS14_S15_EUlS14_E_NS1_11comp_targetILNS1_3genE4ELNS1_11target_archE910ELNS1_3gpuE8ELNS1_3repE0EEENS1_30default_config_static_selectorELNS0_4arch9wavefront6targetE1EEEvT1_,"axG",@progbits,_ZN7rocprim17ROCPRIM_400000_NS6detail17trampoline_kernelINS0_14default_configENS1_25partition_config_selectorILNS1_17partition_subalgoE0EiNS0_10empty_typeEbEEZZNS1_14partition_implILS5_0ELb0ES3_jN6thrust23THRUST_200600_302600_NS6detail15normal_iteratorINSA_10device_ptrIiEEEEPS6_SG_NS0_5tupleIJNSA_16discard_iteratorINSA_11use_defaultEEESK_EEENSH_IJSG_SG_EEES6_PlJ7is_evenIiEEEE10hipError_tPvRmT3_T4_T5_T6_T7_T9_mT8_P12ihipStream_tbDpT10_ENKUlT_T0_E_clISt17integral_constantIbLb0EES19_EEDaS14_S15_EUlS14_E_NS1_11comp_targetILNS1_3genE4ELNS1_11target_archE910ELNS1_3gpuE8ELNS1_3repE0EEENS1_30default_config_static_selectorELNS0_4arch9wavefront6targetE1EEEvT1_,comdat
.Lfunc_end2685:
	.size	_ZN7rocprim17ROCPRIM_400000_NS6detail17trampoline_kernelINS0_14default_configENS1_25partition_config_selectorILNS1_17partition_subalgoE0EiNS0_10empty_typeEbEEZZNS1_14partition_implILS5_0ELb0ES3_jN6thrust23THRUST_200600_302600_NS6detail15normal_iteratorINSA_10device_ptrIiEEEEPS6_SG_NS0_5tupleIJNSA_16discard_iteratorINSA_11use_defaultEEESK_EEENSH_IJSG_SG_EEES6_PlJ7is_evenIiEEEE10hipError_tPvRmT3_T4_T5_T6_T7_T9_mT8_P12ihipStream_tbDpT10_ENKUlT_T0_E_clISt17integral_constantIbLb0EES19_EEDaS14_S15_EUlS14_E_NS1_11comp_targetILNS1_3genE4ELNS1_11target_archE910ELNS1_3gpuE8ELNS1_3repE0EEENS1_30default_config_static_selectorELNS0_4arch9wavefront6targetE1EEEvT1_, .Lfunc_end2685-_ZN7rocprim17ROCPRIM_400000_NS6detail17trampoline_kernelINS0_14default_configENS1_25partition_config_selectorILNS1_17partition_subalgoE0EiNS0_10empty_typeEbEEZZNS1_14partition_implILS5_0ELb0ES3_jN6thrust23THRUST_200600_302600_NS6detail15normal_iteratorINSA_10device_ptrIiEEEEPS6_SG_NS0_5tupleIJNSA_16discard_iteratorINSA_11use_defaultEEESK_EEENSH_IJSG_SG_EEES6_PlJ7is_evenIiEEEE10hipError_tPvRmT3_T4_T5_T6_T7_T9_mT8_P12ihipStream_tbDpT10_ENKUlT_T0_E_clISt17integral_constantIbLb0EES19_EEDaS14_S15_EUlS14_E_NS1_11comp_targetILNS1_3genE4ELNS1_11target_archE910ELNS1_3gpuE8ELNS1_3repE0EEENS1_30default_config_static_selectorELNS0_4arch9wavefront6targetE1EEEvT1_
                                        ; -- End function
	.section	.AMDGPU.csdata,"",@progbits
; Kernel info:
; codeLenInByte = 3876
; NumSgprs: 40
; NumVgprs: 53
; NumAgprs: 0
; TotalNumVgprs: 53
; ScratchSize: 0
; MemoryBound: 0
; FloatMode: 240
; IeeeMode: 1
; LDSByteSize: 10248 bytes/workgroup (compile time only)
; SGPRBlocks: 4
; VGPRBlocks: 6
; NumSGPRsForWavesPerEU: 40
; NumVGPRsForWavesPerEU: 53
; AccumOffset: 56
; Occupancy: 6
; WaveLimiterHint : 1
; COMPUTE_PGM_RSRC2:SCRATCH_EN: 0
; COMPUTE_PGM_RSRC2:USER_SGPR: 6
; COMPUTE_PGM_RSRC2:TRAP_HANDLER: 0
; COMPUTE_PGM_RSRC2:TGID_X_EN: 1
; COMPUTE_PGM_RSRC2:TGID_Y_EN: 0
; COMPUTE_PGM_RSRC2:TGID_Z_EN: 0
; COMPUTE_PGM_RSRC2:TIDIG_COMP_CNT: 0
; COMPUTE_PGM_RSRC3_GFX90A:ACCUM_OFFSET: 13
; COMPUTE_PGM_RSRC3_GFX90A:TG_SPLIT: 0
	.section	.text._ZN7rocprim17ROCPRIM_400000_NS6detail17trampoline_kernelINS0_14default_configENS1_25partition_config_selectorILNS1_17partition_subalgoE0EiNS0_10empty_typeEbEEZZNS1_14partition_implILS5_0ELb0ES3_jN6thrust23THRUST_200600_302600_NS6detail15normal_iteratorINSA_10device_ptrIiEEEEPS6_SG_NS0_5tupleIJNSA_16discard_iteratorINSA_11use_defaultEEESK_EEENSH_IJSG_SG_EEES6_PlJ7is_evenIiEEEE10hipError_tPvRmT3_T4_T5_T6_T7_T9_mT8_P12ihipStream_tbDpT10_ENKUlT_T0_E_clISt17integral_constantIbLb0EES19_EEDaS14_S15_EUlS14_E_NS1_11comp_targetILNS1_3genE3ELNS1_11target_archE908ELNS1_3gpuE7ELNS1_3repE0EEENS1_30default_config_static_selectorELNS0_4arch9wavefront6targetE1EEEvT1_,"axG",@progbits,_ZN7rocprim17ROCPRIM_400000_NS6detail17trampoline_kernelINS0_14default_configENS1_25partition_config_selectorILNS1_17partition_subalgoE0EiNS0_10empty_typeEbEEZZNS1_14partition_implILS5_0ELb0ES3_jN6thrust23THRUST_200600_302600_NS6detail15normal_iteratorINSA_10device_ptrIiEEEEPS6_SG_NS0_5tupleIJNSA_16discard_iteratorINSA_11use_defaultEEESK_EEENSH_IJSG_SG_EEES6_PlJ7is_evenIiEEEE10hipError_tPvRmT3_T4_T5_T6_T7_T9_mT8_P12ihipStream_tbDpT10_ENKUlT_T0_E_clISt17integral_constantIbLb0EES19_EEDaS14_S15_EUlS14_E_NS1_11comp_targetILNS1_3genE3ELNS1_11target_archE908ELNS1_3gpuE7ELNS1_3repE0EEENS1_30default_config_static_selectorELNS0_4arch9wavefront6targetE1EEEvT1_,comdat
	.protected	_ZN7rocprim17ROCPRIM_400000_NS6detail17trampoline_kernelINS0_14default_configENS1_25partition_config_selectorILNS1_17partition_subalgoE0EiNS0_10empty_typeEbEEZZNS1_14partition_implILS5_0ELb0ES3_jN6thrust23THRUST_200600_302600_NS6detail15normal_iteratorINSA_10device_ptrIiEEEEPS6_SG_NS0_5tupleIJNSA_16discard_iteratorINSA_11use_defaultEEESK_EEENSH_IJSG_SG_EEES6_PlJ7is_evenIiEEEE10hipError_tPvRmT3_T4_T5_T6_T7_T9_mT8_P12ihipStream_tbDpT10_ENKUlT_T0_E_clISt17integral_constantIbLb0EES19_EEDaS14_S15_EUlS14_E_NS1_11comp_targetILNS1_3genE3ELNS1_11target_archE908ELNS1_3gpuE7ELNS1_3repE0EEENS1_30default_config_static_selectorELNS0_4arch9wavefront6targetE1EEEvT1_ ; -- Begin function _ZN7rocprim17ROCPRIM_400000_NS6detail17trampoline_kernelINS0_14default_configENS1_25partition_config_selectorILNS1_17partition_subalgoE0EiNS0_10empty_typeEbEEZZNS1_14partition_implILS5_0ELb0ES3_jN6thrust23THRUST_200600_302600_NS6detail15normal_iteratorINSA_10device_ptrIiEEEEPS6_SG_NS0_5tupleIJNSA_16discard_iteratorINSA_11use_defaultEEESK_EEENSH_IJSG_SG_EEES6_PlJ7is_evenIiEEEE10hipError_tPvRmT3_T4_T5_T6_T7_T9_mT8_P12ihipStream_tbDpT10_ENKUlT_T0_E_clISt17integral_constantIbLb0EES19_EEDaS14_S15_EUlS14_E_NS1_11comp_targetILNS1_3genE3ELNS1_11target_archE908ELNS1_3gpuE7ELNS1_3repE0EEENS1_30default_config_static_selectorELNS0_4arch9wavefront6targetE1EEEvT1_
	.globl	_ZN7rocprim17ROCPRIM_400000_NS6detail17trampoline_kernelINS0_14default_configENS1_25partition_config_selectorILNS1_17partition_subalgoE0EiNS0_10empty_typeEbEEZZNS1_14partition_implILS5_0ELb0ES3_jN6thrust23THRUST_200600_302600_NS6detail15normal_iteratorINSA_10device_ptrIiEEEEPS6_SG_NS0_5tupleIJNSA_16discard_iteratorINSA_11use_defaultEEESK_EEENSH_IJSG_SG_EEES6_PlJ7is_evenIiEEEE10hipError_tPvRmT3_T4_T5_T6_T7_T9_mT8_P12ihipStream_tbDpT10_ENKUlT_T0_E_clISt17integral_constantIbLb0EES19_EEDaS14_S15_EUlS14_E_NS1_11comp_targetILNS1_3genE3ELNS1_11target_archE908ELNS1_3gpuE7ELNS1_3repE0EEENS1_30default_config_static_selectorELNS0_4arch9wavefront6targetE1EEEvT1_
	.p2align	8
	.type	_ZN7rocprim17ROCPRIM_400000_NS6detail17trampoline_kernelINS0_14default_configENS1_25partition_config_selectorILNS1_17partition_subalgoE0EiNS0_10empty_typeEbEEZZNS1_14partition_implILS5_0ELb0ES3_jN6thrust23THRUST_200600_302600_NS6detail15normal_iteratorINSA_10device_ptrIiEEEEPS6_SG_NS0_5tupleIJNSA_16discard_iteratorINSA_11use_defaultEEESK_EEENSH_IJSG_SG_EEES6_PlJ7is_evenIiEEEE10hipError_tPvRmT3_T4_T5_T6_T7_T9_mT8_P12ihipStream_tbDpT10_ENKUlT_T0_E_clISt17integral_constantIbLb0EES19_EEDaS14_S15_EUlS14_E_NS1_11comp_targetILNS1_3genE3ELNS1_11target_archE908ELNS1_3gpuE7ELNS1_3repE0EEENS1_30default_config_static_selectorELNS0_4arch9wavefront6targetE1EEEvT1_,@function
_ZN7rocprim17ROCPRIM_400000_NS6detail17trampoline_kernelINS0_14default_configENS1_25partition_config_selectorILNS1_17partition_subalgoE0EiNS0_10empty_typeEbEEZZNS1_14partition_implILS5_0ELb0ES3_jN6thrust23THRUST_200600_302600_NS6detail15normal_iteratorINSA_10device_ptrIiEEEEPS6_SG_NS0_5tupleIJNSA_16discard_iteratorINSA_11use_defaultEEESK_EEENSH_IJSG_SG_EEES6_PlJ7is_evenIiEEEE10hipError_tPvRmT3_T4_T5_T6_T7_T9_mT8_P12ihipStream_tbDpT10_ENKUlT_T0_E_clISt17integral_constantIbLb0EES19_EEDaS14_S15_EUlS14_E_NS1_11comp_targetILNS1_3genE3ELNS1_11target_archE908ELNS1_3gpuE7ELNS1_3repE0EEENS1_30default_config_static_selectorELNS0_4arch9wavefront6targetE1EEEvT1_: ; @_ZN7rocprim17ROCPRIM_400000_NS6detail17trampoline_kernelINS0_14default_configENS1_25partition_config_selectorILNS1_17partition_subalgoE0EiNS0_10empty_typeEbEEZZNS1_14partition_implILS5_0ELb0ES3_jN6thrust23THRUST_200600_302600_NS6detail15normal_iteratorINSA_10device_ptrIiEEEEPS6_SG_NS0_5tupleIJNSA_16discard_iteratorINSA_11use_defaultEEESK_EEENSH_IJSG_SG_EEES6_PlJ7is_evenIiEEEE10hipError_tPvRmT3_T4_T5_T6_T7_T9_mT8_P12ihipStream_tbDpT10_ENKUlT_T0_E_clISt17integral_constantIbLb0EES19_EEDaS14_S15_EUlS14_E_NS1_11comp_targetILNS1_3genE3ELNS1_11target_archE908ELNS1_3gpuE7ELNS1_3repE0EEENS1_30default_config_static_selectorELNS0_4arch9wavefront6targetE1EEEvT1_
; %bb.0:
	.section	.rodata,"a",@progbits
	.p2align	6, 0x0
	.amdhsa_kernel _ZN7rocprim17ROCPRIM_400000_NS6detail17trampoline_kernelINS0_14default_configENS1_25partition_config_selectorILNS1_17partition_subalgoE0EiNS0_10empty_typeEbEEZZNS1_14partition_implILS5_0ELb0ES3_jN6thrust23THRUST_200600_302600_NS6detail15normal_iteratorINSA_10device_ptrIiEEEEPS6_SG_NS0_5tupleIJNSA_16discard_iteratorINSA_11use_defaultEEESK_EEENSH_IJSG_SG_EEES6_PlJ7is_evenIiEEEE10hipError_tPvRmT3_T4_T5_T6_T7_T9_mT8_P12ihipStream_tbDpT10_ENKUlT_T0_E_clISt17integral_constantIbLb0EES19_EEDaS14_S15_EUlS14_E_NS1_11comp_targetILNS1_3genE3ELNS1_11target_archE908ELNS1_3gpuE7ELNS1_3repE0EEENS1_30default_config_static_selectorELNS0_4arch9wavefront6targetE1EEEvT1_
		.amdhsa_group_segment_fixed_size 0
		.amdhsa_private_segment_fixed_size 0
		.amdhsa_kernarg_size 136
		.amdhsa_user_sgpr_count 6
		.amdhsa_user_sgpr_private_segment_buffer 1
		.amdhsa_user_sgpr_dispatch_ptr 0
		.amdhsa_user_sgpr_queue_ptr 0
		.amdhsa_user_sgpr_kernarg_segment_ptr 1
		.amdhsa_user_sgpr_dispatch_id 0
		.amdhsa_user_sgpr_flat_scratch_init 0
		.amdhsa_user_sgpr_kernarg_preload_length 0
		.amdhsa_user_sgpr_kernarg_preload_offset 0
		.amdhsa_user_sgpr_private_segment_size 0
		.amdhsa_uses_dynamic_stack 0
		.amdhsa_system_sgpr_private_segment_wavefront_offset 0
		.amdhsa_system_sgpr_workgroup_id_x 1
		.amdhsa_system_sgpr_workgroup_id_y 0
		.amdhsa_system_sgpr_workgroup_id_z 0
		.amdhsa_system_sgpr_workgroup_info 0
		.amdhsa_system_vgpr_workitem_id 0
		.amdhsa_next_free_vgpr 1
		.amdhsa_next_free_sgpr 0
		.amdhsa_accum_offset 4
		.amdhsa_reserve_vcc 0
		.amdhsa_reserve_flat_scratch 0
		.amdhsa_float_round_mode_32 0
		.amdhsa_float_round_mode_16_64 0
		.amdhsa_float_denorm_mode_32 3
		.amdhsa_float_denorm_mode_16_64 3
		.amdhsa_dx10_clamp 1
		.amdhsa_ieee_mode 1
		.amdhsa_fp16_overflow 0
		.amdhsa_tg_split 0
		.amdhsa_exception_fp_ieee_invalid_op 0
		.amdhsa_exception_fp_denorm_src 0
		.amdhsa_exception_fp_ieee_div_zero 0
		.amdhsa_exception_fp_ieee_overflow 0
		.amdhsa_exception_fp_ieee_underflow 0
		.amdhsa_exception_fp_ieee_inexact 0
		.amdhsa_exception_int_div_zero 0
	.end_amdhsa_kernel
	.section	.text._ZN7rocprim17ROCPRIM_400000_NS6detail17trampoline_kernelINS0_14default_configENS1_25partition_config_selectorILNS1_17partition_subalgoE0EiNS0_10empty_typeEbEEZZNS1_14partition_implILS5_0ELb0ES3_jN6thrust23THRUST_200600_302600_NS6detail15normal_iteratorINSA_10device_ptrIiEEEEPS6_SG_NS0_5tupleIJNSA_16discard_iteratorINSA_11use_defaultEEESK_EEENSH_IJSG_SG_EEES6_PlJ7is_evenIiEEEE10hipError_tPvRmT3_T4_T5_T6_T7_T9_mT8_P12ihipStream_tbDpT10_ENKUlT_T0_E_clISt17integral_constantIbLb0EES19_EEDaS14_S15_EUlS14_E_NS1_11comp_targetILNS1_3genE3ELNS1_11target_archE908ELNS1_3gpuE7ELNS1_3repE0EEENS1_30default_config_static_selectorELNS0_4arch9wavefront6targetE1EEEvT1_,"axG",@progbits,_ZN7rocprim17ROCPRIM_400000_NS6detail17trampoline_kernelINS0_14default_configENS1_25partition_config_selectorILNS1_17partition_subalgoE0EiNS0_10empty_typeEbEEZZNS1_14partition_implILS5_0ELb0ES3_jN6thrust23THRUST_200600_302600_NS6detail15normal_iteratorINSA_10device_ptrIiEEEEPS6_SG_NS0_5tupleIJNSA_16discard_iteratorINSA_11use_defaultEEESK_EEENSH_IJSG_SG_EEES6_PlJ7is_evenIiEEEE10hipError_tPvRmT3_T4_T5_T6_T7_T9_mT8_P12ihipStream_tbDpT10_ENKUlT_T0_E_clISt17integral_constantIbLb0EES19_EEDaS14_S15_EUlS14_E_NS1_11comp_targetILNS1_3genE3ELNS1_11target_archE908ELNS1_3gpuE7ELNS1_3repE0EEENS1_30default_config_static_selectorELNS0_4arch9wavefront6targetE1EEEvT1_,comdat
.Lfunc_end2686:
	.size	_ZN7rocprim17ROCPRIM_400000_NS6detail17trampoline_kernelINS0_14default_configENS1_25partition_config_selectorILNS1_17partition_subalgoE0EiNS0_10empty_typeEbEEZZNS1_14partition_implILS5_0ELb0ES3_jN6thrust23THRUST_200600_302600_NS6detail15normal_iteratorINSA_10device_ptrIiEEEEPS6_SG_NS0_5tupleIJNSA_16discard_iteratorINSA_11use_defaultEEESK_EEENSH_IJSG_SG_EEES6_PlJ7is_evenIiEEEE10hipError_tPvRmT3_T4_T5_T6_T7_T9_mT8_P12ihipStream_tbDpT10_ENKUlT_T0_E_clISt17integral_constantIbLb0EES19_EEDaS14_S15_EUlS14_E_NS1_11comp_targetILNS1_3genE3ELNS1_11target_archE908ELNS1_3gpuE7ELNS1_3repE0EEENS1_30default_config_static_selectorELNS0_4arch9wavefront6targetE1EEEvT1_, .Lfunc_end2686-_ZN7rocprim17ROCPRIM_400000_NS6detail17trampoline_kernelINS0_14default_configENS1_25partition_config_selectorILNS1_17partition_subalgoE0EiNS0_10empty_typeEbEEZZNS1_14partition_implILS5_0ELb0ES3_jN6thrust23THRUST_200600_302600_NS6detail15normal_iteratorINSA_10device_ptrIiEEEEPS6_SG_NS0_5tupleIJNSA_16discard_iteratorINSA_11use_defaultEEESK_EEENSH_IJSG_SG_EEES6_PlJ7is_evenIiEEEE10hipError_tPvRmT3_T4_T5_T6_T7_T9_mT8_P12ihipStream_tbDpT10_ENKUlT_T0_E_clISt17integral_constantIbLb0EES19_EEDaS14_S15_EUlS14_E_NS1_11comp_targetILNS1_3genE3ELNS1_11target_archE908ELNS1_3gpuE7ELNS1_3repE0EEENS1_30default_config_static_selectorELNS0_4arch9wavefront6targetE1EEEvT1_
                                        ; -- End function
	.section	.AMDGPU.csdata,"",@progbits
; Kernel info:
; codeLenInByte = 0
; NumSgprs: 4
; NumVgprs: 0
; NumAgprs: 0
; TotalNumVgprs: 0
; ScratchSize: 0
; MemoryBound: 0
; FloatMode: 240
; IeeeMode: 1
; LDSByteSize: 0 bytes/workgroup (compile time only)
; SGPRBlocks: 0
; VGPRBlocks: 0
; NumSGPRsForWavesPerEU: 4
; NumVGPRsForWavesPerEU: 1
; AccumOffset: 4
; Occupancy: 8
; WaveLimiterHint : 0
; COMPUTE_PGM_RSRC2:SCRATCH_EN: 0
; COMPUTE_PGM_RSRC2:USER_SGPR: 6
; COMPUTE_PGM_RSRC2:TRAP_HANDLER: 0
; COMPUTE_PGM_RSRC2:TGID_X_EN: 1
; COMPUTE_PGM_RSRC2:TGID_Y_EN: 0
; COMPUTE_PGM_RSRC2:TGID_Z_EN: 0
; COMPUTE_PGM_RSRC2:TIDIG_COMP_CNT: 0
; COMPUTE_PGM_RSRC3_GFX90A:ACCUM_OFFSET: 0
; COMPUTE_PGM_RSRC3_GFX90A:TG_SPLIT: 0
	.section	.text._ZN7rocprim17ROCPRIM_400000_NS6detail17trampoline_kernelINS0_14default_configENS1_25partition_config_selectorILNS1_17partition_subalgoE0EiNS0_10empty_typeEbEEZZNS1_14partition_implILS5_0ELb0ES3_jN6thrust23THRUST_200600_302600_NS6detail15normal_iteratorINSA_10device_ptrIiEEEEPS6_SG_NS0_5tupleIJNSA_16discard_iteratorINSA_11use_defaultEEESK_EEENSH_IJSG_SG_EEES6_PlJ7is_evenIiEEEE10hipError_tPvRmT3_T4_T5_T6_T7_T9_mT8_P12ihipStream_tbDpT10_ENKUlT_T0_E_clISt17integral_constantIbLb0EES19_EEDaS14_S15_EUlS14_E_NS1_11comp_targetILNS1_3genE2ELNS1_11target_archE906ELNS1_3gpuE6ELNS1_3repE0EEENS1_30default_config_static_selectorELNS0_4arch9wavefront6targetE1EEEvT1_,"axG",@progbits,_ZN7rocprim17ROCPRIM_400000_NS6detail17trampoline_kernelINS0_14default_configENS1_25partition_config_selectorILNS1_17partition_subalgoE0EiNS0_10empty_typeEbEEZZNS1_14partition_implILS5_0ELb0ES3_jN6thrust23THRUST_200600_302600_NS6detail15normal_iteratorINSA_10device_ptrIiEEEEPS6_SG_NS0_5tupleIJNSA_16discard_iteratorINSA_11use_defaultEEESK_EEENSH_IJSG_SG_EEES6_PlJ7is_evenIiEEEE10hipError_tPvRmT3_T4_T5_T6_T7_T9_mT8_P12ihipStream_tbDpT10_ENKUlT_T0_E_clISt17integral_constantIbLb0EES19_EEDaS14_S15_EUlS14_E_NS1_11comp_targetILNS1_3genE2ELNS1_11target_archE906ELNS1_3gpuE6ELNS1_3repE0EEENS1_30default_config_static_selectorELNS0_4arch9wavefront6targetE1EEEvT1_,comdat
	.protected	_ZN7rocprim17ROCPRIM_400000_NS6detail17trampoline_kernelINS0_14default_configENS1_25partition_config_selectorILNS1_17partition_subalgoE0EiNS0_10empty_typeEbEEZZNS1_14partition_implILS5_0ELb0ES3_jN6thrust23THRUST_200600_302600_NS6detail15normal_iteratorINSA_10device_ptrIiEEEEPS6_SG_NS0_5tupleIJNSA_16discard_iteratorINSA_11use_defaultEEESK_EEENSH_IJSG_SG_EEES6_PlJ7is_evenIiEEEE10hipError_tPvRmT3_T4_T5_T6_T7_T9_mT8_P12ihipStream_tbDpT10_ENKUlT_T0_E_clISt17integral_constantIbLb0EES19_EEDaS14_S15_EUlS14_E_NS1_11comp_targetILNS1_3genE2ELNS1_11target_archE906ELNS1_3gpuE6ELNS1_3repE0EEENS1_30default_config_static_selectorELNS0_4arch9wavefront6targetE1EEEvT1_ ; -- Begin function _ZN7rocprim17ROCPRIM_400000_NS6detail17trampoline_kernelINS0_14default_configENS1_25partition_config_selectorILNS1_17partition_subalgoE0EiNS0_10empty_typeEbEEZZNS1_14partition_implILS5_0ELb0ES3_jN6thrust23THRUST_200600_302600_NS6detail15normal_iteratorINSA_10device_ptrIiEEEEPS6_SG_NS0_5tupleIJNSA_16discard_iteratorINSA_11use_defaultEEESK_EEENSH_IJSG_SG_EEES6_PlJ7is_evenIiEEEE10hipError_tPvRmT3_T4_T5_T6_T7_T9_mT8_P12ihipStream_tbDpT10_ENKUlT_T0_E_clISt17integral_constantIbLb0EES19_EEDaS14_S15_EUlS14_E_NS1_11comp_targetILNS1_3genE2ELNS1_11target_archE906ELNS1_3gpuE6ELNS1_3repE0EEENS1_30default_config_static_selectorELNS0_4arch9wavefront6targetE1EEEvT1_
	.globl	_ZN7rocprim17ROCPRIM_400000_NS6detail17trampoline_kernelINS0_14default_configENS1_25partition_config_selectorILNS1_17partition_subalgoE0EiNS0_10empty_typeEbEEZZNS1_14partition_implILS5_0ELb0ES3_jN6thrust23THRUST_200600_302600_NS6detail15normal_iteratorINSA_10device_ptrIiEEEEPS6_SG_NS0_5tupleIJNSA_16discard_iteratorINSA_11use_defaultEEESK_EEENSH_IJSG_SG_EEES6_PlJ7is_evenIiEEEE10hipError_tPvRmT3_T4_T5_T6_T7_T9_mT8_P12ihipStream_tbDpT10_ENKUlT_T0_E_clISt17integral_constantIbLb0EES19_EEDaS14_S15_EUlS14_E_NS1_11comp_targetILNS1_3genE2ELNS1_11target_archE906ELNS1_3gpuE6ELNS1_3repE0EEENS1_30default_config_static_selectorELNS0_4arch9wavefront6targetE1EEEvT1_
	.p2align	8
	.type	_ZN7rocprim17ROCPRIM_400000_NS6detail17trampoline_kernelINS0_14default_configENS1_25partition_config_selectorILNS1_17partition_subalgoE0EiNS0_10empty_typeEbEEZZNS1_14partition_implILS5_0ELb0ES3_jN6thrust23THRUST_200600_302600_NS6detail15normal_iteratorINSA_10device_ptrIiEEEEPS6_SG_NS0_5tupleIJNSA_16discard_iteratorINSA_11use_defaultEEESK_EEENSH_IJSG_SG_EEES6_PlJ7is_evenIiEEEE10hipError_tPvRmT3_T4_T5_T6_T7_T9_mT8_P12ihipStream_tbDpT10_ENKUlT_T0_E_clISt17integral_constantIbLb0EES19_EEDaS14_S15_EUlS14_E_NS1_11comp_targetILNS1_3genE2ELNS1_11target_archE906ELNS1_3gpuE6ELNS1_3repE0EEENS1_30default_config_static_selectorELNS0_4arch9wavefront6targetE1EEEvT1_,@function
_ZN7rocprim17ROCPRIM_400000_NS6detail17trampoline_kernelINS0_14default_configENS1_25partition_config_selectorILNS1_17partition_subalgoE0EiNS0_10empty_typeEbEEZZNS1_14partition_implILS5_0ELb0ES3_jN6thrust23THRUST_200600_302600_NS6detail15normal_iteratorINSA_10device_ptrIiEEEEPS6_SG_NS0_5tupleIJNSA_16discard_iteratorINSA_11use_defaultEEESK_EEENSH_IJSG_SG_EEES6_PlJ7is_evenIiEEEE10hipError_tPvRmT3_T4_T5_T6_T7_T9_mT8_P12ihipStream_tbDpT10_ENKUlT_T0_E_clISt17integral_constantIbLb0EES19_EEDaS14_S15_EUlS14_E_NS1_11comp_targetILNS1_3genE2ELNS1_11target_archE906ELNS1_3gpuE6ELNS1_3repE0EEENS1_30default_config_static_selectorELNS0_4arch9wavefront6targetE1EEEvT1_: ; @_ZN7rocprim17ROCPRIM_400000_NS6detail17trampoline_kernelINS0_14default_configENS1_25partition_config_selectorILNS1_17partition_subalgoE0EiNS0_10empty_typeEbEEZZNS1_14partition_implILS5_0ELb0ES3_jN6thrust23THRUST_200600_302600_NS6detail15normal_iteratorINSA_10device_ptrIiEEEEPS6_SG_NS0_5tupleIJNSA_16discard_iteratorINSA_11use_defaultEEESK_EEENSH_IJSG_SG_EEES6_PlJ7is_evenIiEEEE10hipError_tPvRmT3_T4_T5_T6_T7_T9_mT8_P12ihipStream_tbDpT10_ENKUlT_T0_E_clISt17integral_constantIbLb0EES19_EEDaS14_S15_EUlS14_E_NS1_11comp_targetILNS1_3genE2ELNS1_11target_archE906ELNS1_3gpuE6ELNS1_3repE0EEENS1_30default_config_static_selectorELNS0_4arch9wavefront6targetE1EEEvT1_
; %bb.0:
	.section	.rodata,"a",@progbits
	.p2align	6, 0x0
	.amdhsa_kernel _ZN7rocprim17ROCPRIM_400000_NS6detail17trampoline_kernelINS0_14default_configENS1_25partition_config_selectorILNS1_17partition_subalgoE0EiNS0_10empty_typeEbEEZZNS1_14partition_implILS5_0ELb0ES3_jN6thrust23THRUST_200600_302600_NS6detail15normal_iteratorINSA_10device_ptrIiEEEEPS6_SG_NS0_5tupleIJNSA_16discard_iteratorINSA_11use_defaultEEESK_EEENSH_IJSG_SG_EEES6_PlJ7is_evenIiEEEE10hipError_tPvRmT3_T4_T5_T6_T7_T9_mT8_P12ihipStream_tbDpT10_ENKUlT_T0_E_clISt17integral_constantIbLb0EES19_EEDaS14_S15_EUlS14_E_NS1_11comp_targetILNS1_3genE2ELNS1_11target_archE906ELNS1_3gpuE6ELNS1_3repE0EEENS1_30default_config_static_selectorELNS0_4arch9wavefront6targetE1EEEvT1_
		.amdhsa_group_segment_fixed_size 0
		.amdhsa_private_segment_fixed_size 0
		.amdhsa_kernarg_size 136
		.amdhsa_user_sgpr_count 6
		.amdhsa_user_sgpr_private_segment_buffer 1
		.amdhsa_user_sgpr_dispatch_ptr 0
		.amdhsa_user_sgpr_queue_ptr 0
		.amdhsa_user_sgpr_kernarg_segment_ptr 1
		.amdhsa_user_sgpr_dispatch_id 0
		.amdhsa_user_sgpr_flat_scratch_init 0
		.amdhsa_user_sgpr_kernarg_preload_length 0
		.amdhsa_user_sgpr_kernarg_preload_offset 0
		.amdhsa_user_sgpr_private_segment_size 0
		.amdhsa_uses_dynamic_stack 0
		.amdhsa_system_sgpr_private_segment_wavefront_offset 0
		.amdhsa_system_sgpr_workgroup_id_x 1
		.amdhsa_system_sgpr_workgroup_id_y 0
		.amdhsa_system_sgpr_workgroup_id_z 0
		.amdhsa_system_sgpr_workgroup_info 0
		.amdhsa_system_vgpr_workitem_id 0
		.amdhsa_next_free_vgpr 1
		.amdhsa_next_free_sgpr 0
		.amdhsa_accum_offset 4
		.amdhsa_reserve_vcc 0
		.amdhsa_reserve_flat_scratch 0
		.amdhsa_float_round_mode_32 0
		.amdhsa_float_round_mode_16_64 0
		.amdhsa_float_denorm_mode_32 3
		.amdhsa_float_denorm_mode_16_64 3
		.amdhsa_dx10_clamp 1
		.amdhsa_ieee_mode 1
		.amdhsa_fp16_overflow 0
		.amdhsa_tg_split 0
		.amdhsa_exception_fp_ieee_invalid_op 0
		.amdhsa_exception_fp_denorm_src 0
		.amdhsa_exception_fp_ieee_div_zero 0
		.amdhsa_exception_fp_ieee_overflow 0
		.amdhsa_exception_fp_ieee_underflow 0
		.amdhsa_exception_fp_ieee_inexact 0
		.amdhsa_exception_int_div_zero 0
	.end_amdhsa_kernel
	.section	.text._ZN7rocprim17ROCPRIM_400000_NS6detail17trampoline_kernelINS0_14default_configENS1_25partition_config_selectorILNS1_17partition_subalgoE0EiNS0_10empty_typeEbEEZZNS1_14partition_implILS5_0ELb0ES3_jN6thrust23THRUST_200600_302600_NS6detail15normal_iteratorINSA_10device_ptrIiEEEEPS6_SG_NS0_5tupleIJNSA_16discard_iteratorINSA_11use_defaultEEESK_EEENSH_IJSG_SG_EEES6_PlJ7is_evenIiEEEE10hipError_tPvRmT3_T4_T5_T6_T7_T9_mT8_P12ihipStream_tbDpT10_ENKUlT_T0_E_clISt17integral_constantIbLb0EES19_EEDaS14_S15_EUlS14_E_NS1_11comp_targetILNS1_3genE2ELNS1_11target_archE906ELNS1_3gpuE6ELNS1_3repE0EEENS1_30default_config_static_selectorELNS0_4arch9wavefront6targetE1EEEvT1_,"axG",@progbits,_ZN7rocprim17ROCPRIM_400000_NS6detail17trampoline_kernelINS0_14default_configENS1_25partition_config_selectorILNS1_17partition_subalgoE0EiNS0_10empty_typeEbEEZZNS1_14partition_implILS5_0ELb0ES3_jN6thrust23THRUST_200600_302600_NS6detail15normal_iteratorINSA_10device_ptrIiEEEEPS6_SG_NS0_5tupleIJNSA_16discard_iteratorINSA_11use_defaultEEESK_EEENSH_IJSG_SG_EEES6_PlJ7is_evenIiEEEE10hipError_tPvRmT3_T4_T5_T6_T7_T9_mT8_P12ihipStream_tbDpT10_ENKUlT_T0_E_clISt17integral_constantIbLb0EES19_EEDaS14_S15_EUlS14_E_NS1_11comp_targetILNS1_3genE2ELNS1_11target_archE906ELNS1_3gpuE6ELNS1_3repE0EEENS1_30default_config_static_selectorELNS0_4arch9wavefront6targetE1EEEvT1_,comdat
.Lfunc_end2687:
	.size	_ZN7rocprim17ROCPRIM_400000_NS6detail17trampoline_kernelINS0_14default_configENS1_25partition_config_selectorILNS1_17partition_subalgoE0EiNS0_10empty_typeEbEEZZNS1_14partition_implILS5_0ELb0ES3_jN6thrust23THRUST_200600_302600_NS6detail15normal_iteratorINSA_10device_ptrIiEEEEPS6_SG_NS0_5tupleIJNSA_16discard_iteratorINSA_11use_defaultEEESK_EEENSH_IJSG_SG_EEES6_PlJ7is_evenIiEEEE10hipError_tPvRmT3_T4_T5_T6_T7_T9_mT8_P12ihipStream_tbDpT10_ENKUlT_T0_E_clISt17integral_constantIbLb0EES19_EEDaS14_S15_EUlS14_E_NS1_11comp_targetILNS1_3genE2ELNS1_11target_archE906ELNS1_3gpuE6ELNS1_3repE0EEENS1_30default_config_static_selectorELNS0_4arch9wavefront6targetE1EEEvT1_, .Lfunc_end2687-_ZN7rocprim17ROCPRIM_400000_NS6detail17trampoline_kernelINS0_14default_configENS1_25partition_config_selectorILNS1_17partition_subalgoE0EiNS0_10empty_typeEbEEZZNS1_14partition_implILS5_0ELb0ES3_jN6thrust23THRUST_200600_302600_NS6detail15normal_iteratorINSA_10device_ptrIiEEEEPS6_SG_NS0_5tupleIJNSA_16discard_iteratorINSA_11use_defaultEEESK_EEENSH_IJSG_SG_EEES6_PlJ7is_evenIiEEEE10hipError_tPvRmT3_T4_T5_T6_T7_T9_mT8_P12ihipStream_tbDpT10_ENKUlT_T0_E_clISt17integral_constantIbLb0EES19_EEDaS14_S15_EUlS14_E_NS1_11comp_targetILNS1_3genE2ELNS1_11target_archE906ELNS1_3gpuE6ELNS1_3repE0EEENS1_30default_config_static_selectorELNS0_4arch9wavefront6targetE1EEEvT1_
                                        ; -- End function
	.section	.AMDGPU.csdata,"",@progbits
; Kernel info:
; codeLenInByte = 0
; NumSgprs: 4
; NumVgprs: 0
; NumAgprs: 0
; TotalNumVgprs: 0
; ScratchSize: 0
; MemoryBound: 0
; FloatMode: 240
; IeeeMode: 1
; LDSByteSize: 0 bytes/workgroup (compile time only)
; SGPRBlocks: 0
; VGPRBlocks: 0
; NumSGPRsForWavesPerEU: 4
; NumVGPRsForWavesPerEU: 1
; AccumOffset: 4
; Occupancy: 8
; WaveLimiterHint : 0
; COMPUTE_PGM_RSRC2:SCRATCH_EN: 0
; COMPUTE_PGM_RSRC2:USER_SGPR: 6
; COMPUTE_PGM_RSRC2:TRAP_HANDLER: 0
; COMPUTE_PGM_RSRC2:TGID_X_EN: 1
; COMPUTE_PGM_RSRC2:TGID_Y_EN: 0
; COMPUTE_PGM_RSRC2:TGID_Z_EN: 0
; COMPUTE_PGM_RSRC2:TIDIG_COMP_CNT: 0
; COMPUTE_PGM_RSRC3_GFX90A:ACCUM_OFFSET: 0
; COMPUTE_PGM_RSRC3_GFX90A:TG_SPLIT: 0
	.section	.text._ZN7rocprim17ROCPRIM_400000_NS6detail17trampoline_kernelINS0_14default_configENS1_25partition_config_selectorILNS1_17partition_subalgoE0EiNS0_10empty_typeEbEEZZNS1_14partition_implILS5_0ELb0ES3_jN6thrust23THRUST_200600_302600_NS6detail15normal_iteratorINSA_10device_ptrIiEEEEPS6_SG_NS0_5tupleIJNSA_16discard_iteratorINSA_11use_defaultEEESK_EEENSH_IJSG_SG_EEES6_PlJ7is_evenIiEEEE10hipError_tPvRmT3_T4_T5_T6_T7_T9_mT8_P12ihipStream_tbDpT10_ENKUlT_T0_E_clISt17integral_constantIbLb0EES19_EEDaS14_S15_EUlS14_E_NS1_11comp_targetILNS1_3genE10ELNS1_11target_archE1200ELNS1_3gpuE4ELNS1_3repE0EEENS1_30default_config_static_selectorELNS0_4arch9wavefront6targetE1EEEvT1_,"axG",@progbits,_ZN7rocprim17ROCPRIM_400000_NS6detail17trampoline_kernelINS0_14default_configENS1_25partition_config_selectorILNS1_17partition_subalgoE0EiNS0_10empty_typeEbEEZZNS1_14partition_implILS5_0ELb0ES3_jN6thrust23THRUST_200600_302600_NS6detail15normal_iteratorINSA_10device_ptrIiEEEEPS6_SG_NS0_5tupleIJNSA_16discard_iteratorINSA_11use_defaultEEESK_EEENSH_IJSG_SG_EEES6_PlJ7is_evenIiEEEE10hipError_tPvRmT3_T4_T5_T6_T7_T9_mT8_P12ihipStream_tbDpT10_ENKUlT_T0_E_clISt17integral_constantIbLb0EES19_EEDaS14_S15_EUlS14_E_NS1_11comp_targetILNS1_3genE10ELNS1_11target_archE1200ELNS1_3gpuE4ELNS1_3repE0EEENS1_30default_config_static_selectorELNS0_4arch9wavefront6targetE1EEEvT1_,comdat
	.protected	_ZN7rocprim17ROCPRIM_400000_NS6detail17trampoline_kernelINS0_14default_configENS1_25partition_config_selectorILNS1_17partition_subalgoE0EiNS0_10empty_typeEbEEZZNS1_14partition_implILS5_0ELb0ES3_jN6thrust23THRUST_200600_302600_NS6detail15normal_iteratorINSA_10device_ptrIiEEEEPS6_SG_NS0_5tupleIJNSA_16discard_iteratorINSA_11use_defaultEEESK_EEENSH_IJSG_SG_EEES6_PlJ7is_evenIiEEEE10hipError_tPvRmT3_T4_T5_T6_T7_T9_mT8_P12ihipStream_tbDpT10_ENKUlT_T0_E_clISt17integral_constantIbLb0EES19_EEDaS14_S15_EUlS14_E_NS1_11comp_targetILNS1_3genE10ELNS1_11target_archE1200ELNS1_3gpuE4ELNS1_3repE0EEENS1_30default_config_static_selectorELNS0_4arch9wavefront6targetE1EEEvT1_ ; -- Begin function _ZN7rocprim17ROCPRIM_400000_NS6detail17trampoline_kernelINS0_14default_configENS1_25partition_config_selectorILNS1_17partition_subalgoE0EiNS0_10empty_typeEbEEZZNS1_14partition_implILS5_0ELb0ES3_jN6thrust23THRUST_200600_302600_NS6detail15normal_iteratorINSA_10device_ptrIiEEEEPS6_SG_NS0_5tupleIJNSA_16discard_iteratorINSA_11use_defaultEEESK_EEENSH_IJSG_SG_EEES6_PlJ7is_evenIiEEEE10hipError_tPvRmT3_T4_T5_T6_T7_T9_mT8_P12ihipStream_tbDpT10_ENKUlT_T0_E_clISt17integral_constantIbLb0EES19_EEDaS14_S15_EUlS14_E_NS1_11comp_targetILNS1_3genE10ELNS1_11target_archE1200ELNS1_3gpuE4ELNS1_3repE0EEENS1_30default_config_static_selectorELNS0_4arch9wavefront6targetE1EEEvT1_
	.globl	_ZN7rocprim17ROCPRIM_400000_NS6detail17trampoline_kernelINS0_14default_configENS1_25partition_config_selectorILNS1_17partition_subalgoE0EiNS0_10empty_typeEbEEZZNS1_14partition_implILS5_0ELb0ES3_jN6thrust23THRUST_200600_302600_NS6detail15normal_iteratorINSA_10device_ptrIiEEEEPS6_SG_NS0_5tupleIJNSA_16discard_iteratorINSA_11use_defaultEEESK_EEENSH_IJSG_SG_EEES6_PlJ7is_evenIiEEEE10hipError_tPvRmT3_T4_T5_T6_T7_T9_mT8_P12ihipStream_tbDpT10_ENKUlT_T0_E_clISt17integral_constantIbLb0EES19_EEDaS14_S15_EUlS14_E_NS1_11comp_targetILNS1_3genE10ELNS1_11target_archE1200ELNS1_3gpuE4ELNS1_3repE0EEENS1_30default_config_static_selectorELNS0_4arch9wavefront6targetE1EEEvT1_
	.p2align	8
	.type	_ZN7rocprim17ROCPRIM_400000_NS6detail17trampoline_kernelINS0_14default_configENS1_25partition_config_selectorILNS1_17partition_subalgoE0EiNS0_10empty_typeEbEEZZNS1_14partition_implILS5_0ELb0ES3_jN6thrust23THRUST_200600_302600_NS6detail15normal_iteratorINSA_10device_ptrIiEEEEPS6_SG_NS0_5tupleIJNSA_16discard_iteratorINSA_11use_defaultEEESK_EEENSH_IJSG_SG_EEES6_PlJ7is_evenIiEEEE10hipError_tPvRmT3_T4_T5_T6_T7_T9_mT8_P12ihipStream_tbDpT10_ENKUlT_T0_E_clISt17integral_constantIbLb0EES19_EEDaS14_S15_EUlS14_E_NS1_11comp_targetILNS1_3genE10ELNS1_11target_archE1200ELNS1_3gpuE4ELNS1_3repE0EEENS1_30default_config_static_selectorELNS0_4arch9wavefront6targetE1EEEvT1_,@function
_ZN7rocprim17ROCPRIM_400000_NS6detail17trampoline_kernelINS0_14default_configENS1_25partition_config_selectorILNS1_17partition_subalgoE0EiNS0_10empty_typeEbEEZZNS1_14partition_implILS5_0ELb0ES3_jN6thrust23THRUST_200600_302600_NS6detail15normal_iteratorINSA_10device_ptrIiEEEEPS6_SG_NS0_5tupleIJNSA_16discard_iteratorINSA_11use_defaultEEESK_EEENSH_IJSG_SG_EEES6_PlJ7is_evenIiEEEE10hipError_tPvRmT3_T4_T5_T6_T7_T9_mT8_P12ihipStream_tbDpT10_ENKUlT_T0_E_clISt17integral_constantIbLb0EES19_EEDaS14_S15_EUlS14_E_NS1_11comp_targetILNS1_3genE10ELNS1_11target_archE1200ELNS1_3gpuE4ELNS1_3repE0EEENS1_30default_config_static_selectorELNS0_4arch9wavefront6targetE1EEEvT1_: ; @_ZN7rocprim17ROCPRIM_400000_NS6detail17trampoline_kernelINS0_14default_configENS1_25partition_config_selectorILNS1_17partition_subalgoE0EiNS0_10empty_typeEbEEZZNS1_14partition_implILS5_0ELb0ES3_jN6thrust23THRUST_200600_302600_NS6detail15normal_iteratorINSA_10device_ptrIiEEEEPS6_SG_NS0_5tupleIJNSA_16discard_iteratorINSA_11use_defaultEEESK_EEENSH_IJSG_SG_EEES6_PlJ7is_evenIiEEEE10hipError_tPvRmT3_T4_T5_T6_T7_T9_mT8_P12ihipStream_tbDpT10_ENKUlT_T0_E_clISt17integral_constantIbLb0EES19_EEDaS14_S15_EUlS14_E_NS1_11comp_targetILNS1_3genE10ELNS1_11target_archE1200ELNS1_3gpuE4ELNS1_3repE0EEENS1_30default_config_static_selectorELNS0_4arch9wavefront6targetE1EEEvT1_
; %bb.0:
	.section	.rodata,"a",@progbits
	.p2align	6, 0x0
	.amdhsa_kernel _ZN7rocprim17ROCPRIM_400000_NS6detail17trampoline_kernelINS0_14default_configENS1_25partition_config_selectorILNS1_17partition_subalgoE0EiNS0_10empty_typeEbEEZZNS1_14partition_implILS5_0ELb0ES3_jN6thrust23THRUST_200600_302600_NS6detail15normal_iteratorINSA_10device_ptrIiEEEEPS6_SG_NS0_5tupleIJNSA_16discard_iteratorINSA_11use_defaultEEESK_EEENSH_IJSG_SG_EEES6_PlJ7is_evenIiEEEE10hipError_tPvRmT3_T4_T5_T6_T7_T9_mT8_P12ihipStream_tbDpT10_ENKUlT_T0_E_clISt17integral_constantIbLb0EES19_EEDaS14_S15_EUlS14_E_NS1_11comp_targetILNS1_3genE10ELNS1_11target_archE1200ELNS1_3gpuE4ELNS1_3repE0EEENS1_30default_config_static_selectorELNS0_4arch9wavefront6targetE1EEEvT1_
		.amdhsa_group_segment_fixed_size 0
		.amdhsa_private_segment_fixed_size 0
		.amdhsa_kernarg_size 136
		.amdhsa_user_sgpr_count 6
		.amdhsa_user_sgpr_private_segment_buffer 1
		.amdhsa_user_sgpr_dispatch_ptr 0
		.amdhsa_user_sgpr_queue_ptr 0
		.amdhsa_user_sgpr_kernarg_segment_ptr 1
		.amdhsa_user_sgpr_dispatch_id 0
		.amdhsa_user_sgpr_flat_scratch_init 0
		.amdhsa_user_sgpr_kernarg_preload_length 0
		.amdhsa_user_sgpr_kernarg_preload_offset 0
		.amdhsa_user_sgpr_private_segment_size 0
		.amdhsa_uses_dynamic_stack 0
		.amdhsa_system_sgpr_private_segment_wavefront_offset 0
		.amdhsa_system_sgpr_workgroup_id_x 1
		.amdhsa_system_sgpr_workgroup_id_y 0
		.amdhsa_system_sgpr_workgroup_id_z 0
		.amdhsa_system_sgpr_workgroup_info 0
		.amdhsa_system_vgpr_workitem_id 0
		.amdhsa_next_free_vgpr 1
		.amdhsa_next_free_sgpr 0
		.amdhsa_accum_offset 4
		.amdhsa_reserve_vcc 0
		.amdhsa_reserve_flat_scratch 0
		.amdhsa_float_round_mode_32 0
		.amdhsa_float_round_mode_16_64 0
		.amdhsa_float_denorm_mode_32 3
		.amdhsa_float_denorm_mode_16_64 3
		.amdhsa_dx10_clamp 1
		.amdhsa_ieee_mode 1
		.amdhsa_fp16_overflow 0
		.amdhsa_tg_split 0
		.amdhsa_exception_fp_ieee_invalid_op 0
		.amdhsa_exception_fp_denorm_src 0
		.amdhsa_exception_fp_ieee_div_zero 0
		.amdhsa_exception_fp_ieee_overflow 0
		.amdhsa_exception_fp_ieee_underflow 0
		.amdhsa_exception_fp_ieee_inexact 0
		.amdhsa_exception_int_div_zero 0
	.end_amdhsa_kernel
	.section	.text._ZN7rocprim17ROCPRIM_400000_NS6detail17trampoline_kernelINS0_14default_configENS1_25partition_config_selectorILNS1_17partition_subalgoE0EiNS0_10empty_typeEbEEZZNS1_14partition_implILS5_0ELb0ES3_jN6thrust23THRUST_200600_302600_NS6detail15normal_iteratorINSA_10device_ptrIiEEEEPS6_SG_NS0_5tupleIJNSA_16discard_iteratorINSA_11use_defaultEEESK_EEENSH_IJSG_SG_EEES6_PlJ7is_evenIiEEEE10hipError_tPvRmT3_T4_T5_T6_T7_T9_mT8_P12ihipStream_tbDpT10_ENKUlT_T0_E_clISt17integral_constantIbLb0EES19_EEDaS14_S15_EUlS14_E_NS1_11comp_targetILNS1_3genE10ELNS1_11target_archE1200ELNS1_3gpuE4ELNS1_3repE0EEENS1_30default_config_static_selectorELNS0_4arch9wavefront6targetE1EEEvT1_,"axG",@progbits,_ZN7rocprim17ROCPRIM_400000_NS6detail17trampoline_kernelINS0_14default_configENS1_25partition_config_selectorILNS1_17partition_subalgoE0EiNS0_10empty_typeEbEEZZNS1_14partition_implILS5_0ELb0ES3_jN6thrust23THRUST_200600_302600_NS6detail15normal_iteratorINSA_10device_ptrIiEEEEPS6_SG_NS0_5tupleIJNSA_16discard_iteratorINSA_11use_defaultEEESK_EEENSH_IJSG_SG_EEES6_PlJ7is_evenIiEEEE10hipError_tPvRmT3_T4_T5_T6_T7_T9_mT8_P12ihipStream_tbDpT10_ENKUlT_T0_E_clISt17integral_constantIbLb0EES19_EEDaS14_S15_EUlS14_E_NS1_11comp_targetILNS1_3genE10ELNS1_11target_archE1200ELNS1_3gpuE4ELNS1_3repE0EEENS1_30default_config_static_selectorELNS0_4arch9wavefront6targetE1EEEvT1_,comdat
.Lfunc_end2688:
	.size	_ZN7rocprim17ROCPRIM_400000_NS6detail17trampoline_kernelINS0_14default_configENS1_25partition_config_selectorILNS1_17partition_subalgoE0EiNS0_10empty_typeEbEEZZNS1_14partition_implILS5_0ELb0ES3_jN6thrust23THRUST_200600_302600_NS6detail15normal_iteratorINSA_10device_ptrIiEEEEPS6_SG_NS0_5tupleIJNSA_16discard_iteratorINSA_11use_defaultEEESK_EEENSH_IJSG_SG_EEES6_PlJ7is_evenIiEEEE10hipError_tPvRmT3_T4_T5_T6_T7_T9_mT8_P12ihipStream_tbDpT10_ENKUlT_T0_E_clISt17integral_constantIbLb0EES19_EEDaS14_S15_EUlS14_E_NS1_11comp_targetILNS1_3genE10ELNS1_11target_archE1200ELNS1_3gpuE4ELNS1_3repE0EEENS1_30default_config_static_selectorELNS0_4arch9wavefront6targetE1EEEvT1_, .Lfunc_end2688-_ZN7rocprim17ROCPRIM_400000_NS6detail17trampoline_kernelINS0_14default_configENS1_25partition_config_selectorILNS1_17partition_subalgoE0EiNS0_10empty_typeEbEEZZNS1_14partition_implILS5_0ELb0ES3_jN6thrust23THRUST_200600_302600_NS6detail15normal_iteratorINSA_10device_ptrIiEEEEPS6_SG_NS0_5tupleIJNSA_16discard_iteratorINSA_11use_defaultEEESK_EEENSH_IJSG_SG_EEES6_PlJ7is_evenIiEEEE10hipError_tPvRmT3_T4_T5_T6_T7_T9_mT8_P12ihipStream_tbDpT10_ENKUlT_T0_E_clISt17integral_constantIbLb0EES19_EEDaS14_S15_EUlS14_E_NS1_11comp_targetILNS1_3genE10ELNS1_11target_archE1200ELNS1_3gpuE4ELNS1_3repE0EEENS1_30default_config_static_selectorELNS0_4arch9wavefront6targetE1EEEvT1_
                                        ; -- End function
	.section	.AMDGPU.csdata,"",@progbits
; Kernel info:
; codeLenInByte = 0
; NumSgprs: 4
; NumVgprs: 0
; NumAgprs: 0
; TotalNumVgprs: 0
; ScratchSize: 0
; MemoryBound: 0
; FloatMode: 240
; IeeeMode: 1
; LDSByteSize: 0 bytes/workgroup (compile time only)
; SGPRBlocks: 0
; VGPRBlocks: 0
; NumSGPRsForWavesPerEU: 4
; NumVGPRsForWavesPerEU: 1
; AccumOffset: 4
; Occupancy: 8
; WaveLimiterHint : 0
; COMPUTE_PGM_RSRC2:SCRATCH_EN: 0
; COMPUTE_PGM_RSRC2:USER_SGPR: 6
; COMPUTE_PGM_RSRC2:TRAP_HANDLER: 0
; COMPUTE_PGM_RSRC2:TGID_X_EN: 1
; COMPUTE_PGM_RSRC2:TGID_Y_EN: 0
; COMPUTE_PGM_RSRC2:TGID_Z_EN: 0
; COMPUTE_PGM_RSRC2:TIDIG_COMP_CNT: 0
; COMPUTE_PGM_RSRC3_GFX90A:ACCUM_OFFSET: 0
; COMPUTE_PGM_RSRC3_GFX90A:TG_SPLIT: 0
	.section	.text._ZN7rocprim17ROCPRIM_400000_NS6detail17trampoline_kernelINS0_14default_configENS1_25partition_config_selectorILNS1_17partition_subalgoE0EiNS0_10empty_typeEbEEZZNS1_14partition_implILS5_0ELb0ES3_jN6thrust23THRUST_200600_302600_NS6detail15normal_iteratorINSA_10device_ptrIiEEEEPS6_SG_NS0_5tupleIJNSA_16discard_iteratorINSA_11use_defaultEEESK_EEENSH_IJSG_SG_EEES6_PlJ7is_evenIiEEEE10hipError_tPvRmT3_T4_T5_T6_T7_T9_mT8_P12ihipStream_tbDpT10_ENKUlT_T0_E_clISt17integral_constantIbLb0EES19_EEDaS14_S15_EUlS14_E_NS1_11comp_targetILNS1_3genE9ELNS1_11target_archE1100ELNS1_3gpuE3ELNS1_3repE0EEENS1_30default_config_static_selectorELNS0_4arch9wavefront6targetE1EEEvT1_,"axG",@progbits,_ZN7rocprim17ROCPRIM_400000_NS6detail17trampoline_kernelINS0_14default_configENS1_25partition_config_selectorILNS1_17partition_subalgoE0EiNS0_10empty_typeEbEEZZNS1_14partition_implILS5_0ELb0ES3_jN6thrust23THRUST_200600_302600_NS6detail15normal_iteratorINSA_10device_ptrIiEEEEPS6_SG_NS0_5tupleIJNSA_16discard_iteratorINSA_11use_defaultEEESK_EEENSH_IJSG_SG_EEES6_PlJ7is_evenIiEEEE10hipError_tPvRmT3_T4_T5_T6_T7_T9_mT8_P12ihipStream_tbDpT10_ENKUlT_T0_E_clISt17integral_constantIbLb0EES19_EEDaS14_S15_EUlS14_E_NS1_11comp_targetILNS1_3genE9ELNS1_11target_archE1100ELNS1_3gpuE3ELNS1_3repE0EEENS1_30default_config_static_selectorELNS0_4arch9wavefront6targetE1EEEvT1_,comdat
	.protected	_ZN7rocprim17ROCPRIM_400000_NS6detail17trampoline_kernelINS0_14default_configENS1_25partition_config_selectorILNS1_17partition_subalgoE0EiNS0_10empty_typeEbEEZZNS1_14partition_implILS5_0ELb0ES3_jN6thrust23THRUST_200600_302600_NS6detail15normal_iteratorINSA_10device_ptrIiEEEEPS6_SG_NS0_5tupleIJNSA_16discard_iteratorINSA_11use_defaultEEESK_EEENSH_IJSG_SG_EEES6_PlJ7is_evenIiEEEE10hipError_tPvRmT3_T4_T5_T6_T7_T9_mT8_P12ihipStream_tbDpT10_ENKUlT_T0_E_clISt17integral_constantIbLb0EES19_EEDaS14_S15_EUlS14_E_NS1_11comp_targetILNS1_3genE9ELNS1_11target_archE1100ELNS1_3gpuE3ELNS1_3repE0EEENS1_30default_config_static_selectorELNS0_4arch9wavefront6targetE1EEEvT1_ ; -- Begin function _ZN7rocprim17ROCPRIM_400000_NS6detail17trampoline_kernelINS0_14default_configENS1_25partition_config_selectorILNS1_17partition_subalgoE0EiNS0_10empty_typeEbEEZZNS1_14partition_implILS5_0ELb0ES3_jN6thrust23THRUST_200600_302600_NS6detail15normal_iteratorINSA_10device_ptrIiEEEEPS6_SG_NS0_5tupleIJNSA_16discard_iteratorINSA_11use_defaultEEESK_EEENSH_IJSG_SG_EEES6_PlJ7is_evenIiEEEE10hipError_tPvRmT3_T4_T5_T6_T7_T9_mT8_P12ihipStream_tbDpT10_ENKUlT_T0_E_clISt17integral_constantIbLb0EES19_EEDaS14_S15_EUlS14_E_NS1_11comp_targetILNS1_3genE9ELNS1_11target_archE1100ELNS1_3gpuE3ELNS1_3repE0EEENS1_30default_config_static_selectorELNS0_4arch9wavefront6targetE1EEEvT1_
	.globl	_ZN7rocprim17ROCPRIM_400000_NS6detail17trampoline_kernelINS0_14default_configENS1_25partition_config_selectorILNS1_17partition_subalgoE0EiNS0_10empty_typeEbEEZZNS1_14partition_implILS5_0ELb0ES3_jN6thrust23THRUST_200600_302600_NS6detail15normal_iteratorINSA_10device_ptrIiEEEEPS6_SG_NS0_5tupleIJNSA_16discard_iteratorINSA_11use_defaultEEESK_EEENSH_IJSG_SG_EEES6_PlJ7is_evenIiEEEE10hipError_tPvRmT3_T4_T5_T6_T7_T9_mT8_P12ihipStream_tbDpT10_ENKUlT_T0_E_clISt17integral_constantIbLb0EES19_EEDaS14_S15_EUlS14_E_NS1_11comp_targetILNS1_3genE9ELNS1_11target_archE1100ELNS1_3gpuE3ELNS1_3repE0EEENS1_30default_config_static_selectorELNS0_4arch9wavefront6targetE1EEEvT1_
	.p2align	8
	.type	_ZN7rocprim17ROCPRIM_400000_NS6detail17trampoline_kernelINS0_14default_configENS1_25partition_config_selectorILNS1_17partition_subalgoE0EiNS0_10empty_typeEbEEZZNS1_14partition_implILS5_0ELb0ES3_jN6thrust23THRUST_200600_302600_NS6detail15normal_iteratorINSA_10device_ptrIiEEEEPS6_SG_NS0_5tupleIJNSA_16discard_iteratorINSA_11use_defaultEEESK_EEENSH_IJSG_SG_EEES6_PlJ7is_evenIiEEEE10hipError_tPvRmT3_T4_T5_T6_T7_T9_mT8_P12ihipStream_tbDpT10_ENKUlT_T0_E_clISt17integral_constantIbLb0EES19_EEDaS14_S15_EUlS14_E_NS1_11comp_targetILNS1_3genE9ELNS1_11target_archE1100ELNS1_3gpuE3ELNS1_3repE0EEENS1_30default_config_static_selectorELNS0_4arch9wavefront6targetE1EEEvT1_,@function
_ZN7rocprim17ROCPRIM_400000_NS6detail17trampoline_kernelINS0_14default_configENS1_25partition_config_selectorILNS1_17partition_subalgoE0EiNS0_10empty_typeEbEEZZNS1_14partition_implILS5_0ELb0ES3_jN6thrust23THRUST_200600_302600_NS6detail15normal_iteratorINSA_10device_ptrIiEEEEPS6_SG_NS0_5tupleIJNSA_16discard_iteratorINSA_11use_defaultEEESK_EEENSH_IJSG_SG_EEES6_PlJ7is_evenIiEEEE10hipError_tPvRmT3_T4_T5_T6_T7_T9_mT8_P12ihipStream_tbDpT10_ENKUlT_T0_E_clISt17integral_constantIbLb0EES19_EEDaS14_S15_EUlS14_E_NS1_11comp_targetILNS1_3genE9ELNS1_11target_archE1100ELNS1_3gpuE3ELNS1_3repE0EEENS1_30default_config_static_selectorELNS0_4arch9wavefront6targetE1EEEvT1_: ; @_ZN7rocprim17ROCPRIM_400000_NS6detail17trampoline_kernelINS0_14default_configENS1_25partition_config_selectorILNS1_17partition_subalgoE0EiNS0_10empty_typeEbEEZZNS1_14partition_implILS5_0ELb0ES3_jN6thrust23THRUST_200600_302600_NS6detail15normal_iteratorINSA_10device_ptrIiEEEEPS6_SG_NS0_5tupleIJNSA_16discard_iteratorINSA_11use_defaultEEESK_EEENSH_IJSG_SG_EEES6_PlJ7is_evenIiEEEE10hipError_tPvRmT3_T4_T5_T6_T7_T9_mT8_P12ihipStream_tbDpT10_ENKUlT_T0_E_clISt17integral_constantIbLb0EES19_EEDaS14_S15_EUlS14_E_NS1_11comp_targetILNS1_3genE9ELNS1_11target_archE1100ELNS1_3gpuE3ELNS1_3repE0EEENS1_30default_config_static_selectorELNS0_4arch9wavefront6targetE1EEEvT1_
; %bb.0:
	.section	.rodata,"a",@progbits
	.p2align	6, 0x0
	.amdhsa_kernel _ZN7rocprim17ROCPRIM_400000_NS6detail17trampoline_kernelINS0_14default_configENS1_25partition_config_selectorILNS1_17partition_subalgoE0EiNS0_10empty_typeEbEEZZNS1_14partition_implILS5_0ELb0ES3_jN6thrust23THRUST_200600_302600_NS6detail15normal_iteratorINSA_10device_ptrIiEEEEPS6_SG_NS0_5tupleIJNSA_16discard_iteratorINSA_11use_defaultEEESK_EEENSH_IJSG_SG_EEES6_PlJ7is_evenIiEEEE10hipError_tPvRmT3_T4_T5_T6_T7_T9_mT8_P12ihipStream_tbDpT10_ENKUlT_T0_E_clISt17integral_constantIbLb0EES19_EEDaS14_S15_EUlS14_E_NS1_11comp_targetILNS1_3genE9ELNS1_11target_archE1100ELNS1_3gpuE3ELNS1_3repE0EEENS1_30default_config_static_selectorELNS0_4arch9wavefront6targetE1EEEvT1_
		.amdhsa_group_segment_fixed_size 0
		.amdhsa_private_segment_fixed_size 0
		.amdhsa_kernarg_size 136
		.amdhsa_user_sgpr_count 6
		.amdhsa_user_sgpr_private_segment_buffer 1
		.amdhsa_user_sgpr_dispatch_ptr 0
		.amdhsa_user_sgpr_queue_ptr 0
		.amdhsa_user_sgpr_kernarg_segment_ptr 1
		.amdhsa_user_sgpr_dispatch_id 0
		.amdhsa_user_sgpr_flat_scratch_init 0
		.amdhsa_user_sgpr_kernarg_preload_length 0
		.amdhsa_user_sgpr_kernarg_preload_offset 0
		.amdhsa_user_sgpr_private_segment_size 0
		.amdhsa_uses_dynamic_stack 0
		.amdhsa_system_sgpr_private_segment_wavefront_offset 0
		.amdhsa_system_sgpr_workgroup_id_x 1
		.amdhsa_system_sgpr_workgroup_id_y 0
		.amdhsa_system_sgpr_workgroup_id_z 0
		.amdhsa_system_sgpr_workgroup_info 0
		.amdhsa_system_vgpr_workitem_id 0
		.amdhsa_next_free_vgpr 1
		.amdhsa_next_free_sgpr 0
		.amdhsa_accum_offset 4
		.amdhsa_reserve_vcc 0
		.amdhsa_reserve_flat_scratch 0
		.amdhsa_float_round_mode_32 0
		.amdhsa_float_round_mode_16_64 0
		.amdhsa_float_denorm_mode_32 3
		.amdhsa_float_denorm_mode_16_64 3
		.amdhsa_dx10_clamp 1
		.amdhsa_ieee_mode 1
		.amdhsa_fp16_overflow 0
		.amdhsa_tg_split 0
		.amdhsa_exception_fp_ieee_invalid_op 0
		.amdhsa_exception_fp_denorm_src 0
		.amdhsa_exception_fp_ieee_div_zero 0
		.amdhsa_exception_fp_ieee_overflow 0
		.amdhsa_exception_fp_ieee_underflow 0
		.amdhsa_exception_fp_ieee_inexact 0
		.amdhsa_exception_int_div_zero 0
	.end_amdhsa_kernel
	.section	.text._ZN7rocprim17ROCPRIM_400000_NS6detail17trampoline_kernelINS0_14default_configENS1_25partition_config_selectorILNS1_17partition_subalgoE0EiNS0_10empty_typeEbEEZZNS1_14partition_implILS5_0ELb0ES3_jN6thrust23THRUST_200600_302600_NS6detail15normal_iteratorINSA_10device_ptrIiEEEEPS6_SG_NS0_5tupleIJNSA_16discard_iteratorINSA_11use_defaultEEESK_EEENSH_IJSG_SG_EEES6_PlJ7is_evenIiEEEE10hipError_tPvRmT3_T4_T5_T6_T7_T9_mT8_P12ihipStream_tbDpT10_ENKUlT_T0_E_clISt17integral_constantIbLb0EES19_EEDaS14_S15_EUlS14_E_NS1_11comp_targetILNS1_3genE9ELNS1_11target_archE1100ELNS1_3gpuE3ELNS1_3repE0EEENS1_30default_config_static_selectorELNS0_4arch9wavefront6targetE1EEEvT1_,"axG",@progbits,_ZN7rocprim17ROCPRIM_400000_NS6detail17trampoline_kernelINS0_14default_configENS1_25partition_config_selectorILNS1_17partition_subalgoE0EiNS0_10empty_typeEbEEZZNS1_14partition_implILS5_0ELb0ES3_jN6thrust23THRUST_200600_302600_NS6detail15normal_iteratorINSA_10device_ptrIiEEEEPS6_SG_NS0_5tupleIJNSA_16discard_iteratorINSA_11use_defaultEEESK_EEENSH_IJSG_SG_EEES6_PlJ7is_evenIiEEEE10hipError_tPvRmT3_T4_T5_T6_T7_T9_mT8_P12ihipStream_tbDpT10_ENKUlT_T0_E_clISt17integral_constantIbLb0EES19_EEDaS14_S15_EUlS14_E_NS1_11comp_targetILNS1_3genE9ELNS1_11target_archE1100ELNS1_3gpuE3ELNS1_3repE0EEENS1_30default_config_static_selectorELNS0_4arch9wavefront6targetE1EEEvT1_,comdat
.Lfunc_end2689:
	.size	_ZN7rocprim17ROCPRIM_400000_NS6detail17trampoline_kernelINS0_14default_configENS1_25partition_config_selectorILNS1_17partition_subalgoE0EiNS0_10empty_typeEbEEZZNS1_14partition_implILS5_0ELb0ES3_jN6thrust23THRUST_200600_302600_NS6detail15normal_iteratorINSA_10device_ptrIiEEEEPS6_SG_NS0_5tupleIJNSA_16discard_iteratorINSA_11use_defaultEEESK_EEENSH_IJSG_SG_EEES6_PlJ7is_evenIiEEEE10hipError_tPvRmT3_T4_T5_T6_T7_T9_mT8_P12ihipStream_tbDpT10_ENKUlT_T0_E_clISt17integral_constantIbLb0EES19_EEDaS14_S15_EUlS14_E_NS1_11comp_targetILNS1_3genE9ELNS1_11target_archE1100ELNS1_3gpuE3ELNS1_3repE0EEENS1_30default_config_static_selectorELNS0_4arch9wavefront6targetE1EEEvT1_, .Lfunc_end2689-_ZN7rocprim17ROCPRIM_400000_NS6detail17trampoline_kernelINS0_14default_configENS1_25partition_config_selectorILNS1_17partition_subalgoE0EiNS0_10empty_typeEbEEZZNS1_14partition_implILS5_0ELb0ES3_jN6thrust23THRUST_200600_302600_NS6detail15normal_iteratorINSA_10device_ptrIiEEEEPS6_SG_NS0_5tupleIJNSA_16discard_iteratorINSA_11use_defaultEEESK_EEENSH_IJSG_SG_EEES6_PlJ7is_evenIiEEEE10hipError_tPvRmT3_T4_T5_T6_T7_T9_mT8_P12ihipStream_tbDpT10_ENKUlT_T0_E_clISt17integral_constantIbLb0EES19_EEDaS14_S15_EUlS14_E_NS1_11comp_targetILNS1_3genE9ELNS1_11target_archE1100ELNS1_3gpuE3ELNS1_3repE0EEENS1_30default_config_static_selectorELNS0_4arch9wavefront6targetE1EEEvT1_
                                        ; -- End function
	.section	.AMDGPU.csdata,"",@progbits
; Kernel info:
; codeLenInByte = 0
; NumSgprs: 4
; NumVgprs: 0
; NumAgprs: 0
; TotalNumVgprs: 0
; ScratchSize: 0
; MemoryBound: 0
; FloatMode: 240
; IeeeMode: 1
; LDSByteSize: 0 bytes/workgroup (compile time only)
; SGPRBlocks: 0
; VGPRBlocks: 0
; NumSGPRsForWavesPerEU: 4
; NumVGPRsForWavesPerEU: 1
; AccumOffset: 4
; Occupancy: 8
; WaveLimiterHint : 0
; COMPUTE_PGM_RSRC2:SCRATCH_EN: 0
; COMPUTE_PGM_RSRC2:USER_SGPR: 6
; COMPUTE_PGM_RSRC2:TRAP_HANDLER: 0
; COMPUTE_PGM_RSRC2:TGID_X_EN: 1
; COMPUTE_PGM_RSRC2:TGID_Y_EN: 0
; COMPUTE_PGM_RSRC2:TGID_Z_EN: 0
; COMPUTE_PGM_RSRC2:TIDIG_COMP_CNT: 0
; COMPUTE_PGM_RSRC3_GFX90A:ACCUM_OFFSET: 0
; COMPUTE_PGM_RSRC3_GFX90A:TG_SPLIT: 0
	.section	.text._ZN7rocprim17ROCPRIM_400000_NS6detail17trampoline_kernelINS0_14default_configENS1_25partition_config_selectorILNS1_17partition_subalgoE0EiNS0_10empty_typeEbEEZZNS1_14partition_implILS5_0ELb0ES3_jN6thrust23THRUST_200600_302600_NS6detail15normal_iteratorINSA_10device_ptrIiEEEEPS6_SG_NS0_5tupleIJNSA_16discard_iteratorINSA_11use_defaultEEESK_EEENSH_IJSG_SG_EEES6_PlJ7is_evenIiEEEE10hipError_tPvRmT3_T4_T5_T6_T7_T9_mT8_P12ihipStream_tbDpT10_ENKUlT_T0_E_clISt17integral_constantIbLb0EES19_EEDaS14_S15_EUlS14_E_NS1_11comp_targetILNS1_3genE8ELNS1_11target_archE1030ELNS1_3gpuE2ELNS1_3repE0EEENS1_30default_config_static_selectorELNS0_4arch9wavefront6targetE1EEEvT1_,"axG",@progbits,_ZN7rocprim17ROCPRIM_400000_NS6detail17trampoline_kernelINS0_14default_configENS1_25partition_config_selectorILNS1_17partition_subalgoE0EiNS0_10empty_typeEbEEZZNS1_14partition_implILS5_0ELb0ES3_jN6thrust23THRUST_200600_302600_NS6detail15normal_iteratorINSA_10device_ptrIiEEEEPS6_SG_NS0_5tupleIJNSA_16discard_iteratorINSA_11use_defaultEEESK_EEENSH_IJSG_SG_EEES6_PlJ7is_evenIiEEEE10hipError_tPvRmT3_T4_T5_T6_T7_T9_mT8_P12ihipStream_tbDpT10_ENKUlT_T0_E_clISt17integral_constantIbLb0EES19_EEDaS14_S15_EUlS14_E_NS1_11comp_targetILNS1_3genE8ELNS1_11target_archE1030ELNS1_3gpuE2ELNS1_3repE0EEENS1_30default_config_static_selectorELNS0_4arch9wavefront6targetE1EEEvT1_,comdat
	.protected	_ZN7rocprim17ROCPRIM_400000_NS6detail17trampoline_kernelINS0_14default_configENS1_25partition_config_selectorILNS1_17partition_subalgoE0EiNS0_10empty_typeEbEEZZNS1_14partition_implILS5_0ELb0ES3_jN6thrust23THRUST_200600_302600_NS6detail15normal_iteratorINSA_10device_ptrIiEEEEPS6_SG_NS0_5tupleIJNSA_16discard_iteratorINSA_11use_defaultEEESK_EEENSH_IJSG_SG_EEES6_PlJ7is_evenIiEEEE10hipError_tPvRmT3_T4_T5_T6_T7_T9_mT8_P12ihipStream_tbDpT10_ENKUlT_T0_E_clISt17integral_constantIbLb0EES19_EEDaS14_S15_EUlS14_E_NS1_11comp_targetILNS1_3genE8ELNS1_11target_archE1030ELNS1_3gpuE2ELNS1_3repE0EEENS1_30default_config_static_selectorELNS0_4arch9wavefront6targetE1EEEvT1_ ; -- Begin function _ZN7rocprim17ROCPRIM_400000_NS6detail17trampoline_kernelINS0_14default_configENS1_25partition_config_selectorILNS1_17partition_subalgoE0EiNS0_10empty_typeEbEEZZNS1_14partition_implILS5_0ELb0ES3_jN6thrust23THRUST_200600_302600_NS6detail15normal_iteratorINSA_10device_ptrIiEEEEPS6_SG_NS0_5tupleIJNSA_16discard_iteratorINSA_11use_defaultEEESK_EEENSH_IJSG_SG_EEES6_PlJ7is_evenIiEEEE10hipError_tPvRmT3_T4_T5_T6_T7_T9_mT8_P12ihipStream_tbDpT10_ENKUlT_T0_E_clISt17integral_constantIbLb0EES19_EEDaS14_S15_EUlS14_E_NS1_11comp_targetILNS1_3genE8ELNS1_11target_archE1030ELNS1_3gpuE2ELNS1_3repE0EEENS1_30default_config_static_selectorELNS0_4arch9wavefront6targetE1EEEvT1_
	.globl	_ZN7rocprim17ROCPRIM_400000_NS6detail17trampoline_kernelINS0_14default_configENS1_25partition_config_selectorILNS1_17partition_subalgoE0EiNS0_10empty_typeEbEEZZNS1_14partition_implILS5_0ELb0ES3_jN6thrust23THRUST_200600_302600_NS6detail15normal_iteratorINSA_10device_ptrIiEEEEPS6_SG_NS0_5tupleIJNSA_16discard_iteratorINSA_11use_defaultEEESK_EEENSH_IJSG_SG_EEES6_PlJ7is_evenIiEEEE10hipError_tPvRmT3_T4_T5_T6_T7_T9_mT8_P12ihipStream_tbDpT10_ENKUlT_T0_E_clISt17integral_constantIbLb0EES19_EEDaS14_S15_EUlS14_E_NS1_11comp_targetILNS1_3genE8ELNS1_11target_archE1030ELNS1_3gpuE2ELNS1_3repE0EEENS1_30default_config_static_selectorELNS0_4arch9wavefront6targetE1EEEvT1_
	.p2align	8
	.type	_ZN7rocprim17ROCPRIM_400000_NS6detail17trampoline_kernelINS0_14default_configENS1_25partition_config_selectorILNS1_17partition_subalgoE0EiNS0_10empty_typeEbEEZZNS1_14partition_implILS5_0ELb0ES3_jN6thrust23THRUST_200600_302600_NS6detail15normal_iteratorINSA_10device_ptrIiEEEEPS6_SG_NS0_5tupleIJNSA_16discard_iteratorINSA_11use_defaultEEESK_EEENSH_IJSG_SG_EEES6_PlJ7is_evenIiEEEE10hipError_tPvRmT3_T4_T5_T6_T7_T9_mT8_P12ihipStream_tbDpT10_ENKUlT_T0_E_clISt17integral_constantIbLb0EES19_EEDaS14_S15_EUlS14_E_NS1_11comp_targetILNS1_3genE8ELNS1_11target_archE1030ELNS1_3gpuE2ELNS1_3repE0EEENS1_30default_config_static_selectorELNS0_4arch9wavefront6targetE1EEEvT1_,@function
_ZN7rocprim17ROCPRIM_400000_NS6detail17trampoline_kernelINS0_14default_configENS1_25partition_config_selectorILNS1_17partition_subalgoE0EiNS0_10empty_typeEbEEZZNS1_14partition_implILS5_0ELb0ES3_jN6thrust23THRUST_200600_302600_NS6detail15normal_iteratorINSA_10device_ptrIiEEEEPS6_SG_NS0_5tupleIJNSA_16discard_iteratorINSA_11use_defaultEEESK_EEENSH_IJSG_SG_EEES6_PlJ7is_evenIiEEEE10hipError_tPvRmT3_T4_T5_T6_T7_T9_mT8_P12ihipStream_tbDpT10_ENKUlT_T0_E_clISt17integral_constantIbLb0EES19_EEDaS14_S15_EUlS14_E_NS1_11comp_targetILNS1_3genE8ELNS1_11target_archE1030ELNS1_3gpuE2ELNS1_3repE0EEENS1_30default_config_static_selectorELNS0_4arch9wavefront6targetE1EEEvT1_: ; @_ZN7rocprim17ROCPRIM_400000_NS6detail17trampoline_kernelINS0_14default_configENS1_25partition_config_selectorILNS1_17partition_subalgoE0EiNS0_10empty_typeEbEEZZNS1_14partition_implILS5_0ELb0ES3_jN6thrust23THRUST_200600_302600_NS6detail15normal_iteratorINSA_10device_ptrIiEEEEPS6_SG_NS0_5tupleIJNSA_16discard_iteratorINSA_11use_defaultEEESK_EEENSH_IJSG_SG_EEES6_PlJ7is_evenIiEEEE10hipError_tPvRmT3_T4_T5_T6_T7_T9_mT8_P12ihipStream_tbDpT10_ENKUlT_T0_E_clISt17integral_constantIbLb0EES19_EEDaS14_S15_EUlS14_E_NS1_11comp_targetILNS1_3genE8ELNS1_11target_archE1030ELNS1_3gpuE2ELNS1_3repE0EEENS1_30default_config_static_selectorELNS0_4arch9wavefront6targetE1EEEvT1_
; %bb.0:
	.section	.rodata,"a",@progbits
	.p2align	6, 0x0
	.amdhsa_kernel _ZN7rocprim17ROCPRIM_400000_NS6detail17trampoline_kernelINS0_14default_configENS1_25partition_config_selectorILNS1_17partition_subalgoE0EiNS0_10empty_typeEbEEZZNS1_14partition_implILS5_0ELb0ES3_jN6thrust23THRUST_200600_302600_NS6detail15normal_iteratorINSA_10device_ptrIiEEEEPS6_SG_NS0_5tupleIJNSA_16discard_iteratorINSA_11use_defaultEEESK_EEENSH_IJSG_SG_EEES6_PlJ7is_evenIiEEEE10hipError_tPvRmT3_T4_T5_T6_T7_T9_mT8_P12ihipStream_tbDpT10_ENKUlT_T0_E_clISt17integral_constantIbLb0EES19_EEDaS14_S15_EUlS14_E_NS1_11comp_targetILNS1_3genE8ELNS1_11target_archE1030ELNS1_3gpuE2ELNS1_3repE0EEENS1_30default_config_static_selectorELNS0_4arch9wavefront6targetE1EEEvT1_
		.amdhsa_group_segment_fixed_size 0
		.amdhsa_private_segment_fixed_size 0
		.amdhsa_kernarg_size 136
		.amdhsa_user_sgpr_count 6
		.amdhsa_user_sgpr_private_segment_buffer 1
		.amdhsa_user_sgpr_dispatch_ptr 0
		.amdhsa_user_sgpr_queue_ptr 0
		.amdhsa_user_sgpr_kernarg_segment_ptr 1
		.amdhsa_user_sgpr_dispatch_id 0
		.amdhsa_user_sgpr_flat_scratch_init 0
		.amdhsa_user_sgpr_kernarg_preload_length 0
		.amdhsa_user_sgpr_kernarg_preload_offset 0
		.amdhsa_user_sgpr_private_segment_size 0
		.amdhsa_uses_dynamic_stack 0
		.amdhsa_system_sgpr_private_segment_wavefront_offset 0
		.amdhsa_system_sgpr_workgroup_id_x 1
		.amdhsa_system_sgpr_workgroup_id_y 0
		.amdhsa_system_sgpr_workgroup_id_z 0
		.amdhsa_system_sgpr_workgroup_info 0
		.amdhsa_system_vgpr_workitem_id 0
		.amdhsa_next_free_vgpr 1
		.amdhsa_next_free_sgpr 0
		.amdhsa_accum_offset 4
		.amdhsa_reserve_vcc 0
		.amdhsa_reserve_flat_scratch 0
		.amdhsa_float_round_mode_32 0
		.amdhsa_float_round_mode_16_64 0
		.amdhsa_float_denorm_mode_32 3
		.amdhsa_float_denorm_mode_16_64 3
		.amdhsa_dx10_clamp 1
		.amdhsa_ieee_mode 1
		.amdhsa_fp16_overflow 0
		.amdhsa_tg_split 0
		.amdhsa_exception_fp_ieee_invalid_op 0
		.amdhsa_exception_fp_denorm_src 0
		.amdhsa_exception_fp_ieee_div_zero 0
		.amdhsa_exception_fp_ieee_overflow 0
		.amdhsa_exception_fp_ieee_underflow 0
		.amdhsa_exception_fp_ieee_inexact 0
		.amdhsa_exception_int_div_zero 0
	.end_amdhsa_kernel
	.section	.text._ZN7rocprim17ROCPRIM_400000_NS6detail17trampoline_kernelINS0_14default_configENS1_25partition_config_selectorILNS1_17partition_subalgoE0EiNS0_10empty_typeEbEEZZNS1_14partition_implILS5_0ELb0ES3_jN6thrust23THRUST_200600_302600_NS6detail15normal_iteratorINSA_10device_ptrIiEEEEPS6_SG_NS0_5tupleIJNSA_16discard_iteratorINSA_11use_defaultEEESK_EEENSH_IJSG_SG_EEES6_PlJ7is_evenIiEEEE10hipError_tPvRmT3_T4_T5_T6_T7_T9_mT8_P12ihipStream_tbDpT10_ENKUlT_T0_E_clISt17integral_constantIbLb0EES19_EEDaS14_S15_EUlS14_E_NS1_11comp_targetILNS1_3genE8ELNS1_11target_archE1030ELNS1_3gpuE2ELNS1_3repE0EEENS1_30default_config_static_selectorELNS0_4arch9wavefront6targetE1EEEvT1_,"axG",@progbits,_ZN7rocprim17ROCPRIM_400000_NS6detail17trampoline_kernelINS0_14default_configENS1_25partition_config_selectorILNS1_17partition_subalgoE0EiNS0_10empty_typeEbEEZZNS1_14partition_implILS5_0ELb0ES3_jN6thrust23THRUST_200600_302600_NS6detail15normal_iteratorINSA_10device_ptrIiEEEEPS6_SG_NS0_5tupleIJNSA_16discard_iteratorINSA_11use_defaultEEESK_EEENSH_IJSG_SG_EEES6_PlJ7is_evenIiEEEE10hipError_tPvRmT3_T4_T5_T6_T7_T9_mT8_P12ihipStream_tbDpT10_ENKUlT_T0_E_clISt17integral_constantIbLb0EES19_EEDaS14_S15_EUlS14_E_NS1_11comp_targetILNS1_3genE8ELNS1_11target_archE1030ELNS1_3gpuE2ELNS1_3repE0EEENS1_30default_config_static_selectorELNS0_4arch9wavefront6targetE1EEEvT1_,comdat
.Lfunc_end2690:
	.size	_ZN7rocprim17ROCPRIM_400000_NS6detail17trampoline_kernelINS0_14default_configENS1_25partition_config_selectorILNS1_17partition_subalgoE0EiNS0_10empty_typeEbEEZZNS1_14partition_implILS5_0ELb0ES3_jN6thrust23THRUST_200600_302600_NS6detail15normal_iteratorINSA_10device_ptrIiEEEEPS6_SG_NS0_5tupleIJNSA_16discard_iteratorINSA_11use_defaultEEESK_EEENSH_IJSG_SG_EEES6_PlJ7is_evenIiEEEE10hipError_tPvRmT3_T4_T5_T6_T7_T9_mT8_P12ihipStream_tbDpT10_ENKUlT_T0_E_clISt17integral_constantIbLb0EES19_EEDaS14_S15_EUlS14_E_NS1_11comp_targetILNS1_3genE8ELNS1_11target_archE1030ELNS1_3gpuE2ELNS1_3repE0EEENS1_30default_config_static_selectorELNS0_4arch9wavefront6targetE1EEEvT1_, .Lfunc_end2690-_ZN7rocprim17ROCPRIM_400000_NS6detail17trampoline_kernelINS0_14default_configENS1_25partition_config_selectorILNS1_17partition_subalgoE0EiNS0_10empty_typeEbEEZZNS1_14partition_implILS5_0ELb0ES3_jN6thrust23THRUST_200600_302600_NS6detail15normal_iteratorINSA_10device_ptrIiEEEEPS6_SG_NS0_5tupleIJNSA_16discard_iteratorINSA_11use_defaultEEESK_EEENSH_IJSG_SG_EEES6_PlJ7is_evenIiEEEE10hipError_tPvRmT3_T4_T5_T6_T7_T9_mT8_P12ihipStream_tbDpT10_ENKUlT_T0_E_clISt17integral_constantIbLb0EES19_EEDaS14_S15_EUlS14_E_NS1_11comp_targetILNS1_3genE8ELNS1_11target_archE1030ELNS1_3gpuE2ELNS1_3repE0EEENS1_30default_config_static_selectorELNS0_4arch9wavefront6targetE1EEEvT1_
                                        ; -- End function
	.section	.AMDGPU.csdata,"",@progbits
; Kernel info:
; codeLenInByte = 0
; NumSgprs: 4
; NumVgprs: 0
; NumAgprs: 0
; TotalNumVgprs: 0
; ScratchSize: 0
; MemoryBound: 0
; FloatMode: 240
; IeeeMode: 1
; LDSByteSize: 0 bytes/workgroup (compile time only)
; SGPRBlocks: 0
; VGPRBlocks: 0
; NumSGPRsForWavesPerEU: 4
; NumVGPRsForWavesPerEU: 1
; AccumOffset: 4
; Occupancy: 8
; WaveLimiterHint : 0
; COMPUTE_PGM_RSRC2:SCRATCH_EN: 0
; COMPUTE_PGM_RSRC2:USER_SGPR: 6
; COMPUTE_PGM_RSRC2:TRAP_HANDLER: 0
; COMPUTE_PGM_RSRC2:TGID_X_EN: 1
; COMPUTE_PGM_RSRC2:TGID_Y_EN: 0
; COMPUTE_PGM_RSRC2:TGID_Z_EN: 0
; COMPUTE_PGM_RSRC2:TIDIG_COMP_CNT: 0
; COMPUTE_PGM_RSRC3_GFX90A:ACCUM_OFFSET: 0
; COMPUTE_PGM_RSRC3_GFX90A:TG_SPLIT: 0
	.section	.text._ZN7rocprim17ROCPRIM_400000_NS6detail17trampoline_kernelINS0_14default_configENS1_25partition_config_selectorILNS1_17partition_subalgoE0EiNS0_10empty_typeEbEEZZNS1_14partition_implILS5_0ELb0ES3_jN6thrust23THRUST_200600_302600_NS6detail15normal_iteratorINSA_10device_ptrIiEEEEPS6_SG_NS0_5tupleIJNSA_16discard_iteratorINSA_11use_defaultEEESK_EEENSH_IJSG_SG_EEES6_PlJ7is_evenIiEEEE10hipError_tPvRmT3_T4_T5_T6_T7_T9_mT8_P12ihipStream_tbDpT10_ENKUlT_T0_E_clISt17integral_constantIbLb1EES19_EEDaS14_S15_EUlS14_E_NS1_11comp_targetILNS1_3genE0ELNS1_11target_archE4294967295ELNS1_3gpuE0ELNS1_3repE0EEENS1_30default_config_static_selectorELNS0_4arch9wavefront6targetE1EEEvT1_,"axG",@progbits,_ZN7rocprim17ROCPRIM_400000_NS6detail17trampoline_kernelINS0_14default_configENS1_25partition_config_selectorILNS1_17partition_subalgoE0EiNS0_10empty_typeEbEEZZNS1_14partition_implILS5_0ELb0ES3_jN6thrust23THRUST_200600_302600_NS6detail15normal_iteratorINSA_10device_ptrIiEEEEPS6_SG_NS0_5tupleIJNSA_16discard_iteratorINSA_11use_defaultEEESK_EEENSH_IJSG_SG_EEES6_PlJ7is_evenIiEEEE10hipError_tPvRmT3_T4_T5_T6_T7_T9_mT8_P12ihipStream_tbDpT10_ENKUlT_T0_E_clISt17integral_constantIbLb1EES19_EEDaS14_S15_EUlS14_E_NS1_11comp_targetILNS1_3genE0ELNS1_11target_archE4294967295ELNS1_3gpuE0ELNS1_3repE0EEENS1_30default_config_static_selectorELNS0_4arch9wavefront6targetE1EEEvT1_,comdat
	.protected	_ZN7rocprim17ROCPRIM_400000_NS6detail17trampoline_kernelINS0_14default_configENS1_25partition_config_selectorILNS1_17partition_subalgoE0EiNS0_10empty_typeEbEEZZNS1_14partition_implILS5_0ELb0ES3_jN6thrust23THRUST_200600_302600_NS6detail15normal_iteratorINSA_10device_ptrIiEEEEPS6_SG_NS0_5tupleIJNSA_16discard_iteratorINSA_11use_defaultEEESK_EEENSH_IJSG_SG_EEES6_PlJ7is_evenIiEEEE10hipError_tPvRmT3_T4_T5_T6_T7_T9_mT8_P12ihipStream_tbDpT10_ENKUlT_T0_E_clISt17integral_constantIbLb1EES19_EEDaS14_S15_EUlS14_E_NS1_11comp_targetILNS1_3genE0ELNS1_11target_archE4294967295ELNS1_3gpuE0ELNS1_3repE0EEENS1_30default_config_static_selectorELNS0_4arch9wavefront6targetE1EEEvT1_ ; -- Begin function _ZN7rocprim17ROCPRIM_400000_NS6detail17trampoline_kernelINS0_14default_configENS1_25partition_config_selectorILNS1_17partition_subalgoE0EiNS0_10empty_typeEbEEZZNS1_14partition_implILS5_0ELb0ES3_jN6thrust23THRUST_200600_302600_NS6detail15normal_iteratorINSA_10device_ptrIiEEEEPS6_SG_NS0_5tupleIJNSA_16discard_iteratorINSA_11use_defaultEEESK_EEENSH_IJSG_SG_EEES6_PlJ7is_evenIiEEEE10hipError_tPvRmT3_T4_T5_T6_T7_T9_mT8_P12ihipStream_tbDpT10_ENKUlT_T0_E_clISt17integral_constantIbLb1EES19_EEDaS14_S15_EUlS14_E_NS1_11comp_targetILNS1_3genE0ELNS1_11target_archE4294967295ELNS1_3gpuE0ELNS1_3repE0EEENS1_30default_config_static_selectorELNS0_4arch9wavefront6targetE1EEEvT1_
	.globl	_ZN7rocprim17ROCPRIM_400000_NS6detail17trampoline_kernelINS0_14default_configENS1_25partition_config_selectorILNS1_17partition_subalgoE0EiNS0_10empty_typeEbEEZZNS1_14partition_implILS5_0ELb0ES3_jN6thrust23THRUST_200600_302600_NS6detail15normal_iteratorINSA_10device_ptrIiEEEEPS6_SG_NS0_5tupleIJNSA_16discard_iteratorINSA_11use_defaultEEESK_EEENSH_IJSG_SG_EEES6_PlJ7is_evenIiEEEE10hipError_tPvRmT3_T4_T5_T6_T7_T9_mT8_P12ihipStream_tbDpT10_ENKUlT_T0_E_clISt17integral_constantIbLb1EES19_EEDaS14_S15_EUlS14_E_NS1_11comp_targetILNS1_3genE0ELNS1_11target_archE4294967295ELNS1_3gpuE0ELNS1_3repE0EEENS1_30default_config_static_selectorELNS0_4arch9wavefront6targetE1EEEvT1_
	.p2align	8
	.type	_ZN7rocprim17ROCPRIM_400000_NS6detail17trampoline_kernelINS0_14default_configENS1_25partition_config_selectorILNS1_17partition_subalgoE0EiNS0_10empty_typeEbEEZZNS1_14partition_implILS5_0ELb0ES3_jN6thrust23THRUST_200600_302600_NS6detail15normal_iteratorINSA_10device_ptrIiEEEEPS6_SG_NS0_5tupleIJNSA_16discard_iteratorINSA_11use_defaultEEESK_EEENSH_IJSG_SG_EEES6_PlJ7is_evenIiEEEE10hipError_tPvRmT3_T4_T5_T6_T7_T9_mT8_P12ihipStream_tbDpT10_ENKUlT_T0_E_clISt17integral_constantIbLb1EES19_EEDaS14_S15_EUlS14_E_NS1_11comp_targetILNS1_3genE0ELNS1_11target_archE4294967295ELNS1_3gpuE0ELNS1_3repE0EEENS1_30default_config_static_selectorELNS0_4arch9wavefront6targetE1EEEvT1_,@function
_ZN7rocprim17ROCPRIM_400000_NS6detail17trampoline_kernelINS0_14default_configENS1_25partition_config_selectorILNS1_17partition_subalgoE0EiNS0_10empty_typeEbEEZZNS1_14partition_implILS5_0ELb0ES3_jN6thrust23THRUST_200600_302600_NS6detail15normal_iteratorINSA_10device_ptrIiEEEEPS6_SG_NS0_5tupleIJNSA_16discard_iteratorINSA_11use_defaultEEESK_EEENSH_IJSG_SG_EEES6_PlJ7is_evenIiEEEE10hipError_tPvRmT3_T4_T5_T6_T7_T9_mT8_P12ihipStream_tbDpT10_ENKUlT_T0_E_clISt17integral_constantIbLb1EES19_EEDaS14_S15_EUlS14_E_NS1_11comp_targetILNS1_3genE0ELNS1_11target_archE4294967295ELNS1_3gpuE0ELNS1_3repE0EEENS1_30default_config_static_selectorELNS0_4arch9wavefront6targetE1EEEvT1_: ; @_ZN7rocprim17ROCPRIM_400000_NS6detail17trampoline_kernelINS0_14default_configENS1_25partition_config_selectorILNS1_17partition_subalgoE0EiNS0_10empty_typeEbEEZZNS1_14partition_implILS5_0ELb0ES3_jN6thrust23THRUST_200600_302600_NS6detail15normal_iteratorINSA_10device_ptrIiEEEEPS6_SG_NS0_5tupleIJNSA_16discard_iteratorINSA_11use_defaultEEESK_EEENSH_IJSG_SG_EEES6_PlJ7is_evenIiEEEE10hipError_tPvRmT3_T4_T5_T6_T7_T9_mT8_P12ihipStream_tbDpT10_ENKUlT_T0_E_clISt17integral_constantIbLb1EES19_EEDaS14_S15_EUlS14_E_NS1_11comp_targetILNS1_3genE0ELNS1_11target_archE4294967295ELNS1_3gpuE0ELNS1_3repE0EEENS1_30default_config_static_selectorELNS0_4arch9wavefront6targetE1EEEvT1_
; %bb.0:
	.section	.rodata,"a",@progbits
	.p2align	6, 0x0
	.amdhsa_kernel _ZN7rocprim17ROCPRIM_400000_NS6detail17trampoline_kernelINS0_14default_configENS1_25partition_config_selectorILNS1_17partition_subalgoE0EiNS0_10empty_typeEbEEZZNS1_14partition_implILS5_0ELb0ES3_jN6thrust23THRUST_200600_302600_NS6detail15normal_iteratorINSA_10device_ptrIiEEEEPS6_SG_NS0_5tupleIJNSA_16discard_iteratorINSA_11use_defaultEEESK_EEENSH_IJSG_SG_EEES6_PlJ7is_evenIiEEEE10hipError_tPvRmT3_T4_T5_T6_T7_T9_mT8_P12ihipStream_tbDpT10_ENKUlT_T0_E_clISt17integral_constantIbLb1EES19_EEDaS14_S15_EUlS14_E_NS1_11comp_targetILNS1_3genE0ELNS1_11target_archE4294967295ELNS1_3gpuE0ELNS1_3repE0EEENS1_30default_config_static_selectorELNS0_4arch9wavefront6targetE1EEEvT1_
		.amdhsa_group_segment_fixed_size 0
		.amdhsa_private_segment_fixed_size 0
		.amdhsa_kernarg_size 152
		.amdhsa_user_sgpr_count 6
		.amdhsa_user_sgpr_private_segment_buffer 1
		.amdhsa_user_sgpr_dispatch_ptr 0
		.amdhsa_user_sgpr_queue_ptr 0
		.amdhsa_user_sgpr_kernarg_segment_ptr 1
		.amdhsa_user_sgpr_dispatch_id 0
		.amdhsa_user_sgpr_flat_scratch_init 0
		.amdhsa_user_sgpr_kernarg_preload_length 0
		.amdhsa_user_sgpr_kernarg_preload_offset 0
		.amdhsa_user_sgpr_private_segment_size 0
		.amdhsa_uses_dynamic_stack 0
		.amdhsa_system_sgpr_private_segment_wavefront_offset 0
		.amdhsa_system_sgpr_workgroup_id_x 1
		.amdhsa_system_sgpr_workgroup_id_y 0
		.amdhsa_system_sgpr_workgroup_id_z 0
		.amdhsa_system_sgpr_workgroup_info 0
		.amdhsa_system_vgpr_workitem_id 0
		.amdhsa_next_free_vgpr 1
		.amdhsa_next_free_sgpr 0
		.amdhsa_accum_offset 4
		.amdhsa_reserve_vcc 0
		.amdhsa_reserve_flat_scratch 0
		.amdhsa_float_round_mode_32 0
		.amdhsa_float_round_mode_16_64 0
		.amdhsa_float_denorm_mode_32 3
		.amdhsa_float_denorm_mode_16_64 3
		.amdhsa_dx10_clamp 1
		.amdhsa_ieee_mode 1
		.amdhsa_fp16_overflow 0
		.amdhsa_tg_split 0
		.amdhsa_exception_fp_ieee_invalid_op 0
		.amdhsa_exception_fp_denorm_src 0
		.amdhsa_exception_fp_ieee_div_zero 0
		.amdhsa_exception_fp_ieee_overflow 0
		.amdhsa_exception_fp_ieee_underflow 0
		.amdhsa_exception_fp_ieee_inexact 0
		.amdhsa_exception_int_div_zero 0
	.end_amdhsa_kernel
	.section	.text._ZN7rocprim17ROCPRIM_400000_NS6detail17trampoline_kernelINS0_14default_configENS1_25partition_config_selectorILNS1_17partition_subalgoE0EiNS0_10empty_typeEbEEZZNS1_14partition_implILS5_0ELb0ES3_jN6thrust23THRUST_200600_302600_NS6detail15normal_iteratorINSA_10device_ptrIiEEEEPS6_SG_NS0_5tupleIJNSA_16discard_iteratorINSA_11use_defaultEEESK_EEENSH_IJSG_SG_EEES6_PlJ7is_evenIiEEEE10hipError_tPvRmT3_T4_T5_T6_T7_T9_mT8_P12ihipStream_tbDpT10_ENKUlT_T0_E_clISt17integral_constantIbLb1EES19_EEDaS14_S15_EUlS14_E_NS1_11comp_targetILNS1_3genE0ELNS1_11target_archE4294967295ELNS1_3gpuE0ELNS1_3repE0EEENS1_30default_config_static_selectorELNS0_4arch9wavefront6targetE1EEEvT1_,"axG",@progbits,_ZN7rocprim17ROCPRIM_400000_NS6detail17trampoline_kernelINS0_14default_configENS1_25partition_config_selectorILNS1_17partition_subalgoE0EiNS0_10empty_typeEbEEZZNS1_14partition_implILS5_0ELb0ES3_jN6thrust23THRUST_200600_302600_NS6detail15normal_iteratorINSA_10device_ptrIiEEEEPS6_SG_NS0_5tupleIJNSA_16discard_iteratorINSA_11use_defaultEEESK_EEENSH_IJSG_SG_EEES6_PlJ7is_evenIiEEEE10hipError_tPvRmT3_T4_T5_T6_T7_T9_mT8_P12ihipStream_tbDpT10_ENKUlT_T0_E_clISt17integral_constantIbLb1EES19_EEDaS14_S15_EUlS14_E_NS1_11comp_targetILNS1_3genE0ELNS1_11target_archE4294967295ELNS1_3gpuE0ELNS1_3repE0EEENS1_30default_config_static_selectorELNS0_4arch9wavefront6targetE1EEEvT1_,comdat
.Lfunc_end2691:
	.size	_ZN7rocprim17ROCPRIM_400000_NS6detail17trampoline_kernelINS0_14default_configENS1_25partition_config_selectorILNS1_17partition_subalgoE0EiNS0_10empty_typeEbEEZZNS1_14partition_implILS5_0ELb0ES3_jN6thrust23THRUST_200600_302600_NS6detail15normal_iteratorINSA_10device_ptrIiEEEEPS6_SG_NS0_5tupleIJNSA_16discard_iteratorINSA_11use_defaultEEESK_EEENSH_IJSG_SG_EEES6_PlJ7is_evenIiEEEE10hipError_tPvRmT3_T4_T5_T6_T7_T9_mT8_P12ihipStream_tbDpT10_ENKUlT_T0_E_clISt17integral_constantIbLb1EES19_EEDaS14_S15_EUlS14_E_NS1_11comp_targetILNS1_3genE0ELNS1_11target_archE4294967295ELNS1_3gpuE0ELNS1_3repE0EEENS1_30default_config_static_selectorELNS0_4arch9wavefront6targetE1EEEvT1_, .Lfunc_end2691-_ZN7rocprim17ROCPRIM_400000_NS6detail17trampoline_kernelINS0_14default_configENS1_25partition_config_selectorILNS1_17partition_subalgoE0EiNS0_10empty_typeEbEEZZNS1_14partition_implILS5_0ELb0ES3_jN6thrust23THRUST_200600_302600_NS6detail15normal_iteratorINSA_10device_ptrIiEEEEPS6_SG_NS0_5tupleIJNSA_16discard_iteratorINSA_11use_defaultEEESK_EEENSH_IJSG_SG_EEES6_PlJ7is_evenIiEEEE10hipError_tPvRmT3_T4_T5_T6_T7_T9_mT8_P12ihipStream_tbDpT10_ENKUlT_T0_E_clISt17integral_constantIbLb1EES19_EEDaS14_S15_EUlS14_E_NS1_11comp_targetILNS1_3genE0ELNS1_11target_archE4294967295ELNS1_3gpuE0ELNS1_3repE0EEENS1_30default_config_static_selectorELNS0_4arch9wavefront6targetE1EEEvT1_
                                        ; -- End function
	.section	.AMDGPU.csdata,"",@progbits
; Kernel info:
; codeLenInByte = 0
; NumSgprs: 4
; NumVgprs: 0
; NumAgprs: 0
; TotalNumVgprs: 0
; ScratchSize: 0
; MemoryBound: 0
; FloatMode: 240
; IeeeMode: 1
; LDSByteSize: 0 bytes/workgroup (compile time only)
; SGPRBlocks: 0
; VGPRBlocks: 0
; NumSGPRsForWavesPerEU: 4
; NumVGPRsForWavesPerEU: 1
; AccumOffset: 4
; Occupancy: 8
; WaveLimiterHint : 0
; COMPUTE_PGM_RSRC2:SCRATCH_EN: 0
; COMPUTE_PGM_RSRC2:USER_SGPR: 6
; COMPUTE_PGM_RSRC2:TRAP_HANDLER: 0
; COMPUTE_PGM_RSRC2:TGID_X_EN: 1
; COMPUTE_PGM_RSRC2:TGID_Y_EN: 0
; COMPUTE_PGM_RSRC2:TGID_Z_EN: 0
; COMPUTE_PGM_RSRC2:TIDIG_COMP_CNT: 0
; COMPUTE_PGM_RSRC3_GFX90A:ACCUM_OFFSET: 0
; COMPUTE_PGM_RSRC3_GFX90A:TG_SPLIT: 0
	.section	.text._ZN7rocprim17ROCPRIM_400000_NS6detail17trampoline_kernelINS0_14default_configENS1_25partition_config_selectorILNS1_17partition_subalgoE0EiNS0_10empty_typeEbEEZZNS1_14partition_implILS5_0ELb0ES3_jN6thrust23THRUST_200600_302600_NS6detail15normal_iteratorINSA_10device_ptrIiEEEEPS6_SG_NS0_5tupleIJNSA_16discard_iteratorINSA_11use_defaultEEESK_EEENSH_IJSG_SG_EEES6_PlJ7is_evenIiEEEE10hipError_tPvRmT3_T4_T5_T6_T7_T9_mT8_P12ihipStream_tbDpT10_ENKUlT_T0_E_clISt17integral_constantIbLb1EES19_EEDaS14_S15_EUlS14_E_NS1_11comp_targetILNS1_3genE5ELNS1_11target_archE942ELNS1_3gpuE9ELNS1_3repE0EEENS1_30default_config_static_selectorELNS0_4arch9wavefront6targetE1EEEvT1_,"axG",@progbits,_ZN7rocprim17ROCPRIM_400000_NS6detail17trampoline_kernelINS0_14default_configENS1_25partition_config_selectorILNS1_17partition_subalgoE0EiNS0_10empty_typeEbEEZZNS1_14partition_implILS5_0ELb0ES3_jN6thrust23THRUST_200600_302600_NS6detail15normal_iteratorINSA_10device_ptrIiEEEEPS6_SG_NS0_5tupleIJNSA_16discard_iteratorINSA_11use_defaultEEESK_EEENSH_IJSG_SG_EEES6_PlJ7is_evenIiEEEE10hipError_tPvRmT3_T4_T5_T6_T7_T9_mT8_P12ihipStream_tbDpT10_ENKUlT_T0_E_clISt17integral_constantIbLb1EES19_EEDaS14_S15_EUlS14_E_NS1_11comp_targetILNS1_3genE5ELNS1_11target_archE942ELNS1_3gpuE9ELNS1_3repE0EEENS1_30default_config_static_selectorELNS0_4arch9wavefront6targetE1EEEvT1_,comdat
	.protected	_ZN7rocprim17ROCPRIM_400000_NS6detail17trampoline_kernelINS0_14default_configENS1_25partition_config_selectorILNS1_17partition_subalgoE0EiNS0_10empty_typeEbEEZZNS1_14partition_implILS5_0ELb0ES3_jN6thrust23THRUST_200600_302600_NS6detail15normal_iteratorINSA_10device_ptrIiEEEEPS6_SG_NS0_5tupleIJNSA_16discard_iteratorINSA_11use_defaultEEESK_EEENSH_IJSG_SG_EEES6_PlJ7is_evenIiEEEE10hipError_tPvRmT3_T4_T5_T6_T7_T9_mT8_P12ihipStream_tbDpT10_ENKUlT_T0_E_clISt17integral_constantIbLb1EES19_EEDaS14_S15_EUlS14_E_NS1_11comp_targetILNS1_3genE5ELNS1_11target_archE942ELNS1_3gpuE9ELNS1_3repE0EEENS1_30default_config_static_selectorELNS0_4arch9wavefront6targetE1EEEvT1_ ; -- Begin function _ZN7rocprim17ROCPRIM_400000_NS6detail17trampoline_kernelINS0_14default_configENS1_25partition_config_selectorILNS1_17partition_subalgoE0EiNS0_10empty_typeEbEEZZNS1_14partition_implILS5_0ELb0ES3_jN6thrust23THRUST_200600_302600_NS6detail15normal_iteratorINSA_10device_ptrIiEEEEPS6_SG_NS0_5tupleIJNSA_16discard_iteratorINSA_11use_defaultEEESK_EEENSH_IJSG_SG_EEES6_PlJ7is_evenIiEEEE10hipError_tPvRmT3_T4_T5_T6_T7_T9_mT8_P12ihipStream_tbDpT10_ENKUlT_T0_E_clISt17integral_constantIbLb1EES19_EEDaS14_S15_EUlS14_E_NS1_11comp_targetILNS1_3genE5ELNS1_11target_archE942ELNS1_3gpuE9ELNS1_3repE0EEENS1_30default_config_static_selectorELNS0_4arch9wavefront6targetE1EEEvT1_
	.globl	_ZN7rocprim17ROCPRIM_400000_NS6detail17trampoline_kernelINS0_14default_configENS1_25partition_config_selectorILNS1_17partition_subalgoE0EiNS0_10empty_typeEbEEZZNS1_14partition_implILS5_0ELb0ES3_jN6thrust23THRUST_200600_302600_NS6detail15normal_iteratorINSA_10device_ptrIiEEEEPS6_SG_NS0_5tupleIJNSA_16discard_iteratorINSA_11use_defaultEEESK_EEENSH_IJSG_SG_EEES6_PlJ7is_evenIiEEEE10hipError_tPvRmT3_T4_T5_T6_T7_T9_mT8_P12ihipStream_tbDpT10_ENKUlT_T0_E_clISt17integral_constantIbLb1EES19_EEDaS14_S15_EUlS14_E_NS1_11comp_targetILNS1_3genE5ELNS1_11target_archE942ELNS1_3gpuE9ELNS1_3repE0EEENS1_30default_config_static_selectorELNS0_4arch9wavefront6targetE1EEEvT1_
	.p2align	8
	.type	_ZN7rocprim17ROCPRIM_400000_NS6detail17trampoline_kernelINS0_14default_configENS1_25partition_config_selectorILNS1_17partition_subalgoE0EiNS0_10empty_typeEbEEZZNS1_14partition_implILS5_0ELb0ES3_jN6thrust23THRUST_200600_302600_NS6detail15normal_iteratorINSA_10device_ptrIiEEEEPS6_SG_NS0_5tupleIJNSA_16discard_iteratorINSA_11use_defaultEEESK_EEENSH_IJSG_SG_EEES6_PlJ7is_evenIiEEEE10hipError_tPvRmT3_T4_T5_T6_T7_T9_mT8_P12ihipStream_tbDpT10_ENKUlT_T0_E_clISt17integral_constantIbLb1EES19_EEDaS14_S15_EUlS14_E_NS1_11comp_targetILNS1_3genE5ELNS1_11target_archE942ELNS1_3gpuE9ELNS1_3repE0EEENS1_30default_config_static_selectorELNS0_4arch9wavefront6targetE1EEEvT1_,@function
_ZN7rocprim17ROCPRIM_400000_NS6detail17trampoline_kernelINS0_14default_configENS1_25partition_config_selectorILNS1_17partition_subalgoE0EiNS0_10empty_typeEbEEZZNS1_14partition_implILS5_0ELb0ES3_jN6thrust23THRUST_200600_302600_NS6detail15normal_iteratorINSA_10device_ptrIiEEEEPS6_SG_NS0_5tupleIJNSA_16discard_iteratorINSA_11use_defaultEEESK_EEENSH_IJSG_SG_EEES6_PlJ7is_evenIiEEEE10hipError_tPvRmT3_T4_T5_T6_T7_T9_mT8_P12ihipStream_tbDpT10_ENKUlT_T0_E_clISt17integral_constantIbLb1EES19_EEDaS14_S15_EUlS14_E_NS1_11comp_targetILNS1_3genE5ELNS1_11target_archE942ELNS1_3gpuE9ELNS1_3repE0EEENS1_30default_config_static_selectorELNS0_4arch9wavefront6targetE1EEEvT1_: ; @_ZN7rocprim17ROCPRIM_400000_NS6detail17trampoline_kernelINS0_14default_configENS1_25partition_config_selectorILNS1_17partition_subalgoE0EiNS0_10empty_typeEbEEZZNS1_14partition_implILS5_0ELb0ES3_jN6thrust23THRUST_200600_302600_NS6detail15normal_iteratorINSA_10device_ptrIiEEEEPS6_SG_NS0_5tupleIJNSA_16discard_iteratorINSA_11use_defaultEEESK_EEENSH_IJSG_SG_EEES6_PlJ7is_evenIiEEEE10hipError_tPvRmT3_T4_T5_T6_T7_T9_mT8_P12ihipStream_tbDpT10_ENKUlT_T0_E_clISt17integral_constantIbLb1EES19_EEDaS14_S15_EUlS14_E_NS1_11comp_targetILNS1_3genE5ELNS1_11target_archE942ELNS1_3gpuE9ELNS1_3repE0EEENS1_30default_config_static_selectorELNS0_4arch9wavefront6targetE1EEEvT1_
; %bb.0:
	.section	.rodata,"a",@progbits
	.p2align	6, 0x0
	.amdhsa_kernel _ZN7rocprim17ROCPRIM_400000_NS6detail17trampoline_kernelINS0_14default_configENS1_25partition_config_selectorILNS1_17partition_subalgoE0EiNS0_10empty_typeEbEEZZNS1_14partition_implILS5_0ELb0ES3_jN6thrust23THRUST_200600_302600_NS6detail15normal_iteratorINSA_10device_ptrIiEEEEPS6_SG_NS0_5tupleIJNSA_16discard_iteratorINSA_11use_defaultEEESK_EEENSH_IJSG_SG_EEES6_PlJ7is_evenIiEEEE10hipError_tPvRmT3_T4_T5_T6_T7_T9_mT8_P12ihipStream_tbDpT10_ENKUlT_T0_E_clISt17integral_constantIbLb1EES19_EEDaS14_S15_EUlS14_E_NS1_11comp_targetILNS1_3genE5ELNS1_11target_archE942ELNS1_3gpuE9ELNS1_3repE0EEENS1_30default_config_static_selectorELNS0_4arch9wavefront6targetE1EEEvT1_
		.amdhsa_group_segment_fixed_size 0
		.amdhsa_private_segment_fixed_size 0
		.amdhsa_kernarg_size 152
		.amdhsa_user_sgpr_count 6
		.amdhsa_user_sgpr_private_segment_buffer 1
		.amdhsa_user_sgpr_dispatch_ptr 0
		.amdhsa_user_sgpr_queue_ptr 0
		.amdhsa_user_sgpr_kernarg_segment_ptr 1
		.amdhsa_user_sgpr_dispatch_id 0
		.amdhsa_user_sgpr_flat_scratch_init 0
		.amdhsa_user_sgpr_kernarg_preload_length 0
		.amdhsa_user_sgpr_kernarg_preload_offset 0
		.amdhsa_user_sgpr_private_segment_size 0
		.amdhsa_uses_dynamic_stack 0
		.amdhsa_system_sgpr_private_segment_wavefront_offset 0
		.amdhsa_system_sgpr_workgroup_id_x 1
		.amdhsa_system_sgpr_workgroup_id_y 0
		.amdhsa_system_sgpr_workgroup_id_z 0
		.amdhsa_system_sgpr_workgroup_info 0
		.amdhsa_system_vgpr_workitem_id 0
		.amdhsa_next_free_vgpr 1
		.amdhsa_next_free_sgpr 0
		.amdhsa_accum_offset 4
		.amdhsa_reserve_vcc 0
		.amdhsa_reserve_flat_scratch 0
		.amdhsa_float_round_mode_32 0
		.amdhsa_float_round_mode_16_64 0
		.amdhsa_float_denorm_mode_32 3
		.amdhsa_float_denorm_mode_16_64 3
		.amdhsa_dx10_clamp 1
		.amdhsa_ieee_mode 1
		.amdhsa_fp16_overflow 0
		.amdhsa_tg_split 0
		.amdhsa_exception_fp_ieee_invalid_op 0
		.amdhsa_exception_fp_denorm_src 0
		.amdhsa_exception_fp_ieee_div_zero 0
		.amdhsa_exception_fp_ieee_overflow 0
		.amdhsa_exception_fp_ieee_underflow 0
		.amdhsa_exception_fp_ieee_inexact 0
		.amdhsa_exception_int_div_zero 0
	.end_amdhsa_kernel
	.section	.text._ZN7rocprim17ROCPRIM_400000_NS6detail17trampoline_kernelINS0_14default_configENS1_25partition_config_selectorILNS1_17partition_subalgoE0EiNS0_10empty_typeEbEEZZNS1_14partition_implILS5_0ELb0ES3_jN6thrust23THRUST_200600_302600_NS6detail15normal_iteratorINSA_10device_ptrIiEEEEPS6_SG_NS0_5tupleIJNSA_16discard_iteratorINSA_11use_defaultEEESK_EEENSH_IJSG_SG_EEES6_PlJ7is_evenIiEEEE10hipError_tPvRmT3_T4_T5_T6_T7_T9_mT8_P12ihipStream_tbDpT10_ENKUlT_T0_E_clISt17integral_constantIbLb1EES19_EEDaS14_S15_EUlS14_E_NS1_11comp_targetILNS1_3genE5ELNS1_11target_archE942ELNS1_3gpuE9ELNS1_3repE0EEENS1_30default_config_static_selectorELNS0_4arch9wavefront6targetE1EEEvT1_,"axG",@progbits,_ZN7rocprim17ROCPRIM_400000_NS6detail17trampoline_kernelINS0_14default_configENS1_25partition_config_selectorILNS1_17partition_subalgoE0EiNS0_10empty_typeEbEEZZNS1_14partition_implILS5_0ELb0ES3_jN6thrust23THRUST_200600_302600_NS6detail15normal_iteratorINSA_10device_ptrIiEEEEPS6_SG_NS0_5tupleIJNSA_16discard_iteratorINSA_11use_defaultEEESK_EEENSH_IJSG_SG_EEES6_PlJ7is_evenIiEEEE10hipError_tPvRmT3_T4_T5_T6_T7_T9_mT8_P12ihipStream_tbDpT10_ENKUlT_T0_E_clISt17integral_constantIbLb1EES19_EEDaS14_S15_EUlS14_E_NS1_11comp_targetILNS1_3genE5ELNS1_11target_archE942ELNS1_3gpuE9ELNS1_3repE0EEENS1_30default_config_static_selectorELNS0_4arch9wavefront6targetE1EEEvT1_,comdat
.Lfunc_end2692:
	.size	_ZN7rocprim17ROCPRIM_400000_NS6detail17trampoline_kernelINS0_14default_configENS1_25partition_config_selectorILNS1_17partition_subalgoE0EiNS0_10empty_typeEbEEZZNS1_14partition_implILS5_0ELb0ES3_jN6thrust23THRUST_200600_302600_NS6detail15normal_iteratorINSA_10device_ptrIiEEEEPS6_SG_NS0_5tupleIJNSA_16discard_iteratorINSA_11use_defaultEEESK_EEENSH_IJSG_SG_EEES6_PlJ7is_evenIiEEEE10hipError_tPvRmT3_T4_T5_T6_T7_T9_mT8_P12ihipStream_tbDpT10_ENKUlT_T0_E_clISt17integral_constantIbLb1EES19_EEDaS14_S15_EUlS14_E_NS1_11comp_targetILNS1_3genE5ELNS1_11target_archE942ELNS1_3gpuE9ELNS1_3repE0EEENS1_30default_config_static_selectorELNS0_4arch9wavefront6targetE1EEEvT1_, .Lfunc_end2692-_ZN7rocprim17ROCPRIM_400000_NS6detail17trampoline_kernelINS0_14default_configENS1_25partition_config_selectorILNS1_17partition_subalgoE0EiNS0_10empty_typeEbEEZZNS1_14partition_implILS5_0ELb0ES3_jN6thrust23THRUST_200600_302600_NS6detail15normal_iteratorINSA_10device_ptrIiEEEEPS6_SG_NS0_5tupleIJNSA_16discard_iteratorINSA_11use_defaultEEESK_EEENSH_IJSG_SG_EEES6_PlJ7is_evenIiEEEE10hipError_tPvRmT3_T4_T5_T6_T7_T9_mT8_P12ihipStream_tbDpT10_ENKUlT_T0_E_clISt17integral_constantIbLb1EES19_EEDaS14_S15_EUlS14_E_NS1_11comp_targetILNS1_3genE5ELNS1_11target_archE942ELNS1_3gpuE9ELNS1_3repE0EEENS1_30default_config_static_selectorELNS0_4arch9wavefront6targetE1EEEvT1_
                                        ; -- End function
	.section	.AMDGPU.csdata,"",@progbits
; Kernel info:
; codeLenInByte = 0
; NumSgprs: 4
; NumVgprs: 0
; NumAgprs: 0
; TotalNumVgprs: 0
; ScratchSize: 0
; MemoryBound: 0
; FloatMode: 240
; IeeeMode: 1
; LDSByteSize: 0 bytes/workgroup (compile time only)
; SGPRBlocks: 0
; VGPRBlocks: 0
; NumSGPRsForWavesPerEU: 4
; NumVGPRsForWavesPerEU: 1
; AccumOffset: 4
; Occupancy: 8
; WaveLimiterHint : 0
; COMPUTE_PGM_RSRC2:SCRATCH_EN: 0
; COMPUTE_PGM_RSRC2:USER_SGPR: 6
; COMPUTE_PGM_RSRC2:TRAP_HANDLER: 0
; COMPUTE_PGM_RSRC2:TGID_X_EN: 1
; COMPUTE_PGM_RSRC2:TGID_Y_EN: 0
; COMPUTE_PGM_RSRC2:TGID_Z_EN: 0
; COMPUTE_PGM_RSRC2:TIDIG_COMP_CNT: 0
; COMPUTE_PGM_RSRC3_GFX90A:ACCUM_OFFSET: 0
; COMPUTE_PGM_RSRC3_GFX90A:TG_SPLIT: 0
	.section	.text._ZN7rocprim17ROCPRIM_400000_NS6detail17trampoline_kernelINS0_14default_configENS1_25partition_config_selectorILNS1_17partition_subalgoE0EiNS0_10empty_typeEbEEZZNS1_14partition_implILS5_0ELb0ES3_jN6thrust23THRUST_200600_302600_NS6detail15normal_iteratorINSA_10device_ptrIiEEEEPS6_SG_NS0_5tupleIJNSA_16discard_iteratorINSA_11use_defaultEEESK_EEENSH_IJSG_SG_EEES6_PlJ7is_evenIiEEEE10hipError_tPvRmT3_T4_T5_T6_T7_T9_mT8_P12ihipStream_tbDpT10_ENKUlT_T0_E_clISt17integral_constantIbLb1EES19_EEDaS14_S15_EUlS14_E_NS1_11comp_targetILNS1_3genE4ELNS1_11target_archE910ELNS1_3gpuE8ELNS1_3repE0EEENS1_30default_config_static_selectorELNS0_4arch9wavefront6targetE1EEEvT1_,"axG",@progbits,_ZN7rocprim17ROCPRIM_400000_NS6detail17trampoline_kernelINS0_14default_configENS1_25partition_config_selectorILNS1_17partition_subalgoE0EiNS0_10empty_typeEbEEZZNS1_14partition_implILS5_0ELb0ES3_jN6thrust23THRUST_200600_302600_NS6detail15normal_iteratorINSA_10device_ptrIiEEEEPS6_SG_NS0_5tupleIJNSA_16discard_iteratorINSA_11use_defaultEEESK_EEENSH_IJSG_SG_EEES6_PlJ7is_evenIiEEEE10hipError_tPvRmT3_T4_T5_T6_T7_T9_mT8_P12ihipStream_tbDpT10_ENKUlT_T0_E_clISt17integral_constantIbLb1EES19_EEDaS14_S15_EUlS14_E_NS1_11comp_targetILNS1_3genE4ELNS1_11target_archE910ELNS1_3gpuE8ELNS1_3repE0EEENS1_30default_config_static_selectorELNS0_4arch9wavefront6targetE1EEEvT1_,comdat
	.protected	_ZN7rocprim17ROCPRIM_400000_NS6detail17trampoline_kernelINS0_14default_configENS1_25partition_config_selectorILNS1_17partition_subalgoE0EiNS0_10empty_typeEbEEZZNS1_14partition_implILS5_0ELb0ES3_jN6thrust23THRUST_200600_302600_NS6detail15normal_iteratorINSA_10device_ptrIiEEEEPS6_SG_NS0_5tupleIJNSA_16discard_iteratorINSA_11use_defaultEEESK_EEENSH_IJSG_SG_EEES6_PlJ7is_evenIiEEEE10hipError_tPvRmT3_T4_T5_T6_T7_T9_mT8_P12ihipStream_tbDpT10_ENKUlT_T0_E_clISt17integral_constantIbLb1EES19_EEDaS14_S15_EUlS14_E_NS1_11comp_targetILNS1_3genE4ELNS1_11target_archE910ELNS1_3gpuE8ELNS1_3repE0EEENS1_30default_config_static_selectorELNS0_4arch9wavefront6targetE1EEEvT1_ ; -- Begin function _ZN7rocprim17ROCPRIM_400000_NS6detail17trampoline_kernelINS0_14default_configENS1_25partition_config_selectorILNS1_17partition_subalgoE0EiNS0_10empty_typeEbEEZZNS1_14partition_implILS5_0ELb0ES3_jN6thrust23THRUST_200600_302600_NS6detail15normal_iteratorINSA_10device_ptrIiEEEEPS6_SG_NS0_5tupleIJNSA_16discard_iteratorINSA_11use_defaultEEESK_EEENSH_IJSG_SG_EEES6_PlJ7is_evenIiEEEE10hipError_tPvRmT3_T4_T5_T6_T7_T9_mT8_P12ihipStream_tbDpT10_ENKUlT_T0_E_clISt17integral_constantIbLb1EES19_EEDaS14_S15_EUlS14_E_NS1_11comp_targetILNS1_3genE4ELNS1_11target_archE910ELNS1_3gpuE8ELNS1_3repE0EEENS1_30default_config_static_selectorELNS0_4arch9wavefront6targetE1EEEvT1_
	.globl	_ZN7rocprim17ROCPRIM_400000_NS6detail17trampoline_kernelINS0_14default_configENS1_25partition_config_selectorILNS1_17partition_subalgoE0EiNS0_10empty_typeEbEEZZNS1_14partition_implILS5_0ELb0ES3_jN6thrust23THRUST_200600_302600_NS6detail15normal_iteratorINSA_10device_ptrIiEEEEPS6_SG_NS0_5tupleIJNSA_16discard_iteratorINSA_11use_defaultEEESK_EEENSH_IJSG_SG_EEES6_PlJ7is_evenIiEEEE10hipError_tPvRmT3_T4_T5_T6_T7_T9_mT8_P12ihipStream_tbDpT10_ENKUlT_T0_E_clISt17integral_constantIbLb1EES19_EEDaS14_S15_EUlS14_E_NS1_11comp_targetILNS1_3genE4ELNS1_11target_archE910ELNS1_3gpuE8ELNS1_3repE0EEENS1_30default_config_static_selectorELNS0_4arch9wavefront6targetE1EEEvT1_
	.p2align	8
	.type	_ZN7rocprim17ROCPRIM_400000_NS6detail17trampoline_kernelINS0_14default_configENS1_25partition_config_selectorILNS1_17partition_subalgoE0EiNS0_10empty_typeEbEEZZNS1_14partition_implILS5_0ELb0ES3_jN6thrust23THRUST_200600_302600_NS6detail15normal_iteratorINSA_10device_ptrIiEEEEPS6_SG_NS0_5tupleIJNSA_16discard_iteratorINSA_11use_defaultEEESK_EEENSH_IJSG_SG_EEES6_PlJ7is_evenIiEEEE10hipError_tPvRmT3_T4_T5_T6_T7_T9_mT8_P12ihipStream_tbDpT10_ENKUlT_T0_E_clISt17integral_constantIbLb1EES19_EEDaS14_S15_EUlS14_E_NS1_11comp_targetILNS1_3genE4ELNS1_11target_archE910ELNS1_3gpuE8ELNS1_3repE0EEENS1_30default_config_static_selectorELNS0_4arch9wavefront6targetE1EEEvT1_,@function
_ZN7rocprim17ROCPRIM_400000_NS6detail17trampoline_kernelINS0_14default_configENS1_25partition_config_selectorILNS1_17partition_subalgoE0EiNS0_10empty_typeEbEEZZNS1_14partition_implILS5_0ELb0ES3_jN6thrust23THRUST_200600_302600_NS6detail15normal_iteratorINSA_10device_ptrIiEEEEPS6_SG_NS0_5tupleIJNSA_16discard_iteratorINSA_11use_defaultEEESK_EEENSH_IJSG_SG_EEES6_PlJ7is_evenIiEEEE10hipError_tPvRmT3_T4_T5_T6_T7_T9_mT8_P12ihipStream_tbDpT10_ENKUlT_T0_E_clISt17integral_constantIbLb1EES19_EEDaS14_S15_EUlS14_E_NS1_11comp_targetILNS1_3genE4ELNS1_11target_archE910ELNS1_3gpuE8ELNS1_3repE0EEENS1_30default_config_static_selectorELNS0_4arch9wavefront6targetE1EEEvT1_: ; @_ZN7rocprim17ROCPRIM_400000_NS6detail17trampoline_kernelINS0_14default_configENS1_25partition_config_selectorILNS1_17partition_subalgoE0EiNS0_10empty_typeEbEEZZNS1_14partition_implILS5_0ELb0ES3_jN6thrust23THRUST_200600_302600_NS6detail15normal_iteratorINSA_10device_ptrIiEEEEPS6_SG_NS0_5tupleIJNSA_16discard_iteratorINSA_11use_defaultEEESK_EEENSH_IJSG_SG_EEES6_PlJ7is_evenIiEEEE10hipError_tPvRmT3_T4_T5_T6_T7_T9_mT8_P12ihipStream_tbDpT10_ENKUlT_T0_E_clISt17integral_constantIbLb1EES19_EEDaS14_S15_EUlS14_E_NS1_11comp_targetILNS1_3genE4ELNS1_11target_archE910ELNS1_3gpuE8ELNS1_3repE0EEENS1_30default_config_static_selectorELNS0_4arch9wavefront6targetE1EEEvT1_
; %bb.0:
	s_load_dwordx2 s[2:3], s[4:5], 0x68
	s_load_dwordx4 s[20:23], s[4:5], 0x58
	s_load_dwordx2 s[24:25], s[4:5], 0x78
	v_cmp_eq_u32_e64 s[0:1], 0, v0
	s_and_saveexec_b64 s[6:7], s[0:1]
	s_cbranch_execz .LBB2693_4
; %bb.1:
	s_mov_b64 s[10:11], exec
	v_mbcnt_lo_u32_b32 v1, s10, 0
	v_mbcnt_hi_u32_b32 v1, s11, v1
	v_cmp_eq_u32_e32 vcc, 0, v1
                                        ; implicit-def: $vgpr2
	s_and_saveexec_b64 s[8:9], vcc
	s_cbranch_execz .LBB2693_3
; %bb.2:
	s_load_dwordx2 s[12:13], s[4:5], 0x88
	s_bcnt1_i32_b64 s10, s[10:11]
	v_mov_b32_e32 v2, 0
	v_mov_b32_e32 v3, s10
	s_waitcnt lgkmcnt(0)
	global_atomic_add v2, v2, v3, s[12:13] glc
.LBB2693_3:
	s_or_b64 exec, exec, s[8:9]
	s_waitcnt vmcnt(0)
	v_readfirstlane_b32 s8, v2
	v_add_u32_e32 v1, s8, v1
	v_mov_b32_e32 v2, 0
	ds_write_b32 v2, v1
.LBB2693_4:
	s_or_b64 exec, exec, s[6:7]
	v_mov_b32_e32 v3, 0
	s_load_dwordx4 s[8:11], s[4:5], 0x8
	s_load_dword s6, s[4:5], 0x80
	s_waitcnt lgkmcnt(0)
	s_barrier
	ds_read_b32 v1, v3
	s_waitcnt lgkmcnt(0)
	s_barrier
	global_load_dwordx2 v[12:13], v3, s[22:23]
	v_mov_b32_e32 v5, s3
	s_lshl_b64 s[4:5], s[10:11], 2
	s_movk_i32 s3, 0xa00
	s_add_u32 s4, s8, s4
	v_mul_lo_u32 v2, v1, s3
	s_mul_i32 s3, s6, 0xa00
	s_addc_u32 s5, s9, s5
	s_add_i32 s7, s6, -1
	s_add_i32 s6, s3, s10
	s_sub_i32 s6, s2, s6
	v_mov_b32_e32 v4, s2
	s_add_u32 s2, s10, s3
	v_readfirstlane_b32 s30, v1
	s_addc_u32 s3, s11, 0
	s_cmp_eq_u32 s30, s7
	s_cselect_b64 s[18:19], -1, 0
	s_cmp_lg_u32 s30, s7
	v_cmp_lt_u64_e32 vcc, s[2:3], v[4:5]
	s_cselect_b64 s[2:3], -1, 0
	v_lshlrev_b64 v[2:3], 2, v[2:3]
	s_or_b64 s[2:3], vcc, s[2:3]
	v_mov_b32_e32 v4, s5
	v_add_co_u32_e32 v1, vcc, s4, v2
	v_addc_co_u32_e32 v14, vcc, v4, v3, vcc
	s_mov_b64 s[4:5], -1
	s_and_b64 vcc, exec, s[2:3]
	s_cbranch_vccz .LBB2693_6
; %bb.5:
	v_lshlrev_b32_e32 v6, 2, v0
	v_add_co_u32_e32 v2, vcc, v1, v6
	v_addc_co_u32_e32 v3, vcc, 0, v14, vcc
	v_add_co_u32_e32 v4, vcc, 0x1000, v2
	v_addc_co_u32_e32 v5, vcc, 0, v3, vcc
	flat_load_dword v7, v[2:3]
	flat_load_dword v8, v[2:3] offset:1024
	flat_load_dword v9, v[2:3] offset:2048
	;; [unrolled: 1-line block ×3, first 2 shown]
	flat_load_dword v11, v[4:5]
	flat_load_dword v15, v[4:5] offset:1024
	flat_load_dword v16, v[4:5] offset:2048
	;; [unrolled: 1-line block ×3, first 2 shown]
	v_add_co_u32_e32 v2, vcc, 0x2000, v2
	v_addc_co_u32_e32 v3, vcc, 0, v3, vcc
	flat_load_dword v4, v[2:3]
	flat_load_dword v5, v[2:3] offset:1024
	s_mov_b64 s[4:5], 0
	s_waitcnt vmcnt(0) lgkmcnt(0)
	ds_write2st64_b32 v6, v7, v8 offset1:4
	ds_write2st64_b32 v6, v9, v10 offset0:8 offset1:12
	ds_write2st64_b32 v6, v11, v15 offset0:16 offset1:20
	;; [unrolled: 1-line block ×4, first 2 shown]
	s_waitcnt lgkmcnt(0)
	s_barrier
.LBB2693_6:
	s_andn2_b64 vcc, exec, s[4:5]
	s_addk_i32 s6, 0xa00
	s_cbranch_vccnz .LBB2693_28
; %bb.7:
	v_cmp_gt_u32_e32 vcc, s6, v0
                                        ; implicit-def: $vgpr2_vgpr3_vgpr4_vgpr5_vgpr6_vgpr7_vgpr8_vgpr9_vgpr10_vgpr11
	s_and_saveexec_b64 s[4:5], vcc
	s_cbranch_execz .LBB2693_9
; %bb.8:
	v_lshlrev_b32_e32 v2, 2, v0
	v_add_co_u32_e32 v2, vcc, v1, v2
	v_addc_co_u32_e32 v3, vcc, 0, v14, vcc
	flat_load_dword v2, v[2:3]
.LBB2693_9:
	s_or_b64 exec, exec, s[4:5]
	v_or_b32_e32 v15, 0x100, v0
	v_cmp_gt_u32_e32 vcc, s6, v15
	s_and_saveexec_b64 s[4:5], vcc
	s_cbranch_execz .LBB2693_11
; %bb.10:
	v_lshlrev_b32_e32 v3, 2, v0
	v_add_co_u32_e32 v16, vcc, v1, v3
	v_addc_co_u32_e32 v17, vcc, 0, v14, vcc
	flat_load_dword v3, v[16:17] offset:1024
.LBB2693_11:
	s_or_b64 exec, exec, s[4:5]
	v_or_b32_e32 v15, 0x200, v0
	v_cmp_gt_u32_e32 vcc, s6, v15
	s_and_saveexec_b64 s[4:5], vcc
	s_cbranch_execz .LBB2693_13
; %bb.12:
	v_lshlrev_b32_e32 v4, 2, v0
	v_add_co_u32_e32 v16, vcc, v1, v4
	v_addc_co_u32_e32 v17, vcc, 0, v14, vcc
	flat_load_dword v4, v[16:17] offset:2048
.LBB2693_13:
	;; [unrolled: 11-line block ×3, first 2 shown]
	s_or_b64 exec, exec, s[4:5]
	v_or_b32_e32 v15, 0x400, v0
	v_cmp_gt_u32_e32 vcc, s6, v15
	s_and_saveexec_b64 s[4:5], vcc
	s_cbranch_execz .LBB2693_17
; %bb.16:
	v_lshlrev_b32_e32 v6, 2, v15
	v_add_co_u32_e32 v16, vcc, v1, v6
	v_addc_co_u32_e32 v17, vcc, 0, v14, vcc
	flat_load_dword v6, v[16:17]
.LBB2693_17:
	s_or_b64 exec, exec, s[4:5]
	v_or_b32_e32 v15, 0x500, v0
	v_cmp_gt_u32_e32 vcc, s6, v15
	s_and_saveexec_b64 s[4:5], vcc
	s_cbranch_execz .LBB2693_19
; %bb.18:
	v_lshlrev_b32_e32 v7, 2, v15
	v_add_co_u32_e32 v16, vcc, v1, v7
	v_addc_co_u32_e32 v17, vcc, 0, v14, vcc
	flat_load_dword v7, v[16:17]
.LBB2693_19:
	;; [unrolled: 11-line block ×6, first 2 shown]
	s_or_b64 exec, exec, s[4:5]
	v_lshlrev_b32_e32 v1, 2, v0
	s_waitcnt vmcnt(0) lgkmcnt(0)
	ds_write2st64_b32 v1, v2, v3 offset1:4
	ds_write2st64_b32 v1, v4, v5 offset0:8 offset1:12
	ds_write2st64_b32 v1, v6, v7 offset0:16 offset1:20
	;; [unrolled: 1-line block ×4, first 2 shown]
	s_waitcnt lgkmcnt(0)
	s_barrier
.LBB2693_28:
	v_mul_u32_u24_e32 v24, 10, v0
	v_lshlrev_b32_e32 v30, 2, v24
	ds_read2_b64 v[6:9], v30 offset1:1
	ds_read2_b64 v[2:5], v30 offset0:2 offset1:3
	ds_read_b64 v[10:11], v30 offset:32
	s_andn2_b64 vcc, exec, s[2:3]
	s_waitcnt lgkmcnt(0)
	v_xor_b32_e32 v23, -1, v6
	v_xor_b32_e32 v22, -1, v7
	;; [unrolled: 1-line block ×10, first 2 shown]
	s_barrier
	s_cbranch_vccnz .LBB2693_30
; %bb.29:
	v_mov_b32_e32 v1, 1
	v_and_b32_e32 v26, 1, v23
	v_and_b32_sdwa v27, v22, v1 dst_sel:BYTE_1 dst_unused:UNUSED_PAD src0_sel:DWORD src1_sel:DWORD
	v_and_b32_e32 v28, 1, v21
	v_and_b32_sdwa v29, v20, v1 dst_sel:BYTE_1 dst_unused:UNUSED_PAD src0_sel:DWORD src1_sel:DWORD
	;; [unrolled: 2-line block ×4, first 2 shown]
	v_or_b32_e32 v26, v26, v27
	v_or_b32_sdwa v27, v28, v29 dst_sel:WORD_1 dst_unused:UNUSED_PAD src0_sel:DWORD src1_sel:DWORD
	v_or_b32_sdwa v27, v26, v27 dst_sel:DWORD dst_unused:UNUSED_PAD src0_sel:WORD_0 src1_sel:DWORD
	v_or_b32_e32 v26, v31, v32
	v_or_b32_sdwa v28, v33, v34 dst_sel:WORD_1 dst_unused:UNUSED_PAD src0_sel:DWORD src1_sel:DWORD
	v_and_b32_e32 v25, 1, v15
	v_and_b32_e32 v1, 1, v14
	v_or_b32_sdwa v26, v26, v28 dst_sel:DWORD dst_unused:UNUSED_PAD src0_sel:WORD_0 src1_sel:DWORD
	s_cbranch_execz .LBB2693_31
	s_branch .LBB2693_32
.LBB2693_30:
                                        ; implicit-def: $vgpr1
                                        ; implicit-def: $vgpr25
                                        ; implicit-def: $vgpr26
                                        ; implicit-def: $vgpr27
.LBB2693_31:
	v_or_b32_e32 v33, 1, v24
	v_cmp_gt_u32_e32 vcc, s6, v24
	v_add_u32_e32 v1, 2, v24
	v_cndmask_b32_e64 v34, 0, 1, vcc
	v_cmp_gt_u32_e32 vcc, s6, v33
	v_add_u32_e32 v32, 3, v24
	v_cndmask_b32_e64 v33, 0, 1, vcc
	;; [unrolled: 3-line block ×3, first 2 shown]
	v_cmp_gt_u32_e32 vcc, s6, v32
	v_add_u32_e32 v31, 5, v24
	v_and_b32_e32 v21, v1, v21
	v_cndmask_b32_e64 v1, 0, 1, vcc
	v_cmp_gt_u32_e32 vcc, s6, v25
	v_add_u32_e32 v26, 6, v24
	v_and_b32_sdwa v20, v1, v20 dst_sel:BYTE_1 dst_unused:UNUSED_PAD src0_sel:DWORD src1_sel:DWORD
	v_cndmask_b32_e64 v1, 0, 1, vcc
	v_cmp_gt_u32_e32 vcc, s6, v31
	v_add_u32_e32 v29, 7, v24
	v_and_b32_e32 v19, v1, v19
	v_cndmask_b32_e64 v1, 0, 1, vcc
	v_cmp_gt_u32_e32 vcc, s6, v26
	v_add_u32_e32 v27, 8, v24
	v_and_b32_sdwa v18, v1, v18 dst_sel:BYTE_1 dst_unused:UNUSED_PAD src0_sel:DWORD src1_sel:DWORD
	v_cndmask_b32_e64 v1, 0, 1, vcc
	v_cmp_gt_u32_e32 vcc, s6, v29
	v_add_u32_e32 v28, 9, v24
	v_and_b32_e32 v17, v1, v17
	v_cndmask_b32_e64 v1, 0, 1, vcc
	v_cmp_gt_u32_e32 vcc, s6, v27
	v_and_b32_sdwa v16, v1, v16 dst_sel:BYTE_1 dst_unused:UNUSED_PAD src0_sel:DWORD src1_sel:DWORD
	v_cndmask_b32_e64 v1, 0, 1, vcc
	v_cmp_gt_u32_e32 vcc, s6, v28
	v_and_b32_e32 v23, v34, v23
	v_and_b32_sdwa v22, v33, v22 dst_sel:BYTE_1 dst_unused:UNUSED_PAD src0_sel:DWORD src1_sel:DWORD
	v_and_b32_e32 v25, v1, v15
	v_cndmask_b32_e64 v1, 0, 1, vcc
	v_and_b32_e32 v1, v1, v14
	v_or_b32_e32 v14, v23, v22
	v_or_b32_sdwa v15, v21, v20 dst_sel:WORD_1 dst_unused:UNUSED_PAD src0_sel:DWORD src1_sel:DWORD
	v_or_b32_sdwa v27, v14, v15 dst_sel:DWORD dst_unused:UNUSED_PAD src0_sel:WORD_0 src1_sel:DWORD
	v_or_b32_e32 v14, v19, v18
	v_or_b32_sdwa v15, v17, v16 dst_sel:WORD_1 dst_unused:UNUSED_PAD src0_sel:DWORD src1_sel:DWORD
	v_or_b32_sdwa v26, v14, v15 dst_sel:DWORD dst_unused:UNUSED_PAD src0_sel:WORD_0 src1_sel:DWORD
.LBB2693_32:
	v_bfe_u32 v31, v27, 16, 8
	v_lshrrev_b32_e32 v29, 24, v27
	v_add_u32_sdwa v15, v27, v27 dst_sel:DWORD dst_unused:UNUSED_PAD src0_sel:BYTE_1 src1_sel:BYTE_0
	v_and_b32_e32 v32, 0xff, v26
	v_bfe_u32 v33, v26, 8, 8
	v_add3_u32 v15, v15, v31, v29
	v_bfe_u32 v34, v26, 16, 8
	v_lshrrev_b32_e32 v28, 24, v26
	v_add3_u32 v15, v15, v32, v33
	v_and_b32_e32 v35, 0xff, v25
	v_and_b32_e32 v14, 0xff, v1
	v_add3_u32 v15, v15, v34, v28
	v_add3_u32 v38, v15, v35, v14
	v_mbcnt_lo_u32_b32 v14, -1, 0
	v_mbcnt_hi_u32_b32 v36, -1, v14
	v_and_b32_e32 v14, 15, v36
	v_cmp_eq_u32_e64 s[14:15], 0, v14
	v_cmp_lt_u32_e64 s[12:13], 1, v14
	v_cmp_lt_u32_e64 s[10:11], 3, v14
	;; [unrolled: 1-line block ×3, first 2 shown]
	v_and_b32_e32 v14, 16, v36
	v_cmp_eq_u32_e64 s[6:7], 0, v14
	v_or_b32_e32 v14, 63, v0
	s_cmp_lg_u32 s30, 0
	v_cmp_lt_u32_e64 s[2:3], 31, v36
	v_lshrrev_b32_e32 v37, 6, v0
	v_cmp_eq_u32_e64 s[4:5], v14, v0
	s_cbranch_scc0 .LBB2693_63
; %bb.33:
	v_mov_b32_dpp v14, v38 row_shr:1 row_mask:0xf bank_mask:0xf
	v_cndmask_b32_e64 v14, v14, 0, s[14:15]
	v_add_u32_e32 v14, v14, v38
	s_nop 1
	v_mov_b32_dpp v15, v14 row_shr:2 row_mask:0xf bank_mask:0xf
	v_cndmask_b32_e64 v15, 0, v15, s[12:13]
	v_add_u32_e32 v14, v14, v15
	s_nop 1
	;; [unrolled: 4-line block ×4, first 2 shown]
	v_mov_b32_dpp v15, v14 row_bcast:15 row_mask:0xf bank_mask:0xf
	v_cndmask_b32_e64 v15, v15, 0, s[6:7]
	v_add_u32_e32 v14, v14, v15
	s_nop 1
	v_mov_b32_dpp v15, v14 row_bcast:31 row_mask:0xf bank_mask:0xf
	v_cndmask_b32_e64 v15, 0, v15, s[2:3]
	v_add_u32_e32 v14, v14, v15
	s_and_saveexec_b64 s[16:17], s[4:5]
	s_cbranch_execz .LBB2693_35
; %bb.34:
	v_lshlrev_b32_e32 v15, 2, v37
	ds_write_b32 v15, v14
.LBB2693_35:
	s_or_b64 exec, exec, s[16:17]
	v_cmp_gt_u32_e32 vcc, 4, v0
	s_waitcnt lgkmcnt(0)
	s_barrier
	s_and_saveexec_b64 s[16:17], vcc
	s_cbranch_execz .LBB2693_37
; %bb.36:
	v_lshlrev_b32_e32 v15, 2, v0
	ds_read_b32 v16, v15
	v_and_b32_e32 v17, 3, v36
	v_cmp_ne_u32_e32 vcc, 0, v17
	s_waitcnt lgkmcnt(0)
	v_mov_b32_dpp v18, v16 row_shr:1 row_mask:0xf bank_mask:0xf
	v_cndmask_b32_e32 v18, 0, v18, vcc
	v_add_u32_e32 v16, v18, v16
	v_cmp_lt_u32_e32 vcc, 1, v17
	s_nop 0
	v_mov_b32_dpp v18, v16 row_shr:2 row_mask:0xf bank_mask:0xf
	v_cndmask_b32_e32 v17, 0, v18, vcc
	v_add_u32_e32 v16, v16, v17
	ds_write_b32 v15, v16
.LBB2693_37:
	s_or_b64 exec, exec, s[16:17]
	v_cmp_gt_u32_e32 vcc, 64, v0
	v_cmp_lt_u32_e64 s[16:17], 63, v0
	s_waitcnt lgkmcnt(0)
	s_barrier
	s_waitcnt lgkmcnt(0)
                                        ; implicit-def: $vgpr39
	s_and_saveexec_b64 s[22:23], s[16:17]
	s_cbranch_execz .LBB2693_39
; %bb.38:
	v_lshl_add_u32 v15, v37, 2, -4
	ds_read_b32 v39, v15
	s_waitcnt lgkmcnt(0)
	v_add_u32_e32 v14, v39, v14
.LBB2693_39:
	s_or_b64 exec, exec, s[22:23]
	v_add_u32_e32 v15, -1, v36
	v_and_b32_e32 v16, 64, v36
	v_cmp_lt_i32_e64 s[16:17], v15, v16
	v_cndmask_b32_e64 v15, v15, v36, s[16:17]
	v_lshlrev_b32_e32 v15, 2, v15
	ds_bpermute_b32 v40, v15, v14
	v_cmp_eq_u32_e64 s[16:17], 0, v36
	s_and_saveexec_b64 s[22:23], vcc
	s_cbranch_execz .LBB2693_62
; %bb.40:
	v_mov_b32_e32 v23, 0
	ds_read_b32 v14, v23 offset:12
	s_and_saveexec_b64 s[26:27], s[16:17]
	s_cbranch_execz .LBB2693_42
; %bb.41:
	s_add_i32 s28, s30, 64
	s_mov_b32 s29, 0
	s_lshl_b64 s[28:29], s[28:29], 3
	s_add_u32 s28, s24, s28
	v_mov_b32_e32 v15, 1
	s_addc_u32 s29, s25, s29
	s_waitcnt lgkmcnt(0)
	global_store_dwordx2 v23, v[14:15], s[28:29]
.LBB2693_42:
	s_or_b64 exec, exec, s[26:27]
	v_xad_u32 v16, v36, -1, s30
	v_add_u32_e32 v22, 64, v16
	v_lshlrev_b64 v[18:19], 3, v[22:23]
	v_mov_b32_e32 v15, s25
	v_add_co_u32_e32 v18, vcc, s24, v18
	v_addc_co_u32_e32 v19, vcc, v15, v19, vcc
	global_load_dwordx2 v[20:21], v[18:19], off glc
	s_waitcnt vmcnt(0)
	v_cmp_eq_u16_sdwa s[28:29], v21, v23 src0_sel:BYTE_0 src1_sel:DWORD
	s_and_saveexec_b64 s[26:27], s[28:29]
	s_cbranch_execz .LBB2693_48
; %bb.43:
	s_mov_b32 s31, 1
	s_mov_b64 s[28:29], 0
	v_mov_b32_e32 v15, 0
.LBB2693_44:                            ; =>This Loop Header: Depth=1
                                        ;     Child Loop BB2693_45 Depth 2
	s_max_u32 s33, s31, 1
.LBB2693_45:                            ;   Parent Loop BB2693_44 Depth=1
                                        ; =>  This Inner Loop Header: Depth=2
	s_add_i32 s33, s33, -1
	s_cmp_eq_u32 s33, 0
	s_sleep 1
	s_cbranch_scc0 .LBB2693_45
; %bb.46:                               ;   in Loop: Header=BB2693_44 Depth=1
	global_load_dwordx2 v[20:21], v[18:19], off glc
	s_cmp_lt_u32 s31, 32
	s_cselect_b64 s[34:35], -1, 0
	s_cmp_lg_u64 s[34:35], 0
	s_addc_u32 s31, s31, 0
	s_waitcnt vmcnt(0)
	v_cmp_ne_u16_sdwa s[34:35], v21, v15 src0_sel:BYTE_0 src1_sel:DWORD
	s_or_b64 s[28:29], s[34:35], s[28:29]
	s_andn2_b64 exec, exec, s[28:29]
	s_cbranch_execnz .LBB2693_44
; %bb.47:
	s_or_b64 exec, exec, s[28:29]
.LBB2693_48:
	s_or_b64 exec, exec, s[26:27]
	v_and_b32_e32 v42, 63, v36
	v_mov_b32_e32 v41, 2
	v_cmp_ne_u32_e32 vcc, 63, v42
	v_cmp_eq_u16_sdwa s[26:27], v21, v41 src0_sel:BYTE_0 src1_sel:DWORD
	v_lshlrev_b64 v[18:19], v36, -1
	v_addc_co_u32_e32 v22, vcc, 0, v36, vcc
	v_and_b32_e32 v15, s27, v19
	v_lshlrev_b32_e32 v43, 2, v22
	v_or_b32_e32 v15, 0x80000000, v15
	ds_bpermute_b32 v22, v43, v20
	v_and_b32_e32 v17, s26, v18
	v_ffbl_b32_e32 v15, v15
	v_add_u32_e32 v15, 32, v15
	v_ffbl_b32_e32 v17, v17
	v_min_u32_e32 v15, v17, v15
	v_cmp_lt_u32_e32 vcc, v42, v15
	s_waitcnt lgkmcnt(0)
	v_cndmask_b32_e32 v17, 0, v22, vcc
	v_cmp_gt_u32_e32 vcc, 62, v42
	v_add_u32_e32 v17, v17, v20
	v_cndmask_b32_e64 v20, 0, 1, vcc
	v_lshlrev_b32_e32 v20, 1, v20
	v_add_lshl_u32 v44, v20, v36, 2
	ds_bpermute_b32 v20, v44, v17
	v_add_u32_e32 v45, 2, v42
	v_cmp_le_u32_e32 vcc, v45, v15
	v_add_u32_e32 v47, 4, v42
	v_add_u32_e32 v49, 8, v42
	s_waitcnt lgkmcnt(0)
	v_cndmask_b32_e32 v20, 0, v20, vcc
	v_cmp_gt_u32_e32 vcc, 60, v42
	v_add_u32_e32 v17, v17, v20
	v_cndmask_b32_e64 v20, 0, 1, vcc
	v_lshlrev_b32_e32 v20, 2, v20
	v_add_lshl_u32 v46, v20, v36, 2
	ds_bpermute_b32 v20, v46, v17
	v_cmp_le_u32_e32 vcc, v47, v15
	v_add_u32_e32 v51, 16, v42
	v_add_u32_e32 v53, 32, v42
	s_waitcnt lgkmcnt(0)
	v_cndmask_b32_e32 v20, 0, v20, vcc
	v_cmp_gt_u32_e32 vcc, 56, v42
	v_add_u32_e32 v17, v17, v20
	v_cndmask_b32_e64 v20, 0, 1, vcc
	v_lshlrev_b32_e32 v20, 3, v20
	v_add_lshl_u32 v48, v20, v36, 2
	ds_bpermute_b32 v20, v48, v17
	v_cmp_le_u32_e32 vcc, v49, v15
	s_waitcnt lgkmcnt(0)
	v_cndmask_b32_e32 v20, 0, v20, vcc
	v_cmp_gt_u32_e32 vcc, 48, v42
	v_add_u32_e32 v17, v17, v20
	v_cndmask_b32_e64 v20, 0, 1, vcc
	v_lshlrev_b32_e32 v20, 4, v20
	v_add_lshl_u32 v50, v20, v36, 2
	ds_bpermute_b32 v20, v50, v17
	v_cmp_le_u32_e32 vcc, v51, v15
	;; [unrolled: 9-line block ×3, first 2 shown]
	s_waitcnt lgkmcnt(0)
	v_cndmask_b32_e32 v15, 0, v20, vcc
	v_add_u32_e32 v20, v17, v15
	v_mov_b32_e32 v17, 0
	s_branch .LBB2693_50
.LBB2693_49:                            ;   in Loop: Header=BB2693_50 Depth=1
	s_or_b64 exec, exec, s[26:27]
	v_cmp_eq_u16_sdwa s[26:27], v21, v41 src0_sel:BYTE_0 src1_sel:DWORD
	v_and_b32_e32 v22, s27, v19
	v_or_b32_e32 v22, 0x80000000, v22
	ds_bpermute_b32 v54, v43, v20
	v_and_b32_e32 v23, s26, v18
	v_ffbl_b32_e32 v22, v22
	v_add_u32_e32 v22, 32, v22
	v_ffbl_b32_e32 v23, v23
	v_min_u32_e32 v22, v23, v22
	v_cmp_lt_u32_e32 vcc, v42, v22
	s_waitcnt lgkmcnt(0)
	v_cndmask_b32_e32 v23, 0, v54, vcc
	v_add_u32_e32 v20, v23, v20
	ds_bpermute_b32 v23, v44, v20
	v_cmp_le_u32_e32 vcc, v45, v22
	v_subrev_u32_e32 v16, 64, v16
	s_waitcnt lgkmcnt(0)
	v_cndmask_b32_e32 v23, 0, v23, vcc
	v_add_u32_e32 v20, v20, v23
	ds_bpermute_b32 v23, v46, v20
	v_cmp_le_u32_e32 vcc, v47, v22
	s_waitcnt lgkmcnt(0)
	v_cndmask_b32_e32 v23, 0, v23, vcc
	v_add_u32_e32 v20, v20, v23
	ds_bpermute_b32 v23, v48, v20
	v_cmp_le_u32_e32 vcc, v49, v22
	;; [unrolled: 5-line block ×4, first 2 shown]
	s_waitcnt lgkmcnt(0)
	v_cndmask_b32_e32 v22, 0, v23, vcc
	v_add3_u32 v20, v22, v15, v20
.LBB2693_50:                            ; =>This Loop Header: Depth=1
                                        ;     Child Loop BB2693_53 Depth 2
                                        ;       Child Loop BB2693_54 Depth 3
	v_cmp_ne_u16_sdwa s[26:27], v21, v41 src0_sel:BYTE_0 src1_sel:DWORD
	v_cndmask_b32_e64 v15, 0, 1, s[26:27]
	;;#ASMSTART
	;;#ASMEND
	v_cmp_ne_u32_e32 vcc, 0, v15
	s_cmp_lg_u64 vcc, exec
	v_mov_b32_e32 v15, v20
	s_cbranch_scc1 .LBB2693_57
; %bb.51:                               ;   in Loop: Header=BB2693_50 Depth=1
	v_lshlrev_b64 v[20:21], 3, v[16:17]
	v_mov_b32_e32 v23, s25
	v_add_co_u32_e32 v22, vcc, s24, v20
	v_addc_co_u32_e32 v23, vcc, v23, v21, vcc
	global_load_dwordx2 v[20:21], v[22:23], off glc
	s_waitcnt vmcnt(0)
	v_cmp_eq_u16_sdwa s[28:29], v21, v17 src0_sel:BYTE_0 src1_sel:DWORD
	s_and_saveexec_b64 s[26:27], s[28:29]
	s_cbranch_execz .LBB2693_49
; %bb.52:                               ;   in Loop: Header=BB2693_50 Depth=1
	s_mov_b32 s31, 1
	s_mov_b64 s[28:29], 0
.LBB2693_53:                            ;   Parent Loop BB2693_50 Depth=1
                                        ; =>  This Loop Header: Depth=2
                                        ;       Child Loop BB2693_54 Depth 3
	s_max_u32 s33, s31, 1
.LBB2693_54:                            ;   Parent Loop BB2693_50 Depth=1
                                        ;     Parent Loop BB2693_53 Depth=2
                                        ; =>    This Inner Loop Header: Depth=3
	s_add_i32 s33, s33, -1
	s_cmp_eq_u32 s33, 0
	s_sleep 1
	s_cbranch_scc0 .LBB2693_54
; %bb.55:                               ;   in Loop: Header=BB2693_53 Depth=2
	global_load_dwordx2 v[20:21], v[22:23], off glc
	s_cmp_lt_u32 s31, 32
	s_cselect_b64 s[34:35], -1, 0
	s_cmp_lg_u64 s[34:35], 0
	s_addc_u32 s31, s31, 0
	s_waitcnt vmcnt(0)
	v_cmp_ne_u16_sdwa s[34:35], v21, v17 src0_sel:BYTE_0 src1_sel:DWORD
	s_or_b64 s[28:29], s[34:35], s[28:29]
	s_andn2_b64 exec, exec, s[28:29]
	s_cbranch_execnz .LBB2693_53
; %bb.56:                               ;   in Loop: Header=BB2693_50 Depth=1
	s_or_b64 exec, exec, s[28:29]
	s_branch .LBB2693_49
.LBB2693_57:                            ;   in Loop: Header=BB2693_50 Depth=1
                                        ; implicit-def: $vgpr20
                                        ; implicit-def: $vgpr21
	s_cbranch_execz .LBB2693_50
; %bb.58:
	s_and_saveexec_b64 s[26:27], s[16:17]
	s_cbranch_execz .LBB2693_60
; %bb.59:
	s_add_i32 s28, s30, 64
	s_mov_b32 s29, 0
	s_lshl_b64 s[28:29], s[28:29], 3
	s_add_u32 s28, s24, s28
	v_add_u32_e32 v16, v15, v14
	v_mov_b32_e32 v17, 2
	s_addc_u32 s29, s25, s29
	v_mov_b32_e32 v18, 0
	global_store_dwordx2 v18, v[16:17], s[28:29]
	ds_write_b64 v18, v[14:15] offset:10240
.LBB2693_60:
	s_or_b64 exec, exec, s[26:27]
	s_and_b64 exec, exec, s[0:1]
	s_cbranch_execz .LBB2693_62
; %bb.61:
	v_mov_b32_e32 v14, 0
	ds_write_b32 v14, v15 offset:12
.LBB2693_62:
	s_or_b64 exec, exec, s[22:23]
	v_mov_b32_e32 v14, 0
	s_waitcnt lgkmcnt(0)
	s_barrier
	ds_read_b32 v15, v14 offset:12
	v_cndmask_b32_e64 v16, v40, v39, s[16:17]
	v_cndmask_b32_e64 v16, v16, 0, s[0:1]
	s_waitcnt lgkmcnt(0)
	s_barrier
	v_add_u32_e32 v40, v15, v16
	v_add_u32_sdwa v39, v40, v27 dst_sel:DWORD dst_unused:UNUSED_PAD src0_sel:DWORD src1_sel:BYTE_0
	v_add_u32_sdwa v23, v39, v27 dst_sel:DWORD dst_unused:UNUSED_PAD src0_sel:DWORD src1_sel:BYTE_1
	v_add_u32_e32 v22, v23, v31
	v_add_u32_e32 v21, v22, v29
	;; [unrolled: 1-line block ×3, first 2 shown]
	ds_read_b64 v[14:15], v14 offset:10240
	v_add_u32_e32 v19, v20, v33
	v_add_u32_e32 v18, v19, v34
	;; [unrolled: 1-line block ×4, first 2 shown]
	s_branch .LBB2693_73
.LBB2693_63:
                                        ; implicit-def: $vgpr15
                                        ; implicit-def: $vgpr16
                                        ; implicit-def: $vgpr17
                                        ; implicit-def: $vgpr18
                                        ; implicit-def: $vgpr19
                                        ; implicit-def: $vgpr20
                                        ; implicit-def: $vgpr21
                                        ; implicit-def: $vgpr22
                                        ; implicit-def: $vgpr23
                                        ; implicit-def: $vgpr39
                                        ; implicit-def: $vgpr40
	s_cbranch_execz .LBB2693_73
; %bb.64:
	s_waitcnt lgkmcnt(0)
	v_mov_b32_dpp v14, v38 row_shr:1 row_mask:0xf bank_mask:0xf
	v_cndmask_b32_e64 v14, v14, 0, s[14:15]
	v_add_u32_e32 v14, v14, v38
	s_nop 1
	v_mov_b32_dpp v15, v14 row_shr:2 row_mask:0xf bank_mask:0xf
	v_cndmask_b32_e64 v15, 0, v15, s[12:13]
	v_add_u32_e32 v14, v14, v15
	s_nop 1
	;; [unrolled: 4-line block ×4, first 2 shown]
	v_mov_b32_dpp v15, v14 row_bcast:15 row_mask:0xf bank_mask:0xf
	v_cndmask_b32_e64 v15, v15, 0, s[6:7]
	v_add_u32_e32 v14, v14, v15
	s_nop 1
	v_mov_b32_dpp v15, v14 row_bcast:31 row_mask:0xf bank_mask:0xf
	v_cndmask_b32_e64 v15, 0, v15, s[2:3]
	v_add_u32_e32 v14, v14, v15
	s_and_saveexec_b64 s[2:3], s[4:5]
	s_cbranch_execz .LBB2693_66
; %bb.65:
	v_lshlrev_b32_e32 v15, 2, v37
	ds_write_b32 v15, v14
.LBB2693_66:
	s_or_b64 exec, exec, s[2:3]
	v_cmp_gt_u32_e32 vcc, 4, v0
	s_waitcnt lgkmcnt(0)
	s_barrier
	s_and_saveexec_b64 s[2:3], vcc
	s_cbranch_execz .LBB2693_68
; %bb.67:
	s_movk_i32 s4, 0xffdc
	v_mad_i32_i24 v15, v0, s4, v30
	ds_read_b32 v16, v15
	v_and_b32_e32 v17, 3, v36
	v_cmp_ne_u32_e32 vcc, 0, v17
	s_waitcnt lgkmcnt(0)
	v_mov_b32_dpp v18, v16 row_shr:1 row_mask:0xf bank_mask:0xf
	v_cndmask_b32_e32 v18, 0, v18, vcc
	v_add_u32_e32 v16, v18, v16
	v_cmp_lt_u32_e32 vcc, 1, v17
	s_nop 0
	v_mov_b32_dpp v18, v16 row_shr:2 row_mask:0xf bank_mask:0xf
	v_cndmask_b32_e32 v17, 0, v18, vcc
	v_add_u32_e32 v16, v16, v17
	ds_write_b32 v15, v16
.LBB2693_68:
	s_or_b64 exec, exec, s[2:3]
	v_cmp_lt_u32_e32 vcc, 63, v0
	v_mov_b32_e32 v15, 0
	v_mov_b32_e32 v0, 0
	s_waitcnt lgkmcnt(0)
	s_barrier
	s_and_saveexec_b64 s[2:3], vcc
	s_cbranch_execz .LBB2693_70
; %bb.69:
	v_lshl_add_u32 v0, v37, 2, -4
	ds_read_b32 v0, v0
.LBB2693_70:
	s_or_b64 exec, exec, s[2:3]
	v_add_u32_e32 v16, -1, v36
	v_and_b32_e32 v17, 64, v36
	v_cmp_lt_i32_e32 vcc, v16, v17
	v_cndmask_b32_e32 v16, v16, v36, vcc
	s_waitcnt lgkmcnt(0)
	v_add_u32_e32 v14, v0, v14
	v_lshlrev_b32_e32 v16, 2, v16
	ds_bpermute_b32 v16, v16, v14
	ds_read_b32 v14, v15 offset:12
	s_and_saveexec_b64 s[2:3], s[0:1]
	s_cbranch_execz .LBB2693_72
; %bb.71:
	v_mov_b32_e32 v17, 0
	v_mov_b32_e32 v15, 2
	s_waitcnt lgkmcnt(0)
	global_store_dwordx2 v17, v[14:15], s[24:25] offset:512
.LBB2693_72:
	s_or_b64 exec, exec, s[2:3]
	v_cmp_eq_u32_e32 vcc, 0, v36
	s_waitcnt lgkmcnt(1)
	v_cndmask_b32_e32 v0, v16, v0, vcc
	v_cndmask_b32_e64 v40, v0, 0, s[0:1]
	v_add_u32_sdwa v39, v40, v27 dst_sel:DWORD dst_unused:UNUSED_PAD src0_sel:DWORD src1_sel:BYTE_0
	v_add_u32_sdwa v23, v39, v27 dst_sel:DWORD dst_unused:UNUSED_PAD src0_sel:DWORD src1_sel:BYTE_1
	v_add_u32_e32 v22, v23, v31
	v_add_u32_e32 v21, v22, v29
	;; [unrolled: 1-line block ×6, first 2 shown]
	v_mov_b32_e32 v15, 0
	v_add_u32_e32 v16, v17, v35
	s_waitcnt lgkmcnt(0)
	s_barrier
.LBB2693_73:
	s_waitcnt lgkmcnt(0)
	v_add_u32_e32 v24, v14, v24
	v_sub_u32_e32 v31, v40, v15
	v_and_b32_e32 v33, 1, v27
	v_sub_u32_e32 v32, v24, v31
	v_cmp_eq_u32_e32 vcc, 1, v33
	v_cndmask_b32_e32 v31, v32, v31, vcc
	v_lshlrev_b32_e32 v31, 2, v31
	v_lshrrev_b32_e32 v30, 8, v27
	ds_write_b32 v31, v6
	v_sub_u32_e32 v6, v39, v15
	v_sub_u32_e32 v31, v24, v6
	v_and_b32_e32 v30, 1, v30
	v_add_u32_e32 v31, 1, v31
	v_cmp_eq_u32_e32 vcc, 1, v30
	v_cndmask_b32_e32 v6, v31, v6, vcc
	v_lshlrev_b32_e32 v6, 2, v6
	ds_write_b32 v6, v7
	v_sub_u32_e32 v6, v23, v15
	v_mov_b32_e32 v23, 1
	v_sub_u32_e32 v7, v24, v6
	v_and_b32_sdwa v27, v23, v27 dst_sel:DWORD dst_unused:UNUSED_PAD src0_sel:DWORD src1_sel:WORD_1
	v_add_u32_e32 v7, 2, v7
	v_cmp_eq_u32_e32 vcc, 1, v27
	v_cndmask_b32_e32 v6, v7, v6, vcc
	v_lshlrev_b32_e32 v6, 2, v6
	ds_write_b32 v6, v8
	v_sub_u32_e32 v6, v22, v15
	v_sub_u32_e32 v7, v24, v6
	v_and_b32_e32 v8, 1, v29
	v_add_u32_e32 v7, 3, v7
	v_cmp_eq_u32_e32 vcc, 1, v8
	v_cndmask_b32_e32 v6, v7, v6, vcc
	v_lshlrev_b32_e32 v6, 2, v6
	ds_write_b32 v6, v9
	v_sub_u32_e32 v6, v21, v15
	v_sub_u32_e32 v7, v24, v6
	v_and_b32_e32 v8, 1, v26
	v_add_u32_e32 v7, 4, v7
	v_cmp_eq_u32_e32 vcc, 1, v8
	v_cndmask_b32_e32 v6, v7, v6, vcc
	v_lshlrev_b32_e32 v6, 2, v6
	v_lshrrev_b32_e32 v0, 8, v26
	ds_write_b32 v6, v2
	v_sub_u32_e32 v2, v20, v15
	v_sub_u32_e32 v6, v24, v2
	v_and_b32_e32 v0, 1, v0
	v_add_u32_e32 v6, 5, v6
	v_cmp_eq_u32_e32 vcc, 1, v0
	v_cndmask_b32_e32 v0, v6, v2, vcc
	v_lshlrev_b32_e32 v0, 2, v0
	ds_write_b32 v0, v3
	v_sub_u32_e32 v0, v19, v15
	v_sub_u32_e32 v2, v24, v0
	v_and_b32_sdwa v3, v23, v26 dst_sel:DWORD dst_unused:UNUSED_PAD src0_sel:DWORD src1_sel:WORD_1
	v_add_u32_e32 v2, 6, v2
	v_cmp_eq_u32_e32 vcc, 1, v3
	v_cndmask_b32_e32 v0, v2, v0, vcc
	v_lshlrev_b32_e32 v0, 2, v0
	ds_write_b32 v0, v4
	v_sub_u32_e32 v0, v18, v15
	v_sub_u32_e32 v2, v24, v0
	v_and_b32_e32 v3, 1, v28
	v_add_u32_e32 v2, 7, v2
	v_cmp_eq_u32_e32 vcc, 1, v3
	v_cndmask_b32_e32 v0, v2, v0, vcc
	v_lshlrev_b32_e32 v0, 2, v0
	ds_write_b32 v0, v5
	v_sub_u32_e32 v0, v17, v15
	v_sub_u32_e32 v2, v24, v0
	v_and_b32_e32 v3, 1, v25
	;; [unrolled: 8-line block ×3, first 2 shown]
	v_add_u32_e32 v2, 9, v2
	v_cmp_eq_u32_e32 vcc, 1, v1
	v_cndmask_b32_e32 v0, v2, v0, vcc
	v_lshlrev_b32_e32 v0, 2, v0
	s_and_b64 s[0:1], s[0:1], s[18:19]
	ds_write_b32 v0, v11
	s_waitcnt lgkmcnt(0)
	s_barrier
	s_and_saveexec_b64 s[2:3], s[0:1]
	s_cbranch_execz .LBB2693_75
; %bb.74:
	s_waitcnt vmcnt(0)
	v_add_co_u32_e32 v0, vcc, v12, v14
	v_addc_co_u32_e32 v1, vcc, 0, v13, vcc
	v_add_co_u32_e32 v0, vcc, v0, v15
	v_mov_b32_e32 v2, 0
	v_addc_co_u32_e32 v1, vcc, 0, v1, vcc
	global_store_dwordx2 v2, v[0:1], s[20:21]
.LBB2693_75:
	s_endpgm
	.section	.rodata,"a",@progbits
	.p2align	6, 0x0
	.amdhsa_kernel _ZN7rocprim17ROCPRIM_400000_NS6detail17trampoline_kernelINS0_14default_configENS1_25partition_config_selectorILNS1_17partition_subalgoE0EiNS0_10empty_typeEbEEZZNS1_14partition_implILS5_0ELb0ES3_jN6thrust23THRUST_200600_302600_NS6detail15normal_iteratorINSA_10device_ptrIiEEEEPS6_SG_NS0_5tupleIJNSA_16discard_iteratorINSA_11use_defaultEEESK_EEENSH_IJSG_SG_EEES6_PlJ7is_evenIiEEEE10hipError_tPvRmT3_T4_T5_T6_T7_T9_mT8_P12ihipStream_tbDpT10_ENKUlT_T0_E_clISt17integral_constantIbLb1EES19_EEDaS14_S15_EUlS14_E_NS1_11comp_targetILNS1_3genE4ELNS1_11target_archE910ELNS1_3gpuE8ELNS1_3repE0EEENS1_30default_config_static_selectorELNS0_4arch9wavefront6targetE1EEEvT1_
		.amdhsa_group_segment_fixed_size 10248
		.amdhsa_private_segment_fixed_size 0
		.amdhsa_kernarg_size 152
		.amdhsa_user_sgpr_count 6
		.amdhsa_user_sgpr_private_segment_buffer 1
		.amdhsa_user_sgpr_dispatch_ptr 0
		.amdhsa_user_sgpr_queue_ptr 0
		.amdhsa_user_sgpr_kernarg_segment_ptr 1
		.amdhsa_user_sgpr_dispatch_id 0
		.amdhsa_user_sgpr_flat_scratch_init 0
		.amdhsa_user_sgpr_kernarg_preload_length 0
		.amdhsa_user_sgpr_kernarg_preload_offset 0
		.amdhsa_user_sgpr_private_segment_size 0
		.amdhsa_uses_dynamic_stack 0
		.amdhsa_system_sgpr_private_segment_wavefront_offset 0
		.amdhsa_system_sgpr_workgroup_id_x 1
		.amdhsa_system_sgpr_workgroup_id_y 0
		.amdhsa_system_sgpr_workgroup_id_z 0
		.amdhsa_system_sgpr_workgroup_info 0
		.amdhsa_system_vgpr_workitem_id 0
		.amdhsa_next_free_vgpr 55
		.amdhsa_next_free_sgpr 36
		.amdhsa_accum_offset 56
		.amdhsa_reserve_vcc 1
		.amdhsa_reserve_flat_scratch 0
		.amdhsa_float_round_mode_32 0
		.amdhsa_float_round_mode_16_64 0
		.amdhsa_float_denorm_mode_32 3
		.amdhsa_float_denorm_mode_16_64 3
		.amdhsa_dx10_clamp 1
		.amdhsa_ieee_mode 1
		.amdhsa_fp16_overflow 0
		.amdhsa_tg_split 0
		.amdhsa_exception_fp_ieee_invalid_op 0
		.amdhsa_exception_fp_denorm_src 0
		.amdhsa_exception_fp_ieee_div_zero 0
		.amdhsa_exception_fp_ieee_overflow 0
		.amdhsa_exception_fp_ieee_underflow 0
		.amdhsa_exception_fp_ieee_inexact 0
		.amdhsa_exception_int_div_zero 0
	.end_amdhsa_kernel
	.section	.text._ZN7rocprim17ROCPRIM_400000_NS6detail17trampoline_kernelINS0_14default_configENS1_25partition_config_selectorILNS1_17partition_subalgoE0EiNS0_10empty_typeEbEEZZNS1_14partition_implILS5_0ELb0ES3_jN6thrust23THRUST_200600_302600_NS6detail15normal_iteratorINSA_10device_ptrIiEEEEPS6_SG_NS0_5tupleIJNSA_16discard_iteratorINSA_11use_defaultEEESK_EEENSH_IJSG_SG_EEES6_PlJ7is_evenIiEEEE10hipError_tPvRmT3_T4_T5_T6_T7_T9_mT8_P12ihipStream_tbDpT10_ENKUlT_T0_E_clISt17integral_constantIbLb1EES19_EEDaS14_S15_EUlS14_E_NS1_11comp_targetILNS1_3genE4ELNS1_11target_archE910ELNS1_3gpuE8ELNS1_3repE0EEENS1_30default_config_static_selectorELNS0_4arch9wavefront6targetE1EEEvT1_,"axG",@progbits,_ZN7rocprim17ROCPRIM_400000_NS6detail17trampoline_kernelINS0_14default_configENS1_25partition_config_selectorILNS1_17partition_subalgoE0EiNS0_10empty_typeEbEEZZNS1_14partition_implILS5_0ELb0ES3_jN6thrust23THRUST_200600_302600_NS6detail15normal_iteratorINSA_10device_ptrIiEEEEPS6_SG_NS0_5tupleIJNSA_16discard_iteratorINSA_11use_defaultEEESK_EEENSH_IJSG_SG_EEES6_PlJ7is_evenIiEEEE10hipError_tPvRmT3_T4_T5_T6_T7_T9_mT8_P12ihipStream_tbDpT10_ENKUlT_T0_E_clISt17integral_constantIbLb1EES19_EEDaS14_S15_EUlS14_E_NS1_11comp_targetILNS1_3genE4ELNS1_11target_archE910ELNS1_3gpuE8ELNS1_3repE0EEENS1_30default_config_static_selectorELNS0_4arch9wavefront6targetE1EEEvT1_,comdat
.Lfunc_end2693:
	.size	_ZN7rocprim17ROCPRIM_400000_NS6detail17trampoline_kernelINS0_14default_configENS1_25partition_config_selectorILNS1_17partition_subalgoE0EiNS0_10empty_typeEbEEZZNS1_14partition_implILS5_0ELb0ES3_jN6thrust23THRUST_200600_302600_NS6detail15normal_iteratorINSA_10device_ptrIiEEEEPS6_SG_NS0_5tupleIJNSA_16discard_iteratorINSA_11use_defaultEEESK_EEENSH_IJSG_SG_EEES6_PlJ7is_evenIiEEEE10hipError_tPvRmT3_T4_T5_T6_T7_T9_mT8_P12ihipStream_tbDpT10_ENKUlT_T0_E_clISt17integral_constantIbLb1EES19_EEDaS14_S15_EUlS14_E_NS1_11comp_targetILNS1_3genE4ELNS1_11target_archE910ELNS1_3gpuE8ELNS1_3repE0EEENS1_30default_config_static_selectorELNS0_4arch9wavefront6targetE1EEEvT1_, .Lfunc_end2693-_ZN7rocprim17ROCPRIM_400000_NS6detail17trampoline_kernelINS0_14default_configENS1_25partition_config_selectorILNS1_17partition_subalgoE0EiNS0_10empty_typeEbEEZZNS1_14partition_implILS5_0ELb0ES3_jN6thrust23THRUST_200600_302600_NS6detail15normal_iteratorINSA_10device_ptrIiEEEEPS6_SG_NS0_5tupleIJNSA_16discard_iteratorINSA_11use_defaultEEESK_EEENSH_IJSG_SG_EEES6_PlJ7is_evenIiEEEE10hipError_tPvRmT3_T4_T5_T6_T7_T9_mT8_P12ihipStream_tbDpT10_ENKUlT_T0_E_clISt17integral_constantIbLb1EES19_EEDaS14_S15_EUlS14_E_NS1_11comp_targetILNS1_3genE4ELNS1_11target_archE910ELNS1_3gpuE8ELNS1_3repE0EEENS1_30default_config_static_selectorELNS0_4arch9wavefront6targetE1EEEvT1_
                                        ; -- End function
	.section	.AMDGPU.csdata,"",@progbits
; Kernel info:
; codeLenInByte = 4028
; NumSgprs: 40
; NumVgprs: 55
; NumAgprs: 0
; TotalNumVgprs: 55
; ScratchSize: 0
; MemoryBound: 0
; FloatMode: 240
; IeeeMode: 1
; LDSByteSize: 10248 bytes/workgroup (compile time only)
; SGPRBlocks: 4
; VGPRBlocks: 6
; NumSGPRsForWavesPerEU: 40
; NumVGPRsForWavesPerEU: 55
; AccumOffset: 56
; Occupancy: 6
; WaveLimiterHint : 1
; COMPUTE_PGM_RSRC2:SCRATCH_EN: 0
; COMPUTE_PGM_RSRC2:USER_SGPR: 6
; COMPUTE_PGM_RSRC2:TRAP_HANDLER: 0
; COMPUTE_PGM_RSRC2:TGID_X_EN: 1
; COMPUTE_PGM_RSRC2:TGID_Y_EN: 0
; COMPUTE_PGM_RSRC2:TGID_Z_EN: 0
; COMPUTE_PGM_RSRC2:TIDIG_COMP_CNT: 0
; COMPUTE_PGM_RSRC3_GFX90A:ACCUM_OFFSET: 13
; COMPUTE_PGM_RSRC3_GFX90A:TG_SPLIT: 0
	.section	.text._ZN7rocprim17ROCPRIM_400000_NS6detail17trampoline_kernelINS0_14default_configENS1_25partition_config_selectorILNS1_17partition_subalgoE0EiNS0_10empty_typeEbEEZZNS1_14partition_implILS5_0ELb0ES3_jN6thrust23THRUST_200600_302600_NS6detail15normal_iteratorINSA_10device_ptrIiEEEEPS6_SG_NS0_5tupleIJNSA_16discard_iteratorINSA_11use_defaultEEESK_EEENSH_IJSG_SG_EEES6_PlJ7is_evenIiEEEE10hipError_tPvRmT3_T4_T5_T6_T7_T9_mT8_P12ihipStream_tbDpT10_ENKUlT_T0_E_clISt17integral_constantIbLb1EES19_EEDaS14_S15_EUlS14_E_NS1_11comp_targetILNS1_3genE3ELNS1_11target_archE908ELNS1_3gpuE7ELNS1_3repE0EEENS1_30default_config_static_selectorELNS0_4arch9wavefront6targetE1EEEvT1_,"axG",@progbits,_ZN7rocprim17ROCPRIM_400000_NS6detail17trampoline_kernelINS0_14default_configENS1_25partition_config_selectorILNS1_17partition_subalgoE0EiNS0_10empty_typeEbEEZZNS1_14partition_implILS5_0ELb0ES3_jN6thrust23THRUST_200600_302600_NS6detail15normal_iteratorINSA_10device_ptrIiEEEEPS6_SG_NS0_5tupleIJNSA_16discard_iteratorINSA_11use_defaultEEESK_EEENSH_IJSG_SG_EEES6_PlJ7is_evenIiEEEE10hipError_tPvRmT3_T4_T5_T6_T7_T9_mT8_P12ihipStream_tbDpT10_ENKUlT_T0_E_clISt17integral_constantIbLb1EES19_EEDaS14_S15_EUlS14_E_NS1_11comp_targetILNS1_3genE3ELNS1_11target_archE908ELNS1_3gpuE7ELNS1_3repE0EEENS1_30default_config_static_selectorELNS0_4arch9wavefront6targetE1EEEvT1_,comdat
	.protected	_ZN7rocprim17ROCPRIM_400000_NS6detail17trampoline_kernelINS0_14default_configENS1_25partition_config_selectorILNS1_17partition_subalgoE0EiNS0_10empty_typeEbEEZZNS1_14partition_implILS5_0ELb0ES3_jN6thrust23THRUST_200600_302600_NS6detail15normal_iteratorINSA_10device_ptrIiEEEEPS6_SG_NS0_5tupleIJNSA_16discard_iteratorINSA_11use_defaultEEESK_EEENSH_IJSG_SG_EEES6_PlJ7is_evenIiEEEE10hipError_tPvRmT3_T4_T5_T6_T7_T9_mT8_P12ihipStream_tbDpT10_ENKUlT_T0_E_clISt17integral_constantIbLb1EES19_EEDaS14_S15_EUlS14_E_NS1_11comp_targetILNS1_3genE3ELNS1_11target_archE908ELNS1_3gpuE7ELNS1_3repE0EEENS1_30default_config_static_selectorELNS0_4arch9wavefront6targetE1EEEvT1_ ; -- Begin function _ZN7rocprim17ROCPRIM_400000_NS6detail17trampoline_kernelINS0_14default_configENS1_25partition_config_selectorILNS1_17partition_subalgoE0EiNS0_10empty_typeEbEEZZNS1_14partition_implILS5_0ELb0ES3_jN6thrust23THRUST_200600_302600_NS6detail15normal_iteratorINSA_10device_ptrIiEEEEPS6_SG_NS0_5tupleIJNSA_16discard_iteratorINSA_11use_defaultEEESK_EEENSH_IJSG_SG_EEES6_PlJ7is_evenIiEEEE10hipError_tPvRmT3_T4_T5_T6_T7_T9_mT8_P12ihipStream_tbDpT10_ENKUlT_T0_E_clISt17integral_constantIbLb1EES19_EEDaS14_S15_EUlS14_E_NS1_11comp_targetILNS1_3genE3ELNS1_11target_archE908ELNS1_3gpuE7ELNS1_3repE0EEENS1_30default_config_static_selectorELNS0_4arch9wavefront6targetE1EEEvT1_
	.globl	_ZN7rocprim17ROCPRIM_400000_NS6detail17trampoline_kernelINS0_14default_configENS1_25partition_config_selectorILNS1_17partition_subalgoE0EiNS0_10empty_typeEbEEZZNS1_14partition_implILS5_0ELb0ES3_jN6thrust23THRUST_200600_302600_NS6detail15normal_iteratorINSA_10device_ptrIiEEEEPS6_SG_NS0_5tupleIJNSA_16discard_iteratorINSA_11use_defaultEEESK_EEENSH_IJSG_SG_EEES6_PlJ7is_evenIiEEEE10hipError_tPvRmT3_T4_T5_T6_T7_T9_mT8_P12ihipStream_tbDpT10_ENKUlT_T0_E_clISt17integral_constantIbLb1EES19_EEDaS14_S15_EUlS14_E_NS1_11comp_targetILNS1_3genE3ELNS1_11target_archE908ELNS1_3gpuE7ELNS1_3repE0EEENS1_30default_config_static_selectorELNS0_4arch9wavefront6targetE1EEEvT1_
	.p2align	8
	.type	_ZN7rocprim17ROCPRIM_400000_NS6detail17trampoline_kernelINS0_14default_configENS1_25partition_config_selectorILNS1_17partition_subalgoE0EiNS0_10empty_typeEbEEZZNS1_14partition_implILS5_0ELb0ES3_jN6thrust23THRUST_200600_302600_NS6detail15normal_iteratorINSA_10device_ptrIiEEEEPS6_SG_NS0_5tupleIJNSA_16discard_iteratorINSA_11use_defaultEEESK_EEENSH_IJSG_SG_EEES6_PlJ7is_evenIiEEEE10hipError_tPvRmT3_T4_T5_T6_T7_T9_mT8_P12ihipStream_tbDpT10_ENKUlT_T0_E_clISt17integral_constantIbLb1EES19_EEDaS14_S15_EUlS14_E_NS1_11comp_targetILNS1_3genE3ELNS1_11target_archE908ELNS1_3gpuE7ELNS1_3repE0EEENS1_30default_config_static_selectorELNS0_4arch9wavefront6targetE1EEEvT1_,@function
_ZN7rocprim17ROCPRIM_400000_NS6detail17trampoline_kernelINS0_14default_configENS1_25partition_config_selectorILNS1_17partition_subalgoE0EiNS0_10empty_typeEbEEZZNS1_14partition_implILS5_0ELb0ES3_jN6thrust23THRUST_200600_302600_NS6detail15normal_iteratorINSA_10device_ptrIiEEEEPS6_SG_NS0_5tupleIJNSA_16discard_iteratorINSA_11use_defaultEEESK_EEENSH_IJSG_SG_EEES6_PlJ7is_evenIiEEEE10hipError_tPvRmT3_T4_T5_T6_T7_T9_mT8_P12ihipStream_tbDpT10_ENKUlT_T0_E_clISt17integral_constantIbLb1EES19_EEDaS14_S15_EUlS14_E_NS1_11comp_targetILNS1_3genE3ELNS1_11target_archE908ELNS1_3gpuE7ELNS1_3repE0EEENS1_30default_config_static_selectorELNS0_4arch9wavefront6targetE1EEEvT1_: ; @_ZN7rocprim17ROCPRIM_400000_NS6detail17trampoline_kernelINS0_14default_configENS1_25partition_config_selectorILNS1_17partition_subalgoE0EiNS0_10empty_typeEbEEZZNS1_14partition_implILS5_0ELb0ES3_jN6thrust23THRUST_200600_302600_NS6detail15normal_iteratorINSA_10device_ptrIiEEEEPS6_SG_NS0_5tupleIJNSA_16discard_iteratorINSA_11use_defaultEEESK_EEENSH_IJSG_SG_EEES6_PlJ7is_evenIiEEEE10hipError_tPvRmT3_T4_T5_T6_T7_T9_mT8_P12ihipStream_tbDpT10_ENKUlT_T0_E_clISt17integral_constantIbLb1EES19_EEDaS14_S15_EUlS14_E_NS1_11comp_targetILNS1_3genE3ELNS1_11target_archE908ELNS1_3gpuE7ELNS1_3repE0EEENS1_30default_config_static_selectorELNS0_4arch9wavefront6targetE1EEEvT1_
; %bb.0:
	.section	.rodata,"a",@progbits
	.p2align	6, 0x0
	.amdhsa_kernel _ZN7rocprim17ROCPRIM_400000_NS6detail17trampoline_kernelINS0_14default_configENS1_25partition_config_selectorILNS1_17partition_subalgoE0EiNS0_10empty_typeEbEEZZNS1_14partition_implILS5_0ELb0ES3_jN6thrust23THRUST_200600_302600_NS6detail15normal_iteratorINSA_10device_ptrIiEEEEPS6_SG_NS0_5tupleIJNSA_16discard_iteratorINSA_11use_defaultEEESK_EEENSH_IJSG_SG_EEES6_PlJ7is_evenIiEEEE10hipError_tPvRmT3_T4_T5_T6_T7_T9_mT8_P12ihipStream_tbDpT10_ENKUlT_T0_E_clISt17integral_constantIbLb1EES19_EEDaS14_S15_EUlS14_E_NS1_11comp_targetILNS1_3genE3ELNS1_11target_archE908ELNS1_3gpuE7ELNS1_3repE0EEENS1_30default_config_static_selectorELNS0_4arch9wavefront6targetE1EEEvT1_
		.amdhsa_group_segment_fixed_size 0
		.amdhsa_private_segment_fixed_size 0
		.amdhsa_kernarg_size 152
		.amdhsa_user_sgpr_count 6
		.amdhsa_user_sgpr_private_segment_buffer 1
		.amdhsa_user_sgpr_dispatch_ptr 0
		.amdhsa_user_sgpr_queue_ptr 0
		.amdhsa_user_sgpr_kernarg_segment_ptr 1
		.amdhsa_user_sgpr_dispatch_id 0
		.amdhsa_user_sgpr_flat_scratch_init 0
		.amdhsa_user_sgpr_kernarg_preload_length 0
		.amdhsa_user_sgpr_kernarg_preload_offset 0
		.amdhsa_user_sgpr_private_segment_size 0
		.amdhsa_uses_dynamic_stack 0
		.amdhsa_system_sgpr_private_segment_wavefront_offset 0
		.amdhsa_system_sgpr_workgroup_id_x 1
		.amdhsa_system_sgpr_workgroup_id_y 0
		.amdhsa_system_sgpr_workgroup_id_z 0
		.amdhsa_system_sgpr_workgroup_info 0
		.amdhsa_system_vgpr_workitem_id 0
		.amdhsa_next_free_vgpr 1
		.amdhsa_next_free_sgpr 0
		.amdhsa_accum_offset 4
		.amdhsa_reserve_vcc 0
		.amdhsa_reserve_flat_scratch 0
		.amdhsa_float_round_mode_32 0
		.amdhsa_float_round_mode_16_64 0
		.amdhsa_float_denorm_mode_32 3
		.amdhsa_float_denorm_mode_16_64 3
		.amdhsa_dx10_clamp 1
		.amdhsa_ieee_mode 1
		.amdhsa_fp16_overflow 0
		.amdhsa_tg_split 0
		.amdhsa_exception_fp_ieee_invalid_op 0
		.amdhsa_exception_fp_denorm_src 0
		.amdhsa_exception_fp_ieee_div_zero 0
		.amdhsa_exception_fp_ieee_overflow 0
		.amdhsa_exception_fp_ieee_underflow 0
		.amdhsa_exception_fp_ieee_inexact 0
		.amdhsa_exception_int_div_zero 0
	.end_amdhsa_kernel
	.section	.text._ZN7rocprim17ROCPRIM_400000_NS6detail17trampoline_kernelINS0_14default_configENS1_25partition_config_selectorILNS1_17partition_subalgoE0EiNS0_10empty_typeEbEEZZNS1_14partition_implILS5_0ELb0ES3_jN6thrust23THRUST_200600_302600_NS6detail15normal_iteratorINSA_10device_ptrIiEEEEPS6_SG_NS0_5tupleIJNSA_16discard_iteratorINSA_11use_defaultEEESK_EEENSH_IJSG_SG_EEES6_PlJ7is_evenIiEEEE10hipError_tPvRmT3_T4_T5_T6_T7_T9_mT8_P12ihipStream_tbDpT10_ENKUlT_T0_E_clISt17integral_constantIbLb1EES19_EEDaS14_S15_EUlS14_E_NS1_11comp_targetILNS1_3genE3ELNS1_11target_archE908ELNS1_3gpuE7ELNS1_3repE0EEENS1_30default_config_static_selectorELNS0_4arch9wavefront6targetE1EEEvT1_,"axG",@progbits,_ZN7rocprim17ROCPRIM_400000_NS6detail17trampoline_kernelINS0_14default_configENS1_25partition_config_selectorILNS1_17partition_subalgoE0EiNS0_10empty_typeEbEEZZNS1_14partition_implILS5_0ELb0ES3_jN6thrust23THRUST_200600_302600_NS6detail15normal_iteratorINSA_10device_ptrIiEEEEPS6_SG_NS0_5tupleIJNSA_16discard_iteratorINSA_11use_defaultEEESK_EEENSH_IJSG_SG_EEES6_PlJ7is_evenIiEEEE10hipError_tPvRmT3_T4_T5_T6_T7_T9_mT8_P12ihipStream_tbDpT10_ENKUlT_T0_E_clISt17integral_constantIbLb1EES19_EEDaS14_S15_EUlS14_E_NS1_11comp_targetILNS1_3genE3ELNS1_11target_archE908ELNS1_3gpuE7ELNS1_3repE0EEENS1_30default_config_static_selectorELNS0_4arch9wavefront6targetE1EEEvT1_,comdat
.Lfunc_end2694:
	.size	_ZN7rocprim17ROCPRIM_400000_NS6detail17trampoline_kernelINS0_14default_configENS1_25partition_config_selectorILNS1_17partition_subalgoE0EiNS0_10empty_typeEbEEZZNS1_14partition_implILS5_0ELb0ES3_jN6thrust23THRUST_200600_302600_NS6detail15normal_iteratorINSA_10device_ptrIiEEEEPS6_SG_NS0_5tupleIJNSA_16discard_iteratorINSA_11use_defaultEEESK_EEENSH_IJSG_SG_EEES6_PlJ7is_evenIiEEEE10hipError_tPvRmT3_T4_T5_T6_T7_T9_mT8_P12ihipStream_tbDpT10_ENKUlT_T0_E_clISt17integral_constantIbLb1EES19_EEDaS14_S15_EUlS14_E_NS1_11comp_targetILNS1_3genE3ELNS1_11target_archE908ELNS1_3gpuE7ELNS1_3repE0EEENS1_30default_config_static_selectorELNS0_4arch9wavefront6targetE1EEEvT1_, .Lfunc_end2694-_ZN7rocprim17ROCPRIM_400000_NS6detail17trampoline_kernelINS0_14default_configENS1_25partition_config_selectorILNS1_17partition_subalgoE0EiNS0_10empty_typeEbEEZZNS1_14partition_implILS5_0ELb0ES3_jN6thrust23THRUST_200600_302600_NS6detail15normal_iteratorINSA_10device_ptrIiEEEEPS6_SG_NS0_5tupleIJNSA_16discard_iteratorINSA_11use_defaultEEESK_EEENSH_IJSG_SG_EEES6_PlJ7is_evenIiEEEE10hipError_tPvRmT3_T4_T5_T6_T7_T9_mT8_P12ihipStream_tbDpT10_ENKUlT_T0_E_clISt17integral_constantIbLb1EES19_EEDaS14_S15_EUlS14_E_NS1_11comp_targetILNS1_3genE3ELNS1_11target_archE908ELNS1_3gpuE7ELNS1_3repE0EEENS1_30default_config_static_selectorELNS0_4arch9wavefront6targetE1EEEvT1_
                                        ; -- End function
	.section	.AMDGPU.csdata,"",@progbits
; Kernel info:
; codeLenInByte = 0
; NumSgprs: 4
; NumVgprs: 0
; NumAgprs: 0
; TotalNumVgprs: 0
; ScratchSize: 0
; MemoryBound: 0
; FloatMode: 240
; IeeeMode: 1
; LDSByteSize: 0 bytes/workgroup (compile time only)
; SGPRBlocks: 0
; VGPRBlocks: 0
; NumSGPRsForWavesPerEU: 4
; NumVGPRsForWavesPerEU: 1
; AccumOffset: 4
; Occupancy: 8
; WaveLimiterHint : 0
; COMPUTE_PGM_RSRC2:SCRATCH_EN: 0
; COMPUTE_PGM_RSRC2:USER_SGPR: 6
; COMPUTE_PGM_RSRC2:TRAP_HANDLER: 0
; COMPUTE_PGM_RSRC2:TGID_X_EN: 1
; COMPUTE_PGM_RSRC2:TGID_Y_EN: 0
; COMPUTE_PGM_RSRC2:TGID_Z_EN: 0
; COMPUTE_PGM_RSRC2:TIDIG_COMP_CNT: 0
; COMPUTE_PGM_RSRC3_GFX90A:ACCUM_OFFSET: 0
; COMPUTE_PGM_RSRC3_GFX90A:TG_SPLIT: 0
	.section	.text._ZN7rocprim17ROCPRIM_400000_NS6detail17trampoline_kernelINS0_14default_configENS1_25partition_config_selectorILNS1_17partition_subalgoE0EiNS0_10empty_typeEbEEZZNS1_14partition_implILS5_0ELb0ES3_jN6thrust23THRUST_200600_302600_NS6detail15normal_iteratorINSA_10device_ptrIiEEEEPS6_SG_NS0_5tupleIJNSA_16discard_iteratorINSA_11use_defaultEEESK_EEENSH_IJSG_SG_EEES6_PlJ7is_evenIiEEEE10hipError_tPvRmT3_T4_T5_T6_T7_T9_mT8_P12ihipStream_tbDpT10_ENKUlT_T0_E_clISt17integral_constantIbLb1EES19_EEDaS14_S15_EUlS14_E_NS1_11comp_targetILNS1_3genE2ELNS1_11target_archE906ELNS1_3gpuE6ELNS1_3repE0EEENS1_30default_config_static_selectorELNS0_4arch9wavefront6targetE1EEEvT1_,"axG",@progbits,_ZN7rocprim17ROCPRIM_400000_NS6detail17trampoline_kernelINS0_14default_configENS1_25partition_config_selectorILNS1_17partition_subalgoE0EiNS0_10empty_typeEbEEZZNS1_14partition_implILS5_0ELb0ES3_jN6thrust23THRUST_200600_302600_NS6detail15normal_iteratorINSA_10device_ptrIiEEEEPS6_SG_NS0_5tupleIJNSA_16discard_iteratorINSA_11use_defaultEEESK_EEENSH_IJSG_SG_EEES6_PlJ7is_evenIiEEEE10hipError_tPvRmT3_T4_T5_T6_T7_T9_mT8_P12ihipStream_tbDpT10_ENKUlT_T0_E_clISt17integral_constantIbLb1EES19_EEDaS14_S15_EUlS14_E_NS1_11comp_targetILNS1_3genE2ELNS1_11target_archE906ELNS1_3gpuE6ELNS1_3repE0EEENS1_30default_config_static_selectorELNS0_4arch9wavefront6targetE1EEEvT1_,comdat
	.protected	_ZN7rocprim17ROCPRIM_400000_NS6detail17trampoline_kernelINS0_14default_configENS1_25partition_config_selectorILNS1_17partition_subalgoE0EiNS0_10empty_typeEbEEZZNS1_14partition_implILS5_0ELb0ES3_jN6thrust23THRUST_200600_302600_NS6detail15normal_iteratorINSA_10device_ptrIiEEEEPS6_SG_NS0_5tupleIJNSA_16discard_iteratorINSA_11use_defaultEEESK_EEENSH_IJSG_SG_EEES6_PlJ7is_evenIiEEEE10hipError_tPvRmT3_T4_T5_T6_T7_T9_mT8_P12ihipStream_tbDpT10_ENKUlT_T0_E_clISt17integral_constantIbLb1EES19_EEDaS14_S15_EUlS14_E_NS1_11comp_targetILNS1_3genE2ELNS1_11target_archE906ELNS1_3gpuE6ELNS1_3repE0EEENS1_30default_config_static_selectorELNS0_4arch9wavefront6targetE1EEEvT1_ ; -- Begin function _ZN7rocprim17ROCPRIM_400000_NS6detail17trampoline_kernelINS0_14default_configENS1_25partition_config_selectorILNS1_17partition_subalgoE0EiNS0_10empty_typeEbEEZZNS1_14partition_implILS5_0ELb0ES3_jN6thrust23THRUST_200600_302600_NS6detail15normal_iteratorINSA_10device_ptrIiEEEEPS6_SG_NS0_5tupleIJNSA_16discard_iteratorINSA_11use_defaultEEESK_EEENSH_IJSG_SG_EEES6_PlJ7is_evenIiEEEE10hipError_tPvRmT3_T4_T5_T6_T7_T9_mT8_P12ihipStream_tbDpT10_ENKUlT_T0_E_clISt17integral_constantIbLb1EES19_EEDaS14_S15_EUlS14_E_NS1_11comp_targetILNS1_3genE2ELNS1_11target_archE906ELNS1_3gpuE6ELNS1_3repE0EEENS1_30default_config_static_selectorELNS0_4arch9wavefront6targetE1EEEvT1_
	.globl	_ZN7rocprim17ROCPRIM_400000_NS6detail17trampoline_kernelINS0_14default_configENS1_25partition_config_selectorILNS1_17partition_subalgoE0EiNS0_10empty_typeEbEEZZNS1_14partition_implILS5_0ELb0ES3_jN6thrust23THRUST_200600_302600_NS6detail15normal_iteratorINSA_10device_ptrIiEEEEPS6_SG_NS0_5tupleIJNSA_16discard_iteratorINSA_11use_defaultEEESK_EEENSH_IJSG_SG_EEES6_PlJ7is_evenIiEEEE10hipError_tPvRmT3_T4_T5_T6_T7_T9_mT8_P12ihipStream_tbDpT10_ENKUlT_T0_E_clISt17integral_constantIbLb1EES19_EEDaS14_S15_EUlS14_E_NS1_11comp_targetILNS1_3genE2ELNS1_11target_archE906ELNS1_3gpuE6ELNS1_3repE0EEENS1_30default_config_static_selectorELNS0_4arch9wavefront6targetE1EEEvT1_
	.p2align	8
	.type	_ZN7rocprim17ROCPRIM_400000_NS6detail17trampoline_kernelINS0_14default_configENS1_25partition_config_selectorILNS1_17partition_subalgoE0EiNS0_10empty_typeEbEEZZNS1_14partition_implILS5_0ELb0ES3_jN6thrust23THRUST_200600_302600_NS6detail15normal_iteratorINSA_10device_ptrIiEEEEPS6_SG_NS0_5tupleIJNSA_16discard_iteratorINSA_11use_defaultEEESK_EEENSH_IJSG_SG_EEES6_PlJ7is_evenIiEEEE10hipError_tPvRmT3_T4_T5_T6_T7_T9_mT8_P12ihipStream_tbDpT10_ENKUlT_T0_E_clISt17integral_constantIbLb1EES19_EEDaS14_S15_EUlS14_E_NS1_11comp_targetILNS1_3genE2ELNS1_11target_archE906ELNS1_3gpuE6ELNS1_3repE0EEENS1_30default_config_static_selectorELNS0_4arch9wavefront6targetE1EEEvT1_,@function
_ZN7rocprim17ROCPRIM_400000_NS6detail17trampoline_kernelINS0_14default_configENS1_25partition_config_selectorILNS1_17partition_subalgoE0EiNS0_10empty_typeEbEEZZNS1_14partition_implILS5_0ELb0ES3_jN6thrust23THRUST_200600_302600_NS6detail15normal_iteratorINSA_10device_ptrIiEEEEPS6_SG_NS0_5tupleIJNSA_16discard_iteratorINSA_11use_defaultEEESK_EEENSH_IJSG_SG_EEES6_PlJ7is_evenIiEEEE10hipError_tPvRmT3_T4_T5_T6_T7_T9_mT8_P12ihipStream_tbDpT10_ENKUlT_T0_E_clISt17integral_constantIbLb1EES19_EEDaS14_S15_EUlS14_E_NS1_11comp_targetILNS1_3genE2ELNS1_11target_archE906ELNS1_3gpuE6ELNS1_3repE0EEENS1_30default_config_static_selectorELNS0_4arch9wavefront6targetE1EEEvT1_: ; @_ZN7rocprim17ROCPRIM_400000_NS6detail17trampoline_kernelINS0_14default_configENS1_25partition_config_selectorILNS1_17partition_subalgoE0EiNS0_10empty_typeEbEEZZNS1_14partition_implILS5_0ELb0ES3_jN6thrust23THRUST_200600_302600_NS6detail15normal_iteratorINSA_10device_ptrIiEEEEPS6_SG_NS0_5tupleIJNSA_16discard_iteratorINSA_11use_defaultEEESK_EEENSH_IJSG_SG_EEES6_PlJ7is_evenIiEEEE10hipError_tPvRmT3_T4_T5_T6_T7_T9_mT8_P12ihipStream_tbDpT10_ENKUlT_T0_E_clISt17integral_constantIbLb1EES19_EEDaS14_S15_EUlS14_E_NS1_11comp_targetILNS1_3genE2ELNS1_11target_archE906ELNS1_3gpuE6ELNS1_3repE0EEENS1_30default_config_static_selectorELNS0_4arch9wavefront6targetE1EEEvT1_
; %bb.0:
	.section	.rodata,"a",@progbits
	.p2align	6, 0x0
	.amdhsa_kernel _ZN7rocprim17ROCPRIM_400000_NS6detail17trampoline_kernelINS0_14default_configENS1_25partition_config_selectorILNS1_17partition_subalgoE0EiNS0_10empty_typeEbEEZZNS1_14partition_implILS5_0ELb0ES3_jN6thrust23THRUST_200600_302600_NS6detail15normal_iteratorINSA_10device_ptrIiEEEEPS6_SG_NS0_5tupleIJNSA_16discard_iteratorINSA_11use_defaultEEESK_EEENSH_IJSG_SG_EEES6_PlJ7is_evenIiEEEE10hipError_tPvRmT3_T4_T5_T6_T7_T9_mT8_P12ihipStream_tbDpT10_ENKUlT_T0_E_clISt17integral_constantIbLb1EES19_EEDaS14_S15_EUlS14_E_NS1_11comp_targetILNS1_3genE2ELNS1_11target_archE906ELNS1_3gpuE6ELNS1_3repE0EEENS1_30default_config_static_selectorELNS0_4arch9wavefront6targetE1EEEvT1_
		.amdhsa_group_segment_fixed_size 0
		.amdhsa_private_segment_fixed_size 0
		.amdhsa_kernarg_size 152
		.amdhsa_user_sgpr_count 6
		.amdhsa_user_sgpr_private_segment_buffer 1
		.amdhsa_user_sgpr_dispatch_ptr 0
		.amdhsa_user_sgpr_queue_ptr 0
		.amdhsa_user_sgpr_kernarg_segment_ptr 1
		.amdhsa_user_sgpr_dispatch_id 0
		.amdhsa_user_sgpr_flat_scratch_init 0
		.amdhsa_user_sgpr_kernarg_preload_length 0
		.amdhsa_user_sgpr_kernarg_preload_offset 0
		.amdhsa_user_sgpr_private_segment_size 0
		.amdhsa_uses_dynamic_stack 0
		.amdhsa_system_sgpr_private_segment_wavefront_offset 0
		.amdhsa_system_sgpr_workgroup_id_x 1
		.amdhsa_system_sgpr_workgroup_id_y 0
		.amdhsa_system_sgpr_workgroup_id_z 0
		.amdhsa_system_sgpr_workgroup_info 0
		.amdhsa_system_vgpr_workitem_id 0
		.amdhsa_next_free_vgpr 1
		.amdhsa_next_free_sgpr 0
		.amdhsa_accum_offset 4
		.amdhsa_reserve_vcc 0
		.amdhsa_reserve_flat_scratch 0
		.amdhsa_float_round_mode_32 0
		.amdhsa_float_round_mode_16_64 0
		.amdhsa_float_denorm_mode_32 3
		.amdhsa_float_denorm_mode_16_64 3
		.amdhsa_dx10_clamp 1
		.amdhsa_ieee_mode 1
		.amdhsa_fp16_overflow 0
		.amdhsa_tg_split 0
		.amdhsa_exception_fp_ieee_invalid_op 0
		.amdhsa_exception_fp_denorm_src 0
		.amdhsa_exception_fp_ieee_div_zero 0
		.amdhsa_exception_fp_ieee_overflow 0
		.amdhsa_exception_fp_ieee_underflow 0
		.amdhsa_exception_fp_ieee_inexact 0
		.amdhsa_exception_int_div_zero 0
	.end_amdhsa_kernel
	.section	.text._ZN7rocprim17ROCPRIM_400000_NS6detail17trampoline_kernelINS0_14default_configENS1_25partition_config_selectorILNS1_17partition_subalgoE0EiNS0_10empty_typeEbEEZZNS1_14partition_implILS5_0ELb0ES3_jN6thrust23THRUST_200600_302600_NS6detail15normal_iteratorINSA_10device_ptrIiEEEEPS6_SG_NS0_5tupleIJNSA_16discard_iteratorINSA_11use_defaultEEESK_EEENSH_IJSG_SG_EEES6_PlJ7is_evenIiEEEE10hipError_tPvRmT3_T4_T5_T6_T7_T9_mT8_P12ihipStream_tbDpT10_ENKUlT_T0_E_clISt17integral_constantIbLb1EES19_EEDaS14_S15_EUlS14_E_NS1_11comp_targetILNS1_3genE2ELNS1_11target_archE906ELNS1_3gpuE6ELNS1_3repE0EEENS1_30default_config_static_selectorELNS0_4arch9wavefront6targetE1EEEvT1_,"axG",@progbits,_ZN7rocprim17ROCPRIM_400000_NS6detail17trampoline_kernelINS0_14default_configENS1_25partition_config_selectorILNS1_17partition_subalgoE0EiNS0_10empty_typeEbEEZZNS1_14partition_implILS5_0ELb0ES3_jN6thrust23THRUST_200600_302600_NS6detail15normal_iteratorINSA_10device_ptrIiEEEEPS6_SG_NS0_5tupleIJNSA_16discard_iteratorINSA_11use_defaultEEESK_EEENSH_IJSG_SG_EEES6_PlJ7is_evenIiEEEE10hipError_tPvRmT3_T4_T5_T6_T7_T9_mT8_P12ihipStream_tbDpT10_ENKUlT_T0_E_clISt17integral_constantIbLb1EES19_EEDaS14_S15_EUlS14_E_NS1_11comp_targetILNS1_3genE2ELNS1_11target_archE906ELNS1_3gpuE6ELNS1_3repE0EEENS1_30default_config_static_selectorELNS0_4arch9wavefront6targetE1EEEvT1_,comdat
.Lfunc_end2695:
	.size	_ZN7rocprim17ROCPRIM_400000_NS6detail17trampoline_kernelINS0_14default_configENS1_25partition_config_selectorILNS1_17partition_subalgoE0EiNS0_10empty_typeEbEEZZNS1_14partition_implILS5_0ELb0ES3_jN6thrust23THRUST_200600_302600_NS6detail15normal_iteratorINSA_10device_ptrIiEEEEPS6_SG_NS0_5tupleIJNSA_16discard_iteratorINSA_11use_defaultEEESK_EEENSH_IJSG_SG_EEES6_PlJ7is_evenIiEEEE10hipError_tPvRmT3_T4_T5_T6_T7_T9_mT8_P12ihipStream_tbDpT10_ENKUlT_T0_E_clISt17integral_constantIbLb1EES19_EEDaS14_S15_EUlS14_E_NS1_11comp_targetILNS1_3genE2ELNS1_11target_archE906ELNS1_3gpuE6ELNS1_3repE0EEENS1_30default_config_static_selectorELNS0_4arch9wavefront6targetE1EEEvT1_, .Lfunc_end2695-_ZN7rocprim17ROCPRIM_400000_NS6detail17trampoline_kernelINS0_14default_configENS1_25partition_config_selectorILNS1_17partition_subalgoE0EiNS0_10empty_typeEbEEZZNS1_14partition_implILS5_0ELb0ES3_jN6thrust23THRUST_200600_302600_NS6detail15normal_iteratorINSA_10device_ptrIiEEEEPS6_SG_NS0_5tupleIJNSA_16discard_iteratorINSA_11use_defaultEEESK_EEENSH_IJSG_SG_EEES6_PlJ7is_evenIiEEEE10hipError_tPvRmT3_T4_T5_T6_T7_T9_mT8_P12ihipStream_tbDpT10_ENKUlT_T0_E_clISt17integral_constantIbLb1EES19_EEDaS14_S15_EUlS14_E_NS1_11comp_targetILNS1_3genE2ELNS1_11target_archE906ELNS1_3gpuE6ELNS1_3repE0EEENS1_30default_config_static_selectorELNS0_4arch9wavefront6targetE1EEEvT1_
                                        ; -- End function
	.section	.AMDGPU.csdata,"",@progbits
; Kernel info:
; codeLenInByte = 0
; NumSgprs: 4
; NumVgprs: 0
; NumAgprs: 0
; TotalNumVgprs: 0
; ScratchSize: 0
; MemoryBound: 0
; FloatMode: 240
; IeeeMode: 1
; LDSByteSize: 0 bytes/workgroup (compile time only)
; SGPRBlocks: 0
; VGPRBlocks: 0
; NumSGPRsForWavesPerEU: 4
; NumVGPRsForWavesPerEU: 1
; AccumOffset: 4
; Occupancy: 8
; WaveLimiterHint : 0
; COMPUTE_PGM_RSRC2:SCRATCH_EN: 0
; COMPUTE_PGM_RSRC2:USER_SGPR: 6
; COMPUTE_PGM_RSRC2:TRAP_HANDLER: 0
; COMPUTE_PGM_RSRC2:TGID_X_EN: 1
; COMPUTE_PGM_RSRC2:TGID_Y_EN: 0
; COMPUTE_PGM_RSRC2:TGID_Z_EN: 0
; COMPUTE_PGM_RSRC2:TIDIG_COMP_CNT: 0
; COMPUTE_PGM_RSRC3_GFX90A:ACCUM_OFFSET: 0
; COMPUTE_PGM_RSRC3_GFX90A:TG_SPLIT: 0
	.section	.text._ZN7rocprim17ROCPRIM_400000_NS6detail17trampoline_kernelINS0_14default_configENS1_25partition_config_selectorILNS1_17partition_subalgoE0EiNS0_10empty_typeEbEEZZNS1_14partition_implILS5_0ELb0ES3_jN6thrust23THRUST_200600_302600_NS6detail15normal_iteratorINSA_10device_ptrIiEEEEPS6_SG_NS0_5tupleIJNSA_16discard_iteratorINSA_11use_defaultEEESK_EEENSH_IJSG_SG_EEES6_PlJ7is_evenIiEEEE10hipError_tPvRmT3_T4_T5_T6_T7_T9_mT8_P12ihipStream_tbDpT10_ENKUlT_T0_E_clISt17integral_constantIbLb1EES19_EEDaS14_S15_EUlS14_E_NS1_11comp_targetILNS1_3genE10ELNS1_11target_archE1200ELNS1_3gpuE4ELNS1_3repE0EEENS1_30default_config_static_selectorELNS0_4arch9wavefront6targetE1EEEvT1_,"axG",@progbits,_ZN7rocprim17ROCPRIM_400000_NS6detail17trampoline_kernelINS0_14default_configENS1_25partition_config_selectorILNS1_17partition_subalgoE0EiNS0_10empty_typeEbEEZZNS1_14partition_implILS5_0ELb0ES3_jN6thrust23THRUST_200600_302600_NS6detail15normal_iteratorINSA_10device_ptrIiEEEEPS6_SG_NS0_5tupleIJNSA_16discard_iteratorINSA_11use_defaultEEESK_EEENSH_IJSG_SG_EEES6_PlJ7is_evenIiEEEE10hipError_tPvRmT3_T4_T5_T6_T7_T9_mT8_P12ihipStream_tbDpT10_ENKUlT_T0_E_clISt17integral_constantIbLb1EES19_EEDaS14_S15_EUlS14_E_NS1_11comp_targetILNS1_3genE10ELNS1_11target_archE1200ELNS1_3gpuE4ELNS1_3repE0EEENS1_30default_config_static_selectorELNS0_4arch9wavefront6targetE1EEEvT1_,comdat
	.protected	_ZN7rocprim17ROCPRIM_400000_NS6detail17trampoline_kernelINS0_14default_configENS1_25partition_config_selectorILNS1_17partition_subalgoE0EiNS0_10empty_typeEbEEZZNS1_14partition_implILS5_0ELb0ES3_jN6thrust23THRUST_200600_302600_NS6detail15normal_iteratorINSA_10device_ptrIiEEEEPS6_SG_NS0_5tupleIJNSA_16discard_iteratorINSA_11use_defaultEEESK_EEENSH_IJSG_SG_EEES6_PlJ7is_evenIiEEEE10hipError_tPvRmT3_T4_T5_T6_T7_T9_mT8_P12ihipStream_tbDpT10_ENKUlT_T0_E_clISt17integral_constantIbLb1EES19_EEDaS14_S15_EUlS14_E_NS1_11comp_targetILNS1_3genE10ELNS1_11target_archE1200ELNS1_3gpuE4ELNS1_3repE0EEENS1_30default_config_static_selectorELNS0_4arch9wavefront6targetE1EEEvT1_ ; -- Begin function _ZN7rocprim17ROCPRIM_400000_NS6detail17trampoline_kernelINS0_14default_configENS1_25partition_config_selectorILNS1_17partition_subalgoE0EiNS0_10empty_typeEbEEZZNS1_14partition_implILS5_0ELb0ES3_jN6thrust23THRUST_200600_302600_NS6detail15normal_iteratorINSA_10device_ptrIiEEEEPS6_SG_NS0_5tupleIJNSA_16discard_iteratorINSA_11use_defaultEEESK_EEENSH_IJSG_SG_EEES6_PlJ7is_evenIiEEEE10hipError_tPvRmT3_T4_T5_T6_T7_T9_mT8_P12ihipStream_tbDpT10_ENKUlT_T0_E_clISt17integral_constantIbLb1EES19_EEDaS14_S15_EUlS14_E_NS1_11comp_targetILNS1_3genE10ELNS1_11target_archE1200ELNS1_3gpuE4ELNS1_3repE0EEENS1_30default_config_static_selectorELNS0_4arch9wavefront6targetE1EEEvT1_
	.globl	_ZN7rocprim17ROCPRIM_400000_NS6detail17trampoline_kernelINS0_14default_configENS1_25partition_config_selectorILNS1_17partition_subalgoE0EiNS0_10empty_typeEbEEZZNS1_14partition_implILS5_0ELb0ES3_jN6thrust23THRUST_200600_302600_NS6detail15normal_iteratorINSA_10device_ptrIiEEEEPS6_SG_NS0_5tupleIJNSA_16discard_iteratorINSA_11use_defaultEEESK_EEENSH_IJSG_SG_EEES6_PlJ7is_evenIiEEEE10hipError_tPvRmT3_T4_T5_T6_T7_T9_mT8_P12ihipStream_tbDpT10_ENKUlT_T0_E_clISt17integral_constantIbLb1EES19_EEDaS14_S15_EUlS14_E_NS1_11comp_targetILNS1_3genE10ELNS1_11target_archE1200ELNS1_3gpuE4ELNS1_3repE0EEENS1_30default_config_static_selectorELNS0_4arch9wavefront6targetE1EEEvT1_
	.p2align	8
	.type	_ZN7rocprim17ROCPRIM_400000_NS6detail17trampoline_kernelINS0_14default_configENS1_25partition_config_selectorILNS1_17partition_subalgoE0EiNS0_10empty_typeEbEEZZNS1_14partition_implILS5_0ELb0ES3_jN6thrust23THRUST_200600_302600_NS6detail15normal_iteratorINSA_10device_ptrIiEEEEPS6_SG_NS0_5tupleIJNSA_16discard_iteratorINSA_11use_defaultEEESK_EEENSH_IJSG_SG_EEES6_PlJ7is_evenIiEEEE10hipError_tPvRmT3_T4_T5_T6_T7_T9_mT8_P12ihipStream_tbDpT10_ENKUlT_T0_E_clISt17integral_constantIbLb1EES19_EEDaS14_S15_EUlS14_E_NS1_11comp_targetILNS1_3genE10ELNS1_11target_archE1200ELNS1_3gpuE4ELNS1_3repE0EEENS1_30default_config_static_selectorELNS0_4arch9wavefront6targetE1EEEvT1_,@function
_ZN7rocprim17ROCPRIM_400000_NS6detail17trampoline_kernelINS0_14default_configENS1_25partition_config_selectorILNS1_17partition_subalgoE0EiNS0_10empty_typeEbEEZZNS1_14partition_implILS5_0ELb0ES3_jN6thrust23THRUST_200600_302600_NS6detail15normal_iteratorINSA_10device_ptrIiEEEEPS6_SG_NS0_5tupleIJNSA_16discard_iteratorINSA_11use_defaultEEESK_EEENSH_IJSG_SG_EEES6_PlJ7is_evenIiEEEE10hipError_tPvRmT3_T4_T5_T6_T7_T9_mT8_P12ihipStream_tbDpT10_ENKUlT_T0_E_clISt17integral_constantIbLb1EES19_EEDaS14_S15_EUlS14_E_NS1_11comp_targetILNS1_3genE10ELNS1_11target_archE1200ELNS1_3gpuE4ELNS1_3repE0EEENS1_30default_config_static_selectorELNS0_4arch9wavefront6targetE1EEEvT1_: ; @_ZN7rocprim17ROCPRIM_400000_NS6detail17trampoline_kernelINS0_14default_configENS1_25partition_config_selectorILNS1_17partition_subalgoE0EiNS0_10empty_typeEbEEZZNS1_14partition_implILS5_0ELb0ES3_jN6thrust23THRUST_200600_302600_NS6detail15normal_iteratorINSA_10device_ptrIiEEEEPS6_SG_NS0_5tupleIJNSA_16discard_iteratorINSA_11use_defaultEEESK_EEENSH_IJSG_SG_EEES6_PlJ7is_evenIiEEEE10hipError_tPvRmT3_T4_T5_T6_T7_T9_mT8_P12ihipStream_tbDpT10_ENKUlT_T0_E_clISt17integral_constantIbLb1EES19_EEDaS14_S15_EUlS14_E_NS1_11comp_targetILNS1_3genE10ELNS1_11target_archE1200ELNS1_3gpuE4ELNS1_3repE0EEENS1_30default_config_static_selectorELNS0_4arch9wavefront6targetE1EEEvT1_
; %bb.0:
	.section	.rodata,"a",@progbits
	.p2align	6, 0x0
	.amdhsa_kernel _ZN7rocprim17ROCPRIM_400000_NS6detail17trampoline_kernelINS0_14default_configENS1_25partition_config_selectorILNS1_17partition_subalgoE0EiNS0_10empty_typeEbEEZZNS1_14partition_implILS5_0ELb0ES3_jN6thrust23THRUST_200600_302600_NS6detail15normal_iteratorINSA_10device_ptrIiEEEEPS6_SG_NS0_5tupleIJNSA_16discard_iteratorINSA_11use_defaultEEESK_EEENSH_IJSG_SG_EEES6_PlJ7is_evenIiEEEE10hipError_tPvRmT3_T4_T5_T6_T7_T9_mT8_P12ihipStream_tbDpT10_ENKUlT_T0_E_clISt17integral_constantIbLb1EES19_EEDaS14_S15_EUlS14_E_NS1_11comp_targetILNS1_3genE10ELNS1_11target_archE1200ELNS1_3gpuE4ELNS1_3repE0EEENS1_30default_config_static_selectorELNS0_4arch9wavefront6targetE1EEEvT1_
		.amdhsa_group_segment_fixed_size 0
		.amdhsa_private_segment_fixed_size 0
		.amdhsa_kernarg_size 152
		.amdhsa_user_sgpr_count 6
		.amdhsa_user_sgpr_private_segment_buffer 1
		.amdhsa_user_sgpr_dispatch_ptr 0
		.amdhsa_user_sgpr_queue_ptr 0
		.amdhsa_user_sgpr_kernarg_segment_ptr 1
		.amdhsa_user_sgpr_dispatch_id 0
		.amdhsa_user_sgpr_flat_scratch_init 0
		.amdhsa_user_sgpr_kernarg_preload_length 0
		.amdhsa_user_sgpr_kernarg_preload_offset 0
		.amdhsa_user_sgpr_private_segment_size 0
		.amdhsa_uses_dynamic_stack 0
		.amdhsa_system_sgpr_private_segment_wavefront_offset 0
		.amdhsa_system_sgpr_workgroup_id_x 1
		.amdhsa_system_sgpr_workgroup_id_y 0
		.amdhsa_system_sgpr_workgroup_id_z 0
		.amdhsa_system_sgpr_workgroup_info 0
		.amdhsa_system_vgpr_workitem_id 0
		.amdhsa_next_free_vgpr 1
		.amdhsa_next_free_sgpr 0
		.amdhsa_accum_offset 4
		.amdhsa_reserve_vcc 0
		.amdhsa_reserve_flat_scratch 0
		.amdhsa_float_round_mode_32 0
		.amdhsa_float_round_mode_16_64 0
		.amdhsa_float_denorm_mode_32 3
		.amdhsa_float_denorm_mode_16_64 3
		.amdhsa_dx10_clamp 1
		.amdhsa_ieee_mode 1
		.amdhsa_fp16_overflow 0
		.amdhsa_tg_split 0
		.amdhsa_exception_fp_ieee_invalid_op 0
		.amdhsa_exception_fp_denorm_src 0
		.amdhsa_exception_fp_ieee_div_zero 0
		.amdhsa_exception_fp_ieee_overflow 0
		.amdhsa_exception_fp_ieee_underflow 0
		.amdhsa_exception_fp_ieee_inexact 0
		.amdhsa_exception_int_div_zero 0
	.end_amdhsa_kernel
	.section	.text._ZN7rocprim17ROCPRIM_400000_NS6detail17trampoline_kernelINS0_14default_configENS1_25partition_config_selectorILNS1_17partition_subalgoE0EiNS0_10empty_typeEbEEZZNS1_14partition_implILS5_0ELb0ES3_jN6thrust23THRUST_200600_302600_NS6detail15normal_iteratorINSA_10device_ptrIiEEEEPS6_SG_NS0_5tupleIJNSA_16discard_iteratorINSA_11use_defaultEEESK_EEENSH_IJSG_SG_EEES6_PlJ7is_evenIiEEEE10hipError_tPvRmT3_T4_T5_T6_T7_T9_mT8_P12ihipStream_tbDpT10_ENKUlT_T0_E_clISt17integral_constantIbLb1EES19_EEDaS14_S15_EUlS14_E_NS1_11comp_targetILNS1_3genE10ELNS1_11target_archE1200ELNS1_3gpuE4ELNS1_3repE0EEENS1_30default_config_static_selectorELNS0_4arch9wavefront6targetE1EEEvT1_,"axG",@progbits,_ZN7rocprim17ROCPRIM_400000_NS6detail17trampoline_kernelINS0_14default_configENS1_25partition_config_selectorILNS1_17partition_subalgoE0EiNS0_10empty_typeEbEEZZNS1_14partition_implILS5_0ELb0ES3_jN6thrust23THRUST_200600_302600_NS6detail15normal_iteratorINSA_10device_ptrIiEEEEPS6_SG_NS0_5tupleIJNSA_16discard_iteratorINSA_11use_defaultEEESK_EEENSH_IJSG_SG_EEES6_PlJ7is_evenIiEEEE10hipError_tPvRmT3_T4_T5_T6_T7_T9_mT8_P12ihipStream_tbDpT10_ENKUlT_T0_E_clISt17integral_constantIbLb1EES19_EEDaS14_S15_EUlS14_E_NS1_11comp_targetILNS1_3genE10ELNS1_11target_archE1200ELNS1_3gpuE4ELNS1_3repE0EEENS1_30default_config_static_selectorELNS0_4arch9wavefront6targetE1EEEvT1_,comdat
.Lfunc_end2696:
	.size	_ZN7rocprim17ROCPRIM_400000_NS6detail17trampoline_kernelINS0_14default_configENS1_25partition_config_selectorILNS1_17partition_subalgoE0EiNS0_10empty_typeEbEEZZNS1_14partition_implILS5_0ELb0ES3_jN6thrust23THRUST_200600_302600_NS6detail15normal_iteratorINSA_10device_ptrIiEEEEPS6_SG_NS0_5tupleIJNSA_16discard_iteratorINSA_11use_defaultEEESK_EEENSH_IJSG_SG_EEES6_PlJ7is_evenIiEEEE10hipError_tPvRmT3_T4_T5_T6_T7_T9_mT8_P12ihipStream_tbDpT10_ENKUlT_T0_E_clISt17integral_constantIbLb1EES19_EEDaS14_S15_EUlS14_E_NS1_11comp_targetILNS1_3genE10ELNS1_11target_archE1200ELNS1_3gpuE4ELNS1_3repE0EEENS1_30default_config_static_selectorELNS0_4arch9wavefront6targetE1EEEvT1_, .Lfunc_end2696-_ZN7rocprim17ROCPRIM_400000_NS6detail17trampoline_kernelINS0_14default_configENS1_25partition_config_selectorILNS1_17partition_subalgoE0EiNS0_10empty_typeEbEEZZNS1_14partition_implILS5_0ELb0ES3_jN6thrust23THRUST_200600_302600_NS6detail15normal_iteratorINSA_10device_ptrIiEEEEPS6_SG_NS0_5tupleIJNSA_16discard_iteratorINSA_11use_defaultEEESK_EEENSH_IJSG_SG_EEES6_PlJ7is_evenIiEEEE10hipError_tPvRmT3_T4_T5_T6_T7_T9_mT8_P12ihipStream_tbDpT10_ENKUlT_T0_E_clISt17integral_constantIbLb1EES19_EEDaS14_S15_EUlS14_E_NS1_11comp_targetILNS1_3genE10ELNS1_11target_archE1200ELNS1_3gpuE4ELNS1_3repE0EEENS1_30default_config_static_selectorELNS0_4arch9wavefront6targetE1EEEvT1_
                                        ; -- End function
	.section	.AMDGPU.csdata,"",@progbits
; Kernel info:
; codeLenInByte = 0
; NumSgprs: 4
; NumVgprs: 0
; NumAgprs: 0
; TotalNumVgprs: 0
; ScratchSize: 0
; MemoryBound: 0
; FloatMode: 240
; IeeeMode: 1
; LDSByteSize: 0 bytes/workgroup (compile time only)
; SGPRBlocks: 0
; VGPRBlocks: 0
; NumSGPRsForWavesPerEU: 4
; NumVGPRsForWavesPerEU: 1
; AccumOffset: 4
; Occupancy: 8
; WaveLimiterHint : 0
; COMPUTE_PGM_RSRC2:SCRATCH_EN: 0
; COMPUTE_PGM_RSRC2:USER_SGPR: 6
; COMPUTE_PGM_RSRC2:TRAP_HANDLER: 0
; COMPUTE_PGM_RSRC2:TGID_X_EN: 1
; COMPUTE_PGM_RSRC2:TGID_Y_EN: 0
; COMPUTE_PGM_RSRC2:TGID_Z_EN: 0
; COMPUTE_PGM_RSRC2:TIDIG_COMP_CNT: 0
; COMPUTE_PGM_RSRC3_GFX90A:ACCUM_OFFSET: 0
; COMPUTE_PGM_RSRC3_GFX90A:TG_SPLIT: 0
	.section	.text._ZN7rocprim17ROCPRIM_400000_NS6detail17trampoline_kernelINS0_14default_configENS1_25partition_config_selectorILNS1_17partition_subalgoE0EiNS0_10empty_typeEbEEZZNS1_14partition_implILS5_0ELb0ES3_jN6thrust23THRUST_200600_302600_NS6detail15normal_iteratorINSA_10device_ptrIiEEEEPS6_SG_NS0_5tupleIJNSA_16discard_iteratorINSA_11use_defaultEEESK_EEENSH_IJSG_SG_EEES6_PlJ7is_evenIiEEEE10hipError_tPvRmT3_T4_T5_T6_T7_T9_mT8_P12ihipStream_tbDpT10_ENKUlT_T0_E_clISt17integral_constantIbLb1EES19_EEDaS14_S15_EUlS14_E_NS1_11comp_targetILNS1_3genE9ELNS1_11target_archE1100ELNS1_3gpuE3ELNS1_3repE0EEENS1_30default_config_static_selectorELNS0_4arch9wavefront6targetE1EEEvT1_,"axG",@progbits,_ZN7rocprim17ROCPRIM_400000_NS6detail17trampoline_kernelINS0_14default_configENS1_25partition_config_selectorILNS1_17partition_subalgoE0EiNS0_10empty_typeEbEEZZNS1_14partition_implILS5_0ELb0ES3_jN6thrust23THRUST_200600_302600_NS6detail15normal_iteratorINSA_10device_ptrIiEEEEPS6_SG_NS0_5tupleIJNSA_16discard_iteratorINSA_11use_defaultEEESK_EEENSH_IJSG_SG_EEES6_PlJ7is_evenIiEEEE10hipError_tPvRmT3_T4_T5_T6_T7_T9_mT8_P12ihipStream_tbDpT10_ENKUlT_T0_E_clISt17integral_constantIbLb1EES19_EEDaS14_S15_EUlS14_E_NS1_11comp_targetILNS1_3genE9ELNS1_11target_archE1100ELNS1_3gpuE3ELNS1_3repE0EEENS1_30default_config_static_selectorELNS0_4arch9wavefront6targetE1EEEvT1_,comdat
	.protected	_ZN7rocprim17ROCPRIM_400000_NS6detail17trampoline_kernelINS0_14default_configENS1_25partition_config_selectorILNS1_17partition_subalgoE0EiNS0_10empty_typeEbEEZZNS1_14partition_implILS5_0ELb0ES3_jN6thrust23THRUST_200600_302600_NS6detail15normal_iteratorINSA_10device_ptrIiEEEEPS6_SG_NS0_5tupleIJNSA_16discard_iteratorINSA_11use_defaultEEESK_EEENSH_IJSG_SG_EEES6_PlJ7is_evenIiEEEE10hipError_tPvRmT3_T4_T5_T6_T7_T9_mT8_P12ihipStream_tbDpT10_ENKUlT_T0_E_clISt17integral_constantIbLb1EES19_EEDaS14_S15_EUlS14_E_NS1_11comp_targetILNS1_3genE9ELNS1_11target_archE1100ELNS1_3gpuE3ELNS1_3repE0EEENS1_30default_config_static_selectorELNS0_4arch9wavefront6targetE1EEEvT1_ ; -- Begin function _ZN7rocprim17ROCPRIM_400000_NS6detail17trampoline_kernelINS0_14default_configENS1_25partition_config_selectorILNS1_17partition_subalgoE0EiNS0_10empty_typeEbEEZZNS1_14partition_implILS5_0ELb0ES3_jN6thrust23THRUST_200600_302600_NS6detail15normal_iteratorINSA_10device_ptrIiEEEEPS6_SG_NS0_5tupleIJNSA_16discard_iteratorINSA_11use_defaultEEESK_EEENSH_IJSG_SG_EEES6_PlJ7is_evenIiEEEE10hipError_tPvRmT3_T4_T5_T6_T7_T9_mT8_P12ihipStream_tbDpT10_ENKUlT_T0_E_clISt17integral_constantIbLb1EES19_EEDaS14_S15_EUlS14_E_NS1_11comp_targetILNS1_3genE9ELNS1_11target_archE1100ELNS1_3gpuE3ELNS1_3repE0EEENS1_30default_config_static_selectorELNS0_4arch9wavefront6targetE1EEEvT1_
	.globl	_ZN7rocprim17ROCPRIM_400000_NS6detail17trampoline_kernelINS0_14default_configENS1_25partition_config_selectorILNS1_17partition_subalgoE0EiNS0_10empty_typeEbEEZZNS1_14partition_implILS5_0ELb0ES3_jN6thrust23THRUST_200600_302600_NS6detail15normal_iteratorINSA_10device_ptrIiEEEEPS6_SG_NS0_5tupleIJNSA_16discard_iteratorINSA_11use_defaultEEESK_EEENSH_IJSG_SG_EEES6_PlJ7is_evenIiEEEE10hipError_tPvRmT3_T4_T5_T6_T7_T9_mT8_P12ihipStream_tbDpT10_ENKUlT_T0_E_clISt17integral_constantIbLb1EES19_EEDaS14_S15_EUlS14_E_NS1_11comp_targetILNS1_3genE9ELNS1_11target_archE1100ELNS1_3gpuE3ELNS1_3repE0EEENS1_30default_config_static_selectorELNS0_4arch9wavefront6targetE1EEEvT1_
	.p2align	8
	.type	_ZN7rocprim17ROCPRIM_400000_NS6detail17trampoline_kernelINS0_14default_configENS1_25partition_config_selectorILNS1_17partition_subalgoE0EiNS0_10empty_typeEbEEZZNS1_14partition_implILS5_0ELb0ES3_jN6thrust23THRUST_200600_302600_NS6detail15normal_iteratorINSA_10device_ptrIiEEEEPS6_SG_NS0_5tupleIJNSA_16discard_iteratorINSA_11use_defaultEEESK_EEENSH_IJSG_SG_EEES6_PlJ7is_evenIiEEEE10hipError_tPvRmT3_T4_T5_T6_T7_T9_mT8_P12ihipStream_tbDpT10_ENKUlT_T0_E_clISt17integral_constantIbLb1EES19_EEDaS14_S15_EUlS14_E_NS1_11comp_targetILNS1_3genE9ELNS1_11target_archE1100ELNS1_3gpuE3ELNS1_3repE0EEENS1_30default_config_static_selectorELNS0_4arch9wavefront6targetE1EEEvT1_,@function
_ZN7rocprim17ROCPRIM_400000_NS6detail17trampoline_kernelINS0_14default_configENS1_25partition_config_selectorILNS1_17partition_subalgoE0EiNS0_10empty_typeEbEEZZNS1_14partition_implILS5_0ELb0ES3_jN6thrust23THRUST_200600_302600_NS6detail15normal_iteratorINSA_10device_ptrIiEEEEPS6_SG_NS0_5tupleIJNSA_16discard_iteratorINSA_11use_defaultEEESK_EEENSH_IJSG_SG_EEES6_PlJ7is_evenIiEEEE10hipError_tPvRmT3_T4_T5_T6_T7_T9_mT8_P12ihipStream_tbDpT10_ENKUlT_T0_E_clISt17integral_constantIbLb1EES19_EEDaS14_S15_EUlS14_E_NS1_11comp_targetILNS1_3genE9ELNS1_11target_archE1100ELNS1_3gpuE3ELNS1_3repE0EEENS1_30default_config_static_selectorELNS0_4arch9wavefront6targetE1EEEvT1_: ; @_ZN7rocprim17ROCPRIM_400000_NS6detail17trampoline_kernelINS0_14default_configENS1_25partition_config_selectorILNS1_17partition_subalgoE0EiNS0_10empty_typeEbEEZZNS1_14partition_implILS5_0ELb0ES3_jN6thrust23THRUST_200600_302600_NS6detail15normal_iteratorINSA_10device_ptrIiEEEEPS6_SG_NS0_5tupleIJNSA_16discard_iteratorINSA_11use_defaultEEESK_EEENSH_IJSG_SG_EEES6_PlJ7is_evenIiEEEE10hipError_tPvRmT3_T4_T5_T6_T7_T9_mT8_P12ihipStream_tbDpT10_ENKUlT_T0_E_clISt17integral_constantIbLb1EES19_EEDaS14_S15_EUlS14_E_NS1_11comp_targetILNS1_3genE9ELNS1_11target_archE1100ELNS1_3gpuE3ELNS1_3repE0EEENS1_30default_config_static_selectorELNS0_4arch9wavefront6targetE1EEEvT1_
; %bb.0:
	.section	.rodata,"a",@progbits
	.p2align	6, 0x0
	.amdhsa_kernel _ZN7rocprim17ROCPRIM_400000_NS6detail17trampoline_kernelINS0_14default_configENS1_25partition_config_selectorILNS1_17partition_subalgoE0EiNS0_10empty_typeEbEEZZNS1_14partition_implILS5_0ELb0ES3_jN6thrust23THRUST_200600_302600_NS6detail15normal_iteratorINSA_10device_ptrIiEEEEPS6_SG_NS0_5tupleIJNSA_16discard_iteratorINSA_11use_defaultEEESK_EEENSH_IJSG_SG_EEES6_PlJ7is_evenIiEEEE10hipError_tPvRmT3_T4_T5_T6_T7_T9_mT8_P12ihipStream_tbDpT10_ENKUlT_T0_E_clISt17integral_constantIbLb1EES19_EEDaS14_S15_EUlS14_E_NS1_11comp_targetILNS1_3genE9ELNS1_11target_archE1100ELNS1_3gpuE3ELNS1_3repE0EEENS1_30default_config_static_selectorELNS0_4arch9wavefront6targetE1EEEvT1_
		.amdhsa_group_segment_fixed_size 0
		.amdhsa_private_segment_fixed_size 0
		.amdhsa_kernarg_size 152
		.amdhsa_user_sgpr_count 6
		.amdhsa_user_sgpr_private_segment_buffer 1
		.amdhsa_user_sgpr_dispatch_ptr 0
		.amdhsa_user_sgpr_queue_ptr 0
		.amdhsa_user_sgpr_kernarg_segment_ptr 1
		.amdhsa_user_sgpr_dispatch_id 0
		.amdhsa_user_sgpr_flat_scratch_init 0
		.amdhsa_user_sgpr_kernarg_preload_length 0
		.amdhsa_user_sgpr_kernarg_preload_offset 0
		.amdhsa_user_sgpr_private_segment_size 0
		.amdhsa_uses_dynamic_stack 0
		.amdhsa_system_sgpr_private_segment_wavefront_offset 0
		.amdhsa_system_sgpr_workgroup_id_x 1
		.amdhsa_system_sgpr_workgroup_id_y 0
		.amdhsa_system_sgpr_workgroup_id_z 0
		.amdhsa_system_sgpr_workgroup_info 0
		.amdhsa_system_vgpr_workitem_id 0
		.amdhsa_next_free_vgpr 1
		.amdhsa_next_free_sgpr 0
		.amdhsa_accum_offset 4
		.amdhsa_reserve_vcc 0
		.amdhsa_reserve_flat_scratch 0
		.amdhsa_float_round_mode_32 0
		.amdhsa_float_round_mode_16_64 0
		.amdhsa_float_denorm_mode_32 3
		.amdhsa_float_denorm_mode_16_64 3
		.amdhsa_dx10_clamp 1
		.amdhsa_ieee_mode 1
		.amdhsa_fp16_overflow 0
		.amdhsa_tg_split 0
		.amdhsa_exception_fp_ieee_invalid_op 0
		.amdhsa_exception_fp_denorm_src 0
		.amdhsa_exception_fp_ieee_div_zero 0
		.amdhsa_exception_fp_ieee_overflow 0
		.amdhsa_exception_fp_ieee_underflow 0
		.amdhsa_exception_fp_ieee_inexact 0
		.amdhsa_exception_int_div_zero 0
	.end_amdhsa_kernel
	.section	.text._ZN7rocprim17ROCPRIM_400000_NS6detail17trampoline_kernelINS0_14default_configENS1_25partition_config_selectorILNS1_17partition_subalgoE0EiNS0_10empty_typeEbEEZZNS1_14partition_implILS5_0ELb0ES3_jN6thrust23THRUST_200600_302600_NS6detail15normal_iteratorINSA_10device_ptrIiEEEEPS6_SG_NS0_5tupleIJNSA_16discard_iteratorINSA_11use_defaultEEESK_EEENSH_IJSG_SG_EEES6_PlJ7is_evenIiEEEE10hipError_tPvRmT3_T4_T5_T6_T7_T9_mT8_P12ihipStream_tbDpT10_ENKUlT_T0_E_clISt17integral_constantIbLb1EES19_EEDaS14_S15_EUlS14_E_NS1_11comp_targetILNS1_3genE9ELNS1_11target_archE1100ELNS1_3gpuE3ELNS1_3repE0EEENS1_30default_config_static_selectorELNS0_4arch9wavefront6targetE1EEEvT1_,"axG",@progbits,_ZN7rocprim17ROCPRIM_400000_NS6detail17trampoline_kernelINS0_14default_configENS1_25partition_config_selectorILNS1_17partition_subalgoE0EiNS0_10empty_typeEbEEZZNS1_14partition_implILS5_0ELb0ES3_jN6thrust23THRUST_200600_302600_NS6detail15normal_iteratorINSA_10device_ptrIiEEEEPS6_SG_NS0_5tupleIJNSA_16discard_iteratorINSA_11use_defaultEEESK_EEENSH_IJSG_SG_EEES6_PlJ7is_evenIiEEEE10hipError_tPvRmT3_T4_T5_T6_T7_T9_mT8_P12ihipStream_tbDpT10_ENKUlT_T0_E_clISt17integral_constantIbLb1EES19_EEDaS14_S15_EUlS14_E_NS1_11comp_targetILNS1_3genE9ELNS1_11target_archE1100ELNS1_3gpuE3ELNS1_3repE0EEENS1_30default_config_static_selectorELNS0_4arch9wavefront6targetE1EEEvT1_,comdat
.Lfunc_end2697:
	.size	_ZN7rocprim17ROCPRIM_400000_NS6detail17trampoline_kernelINS0_14default_configENS1_25partition_config_selectorILNS1_17partition_subalgoE0EiNS0_10empty_typeEbEEZZNS1_14partition_implILS5_0ELb0ES3_jN6thrust23THRUST_200600_302600_NS6detail15normal_iteratorINSA_10device_ptrIiEEEEPS6_SG_NS0_5tupleIJNSA_16discard_iteratorINSA_11use_defaultEEESK_EEENSH_IJSG_SG_EEES6_PlJ7is_evenIiEEEE10hipError_tPvRmT3_T4_T5_T6_T7_T9_mT8_P12ihipStream_tbDpT10_ENKUlT_T0_E_clISt17integral_constantIbLb1EES19_EEDaS14_S15_EUlS14_E_NS1_11comp_targetILNS1_3genE9ELNS1_11target_archE1100ELNS1_3gpuE3ELNS1_3repE0EEENS1_30default_config_static_selectorELNS0_4arch9wavefront6targetE1EEEvT1_, .Lfunc_end2697-_ZN7rocprim17ROCPRIM_400000_NS6detail17trampoline_kernelINS0_14default_configENS1_25partition_config_selectorILNS1_17partition_subalgoE0EiNS0_10empty_typeEbEEZZNS1_14partition_implILS5_0ELb0ES3_jN6thrust23THRUST_200600_302600_NS6detail15normal_iteratorINSA_10device_ptrIiEEEEPS6_SG_NS0_5tupleIJNSA_16discard_iteratorINSA_11use_defaultEEESK_EEENSH_IJSG_SG_EEES6_PlJ7is_evenIiEEEE10hipError_tPvRmT3_T4_T5_T6_T7_T9_mT8_P12ihipStream_tbDpT10_ENKUlT_T0_E_clISt17integral_constantIbLb1EES19_EEDaS14_S15_EUlS14_E_NS1_11comp_targetILNS1_3genE9ELNS1_11target_archE1100ELNS1_3gpuE3ELNS1_3repE0EEENS1_30default_config_static_selectorELNS0_4arch9wavefront6targetE1EEEvT1_
                                        ; -- End function
	.section	.AMDGPU.csdata,"",@progbits
; Kernel info:
; codeLenInByte = 0
; NumSgprs: 4
; NumVgprs: 0
; NumAgprs: 0
; TotalNumVgprs: 0
; ScratchSize: 0
; MemoryBound: 0
; FloatMode: 240
; IeeeMode: 1
; LDSByteSize: 0 bytes/workgroup (compile time only)
; SGPRBlocks: 0
; VGPRBlocks: 0
; NumSGPRsForWavesPerEU: 4
; NumVGPRsForWavesPerEU: 1
; AccumOffset: 4
; Occupancy: 8
; WaveLimiterHint : 0
; COMPUTE_PGM_RSRC2:SCRATCH_EN: 0
; COMPUTE_PGM_RSRC2:USER_SGPR: 6
; COMPUTE_PGM_RSRC2:TRAP_HANDLER: 0
; COMPUTE_PGM_RSRC2:TGID_X_EN: 1
; COMPUTE_PGM_RSRC2:TGID_Y_EN: 0
; COMPUTE_PGM_RSRC2:TGID_Z_EN: 0
; COMPUTE_PGM_RSRC2:TIDIG_COMP_CNT: 0
; COMPUTE_PGM_RSRC3_GFX90A:ACCUM_OFFSET: 0
; COMPUTE_PGM_RSRC3_GFX90A:TG_SPLIT: 0
	.section	.text._ZN7rocprim17ROCPRIM_400000_NS6detail17trampoline_kernelINS0_14default_configENS1_25partition_config_selectorILNS1_17partition_subalgoE0EiNS0_10empty_typeEbEEZZNS1_14partition_implILS5_0ELb0ES3_jN6thrust23THRUST_200600_302600_NS6detail15normal_iteratorINSA_10device_ptrIiEEEEPS6_SG_NS0_5tupleIJNSA_16discard_iteratorINSA_11use_defaultEEESK_EEENSH_IJSG_SG_EEES6_PlJ7is_evenIiEEEE10hipError_tPvRmT3_T4_T5_T6_T7_T9_mT8_P12ihipStream_tbDpT10_ENKUlT_T0_E_clISt17integral_constantIbLb1EES19_EEDaS14_S15_EUlS14_E_NS1_11comp_targetILNS1_3genE8ELNS1_11target_archE1030ELNS1_3gpuE2ELNS1_3repE0EEENS1_30default_config_static_selectorELNS0_4arch9wavefront6targetE1EEEvT1_,"axG",@progbits,_ZN7rocprim17ROCPRIM_400000_NS6detail17trampoline_kernelINS0_14default_configENS1_25partition_config_selectorILNS1_17partition_subalgoE0EiNS0_10empty_typeEbEEZZNS1_14partition_implILS5_0ELb0ES3_jN6thrust23THRUST_200600_302600_NS6detail15normal_iteratorINSA_10device_ptrIiEEEEPS6_SG_NS0_5tupleIJNSA_16discard_iteratorINSA_11use_defaultEEESK_EEENSH_IJSG_SG_EEES6_PlJ7is_evenIiEEEE10hipError_tPvRmT3_T4_T5_T6_T7_T9_mT8_P12ihipStream_tbDpT10_ENKUlT_T0_E_clISt17integral_constantIbLb1EES19_EEDaS14_S15_EUlS14_E_NS1_11comp_targetILNS1_3genE8ELNS1_11target_archE1030ELNS1_3gpuE2ELNS1_3repE0EEENS1_30default_config_static_selectorELNS0_4arch9wavefront6targetE1EEEvT1_,comdat
	.protected	_ZN7rocprim17ROCPRIM_400000_NS6detail17trampoline_kernelINS0_14default_configENS1_25partition_config_selectorILNS1_17partition_subalgoE0EiNS0_10empty_typeEbEEZZNS1_14partition_implILS5_0ELb0ES3_jN6thrust23THRUST_200600_302600_NS6detail15normal_iteratorINSA_10device_ptrIiEEEEPS6_SG_NS0_5tupleIJNSA_16discard_iteratorINSA_11use_defaultEEESK_EEENSH_IJSG_SG_EEES6_PlJ7is_evenIiEEEE10hipError_tPvRmT3_T4_T5_T6_T7_T9_mT8_P12ihipStream_tbDpT10_ENKUlT_T0_E_clISt17integral_constantIbLb1EES19_EEDaS14_S15_EUlS14_E_NS1_11comp_targetILNS1_3genE8ELNS1_11target_archE1030ELNS1_3gpuE2ELNS1_3repE0EEENS1_30default_config_static_selectorELNS0_4arch9wavefront6targetE1EEEvT1_ ; -- Begin function _ZN7rocprim17ROCPRIM_400000_NS6detail17trampoline_kernelINS0_14default_configENS1_25partition_config_selectorILNS1_17partition_subalgoE0EiNS0_10empty_typeEbEEZZNS1_14partition_implILS5_0ELb0ES3_jN6thrust23THRUST_200600_302600_NS6detail15normal_iteratorINSA_10device_ptrIiEEEEPS6_SG_NS0_5tupleIJNSA_16discard_iteratorINSA_11use_defaultEEESK_EEENSH_IJSG_SG_EEES6_PlJ7is_evenIiEEEE10hipError_tPvRmT3_T4_T5_T6_T7_T9_mT8_P12ihipStream_tbDpT10_ENKUlT_T0_E_clISt17integral_constantIbLb1EES19_EEDaS14_S15_EUlS14_E_NS1_11comp_targetILNS1_3genE8ELNS1_11target_archE1030ELNS1_3gpuE2ELNS1_3repE0EEENS1_30default_config_static_selectorELNS0_4arch9wavefront6targetE1EEEvT1_
	.globl	_ZN7rocprim17ROCPRIM_400000_NS6detail17trampoline_kernelINS0_14default_configENS1_25partition_config_selectorILNS1_17partition_subalgoE0EiNS0_10empty_typeEbEEZZNS1_14partition_implILS5_0ELb0ES3_jN6thrust23THRUST_200600_302600_NS6detail15normal_iteratorINSA_10device_ptrIiEEEEPS6_SG_NS0_5tupleIJNSA_16discard_iteratorINSA_11use_defaultEEESK_EEENSH_IJSG_SG_EEES6_PlJ7is_evenIiEEEE10hipError_tPvRmT3_T4_T5_T6_T7_T9_mT8_P12ihipStream_tbDpT10_ENKUlT_T0_E_clISt17integral_constantIbLb1EES19_EEDaS14_S15_EUlS14_E_NS1_11comp_targetILNS1_3genE8ELNS1_11target_archE1030ELNS1_3gpuE2ELNS1_3repE0EEENS1_30default_config_static_selectorELNS0_4arch9wavefront6targetE1EEEvT1_
	.p2align	8
	.type	_ZN7rocprim17ROCPRIM_400000_NS6detail17trampoline_kernelINS0_14default_configENS1_25partition_config_selectorILNS1_17partition_subalgoE0EiNS0_10empty_typeEbEEZZNS1_14partition_implILS5_0ELb0ES3_jN6thrust23THRUST_200600_302600_NS6detail15normal_iteratorINSA_10device_ptrIiEEEEPS6_SG_NS0_5tupleIJNSA_16discard_iteratorINSA_11use_defaultEEESK_EEENSH_IJSG_SG_EEES6_PlJ7is_evenIiEEEE10hipError_tPvRmT3_T4_T5_T6_T7_T9_mT8_P12ihipStream_tbDpT10_ENKUlT_T0_E_clISt17integral_constantIbLb1EES19_EEDaS14_S15_EUlS14_E_NS1_11comp_targetILNS1_3genE8ELNS1_11target_archE1030ELNS1_3gpuE2ELNS1_3repE0EEENS1_30default_config_static_selectorELNS0_4arch9wavefront6targetE1EEEvT1_,@function
_ZN7rocprim17ROCPRIM_400000_NS6detail17trampoline_kernelINS0_14default_configENS1_25partition_config_selectorILNS1_17partition_subalgoE0EiNS0_10empty_typeEbEEZZNS1_14partition_implILS5_0ELb0ES3_jN6thrust23THRUST_200600_302600_NS6detail15normal_iteratorINSA_10device_ptrIiEEEEPS6_SG_NS0_5tupleIJNSA_16discard_iteratorINSA_11use_defaultEEESK_EEENSH_IJSG_SG_EEES6_PlJ7is_evenIiEEEE10hipError_tPvRmT3_T4_T5_T6_T7_T9_mT8_P12ihipStream_tbDpT10_ENKUlT_T0_E_clISt17integral_constantIbLb1EES19_EEDaS14_S15_EUlS14_E_NS1_11comp_targetILNS1_3genE8ELNS1_11target_archE1030ELNS1_3gpuE2ELNS1_3repE0EEENS1_30default_config_static_selectorELNS0_4arch9wavefront6targetE1EEEvT1_: ; @_ZN7rocprim17ROCPRIM_400000_NS6detail17trampoline_kernelINS0_14default_configENS1_25partition_config_selectorILNS1_17partition_subalgoE0EiNS0_10empty_typeEbEEZZNS1_14partition_implILS5_0ELb0ES3_jN6thrust23THRUST_200600_302600_NS6detail15normal_iteratorINSA_10device_ptrIiEEEEPS6_SG_NS0_5tupleIJNSA_16discard_iteratorINSA_11use_defaultEEESK_EEENSH_IJSG_SG_EEES6_PlJ7is_evenIiEEEE10hipError_tPvRmT3_T4_T5_T6_T7_T9_mT8_P12ihipStream_tbDpT10_ENKUlT_T0_E_clISt17integral_constantIbLb1EES19_EEDaS14_S15_EUlS14_E_NS1_11comp_targetILNS1_3genE8ELNS1_11target_archE1030ELNS1_3gpuE2ELNS1_3repE0EEENS1_30default_config_static_selectorELNS0_4arch9wavefront6targetE1EEEvT1_
; %bb.0:
	.section	.rodata,"a",@progbits
	.p2align	6, 0x0
	.amdhsa_kernel _ZN7rocprim17ROCPRIM_400000_NS6detail17trampoline_kernelINS0_14default_configENS1_25partition_config_selectorILNS1_17partition_subalgoE0EiNS0_10empty_typeEbEEZZNS1_14partition_implILS5_0ELb0ES3_jN6thrust23THRUST_200600_302600_NS6detail15normal_iteratorINSA_10device_ptrIiEEEEPS6_SG_NS0_5tupleIJNSA_16discard_iteratorINSA_11use_defaultEEESK_EEENSH_IJSG_SG_EEES6_PlJ7is_evenIiEEEE10hipError_tPvRmT3_T4_T5_T6_T7_T9_mT8_P12ihipStream_tbDpT10_ENKUlT_T0_E_clISt17integral_constantIbLb1EES19_EEDaS14_S15_EUlS14_E_NS1_11comp_targetILNS1_3genE8ELNS1_11target_archE1030ELNS1_3gpuE2ELNS1_3repE0EEENS1_30default_config_static_selectorELNS0_4arch9wavefront6targetE1EEEvT1_
		.amdhsa_group_segment_fixed_size 0
		.amdhsa_private_segment_fixed_size 0
		.amdhsa_kernarg_size 152
		.amdhsa_user_sgpr_count 6
		.amdhsa_user_sgpr_private_segment_buffer 1
		.amdhsa_user_sgpr_dispatch_ptr 0
		.amdhsa_user_sgpr_queue_ptr 0
		.amdhsa_user_sgpr_kernarg_segment_ptr 1
		.amdhsa_user_sgpr_dispatch_id 0
		.amdhsa_user_sgpr_flat_scratch_init 0
		.amdhsa_user_sgpr_kernarg_preload_length 0
		.amdhsa_user_sgpr_kernarg_preload_offset 0
		.amdhsa_user_sgpr_private_segment_size 0
		.amdhsa_uses_dynamic_stack 0
		.amdhsa_system_sgpr_private_segment_wavefront_offset 0
		.amdhsa_system_sgpr_workgroup_id_x 1
		.amdhsa_system_sgpr_workgroup_id_y 0
		.amdhsa_system_sgpr_workgroup_id_z 0
		.amdhsa_system_sgpr_workgroup_info 0
		.amdhsa_system_vgpr_workitem_id 0
		.amdhsa_next_free_vgpr 1
		.amdhsa_next_free_sgpr 0
		.amdhsa_accum_offset 4
		.amdhsa_reserve_vcc 0
		.amdhsa_reserve_flat_scratch 0
		.amdhsa_float_round_mode_32 0
		.amdhsa_float_round_mode_16_64 0
		.amdhsa_float_denorm_mode_32 3
		.amdhsa_float_denorm_mode_16_64 3
		.amdhsa_dx10_clamp 1
		.amdhsa_ieee_mode 1
		.amdhsa_fp16_overflow 0
		.amdhsa_tg_split 0
		.amdhsa_exception_fp_ieee_invalid_op 0
		.amdhsa_exception_fp_denorm_src 0
		.amdhsa_exception_fp_ieee_div_zero 0
		.amdhsa_exception_fp_ieee_overflow 0
		.amdhsa_exception_fp_ieee_underflow 0
		.amdhsa_exception_fp_ieee_inexact 0
		.amdhsa_exception_int_div_zero 0
	.end_amdhsa_kernel
	.section	.text._ZN7rocprim17ROCPRIM_400000_NS6detail17trampoline_kernelINS0_14default_configENS1_25partition_config_selectorILNS1_17partition_subalgoE0EiNS0_10empty_typeEbEEZZNS1_14partition_implILS5_0ELb0ES3_jN6thrust23THRUST_200600_302600_NS6detail15normal_iteratorINSA_10device_ptrIiEEEEPS6_SG_NS0_5tupleIJNSA_16discard_iteratorINSA_11use_defaultEEESK_EEENSH_IJSG_SG_EEES6_PlJ7is_evenIiEEEE10hipError_tPvRmT3_T4_T5_T6_T7_T9_mT8_P12ihipStream_tbDpT10_ENKUlT_T0_E_clISt17integral_constantIbLb1EES19_EEDaS14_S15_EUlS14_E_NS1_11comp_targetILNS1_3genE8ELNS1_11target_archE1030ELNS1_3gpuE2ELNS1_3repE0EEENS1_30default_config_static_selectorELNS0_4arch9wavefront6targetE1EEEvT1_,"axG",@progbits,_ZN7rocprim17ROCPRIM_400000_NS6detail17trampoline_kernelINS0_14default_configENS1_25partition_config_selectorILNS1_17partition_subalgoE0EiNS0_10empty_typeEbEEZZNS1_14partition_implILS5_0ELb0ES3_jN6thrust23THRUST_200600_302600_NS6detail15normal_iteratorINSA_10device_ptrIiEEEEPS6_SG_NS0_5tupleIJNSA_16discard_iteratorINSA_11use_defaultEEESK_EEENSH_IJSG_SG_EEES6_PlJ7is_evenIiEEEE10hipError_tPvRmT3_T4_T5_T6_T7_T9_mT8_P12ihipStream_tbDpT10_ENKUlT_T0_E_clISt17integral_constantIbLb1EES19_EEDaS14_S15_EUlS14_E_NS1_11comp_targetILNS1_3genE8ELNS1_11target_archE1030ELNS1_3gpuE2ELNS1_3repE0EEENS1_30default_config_static_selectorELNS0_4arch9wavefront6targetE1EEEvT1_,comdat
.Lfunc_end2698:
	.size	_ZN7rocprim17ROCPRIM_400000_NS6detail17trampoline_kernelINS0_14default_configENS1_25partition_config_selectorILNS1_17partition_subalgoE0EiNS0_10empty_typeEbEEZZNS1_14partition_implILS5_0ELb0ES3_jN6thrust23THRUST_200600_302600_NS6detail15normal_iteratorINSA_10device_ptrIiEEEEPS6_SG_NS0_5tupleIJNSA_16discard_iteratorINSA_11use_defaultEEESK_EEENSH_IJSG_SG_EEES6_PlJ7is_evenIiEEEE10hipError_tPvRmT3_T4_T5_T6_T7_T9_mT8_P12ihipStream_tbDpT10_ENKUlT_T0_E_clISt17integral_constantIbLb1EES19_EEDaS14_S15_EUlS14_E_NS1_11comp_targetILNS1_3genE8ELNS1_11target_archE1030ELNS1_3gpuE2ELNS1_3repE0EEENS1_30default_config_static_selectorELNS0_4arch9wavefront6targetE1EEEvT1_, .Lfunc_end2698-_ZN7rocprim17ROCPRIM_400000_NS6detail17trampoline_kernelINS0_14default_configENS1_25partition_config_selectorILNS1_17partition_subalgoE0EiNS0_10empty_typeEbEEZZNS1_14partition_implILS5_0ELb0ES3_jN6thrust23THRUST_200600_302600_NS6detail15normal_iteratorINSA_10device_ptrIiEEEEPS6_SG_NS0_5tupleIJNSA_16discard_iteratorINSA_11use_defaultEEESK_EEENSH_IJSG_SG_EEES6_PlJ7is_evenIiEEEE10hipError_tPvRmT3_T4_T5_T6_T7_T9_mT8_P12ihipStream_tbDpT10_ENKUlT_T0_E_clISt17integral_constantIbLb1EES19_EEDaS14_S15_EUlS14_E_NS1_11comp_targetILNS1_3genE8ELNS1_11target_archE1030ELNS1_3gpuE2ELNS1_3repE0EEENS1_30default_config_static_selectorELNS0_4arch9wavefront6targetE1EEEvT1_
                                        ; -- End function
	.section	.AMDGPU.csdata,"",@progbits
; Kernel info:
; codeLenInByte = 0
; NumSgprs: 4
; NumVgprs: 0
; NumAgprs: 0
; TotalNumVgprs: 0
; ScratchSize: 0
; MemoryBound: 0
; FloatMode: 240
; IeeeMode: 1
; LDSByteSize: 0 bytes/workgroup (compile time only)
; SGPRBlocks: 0
; VGPRBlocks: 0
; NumSGPRsForWavesPerEU: 4
; NumVGPRsForWavesPerEU: 1
; AccumOffset: 4
; Occupancy: 8
; WaveLimiterHint : 0
; COMPUTE_PGM_RSRC2:SCRATCH_EN: 0
; COMPUTE_PGM_RSRC2:USER_SGPR: 6
; COMPUTE_PGM_RSRC2:TRAP_HANDLER: 0
; COMPUTE_PGM_RSRC2:TGID_X_EN: 1
; COMPUTE_PGM_RSRC2:TGID_Y_EN: 0
; COMPUTE_PGM_RSRC2:TGID_Z_EN: 0
; COMPUTE_PGM_RSRC2:TIDIG_COMP_CNT: 0
; COMPUTE_PGM_RSRC3_GFX90A:ACCUM_OFFSET: 0
; COMPUTE_PGM_RSRC3_GFX90A:TG_SPLIT: 0
	.section	.text._ZN7rocprim17ROCPRIM_400000_NS6detail17trampoline_kernelINS0_14default_configENS1_25partition_config_selectorILNS1_17partition_subalgoE0EiNS0_10empty_typeEbEEZZNS1_14partition_implILS5_0ELb0ES3_jN6thrust23THRUST_200600_302600_NS6detail15normal_iteratorINSA_10device_ptrIiEEEEPS6_SG_NS0_5tupleIJNSA_16discard_iteratorINSA_11use_defaultEEESK_EEENSH_IJSG_SG_EEES6_PlJ7is_evenIiEEEE10hipError_tPvRmT3_T4_T5_T6_T7_T9_mT8_P12ihipStream_tbDpT10_ENKUlT_T0_E_clISt17integral_constantIbLb1EES18_IbLb0EEEEDaS14_S15_EUlS14_E_NS1_11comp_targetILNS1_3genE0ELNS1_11target_archE4294967295ELNS1_3gpuE0ELNS1_3repE0EEENS1_30default_config_static_selectorELNS0_4arch9wavefront6targetE1EEEvT1_,"axG",@progbits,_ZN7rocprim17ROCPRIM_400000_NS6detail17trampoline_kernelINS0_14default_configENS1_25partition_config_selectorILNS1_17partition_subalgoE0EiNS0_10empty_typeEbEEZZNS1_14partition_implILS5_0ELb0ES3_jN6thrust23THRUST_200600_302600_NS6detail15normal_iteratorINSA_10device_ptrIiEEEEPS6_SG_NS0_5tupleIJNSA_16discard_iteratorINSA_11use_defaultEEESK_EEENSH_IJSG_SG_EEES6_PlJ7is_evenIiEEEE10hipError_tPvRmT3_T4_T5_T6_T7_T9_mT8_P12ihipStream_tbDpT10_ENKUlT_T0_E_clISt17integral_constantIbLb1EES18_IbLb0EEEEDaS14_S15_EUlS14_E_NS1_11comp_targetILNS1_3genE0ELNS1_11target_archE4294967295ELNS1_3gpuE0ELNS1_3repE0EEENS1_30default_config_static_selectorELNS0_4arch9wavefront6targetE1EEEvT1_,comdat
	.protected	_ZN7rocprim17ROCPRIM_400000_NS6detail17trampoline_kernelINS0_14default_configENS1_25partition_config_selectorILNS1_17partition_subalgoE0EiNS0_10empty_typeEbEEZZNS1_14partition_implILS5_0ELb0ES3_jN6thrust23THRUST_200600_302600_NS6detail15normal_iteratorINSA_10device_ptrIiEEEEPS6_SG_NS0_5tupleIJNSA_16discard_iteratorINSA_11use_defaultEEESK_EEENSH_IJSG_SG_EEES6_PlJ7is_evenIiEEEE10hipError_tPvRmT3_T4_T5_T6_T7_T9_mT8_P12ihipStream_tbDpT10_ENKUlT_T0_E_clISt17integral_constantIbLb1EES18_IbLb0EEEEDaS14_S15_EUlS14_E_NS1_11comp_targetILNS1_3genE0ELNS1_11target_archE4294967295ELNS1_3gpuE0ELNS1_3repE0EEENS1_30default_config_static_selectorELNS0_4arch9wavefront6targetE1EEEvT1_ ; -- Begin function _ZN7rocprim17ROCPRIM_400000_NS6detail17trampoline_kernelINS0_14default_configENS1_25partition_config_selectorILNS1_17partition_subalgoE0EiNS0_10empty_typeEbEEZZNS1_14partition_implILS5_0ELb0ES3_jN6thrust23THRUST_200600_302600_NS6detail15normal_iteratorINSA_10device_ptrIiEEEEPS6_SG_NS0_5tupleIJNSA_16discard_iteratorINSA_11use_defaultEEESK_EEENSH_IJSG_SG_EEES6_PlJ7is_evenIiEEEE10hipError_tPvRmT3_T4_T5_T6_T7_T9_mT8_P12ihipStream_tbDpT10_ENKUlT_T0_E_clISt17integral_constantIbLb1EES18_IbLb0EEEEDaS14_S15_EUlS14_E_NS1_11comp_targetILNS1_3genE0ELNS1_11target_archE4294967295ELNS1_3gpuE0ELNS1_3repE0EEENS1_30default_config_static_selectorELNS0_4arch9wavefront6targetE1EEEvT1_
	.globl	_ZN7rocprim17ROCPRIM_400000_NS6detail17trampoline_kernelINS0_14default_configENS1_25partition_config_selectorILNS1_17partition_subalgoE0EiNS0_10empty_typeEbEEZZNS1_14partition_implILS5_0ELb0ES3_jN6thrust23THRUST_200600_302600_NS6detail15normal_iteratorINSA_10device_ptrIiEEEEPS6_SG_NS0_5tupleIJNSA_16discard_iteratorINSA_11use_defaultEEESK_EEENSH_IJSG_SG_EEES6_PlJ7is_evenIiEEEE10hipError_tPvRmT3_T4_T5_T6_T7_T9_mT8_P12ihipStream_tbDpT10_ENKUlT_T0_E_clISt17integral_constantIbLb1EES18_IbLb0EEEEDaS14_S15_EUlS14_E_NS1_11comp_targetILNS1_3genE0ELNS1_11target_archE4294967295ELNS1_3gpuE0ELNS1_3repE0EEENS1_30default_config_static_selectorELNS0_4arch9wavefront6targetE1EEEvT1_
	.p2align	8
	.type	_ZN7rocprim17ROCPRIM_400000_NS6detail17trampoline_kernelINS0_14default_configENS1_25partition_config_selectorILNS1_17partition_subalgoE0EiNS0_10empty_typeEbEEZZNS1_14partition_implILS5_0ELb0ES3_jN6thrust23THRUST_200600_302600_NS6detail15normal_iteratorINSA_10device_ptrIiEEEEPS6_SG_NS0_5tupleIJNSA_16discard_iteratorINSA_11use_defaultEEESK_EEENSH_IJSG_SG_EEES6_PlJ7is_evenIiEEEE10hipError_tPvRmT3_T4_T5_T6_T7_T9_mT8_P12ihipStream_tbDpT10_ENKUlT_T0_E_clISt17integral_constantIbLb1EES18_IbLb0EEEEDaS14_S15_EUlS14_E_NS1_11comp_targetILNS1_3genE0ELNS1_11target_archE4294967295ELNS1_3gpuE0ELNS1_3repE0EEENS1_30default_config_static_selectorELNS0_4arch9wavefront6targetE1EEEvT1_,@function
_ZN7rocprim17ROCPRIM_400000_NS6detail17trampoline_kernelINS0_14default_configENS1_25partition_config_selectorILNS1_17partition_subalgoE0EiNS0_10empty_typeEbEEZZNS1_14partition_implILS5_0ELb0ES3_jN6thrust23THRUST_200600_302600_NS6detail15normal_iteratorINSA_10device_ptrIiEEEEPS6_SG_NS0_5tupleIJNSA_16discard_iteratorINSA_11use_defaultEEESK_EEENSH_IJSG_SG_EEES6_PlJ7is_evenIiEEEE10hipError_tPvRmT3_T4_T5_T6_T7_T9_mT8_P12ihipStream_tbDpT10_ENKUlT_T0_E_clISt17integral_constantIbLb1EES18_IbLb0EEEEDaS14_S15_EUlS14_E_NS1_11comp_targetILNS1_3genE0ELNS1_11target_archE4294967295ELNS1_3gpuE0ELNS1_3repE0EEENS1_30default_config_static_selectorELNS0_4arch9wavefront6targetE1EEEvT1_: ; @_ZN7rocprim17ROCPRIM_400000_NS6detail17trampoline_kernelINS0_14default_configENS1_25partition_config_selectorILNS1_17partition_subalgoE0EiNS0_10empty_typeEbEEZZNS1_14partition_implILS5_0ELb0ES3_jN6thrust23THRUST_200600_302600_NS6detail15normal_iteratorINSA_10device_ptrIiEEEEPS6_SG_NS0_5tupleIJNSA_16discard_iteratorINSA_11use_defaultEEESK_EEENSH_IJSG_SG_EEES6_PlJ7is_evenIiEEEE10hipError_tPvRmT3_T4_T5_T6_T7_T9_mT8_P12ihipStream_tbDpT10_ENKUlT_T0_E_clISt17integral_constantIbLb1EES18_IbLb0EEEEDaS14_S15_EUlS14_E_NS1_11comp_targetILNS1_3genE0ELNS1_11target_archE4294967295ELNS1_3gpuE0ELNS1_3repE0EEENS1_30default_config_static_selectorELNS0_4arch9wavefront6targetE1EEEvT1_
; %bb.0:
	.section	.rodata,"a",@progbits
	.p2align	6, 0x0
	.amdhsa_kernel _ZN7rocprim17ROCPRIM_400000_NS6detail17trampoline_kernelINS0_14default_configENS1_25partition_config_selectorILNS1_17partition_subalgoE0EiNS0_10empty_typeEbEEZZNS1_14partition_implILS5_0ELb0ES3_jN6thrust23THRUST_200600_302600_NS6detail15normal_iteratorINSA_10device_ptrIiEEEEPS6_SG_NS0_5tupleIJNSA_16discard_iteratorINSA_11use_defaultEEESK_EEENSH_IJSG_SG_EEES6_PlJ7is_evenIiEEEE10hipError_tPvRmT3_T4_T5_T6_T7_T9_mT8_P12ihipStream_tbDpT10_ENKUlT_T0_E_clISt17integral_constantIbLb1EES18_IbLb0EEEEDaS14_S15_EUlS14_E_NS1_11comp_targetILNS1_3genE0ELNS1_11target_archE4294967295ELNS1_3gpuE0ELNS1_3repE0EEENS1_30default_config_static_selectorELNS0_4arch9wavefront6targetE1EEEvT1_
		.amdhsa_group_segment_fixed_size 0
		.amdhsa_private_segment_fixed_size 0
		.amdhsa_kernarg_size 136
		.amdhsa_user_sgpr_count 6
		.amdhsa_user_sgpr_private_segment_buffer 1
		.amdhsa_user_sgpr_dispatch_ptr 0
		.amdhsa_user_sgpr_queue_ptr 0
		.amdhsa_user_sgpr_kernarg_segment_ptr 1
		.amdhsa_user_sgpr_dispatch_id 0
		.amdhsa_user_sgpr_flat_scratch_init 0
		.amdhsa_user_sgpr_kernarg_preload_length 0
		.amdhsa_user_sgpr_kernarg_preload_offset 0
		.amdhsa_user_sgpr_private_segment_size 0
		.amdhsa_uses_dynamic_stack 0
		.amdhsa_system_sgpr_private_segment_wavefront_offset 0
		.amdhsa_system_sgpr_workgroup_id_x 1
		.amdhsa_system_sgpr_workgroup_id_y 0
		.amdhsa_system_sgpr_workgroup_id_z 0
		.amdhsa_system_sgpr_workgroup_info 0
		.amdhsa_system_vgpr_workitem_id 0
		.amdhsa_next_free_vgpr 1
		.amdhsa_next_free_sgpr 0
		.amdhsa_accum_offset 4
		.amdhsa_reserve_vcc 0
		.amdhsa_reserve_flat_scratch 0
		.amdhsa_float_round_mode_32 0
		.amdhsa_float_round_mode_16_64 0
		.amdhsa_float_denorm_mode_32 3
		.amdhsa_float_denorm_mode_16_64 3
		.amdhsa_dx10_clamp 1
		.amdhsa_ieee_mode 1
		.amdhsa_fp16_overflow 0
		.amdhsa_tg_split 0
		.amdhsa_exception_fp_ieee_invalid_op 0
		.amdhsa_exception_fp_denorm_src 0
		.amdhsa_exception_fp_ieee_div_zero 0
		.amdhsa_exception_fp_ieee_overflow 0
		.amdhsa_exception_fp_ieee_underflow 0
		.amdhsa_exception_fp_ieee_inexact 0
		.amdhsa_exception_int_div_zero 0
	.end_amdhsa_kernel
	.section	.text._ZN7rocprim17ROCPRIM_400000_NS6detail17trampoline_kernelINS0_14default_configENS1_25partition_config_selectorILNS1_17partition_subalgoE0EiNS0_10empty_typeEbEEZZNS1_14partition_implILS5_0ELb0ES3_jN6thrust23THRUST_200600_302600_NS6detail15normal_iteratorINSA_10device_ptrIiEEEEPS6_SG_NS0_5tupleIJNSA_16discard_iteratorINSA_11use_defaultEEESK_EEENSH_IJSG_SG_EEES6_PlJ7is_evenIiEEEE10hipError_tPvRmT3_T4_T5_T6_T7_T9_mT8_P12ihipStream_tbDpT10_ENKUlT_T0_E_clISt17integral_constantIbLb1EES18_IbLb0EEEEDaS14_S15_EUlS14_E_NS1_11comp_targetILNS1_3genE0ELNS1_11target_archE4294967295ELNS1_3gpuE0ELNS1_3repE0EEENS1_30default_config_static_selectorELNS0_4arch9wavefront6targetE1EEEvT1_,"axG",@progbits,_ZN7rocprim17ROCPRIM_400000_NS6detail17trampoline_kernelINS0_14default_configENS1_25partition_config_selectorILNS1_17partition_subalgoE0EiNS0_10empty_typeEbEEZZNS1_14partition_implILS5_0ELb0ES3_jN6thrust23THRUST_200600_302600_NS6detail15normal_iteratorINSA_10device_ptrIiEEEEPS6_SG_NS0_5tupleIJNSA_16discard_iteratorINSA_11use_defaultEEESK_EEENSH_IJSG_SG_EEES6_PlJ7is_evenIiEEEE10hipError_tPvRmT3_T4_T5_T6_T7_T9_mT8_P12ihipStream_tbDpT10_ENKUlT_T0_E_clISt17integral_constantIbLb1EES18_IbLb0EEEEDaS14_S15_EUlS14_E_NS1_11comp_targetILNS1_3genE0ELNS1_11target_archE4294967295ELNS1_3gpuE0ELNS1_3repE0EEENS1_30default_config_static_selectorELNS0_4arch9wavefront6targetE1EEEvT1_,comdat
.Lfunc_end2699:
	.size	_ZN7rocprim17ROCPRIM_400000_NS6detail17trampoline_kernelINS0_14default_configENS1_25partition_config_selectorILNS1_17partition_subalgoE0EiNS0_10empty_typeEbEEZZNS1_14partition_implILS5_0ELb0ES3_jN6thrust23THRUST_200600_302600_NS6detail15normal_iteratorINSA_10device_ptrIiEEEEPS6_SG_NS0_5tupleIJNSA_16discard_iteratorINSA_11use_defaultEEESK_EEENSH_IJSG_SG_EEES6_PlJ7is_evenIiEEEE10hipError_tPvRmT3_T4_T5_T6_T7_T9_mT8_P12ihipStream_tbDpT10_ENKUlT_T0_E_clISt17integral_constantIbLb1EES18_IbLb0EEEEDaS14_S15_EUlS14_E_NS1_11comp_targetILNS1_3genE0ELNS1_11target_archE4294967295ELNS1_3gpuE0ELNS1_3repE0EEENS1_30default_config_static_selectorELNS0_4arch9wavefront6targetE1EEEvT1_, .Lfunc_end2699-_ZN7rocprim17ROCPRIM_400000_NS6detail17trampoline_kernelINS0_14default_configENS1_25partition_config_selectorILNS1_17partition_subalgoE0EiNS0_10empty_typeEbEEZZNS1_14partition_implILS5_0ELb0ES3_jN6thrust23THRUST_200600_302600_NS6detail15normal_iteratorINSA_10device_ptrIiEEEEPS6_SG_NS0_5tupleIJNSA_16discard_iteratorINSA_11use_defaultEEESK_EEENSH_IJSG_SG_EEES6_PlJ7is_evenIiEEEE10hipError_tPvRmT3_T4_T5_T6_T7_T9_mT8_P12ihipStream_tbDpT10_ENKUlT_T0_E_clISt17integral_constantIbLb1EES18_IbLb0EEEEDaS14_S15_EUlS14_E_NS1_11comp_targetILNS1_3genE0ELNS1_11target_archE4294967295ELNS1_3gpuE0ELNS1_3repE0EEENS1_30default_config_static_selectorELNS0_4arch9wavefront6targetE1EEEvT1_
                                        ; -- End function
	.section	.AMDGPU.csdata,"",@progbits
; Kernel info:
; codeLenInByte = 0
; NumSgprs: 4
; NumVgprs: 0
; NumAgprs: 0
; TotalNumVgprs: 0
; ScratchSize: 0
; MemoryBound: 0
; FloatMode: 240
; IeeeMode: 1
; LDSByteSize: 0 bytes/workgroup (compile time only)
; SGPRBlocks: 0
; VGPRBlocks: 0
; NumSGPRsForWavesPerEU: 4
; NumVGPRsForWavesPerEU: 1
; AccumOffset: 4
; Occupancy: 8
; WaveLimiterHint : 0
; COMPUTE_PGM_RSRC2:SCRATCH_EN: 0
; COMPUTE_PGM_RSRC2:USER_SGPR: 6
; COMPUTE_PGM_RSRC2:TRAP_HANDLER: 0
; COMPUTE_PGM_RSRC2:TGID_X_EN: 1
; COMPUTE_PGM_RSRC2:TGID_Y_EN: 0
; COMPUTE_PGM_RSRC2:TGID_Z_EN: 0
; COMPUTE_PGM_RSRC2:TIDIG_COMP_CNT: 0
; COMPUTE_PGM_RSRC3_GFX90A:ACCUM_OFFSET: 0
; COMPUTE_PGM_RSRC3_GFX90A:TG_SPLIT: 0
	.section	.text._ZN7rocprim17ROCPRIM_400000_NS6detail17trampoline_kernelINS0_14default_configENS1_25partition_config_selectorILNS1_17partition_subalgoE0EiNS0_10empty_typeEbEEZZNS1_14partition_implILS5_0ELb0ES3_jN6thrust23THRUST_200600_302600_NS6detail15normal_iteratorINSA_10device_ptrIiEEEEPS6_SG_NS0_5tupleIJNSA_16discard_iteratorINSA_11use_defaultEEESK_EEENSH_IJSG_SG_EEES6_PlJ7is_evenIiEEEE10hipError_tPvRmT3_T4_T5_T6_T7_T9_mT8_P12ihipStream_tbDpT10_ENKUlT_T0_E_clISt17integral_constantIbLb1EES18_IbLb0EEEEDaS14_S15_EUlS14_E_NS1_11comp_targetILNS1_3genE5ELNS1_11target_archE942ELNS1_3gpuE9ELNS1_3repE0EEENS1_30default_config_static_selectorELNS0_4arch9wavefront6targetE1EEEvT1_,"axG",@progbits,_ZN7rocprim17ROCPRIM_400000_NS6detail17trampoline_kernelINS0_14default_configENS1_25partition_config_selectorILNS1_17partition_subalgoE0EiNS0_10empty_typeEbEEZZNS1_14partition_implILS5_0ELb0ES3_jN6thrust23THRUST_200600_302600_NS6detail15normal_iteratorINSA_10device_ptrIiEEEEPS6_SG_NS0_5tupleIJNSA_16discard_iteratorINSA_11use_defaultEEESK_EEENSH_IJSG_SG_EEES6_PlJ7is_evenIiEEEE10hipError_tPvRmT3_T4_T5_T6_T7_T9_mT8_P12ihipStream_tbDpT10_ENKUlT_T0_E_clISt17integral_constantIbLb1EES18_IbLb0EEEEDaS14_S15_EUlS14_E_NS1_11comp_targetILNS1_3genE5ELNS1_11target_archE942ELNS1_3gpuE9ELNS1_3repE0EEENS1_30default_config_static_selectorELNS0_4arch9wavefront6targetE1EEEvT1_,comdat
	.protected	_ZN7rocprim17ROCPRIM_400000_NS6detail17trampoline_kernelINS0_14default_configENS1_25partition_config_selectorILNS1_17partition_subalgoE0EiNS0_10empty_typeEbEEZZNS1_14partition_implILS5_0ELb0ES3_jN6thrust23THRUST_200600_302600_NS6detail15normal_iteratorINSA_10device_ptrIiEEEEPS6_SG_NS0_5tupleIJNSA_16discard_iteratorINSA_11use_defaultEEESK_EEENSH_IJSG_SG_EEES6_PlJ7is_evenIiEEEE10hipError_tPvRmT3_T4_T5_T6_T7_T9_mT8_P12ihipStream_tbDpT10_ENKUlT_T0_E_clISt17integral_constantIbLb1EES18_IbLb0EEEEDaS14_S15_EUlS14_E_NS1_11comp_targetILNS1_3genE5ELNS1_11target_archE942ELNS1_3gpuE9ELNS1_3repE0EEENS1_30default_config_static_selectorELNS0_4arch9wavefront6targetE1EEEvT1_ ; -- Begin function _ZN7rocprim17ROCPRIM_400000_NS6detail17trampoline_kernelINS0_14default_configENS1_25partition_config_selectorILNS1_17partition_subalgoE0EiNS0_10empty_typeEbEEZZNS1_14partition_implILS5_0ELb0ES3_jN6thrust23THRUST_200600_302600_NS6detail15normal_iteratorINSA_10device_ptrIiEEEEPS6_SG_NS0_5tupleIJNSA_16discard_iteratorINSA_11use_defaultEEESK_EEENSH_IJSG_SG_EEES6_PlJ7is_evenIiEEEE10hipError_tPvRmT3_T4_T5_T6_T7_T9_mT8_P12ihipStream_tbDpT10_ENKUlT_T0_E_clISt17integral_constantIbLb1EES18_IbLb0EEEEDaS14_S15_EUlS14_E_NS1_11comp_targetILNS1_3genE5ELNS1_11target_archE942ELNS1_3gpuE9ELNS1_3repE0EEENS1_30default_config_static_selectorELNS0_4arch9wavefront6targetE1EEEvT1_
	.globl	_ZN7rocprim17ROCPRIM_400000_NS6detail17trampoline_kernelINS0_14default_configENS1_25partition_config_selectorILNS1_17partition_subalgoE0EiNS0_10empty_typeEbEEZZNS1_14partition_implILS5_0ELb0ES3_jN6thrust23THRUST_200600_302600_NS6detail15normal_iteratorINSA_10device_ptrIiEEEEPS6_SG_NS0_5tupleIJNSA_16discard_iteratorINSA_11use_defaultEEESK_EEENSH_IJSG_SG_EEES6_PlJ7is_evenIiEEEE10hipError_tPvRmT3_T4_T5_T6_T7_T9_mT8_P12ihipStream_tbDpT10_ENKUlT_T0_E_clISt17integral_constantIbLb1EES18_IbLb0EEEEDaS14_S15_EUlS14_E_NS1_11comp_targetILNS1_3genE5ELNS1_11target_archE942ELNS1_3gpuE9ELNS1_3repE0EEENS1_30default_config_static_selectorELNS0_4arch9wavefront6targetE1EEEvT1_
	.p2align	8
	.type	_ZN7rocprim17ROCPRIM_400000_NS6detail17trampoline_kernelINS0_14default_configENS1_25partition_config_selectorILNS1_17partition_subalgoE0EiNS0_10empty_typeEbEEZZNS1_14partition_implILS5_0ELb0ES3_jN6thrust23THRUST_200600_302600_NS6detail15normal_iteratorINSA_10device_ptrIiEEEEPS6_SG_NS0_5tupleIJNSA_16discard_iteratorINSA_11use_defaultEEESK_EEENSH_IJSG_SG_EEES6_PlJ7is_evenIiEEEE10hipError_tPvRmT3_T4_T5_T6_T7_T9_mT8_P12ihipStream_tbDpT10_ENKUlT_T0_E_clISt17integral_constantIbLb1EES18_IbLb0EEEEDaS14_S15_EUlS14_E_NS1_11comp_targetILNS1_3genE5ELNS1_11target_archE942ELNS1_3gpuE9ELNS1_3repE0EEENS1_30default_config_static_selectorELNS0_4arch9wavefront6targetE1EEEvT1_,@function
_ZN7rocprim17ROCPRIM_400000_NS6detail17trampoline_kernelINS0_14default_configENS1_25partition_config_selectorILNS1_17partition_subalgoE0EiNS0_10empty_typeEbEEZZNS1_14partition_implILS5_0ELb0ES3_jN6thrust23THRUST_200600_302600_NS6detail15normal_iteratorINSA_10device_ptrIiEEEEPS6_SG_NS0_5tupleIJNSA_16discard_iteratorINSA_11use_defaultEEESK_EEENSH_IJSG_SG_EEES6_PlJ7is_evenIiEEEE10hipError_tPvRmT3_T4_T5_T6_T7_T9_mT8_P12ihipStream_tbDpT10_ENKUlT_T0_E_clISt17integral_constantIbLb1EES18_IbLb0EEEEDaS14_S15_EUlS14_E_NS1_11comp_targetILNS1_3genE5ELNS1_11target_archE942ELNS1_3gpuE9ELNS1_3repE0EEENS1_30default_config_static_selectorELNS0_4arch9wavefront6targetE1EEEvT1_: ; @_ZN7rocprim17ROCPRIM_400000_NS6detail17trampoline_kernelINS0_14default_configENS1_25partition_config_selectorILNS1_17partition_subalgoE0EiNS0_10empty_typeEbEEZZNS1_14partition_implILS5_0ELb0ES3_jN6thrust23THRUST_200600_302600_NS6detail15normal_iteratorINSA_10device_ptrIiEEEEPS6_SG_NS0_5tupleIJNSA_16discard_iteratorINSA_11use_defaultEEESK_EEENSH_IJSG_SG_EEES6_PlJ7is_evenIiEEEE10hipError_tPvRmT3_T4_T5_T6_T7_T9_mT8_P12ihipStream_tbDpT10_ENKUlT_T0_E_clISt17integral_constantIbLb1EES18_IbLb0EEEEDaS14_S15_EUlS14_E_NS1_11comp_targetILNS1_3genE5ELNS1_11target_archE942ELNS1_3gpuE9ELNS1_3repE0EEENS1_30default_config_static_selectorELNS0_4arch9wavefront6targetE1EEEvT1_
; %bb.0:
	.section	.rodata,"a",@progbits
	.p2align	6, 0x0
	.amdhsa_kernel _ZN7rocprim17ROCPRIM_400000_NS6detail17trampoline_kernelINS0_14default_configENS1_25partition_config_selectorILNS1_17partition_subalgoE0EiNS0_10empty_typeEbEEZZNS1_14partition_implILS5_0ELb0ES3_jN6thrust23THRUST_200600_302600_NS6detail15normal_iteratorINSA_10device_ptrIiEEEEPS6_SG_NS0_5tupleIJNSA_16discard_iteratorINSA_11use_defaultEEESK_EEENSH_IJSG_SG_EEES6_PlJ7is_evenIiEEEE10hipError_tPvRmT3_T4_T5_T6_T7_T9_mT8_P12ihipStream_tbDpT10_ENKUlT_T0_E_clISt17integral_constantIbLb1EES18_IbLb0EEEEDaS14_S15_EUlS14_E_NS1_11comp_targetILNS1_3genE5ELNS1_11target_archE942ELNS1_3gpuE9ELNS1_3repE0EEENS1_30default_config_static_selectorELNS0_4arch9wavefront6targetE1EEEvT1_
		.amdhsa_group_segment_fixed_size 0
		.amdhsa_private_segment_fixed_size 0
		.amdhsa_kernarg_size 136
		.amdhsa_user_sgpr_count 6
		.amdhsa_user_sgpr_private_segment_buffer 1
		.amdhsa_user_sgpr_dispatch_ptr 0
		.amdhsa_user_sgpr_queue_ptr 0
		.amdhsa_user_sgpr_kernarg_segment_ptr 1
		.amdhsa_user_sgpr_dispatch_id 0
		.amdhsa_user_sgpr_flat_scratch_init 0
		.amdhsa_user_sgpr_kernarg_preload_length 0
		.amdhsa_user_sgpr_kernarg_preload_offset 0
		.amdhsa_user_sgpr_private_segment_size 0
		.amdhsa_uses_dynamic_stack 0
		.amdhsa_system_sgpr_private_segment_wavefront_offset 0
		.amdhsa_system_sgpr_workgroup_id_x 1
		.amdhsa_system_sgpr_workgroup_id_y 0
		.amdhsa_system_sgpr_workgroup_id_z 0
		.amdhsa_system_sgpr_workgroup_info 0
		.amdhsa_system_vgpr_workitem_id 0
		.amdhsa_next_free_vgpr 1
		.amdhsa_next_free_sgpr 0
		.amdhsa_accum_offset 4
		.amdhsa_reserve_vcc 0
		.amdhsa_reserve_flat_scratch 0
		.amdhsa_float_round_mode_32 0
		.amdhsa_float_round_mode_16_64 0
		.amdhsa_float_denorm_mode_32 3
		.amdhsa_float_denorm_mode_16_64 3
		.amdhsa_dx10_clamp 1
		.amdhsa_ieee_mode 1
		.amdhsa_fp16_overflow 0
		.amdhsa_tg_split 0
		.amdhsa_exception_fp_ieee_invalid_op 0
		.amdhsa_exception_fp_denorm_src 0
		.amdhsa_exception_fp_ieee_div_zero 0
		.amdhsa_exception_fp_ieee_overflow 0
		.amdhsa_exception_fp_ieee_underflow 0
		.amdhsa_exception_fp_ieee_inexact 0
		.amdhsa_exception_int_div_zero 0
	.end_amdhsa_kernel
	.section	.text._ZN7rocprim17ROCPRIM_400000_NS6detail17trampoline_kernelINS0_14default_configENS1_25partition_config_selectorILNS1_17partition_subalgoE0EiNS0_10empty_typeEbEEZZNS1_14partition_implILS5_0ELb0ES3_jN6thrust23THRUST_200600_302600_NS6detail15normal_iteratorINSA_10device_ptrIiEEEEPS6_SG_NS0_5tupleIJNSA_16discard_iteratorINSA_11use_defaultEEESK_EEENSH_IJSG_SG_EEES6_PlJ7is_evenIiEEEE10hipError_tPvRmT3_T4_T5_T6_T7_T9_mT8_P12ihipStream_tbDpT10_ENKUlT_T0_E_clISt17integral_constantIbLb1EES18_IbLb0EEEEDaS14_S15_EUlS14_E_NS1_11comp_targetILNS1_3genE5ELNS1_11target_archE942ELNS1_3gpuE9ELNS1_3repE0EEENS1_30default_config_static_selectorELNS0_4arch9wavefront6targetE1EEEvT1_,"axG",@progbits,_ZN7rocprim17ROCPRIM_400000_NS6detail17trampoline_kernelINS0_14default_configENS1_25partition_config_selectorILNS1_17partition_subalgoE0EiNS0_10empty_typeEbEEZZNS1_14partition_implILS5_0ELb0ES3_jN6thrust23THRUST_200600_302600_NS6detail15normal_iteratorINSA_10device_ptrIiEEEEPS6_SG_NS0_5tupleIJNSA_16discard_iteratorINSA_11use_defaultEEESK_EEENSH_IJSG_SG_EEES6_PlJ7is_evenIiEEEE10hipError_tPvRmT3_T4_T5_T6_T7_T9_mT8_P12ihipStream_tbDpT10_ENKUlT_T0_E_clISt17integral_constantIbLb1EES18_IbLb0EEEEDaS14_S15_EUlS14_E_NS1_11comp_targetILNS1_3genE5ELNS1_11target_archE942ELNS1_3gpuE9ELNS1_3repE0EEENS1_30default_config_static_selectorELNS0_4arch9wavefront6targetE1EEEvT1_,comdat
.Lfunc_end2700:
	.size	_ZN7rocprim17ROCPRIM_400000_NS6detail17trampoline_kernelINS0_14default_configENS1_25partition_config_selectorILNS1_17partition_subalgoE0EiNS0_10empty_typeEbEEZZNS1_14partition_implILS5_0ELb0ES3_jN6thrust23THRUST_200600_302600_NS6detail15normal_iteratorINSA_10device_ptrIiEEEEPS6_SG_NS0_5tupleIJNSA_16discard_iteratorINSA_11use_defaultEEESK_EEENSH_IJSG_SG_EEES6_PlJ7is_evenIiEEEE10hipError_tPvRmT3_T4_T5_T6_T7_T9_mT8_P12ihipStream_tbDpT10_ENKUlT_T0_E_clISt17integral_constantIbLb1EES18_IbLb0EEEEDaS14_S15_EUlS14_E_NS1_11comp_targetILNS1_3genE5ELNS1_11target_archE942ELNS1_3gpuE9ELNS1_3repE0EEENS1_30default_config_static_selectorELNS0_4arch9wavefront6targetE1EEEvT1_, .Lfunc_end2700-_ZN7rocprim17ROCPRIM_400000_NS6detail17trampoline_kernelINS0_14default_configENS1_25partition_config_selectorILNS1_17partition_subalgoE0EiNS0_10empty_typeEbEEZZNS1_14partition_implILS5_0ELb0ES3_jN6thrust23THRUST_200600_302600_NS6detail15normal_iteratorINSA_10device_ptrIiEEEEPS6_SG_NS0_5tupleIJNSA_16discard_iteratorINSA_11use_defaultEEESK_EEENSH_IJSG_SG_EEES6_PlJ7is_evenIiEEEE10hipError_tPvRmT3_T4_T5_T6_T7_T9_mT8_P12ihipStream_tbDpT10_ENKUlT_T0_E_clISt17integral_constantIbLb1EES18_IbLb0EEEEDaS14_S15_EUlS14_E_NS1_11comp_targetILNS1_3genE5ELNS1_11target_archE942ELNS1_3gpuE9ELNS1_3repE0EEENS1_30default_config_static_selectorELNS0_4arch9wavefront6targetE1EEEvT1_
                                        ; -- End function
	.section	.AMDGPU.csdata,"",@progbits
; Kernel info:
; codeLenInByte = 0
; NumSgprs: 4
; NumVgprs: 0
; NumAgprs: 0
; TotalNumVgprs: 0
; ScratchSize: 0
; MemoryBound: 0
; FloatMode: 240
; IeeeMode: 1
; LDSByteSize: 0 bytes/workgroup (compile time only)
; SGPRBlocks: 0
; VGPRBlocks: 0
; NumSGPRsForWavesPerEU: 4
; NumVGPRsForWavesPerEU: 1
; AccumOffset: 4
; Occupancy: 8
; WaveLimiterHint : 0
; COMPUTE_PGM_RSRC2:SCRATCH_EN: 0
; COMPUTE_PGM_RSRC2:USER_SGPR: 6
; COMPUTE_PGM_RSRC2:TRAP_HANDLER: 0
; COMPUTE_PGM_RSRC2:TGID_X_EN: 1
; COMPUTE_PGM_RSRC2:TGID_Y_EN: 0
; COMPUTE_PGM_RSRC2:TGID_Z_EN: 0
; COMPUTE_PGM_RSRC2:TIDIG_COMP_CNT: 0
; COMPUTE_PGM_RSRC3_GFX90A:ACCUM_OFFSET: 0
; COMPUTE_PGM_RSRC3_GFX90A:TG_SPLIT: 0
	.section	.text._ZN7rocprim17ROCPRIM_400000_NS6detail17trampoline_kernelINS0_14default_configENS1_25partition_config_selectorILNS1_17partition_subalgoE0EiNS0_10empty_typeEbEEZZNS1_14partition_implILS5_0ELb0ES3_jN6thrust23THRUST_200600_302600_NS6detail15normal_iteratorINSA_10device_ptrIiEEEEPS6_SG_NS0_5tupleIJNSA_16discard_iteratorINSA_11use_defaultEEESK_EEENSH_IJSG_SG_EEES6_PlJ7is_evenIiEEEE10hipError_tPvRmT3_T4_T5_T6_T7_T9_mT8_P12ihipStream_tbDpT10_ENKUlT_T0_E_clISt17integral_constantIbLb1EES18_IbLb0EEEEDaS14_S15_EUlS14_E_NS1_11comp_targetILNS1_3genE4ELNS1_11target_archE910ELNS1_3gpuE8ELNS1_3repE0EEENS1_30default_config_static_selectorELNS0_4arch9wavefront6targetE1EEEvT1_,"axG",@progbits,_ZN7rocprim17ROCPRIM_400000_NS6detail17trampoline_kernelINS0_14default_configENS1_25partition_config_selectorILNS1_17partition_subalgoE0EiNS0_10empty_typeEbEEZZNS1_14partition_implILS5_0ELb0ES3_jN6thrust23THRUST_200600_302600_NS6detail15normal_iteratorINSA_10device_ptrIiEEEEPS6_SG_NS0_5tupleIJNSA_16discard_iteratorINSA_11use_defaultEEESK_EEENSH_IJSG_SG_EEES6_PlJ7is_evenIiEEEE10hipError_tPvRmT3_T4_T5_T6_T7_T9_mT8_P12ihipStream_tbDpT10_ENKUlT_T0_E_clISt17integral_constantIbLb1EES18_IbLb0EEEEDaS14_S15_EUlS14_E_NS1_11comp_targetILNS1_3genE4ELNS1_11target_archE910ELNS1_3gpuE8ELNS1_3repE0EEENS1_30default_config_static_selectorELNS0_4arch9wavefront6targetE1EEEvT1_,comdat
	.protected	_ZN7rocprim17ROCPRIM_400000_NS6detail17trampoline_kernelINS0_14default_configENS1_25partition_config_selectorILNS1_17partition_subalgoE0EiNS0_10empty_typeEbEEZZNS1_14partition_implILS5_0ELb0ES3_jN6thrust23THRUST_200600_302600_NS6detail15normal_iteratorINSA_10device_ptrIiEEEEPS6_SG_NS0_5tupleIJNSA_16discard_iteratorINSA_11use_defaultEEESK_EEENSH_IJSG_SG_EEES6_PlJ7is_evenIiEEEE10hipError_tPvRmT3_T4_T5_T6_T7_T9_mT8_P12ihipStream_tbDpT10_ENKUlT_T0_E_clISt17integral_constantIbLb1EES18_IbLb0EEEEDaS14_S15_EUlS14_E_NS1_11comp_targetILNS1_3genE4ELNS1_11target_archE910ELNS1_3gpuE8ELNS1_3repE0EEENS1_30default_config_static_selectorELNS0_4arch9wavefront6targetE1EEEvT1_ ; -- Begin function _ZN7rocprim17ROCPRIM_400000_NS6detail17trampoline_kernelINS0_14default_configENS1_25partition_config_selectorILNS1_17partition_subalgoE0EiNS0_10empty_typeEbEEZZNS1_14partition_implILS5_0ELb0ES3_jN6thrust23THRUST_200600_302600_NS6detail15normal_iteratorINSA_10device_ptrIiEEEEPS6_SG_NS0_5tupleIJNSA_16discard_iteratorINSA_11use_defaultEEESK_EEENSH_IJSG_SG_EEES6_PlJ7is_evenIiEEEE10hipError_tPvRmT3_T4_T5_T6_T7_T9_mT8_P12ihipStream_tbDpT10_ENKUlT_T0_E_clISt17integral_constantIbLb1EES18_IbLb0EEEEDaS14_S15_EUlS14_E_NS1_11comp_targetILNS1_3genE4ELNS1_11target_archE910ELNS1_3gpuE8ELNS1_3repE0EEENS1_30default_config_static_selectorELNS0_4arch9wavefront6targetE1EEEvT1_
	.globl	_ZN7rocprim17ROCPRIM_400000_NS6detail17trampoline_kernelINS0_14default_configENS1_25partition_config_selectorILNS1_17partition_subalgoE0EiNS0_10empty_typeEbEEZZNS1_14partition_implILS5_0ELb0ES3_jN6thrust23THRUST_200600_302600_NS6detail15normal_iteratorINSA_10device_ptrIiEEEEPS6_SG_NS0_5tupleIJNSA_16discard_iteratorINSA_11use_defaultEEESK_EEENSH_IJSG_SG_EEES6_PlJ7is_evenIiEEEE10hipError_tPvRmT3_T4_T5_T6_T7_T9_mT8_P12ihipStream_tbDpT10_ENKUlT_T0_E_clISt17integral_constantIbLb1EES18_IbLb0EEEEDaS14_S15_EUlS14_E_NS1_11comp_targetILNS1_3genE4ELNS1_11target_archE910ELNS1_3gpuE8ELNS1_3repE0EEENS1_30default_config_static_selectorELNS0_4arch9wavefront6targetE1EEEvT1_
	.p2align	8
	.type	_ZN7rocprim17ROCPRIM_400000_NS6detail17trampoline_kernelINS0_14default_configENS1_25partition_config_selectorILNS1_17partition_subalgoE0EiNS0_10empty_typeEbEEZZNS1_14partition_implILS5_0ELb0ES3_jN6thrust23THRUST_200600_302600_NS6detail15normal_iteratorINSA_10device_ptrIiEEEEPS6_SG_NS0_5tupleIJNSA_16discard_iteratorINSA_11use_defaultEEESK_EEENSH_IJSG_SG_EEES6_PlJ7is_evenIiEEEE10hipError_tPvRmT3_T4_T5_T6_T7_T9_mT8_P12ihipStream_tbDpT10_ENKUlT_T0_E_clISt17integral_constantIbLb1EES18_IbLb0EEEEDaS14_S15_EUlS14_E_NS1_11comp_targetILNS1_3genE4ELNS1_11target_archE910ELNS1_3gpuE8ELNS1_3repE0EEENS1_30default_config_static_selectorELNS0_4arch9wavefront6targetE1EEEvT1_,@function
_ZN7rocprim17ROCPRIM_400000_NS6detail17trampoline_kernelINS0_14default_configENS1_25partition_config_selectorILNS1_17partition_subalgoE0EiNS0_10empty_typeEbEEZZNS1_14partition_implILS5_0ELb0ES3_jN6thrust23THRUST_200600_302600_NS6detail15normal_iteratorINSA_10device_ptrIiEEEEPS6_SG_NS0_5tupleIJNSA_16discard_iteratorINSA_11use_defaultEEESK_EEENSH_IJSG_SG_EEES6_PlJ7is_evenIiEEEE10hipError_tPvRmT3_T4_T5_T6_T7_T9_mT8_P12ihipStream_tbDpT10_ENKUlT_T0_E_clISt17integral_constantIbLb1EES18_IbLb0EEEEDaS14_S15_EUlS14_E_NS1_11comp_targetILNS1_3genE4ELNS1_11target_archE910ELNS1_3gpuE8ELNS1_3repE0EEENS1_30default_config_static_selectorELNS0_4arch9wavefront6targetE1EEEvT1_: ; @_ZN7rocprim17ROCPRIM_400000_NS6detail17trampoline_kernelINS0_14default_configENS1_25partition_config_selectorILNS1_17partition_subalgoE0EiNS0_10empty_typeEbEEZZNS1_14partition_implILS5_0ELb0ES3_jN6thrust23THRUST_200600_302600_NS6detail15normal_iteratorINSA_10device_ptrIiEEEEPS6_SG_NS0_5tupleIJNSA_16discard_iteratorINSA_11use_defaultEEESK_EEENSH_IJSG_SG_EEES6_PlJ7is_evenIiEEEE10hipError_tPvRmT3_T4_T5_T6_T7_T9_mT8_P12ihipStream_tbDpT10_ENKUlT_T0_E_clISt17integral_constantIbLb1EES18_IbLb0EEEEDaS14_S15_EUlS14_E_NS1_11comp_targetILNS1_3genE4ELNS1_11target_archE910ELNS1_3gpuE8ELNS1_3repE0EEENS1_30default_config_static_selectorELNS0_4arch9wavefront6targetE1EEEvT1_
; %bb.0:
	s_load_dwordx2 s[8:9], s[4:5], 0x68
	s_load_dwordx4 s[0:3], s[4:5], 0x8
	s_load_dwordx4 s[20:23], s[4:5], 0x58
	s_load_dword s7, s[4:5], 0x80
	s_waitcnt lgkmcnt(0)
	v_mov_b32_e32 v3, s9
	s_lshl_b64 s[10:11], s[2:3], 2
	s_add_u32 s9, s0, s10
	s_mul_i32 s0, s7, 0xa00
	s_addc_u32 s12, s1, s11
	s_add_i32 s1, s0, s2
	s_add_i32 s13, s7, -1
	s_sub_i32 s7, s8, s1
	s_add_u32 s0, s2, s0
	s_addc_u32 s1, s3, 0
	s_cmp_eq_u32 s6, s13
	v_mov_b32_e32 v2, s8
	s_load_dwordx2 s[18:19], s[22:23], 0x0
	s_cselect_b64 s[22:23], -1, 0
	s_cmp_lg_u32 s6, s13
	s_mul_i32 s10, s6, 0xa00
	s_mov_b32 s11, 0
	v_cmp_lt_u64_e32 vcc, s[0:1], v[2:3]
	s_cselect_b64 s[0:1], -1, 0
	s_or_b64 s[0:1], s[0:1], vcc
	s_lshl_b64 s[2:3], s[10:11], 2
	s_add_u32 s8, s9, s2
	s_addc_u32 s9, s12, s3
	s_mov_b64 s[2:3], -1
	s_and_b64 vcc, exec, s[0:1]
	s_cbranch_vccz .LBB2701_2
; %bb.1:
	v_lshlrev_b32_e32 v1, 2, v0
	v_mov_b32_e32 v3, s9
	v_add_co_u32_e32 v2, vcc, s8, v1
	v_addc_co_u32_e32 v3, vcc, 0, v3, vcc
	v_add_co_u32_e32 v4, vcc, 0x1000, v2
	v_addc_co_u32_e32 v5, vcc, 0, v3, vcc
	flat_load_dword v6, v[2:3]
	flat_load_dword v7, v[2:3] offset:1024
	flat_load_dword v8, v[2:3] offset:2048
	;; [unrolled: 1-line block ×3, first 2 shown]
	flat_load_dword v10, v[4:5]
	flat_load_dword v11, v[4:5] offset:1024
	flat_load_dword v12, v[4:5] offset:2048
	;; [unrolled: 1-line block ×3, first 2 shown]
	v_add_co_u32_e32 v2, vcc, 0x2000, v2
	v_addc_co_u32_e32 v3, vcc, 0, v3, vcc
	flat_load_dword v4, v[2:3]
	flat_load_dword v5, v[2:3] offset:1024
	s_mov_b64 s[2:3], 0
	s_waitcnt vmcnt(0) lgkmcnt(0)
	ds_write2st64_b32 v1, v6, v7 offset1:4
	ds_write2st64_b32 v1, v8, v9 offset0:8 offset1:12
	ds_write2st64_b32 v1, v10, v11 offset0:16 offset1:20
	;; [unrolled: 1-line block ×4, first 2 shown]
	s_waitcnt lgkmcnt(0)
	s_barrier
.LBB2701_2:
	s_andn2_b64 vcc, exec, s[2:3]
	s_addk_i32 s7, 0xa00
	s_cbranch_vccnz .LBB2701_24
; %bb.3:
	v_cmp_gt_u32_e32 vcc, s7, v0
                                        ; implicit-def: $vgpr2_vgpr3_vgpr4_vgpr5_vgpr6_vgpr7_vgpr8_vgpr9_vgpr10_vgpr11
	s_and_saveexec_b64 s[2:3], vcc
	s_cbranch_execz .LBB2701_5
; %bb.4:
	v_lshlrev_b32_e32 v1, 2, v0
	v_mov_b32_e32 v3, s9
	v_add_co_u32_e32 v2, vcc, s8, v1
	v_addc_co_u32_e32 v3, vcc, 0, v3, vcc
	flat_load_dword v2, v[2:3]
.LBB2701_5:
	s_or_b64 exec, exec, s[2:3]
	v_or_b32_e32 v1, 0x100, v0
	v_cmp_gt_u32_e32 vcc, s7, v1
	s_and_saveexec_b64 s[2:3], vcc
	s_cbranch_execz .LBB2701_7
; %bb.6:
	v_lshlrev_b32_e32 v1, 2, v0
	v_mov_b32_e32 v3, s9
	v_add_co_u32_e32 v12, vcc, s8, v1
	v_addc_co_u32_e32 v13, vcc, 0, v3, vcc
	flat_load_dword v3, v[12:13] offset:1024
.LBB2701_7:
	s_or_b64 exec, exec, s[2:3]
	v_or_b32_e32 v1, 0x200, v0
	v_cmp_gt_u32_e32 vcc, s7, v1
	s_and_saveexec_b64 s[2:3], vcc
	s_cbranch_execz .LBB2701_9
; %bb.8:
	v_lshlrev_b32_e32 v1, 2, v0
	v_mov_b32_e32 v4, s9
	v_add_co_u32_e32 v12, vcc, s8, v1
	v_addc_co_u32_e32 v13, vcc, 0, v4, vcc
	flat_load_dword v4, v[12:13] offset:2048
.LBB2701_9:
	;; [unrolled: 12-line block ×3, first 2 shown]
	s_or_b64 exec, exec, s[2:3]
	v_or_b32_e32 v1, 0x400, v0
	v_cmp_gt_u32_e32 vcc, s7, v1
	s_and_saveexec_b64 s[2:3], vcc
	s_cbranch_execz .LBB2701_13
; %bb.12:
	v_lshlrev_b32_e32 v1, 2, v1
	v_mov_b32_e32 v6, s9
	v_add_co_u32_e32 v12, vcc, s8, v1
	v_addc_co_u32_e32 v13, vcc, 0, v6, vcc
	flat_load_dword v6, v[12:13]
.LBB2701_13:
	s_or_b64 exec, exec, s[2:3]
	v_or_b32_e32 v1, 0x500, v0
	v_cmp_gt_u32_e32 vcc, s7, v1
	s_and_saveexec_b64 s[2:3], vcc
	s_cbranch_execz .LBB2701_15
; %bb.14:
	v_lshlrev_b32_e32 v1, 2, v1
	v_mov_b32_e32 v7, s9
	v_add_co_u32_e32 v12, vcc, s8, v1
	v_addc_co_u32_e32 v13, vcc, 0, v7, vcc
	flat_load_dword v7, v[12:13]
.LBB2701_15:
	s_or_b64 exec, exec, s[2:3]
	v_or_b32_e32 v1, 0x600, v0
	v_cmp_gt_u32_e32 vcc, s7, v1
	s_and_saveexec_b64 s[2:3], vcc
	s_cbranch_execz .LBB2701_17
; %bb.16:
	v_lshlrev_b32_e32 v1, 2, v1
	v_mov_b32_e32 v8, s9
	v_add_co_u32_e32 v12, vcc, s8, v1
	v_addc_co_u32_e32 v13, vcc, 0, v8, vcc
	flat_load_dword v8, v[12:13]
.LBB2701_17:
	s_or_b64 exec, exec, s[2:3]
	v_or_b32_e32 v1, 0x700, v0
	v_cmp_gt_u32_e32 vcc, s7, v1
	s_and_saveexec_b64 s[2:3], vcc
	s_cbranch_execz .LBB2701_19
; %bb.18:
	v_lshlrev_b32_e32 v1, 2, v1
	v_mov_b32_e32 v9, s9
	v_add_co_u32_e32 v12, vcc, s8, v1
	v_addc_co_u32_e32 v13, vcc, 0, v9, vcc
	flat_load_dword v9, v[12:13]
.LBB2701_19:
	s_or_b64 exec, exec, s[2:3]
	v_or_b32_e32 v1, 0x800, v0
	v_cmp_gt_u32_e32 vcc, s7, v1
	s_and_saveexec_b64 s[2:3], vcc
	s_cbranch_execz .LBB2701_21
; %bb.20:
	v_lshlrev_b32_e32 v1, 2, v1
	v_mov_b32_e32 v10, s9
	v_add_co_u32_e32 v12, vcc, s8, v1
	v_addc_co_u32_e32 v13, vcc, 0, v10, vcc
	flat_load_dword v10, v[12:13]
.LBB2701_21:
	s_or_b64 exec, exec, s[2:3]
	v_or_b32_e32 v1, 0x900, v0
	v_cmp_gt_u32_e32 vcc, s7, v1
	s_and_saveexec_b64 s[2:3], vcc
	s_cbranch_execz .LBB2701_23
; %bb.22:
	v_lshlrev_b32_e32 v1, 2, v1
	v_mov_b32_e32 v11, s9
	v_add_co_u32_e32 v12, vcc, s8, v1
	v_addc_co_u32_e32 v13, vcc, 0, v11, vcc
	flat_load_dword v11, v[12:13]
.LBB2701_23:
	s_or_b64 exec, exec, s[2:3]
	v_lshlrev_b32_e32 v1, 2, v0
	s_waitcnt vmcnt(0) lgkmcnt(0)
	ds_write2st64_b32 v1, v2, v3 offset1:4
	ds_write2st64_b32 v1, v4, v5 offset0:8 offset1:12
	ds_write2st64_b32 v1, v6, v7 offset0:16 offset1:20
	;; [unrolled: 1-line block ×4, first 2 shown]
	s_waitcnt lgkmcnt(0)
	s_barrier
.LBB2701_24:
	v_mul_u32_u24_e32 v22, 10, v0
	v_lshlrev_b32_e32 v28, 2, v22
	s_waitcnt lgkmcnt(0)
	ds_read2_b64 v[6:9], v28 offset1:1
	ds_read2_b64 v[2:5], v28 offset0:2 offset1:3
	ds_read_b64 v[10:11], v28 offset:32
	s_andn2_b64 vcc, exec, s[0:1]
	s_waitcnt lgkmcnt(0)
	v_xor_b32_e32 v21, -1, v6
	v_xor_b32_e32 v20, -1, v7
	;; [unrolled: 1-line block ×10, first 2 shown]
	s_barrier
	s_cbranch_vccnz .LBB2701_26
; %bb.25:
	v_mov_b32_e32 v1, 1
	v_and_b32_e32 v24, 1, v21
	v_and_b32_sdwa v25, v20, v1 dst_sel:BYTE_1 dst_unused:UNUSED_PAD src0_sel:DWORD src1_sel:DWORD
	v_and_b32_e32 v26, 1, v19
	v_and_b32_sdwa v27, v18, v1 dst_sel:BYTE_1 dst_unused:UNUSED_PAD src0_sel:DWORD src1_sel:DWORD
	;; [unrolled: 2-line block ×4, first 2 shown]
	v_or_b32_e32 v24, v24, v25
	v_or_b32_sdwa v25, v26, v27 dst_sel:WORD_1 dst_unused:UNUSED_PAD src0_sel:DWORD src1_sel:DWORD
	v_or_b32_sdwa v25, v24, v25 dst_sel:DWORD dst_unused:UNUSED_PAD src0_sel:WORD_0 src1_sel:DWORD
	v_or_b32_e32 v24, v29, v30
	v_or_b32_sdwa v26, v31, v32 dst_sel:WORD_1 dst_unused:UNUSED_PAD src0_sel:DWORD src1_sel:DWORD
	v_and_b32_e32 v23, 1, v13
	v_and_b32_e32 v1, 1, v12
	v_or_b32_sdwa v24, v24, v26 dst_sel:DWORD dst_unused:UNUSED_PAD src0_sel:WORD_0 src1_sel:DWORD
	s_load_dwordx2 s[24:25], s[4:5], 0x78
	s_cbranch_execz .LBB2701_27
	s_branch .LBB2701_28
.LBB2701_26:
                                        ; implicit-def: $vgpr1
                                        ; implicit-def: $vgpr23
                                        ; implicit-def: $vgpr24
                                        ; implicit-def: $vgpr25
	s_load_dwordx2 s[24:25], s[4:5], 0x78
.LBB2701_27:
	v_or_b32_e32 v31, 1, v22
	v_cmp_gt_u32_e32 vcc, s7, v22
	v_add_u32_e32 v1, 2, v22
	v_cndmask_b32_e64 v32, 0, 1, vcc
	v_cmp_gt_u32_e32 vcc, s7, v31
	v_add_u32_e32 v30, 3, v22
	v_cndmask_b32_e64 v31, 0, 1, vcc
	;; [unrolled: 3-line block ×3, first 2 shown]
	v_cmp_gt_u32_e32 vcc, s7, v30
	v_add_u32_e32 v29, 5, v22
	v_and_b32_e32 v19, v1, v19
	v_cndmask_b32_e64 v1, 0, 1, vcc
	v_cmp_gt_u32_e32 vcc, s7, v23
	v_add_u32_e32 v24, 6, v22
	v_and_b32_sdwa v18, v1, v18 dst_sel:BYTE_1 dst_unused:UNUSED_PAD src0_sel:DWORD src1_sel:DWORD
	v_cndmask_b32_e64 v1, 0, 1, vcc
	v_cmp_gt_u32_e32 vcc, s7, v29
	v_add_u32_e32 v27, 7, v22
	v_and_b32_e32 v17, v1, v17
	v_cndmask_b32_e64 v1, 0, 1, vcc
	v_cmp_gt_u32_e32 vcc, s7, v24
	v_add_u32_e32 v25, 8, v22
	v_and_b32_sdwa v16, v1, v16 dst_sel:BYTE_1 dst_unused:UNUSED_PAD src0_sel:DWORD src1_sel:DWORD
	v_cndmask_b32_e64 v1, 0, 1, vcc
	v_cmp_gt_u32_e32 vcc, s7, v27
	v_add_u32_e32 v26, 9, v22
	v_and_b32_e32 v15, v1, v15
	v_cndmask_b32_e64 v1, 0, 1, vcc
	v_cmp_gt_u32_e32 vcc, s7, v25
	v_and_b32_sdwa v14, v1, v14 dst_sel:BYTE_1 dst_unused:UNUSED_PAD src0_sel:DWORD src1_sel:DWORD
	v_cndmask_b32_e64 v1, 0, 1, vcc
	v_cmp_gt_u32_e32 vcc, s7, v26
	v_and_b32_e32 v21, v32, v21
	v_and_b32_sdwa v20, v31, v20 dst_sel:BYTE_1 dst_unused:UNUSED_PAD src0_sel:DWORD src1_sel:DWORD
	v_and_b32_e32 v23, v1, v13
	v_cndmask_b32_e64 v1, 0, 1, vcc
	v_and_b32_e32 v1, v1, v12
	v_or_b32_e32 v12, v21, v20
	v_or_b32_sdwa v13, v19, v18 dst_sel:WORD_1 dst_unused:UNUSED_PAD src0_sel:DWORD src1_sel:DWORD
	v_or_b32_sdwa v25, v12, v13 dst_sel:DWORD dst_unused:UNUSED_PAD src0_sel:WORD_0 src1_sel:DWORD
	v_or_b32_e32 v12, v17, v16
	v_or_b32_sdwa v13, v15, v14 dst_sel:WORD_1 dst_unused:UNUSED_PAD src0_sel:DWORD src1_sel:DWORD
	v_or_b32_sdwa v24, v12, v13 dst_sel:DWORD dst_unused:UNUSED_PAD src0_sel:WORD_0 src1_sel:DWORD
.LBB2701_28:
	v_bfe_u32 v29, v25, 16, 8
	v_lshrrev_b32_e32 v27, 24, v25
	v_add_u32_sdwa v13, v25, v25 dst_sel:DWORD dst_unused:UNUSED_PAD src0_sel:BYTE_1 src1_sel:BYTE_0
	v_and_b32_e32 v30, 0xff, v24
	v_bfe_u32 v31, v24, 8, 8
	v_add3_u32 v13, v13, v29, v27
	v_bfe_u32 v32, v24, 16, 8
	v_lshrrev_b32_e32 v26, 24, v24
	v_add3_u32 v13, v13, v30, v31
	v_and_b32_e32 v33, 0xff, v23
	v_and_b32_e32 v12, 0xff, v1
	v_add3_u32 v13, v13, v32, v26
	v_add3_u32 v36, v13, v33, v12
	v_mbcnt_lo_u32_b32 v12, -1, 0
	v_mbcnt_hi_u32_b32 v34, -1, v12
	v_and_b32_e32 v12, 15, v34
	v_cmp_eq_u32_e64 s[12:13], 0, v12
	v_cmp_lt_u32_e64 s[10:11], 1, v12
	v_cmp_lt_u32_e64 s[8:9], 3, v12
	;; [unrolled: 1-line block ×3, first 2 shown]
	v_and_b32_e32 v12, 16, v34
	v_cmp_eq_u32_e64 s[4:5], 0, v12
	v_or_b32_e32 v12, 63, v0
	s_cmp_lg_u32 s6, 0
	v_cmp_lt_u32_e64 s[0:1], 31, v34
	v_lshrrev_b32_e32 v35, 6, v0
	v_cmp_eq_u32_e64 s[2:3], v12, v0
	s_cbranch_scc0 .LBB2701_59
; %bb.29:
	v_mov_b32_dpp v12, v36 row_shr:1 row_mask:0xf bank_mask:0xf
	v_cndmask_b32_e64 v12, v12, 0, s[12:13]
	v_add_u32_e32 v12, v12, v36
	s_nop 1
	v_mov_b32_dpp v13, v12 row_shr:2 row_mask:0xf bank_mask:0xf
	v_cndmask_b32_e64 v13, 0, v13, s[10:11]
	v_add_u32_e32 v12, v12, v13
	s_nop 1
	;; [unrolled: 4-line block ×4, first 2 shown]
	v_mov_b32_dpp v13, v12 row_bcast:15 row_mask:0xf bank_mask:0xf
	v_cndmask_b32_e64 v13, v13, 0, s[4:5]
	v_add_u32_e32 v12, v12, v13
	s_nop 1
	v_mov_b32_dpp v13, v12 row_bcast:31 row_mask:0xf bank_mask:0xf
	v_cndmask_b32_e64 v13, 0, v13, s[0:1]
	v_add_u32_e32 v12, v12, v13
	s_and_saveexec_b64 s[14:15], s[2:3]
	s_cbranch_execz .LBB2701_31
; %bb.30:
	v_lshlrev_b32_e32 v13, 2, v35
	ds_write_b32 v13, v12
.LBB2701_31:
	s_or_b64 exec, exec, s[14:15]
	v_cmp_gt_u32_e32 vcc, 4, v0
	s_waitcnt lgkmcnt(0)
	s_barrier
	s_and_saveexec_b64 s[14:15], vcc
	s_cbranch_execz .LBB2701_33
; %bb.32:
	v_lshlrev_b32_e32 v13, 2, v0
	ds_read_b32 v14, v13
	v_and_b32_e32 v15, 3, v34
	v_cmp_ne_u32_e32 vcc, 0, v15
	s_waitcnt lgkmcnt(0)
	v_mov_b32_dpp v16, v14 row_shr:1 row_mask:0xf bank_mask:0xf
	v_cndmask_b32_e32 v16, 0, v16, vcc
	v_add_u32_e32 v14, v16, v14
	v_cmp_lt_u32_e32 vcc, 1, v15
	s_nop 0
	v_mov_b32_dpp v16, v14 row_shr:2 row_mask:0xf bank_mask:0xf
	v_cndmask_b32_e32 v15, 0, v16, vcc
	v_add_u32_e32 v14, v14, v15
	ds_write_b32 v13, v14
.LBB2701_33:
	s_or_b64 exec, exec, s[14:15]
	v_cmp_gt_u32_e32 vcc, 64, v0
	v_cmp_lt_u32_e64 s[14:15], 63, v0
	s_waitcnt lgkmcnt(0)
	s_barrier
	s_waitcnt lgkmcnt(0)
                                        ; implicit-def: $vgpr37
	s_and_saveexec_b64 s[26:27], s[14:15]
	s_cbranch_execz .LBB2701_35
; %bb.34:
	v_lshl_add_u32 v13, v35, 2, -4
	ds_read_b32 v37, v13
	s_waitcnt lgkmcnt(0)
	v_add_u32_e32 v12, v37, v12
.LBB2701_35:
	s_or_b64 exec, exec, s[26:27]
	v_add_u32_e32 v13, -1, v34
	v_and_b32_e32 v14, 64, v34
	v_cmp_lt_i32_e64 s[14:15], v13, v14
	v_cndmask_b32_e64 v13, v13, v34, s[14:15]
	v_lshlrev_b32_e32 v13, 2, v13
	ds_bpermute_b32 v38, v13, v12
	v_cmp_eq_u32_e64 s[14:15], 0, v34
	s_and_saveexec_b64 s[26:27], vcc
	s_cbranch_execz .LBB2701_58
; %bb.36:
	v_mov_b32_e32 v21, 0
	ds_read_b32 v12, v21 offset:12
	s_and_saveexec_b64 s[28:29], s[14:15]
	s_cbranch_execz .LBB2701_38
; %bb.37:
	s_add_i32 s30, s6, 64
	s_mov_b32 s31, 0
	s_lshl_b64 s[30:31], s[30:31], 3
	s_add_u32 s30, s24, s30
	v_mov_b32_e32 v13, 1
	s_addc_u32 s31, s25, s31
	s_waitcnt lgkmcnt(0)
	global_store_dwordx2 v21, v[12:13], s[30:31]
.LBB2701_38:
	s_or_b64 exec, exec, s[28:29]
	v_xad_u32 v14, v34, -1, s6
	v_add_u32_e32 v20, 64, v14
	v_lshlrev_b64 v[16:17], 3, v[20:21]
	v_mov_b32_e32 v13, s25
	v_add_co_u32_e32 v16, vcc, s24, v16
	v_addc_co_u32_e32 v17, vcc, v13, v17, vcc
	global_load_dwordx2 v[18:19], v[16:17], off glc
	s_waitcnt vmcnt(0)
	v_cmp_eq_u16_sdwa s[30:31], v19, v21 src0_sel:BYTE_0 src1_sel:DWORD
	s_and_saveexec_b64 s[28:29], s[30:31]
	s_cbranch_execz .LBB2701_44
; %bb.39:
	s_mov_b32 s7, 1
	s_mov_b64 s[30:31], 0
	v_mov_b32_e32 v13, 0
.LBB2701_40:                            ; =>This Loop Header: Depth=1
                                        ;     Child Loop BB2701_41 Depth 2
	s_max_u32 s33, s7, 1
.LBB2701_41:                            ;   Parent Loop BB2701_40 Depth=1
                                        ; =>  This Inner Loop Header: Depth=2
	s_add_i32 s33, s33, -1
	s_cmp_eq_u32 s33, 0
	s_sleep 1
	s_cbranch_scc0 .LBB2701_41
; %bb.42:                               ;   in Loop: Header=BB2701_40 Depth=1
	global_load_dwordx2 v[18:19], v[16:17], off glc
	s_cmp_lt_u32 s7, 32
	s_cselect_b64 s[34:35], -1, 0
	s_cmp_lg_u64 s[34:35], 0
	s_addc_u32 s7, s7, 0
	s_waitcnt vmcnt(0)
	v_cmp_ne_u16_sdwa s[34:35], v19, v13 src0_sel:BYTE_0 src1_sel:DWORD
	s_or_b64 s[30:31], s[34:35], s[30:31]
	s_andn2_b64 exec, exec, s[30:31]
	s_cbranch_execnz .LBB2701_40
; %bb.43:
	s_or_b64 exec, exec, s[30:31]
.LBB2701_44:
	s_or_b64 exec, exec, s[28:29]
	v_and_b32_e32 v40, 63, v34
	v_mov_b32_e32 v39, 2
	v_cmp_ne_u32_e32 vcc, 63, v40
	v_cmp_eq_u16_sdwa s[28:29], v19, v39 src0_sel:BYTE_0 src1_sel:DWORD
	v_lshlrev_b64 v[16:17], v34, -1
	v_addc_co_u32_e32 v20, vcc, 0, v34, vcc
	v_and_b32_e32 v13, s29, v17
	v_lshlrev_b32_e32 v41, 2, v20
	v_or_b32_e32 v13, 0x80000000, v13
	ds_bpermute_b32 v20, v41, v18
	v_and_b32_e32 v15, s28, v16
	v_ffbl_b32_e32 v13, v13
	v_add_u32_e32 v13, 32, v13
	v_ffbl_b32_e32 v15, v15
	v_min_u32_e32 v13, v15, v13
	v_cmp_lt_u32_e32 vcc, v40, v13
	s_waitcnt lgkmcnt(0)
	v_cndmask_b32_e32 v15, 0, v20, vcc
	v_cmp_gt_u32_e32 vcc, 62, v40
	v_add_u32_e32 v15, v15, v18
	v_cndmask_b32_e64 v18, 0, 1, vcc
	v_lshlrev_b32_e32 v18, 1, v18
	v_add_lshl_u32 v42, v18, v34, 2
	ds_bpermute_b32 v18, v42, v15
	v_add_u32_e32 v43, 2, v40
	v_cmp_le_u32_e32 vcc, v43, v13
	v_add_u32_e32 v45, 4, v40
	v_add_u32_e32 v47, 8, v40
	s_waitcnt lgkmcnt(0)
	v_cndmask_b32_e32 v18, 0, v18, vcc
	v_cmp_gt_u32_e32 vcc, 60, v40
	v_add_u32_e32 v15, v15, v18
	v_cndmask_b32_e64 v18, 0, 1, vcc
	v_lshlrev_b32_e32 v18, 2, v18
	v_add_lshl_u32 v44, v18, v34, 2
	ds_bpermute_b32 v18, v44, v15
	v_cmp_le_u32_e32 vcc, v45, v13
	v_add_u32_e32 v49, 16, v40
	v_add_u32_e32 v51, 32, v40
	s_waitcnt lgkmcnt(0)
	v_cndmask_b32_e32 v18, 0, v18, vcc
	v_cmp_gt_u32_e32 vcc, 56, v40
	v_add_u32_e32 v15, v15, v18
	v_cndmask_b32_e64 v18, 0, 1, vcc
	v_lshlrev_b32_e32 v18, 3, v18
	v_add_lshl_u32 v46, v18, v34, 2
	ds_bpermute_b32 v18, v46, v15
	v_cmp_le_u32_e32 vcc, v47, v13
	s_waitcnt lgkmcnt(0)
	v_cndmask_b32_e32 v18, 0, v18, vcc
	v_cmp_gt_u32_e32 vcc, 48, v40
	v_add_u32_e32 v15, v15, v18
	v_cndmask_b32_e64 v18, 0, 1, vcc
	v_lshlrev_b32_e32 v18, 4, v18
	v_add_lshl_u32 v48, v18, v34, 2
	ds_bpermute_b32 v18, v48, v15
	v_cmp_le_u32_e32 vcc, v49, v13
	;; [unrolled: 9-line block ×3, first 2 shown]
	s_waitcnt lgkmcnt(0)
	v_cndmask_b32_e32 v13, 0, v18, vcc
	v_add_u32_e32 v18, v15, v13
	v_mov_b32_e32 v15, 0
	s_branch .LBB2701_46
.LBB2701_45:                            ;   in Loop: Header=BB2701_46 Depth=1
	s_or_b64 exec, exec, s[28:29]
	v_cmp_eq_u16_sdwa s[28:29], v19, v39 src0_sel:BYTE_0 src1_sel:DWORD
	v_and_b32_e32 v20, s29, v17
	v_or_b32_e32 v20, 0x80000000, v20
	ds_bpermute_b32 v52, v41, v18
	v_and_b32_e32 v21, s28, v16
	v_ffbl_b32_e32 v20, v20
	v_add_u32_e32 v20, 32, v20
	v_ffbl_b32_e32 v21, v21
	v_min_u32_e32 v20, v21, v20
	v_cmp_lt_u32_e32 vcc, v40, v20
	s_waitcnt lgkmcnt(0)
	v_cndmask_b32_e32 v21, 0, v52, vcc
	v_add_u32_e32 v18, v21, v18
	ds_bpermute_b32 v21, v42, v18
	v_cmp_le_u32_e32 vcc, v43, v20
	v_subrev_u32_e32 v14, 64, v14
	s_waitcnt lgkmcnt(0)
	v_cndmask_b32_e32 v21, 0, v21, vcc
	v_add_u32_e32 v18, v18, v21
	ds_bpermute_b32 v21, v44, v18
	v_cmp_le_u32_e32 vcc, v45, v20
	s_waitcnt lgkmcnt(0)
	v_cndmask_b32_e32 v21, 0, v21, vcc
	v_add_u32_e32 v18, v18, v21
	ds_bpermute_b32 v21, v46, v18
	v_cmp_le_u32_e32 vcc, v47, v20
	;; [unrolled: 5-line block ×4, first 2 shown]
	s_waitcnt lgkmcnt(0)
	v_cndmask_b32_e32 v20, 0, v21, vcc
	v_add3_u32 v18, v20, v13, v18
.LBB2701_46:                            ; =>This Loop Header: Depth=1
                                        ;     Child Loop BB2701_49 Depth 2
                                        ;       Child Loop BB2701_50 Depth 3
	v_cmp_ne_u16_sdwa s[28:29], v19, v39 src0_sel:BYTE_0 src1_sel:DWORD
	v_cndmask_b32_e64 v13, 0, 1, s[28:29]
	;;#ASMSTART
	;;#ASMEND
	v_cmp_ne_u32_e32 vcc, 0, v13
	s_cmp_lg_u64 vcc, exec
	v_mov_b32_e32 v13, v18
	s_cbranch_scc1 .LBB2701_53
; %bb.47:                               ;   in Loop: Header=BB2701_46 Depth=1
	v_lshlrev_b64 v[18:19], 3, v[14:15]
	v_mov_b32_e32 v21, s25
	v_add_co_u32_e32 v20, vcc, s24, v18
	v_addc_co_u32_e32 v21, vcc, v21, v19, vcc
	global_load_dwordx2 v[18:19], v[20:21], off glc
	s_waitcnt vmcnt(0)
	v_cmp_eq_u16_sdwa s[30:31], v19, v15 src0_sel:BYTE_0 src1_sel:DWORD
	s_and_saveexec_b64 s[28:29], s[30:31]
	s_cbranch_execz .LBB2701_45
; %bb.48:                               ;   in Loop: Header=BB2701_46 Depth=1
	s_mov_b32 s7, 1
	s_mov_b64 s[30:31], 0
.LBB2701_49:                            ;   Parent Loop BB2701_46 Depth=1
                                        ; =>  This Loop Header: Depth=2
                                        ;       Child Loop BB2701_50 Depth 3
	s_max_u32 s33, s7, 1
.LBB2701_50:                            ;   Parent Loop BB2701_46 Depth=1
                                        ;     Parent Loop BB2701_49 Depth=2
                                        ; =>    This Inner Loop Header: Depth=3
	s_add_i32 s33, s33, -1
	s_cmp_eq_u32 s33, 0
	s_sleep 1
	s_cbranch_scc0 .LBB2701_50
; %bb.51:                               ;   in Loop: Header=BB2701_49 Depth=2
	global_load_dwordx2 v[18:19], v[20:21], off glc
	s_cmp_lt_u32 s7, 32
	s_cselect_b64 s[34:35], -1, 0
	s_cmp_lg_u64 s[34:35], 0
	s_addc_u32 s7, s7, 0
	s_waitcnt vmcnt(0)
	v_cmp_ne_u16_sdwa s[34:35], v19, v15 src0_sel:BYTE_0 src1_sel:DWORD
	s_or_b64 s[30:31], s[34:35], s[30:31]
	s_andn2_b64 exec, exec, s[30:31]
	s_cbranch_execnz .LBB2701_49
; %bb.52:                               ;   in Loop: Header=BB2701_46 Depth=1
	s_or_b64 exec, exec, s[30:31]
	s_branch .LBB2701_45
.LBB2701_53:                            ;   in Loop: Header=BB2701_46 Depth=1
                                        ; implicit-def: $vgpr18
                                        ; implicit-def: $vgpr19
	s_cbranch_execz .LBB2701_46
; %bb.54:
	s_and_saveexec_b64 s[28:29], s[14:15]
	s_cbranch_execz .LBB2701_56
; %bb.55:
	s_add_i32 s6, s6, 64
	s_mov_b32 s7, 0
	s_lshl_b64 s[6:7], s[6:7], 3
	s_add_u32 s6, s24, s6
	v_add_u32_e32 v14, v13, v12
	v_mov_b32_e32 v15, 2
	s_addc_u32 s7, s25, s7
	v_mov_b32_e32 v16, 0
	global_store_dwordx2 v16, v[14:15], s[6:7]
	ds_write_b64 v16, v[12:13] offset:10240
.LBB2701_56:
	s_or_b64 exec, exec, s[28:29]
	v_cmp_eq_u32_e32 vcc, 0, v0
	s_and_b64 exec, exec, vcc
	s_cbranch_execz .LBB2701_58
; %bb.57:
	v_mov_b32_e32 v12, 0
	ds_write_b32 v12, v13 offset:12
.LBB2701_58:
	s_or_b64 exec, exec, s[26:27]
	v_mov_b32_e32 v12, 0
	s_waitcnt lgkmcnt(0)
	s_barrier
	ds_read_b32 v13, v12 offset:12
	v_cndmask_b32_e64 v14, v38, v37, s[14:15]
	v_cmp_ne_u32_e32 vcc, 0, v0
	v_cndmask_b32_e32 v14, 0, v14, vcc
	s_waitcnt lgkmcnt(0)
	v_add_u32_e32 v38, v13, v14
	v_add_u32_sdwa v37, v38, v25 dst_sel:DWORD dst_unused:UNUSED_PAD src0_sel:DWORD src1_sel:BYTE_0
	v_add_u32_sdwa v21, v37, v25 dst_sel:DWORD dst_unused:UNUSED_PAD src0_sel:DWORD src1_sel:BYTE_1
	v_add_u32_e32 v20, v21, v29
	v_add_u32_e32 v19, v20, v27
	;; [unrolled: 1-line block ×3, first 2 shown]
	s_barrier
	ds_read_b64 v[12:13], v12 offset:10240
	v_add_u32_e32 v17, v18, v31
	v_add_u32_e32 v16, v17, v32
	;; [unrolled: 1-line block ×4, first 2 shown]
	s_branch .LBB2701_69
.LBB2701_59:
                                        ; implicit-def: $vgpr13
                                        ; implicit-def: $vgpr14
                                        ; implicit-def: $vgpr15
                                        ; implicit-def: $vgpr16
                                        ; implicit-def: $vgpr17
                                        ; implicit-def: $vgpr18
                                        ; implicit-def: $vgpr19
                                        ; implicit-def: $vgpr20
                                        ; implicit-def: $vgpr21
                                        ; implicit-def: $vgpr37
                                        ; implicit-def: $vgpr38
	s_cbranch_execz .LBB2701_69
; %bb.60:
	s_waitcnt lgkmcnt(0)
	v_mov_b32_dpp v12, v36 row_shr:1 row_mask:0xf bank_mask:0xf
	v_cndmask_b32_e64 v12, v12, 0, s[12:13]
	v_add_u32_e32 v12, v12, v36
	s_nop 1
	v_mov_b32_dpp v13, v12 row_shr:2 row_mask:0xf bank_mask:0xf
	v_cndmask_b32_e64 v13, 0, v13, s[10:11]
	v_add_u32_e32 v12, v12, v13
	s_nop 1
	;; [unrolled: 4-line block ×4, first 2 shown]
	v_mov_b32_dpp v13, v12 row_bcast:15 row_mask:0xf bank_mask:0xf
	v_cndmask_b32_e64 v13, v13, 0, s[4:5]
	v_add_u32_e32 v12, v12, v13
	s_nop 1
	v_mov_b32_dpp v13, v12 row_bcast:31 row_mask:0xf bank_mask:0xf
	v_cndmask_b32_e64 v13, 0, v13, s[0:1]
	v_add_u32_e32 v12, v12, v13
	s_and_saveexec_b64 s[0:1], s[2:3]
	s_cbranch_execz .LBB2701_62
; %bb.61:
	v_lshlrev_b32_e32 v13, 2, v35
	ds_write_b32 v13, v12
.LBB2701_62:
	s_or_b64 exec, exec, s[0:1]
	v_cmp_gt_u32_e32 vcc, 4, v0
	s_waitcnt lgkmcnt(0)
	s_barrier
	s_and_saveexec_b64 s[0:1], vcc
	s_cbranch_execz .LBB2701_64
; %bb.63:
	s_movk_i32 s2, 0xffdc
	v_mad_i32_i24 v13, v0, s2, v28
	ds_read_b32 v14, v13
	v_and_b32_e32 v15, 3, v34
	v_cmp_ne_u32_e32 vcc, 0, v15
	s_waitcnt lgkmcnt(0)
	v_mov_b32_dpp v16, v14 row_shr:1 row_mask:0xf bank_mask:0xf
	v_cndmask_b32_e32 v16, 0, v16, vcc
	v_add_u32_e32 v14, v16, v14
	v_cmp_lt_u32_e32 vcc, 1, v15
	s_nop 0
	v_mov_b32_dpp v16, v14 row_shr:2 row_mask:0xf bank_mask:0xf
	v_cndmask_b32_e32 v15, 0, v16, vcc
	v_add_u32_e32 v14, v14, v15
	ds_write_b32 v13, v14
.LBB2701_64:
	s_or_b64 exec, exec, s[0:1]
	v_cmp_lt_u32_e32 vcc, 63, v0
	v_mov_b32_e32 v13, 0
	v_mov_b32_e32 v14, 0
	s_waitcnt lgkmcnt(0)
	s_barrier
	s_and_saveexec_b64 s[0:1], vcc
	s_cbranch_execz .LBB2701_66
; %bb.65:
	v_lshl_add_u32 v14, v35, 2, -4
	ds_read_b32 v14, v14
.LBB2701_66:
	s_or_b64 exec, exec, s[0:1]
	v_add_u32_e32 v15, -1, v34
	v_and_b32_e32 v16, 64, v34
	v_cmp_lt_i32_e32 vcc, v15, v16
	v_cndmask_b32_e32 v15, v15, v34, vcc
	s_waitcnt lgkmcnt(0)
	v_add_u32_e32 v12, v14, v12
	v_lshlrev_b32_e32 v15, 2, v15
	ds_bpermute_b32 v15, v15, v12
	ds_read_b32 v12, v13 offset:12
	v_cmp_eq_u32_e32 vcc, 0, v0
	s_and_saveexec_b64 s[0:1], vcc
	s_cbranch_execz .LBB2701_68
; %bb.67:
	v_mov_b32_e32 v16, 0
	v_mov_b32_e32 v13, 2
	s_waitcnt lgkmcnt(0)
	global_store_dwordx2 v16, v[12:13], s[24:25] offset:512
.LBB2701_68:
	s_or_b64 exec, exec, s[0:1]
	v_cmp_eq_u32_e64 s[0:1], 0, v34
	s_waitcnt lgkmcnt(1)
	v_cndmask_b32_e64 v14, v15, v14, s[0:1]
	v_cndmask_b32_e64 v38, v14, 0, vcc
	v_add_u32_sdwa v37, v38, v25 dst_sel:DWORD dst_unused:UNUSED_PAD src0_sel:DWORD src1_sel:BYTE_0
	v_add_u32_sdwa v21, v37, v25 dst_sel:DWORD dst_unused:UNUSED_PAD src0_sel:DWORD src1_sel:BYTE_1
	v_add_u32_e32 v20, v21, v29
	v_add_u32_e32 v19, v20, v27
	;; [unrolled: 1-line block ×6, first 2 shown]
	v_mov_b32_e32 v13, 0
	v_add_u32_e32 v14, v15, v33
	s_waitcnt lgkmcnt(0)
	s_barrier
.LBB2701_69:
	s_waitcnt lgkmcnt(0)
	v_add_u32_e32 v22, v12, v22
	v_sub_u32_e32 v30, v38, v13
	v_and_b32_e32 v32, 1, v25
	v_sub_u32_e32 v31, v22, v30
	v_cmp_eq_u32_e32 vcc, 1, v32
	v_cndmask_b32_e32 v30, v31, v30, vcc
	v_lshlrev_b32_e32 v30, 2, v30
	v_lshrrev_b32_e32 v29, 8, v25
	ds_write_b32 v30, v6
	v_sub_u32_e32 v6, v37, v13
	v_sub_u32_e32 v30, v22, v6
	v_and_b32_e32 v29, 1, v29
	v_add_u32_e32 v30, 1, v30
	v_cmp_eq_u32_e32 vcc, 1, v29
	v_cndmask_b32_e32 v6, v30, v6, vcc
	v_lshlrev_b32_e32 v6, 2, v6
	ds_write_b32 v6, v7
	v_sub_u32_e32 v6, v21, v13
	v_mov_b32_e32 v21, 1
	v_sub_u32_e32 v7, v22, v6
	v_and_b32_sdwa v25, v21, v25 dst_sel:DWORD dst_unused:UNUSED_PAD src0_sel:DWORD src1_sel:WORD_1
	v_add_u32_e32 v7, 2, v7
	v_cmp_eq_u32_e32 vcc, 1, v25
	v_cndmask_b32_e32 v6, v7, v6, vcc
	v_lshlrev_b32_e32 v6, 2, v6
	ds_write_b32 v6, v8
	v_sub_u32_e32 v6, v20, v13
	v_sub_u32_e32 v7, v22, v6
	v_and_b32_e32 v8, 1, v27
	v_add_u32_e32 v7, 3, v7
	v_cmp_eq_u32_e32 vcc, 1, v8
	v_cndmask_b32_e32 v6, v7, v6, vcc
	v_lshlrev_b32_e32 v6, 2, v6
	ds_write_b32 v6, v9
	v_sub_u32_e32 v6, v19, v13
	v_sub_u32_e32 v7, v22, v6
	v_and_b32_e32 v8, 1, v24
	v_add_u32_e32 v7, 4, v7
	v_cmp_eq_u32_e32 vcc, 1, v8
	v_cndmask_b32_e32 v6, v7, v6, vcc
	v_lshlrev_b32_e32 v6, 2, v6
	v_lshrrev_b32_e32 v28, 8, v24
	ds_write_b32 v6, v2
	v_sub_u32_e32 v2, v18, v13
	v_sub_u32_e32 v6, v22, v2
	v_and_b32_e32 v7, 1, v28
	v_add_u32_e32 v6, 5, v6
	v_cmp_eq_u32_e32 vcc, 1, v7
	v_cndmask_b32_e32 v2, v6, v2, vcc
	v_lshlrev_b32_e32 v2, 2, v2
	ds_write_b32 v2, v3
	v_sub_u32_e32 v2, v17, v13
	v_sub_u32_e32 v3, v22, v2
	v_and_b32_sdwa v6, v21, v24 dst_sel:DWORD dst_unused:UNUSED_PAD src0_sel:DWORD src1_sel:WORD_1
	v_add_u32_e32 v3, 6, v3
	v_cmp_eq_u32_e32 vcc, 1, v6
	v_cndmask_b32_e32 v2, v3, v2, vcc
	v_lshlrev_b32_e32 v2, 2, v2
	ds_write_b32 v2, v4
	v_sub_u32_e32 v2, v16, v13
	v_sub_u32_e32 v3, v22, v2
	v_and_b32_e32 v4, 1, v26
	v_add_u32_e32 v3, 7, v3
	v_cmp_eq_u32_e32 vcc, 1, v4
	v_cndmask_b32_e32 v2, v3, v2, vcc
	v_lshlrev_b32_e32 v2, 2, v2
	ds_write_b32 v2, v5
	v_sub_u32_e32 v2, v15, v13
	v_sub_u32_e32 v3, v22, v2
	v_and_b32_e32 v4, 1, v23
	;; [unrolled: 8-line block ×3, first 2 shown]
	v_add_u32_e32 v3, 9, v3
	v_cmp_eq_u32_e32 vcc, 1, v1
	v_cndmask_b32_e32 v1, v3, v2, vcc
	v_cmp_eq_u32_e32 vcc, 0, v0
	v_lshlrev_b32_e32 v1, 2, v1
	s_and_b64 s[0:1], vcc, s[22:23]
	ds_write_b32 v1, v11
	s_waitcnt lgkmcnt(0)
	s_barrier
	s_and_saveexec_b64 s[2:3], s[0:1]
	s_cbranch_execz .LBB2701_71
; %bb.70:
	v_mov_b32_e32 v0, s19
	v_add_co_u32_e32 v1, vcc, s18, v12
	v_addc_co_u32_e32 v3, vcc, 0, v0, vcc
	v_add_co_u32_e32 v0, vcc, v1, v13
	v_mov_b32_e32 v2, 0
	v_addc_co_u32_e32 v1, vcc, 0, v3, vcc
	global_store_dwordx2 v2, v[0:1], s[20:21]
.LBB2701_71:
	s_endpgm
	.section	.rodata,"a",@progbits
	.p2align	6, 0x0
	.amdhsa_kernel _ZN7rocprim17ROCPRIM_400000_NS6detail17trampoline_kernelINS0_14default_configENS1_25partition_config_selectorILNS1_17partition_subalgoE0EiNS0_10empty_typeEbEEZZNS1_14partition_implILS5_0ELb0ES3_jN6thrust23THRUST_200600_302600_NS6detail15normal_iteratorINSA_10device_ptrIiEEEEPS6_SG_NS0_5tupleIJNSA_16discard_iteratorINSA_11use_defaultEEESK_EEENSH_IJSG_SG_EEES6_PlJ7is_evenIiEEEE10hipError_tPvRmT3_T4_T5_T6_T7_T9_mT8_P12ihipStream_tbDpT10_ENKUlT_T0_E_clISt17integral_constantIbLb1EES18_IbLb0EEEEDaS14_S15_EUlS14_E_NS1_11comp_targetILNS1_3genE4ELNS1_11target_archE910ELNS1_3gpuE8ELNS1_3repE0EEENS1_30default_config_static_selectorELNS0_4arch9wavefront6targetE1EEEvT1_
		.amdhsa_group_segment_fixed_size 10248
		.amdhsa_private_segment_fixed_size 0
		.amdhsa_kernarg_size 136
		.amdhsa_user_sgpr_count 6
		.amdhsa_user_sgpr_private_segment_buffer 1
		.amdhsa_user_sgpr_dispatch_ptr 0
		.amdhsa_user_sgpr_queue_ptr 0
		.amdhsa_user_sgpr_kernarg_segment_ptr 1
		.amdhsa_user_sgpr_dispatch_id 0
		.amdhsa_user_sgpr_flat_scratch_init 0
		.amdhsa_user_sgpr_kernarg_preload_length 0
		.amdhsa_user_sgpr_kernarg_preload_offset 0
		.amdhsa_user_sgpr_private_segment_size 0
		.amdhsa_uses_dynamic_stack 0
		.amdhsa_system_sgpr_private_segment_wavefront_offset 0
		.amdhsa_system_sgpr_workgroup_id_x 1
		.amdhsa_system_sgpr_workgroup_id_y 0
		.amdhsa_system_sgpr_workgroup_id_z 0
		.amdhsa_system_sgpr_workgroup_info 0
		.amdhsa_system_vgpr_workitem_id 0
		.amdhsa_next_free_vgpr 53
		.amdhsa_next_free_sgpr 36
		.amdhsa_accum_offset 56
		.amdhsa_reserve_vcc 1
		.amdhsa_reserve_flat_scratch 0
		.amdhsa_float_round_mode_32 0
		.amdhsa_float_round_mode_16_64 0
		.amdhsa_float_denorm_mode_32 3
		.amdhsa_float_denorm_mode_16_64 3
		.amdhsa_dx10_clamp 1
		.amdhsa_ieee_mode 1
		.amdhsa_fp16_overflow 0
		.amdhsa_tg_split 0
		.amdhsa_exception_fp_ieee_invalid_op 0
		.amdhsa_exception_fp_denorm_src 0
		.amdhsa_exception_fp_ieee_div_zero 0
		.amdhsa_exception_fp_ieee_overflow 0
		.amdhsa_exception_fp_ieee_underflow 0
		.amdhsa_exception_fp_ieee_inexact 0
		.amdhsa_exception_int_div_zero 0
	.end_amdhsa_kernel
	.section	.text._ZN7rocprim17ROCPRIM_400000_NS6detail17trampoline_kernelINS0_14default_configENS1_25partition_config_selectorILNS1_17partition_subalgoE0EiNS0_10empty_typeEbEEZZNS1_14partition_implILS5_0ELb0ES3_jN6thrust23THRUST_200600_302600_NS6detail15normal_iteratorINSA_10device_ptrIiEEEEPS6_SG_NS0_5tupleIJNSA_16discard_iteratorINSA_11use_defaultEEESK_EEENSH_IJSG_SG_EEES6_PlJ7is_evenIiEEEE10hipError_tPvRmT3_T4_T5_T6_T7_T9_mT8_P12ihipStream_tbDpT10_ENKUlT_T0_E_clISt17integral_constantIbLb1EES18_IbLb0EEEEDaS14_S15_EUlS14_E_NS1_11comp_targetILNS1_3genE4ELNS1_11target_archE910ELNS1_3gpuE8ELNS1_3repE0EEENS1_30default_config_static_selectorELNS0_4arch9wavefront6targetE1EEEvT1_,"axG",@progbits,_ZN7rocprim17ROCPRIM_400000_NS6detail17trampoline_kernelINS0_14default_configENS1_25partition_config_selectorILNS1_17partition_subalgoE0EiNS0_10empty_typeEbEEZZNS1_14partition_implILS5_0ELb0ES3_jN6thrust23THRUST_200600_302600_NS6detail15normal_iteratorINSA_10device_ptrIiEEEEPS6_SG_NS0_5tupleIJNSA_16discard_iteratorINSA_11use_defaultEEESK_EEENSH_IJSG_SG_EEES6_PlJ7is_evenIiEEEE10hipError_tPvRmT3_T4_T5_T6_T7_T9_mT8_P12ihipStream_tbDpT10_ENKUlT_T0_E_clISt17integral_constantIbLb1EES18_IbLb0EEEEDaS14_S15_EUlS14_E_NS1_11comp_targetILNS1_3genE4ELNS1_11target_archE910ELNS1_3gpuE8ELNS1_3repE0EEENS1_30default_config_static_selectorELNS0_4arch9wavefront6targetE1EEEvT1_,comdat
.Lfunc_end2701:
	.size	_ZN7rocprim17ROCPRIM_400000_NS6detail17trampoline_kernelINS0_14default_configENS1_25partition_config_selectorILNS1_17partition_subalgoE0EiNS0_10empty_typeEbEEZZNS1_14partition_implILS5_0ELb0ES3_jN6thrust23THRUST_200600_302600_NS6detail15normal_iteratorINSA_10device_ptrIiEEEEPS6_SG_NS0_5tupleIJNSA_16discard_iteratorINSA_11use_defaultEEESK_EEENSH_IJSG_SG_EEES6_PlJ7is_evenIiEEEE10hipError_tPvRmT3_T4_T5_T6_T7_T9_mT8_P12ihipStream_tbDpT10_ENKUlT_T0_E_clISt17integral_constantIbLb1EES18_IbLb0EEEEDaS14_S15_EUlS14_E_NS1_11comp_targetILNS1_3genE4ELNS1_11target_archE910ELNS1_3gpuE8ELNS1_3repE0EEENS1_30default_config_static_selectorELNS0_4arch9wavefront6targetE1EEEvT1_, .Lfunc_end2701-_ZN7rocprim17ROCPRIM_400000_NS6detail17trampoline_kernelINS0_14default_configENS1_25partition_config_selectorILNS1_17partition_subalgoE0EiNS0_10empty_typeEbEEZZNS1_14partition_implILS5_0ELb0ES3_jN6thrust23THRUST_200600_302600_NS6detail15normal_iteratorINSA_10device_ptrIiEEEEPS6_SG_NS0_5tupleIJNSA_16discard_iteratorINSA_11use_defaultEEESK_EEENSH_IJSG_SG_EEES6_PlJ7is_evenIiEEEE10hipError_tPvRmT3_T4_T5_T6_T7_T9_mT8_P12ihipStream_tbDpT10_ENKUlT_T0_E_clISt17integral_constantIbLb1EES18_IbLb0EEEEDaS14_S15_EUlS14_E_NS1_11comp_targetILNS1_3genE4ELNS1_11target_archE910ELNS1_3gpuE8ELNS1_3repE0EEENS1_30default_config_static_selectorELNS0_4arch9wavefront6targetE1EEEvT1_
                                        ; -- End function
	.section	.AMDGPU.csdata,"",@progbits
; Kernel info:
; codeLenInByte = 3956
; NumSgprs: 40
; NumVgprs: 53
; NumAgprs: 0
; TotalNumVgprs: 53
; ScratchSize: 0
; MemoryBound: 0
; FloatMode: 240
; IeeeMode: 1
; LDSByteSize: 10248 bytes/workgroup (compile time only)
; SGPRBlocks: 4
; VGPRBlocks: 6
; NumSGPRsForWavesPerEU: 40
; NumVGPRsForWavesPerEU: 53
; AccumOffset: 56
; Occupancy: 6
; WaveLimiterHint : 1
; COMPUTE_PGM_RSRC2:SCRATCH_EN: 0
; COMPUTE_PGM_RSRC2:USER_SGPR: 6
; COMPUTE_PGM_RSRC2:TRAP_HANDLER: 0
; COMPUTE_PGM_RSRC2:TGID_X_EN: 1
; COMPUTE_PGM_RSRC2:TGID_Y_EN: 0
; COMPUTE_PGM_RSRC2:TGID_Z_EN: 0
; COMPUTE_PGM_RSRC2:TIDIG_COMP_CNT: 0
; COMPUTE_PGM_RSRC3_GFX90A:ACCUM_OFFSET: 13
; COMPUTE_PGM_RSRC3_GFX90A:TG_SPLIT: 0
	.section	.text._ZN7rocprim17ROCPRIM_400000_NS6detail17trampoline_kernelINS0_14default_configENS1_25partition_config_selectorILNS1_17partition_subalgoE0EiNS0_10empty_typeEbEEZZNS1_14partition_implILS5_0ELb0ES3_jN6thrust23THRUST_200600_302600_NS6detail15normal_iteratorINSA_10device_ptrIiEEEEPS6_SG_NS0_5tupleIJNSA_16discard_iteratorINSA_11use_defaultEEESK_EEENSH_IJSG_SG_EEES6_PlJ7is_evenIiEEEE10hipError_tPvRmT3_T4_T5_T6_T7_T9_mT8_P12ihipStream_tbDpT10_ENKUlT_T0_E_clISt17integral_constantIbLb1EES18_IbLb0EEEEDaS14_S15_EUlS14_E_NS1_11comp_targetILNS1_3genE3ELNS1_11target_archE908ELNS1_3gpuE7ELNS1_3repE0EEENS1_30default_config_static_selectorELNS0_4arch9wavefront6targetE1EEEvT1_,"axG",@progbits,_ZN7rocprim17ROCPRIM_400000_NS6detail17trampoline_kernelINS0_14default_configENS1_25partition_config_selectorILNS1_17partition_subalgoE0EiNS0_10empty_typeEbEEZZNS1_14partition_implILS5_0ELb0ES3_jN6thrust23THRUST_200600_302600_NS6detail15normal_iteratorINSA_10device_ptrIiEEEEPS6_SG_NS0_5tupleIJNSA_16discard_iteratorINSA_11use_defaultEEESK_EEENSH_IJSG_SG_EEES6_PlJ7is_evenIiEEEE10hipError_tPvRmT3_T4_T5_T6_T7_T9_mT8_P12ihipStream_tbDpT10_ENKUlT_T0_E_clISt17integral_constantIbLb1EES18_IbLb0EEEEDaS14_S15_EUlS14_E_NS1_11comp_targetILNS1_3genE3ELNS1_11target_archE908ELNS1_3gpuE7ELNS1_3repE0EEENS1_30default_config_static_selectorELNS0_4arch9wavefront6targetE1EEEvT1_,comdat
	.protected	_ZN7rocprim17ROCPRIM_400000_NS6detail17trampoline_kernelINS0_14default_configENS1_25partition_config_selectorILNS1_17partition_subalgoE0EiNS0_10empty_typeEbEEZZNS1_14partition_implILS5_0ELb0ES3_jN6thrust23THRUST_200600_302600_NS6detail15normal_iteratorINSA_10device_ptrIiEEEEPS6_SG_NS0_5tupleIJNSA_16discard_iteratorINSA_11use_defaultEEESK_EEENSH_IJSG_SG_EEES6_PlJ7is_evenIiEEEE10hipError_tPvRmT3_T4_T5_T6_T7_T9_mT8_P12ihipStream_tbDpT10_ENKUlT_T0_E_clISt17integral_constantIbLb1EES18_IbLb0EEEEDaS14_S15_EUlS14_E_NS1_11comp_targetILNS1_3genE3ELNS1_11target_archE908ELNS1_3gpuE7ELNS1_3repE0EEENS1_30default_config_static_selectorELNS0_4arch9wavefront6targetE1EEEvT1_ ; -- Begin function _ZN7rocprim17ROCPRIM_400000_NS6detail17trampoline_kernelINS0_14default_configENS1_25partition_config_selectorILNS1_17partition_subalgoE0EiNS0_10empty_typeEbEEZZNS1_14partition_implILS5_0ELb0ES3_jN6thrust23THRUST_200600_302600_NS6detail15normal_iteratorINSA_10device_ptrIiEEEEPS6_SG_NS0_5tupleIJNSA_16discard_iteratorINSA_11use_defaultEEESK_EEENSH_IJSG_SG_EEES6_PlJ7is_evenIiEEEE10hipError_tPvRmT3_T4_T5_T6_T7_T9_mT8_P12ihipStream_tbDpT10_ENKUlT_T0_E_clISt17integral_constantIbLb1EES18_IbLb0EEEEDaS14_S15_EUlS14_E_NS1_11comp_targetILNS1_3genE3ELNS1_11target_archE908ELNS1_3gpuE7ELNS1_3repE0EEENS1_30default_config_static_selectorELNS0_4arch9wavefront6targetE1EEEvT1_
	.globl	_ZN7rocprim17ROCPRIM_400000_NS6detail17trampoline_kernelINS0_14default_configENS1_25partition_config_selectorILNS1_17partition_subalgoE0EiNS0_10empty_typeEbEEZZNS1_14partition_implILS5_0ELb0ES3_jN6thrust23THRUST_200600_302600_NS6detail15normal_iteratorINSA_10device_ptrIiEEEEPS6_SG_NS0_5tupleIJNSA_16discard_iteratorINSA_11use_defaultEEESK_EEENSH_IJSG_SG_EEES6_PlJ7is_evenIiEEEE10hipError_tPvRmT3_T4_T5_T6_T7_T9_mT8_P12ihipStream_tbDpT10_ENKUlT_T0_E_clISt17integral_constantIbLb1EES18_IbLb0EEEEDaS14_S15_EUlS14_E_NS1_11comp_targetILNS1_3genE3ELNS1_11target_archE908ELNS1_3gpuE7ELNS1_3repE0EEENS1_30default_config_static_selectorELNS0_4arch9wavefront6targetE1EEEvT1_
	.p2align	8
	.type	_ZN7rocprim17ROCPRIM_400000_NS6detail17trampoline_kernelINS0_14default_configENS1_25partition_config_selectorILNS1_17partition_subalgoE0EiNS0_10empty_typeEbEEZZNS1_14partition_implILS5_0ELb0ES3_jN6thrust23THRUST_200600_302600_NS6detail15normal_iteratorINSA_10device_ptrIiEEEEPS6_SG_NS0_5tupleIJNSA_16discard_iteratorINSA_11use_defaultEEESK_EEENSH_IJSG_SG_EEES6_PlJ7is_evenIiEEEE10hipError_tPvRmT3_T4_T5_T6_T7_T9_mT8_P12ihipStream_tbDpT10_ENKUlT_T0_E_clISt17integral_constantIbLb1EES18_IbLb0EEEEDaS14_S15_EUlS14_E_NS1_11comp_targetILNS1_3genE3ELNS1_11target_archE908ELNS1_3gpuE7ELNS1_3repE0EEENS1_30default_config_static_selectorELNS0_4arch9wavefront6targetE1EEEvT1_,@function
_ZN7rocprim17ROCPRIM_400000_NS6detail17trampoline_kernelINS0_14default_configENS1_25partition_config_selectorILNS1_17partition_subalgoE0EiNS0_10empty_typeEbEEZZNS1_14partition_implILS5_0ELb0ES3_jN6thrust23THRUST_200600_302600_NS6detail15normal_iteratorINSA_10device_ptrIiEEEEPS6_SG_NS0_5tupleIJNSA_16discard_iteratorINSA_11use_defaultEEESK_EEENSH_IJSG_SG_EEES6_PlJ7is_evenIiEEEE10hipError_tPvRmT3_T4_T5_T6_T7_T9_mT8_P12ihipStream_tbDpT10_ENKUlT_T0_E_clISt17integral_constantIbLb1EES18_IbLb0EEEEDaS14_S15_EUlS14_E_NS1_11comp_targetILNS1_3genE3ELNS1_11target_archE908ELNS1_3gpuE7ELNS1_3repE0EEENS1_30default_config_static_selectorELNS0_4arch9wavefront6targetE1EEEvT1_: ; @_ZN7rocprim17ROCPRIM_400000_NS6detail17trampoline_kernelINS0_14default_configENS1_25partition_config_selectorILNS1_17partition_subalgoE0EiNS0_10empty_typeEbEEZZNS1_14partition_implILS5_0ELb0ES3_jN6thrust23THRUST_200600_302600_NS6detail15normal_iteratorINSA_10device_ptrIiEEEEPS6_SG_NS0_5tupleIJNSA_16discard_iteratorINSA_11use_defaultEEESK_EEENSH_IJSG_SG_EEES6_PlJ7is_evenIiEEEE10hipError_tPvRmT3_T4_T5_T6_T7_T9_mT8_P12ihipStream_tbDpT10_ENKUlT_T0_E_clISt17integral_constantIbLb1EES18_IbLb0EEEEDaS14_S15_EUlS14_E_NS1_11comp_targetILNS1_3genE3ELNS1_11target_archE908ELNS1_3gpuE7ELNS1_3repE0EEENS1_30default_config_static_selectorELNS0_4arch9wavefront6targetE1EEEvT1_
; %bb.0:
	.section	.rodata,"a",@progbits
	.p2align	6, 0x0
	.amdhsa_kernel _ZN7rocprim17ROCPRIM_400000_NS6detail17trampoline_kernelINS0_14default_configENS1_25partition_config_selectorILNS1_17partition_subalgoE0EiNS0_10empty_typeEbEEZZNS1_14partition_implILS5_0ELb0ES3_jN6thrust23THRUST_200600_302600_NS6detail15normal_iteratorINSA_10device_ptrIiEEEEPS6_SG_NS0_5tupleIJNSA_16discard_iteratorINSA_11use_defaultEEESK_EEENSH_IJSG_SG_EEES6_PlJ7is_evenIiEEEE10hipError_tPvRmT3_T4_T5_T6_T7_T9_mT8_P12ihipStream_tbDpT10_ENKUlT_T0_E_clISt17integral_constantIbLb1EES18_IbLb0EEEEDaS14_S15_EUlS14_E_NS1_11comp_targetILNS1_3genE3ELNS1_11target_archE908ELNS1_3gpuE7ELNS1_3repE0EEENS1_30default_config_static_selectorELNS0_4arch9wavefront6targetE1EEEvT1_
		.amdhsa_group_segment_fixed_size 0
		.amdhsa_private_segment_fixed_size 0
		.amdhsa_kernarg_size 136
		.amdhsa_user_sgpr_count 6
		.amdhsa_user_sgpr_private_segment_buffer 1
		.amdhsa_user_sgpr_dispatch_ptr 0
		.amdhsa_user_sgpr_queue_ptr 0
		.amdhsa_user_sgpr_kernarg_segment_ptr 1
		.amdhsa_user_sgpr_dispatch_id 0
		.amdhsa_user_sgpr_flat_scratch_init 0
		.amdhsa_user_sgpr_kernarg_preload_length 0
		.amdhsa_user_sgpr_kernarg_preload_offset 0
		.amdhsa_user_sgpr_private_segment_size 0
		.amdhsa_uses_dynamic_stack 0
		.amdhsa_system_sgpr_private_segment_wavefront_offset 0
		.amdhsa_system_sgpr_workgroup_id_x 1
		.amdhsa_system_sgpr_workgroup_id_y 0
		.amdhsa_system_sgpr_workgroup_id_z 0
		.amdhsa_system_sgpr_workgroup_info 0
		.amdhsa_system_vgpr_workitem_id 0
		.amdhsa_next_free_vgpr 1
		.amdhsa_next_free_sgpr 0
		.amdhsa_accum_offset 4
		.amdhsa_reserve_vcc 0
		.amdhsa_reserve_flat_scratch 0
		.amdhsa_float_round_mode_32 0
		.amdhsa_float_round_mode_16_64 0
		.amdhsa_float_denorm_mode_32 3
		.amdhsa_float_denorm_mode_16_64 3
		.amdhsa_dx10_clamp 1
		.amdhsa_ieee_mode 1
		.amdhsa_fp16_overflow 0
		.amdhsa_tg_split 0
		.amdhsa_exception_fp_ieee_invalid_op 0
		.amdhsa_exception_fp_denorm_src 0
		.amdhsa_exception_fp_ieee_div_zero 0
		.amdhsa_exception_fp_ieee_overflow 0
		.amdhsa_exception_fp_ieee_underflow 0
		.amdhsa_exception_fp_ieee_inexact 0
		.amdhsa_exception_int_div_zero 0
	.end_amdhsa_kernel
	.section	.text._ZN7rocprim17ROCPRIM_400000_NS6detail17trampoline_kernelINS0_14default_configENS1_25partition_config_selectorILNS1_17partition_subalgoE0EiNS0_10empty_typeEbEEZZNS1_14partition_implILS5_0ELb0ES3_jN6thrust23THRUST_200600_302600_NS6detail15normal_iteratorINSA_10device_ptrIiEEEEPS6_SG_NS0_5tupleIJNSA_16discard_iteratorINSA_11use_defaultEEESK_EEENSH_IJSG_SG_EEES6_PlJ7is_evenIiEEEE10hipError_tPvRmT3_T4_T5_T6_T7_T9_mT8_P12ihipStream_tbDpT10_ENKUlT_T0_E_clISt17integral_constantIbLb1EES18_IbLb0EEEEDaS14_S15_EUlS14_E_NS1_11comp_targetILNS1_3genE3ELNS1_11target_archE908ELNS1_3gpuE7ELNS1_3repE0EEENS1_30default_config_static_selectorELNS0_4arch9wavefront6targetE1EEEvT1_,"axG",@progbits,_ZN7rocprim17ROCPRIM_400000_NS6detail17trampoline_kernelINS0_14default_configENS1_25partition_config_selectorILNS1_17partition_subalgoE0EiNS0_10empty_typeEbEEZZNS1_14partition_implILS5_0ELb0ES3_jN6thrust23THRUST_200600_302600_NS6detail15normal_iteratorINSA_10device_ptrIiEEEEPS6_SG_NS0_5tupleIJNSA_16discard_iteratorINSA_11use_defaultEEESK_EEENSH_IJSG_SG_EEES6_PlJ7is_evenIiEEEE10hipError_tPvRmT3_T4_T5_T6_T7_T9_mT8_P12ihipStream_tbDpT10_ENKUlT_T0_E_clISt17integral_constantIbLb1EES18_IbLb0EEEEDaS14_S15_EUlS14_E_NS1_11comp_targetILNS1_3genE3ELNS1_11target_archE908ELNS1_3gpuE7ELNS1_3repE0EEENS1_30default_config_static_selectorELNS0_4arch9wavefront6targetE1EEEvT1_,comdat
.Lfunc_end2702:
	.size	_ZN7rocprim17ROCPRIM_400000_NS6detail17trampoline_kernelINS0_14default_configENS1_25partition_config_selectorILNS1_17partition_subalgoE0EiNS0_10empty_typeEbEEZZNS1_14partition_implILS5_0ELb0ES3_jN6thrust23THRUST_200600_302600_NS6detail15normal_iteratorINSA_10device_ptrIiEEEEPS6_SG_NS0_5tupleIJNSA_16discard_iteratorINSA_11use_defaultEEESK_EEENSH_IJSG_SG_EEES6_PlJ7is_evenIiEEEE10hipError_tPvRmT3_T4_T5_T6_T7_T9_mT8_P12ihipStream_tbDpT10_ENKUlT_T0_E_clISt17integral_constantIbLb1EES18_IbLb0EEEEDaS14_S15_EUlS14_E_NS1_11comp_targetILNS1_3genE3ELNS1_11target_archE908ELNS1_3gpuE7ELNS1_3repE0EEENS1_30default_config_static_selectorELNS0_4arch9wavefront6targetE1EEEvT1_, .Lfunc_end2702-_ZN7rocprim17ROCPRIM_400000_NS6detail17trampoline_kernelINS0_14default_configENS1_25partition_config_selectorILNS1_17partition_subalgoE0EiNS0_10empty_typeEbEEZZNS1_14partition_implILS5_0ELb0ES3_jN6thrust23THRUST_200600_302600_NS6detail15normal_iteratorINSA_10device_ptrIiEEEEPS6_SG_NS0_5tupleIJNSA_16discard_iteratorINSA_11use_defaultEEESK_EEENSH_IJSG_SG_EEES6_PlJ7is_evenIiEEEE10hipError_tPvRmT3_T4_T5_T6_T7_T9_mT8_P12ihipStream_tbDpT10_ENKUlT_T0_E_clISt17integral_constantIbLb1EES18_IbLb0EEEEDaS14_S15_EUlS14_E_NS1_11comp_targetILNS1_3genE3ELNS1_11target_archE908ELNS1_3gpuE7ELNS1_3repE0EEENS1_30default_config_static_selectorELNS0_4arch9wavefront6targetE1EEEvT1_
                                        ; -- End function
	.section	.AMDGPU.csdata,"",@progbits
; Kernel info:
; codeLenInByte = 0
; NumSgprs: 4
; NumVgprs: 0
; NumAgprs: 0
; TotalNumVgprs: 0
; ScratchSize: 0
; MemoryBound: 0
; FloatMode: 240
; IeeeMode: 1
; LDSByteSize: 0 bytes/workgroup (compile time only)
; SGPRBlocks: 0
; VGPRBlocks: 0
; NumSGPRsForWavesPerEU: 4
; NumVGPRsForWavesPerEU: 1
; AccumOffset: 4
; Occupancy: 8
; WaveLimiterHint : 0
; COMPUTE_PGM_RSRC2:SCRATCH_EN: 0
; COMPUTE_PGM_RSRC2:USER_SGPR: 6
; COMPUTE_PGM_RSRC2:TRAP_HANDLER: 0
; COMPUTE_PGM_RSRC2:TGID_X_EN: 1
; COMPUTE_PGM_RSRC2:TGID_Y_EN: 0
; COMPUTE_PGM_RSRC2:TGID_Z_EN: 0
; COMPUTE_PGM_RSRC2:TIDIG_COMP_CNT: 0
; COMPUTE_PGM_RSRC3_GFX90A:ACCUM_OFFSET: 0
; COMPUTE_PGM_RSRC3_GFX90A:TG_SPLIT: 0
	.section	.text._ZN7rocprim17ROCPRIM_400000_NS6detail17trampoline_kernelINS0_14default_configENS1_25partition_config_selectorILNS1_17partition_subalgoE0EiNS0_10empty_typeEbEEZZNS1_14partition_implILS5_0ELb0ES3_jN6thrust23THRUST_200600_302600_NS6detail15normal_iteratorINSA_10device_ptrIiEEEEPS6_SG_NS0_5tupleIJNSA_16discard_iteratorINSA_11use_defaultEEESK_EEENSH_IJSG_SG_EEES6_PlJ7is_evenIiEEEE10hipError_tPvRmT3_T4_T5_T6_T7_T9_mT8_P12ihipStream_tbDpT10_ENKUlT_T0_E_clISt17integral_constantIbLb1EES18_IbLb0EEEEDaS14_S15_EUlS14_E_NS1_11comp_targetILNS1_3genE2ELNS1_11target_archE906ELNS1_3gpuE6ELNS1_3repE0EEENS1_30default_config_static_selectorELNS0_4arch9wavefront6targetE1EEEvT1_,"axG",@progbits,_ZN7rocprim17ROCPRIM_400000_NS6detail17trampoline_kernelINS0_14default_configENS1_25partition_config_selectorILNS1_17partition_subalgoE0EiNS0_10empty_typeEbEEZZNS1_14partition_implILS5_0ELb0ES3_jN6thrust23THRUST_200600_302600_NS6detail15normal_iteratorINSA_10device_ptrIiEEEEPS6_SG_NS0_5tupleIJNSA_16discard_iteratorINSA_11use_defaultEEESK_EEENSH_IJSG_SG_EEES6_PlJ7is_evenIiEEEE10hipError_tPvRmT3_T4_T5_T6_T7_T9_mT8_P12ihipStream_tbDpT10_ENKUlT_T0_E_clISt17integral_constantIbLb1EES18_IbLb0EEEEDaS14_S15_EUlS14_E_NS1_11comp_targetILNS1_3genE2ELNS1_11target_archE906ELNS1_3gpuE6ELNS1_3repE0EEENS1_30default_config_static_selectorELNS0_4arch9wavefront6targetE1EEEvT1_,comdat
	.protected	_ZN7rocprim17ROCPRIM_400000_NS6detail17trampoline_kernelINS0_14default_configENS1_25partition_config_selectorILNS1_17partition_subalgoE0EiNS0_10empty_typeEbEEZZNS1_14partition_implILS5_0ELb0ES3_jN6thrust23THRUST_200600_302600_NS6detail15normal_iteratorINSA_10device_ptrIiEEEEPS6_SG_NS0_5tupleIJNSA_16discard_iteratorINSA_11use_defaultEEESK_EEENSH_IJSG_SG_EEES6_PlJ7is_evenIiEEEE10hipError_tPvRmT3_T4_T5_T6_T7_T9_mT8_P12ihipStream_tbDpT10_ENKUlT_T0_E_clISt17integral_constantIbLb1EES18_IbLb0EEEEDaS14_S15_EUlS14_E_NS1_11comp_targetILNS1_3genE2ELNS1_11target_archE906ELNS1_3gpuE6ELNS1_3repE0EEENS1_30default_config_static_selectorELNS0_4arch9wavefront6targetE1EEEvT1_ ; -- Begin function _ZN7rocprim17ROCPRIM_400000_NS6detail17trampoline_kernelINS0_14default_configENS1_25partition_config_selectorILNS1_17partition_subalgoE0EiNS0_10empty_typeEbEEZZNS1_14partition_implILS5_0ELb0ES3_jN6thrust23THRUST_200600_302600_NS6detail15normal_iteratorINSA_10device_ptrIiEEEEPS6_SG_NS0_5tupleIJNSA_16discard_iteratorINSA_11use_defaultEEESK_EEENSH_IJSG_SG_EEES6_PlJ7is_evenIiEEEE10hipError_tPvRmT3_T4_T5_T6_T7_T9_mT8_P12ihipStream_tbDpT10_ENKUlT_T0_E_clISt17integral_constantIbLb1EES18_IbLb0EEEEDaS14_S15_EUlS14_E_NS1_11comp_targetILNS1_3genE2ELNS1_11target_archE906ELNS1_3gpuE6ELNS1_3repE0EEENS1_30default_config_static_selectorELNS0_4arch9wavefront6targetE1EEEvT1_
	.globl	_ZN7rocprim17ROCPRIM_400000_NS6detail17trampoline_kernelINS0_14default_configENS1_25partition_config_selectorILNS1_17partition_subalgoE0EiNS0_10empty_typeEbEEZZNS1_14partition_implILS5_0ELb0ES3_jN6thrust23THRUST_200600_302600_NS6detail15normal_iteratorINSA_10device_ptrIiEEEEPS6_SG_NS0_5tupleIJNSA_16discard_iteratorINSA_11use_defaultEEESK_EEENSH_IJSG_SG_EEES6_PlJ7is_evenIiEEEE10hipError_tPvRmT3_T4_T5_T6_T7_T9_mT8_P12ihipStream_tbDpT10_ENKUlT_T0_E_clISt17integral_constantIbLb1EES18_IbLb0EEEEDaS14_S15_EUlS14_E_NS1_11comp_targetILNS1_3genE2ELNS1_11target_archE906ELNS1_3gpuE6ELNS1_3repE0EEENS1_30default_config_static_selectorELNS0_4arch9wavefront6targetE1EEEvT1_
	.p2align	8
	.type	_ZN7rocprim17ROCPRIM_400000_NS6detail17trampoline_kernelINS0_14default_configENS1_25partition_config_selectorILNS1_17partition_subalgoE0EiNS0_10empty_typeEbEEZZNS1_14partition_implILS5_0ELb0ES3_jN6thrust23THRUST_200600_302600_NS6detail15normal_iteratorINSA_10device_ptrIiEEEEPS6_SG_NS0_5tupleIJNSA_16discard_iteratorINSA_11use_defaultEEESK_EEENSH_IJSG_SG_EEES6_PlJ7is_evenIiEEEE10hipError_tPvRmT3_T4_T5_T6_T7_T9_mT8_P12ihipStream_tbDpT10_ENKUlT_T0_E_clISt17integral_constantIbLb1EES18_IbLb0EEEEDaS14_S15_EUlS14_E_NS1_11comp_targetILNS1_3genE2ELNS1_11target_archE906ELNS1_3gpuE6ELNS1_3repE0EEENS1_30default_config_static_selectorELNS0_4arch9wavefront6targetE1EEEvT1_,@function
_ZN7rocprim17ROCPRIM_400000_NS6detail17trampoline_kernelINS0_14default_configENS1_25partition_config_selectorILNS1_17partition_subalgoE0EiNS0_10empty_typeEbEEZZNS1_14partition_implILS5_0ELb0ES3_jN6thrust23THRUST_200600_302600_NS6detail15normal_iteratorINSA_10device_ptrIiEEEEPS6_SG_NS0_5tupleIJNSA_16discard_iteratorINSA_11use_defaultEEESK_EEENSH_IJSG_SG_EEES6_PlJ7is_evenIiEEEE10hipError_tPvRmT3_T4_T5_T6_T7_T9_mT8_P12ihipStream_tbDpT10_ENKUlT_T0_E_clISt17integral_constantIbLb1EES18_IbLb0EEEEDaS14_S15_EUlS14_E_NS1_11comp_targetILNS1_3genE2ELNS1_11target_archE906ELNS1_3gpuE6ELNS1_3repE0EEENS1_30default_config_static_selectorELNS0_4arch9wavefront6targetE1EEEvT1_: ; @_ZN7rocprim17ROCPRIM_400000_NS6detail17trampoline_kernelINS0_14default_configENS1_25partition_config_selectorILNS1_17partition_subalgoE0EiNS0_10empty_typeEbEEZZNS1_14partition_implILS5_0ELb0ES3_jN6thrust23THRUST_200600_302600_NS6detail15normal_iteratorINSA_10device_ptrIiEEEEPS6_SG_NS0_5tupleIJNSA_16discard_iteratorINSA_11use_defaultEEESK_EEENSH_IJSG_SG_EEES6_PlJ7is_evenIiEEEE10hipError_tPvRmT3_T4_T5_T6_T7_T9_mT8_P12ihipStream_tbDpT10_ENKUlT_T0_E_clISt17integral_constantIbLb1EES18_IbLb0EEEEDaS14_S15_EUlS14_E_NS1_11comp_targetILNS1_3genE2ELNS1_11target_archE906ELNS1_3gpuE6ELNS1_3repE0EEENS1_30default_config_static_selectorELNS0_4arch9wavefront6targetE1EEEvT1_
; %bb.0:
	.section	.rodata,"a",@progbits
	.p2align	6, 0x0
	.amdhsa_kernel _ZN7rocprim17ROCPRIM_400000_NS6detail17trampoline_kernelINS0_14default_configENS1_25partition_config_selectorILNS1_17partition_subalgoE0EiNS0_10empty_typeEbEEZZNS1_14partition_implILS5_0ELb0ES3_jN6thrust23THRUST_200600_302600_NS6detail15normal_iteratorINSA_10device_ptrIiEEEEPS6_SG_NS0_5tupleIJNSA_16discard_iteratorINSA_11use_defaultEEESK_EEENSH_IJSG_SG_EEES6_PlJ7is_evenIiEEEE10hipError_tPvRmT3_T4_T5_T6_T7_T9_mT8_P12ihipStream_tbDpT10_ENKUlT_T0_E_clISt17integral_constantIbLb1EES18_IbLb0EEEEDaS14_S15_EUlS14_E_NS1_11comp_targetILNS1_3genE2ELNS1_11target_archE906ELNS1_3gpuE6ELNS1_3repE0EEENS1_30default_config_static_selectorELNS0_4arch9wavefront6targetE1EEEvT1_
		.amdhsa_group_segment_fixed_size 0
		.amdhsa_private_segment_fixed_size 0
		.amdhsa_kernarg_size 136
		.amdhsa_user_sgpr_count 6
		.amdhsa_user_sgpr_private_segment_buffer 1
		.amdhsa_user_sgpr_dispatch_ptr 0
		.amdhsa_user_sgpr_queue_ptr 0
		.amdhsa_user_sgpr_kernarg_segment_ptr 1
		.amdhsa_user_sgpr_dispatch_id 0
		.amdhsa_user_sgpr_flat_scratch_init 0
		.amdhsa_user_sgpr_kernarg_preload_length 0
		.amdhsa_user_sgpr_kernarg_preload_offset 0
		.amdhsa_user_sgpr_private_segment_size 0
		.amdhsa_uses_dynamic_stack 0
		.amdhsa_system_sgpr_private_segment_wavefront_offset 0
		.amdhsa_system_sgpr_workgroup_id_x 1
		.amdhsa_system_sgpr_workgroup_id_y 0
		.amdhsa_system_sgpr_workgroup_id_z 0
		.amdhsa_system_sgpr_workgroup_info 0
		.amdhsa_system_vgpr_workitem_id 0
		.amdhsa_next_free_vgpr 1
		.amdhsa_next_free_sgpr 0
		.amdhsa_accum_offset 4
		.amdhsa_reserve_vcc 0
		.amdhsa_reserve_flat_scratch 0
		.amdhsa_float_round_mode_32 0
		.amdhsa_float_round_mode_16_64 0
		.amdhsa_float_denorm_mode_32 3
		.amdhsa_float_denorm_mode_16_64 3
		.amdhsa_dx10_clamp 1
		.amdhsa_ieee_mode 1
		.amdhsa_fp16_overflow 0
		.amdhsa_tg_split 0
		.amdhsa_exception_fp_ieee_invalid_op 0
		.amdhsa_exception_fp_denorm_src 0
		.amdhsa_exception_fp_ieee_div_zero 0
		.amdhsa_exception_fp_ieee_overflow 0
		.amdhsa_exception_fp_ieee_underflow 0
		.amdhsa_exception_fp_ieee_inexact 0
		.amdhsa_exception_int_div_zero 0
	.end_amdhsa_kernel
	.section	.text._ZN7rocprim17ROCPRIM_400000_NS6detail17trampoline_kernelINS0_14default_configENS1_25partition_config_selectorILNS1_17partition_subalgoE0EiNS0_10empty_typeEbEEZZNS1_14partition_implILS5_0ELb0ES3_jN6thrust23THRUST_200600_302600_NS6detail15normal_iteratorINSA_10device_ptrIiEEEEPS6_SG_NS0_5tupleIJNSA_16discard_iteratorINSA_11use_defaultEEESK_EEENSH_IJSG_SG_EEES6_PlJ7is_evenIiEEEE10hipError_tPvRmT3_T4_T5_T6_T7_T9_mT8_P12ihipStream_tbDpT10_ENKUlT_T0_E_clISt17integral_constantIbLb1EES18_IbLb0EEEEDaS14_S15_EUlS14_E_NS1_11comp_targetILNS1_3genE2ELNS1_11target_archE906ELNS1_3gpuE6ELNS1_3repE0EEENS1_30default_config_static_selectorELNS0_4arch9wavefront6targetE1EEEvT1_,"axG",@progbits,_ZN7rocprim17ROCPRIM_400000_NS6detail17trampoline_kernelINS0_14default_configENS1_25partition_config_selectorILNS1_17partition_subalgoE0EiNS0_10empty_typeEbEEZZNS1_14partition_implILS5_0ELb0ES3_jN6thrust23THRUST_200600_302600_NS6detail15normal_iteratorINSA_10device_ptrIiEEEEPS6_SG_NS0_5tupleIJNSA_16discard_iteratorINSA_11use_defaultEEESK_EEENSH_IJSG_SG_EEES6_PlJ7is_evenIiEEEE10hipError_tPvRmT3_T4_T5_T6_T7_T9_mT8_P12ihipStream_tbDpT10_ENKUlT_T0_E_clISt17integral_constantIbLb1EES18_IbLb0EEEEDaS14_S15_EUlS14_E_NS1_11comp_targetILNS1_3genE2ELNS1_11target_archE906ELNS1_3gpuE6ELNS1_3repE0EEENS1_30default_config_static_selectorELNS0_4arch9wavefront6targetE1EEEvT1_,comdat
.Lfunc_end2703:
	.size	_ZN7rocprim17ROCPRIM_400000_NS6detail17trampoline_kernelINS0_14default_configENS1_25partition_config_selectorILNS1_17partition_subalgoE0EiNS0_10empty_typeEbEEZZNS1_14partition_implILS5_0ELb0ES3_jN6thrust23THRUST_200600_302600_NS6detail15normal_iteratorINSA_10device_ptrIiEEEEPS6_SG_NS0_5tupleIJNSA_16discard_iteratorINSA_11use_defaultEEESK_EEENSH_IJSG_SG_EEES6_PlJ7is_evenIiEEEE10hipError_tPvRmT3_T4_T5_T6_T7_T9_mT8_P12ihipStream_tbDpT10_ENKUlT_T0_E_clISt17integral_constantIbLb1EES18_IbLb0EEEEDaS14_S15_EUlS14_E_NS1_11comp_targetILNS1_3genE2ELNS1_11target_archE906ELNS1_3gpuE6ELNS1_3repE0EEENS1_30default_config_static_selectorELNS0_4arch9wavefront6targetE1EEEvT1_, .Lfunc_end2703-_ZN7rocprim17ROCPRIM_400000_NS6detail17trampoline_kernelINS0_14default_configENS1_25partition_config_selectorILNS1_17partition_subalgoE0EiNS0_10empty_typeEbEEZZNS1_14partition_implILS5_0ELb0ES3_jN6thrust23THRUST_200600_302600_NS6detail15normal_iteratorINSA_10device_ptrIiEEEEPS6_SG_NS0_5tupleIJNSA_16discard_iteratorINSA_11use_defaultEEESK_EEENSH_IJSG_SG_EEES6_PlJ7is_evenIiEEEE10hipError_tPvRmT3_T4_T5_T6_T7_T9_mT8_P12ihipStream_tbDpT10_ENKUlT_T0_E_clISt17integral_constantIbLb1EES18_IbLb0EEEEDaS14_S15_EUlS14_E_NS1_11comp_targetILNS1_3genE2ELNS1_11target_archE906ELNS1_3gpuE6ELNS1_3repE0EEENS1_30default_config_static_selectorELNS0_4arch9wavefront6targetE1EEEvT1_
                                        ; -- End function
	.section	.AMDGPU.csdata,"",@progbits
; Kernel info:
; codeLenInByte = 0
; NumSgprs: 4
; NumVgprs: 0
; NumAgprs: 0
; TotalNumVgprs: 0
; ScratchSize: 0
; MemoryBound: 0
; FloatMode: 240
; IeeeMode: 1
; LDSByteSize: 0 bytes/workgroup (compile time only)
; SGPRBlocks: 0
; VGPRBlocks: 0
; NumSGPRsForWavesPerEU: 4
; NumVGPRsForWavesPerEU: 1
; AccumOffset: 4
; Occupancy: 8
; WaveLimiterHint : 0
; COMPUTE_PGM_RSRC2:SCRATCH_EN: 0
; COMPUTE_PGM_RSRC2:USER_SGPR: 6
; COMPUTE_PGM_RSRC2:TRAP_HANDLER: 0
; COMPUTE_PGM_RSRC2:TGID_X_EN: 1
; COMPUTE_PGM_RSRC2:TGID_Y_EN: 0
; COMPUTE_PGM_RSRC2:TGID_Z_EN: 0
; COMPUTE_PGM_RSRC2:TIDIG_COMP_CNT: 0
; COMPUTE_PGM_RSRC3_GFX90A:ACCUM_OFFSET: 0
; COMPUTE_PGM_RSRC3_GFX90A:TG_SPLIT: 0
	.section	.text._ZN7rocprim17ROCPRIM_400000_NS6detail17trampoline_kernelINS0_14default_configENS1_25partition_config_selectorILNS1_17partition_subalgoE0EiNS0_10empty_typeEbEEZZNS1_14partition_implILS5_0ELb0ES3_jN6thrust23THRUST_200600_302600_NS6detail15normal_iteratorINSA_10device_ptrIiEEEEPS6_SG_NS0_5tupleIJNSA_16discard_iteratorINSA_11use_defaultEEESK_EEENSH_IJSG_SG_EEES6_PlJ7is_evenIiEEEE10hipError_tPvRmT3_T4_T5_T6_T7_T9_mT8_P12ihipStream_tbDpT10_ENKUlT_T0_E_clISt17integral_constantIbLb1EES18_IbLb0EEEEDaS14_S15_EUlS14_E_NS1_11comp_targetILNS1_3genE10ELNS1_11target_archE1200ELNS1_3gpuE4ELNS1_3repE0EEENS1_30default_config_static_selectorELNS0_4arch9wavefront6targetE1EEEvT1_,"axG",@progbits,_ZN7rocprim17ROCPRIM_400000_NS6detail17trampoline_kernelINS0_14default_configENS1_25partition_config_selectorILNS1_17partition_subalgoE0EiNS0_10empty_typeEbEEZZNS1_14partition_implILS5_0ELb0ES3_jN6thrust23THRUST_200600_302600_NS6detail15normal_iteratorINSA_10device_ptrIiEEEEPS6_SG_NS0_5tupleIJNSA_16discard_iteratorINSA_11use_defaultEEESK_EEENSH_IJSG_SG_EEES6_PlJ7is_evenIiEEEE10hipError_tPvRmT3_T4_T5_T6_T7_T9_mT8_P12ihipStream_tbDpT10_ENKUlT_T0_E_clISt17integral_constantIbLb1EES18_IbLb0EEEEDaS14_S15_EUlS14_E_NS1_11comp_targetILNS1_3genE10ELNS1_11target_archE1200ELNS1_3gpuE4ELNS1_3repE0EEENS1_30default_config_static_selectorELNS0_4arch9wavefront6targetE1EEEvT1_,comdat
	.protected	_ZN7rocprim17ROCPRIM_400000_NS6detail17trampoline_kernelINS0_14default_configENS1_25partition_config_selectorILNS1_17partition_subalgoE0EiNS0_10empty_typeEbEEZZNS1_14partition_implILS5_0ELb0ES3_jN6thrust23THRUST_200600_302600_NS6detail15normal_iteratorINSA_10device_ptrIiEEEEPS6_SG_NS0_5tupleIJNSA_16discard_iteratorINSA_11use_defaultEEESK_EEENSH_IJSG_SG_EEES6_PlJ7is_evenIiEEEE10hipError_tPvRmT3_T4_T5_T6_T7_T9_mT8_P12ihipStream_tbDpT10_ENKUlT_T0_E_clISt17integral_constantIbLb1EES18_IbLb0EEEEDaS14_S15_EUlS14_E_NS1_11comp_targetILNS1_3genE10ELNS1_11target_archE1200ELNS1_3gpuE4ELNS1_3repE0EEENS1_30default_config_static_selectorELNS0_4arch9wavefront6targetE1EEEvT1_ ; -- Begin function _ZN7rocprim17ROCPRIM_400000_NS6detail17trampoline_kernelINS0_14default_configENS1_25partition_config_selectorILNS1_17partition_subalgoE0EiNS0_10empty_typeEbEEZZNS1_14partition_implILS5_0ELb0ES3_jN6thrust23THRUST_200600_302600_NS6detail15normal_iteratorINSA_10device_ptrIiEEEEPS6_SG_NS0_5tupleIJNSA_16discard_iteratorINSA_11use_defaultEEESK_EEENSH_IJSG_SG_EEES6_PlJ7is_evenIiEEEE10hipError_tPvRmT3_T4_T5_T6_T7_T9_mT8_P12ihipStream_tbDpT10_ENKUlT_T0_E_clISt17integral_constantIbLb1EES18_IbLb0EEEEDaS14_S15_EUlS14_E_NS1_11comp_targetILNS1_3genE10ELNS1_11target_archE1200ELNS1_3gpuE4ELNS1_3repE0EEENS1_30default_config_static_selectorELNS0_4arch9wavefront6targetE1EEEvT1_
	.globl	_ZN7rocprim17ROCPRIM_400000_NS6detail17trampoline_kernelINS0_14default_configENS1_25partition_config_selectorILNS1_17partition_subalgoE0EiNS0_10empty_typeEbEEZZNS1_14partition_implILS5_0ELb0ES3_jN6thrust23THRUST_200600_302600_NS6detail15normal_iteratorINSA_10device_ptrIiEEEEPS6_SG_NS0_5tupleIJNSA_16discard_iteratorINSA_11use_defaultEEESK_EEENSH_IJSG_SG_EEES6_PlJ7is_evenIiEEEE10hipError_tPvRmT3_T4_T5_T6_T7_T9_mT8_P12ihipStream_tbDpT10_ENKUlT_T0_E_clISt17integral_constantIbLb1EES18_IbLb0EEEEDaS14_S15_EUlS14_E_NS1_11comp_targetILNS1_3genE10ELNS1_11target_archE1200ELNS1_3gpuE4ELNS1_3repE0EEENS1_30default_config_static_selectorELNS0_4arch9wavefront6targetE1EEEvT1_
	.p2align	8
	.type	_ZN7rocprim17ROCPRIM_400000_NS6detail17trampoline_kernelINS0_14default_configENS1_25partition_config_selectorILNS1_17partition_subalgoE0EiNS0_10empty_typeEbEEZZNS1_14partition_implILS5_0ELb0ES3_jN6thrust23THRUST_200600_302600_NS6detail15normal_iteratorINSA_10device_ptrIiEEEEPS6_SG_NS0_5tupleIJNSA_16discard_iteratorINSA_11use_defaultEEESK_EEENSH_IJSG_SG_EEES6_PlJ7is_evenIiEEEE10hipError_tPvRmT3_T4_T5_T6_T7_T9_mT8_P12ihipStream_tbDpT10_ENKUlT_T0_E_clISt17integral_constantIbLb1EES18_IbLb0EEEEDaS14_S15_EUlS14_E_NS1_11comp_targetILNS1_3genE10ELNS1_11target_archE1200ELNS1_3gpuE4ELNS1_3repE0EEENS1_30default_config_static_selectorELNS0_4arch9wavefront6targetE1EEEvT1_,@function
_ZN7rocprim17ROCPRIM_400000_NS6detail17trampoline_kernelINS0_14default_configENS1_25partition_config_selectorILNS1_17partition_subalgoE0EiNS0_10empty_typeEbEEZZNS1_14partition_implILS5_0ELb0ES3_jN6thrust23THRUST_200600_302600_NS6detail15normal_iteratorINSA_10device_ptrIiEEEEPS6_SG_NS0_5tupleIJNSA_16discard_iteratorINSA_11use_defaultEEESK_EEENSH_IJSG_SG_EEES6_PlJ7is_evenIiEEEE10hipError_tPvRmT3_T4_T5_T6_T7_T9_mT8_P12ihipStream_tbDpT10_ENKUlT_T0_E_clISt17integral_constantIbLb1EES18_IbLb0EEEEDaS14_S15_EUlS14_E_NS1_11comp_targetILNS1_3genE10ELNS1_11target_archE1200ELNS1_3gpuE4ELNS1_3repE0EEENS1_30default_config_static_selectorELNS0_4arch9wavefront6targetE1EEEvT1_: ; @_ZN7rocprim17ROCPRIM_400000_NS6detail17trampoline_kernelINS0_14default_configENS1_25partition_config_selectorILNS1_17partition_subalgoE0EiNS0_10empty_typeEbEEZZNS1_14partition_implILS5_0ELb0ES3_jN6thrust23THRUST_200600_302600_NS6detail15normal_iteratorINSA_10device_ptrIiEEEEPS6_SG_NS0_5tupleIJNSA_16discard_iteratorINSA_11use_defaultEEESK_EEENSH_IJSG_SG_EEES6_PlJ7is_evenIiEEEE10hipError_tPvRmT3_T4_T5_T6_T7_T9_mT8_P12ihipStream_tbDpT10_ENKUlT_T0_E_clISt17integral_constantIbLb1EES18_IbLb0EEEEDaS14_S15_EUlS14_E_NS1_11comp_targetILNS1_3genE10ELNS1_11target_archE1200ELNS1_3gpuE4ELNS1_3repE0EEENS1_30default_config_static_selectorELNS0_4arch9wavefront6targetE1EEEvT1_
; %bb.0:
	.section	.rodata,"a",@progbits
	.p2align	6, 0x0
	.amdhsa_kernel _ZN7rocprim17ROCPRIM_400000_NS6detail17trampoline_kernelINS0_14default_configENS1_25partition_config_selectorILNS1_17partition_subalgoE0EiNS0_10empty_typeEbEEZZNS1_14partition_implILS5_0ELb0ES3_jN6thrust23THRUST_200600_302600_NS6detail15normal_iteratorINSA_10device_ptrIiEEEEPS6_SG_NS0_5tupleIJNSA_16discard_iteratorINSA_11use_defaultEEESK_EEENSH_IJSG_SG_EEES6_PlJ7is_evenIiEEEE10hipError_tPvRmT3_T4_T5_T6_T7_T9_mT8_P12ihipStream_tbDpT10_ENKUlT_T0_E_clISt17integral_constantIbLb1EES18_IbLb0EEEEDaS14_S15_EUlS14_E_NS1_11comp_targetILNS1_3genE10ELNS1_11target_archE1200ELNS1_3gpuE4ELNS1_3repE0EEENS1_30default_config_static_selectorELNS0_4arch9wavefront6targetE1EEEvT1_
		.amdhsa_group_segment_fixed_size 0
		.amdhsa_private_segment_fixed_size 0
		.amdhsa_kernarg_size 136
		.amdhsa_user_sgpr_count 6
		.amdhsa_user_sgpr_private_segment_buffer 1
		.amdhsa_user_sgpr_dispatch_ptr 0
		.amdhsa_user_sgpr_queue_ptr 0
		.amdhsa_user_sgpr_kernarg_segment_ptr 1
		.amdhsa_user_sgpr_dispatch_id 0
		.amdhsa_user_sgpr_flat_scratch_init 0
		.amdhsa_user_sgpr_kernarg_preload_length 0
		.amdhsa_user_sgpr_kernarg_preload_offset 0
		.amdhsa_user_sgpr_private_segment_size 0
		.amdhsa_uses_dynamic_stack 0
		.amdhsa_system_sgpr_private_segment_wavefront_offset 0
		.amdhsa_system_sgpr_workgroup_id_x 1
		.amdhsa_system_sgpr_workgroup_id_y 0
		.amdhsa_system_sgpr_workgroup_id_z 0
		.amdhsa_system_sgpr_workgroup_info 0
		.amdhsa_system_vgpr_workitem_id 0
		.amdhsa_next_free_vgpr 1
		.amdhsa_next_free_sgpr 0
		.amdhsa_accum_offset 4
		.amdhsa_reserve_vcc 0
		.amdhsa_reserve_flat_scratch 0
		.amdhsa_float_round_mode_32 0
		.amdhsa_float_round_mode_16_64 0
		.amdhsa_float_denorm_mode_32 3
		.amdhsa_float_denorm_mode_16_64 3
		.amdhsa_dx10_clamp 1
		.amdhsa_ieee_mode 1
		.amdhsa_fp16_overflow 0
		.amdhsa_tg_split 0
		.amdhsa_exception_fp_ieee_invalid_op 0
		.amdhsa_exception_fp_denorm_src 0
		.amdhsa_exception_fp_ieee_div_zero 0
		.amdhsa_exception_fp_ieee_overflow 0
		.amdhsa_exception_fp_ieee_underflow 0
		.amdhsa_exception_fp_ieee_inexact 0
		.amdhsa_exception_int_div_zero 0
	.end_amdhsa_kernel
	.section	.text._ZN7rocprim17ROCPRIM_400000_NS6detail17trampoline_kernelINS0_14default_configENS1_25partition_config_selectorILNS1_17partition_subalgoE0EiNS0_10empty_typeEbEEZZNS1_14partition_implILS5_0ELb0ES3_jN6thrust23THRUST_200600_302600_NS6detail15normal_iteratorINSA_10device_ptrIiEEEEPS6_SG_NS0_5tupleIJNSA_16discard_iteratorINSA_11use_defaultEEESK_EEENSH_IJSG_SG_EEES6_PlJ7is_evenIiEEEE10hipError_tPvRmT3_T4_T5_T6_T7_T9_mT8_P12ihipStream_tbDpT10_ENKUlT_T0_E_clISt17integral_constantIbLb1EES18_IbLb0EEEEDaS14_S15_EUlS14_E_NS1_11comp_targetILNS1_3genE10ELNS1_11target_archE1200ELNS1_3gpuE4ELNS1_3repE0EEENS1_30default_config_static_selectorELNS0_4arch9wavefront6targetE1EEEvT1_,"axG",@progbits,_ZN7rocprim17ROCPRIM_400000_NS6detail17trampoline_kernelINS0_14default_configENS1_25partition_config_selectorILNS1_17partition_subalgoE0EiNS0_10empty_typeEbEEZZNS1_14partition_implILS5_0ELb0ES3_jN6thrust23THRUST_200600_302600_NS6detail15normal_iteratorINSA_10device_ptrIiEEEEPS6_SG_NS0_5tupleIJNSA_16discard_iteratorINSA_11use_defaultEEESK_EEENSH_IJSG_SG_EEES6_PlJ7is_evenIiEEEE10hipError_tPvRmT3_T4_T5_T6_T7_T9_mT8_P12ihipStream_tbDpT10_ENKUlT_T0_E_clISt17integral_constantIbLb1EES18_IbLb0EEEEDaS14_S15_EUlS14_E_NS1_11comp_targetILNS1_3genE10ELNS1_11target_archE1200ELNS1_3gpuE4ELNS1_3repE0EEENS1_30default_config_static_selectorELNS0_4arch9wavefront6targetE1EEEvT1_,comdat
.Lfunc_end2704:
	.size	_ZN7rocprim17ROCPRIM_400000_NS6detail17trampoline_kernelINS0_14default_configENS1_25partition_config_selectorILNS1_17partition_subalgoE0EiNS0_10empty_typeEbEEZZNS1_14partition_implILS5_0ELb0ES3_jN6thrust23THRUST_200600_302600_NS6detail15normal_iteratorINSA_10device_ptrIiEEEEPS6_SG_NS0_5tupleIJNSA_16discard_iteratorINSA_11use_defaultEEESK_EEENSH_IJSG_SG_EEES6_PlJ7is_evenIiEEEE10hipError_tPvRmT3_T4_T5_T6_T7_T9_mT8_P12ihipStream_tbDpT10_ENKUlT_T0_E_clISt17integral_constantIbLb1EES18_IbLb0EEEEDaS14_S15_EUlS14_E_NS1_11comp_targetILNS1_3genE10ELNS1_11target_archE1200ELNS1_3gpuE4ELNS1_3repE0EEENS1_30default_config_static_selectorELNS0_4arch9wavefront6targetE1EEEvT1_, .Lfunc_end2704-_ZN7rocprim17ROCPRIM_400000_NS6detail17trampoline_kernelINS0_14default_configENS1_25partition_config_selectorILNS1_17partition_subalgoE0EiNS0_10empty_typeEbEEZZNS1_14partition_implILS5_0ELb0ES3_jN6thrust23THRUST_200600_302600_NS6detail15normal_iteratorINSA_10device_ptrIiEEEEPS6_SG_NS0_5tupleIJNSA_16discard_iteratorINSA_11use_defaultEEESK_EEENSH_IJSG_SG_EEES6_PlJ7is_evenIiEEEE10hipError_tPvRmT3_T4_T5_T6_T7_T9_mT8_P12ihipStream_tbDpT10_ENKUlT_T0_E_clISt17integral_constantIbLb1EES18_IbLb0EEEEDaS14_S15_EUlS14_E_NS1_11comp_targetILNS1_3genE10ELNS1_11target_archE1200ELNS1_3gpuE4ELNS1_3repE0EEENS1_30default_config_static_selectorELNS0_4arch9wavefront6targetE1EEEvT1_
                                        ; -- End function
	.section	.AMDGPU.csdata,"",@progbits
; Kernel info:
; codeLenInByte = 0
; NumSgprs: 4
; NumVgprs: 0
; NumAgprs: 0
; TotalNumVgprs: 0
; ScratchSize: 0
; MemoryBound: 0
; FloatMode: 240
; IeeeMode: 1
; LDSByteSize: 0 bytes/workgroup (compile time only)
; SGPRBlocks: 0
; VGPRBlocks: 0
; NumSGPRsForWavesPerEU: 4
; NumVGPRsForWavesPerEU: 1
; AccumOffset: 4
; Occupancy: 8
; WaveLimiterHint : 0
; COMPUTE_PGM_RSRC2:SCRATCH_EN: 0
; COMPUTE_PGM_RSRC2:USER_SGPR: 6
; COMPUTE_PGM_RSRC2:TRAP_HANDLER: 0
; COMPUTE_PGM_RSRC2:TGID_X_EN: 1
; COMPUTE_PGM_RSRC2:TGID_Y_EN: 0
; COMPUTE_PGM_RSRC2:TGID_Z_EN: 0
; COMPUTE_PGM_RSRC2:TIDIG_COMP_CNT: 0
; COMPUTE_PGM_RSRC3_GFX90A:ACCUM_OFFSET: 0
; COMPUTE_PGM_RSRC3_GFX90A:TG_SPLIT: 0
	.section	.text._ZN7rocprim17ROCPRIM_400000_NS6detail17trampoline_kernelINS0_14default_configENS1_25partition_config_selectorILNS1_17partition_subalgoE0EiNS0_10empty_typeEbEEZZNS1_14partition_implILS5_0ELb0ES3_jN6thrust23THRUST_200600_302600_NS6detail15normal_iteratorINSA_10device_ptrIiEEEEPS6_SG_NS0_5tupleIJNSA_16discard_iteratorINSA_11use_defaultEEESK_EEENSH_IJSG_SG_EEES6_PlJ7is_evenIiEEEE10hipError_tPvRmT3_T4_T5_T6_T7_T9_mT8_P12ihipStream_tbDpT10_ENKUlT_T0_E_clISt17integral_constantIbLb1EES18_IbLb0EEEEDaS14_S15_EUlS14_E_NS1_11comp_targetILNS1_3genE9ELNS1_11target_archE1100ELNS1_3gpuE3ELNS1_3repE0EEENS1_30default_config_static_selectorELNS0_4arch9wavefront6targetE1EEEvT1_,"axG",@progbits,_ZN7rocprim17ROCPRIM_400000_NS6detail17trampoline_kernelINS0_14default_configENS1_25partition_config_selectorILNS1_17partition_subalgoE0EiNS0_10empty_typeEbEEZZNS1_14partition_implILS5_0ELb0ES3_jN6thrust23THRUST_200600_302600_NS6detail15normal_iteratorINSA_10device_ptrIiEEEEPS6_SG_NS0_5tupleIJNSA_16discard_iteratorINSA_11use_defaultEEESK_EEENSH_IJSG_SG_EEES6_PlJ7is_evenIiEEEE10hipError_tPvRmT3_T4_T5_T6_T7_T9_mT8_P12ihipStream_tbDpT10_ENKUlT_T0_E_clISt17integral_constantIbLb1EES18_IbLb0EEEEDaS14_S15_EUlS14_E_NS1_11comp_targetILNS1_3genE9ELNS1_11target_archE1100ELNS1_3gpuE3ELNS1_3repE0EEENS1_30default_config_static_selectorELNS0_4arch9wavefront6targetE1EEEvT1_,comdat
	.protected	_ZN7rocprim17ROCPRIM_400000_NS6detail17trampoline_kernelINS0_14default_configENS1_25partition_config_selectorILNS1_17partition_subalgoE0EiNS0_10empty_typeEbEEZZNS1_14partition_implILS5_0ELb0ES3_jN6thrust23THRUST_200600_302600_NS6detail15normal_iteratorINSA_10device_ptrIiEEEEPS6_SG_NS0_5tupleIJNSA_16discard_iteratorINSA_11use_defaultEEESK_EEENSH_IJSG_SG_EEES6_PlJ7is_evenIiEEEE10hipError_tPvRmT3_T4_T5_T6_T7_T9_mT8_P12ihipStream_tbDpT10_ENKUlT_T0_E_clISt17integral_constantIbLb1EES18_IbLb0EEEEDaS14_S15_EUlS14_E_NS1_11comp_targetILNS1_3genE9ELNS1_11target_archE1100ELNS1_3gpuE3ELNS1_3repE0EEENS1_30default_config_static_selectorELNS0_4arch9wavefront6targetE1EEEvT1_ ; -- Begin function _ZN7rocprim17ROCPRIM_400000_NS6detail17trampoline_kernelINS0_14default_configENS1_25partition_config_selectorILNS1_17partition_subalgoE0EiNS0_10empty_typeEbEEZZNS1_14partition_implILS5_0ELb0ES3_jN6thrust23THRUST_200600_302600_NS6detail15normal_iteratorINSA_10device_ptrIiEEEEPS6_SG_NS0_5tupleIJNSA_16discard_iteratorINSA_11use_defaultEEESK_EEENSH_IJSG_SG_EEES6_PlJ7is_evenIiEEEE10hipError_tPvRmT3_T4_T5_T6_T7_T9_mT8_P12ihipStream_tbDpT10_ENKUlT_T0_E_clISt17integral_constantIbLb1EES18_IbLb0EEEEDaS14_S15_EUlS14_E_NS1_11comp_targetILNS1_3genE9ELNS1_11target_archE1100ELNS1_3gpuE3ELNS1_3repE0EEENS1_30default_config_static_selectorELNS0_4arch9wavefront6targetE1EEEvT1_
	.globl	_ZN7rocprim17ROCPRIM_400000_NS6detail17trampoline_kernelINS0_14default_configENS1_25partition_config_selectorILNS1_17partition_subalgoE0EiNS0_10empty_typeEbEEZZNS1_14partition_implILS5_0ELb0ES3_jN6thrust23THRUST_200600_302600_NS6detail15normal_iteratorINSA_10device_ptrIiEEEEPS6_SG_NS0_5tupleIJNSA_16discard_iteratorINSA_11use_defaultEEESK_EEENSH_IJSG_SG_EEES6_PlJ7is_evenIiEEEE10hipError_tPvRmT3_T4_T5_T6_T7_T9_mT8_P12ihipStream_tbDpT10_ENKUlT_T0_E_clISt17integral_constantIbLb1EES18_IbLb0EEEEDaS14_S15_EUlS14_E_NS1_11comp_targetILNS1_3genE9ELNS1_11target_archE1100ELNS1_3gpuE3ELNS1_3repE0EEENS1_30default_config_static_selectorELNS0_4arch9wavefront6targetE1EEEvT1_
	.p2align	8
	.type	_ZN7rocprim17ROCPRIM_400000_NS6detail17trampoline_kernelINS0_14default_configENS1_25partition_config_selectorILNS1_17partition_subalgoE0EiNS0_10empty_typeEbEEZZNS1_14partition_implILS5_0ELb0ES3_jN6thrust23THRUST_200600_302600_NS6detail15normal_iteratorINSA_10device_ptrIiEEEEPS6_SG_NS0_5tupleIJNSA_16discard_iteratorINSA_11use_defaultEEESK_EEENSH_IJSG_SG_EEES6_PlJ7is_evenIiEEEE10hipError_tPvRmT3_T4_T5_T6_T7_T9_mT8_P12ihipStream_tbDpT10_ENKUlT_T0_E_clISt17integral_constantIbLb1EES18_IbLb0EEEEDaS14_S15_EUlS14_E_NS1_11comp_targetILNS1_3genE9ELNS1_11target_archE1100ELNS1_3gpuE3ELNS1_3repE0EEENS1_30default_config_static_selectorELNS0_4arch9wavefront6targetE1EEEvT1_,@function
_ZN7rocprim17ROCPRIM_400000_NS6detail17trampoline_kernelINS0_14default_configENS1_25partition_config_selectorILNS1_17partition_subalgoE0EiNS0_10empty_typeEbEEZZNS1_14partition_implILS5_0ELb0ES3_jN6thrust23THRUST_200600_302600_NS6detail15normal_iteratorINSA_10device_ptrIiEEEEPS6_SG_NS0_5tupleIJNSA_16discard_iteratorINSA_11use_defaultEEESK_EEENSH_IJSG_SG_EEES6_PlJ7is_evenIiEEEE10hipError_tPvRmT3_T4_T5_T6_T7_T9_mT8_P12ihipStream_tbDpT10_ENKUlT_T0_E_clISt17integral_constantIbLb1EES18_IbLb0EEEEDaS14_S15_EUlS14_E_NS1_11comp_targetILNS1_3genE9ELNS1_11target_archE1100ELNS1_3gpuE3ELNS1_3repE0EEENS1_30default_config_static_selectorELNS0_4arch9wavefront6targetE1EEEvT1_: ; @_ZN7rocprim17ROCPRIM_400000_NS6detail17trampoline_kernelINS0_14default_configENS1_25partition_config_selectorILNS1_17partition_subalgoE0EiNS0_10empty_typeEbEEZZNS1_14partition_implILS5_0ELb0ES3_jN6thrust23THRUST_200600_302600_NS6detail15normal_iteratorINSA_10device_ptrIiEEEEPS6_SG_NS0_5tupleIJNSA_16discard_iteratorINSA_11use_defaultEEESK_EEENSH_IJSG_SG_EEES6_PlJ7is_evenIiEEEE10hipError_tPvRmT3_T4_T5_T6_T7_T9_mT8_P12ihipStream_tbDpT10_ENKUlT_T0_E_clISt17integral_constantIbLb1EES18_IbLb0EEEEDaS14_S15_EUlS14_E_NS1_11comp_targetILNS1_3genE9ELNS1_11target_archE1100ELNS1_3gpuE3ELNS1_3repE0EEENS1_30default_config_static_selectorELNS0_4arch9wavefront6targetE1EEEvT1_
; %bb.0:
	.section	.rodata,"a",@progbits
	.p2align	6, 0x0
	.amdhsa_kernel _ZN7rocprim17ROCPRIM_400000_NS6detail17trampoline_kernelINS0_14default_configENS1_25partition_config_selectorILNS1_17partition_subalgoE0EiNS0_10empty_typeEbEEZZNS1_14partition_implILS5_0ELb0ES3_jN6thrust23THRUST_200600_302600_NS6detail15normal_iteratorINSA_10device_ptrIiEEEEPS6_SG_NS0_5tupleIJNSA_16discard_iteratorINSA_11use_defaultEEESK_EEENSH_IJSG_SG_EEES6_PlJ7is_evenIiEEEE10hipError_tPvRmT3_T4_T5_T6_T7_T9_mT8_P12ihipStream_tbDpT10_ENKUlT_T0_E_clISt17integral_constantIbLb1EES18_IbLb0EEEEDaS14_S15_EUlS14_E_NS1_11comp_targetILNS1_3genE9ELNS1_11target_archE1100ELNS1_3gpuE3ELNS1_3repE0EEENS1_30default_config_static_selectorELNS0_4arch9wavefront6targetE1EEEvT1_
		.amdhsa_group_segment_fixed_size 0
		.amdhsa_private_segment_fixed_size 0
		.amdhsa_kernarg_size 136
		.amdhsa_user_sgpr_count 6
		.amdhsa_user_sgpr_private_segment_buffer 1
		.amdhsa_user_sgpr_dispatch_ptr 0
		.amdhsa_user_sgpr_queue_ptr 0
		.amdhsa_user_sgpr_kernarg_segment_ptr 1
		.amdhsa_user_sgpr_dispatch_id 0
		.amdhsa_user_sgpr_flat_scratch_init 0
		.amdhsa_user_sgpr_kernarg_preload_length 0
		.amdhsa_user_sgpr_kernarg_preload_offset 0
		.amdhsa_user_sgpr_private_segment_size 0
		.amdhsa_uses_dynamic_stack 0
		.amdhsa_system_sgpr_private_segment_wavefront_offset 0
		.amdhsa_system_sgpr_workgroup_id_x 1
		.amdhsa_system_sgpr_workgroup_id_y 0
		.amdhsa_system_sgpr_workgroup_id_z 0
		.amdhsa_system_sgpr_workgroup_info 0
		.amdhsa_system_vgpr_workitem_id 0
		.amdhsa_next_free_vgpr 1
		.amdhsa_next_free_sgpr 0
		.amdhsa_accum_offset 4
		.amdhsa_reserve_vcc 0
		.amdhsa_reserve_flat_scratch 0
		.amdhsa_float_round_mode_32 0
		.amdhsa_float_round_mode_16_64 0
		.amdhsa_float_denorm_mode_32 3
		.amdhsa_float_denorm_mode_16_64 3
		.amdhsa_dx10_clamp 1
		.amdhsa_ieee_mode 1
		.amdhsa_fp16_overflow 0
		.amdhsa_tg_split 0
		.amdhsa_exception_fp_ieee_invalid_op 0
		.amdhsa_exception_fp_denorm_src 0
		.amdhsa_exception_fp_ieee_div_zero 0
		.amdhsa_exception_fp_ieee_overflow 0
		.amdhsa_exception_fp_ieee_underflow 0
		.amdhsa_exception_fp_ieee_inexact 0
		.amdhsa_exception_int_div_zero 0
	.end_amdhsa_kernel
	.section	.text._ZN7rocprim17ROCPRIM_400000_NS6detail17trampoline_kernelINS0_14default_configENS1_25partition_config_selectorILNS1_17partition_subalgoE0EiNS0_10empty_typeEbEEZZNS1_14partition_implILS5_0ELb0ES3_jN6thrust23THRUST_200600_302600_NS6detail15normal_iteratorINSA_10device_ptrIiEEEEPS6_SG_NS0_5tupleIJNSA_16discard_iteratorINSA_11use_defaultEEESK_EEENSH_IJSG_SG_EEES6_PlJ7is_evenIiEEEE10hipError_tPvRmT3_T4_T5_T6_T7_T9_mT8_P12ihipStream_tbDpT10_ENKUlT_T0_E_clISt17integral_constantIbLb1EES18_IbLb0EEEEDaS14_S15_EUlS14_E_NS1_11comp_targetILNS1_3genE9ELNS1_11target_archE1100ELNS1_3gpuE3ELNS1_3repE0EEENS1_30default_config_static_selectorELNS0_4arch9wavefront6targetE1EEEvT1_,"axG",@progbits,_ZN7rocprim17ROCPRIM_400000_NS6detail17trampoline_kernelINS0_14default_configENS1_25partition_config_selectorILNS1_17partition_subalgoE0EiNS0_10empty_typeEbEEZZNS1_14partition_implILS5_0ELb0ES3_jN6thrust23THRUST_200600_302600_NS6detail15normal_iteratorINSA_10device_ptrIiEEEEPS6_SG_NS0_5tupleIJNSA_16discard_iteratorINSA_11use_defaultEEESK_EEENSH_IJSG_SG_EEES6_PlJ7is_evenIiEEEE10hipError_tPvRmT3_T4_T5_T6_T7_T9_mT8_P12ihipStream_tbDpT10_ENKUlT_T0_E_clISt17integral_constantIbLb1EES18_IbLb0EEEEDaS14_S15_EUlS14_E_NS1_11comp_targetILNS1_3genE9ELNS1_11target_archE1100ELNS1_3gpuE3ELNS1_3repE0EEENS1_30default_config_static_selectorELNS0_4arch9wavefront6targetE1EEEvT1_,comdat
.Lfunc_end2705:
	.size	_ZN7rocprim17ROCPRIM_400000_NS6detail17trampoline_kernelINS0_14default_configENS1_25partition_config_selectorILNS1_17partition_subalgoE0EiNS0_10empty_typeEbEEZZNS1_14partition_implILS5_0ELb0ES3_jN6thrust23THRUST_200600_302600_NS6detail15normal_iteratorINSA_10device_ptrIiEEEEPS6_SG_NS0_5tupleIJNSA_16discard_iteratorINSA_11use_defaultEEESK_EEENSH_IJSG_SG_EEES6_PlJ7is_evenIiEEEE10hipError_tPvRmT3_T4_T5_T6_T7_T9_mT8_P12ihipStream_tbDpT10_ENKUlT_T0_E_clISt17integral_constantIbLb1EES18_IbLb0EEEEDaS14_S15_EUlS14_E_NS1_11comp_targetILNS1_3genE9ELNS1_11target_archE1100ELNS1_3gpuE3ELNS1_3repE0EEENS1_30default_config_static_selectorELNS0_4arch9wavefront6targetE1EEEvT1_, .Lfunc_end2705-_ZN7rocprim17ROCPRIM_400000_NS6detail17trampoline_kernelINS0_14default_configENS1_25partition_config_selectorILNS1_17partition_subalgoE0EiNS0_10empty_typeEbEEZZNS1_14partition_implILS5_0ELb0ES3_jN6thrust23THRUST_200600_302600_NS6detail15normal_iteratorINSA_10device_ptrIiEEEEPS6_SG_NS0_5tupleIJNSA_16discard_iteratorINSA_11use_defaultEEESK_EEENSH_IJSG_SG_EEES6_PlJ7is_evenIiEEEE10hipError_tPvRmT3_T4_T5_T6_T7_T9_mT8_P12ihipStream_tbDpT10_ENKUlT_T0_E_clISt17integral_constantIbLb1EES18_IbLb0EEEEDaS14_S15_EUlS14_E_NS1_11comp_targetILNS1_3genE9ELNS1_11target_archE1100ELNS1_3gpuE3ELNS1_3repE0EEENS1_30default_config_static_selectorELNS0_4arch9wavefront6targetE1EEEvT1_
                                        ; -- End function
	.section	.AMDGPU.csdata,"",@progbits
; Kernel info:
; codeLenInByte = 0
; NumSgprs: 4
; NumVgprs: 0
; NumAgprs: 0
; TotalNumVgprs: 0
; ScratchSize: 0
; MemoryBound: 0
; FloatMode: 240
; IeeeMode: 1
; LDSByteSize: 0 bytes/workgroup (compile time only)
; SGPRBlocks: 0
; VGPRBlocks: 0
; NumSGPRsForWavesPerEU: 4
; NumVGPRsForWavesPerEU: 1
; AccumOffset: 4
; Occupancy: 8
; WaveLimiterHint : 0
; COMPUTE_PGM_RSRC2:SCRATCH_EN: 0
; COMPUTE_PGM_RSRC2:USER_SGPR: 6
; COMPUTE_PGM_RSRC2:TRAP_HANDLER: 0
; COMPUTE_PGM_RSRC2:TGID_X_EN: 1
; COMPUTE_PGM_RSRC2:TGID_Y_EN: 0
; COMPUTE_PGM_RSRC2:TGID_Z_EN: 0
; COMPUTE_PGM_RSRC2:TIDIG_COMP_CNT: 0
; COMPUTE_PGM_RSRC3_GFX90A:ACCUM_OFFSET: 0
; COMPUTE_PGM_RSRC3_GFX90A:TG_SPLIT: 0
	.section	.text._ZN7rocprim17ROCPRIM_400000_NS6detail17trampoline_kernelINS0_14default_configENS1_25partition_config_selectorILNS1_17partition_subalgoE0EiNS0_10empty_typeEbEEZZNS1_14partition_implILS5_0ELb0ES3_jN6thrust23THRUST_200600_302600_NS6detail15normal_iteratorINSA_10device_ptrIiEEEEPS6_SG_NS0_5tupleIJNSA_16discard_iteratorINSA_11use_defaultEEESK_EEENSH_IJSG_SG_EEES6_PlJ7is_evenIiEEEE10hipError_tPvRmT3_T4_T5_T6_T7_T9_mT8_P12ihipStream_tbDpT10_ENKUlT_T0_E_clISt17integral_constantIbLb1EES18_IbLb0EEEEDaS14_S15_EUlS14_E_NS1_11comp_targetILNS1_3genE8ELNS1_11target_archE1030ELNS1_3gpuE2ELNS1_3repE0EEENS1_30default_config_static_selectorELNS0_4arch9wavefront6targetE1EEEvT1_,"axG",@progbits,_ZN7rocprim17ROCPRIM_400000_NS6detail17trampoline_kernelINS0_14default_configENS1_25partition_config_selectorILNS1_17partition_subalgoE0EiNS0_10empty_typeEbEEZZNS1_14partition_implILS5_0ELb0ES3_jN6thrust23THRUST_200600_302600_NS6detail15normal_iteratorINSA_10device_ptrIiEEEEPS6_SG_NS0_5tupleIJNSA_16discard_iteratorINSA_11use_defaultEEESK_EEENSH_IJSG_SG_EEES6_PlJ7is_evenIiEEEE10hipError_tPvRmT3_T4_T5_T6_T7_T9_mT8_P12ihipStream_tbDpT10_ENKUlT_T0_E_clISt17integral_constantIbLb1EES18_IbLb0EEEEDaS14_S15_EUlS14_E_NS1_11comp_targetILNS1_3genE8ELNS1_11target_archE1030ELNS1_3gpuE2ELNS1_3repE0EEENS1_30default_config_static_selectorELNS0_4arch9wavefront6targetE1EEEvT1_,comdat
	.protected	_ZN7rocprim17ROCPRIM_400000_NS6detail17trampoline_kernelINS0_14default_configENS1_25partition_config_selectorILNS1_17partition_subalgoE0EiNS0_10empty_typeEbEEZZNS1_14partition_implILS5_0ELb0ES3_jN6thrust23THRUST_200600_302600_NS6detail15normal_iteratorINSA_10device_ptrIiEEEEPS6_SG_NS0_5tupleIJNSA_16discard_iteratorINSA_11use_defaultEEESK_EEENSH_IJSG_SG_EEES6_PlJ7is_evenIiEEEE10hipError_tPvRmT3_T4_T5_T6_T7_T9_mT8_P12ihipStream_tbDpT10_ENKUlT_T0_E_clISt17integral_constantIbLb1EES18_IbLb0EEEEDaS14_S15_EUlS14_E_NS1_11comp_targetILNS1_3genE8ELNS1_11target_archE1030ELNS1_3gpuE2ELNS1_3repE0EEENS1_30default_config_static_selectorELNS0_4arch9wavefront6targetE1EEEvT1_ ; -- Begin function _ZN7rocprim17ROCPRIM_400000_NS6detail17trampoline_kernelINS0_14default_configENS1_25partition_config_selectorILNS1_17partition_subalgoE0EiNS0_10empty_typeEbEEZZNS1_14partition_implILS5_0ELb0ES3_jN6thrust23THRUST_200600_302600_NS6detail15normal_iteratorINSA_10device_ptrIiEEEEPS6_SG_NS0_5tupleIJNSA_16discard_iteratorINSA_11use_defaultEEESK_EEENSH_IJSG_SG_EEES6_PlJ7is_evenIiEEEE10hipError_tPvRmT3_T4_T5_T6_T7_T9_mT8_P12ihipStream_tbDpT10_ENKUlT_T0_E_clISt17integral_constantIbLb1EES18_IbLb0EEEEDaS14_S15_EUlS14_E_NS1_11comp_targetILNS1_3genE8ELNS1_11target_archE1030ELNS1_3gpuE2ELNS1_3repE0EEENS1_30default_config_static_selectorELNS0_4arch9wavefront6targetE1EEEvT1_
	.globl	_ZN7rocprim17ROCPRIM_400000_NS6detail17trampoline_kernelINS0_14default_configENS1_25partition_config_selectorILNS1_17partition_subalgoE0EiNS0_10empty_typeEbEEZZNS1_14partition_implILS5_0ELb0ES3_jN6thrust23THRUST_200600_302600_NS6detail15normal_iteratorINSA_10device_ptrIiEEEEPS6_SG_NS0_5tupleIJNSA_16discard_iteratorINSA_11use_defaultEEESK_EEENSH_IJSG_SG_EEES6_PlJ7is_evenIiEEEE10hipError_tPvRmT3_T4_T5_T6_T7_T9_mT8_P12ihipStream_tbDpT10_ENKUlT_T0_E_clISt17integral_constantIbLb1EES18_IbLb0EEEEDaS14_S15_EUlS14_E_NS1_11comp_targetILNS1_3genE8ELNS1_11target_archE1030ELNS1_3gpuE2ELNS1_3repE0EEENS1_30default_config_static_selectorELNS0_4arch9wavefront6targetE1EEEvT1_
	.p2align	8
	.type	_ZN7rocprim17ROCPRIM_400000_NS6detail17trampoline_kernelINS0_14default_configENS1_25partition_config_selectorILNS1_17partition_subalgoE0EiNS0_10empty_typeEbEEZZNS1_14partition_implILS5_0ELb0ES3_jN6thrust23THRUST_200600_302600_NS6detail15normal_iteratorINSA_10device_ptrIiEEEEPS6_SG_NS0_5tupleIJNSA_16discard_iteratorINSA_11use_defaultEEESK_EEENSH_IJSG_SG_EEES6_PlJ7is_evenIiEEEE10hipError_tPvRmT3_T4_T5_T6_T7_T9_mT8_P12ihipStream_tbDpT10_ENKUlT_T0_E_clISt17integral_constantIbLb1EES18_IbLb0EEEEDaS14_S15_EUlS14_E_NS1_11comp_targetILNS1_3genE8ELNS1_11target_archE1030ELNS1_3gpuE2ELNS1_3repE0EEENS1_30default_config_static_selectorELNS0_4arch9wavefront6targetE1EEEvT1_,@function
_ZN7rocprim17ROCPRIM_400000_NS6detail17trampoline_kernelINS0_14default_configENS1_25partition_config_selectorILNS1_17partition_subalgoE0EiNS0_10empty_typeEbEEZZNS1_14partition_implILS5_0ELb0ES3_jN6thrust23THRUST_200600_302600_NS6detail15normal_iteratorINSA_10device_ptrIiEEEEPS6_SG_NS0_5tupleIJNSA_16discard_iteratorINSA_11use_defaultEEESK_EEENSH_IJSG_SG_EEES6_PlJ7is_evenIiEEEE10hipError_tPvRmT3_T4_T5_T6_T7_T9_mT8_P12ihipStream_tbDpT10_ENKUlT_T0_E_clISt17integral_constantIbLb1EES18_IbLb0EEEEDaS14_S15_EUlS14_E_NS1_11comp_targetILNS1_3genE8ELNS1_11target_archE1030ELNS1_3gpuE2ELNS1_3repE0EEENS1_30default_config_static_selectorELNS0_4arch9wavefront6targetE1EEEvT1_: ; @_ZN7rocprim17ROCPRIM_400000_NS6detail17trampoline_kernelINS0_14default_configENS1_25partition_config_selectorILNS1_17partition_subalgoE0EiNS0_10empty_typeEbEEZZNS1_14partition_implILS5_0ELb0ES3_jN6thrust23THRUST_200600_302600_NS6detail15normal_iteratorINSA_10device_ptrIiEEEEPS6_SG_NS0_5tupleIJNSA_16discard_iteratorINSA_11use_defaultEEESK_EEENSH_IJSG_SG_EEES6_PlJ7is_evenIiEEEE10hipError_tPvRmT3_T4_T5_T6_T7_T9_mT8_P12ihipStream_tbDpT10_ENKUlT_T0_E_clISt17integral_constantIbLb1EES18_IbLb0EEEEDaS14_S15_EUlS14_E_NS1_11comp_targetILNS1_3genE8ELNS1_11target_archE1030ELNS1_3gpuE2ELNS1_3repE0EEENS1_30default_config_static_selectorELNS0_4arch9wavefront6targetE1EEEvT1_
; %bb.0:
	.section	.rodata,"a",@progbits
	.p2align	6, 0x0
	.amdhsa_kernel _ZN7rocprim17ROCPRIM_400000_NS6detail17trampoline_kernelINS0_14default_configENS1_25partition_config_selectorILNS1_17partition_subalgoE0EiNS0_10empty_typeEbEEZZNS1_14partition_implILS5_0ELb0ES3_jN6thrust23THRUST_200600_302600_NS6detail15normal_iteratorINSA_10device_ptrIiEEEEPS6_SG_NS0_5tupleIJNSA_16discard_iteratorINSA_11use_defaultEEESK_EEENSH_IJSG_SG_EEES6_PlJ7is_evenIiEEEE10hipError_tPvRmT3_T4_T5_T6_T7_T9_mT8_P12ihipStream_tbDpT10_ENKUlT_T0_E_clISt17integral_constantIbLb1EES18_IbLb0EEEEDaS14_S15_EUlS14_E_NS1_11comp_targetILNS1_3genE8ELNS1_11target_archE1030ELNS1_3gpuE2ELNS1_3repE0EEENS1_30default_config_static_selectorELNS0_4arch9wavefront6targetE1EEEvT1_
		.amdhsa_group_segment_fixed_size 0
		.amdhsa_private_segment_fixed_size 0
		.amdhsa_kernarg_size 136
		.amdhsa_user_sgpr_count 6
		.amdhsa_user_sgpr_private_segment_buffer 1
		.amdhsa_user_sgpr_dispatch_ptr 0
		.amdhsa_user_sgpr_queue_ptr 0
		.amdhsa_user_sgpr_kernarg_segment_ptr 1
		.amdhsa_user_sgpr_dispatch_id 0
		.amdhsa_user_sgpr_flat_scratch_init 0
		.amdhsa_user_sgpr_kernarg_preload_length 0
		.amdhsa_user_sgpr_kernarg_preload_offset 0
		.amdhsa_user_sgpr_private_segment_size 0
		.amdhsa_uses_dynamic_stack 0
		.amdhsa_system_sgpr_private_segment_wavefront_offset 0
		.amdhsa_system_sgpr_workgroup_id_x 1
		.amdhsa_system_sgpr_workgroup_id_y 0
		.amdhsa_system_sgpr_workgroup_id_z 0
		.amdhsa_system_sgpr_workgroup_info 0
		.amdhsa_system_vgpr_workitem_id 0
		.amdhsa_next_free_vgpr 1
		.amdhsa_next_free_sgpr 0
		.amdhsa_accum_offset 4
		.amdhsa_reserve_vcc 0
		.amdhsa_reserve_flat_scratch 0
		.amdhsa_float_round_mode_32 0
		.amdhsa_float_round_mode_16_64 0
		.amdhsa_float_denorm_mode_32 3
		.amdhsa_float_denorm_mode_16_64 3
		.amdhsa_dx10_clamp 1
		.amdhsa_ieee_mode 1
		.amdhsa_fp16_overflow 0
		.amdhsa_tg_split 0
		.amdhsa_exception_fp_ieee_invalid_op 0
		.amdhsa_exception_fp_denorm_src 0
		.amdhsa_exception_fp_ieee_div_zero 0
		.amdhsa_exception_fp_ieee_overflow 0
		.amdhsa_exception_fp_ieee_underflow 0
		.amdhsa_exception_fp_ieee_inexact 0
		.amdhsa_exception_int_div_zero 0
	.end_amdhsa_kernel
	.section	.text._ZN7rocprim17ROCPRIM_400000_NS6detail17trampoline_kernelINS0_14default_configENS1_25partition_config_selectorILNS1_17partition_subalgoE0EiNS0_10empty_typeEbEEZZNS1_14partition_implILS5_0ELb0ES3_jN6thrust23THRUST_200600_302600_NS6detail15normal_iteratorINSA_10device_ptrIiEEEEPS6_SG_NS0_5tupleIJNSA_16discard_iteratorINSA_11use_defaultEEESK_EEENSH_IJSG_SG_EEES6_PlJ7is_evenIiEEEE10hipError_tPvRmT3_T4_T5_T6_T7_T9_mT8_P12ihipStream_tbDpT10_ENKUlT_T0_E_clISt17integral_constantIbLb1EES18_IbLb0EEEEDaS14_S15_EUlS14_E_NS1_11comp_targetILNS1_3genE8ELNS1_11target_archE1030ELNS1_3gpuE2ELNS1_3repE0EEENS1_30default_config_static_selectorELNS0_4arch9wavefront6targetE1EEEvT1_,"axG",@progbits,_ZN7rocprim17ROCPRIM_400000_NS6detail17trampoline_kernelINS0_14default_configENS1_25partition_config_selectorILNS1_17partition_subalgoE0EiNS0_10empty_typeEbEEZZNS1_14partition_implILS5_0ELb0ES3_jN6thrust23THRUST_200600_302600_NS6detail15normal_iteratorINSA_10device_ptrIiEEEEPS6_SG_NS0_5tupleIJNSA_16discard_iteratorINSA_11use_defaultEEESK_EEENSH_IJSG_SG_EEES6_PlJ7is_evenIiEEEE10hipError_tPvRmT3_T4_T5_T6_T7_T9_mT8_P12ihipStream_tbDpT10_ENKUlT_T0_E_clISt17integral_constantIbLb1EES18_IbLb0EEEEDaS14_S15_EUlS14_E_NS1_11comp_targetILNS1_3genE8ELNS1_11target_archE1030ELNS1_3gpuE2ELNS1_3repE0EEENS1_30default_config_static_selectorELNS0_4arch9wavefront6targetE1EEEvT1_,comdat
.Lfunc_end2706:
	.size	_ZN7rocprim17ROCPRIM_400000_NS6detail17trampoline_kernelINS0_14default_configENS1_25partition_config_selectorILNS1_17partition_subalgoE0EiNS0_10empty_typeEbEEZZNS1_14partition_implILS5_0ELb0ES3_jN6thrust23THRUST_200600_302600_NS6detail15normal_iteratorINSA_10device_ptrIiEEEEPS6_SG_NS0_5tupleIJNSA_16discard_iteratorINSA_11use_defaultEEESK_EEENSH_IJSG_SG_EEES6_PlJ7is_evenIiEEEE10hipError_tPvRmT3_T4_T5_T6_T7_T9_mT8_P12ihipStream_tbDpT10_ENKUlT_T0_E_clISt17integral_constantIbLb1EES18_IbLb0EEEEDaS14_S15_EUlS14_E_NS1_11comp_targetILNS1_3genE8ELNS1_11target_archE1030ELNS1_3gpuE2ELNS1_3repE0EEENS1_30default_config_static_selectorELNS0_4arch9wavefront6targetE1EEEvT1_, .Lfunc_end2706-_ZN7rocprim17ROCPRIM_400000_NS6detail17trampoline_kernelINS0_14default_configENS1_25partition_config_selectorILNS1_17partition_subalgoE0EiNS0_10empty_typeEbEEZZNS1_14partition_implILS5_0ELb0ES3_jN6thrust23THRUST_200600_302600_NS6detail15normal_iteratorINSA_10device_ptrIiEEEEPS6_SG_NS0_5tupleIJNSA_16discard_iteratorINSA_11use_defaultEEESK_EEENSH_IJSG_SG_EEES6_PlJ7is_evenIiEEEE10hipError_tPvRmT3_T4_T5_T6_T7_T9_mT8_P12ihipStream_tbDpT10_ENKUlT_T0_E_clISt17integral_constantIbLb1EES18_IbLb0EEEEDaS14_S15_EUlS14_E_NS1_11comp_targetILNS1_3genE8ELNS1_11target_archE1030ELNS1_3gpuE2ELNS1_3repE0EEENS1_30default_config_static_selectorELNS0_4arch9wavefront6targetE1EEEvT1_
                                        ; -- End function
	.section	.AMDGPU.csdata,"",@progbits
; Kernel info:
; codeLenInByte = 0
; NumSgprs: 4
; NumVgprs: 0
; NumAgprs: 0
; TotalNumVgprs: 0
; ScratchSize: 0
; MemoryBound: 0
; FloatMode: 240
; IeeeMode: 1
; LDSByteSize: 0 bytes/workgroup (compile time only)
; SGPRBlocks: 0
; VGPRBlocks: 0
; NumSGPRsForWavesPerEU: 4
; NumVGPRsForWavesPerEU: 1
; AccumOffset: 4
; Occupancy: 8
; WaveLimiterHint : 0
; COMPUTE_PGM_RSRC2:SCRATCH_EN: 0
; COMPUTE_PGM_RSRC2:USER_SGPR: 6
; COMPUTE_PGM_RSRC2:TRAP_HANDLER: 0
; COMPUTE_PGM_RSRC2:TGID_X_EN: 1
; COMPUTE_PGM_RSRC2:TGID_Y_EN: 0
; COMPUTE_PGM_RSRC2:TGID_Z_EN: 0
; COMPUTE_PGM_RSRC2:TIDIG_COMP_CNT: 0
; COMPUTE_PGM_RSRC3_GFX90A:ACCUM_OFFSET: 0
; COMPUTE_PGM_RSRC3_GFX90A:TG_SPLIT: 0
	.section	.text._ZN7rocprim17ROCPRIM_400000_NS6detail17trampoline_kernelINS0_14default_configENS1_25partition_config_selectorILNS1_17partition_subalgoE0EiNS0_10empty_typeEbEEZZNS1_14partition_implILS5_0ELb0ES3_jN6thrust23THRUST_200600_302600_NS6detail15normal_iteratorINSA_10device_ptrIiEEEEPS6_SG_NS0_5tupleIJNSA_16discard_iteratorINSA_11use_defaultEEESK_EEENSH_IJSG_SG_EEES6_PlJ7is_evenIiEEEE10hipError_tPvRmT3_T4_T5_T6_T7_T9_mT8_P12ihipStream_tbDpT10_ENKUlT_T0_E_clISt17integral_constantIbLb0EES18_IbLb1EEEEDaS14_S15_EUlS14_E_NS1_11comp_targetILNS1_3genE0ELNS1_11target_archE4294967295ELNS1_3gpuE0ELNS1_3repE0EEENS1_30default_config_static_selectorELNS0_4arch9wavefront6targetE1EEEvT1_,"axG",@progbits,_ZN7rocprim17ROCPRIM_400000_NS6detail17trampoline_kernelINS0_14default_configENS1_25partition_config_selectorILNS1_17partition_subalgoE0EiNS0_10empty_typeEbEEZZNS1_14partition_implILS5_0ELb0ES3_jN6thrust23THRUST_200600_302600_NS6detail15normal_iteratorINSA_10device_ptrIiEEEEPS6_SG_NS0_5tupleIJNSA_16discard_iteratorINSA_11use_defaultEEESK_EEENSH_IJSG_SG_EEES6_PlJ7is_evenIiEEEE10hipError_tPvRmT3_T4_T5_T6_T7_T9_mT8_P12ihipStream_tbDpT10_ENKUlT_T0_E_clISt17integral_constantIbLb0EES18_IbLb1EEEEDaS14_S15_EUlS14_E_NS1_11comp_targetILNS1_3genE0ELNS1_11target_archE4294967295ELNS1_3gpuE0ELNS1_3repE0EEENS1_30default_config_static_selectorELNS0_4arch9wavefront6targetE1EEEvT1_,comdat
	.protected	_ZN7rocprim17ROCPRIM_400000_NS6detail17trampoline_kernelINS0_14default_configENS1_25partition_config_selectorILNS1_17partition_subalgoE0EiNS0_10empty_typeEbEEZZNS1_14partition_implILS5_0ELb0ES3_jN6thrust23THRUST_200600_302600_NS6detail15normal_iteratorINSA_10device_ptrIiEEEEPS6_SG_NS0_5tupleIJNSA_16discard_iteratorINSA_11use_defaultEEESK_EEENSH_IJSG_SG_EEES6_PlJ7is_evenIiEEEE10hipError_tPvRmT3_T4_T5_T6_T7_T9_mT8_P12ihipStream_tbDpT10_ENKUlT_T0_E_clISt17integral_constantIbLb0EES18_IbLb1EEEEDaS14_S15_EUlS14_E_NS1_11comp_targetILNS1_3genE0ELNS1_11target_archE4294967295ELNS1_3gpuE0ELNS1_3repE0EEENS1_30default_config_static_selectorELNS0_4arch9wavefront6targetE1EEEvT1_ ; -- Begin function _ZN7rocprim17ROCPRIM_400000_NS6detail17trampoline_kernelINS0_14default_configENS1_25partition_config_selectorILNS1_17partition_subalgoE0EiNS0_10empty_typeEbEEZZNS1_14partition_implILS5_0ELb0ES3_jN6thrust23THRUST_200600_302600_NS6detail15normal_iteratorINSA_10device_ptrIiEEEEPS6_SG_NS0_5tupleIJNSA_16discard_iteratorINSA_11use_defaultEEESK_EEENSH_IJSG_SG_EEES6_PlJ7is_evenIiEEEE10hipError_tPvRmT3_T4_T5_T6_T7_T9_mT8_P12ihipStream_tbDpT10_ENKUlT_T0_E_clISt17integral_constantIbLb0EES18_IbLb1EEEEDaS14_S15_EUlS14_E_NS1_11comp_targetILNS1_3genE0ELNS1_11target_archE4294967295ELNS1_3gpuE0ELNS1_3repE0EEENS1_30default_config_static_selectorELNS0_4arch9wavefront6targetE1EEEvT1_
	.globl	_ZN7rocprim17ROCPRIM_400000_NS6detail17trampoline_kernelINS0_14default_configENS1_25partition_config_selectorILNS1_17partition_subalgoE0EiNS0_10empty_typeEbEEZZNS1_14partition_implILS5_0ELb0ES3_jN6thrust23THRUST_200600_302600_NS6detail15normal_iteratorINSA_10device_ptrIiEEEEPS6_SG_NS0_5tupleIJNSA_16discard_iteratorINSA_11use_defaultEEESK_EEENSH_IJSG_SG_EEES6_PlJ7is_evenIiEEEE10hipError_tPvRmT3_T4_T5_T6_T7_T9_mT8_P12ihipStream_tbDpT10_ENKUlT_T0_E_clISt17integral_constantIbLb0EES18_IbLb1EEEEDaS14_S15_EUlS14_E_NS1_11comp_targetILNS1_3genE0ELNS1_11target_archE4294967295ELNS1_3gpuE0ELNS1_3repE0EEENS1_30default_config_static_selectorELNS0_4arch9wavefront6targetE1EEEvT1_
	.p2align	8
	.type	_ZN7rocprim17ROCPRIM_400000_NS6detail17trampoline_kernelINS0_14default_configENS1_25partition_config_selectorILNS1_17partition_subalgoE0EiNS0_10empty_typeEbEEZZNS1_14partition_implILS5_0ELb0ES3_jN6thrust23THRUST_200600_302600_NS6detail15normal_iteratorINSA_10device_ptrIiEEEEPS6_SG_NS0_5tupleIJNSA_16discard_iteratorINSA_11use_defaultEEESK_EEENSH_IJSG_SG_EEES6_PlJ7is_evenIiEEEE10hipError_tPvRmT3_T4_T5_T6_T7_T9_mT8_P12ihipStream_tbDpT10_ENKUlT_T0_E_clISt17integral_constantIbLb0EES18_IbLb1EEEEDaS14_S15_EUlS14_E_NS1_11comp_targetILNS1_3genE0ELNS1_11target_archE4294967295ELNS1_3gpuE0ELNS1_3repE0EEENS1_30default_config_static_selectorELNS0_4arch9wavefront6targetE1EEEvT1_,@function
_ZN7rocprim17ROCPRIM_400000_NS6detail17trampoline_kernelINS0_14default_configENS1_25partition_config_selectorILNS1_17partition_subalgoE0EiNS0_10empty_typeEbEEZZNS1_14partition_implILS5_0ELb0ES3_jN6thrust23THRUST_200600_302600_NS6detail15normal_iteratorINSA_10device_ptrIiEEEEPS6_SG_NS0_5tupleIJNSA_16discard_iteratorINSA_11use_defaultEEESK_EEENSH_IJSG_SG_EEES6_PlJ7is_evenIiEEEE10hipError_tPvRmT3_T4_T5_T6_T7_T9_mT8_P12ihipStream_tbDpT10_ENKUlT_T0_E_clISt17integral_constantIbLb0EES18_IbLb1EEEEDaS14_S15_EUlS14_E_NS1_11comp_targetILNS1_3genE0ELNS1_11target_archE4294967295ELNS1_3gpuE0ELNS1_3repE0EEENS1_30default_config_static_selectorELNS0_4arch9wavefront6targetE1EEEvT1_: ; @_ZN7rocprim17ROCPRIM_400000_NS6detail17trampoline_kernelINS0_14default_configENS1_25partition_config_selectorILNS1_17partition_subalgoE0EiNS0_10empty_typeEbEEZZNS1_14partition_implILS5_0ELb0ES3_jN6thrust23THRUST_200600_302600_NS6detail15normal_iteratorINSA_10device_ptrIiEEEEPS6_SG_NS0_5tupleIJNSA_16discard_iteratorINSA_11use_defaultEEESK_EEENSH_IJSG_SG_EEES6_PlJ7is_evenIiEEEE10hipError_tPvRmT3_T4_T5_T6_T7_T9_mT8_P12ihipStream_tbDpT10_ENKUlT_T0_E_clISt17integral_constantIbLb0EES18_IbLb1EEEEDaS14_S15_EUlS14_E_NS1_11comp_targetILNS1_3genE0ELNS1_11target_archE4294967295ELNS1_3gpuE0ELNS1_3repE0EEENS1_30default_config_static_selectorELNS0_4arch9wavefront6targetE1EEEvT1_
; %bb.0:
	.section	.rodata,"a",@progbits
	.p2align	6, 0x0
	.amdhsa_kernel _ZN7rocprim17ROCPRIM_400000_NS6detail17trampoline_kernelINS0_14default_configENS1_25partition_config_selectorILNS1_17partition_subalgoE0EiNS0_10empty_typeEbEEZZNS1_14partition_implILS5_0ELb0ES3_jN6thrust23THRUST_200600_302600_NS6detail15normal_iteratorINSA_10device_ptrIiEEEEPS6_SG_NS0_5tupleIJNSA_16discard_iteratorINSA_11use_defaultEEESK_EEENSH_IJSG_SG_EEES6_PlJ7is_evenIiEEEE10hipError_tPvRmT3_T4_T5_T6_T7_T9_mT8_P12ihipStream_tbDpT10_ENKUlT_T0_E_clISt17integral_constantIbLb0EES18_IbLb1EEEEDaS14_S15_EUlS14_E_NS1_11comp_targetILNS1_3genE0ELNS1_11target_archE4294967295ELNS1_3gpuE0ELNS1_3repE0EEENS1_30default_config_static_selectorELNS0_4arch9wavefront6targetE1EEEvT1_
		.amdhsa_group_segment_fixed_size 0
		.amdhsa_private_segment_fixed_size 0
		.amdhsa_kernarg_size 152
		.amdhsa_user_sgpr_count 6
		.amdhsa_user_sgpr_private_segment_buffer 1
		.amdhsa_user_sgpr_dispatch_ptr 0
		.amdhsa_user_sgpr_queue_ptr 0
		.amdhsa_user_sgpr_kernarg_segment_ptr 1
		.amdhsa_user_sgpr_dispatch_id 0
		.amdhsa_user_sgpr_flat_scratch_init 0
		.amdhsa_user_sgpr_kernarg_preload_length 0
		.amdhsa_user_sgpr_kernarg_preload_offset 0
		.amdhsa_user_sgpr_private_segment_size 0
		.amdhsa_uses_dynamic_stack 0
		.amdhsa_system_sgpr_private_segment_wavefront_offset 0
		.amdhsa_system_sgpr_workgroup_id_x 1
		.amdhsa_system_sgpr_workgroup_id_y 0
		.amdhsa_system_sgpr_workgroup_id_z 0
		.amdhsa_system_sgpr_workgroup_info 0
		.amdhsa_system_vgpr_workitem_id 0
		.amdhsa_next_free_vgpr 1
		.amdhsa_next_free_sgpr 0
		.amdhsa_accum_offset 4
		.amdhsa_reserve_vcc 0
		.amdhsa_reserve_flat_scratch 0
		.amdhsa_float_round_mode_32 0
		.amdhsa_float_round_mode_16_64 0
		.amdhsa_float_denorm_mode_32 3
		.amdhsa_float_denorm_mode_16_64 3
		.amdhsa_dx10_clamp 1
		.amdhsa_ieee_mode 1
		.amdhsa_fp16_overflow 0
		.amdhsa_tg_split 0
		.amdhsa_exception_fp_ieee_invalid_op 0
		.amdhsa_exception_fp_denorm_src 0
		.amdhsa_exception_fp_ieee_div_zero 0
		.amdhsa_exception_fp_ieee_overflow 0
		.amdhsa_exception_fp_ieee_underflow 0
		.amdhsa_exception_fp_ieee_inexact 0
		.amdhsa_exception_int_div_zero 0
	.end_amdhsa_kernel
	.section	.text._ZN7rocprim17ROCPRIM_400000_NS6detail17trampoline_kernelINS0_14default_configENS1_25partition_config_selectorILNS1_17partition_subalgoE0EiNS0_10empty_typeEbEEZZNS1_14partition_implILS5_0ELb0ES3_jN6thrust23THRUST_200600_302600_NS6detail15normal_iteratorINSA_10device_ptrIiEEEEPS6_SG_NS0_5tupleIJNSA_16discard_iteratorINSA_11use_defaultEEESK_EEENSH_IJSG_SG_EEES6_PlJ7is_evenIiEEEE10hipError_tPvRmT3_T4_T5_T6_T7_T9_mT8_P12ihipStream_tbDpT10_ENKUlT_T0_E_clISt17integral_constantIbLb0EES18_IbLb1EEEEDaS14_S15_EUlS14_E_NS1_11comp_targetILNS1_3genE0ELNS1_11target_archE4294967295ELNS1_3gpuE0ELNS1_3repE0EEENS1_30default_config_static_selectorELNS0_4arch9wavefront6targetE1EEEvT1_,"axG",@progbits,_ZN7rocprim17ROCPRIM_400000_NS6detail17trampoline_kernelINS0_14default_configENS1_25partition_config_selectorILNS1_17partition_subalgoE0EiNS0_10empty_typeEbEEZZNS1_14partition_implILS5_0ELb0ES3_jN6thrust23THRUST_200600_302600_NS6detail15normal_iteratorINSA_10device_ptrIiEEEEPS6_SG_NS0_5tupleIJNSA_16discard_iteratorINSA_11use_defaultEEESK_EEENSH_IJSG_SG_EEES6_PlJ7is_evenIiEEEE10hipError_tPvRmT3_T4_T5_T6_T7_T9_mT8_P12ihipStream_tbDpT10_ENKUlT_T0_E_clISt17integral_constantIbLb0EES18_IbLb1EEEEDaS14_S15_EUlS14_E_NS1_11comp_targetILNS1_3genE0ELNS1_11target_archE4294967295ELNS1_3gpuE0ELNS1_3repE0EEENS1_30default_config_static_selectorELNS0_4arch9wavefront6targetE1EEEvT1_,comdat
.Lfunc_end2707:
	.size	_ZN7rocprim17ROCPRIM_400000_NS6detail17trampoline_kernelINS0_14default_configENS1_25partition_config_selectorILNS1_17partition_subalgoE0EiNS0_10empty_typeEbEEZZNS1_14partition_implILS5_0ELb0ES3_jN6thrust23THRUST_200600_302600_NS6detail15normal_iteratorINSA_10device_ptrIiEEEEPS6_SG_NS0_5tupleIJNSA_16discard_iteratorINSA_11use_defaultEEESK_EEENSH_IJSG_SG_EEES6_PlJ7is_evenIiEEEE10hipError_tPvRmT3_T4_T5_T6_T7_T9_mT8_P12ihipStream_tbDpT10_ENKUlT_T0_E_clISt17integral_constantIbLb0EES18_IbLb1EEEEDaS14_S15_EUlS14_E_NS1_11comp_targetILNS1_3genE0ELNS1_11target_archE4294967295ELNS1_3gpuE0ELNS1_3repE0EEENS1_30default_config_static_selectorELNS0_4arch9wavefront6targetE1EEEvT1_, .Lfunc_end2707-_ZN7rocprim17ROCPRIM_400000_NS6detail17trampoline_kernelINS0_14default_configENS1_25partition_config_selectorILNS1_17partition_subalgoE0EiNS0_10empty_typeEbEEZZNS1_14partition_implILS5_0ELb0ES3_jN6thrust23THRUST_200600_302600_NS6detail15normal_iteratorINSA_10device_ptrIiEEEEPS6_SG_NS0_5tupleIJNSA_16discard_iteratorINSA_11use_defaultEEESK_EEENSH_IJSG_SG_EEES6_PlJ7is_evenIiEEEE10hipError_tPvRmT3_T4_T5_T6_T7_T9_mT8_P12ihipStream_tbDpT10_ENKUlT_T0_E_clISt17integral_constantIbLb0EES18_IbLb1EEEEDaS14_S15_EUlS14_E_NS1_11comp_targetILNS1_3genE0ELNS1_11target_archE4294967295ELNS1_3gpuE0ELNS1_3repE0EEENS1_30default_config_static_selectorELNS0_4arch9wavefront6targetE1EEEvT1_
                                        ; -- End function
	.section	.AMDGPU.csdata,"",@progbits
; Kernel info:
; codeLenInByte = 0
; NumSgprs: 4
; NumVgprs: 0
; NumAgprs: 0
; TotalNumVgprs: 0
; ScratchSize: 0
; MemoryBound: 0
; FloatMode: 240
; IeeeMode: 1
; LDSByteSize: 0 bytes/workgroup (compile time only)
; SGPRBlocks: 0
; VGPRBlocks: 0
; NumSGPRsForWavesPerEU: 4
; NumVGPRsForWavesPerEU: 1
; AccumOffset: 4
; Occupancy: 8
; WaveLimiterHint : 0
; COMPUTE_PGM_RSRC2:SCRATCH_EN: 0
; COMPUTE_PGM_RSRC2:USER_SGPR: 6
; COMPUTE_PGM_RSRC2:TRAP_HANDLER: 0
; COMPUTE_PGM_RSRC2:TGID_X_EN: 1
; COMPUTE_PGM_RSRC2:TGID_Y_EN: 0
; COMPUTE_PGM_RSRC2:TGID_Z_EN: 0
; COMPUTE_PGM_RSRC2:TIDIG_COMP_CNT: 0
; COMPUTE_PGM_RSRC3_GFX90A:ACCUM_OFFSET: 0
; COMPUTE_PGM_RSRC3_GFX90A:TG_SPLIT: 0
	.section	.text._ZN7rocprim17ROCPRIM_400000_NS6detail17trampoline_kernelINS0_14default_configENS1_25partition_config_selectorILNS1_17partition_subalgoE0EiNS0_10empty_typeEbEEZZNS1_14partition_implILS5_0ELb0ES3_jN6thrust23THRUST_200600_302600_NS6detail15normal_iteratorINSA_10device_ptrIiEEEEPS6_SG_NS0_5tupleIJNSA_16discard_iteratorINSA_11use_defaultEEESK_EEENSH_IJSG_SG_EEES6_PlJ7is_evenIiEEEE10hipError_tPvRmT3_T4_T5_T6_T7_T9_mT8_P12ihipStream_tbDpT10_ENKUlT_T0_E_clISt17integral_constantIbLb0EES18_IbLb1EEEEDaS14_S15_EUlS14_E_NS1_11comp_targetILNS1_3genE5ELNS1_11target_archE942ELNS1_3gpuE9ELNS1_3repE0EEENS1_30default_config_static_selectorELNS0_4arch9wavefront6targetE1EEEvT1_,"axG",@progbits,_ZN7rocprim17ROCPRIM_400000_NS6detail17trampoline_kernelINS0_14default_configENS1_25partition_config_selectorILNS1_17partition_subalgoE0EiNS0_10empty_typeEbEEZZNS1_14partition_implILS5_0ELb0ES3_jN6thrust23THRUST_200600_302600_NS6detail15normal_iteratorINSA_10device_ptrIiEEEEPS6_SG_NS0_5tupleIJNSA_16discard_iteratorINSA_11use_defaultEEESK_EEENSH_IJSG_SG_EEES6_PlJ7is_evenIiEEEE10hipError_tPvRmT3_T4_T5_T6_T7_T9_mT8_P12ihipStream_tbDpT10_ENKUlT_T0_E_clISt17integral_constantIbLb0EES18_IbLb1EEEEDaS14_S15_EUlS14_E_NS1_11comp_targetILNS1_3genE5ELNS1_11target_archE942ELNS1_3gpuE9ELNS1_3repE0EEENS1_30default_config_static_selectorELNS0_4arch9wavefront6targetE1EEEvT1_,comdat
	.protected	_ZN7rocprim17ROCPRIM_400000_NS6detail17trampoline_kernelINS0_14default_configENS1_25partition_config_selectorILNS1_17partition_subalgoE0EiNS0_10empty_typeEbEEZZNS1_14partition_implILS5_0ELb0ES3_jN6thrust23THRUST_200600_302600_NS6detail15normal_iteratorINSA_10device_ptrIiEEEEPS6_SG_NS0_5tupleIJNSA_16discard_iteratorINSA_11use_defaultEEESK_EEENSH_IJSG_SG_EEES6_PlJ7is_evenIiEEEE10hipError_tPvRmT3_T4_T5_T6_T7_T9_mT8_P12ihipStream_tbDpT10_ENKUlT_T0_E_clISt17integral_constantIbLb0EES18_IbLb1EEEEDaS14_S15_EUlS14_E_NS1_11comp_targetILNS1_3genE5ELNS1_11target_archE942ELNS1_3gpuE9ELNS1_3repE0EEENS1_30default_config_static_selectorELNS0_4arch9wavefront6targetE1EEEvT1_ ; -- Begin function _ZN7rocprim17ROCPRIM_400000_NS6detail17trampoline_kernelINS0_14default_configENS1_25partition_config_selectorILNS1_17partition_subalgoE0EiNS0_10empty_typeEbEEZZNS1_14partition_implILS5_0ELb0ES3_jN6thrust23THRUST_200600_302600_NS6detail15normal_iteratorINSA_10device_ptrIiEEEEPS6_SG_NS0_5tupleIJNSA_16discard_iteratorINSA_11use_defaultEEESK_EEENSH_IJSG_SG_EEES6_PlJ7is_evenIiEEEE10hipError_tPvRmT3_T4_T5_T6_T7_T9_mT8_P12ihipStream_tbDpT10_ENKUlT_T0_E_clISt17integral_constantIbLb0EES18_IbLb1EEEEDaS14_S15_EUlS14_E_NS1_11comp_targetILNS1_3genE5ELNS1_11target_archE942ELNS1_3gpuE9ELNS1_3repE0EEENS1_30default_config_static_selectorELNS0_4arch9wavefront6targetE1EEEvT1_
	.globl	_ZN7rocprim17ROCPRIM_400000_NS6detail17trampoline_kernelINS0_14default_configENS1_25partition_config_selectorILNS1_17partition_subalgoE0EiNS0_10empty_typeEbEEZZNS1_14partition_implILS5_0ELb0ES3_jN6thrust23THRUST_200600_302600_NS6detail15normal_iteratorINSA_10device_ptrIiEEEEPS6_SG_NS0_5tupleIJNSA_16discard_iteratorINSA_11use_defaultEEESK_EEENSH_IJSG_SG_EEES6_PlJ7is_evenIiEEEE10hipError_tPvRmT3_T4_T5_T6_T7_T9_mT8_P12ihipStream_tbDpT10_ENKUlT_T0_E_clISt17integral_constantIbLb0EES18_IbLb1EEEEDaS14_S15_EUlS14_E_NS1_11comp_targetILNS1_3genE5ELNS1_11target_archE942ELNS1_3gpuE9ELNS1_3repE0EEENS1_30default_config_static_selectorELNS0_4arch9wavefront6targetE1EEEvT1_
	.p2align	8
	.type	_ZN7rocprim17ROCPRIM_400000_NS6detail17trampoline_kernelINS0_14default_configENS1_25partition_config_selectorILNS1_17partition_subalgoE0EiNS0_10empty_typeEbEEZZNS1_14partition_implILS5_0ELb0ES3_jN6thrust23THRUST_200600_302600_NS6detail15normal_iteratorINSA_10device_ptrIiEEEEPS6_SG_NS0_5tupleIJNSA_16discard_iteratorINSA_11use_defaultEEESK_EEENSH_IJSG_SG_EEES6_PlJ7is_evenIiEEEE10hipError_tPvRmT3_T4_T5_T6_T7_T9_mT8_P12ihipStream_tbDpT10_ENKUlT_T0_E_clISt17integral_constantIbLb0EES18_IbLb1EEEEDaS14_S15_EUlS14_E_NS1_11comp_targetILNS1_3genE5ELNS1_11target_archE942ELNS1_3gpuE9ELNS1_3repE0EEENS1_30default_config_static_selectorELNS0_4arch9wavefront6targetE1EEEvT1_,@function
_ZN7rocprim17ROCPRIM_400000_NS6detail17trampoline_kernelINS0_14default_configENS1_25partition_config_selectorILNS1_17partition_subalgoE0EiNS0_10empty_typeEbEEZZNS1_14partition_implILS5_0ELb0ES3_jN6thrust23THRUST_200600_302600_NS6detail15normal_iteratorINSA_10device_ptrIiEEEEPS6_SG_NS0_5tupleIJNSA_16discard_iteratorINSA_11use_defaultEEESK_EEENSH_IJSG_SG_EEES6_PlJ7is_evenIiEEEE10hipError_tPvRmT3_T4_T5_T6_T7_T9_mT8_P12ihipStream_tbDpT10_ENKUlT_T0_E_clISt17integral_constantIbLb0EES18_IbLb1EEEEDaS14_S15_EUlS14_E_NS1_11comp_targetILNS1_3genE5ELNS1_11target_archE942ELNS1_3gpuE9ELNS1_3repE0EEENS1_30default_config_static_selectorELNS0_4arch9wavefront6targetE1EEEvT1_: ; @_ZN7rocprim17ROCPRIM_400000_NS6detail17trampoline_kernelINS0_14default_configENS1_25partition_config_selectorILNS1_17partition_subalgoE0EiNS0_10empty_typeEbEEZZNS1_14partition_implILS5_0ELb0ES3_jN6thrust23THRUST_200600_302600_NS6detail15normal_iteratorINSA_10device_ptrIiEEEEPS6_SG_NS0_5tupleIJNSA_16discard_iteratorINSA_11use_defaultEEESK_EEENSH_IJSG_SG_EEES6_PlJ7is_evenIiEEEE10hipError_tPvRmT3_T4_T5_T6_T7_T9_mT8_P12ihipStream_tbDpT10_ENKUlT_T0_E_clISt17integral_constantIbLb0EES18_IbLb1EEEEDaS14_S15_EUlS14_E_NS1_11comp_targetILNS1_3genE5ELNS1_11target_archE942ELNS1_3gpuE9ELNS1_3repE0EEENS1_30default_config_static_selectorELNS0_4arch9wavefront6targetE1EEEvT1_
; %bb.0:
	.section	.rodata,"a",@progbits
	.p2align	6, 0x0
	.amdhsa_kernel _ZN7rocprim17ROCPRIM_400000_NS6detail17trampoline_kernelINS0_14default_configENS1_25partition_config_selectorILNS1_17partition_subalgoE0EiNS0_10empty_typeEbEEZZNS1_14partition_implILS5_0ELb0ES3_jN6thrust23THRUST_200600_302600_NS6detail15normal_iteratorINSA_10device_ptrIiEEEEPS6_SG_NS0_5tupleIJNSA_16discard_iteratorINSA_11use_defaultEEESK_EEENSH_IJSG_SG_EEES6_PlJ7is_evenIiEEEE10hipError_tPvRmT3_T4_T5_T6_T7_T9_mT8_P12ihipStream_tbDpT10_ENKUlT_T0_E_clISt17integral_constantIbLb0EES18_IbLb1EEEEDaS14_S15_EUlS14_E_NS1_11comp_targetILNS1_3genE5ELNS1_11target_archE942ELNS1_3gpuE9ELNS1_3repE0EEENS1_30default_config_static_selectorELNS0_4arch9wavefront6targetE1EEEvT1_
		.amdhsa_group_segment_fixed_size 0
		.amdhsa_private_segment_fixed_size 0
		.amdhsa_kernarg_size 152
		.amdhsa_user_sgpr_count 6
		.amdhsa_user_sgpr_private_segment_buffer 1
		.amdhsa_user_sgpr_dispatch_ptr 0
		.amdhsa_user_sgpr_queue_ptr 0
		.amdhsa_user_sgpr_kernarg_segment_ptr 1
		.amdhsa_user_sgpr_dispatch_id 0
		.amdhsa_user_sgpr_flat_scratch_init 0
		.amdhsa_user_sgpr_kernarg_preload_length 0
		.amdhsa_user_sgpr_kernarg_preload_offset 0
		.amdhsa_user_sgpr_private_segment_size 0
		.amdhsa_uses_dynamic_stack 0
		.amdhsa_system_sgpr_private_segment_wavefront_offset 0
		.amdhsa_system_sgpr_workgroup_id_x 1
		.amdhsa_system_sgpr_workgroup_id_y 0
		.amdhsa_system_sgpr_workgroup_id_z 0
		.amdhsa_system_sgpr_workgroup_info 0
		.amdhsa_system_vgpr_workitem_id 0
		.amdhsa_next_free_vgpr 1
		.amdhsa_next_free_sgpr 0
		.amdhsa_accum_offset 4
		.amdhsa_reserve_vcc 0
		.amdhsa_reserve_flat_scratch 0
		.amdhsa_float_round_mode_32 0
		.amdhsa_float_round_mode_16_64 0
		.amdhsa_float_denorm_mode_32 3
		.amdhsa_float_denorm_mode_16_64 3
		.amdhsa_dx10_clamp 1
		.amdhsa_ieee_mode 1
		.amdhsa_fp16_overflow 0
		.amdhsa_tg_split 0
		.amdhsa_exception_fp_ieee_invalid_op 0
		.amdhsa_exception_fp_denorm_src 0
		.amdhsa_exception_fp_ieee_div_zero 0
		.amdhsa_exception_fp_ieee_overflow 0
		.amdhsa_exception_fp_ieee_underflow 0
		.amdhsa_exception_fp_ieee_inexact 0
		.amdhsa_exception_int_div_zero 0
	.end_amdhsa_kernel
	.section	.text._ZN7rocprim17ROCPRIM_400000_NS6detail17trampoline_kernelINS0_14default_configENS1_25partition_config_selectorILNS1_17partition_subalgoE0EiNS0_10empty_typeEbEEZZNS1_14partition_implILS5_0ELb0ES3_jN6thrust23THRUST_200600_302600_NS6detail15normal_iteratorINSA_10device_ptrIiEEEEPS6_SG_NS0_5tupleIJNSA_16discard_iteratorINSA_11use_defaultEEESK_EEENSH_IJSG_SG_EEES6_PlJ7is_evenIiEEEE10hipError_tPvRmT3_T4_T5_T6_T7_T9_mT8_P12ihipStream_tbDpT10_ENKUlT_T0_E_clISt17integral_constantIbLb0EES18_IbLb1EEEEDaS14_S15_EUlS14_E_NS1_11comp_targetILNS1_3genE5ELNS1_11target_archE942ELNS1_3gpuE9ELNS1_3repE0EEENS1_30default_config_static_selectorELNS0_4arch9wavefront6targetE1EEEvT1_,"axG",@progbits,_ZN7rocprim17ROCPRIM_400000_NS6detail17trampoline_kernelINS0_14default_configENS1_25partition_config_selectorILNS1_17partition_subalgoE0EiNS0_10empty_typeEbEEZZNS1_14partition_implILS5_0ELb0ES3_jN6thrust23THRUST_200600_302600_NS6detail15normal_iteratorINSA_10device_ptrIiEEEEPS6_SG_NS0_5tupleIJNSA_16discard_iteratorINSA_11use_defaultEEESK_EEENSH_IJSG_SG_EEES6_PlJ7is_evenIiEEEE10hipError_tPvRmT3_T4_T5_T6_T7_T9_mT8_P12ihipStream_tbDpT10_ENKUlT_T0_E_clISt17integral_constantIbLb0EES18_IbLb1EEEEDaS14_S15_EUlS14_E_NS1_11comp_targetILNS1_3genE5ELNS1_11target_archE942ELNS1_3gpuE9ELNS1_3repE0EEENS1_30default_config_static_selectorELNS0_4arch9wavefront6targetE1EEEvT1_,comdat
.Lfunc_end2708:
	.size	_ZN7rocprim17ROCPRIM_400000_NS6detail17trampoline_kernelINS0_14default_configENS1_25partition_config_selectorILNS1_17partition_subalgoE0EiNS0_10empty_typeEbEEZZNS1_14partition_implILS5_0ELb0ES3_jN6thrust23THRUST_200600_302600_NS6detail15normal_iteratorINSA_10device_ptrIiEEEEPS6_SG_NS0_5tupleIJNSA_16discard_iteratorINSA_11use_defaultEEESK_EEENSH_IJSG_SG_EEES6_PlJ7is_evenIiEEEE10hipError_tPvRmT3_T4_T5_T6_T7_T9_mT8_P12ihipStream_tbDpT10_ENKUlT_T0_E_clISt17integral_constantIbLb0EES18_IbLb1EEEEDaS14_S15_EUlS14_E_NS1_11comp_targetILNS1_3genE5ELNS1_11target_archE942ELNS1_3gpuE9ELNS1_3repE0EEENS1_30default_config_static_selectorELNS0_4arch9wavefront6targetE1EEEvT1_, .Lfunc_end2708-_ZN7rocprim17ROCPRIM_400000_NS6detail17trampoline_kernelINS0_14default_configENS1_25partition_config_selectorILNS1_17partition_subalgoE0EiNS0_10empty_typeEbEEZZNS1_14partition_implILS5_0ELb0ES3_jN6thrust23THRUST_200600_302600_NS6detail15normal_iteratorINSA_10device_ptrIiEEEEPS6_SG_NS0_5tupleIJNSA_16discard_iteratorINSA_11use_defaultEEESK_EEENSH_IJSG_SG_EEES6_PlJ7is_evenIiEEEE10hipError_tPvRmT3_T4_T5_T6_T7_T9_mT8_P12ihipStream_tbDpT10_ENKUlT_T0_E_clISt17integral_constantIbLb0EES18_IbLb1EEEEDaS14_S15_EUlS14_E_NS1_11comp_targetILNS1_3genE5ELNS1_11target_archE942ELNS1_3gpuE9ELNS1_3repE0EEENS1_30default_config_static_selectorELNS0_4arch9wavefront6targetE1EEEvT1_
                                        ; -- End function
	.section	.AMDGPU.csdata,"",@progbits
; Kernel info:
; codeLenInByte = 0
; NumSgprs: 4
; NumVgprs: 0
; NumAgprs: 0
; TotalNumVgprs: 0
; ScratchSize: 0
; MemoryBound: 0
; FloatMode: 240
; IeeeMode: 1
; LDSByteSize: 0 bytes/workgroup (compile time only)
; SGPRBlocks: 0
; VGPRBlocks: 0
; NumSGPRsForWavesPerEU: 4
; NumVGPRsForWavesPerEU: 1
; AccumOffset: 4
; Occupancy: 8
; WaveLimiterHint : 0
; COMPUTE_PGM_RSRC2:SCRATCH_EN: 0
; COMPUTE_PGM_RSRC2:USER_SGPR: 6
; COMPUTE_PGM_RSRC2:TRAP_HANDLER: 0
; COMPUTE_PGM_RSRC2:TGID_X_EN: 1
; COMPUTE_PGM_RSRC2:TGID_Y_EN: 0
; COMPUTE_PGM_RSRC2:TGID_Z_EN: 0
; COMPUTE_PGM_RSRC2:TIDIG_COMP_CNT: 0
; COMPUTE_PGM_RSRC3_GFX90A:ACCUM_OFFSET: 0
; COMPUTE_PGM_RSRC3_GFX90A:TG_SPLIT: 0
	.section	.text._ZN7rocprim17ROCPRIM_400000_NS6detail17trampoline_kernelINS0_14default_configENS1_25partition_config_selectorILNS1_17partition_subalgoE0EiNS0_10empty_typeEbEEZZNS1_14partition_implILS5_0ELb0ES3_jN6thrust23THRUST_200600_302600_NS6detail15normal_iteratorINSA_10device_ptrIiEEEEPS6_SG_NS0_5tupleIJNSA_16discard_iteratorINSA_11use_defaultEEESK_EEENSH_IJSG_SG_EEES6_PlJ7is_evenIiEEEE10hipError_tPvRmT3_T4_T5_T6_T7_T9_mT8_P12ihipStream_tbDpT10_ENKUlT_T0_E_clISt17integral_constantIbLb0EES18_IbLb1EEEEDaS14_S15_EUlS14_E_NS1_11comp_targetILNS1_3genE4ELNS1_11target_archE910ELNS1_3gpuE8ELNS1_3repE0EEENS1_30default_config_static_selectorELNS0_4arch9wavefront6targetE1EEEvT1_,"axG",@progbits,_ZN7rocprim17ROCPRIM_400000_NS6detail17trampoline_kernelINS0_14default_configENS1_25partition_config_selectorILNS1_17partition_subalgoE0EiNS0_10empty_typeEbEEZZNS1_14partition_implILS5_0ELb0ES3_jN6thrust23THRUST_200600_302600_NS6detail15normal_iteratorINSA_10device_ptrIiEEEEPS6_SG_NS0_5tupleIJNSA_16discard_iteratorINSA_11use_defaultEEESK_EEENSH_IJSG_SG_EEES6_PlJ7is_evenIiEEEE10hipError_tPvRmT3_T4_T5_T6_T7_T9_mT8_P12ihipStream_tbDpT10_ENKUlT_T0_E_clISt17integral_constantIbLb0EES18_IbLb1EEEEDaS14_S15_EUlS14_E_NS1_11comp_targetILNS1_3genE4ELNS1_11target_archE910ELNS1_3gpuE8ELNS1_3repE0EEENS1_30default_config_static_selectorELNS0_4arch9wavefront6targetE1EEEvT1_,comdat
	.protected	_ZN7rocprim17ROCPRIM_400000_NS6detail17trampoline_kernelINS0_14default_configENS1_25partition_config_selectorILNS1_17partition_subalgoE0EiNS0_10empty_typeEbEEZZNS1_14partition_implILS5_0ELb0ES3_jN6thrust23THRUST_200600_302600_NS6detail15normal_iteratorINSA_10device_ptrIiEEEEPS6_SG_NS0_5tupleIJNSA_16discard_iteratorINSA_11use_defaultEEESK_EEENSH_IJSG_SG_EEES6_PlJ7is_evenIiEEEE10hipError_tPvRmT3_T4_T5_T6_T7_T9_mT8_P12ihipStream_tbDpT10_ENKUlT_T0_E_clISt17integral_constantIbLb0EES18_IbLb1EEEEDaS14_S15_EUlS14_E_NS1_11comp_targetILNS1_3genE4ELNS1_11target_archE910ELNS1_3gpuE8ELNS1_3repE0EEENS1_30default_config_static_selectorELNS0_4arch9wavefront6targetE1EEEvT1_ ; -- Begin function _ZN7rocprim17ROCPRIM_400000_NS6detail17trampoline_kernelINS0_14default_configENS1_25partition_config_selectorILNS1_17partition_subalgoE0EiNS0_10empty_typeEbEEZZNS1_14partition_implILS5_0ELb0ES3_jN6thrust23THRUST_200600_302600_NS6detail15normal_iteratorINSA_10device_ptrIiEEEEPS6_SG_NS0_5tupleIJNSA_16discard_iteratorINSA_11use_defaultEEESK_EEENSH_IJSG_SG_EEES6_PlJ7is_evenIiEEEE10hipError_tPvRmT3_T4_T5_T6_T7_T9_mT8_P12ihipStream_tbDpT10_ENKUlT_T0_E_clISt17integral_constantIbLb0EES18_IbLb1EEEEDaS14_S15_EUlS14_E_NS1_11comp_targetILNS1_3genE4ELNS1_11target_archE910ELNS1_3gpuE8ELNS1_3repE0EEENS1_30default_config_static_selectorELNS0_4arch9wavefront6targetE1EEEvT1_
	.globl	_ZN7rocprim17ROCPRIM_400000_NS6detail17trampoline_kernelINS0_14default_configENS1_25partition_config_selectorILNS1_17partition_subalgoE0EiNS0_10empty_typeEbEEZZNS1_14partition_implILS5_0ELb0ES3_jN6thrust23THRUST_200600_302600_NS6detail15normal_iteratorINSA_10device_ptrIiEEEEPS6_SG_NS0_5tupleIJNSA_16discard_iteratorINSA_11use_defaultEEESK_EEENSH_IJSG_SG_EEES6_PlJ7is_evenIiEEEE10hipError_tPvRmT3_T4_T5_T6_T7_T9_mT8_P12ihipStream_tbDpT10_ENKUlT_T0_E_clISt17integral_constantIbLb0EES18_IbLb1EEEEDaS14_S15_EUlS14_E_NS1_11comp_targetILNS1_3genE4ELNS1_11target_archE910ELNS1_3gpuE8ELNS1_3repE0EEENS1_30default_config_static_selectorELNS0_4arch9wavefront6targetE1EEEvT1_
	.p2align	8
	.type	_ZN7rocprim17ROCPRIM_400000_NS6detail17trampoline_kernelINS0_14default_configENS1_25partition_config_selectorILNS1_17partition_subalgoE0EiNS0_10empty_typeEbEEZZNS1_14partition_implILS5_0ELb0ES3_jN6thrust23THRUST_200600_302600_NS6detail15normal_iteratorINSA_10device_ptrIiEEEEPS6_SG_NS0_5tupleIJNSA_16discard_iteratorINSA_11use_defaultEEESK_EEENSH_IJSG_SG_EEES6_PlJ7is_evenIiEEEE10hipError_tPvRmT3_T4_T5_T6_T7_T9_mT8_P12ihipStream_tbDpT10_ENKUlT_T0_E_clISt17integral_constantIbLb0EES18_IbLb1EEEEDaS14_S15_EUlS14_E_NS1_11comp_targetILNS1_3genE4ELNS1_11target_archE910ELNS1_3gpuE8ELNS1_3repE0EEENS1_30default_config_static_selectorELNS0_4arch9wavefront6targetE1EEEvT1_,@function
_ZN7rocprim17ROCPRIM_400000_NS6detail17trampoline_kernelINS0_14default_configENS1_25partition_config_selectorILNS1_17partition_subalgoE0EiNS0_10empty_typeEbEEZZNS1_14partition_implILS5_0ELb0ES3_jN6thrust23THRUST_200600_302600_NS6detail15normal_iteratorINSA_10device_ptrIiEEEEPS6_SG_NS0_5tupleIJNSA_16discard_iteratorINSA_11use_defaultEEESK_EEENSH_IJSG_SG_EEES6_PlJ7is_evenIiEEEE10hipError_tPvRmT3_T4_T5_T6_T7_T9_mT8_P12ihipStream_tbDpT10_ENKUlT_T0_E_clISt17integral_constantIbLb0EES18_IbLb1EEEEDaS14_S15_EUlS14_E_NS1_11comp_targetILNS1_3genE4ELNS1_11target_archE910ELNS1_3gpuE8ELNS1_3repE0EEENS1_30default_config_static_selectorELNS0_4arch9wavefront6targetE1EEEvT1_: ; @_ZN7rocprim17ROCPRIM_400000_NS6detail17trampoline_kernelINS0_14default_configENS1_25partition_config_selectorILNS1_17partition_subalgoE0EiNS0_10empty_typeEbEEZZNS1_14partition_implILS5_0ELb0ES3_jN6thrust23THRUST_200600_302600_NS6detail15normal_iteratorINSA_10device_ptrIiEEEEPS6_SG_NS0_5tupleIJNSA_16discard_iteratorINSA_11use_defaultEEESK_EEENSH_IJSG_SG_EEES6_PlJ7is_evenIiEEEE10hipError_tPvRmT3_T4_T5_T6_T7_T9_mT8_P12ihipStream_tbDpT10_ENKUlT_T0_E_clISt17integral_constantIbLb0EES18_IbLb1EEEEDaS14_S15_EUlS14_E_NS1_11comp_targetILNS1_3genE4ELNS1_11target_archE910ELNS1_3gpuE8ELNS1_3repE0EEENS1_30default_config_static_selectorELNS0_4arch9wavefront6targetE1EEEvT1_
; %bb.0:
	s_load_dwordx2 s[2:3], s[4:5], 0x68
	s_load_dwordx4 s[20:23], s[4:5], 0x58
	s_load_dwordx2 s[24:25], s[4:5], 0x78
	v_cmp_eq_u32_e64 s[0:1], 0, v0
	s_and_saveexec_b64 s[6:7], s[0:1]
	s_cbranch_execz .LBB2709_4
; %bb.1:
	s_mov_b64 s[10:11], exec
	v_mbcnt_lo_u32_b32 v1, s10, 0
	v_mbcnt_hi_u32_b32 v1, s11, v1
	v_cmp_eq_u32_e32 vcc, 0, v1
                                        ; implicit-def: $vgpr2
	s_and_saveexec_b64 s[8:9], vcc
	s_cbranch_execz .LBB2709_3
; %bb.2:
	s_load_dwordx2 s[12:13], s[4:5], 0x88
	s_bcnt1_i32_b64 s10, s[10:11]
	v_mov_b32_e32 v2, 0
	v_mov_b32_e32 v3, s10
	s_waitcnt lgkmcnt(0)
	global_atomic_add v2, v2, v3, s[12:13] glc
.LBB2709_3:
	s_or_b64 exec, exec, s[8:9]
	s_waitcnt vmcnt(0)
	v_readfirstlane_b32 s8, v2
	v_add_u32_e32 v1, s8, v1
	v_mov_b32_e32 v2, 0
	ds_write_b32 v2, v1
.LBB2709_4:
	s_or_b64 exec, exec, s[6:7]
	v_mov_b32_e32 v3, 0
	s_load_dwordx4 s[8:11], s[4:5], 0x8
	s_load_dword s6, s[4:5], 0x80
	s_waitcnt lgkmcnt(0)
	s_barrier
	ds_read_b32 v1, v3
	s_waitcnt lgkmcnt(0)
	s_barrier
	global_load_dwordx2 v[12:13], v3, s[22:23]
	v_mov_b32_e32 v5, s3
	s_lshl_b64 s[4:5], s[10:11], 2
	s_movk_i32 s3, 0xa00
	s_add_u32 s4, s8, s4
	v_mul_lo_u32 v2, v1, s3
	s_mul_i32 s3, s6, 0xa00
	s_addc_u32 s5, s9, s5
	s_add_i32 s7, s6, -1
	s_add_i32 s6, s3, s10
	s_sub_i32 s6, s2, s6
	v_mov_b32_e32 v4, s2
	s_add_u32 s2, s10, s3
	v_readfirstlane_b32 s30, v1
	s_addc_u32 s3, s11, 0
	s_cmp_eq_u32 s30, s7
	s_cselect_b64 s[18:19], -1, 0
	s_cmp_lg_u32 s30, s7
	v_cmp_lt_u64_e32 vcc, s[2:3], v[4:5]
	s_cselect_b64 s[2:3], -1, 0
	v_lshlrev_b64 v[2:3], 2, v[2:3]
	s_or_b64 s[2:3], vcc, s[2:3]
	v_mov_b32_e32 v4, s5
	v_add_co_u32_e32 v1, vcc, s4, v2
	v_addc_co_u32_e32 v14, vcc, v4, v3, vcc
	s_mov_b64 s[4:5], -1
	s_and_b64 vcc, exec, s[2:3]
	s_cbranch_vccz .LBB2709_6
; %bb.5:
	v_lshlrev_b32_e32 v6, 2, v0
	v_add_co_u32_e32 v2, vcc, v1, v6
	v_addc_co_u32_e32 v3, vcc, 0, v14, vcc
	v_add_co_u32_e32 v4, vcc, 0x1000, v2
	v_addc_co_u32_e32 v5, vcc, 0, v3, vcc
	flat_load_dword v7, v[2:3]
	flat_load_dword v8, v[2:3] offset:1024
	flat_load_dword v9, v[2:3] offset:2048
	;; [unrolled: 1-line block ×3, first 2 shown]
	flat_load_dword v11, v[4:5]
	flat_load_dword v15, v[4:5] offset:1024
	flat_load_dword v16, v[4:5] offset:2048
	;; [unrolled: 1-line block ×3, first 2 shown]
	v_add_co_u32_e32 v2, vcc, 0x2000, v2
	v_addc_co_u32_e32 v3, vcc, 0, v3, vcc
	flat_load_dword v4, v[2:3]
	flat_load_dword v5, v[2:3] offset:1024
	s_mov_b64 s[4:5], 0
	s_waitcnt vmcnt(0) lgkmcnt(0)
	ds_write2st64_b32 v6, v7, v8 offset1:4
	ds_write2st64_b32 v6, v9, v10 offset0:8 offset1:12
	ds_write2st64_b32 v6, v11, v15 offset0:16 offset1:20
	;; [unrolled: 1-line block ×4, first 2 shown]
	s_waitcnt lgkmcnt(0)
	s_barrier
.LBB2709_6:
	s_andn2_b64 vcc, exec, s[4:5]
	s_addk_i32 s6, 0xa00
	s_cbranch_vccnz .LBB2709_28
; %bb.7:
	v_cmp_gt_u32_e32 vcc, s6, v0
                                        ; implicit-def: $vgpr2_vgpr3_vgpr4_vgpr5_vgpr6_vgpr7_vgpr8_vgpr9_vgpr10_vgpr11
	s_and_saveexec_b64 s[4:5], vcc
	s_cbranch_execz .LBB2709_9
; %bb.8:
	v_lshlrev_b32_e32 v2, 2, v0
	v_add_co_u32_e32 v2, vcc, v1, v2
	v_addc_co_u32_e32 v3, vcc, 0, v14, vcc
	flat_load_dword v2, v[2:3]
.LBB2709_9:
	s_or_b64 exec, exec, s[4:5]
	v_or_b32_e32 v15, 0x100, v0
	v_cmp_gt_u32_e32 vcc, s6, v15
	s_and_saveexec_b64 s[4:5], vcc
	s_cbranch_execz .LBB2709_11
; %bb.10:
	v_lshlrev_b32_e32 v3, 2, v0
	v_add_co_u32_e32 v16, vcc, v1, v3
	v_addc_co_u32_e32 v17, vcc, 0, v14, vcc
	flat_load_dword v3, v[16:17] offset:1024
.LBB2709_11:
	s_or_b64 exec, exec, s[4:5]
	v_or_b32_e32 v15, 0x200, v0
	v_cmp_gt_u32_e32 vcc, s6, v15
	s_and_saveexec_b64 s[4:5], vcc
	s_cbranch_execz .LBB2709_13
; %bb.12:
	v_lshlrev_b32_e32 v4, 2, v0
	v_add_co_u32_e32 v16, vcc, v1, v4
	v_addc_co_u32_e32 v17, vcc, 0, v14, vcc
	flat_load_dword v4, v[16:17] offset:2048
.LBB2709_13:
	;; [unrolled: 11-line block ×3, first 2 shown]
	s_or_b64 exec, exec, s[4:5]
	v_or_b32_e32 v15, 0x400, v0
	v_cmp_gt_u32_e32 vcc, s6, v15
	s_and_saveexec_b64 s[4:5], vcc
	s_cbranch_execz .LBB2709_17
; %bb.16:
	v_lshlrev_b32_e32 v6, 2, v15
	v_add_co_u32_e32 v16, vcc, v1, v6
	v_addc_co_u32_e32 v17, vcc, 0, v14, vcc
	flat_load_dword v6, v[16:17]
.LBB2709_17:
	s_or_b64 exec, exec, s[4:5]
	v_or_b32_e32 v15, 0x500, v0
	v_cmp_gt_u32_e32 vcc, s6, v15
	s_and_saveexec_b64 s[4:5], vcc
	s_cbranch_execz .LBB2709_19
; %bb.18:
	v_lshlrev_b32_e32 v7, 2, v15
	v_add_co_u32_e32 v16, vcc, v1, v7
	v_addc_co_u32_e32 v17, vcc, 0, v14, vcc
	flat_load_dword v7, v[16:17]
.LBB2709_19:
	;; [unrolled: 11-line block ×6, first 2 shown]
	s_or_b64 exec, exec, s[4:5]
	v_lshlrev_b32_e32 v1, 2, v0
	s_waitcnt vmcnt(0) lgkmcnt(0)
	ds_write2st64_b32 v1, v2, v3 offset1:4
	ds_write2st64_b32 v1, v4, v5 offset0:8 offset1:12
	ds_write2st64_b32 v1, v6, v7 offset0:16 offset1:20
	;; [unrolled: 1-line block ×4, first 2 shown]
	s_waitcnt lgkmcnt(0)
	s_barrier
.LBB2709_28:
	v_mul_u32_u24_e32 v24, 10, v0
	v_lshlrev_b32_e32 v30, 2, v24
	ds_read2_b64 v[6:9], v30 offset1:1
	ds_read2_b64 v[2:5], v30 offset0:2 offset1:3
	ds_read_b64 v[10:11], v30 offset:32
	s_andn2_b64 vcc, exec, s[2:3]
	s_waitcnt lgkmcnt(0)
	v_xor_b32_e32 v23, -1, v6
	v_xor_b32_e32 v22, -1, v7
	;; [unrolled: 1-line block ×10, first 2 shown]
	s_barrier
	s_cbranch_vccnz .LBB2709_30
; %bb.29:
	v_mov_b32_e32 v1, 1
	v_and_b32_e32 v26, 1, v23
	v_and_b32_sdwa v27, v22, v1 dst_sel:BYTE_1 dst_unused:UNUSED_PAD src0_sel:DWORD src1_sel:DWORD
	v_and_b32_e32 v28, 1, v21
	v_and_b32_sdwa v29, v20, v1 dst_sel:BYTE_1 dst_unused:UNUSED_PAD src0_sel:DWORD src1_sel:DWORD
	;; [unrolled: 2-line block ×4, first 2 shown]
	v_or_b32_e32 v26, v26, v27
	v_or_b32_sdwa v27, v28, v29 dst_sel:WORD_1 dst_unused:UNUSED_PAD src0_sel:DWORD src1_sel:DWORD
	v_or_b32_sdwa v27, v26, v27 dst_sel:DWORD dst_unused:UNUSED_PAD src0_sel:WORD_0 src1_sel:DWORD
	v_or_b32_e32 v26, v31, v32
	v_or_b32_sdwa v28, v33, v34 dst_sel:WORD_1 dst_unused:UNUSED_PAD src0_sel:DWORD src1_sel:DWORD
	v_and_b32_e32 v25, 1, v15
	v_and_b32_e32 v1, 1, v14
	v_or_b32_sdwa v26, v26, v28 dst_sel:DWORD dst_unused:UNUSED_PAD src0_sel:WORD_0 src1_sel:DWORD
	s_cbranch_execz .LBB2709_31
	s_branch .LBB2709_32
.LBB2709_30:
                                        ; implicit-def: $vgpr1
                                        ; implicit-def: $vgpr25
                                        ; implicit-def: $vgpr26
                                        ; implicit-def: $vgpr27
.LBB2709_31:
	v_or_b32_e32 v33, 1, v24
	v_cmp_gt_u32_e32 vcc, s6, v24
	v_add_u32_e32 v1, 2, v24
	v_cndmask_b32_e64 v34, 0, 1, vcc
	v_cmp_gt_u32_e32 vcc, s6, v33
	v_add_u32_e32 v32, 3, v24
	v_cndmask_b32_e64 v33, 0, 1, vcc
	;; [unrolled: 3-line block ×3, first 2 shown]
	v_cmp_gt_u32_e32 vcc, s6, v32
	v_add_u32_e32 v31, 5, v24
	v_and_b32_e32 v21, v1, v21
	v_cndmask_b32_e64 v1, 0, 1, vcc
	v_cmp_gt_u32_e32 vcc, s6, v25
	v_add_u32_e32 v26, 6, v24
	v_and_b32_sdwa v20, v1, v20 dst_sel:BYTE_1 dst_unused:UNUSED_PAD src0_sel:DWORD src1_sel:DWORD
	v_cndmask_b32_e64 v1, 0, 1, vcc
	v_cmp_gt_u32_e32 vcc, s6, v31
	v_add_u32_e32 v29, 7, v24
	v_and_b32_e32 v19, v1, v19
	v_cndmask_b32_e64 v1, 0, 1, vcc
	v_cmp_gt_u32_e32 vcc, s6, v26
	v_add_u32_e32 v27, 8, v24
	v_and_b32_sdwa v18, v1, v18 dst_sel:BYTE_1 dst_unused:UNUSED_PAD src0_sel:DWORD src1_sel:DWORD
	v_cndmask_b32_e64 v1, 0, 1, vcc
	v_cmp_gt_u32_e32 vcc, s6, v29
	v_add_u32_e32 v28, 9, v24
	v_and_b32_e32 v17, v1, v17
	v_cndmask_b32_e64 v1, 0, 1, vcc
	v_cmp_gt_u32_e32 vcc, s6, v27
	v_and_b32_sdwa v16, v1, v16 dst_sel:BYTE_1 dst_unused:UNUSED_PAD src0_sel:DWORD src1_sel:DWORD
	v_cndmask_b32_e64 v1, 0, 1, vcc
	v_cmp_gt_u32_e32 vcc, s6, v28
	v_and_b32_e32 v23, v34, v23
	v_and_b32_sdwa v22, v33, v22 dst_sel:BYTE_1 dst_unused:UNUSED_PAD src0_sel:DWORD src1_sel:DWORD
	v_and_b32_e32 v25, v1, v15
	v_cndmask_b32_e64 v1, 0, 1, vcc
	v_and_b32_e32 v1, v1, v14
	v_or_b32_e32 v14, v23, v22
	v_or_b32_sdwa v15, v21, v20 dst_sel:WORD_1 dst_unused:UNUSED_PAD src0_sel:DWORD src1_sel:DWORD
	v_or_b32_sdwa v27, v14, v15 dst_sel:DWORD dst_unused:UNUSED_PAD src0_sel:WORD_0 src1_sel:DWORD
	v_or_b32_e32 v14, v19, v18
	v_or_b32_sdwa v15, v17, v16 dst_sel:WORD_1 dst_unused:UNUSED_PAD src0_sel:DWORD src1_sel:DWORD
	v_or_b32_sdwa v26, v14, v15 dst_sel:DWORD dst_unused:UNUSED_PAD src0_sel:WORD_0 src1_sel:DWORD
.LBB2709_32:
	v_bfe_u32 v31, v27, 16, 8
	v_lshrrev_b32_e32 v29, 24, v27
	v_add_u32_sdwa v15, v27, v27 dst_sel:DWORD dst_unused:UNUSED_PAD src0_sel:BYTE_1 src1_sel:BYTE_0
	v_and_b32_e32 v32, 0xff, v26
	v_bfe_u32 v33, v26, 8, 8
	v_add3_u32 v15, v15, v31, v29
	v_bfe_u32 v34, v26, 16, 8
	v_lshrrev_b32_e32 v28, 24, v26
	v_add3_u32 v15, v15, v32, v33
	v_and_b32_e32 v35, 0xff, v25
	v_and_b32_e32 v14, 0xff, v1
	v_add3_u32 v15, v15, v34, v28
	v_add3_u32 v38, v15, v35, v14
	v_mbcnt_lo_u32_b32 v14, -1, 0
	v_mbcnt_hi_u32_b32 v36, -1, v14
	v_and_b32_e32 v14, 15, v36
	v_cmp_eq_u32_e64 s[14:15], 0, v14
	v_cmp_lt_u32_e64 s[12:13], 1, v14
	v_cmp_lt_u32_e64 s[10:11], 3, v14
	;; [unrolled: 1-line block ×3, first 2 shown]
	v_and_b32_e32 v14, 16, v36
	v_cmp_eq_u32_e64 s[6:7], 0, v14
	v_or_b32_e32 v14, 63, v0
	s_cmp_lg_u32 s30, 0
	v_cmp_lt_u32_e64 s[2:3], 31, v36
	v_lshrrev_b32_e32 v37, 6, v0
	v_cmp_eq_u32_e64 s[4:5], v14, v0
	s_cbranch_scc0 .LBB2709_59
; %bb.33:
	v_mov_b32_dpp v14, v38 row_shr:1 row_mask:0xf bank_mask:0xf
	v_cndmask_b32_e64 v14, v14, 0, s[14:15]
	v_add_u32_e32 v14, v14, v38
	s_nop 1
	v_mov_b32_dpp v15, v14 row_shr:2 row_mask:0xf bank_mask:0xf
	v_cndmask_b32_e64 v15, 0, v15, s[12:13]
	v_add_u32_e32 v14, v14, v15
	s_nop 1
	;; [unrolled: 4-line block ×4, first 2 shown]
	v_mov_b32_dpp v15, v14 row_bcast:15 row_mask:0xf bank_mask:0xf
	v_cndmask_b32_e64 v15, v15, 0, s[6:7]
	v_add_u32_e32 v14, v14, v15
	s_nop 1
	v_mov_b32_dpp v15, v14 row_bcast:31 row_mask:0xf bank_mask:0xf
	v_cndmask_b32_e64 v15, 0, v15, s[2:3]
	v_add_u32_e32 v14, v14, v15
	s_and_saveexec_b64 s[16:17], s[4:5]
	s_cbranch_execz .LBB2709_35
; %bb.34:
	v_lshlrev_b32_e32 v15, 2, v37
	ds_write_b32 v15, v14
.LBB2709_35:
	s_or_b64 exec, exec, s[16:17]
	v_cmp_gt_u32_e32 vcc, 4, v0
	s_waitcnt lgkmcnt(0)
	s_barrier
	s_and_saveexec_b64 s[16:17], vcc
	s_cbranch_execz .LBB2709_37
; %bb.36:
	v_lshlrev_b32_e32 v15, 2, v0
	ds_read_b32 v16, v15
	v_and_b32_e32 v17, 3, v36
	v_cmp_ne_u32_e32 vcc, 0, v17
	s_waitcnt lgkmcnt(0)
	v_mov_b32_dpp v18, v16 row_shr:1 row_mask:0xf bank_mask:0xf
	v_cndmask_b32_e32 v18, 0, v18, vcc
	v_add_u32_e32 v16, v18, v16
	v_cmp_lt_u32_e32 vcc, 1, v17
	s_nop 0
	v_mov_b32_dpp v18, v16 row_shr:2 row_mask:0xf bank_mask:0xf
	v_cndmask_b32_e32 v17, 0, v18, vcc
	v_add_u32_e32 v16, v16, v17
	ds_write_b32 v15, v16
.LBB2709_37:
	s_or_b64 exec, exec, s[16:17]
	v_cmp_gt_u32_e32 vcc, 64, v0
	v_cmp_lt_u32_e64 s[16:17], 63, v0
	s_waitcnt lgkmcnt(0)
	s_barrier
	s_waitcnt lgkmcnt(0)
                                        ; implicit-def: $vgpr39
	s_and_saveexec_b64 s[22:23], s[16:17]
	s_cbranch_execz .LBB2709_39
; %bb.38:
	v_lshl_add_u32 v15, v37, 2, -4
	ds_read_b32 v39, v15
	s_waitcnt lgkmcnt(0)
	v_add_u32_e32 v14, v39, v14
.LBB2709_39:
	s_or_b64 exec, exec, s[22:23]
	v_add_u32_e32 v15, -1, v36
	v_and_b32_e32 v16, 64, v36
	v_cmp_lt_i32_e64 s[16:17], v15, v16
	v_cndmask_b32_e64 v15, v15, v36, s[16:17]
	v_lshlrev_b32_e32 v15, 2, v15
	ds_bpermute_b32 v40, v15, v14
	v_cmp_eq_u32_e64 s[16:17], 0, v36
	s_and_saveexec_b64 s[22:23], vcc
	s_cbranch_execz .LBB2709_58
; %bb.40:
	v_mov_b32_e32 v21, 0
	ds_read_b32 v14, v21 offset:12
	s_and_saveexec_b64 s[26:27], s[16:17]
	s_cbranch_execz .LBB2709_42
; %bb.41:
	s_add_i32 s28, s30, 64
	s_mov_b32 s29, 0
	s_lshl_b64 s[28:29], s[28:29], 3
	s_add_u32 s28, s24, s28
	v_mov_b32_e32 v15, 1
	s_addc_u32 s29, s25, s29
	s_waitcnt lgkmcnt(0)
	global_store_dwordx2 v21, v[14:15], s[28:29]
.LBB2709_42:
	s_or_b64 exec, exec, s[26:27]
	v_xad_u32 v16, v36, -1, s30
	v_add_u32_e32 v20, 64, v16
	v_lshlrev_b64 v[18:19], 3, v[20:21]
	v_mov_b32_e32 v15, s25
	v_add_co_u32_e32 v22, vcc, s24, v18
	v_addc_co_u32_e32 v23, vcc, v15, v19, vcc
	global_load_dwordx2 v[18:19], v[22:23], off glc
	s_waitcnt vmcnt(0)
	v_cmp_eq_u16_sdwa s[28:29], v19, v21 src0_sel:BYTE_0 src1_sel:DWORD
	s_and_saveexec_b64 s[26:27], s[28:29]
	s_cbranch_execz .LBB2709_46
; %bb.43:
	s_mov_b64 s[28:29], 0
	v_mov_b32_e32 v15, 0
.LBB2709_44:                            ; =>This Inner Loop Header: Depth=1
	global_load_dwordx2 v[18:19], v[22:23], off glc
	s_waitcnt vmcnt(0)
	v_cmp_ne_u16_sdwa s[34:35], v19, v15 src0_sel:BYTE_0 src1_sel:DWORD
	s_or_b64 s[28:29], s[34:35], s[28:29]
	s_andn2_b64 exec, exec, s[28:29]
	s_cbranch_execnz .LBB2709_44
; %bb.45:
	s_or_b64 exec, exec, s[28:29]
.LBB2709_46:
	s_or_b64 exec, exec, s[26:27]
	v_and_b32_e32 v42, 63, v36
	v_mov_b32_e32 v41, 2
	v_cmp_ne_u32_e32 vcc, 63, v42
	v_cmp_eq_u16_sdwa s[26:27], v19, v41 src0_sel:BYTE_0 src1_sel:DWORD
	v_lshlrev_b64 v[20:21], v36, -1
	v_addc_co_u32_e32 v22, vcc, 0, v36, vcc
	v_and_b32_e32 v15, s27, v21
	v_lshlrev_b32_e32 v43, 2, v22
	v_or_b32_e32 v15, 0x80000000, v15
	ds_bpermute_b32 v22, v43, v18
	v_and_b32_e32 v17, s26, v20
	v_ffbl_b32_e32 v15, v15
	v_add_u32_e32 v15, 32, v15
	v_ffbl_b32_e32 v17, v17
	v_min_u32_e32 v15, v17, v15
	v_cmp_lt_u32_e32 vcc, v42, v15
	s_waitcnt lgkmcnt(0)
	v_cndmask_b32_e32 v17, 0, v22, vcc
	v_cmp_gt_u32_e32 vcc, 62, v42
	v_add_u32_e32 v17, v17, v18
	v_cndmask_b32_e64 v18, 0, 1, vcc
	v_lshlrev_b32_e32 v18, 1, v18
	v_add_lshl_u32 v44, v18, v36, 2
	ds_bpermute_b32 v18, v44, v17
	v_add_u32_e32 v45, 2, v42
	v_cmp_le_u32_e32 vcc, v45, v15
	v_add_u32_e32 v47, 4, v42
	v_add_u32_e32 v49, 8, v42
	s_waitcnt lgkmcnt(0)
	v_cndmask_b32_e32 v18, 0, v18, vcc
	v_cmp_gt_u32_e32 vcc, 60, v42
	v_add_u32_e32 v17, v17, v18
	v_cndmask_b32_e64 v18, 0, 1, vcc
	v_lshlrev_b32_e32 v18, 2, v18
	v_add_lshl_u32 v46, v18, v36, 2
	ds_bpermute_b32 v18, v46, v17
	v_cmp_le_u32_e32 vcc, v47, v15
	v_add_u32_e32 v51, 16, v42
	v_add_u32_e32 v53, 32, v42
	s_waitcnt lgkmcnt(0)
	v_cndmask_b32_e32 v18, 0, v18, vcc
	v_cmp_gt_u32_e32 vcc, 56, v42
	v_add_u32_e32 v17, v17, v18
	v_cndmask_b32_e64 v18, 0, 1, vcc
	v_lshlrev_b32_e32 v18, 3, v18
	v_add_lshl_u32 v48, v18, v36, 2
	ds_bpermute_b32 v18, v48, v17
	v_cmp_le_u32_e32 vcc, v49, v15
	s_waitcnt lgkmcnt(0)
	v_cndmask_b32_e32 v18, 0, v18, vcc
	v_cmp_gt_u32_e32 vcc, 48, v42
	v_add_u32_e32 v17, v17, v18
	v_cndmask_b32_e64 v18, 0, 1, vcc
	v_lshlrev_b32_e32 v18, 4, v18
	v_add_lshl_u32 v50, v18, v36, 2
	ds_bpermute_b32 v18, v50, v17
	v_cmp_le_u32_e32 vcc, v51, v15
	;; [unrolled: 9-line block ×3, first 2 shown]
	s_waitcnt lgkmcnt(0)
	v_cndmask_b32_e32 v15, 0, v18, vcc
	v_add_u32_e32 v18, v17, v15
	v_mov_b32_e32 v17, 0
	s_branch .LBB2709_48
.LBB2709_47:                            ;   in Loop: Header=BB2709_48 Depth=1
	s_or_b64 exec, exec, s[26:27]
	v_cmp_eq_u16_sdwa s[26:27], v19, v41 src0_sel:BYTE_0 src1_sel:DWORD
	v_and_b32_e32 v22, s27, v21
	v_or_b32_e32 v22, 0x80000000, v22
	ds_bpermute_b32 v54, v43, v18
	v_and_b32_e32 v23, s26, v20
	v_ffbl_b32_e32 v22, v22
	v_add_u32_e32 v22, 32, v22
	v_ffbl_b32_e32 v23, v23
	v_min_u32_e32 v22, v23, v22
	v_cmp_lt_u32_e32 vcc, v42, v22
	s_waitcnt lgkmcnt(0)
	v_cndmask_b32_e32 v23, 0, v54, vcc
	v_add_u32_e32 v18, v23, v18
	ds_bpermute_b32 v23, v44, v18
	v_cmp_le_u32_e32 vcc, v45, v22
	v_subrev_u32_e32 v16, 64, v16
	s_waitcnt lgkmcnt(0)
	v_cndmask_b32_e32 v23, 0, v23, vcc
	v_add_u32_e32 v18, v18, v23
	ds_bpermute_b32 v23, v46, v18
	v_cmp_le_u32_e32 vcc, v47, v22
	s_waitcnt lgkmcnt(0)
	v_cndmask_b32_e32 v23, 0, v23, vcc
	v_add_u32_e32 v18, v18, v23
	ds_bpermute_b32 v23, v48, v18
	v_cmp_le_u32_e32 vcc, v49, v22
	;; [unrolled: 5-line block ×4, first 2 shown]
	s_waitcnt lgkmcnt(0)
	v_cndmask_b32_e32 v22, 0, v23, vcc
	v_add3_u32 v18, v22, v15, v18
.LBB2709_48:                            ; =>This Loop Header: Depth=1
                                        ;     Child Loop BB2709_51 Depth 2
	v_cmp_ne_u16_sdwa s[26:27], v19, v41 src0_sel:BYTE_0 src1_sel:DWORD
	v_cndmask_b32_e64 v15, 0, 1, s[26:27]
	;;#ASMSTART
	;;#ASMEND
	v_cmp_ne_u32_e32 vcc, 0, v15
	s_cmp_lg_u64 vcc, exec
	v_mov_b32_e32 v15, v18
	s_cbranch_scc1 .LBB2709_53
; %bb.49:                               ;   in Loop: Header=BB2709_48 Depth=1
	v_lshlrev_b64 v[18:19], 3, v[16:17]
	v_mov_b32_e32 v23, s25
	v_add_co_u32_e32 v22, vcc, s24, v18
	v_addc_co_u32_e32 v23, vcc, v23, v19, vcc
	global_load_dwordx2 v[18:19], v[22:23], off glc
	s_waitcnt vmcnt(0)
	v_cmp_eq_u16_sdwa s[28:29], v19, v17 src0_sel:BYTE_0 src1_sel:DWORD
	s_and_saveexec_b64 s[26:27], s[28:29]
	s_cbranch_execz .LBB2709_47
; %bb.50:                               ;   in Loop: Header=BB2709_48 Depth=1
	s_mov_b64 s[28:29], 0
.LBB2709_51:                            ;   Parent Loop BB2709_48 Depth=1
                                        ; =>  This Inner Loop Header: Depth=2
	global_load_dwordx2 v[18:19], v[22:23], off glc
	s_waitcnt vmcnt(0)
	v_cmp_ne_u16_sdwa s[34:35], v19, v17 src0_sel:BYTE_0 src1_sel:DWORD
	s_or_b64 s[28:29], s[34:35], s[28:29]
	s_andn2_b64 exec, exec, s[28:29]
	s_cbranch_execnz .LBB2709_51
; %bb.52:                               ;   in Loop: Header=BB2709_48 Depth=1
	s_or_b64 exec, exec, s[28:29]
	s_branch .LBB2709_47
.LBB2709_53:                            ;   in Loop: Header=BB2709_48 Depth=1
                                        ; implicit-def: $vgpr18
                                        ; implicit-def: $vgpr19
	s_cbranch_execz .LBB2709_48
; %bb.54:
	s_and_saveexec_b64 s[26:27], s[16:17]
	s_cbranch_execz .LBB2709_56
; %bb.55:
	s_add_i32 s28, s30, 64
	s_mov_b32 s29, 0
	s_lshl_b64 s[28:29], s[28:29], 3
	s_add_u32 s28, s24, s28
	v_add_u32_e32 v16, v15, v14
	v_mov_b32_e32 v17, 2
	s_addc_u32 s29, s25, s29
	v_mov_b32_e32 v18, 0
	global_store_dwordx2 v18, v[16:17], s[28:29]
	ds_write_b64 v18, v[14:15] offset:10240
.LBB2709_56:
	s_or_b64 exec, exec, s[26:27]
	s_and_b64 exec, exec, s[0:1]
	s_cbranch_execz .LBB2709_58
; %bb.57:
	v_mov_b32_e32 v14, 0
	ds_write_b32 v14, v15 offset:12
.LBB2709_58:
	s_or_b64 exec, exec, s[22:23]
	v_mov_b32_e32 v14, 0
	s_waitcnt lgkmcnt(0)
	s_barrier
	ds_read_b32 v15, v14 offset:12
	v_cndmask_b32_e64 v16, v40, v39, s[16:17]
	v_cndmask_b32_e64 v16, v16, 0, s[0:1]
	s_waitcnt lgkmcnt(0)
	s_barrier
	v_add_u32_e32 v40, v15, v16
	v_add_u32_sdwa v39, v40, v27 dst_sel:DWORD dst_unused:UNUSED_PAD src0_sel:DWORD src1_sel:BYTE_0
	v_add_u32_sdwa v23, v39, v27 dst_sel:DWORD dst_unused:UNUSED_PAD src0_sel:DWORD src1_sel:BYTE_1
	v_add_u32_e32 v22, v23, v31
	v_add_u32_e32 v21, v22, v29
	;; [unrolled: 1-line block ×3, first 2 shown]
	ds_read_b64 v[14:15], v14 offset:10240
	v_add_u32_e32 v19, v20, v33
	v_add_u32_e32 v18, v19, v34
	;; [unrolled: 1-line block ×4, first 2 shown]
	s_branch .LBB2709_69
.LBB2709_59:
                                        ; implicit-def: $vgpr15
                                        ; implicit-def: $vgpr16
                                        ; implicit-def: $vgpr17
                                        ; implicit-def: $vgpr18
                                        ; implicit-def: $vgpr19
                                        ; implicit-def: $vgpr20
                                        ; implicit-def: $vgpr21
                                        ; implicit-def: $vgpr22
                                        ; implicit-def: $vgpr23
                                        ; implicit-def: $vgpr39
                                        ; implicit-def: $vgpr40
	s_cbranch_execz .LBB2709_69
; %bb.60:
	s_waitcnt lgkmcnt(0)
	v_mov_b32_dpp v14, v38 row_shr:1 row_mask:0xf bank_mask:0xf
	v_cndmask_b32_e64 v14, v14, 0, s[14:15]
	v_add_u32_e32 v14, v14, v38
	s_nop 1
	v_mov_b32_dpp v15, v14 row_shr:2 row_mask:0xf bank_mask:0xf
	v_cndmask_b32_e64 v15, 0, v15, s[12:13]
	v_add_u32_e32 v14, v14, v15
	s_nop 1
	;; [unrolled: 4-line block ×4, first 2 shown]
	v_mov_b32_dpp v15, v14 row_bcast:15 row_mask:0xf bank_mask:0xf
	v_cndmask_b32_e64 v15, v15, 0, s[6:7]
	v_add_u32_e32 v14, v14, v15
	s_nop 1
	v_mov_b32_dpp v15, v14 row_bcast:31 row_mask:0xf bank_mask:0xf
	v_cndmask_b32_e64 v15, 0, v15, s[2:3]
	v_add_u32_e32 v14, v14, v15
	s_and_saveexec_b64 s[2:3], s[4:5]
	s_cbranch_execz .LBB2709_62
; %bb.61:
	v_lshlrev_b32_e32 v15, 2, v37
	ds_write_b32 v15, v14
.LBB2709_62:
	s_or_b64 exec, exec, s[2:3]
	v_cmp_gt_u32_e32 vcc, 4, v0
	s_waitcnt lgkmcnt(0)
	s_barrier
	s_and_saveexec_b64 s[2:3], vcc
	s_cbranch_execz .LBB2709_64
; %bb.63:
	s_movk_i32 s4, 0xffdc
	v_mad_i32_i24 v15, v0, s4, v30
	ds_read_b32 v16, v15
	v_and_b32_e32 v17, 3, v36
	v_cmp_ne_u32_e32 vcc, 0, v17
	s_waitcnt lgkmcnt(0)
	v_mov_b32_dpp v18, v16 row_shr:1 row_mask:0xf bank_mask:0xf
	v_cndmask_b32_e32 v18, 0, v18, vcc
	v_add_u32_e32 v16, v18, v16
	v_cmp_lt_u32_e32 vcc, 1, v17
	s_nop 0
	v_mov_b32_dpp v18, v16 row_shr:2 row_mask:0xf bank_mask:0xf
	v_cndmask_b32_e32 v17, 0, v18, vcc
	v_add_u32_e32 v16, v16, v17
	ds_write_b32 v15, v16
.LBB2709_64:
	s_or_b64 exec, exec, s[2:3]
	v_cmp_lt_u32_e32 vcc, 63, v0
	v_mov_b32_e32 v15, 0
	v_mov_b32_e32 v0, 0
	s_waitcnt lgkmcnt(0)
	s_barrier
	s_and_saveexec_b64 s[2:3], vcc
	s_cbranch_execz .LBB2709_66
; %bb.65:
	v_lshl_add_u32 v0, v37, 2, -4
	ds_read_b32 v0, v0
.LBB2709_66:
	s_or_b64 exec, exec, s[2:3]
	v_add_u32_e32 v16, -1, v36
	v_and_b32_e32 v17, 64, v36
	v_cmp_lt_i32_e32 vcc, v16, v17
	v_cndmask_b32_e32 v16, v16, v36, vcc
	s_waitcnt lgkmcnt(0)
	v_add_u32_e32 v14, v0, v14
	v_lshlrev_b32_e32 v16, 2, v16
	ds_bpermute_b32 v16, v16, v14
	ds_read_b32 v14, v15 offset:12
	s_and_saveexec_b64 s[2:3], s[0:1]
	s_cbranch_execz .LBB2709_68
; %bb.67:
	v_mov_b32_e32 v17, 0
	v_mov_b32_e32 v15, 2
	s_waitcnt lgkmcnt(0)
	global_store_dwordx2 v17, v[14:15], s[24:25] offset:512
.LBB2709_68:
	s_or_b64 exec, exec, s[2:3]
	v_cmp_eq_u32_e32 vcc, 0, v36
	s_waitcnt lgkmcnt(1)
	v_cndmask_b32_e32 v0, v16, v0, vcc
	v_cndmask_b32_e64 v40, v0, 0, s[0:1]
	v_add_u32_sdwa v39, v40, v27 dst_sel:DWORD dst_unused:UNUSED_PAD src0_sel:DWORD src1_sel:BYTE_0
	v_add_u32_sdwa v23, v39, v27 dst_sel:DWORD dst_unused:UNUSED_PAD src0_sel:DWORD src1_sel:BYTE_1
	v_add_u32_e32 v22, v23, v31
	v_add_u32_e32 v21, v22, v29
	v_add_u32_e32 v20, v21, v32
	v_add_u32_e32 v19, v20, v33
	v_add_u32_e32 v18, v19, v34
	v_add_u32_e32 v17, v18, v28
	v_mov_b32_e32 v15, 0
	v_add_u32_e32 v16, v17, v35
	s_waitcnt lgkmcnt(0)
	s_barrier
.LBB2709_69:
	s_waitcnt lgkmcnt(0)
	v_add_u32_e32 v24, v14, v24
	v_sub_u32_e32 v31, v40, v15
	v_and_b32_e32 v33, 1, v27
	v_sub_u32_e32 v32, v24, v31
	v_cmp_eq_u32_e32 vcc, 1, v33
	v_cndmask_b32_e32 v31, v32, v31, vcc
	v_lshlrev_b32_e32 v31, 2, v31
	v_lshrrev_b32_e32 v30, 8, v27
	ds_write_b32 v31, v6
	v_sub_u32_e32 v6, v39, v15
	v_sub_u32_e32 v31, v24, v6
	v_and_b32_e32 v30, 1, v30
	v_add_u32_e32 v31, 1, v31
	v_cmp_eq_u32_e32 vcc, 1, v30
	v_cndmask_b32_e32 v6, v31, v6, vcc
	v_lshlrev_b32_e32 v6, 2, v6
	ds_write_b32 v6, v7
	v_sub_u32_e32 v6, v23, v15
	v_mov_b32_e32 v23, 1
	v_sub_u32_e32 v7, v24, v6
	v_and_b32_sdwa v27, v23, v27 dst_sel:DWORD dst_unused:UNUSED_PAD src0_sel:DWORD src1_sel:WORD_1
	v_add_u32_e32 v7, 2, v7
	v_cmp_eq_u32_e32 vcc, 1, v27
	v_cndmask_b32_e32 v6, v7, v6, vcc
	v_lshlrev_b32_e32 v6, 2, v6
	ds_write_b32 v6, v8
	v_sub_u32_e32 v6, v22, v15
	v_sub_u32_e32 v7, v24, v6
	v_and_b32_e32 v8, 1, v29
	v_add_u32_e32 v7, 3, v7
	v_cmp_eq_u32_e32 vcc, 1, v8
	v_cndmask_b32_e32 v6, v7, v6, vcc
	v_lshlrev_b32_e32 v6, 2, v6
	ds_write_b32 v6, v9
	v_sub_u32_e32 v6, v21, v15
	v_sub_u32_e32 v7, v24, v6
	v_and_b32_e32 v8, 1, v26
	v_add_u32_e32 v7, 4, v7
	v_cmp_eq_u32_e32 vcc, 1, v8
	v_cndmask_b32_e32 v6, v7, v6, vcc
	v_lshlrev_b32_e32 v6, 2, v6
	v_lshrrev_b32_e32 v0, 8, v26
	ds_write_b32 v6, v2
	v_sub_u32_e32 v2, v20, v15
	v_sub_u32_e32 v6, v24, v2
	v_and_b32_e32 v0, 1, v0
	v_add_u32_e32 v6, 5, v6
	v_cmp_eq_u32_e32 vcc, 1, v0
	v_cndmask_b32_e32 v0, v6, v2, vcc
	v_lshlrev_b32_e32 v0, 2, v0
	ds_write_b32 v0, v3
	v_sub_u32_e32 v0, v19, v15
	v_sub_u32_e32 v2, v24, v0
	v_and_b32_sdwa v3, v23, v26 dst_sel:DWORD dst_unused:UNUSED_PAD src0_sel:DWORD src1_sel:WORD_1
	v_add_u32_e32 v2, 6, v2
	v_cmp_eq_u32_e32 vcc, 1, v3
	v_cndmask_b32_e32 v0, v2, v0, vcc
	v_lshlrev_b32_e32 v0, 2, v0
	ds_write_b32 v0, v4
	v_sub_u32_e32 v0, v18, v15
	v_sub_u32_e32 v2, v24, v0
	v_and_b32_e32 v3, 1, v28
	v_add_u32_e32 v2, 7, v2
	v_cmp_eq_u32_e32 vcc, 1, v3
	v_cndmask_b32_e32 v0, v2, v0, vcc
	v_lshlrev_b32_e32 v0, 2, v0
	ds_write_b32 v0, v5
	v_sub_u32_e32 v0, v17, v15
	v_sub_u32_e32 v2, v24, v0
	v_and_b32_e32 v3, 1, v25
	v_add_u32_e32 v2, 8, v2
	v_cmp_eq_u32_e32 vcc, 1, v3
	v_cndmask_b32_e32 v0, v2, v0, vcc
	v_lshlrev_b32_e32 v0, 2, v0
	ds_write_b32 v0, v10
	v_sub_u32_e32 v0, v16, v15
	v_sub_u32_e32 v2, v24, v0
	v_and_b32_e32 v1, 1, v1
	v_add_u32_e32 v2, 9, v2
	v_cmp_eq_u32_e32 vcc, 1, v1
	v_cndmask_b32_e32 v0, v2, v0, vcc
	v_lshlrev_b32_e32 v0, 2, v0
	s_and_b64 s[0:1], s[0:1], s[18:19]
	ds_write_b32 v0, v11
	s_waitcnt lgkmcnt(0)
	s_barrier
	s_and_saveexec_b64 s[2:3], s[0:1]
	s_cbranch_execz .LBB2709_71
; %bb.70:
	s_waitcnt vmcnt(0)
	v_add_co_u32_e32 v0, vcc, v12, v14
	v_addc_co_u32_e32 v1, vcc, 0, v13, vcc
	v_add_co_u32_e32 v0, vcc, v0, v15
	v_mov_b32_e32 v2, 0
	v_addc_co_u32_e32 v1, vcc, 0, v1, vcc
	global_store_dwordx2 v2, v[0:1], s[20:21]
.LBB2709_71:
	s_endpgm
	.section	.rodata,"a",@progbits
	.p2align	6, 0x0
	.amdhsa_kernel _ZN7rocprim17ROCPRIM_400000_NS6detail17trampoline_kernelINS0_14default_configENS1_25partition_config_selectorILNS1_17partition_subalgoE0EiNS0_10empty_typeEbEEZZNS1_14partition_implILS5_0ELb0ES3_jN6thrust23THRUST_200600_302600_NS6detail15normal_iteratorINSA_10device_ptrIiEEEEPS6_SG_NS0_5tupleIJNSA_16discard_iteratorINSA_11use_defaultEEESK_EEENSH_IJSG_SG_EEES6_PlJ7is_evenIiEEEE10hipError_tPvRmT3_T4_T5_T6_T7_T9_mT8_P12ihipStream_tbDpT10_ENKUlT_T0_E_clISt17integral_constantIbLb0EES18_IbLb1EEEEDaS14_S15_EUlS14_E_NS1_11comp_targetILNS1_3genE4ELNS1_11target_archE910ELNS1_3gpuE8ELNS1_3repE0EEENS1_30default_config_static_selectorELNS0_4arch9wavefront6targetE1EEEvT1_
		.amdhsa_group_segment_fixed_size 10248
		.amdhsa_private_segment_fixed_size 0
		.amdhsa_kernarg_size 152
		.amdhsa_user_sgpr_count 6
		.amdhsa_user_sgpr_private_segment_buffer 1
		.amdhsa_user_sgpr_dispatch_ptr 0
		.amdhsa_user_sgpr_queue_ptr 0
		.amdhsa_user_sgpr_kernarg_segment_ptr 1
		.amdhsa_user_sgpr_dispatch_id 0
		.amdhsa_user_sgpr_flat_scratch_init 0
		.amdhsa_user_sgpr_kernarg_preload_length 0
		.amdhsa_user_sgpr_kernarg_preload_offset 0
		.amdhsa_user_sgpr_private_segment_size 0
		.amdhsa_uses_dynamic_stack 0
		.amdhsa_system_sgpr_private_segment_wavefront_offset 0
		.amdhsa_system_sgpr_workgroup_id_x 1
		.amdhsa_system_sgpr_workgroup_id_y 0
		.amdhsa_system_sgpr_workgroup_id_z 0
		.amdhsa_system_sgpr_workgroup_info 0
		.amdhsa_system_vgpr_workitem_id 0
		.amdhsa_next_free_vgpr 55
		.amdhsa_next_free_sgpr 36
		.amdhsa_accum_offset 56
		.amdhsa_reserve_vcc 1
		.amdhsa_reserve_flat_scratch 0
		.amdhsa_float_round_mode_32 0
		.amdhsa_float_round_mode_16_64 0
		.amdhsa_float_denorm_mode_32 3
		.amdhsa_float_denorm_mode_16_64 3
		.amdhsa_dx10_clamp 1
		.amdhsa_ieee_mode 1
		.amdhsa_fp16_overflow 0
		.amdhsa_tg_split 0
		.amdhsa_exception_fp_ieee_invalid_op 0
		.amdhsa_exception_fp_denorm_src 0
		.amdhsa_exception_fp_ieee_div_zero 0
		.amdhsa_exception_fp_ieee_overflow 0
		.amdhsa_exception_fp_ieee_underflow 0
		.amdhsa_exception_fp_ieee_inexact 0
		.amdhsa_exception_int_div_zero 0
	.end_amdhsa_kernel
	.section	.text._ZN7rocprim17ROCPRIM_400000_NS6detail17trampoline_kernelINS0_14default_configENS1_25partition_config_selectorILNS1_17partition_subalgoE0EiNS0_10empty_typeEbEEZZNS1_14partition_implILS5_0ELb0ES3_jN6thrust23THRUST_200600_302600_NS6detail15normal_iteratorINSA_10device_ptrIiEEEEPS6_SG_NS0_5tupleIJNSA_16discard_iteratorINSA_11use_defaultEEESK_EEENSH_IJSG_SG_EEES6_PlJ7is_evenIiEEEE10hipError_tPvRmT3_T4_T5_T6_T7_T9_mT8_P12ihipStream_tbDpT10_ENKUlT_T0_E_clISt17integral_constantIbLb0EES18_IbLb1EEEEDaS14_S15_EUlS14_E_NS1_11comp_targetILNS1_3genE4ELNS1_11target_archE910ELNS1_3gpuE8ELNS1_3repE0EEENS1_30default_config_static_selectorELNS0_4arch9wavefront6targetE1EEEvT1_,"axG",@progbits,_ZN7rocprim17ROCPRIM_400000_NS6detail17trampoline_kernelINS0_14default_configENS1_25partition_config_selectorILNS1_17partition_subalgoE0EiNS0_10empty_typeEbEEZZNS1_14partition_implILS5_0ELb0ES3_jN6thrust23THRUST_200600_302600_NS6detail15normal_iteratorINSA_10device_ptrIiEEEEPS6_SG_NS0_5tupleIJNSA_16discard_iteratorINSA_11use_defaultEEESK_EEENSH_IJSG_SG_EEES6_PlJ7is_evenIiEEEE10hipError_tPvRmT3_T4_T5_T6_T7_T9_mT8_P12ihipStream_tbDpT10_ENKUlT_T0_E_clISt17integral_constantIbLb0EES18_IbLb1EEEEDaS14_S15_EUlS14_E_NS1_11comp_targetILNS1_3genE4ELNS1_11target_archE910ELNS1_3gpuE8ELNS1_3repE0EEENS1_30default_config_static_selectorELNS0_4arch9wavefront6targetE1EEEvT1_,comdat
.Lfunc_end2709:
	.size	_ZN7rocprim17ROCPRIM_400000_NS6detail17trampoline_kernelINS0_14default_configENS1_25partition_config_selectorILNS1_17partition_subalgoE0EiNS0_10empty_typeEbEEZZNS1_14partition_implILS5_0ELb0ES3_jN6thrust23THRUST_200600_302600_NS6detail15normal_iteratorINSA_10device_ptrIiEEEEPS6_SG_NS0_5tupleIJNSA_16discard_iteratorINSA_11use_defaultEEESK_EEENSH_IJSG_SG_EEES6_PlJ7is_evenIiEEEE10hipError_tPvRmT3_T4_T5_T6_T7_T9_mT8_P12ihipStream_tbDpT10_ENKUlT_T0_E_clISt17integral_constantIbLb0EES18_IbLb1EEEEDaS14_S15_EUlS14_E_NS1_11comp_targetILNS1_3genE4ELNS1_11target_archE910ELNS1_3gpuE8ELNS1_3repE0EEENS1_30default_config_static_selectorELNS0_4arch9wavefront6targetE1EEEvT1_, .Lfunc_end2709-_ZN7rocprim17ROCPRIM_400000_NS6detail17trampoline_kernelINS0_14default_configENS1_25partition_config_selectorILNS1_17partition_subalgoE0EiNS0_10empty_typeEbEEZZNS1_14partition_implILS5_0ELb0ES3_jN6thrust23THRUST_200600_302600_NS6detail15normal_iteratorINSA_10device_ptrIiEEEEPS6_SG_NS0_5tupleIJNSA_16discard_iteratorINSA_11use_defaultEEESK_EEENSH_IJSG_SG_EEES6_PlJ7is_evenIiEEEE10hipError_tPvRmT3_T4_T5_T6_T7_T9_mT8_P12ihipStream_tbDpT10_ENKUlT_T0_E_clISt17integral_constantIbLb0EES18_IbLb1EEEEDaS14_S15_EUlS14_E_NS1_11comp_targetILNS1_3genE4ELNS1_11target_archE910ELNS1_3gpuE8ELNS1_3repE0EEENS1_30default_config_static_selectorELNS0_4arch9wavefront6targetE1EEEvT1_
                                        ; -- End function
	.section	.AMDGPU.csdata,"",@progbits
; Kernel info:
; codeLenInByte = 3948
; NumSgprs: 40
; NumVgprs: 55
; NumAgprs: 0
; TotalNumVgprs: 55
; ScratchSize: 0
; MemoryBound: 0
; FloatMode: 240
; IeeeMode: 1
; LDSByteSize: 10248 bytes/workgroup (compile time only)
; SGPRBlocks: 4
; VGPRBlocks: 6
; NumSGPRsForWavesPerEU: 40
; NumVGPRsForWavesPerEU: 55
; AccumOffset: 56
; Occupancy: 6
; WaveLimiterHint : 1
; COMPUTE_PGM_RSRC2:SCRATCH_EN: 0
; COMPUTE_PGM_RSRC2:USER_SGPR: 6
; COMPUTE_PGM_RSRC2:TRAP_HANDLER: 0
; COMPUTE_PGM_RSRC2:TGID_X_EN: 1
; COMPUTE_PGM_RSRC2:TGID_Y_EN: 0
; COMPUTE_PGM_RSRC2:TGID_Z_EN: 0
; COMPUTE_PGM_RSRC2:TIDIG_COMP_CNT: 0
; COMPUTE_PGM_RSRC3_GFX90A:ACCUM_OFFSET: 13
; COMPUTE_PGM_RSRC3_GFX90A:TG_SPLIT: 0
	.section	.text._ZN7rocprim17ROCPRIM_400000_NS6detail17trampoline_kernelINS0_14default_configENS1_25partition_config_selectorILNS1_17partition_subalgoE0EiNS0_10empty_typeEbEEZZNS1_14partition_implILS5_0ELb0ES3_jN6thrust23THRUST_200600_302600_NS6detail15normal_iteratorINSA_10device_ptrIiEEEEPS6_SG_NS0_5tupleIJNSA_16discard_iteratorINSA_11use_defaultEEESK_EEENSH_IJSG_SG_EEES6_PlJ7is_evenIiEEEE10hipError_tPvRmT3_T4_T5_T6_T7_T9_mT8_P12ihipStream_tbDpT10_ENKUlT_T0_E_clISt17integral_constantIbLb0EES18_IbLb1EEEEDaS14_S15_EUlS14_E_NS1_11comp_targetILNS1_3genE3ELNS1_11target_archE908ELNS1_3gpuE7ELNS1_3repE0EEENS1_30default_config_static_selectorELNS0_4arch9wavefront6targetE1EEEvT1_,"axG",@progbits,_ZN7rocprim17ROCPRIM_400000_NS6detail17trampoline_kernelINS0_14default_configENS1_25partition_config_selectorILNS1_17partition_subalgoE0EiNS0_10empty_typeEbEEZZNS1_14partition_implILS5_0ELb0ES3_jN6thrust23THRUST_200600_302600_NS6detail15normal_iteratorINSA_10device_ptrIiEEEEPS6_SG_NS0_5tupleIJNSA_16discard_iteratorINSA_11use_defaultEEESK_EEENSH_IJSG_SG_EEES6_PlJ7is_evenIiEEEE10hipError_tPvRmT3_T4_T5_T6_T7_T9_mT8_P12ihipStream_tbDpT10_ENKUlT_T0_E_clISt17integral_constantIbLb0EES18_IbLb1EEEEDaS14_S15_EUlS14_E_NS1_11comp_targetILNS1_3genE3ELNS1_11target_archE908ELNS1_3gpuE7ELNS1_3repE0EEENS1_30default_config_static_selectorELNS0_4arch9wavefront6targetE1EEEvT1_,comdat
	.protected	_ZN7rocprim17ROCPRIM_400000_NS6detail17trampoline_kernelINS0_14default_configENS1_25partition_config_selectorILNS1_17partition_subalgoE0EiNS0_10empty_typeEbEEZZNS1_14partition_implILS5_0ELb0ES3_jN6thrust23THRUST_200600_302600_NS6detail15normal_iteratorINSA_10device_ptrIiEEEEPS6_SG_NS0_5tupleIJNSA_16discard_iteratorINSA_11use_defaultEEESK_EEENSH_IJSG_SG_EEES6_PlJ7is_evenIiEEEE10hipError_tPvRmT3_T4_T5_T6_T7_T9_mT8_P12ihipStream_tbDpT10_ENKUlT_T0_E_clISt17integral_constantIbLb0EES18_IbLb1EEEEDaS14_S15_EUlS14_E_NS1_11comp_targetILNS1_3genE3ELNS1_11target_archE908ELNS1_3gpuE7ELNS1_3repE0EEENS1_30default_config_static_selectorELNS0_4arch9wavefront6targetE1EEEvT1_ ; -- Begin function _ZN7rocprim17ROCPRIM_400000_NS6detail17trampoline_kernelINS0_14default_configENS1_25partition_config_selectorILNS1_17partition_subalgoE0EiNS0_10empty_typeEbEEZZNS1_14partition_implILS5_0ELb0ES3_jN6thrust23THRUST_200600_302600_NS6detail15normal_iteratorINSA_10device_ptrIiEEEEPS6_SG_NS0_5tupleIJNSA_16discard_iteratorINSA_11use_defaultEEESK_EEENSH_IJSG_SG_EEES6_PlJ7is_evenIiEEEE10hipError_tPvRmT3_T4_T5_T6_T7_T9_mT8_P12ihipStream_tbDpT10_ENKUlT_T0_E_clISt17integral_constantIbLb0EES18_IbLb1EEEEDaS14_S15_EUlS14_E_NS1_11comp_targetILNS1_3genE3ELNS1_11target_archE908ELNS1_3gpuE7ELNS1_3repE0EEENS1_30default_config_static_selectorELNS0_4arch9wavefront6targetE1EEEvT1_
	.globl	_ZN7rocprim17ROCPRIM_400000_NS6detail17trampoline_kernelINS0_14default_configENS1_25partition_config_selectorILNS1_17partition_subalgoE0EiNS0_10empty_typeEbEEZZNS1_14partition_implILS5_0ELb0ES3_jN6thrust23THRUST_200600_302600_NS6detail15normal_iteratorINSA_10device_ptrIiEEEEPS6_SG_NS0_5tupleIJNSA_16discard_iteratorINSA_11use_defaultEEESK_EEENSH_IJSG_SG_EEES6_PlJ7is_evenIiEEEE10hipError_tPvRmT3_T4_T5_T6_T7_T9_mT8_P12ihipStream_tbDpT10_ENKUlT_T0_E_clISt17integral_constantIbLb0EES18_IbLb1EEEEDaS14_S15_EUlS14_E_NS1_11comp_targetILNS1_3genE3ELNS1_11target_archE908ELNS1_3gpuE7ELNS1_3repE0EEENS1_30default_config_static_selectorELNS0_4arch9wavefront6targetE1EEEvT1_
	.p2align	8
	.type	_ZN7rocprim17ROCPRIM_400000_NS6detail17trampoline_kernelINS0_14default_configENS1_25partition_config_selectorILNS1_17partition_subalgoE0EiNS0_10empty_typeEbEEZZNS1_14partition_implILS5_0ELb0ES3_jN6thrust23THRUST_200600_302600_NS6detail15normal_iteratorINSA_10device_ptrIiEEEEPS6_SG_NS0_5tupleIJNSA_16discard_iteratorINSA_11use_defaultEEESK_EEENSH_IJSG_SG_EEES6_PlJ7is_evenIiEEEE10hipError_tPvRmT3_T4_T5_T6_T7_T9_mT8_P12ihipStream_tbDpT10_ENKUlT_T0_E_clISt17integral_constantIbLb0EES18_IbLb1EEEEDaS14_S15_EUlS14_E_NS1_11comp_targetILNS1_3genE3ELNS1_11target_archE908ELNS1_3gpuE7ELNS1_3repE0EEENS1_30default_config_static_selectorELNS0_4arch9wavefront6targetE1EEEvT1_,@function
_ZN7rocprim17ROCPRIM_400000_NS6detail17trampoline_kernelINS0_14default_configENS1_25partition_config_selectorILNS1_17partition_subalgoE0EiNS0_10empty_typeEbEEZZNS1_14partition_implILS5_0ELb0ES3_jN6thrust23THRUST_200600_302600_NS6detail15normal_iteratorINSA_10device_ptrIiEEEEPS6_SG_NS0_5tupleIJNSA_16discard_iteratorINSA_11use_defaultEEESK_EEENSH_IJSG_SG_EEES6_PlJ7is_evenIiEEEE10hipError_tPvRmT3_T4_T5_T6_T7_T9_mT8_P12ihipStream_tbDpT10_ENKUlT_T0_E_clISt17integral_constantIbLb0EES18_IbLb1EEEEDaS14_S15_EUlS14_E_NS1_11comp_targetILNS1_3genE3ELNS1_11target_archE908ELNS1_3gpuE7ELNS1_3repE0EEENS1_30default_config_static_selectorELNS0_4arch9wavefront6targetE1EEEvT1_: ; @_ZN7rocprim17ROCPRIM_400000_NS6detail17trampoline_kernelINS0_14default_configENS1_25partition_config_selectorILNS1_17partition_subalgoE0EiNS0_10empty_typeEbEEZZNS1_14partition_implILS5_0ELb0ES3_jN6thrust23THRUST_200600_302600_NS6detail15normal_iteratorINSA_10device_ptrIiEEEEPS6_SG_NS0_5tupleIJNSA_16discard_iteratorINSA_11use_defaultEEESK_EEENSH_IJSG_SG_EEES6_PlJ7is_evenIiEEEE10hipError_tPvRmT3_T4_T5_T6_T7_T9_mT8_P12ihipStream_tbDpT10_ENKUlT_T0_E_clISt17integral_constantIbLb0EES18_IbLb1EEEEDaS14_S15_EUlS14_E_NS1_11comp_targetILNS1_3genE3ELNS1_11target_archE908ELNS1_3gpuE7ELNS1_3repE0EEENS1_30default_config_static_selectorELNS0_4arch9wavefront6targetE1EEEvT1_
; %bb.0:
	.section	.rodata,"a",@progbits
	.p2align	6, 0x0
	.amdhsa_kernel _ZN7rocprim17ROCPRIM_400000_NS6detail17trampoline_kernelINS0_14default_configENS1_25partition_config_selectorILNS1_17partition_subalgoE0EiNS0_10empty_typeEbEEZZNS1_14partition_implILS5_0ELb0ES3_jN6thrust23THRUST_200600_302600_NS6detail15normal_iteratorINSA_10device_ptrIiEEEEPS6_SG_NS0_5tupleIJNSA_16discard_iteratorINSA_11use_defaultEEESK_EEENSH_IJSG_SG_EEES6_PlJ7is_evenIiEEEE10hipError_tPvRmT3_T4_T5_T6_T7_T9_mT8_P12ihipStream_tbDpT10_ENKUlT_T0_E_clISt17integral_constantIbLb0EES18_IbLb1EEEEDaS14_S15_EUlS14_E_NS1_11comp_targetILNS1_3genE3ELNS1_11target_archE908ELNS1_3gpuE7ELNS1_3repE0EEENS1_30default_config_static_selectorELNS0_4arch9wavefront6targetE1EEEvT1_
		.amdhsa_group_segment_fixed_size 0
		.amdhsa_private_segment_fixed_size 0
		.amdhsa_kernarg_size 152
		.amdhsa_user_sgpr_count 6
		.amdhsa_user_sgpr_private_segment_buffer 1
		.amdhsa_user_sgpr_dispatch_ptr 0
		.amdhsa_user_sgpr_queue_ptr 0
		.amdhsa_user_sgpr_kernarg_segment_ptr 1
		.amdhsa_user_sgpr_dispatch_id 0
		.amdhsa_user_sgpr_flat_scratch_init 0
		.amdhsa_user_sgpr_kernarg_preload_length 0
		.amdhsa_user_sgpr_kernarg_preload_offset 0
		.amdhsa_user_sgpr_private_segment_size 0
		.amdhsa_uses_dynamic_stack 0
		.amdhsa_system_sgpr_private_segment_wavefront_offset 0
		.amdhsa_system_sgpr_workgroup_id_x 1
		.amdhsa_system_sgpr_workgroup_id_y 0
		.amdhsa_system_sgpr_workgroup_id_z 0
		.amdhsa_system_sgpr_workgroup_info 0
		.amdhsa_system_vgpr_workitem_id 0
		.amdhsa_next_free_vgpr 1
		.amdhsa_next_free_sgpr 0
		.amdhsa_accum_offset 4
		.amdhsa_reserve_vcc 0
		.amdhsa_reserve_flat_scratch 0
		.amdhsa_float_round_mode_32 0
		.amdhsa_float_round_mode_16_64 0
		.amdhsa_float_denorm_mode_32 3
		.amdhsa_float_denorm_mode_16_64 3
		.amdhsa_dx10_clamp 1
		.amdhsa_ieee_mode 1
		.amdhsa_fp16_overflow 0
		.amdhsa_tg_split 0
		.amdhsa_exception_fp_ieee_invalid_op 0
		.amdhsa_exception_fp_denorm_src 0
		.amdhsa_exception_fp_ieee_div_zero 0
		.amdhsa_exception_fp_ieee_overflow 0
		.amdhsa_exception_fp_ieee_underflow 0
		.amdhsa_exception_fp_ieee_inexact 0
		.amdhsa_exception_int_div_zero 0
	.end_amdhsa_kernel
	.section	.text._ZN7rocprim17ROCPRIM_400000_NS6detail17trampoline_kernelINS0_14default_configENS1_25partition_config_selectorILNS1_17partition_subalgoE0EiNS0_10empty_typeEbEEZZNS1_14partition_implILS5_0ELb0ES3_jN6thrust23THRUST_200600_302600_NS6detail15normal_iteratorINSA_10device_ptrIiEEEEPS6_SG_NS0_5tupleIJNSA_16discard_iteratorINSA_11use_defaultEEESK_EEENSH_IJSG_SG_EEES6_PlJ7is_evenIiEEEE10hipError_tPvRmT3_T4_T5_T6_T7_T9_mT8_P12ihipStream_tbDpT10_ENKUlT_T0_E_clISt17integral_constantIbLb0EES18_IbLb1EEEEDaS14_S15_EUlS14_E_NS1_11comp_targetILNS1_3genE3ELNS1_11target_archE908ELNS1_3gpuE7ELNS1_3repE0EEENS1_30default_config_static_selectorELNS0_4arch9wavefront6targetE1EEEvT1_,"axG",@progbits,_ZN7rocprim17ROCPRIM_400000_NS6detail17trampoline_kernelINS0_14default_configENS1_25partition_config_selectorILNS1_17partition_subalgoE0EiNS0_10empty_typeEbEEZZNS1_14partition_implILS5_0ELb0ES3_jN6thrust23THRUST_200600_302600_NS6detail15normal_iteratorINSA_10device_ptrIiEEEEPS6_SG_NS0_5tupleIJNSA_16discard_iteratorINSA_11use_defaultEEESK_EEENSH_IJSG_SG_EEES6_PlJ7is_evenIiEEEE10hipError_tPvRmT3_T4_T5_T6_T7_T9_mT8_P12ihipStream_tbDpT10_ENKUlT_T0_E_clISt17integral_constantIbLb0EES18_IbLb1EEEEDaS14_S15_EUlS14_E_NS1_11comp_targetILNS1_3genE3ELNS1_11target_archE908ELNS1_3gpuE7ELNS1_3repE0EEENS1_30default_config_static_selectorELNS0_4arch9wavefront6targetE1EEEvT1_,comdat
.Lfunc_end2710:
	.size	_ZN7rocprim17ROCPRIM_400000_NS6detail17trampoline_kernelINS0_14default_configENS1_25partition_config_selectorILNS1_17partition_subalgoE0EiNS0_10empty_typeEbEEZZNS1_14partition_implILS5_0ELb0ES3_jN6thrust23THRUST_200600_302600_NS6detail15normal_iteratorINSA_10device_ptrIiEEEEPS6_SG_NS0_5tupleIJNSA_16discard_iteratorINSA_11use_defaultEEESK_EEENSH_IJSG_SG_EEES6_PlJ7is_evenIiEEEE10hipError_tPvRmT3_T4_T5_T6_T7_T9_mT8_P12ihipStream_tbDpT10_ENKUlT_T0_E_clISt17integral_constantIbLb0EES18_IbLb1EEEEDaS14_S15_EUlS14_E_NS1_11comp_targetILNS1_3genE3ELNS1_11target_archE908ELNS1_3gpuE7ELNS1_3repE0EEENS1_30default_config_static_selectorELNS0_4arch9wavefront6targetE1EEEvT1_, .Lfunc_end2710-_ZN7rocprim17ROCPRIM_400000_NS6detail17trampoline_kernelINS0_14default_configENS1_25partition_config_selectorILNS1_17partition_subalgoE0EiNS0_10empty_typeEbEEZZNS1_14partition_implILS5_0ELb0ES3_jN6thrust23THRUST_200600_302600_NS6detail15normal_iteratorINSA_10device_ptrIiEEEEPS6_SG_NS0_5tupleIJNSA_16discard_iteratorINSA_11use_defaultEEESK_EEENSH_IJSG_SG_EEES6_PlJ7is_evenIiEEEE10hipError_tPvRmT3_T4_T5_T6_T7_T9_mT8_P12ihipStream_tbDpT10_ENKUlT_T0_E_clISt17integral_constantIbLb0EES18_IbLb1EEEEDaS14_S15_EUlS14_E_NS1_11comp_targetILNS1_3genE3ELNS1_11target_archE908ELNS1_3gpuE7ELNS1_3repE0EEENS1_30default_config_static_selectorELNS0_4arch9wavefront6targetE1EEEvT1_
                                        ; -- End function
	.section	.AMDGPU.csdata,"",@progbits
; Kernel info:
; codeLenInByte = 0
; NumSgprs: 4
; NumVgprs: 0
; NumAgprs: 0
; TotalNumVgprs: 0
; ScratchSize: 0
; MemoryBound: 0
; FloatMode: 240
; IeeeMode: 1
; LDSByteSize: 0 bytes/workgroup (compile time only)
; SGPRBlocks: 0
; VGPRBlocks: 0
; NumSGPRsForWavesPerEU: 4
; NumVGPRsForWavesPerEU: 1
; AccumOffset: 4
; Occupancy: 8
; WaveLimiterHint : 0
; COMPUTE_PGM_RSRC2:SCRATCH_EN: 0
; COMPUTE_PGM_RSRC2:USER_SGPR: 6
; COMPUTE_PGM_RSRC2:TRAP_HANDLER: 0
; COMPUTE_PGM_RSRC2:TGID_X_EN: 1
; COMPUTE_PGM_RSRC2:TGID_Y_EN: 0
; COMPUTE_PGM_RSRC2:TGID_Z_EN: 0
; COMPUTE_PGM_RSRC2:TIDIG_COMP_CNT: 0
; COMPUTE_PGM_RSRC3_GFX90A:ACCUM_OFFSET: 0
; COMPUTE_PGM_RSRC3_GFX90A:TG_SPLIT: 0
	.section	.text._ZN7rocprim17ROCPRIM_400000_NS6detail17trampoline_kernelINS0_14default_configENS1_25partition_config_selectorILNS1_17partition_subalgoE0EiNS0_10empty_typeEbEEZZNS1_14partition_implILS5_0ELb0ES3_jN6thrust23THRUST_200600_302600_NS6detail15normal_iteratorINSA_10device_ptrIiEEEEPS6_SG_NS0_5tupleIJNSA_16discard_iteratorINSA_11use_defaultEEESK_EEENSH_IJSG_SG_EEES6_PlJ7is_evenIiEEEE10hipError_tPvRmT3_T4_T5_T6_T7_T9_mT8_P12ihipStream_tbDpT10_ENKUlT_T0_E_clISt17integral_constantIbLb0EES18_IbLb1EEEEDaS14_S15_EUlS14_E_NS1_11comp_targetILNS1_3genE2ELNS1_11target_archE906ELNS1_3gpuE6ELNS1_3repE0EEENS1_30default_config_static_selectorELNS0_4arch9wavefront6targetE1EEEvT1_,"axG",@progbits,_ZN7rocprim17ROCPRIM_400000_NS6detail17trampoline_kernelINS0_14default_configENS1_25partition_config_selectorILNS1_17partition_subalgoE0EiNS0_10empty_typeEbEEZZNS1_14partition_implILS5_0ELb0ES3_jN6thrust23THRUST_200600_302600_NS6detail15normal_iteratorINSA_10device_ptrIiEEEEPS6_SG_NS0_5tupleIJNSA_16discard_iteratorINSA_11use_defaultEEESK_EEENSH_IJSG_SG_EEES6_PlJ7is_evenIiEEEE10hipError_tPvRmT3_T4_T5_T6_T7_T9_mT8_P12ihipStream_tbDpT10_ENKUlT_T0_E_clISt17integral_constantIbLb0EES18_IbLb1EEEEDaS14_S15_EUlS14_E_NS1_11comp_targetILNS1_3genE2ELNS1_11target_archE906ELNS1_3gpuE6ELNS1_3repE0EEENS1_30default_config_static_selectorELNS0_4arch9wavefront6targetE1EEEvT1_,comdat
	.protected	_ZN7rocprim17ROCPRIM_400000_NS6detail17trampoline_kernelINS0_14default_configENS1_25partition_config_selectorILNS1_17partition_subalgoE0EiNS0_10empty_typeEbEEZZNS1_14partition_implILS5_0ELb0ES3_jN6thrust23THRUST_200600_302600_NS6detail15normal_iteratorINSA_10device_ptrIiEEEEPS6_SG_NS0_5tupleIJNSA_16discard_iteratorINSA_11use_defaultEEESK_EEENSH_IJSG_SG_EEES6_PlJ7is_evenIiEEEE10hipError_tPvRmT3_T4_T5_T6_T7_T9_mT8_P12ihipStream_tbDpT10_ENKUlT_T0_E_clISt17integral_constantIbLb0EES18_IbLb1EEEEDaS14_S15_EUlS14_E_NS1_11comp_targetILNS1_3genE2ELNS1_11target_archE906ELNS1_3gpuE6ELNS1_3repE0EEENS1_30default_config_static_selectorELNS0_4arch9wavefront6targetE1EEEvT1_ ; -- Begin function _ZN7rocprim17ROCPRIM_400000_NS6detail17trampoline_kernelINS0_14default_configENS1_25partition_config_selectorILNS1_17partition_subalgoE0EiNS0_10empty_typeEbEEZZNS1_14partition_implILS5_0ELb0ES3_jN6thrust23THRUST_200600_302600_NS6detail15normal_iteratorINSA_10device_ptrIiEEEEPS6_SG_NS0_5tupleIJNSA_16discard_iteratorINSA_11use_defaultEEESK_EEENSH_IJSG_SG_EEES6_PlJ7is_evenIiEEEE10hipError_tPvRmT3_T4_T5_T6_T7_T9_mT8_P12ihipStream_tbDpT10_ENKUlT_T0_E_clISt17integral_constantIbLb0EES18_IbLb1EEEEDaS14_S15_EUlS14_E_NS1_11comp_targetILNS1_3genE2ELNS1_11target_archE906ELNS1_3gpuE6ELNS1_3repE0EEENS1_30default_config_static_selectorELNS0_4arch9wavefront6targetE1EEEvT1_
	.globl	_ZN7rocprim17ROCPRIM_400000_NS6detail17trampoline_kernelINS0_14default_configENS1_25partition_config_selectorILNS1_17partition_subalgoE0EiNS0_10empty_typeEbEEZZNS1_14partition_implILS5_0ELb0ES3_jN6thrust23THRUST_200600_302600_NS6detail15normal_iteratorINSA_10device_ptrIiEEEEPS6_SG_NS0_5tupleIJNSA_16discard_iteratorINSA_11use_defaultEEESK_EEENSH_IJSG_SG_EEES6_PlJ7is_evenIiEEEE10hipError_tPvRmT3_T4_T5_T6_T7_T9_mT8_P12ihipStream_tbDpT10_ENKUlT_T0_E_clISt17integral_constantIbLb0EES18_IbLb1EEEEDaS14_S15_EUlS14_E_NS1_11comp_targetILNS1_3genE2ELNS1_11target_archE906ELNS1_3gpuE6ELNS1_3repE0EEENS1_30default_config_static_selectorELNS0_4arch9wavefront6targetE1EEEvT1_
	.p2align	8
	.type	_ZN7rocprim17ROCPRIM_400000_NS6detail17trampoline_kernelINS0_14default_configENS1_25partition_config_selectorILNS1_17partition_subalgoE0EiNS0_10empty_typeEbEEZZNS1_14partition_implILS5_0ELb0ES3_jN6thrust23THRUST_200600_302600_NS6detail15normal_iteratorINSA_10device_ptrIiEEEEPS6_SG_NS0_5tupleIJNSA_16discard_iteratorINSA_11use_defaultEEESK_EEENSH_IJSG_SG_EEES6_PlJ7is_evenIiEEEE10hipError_tPvRmT3_T4_T5_T6_T7_T9_mT8_P12ihipStream_tbDpT10_ENKUlT_T0_E_clISt17integral_constantIbLb0EES18_IbLb1EEEEDaS14_S15_EUlS14_E_NS1_11comp_targetILNS1_3genE2ELNS1_11target_archE906ELNS1_3gpuE6ELNS1_3repE0EEENS1_30default_config_static_selectorELNS0_4arch9wavefront6targetE1EEEvT1_,@function
_ZN7rocprim17ROCPRIM_400000_NS6detail17trampoline_kernelINS0_14default_configENS1_25partition_config_selectorILNS1_17partition_subalgoE0EiNS0_10empty_typeEbEEZZNS1_14partition_implILS5_0ELb0ES3_jN6thrust23THRUST_200600_302600_NS6detail15normal_iteratorINSA_10device_ptrIiEEEEPS6_SG_NS0_5tupleIJNSA_16discard_iteratorINSA_11use_defaultEEESK_EEENSH_IJSG_SG_EEES6_PlJ7is_evenIiEEEE10hipError_tPvRmT3_T4_T5_T6_T7_T9_mT8_P12ihipStream_tbDpT10_ENKUlT_T0_E_clISt17integral_constantIbLb0EES18_IbLb1EEEEDaS14_S15_EUlS14_E_NS1_11comp_targetILNS1_3genE2ELNS1_11target_archE906ELNS1_3gpuE6ELNS1_3repE0EEENS1_30default_config_static_selectorELNS0_4arch9wavefront6targetE1EEEvT1_: ; @_ZN7rocprim17ROCPRIM_400000_NS6detail17trampoline_kernelINS0_14default_configENS1_25partition_config_selectorILNS1_17partition_subalgoE0EiNS0_10empty_typeEbEEZZNS1_14partition_implILS5_0ELb0ES3_jN6thrust23THRUST_200600_302600_NS6detail15normal_iteratorINSA_10device_ptrIiEEEEPS6_SG_NS0_5tupleIJNSA_16discard_iteratorINSA_11use_defaultEEESK_EEENSH_IJSG_SG_EEES6_PlJ7is_evenIiEEEE10hipError_tPvRmT3_T4_T5_T6_T7_T9_mT8_P12ihipStream_tbDpT10_ENKUlT_T0_E_clISt17integral_constantIbLb0EES18_IbLb1EEEEDaS14_S15_EUlS14_E_NS1_11comp_targetILNS1_3genE2ELNS1_11target_archE906ELNS1_3gpuE6ELNS1_3repE0EEENS1_30default_config_static_selectorELNS0_4arch9wavefront6targetE1EEEvT1_
; %bb.0:
	.section	.rodata,"a",@progbits
	.p2align	6, 0x0
	.amdhsa_kernel _ZN7rocprim17ROCPRIM_400000_NS6detail17trampoline_kernelINS0_14default_configENS1_25partition_config_selectorILNS1_17partition_subalgoE0EiNS0_10empty_typeEbEEZZNS1_14partition_implILS5_0ELb0ES3_jN6thrust23THRUST_200600_302600_NS6detail15normal_iteratorINSA_10device_ptrIiEEEEPS6_SG_NS0_5tupleIJNSA_16discard_iteratorINSA_11use_defaultEEESK_EEENSH_IJSG_SG_EEES6_PlJ7is_evenIiEEEE10hipError_tPvRmT3_T4_T5_T6_T7_T9_mT8_P12ihipStream_tbDpT10_ENKUlT_T0_E_clISt17integral_constantIbLb0EES18_IbLb1EEEEDaS14_S15_EUlS14_E_NS1_11comp_targetILNS1_3genE2ELNS1_11target_archE906ELNS1_3gpuE6ELNS1_3repE0EEENS1_30default_config_static_selectorELNS0_4arch9wavefront6targetE1EEEvT1_
		.amdhsa_group_segment_fixed_size 0
		.amdhsa_private_segment_fixed_size 0
		.amdhsa_kernarg_size 152
		.amdhsa_user_sgpr_count 6
		.amdhsa_user_sgpr_private_segment_buffer 1
		.amdhsa_user_sgpr_dispatch_ptr 0
		.amdhsa_user_sgpr_queue_ptr 0
		.amdhsa_user_sgpr_kernarg_segment_ptr 1
		.amdhsa_user_sgpr_dispatch_id 0
		.amdhsa_user_sgpr_flat_scratch_init 0
		.amdhsa_user_sgpr_kernarg_preload_length 0
		.amdhsa_user_sgpr_kernarg_preload_offset 0
		.amdhsa_user_sgpr_private_segment_size 0
		.amdhsa_uses_dynamic_stack 0
		.amdhsa_system_sgpr_private_segment_wavefront_offset 0
		.amdhsa_system_sgpr_workgroup_id_x 1
		.amdhsa_system_sgpr_workgroup_id_y 0
		.amdhsa_system_sgpr_workgroup_id_z 0
		.amdhsa_system_sgpr_workgroup_info 0
		.amdhsa_system_vgpr_workitem_id 0
		.amdhsa_next_free_vgpr 1
		.amdhsa_next_free_sgpr 0
		.amdhsa_accum_offset 4
		.amdhsa_reserve_vcc 0
		.amdhsa_reserve_flat_scratch 0
		.amdhsa_float_round_mode_32 0
		.amdhsa_float_round_mode_16_64 0
		.amdhsa_float_denorm_mode_32 3
		.amdhsa_float_denorm_mode_16_64 3
		.amdhsa_dx10_clamp 1
		.amdhsa_ieee_mode 1
		.amdhsa_fp16_overflow 0
		.amdhsa_tg_split 0
		.amdhsa_exception_fp_ieee_invalid_op 0
		.amdhsa_exception_fp_denorm_src 0
		.amdhsa_exception_fp_ieee_div_zero 0
		.amdhsa_exception_fp_ieee_overflow 0
		.amdhsa_exception_fp_ieee_underflow 0
		.amdhsa_exception_fp_ieee_inexact 0
		.amdhsa_exception_int_div_zero 0
	.end_amdhsa_kernel
	.section	.text._ZN7rocprim17ROCPRIM_400000_NS6detail17trampoline_kernelINS0_14default_configENS1_25partition_config_selectorILNS1_17partition_subalgoE0EiNS0_10empty_typeEbEEZZNS1_14partition_implILS5_0ELb0ES3_jN6thrust23THRUST_200600_302600_NS6detail15normal_iteratorINSA_10device_ptrIiEEEEPS6_SG_NS0_5tupleIJNSA_16discard_iteratorINSA_11use_defaultEEESK_EEENSH_IJSG_SG_EEES6_PlJ7is_evenIiEEEE10hipError_tPvRmT3_T4_T5_T6_T7_T9_mT8_P12ihipStream_tbDpT10_ENKUlT_T0_E_clISt17integral_constantIbLb0EES18_IbLb1EEEEDaS14_S15_EUlS14_E_NS1_11comp_targetILNS1_3genE2ELNS1_11target_archE906ELNS1_3gpuE6ELNS1_3repE0EEENS1_30default_config_static_selectorELNS0_4arch9wavefront6targetE1EEEvT1_,"axG",@progbits,_ZN7rocprim17ROCPRIM_400000_NS6detail17trampoline_kernelINS0_14default_configENS1_25partition_config_selectorILNS1_17partition_subalgoE0EiNS0_10empty_typeEbEEZZNS1_14partition_implILS5_0ELb0ES3_jN6thrust23THRUST_200600_302600_NS6detail15normal_iteratorINSA_10device_ptrIiEEEEPS6_SG_NS0_5tupleIJNSA_16discard_iteratorINSA_11use_defaultEEESK_EEENSH_IJSG_SG_EEES6_PlJ7is_evenIiEEEE10hipError_tPvRmT3_T4_T5_T6_T7_T9_mT8_P12ihipStream_tbDpT10_ENKUlT_T0_E_clISt17integral_constantIbLb0EES18_IbLb1EEEEDaS14_S15_EUlS14_E_NS1_11comp_targetILNS1_3genE2ELNS1_11target_archE906ELNS1_3gpuE6ELNS1_3repE0EEENS1_30default_config_static_selectorELNS0_4arch9wavefront6targetE1EEEvT1_,comdat
.Lfunc_end2711:
	.size	_ZN7rocprim17ROCPRIM_400000_NS6detail17trampoline_kernelINS0_14default_configENS1_25partition_config_selectorILNS1_17partition_subalgoE0EiNS0_10empty_typeEbEEZZNS1_14partition_implILS5_0ELb0ES3_jN6thrust23THRUST_200600_302600_NS6detail15normal_iteratorINSA_10device_ptrIiEEEEPS6_SG_NS0_5tupleIJNSA_16discard_iteratorINSA_11use_defaultEEESK_EEENSH_IJSG_SG_EEES6_PlJ7is_evenIiEEEE10hipError_tPvRmT3_T4_T5_T6_T7_T9_mT8_P12ihipStream_tbDpT10_ENKUlT_T0_E_clISt17integral_constantIbLb0EES18_IbLb1EEEEDaS14_S15_EUlS14_E_NS1_11comp_targetILNS1_3genE2ELNS1_11target_archE906ELNS1_3gpuE6ELNS1_3repE0EEENS1_30default_config_static_selectorELNS0_4arch9wavefront6targetE1EEEvT1_, .Lfunc_end2711-_ZN7rocprim17ROCPRIM_400000_NS6detail17trampoline_kernelINS0_14default_configENS1_25partition_config_selectorILNS1_17partition_subalgoE0EiNS0_10empty_typeEbEEZZNS1_14partition_implILS5_0ELb0ES3_jN6thrust23THRUST_200600_302600_NS6detail15normal_iteratorINSA_10device_ptrIiEEEEPS6_SG_NS0_5tupleIJNSA_16discard_iteratorINSA_11use_defaultEEESK_EEENSH_IJSG_SG_EEES6_PlJ7is_evenIiEEEE10hipError_tPvRmT3_T4_T5_T6_T7_T9_mT8_P12ihipStream_tbDpT10_ENKUlT_T0_E_clISt17integral_constantIbLb0EES18_IbLb1EEEEDaS14_S15_EUlS14_E_NS1_11comp_targetILNS1_3genE2ELNS1_11target_archE906ELNS1_3gpuE6ELNS1_3repE0EEENS1_30default_config_static_selectorELNS0_4arch9wavefront6targetE1EEEvT1_
                                        ; -- End function
	.section	.AMDGPU.csdata,"",@progbits
; Kernel info:
; codeLenInByte = 0
; NumSgprs: 4
; NumVgprs: 0
; NumAgprs: 0
; TotalNumVgprs: 0
; ScratchSize: 0
; MemoryBound: 0
; FloatMode: 240
; IeeeMode: 1
; LDSByteSize: 0 bytes/workgroup (compile time only)
; SGPRBlocks: 0
; VGPRBlocks: 0
; NumSGPRsForWavesPerEU: 4
; NumVGPRsForWavesPerEU: 1
; AccumOffset: 4
; Occupancy: 8
; WaveLimiterHint : 0
; COMPUTE_PGM_RSRC2:SCRATCH_EN: 0
; COMPUTE_PGM_RSRC2:USER_SGPR: 6
; COMPUTE_PGM_RSRC2:TRAP_HANDLER: 0
; COMPUTE_PGM_RSRC2:TGID_X_EN: 1
; COMPUTE_PGM_RSRC2:TGID_Y_EN: 0
; COMPUTE_PGM_RSRC2:TGID_Z_EN: 0
; COMPUTE_PGM_RSRC2:TIDIG_COMP_CNT: 0
; COMPUTE_PGM_RSRC3_GFX90A:ACCUM_OFFSET: 0
; COMPUTE_PGM_RSRC3_GFX90A:TG_SPLIT: 0
	.section	.text._ZN7rocprim17ROCPRIM_400000_NS6detail17trampoline_kernelINS0_14default_configENS1_25partition_config_selectorILNS1_17partition_subalgoE0EiNS0_10empty_typeEbEEZZNS1_14partition_implILS5_0ELb0ES3_jN6thrust23THRUST_200600_302600_NS6detail15normal_iteratorINSA_10device_ptrIiEEEEPS6_SG_NS0_5tupleIJNSA_16discard_iteratorINSA_11use_defaultEEESK_EEENSH_IJSG_SG_EEES6_PlJ7is_evenIiEEEE10hipError_tPvRmT3_T4_T5_T6_T7_T9_mT8_P12ihipStream_tbDpT10_ENKUlT_T0_E_clISt17integral_constantIbLb0EES18_IbLb1EEEEDaS14_S15_EUlS14_E_NS1_11comp_targetILNS1_3genE10ELNS1_11target_archE1200ELNS1_3gpuE4ELNS1_3repE0EEENS1_30default_config_static_selectorELNS0_4arch9wavefront6targetE1EEEvT1_,"axG",@progbits,_ZN7rocprim17ROCPRIM_400000_NS6detail17trampoline_kernelINS0_14default_configENS1_25partition_config_selectorILNS1_17partition_subalgoE0EiNS0_10empty_typeEbEEZZNS1_14partition_implILS5_0ELb0ES3_jN6thrust23THRUST_200600_302600_NS6detail15normal_iteratorINSA_10device_ptrIiEEEEPS6_SG_NS0_5tupleIJNSA_16discard_iteratorINSA_11use_defaultEEESK_EEENSH_IJSG_SG_EEES6_PlJ7is_evenIiEEEE10hipError_tPvRmT3_T4_T5_T6_T7_T9_mT8_P12ihipStream_tbDpT10_ENKUlT_T0_E_clISt17integral_constantIbLb0EES18_IbLb1EEEEDaS14_S15_EUlS14_E_NS1_11comp_targetILNS1_3genE10ELNS1_11target_archE1200ELNS1_3gpuE4ELNS1_3repE0EEENS1_30default_config_static_selectorELNS0_4arch9wavefront6targetE1EEEvT1_,comdat
	.protected	_ZN7rocprim17ROCPRIM_400000_NS6detail17trampoline_kernelINS0_14default_configENS1_25partition_config_selectorILNS1_17partition_subalgoE0EiNS0_10empty_typeEbEEZZNS1_14partition_implILS5_0ELb0ES3_jN6thrust23THRUST_200600_302600_NS6detail15normal_iteratorINSA_10device_ptrIiEEEEPS6_SG_NS0_5tupleIJNSA_16discard_iteratorINSA_11use_defaultEEESK_EEENSH_IJSG_SG_EEES6_PlJ7is_evenIiEEEE10hipError_tPvRmT3_T4_T5_T6_T7_T9_mT8_P12ihipStream_tbDpT10_ENKUlT_T0_E_clISt17integral_constantIbLb0EES18_IbLb1EEEEDaS14_S15_EUlS14_E_NS1_11comp_targetILNS1_3genE10ELNS1_11target_archE1200ELNS1_3gpuE4ELNS1_3repE0EEENS1_30default_config_static_selectorELNS0_4arch9wavefront6targetE1EEEvT1_ ; -- Begin function _ZN7rocprim17ROCPRIM_400000_NS6detail17trampoline_kernelINS0_14default_configENS1_25partition_config_selectorILNS1_17partition_subalgoE0EiNS0_10empty_typeEbEEZZNS1_14partition_implILS5_0ELb0ES3_jN6thrust23THRUST_200600_302600_NS6detail15normal_iteratorINSA_10device_ptrIiEEEEPS6_SG_NS0_5tupleIJNSA_16discard_iteratorINSA_11use_defaultEEESK_EEENSH_IJSG_SG_EEES6_PlJ7is_evenIiEEEE10hipError_tPvRmT3_T4_T5_T6_T7_T9_mT8_P12ihipStream_tbDpT10_ENKUlT_T0_E_clISt17integral_constantIbLb0EES18_IbLb1EEEEDaS14_S15_EUlS14_E_NS1_11comp_targetILNS1_3genE10ELNS1_11target_archE1200ELNS1_3gpuE4ELNS1_3repE0EEENS1_30default_config_static_selectorELNS0_4arch9wavefront6targetE1EEEvT1_
	.globl	_ZN7rocprim17ROCPRIM_400000_NS6detail17trampoline_kernelINS0_14default_configENS1_25partition_config_selectorILNS1_17partition_subalgoE0EiNS0_10empty_typeEbEEZZNS1_14partition_implILS5_0ELb0ES3_jN6thrust23THRUST_200600_302600_NS6detail15normal_iteratorINSA_10device_ptrIiEEEEPS6_SG_NS0_5tupleIJNSA_16discard_iteratorINSA_11use_defaultEEESK_EEENSH_IJSG_SG_EEES6_PlJ7is_evenIiEEEE10hipError_tPvRmT3_T4_T5_T6_T7_T9_mT8_P12ihipStream_tbDpT10_ENKUlT_T0_E_clISt17integral_constantIbLb0EES18_IbLb1EEEEDaS14_S15_EUlS14_E_NS1_11comp_targetILNS1_3genE10ELNS1_11target_archE1200ELNS1_3gpuE4ELNS1_3repE0EEENS1_30default_config_static_selectorELNS0_4arch9wavefront6targetE1EEEvT1_
	.p2align	8
	.type	_ZN7rocprim17ROCPRIM_400000_NS6detail17trampoline_kernelINS0_14default_configENS1_25partition_config_selectorILNS1_17partition_subalgoE0EiNS0_10empty_typeEbEEZZNS1_14partition_implILS5_0ELb0ES3_jN6thrust23THRUST_200600_302600_NS6detail15normal_iteratorINSA_10device_ptrIiEEEEPS6_SG_NS0_5tupleIJNSA_16discard_iteratorINSA_11use_defaultEEESK_EEENSH_IJSG_SG_EEES6_PlJ7is_evenIiEEEE10hipError_tPvRmT3_T4_T5_T6_T7_T9_mT8_P12ihipStream_tbDpT10_ENKUlT_T0_E_clISt17integral_constantIbLb0EES18_IbLb1EEEEDaS14_S15_EUlS14_E_NS1_11comp_targetILNS1_3genE10ELNS1_11target_archE1200ELNS1_3gpuE4ELNS1_3repE0EEENS1_30default_config_static_selectorELNS0_4arch9wavefront6targetE1EEEvT1_,@function
_ZN7rocprim17ROCPRIM_400000_NS6detail17trampoline_kernelINS0_14default_configENS1_25partition_config_selectorILNS1_17partition_subalgoE0EiNS0_10empty_typeEbEEZZNS1_14partition_implILS5_0ELb0ES3_jN6thrust23THRUST_200600_302600_NS6detail15normal_iteratorINSA_10device_ptrIiEEEEPS6_SG_NS0_5tupleIJNSA_16discard_iteratorINSA_11use_defaultEEESK_EEENSH_IJSG_SG_EEES6_PlJ7is_evenIiEEEE10hipError_tPvRmT3_T4_T5_T6_T7_T9_mT8_P12ihipStream_tbDpT10_ENKUlT_T0_E_clISt17integral_constantIbLb0EES18_IbLb1EEEEDaS14_S15_EUlS14_E_NS1_11comp_targetILNS1_3genE10ELNS1_11target_archE1200ELNS1_3gpuE4ELNS1_3repE0EEENS1_30default_config_static_selectorELNS0_4arch9wavefront6targetE1EEEvT1_: ; @_ZN7rocprim17ROCPRIM_400000_NS6detail17trampoline_kernelINS0_14default_configENS1_25partition_config_selectorILNS1_17partition_subalgoE0EiNS0_10empty_typeEbEEZZNS1_14partition_implILS5_0ELb0ES3_jN6thrust23THRUST_200600_302600_NS6detail15normal_iteratorINSA_10device_ptrIiEEEEPS6_SG_NS0_5tupleIJNSA_16discard_iteratorINSA_11use_defaultEEESK_EEENSH_IJSG_SG_EEES6_PlJ7is_evenIiEEEE10hipError_tPvRmT3_T4_T5_T6_T7_T9_mT8_P12ihipStream_tbDpT10_ENKUlT_T0_E_clISt17integral_constantIbLb0EES18_IbLb1EEEEDaS14_S15_EUlS14_E_NS1_11comp_targetILNS1_3genE10ELNS1_11target_archE1200ELNS1_3gpuE4ELNS1_3repE0EEENS1_30default_config_static_selectorELNS0_4arch9wavefront6targetE1EEEvT1_
; %bb.0:
	.section	.rodata,"a",@progbits
	.p2align	6, 0x0
	.amdhsa_kernel _ZN7rocprim17ROCPRIM_400000_NS6detail17trampoline_kernelINS0_14default_configENS1_25partition_config_selectorILNS1_17partition_subalgoE0EiNS0_10empty_typeEbEEZZNS1_14partition_implILS5_0ELb0ES3_jN6thrust23THRUST_200600_302600_NS6detail15normal_iteratorINSA_10device_ptrIiEEEEPS6_SG_NS0_5tupleIJNSA_16discard_iteratorINSA_11use_defaultEEESK_EEENSH_IJSG_SG_EEES6_PlJ7is_evenIiEEEE10hipError_tPvRmT3_T4_T5_T6_T7_T9_mT8_P12ihipStream_tbDpT10_ENKUlT_T0_E_clISt17integral_constantIbLb0EES18_IbLb1EEEEDaS14_S15_EUlS14_E_NS1_11comp_targetILNS1_3genE10ELNS1_11target_archE1200ELNS1_3gpuE4ELNS1_3repE0EEENS1_30default_config_static_selectorELNS0_4arch9wavefront6targetE1EEEvT1_
		.amdhsa_group_segment_fixed_size 0
		.amdhsa_private_segment_fixed_size 0
		.amdhsa_kernarg_size 152
		.amdhsa_user_sgpr_count 6
		.amdhsa_user_sgpr_private_segment_buffer 1
		.amdhsa_user_sgpr_dispatch_ptr 0
		.amdhsa_user_sgpr_queue_ptr 0
		.amdhsa_user_sgpr_kernarg_segment_ptr 1
		.amdhsa_user_sgpr_dispatch_id 0
		.amdhsa_user_sgpr_flat_scratch_init 0
		.amdhsa_user_sgpr_kernarg_preload_length 0
		.amdhsa_user_sgpr_kernarg_preload_offset 0
		.amdhsa_user_sgpr_private_segment_size 0
		.amdhsa_uses_dynamic_stack 0
		.amdhsa_system_sgpr_private_segment_wavefront_offset 0
		.amdhsa_system_sgpr_workgroup_id_x 1
		.amdhsa_system_sgpr_workgroup_id_y 0
		.amdhsa_system_sgpr_workgroup_id_z 0
		.amdhsa_system_sgpr_workgroup_info 0
		.amdhsa_system_vgpr_workitem_id 0
		.amdhsa_next_free_vgpr 1
		.amdhsa_next_free_sgpr 0
		.amdhsa_accum_offset 4
		.amdhsa_reserve_vcc 0
		.amdhsa_reserve_flat_scratch 0
		.amdhsa_float_round_mode_32 0
		.amdhsa_float_round_mode_16_64 0
		.amdhsa_float_denorm_mode_32 3
		.amdhsa_float_denorm_mode_16_64 3
		.amdhsa_dx10_clamp 1
		.amdhsa_ieee_mode 1
		.amdhsa_fp16_overflow 0
		.amdhsa_tg_split 0
		.amdhsa_exception_fp_ieee_invalid_op 0
		.amdhsa_exception_fp_denorm_src 0
		.amdhsa_exception_fp_ieee_div_zero 0
		.amdhsa_exception_fp_ieee_overflow 0
		.amdhsa_exception_fp_ieee_underflow 0
		.amdhsa_exception_fp_ieee_inexact 0
		.amdhsa_exception_int_div_zero 0
	.end_amdhsa_kernel
	.section	.text._ZN7rocprim17ROCPRIM_400000_NS6detail17trampoline_kernelINS0_14default_configENS1_25partition_config_selectorILNS1_17partition_subalgoE0EiNS0_10empty_typeEbEEZZNS1_14partition_implILS5_0ELb0ES3_jN6thrust23THRUST_200600_302600_NS6detail15normal_iteratorINSA_10device_ptrIiEEEEPS6_SG_NS0_5tupleIJNSA_16discard_iteratorINSA_11use_defaultEEESK_EEENSH_IJSG_SG_EEES6_PlJ7is_evenIiEEEE10hipError_tPvRmT3_T4_T5_T6_T7_T9_mT8_P12ihipStream_tbDpT10_ENKUlT_T0_E_clISt17integral_constantIbLb0EES18_IbLb1EEEEDaS14_S15_EUlS14_E_NS1_11comp_targetILNS1_3genE10ELNS1_11target_archE1200ELNS1_3gpuE4ELNS1_3repE0EEENS1_30default_config_static_selectorELNS0_4arch9wavefront6targetE1EEEvT1_,"axG",@progbits,_ZN7rocprim17ROCPRIM_400000_NS6detail17trampoline_kernelINS0_14default_configENS1_25partition_config_selectorILNS1_17partition_subalgoE0EiNS0_10empty_typeEbEEZZNS1_14partition_implILS5_0ELb0ES3_jN6thrust23THRUST_200600_302600_NS6detail15normal_iteratorINSA_10device_ptrIiEEEEPS6_SG_NS0_5tupleIJNSA_16discard_iteratorINSA_11use_defaultEEESK_EEENSH_IJSG_SG_EEES6_PlJ7is_evenIiEEEE10hipError_tPvRmT3_T4_T5_T6_T7_T9_mT8_P12ihipStream_tbDpT10_ENKUlT_T0_E_clISt17integral_constantIbLb0EES18_IbLb1EEEEDaS14_S15_EUlS14_E_NS1_11comp_targetILNS1_3genE10ELNS1_11target_archE1200ELNS1_3gpuE4ELNS1_3repE0EEENS1_30default_config_static_selectorELNS0_4arch9wavefront6targetE1EEEvT1_,comdat
.Lfunc_end2712:
	.size	_ZN7rocprim17ROCPRIM_400000_NS6detail17trampoline_kernelINS0_14default_configENS1_25partition_config_selectorILNS1_17partition_subalgoE0EiNS0_10empty_typeEbEEZZNS1_14partition_implILS5_0ELb0ES3_jN6thrust23THRUST_200600_302600_NS6detail15normal_iteratorINSA_10device_ptrIiEEEEPS6_SG_NS0_5tupleIJNSA_16discard_iteratorINSA_11use_defaultEEESK_EEENSH_IJSG_SG_EEES6_PlJ7is_evenIiEEEE10hipError_tPvRmT3_T4_T5_T6_T7_T9_mT8_P12ihipStream_tbDpT10_ENKUlT_T0_E_clISt17integral_constantIbLb0EES18_IbLb1EEEEDaS14_S15_EUlS14_E_NS1_11comp_targetILNS1_3genE10ELNS1_11target_archE1200ELNS1_3gpuE4ELNS1_3repE0EEENS1_30default_config_static_selectorELNS0_4arch9wavefront6targetE1EEEvT1_, .Lfunc_end2712-_ZN7rocprim17ROCPRIM_400000_NS6detail17trampoline_kernelINS0_14default_configENS1_25partition_config_selectorILNS1_17partition_subalgoE0EiNS0_10empty_typeEbEEZZNS1_14partition_implILS5_0ELb0ES3_jN6thrust23THRUST_200600_302600_NS6detail15normal_iteratorINSA_10device_ptrIiEEEEPS6_SG_NS0_5tupleIJNSA_16discard_iteratorINSA_11use_defaultEEESK_EEENSH_IJSG_SG_EEES6_PlJ7is_evenIiEEEE10hipError_tPvRmT3_T4_T5_T6_T7_T9_mT8_P12ihipStream_tbDpT10_ENKUlT_T0_E_clISt17integral_constantIbLb0EES18_IbLb1EEEEDaS14_S15_EUlS14_E_NS1_11comp_targetILNS1_3genE10ELNS1_11target_archE1200ELNS1_3gpuE4ELNS1_3repE0EEENS1_30default_config_static_selectorELNS0_4arch9wavefront6targetE1EEEvT1_
                                        ; -- End function
	.section	.AMDGPU.csdata,"",@progbits
; Kernel info:
; codeLenInByte = 0
; NumSgprs: 4
; NumVgprs: 0
; NumAgprs: 0
; TotalNumVgprs: 0
; ScratchSize: 0
; MemoryBound: 0
; FloatMode: 240
; IeeeMode: 1
; LDSByteSize: 0 bytes/workgroup (compile time only)
; SGPRBlocks: 0
; VGPRBlocks: 0
; NumSGPRsForWavesPerEU: 4
; NumVGPRsForWavesPerEU: 1
; AccumOffset: 4
; Occupancy: 8
; WaveLimiterHint : 0
; COMPUTE_PGM_RSRC2:SCRATCH_EN: 0
; COMPUTE_PGM_RSRC2:USER_SGPR: 6
; COMPUTE_PGM_RSRC2:TRAP_HANDLER: 0
; COMPUTE_PGM_RSRC2:TGID_X_EN: 1
; COMPUTE_PGM_RSRC2:TGID_Y_EN: 0
; COMPUTE_PGM_RSRC2:TGID_Z_EN: 0
; COMPUTE_PGM_RSRC2:TIDIG_COMP_CNT: 0
; COMPUTE_PGM_RSRC3_GFX90A:ACCUM_OFFSET: 0
; COMPUTE_PGM_RSRC3_GFX90A:TG_SPLIT: 0
	.section	.text._ZN7rocprim17ROCPRIM_400000_NS6detail17trampoline_kernelINS0_14default_configENS1_25partition_config_selectorILNS1_17partition_subalgoE0EiNS0_10empty_typeEbEEZZNS1_14partition_implILS5_0ELb0ES3_jN6thrust23THRUST_200600_302600_NS6detail15normal_iteratorINSA_10device_ptrIiEEEEPS6_SG_NS0_5tupleIJNSA_16discard_iteratorINSA_11use_defaultEEESK_EEENSH_IJSG_SG_EEES6_PlJ7is_evenIiEEEE10hipError_tPvRmT3_T4_T5_T6_T7_T9_mT8_P12ihipStream_tbDpT10_ENKUlT_T0_E_clISt17integral_constantIbLb0EES18_IbLb1EEEEDaS14_S15_EUlS14_E_NS1_11comp_targetILNS1_3genE9ELNS1_11target_archE1100ELNS1_3gpuE3ELNS1_3repE0EEENS1_30default_config_static_selectorELNS0_4arch9wavefront6targetE1EEEvT1_,"axG",@progbits,_ZN7rocprim17ROCPRIM_400000_NS6detail17trampoline_kernelINS0_14default_configENS1_25partition_config_selectorILNS1_17partition_subalgoE0EiNS0_10empty_typeEbEEZZNS1_14partition_implILS5_0ELb0ES3_jN6thrust23THRUST_200600_302600_NS6detail15normal_iteratorINSA_10device_ptrIiEEEEPS6_SG_NS0_5tupleIJNSA_16discard_iteratorINSA_11use_defaultEEESK_EEENSH_IJSG_SG_EEES6_PlJ7is_evenIiEEEE10hipError_tPvRmT3_T4_T5_T6_T7_T9_mT8_P12ihipStream_tbDpT10_ENKUlT_T0_E_clISt17integral_constantIbLb0EES18_IbLb1EEEEDaS14_S15_EUlS14_E_NS1_11comp_targetILNS1_3genE9ELNS1_11target_archE1100ELNS1_3gpuE3ELNS1_3repE0EEENS1_30default_config_static_selectorELNS0_4arch9wavefront6targetE1EEEvT1_,comdat
	.protected	_ZN7rocprim17ROCPRIM_400000_NS6detail17trampoline_kernelINS0_14default_configENS1_25partition_config_selectorILNS1_17partition_subalgoE0EiNS0_10empty_typeEbEEZZNS1_14partition_implILS5_0ELb0ES3_jN6thrust23THRUST_200600_302600_NS6detail15normal_iteratorINSA_10device_ptrIiEEEEPS6_SG_NS0_5tupleIJNSA_16discard_iteratorINSA_11use_defaultEEESK_EEENSH_IJSG_SG_EEES6_PlJ7is_evenIiEEEE10hipError_tPvRmT3_T4_T5_T6_T7_T9_mT8_P12ihipStream_tbDpT10_ENKUlT_T0_E_clISt17integral_constantIbLb0EES18_IbLb1EEEEDaS14_S15_EUlS14_E_NS1_11comp_targetILNS1_3genE9ELNS1_11target_archE1100ELNS1_3gpuE3ELNS1_3repE0EEENS1_30default_config_static_selectorELNS0_4arch9wavefront6targetE1EEEvT1_ ; -- Begin function _ZN7rocprim17ROCPRIM_400000_NS6detail17trampoline_kernelINS0_14default_configENS1_25partition_config_selectorILNS1_17partition_subalgoE0EiNS0_10empty_typeEbEEZZNS1_14partition_implILS5_0ELb0ES3_jN6thrust23THRUST_200600_302600_NS6detail15normal_iteratorINSA_10device_ptrIiEEEEPS6_SG_NS0_5tupleIJNSA_16discard_iteratorINSA_11use_defaultEEESK_EEENSH_IJSG_SG_EEES6_PlJ7is_evenIiEEEE10hipError_tPvRmT3_T4_T5_T6_T7_T9_mT8_P12ihipStream_tbDpT10_ENKUlT_T0_E_clISt17integral_constantIbLb0EES18_IbLb1EEEEDaS14_S15_EUlS14_E_NS1_11comp_targetILNS1_3genE9ELNS1_11target_archE1100ELNS1_3gpuE3ELNS1_3repE0EEENS1_30default_config_static_selectorELNS0_4arch9wavefront6targetE1EEEvT1_
	.globl	_ZN7rocprim17ROCPRIM_400000_NS6detail17trampoline_kernelINS0_14default_configENS1_25partition_config_selectorILNS1_17partition_subalgoE0EiNS0_10empty_typeEbEEZZNS1_14partition_implILS5_0ELb0ES3_jN6thrust23THRUST_200600_302600_NS6detail15normal_iteratorINSA_10device_ptrIiEEEEPS6_SG_NS0_5tupleIJNSA_16discard_iteratorINSA_11use_defaultEEESK_EEENSH_IJSG_SG_EEES6_PlJ7is_evenIiEEEE10hipError_tPvRmT3_T4_T5_T6_T7_T9_mT8_P12ihipStream_tbDpT10_ENKUlT_T0_E_clISt17integral_constantIbLb0EES18_IbLb1EEEEDaS14_S15_EUlS14_E_NS1_11comp_targetILNS1_3genE9ELNS1_11target_archE1100ELNS1_3gpuE3ELNS1_3repE0EEENS1_30default_config_static_selectorELNS0_4arch9wavefront6targetE1EEEvT1_
	.p2align	8
	.type	_ZN7rocprim17ROCPRIM_400000_NS6detail17trampoline_kernelINS0_14default_configENS1_25partition_config_selectorILNS1_17partition_subalgoE0EiNS0_10empty_typeEbEEZZNS1_14partition_implILS5_0ELb0ES3_jN6thrust23THRUST_200600_302600_NS6detail15normal_iteratorINSA_10device_ptrIiEEEEPS6_SG_NS0_5tupleIJNSA_16discard_iteratorINSA_11use_defaultEEESK_EEENSH_IJSG_SG_EEES6_PlJ7is_evenIiEEEE10hipError_tPvRmT3_T4_T5_T6_T7_T9_mT8_P12ihipStream_tbDpT10_ENKUlT_T0_E_clISt17integral_constantIbLb0EES18_IbLb1EEEEDaS14_S15_EUlS14_E_NS1_11comp_targetILNS1_3genE9ELNS1_11target_archE1100ELNS1_3gpuE3ELNS1_3repE0EEENS1_30default_config_static_selectorELNS0_4arch9wavefront6targetE1EEEvT1_,@function
_ZN7rocprim17ROCPRIM_400000_NS6detail17trampoline_kernelINS0_14default_configENS1_25partition_config_selectorILNS1_17partition_subalgoE0EiNS0_10empty_typeEbEEZZNS1_14partition_implILS5_0ELb0ES3_jN6thrust23THRUST_200600_302600_NS6detail15normal_iteratorINSA_10device_ptrIiEEEEPS6_SG_NS0_5tupleIJNSA_16discard_iteratorINSA_11use_defaultEEESK_EEENSH_IJSG_SG_EEES6_PlJ7is_evenIiEEEE10hipError_tPvRmT3_T4_T5_T6_T7_T9_mT8_P12ihipStream_tbDpT10_ENKUlT_T0_E_clISt17integral_constantIbLb0EES18_IbLb1EEEEDaS14_S15_EUlS14_E_NS1_11comp_targetILNS1_3genE9ELNS1_11target_archE1100ELNS1_3gpuE3ELNS1_3repE0EEENS1_30default_config_static_selectorELNS0_4arch9wavefront6targetE1EEEvT1_: ; @_ZN7rocprim17ROCPRIM_400000_NS6detail17trampoline_kernelINS0_14default_configENS1_25partition_config_selectorILNS1_17partition_subalgoE0EiNS0_10empty_typeEbEEZZNS1_14partition_implILS5_0ELb0ES3_jN6thrust23THRUST_200600_302600_NS6detail15normal_iteratorINSA_10device_ptrIiEEEEPS6_SG_NS0_5tupleIJNSA_16discard_iteratorINSA_11use_defaultEEESK_EEENSH_IJSG_SG_EEES6_PlJ7is_evenIiEEEE10hipError_tPvRmT3_T4_T5_T6_T7_T9_mT8_P12ihipStream_tbDpT10_ENKUlT_T0_E_clISt17integral_constantIbLb0EES18_IbLb1EEEEDaS14_S15_EUlS14_E_NS1_11comp_targetILNS1_3genE9ELNS1_11target_archE1100ELNS1_3gpuE3ELNS1_3repE0EEENS1_30default_config_static_selectorELNS0_4arch9wavefront6targetE1EEEvT1_
; %bb.0:
	.section	.rodata,"a",@progbits
	.p2align	6, 0x0
	.amdhsa_kernel _ZN7rocprim17ROCPRIM_400000_NS6detail17trampoline_kernelINS0_14default_configENS1_25partition_config_selectorILNS1_17partition_subalgoE0EiNS0_10empty_typeEbEEZZNS1_14partition_implILS5_0ELb0ES3_jN6thrust23THRUST_200600_302600_NS6detail15normal_iteratorINSA_10device_ptrIiEEEEPS6_SG_NS0_5tupleIJNSA_16discard_iteratorINSA_11use_defaultEEESK_EEENSH_IJSG_SG_EEES6_PlJ7is_evenIiEEEE10hipError_tPvRmT3_T4_T5_T6_T7_T9_mT8_P12ihipStream_tbDpT10_ENKUlT_T0_E_clISt17integral_constantIbLb0EES18_IbLb1EEEEDaS14_S15_EUlS14_E_NS1_11comp_targetILNS1_3genE9ELNS1_11target_archE1100ELNS1_3gpuE3ELNS1_3repE0EEENS1_30default_config_static_selectorELNS0_4arch9wavefront6targetE1EEEvT1_
		.amdhsa_group_segment_fixed_size 0
		.amdhsa_private_segment_fixed_size 0
		.amdhsa_kernarg_size 152
		.amdhsa_user_sgpr_count 6
		.amdhsa_user_sgpr_private_segment_buffer 1
		.amdhsa_user_sgpr_dispatch_ptr 0
		.amdhsa_user_sgpr_queue_ptr 0
		.amdhsa_user_sgpr_kernarg_segment_ptr 1
		.amdhsa_user_sgpr_dispatch_id 0
		.amdhsa_user_sgpr_flat_scratch_init 0
		.amdhsa_user_sgpr_kernarg_preload_length 0
		.amdhsa_user_sgpr_kernarg_preload_offset 0
		.amdhsa_user_sgpr_private_segment_size 0
		.amdhsa_uses_dynamic_stack 0
		.amdhsa_system_sgpr_private_segment_wavefront_offset 0
		.amdhsa_system_sgpr_workgroup_id_x 1
		.amdhsa_system_sgpr_workgroup_id_y 0
		.amdhsa_system_sgpr_workgroup_id_z 0
		.amdhsa_system_sgpr_workgroup_info 0
		.amdhsa_system_vgpr_workitem_id 0
		.amdhsa_next_free_vgpr 1
		.amdhsa_next_free_sgpr 0
		.amdhsa_accum_offset 4
		.amdhsa_reserve_vcc 0
		.amdhsa_reserve_flat_scratch 0
		.amdhsa_float_round_mode_32 0
		.amdhsa_float_round_mode_16_64 0
		.amdhsa_float_denorm_mode_32 3
		.amdhsa_float_denorm_mode_16_64 3
		.amdhsa_dx10_clamp 1
		.amdhsa_ieee_mode 1
		.amdhsa_fp16_overflow 0
		.amdhsa_tg_split 0
		.amdhsa_exception_fp_ieee_invalid_op 0
		.amdhsa_exception_fp_denorm_src 0
		.amdhsa_exception_fp_ieee_div_zero 0
		.amdhsa_exception_fp_ieee_overflow 0
		.amdhsa_exception_fp_ieee_underflow 0
		.amdhsa_exception_fp_ieee_inexact 0
		.amdhsa_exception_int_div_zero 0
	.end_amdhsa_kernel
	.section	.text._ZN7rocprim17ROCPRIM_400000_NS6detail17trampoline_kernelINS0_14default_configENS1_25partition_config_selectorILNS1_17partition_subalgoE0EiNS0_10empty_typeEbEEZZNS1_14partition_implILS5_0ELb0ES3_jN6thrust23THRUST_200600_302600_NS6detail15normal_iteratorINSA_10device_ptrIiEEEEPS6_SG_NS0_5tupleIJNSA_16discard_iteratorINSA_11use_defaultEEESK_EEENSH_IJSG_SG_EEES6_PlJ7is_evenIiEEEE10hipError_tPvRmT3_T4_T5_T6_T7_T9_mT8_P12ihipStream_tbDpT10_ENKUlT_T0_E_clISt17integral_constantIbLb0EES18_IbLb1EEEEDaS14_S15_EUlS14_E_NS1_11comp_targetILNS1_3genE9ELNS1_11target_archE1100ELNS1_3gpuE3ELNS1_3repE0EEENS1_30default_config_static_selectorELNS0_4arch9wavefront6targetE1EEEvT1_,"axG",@progbits,_ZN7rocprim17ROCPRIM_400000_NS6detail17trampoline_kernelINS0_14default_configENS1_25partition_config_selectorILNS1_17partition_subalgoE0EiNS0_10empty_typeEbEEZZNS1_14partition_implILS5_0ELb0ES3_jN6thrust23THRUST_200600_302600_NS6detail15normal_iteratorINSA_10device_ptrIiEEEEPS6_SG_NS0_5tupleIJNSA_16discard_iteratorINSA_11use_defaultEEESK_EEENSH_IJSG_SG_EEES6_PlJ7is_evenIiEEEE10hipError_tPvRmT3_T4_T5_T6_T7_T9_mT8_P12ihipStream_tbDpT10_ENKUlT_T0_E_clISt17integral_constantIbLb0EES18_IbLb1EEEEDaS14_S15_EUlS14_E_NS1_11comp_targetILNS1_3genE9ELNS1_11target_archE1100ELNS1_3gpuE3ELNS1_3repE0EEENS1_30default_config_static_selectorELNS0_4arch9wavefront6targetE1EEEvT1_,comdat
.Lfunc_end2713:
	.size	_ZN7rocprim17ROCPRIM_400000_NS6detail17trampoline_kernelINS0_14default_configENS1_25partition_config_selectorILNS1_17partition_subalgoE0EiNS0_10empty_typeEbEEZZNS1_14partition_implILS5_0ELb0ES3_jN6thrust23THRUST_200600_302600_NS6detail15normal_iteratorINSA_10device_ptrIiEEEEPS6_SG_NS0_5tupleIJNSA_16discard_iteratorINSA_11use_defaultEEESK_EEENSH_IJSG_SG_EEES6_PlJ7is_evenIiEEEE10hipError_tPvRmT3_T4_T5_T6_T7_T9_mT8_P12ihipStream_tbDpT10_ENKUlT_T0_E_clISt17integral_constantIbLb0EES18_IbLb1EEEEDaS14_S15_EUlS14_E_NS1_11comp_targetILNS1_3genE9ELNS1_11target_archE1100ELNS1_3gpuE3ELNS1_3repE0EEENS1_30default_config_static_selectorELNS0_4arch9wavefront6targetE1EEEvT1_, .Lfunc_end2713-_ZN7rocprim17ROCPRIM_400000_NS6detail17trampoline_kernelINS0_14default_configENS1_25partition_config_selectorILNS1_17partition_subalgoE0EiNS0_10empty_typeEbEEZZNS1_14partition_implILS5_0ELb0ES3_jN6thrust23THRUST_200600_302600_NS6detail15normal_iteratorINSA_10device_ptrIiEEEEPS6_SG_NS0_5tupleIJNSA_16discard_iteratorINSA_11use_defaultEEESK_EEENSH_IJSG_SG_EEES6_PlJ7is_evenIiEEEE10hipError_tPvRmT3_T4_T5_T6_T7_T9_mT8_P12ihipStream_tbDpT10_ENKUlT_T0_E_clISt17integral_constantIbLb0EES18_IbLb1EEEEDaS14_S15_EUlS14_E_NS1_11comp_targetILNS1_3genE9ELNS1_11target_archE1100ELNS1_3gpuE3ELNS1_3repE0EEENS1_30default_config_static_selectorELNS0_4arch9wavefront6targetE1EEEvT1_
                                        ; -- End function
	.section	.AMDGPU.csdata,"",@progbits
; Kernel info:
; codeLenInByte = 0
; NumSgprs: 4
; NumVgprs: 0
; NumAgprs: 0
; TotalNumVgprs: 0
; ScratchSize: 0
; MemoryBound: 0
; FloatMode: 240
; IeeeMode: 1
; LDSByteSize: 0 bytes/workgroup (compile time only)
; SGPRBlocks: 0
; VGPRBlocks: 0
; NumSGPRsForWavesPerEU: 4
; NumVGPRsForWavesPerEU: 1
; AccumOffset: 4
; Occupancy: 8
; WaveLimiterHint : 0
; COMPUTE_PGM_RSRC2:SCRATCH_EN: 0
; COMPUTE_PGM_RSRC2:USER_SGPR: 6
; COMPUTE_PGM_RSRC2:TRAP_HANDLER: 0
; COMPUTE_PGM_RSRC2:TGID_X_EN: 1
; COMPUTE_PGM_RSRC2:TGID_Y_EN: 0
; COMPUTE_PGM_RSRC2:TGID_Z_EN: 0
; COMPUTE_PGM_RSRC2:TIDIG_COMP_CNT: 0
; COMPUTE_PGM_RSRC3_GFX90A:ACCUM_OFFSET: 0
; COMPUTE_PGM_RSRC3_GFX90A:TG_SPLIT: 0
	.section	.text._ZN7rocprim17ROCPRIM_400000_NS6detail17trampoline_kernelINS0_14default_configENS1_25partition_config_selectorILNS1_17partition_subalgoE0EiNS0_10empty_typeEbEEZZNS1_14partition_implILS5_0ELb0ES3_jN6thrust23THRUST_200600_302600_NS6detail15normal_iteratorINSA_10device_ptrIiEEEEPS6_SG_NS0_5tupleIJNSA_16discard_iteratorINSA_11use_defaultEEESK_EEENSH_IJSG_SG_EEES6_PlJ7is_evenIiEEEE10hipError_tPvRmT3_T4_T5_T6_T7_T9_mT8_P12ihipStream_tbDpT10_ENKUlT_T0_E_clISt17integral_constantIbLb0EES18_IbLb1EEEEDaS14_S15_EUlS14_E_NS1_11comp_targetILNS1_3genE8ELNS1_11target_archE1030ELNS1_3gpuE2ELNS1_3repE0EEENS1_30default_config_static_selectorELNS0_4arch9wavefront6targetE1EEEvT1_,"axG",@progbits,_ZN7rocprim17ROCPRIM_400000_NS6detail17trampoline_kernelINS0_14default_configENS1_25partition_config_selectorILNS1_17partition_subalgoE0EiNS0_10empty_typeEbEEZZNS1_14partition_implILS5_0ELb0ES3_jN6thrust23THRUST_200600_302600_NS6detail15normal_iteratorINSA_10device_ptrIiEEEEPS6_SG_NS0_5tupleIJNSA_16discard_iteratorINSA_11use_defaultEEESK_EEENSH_IJSG_SG_EEES6_PlJ7is_evenIiEEEE10hipError_tPvRmT3_T4_T5_T6_T7_T9_mT8_P12ihipStream_tbDpT10_ENKUlT_T0_E_clISt17integral_constantIbLb0EES18_IbLb1EEEEDaS14_S15_EUlS14_E_NS1_11comp_targetILNS1_3genE8ELNS1_11target_archE1030ELNS1_3gpuE2ELNS1_3repE0EEENS1_30default_config_static_selectorELNS0_4arch9wavefront6targetE1EEEvT1_,comdat
	.protected	_ZN7rocprim17ROCPRIM_400000_NS6detail17trampoline_kernelINS0_14default_configENS1_25partition_config_selectorILNS1_17partition_subalgoE0EiNS0_10empty_typeEbEEZZNS1_14partition_implILS5_0ELb0ES3_jN6thrust23THRUST_200600_302600_NS6detail15normal_iteratorINSA_10device_ptrIiEEEEPS6_SG_NS0_5tupleIJNSA_16discard_iteratorINSA_11use_defaultEEESK_EEENSH_IJSG_SG_EEES6_PlJ7is_evenIiEEEE10hipError_tPvRmT3_T4_T5_T6_T7_T9_mT8_P12ihipStream_tbDpT10_ENKUlT_T0_E_clISt17integral_constantIbLb0EES18_IbLb1EEEEDaS14_S15_EUlS14_E_NS1_11comp_targetILNS1_3genE8ELNS1_11target_archE1030ELNS1_3gpuE2ELNS1_3repE0EEENS1_30default_config_static_selectorELNS0_4arch9wavefront6targetE1EEEvT1_ ; -- Begin function _ZN7rocprim17ROCPRIM_400000_NS6detail17trampoline_kernelINS0_14default_configENS1_25partition_config_selectorILNS1_17partition_subalgoE0EiNS0_10empty_typeEbEEZZNS1_14partition_implILS5_0ELb0ES3_jN6thrust23THRUST_200600_302600_NS6detail15normal_iteratorINSA_10device_ptrIiEEEEPS6_SG_NS0_5tupleIJNSA_16discard_iteratorINSA_11use_defaultEEESK_EEENSH_IJSG_SG_EEES6_PlJ7is_evenIiEEEE10hipError_tPvRmT3_T4_T5_T6_T7_T9_mT8_P12ihipStream_tbDpT10_ENKUlT_T0_E_clISt17integral_constantIbLb0EES18_IbLb1EEEEDaS14_S15_EUlS14_E_NS1_11comp_targetILNS1_3genE8ELNS1_11target_archE1030ELNS1_3gpuE2ELNS1_3repE0EEENS1_30default_config_static_selectorELNS0_4arch9wavefront6targetE1EEEvT1_
	.globl	_ZN7rocprim17ROCPRIM_400000_NS6detail17trampoline_kernelINS0_14default_configENS1_25partition_config_selectorILNS1_17partition_subalgoE0EiNS0_10empty_typeEbEEZZNS1_14partition_implILS5_0ELb0ES3_jN6thrust23THRUST_200600_302600_NS6detail15normal_iteratorINSA_10device_ptrIiEEEEPS6_SG_NS0_5tupleIJNSA_16discard_iteratorINSA_11use_defaultEEESK_EEENSH_IJSG_SG_EEES6_PlJ7is_evenIiEEEE10hipError_tPvRmT3_T4_T5_T6_T7_T9_mT8_P12ihipStream_tbDpT10_ENKUlT_T0_E_clISt17integral_constantIbLb0EES18_IbLb1EEEEDaS14_S15_EUlS14_E_NS1_11comp_targetILNS1_3genE8ELNS1_11target_archE1030ELNS1_3gpuE2ELNS1_3repE0EEENS1_30default_config_static_selectorELNS0_4arch9wavefront6targetE1EEEvT1_
	.p2align	8
	.type	_ZN7rocprim17ROCPRIM_400000_NS6detail17trampoline_kernelINS0_14default_configENS1_25partition_config_selectorILNS1_17partition_subalgoE0EiNS0_10empty_typeEbEEZZNS1_14partition_implILS5_0ELb0ES3_jN6thrust23THRUST_200600_302600_NS6detail15normal_iteratorINSA_10device_ptrIiEEEEPS6_SG_NS0_5tupleIJNSA_16discard_iteratorINSA_11use_defaultEEESK_EEENSH_IJSG_SG_EEES6_PlJ7is_evenIiEEEE10hipError_tPvRmT3_T4_T5_T6_T7_T9_mT8_P12ihipStream_tbDpT10_ENKUlT_T0_E_clISt17integral_constantIbLb0EES18_IbLb1EEEEDaS14_S15_EUlS14_E_NS1_11comp_targetILNS1_3genE8ELNS1_11target_archE1030ELNS1_3gpuE2ELNS1_3repE0EEENS1_30default_config_static_selectorELNS0_4arch9wavefront6targetE1EEEvT1_,@function
_ZN7rocprim17ROCPRIM_400000_NS6detail17trampoline_kernelINS0_14default_configENS1_25partition_config_selectorILNS1_17partition_subalgoE0EiNS0_10empty_typeEbEEZZNS1_14partition_implILS5_0ELb0ES3_jN6thrust23THRUST_200600_302600_NS6detail15normal_iteratorINSA_10device_ptrIiEEEEPS6_SG_NS0_5tupleIJNSA_16discard_iteratorINSA_11use_defaultEEESK_EEENSH_IJSG_SG_EEES6_PlJ7is_evenIiEEEE10hipError_tPvRmT3_T4_T5_T6_T7_T9_mT8_P12ihipStream_tbDpT10_ENKUlT_T0_E_clISt17integral_constantIbLb0EES18_IbLb1EEEEDaS14_S15_EUlS14_E_NS1_11comp_targetILNS1_3genE8ELNS1_11target_archE1030ELNS1_3gpuE2ELNS1_3repE0EEENS1_30default_config_static_selectorELNS0_4arch9wavefront6targetE1EEEvT1_: ; @_ZN7rocprim17ROCPRIM_400000_NS6detail17trampoline_kernelINS0_14default_configENS1_25partition_config_selectorILNS1_17partition_subalgoE0EiNS0_10empty_typeEbEEZZNS1_14partition_implILS5_0ELb0ES3_jN6thrust23THRUST_200600_302600_NS6detail15normal_iteratorINSA_10device_ptrIiEEEEPS6_SG_NS0_5tupleIJNSA_16discard_iteratorINSA_11use_defaultEEESK_EEENSH_IJSG_SG_EEES6_PlJ7is_evenIiEEEE10hipError_tPvRmT3_T4_T5_T6_T7_T9_mT8_P12ihipStream_tbDpT10_ENKUlT_T0_E_clISt17integral_constantIbLb0EES18_IbLb1EEEEDaS14_S15_EUlS14_E_NS1_11comp_targetILNS1_3genE8ELNS1_11target_archE1030ELNS1_3gpuE2ELNS1_3repE0EEENS1_30default_config_static_selectorELNS0_4arch9wavefront6targetE1EEEvT1_
; %bb.0:
	.section	.rodata,"a",@progbits
	.p2align	6, 0x0
	.amdhsa_kernel _ZN7rocprim17ROCPRIM_400000_NS6detail17trampoline_kernelINS0_14default_configENS1_25partition_config_selectorILNS1_17partition_subalgoE0EiNS0_10empty_typeEbEEZZNS1_14partition_implILS5_0ELb0ES3_jN6thrust23THRUST_200600_302600_NS6detail15normal_iteratorINSA_10device_ptrIiEEEEPS6_SG_NS0_5tupleIJNSA_16discard_iteratorINSA_11use_defaultEEESK_EEENSH_IJSG_SG_EEES6_PlJ7is_evenIiEEEE10hipError_tPvRmT3_T4_T5_T6_T7_T9_mT8_P12ihipStream_tbDpT10_ENKUlT_T0_E_clISt17integral_constantIbLb0EES18_IbLb1EEEEDaS14_S15_EUlS14_E_NS1_11comp_targetILNS1_3genE8ELNS1_11target_archE1030ELNS1_3gpuE2ELNS1_3repE0EEENS1_30default_config_static_selectorELNS0_4arch9wavefront6targetE1EEEvT1_
		.amdhsa_group_segment_fixed_size 0
		.amdhsa_private_segment_fixed_size 0
		.amdhsa_kernarg_size 152
		.amdhsa_user_sgpr_count 6
		.amdhsa_user_sgpr_private_segment_buffer 1
		.amdhsa_user_sgpr_dispatch_ptr 0
		.amdhsa_user_sgpr_queue_ptr 0
		.amdhsa_user_sgpr_kernarg_segment_ptr 1
		.amdhsa_user_sgpr_dispatch_id 0
		.amdhsa_user_sgpr_flat_scratch_init 0
		.amdhsa_user_sgpr_kernarg_preload_length 0
		.amdhsa_user_sgpr_kernarg_preload_offset 0
		.amdhsa_user_sgpr_private_segment_size 0
		.amdhsa_uses_dynamic_stack 0
		.amdhsa_system_sgpr_private_segment_wavefront_offset 0
		.amdhsa_system_sgpr_workgroup_id_x 1
		.amdhsa_system_sgpr_workgroup_id_y 0
		.amdhsa_system_sgpr_workgroup_id_z 0
		.amdhsa_system_sgpr_workgroup_info 0
		.amdhsa_system_vgpr_workitem_id 0
		.amdhsa_next_free_vgpr 1
		.amdhsa_next_free_sgpr 0
		.amdhsa_accum_offset 4
		.amdhsa_reserve_vcc 0
		.amdhsa_reserve_flat_scratch 0
		.amdhsa_float_round_mode_32 0
		.amdhsa_float_round_mode_16_64 0
		.amdhsa_float_denorm_mode_32 3
		.amdhsa_float_denorm_mode_16_64 3
		.amdhsa_dx10_clamp 1
		.amdhsa_ieee_mode 1
		.amdhsa_fp16_overflow 0
		.amdhsa_tg_split 0
		.amdhsa_exception_fp_ieee_invalid_op 0
		.amdhsa_exception_fp_denorm_src 0
		.amdhsa_exception_fp_ieee_div_zero 0
		.amdhsa_exception_fp_ieee_overflow 0
		.amdhsa_exception_fp_ieee_underflow 0
		.amdhsa_exception_fp_ieee_inexact 0
		.amdhsa_exception_int_div_zero 0
	.end_amdhsa_kernel
	.section	.text._ZN7rocprim17ROCPRIM_400000_NS6detail17trampoline_kernelINS0_14default_configENS1_25partition_config_selectorILNS1_17partition_subalgoE0EiNS0_10empty_typeEbEEZZNS1_14partition_implILS5_0ELb0ES3_jN6thrust23THRUST_200600_302600_NS6detail15normal_iteratorINSA_10device_ptrIiEEEEPS6_SG_NS0_5tupleIJNSA_16discard_iteratorINSA_11use_defaultEEESK_EEENSH_IJSG_SG_EEES6_PlJ7is_evenIiEEEE10hipError_tPvRmT3_T4_T5_T6_T7_T9_mT8_P12ihipStream_tbDpT10_ENKUlT_T0_E_clISt17integral_constantIbLb0EES18_IbLb1EEEEDaS14_S15_EUlS14_E_NS1_11comp_targetILNS1_3genE8ELNS1_11target_archE1030ELNS1_3gpuE2ELNS1_3repE0EEENS1_30default_config_static_selectorELNS0_4arch9wavefront6targetE1EEEvT1_,"axG",@progbits,_ZN7rocprim17ROCPRIM_400000_NS6detail17trampoline_kernelINS0_14default_configENS1_25partition_config_selectorILNS1_17partition_subalgoE0EiNS0_10empty_typeEbEEZZNS1_14partition_implILS5_0ELb0ES3_jN6thrust23THRUST_200600_302600_NS6detail15normal_iteratorINSA_10device_ptrIiEEEEPS6_SG_NS0_5tupleIJNSA_16discard_iteratorINSA_11use_defaultEEESK_EEENSH_IJSG_SG_EEES6_PlJ7is_evenIiEEEE10hipError_tPvRmT3_T4_T5_T6_T7_T9_mT8_P12ihipStream_tbDpT10_ENKUlT_T0_E_clISt17integral_constantIbLb0EES18_IbLb1EEEEDaS14_S15_EUlS14_E_NS1_11comp_targetILNS1_3genE8ELNS1_11target_archE1030ELNS1_3gpuE2ELNS1_3repE0EEENS1_30default_config_static_selectorELNS0_4arch9wavefront6targetE1EEEvT1_,comdat
.Lfunc_end2714:
	.size	_ZN7rocprim17ROCPRIM_400000_NS6detail17trampoline_kernelINS0_14default_configENS1_25partition_config_selectorILNS1_17partition_subalgoE0EiNS0_10empty_typeEbEEZZNS1_14partition_implILS5_0ELb0ES3_jN6thrust23THRUST_200600_302600_NS6detail15normal_iteratorINSA_10device_ptrIiEEEEPS6_SG_NS0_5tupleIJNSA_16discard_iteratorINSA_11use_defaultEEESK_EEENSH_IJSG_SG_EEES6_PlJ7is_evenIiEEEE10hipError_tPvRmT3_T4_T5_T6_T7_T9_mT8_P12ihipStream_tbDpT10_ENKUlT_T0_E_clISt17integral_constantIbLb0EES18_IbLb1EEEEDaS14_S15_EUlS14_E_NS1_11comp_targetILNS1_3genE8ELNS1_11target_archE1030ELNS1_3gpuE2ELNS1_3repE0EEENS1_30default_config_static_selectorELNS0_4arch9wavefront6targetE1EEEvT1_, .Lfunc_end2714-_ZN7rocprim17ROCPRIM_400000_NS6detail17trampoline_kernelINS0_14default_configENS1_25partition_config_selectorILNS1_17partition_subalgoE0EiNS0_10empty_typeEbEEZZNS1_14partition_implILS5_0ELb0ES3_jN6thrust23THRUST_200600_302600_NS6detail15normal_iteratorINSA_10device_ptrIiEEEEPS6_SG_NS0_5tupleIJNSA_16discard_iteratorINSA_11use_defaultEEESK_EEENSH_IJSG_SG_EEES6_PlJ7is_evenIiEEEE10hipError_tPvRmT3_T4_T5_T6_T7_T9_mT8_P12ihipStream_tbDpT10_ENKUlT_T0_E_clISt17integral_constantIbLb0EES18_IbLb1EEEEDaS14_S15_EUlS14_E_NS1_11comp_targetILNS1_3genE8ELNS1_11target_archE1030ELNS1_3gpuE2ELNS1_3repE0EEENS1_30default_config_static_selectorELNS0_4arch9wavefront6targetE1EEEvT1_
                                        ; -- End function
	.section	.AMDGPU.csdata,"",@progbits
; Kernel info:
; codeLenInByte = 0
; NumSgprs: 4
; NumVgprs: 0
; NumAgprs: 0
; TotalNumVgprs: 0
; ScratchSize: 0
; MemoryBound: 0
; FloatMode: 240
; IeeeMode: 1
; LDSByteSize: 0 bytes/workgroup (compile time only)
; SGPRBlocks: 0
; VGPRBlocks: 0
; NumSGPRsForWavesPerEU: 4
; NumVGPRsForWavesPerEU: 1
; AccumOffset: 4
; Occupancy: 8
; WaveLimiterHint : 0
; COMPUTE_PGM_RSRC2:SCRATCH_EN: 0
; COMPUTE_PGM_RSRC2:USER_SGPR: 6
; COMPUTE_PGM_RSRC2:TRAP_HANDLER: 0
; COMPUTE_PGM_RSRC2:TGID_X_EN: 1
; COMPUTE_PGM_RSRC2:TGID_Y_EN: 0
; COMPUTE_PGM_RSRC2:TGID_Z_EN: 0
; COMPUTE_PGM_RSRC2:TIDIG_COMP_CNT: 0
; COMPUTE_PGM_RSRC3_GFX90A:ACCUM_OFFSET: 0
; COMPUTE_PGM_RSRC3_GFX90A:TG_SPLIT: 0
	.section	.text._ZN7rocprim17ROCPRIM_400000_NS6detail17trampoline_kernelINS0_14default_configENS1_25partition_config_selectorILNS1_17partition_subalgoE0EiNS0_10empty_typeEbEEZZNS1_14partition_implILS5_0ELb0ES3_jN6thrust23THRUST_200600_302600_NS6detail15normal_iteratorINSA_10device_ptrIiEEEEPS6_SG_NS0_5tupleIJSF_NSA_16discard_iteratorINSA_11use_defaultEEEEEENSH_IJSG_SG_EEES6_PlJ7is_evenIiEEEE10hipError_tPvRmT3_T4_T5_T6_T7_T9_mT8_P12ihipStream_tbDpT10_ENKUlT_T0_E_clISt17integral_constantIbLb0EES19_EEDaS14_S15_EUlS14_E_NS1_11comp_targetILNS1_3genE0ELNS1_11target_archE4294967295ELNS1_3gpuE0ELNS1_3repE0EEENS1_30default_config_static_selectorELNS0_4arch9wavefront6targetE1EEEvT1_,"axG",@progbits,_ZN7rocprim17ROCPRIM_400000_NS6detail17trampoline_kernelINS0_14default_configENS1_25partition_config_selectorILNS1_17partition_subalgoE0EiNS0_10empty_typeEbEEZZNS1_14partition_implILS5_0ELb0ES3_jN6thrust23THRUST_200600_302600_NS6detail15normal_iteratorINSA_10device_ptrIiEEEEPS6_SG_NS0_5tupleIJSF_NSA_16discard_iteratorINSA_11use_defaultEEEEEENSH_IJSG_SG_EEES6_PlJ7is_evenIiEEEE10hipError_tPvRmT3_T4_T5_T6_T7_T9_mT8_P12ihipStream_tbDpT10_ENKUlT_T0_E_clISt17integral_constantIbLb0EES19_EEDaS14_S15_EUlS14_E_NS1_11comp_targetILNS1_3genE0ELNS1_11target_archE4294967295ELNS1_3gpuE0ELNS1_3repE0EEENS1_30default_config_static_selectorELNS0_4arch9wavefront6targetE1EEEvT1_,comdat
	.protected	_ZN7rocprim17ROCPRIM_400000_NS6detail17trampoline_kernelINS0_14default_configENS1_25partition_config_selectorILNS1_17partition_subalgoE0EiNS0_10empty_typeEbEEZZNS1_14partition_implILS5_0ELb0ES3_jN6thrust23THRUST_200600_302600_NS6detail15normal_iteratorINSA_10device_ptrIiEEEEPS6_SG_NS0_5tupleIJSF_NSA_16discard_iteratorINSA_11use_defaultEEEEEENSH_IJSG_SG_EEES6_PlJ7is_evenIiEEEE10hipError_tPvRmT3_T4_T5_T6_T7_T9_mT8_P12ihipStream_tbDpT10_ENKUlT_T0_E_clISt17integral_constantIbLb0EES19_EEDaS14_S15_EUlS14_E_NS1_11comp_targetILNS1_3genE0ELNS1_11target_archE4294967295ELNS1_3gpuE0ELNS1_3repE0EEENS1_30default_config_static_selectorELNS0_4arch9wavefront6targetE1EEEvT1_ ; -- Begin function _ZN7rocprim17ROCPRIM_400000_NS6detail17trampoline_kernelINS0_14default_configENS1_25partition_config_selectorILNS1_17partition_subalgoE0EiNS0_10empty_typeEbEEZZNS1_14partition_implILS5_0ELb0ES3_jN6thrust23THRUST_200600_302600_NS6detail15normal_iteratorINSA_10device_ptrIiEEEEPS6_SG_NS0_5tupleIJSF_NSA_16discard_iteratorINSA_11use_defaultEEEEEENSH_IJSG_SG_EEES6_PlJ7is_evenIiEEEE10hipError_tPvRmT3_T4_T5_T6_T7_T9_mT8_P12ihipStream_tbDpT10_ENKUlT_T0_E_clISt17integral_constantIbLb0EES19_EEDaS14_S15_EUlS14_E_NS1_11comp_targetILNS1_3genE0ELNS1_11target_archE4294967295ELNS1_3gpuE0ELNS1_3repE0EEENS1_30default_config_static_selectorELNS0_4arch9wavefront6targetE1EEEvT1_
	.globl	_ZN7rocprim17ROCPRIM_400000_NS6detail17trampoline_kernelINS0_14default_configENS1_25partition_config_selectorILNS1_17partition_subalgoE0EiNS0_10empty_typeEbEEZZNS1_14partition_implILS5_0ELb0ES3_jN6thrust23THRUST_200600_302600_NS6detail15normal_iteratorINSA_10device_ptrIiEEEEPS6_SG_NS0_5tupleIJSF_NSA_16discard_iteratorINSA_11use_defaultEEEEEENSH_IJSG_SG_EEES6_PlJ7is_evenIiEEEE10hipError_tPvRmT3_T4_T5_T6_T7_T9_mT8_P12ihipStream_tbDpT10_ENKUlT_T0_E_clISt17integral_constantIbLb0EES19_EEDaS14_S15_EUlS14_E_NS1_11comp_targetILNS1_3genE0ELNS1_11target_archE4294967295ELNS1_3gpuE0ELNS1_3repE0EEENS1_30default_config_static_selectorELNS0_4arch9wavefront6targetE1EEEvT1_
	.p2align	8
	.type	_ZN7rocprim17ROCPRIM_400000_NS6detail17trampoline_kernelINS0_14default_configENS1_25partition_config_selectorILNS1_17partition_subalgoE0EiNS0_10empty_typeEbEEZZNS1_14partition_implILS5_0ELb0ES3_jN6thrust23THRUST_200600_302600_NS6detail15normal_iteratorINSA_10device_ptrIiEEEEPS6_SG_NS0_5tupleIJSF_NSA_16discard_iteratorINSA_11use_defaultEEEEEENSH_IJSG_SG_EEES6_PlJ7is_evenIiEEEE10hipError_tPvRmT3_T4_T5_T6_T7_T9_mT8_P12ihipStream_tbDpT10_ENKUlT_T0_E_clISt17integral_constantIbLb0EES19_EEDaS14_S15_EUlS14_E_NS1_11comp_targetILNS1_3genE0ELNS1_11target_archE4294967295ELNS1_3gpuE0ELNS1_3repE0EEENS1_30default_config_static_selectorELNS0_4arch9wavefront6targetE1EEEvT1_,@function
_ZN7rocprim17ROCPRIM_400000_NS6detail17trampoline_kernelINS0_14default_configENS1_25partition_config_selectorILNS1_17partition_subalgoE0EiNS0_10empty_typeEbEEZZNS1_14partition_implILS5_0ELb0ES3_jN6thrust23THRUST_200600_302600_NS6detail15normal_iteratorINSA_10device_ptrIiEEEEPS6_SG_NS0_5tupleIJSF_NSA_16discard_iteratorINSA_11use_defaultEEEEEENSH_IJSG_SG_EEES6_PlJ7is_evenIiEEEE10hipError_tPvRmT3_T4_T5_T6_T7_T9_mT8_P12ihipStream_tbDpT10_ENKUlT_T0_E_clISt17integral_constantIbLb0EES19_EEDaS14_S15_EUlS14_E_NS1_11comp_targetILNS1_3genE0ELNS1_11target_archE4294967295ELNS1_3gpuE0ELNS1_3repE0EEENS1_30default_config_static_selectorELNS0_4arch9wavefront6targetE1EEEvT1_: ; @_ZN7rocprim17ROCPRIM_400000_NS6detail17trampoline_kernelINS0_14default_configENS1_25partition_config_selectorILNS1_17partition_subalgoE0EiNS0_10empty_typeEbEEZZNS1_14partition_implILS5_0ELb0ES3_jN6thrust23THRUST_200600_302600_NS6detail15normal_iteratorINSA_10device_ptrIiEEEEPS6_SG_NS0_5tupleIJSF_NSA_16discard_iteratorINSA_11use_defaultEEEEEENSH_IJSG_SG_EEES6_PlJ7is_evenIiEEEE10hipError_tPvRmT3_T4_T5_T6_T7_T9_mT8_P12ihipStream_tbDpT10_ENKUlT_T0_E_clISt17integral_constantIbLb0EES19_EEDaS14_S15_EUlS14_E_NS1_11comp_targetILNS1_3genE0ELNS1_11target_archE4294967295ELNS1_3gpuE0ELNS1_3repE0EEENS1_30default_config_static_selectorELNS0_4arch9wavefront6targetE1EEEvT1_
; %bb.0:
	.section	.rodata,"a",@progbits
	.p2align	6, 0x0
	.amdhsa_kernel _ZN7rocprim17ROCPRIM_400000_NS6detail17trampoline_kernelINS0_14default_configENS1_25partition_config_selectorILNS1_17partition_subalgoE0EiNS0_10empty_typeEbEEZZNS1_14partition_implILS5_0ELb0ES3_jN6thrust23THRUST_200600_302600_NS6detail15normal_iteratorINSA_10device_ptrIiEEEEPS6_SG_NS0_5tupleIJSF_NSA_16discard_iteratorINSA_11use_defaultEEEEEENSH_IJSG_SG_EEES6_PlJ7is_evenIiEEEE10hipError_tPvRmT3_T4_T5_T6_T7_T9_mT8_P12ihipStream_tbDpT10_ENKUlT_T0_E_clISt17integral_constantIbLb0EES19_EEDaS14_S15_EUlS14_E_NS1_11comp_targetILNS1_3genE0ELNS1_11target_archE4294967295ELNS1_3gpuE0ELNS1_3repE0EEENS1_30default_config_static_selectorELNS0_4arch9wavefront6targetE1EEEvT1_
		.amdhsa_group_segment_fixed_size 0
		.amdhsa_private_segment_fixed_size 0
		.amdhsa_kernarg_size 128
		.amdhsa_user_sgpr_count 6
		.amdhsa_user_sgpr_private_segment_buffer 1
		.amdhsa_user_sgpr_dispatch_ptr 0
		.amdhsa_user_sgpr_queue_ptr 0
		.amdhsa_user_sgpr_kernarg_segment_ptr 1
		.amdhsa_user_sgpr_dispatch_id 0
		.amdhsa_user_sgpr_flat_scratch_init 0
		.amdhsa_user_sgpr_kernarg_preload_length 0
		.amdhsa_user_sgpr_kernarg_preload_offset 0
		.amdhsa_user_sgpr_private_segment_size 0
		.amdhsa_uses_dynamic_stack 0
		.amdhsa_system_sgpr_private_segment_wavefront_offset 0
		.amdhsa_system_sgpr_workgroup_id_x 1
		.amdhsa_system_sgpr_workgroup_id_y 0
		.amdhsa_system_sgpr_workgroup_id_z 0
		.amdhsa_system_sgpr_workgroup_info 0
		.amdhsa_system_vgpr_workitem_id 0
		.amdhsa_next_free_vgpr 1
		.amdhsa_next_free_sgpr 0
		.amdhsa_accum_offset 4
		.amdhsa_reserve_vcc 0
		.amdhsa_reserve_flat_scratch 0
		.amdhsa_float_round_mode_32 0
		.amdhsa_float_round_mode_16_64 0
		.amdhsa_float_denorm_mode_32 3
		.amdhsa_float_denorm_mode_16_64 3
		.amdhsa_dx10_clamp 1
		.amdhsa_ieee_mode 1
		.amdhsa_fp16_overflow 0
		.amdhsa_tg_split 0
		.amdhsa_exception_fp_ieee_invalid_op 0
		.amdhsa_exception_fp_denorm_src 0
		.amdhsa_exception_fp_ieee_div_zero 0
		.amdhsa_exception_fp_ieee_overflow 0
		.amdhsa_exception_fp_ieee_underflow 0
		.amdhsa_exception_fp_ieee_inexact 0
		.amdhsa_exception_int_div_zero 0
	.end_amdhsa_kernel
	.section	.text._ZN7rocprim17ROCPRIM_400000_NS6detail17trampoline_kernelINS0_14default_configENS1_25partition_config_selectorILNS1_17partition_subalgoE0EiNS0_10empty_typeEbEEZZNS1_14partition_implILS5_0ELb0ES3_jN6thrust23THRUST_200600_302600_NS6detail15normal_iteratorINSA_10device_ptrIiEEEEPS6_SG_NS0_5tupleIJSF_NSA_16discard_iteratorINSA_11use_defaultEEEEEENSH_IJSG_SG_EEES6_PlJ7is_evenIiEEEE10hipError_tPvRmT3_T4_T5_T6_T7_T9_mT8_P12ihipStream_tbDpT10_ENKUlT_T0_E_clISt17integral_constantIbLb0EES19_EEDaS14_S15_EUlS14_E_NS1_11comp_targetILNS1_3genE0ELNS1_11target_archE4294967295ELNS1_3gpuE0ELNS1_3repE0EEENS1_30default_config_static_selectorELNS0_4arch9wavefront6targetE1EEEvT1_,"axG",@progbits,_ZN7rocprim17ROCPRIM_400000_NS6detail17trampoline_kernelINS0_14default_configENS1_25partition_config_selectorILNS1_17partition_subalgoE0EiNS0_10empty_typeEbEEZZNS1_14partition_implILS5_0ELb0ES3_jN6thrust23THRUST_200600_302600_NS6detail15normal_iteratorINSA_10device_ptrIiEEEEPS6_SG_NS0_5tupleIJSF_NSA_16discard_iteratorINSA_11use_defaultEEEEEENSH_IJSG_SG_EEES6_PlJ7is_evenIiEEEE10hipError_tPvRmT3_T4_T5_T6_T7_T9_mT8_P12ihipStream_tbDpT10_ENKUlT_T0_E_clISt17integral_constantIbLb0EES19_EEDaS14_S15_EUlS14_E_NS1_11comp_targetILNS1_3genE0ELNS1_11target_archE4294967295ELNS1_3gpuE0ELNS1_3repE0EEENS1_30default_config_static_selectorELNS0_4arch9wavefront6targetE1EEEvT1_,comdat
.Lfunc_end2715:
	.size	_ZN7rocprim17ROCPRIM_400000_NS6detail17trampoline_kernelINS0_14default_configENS1_25partition_config_selectorILNS1_17partition_subalgoE0EiNS0_10empty_typeEbEEZZNS1_14partition_implILS5_0ELb0ES3_jN6thrust23THRUST_200600_302600_NS6detail15normal_iteratorINSA_10device_ptrIiEEEEPS6_SG_NS0_5tupleIJSF_NSA_16discard_iteratorINSA_11use_defaultEEEEEENSH_IJSG_SG_EEES6_PlJ7is_evenIiEEEE10hipError_tPvRmT3_T4_T5_T6_T7_T9_mT8_P12ihipStream_tbDpT10_ENKUlT_T0_E_clISt17integral_constantIbLb0EES19_EEDaS14_S15_EUlS14_E_NS1_11comp_targetILNS1_3genE0ELNS1_11target_archE4294967295ELNS1_3gpuE0ELNS1_3repE0EEENS1_30default_config_static_selectorELNS0_4arch9wavefront6targetE1EEEvT1_, .Lfunc_end2715-_ZN7rocprim17ROCPRIM_400000_NS6detail17trampoline_kernelINS0_14default_configENS1_25partition_config_selectorILNS1_17partition_subalgoE0EiNS0_10empty_typeEbEEZZNS1_14partition_implILS5_0ELb0ES3_jN6thrust23THRUST_200600_302600_NS6detail15normal_iteratorINSA_10device_ptrIiEEEEPS6_SG_NS0_5tupleIJSF_NSA_16discard_iteratorINSA_11use_defaultEEEEEENSH_IJSG_SG_EEES6_PlJ7is_evenIiEEEE10hipError_tPvRmT3_T4_T5_T6_T7_T9_mT8_P12ihipStream_tbDpT10_ENKUlT_T0_E_clISt17integral_constantIbLb0EES19_EEDaS14_S15_EUlS14_E_NS1_11comp_targetILNS1_3genE0ELNS1_11target_archE4294967295ELNS1_3gpuE0ELNS1_3repE0EEENS1_30default_config_static_selectorELNS0_4arch9wavefront6targetE1EEEvT1_
                                        ; -- End function
	.section	.AMDGPU.csdata,"",@progbits
; Kernel info:
; codeLenInByte = 0
; NumSgprs: 4
; NumVgprs: 0
; NumAgprs: 0
; TotalNumVgprs: 0
; ScratchSize: 0
; MemoryBound: 0
; FloatMode: 240
; IeeeMode: 1
; LDSByteSize: 0 bytes/workgroup (compile time only)
; SGPRBlocks: 0
; VGPRBlocks: 0
; NumSGPRsForWavesPerEU: 4
; NumVGPRsForWavesPerEU: 1
; AccumOffset: 4
; Occupancy: 8
; WaveLimiterHint : 0
; COMPUTE_PGM_RSRC2:SCRATCH_EN: 0
; COMPUTE_PGM_RSRC2:USER_SGPR: 6
; COMPUTE_PGM_RSRC2:TRAP_HANDLER: 0
; COMPUTE_PGM_RSRC2:TGID_X_EN: 1
; COMPUTE_PGM_RSRC2:TGID_Y_EN: 0
; COMPUTE_PGM_RSRC2:TGID_Z_EN: 0
; COMPUTE_PGM_RSRC2:TIDIG_COMP_CNT: 0
; COMPUTE_PGM_RSRC3_GFX90A:ACCUM_OFFSET: 0
; COMPUTE_PGM_RSRC3_GFX90A:TG_SPLIT: 0
	.section	.text._ZN7rocprim17ROCPRIM_400000_NS6detail17trampoline_kernelINS0_14default_configENS1_25partition_config_selectorILNS1_17partition_subalgoE0EiNS0_10empty_typeEbEEZZNS1_14partition_implILS5_0ELb0ES3_jN6thrust23THRUST_200600_302600_NS6detail15normal_iteratorINSA_10device_ptrIiEEEEPS6_SG_NS0_5tupleIJSF_NSA_16discard_iteratorINSA_11use_defaultEEEEEENSH_IJSG_SG_EEES6_PlJ7is_evenIiEEEE10hipError_tPvRmT3_T4_T5_T6_T7_T9_mT8_P12ihipStream_tbDpT10_ENKUlT_T0_E_clISt17integral_constantIbLb0EES19_EEDaS14_S15_EUlS14_E_NS1_11comp_targetILNS1_3genE5ELNS1_11target_archE942ELNS1_3gpuE9ELNS1_3repE0EEENS1_30default_config_static_selectorELNS0_4arch9wavefront6targetE1EEEvT1_,"axG",@progbits,_ZN7rocprim17ROCPRIM_400000_NS6detail17trampoline_kernelINS0_14default_configENS1_25partition_config_selectorILNS1_17partition_subalgoE0EiNS0_10empty_typeEbEEZZNS1_14partition_implILS5_0ELb0ES3_jN6thrust23THRUST_200600_302600_NS6detail15normal_iteratorINSA_10device_ptrIiEEEEPS6_SG_NS0_5tupleIJSF_NSA_16discard_iteratorINSA_11use_defaultEEEEEENSH_IJSG_SG_EEES6_PlJ7is_evenIiEEEE10hipError_tPvRmT3_T4_T5_T6_T7_T9_mT8_P12ihipStream_tbDpT10_ENKUlT_T0_E_clISt17integral_constantIbLb0EES19_EEDaS14_S15_EUlS14_E_NS1_11comp_targetILNS1_3genE5ELNS1_11target_archE942ELNS1_3gpuE9ELNS1_3repE0EEENS1_30default_config_static_selectorELNS0_4arch9wavefront6targetE1EEEvT1_,comdat
	.protected	_ZN7rocprim17ROCPRIM_400000_NS6detail17trampoline_kernelINS0_14default_configENS1_25partition_config_selectorILNS1_17partition_subalgoE0EiNS0_10empty_typeEbEEZZNS1_14partition_implILS5_0ELb0ES3_jN6thrust23THRUST_200600_302600_NS6detail15normal_iteratorINSA_10device_ptrIiEEEEPS6_SG_NS0_5tupleIJSF_NSA_16discard_iteratorINSA_11use_defaultEEEEEENSH_IJSG_SG_EEES6_PlJ7is_evenIiEEEE10hipError_tPvRmT3_T4_T5_T6_T7_T9_mT8_P12ihipStream_tbDpT10_ENKUlT_T0_E_clISt17integral_constantIbLb0EES19_EEDaS14_S15_EUlS14_E_NS1_11comp_targetILNS1_3genE5ELNS1_11target_archE942ELNS1_3gpuE9ELNS1_3repE0EEENS1_30default_config_static_selectorELNS0_4arch9wavefront6targetE1EEEvT1_ ; -- Begin function _ZN7rocprim17ROCPRIM_400000_NS6detail17trampoline_kernelINS0_14default_configENS1_25partition_config_selectorILNS1_17partition_subalgoE0EiNS0_10empty_typeEbEEZZNS1_14partition_implILS5_0ELb0ES3_jN6thrust23THRUST_200600_302600_NS6detail15normal_iteratorINSA_10device_ptrIiEEEEPS6_SG_NS0_5tupleIJSF_NSA_16discard_iteratorINSA_11use_defaultEEEEEENSH_IJSG_SG_EEES6_PlJ7is_evenIiEEEE10hipError_tPvRmT3_T4_T5_T6_T7_T9_mT8_P12ihipStream_tbDpT10_ENKUlT_T0_E_clISt17integral_constantIbLb0EES19_EEDaS14_S15_EUlS14_E_NS1_11comp_targetILNS1_3genE5ELNS1_11target_archE942ELNS1_3gpuE9ELNS1_3repE0EEENS1_30default_config_static_selectorELNS0_4arch9wavefront6targetE1EEEvT1_
	.globl	_ZN7rocprim17ROCPRIM_400000_NS6detail17trampoline_kernelINS0_14default_configENS1_25partition_config_selectorILNS1_17partition_subalgoE0EiNS0_10empty_typeEbEEZZNS1_14partition_implILS5_0ELb0ES3_jN6thrust23THRUST_200600_302600_NS6detail15normal_iteratorINSA_10device_ptrIiEEEEPS6_SG_NS0_5tupleIJSF_NSA_16discard_iteratorINSA_11use_defaultEEEEEENSH_IJSG_SG_EEES6_PlJ7is_evenIiEEEE10hipError_tPvRmT3_T4_T5_T6_T7_T9_mT8_P12ihipStream_tbDpT10_ENKUlT_T0_E_clISt17integral_constantIbLb0EES19_EEDaS14_S15_EUlS14_E_NS1_11comp_targetILNS1_3genE5ELNS1_11target_archE942ELNS1_3gpuE9ELNS1_3repE0EEENS1_30default_config_static_selectorELNS0_4arch9wavefront6targetE1EEEvT1_
	.p2align	8
	.type	_ZN7rocprim17ROCPRIM_400000_NS6detail17trampoline_kernelINS0_14default_configENS1_25partition_config_selectorILNS1_17partition_subalgoE0EiNS0_10empty_typeEbEEZZNS1_14partition_implILS5_0ELb0ES3_jN6thrust23THRUST_200600_302600_NS6detail15normal_iteratorINSA_10device_ptrIiEEEEPS6_SG_NS0_5tupleIJSF_NSA_16discard_iteratorINSA_11use_defaultEEEEEENSH_IJSG_SG_EEES6_PlJ7is_evenIiEEEE10hipError_tPvRmT3_T4_T5_T6_T7_T9_mT8_P12ihipStream_tbDpT10_ENKUlT_T0_E_clISt17integral_constantIbLb0EES19_EEDaS14_S15_EUlS14_E_NS1_11comp_targetILNS1_3genE5ELNS1_11target_archE942ELNS1_3gpuE9ELNS1_3repE0EEENS1_30default_config_static_selectorELNS0_4arch9wavefront6targetE1EEEvT1_,@function
_ZN7rocprim17ROCPRIM_400000_NS6detail17trampoline_kernelINS0_14default_configENS1_25partition_config_selectorILNS1_17partition_subalgoE0EiNS0_10empty_typeEbEEZZNS1_14partition_implILS5_0ELb0ES3_jN6thrust23THRUST_200600_302600_NS6detail15normal_iteratorINSA_10device_ptrIiEEEEPS6_SG_NS0_5tupleIJSF_NSA_16discard_iteratorINSA_11use_defaultEEEEEENSH_IJSG_SG_EEES6_PlJ7is_evenIiEEEE10hipError_tPvRmT3_T4_T5_T6_T7_T9_mT8_P12ihipStream_tbDpT10_ENKUlT_T0_E_clISt17integral_constantIbLb0EES19_EEDaS14_S15_EUlS14_E_NS1_11comp_targetILNS1_3genE5ELNS1_11target_archE942ELNS1_3gpuE9ELNS1_3repE0EEENS1_30default_config_static_selectorELNS0_4arch9wavefront6targetE1EEEvT1_: ; @_ZN7rocprim17ROCPRIM_400000_NS6detail17trampoline_kernelINS0_14default_configENS1_25partition_config_selectorILNS1_17partition_subalgoE0EiNS0_10empty_typeEbEEZZNS1_14partition_implILS5_0ELb0ES3_jN6thrust23THRUST_200600_302600_NS6detail15normal_iteratorINSA_10device_ptrIiEEEEPS6_SG_NS0_5tupleIJSF_NSA_16discard_iteratorINSA_11use_defaultEEEEEENSH_IJSG_SG_EEES6_PlJ7is_evenIiEEEE10hipError_tPvRmT3_T4_T5_T6_T7_T9_mT8_P12ihipStream_tbDpT10_ENKUlT_T0_E_clISt17integral_constantIbLb0EES19_EEDaS14_S15_EUlS14_E_NS1_11comp_targetILNS1_3genE5ELNS1_11target_archE942ELNS1_3gpuE9ELNS1_3repE0EEENS1_30default_config_static_selectorELNS0_4arch9wavefront6targetE1EEEvT1_
; %bb.0:
	.section	.rodata,"a",@progbits
	.p2align	6, 0x0
	.amdhsa_kernel _ZN7rocprim17ROCPRIM_400000_NS6detail17trampoline_kernelINS0_14default_configENS1_25partition_config_selectorILNS1_17partition_subalgoE0EiNS0_10empty_typeEbEEZZNS1_14partition_implILS5_0ELb0ES3_jN6thrust23THRUST_200600_302600_NS6detail15normal_iteratorINSA_10device_ptrIiEEEEPS6_SG_NS0_5tupleIJSF_NSA_16discard_iteratorINSA_11use_defaultEEEEEENSH_IJSG_SG_EEES6_PlJ7is_evenIiEEEE10hipError_tPvRmT3_T4_T5_T6_T7_T9_mT8_P12ihipStream_tbDpT10_ENKUlT_T0_E_clISt17integral_constantIbLb0EES19_EEDaS14_S15_EUlS14_E_NS1_11comp_targetILNS1_3genE5ELNS1_11target_archE942ELNS1_3gpuE9ELNS1_3repE0EEENS1_30default_config_static_selectorELNS0_4arch9wavefront6targetE1EEEvT1_
		.amdhsa_group_segment_fixed_size 0
		.amdhsa_private_segment_fixed_size 0
		.amdhsa_kernarg_size 128
		.amdhsa_user_sgpr_count 6
		.amdhsa_user_sgpr_private_segment_buffer 1
		.amdhsa_user_sgpr_dispatch_ptr 0
		.amdhsa_user_sgpr_queue_ptr 0
		.amdhsa_user_sgpr_kernarg_segment_ptr 1
		.amdhsa_user_sgpr_dispatch_id 0
		.amdhsa_user_sgpr_flat_scratch_init 0
		.amdhsa_user_sgpr_kernarg_preload_length 0
		.amdhsa_user_sgpr_kernarg_preload_offset 0
		.amdhsa_user_sgpr_private_segment_size 0
		.amdhsa_uses_dynamic_stack 0
		.amdhsa_system_sgpr_private_segment_wavefront_offset 0
		.amdhsa_system_sgpr_workgroup_id_x 1
		.amdhsa_system_sgpr_workgroup_id_y 0
		.amdhsa_system_sgpr_workgroup_id_z 0
		.amdhsa_system_sgpr_workgroup_info 0
		.amdhsa_system_vgpr_workitem_id 0
		.amdhsa_next_free_vgpr 1
		.amdhsa_next_free_sgpr 0
		.amdhsa_accum_offset 4
		.amdhsa_reserve_vcc 0
		.amdhsa_reserve_flat_scratch 0
		.amdhsa_float_round_mode_32 0
		.amdhsa_float_round_mode_16_64 0
		.amdhsa_float_denorm_mode_32 3
		.amdhsa_float_denorm_mode_16_64 3
		.amdhsa_dx10_clamp 1
		.amdhsa_ieee_mode 1
		.amdhsa_fp16_overflow 0
		.amdhsa_tg_split 0
		.amdhsa_exception_fp_ieee_invalid_op 0
		.amdhsa_exception_fp_denorm_src 0
		.amdhsa_exception_fp_ieee_div_zero 0
		.amdhsa_exception_fp_ieee_overflow 0
		.amdhsa_exception_fp_ieee_underflow 0
		.amdhsa_exception_fp_ieee_inexact 0
		.amdhsa_exception_int_div_zero 0
	.end_amdhsa_kernel
	.section	.text._ZN7rocprim17ROCPRIM_400000_NS6detail17trampoline_kernelINS0_14default_configENS1_25partition_config_selectorILNS1_17partition_subalgoE0EiNS0_10empty_typeEbEEZZNS1_14partition_implILS5_0ELb0ES3_jN6thrust23THRUST_200600_302600_NS6detail15normal_iteratorINSA_10device_ptrIiEEEEPS6_SG_NS0_5tupleIJSF_NSA_16discard_iteratorINSA_11use_defaultEEEEEENSH_IJSG_SG_EEES6_PlJ7is_evenIiEEEE10hipError_tPvRmT3_T4_T5_T6_T7_T9_mT8_P12ihipStream_tbDpT10_ENKUlT_T0_E_clISt17integral_constantIbLb0EES19_EEDaS14_S15_EUlS14_E_NS1_11comp_targetILNS1_3genE5ELNS1_11target_archE942ELNS1_3gpuE9ELNS1_3repE0EEENS1_30default_config_static_selectorELNS0_4arch9wavefront6targetE1EEEvT1_,"axG",@progbits,_ZN7rocprim17ROCPRIM_400000_NS6detail17trampoline_kernelINS0_14default_configENS1_25partition_config_selectorILNS1_17partition_subalgoE0EiNS0_10empty_typeEbEEZZNS1_14partition_implILS5_0ELb0ES3_jN6thrust23THRUST_200600_302600_NS6detail15normal_iteratorINSA_10device_ptrIiEEEEPS6_SG_NS0_5tupleIJSF_NSA_16discard_iteratorINSA_11use_defaultEEEEEENSH_IJSG_SG_EEES6_PlJ7is_evenIiEEEE10hipError_tPvRmT3_T4_T5_T6_T7_T9_mT8_P12ihipStream_tbDpT10_ENKUlT_T0_E_clISt17integral_constantIbLb0EES19_EEDaS14_S15_EUlS14_E_NS1_11comp_targetILNS1_3genE5ELNS1_11target_archE942ELNS1_3gpuE9ELNS1_3repE0EEENS1_30default_config_static_selectorELNS0_4arch9wavefront6targetE1EEEvT1_,comdat
.Lfunc_end2716:
	.size	_ZN7rocprim17ROCPRIM_400000_NS6detail17trampoline_kernelINS0_14default_configENS1_25partition_config_selectorILNS1_17partition_subalgoE0EiNS0_10empty_typeEbEEZZNS1_14partition_implILS5_0ELb0ES3_jN6thrust23THRUST_200600_302600_NS6detail15normal_iteratorINSA_10device_ptrIiEEEEPS6_SG_NS0_5tupleIJSF_NSA_16discard_iteratorINSA_11use_defaultEEEEEENSH_IJSG_SG_EEES6_PlJ7is_evenIiEEEE10hipError_tPvRmT3_T4_T5_T6_T7_T9_mT8_P12ihipStream_tbDpT10_ENKUlT_T0_E_clISt17integral_constantIbLb0EES19_EEDaS14_S15_EUlS14_E_NS1_11comp_targetILNS1_3genE5ELNS1_11target_archE942ELNS1_3gpuE9ELNS1_3repE0EEENS1_30default_config_static_selectorELNS0_4arch9wavefront6targetE1EEEvT1_, .Lfunc_end2716-_ZN7rocprim17ROCPRIM_400000_NS6detail17trampoline_kernelINS0_14default_configENS1_25partition_config_selectorILNS1_17partition_subalgoE0EiNS0_10empty_typeEbEEZZNS1_14partition_implILS5_0ELb0ES3_jN6thrust23THRUST_200600_302600_NS6detail15normal_iteratorINSA_10device_ptrIiEEEEPS6_SG_NS0_5tupleIJSF_NSA_16discard_iteratorINSA_11use_defaultEEEEEENSH_IJSG_SG_EEES6_PlJ7is_evenIiEEEE10hipError_tPvRmT3_T4_T5_T6_T7_T9_mT8_P12ihipStream_tbDpT10_ENKUlT_T0_E_clISt17integral_constantIbLb0EES19_EEDaS14_S15_EUlS14_E_NS1_11comp_targetILNS1_3genE5ELNS1_11target_archE942ELNS1_3gpuE9ELNS1_3repE0EEENS1_30default_config_static_selectorELNS0_4arch9wavefront6targetE1EEEvT1_
                                        ; -- End function
	.section	.AMDGPU.csdata,"",@progbits
; Kernel info:
; codeLenInByte = 0
; NumSgprs: 4
; NumVgprs: 0
; NumAgprs: 0
; TotalNumVgprs: 0
; ScratchSize: 0
; MemoryBound: 0
; FloatMode: 240
; IeeeMode: 1
; LDSByteSize: 0 bytes/workgroup (compile time only)
; SGPRBlocks: 0
; VGPRBlocks: 0
; NumSGPRsForWavesPerEU: 4
; NumVGPRsForWavesPerEU: 1
; AccumOffset: 4
; Occupancy: 8
; WaveLimiterHint : 0
; COMPUTE_PGM_RSRC2:SCRATCH_EN: 0
; COMPUTE_PGM_RSRC2:USER_SGPR: 6
; COMPUTE_PGM_RSRC2:TRAP_HANDLER: 0
; COMPUTE_PGM_RSRC2:TGID_X_EN: 1
; COMPUTE_PGM_RSRC2:TGID_Y_EN: 0
; COMPUTE_PGM_RSRC2:TGID_Z_EN: 0
; COMPUTE_PGM_RSRC2:TIDIG_COMP_CNT: 0
; COMPUTE_PGM_RSRC3_GFX90A:ACCUM_OFFSET: 0
; COMPUTE_PGM_RSRC3_GFX90A:TG_SPLIT: 0
	.section	.text._ZN7rocprim17ROCPRIM_400000_NS6detail17trampoline_kernelINS0_14default_configENS1_25partition_config_selectorILNS1_17partition_subalgoE0EiNS0_10empty_typeEbEEZZNS1_14partition_implILS5_0ELb0ES3_jN6thrust23THRUST_200600_302600_NS6detail15normal_iteratorINSA_10device_ptrIiEEEEPS6_SG_NS0_5tupleIJSF_NSA_16discard_iteratorINSA_11use_defaultEEEEEENSH_IJSG_SG_EEES6_PlJ7is_evenIiEEEE10hipError_tPvRmT3_T4_T5_T6_T7_T9_mT8_P12ihipStream_tbDpT10_ENKUlT_T0_E_clISt17integral_constantIbLb0EES19_EEDaS14_S15_EUlS14_E_NS1_11comp_targetILNS1_3genE4ELNS1_11target_archE910ELNS1_3gpuE8ELNS1_3repE0EEENS1_30default_config_static_selectorELNS0_4arch9wavefront6targetE1EEEvT1_,"axG",@progbits,_ZN7rocprim17ROCPRIM_400000_NS6detail17trampoline_kernelINS0_14default_configENS1_25partition_config_selectorILNS1_17partition_subalgoE0EiNS0_10empty_typeEbEEZZNS1_14partition_implILS5_0ELb0ES3_jN6thrust23THRUST_200600_302600_NS6detail15normal_iteratorINSA_10device_ptrIiEEEEPS6_SG_NS0_5tupleIJSF_NSA_16discard_iteratorINSA_11use_defaultEEEEEENSH_IJSG_SG_EEES6_PlJ7is_evenIiEEEE10hipError_tPvRmT3_T4_T5_T6_T7_T9_mT8_P12ihipStream_tbDpT10_ENKUlT_T0_E_clISt17integral_constantIbLb0EES19_EEDaS14_S15_EUlS14_E_NS1_11comp_targetILNS1_3genE4ELNS1_11target_archE910ELNS1_3gpuE8ELNS1_3repE0EEENS1_30default_config_static_selectorELNS0_4arch9wavefront6targetE1EEEvT1_,comdat
	.protected	_ZN7rocprim17ROCPRIM_400000_NS6detail17trampoline_kernelINS0_14default_configENS1_25partition_config_selectorILNS1_17partition_subalgoE0EiNS0_10empty_typeEbEEZZNS1_14partition_implILS5_0ELb0ES3_jN6thrust23THRUST_200600_302600_NS6detail15normal_iteratorINSA_10device_ptrIiEEEEPS6_SG_NS0_5tupleIJSF_NSA_16discard_iteratorINSA_11use_defaultEEEEEENSH_IJSG_SG_EEES6_PlJ7is_evenIiEEEE10hipError_tPvRmT3_T4_T5_T6_T7_T9_mT8_P12ihipStream_tbDpT10_ENKUlT_T0_E_clISt17integral_constantIbLb0EES19_EEDaS14_S15_EUlS14_E_NS1_11comp_targetILNS1_3genE4ELNS1_11target_archE910ELNS1_3gpuE8ELNS1_3repE0EEENS1_30default_config_static_selectorELNS0_4arch9wavefront6targetE1EEEvT1_ ; -- Begin function _ZN7rocprim17ROCPRIM_400000_NS6detail17trampoline_kernelINS0_14default_configENS1_25partition_config_selectorILNS1_17partition_subalgoE0EiNS0_10empty_typeEbEEZZNS1_14partition_implILS5_0ELb0ES3_jN6thrust23THRUST_200600_302600_NS6detail15normal_iteratorINSA_10device_ptrIiEEEEPS6_SG_NS0_5tupleIJSF_NSA_16discard_iteratorINSA_11use_defaultEEEEEENSH_IJSG_SG_EEES6_PlJ7is_evenIiEEEE10hipError_tPvRmT3_T4_T5_T6_T7_T9_mT8_P12ihipStream_tbDpT10_ENKUlT_T0_E_clISt17integral_constantIbLb0EES19_EEDaS14_S15_EUlS14_E_NS1_11comp_targetILNS1_3genE4ELNS1_11target_archE910ELNS1_3gpuE8ELNS1_3repE0EEENS1_30default_config_static_selectorELNS0_4arch9wavefront6targetE1EEEvT1_
	.globl	_ZN7rocprim17ROCPRIM_400000_NS6detail17trampoline_kernelINS0_14default_configENS1_25partition_config_selectorILNS1_17partition_subalgoE0EiNS0_10empty_typeEbEEZZNS1_14partition_implILS5_0ELb0ES3_jN6thrust23THRUST_200600_302600_NS6detail15normal_iteratorINSA_10device_ptrIiEEEEPS6_SG_NS0_5tupleIJSF_NSA_16discard_iteratorINSA_11use_defaultEEEEEENSH_IJSG_SG_EEES6_PlJ7is_evenIiEEEE10hipError_tPvRmT3_T4_T5_T6_T7_T9_mT8_P12ihipStream_tbDpT10_ENKUlT_T0_E_clISt17integral_constantIbLb0EES19_EEDaS14_S15_EUlS14_E_NS1_11comp_targetILNS1_3genE4ELNS1_11target_archE910ELNS1_3gpuE8ELNS1_3repE0EEENS1_30default_config_static_selectorELNS0_4arch9wavefront6targetE1EEEvT1_
	.p2align	8
	.type	_ZN7rocprim17ROCPRIM_400000_NS6detail17trampoline_kernelINS0_14default_configENS1_25partition_config_selectorILNS1_17partition_subalgoE0EiNS0_10empty_typeEbEEZZNS1_14partition_implILS5_0ELb0ES3_jN6thrust23THRUST_200600_302600_NS6detail15normal_iteratorINSA_10device_ptrIiEEEEPS6_SG_NS0_5tupleIJSF_NSA_16discard_iteratorINSA_11use_defaultEEEEEENSH_IJSG_SG_EEES6_PlJ7is_evenIiEEEE10hipError_tPvRmT3_T4_T5_T6_T7_T9_mT8_P12ihipStream_tbDpT10_ENKUlT_T0_E_clISt17integral_constantIbLb0EES19_EEDaS14_S15_EUlS14_E_NS1_11comp_targetILNS1_3genE4ELNS1_11target_archE910ELNS1_3gpuE8ELNS1_3repE0EEENS1_30default_config_static_selectorELNS0_4arch9wavefront6targetE1EEEvT1_,@function
_ZN7rocprim17ROCPRIM_400000_NS6detail17trampoline_kernelINS0_14default_configENS1_25partition_config_selectorILNS1_17partition_subalgoE0EiNS0_10empty_typeEbEEZZNS1_14partition_implILS5_0ELb0ES3_jN6thrust23THRUST_200600_302600_NS6detail15normal_iteratorINSA_10device_ptrIiEEEEPS6_SG_NS0_5tupleIJSF_NSA_16discard_iteratorINSA_11use_defaultEEEEEENSH_IJSG_SG_EEES6_PlJ7is_evenIiEEEE10hipError_tPvRmT3_T4_T5_T6_T7_T9_mT8_P12ihipStream_tbDpT10_ENKUlT_T0_E_clISt17integral_constantIbLb0EES19_EEDaS14_S15_EUlS14_E_NS1_11comp_targetILNS1_3genE4ELNS1_11target_archE910ELNS1_3gpuE8ELNS1_3repE0EEENS1_30default_config_static_selectorELNS0_4arch9wavefront6targetE1EEEvT1_: ; @_ZN7rocprim17ROCPRIM_400000_NS6detail17trampoline_kernelINS0_14default_configENS1_25partition_config_selectorILNS1_17partition_subalgoE0EiNS0_10empty_typeEbEEZZNS1_14partition_implILS5_0ELb0ES3_jN6thrust23THRUST_200600_302600_NS6detail15normal_iteratorINSA_10device_ptrIiEEEEPS6_SG_NS0_5tupleIJSF_NSA_16discard_iteratorINSA_11use_defaultEEEEEENSH_IJSG_SG_EEES6_PlJ7is_evenIiEEEE10hipError_tPvRmT3_T4_T5_T6_T7_T9_mT8_P12ihipStream_tbDpT10_ENKUlT_T0_E_clISt17integral_constantIbLb0EES19_EEDaS14_S15_EUlS14_E_NS1_11comp_targetILNS1_3genE4ELNS1_11target_archE910ELNS1_3gpuE8ELNS1_3repE0EEENS1_30default_config_static_selectorELNS0_4arch9wavefront6targetE1EEEvT1_
; %bb.0:
	s_load_dwordx2 s[8:9], s[4:5], 0x60
	s_load_dwordx4 s[0:3], s[4:5], 0x8
	s_load_dwordx4 s[24:27], s[4:5], 0x50
	s_load_dword s7, s[4:5], 0x78
	v_lshlrev_b32_e32 v1, 2, v0
	s_waitcnt lgkmcnt(0)
	v_mov_b32_e32 v3, s9
	s_lshl_b64 s[10:11], s[2:3], 2
	s_add_u32 s9, s0, s10
	s_addc_u32 s10, s1, s11
	s_add_i32 s11, s7, -1
	s_mulk_i32 s7, 0xa00
	s_add_i32 s1, s7, s2
	s_sub_i32 s33, s8, s1
	s_add_u32 s2, s2, s7
	s_addc_u32 s3, s3, 0
	s_cmp_eq_u32 s6, s11
	v_mov_b32_e32 v2, s8
	s_load_dwordx2 s[22:23], s[26:27], 0x0
	s_cselect_b64 s[26:27], -1, 0
	s_cmp_lg_u32 s6, s11
	s_mul_i32 s0, s6, 0xa00
	s_mov_b32 s1, 0
	v_cmp_lt_u64_e32 vcc, s[2:3], v[2:3]
	s_cselect_b64 s[2:3], -1, 0
	s_or_b64 s[2:3], s[2:3], vcc
	s_lshl_b64 s[0:1], s[0:1], 2
	s_add_u32 s7, s9, s0
	s_addc_u32 s8, s10, s1
	s_mov_b64 s[0:1], -1
	s_and_b64 vcc, exec, s[2:3]
	s_cbranch_vccz .LBB2717_2
; %bb.1:
	v_mov_b32_e32 v3, s8
	v_add_co_u32_e32 v2, vcc, s7, v1
	v_addc_co_u32_e32 v3, vcc, 0, v3, vcc
	v_add_co_u32_e32 v4, vcc, 0x1000, v2
	v_addc_co_u32_e32 v5, vcc, 0, v3, vcc
	flat_load_dword v6, v[2:3]
	flat_load_dword v7, v[2:3] offset:1024
	flat_load_dword v8, v[2:3] offset:2048
	flat_load_dword v9, v[2:3] offset:3072
	flat_load_dword v10, v[4:5]
	flat_load_dword v11, v[4:5] offset:1024
	flat_load_dword v12, v[4:5] offset:2048
	;; [unrolled: 1-line block ×3, first 2 shown]
	v_add_co_u32_e32 v2, vcc, 0x2000, v2
	v_addc_co_u32_e32 v3, vcc, 0, v3, vcc
	flat_load_dword v4, v[2:3]
	flat_load_dword v5, v[2:3] offset:1024
	s_mov_b64 s[0:1], 0
	s_waitcnt vmcnt(0) lgkmcnt(0)
	ds_write2st64_b32 v1, v6, v7 offset1:4
	ds_write2st64_b32 v1, v8, v9 offset0:8 offset1:12
	ds_write2st64_b32 v1, v10, v11 offset0:16 offset1:20
	;; [unrolled: 1-line block ×4, first 2 shown]
	s_waitcnt lgkmcnt(0)
	s_barrier
.LBB2717_2:
	s_andn2_b64 vcc, exec, s[0:1]
	s_addk_i32 s33, 0xa00
	s_cbranch_vccnz .LBB2717_24
; %bb.3:
	v_cmp_gt_u32_e32 vcc, s33, v0
                                        ; implicit-def: $vgpr2_vgpr3_vgpr4_vgpr5_vgpr6_vgpr7_vgpr8_vgpr9_vgpr10_vgpr11
	s_and_saveexec_b64 s[0:1], vcc
	s_cbranch_execz .LBB2717_5
; %bb.4:
	v_mov_b32_e32 v3, s8
	v_add_co_u32_e32 v2, vcc, s7, v1
	v_addc_co_u32_e32 v3, vcc, 0, v3, vcc
	flat_load_dword v2, v[2:3]
.LBB2717_5:
	s_or_b64 exec, exec, s[0:1]
	v_or_b32_e32 v12, 0x100, v0
	v_cmp_gt_u32_e32 vcc, s33, v12
	s_and_saveexec_b64 s[0:1], vcc
	s_cbranch_execz .LBB2717_7
; %bb.6:
	v_mov_b32_e32 v3, s8
	v_add_co_u32_e32 v12, vcc, s7, v1
	v_addc_co_u32_e32 v13, vcc, 0, v3, vcc
	flat_load_dword v3, v[12:13] offset:1024
.LBB2717_7:
	s_or_b64 exec, exec, s[0:1]
	v_or_b32_e32 v12, 0x200, v0
	v_cmp_gt_u32_e32 vcc, s33, v12
	s_and_saveexec_b64 s[0:1], vcc
	s_cbranch_execz .LBB2717_9
; %bb.8:
	v_mov_b32_e32 v4, s8
	v_add_co_u32_e32 v12, vcc, s7, v1
	v_addc_co_u32_e32 v13, vcc, 0, v4, vcc
	flat_load_dword v4, v[12:13] offset:2048
.LBB2717_9:
	;; [unrolled: 11-line block ×3, first 2 shown]
	s_or_b64 exec, exec, s[0:1]
	v_or_b32_e32 v12, 0x400, v0
	v_cmp_gt_u32_e32 vcc, s33, v12
	s_and_saveexec_b64 s[0:1], vcc
	s_cbranch_execz .LBB2717_13
; %bb.12:
	v_lshlrev_b32_e32 v6, 2, v12
	v_mov_b32_e32 v13, s8
	v_add_co_u32_e32 v12, vcc, s7, v6
	v_addc_co_u32_e32 v13, vcc, 0, v13, vcc
	flat_load_dword v6, v[12:13]
.LBB2717_13:
	s_or_b64 exec, exec, s[0:1]
	v_or_b32_e32 v12, 0x500, v0
	v_cmp_gt_u32_e32 vcc, s33, v12
	s_and_saveexec_b64 s[0:1], vcc
	s_cbranch_execz .LBB2717_15
; %bb.14:
	v_lshlrev_b32_e32 v7, 2, v12
	v_mov_b32_e32 v13, s8
	v_add_co_u32_e32 v12, vcc, s7, v7
	v_addc_co_u32_e32 v13, vcc, 0, v13, vcc
	flat_load_dword v7, v[12:13]
.LBB2717_15:
	;; [unrolled: 12-line block ×6, first 2 shown]
	s_or_b64 exec, exec, s[0:1]
	s_waitcnt vmcnt(0) lgkmcnt(0)
	ds_write2st64_b32 v1, v2, v3 offset1:4
	ds_write2st64_b32 v1, v4, v5 offset0:8 offset1:12
	ds_write2st64_b32 v1, v6, v7 offset0:16 offset1:20
	;; [unrolled: 1-line block ×4, first 2 shown]
	s_waitcnt lgkmcnt(0)
	s_barrier
.LBB2717_24:
	v_mul_u32_u24_e32 v23, 10, v0
	v_lshlrev_b32_e32 v29, 2, v23
	s_waitcnt lgkmcnt(0)
	ds_read2_b64 v[6:9], v29 offset1:1
	ds_read2_b64 v[2:5], v29 offset0:2 offset1:3
	ds_read_b64 v[10:11], v29 offset:32
	v_cndmask_b32_e64 v12, 0, 1, s[2:3]
	v_cmp_ne_u32_e64 s[0:1], 1, v12
	s_andn2_b64 vcc, exec, s[2:3]
	s_waitcnt lgkmcnt(2)
	v_xor_b32_e32 v21, -1, v6
	v_xor_b32_e32 v20, -1, v7
	;; [unrolled: 1-line block ×4, first 2 shown]
	s_waitcnt lgkmcnt(1)
	v_xor_b32_e32 v17, -1, v2
	v_xor_b32_e32 v16, -1, v3
	;; [unrolled: 1-line block ×4, first 2 shown]
	s_waitcnt lgkmcnt(0)
	v_xor_b32_e32 v13, -1, v10
	v_xor_b32_e32 v12, -1, v11
	s_barrier
	s_cbranch_vccnz .LBB2717_26
; %bb.25:
	v_mov_b32_e32 v22, 1
	v_and_b32_e32 v25, 1, v21
	v_and_b32_sdwa v26, v20, v22 dst_sel:BYTE_1 dst_unused:UNUSED_PAD src0_sel:DWORD src1_sel:DWORD
	v_and_b32_e32 v27, 1, v19
	v_and_b32_sdwa v28, v18, v22 dst_sel:BYTE_1 dst_unused:UNUSED_PAD src0_sel:DWORD src1_sel:DWORD
	v_and_b32_e32 v30, 1, v17
	v_and_b32_sdwa v31, v16, v22 dst_sel:BYTE_1 dst_unused:UNUSED_PAD src0_sel:DWORD src1_sel:DWORD
	v_and_b32_e32 v32, 1, v15
	v_and_b32_sdwa v33, v14, v22 dst_sel:BYTE_1 dst_unused:UNUSED_PAD src0_sel:DWORD src1_sel:DWORD
	v_or_b32_e32 v25, v25, v26
	v_or_b32_sdwa v26, v27, v28 dst_sel:WORD_1 dst_unused:UNUSED_PAD src0_sel:DWORD src1_sel:DWORD
	v_or_b32_sdwa v26, v25, v26 dst_sel:DWORD dst_unused:UNUSED_PAD src0_sel:WORD_0 src1_sel:DWORD
	v_or_b32_e32 v25, v30, v31
	v_or_b32_sdwa v27, v32, v33 dst_sel:WORD_1 dst_unused:UNUSED_PAD src0_sel:DWORD src1_sel:DWORD
	v_and_b32_e32 v24, 1, v13
	v_and_b32_e32 v22, 1, v12
	v_or_b32_sdwa v25, v25, v27 dst_sel:DWORD dst_unused:UNUSED_PAD src0_sel:WORD_0 src1_sel:DWORD
	s_load_dwordx2 s[28:29], s[4:5], 0x70
	s_cbranch_execz .LBB2717_27
	s_branch .LBB2717_28
.LBB2717_26:
                                        ; implicit-def: $vgpr22
                                        ; implicit-def: $vgpr24
                                        ; implicit-def: $vgpr25
                                        ; implicit-def: $vgpr26
	s_load_dwordx2 s[28:29], s[4:5], 0x70
.LBB2717_27:
	v_or_b32_e32 v32, 1, v23
	v_cmp_gt_u32_e32 vcc, s33, v23
	v_add_u32_e32 v22, 2, v23
	v_cndmask_b32_e64 v33, 0, 1, vcc
	v_cmp_gt_u32_e32 vcc, s33, v32
	v_add_u32_e32 v31, 3, v23
	v_cndmask_b32_e64 v32, 0, 1, vcc
	;; [unrolled: 3-line block ×3, first 2 shown]
	v_cmp_gt_u32_e32 vcc, s33, v31
	v_add_u32_e32 v30, 5, v23
	v_and_b32_e32 v19, v22, v19
	v_cndmask_b32_e64 v22, 0, 1, vcc
	v_cmp_gt_u32_e32 vcc, s33, v24
	v_add_u32_e32 v25, 6, v23
	v_and_b32_sdwa v18, v22, v18 dst_sel:BYTE_1 dst_unused:UNUSED_PAD src0_sel:DWORD src1_sel:DWORD
	v_cndmask_b32_e64 v22, 0, 1, vcc
	v_cmp_gt_u32_e32 vcc, s33, v30
	v_add_u32_e32 v28, 7, v23
	v_and_b32_e32 v17, v22, v17
	v_cndmask_b32_e64 v22, 0, 1, vcc
	v_cmp_gt_u32_e32 vcc, s33, v25
	v_add_u32_e32 v26, 8, v23
	v_and_b32_sdwa v16, v22, v16 dst_sel:BYTE_1 dst_unused:UNUSED_PAD src0_sel:DWORD src1_sel:DWORD
	v_cndmask_b32_e64 v22, 0, 1, vcc
	v_cmp_gt_u32_e32 vcc, s33, v28
	v_add_u32_e32 v27, 9, v23
	v_and_b32_e32 v15, v22, v15
	v_cndmask_b32_e64 v22, 0, 1, vcc
	v_cmp_gt_u32_e32 vcc, s33, v26
	v_and_b32_sdwa v14, v22, v14 dst_sel:BYTE_1 dst_unused:UNUSED_PAD src0_sel:DWORD src1_sel:DWORD
	v_cndmask_b32_e64 v22, 0, 1, vcc
	v_cmp_gt_u32_e32 vcc, s33, v27
	v_and_b32_e32 v21, v33, v21
	v_and_b32_sdwa v20, v32, v20 dst_sel:BYTE_1 dst_unused:UNUSED_PAD src0_sel:DWORD src1_sel:DWORD
	v_and_b32_e32 v24, v22, v13
	v_cndmask_b32_e64 v13, 0, 1, vcc
	v_and_b32_e32 v22, v13, v12
	v_or_b32_e32 v12, v21, v20
	v_or_b32_sdwa v13, v19, v18 dst_sel:WORD_1 dst_unused:UNUSED_PAD src0_sel:DWORD src1_sel:DWORD
	v_or_b32_sdwa v26, v12, v13 dst_sel:DWORD dst_unused:UNUSED_PAD src0_sel:WORD_0 src1_sel:DWORD
	v_or_b32_e32 v12, v17, v16
	v_or_b32_sdwa v13, v15, v14 dst_sel:WORD_1 dst_unused:UNUSED_PAD src0_sel:DWORD src1_sel:DWORD
	v_or_b32_sdwa v25, v12, v13 dst_sel:DWORD dst_unused:UNUSED_PAD src0_sel:WORD_0 src1_sel:DWORD
.LBB2717_28:
	v_bfe_u32 v30, v26, 16, 8
	v_lshrrev_b32_e32 v28, 24, v26
	v_add_u32_sdwa v13, v26, v26 dst_sel:DWORD dst_unused:UNUSED_PAD src0_sel:BYTE_1 src1_sel:BYTE_0
	v_and_b32_e32 v31, 0xff, v25
	v_bfe_u32 v32, v25, 8, 8
	v_add3_u32 v13, v13, v30, v28
	v_bfe_u32 v33, v25, 16, 8
	v_lshrrev_b32_e32 v27, 24, v25
	v_add3_u32 v13, v13, v31, v32
	v_and_b32_e32 v34, 0xff, v24
	v_and_b32_e32 v12, 0xff, v22
	v_add3_u32 v13, v13, v33, v27
	v_add3_u32 v37, v13, v34, v12
	v_mbcnt_lo_u32_b32 v12, -1, 0
	v_mbcnt_hi_u32_b32 v35, -1, v12
	v_and_b32_e32 v12, 15, v35
	v_cmp_eq_u32_e64 s[16:17], 0, v12
	v_cmp_lt_u32_e64 s[14:15], 1, v12
	v_cmp_lt_u32_e64 s[12:13], 3, v12
	v_cmp_lt_u32_e64 s[10:11], 7, v12
	v_and_b32_e32 v12, 16, v35
	v_cmp_eq_u32_e64 s[8:9], 0, v12
	v_or_b32_e32 v12, 63, v0
	s_cmp_lg_u32 s6, 0
	v_cmp_lt_u32_e64 s[2:3], 31, v35
	v_lshrrev_b32_e32 v36, 6, v0
	v_cmp_eq_u32_e64 s[20:21], v12, v0
	s_cbranch_scc0 .LBB2717_55
; %bb.29:
	v_mov_b32_dpp v12, v37 row_shr:1 row_mask:0xf bank_mask:0xf
	v_cndmask_b32_e64 v12, v12, 0, s[16:17]
	v_add_u32_e32 v12, v12, v37
	s_nop 1
	v_mov_b32_dpp v13, v12 row_shr:2 row_mask:0xf bank_mask:0xf
	v_cndmask_b32_e64 v13, 0, v13, s[14:15]
	v_add_u32_e32 v12, v12, v13
	s_nop 1
	;; [unrolled: 4-line block ×4, first 2 shown]
	v_mov_b32_dpp v13, v12 row_bcast:15 row_mask:0xf bank_mask:0xf
	v_cndmask_b32_e64 v13, v13, 0, s[8:9]
	v_add_u32_e32 v12, v12, v13
	s_nop 1
	v_mov_b32_dpp v13, v12 row_bcast:31 row_mask:0xf bank_mask:0xf
	v_cndmask_b32_e64 v13, 0, v13, s[2:3]
	v_add_u32_e32 v12, v12, v13
	s_and_saveexec_b64 s[18:19], s[20:21]
	s_cbranch_execz .LBB2717_31
; %bb.30:
	v_lshlrev_b32_e32 v13, 2, v36
	ds_write_b32 v13, v12
.LBB2717_31:
	s_or_b64 exec, exec, s[18:19]
	v_cmp_gt_u32_e32 vcc, 4, v0
	s_waitcnt lgkmcnt(0)
	s_barrier
	s_and_saveexec_b64 s[18:19], vcc
	s_cbranch_execz .LBB2717_33
; %bb.32:
	ds_read_b32 v13, v1
	v_and_b32_e32 v14, 3, v35
	v_cmp_ne_u32_e32 vcc, 0, v14
	s_waitcnt lgkmcnt(0)
	v_mov_b32_dpp v15, v13 row_shr:1 row_mask:0xf bank_mask:0xf
	v_cndmask_b32_e32 v15, 0, v15, vcc
	v_add_u32_e32 v13, v15, v13
	v_cmp_lt_u32_e32 vcc, 1, v14
	s_nop 0
	v_mov_b32_dpp v15, v13 row_shr:2 row_mask:0xf bank_mask:0xf
	v_cndmask_b32_e32 v14, 0, v15, vcc
	v_add_u32_e32 v13, v13, v14
	ds_write_b32 v1, v13
.LBB2717_33:
	s_or_b64 exec, exec, s[18:19]
	v_cmp_gt_u32_e32 vcc, 64, v0
	v_cmp_lt_u32_e64 s[18:19], 63, v0
	s_waitcnt lgkmcnt(0)
	s_barrier
	s_waitcnt lgkmcnt(0)
                                        ; implicit-def: $vgpr38
	s_and_saveexec_b64 s[30:31], s[18:19]
	s_cbranch_execz .LBB2717_35
; %bb.34:
	v_lshl_add_u32 v13, v36, 2, -4
	ds_read_b32 v38, v13
	s_waitcnt lgkmcnt(0)
	v_add_u32_e32 v12, v38, v12
.LBB2717_35:
	s_or_b64 exec, exec, s[30:31]
	v_add_u32_e32 v13, -1, v35
	v_and_b32_e32 v14, 64, v35
	v_cmp_lt_i32_e64 s[18:19], v13, v14
	v_cndmask_b32_e64 v13, v13, v35, s[18:19]
	v_lshlrev_b32_e32 v13, 2, v13
	ds_bpermute_b32 v39, v13, v12
	v_cmp_eq_u32_e64 s[18:19], 0, v35
	s_and_saveexec_b64 s[30:31], vcc
	s_cbranch_execz .LBB2717_54
; %bb.36:
	v_mov_b32_e32 v19, 0
	ds_read_b32 v12, v19 offset:12
	s_and_saveexec_b64 s[34:35], s[18:19]
	s_cbranch_execz .LBB2717_38
; %bb.37:
	s_add_i32 s36, s6, 64
	s_mov_b32 s37, 0
	s_lshl_b64 s[36:37], s[36:37], 3
	s_add_u32 s36, s28, s36
	v_mov_b32_e32 v13, 1
	s_addc_u32 s37, s29, s37
	s_waitcnt lgkmcnt(0)
	global_store_dwordx2 v19, v[12:13], s[36:37]
.LBB2717_38:
	s_or_b64 exec, exec, s[34:35]
	v_xad_u32 v14, v35, -1, s6
	v_add_u32_e32 v18, 64, v14
	v_lshlrev_b64 v[16:17], 3, v[18:19]
	v_mov_b32_e32 v13, s29
	v_add_co_u32_e32 v20, vcc, s28, v16
	v_addc_co_u32_e32 v21, vcc, v13, v17, vcc
	global_load_dwordx2 v[16:17], v[20:21], off glc
	s_waitcnt vmcnt(0)
	v_cmp_eq_u16_sdwa s[36:37], v17, v19 src0_sel:BYTE_0 src1_sel:DWORD
	s_and_saveexec_b64 s[34:35], s[36:37]
	s_cbranch_execz .LBB2717_42
; %bb.39:
	s_mov_b64 s[36:37], 0
	v_mov_b32_e32 v13, 0
.LBB2717_40:                            ; =>This Inner Loop Header: Depth=1
	global_load_dwordx2 v[16:17], v[20:21], off glc
	s_waitcnt vmcnt(0)
	v_cmp_ne_u16_sdwa s[38:39], v17, v13 src0_sel:BYTE_0 src1_sel:DWORD
	s_or_b64 s[36:37], s[38:39], s[36:37]
	s_andn2_b64 exec, exec, s[36:37]
	s_cbranch_execnz .LBB2717_40
; %bb.41:
	s_or_b64 exec, exec, s[36:37]
.LBB2717_42:
	s_or_b64 exec, exec, s[34:35]
	v_and_b32_e32 v41, 63, v35
	v_mov_b32_e32 v40, 2
	v_cmp_ne_u32_e32 vcc, 63, v41
	v_cmp_eq_u16_sdwa s[34:35], v17, v40 src0_sel:BYTE_0 src1_sel:DWORD
	v_lshlrev_b64 v[18:19], v35, -1
	v_addc_co_u32_e32 v20, vcc, 0, v35, vcc
	v_and_b32_e32 v13, s35, v19
	v_lshlrev_b32_e32 v42, 2, v20
	v_or_b32_e32 v13, 0x80000000, v13
	ds_bpermute_b32 v20, v42, v16
	v_and_b32_e32 v15, s34, v18
	v_ffbl_b32_e32 v13, v13
	v_add_u32_e32 v13, 32, v13
	v_ffbl_b32_e32 v15, v15
	v_min_u32_e32 v13, v15, v13
	v_cmp_lt_u32_e32 vcc, v41, v13
	s_waitcnt lgkmcnt(0)
	v_cndmask_b32_e32 v15, 0, v20, vcc
	v_cmp_gt_u32_e32 vcc, 62, v41
	v_add_u32_e32 v15, v15, v16
	v_cndmask_b32_e64 v16, 0, 1, vcc
	v_lshlrev_b32_e32 v16, 1, v16
	v_add_lshl_u32 v43, v16, v35, 2
	ds_bpermute_b32 v16, v43, v15
	v_add_u32_e32 v44, 2, v41
	v_cmp_le_u32_e32 vcc, v44, v13
	v_add_u32_e32 v46, 4, v41
	v_add_u32_e32 v48, 8, v41
	s_waitcnt lgkmcnt(0)
	v_cndmask_b32_e32 v16, 0, v16, vcc
	v_cmp_gt_u32_e32 vcc, 60, v41
	v_add_u32_e32 v15, v15, v16
	v_cndmask_b32_e64 v16, 0, 1, vcc
	v_lshlrev_b32_e32 v16, 2, v16
	v_add_lshl_u32 v45, v16, v35, 2
	ds_bpermute_b32 v16, v45, v15
	v_cmp_le_u32_e32 vcc, v46, v13
	v_add_u32_e32 v50, 16, v41
	v_add_u32_e32 v52, 32, v41
	s_waitcnt lgkmcnt(0)
	v_cndmask_b32_e32 v16, 0, v16, vcc
	v_cmp_gt_u32_e32 vcc, 56, v41
	v_add_u32_e32 v15, v15, v16
	v_cndmask_b32_e64 v16, 0, 1, vcc
	v_lshlrev_b32_e32 v16, 3, v16
	v_add_lshl_u32 v47, v16, v35, 2
	ds_bpermute_b32 v16, v47, v15
	v_cmp_le_u32_e32 vcc, v48, v13
	s_waitcnt lgkmcnt(0)
	v_cndmask_b32_e32 v16, 0, v16, vcc
	v_cmp_gt_u32_e32 vcc, 48, v41
	v_add_u32_e32 v15, v15, v16
	v_cndmask_b32_e64 v16, 0, 1, vcc
	v_lshlrev_b32_e32 v16, 4, v16
	v_add_lshl_u32 v49, v16, v35, 2
	ds_bpermute_b32 v16, v49, v15
	v_cmp_le_u32_e32 vcc, v50, v13
	;; [unrolled: 9-line block ×3, first 2 shown]
	s_waitcnt lgkmcnt(0)
	v_cndmask_b32_e32 v13, 0, v16, vcc
	v_add_u32_e32 v16, v15, v13
	v_mov_b32_e32 v15, 0
	s_branch .LBB2717_44
.LBB2717_43:                            ;   in Loop: Header=BB2717_44 Depth=1
	s_or_b64 exec, exec, s[34:35]
	v_cmp_eq_u16_sdwa s[34:35], v17, v40 src0_sel:BYTE_0 src1_sel:DWORD
	v_and_b32_e32 v20, s35, v19
	v_or_b32_e32 v20, 0x80000000, v20
	ds_bpermute_b32 v53, v42, v16
	v_and_b32_e32 v21, s34, v18
	v_ffbl_b32_e32 v20, v20
	v_add_u32_e32 v20, 32, v20
	v_ffbl_b32_e32 v21, v21
	v_min_u32_e32 v20, v21, v20
	v_cmp_lt_u32_e32 vcc, v41, v20
	s_waitcnt lgkmcnt(0)
	v_cndmask_b32_e32 v21, 0, v53, vcc
	v_add_u32_e32 v16, v21, v16
	ds_bpermute_b32 v21, v43, v16
	v_cmp_le_u32_e32 vcc, v44, v20
	v_subrev_u32_e32 v14, 64, v14
	s_waitcnt lgkmcnt(0)
	v_cndmask_b32_e32 v21, 0, v21, vcc
	v_add_u32_e32 v16, v16, v21
	ds_bpermute_b32 v21, v45, v16
	v_cmp_le_u32_e32 vcc, v46, v20
	s_waitcnt lgkmcnt(0)
	v_cndmask_b32_e32 v21, 0, v21, vcc
	v_add_u32_e32 v16, v16, v21
	ds_bpermute_b32 v21, v47, v16
	v_cmp_le_u32_e32 vcc, v48, v20
	;; [unrolled: 5-line block ×4, first 2 shown]
	s_waitcnt lgkmcnt(0)
	v_cndmask_b32_e32 v20, 0, v21, vcc
	v_add3_u32 v16, v20, v13, v16
.LBB2717_44:                            ; =>This Loop Header: Depth=1
                                        ;     Child Loop BB2717_47 Depth 2
	v_cmp_ne_u16_sdwa s[34:35], v17, v40 src0_sel:BYTE_0 src1_sel:DWORD
	v_cndmask_b32_e64 v13, 0, 1, s[34:35]
	;;#ASMSTART
	;;#ASMEND
	v_cmp_ne_u32_e32 vcc, 0, v13
	s_cmp_lg_u64 vcc, exec
	v_mov_b32_e32 v13, v16
	s_cbranch_scc1 .LBB2717_49
; %bb.45:                               ;   in Loop: Header=BB2717_44 Depth=1
	v_lshlrev_b64 v[16:17], 3, v[14:15]
	v_mov_b32_e32 v21, s29
	v_add_co_u32_e32 v20, vcc, s28, v16
	v_addc_co_u32_e32 v21, vcc, v21, v17, vcc
	global_load_dwordx2 v[16:17], v[20:21], off glc
	s_waitcnt vmcnt(0)
	v_cmp_eq_u16_sdwa s[36:37], v17, v15 src0_sel:BYTE_0 src1_sel:DWORD
	s_and_saveexec_b64 s[34:35], s[36:37]
	s_cbranch_execz .LBB2717_43
; %bb.46:                               ;   in Loop: Header=BB2717_44 Depth=1
	s_mov_b64 s[36:37], 0
.LBB2717_47:                            ;   Parent Loop BB2717_44 Depth=1
                                        ; =>  This Inner Loop Header: Depth=2
	global_load_dwordx2 v[16:17], v[20:21], off glc
	s_waitcnt vmcnt(0)
	v_cmp_ne_u16_sdwa s[38:39], v17, v15 src0_sel:BYTE_0 src1_sel:DWORD
	s_or_b64 s[36:37], s[38:39], s[36:37]
	s_andn2_b64 exec, exec, s[36:37]
	s_cbranch_execnz .LBB2717_47
; %bb.48:                               ;   in Loop: Header=BB2717_44 Depth=1
	s_or_b64 exec, exec, s[36:37]
	s_branch .LBB2717_43
.LBB2717_49:                            ;   in Loop: Header=BB2717_44 Depth=1
                                        ; implicit-def: $vgpr16
                                        ; implicit-def: $vgpr17
	s_cbranch_execz .LBB2717_44
; %bb.50:
	s_and_saveexec_b64 s[34:35], s[18:19]
	s_cbranch_execz .LBB2717_52
; %bb.51:
	s_add_i32 s6, s6, 64
	s_mov_b32 s7, 0
	s_lshl_b64 s[6:7], s[6:7], 3
	s_add_u32 s6, s28, s6
	v_add_u32_e32 v14, v13, v12
	v_mov_b32_e32 v15, 2
	s_addc_u32 s7, s29, s7
	v_mov_b32_e32 v16, 0
	global_store_dwordx2 v16, v[14:15], s[6:7]
	ds_write_b64 v16, v[12:13] offset:10240
.LBB2717_52:
	s_or_b64 exec, exec, s[34:35]
	v_cmp_eq_u32_e32 vcc, 0, v0
	s_and_b64 exec, exec, vcc
	s_cbranch_execz .LBB2717_54
; %bb.53:
	v_mov_b32_e32 v12, 0
	ds_write_b32 v12, v13 offset:12
.LBB2717_54:
	s_or_b64 exec, exec, s[30:31]
	v_mov_b32_e32 v12, 0
	s_waitcnt lgkmcnt(0)
	s_barrier
	ds_read_b32 v13, v12 offset:12
	v_cndmask_b32_e64 v14, v39, v38, s[18:19]
	v_cmp_ne_u32_e32 vcc, 0, v0
	v_cndmask_b32_e32 v14, 0, v14, vcc
	s_waitcnt lgkmcnt(0)
	v_add_u32_e32 v40, v13, v14
	v_add_u32_sdwa v39, v40, v26 dst_sel:DWORD dst_unused:UNUSED_PAD src0_sel:DWORD src1_sel:BYTE_0
	v_add_u32_sdwa v38, v39, v26 dst_sel:DWORD dst_unused:UNUSED_PAD src0_sel:DWORD src1_sel:BYTE_1
	v_add_u32_e32 v21, v38, v30
	v_add_u32_e32 v20, v21, v28
	s_barrier
	ds_read_b64 v[12:13], v12 offset:10240
	v_add_u32_e32 v19, v20, v31
	v_add_u32_e32 v18, v19, v32
	;; [unrolled: 1-line block ×5, first 2 shown]
	s_waitcnt lgkmcnt(0)
	v_mov_b32_e32 v14, v13
	s_load_dwordx2 s[4:5], s[4:5], 0x28
	s_branch .LBB2717_65
.LBB2717_55:
                                        ; implicit-def: $vgpr14
                                        ; implicit-def: $vgpr12
                                        ; implicit-def: $vgpr15
                                        ; implicit-def: $vgpr16
                                        ; implicit-def: $vgpr17
                                        ; implicit-def: $vgpr18
                                        ; implicit-def: $vgpr19
                                        ; implicit-def: $vgpr20
                                        ; implicit-def: $vgpr21
                                        ; implicit-def: $vgpr38
                                        ; implicit-def: $vgpr39
                                        ; implicit-def: $vgpr40
	s_load_dwordx2 s[4:5], s[4:5], 0x28
	s_cbranch_execz .LBB2717_65
; %bb.56:
	v_mov_b32_dpp v12, v37 row_shr:1 row_mask:0xf bank_mask:0xf
	v_cndmask_b32_e64 v12, v12, 0, s[16:17]
	v_add_u32_e32 v12, v12, v37
	s_nop 1
	v_mov_b32_dpp v13, v12 row_shr:2 row_mask:0xf bank_mask:0xf
	v_cndmask_b32_e64 v13, 0, v13, s[14:15]
	v_add_u32_e32 v12, v12, v13
	s_nop 1
	;; [unrolled: 4-line block ×4, first 2 shown]
	v_mov_b32_dpp v13, v12 row_bcast:15 row_mask:0xf bank_mask:0xf
	v_cndmask_b32_e64 v13, v13, 0, s[8:9]
	v_add_u32_e32 v12, v12, v13
	s_nop 1
	v_mov_b32_dpp v13, v12 row_bcast:31 row_mask:0xf bank_mask:0xf
	v_cndmask_b32_e64 v13, 0, v13, s[2:3]
	v_add_u32_e32 v12, v12, v13
	s_and_saveexec_b64 s[2:3], s[20:21]
	s_cbranch_execz .LBB2717_58
; %bb.57:
	v_lshlrev_b32_e32 v13, 2, v36
	ds_write_b32 v13, v12
.LBB2717_58:
	s_or_b64 exec, exec, s[2:3]
	v_cmp_gt_u32_e32 vcc, 4, v0
	s_waitcnt lgkmcnt(0)
	s_barrier
	s_and_saveexec_b64 s[2:3], vcc
	s_cbranch_execz .LBB2717_60
; %bb.59:
	s_movk_i32 s6, 0xffdc
	v_mad_i32_i24 v13, v0, s6, v29
	ds_read_b32 v14, v13
	v_and_b32_e32 v15, 3, v35
	v_cmp_ne_u32_e32 vcc, 0, v15
	s_waitcnt lgkmcnt(0)
	v_mov_b32_dpp v16, v14 row_shr:1 row_mask:0xf bank_mask:0xf
	v_cndmask_b32_e32 v16, 0, v16, vcc
	v_add_u32_e32 v14, v16, v14
	v_cmp_lt_u32_e32 vcc, 1, v15
	s_nop 0
	v_mov_b32_dpp v16, v14 row_shr:2 row_mask:0xf bank_mask:0xf
	v_cndmask_b32_e32 v15, 0, v16, vcc
	v_add_u32_e32 v14, v14, v15
	ds_write_b32 v13, v14
.LBB2717_60:
	s_or_b64 exec, exec, s[2:3]
	v_cmp_lt_u32_e32 vcc, 63, v0
	v_mov_b32_e32 v13, 0
	v_mov_b32_e32 v14, 0
	s_waitcnt lgkmcnt(0)
	s_barrier
	s_and_saveexec_b64 s[2:3], vcc
	s_cbranch_execz .LBB2717_62
; %bb.61:
	v_lshl_add_u32 v14, v36, 2, -4
	ds_read_b32 v14, v14
.LBB2717_62:
	s_or_b64 exec, exec, s[2:3]
	v_add_u32_e32 v15, -1, v35
	v_and_b32_e32 v16, 64, v35
	v_cmp_lt_i32_e32 vcc, v15, v16
	v_cndmask_b32_e32 v15, v15, v35, vcc
	s_waitcnt lgkmcnt(0)
	v_add_u32_e32 v12, v14, v12
	v_lshlrev_b32_e32 v15, 2, v15
	ds_bpermute_b32 v15, v15, v12
	ds_read_b32 v12, v13 offset:12
	v_cmp_eq_u32_e32 vcc, 0, v0
	s_and_saveexec_b64 s[2:3], vcc
	s_cbranch_execz .LBB2717_64
; %bb.63:
	v_mov_b32_e32 v16, 0
	v_mov_b32_e32 v13, 2
	s_waitcnt lgkmcnt(0)
	global_store_dwordx2 v16, v[12:13], s[28:29] offset:512
.LBB2717_64:
	s_or_b64 exec, exec, s[2:3]
	v_cmp_eq_u32_e64 s[2:3], 0, v35
	s_waitcnt lgkmcnt(1)
	v_cndmask_b32_e64 v13, v15, v14, s[2:3]
	v_cndmask_b32_e64 v40, v13, 0, vcc
	v_add_u32_sdwa v39, v40, v26 dst_sel:DWORD dst_unused:UNUSED_PAD src0_sel:DWORD src1_sel:BYTE_0
	v_add_u32_sdwa v38, v39, v26 dst_sel:DWORD dst_unused:UNUSED_PAD src0_sel:DWORD src1_sel:BYTE_1
	v_add_u32_e32 v21, v38, v30
	v_add_u32_e32 v20, v21, v28
	;; [unrolled: 1-line block ×6, first 2 shown]
	v_mov_b32_e32 v14, 0
	v_add_u32_e32 v15, v16, v34
	s_waitcnt lgkmcnt(0)
	s_barrier
.LBB2717_65:
	v_add_u32_e32 v23, v12, v23
	v_sub_u32_e32 v30, v40, v14
	v_and_b32_e32 v32, 1, v26
	v_sub_u32_e32 v31, v23, v30
	v_cmp_eq_u32_e32 vcc, 1, v32
	v_cndmask_b32_e32 v30, v31, v30, vcc
	v_lshlrev_b32_e32 v30, 2, v30
	v_lshrrev_b32_e32 v29, 8, v26
	ds_write_b32 v30, v6
	v_sub_u32_e32 v6, v39, v14
	v_sub_u32_e32 v30, v23, v6
	v_and_b32_e32 v29, 1, v29
	v_add_u32_e32 v30, 1, v30
	v_cmp_eq_u32_e32 vcc, 1, v29
	v_cndmask_b32_e32 v6, v30, v6, vcc
	v_lshlrev_b32_e32 v6, 2, v6
	ds_write_b32 v6, v7
	v_sub_u32_e32 v6, v38, v14
	v_mov_b32_e32 v29, 1
	v_sub_u32_e32 v7, v23, v6
	v_and_b32_sdwa v26, v29, v26 dst_sel:DWORD dst_unused:UNUSED_PAD src0_sel:DWORD src1_sel:WORD_1
	v_add_u32_e32 v7, 2, v7
	v_cmp_eq_u32_e32 vcc, 1, v26
	v_cndmask_b32_e32 v6, v7, v6, vcc
	v_lshlrev_b32_e32 v6, 2, v6
	ds_write_b32 v6, v8
	v_sub_u32_e32 v6, v21, v14
	v_sub_u32_e32 v7, v23, v6
	v_and_b32_e32 v8, 1, v28
	v_add_u32_e32 v7, 3, v7
	v_cmp_eq_u32_e32 vcc, 1, v8
	v_cndmask_b32_e32 v6, v7, v6, vcc
	v_lshlrev_b32_e32 v6, 2, v6
	ds_write_b32 v6, v9
	v_sub_u32_e32 v6, v20, v14
	v_sub_u32_e32 v7, v23, v6
	v_and_b32_e32 v8, 1, v25
	v_add_u32_e32 v7, 4, v7
	v_cmp_eq_u32_e32 vcc, 1, v8
	v_cndmask_b32_e32 v6, v7, v6, vcc
	v_lshlrev_b32_e32 v6, 2, v6
	v_lshrrev_b32_e32 v13, 8, v25
	ds_write_b32 v6, v2
	v_sub_u32_e32 v2, v19, v14
	v_sub_u32_e32 v6, v23, v2
	v_and_b32_e32 v7, 1, v13
	v_add_u32_e32 v6, 5, v6
	v_cmp_eq_u32_e32 vcc, 1, v7
	v_cndmask_b32_e32 v2, v6, v2, vcc
	v_lshlrev_b32_e32 v2, 2, v2
	ds_write_b32 v2, v3
	v_sub_u32_e32 v2, v18, v14
	v_sub_u32_e32 v3, v23, v2
	v_and_b32_sdwa v6, v29, v25 dst_sel:DWORD dst_unused:UNUSED_PAD src0_sel:DWORD src1_sel:WORD_1
	v_add_u32_e32 v3, 6, v3
	v_cmp_eq_u32_e32 vcc, 1, v6
	v_cndmask_b32_e32 v2, v3, v2, vcc
	v_lshlrev_b32_e32 v2, 2, v2
	ds_write_b32 v2, v4
	v_sub_u32_e32 v2, v17, v14
	v_sub_u32_e32 v3, v23, v2
	v_and_b32_e32 v4, 1, v27
	v_add_u32_e32 v3, 7, v3
	v_cmp_eq_u32_e32 vcc, 1, v4
	v_cndmask_b32_e32 v2, v3, v2, vcc
	v_lshlrev_b32_e32 v2, 2, v2
	ds_write_b32 v2, v5
	v_sub_u32_e32 v2, v16, v14
	v_sub_u32_e32 v3, v23, v2
	v_and_b32_e32 v4, 1, v24
	;; [unrolled: 8-line block ×3, first 2 shown]
	v_add_u32_e32 v3, 9, v3
	v_cmp_eq_u32_e32 vcc, 1, v4
	v_cndmask_b32_e32 v2, v3, v2, vcc
	v_lshlrev_b32_e32 v2, 2, v2
	ds_write_b32 v2, v11
	s_waitcnt lgkmcnt(0)
	s_barrier
	ds_read2st64_b32 v[16:17], v1 offset1:4
	ds_read2st64_b32 v[10:11], v1 offset0:8 offset1:12
	ds_read2st64_b32 v[8:9], v1 offset0:16 offset1:20
	;; [unrolled: 1-line block ×4, first 2 shown]
	v_or_b32_e32 v25, 0x100, v0
	v_or_b32_e32 v24, 0x200, v0
	;; [unrolled: 1-line block ×8, first 2 shown]
	s_and_b64 vcc, exec, s[0:1]
	v_or_b32_e32 v13, 0x900, v0
	s_cbranch_vccnz .LBB2717_77
; %bb.66:
	s_lshl_b64 s[0:1], s[22:23], 2
	v_mov_b32_e32 v15, 0
	s_add_u32 s0, s4, s0
	s_addc_u32 s1, s5, s1
	v_lshlrev_b64 v[6:7], 2, v[14:15]
	v_mov_b32_e32 v15, s1
	v_add_co_u32_e32 v6, vcc, s0, v6
	v_addc_co_u32_e32 v7, vcc, v15, v7, vcc
	v_cmp_gt_u32_e32 vcc, v12, v0
	s_and_saveexec_b64 s[0:1], vcc
	s_cbranch_execnz .LBB2717_94
; %bb.67:
	s_or_b64 exec, exec, s[0:1]
	v_cmp_lt_u32_e32 vcc, v25, v12
	s_and_saveexec_b64 s[0:1], vcc
	s_cbranch_execnz .LBB2717_95
.LBB2717_68:
	s_or_b64 exec, exec, s[0:1]
	v_cmp_lt_u32_e32 vcc, v24, v12
	s_and_saveexec_b64 s[0:1], vcc
	s_cbranch_execnz .LBB2717_96
.LBB2717_69:
	s_or_b64 exec, exec, s[0:1]
	v_cmp_lt_u32_e32 vcc, v23, v12
	s_and_saveexec_b64 s[0:1], vcc
	s_cbranch_execnz .LBB2717_97
.LBB2717_70:
	s_or_b64 exec, exec, s[0:1]
	v_cmp_lt_u32_e32 vcc, v22, v12
	s_and_saveexec_b64 s[0:1], vcc
	s_cbranch_execnz .LBB2717_98
.LBB2717_71:
	s_or_b64 exec, exec, s[0:1]
	v_cmp_lt_u32_e32 vcc, v21, v12
	s_and_saveexec_b64 s[0:1], vcc
	s_cbranch_execnz .LBB2717_99
.LBB2717_72:
	s_or_b64 exec, exec, s[0:1]
	v_cmp_lt_u32_e32 vcc, v20, v12
	s_and_saveexec_b64 s[0:1], vcc
	s_cbranch_execnz .LBB2717_100
.LBB2717_73:
	s_or_b64 exec, exec, s[0:1]
	v_cmp_lt_u32_e32 vcc, v19, v12
	s_and_saveexec_b64 s[0:1], vcc
	s_cbranch_execnz .LBB2717_101
.LBB2717_74:
	s_or_b64 exec, exec, s[0:1]
	v_cmp_lt_u32_e32 vcc, v18, v12
	s_and_saveexec_b64 s[0:1], vcc
	s_cbranch_execz .LBB2717_76
.LBB2717_75:
	v_lshlrev_b32_e32 v15, 2, v18
	v_readfirstlane_b32 s2, v6
	v_readfirstlane_b32 s3, v7
	s_waitcnt lgkmcnt(0)
	s_nop 3
	global_store_dword v15, v2, s[2:3]
.LBB2717_76:
	s_or_b64 exec, exec, s[0:1]
	v_cmp_lt_u32_e64 s[0:1], v13, v12
	s_branch .LBB2717_89
.LBB2717_77:
	s_mov_b64 s[0:1], 0
                                        ; implicit-def: $vgpr6_vgpr7
	s_cbranch_execz .LBB2717_89
; %bb.78:
	s_lshl_b64 s[0:1], s[22:23], 2
	v_mov_b32_e32 v15, 0
	s_add_u32 s0, s4, s0
	s_addc_u32 s1, s5, s1
	v_lshlrev_b64 v[6:7], 2, v[14:15]
	v_mov_b32_e32 v15, s1
	v_add_co_u32_e32 v6, vcc, s0, v6
	v_min_u32_e32 v26, s33, v12
	v_addc_co_u32_e32 v7, vcc, v15, v7, vcc
	v_cmp_gt_u32_e32 vcc, v26, v0
	s_and_saveexec_b64 s[0:1], vcc
	s_cbranch_execnz .LBB2717_102
; %bb.79:
	s_or_b64 exec, exec, s[0:1]
	v_cmp_lt_u32_e32 vcc, v25, v26
	s_and_saveexec_b64 s[0:1], vcc
	s_cbranch_execnz .LBB2717_103
.LBB2717_80:
	s_or_b64 exec, exec, s[0:1]
	v_cmp_lt_u32_e32 vcc, v24, v26
	s_and_saveexec_b64 s[0:1], vcc
	s_cbranch_execnz .LBB2717_104
.LBB2717_81:
	s_or_b64 exec, exec, s[0:1]
	v_cmp_lt_u32_e32 vcc, v23, v26
	s_and_saveexec_b64 s[0:1], vcc
	s_cbranch_execnz .LBB2717_105
.LBB2717_82:
	s_or_b64 exec, exec, s[0:1]
	v_cmp_lt_u32_e32 vcc, v22, v26
	s_and_saveexec_b64 s[0:1], vcc
	s_cbranch_execnz .LBB2717_106
.LBB2717_83:
	s_or_b64 exec, exec, s[0:1]
	v_cmp_lt_u32_e32 vcc, v21, v26
	s_and_saveexec_b64 s[0:1], vcc
	s_cbranch_execnz .LBB2717_107
.LBB2717_84:
	s_or_b64 exec, exec, s[0:1]
	v_cmp_lt_u32_e32 vcc, v20, v26
	s_and_saveexec_b64 s[0:1], vcc
	s_cbranch_execnz .LBB2717_108
.LBB2717_85:
	s_or_b64 exec, exec, s[0:1]
	v_cmp_lt_u32_e32 vcc, v19, v26
	s_and_saveexec_b64 s[0:1], vcc
	s_cbranch_execnz .LBB2717_109
.LBB2717_86:
	s_or_b64 exec, exec, s[0:1]
	v_cmp_lt_u32_e32 vcc, v18, v26
	s_and_saveexec_b64 s[0:1], vcc
	s_cbranch_execz .LBB2717_88
.LBB2717_87:
	v_lshlrev_b32_e32 v1, 2, v18
	v_readfirstlane_b32 s2, v6
	v_readfirstlane_b32 s3, v7
	s_waitcnt lgkmcnt(0)
	s_nop 3
	global_store_dword v1, v2, s[2:3]
.LBB2717_88:
	s_or_b64 exec, exec, s[0:1]
	v_cmp_lt_u32_e64 s[0:1], v13, v26
.LBB2717_89:
	s_and_saveexec_b64 s[2:3], s[0:1]
	s_cbranch_execz .LBB2717_91
; %bb.90:
	v_lshlrev_b32_e32 v1, 2, v13
	v_readfirstlane_b32 s0, v6
	v_readfirstlane_b32 s1, v7
	s_waitcnt lgkmcnt(0)
	s_nop 3
	global_store_dword v1, v3, s[0:1]
.LBB2717_91:
	s_or_b64 exec, exec, s[2:3]
	v_cmp_eq_u32_e32 vcc, 0, v0
	s_and_b64 s[0:1], vcc, s[26:27]
	s_and_saveexec_b64 s[2:3], s[0:1]
	s_cbranch_execz .LBB2717_93
; %bb.92:
	v_mov_b32_e32 v0, s23
	v_add_co_u32_e32 v1, vcc, s22, v12
	s_waitcnt lgkmcnt(0)
	v_addc_co_u32_e32 v3, vcc, 0, v0, vcc
	v_add_co_u32_e32 v0, vcc, v1, v14
	v_mov_b32_e32 v2, 0
	v_addc_co_u32_e32 v1, vcc, 0, v3, vcc
	global_store_dwordx2 v2, v[0:1], s[24:25]
.LBB2717_93:
	s_endpgm
.LBB2717_94:
	v_readfirstlane_b32 s2, v6
	v_readfirstlane_b32 s3, v7
	s_waitcnt lgkmcnt(4)
	s_nop 3
	global_store_dword v1, v16, s[2:3]
	s_or_b64 exec, exec, s[0:1]
	v_cmp_lt_u32_e32 vcc, v25, v12
	s_and_saveexec_b64 s[0:1], vcc
	s_cbranch_execz .LBB2717_68
.LBB2717_95:
	v_readfirstlane_b32 s2, v6
	v_readfirstlane_b32 s3, v7
	s_waitcnt lgkmcnt(4)
	s_nop 3
	global_store_dword v1, v17, s[2:3] offset:1024
	s_or_b64 exec, exec, s[0:1]
	v_cmp_lt_u32_e32 vcc, v24, v12
	s_and_saveexec_b64 s[0:1], vcc
	s_cbranch_execz .LBB2717_69
.LBB2717_96:
	v_readfirstlane_b32 s2, v6
	v_readfirstlane_b32 s3, v7
	s_waitcnt lgkmcnt(3)
	s_nop 3
	global_store_dword v1, v10, s[2:3] offset:2048
	s_or_b64 exec, exec, s[0:1]
	v_cmp_lt_u32_e32 vcc, v23, v12
	s_and_saveexec_b64 s[0:1], vcc
	s_cbranch_execz .LBB2717_70
.LBB2717_97:
	v_readfirstlane_b32 s2, v6
	v_readfirstlane_b32 s3, v7
	s_waitcnt lgkmcnt(3)
	s_nop 3
	global_store_dword v1, v11, s[2:3] offset:3072
	s_or_b64 exec, exec, s[0:1]
	v_cmp_lt_u32_e32 vcc, v22, v12
	s_and_saveexec_b64 s[0:1], vcc
	s_cbranch_execz .LBB2717_71
.LBB2717_98:
	v_lshlrev_b32_e32 v15, 2, v22
	v_readfirstlane_b32 s2, v6
	v_readfirstlane_b32 s3, v7
	s_waitcnt lgkmcnt(2)
	s_nop 3
	global_store_dword v15, v8, s[2:3]
	s_or_b64 exec, exec, s[0:1]
	v_cmp_lt_u32_e32 vcc, v21, v12
	s_and_saveexec_b64 s[0:1], vcc
	s_cbranch_execz .LBB2717_72
.LBB2717_99:
	v_lshlrev_b32_e32 v15, 2, v21
	v_readfirstlane_b32 s2, v6
	v_readfirstlane_b32 s3, v7
	s_waitcnt lgkmcnt(2)
	s_nop 3
	global_store_dword v15, v9, s[2:3]
	s_or_b64 exec, exec, s[0:1]
	v_cmp_lt_u32_e32 vcc, v20, v12
	s_and_saveexec_b64 s[0:1], vcc
	s_cbranch_execz .LBB2717_73
.LBB2717_100:
	v_lshlrev_b32_e32 v15, 2, v20
	v_readfirstlane_b32 s2, v6
	v_readfirstlane_b32 s3, v7
	s_waitcnt lgkmcnt(1)
	s_nop 3
	global_store_dword v15, v4, s[2:3]
	s_or_b64 exec, exec, s[0:1]
	v_cmp_lt_u32_e32 vcc, v19, v12
	s_and_saveexec_b64 s[0:1], vcc
	s_cbranch_execz .LBB2717_74
.LBB2717_101:
	v_lshlrev_b32_e32 v15, 2, v19
	v_readfirstlane_b32 s2, v6
	v_readfirstlane_b32 s3, v7
	s_waitcnt lgkmcnt(1)
	s_nop 3
	global_store_dword v15, v5, s[2:3]
	s_or_b64 exec, exec, s[0:1]
	v_cmp_lt_u32_e32 vcc, v18, v12
	s_and_saveexec_b64 s[0:1], vcc
	s_cbranch_execnz .LBB2717_75
	s_branch .LBB2717_76
.LBB2717_102:
	v_readfirstlane_b32 s2, v6
	v_readfirstlane_b32 s3, v7
	s_waitcnt lgkmcnt(4)
	s_nop 3
	global_store_dword v1, v16, s[2:3]
	s_or_b64 exec, exec, s[0:1]
	v_cmp_lt_u32_e32 vcc, v25, v26
	s_and_saveexec_b64 s[0:1], vcc
	s_cbranch_execz .LBB2717_80
.LBB2717_103:
	v_readfirstlane_b32 s2, v6
	v_readfirstlane_b32 s3, v7
	s_waitcnt lgkmcnt(4)
	s_nop 3
	global_store_dword v1, v17, s[2:3] offset:1024
	s_or_b64 exec, exec, s[0:1]
	v_cmp_lt_u32_e32 vcc, v24, v26
	s_and_saveexec_b64 s[0:1], vcc
	s_cbranch_execz .LBB2717_81
.LBB2717_104:
	v_readfirstlane_b32 s2, v6
	v_readfirstlane_b32 s3, v7
	s_waitcnt lgkmcnt(3)
	s_nop 3
	global_store_dword v1, v10, s[2:3] offset:2048
	s_or_b64 exec, exec, s[0:1]
	v_cmp_lt_u32_e32 vcc, v23, v26
	s_and_saveexec_b64 s[0:1], vcc
	s_cbranch_execz .LBB2717_82
.LBB2717_105:
	v_readfirstlane_b32 s2, v6
	v_readfirstlane_b32 s3, v7
	s_waitcnt lgkmcnt(3)
	s_nop 3
	global_store_dword v1, v11, s[2:3] offset:3072
	s_or_b64 exec, exec, s[0:1]
	v_cmp_lt_u32_e32 vcc, v22, v26
	s_and_saveexec_b64 s[0:1], vcc
	s_cbranch_execz .LBB2717_83
.LBB2717_106:
	v_lshlrev_b32_e32 v1, 2, v22
	v_readfirstlane_b32 s2, v6
	v_readfirstlane_b32 s3, v7
	s_waitcnt lgkmcnt(2)
	s_nop 3
	global_store_dword v1, v8, s[2:3]
	s_or_b64 exec, exec, s[0:1]
	v_cmp_lt_u32_e32 vcc, v21, v26
	s_and_saveexec_b64 s[0:1], vcc
	s_cbranch_execz .LBB2717_84
.LBB2717_107:
	v_lshlrev_b32_e32 v1, 2, v21
	v_readfirstlane_b32 s2, v6
	v_readfirstlane_b32 s3, v7
	s_waitcnt lgkmcnt(2)
	s_nop 3
	global_store_dword v1, v9, s[2:3]
	s_or_b64 exec, exec, s[0:1]
	v_cmp_lt_u32_e32 vcc, v20, v26
	s_and_saveexec_b64 s[0:1], vcc
	s_cbranch_execz .LBB2717_85
.LBB2717_108:
	v_lshlrev_b32_e32 v1, 2, v20
	v_readfirstlane_b32 s2, v6
	v_readfirstlane_b32 s3, v7
	s_waitcnt lgkmcnt(1)
	s_nop 3
	global_store_dword v1, v4, s[2:3]
	s_or_b64 exec, exec, s[0:1]
	v_cmp_lt_u32_e32 vcc, v19, v26
	s_and_saveexec_b64 s[0:1], vcc
	s_cbranch_execz .LBB2717_86
.LBB2717_109:
	v_lshlrev_b32_e32 v1, 2, v19
	v_readfirstlane_b32 s2, v6
	v_readfirstlane_b32 s3, v7
	s_waitcnt lgkmcnt(1)
	s_nop 3
	global_store_dword v1, v5, s[2:3]
	s_or_b64 exec, exec, s[0:1]
	v_cmp_lt_u32_e32 vcc, v18, v26
	s_and_saveexec_b64 s[0:1], vcc
	s_cbranch_execnz .LBB2717_87
	s_branch .LBB2717_88
	.section	.rodata,"a",@progbits
	.p2align	6, 0x0
	.amdhsa_kernel _ZN7rocprim17ROCPRIM_400000_NS6detail17trampoline_kernelINS0_14default_configENS1_25partition_config_selectorILNS1_17partition_subalgoE0EiNS0_10empty_typeEbEEZZNS1_14partition_implILS5_0ELb0ES3_jN6thrust23THRUST_200600_302600_NS6detail15normal_iteratorINSA_10device_ptrIiEEEEPS6_SG_NS0_5tupleIJSF_NSA_16discard_iteratorINSA_11use_defaultEEEEEENSH_IJSG_SG_EEES6_PlJ7is_evenIiEEEE10hipError_tPvRmT3_T4_T5_T6_T7_T9_mT8_P12ihipStream_tbDpT10_ENKUlT_T0_E_clISt17integral_constantIbLb0EES19_EEDaS14_S15_EUlS14_E_NS1_11comp_targetILNS1_3genE4ELNS1_11target_archE910ELNS1_3gpuE8ELNS1_3repE0EEENS1_30default_config_static_selectorELNS0_4arch9wavefront6targetE1EEEvT1_
		.amdhsa_group_segment_fixed_size 10248
		.amdhsa_private_segment_fixed_size 0
		.amdhsa_kernarg_size 128
		.amdhsa_user_sgpr_count 6
		.amdhsa_user_sgpr_private_segment_buffer 1
		.amdhsa_user_sgpr_dispatch_ptr 0
		.amdhsa_user_sgpr_queue_ptr 0
		.amdhsa_user_sgpr_kernarg_segment_ptr 1
		.amdhsa_user_sgpr_dispatch_id 0
		.amdhsa_user_sgpr_flat_scratch_init 0
		.amdhsa_user_sgpr_kernarg_preload_length 0
		.amdhsa_user_sgpr_kernarg_preload_offset 0
		.amdhsa_user_sgpr_private_segment_size 0
		.amdhsa_uses_dynamic_stack 0
		.amdhsa_system_sgpr_private_segment_wavefront_offset 0
		.amdhsa_system_sgpr_workgroup_id_x 1
		.amdhsa_system_sgpr_workgroup_id_y 0
		.amdhsa_system_sgpr_workgroup_id_z 0
		.amdhsa_system_sgpr_workgroup_info 0
		.amdhsa_system_vgpr_workitem_id 0
		.amdhsa_next_free_vgpr 54
		.amdhsa_next_free_sgpr 40
		.amdhsa_accum_offset 56
		.amdhsa_reserve_vcc 1
		.amdhsa_reserve_flat_scratch 0
		.amdhsa_float_round_mode_32 0
		.amdhsa_float_round_mode_16_64 0
		.amdhsa_float_denorm_mode_32 3
		.amdhsa_float_denorm_mode_16_64 3
		.amdhsa_dx10_clamp 1
		.amdhsa_ieee_mode 1
		.amdhsa_fp16_overflow 0
		.amdhsa_tg_split 0
		.amdhsa_exception_fp_ieee_invalid_op 0
		.amdhsa_exception_fp_denorm_src 0
		.amdhsa_exception_fp_ieee_div_zero 0
		.amdhsa_exception_fp_ieee_overflow 0
		.amdhsa_exception_fp_ieee_underflow 0
		.amdhsa_exception_fp_ieee_inexact 0
		.amdhsa_exception_int_div_zero 0
	.end_amdhsa_kernel
	.section	.text._ZN7rocprim17ROCPRIM_400000_NS6detail17trampoline_kernelINS0_14default_configENS1_25partition_config_selectorILNS1_17partition_subalgoE0EiNS0_10empty_typeEbEEZZNS1_14partition_implILS5_0ELb0ES3_jN6thrust23THRUST_200600_302600_NS6detail15normal_iteratorINSA_10device_ptrIiEEEEPS6_SG_NS0_5tupleIJSF_NSA_16discard_iteratorINSA_11use_defaultEEEEEENSH_IJSG_SG_EEES6_PlJ7is_evenIiEEEE10hipError_tPvRmT3_T4_T5_T6_T7_T9_mT8_P12ihipStream_tbDpT10_ENKUlT_T0_E_clISt17integral_constantIbLb0EES19_EEDaS14_S15_EUlS14_E_NS1_11comp_targetILNS1_3genE4ELNS1_11target_archE910ELNS1_3gpuE8ELNS1_3repE0EEENS1_30default_config_static_selectorELNS0_4arch9wavefront6targetE1EEEvT1_,"axG",@progbits,_ZN7rocprim17ROCPRIM_400000_NS6detail17trampoline_kernelINS0_14default_configENS1_25partition_config_selectorILNS1_17partition_subalgoE0EiNS0_10empty_typeEbEEZZNS1_14partition_implILS5_0ELb0ES3_jN6thrust23THRUST_200600_302600_NS6detail15normal_iteratorINSA_10device_ptrIiEEEEPS6_SG_NS0_5tupleIJSF_NSA_16discard_iteratorINSA_11use_defaultEEEEEENSH_IJSG_SG_EEES6_PlJ7is_evenIiEEEE10hipError_tPvRmT3_T4_T5_T6_T7_T9_mT8_P12ihipStream_tbDpT10_ENKUlT_T0_E_clISt17integral_constantIbLb0EES19_EEDaS14_S15_EUlS14_E_NS1_11comp_targetILNS1_3genE4ELNS1_11target_archE910ELNS1_3gpuE8ELNS1_3repE0EEENS1_30default_config_static_selectorELNS0_4arch9wavefront6targetE1EEEvT1_,comdat
.Lfunc_end2717:
	.size	_ZN7rocprim17ROCPRIM_400000_NS6detail17trampoline_kernelINS0_14default_configENS1_25partition_config_selectorILNS1_17partition_subalgoE0EiNS0_10empty_typeEbEEZZNS1_14partition_implILS5_0ELb0ES3_jN6thrust23THRUST_200600_302600_NS6detail15normal_iteratorINSA_10device_ptrIiEEEEPS6_SG_NS0_5tupleIJSF_NSA_16discard_iteratorINSA_11use_defaultEEEEEENSH_IJSG_SG_EEES6_PlJ7is_evenIiEEEE10hipError_tPvRmT3_T4_T5_T6_T7_T9_mT8_P12ihipStream_tbDpT10_ENKUlT_T0_E_clISt17integral_constantIbLb0EES19_EEDaS14_S15_EUlS14_E_NS1_11comp_targetILNS1_3genE4ELNS1_11target_archE910ELNS1_3gpuE8ELNS1_3repE0EEENS1_30default_config_static_selectorELNS0_4arch9wavefront6targetE1EEEvT1_, .Lfunc_end2717-_ZN7rocprim17ROCPRIM_400000_NS6detail17trampoline_kernelINS0_14default_configENS1_25partition_config_selectorILNS1_17partition_subalgoE0EiNS0_10empty_typeEbEEZZNS1_14partition_implILS5_0ELb0ES3_jN6thrust23THRUST_200600_302600_NS6detail15normal_iteratorINSA_10device_ptrIiEEEEPS6_SG_NS0_5tupleIJSF_NSA_16discard_iteratorINSA_11use_defaultEEEEEENSH_IJSG_SG_EEES6_PlJ7is_evenIiEEEE10hipError_tPvRmT3_T4_T5_T6_T7_T9_mT8_P12ihipStream_tbDpT10_ENKUlT_T0_E_clISt17integral_constantIbLb0EES19_EEDaS14_S15_EUlS14_E_NS1_11comp_targetILNS1_3genE4ELNS1_11target_archE910ELNS1_3gpuE8ELNS1_3repE0EEENS1_30default_config_static_selectorELNS0_4arch9wavefront6targetE1EEEvT1_
                                        ; -- End function
	.section	.AMDGPU.csdata,"",@progbits
; Kernel info:
; codeLenInByte = 5180
; NumSgprs: 44
; NumVgprs: 54
; NumAgprs: 0
; TotalNumVgprs: 54
; ScratchSize: 0
; MemoryBound: 0
; FloatMode: 240
; IeeeMode: 1
; LDSByteSize: 10248 bytes/workgroup (compile time only)
; SGPRBlocks: 5
; VGPRBlocks: 6
; NumSGPRsForWavesPerEU: 44
; NumVGPRsForWavesPerEU: 54
; AccumOffset: 56
; Occupancy: 6
; WaveLimiterHint : 1
; COMPUTE_PGM_RSRC2:SCRATCH_EN: 0
; COMPUTE_PGM_RSRC2:USER_SGPR: 6
; COMPUTE_PGM_RSRC2:TRAP_HANDLER: 0
; COMPUTE_PGM_RSRC2:TGID_X_EN: 1
; COMPUTE_PGM_RSRC2:TGID_Y_EN: 0
; COMPUTE_PGM_RSRC2:TGID_Z_EN: 0
; COMPUTE_PGM_RSRC2:TIDIG_COMP_CNT: 0
; COMPUTE_PGM_RSRC3_GFX90A:ACCUM_OFFSET: 13
; COMPUTE_PGM_RSRC3_GFX90A:TG_SPLIT: 0
	.section	.text._ZN7rocprim17ROCPRIM_400000_NS6detail17trampoline_kernelINS0_14default_configENS1_25partition_config_selectorILNS1_17partition_subalgoE0EiNS0_10empty_typeEbEEZZNS1_14partition_implILS5_0ELb0ES3_jN6thrust23THRUST_200600_302600_NS6detail15normal_iteratorINSA_10device_ptrIiEEEEPS6_SG_NS0_5tupleIJSF_NSA_16discard_iteratorINSA_11use_defaultEEEEEENSH_IJSG_SG_EEES6_PlJ7is_evenIiEEEE10hipError_tPvRmT3_T4_T5_T6_T7_T9_mT8_P12ihipStream_tbDpT10_ENKUlT_T0_E_clISt17integral_constantIbLb0EES19_EEDaS14_S15_EUlS14_E_NS1_11comp_targetILNS1_3genE3ELNS1_11target_archE908ELNS1_3gpuE7ELNS1_3repE0EEENS1_30default_config_static_selectorELNS0_4arch9wavefront6targetE1EEEvT1_,"axG",@progbits,_ZN7rocprim17ROCPRIM_400000_NS6detail17trampoline_kernelINS0_14default_configENS1_25partition_config_selectorILNS1_17partition_subalgoE0EiNS0_10empty_typeEbEEZZNS1_14partition_implILS5_0ELb0ES3_jN6thrust23THRUST_200600_302600_NS6detail15normal_iteratorINSA_10device_ptrIiEEEEPS6_SG_NS0_5tupleIJSF_NSA_16discard_iteratorINSA_11use_defaultEEEEEENSH_IJSG_SG_EEES6_PlJ7is_evenIiEEEE10hipError_tPvRmT3_T4_T5_T6_T7_T9_mT8_P12ihipStream_tbDpT10_ENKUlT_T0_E_clISt17integral_constantIbLb0EES19_EEDaS14_S15_EUlS14_E_NS1_11comp_targetILNS1_3genE3ELNS1_11target_archE908ELNS1_3gpuE7ELNS1_3repE0EEENS1_30default_config_static_selectorELNS0_4arch9wavefront6targetE1EEEvT1_,comdat
	.protected	_ZN7rocprim17ROCPRIM_400000_NS6detail17trampoline_kernelINS0_14default_configENS1_25partition_config_selectorILNS1_17partition_subalgoE0EiNS0_10empty_typeEbEEZZNS1_14partition_implILS5_0ELb0ES3_jN6thrust23THRUST_200600_302600_NS6detail15normal_iteratorINSA_10device_ptrIiEEEEPS6_SG_NS0_5tupleIJSF_NSA_16discard_iteratorINSA_11use_defaultEEEEEENSH_IJSG_SG_EEES6_PlJ7is_evenIiEEEE10hipError_tPvRmT3_T4_T5_T6_T7_T9_mT8_P12ihipStream_tbDpT10_ENKUlT_T0_E_clISt17integral_constantIbLb0EES19_EEDaS14_S15_EUlS14_E_NS1_11comp_targetILNS1_3genE3ELNS1_11target_archE908ELNS1_3gpuE7ELNS1_3repE0EEENS1_30default_config_static_selectorELNS0_4arch9wavefront6targetE1EEEvT1_ ; -- Begin function _ZN7rocprim17ROCPRIM_400000_NS6detail17trampoline_kernelINS0_14default_configENS1_25partition_config_selectorILNS1_17partition_subalgoE0EiNS0_10empty_typeEbEEZZNS1_14partition_implILS5_0ELb0ES3_jN6thrust23THRUST_200600_302600_NS6detail15normal_iteratorINSA_10device_ptrIiEEEEPS6_SG_NS0_5tupleIJSF_NSA_16discard_iteratorINSA_11use_defaultEEEEEENSH_IJSG_SG_EEES6_PlJ7is_evenIiEEEE10hipError_tPvRmT3_T4_T5_T6_T7_T9_mT8_P12ihipStream_tbDpT10_ENKUlT_T0_E_clISt17integral_constantIbLb0EES19_EEDaS14_S15_EUlS14_E_NS1_11comp_targetILNS1_3genE3ELNS1_11target_archE908ELNS1_3gpuE7ELNS1_3repE0EEENS1_30default_config_static_selectorELNS0_4arch9wavefront6targetE1EEEvT1_
	.globl	_ZN7rocprim17ROCPRIM_400000_NS6detail17trampoline_kernelINS0_14default_configENS1_25partition_config_selectorILNS1_17partition_subalgoE0EiNS0_10empty_typeEbEEZZNS1_14partition_implILS5_0ELb0ES3_jN6thrust23THRUST_200600_302600_NS6detail15normal_iteratorINSA_10device_ptrIiEEEEPS6_SG_NS0_5tupleIJSF_NSA_16discard_iteratorINSA_11use_defaultEEEEEENSH_IJSG_SG_EEES6_PlJ7is_evenIiEEEE10hipError_tPvRmT3_T4_T5_T6_T7_T9_mT8_P12ihipStream_tbDpT10_ENKUlT_T0_E_clISt17integral_constantIbLb0EES19_EEDaS14_S15_EUlS14_E_NS1_11comp_targetILNS1_3genE3ELNS1_11target_archE908ELNS1_3gpuE7ELNS1_3repE0EEENS1_30default_config_static_selectorELNS0_4arch9wavefront6targetE1EEEvT1_
	.p2align	8
	.type	_ZN7rocprim17ROCPRIM_400000_NS6detail17trampoline_kernelINS0_14default_configENS1_25partition_config_selectorILNS1_17partition_subalgoE0EiNS0_10empty_typeEbEEZZNS1_14partition_implILS5_0ELb0ES3_jN6thrust23THRUST_200600_302600_NS6detail15normal_iteratorINSA_10device_ptrIiEEEEPS6_SG_NS0_5tupleIJSF_NSA_16discard_iteratorINSA_11use_defaultEEEEEENSH_IJSG_SG_EEES6_PlJ7is_evenIiEEEE10hipError_tPvRmT3_T4_T5_T6_T7_T9_mT8_P12ihipStream_tbDpT10_ENKUlT_T0_E_clISt17integral_constantIbLb0EES19_EEDaS14_S15_EUlS14_E_NS1_11comp_targetILNS1_3genE3ELNS1_11target_archE908ELNS1_3gpuE7ELNS1_3repE0EEENS1_30default_config_static_selectorELNS0_4arch9wavefront6targetE1EEEvT1_,@function
_ZN7rocprim17ROCPRIM_400000_NS6detail17trampoline_kernelINS0_14default_configENS1_25partition_config_selectorILNS1_17partition_subalgoE0EiNS0_10empty_typeEbEEZZNS1_14partition_implILS5_0ELb0ES3_jN6thrust23THRUST_200600_302600_NS6detail15normal_iteratorINSA_10device_ptrIiEEEEPS6_SG_NS0_5tupleIJSF_NSA_16discard_iteratorINSA_11use_defaultEEEEEENSH_IJSG_SG_EEES6_PlJ7is_evenIiEEEE10hipError_tPvRmT3_T4_T5_T6_T7_T9_mT8_P12ihipStream_tbDpT10_ENKUlT_T0_E_clISt17integral_constantIbLb0EES19_EEDaS14_S15_EUlS14_E_NS1_11comp_targetILNS1_3genE3ELNS1_11target_archE908ELNS1_3gpuE7ELNS1_3repE0EEENS1_30default_config_static_selectorELNS0_4arch9wavefront6targetE1EEEvT1_: ; @_ZN7rocprim17ROCPRIM_400000_NS6detail17trampoline_kernelINS0_14default_configENS1_25partition_config_selectorILNS1_17partition_subalgoE0EiNS0_10empty_typeEbEEZZNS1_14partition_implILS5_0ELb0ES3_jN6thrust23THRUST_200600_302600_NS6detail15normal_iteratorINSA_10device_ptrIiEEEEPS6_SG_NS0_5tupleIJSF_NSA_16discard_iteratorINSA_11use_defaultEEEEEENSH_IJSG_SG_EEES6_PlJ7is_evenIiEEEE10hipError_tPvRmT3_T4_T5_T6_T7_T9_mT8_P12ihipStream_tbDpT10_ENKUlT_T0_E_clISt17integral_constantIbLb0EES19_EEDaS14_S15_EUlS14_E_NS1_11comp_targetILNS1_3genE3ELNS1_11target_archE908ELNS1_3gpuE7ELNS1_3repE0EEENS1_30default_config_static_selectorELNS0_4arch9wavefront6targetE1EEEvT1_
; %bb.0:
	.section	.rodata,"a",@progbits
	.p2align	6, 0x0
	.amdhsa_kernel _ZN7rocprim17ROCPRIM_400000_NS6detail17trampoline_kernelINS0_14default_configENS1_25partition_config_selectorILNS1_17partition_subalgoE0EiNS0_10empty_typeEbEEZZNS1_14partition_implILS5_0ELb0ES3_jN6thrust23THRUST_200600_302600_NS6detail15normal_iteratorINSA_10device_ptrIiEEEEPS6_SG_NS0_5tupleIJSF_NSA_16discard_iteratorINSA_11use_defaultEEEEEENSH_IJSG_SG_EEES6_PlJ7is_evenIiEEEE10hipError_tPvRmT3_T4_T5_T6_T7_T9_mT8_P12ihipStream_tbDpT10_ENKUlT_T0_E_clISt17integral_constantIbLb0EES19_EEDaS14_S15_EUlS14_E_NS1_11comp_targetILNS1_3genE3ELNS1_11target_archE908ELNS1_3gpuE7ELNS1_3repE0EEENS1_30default_config_static_selectorELNS0_4arch9wavefront6targetE1EEEvT1_
		.amdhsa_group_segment_fixed_size 0
		.amdhsa_private_segment_fixed_size 0
		.amdhsa_kernarg_size 128
		.amdhsa_user_sgpr_count 6
		.amdhsa_user_sgpr_private_segment_buffer 1
		.amdhsa_user_sgpr_dispatch_ptr 0
		.amdhsa_user_sgpr_queue_ptr 0
		.amdhsa_user_sgpr_kernarg_segment_ptr 1
		.amdhsa_user_sgpr_dispatch_id 0
		.amdhsa_user_sgpr_flat_scratch_init 0
		.amdhsa_user_sgpr_kernarg_preload_length 0
		.amdhsa_user_sgpr_kernarg_preload_offset 0
		.amdhsa_user_sgpr_private_segment_size 0
		.amdhsa_uses_dynamic_stack 0
		.amdhsa_system_sgpr_private_segment_wavefront_offset 0
		.amdhsa_system_sgpr_workgroup_id_x 1
		.amdhsa_system_sgpr_workgroup_id_y 0
		.amdhsa_system_sgpr_workgroup_id_z 0
		.amdhsa_system_sgpr_workgroup_info 0
		.amdhsa_system_vgpr_workitem_id 0
		.amdhsa_next_free_vgpr 1
		.amdhsa_next_free_sgpr 0
		.amdhsa_accum_offset 4
		.amdhsa_reserve_vcc 0
		.amdhsa_reserve_flat_scratch 0
		.amdhsa_float_round_mode_32 0
		.amdhsa_float_round_mode_16_64 0
		.amdhsa_float_denorm_mode_32 3
		.amdhsa_float_denorm_mode_16_64 3
		.amdhsa_dx10_clamp 1
		.amdhsa_ieee_mode 1
		.amdhsa_fp16_overflow 0
		.amdhsa_tg_split 0
		.amdhsa_exception_fp_ieee_invalid_op 0
		.amdhsa_exception_fp_denorm_src 0
		.amdhsa_exception_fp_ieee_div_zero 0
		.amdhsa_exception_fp_ieee_overflow 0
		.amdhsa_exception_fp_ieee_underflow 0
		.amdhsa_exception_fp_ieee_inexact 0
		.amdhsa_exception_int_div_zero 0
	.end_amdhsa_kernel
	.section	.text._ZN7rocprim17ROCPRIM_400000_NS6detail17trampoline_kernelINS0_14default_configENS1_25partition_config_selectorILNS1_17partition_subalgoE0EiNS0_10empty_typeEbEEZZNS1_14partition_implILS5_0ELb0ES3_jN6thrust23THRUST_200600_302600_NS6detail15normal_iteratorINSA_10device_ptrIiEEEEPS6_SG_NS0_5tupleIJSF_NSA_16discard_iteratorINSA_11use_defaultEEEEEENSH_IJSG_SG_EEES6_PlJ7is_evenIiEEEE10hipError_tPvRmT3_T4_T5_T6_T7_T9_mT8_P12ihipStream_tbDpT10_ENKUlT_T0_E_clISt17integral_constantIbLb0EES19_EEDaS14_S15_EUlS14_E_NS1_11comp_targetILNS1_3genE3ELNS1_11target_archE908ELNS1_3gpuE7ELNS1_3repE0EEENS1_30default_config_static_selectorELNS0_4arch9wavefront6targetE1EEEvT1_,"axG",@progbits,_ZN7rocprim17ROCPRIM_400000_NS6detail17trampoline_kernelINS0_14default_configENS1_25partition_config_selectorILNS1_17partition_subalgoE0EiNS0_10empty_typeEbEEZZNS1_14partition_implILS5_0ELb0ES3_jN6thrust23THRUST_200600_302600_NS6detail15normal_iteratorINSA_10device_ptrIiEEEEPS6_SG_NS0_5tupleIJSF_NSA_16discard_iteratorINSA_11use_defaultEEEEEENSH_IJSG_SG_EEES6_PlJ7is_evenIiEEEE10hipError_tPvRmT3_T4_T5_T6_T7_T9_mT8_P12ihipStream_tbDpT10_ENKUlT_T0_E_clISt17integral_constantIbLb0EES19_EEDaS14_S15_EUlS14_E_NS1_11comp_targetILNS1_3genE3ELNS1_11target_archE908ELNS1_3gpuE7ELNS1_3repE0EEENS1_30default_config_static_selectorELNS0_4arch9wavefront6targetE1EEEvT1_,comdat
.Lfunc_end2718:
	.size	_ZN7rocprim17ROCPRIM_400000_NS6detail17trampoline_kernelINS0_14default_configENS1_25partition_config_selectorILNS1_17partition_subalgoE0EiNS0_10empty_typeEbEEZZNS1_14partition_implILS5_0ELb0ES3_jN6thrust23THRUST_200600_302600_NS6detail15normal_iteratorINSA_10device_ptrIiEEEEPS6_SG_NS0_5tupleIJSF_NSA_16discard_iteratorINSA_11use_defaultEEEEEENSH_IJSG_SG_EEES6_PlJ7is_evenIiEEEE10hipError_tPvRmT3_T4_T5_T6_T7_T9_mT8_P12ihipStream_tbDpT10_ENKUlT_T0_E_clISt17integral_constantIbLb0EES19_EEDaS14_S15_EUlS14_E_NS1_11comp_targetILNS1_3genE3ELNS1_11target_archE908ELNS1_3gpuE7ELNS1_3repE0EEENS1_30default_config_static_selectorELNS0_4arch9wavefront6targetE1EEEvT1_, .Lfunc_end2718-_ZN7rocprim17ROCPRIM_400000_NS6detail17trampoline_kernelINS0_14default_configENS1_25partition_config_selectorILNS1_17partition_subalgoE0EiNS0_10empty_typeEbEEZZNS1_14partition_implILS5_0ELb0ES3_jN6thrust23THRUST_200600_302600_NS6detail15normal_iteratorINSA_10device_ptrIiEEEEPS6_SG_NS0_5tupleIJSF_NSA_16discard_iteratorINSA_11use_defaultEEEEEENSH_IJSG_SG_EEES6_PlJ7is_evenIiEEEE10hipError_tPvRmT3_T4_T5_T6_T7_T9_mT8_P12ihipStream_tbDpT10_ENKUlT_T0_E_clISt17integral_constantIbLb0EES19_EEDaS14_S15_EUlS14_E_NS1_11comp_targetILNS1_3genE3ELNS1_11target_archE908ELNS1_3gpuE7ELNS1_3repE0EEENS1_30default_config_static_selectorELNS0_4arch9wavefront6targetE1EEEvT1_
                                        ; -- End function
	.section	.AMDGPU.csdata,"",@progbits
; Kernel info:
; codeLenInByte = 0
; NumSgprs: 4
; NumVgprs: 0
; NumAgprs: 0
; TotalNumVgprs: 0
; ScratchSize: 0
; MemoryBound: 0
; FloatMode: 240
; IeeeMode: 1
; LDSByteSize: 0 bytes/workgroup (compile time only)
; SGPRBlocks: 0
; VGPRBlocks: 0
; NumSGPRsForWavesPerEU: 4
; NumVGPRsForWavesPerEU: 1
; AccumOffset: 4
; Occupancy: 8
; WaveLimiterHint : 0
; COMPUTE_PGM_RSRC2:SCRATCH_EN: 0
; COMPUTE_PGM_RSRC2:USER_SGPR: 6
; COMPUTE_PGM_RSRC2:TRAP_HANDLER: 0
; COMPUTE_PGM_RSRC2:TGID_X_EN: 1
; COMPUTE_PGM_RSRC2:TGID_Y_EN: 0
; COMPUTE_PGM_RSRC2:TGID_Z_EN: 0
; COMPUTE_PGM_RSRC2:TIDIG_COMP_CNT: 0
; COMPUTE_PGM_RSRC3_GFX90A:ACCUM_OFFSET: 0
; COMPUTE_PGM_RSRC3_GFX90A:TG_SPLIT: 0
	.section	.text._ZN7rocprim17ROCPRIM_400000_NS6detail17trampoline_kernelINS0_14default_configENS1_25partition_config_selectorILNS1_17partition_subalgoE0EiNS0_10empty_typeEbEEZZNS1_14partition_implILS5_0ELb0ES3_jN6thrust23THRUST_200600_302600_NS6detail15normal_iteratorINSA_10device_ptrIiEEEEPS6_SG_NS0_5tupleIJSF_NSA_16discard_iteratorINSA_11use_defaultEEEEEENSH_IJSG_SG_EEES6_PlJ7is_evenIiEEEE10hipError_tPvRmT3_T4_T5_T6_T7_T9_mT8_P12ihipStream_tbDpT10_ENKUlT_T0_E_clISt17integral_constantIbLb0EES19_EEDaS14_S15_EUlS14_E_NS1_11comp_targetILNS1_3genE2ELNS1_11target_archE906ELNS1_3gpuE6ELNS1_3repE0EEENS1_30default_config_static_selectorELNS0_4arch9wavefront6targetE1EEEvT1_,"axG",@progbits,_ZN7rocprim17ROCPRIM_400000_NS6detail17trampoline_kernelINS0_14default_configENS1_25partition_config_selectorILNS1_17partition_subalgoE0EiNS0_10empty_typeEbEEZZNS1_14partition_implILS5_0ELb0ES3_jN6thrust23THRUST_200600_302600_NS6detail15normal_iteratorINSA_10device_ptrIiEEEEPS6_SG_NS0_5tupleIJSF_NSA_16discard_iteratorINSA_11use_defaultEEEEEENSH_IJSG_SG_EEES6_PlJ7is_evenIiEEEE10hipError_tPvRmT3_T4_T5_T6_T7_T9_mT8_P12ihipStream_tbDpT10_ENKUlT_T0_E_clISt17integral_constantIbLb0EES19_EEDaS14_S15_EUlS14_E_NS1_11comp_targetILNS1_3genE2ELNS1_11target_archE906ELNS1_3gpuE6ELNS1_3repE0EEENS1_30default_config_static_selectorELNS0_4arch9wavefront6targetE1EEEvT1_,comdat
	.protected	_ZN7rocprim17ROCPRIM_400000_NS6detail17trampoline_kernelINS0_14default_configENS1_25partition_config_selectorILNS1_17partition_subalgoE0EiNS0_10empty_typeEbEEZZNS1_14partition_implILS5_0ELb0ES3_jN6thrust23THRUST_200600_302600_NS6detail15normal_iteratorINSA_10device_ptrIiEEEEPS6_SG_NS0_5tupleIJSF_NSA_16discard_iteratorINSA_11use_defaultEEEEEENSH_IJSG_SG_EEES6_PlJ7is_evenIiEEEE10hipError_tPvRmT3_T4_T5_T6_T7_T9_mT8_P12ihipStream_tbDpT10_ENKUlT_T0_E_clISt17integral_constantIbLb0EES19_EEDaS14_S15_EUlS14_E_NS1_11comp_targetILNS1_3genE2ELNS1_11target_archE906ELNS1_3gpuE6ELNS1_3repE0EEENS1_30default_config_static_selectorELNS0_4arch9wavefront6targetE1EEEvT1_ ; -- Begin function _ZN7rocprim17ROCPRIM_400000_NS6detail17trampoline_kernelINS0_14default_configENS1_25partition_config_selectorILNS1_17partition_subalgoE0EiNS0_10empty_typeEbEEZZNS1_14partition_implILS5_0ELb0ES3_jN6thrust23THRUST_200600_302600_NS6detail15normal_iteratorINSA_10device_ptrIiEEEEPS6_SG_NS0_5tupleIJSF_NSA_16discard_iteratorINSA_11use_defaultEEEEEENSH_IJSG_SG_EEES6_PlJ7is_evenIiEEEE10hipError_tPvRmT3_T4_T5_T6_T7_T9_mT8_P12ihipStream_tbDpT10_ENKUlT_T0_E_clISt17integral_constantIbLb0EES19_EEDaS14_S15_EUlS14_E_NS1_11comp_targetILNS1_3genE2ELNS1_11target_archE906ELNS1_3gpuE6ELNS1_3repE0EEENS1_30default_config_static_selectorELNS0_4arch9wavefront6targetE1EEEvT1_
	.globl	_ZN7rocprim17ROCPRIM_400000_NS6detail17trampoline_kernelINS0_14default_configENS1_25partition_config_selectorILNS1_17partition_subalgoE0EiNS0_10empty_typeEbEEZZNS1_14partition_implILS5_0ELb0ES3_jN6thrust23THRUST_200600_302600_NS6detail15normal_iteratorINSA_10device_ptrIiEEEEPS6_SG_NS0_5tupleIJSF_NSA_16discard_iteratorINSA_11use_defaultEEEEEENSH_IJSG_SG_EEES6_PlJ7is_evenIiEEEE10hipError_tPvRmT3_T4_T5_T6_T7_T9_mT8_P12ihipStream_tbDpT10_ENKUlT_T0_E_clISt17integral_constantIbLb0EES19_EEDaS14_S15_EUlS14_E_NS1_11comp_targetILNS1_3genE2ELNS1_11target_archE906ELNS1_3gpuE6ELNS1_3repE0EEENS1_30default_config_static_selectorELNS0_4arch9wavefront6targetE1EEEvT1_
	.p2align	8
	.type	_ZN7rocprim17ROCPRIM_400000_NS6detail17trampoline_kernelINS0_14default_configENS1_25partition_config_selectorILNS1_17partition_subalgoE0EiNS0_10empty_typeEbEEZZNS1_14partition_implILS5_0ELb0ES3_jN6thrust23THRUST_200600_302600_NS6detail15normal_iteratorINSA_10device_ptrIiEEEEPS6_SG_NS0_5tupleIJSF_NSA_16discard_iteratorINSA_11use_defaultEEEEEENSH_IJSG_SG_EEES6_PlJ7is_evenIiEEEE10hipError_tPvRmT3_T4_T5_T6_T7_T9_mT8_P12ihipStream_tbDpT10_ENKUlT_T0_E_clISt17integral_constantIbLb0EES19_EEDaS14_S15_EUlS14_E_NS1_11comp_targetILNS1_3genE2ELNS1_11target_archE906ELNS1_3gpuE6ELNS1_3repE0EEENS1_30default_config_static_selectorELNS0_4arch9wavefront6targetE1EEEvT1_,@function
_ZN7rocprim17ROCPRIM_400000_NS6detail17trampoline_kernelINS0_14default_configENS1_25partition_config_selectorILNS1_17partition_subalgoE0EiNS0_10empty_typeEbEEZZNS1_14partition_implILS5_0ELb0ES3_jN6thrust23THRUST_200600_302600_NS6detail15normal_iteratorINSA_10device_ptrIiEEEEPS6_SG_NS0_5tupleIJSF_NSA_16discard_iteratorINSA_11use_defaultEEEEEENSH_IJSG_SG_EEES6_PlJ7is_evenIiEEEE10hipError_tPvRmT3_T4_T5_T6_T7_T9_mT8_P12ihipStream_tbDpT10_ENKUlT_T0_E_clISt17integral_constantIbLb0EES19_EEDaS14_S15_EUlS14_E_NS1_11comp_targetILNS1_3genE2ELNS1_11target_archE906ELNS1_3gpuE6ELNS1_3repE0EEENS1_30default_config_static_selectorELNS0_4arch9wavefront6targetE1EEEvT1_: ; @_ZN7rocprim17ROCPRIM_400000_NS6detail17trampoline_kernelINS0_14default_configENS1_25partition_config_selectorILNS1_17partition_subalgoE0EiNS0_10empty_typeEbEEZZNS1_14partition_implILS5_0ELb0ES3_jN6thrust23THRUST_200600_302600_NS6detail15normal_iteratorINSA_10device_ptrIiEEEEPS6_SG_NS0_5tupleIJSF_NSA_16discard_iteratorINSA_11use_defaultEEEEEENSH_IJSG_SG_EEES6_PlJ7is_evenIiEEEE10hipError_tPvRmT3_T4_T5_T6_T7_T9_mT8_P12ihipStream_tbDpT10_ENKUlT_T0_E_clISt17integral_constantIbLb0EES19_EEDaS14_S15_EUlS14_E_NS1_11comp_targetILNS1_3genE2ELNS1_11target_archE906ELNS1_3gpuE6ELNS1_3repE0EEENS1_30default_config_static_selectorELNS0_4arch9wavefront6targetE1EEEvT1_
; %bb.0:
	.section	.rodata,"a",@progbits
	.p2align	6, 0x0
	.amdhsa_kernel _ZN7rocprim17ROCPRIM_400000_NS6detail17trampoline_kernelINS0_14default_configENS1_25partition_config_selectorILNS1_17partition_subalgoE0EiNS0_10empty_typeEbEEZZNS1_14partition_implILS5_0ELb0ES3_jN6thrust23THRUST_200600_302600_NS6detail15normal_iteratorINSA_10device_ptrIiEEEEPS6_SG_NS0_5tupleIJSF_NSA_16discard_iteratorINSA_11use_defaultEEEEEENSH_IJSG_SG_EEES6_PlJ7is_evenIiEEEE10hipError_tPvRmT3_T4_T5_T6_T7_T9_mT8_P12ihipStream_tbDpT10_ENKUlT_T0_E_clISt17integral_constantIbLb0EES19_EEDaS14_S15_EUlS14_E_NS1_11comp_targetILNS1_3genE2ELNS1_11target_archE906ELNS1_3gpuE6ELNS1_3repE0EEENS1_30default_config_static_selectorELNS0_4arch9wavefront6targetE1EEEvT1_
		.amdhsa_group_segment_fixed_size 0
		.amdhsa_private_segment_fixed_size 0
		.amdhsa_kernarg_size 128
		.amdhsa_user_sgpr_count 6
		.amdhsa_user_sgpr_private_segment_buffer 1
		.amdhsa_user_sgpr_dispatch_ptr 0
		.amdhsa_user_sgpr_queue_ptr 0
		.amdhsa_user_sgpr_kernarg_segment_ptr 1
		.amdhsa_user_sgpr_dispatch_id 0
		.amdhsa_user_sgpr_flat_scratch_init 0
		.amdhsa_user_sgpr_kernarg_preload_length 0
		.amdhsa_user_sgpr_kernarg_preload_offset 0
		.amdhsa_user_sgpr_private_segment_size 0
		.amdhsa_uses_dynamic_stack 0
		.amdhsa_system_sgpr_private_segment_wavefront_offset 0
		.amdhsa_system_sgpr_workgroup_id_x 1
		.amdhsa_system_sgpr_workgroup_id_y 0
		.amdhsa_system_sgpr_workgroup_id_z 0
		.amdhsa_system_sgpr_workgroup_info 0
		.amdhsa_system_vgpr_workitem_id 0
		.amdhsa_next_free_vgpr 1
		.amdhsa_next_free_sgpr 0
		.amdhsa_accum_offset 4
		.amdhsa_reserve_vcc 0
		.amdhsa_reserve_flat_scratch 0
		.amdhsa_float_round_mode_32 0
		.amdhsa_float_round_mode_16_64 0
		.amdhsa_float_denorm_mode_32 3
		.amdhsa_float_denorm_mode_16_64 3
		.amdhsa_dx10_clamp 1
		.amdhsa_ieee_mode 1
		.amdhsa_fp16_overflow 0
		.amdhsa_tg_split 0
		.amdhsa_exception_fp_ieee_invalid_op 0
		.amdhsa_exception_fp_denorm_src 0
		.amdhsa_exception_fp_ieee_div_zero 0
		.amdhsa_exception_fp_ieee_overflow 0
		.amdhsa_exception_fp_ieee_underflow 0
		.amdhsa_exception_fp_ieee_inexact 0
		.amdhsa_exception_int_div_zero 0
	.end_amdhsa_kernel
	.section	.text._ZN7rocprim17ROCPRIM_400000_NS6detail17trampoline_kernelINS0_14default_configENS1_25partition_config_selectorILNS1_17partition_subalgoE0EiNS0_10empty_typeEbEEZZNS1_14partition_implILS5_0ELb0ES3_jN6thrust23THRUST_200600_302600_NS6detail15normal_iteratorINSA_10device_ptrIiEEEEPS6_SG_NS0_5tupleIJSF_NSA_16discard_iteratorINSA_11use_defaultEEEEEENSH_IJSG_SG_EEES6_PlJ7is_evenIiEEEE10hipError_tPvRmT3_T4_T5_T6_T7_T9_mT8_P12ihipStream_tbDpT10_ENKUlT_T0_E_clISt17integral_constantIbLb0EES19_EEDaS14_S15_EUlS14_E_NS1_11comp_targetILNS1_3genE2ELNS1_11target_archE906ELNS1_3gpuE6ELNS1_3repE0EEENS1_30default_config_static_selectorELNS0_4arch9wavefront6targetE1EEEvT1_,"axG",@progbits,_ZN7rocprim17ROCPRIM_400000_NS6detail17trampoline_kernelINS0_14default_configENS1_25partition_config_selectorILNS1_17partition_subalgoE0EiNS0_10empty_typeEbEEZZNS1_14partition_implILS5_0ELb0ES3_jN6thrust23THRUST_200600_302600_NS6detail15normal_iteratorINSA_10device_ptrIiEEEEPS6_SG_NS0_5tupleIJSF_NSA_16discard_iteratorINSA_11use_defaultEEEEEENSH_IJSG_SG_EEES6_PlJ7is_evenIiEEEE10hipError_tPvRmT3_T4_T5_T6_T7_T9_mT8_P12ihipStream_tbDpT10_ENKUlT_T0_E_clISt17integral_constantIbLb0EES19_EEDaS14_S15_EUlS14_E_NS1_11comp_targetILNS1_3genE2ELNS1_11target_archE906ELNS1_3gpuE6ELNS1_3repE0EEENS1_30default_config_static_selectorELNS0_4arch9wavefront6targetE1EEEvT1_,comdat
.Lfunc_end2719:
	.size	_ZN7rocprim17ROCPRIM_400000_NS6detail17trampoline_kernelINS0_14default_configENS1_25partition_config_selectorILNS1_17partition_subalgoE0EiNS0_10empty_typeEbEEZZNS1_14partition_implILS5_0ELb0ES3_jN6thrust23THRUST_200600_302600_NS6detail15normal_iteratorINSA_10device_ptrIiEEEEPS6_SG_NS0_5tupleIJSF_NSA_16discard_iteratorINSA_11use_defaultEEEEEENSH_IJSG_SG_EEES6_PlJ7is_evenIiEEEE10hipError_tPvRmT3_T4_T5_T6_T7_T9_mT8_P12ihipStream_tbDpT10_ENKUlT_T0_E_clISt17integral_constantIbLb0EES19_EEDaS14_S15_EUlS14_E_NS1_11comp_targetILNS1_3genE2ELNS1_11target_archE906ELNS1_3gpuE6ELNS1_3repE0EEENS1_30default_config_static_selectorELNS0_4arch9wavefront6targetE1EEEvT1_, .Lfunc_end2719-_ZN7rocprim17ROCPRIM_400000_NS6detail17trampoline_kernelINS0_14default_configENS1_25partition_config_selectorILNS1_17partition_subalgoE0EiNS0_10empty_typeEbEEZZNS1_14partition_implILS5_0ELb0ES3_jN6thrust23THRUST_200600_302600_NS6detail15normal_iteratorINSA_10device_ptrIiEEEEPS6_SG_NS0_5tupleIJSF_NSA_16discard_iteratorINSA_11use_defaultEEEEEENSH_IJSG_SG_EEES6_PlJ7is_evenIiEEEE10hipError_tPvRmT3_T4_T5_T6_T7_T9_mT8_P12ihipStream_tbDpT10_ENKUlT_T0_E_clISt17integral_constantIbLb0EES19_EEDaS14_S15_EUlS14_E_NS1_11comp_targetILNS1_3genE2ELNS1_11target_archE906ELNS1_3gpuE6ELNS1_3repE0EEENS1_30default_config_static_selectorELNS0_4arch9wavefront6targetE1EEEvT1_
                                        ; -- End function
	.section	.AMDGPU.csdata,"",@progbits
; Kernel info:
; codeLenInByte = 0
; NumSgprs: 4
; NumVgprs: 0
; NumAgprs: 0
; TotalNumVgprs: 0
; ScratchSize: 0
; MemoryBound: 0
; FloatMode: 240
; IeeeMode: 1
; LDSByteSize: 0 bytes/workgroup (compile time only)
; SGPRBlocks: 0
; VGPRBlocks: 0
; NumSGPRsForWavesPerEU: 4
; NumVGPRsForWavesPerEU: 1
; AccumOffset: 4
; Occupancy: 8
; WaveLimiterHint : 0
; COMPUTE_PGM_RSRC2:SCRATCH_EN: 0
; COMPUTE_PGM_RSRC2:USER_SGPR: 6
; COMPUTE_PGM_RSRC2:TRAP_HANDLER: 0
; COMPUTE_PGM_RSRC2:TGID_X_EN: 1
; COMPUTE_PGM_RSRC2:TGID_Y_EN: 0
; COMPUTE_PGM_RSRC2:TGID_Z_EN: 0
; COMPUTE_PGM_RSRC2:TIDIG_COMP_CNT: 0
; COMPUTE_PGM_RSRC3_GFX90A:ACCUM_OFFSET: 0
; COMPUTE_PGM_RSRC3_GFX90A:TG_SPLIT: 0
	.section	.text._ZN7rocprim17ROCPRIM_400000_NS6detail17trampoline_kernelINS0_14default_configENS1_25partition_config_selectorILNS1_17partition_subalgoE0EiNS0_10empty_typeEbEEZZNS1_14partition_implILS5_0ELb0ES3_jN6thrust23THRUST_200600_302600_NS6detail15normal_iteratorINSA_10device_ptrIiEEEEPS6_SG_NS0_5tupleIJSF_NSA_16discard_iteratorINSA_11use_defaultEEEEEENSH_IJSG_SG_EEES6_PlJ7is_evenIiEEEE10hipError_tPvRmT3_T4_T5_T6_T7_T9_mT8_P12ihipStream_tbDpT10_ENKUlT_T0_E_clISt17integral_constantIbLb0EES19_EEDaS14_S15_EUlS14_E_NS1_11comp_targetILNS1_3genE10ELNS1_11target_archE1200ELNS1_3gpuE4ELNS1_3repE0EEENS1_30default_config_static_selectorELNS0_4arch9wavefront6targetE1EEEvT1_,"axG",@progbits,_ZN7rocprim17ROCPRIM_400000_NS6detail17trampoline_kernelINS0_14default_configENS1_25partition_config_selectorILNS1_17partition_subalgoE0EiNS0_10empty_typeEbEEZZNS1_14partition_implILS5_0ELb0ES3_jN6thrust23THRUST_200600_302600_NS6detail15normal_iteratorINSA_10device_ptrIiEEEEPS6_SG_NS0_5tupleIJSF_NSA_16discard_iteratorINSA_11use_defaultEEEEEENSH_IJSG_SG_EEES6_PlJ7is_evenIiEEEE10hipError_tPvRmT3_T4_T5_T6_T7_T9_mT8_P12ihipStream_tbDpT10_ENKUlT_T0_E_clISt17integral_constantIbLb0EES19_EEDaS14_S15_EUlS14_E_NS1_11comp_targetILNS1_3genE10ELNS1_11target_archE1200ELNS1_3gpuE4ELNS1_3repE0EEENS1_30default_config_static_selectorELNS0_4arch9wavefront6targetE1EEEvT1_,comdat
	.protected	_ZN7rocprim17ROCPRIM_400000_NS6detail17trampoline_kernelINS0_14default_configENS1_25partition_config_selectorILNS1_17partition_subalgoE0EiNS0_10empty_typeEbEEZZNS1_14partition_implILS5_0ELb0ES3_jN6thrust23THRUST_200600_302600_NS6detail15normal_iteratorINSA_10device_ptrIiEEEEPS6_SG_NS0_5tupleIJSF_NSA_16discard_iteratorINSA_11use_defaultEEEEEENSH_IJSG_SG_EEES6_PlJ7is_evenIiEEEE10hipError_tPvRmT3_T4_T5_T6_T7_T9_mT8_P12ihipStream_tbDpT10_ENKUlT_T0_E_clISt17integral_constantIbLb0EES19_EEDaS14_S15_EUlS14_E_NS1_11comp_targetILNS1_3genE10ELNS1_11target_archE1200ELNS1_3gpuE4ELNS1_3repE0EEENS1_30default_config_static_selectorELNS0_4arch9wavefront6targetE1EEEvT1_ ; -- Begin function _ZN7rocprim17ROCPRIM_400000_NS6detail17trampoline_kernelINS0_14default_configENS1_25partition_config_selectorILNS1_17partition_subalgoE0EiNS0_10empty_typeEbEEZZNS1_14partition_implILS5_0ELb0ES3_jN6thrust23THRUST_200600_302600_NS6detail15normal_iteratorINSA_10device_ptrIiEEEEPS6_SG_NS0_5tupleIJSF_NSA_16discard_iteratorINSA_11use_defaultEEEEEENSH_IJSG_SG_EEES6_PlJ7is_evenIiEEEE10hipError_tPvRmT3_T4_T5_T6_T7_T9_mT8_P12ihipStream_tbDpT10_ENKUlT_T0_E_clISt17integral_constantIbLb0EES19_EEDaS14_S15_EUlS14_E_NS1_11comp_targetILNS1_3genE10ELNS1_11target_archE1200ELNS1_3gpuE4ELNS1_3repE0EEENS1_30default_config_static_selectorELNS0_4arch9wavefront6targetE1EEEvT1_
	.globl	_ZN7rocprim17ROCPRIM_400000_NS6detail17trampoline_kernelINS0_14default_configENS1_25partition_config_selectorILNS1_17partition_subalgoE0EiNS0_10empty_typeEbEEZZNS1_14partition_implILS5_0ELb0ES3_jN6thrust23THRUST_200600_302600_NS6detail15normal_iteratorINSA_10device_ptrIiEEEEPS6_SG_NS0_5tupleIJSF_NSA_16discard_iteratorINSA_11use_defaultEEEEEENSH_IJSG_SG_EEES6_PlJ7is_evenIiEEEE10hipError_tPvRmT3_T4_T5_T6_T7_T9_mT8_P12ihipStream_tbDpT10_ENKUlT_T0_E_clISt17integral_constantIbLb0EES19_EEDaS14_S15_EUlS14_E_NS1_11comp_targetILNS1_3genE10ELNS1_11target_archE1200ELNS1_3gpuE4ELNS1_3repE0EEENS1_30default_config_static_selectorELNS0_4arch9wavefront6targetE1EEEvT1_
	.p2align	8
	.type	_ZN7rocprim17ROCPRIM_400000_NS6detail17trampoline_kernelINS0_14default_configENS1_25partition_config_selectorILNS1_17partition_subalgoE0EiNS0_10empty_typeEbEEZZNS1_14partition_implILS5_0ELb0ES3_jN6thrust23THRUST_200600_302600_NS6detail15normal_iteratorINSA_10device_ptrIiEEEEPS6_SG_NS0_5tupleIJSF_NSA_16discard_iteratorINSA_11use_defaultEEEEEENSH_IJSG_SG_EEES6_PlJ7is_evenIiEEEE10hipError_tPvRmT3_T4_T5_T6_T7_T9_mT8_P12ihipStream_tbDpT10_ENKUlT_T0_E_clISt17integral_constantIbLb0EES19_EEDaS14_S15_EUlS14_E_NS1_11comp_targetILNS1_3genE10ELNS1_11target_archE1200ELNS1_3gpuE4ELNS1_3repE0EEENS1_30default_config_static_selectorELNS0_4arch9wavefront6targetE1EEEvT1_,@function
_ZN7rocprim17ROCPRIM_400000_NS6detail17trampoline_kernelINS0_14default_configENS1_25partition_config_selectorILNS1_17partition_subalgoE0EiNS0_10empty_typeEbEEZZNS1_14partition_implILS5_0ELb0ES3_jN6thrust23THRUST_200600_302600_NS6detail15normal_iteratorINSA_10device_ptrIiEEEEPS6_SG_NS0_5tupleIJSF_NSA_16discard_iteratorINSA_11use_defaultEEEEEENSH_IJSG_SG_EEES6_PlJ7is_evenIiEEEE10hipError_tPvRmT3_T4_T5_T6_T7_T9_mT8_P12ihipStream_tbDpT10_ENKUlT_T0_E_clISt17integral_constantIbLb0EES19_EEDaS14_S15_EUlS14_E_NS1_11comp_targetILNS1_3genE10ELNS1_11target_archE1200ELNS1_3gpuE4ELNS1_3repE0EEENS1_30default_config_static_selectorELNS0_4arch9wavefront6targetE1EEEvT1_: ; @_ZN7rocprim17ROCPRIM_400000_NS6detail17trampoline_kernelINS0_14default_configENS1_25partition_config_selectorILNS1_17partition_subalgoE0EiNS0_10empty_typeEbEEZZNS1_14partition_implILS5_0ELb0ES3_jN6thrust23THRUST_200600_302600_NS6detail15normal_iteratorINSA_10device_ptrIiEEEEPS6_SG_NS0_5tupleIJSF_NSA_16discard_iteratorINSA_11use_defaultEEEEEENSH_IJSG_SG_EEES6_PlJ7is_evenIiEEEE10hipError_tPvRmT3_T4_T5_T6_T7_T9_mT8_P12ihipStream_tbDpT10_ENKUlT_T0_E_clISt17integral_constantIbLb0EES19_EEDaS14_S15_EUlS14_E_NS1_11comp_targetILNS1_3genE10ELNS1_11target_archE1200ELNS1_3gpuE4ELNS1_3repE0EEENS1_30default_config_static_selectorELNS0_4arch9wavefront6targetE1EEEvT1_
; %bb.0:
	.section	.rodata,"a",@progbits
	.p2align	6, 0x0
	.amdhsa_kernel _ZN7rocprim17ROCPRIM_400000_NS6detail17trampoline_kernelINS0_14default_configENS1_25partition_config_selectorILNS1_17partition_subalgoE0EiNS0_10empty_typeEbEEZZNS1_14partition_implILS5_0ELb0ES3_jN6thrust23THRUST_200600_302600_NS6detail15normal_iteratorINSA_10device_ptrIiEEEEPS6_SG_NS0_5tupleIJSF_NSA_16discard_iteratorINSA_11use_defaultEEEEEENSH_IJSG_SG_EEES6_PlJ7is_evenIiEEEE10hipError_tPvRmT3_T4_T5_T6_T7_T9_mT8_P12ihipStream_tbDpT10_ENKUlT_T0_E_clISt17integral_constantIbLb0EES19_EEDaS14_S15_EUlS14_E_NS1_11comp_targetILNS1_3genE10ELNS1_11target_archE1200ELNS1_3gpuE4ELNS1_3repE0EEENS1_30default_config_static_selectorELNS0_4arch9wavefront6targetE1EEEvT1_
		.amdhsa_group_segment_fixed_size 0
		.amdhsa_private_segment_fixed_size 0
		.amdhsa_kernarg_size 128
		.amdhsa_user_sgpr_count 6
		.amdhsa_user_sgpr_private_segment_buffer 1
		.amdhsa_user_sgpr_dispatch_ptr 0
		.amdhsa_user_sgpr_queue_ptr 0
		.amdhsa_user_sgpr_kernarg_segment_ptr 1
		.amdhsa_user_sgpr_dispatch_id 0
		.amdhsa_user_sgpr_flat_scratch_init 0
		.amdhsa_user_sgpr_kernarg_preload_length 0
		.amdhsa_user_sgpr_kernarg_preload_offset 0
		.amdhsa_user_sgpr_private_segment_size 0
		.amdhsa_uses_dynamic_stack 0
		.amdhsa_system_sgpr_private_segment_wavefront_offset 0
		.amdhsa_system_sgpr_workgroup_id_x 1
		.amdhsa_system_sgpr_workgroup_id_y 0
		.amdhsa_system_sgpr_workgroup_id_z 0
		.amdhsa_system_sgpr_workgroup_info 0
		.amdhsa_system_vgpr_workitem_id 0
		.amdhsa_next_free_vgpr 1
		.amdhsa_next_free_sgpr 0
		.amdhsa_accum_offset 4
		.amdhsa_reserve_vcc 0
		.amdhsa_reserve_flat_scratch 0
		.amdhsa_float_round_mode_32 0
		.amdhsa_float_round_mode_16_64 0
		.amdhsa_float_denorm_mode_32 3
		.amdhsa_float_denorm_mode_16_64 3
		.amdhsa_dx10_clamp 1
		.amdhsa_ieee_mode 1
		.amdhsa_fp16_overflow 0
		.amdhsa_tg_split 0
		.amdhsa_exception_fp_ieee_invalid_op 0
		.amdhsa_exception_fp_denorm_src 0
		.amdhsa_exception_fp_ieee_div_zero 0
		.amdhsa_exception_fp_ieee_overflow 0
		.amdhsa_exception_fp_ieee_underflow 0
		.amdhsa_exception_fp_ieee_inexact 0
		.amdhsa_exception_int_div_zero 0
	.end_amdhsa_kernel
	.section	.text._ZN7rocprim17ROCPRIM_400000_NS6detail17trampoline_kernelINS0_14default_configENS1_25partition_config_selectorILNS1_17partition_subalgoE0EiNS0_10empty_typeEbEEZZNS1_14partition_implILS5_0ELb0ES3_jN6thrust23THRUST_200600_302600_NS6detail15normal_iteratorINSA_10device_ptrIiEEEEPS6_SG_NS0_5tupleIJSF_NSA_16discard_iteratorINSA_11use_defaultEEEEEENSH_IJSG_SG_EEES6_PlJ7is_evenIiEEEE10hipError_tPvRmT3_T4_T5_T6_T7_T9_mT8_P12ihipStream_tbDpT10_ENKUlT_T0_E_clISt17integral_constantIbLb0EES19_EEDaS14_S15_EUlS14_E_NS1_11comp_targetILNS1_3genE10ELNS1_11target_archE1200ELNS1_3gpuE4ELNS1_3repE0EEENS1_30default_config_static_selectorELNS0_4arch9wavefront6targetE1EEEvT1_,"axG",@progbits,_ZN7rocprim17ROCPRIM_400000_NS6detail17trampoline_kernelINS0_14default_configENS1_25partition_config_selectorILNS1_17partition_subalgoE0EiNS0_10empty_typeEbEEZZNS1_14partition_implILS5_0ELb0ES3_jN6thrust23THRUST_200600_302600_NS6detail15normal_iteratorINSA_10device_ptrIiEEEEPS6_SG_NS0_5tupleIJSF_NSA_16discard_iteratorINSA_11use_defaultEEEEEENSH_IJSG_SG_EEES6_PlJ7is_evenIiEEEE10hipError_tPvRmT3_T4_T5_T6_T7_T9_mT8_P12ihipStream_tbDpT10_ENKUlT_T0_E_clISt17integral_constantIbLb0EES19_EEDaS14_S15_EUlS14_E_NS1_11comp_targetILNS1_3genE10ELNS1_11target_archE1200ELNS1_3gpuE4ELNS1_3repE0EEENS1_30default_config_static_selectorELNS0_4arch9wavefront6targetE1EEEvT1_,comdat
.Lfunc_end2720:
	.size	_ZN7rocprim17ROCPRIM_400000_NS6detail17trampoline_kernelINS0_14default_configENS1_25partition_config_selectorILNS1_17partition_subalgoE0EiNS0_10empty_typeEbEEZZNS1_14partition_implILS5_0ELb0ES3_jN6thrust23THRUST_200600_302600_NS6detail15normal_iteratorINSA_10device_ptrIiEEEEPS6_SG_NS0_5tupleIJSF_NSA_16discard_iteratorINSA_11use_defaultEEEEEENSH_IJSG_SG_EEES6_PlJ7is_evenIiEEEE10hipError_tPvRmT3_T4_T5_T6_T7_T9_mT8_P12ihipStream_tbDpT10_ENKUlT_T0_E_clISt17integral_constantIbLb0EES19_EEDaS14_S15_EUlS14_E_NS1_11comp_targetILNS1_3genE10ELNS1_11target_archE1200ELNS1_3gpuE4ELNS1_3repE0EEENS1_30default_config_static_selectorELNS0_4arch9wavefront6targetE1EEEvT1_, .Lfunc_end2720-_ZN7rocprim17ROCPRIM_400000_NS6detail17trampoline_kernelINS0_14default_configENS1_25partition_config_selectorILNS1_17partition_subalgoE0EiNS0_10empty_typeEbEEZZNS1_14partition_implILS5_0ELb0ES3_jN6thrust23THRUST_200600_302600_NS6detail15normal_iteratorINSA_10device_ptrIiEEEEPS6_SG_NS0_5tupleIJSF_NSA_16discard_iteratorINSA_11use_defaultEEEEEENSH_IJSG_SG_EEES6_PlJ7is_evenIiEEEE10hipError_tPvRmT3_T4_T5_T6_T7_T9_mT8_P12ihipStream_tbDpT10_ENKUlT_T0_E_clISt17integral_constantIbLb0EES19_EEDaS14_S15_EUlS14_E_NS1_11comp_targetILNS1_3genE10ELNS1_11target_archE1200ELNS1_3gpuE4ELNS1_3repE0EEENS1_30default_config_static_selectorELNS0_4arch9wavefront6targetE1EEEvT1_
                                        ; -- End function
	.section	.AMDGPU.csdata,"",@progbits
; Kernel info:
; codeLenInByte = 0
; NumSgprs: 4
; NumVgprs: 0
; NumAgprs: 0
; TotalNumVgprs: 0
; ScratchSize: 0
; MemoryBound: 0
; FloatMode: 240
; IeeeMode: 1
; LDSByteSize: 0 bytes/workgroup (compile time only)
; SGPRBlocks: 0
; VGPRBlocks: 0
; NumSGPRsForWavesPerEU: 4
; NumVGPRsForWavesPerEU: 1
; AccumOffset: 4
; Occupancy: 8
; WaveLimiterHint : 0
; COMPUTE_PGM_RSRC2:SCRATCH_EN: 0
; COMPUTE_PGM_RSRC2:USER_SGPR: 6
; COMPUTE_PGM_RSRC2:TRAP_HANDLER: 0
; COMPUTE_PGM_RSRC2:TGID_X_EN: 1
; COMPUTE_PGM_RSRC2:TGID_Y_EN: 0
; COMPUTE_PGM_RSRC2:TGID_Z_EN: 0
; COMPUTE_PGM_RSRC2:TIDIG_COMP_CNT: 0
; COMPUTE_PGM_RSRC3_GFX90A:ACCUM_OFFSET: 0
; COMPUTE_PGM_RSRC3_GFX90A:TG_SPLIT: 0
	.section	.text._ZN7rocprim17ROCPRIM_400000_NS6detail17trampoline_kernelINS0_14default_configENS1_25partition_config_selectorILNS1_17partition_subalgoE0EiNS0_10empty_typeEbEEZZNS1_14partition_implILS5_0ELb0ES3_jN6thrust23THRUST_200600_302600_NS6detail15normal_iteratorINSA_10device_ptrIiEEEEPS6_SG_NS0_5tupleIJSF_NSA_16discard_iteratorINSA_11use_defaultEEEEEENSH_IJSG_SG_EEES6_PlJ7is_evenIiEEEE10hipError_tPvRmT3_T4_T5_T6_T7_T9_mT8_P12ihipStream_tbDpT10_ENKUlT_T0_E_clISt17integral_constantIbLb0EES19_EEDaS14_S15_EUlS14_E_NS1_11comp_targetILNS1_3genE9ELNS1_11target_archE1100ELNS1_3gpuE3ELNS1_3repE0EEENS1_30default_config_static_selectorELNS0_4arch9wavefront6targetE1EEEvT1_,"axG",@progbits,_ZN7rocprim17ROCPRIM_400000_NS6detail17trampoline_kernelINS0_14default_configENS1_25partition_config_selectorILNS1_17partition_subalgoE0EiNS0_10empty_typeEbEEZZNS1_14partition_implILS5_0ELb0ES3_jN6thrust23THRUST_200600_302600_NS6detail15normal_iteratorINSA_10device_ptrIiEEEEPS6_SG_NS0_5tupleIJSF_NSA_16discard_iteratorINSA_11use_defaultEEEEEENSH_IJSG_SG_EEES6_PlJ7is_evenIiEEEE10hipError_tPvRmT3_T4_T5_T6_T7_T9_mT8_P12ihipStream_tbDpT10_ENKUlT_T0_E_clISt17integral_constantIbLb0EES19_EEDaS14_S15_EUlS14_E_NS1_11comp_targetILNS1_3genE9ELNS1_11target_archE1100ELNS1_3gpuE3ELNS1_3repE0EEENS1_30default_config_static_selectorELNS0_4arch9wavefront6targetE1EEEvT1_,comdat
	.protected	_ZN7rocprim17ROCPRIM_400000_NS6detail17trampoline_kernelINS0_14default_configENS1_25partition_config_selectorILNS1_17partition_subalgoE0EiNS0_10empty_typeEbEEZZNS1_14partition_implILS5_0ELb0ES3_jN6thrust23THRUST_200600_302600_NS6detail15normal_iteratorINSA_10device_ptrIiEEEEPS6_SG_NS0_5tupleIJSF_NSA_16discard_iteratorINSA_11use_defaultEEEEEENSH_IJSG_SG_EEES6_PlJ7is_evenIiEEEE10hipError_tPvRmT3_T4_T5_T6_T7_T9_mT8_P12ihipStream_tbDpT10_ENKUlT_T0_E_clISt17integral_constantIbLb0EES19_EEDaS14_S15_EUlS14_E_NS1_11comp_targetILNS1_3genE9ELNS1_11target_archE1100ELNS1_3gpuE3ELNS1_3repE0EEENS1_30default_config_static_selectorELNS0_4arch9wavefront6targetE1EEEvT1_ ; -- Begin function _ZN7rocprim17ROCPRIM_400000_NS6detail17trampoline_kernelINS0_14default_configENS1_25partition_config_selectorILNS1_17partition_subalgoE0EiNS0_10empty_typeEbEEZZNS1_14partition_implILS5_0ELb0ES3_jN6thrust23THRUST_200600_302600_NS6detail15normal_iteratorINSA_10device_ptrIiEEEEPS6_SG_NS0_5tupleIJSF_NSA_16discard_iteratorINSA_11use_defaultEEEEEENSH_IJSG_SG_EEES6_PlJ7is_evenIiEEEE10hipError_tPvRmT3_T4_T5_T6_T7_T9_mT8_P12ihipStream_tbDpT10_ENKUlT_T0_E_clISt17integral_constantIbLb0EES19_EEDaS14_S15_EUlS14_E_NS1_11comp_targetILNS1_3genE9ELNS1_11target_archE1100ELNS1_3gpuE3ELNS1_3repE0EEENS1_30default_config_static_selectorELNS0_4arch9wavefront6targetE1EEEvT1_
	.globl	_ZN7rocprim17ROCPRIM_400000_NS6detail17trampoline_kernelINS0_14default_configENS1_25partition_config_selectorILNS1_17partition_subalgoE0EiNS0_10empty_typeEbEEZZNS1_14partition_implILS5_0ELb0ES3_jN6thrust23THRUST_200600_302600_NS6detail15normal_iteratorINSA_10device_ptrIiEEEEPS6_SG_NS0_5tupleIJSF_NSA_16discard_iteratorINSA_11use_defaultEEEEEENSH_IJSG_SG_EEES6_PlJ7is_evenIiEEEE10hipError_tPvRmT3_T4_T5_T6_T7_T9_mT8_P12ihipStream_tbDpT10_ENKUlT_T0_E_clISt17integral_constantIbLb0EES19_EEDaS14_S15_EUlS14_E_NS1_11comp_targetILNS1_3genE9ELNS1_11target_archE1100ELNS1_3gpuE3ELNS1_3repE0EEENS1_30default_config_static_selectorELNS0_4arch9wavefront6targetE1EEEvT1_
	.p2align	8
	.type	_ZN7rocprim17ROCPRIM_400000_NS6detail17trampoline_kernelINS0_14default_configENS1_25partition_config_selectorILNS1_17partition_subalgoE0EiNS0_10empty_typeEbEEZZNS1_14partition_implILS5_0ELb0ES3_jN6thrust23THRUST_200600_302600_NS6detail15normal_iteratorINSA_10device_ptrIiEEEEPS6_SG_NS0_5tupleIJSF_NSA_16discard_iteratorINSA_11use_defaultEEEEEENSH_IJSG_SG_EEES6_PlJ7is_evenIiEEEE10hipError_tPvRmT3_T4_T5_T6_T7_T9_mT8_P12ihipStream_tbDpT10_ENKUlT_T0_E_clISt17integral_constantIbLb0EES19_EEDaS14_S15_EUlS14_E_NS1_11comp_targetILNS1_3genE9ELNS1_11target_archE1100ELNS1_3gpuE3ELNS1_3repE0EEENS1_30default_config_static_selectorELNS0_4arch9wavefront6targetE1EEEvT1_,@function
_ZN7rocprim17ROCPRIM_400000_NS6detail17trampoline_kernelINS0_14default_configENS1_25partition_config_selectorILNS1_17partition_subalgoE0EiNS0_10empty_typeEbEEZZNS1_14partition_implILS5_0ELb0ES3_jN6thrust23THRUST_200600_302600_NS6detail15normal_iteratorINSA_10device_ptrIiEEEEPS6_SG_NS0_5tupleIJSF_NSA_16discard_iteratorINSA_11use_defaultEEEEEENSH_IJSG_SG_EEES6_PlJ7is_evenIiEEEE10hipError_tPvRmT3_T4_T5_T6_T7_T9_mT8_P12ihipStream_tbDpT10_ENKUlT_T0_E_clISt17integral_constantIbLb0EES19_EEDaS14_S15_EUlS14_E_NS1_11comp_targetILNS1_3genE9ELNS1_11target_archE1100ELNS1_3gpuE3ELNS1_3repE0EEENS1_30default_config_static_selectorELNS0_4arch9wavefront6targetE1EEEvT1_: ; @_ZN7rocprim17ROCPRIM_400000_NS6detail17trampoline_kernelINS0_14default_configENS1_25partition_config_selectorILNS1_17partition_subalgoE0EiNS0_10empty_typeEbEEZZNS1_14partition_implILS5_0ELb0ES3_jN6thrust23THRUST_200600_302600_NS6detail15normal_iteratorINSA_10device_ptrIiEEEEPS6_SG_NS0_5tupleIJSF_NSA_16discard_iteratorINSA_11use_defaultEEEEEENSH_IJSG_SG_EEES6_PlJ7is_evenIiEEEE10hipError_tPvRmT3_T4_T5_T6_T7_T9_mT8_P12ihipStream_tbDpT10_ENKUlT_T0_E_clISt17integral_constantIbLb0EES19_EEDaS14_S15_EUlS14_E_NS1_11comp_targetILNS1_3genE9ELNS1_11target_archE1100ELNS1_3gpuE3ELNS1_3repE0EEENS1_30default_config_static_selectorELNS0_4arch9wavefront6targetE1EEEvT1_
; %bb.0:
	.section	.rodata,"a",@progbits
	.p2align	6, 0x0
	.amdhsa_kernel _ZN7rocprim17ROCPRIM_400000_NS6detail17trampoline_kernelINS0_14default_configENS1_25partition_config_selectorILNS1_17partition_subalgoE0EiNS0_10empty_typeEbEEZZNS1_14partition_implILS5_0ELb0ES3_jN6thrust23THRUST_200600_302600_NS6detail15normal_iteratorINSA_10device_ptrIiEEEEPS6_SG_NS0_5tupleIJSF_NSA_16discard_iteratorINSA_11use_defaultEEEEEENSH_IJSG_SG_EEES6_PlJ7is_evenIiEEEE10hipError_tPvRmT3_T4_T5_T6_T7_T9_mT8_P12ihipStream_tbDpT10_ENKUlT_T0_E_clISt17integral_constantIbLb0EES19_EEDaS14_S15_EUlS14_E_NS1_11comp_targetILNS1_3genE9ELNS1_11target_archE1100ELNS1_3gpuE3ELNS1_3repE0EEENS1_30default_config_static_selectorELNS0_4arch9wavefront6targetE1EEEvT1_
		.amdhsa_group_segment_fixed_size 0
		.amdhsa_private_segment_fixed_size 0
		.amdhsa_kernarg_size 128
		.amdhsa_user_sgpr_count 6
		.amdhsa_user_sgpr_private_segment_buffer 1
		.amdhsa_user_sgpr_dispatch_ptr 0
		.amdhsa_user_sgpr_queue_ptr 0
		.amdhsa_user_sgpr_kernarg_segment_ptr 1
		.amdhsa_user_sgpr_dispatch_id 0
		.amdhsa_user_sgpr_flat_scratch_init 0
		.amdhsa_user_sgpr_kernarg_preload_length 0
		.amdhsa_user_sgpr_kernarg_preload_offset 0
		.amdhsa_user_sgpr_private_segment_size 0
		.amdhsa_uses_dynamic_stack 0
		.amdhsa_system_sgpr_private_segment_wavefront_offset 0
		.amdhsa_system_sgpr_workgroup_id_x 1
		.amdhsa_system_sgpr_workgroup_id_y 0
		.amdhsa_system_sgpr_workgroup_id_z 0
		.amdhsa_system_sgpr_workgroup_info 0
		.amdhsa_system_vgpr_workitem_id 0
		.amdhsa_next_free_vgpr 1
		.amdhsa_next_free_sgpr 0
		.amdhsa_accum_offset 4
		.amdhsa_reserve_vcc 0
		.amdhsa_reserve_flat_scratch 0
		.amdhsa_float_round_mode_32 0
		.amdhsa_float_round_mode_16_64 0
		.amdhsa_float_denorm_mode_32 3
		.amdhsa_float_denorm_mode_16_64 3
		.amdhsa_dx10_clamp 1
		.amdhsa_ieee_mode 1
		.amdhsa_fp16_overflow 0
		.amdhsa_tg_split 0
		.amdhsa_exception_fp_ieee_invalid_op 0
		.amdhsa_exception_fp_denorm_src 0
		.amdhsa_exception_fp_ieee_div_zero 0
		.amdhsa_exception_fp_ieee_overflow 0
		.amdhsa_exception_fp_ieee_underflow 0
		.amdhsa_exception_fp_ieee_inexact 0
		.amdhsa_exception_int_div_zero 0
	.end_amdhsa_kernel
	.section	.text._ZN7rocprim17ROCPRIM_400000_NS6detail17trampoline_kernelINS0_14default_configENS1_25partition_config_selectorILNS1_17partition_subalgoE0EiNS0_10empty_typeEbEEZZNS1_14partition_implILS5_0ELb0ES3_jN6thrust23THRUST_200600_302600_NS6detail15normal_iteratorINSA_10device_ptrIiEEEEPS6_SG_NS0_5tupleIJSF_NSA_16discard_iteratorINSA_11use_defaultEEEEEENSH_IJSG_SG_EEES6_PlJ7is_evenIiEEEE10hipError_tPvRmT3_T4_T5_T6_T7_T9_mT8_P12ihipStream_tbDpT10_ENKUlT_T0_E_clISt17integral_constantIbLb0EES19_EEDaS14_S15_EUlS14_E_NS1_11comp_targetILNS1_3genE9ELNS1_11target_archE1100ELNS1_3gpuE3ELNS1_3repE0EEENS1_30default_config_static_selectorELNS0_4arch9wavefront6targetE1EEEvT1_,"axG",@progbits,_ZN7rocprim17ROCPRIM_400000_NS6detail17trampoline_kernelINS0_14default_configENS1_25partition_config_selectorILNS1_17partition_subalgoE0EiNS0_10empty_typeEbEEZZNS1_14partition_implILS5_0ELb0ES3_jN6thrust23THRUST_200600_302600_NS6detail15normal_iteratorINSA_10device_ptrIiEEEEPS6_SG_NS0_5tupleIJSF_NSA_16discard_iteratorINSA_11use_defaultEEEEEENSH_IJSG_SG_EEES6_PlJ7is_evenIiEEEE10hipError_tPvRmT3_T4_T5_T6_T7_T9_mT8_P12ihipStream_tbDpT10_ENKUlT_T0_E_clISt17integral_constantIbLb0EES19_EEDaS14_S15_EUlS14_E_NS1_11comp_targetILNS1_3genE9ELNS1_11target_archE1100ELNS1_3gpuE3ELNS1_3repE0EEENS1_30default_config_static_selectorELNS0_4arch9wavefront6targetE1EEEvT1_,comdat
.Lfunc_end2721:
	.size	_ZN7rocprim17ROCPRIM_400000_NS6detail17trampoline_kernelINS0_14default_configENS1_25partition_config_selectorILNS1_17partition_subalgoE0EiNS0_10empty_typeEbEEZZNS1_14partition_implILS5_0ELb0ES3_jN6thrust23THRUST_200600_302600_NS6detail15normal_iteratorINSA_10device_ptrIiEEEEPS6_SG_NS0_5tupleIJSF_NSA_16discard_iteratorINSA_11use_defaultEEEEEENSH_IJSG_SG_EEES6_PlJ7is_evenIiEEEE10hipError_tPvRmT3_T4_T5_T6_T7_T9_mT8_P12ihipStream_tbDpT10_ENKUlT_T0_E_clISt17integral_constantIbLb0EES19_EEDaS14_S15_EUlS14_E_NS1_11comp_targetILNS1_3genE9ELNS1_11target_archE1100ELNS1_3gpuE3ELNS1_3repE0EEENS1_30default_config_static_selectorELNS0_4arch9wavefront6targetE1EEEvT1_, .Lfunc_end2721-_ZN7rocprim17ROCPRIM_400000_NS6detail17trampoline_kernelINS0_14default_configENS1_25partition_config_selectorILNS1_17partition_subalgoE0EiNS0_10empty_typeEbEEZZNS1_14partition_implILS5_0ELb0ES3_jN6thrust23THRUST_200600_302600_NS6detail15normal_iteratorINSA_10device_ptrIiEEEEPS6_SG_NS0_5tupleIJSF_NSA_16discard_iteratorINSA_11use_defaultEEEEEENSH_IJSG_SG_EEES6_PlJ7is_evenIiEEEE10hipError_tPvRmT3_T4_T5_T6_T7_T9_mT8_P12ihipStream_tbDpT10_ENKUlT_T0_E_clISt17integral_constantIbLb0EES19_EEDaS14_S15_EUlS14_E_NS1_11comp_targetILNS1_3genE9ELNS1_11target_archE1100ELNS1_3gpuE3ELNS1_3repE0EEENS1_30default_config_static_selectorELNS0_4arch9wavefront6targetE1EEEvT1_
                                        ; -- End function
	.section	.AMDGPU.csdata,"",@progbits
; Kernel info:
; codeLenInByte = 0
; NumSgprs: 4
; NumVgprs: 0
; NumAgprs: 0
; TotalNumVgprs: 0
; ScratchSize: 0
; MemoryBound: 0
; FloatMode: 240
; IeeeMode: 1
; LDSByteSize: 0 bytes/workgroup (compile time only)
; SGPRBlocks: 0
; VGPRBlocks: 0
; NumSGPRsForWavesPerEU: 4
; NumVGPRsForWavesPerEU: 1
; AccumOffset: 4
; Occupancy: 8
; WaveLimiterHint : 0
; COMPUTE_PGM_RSRC2:SCRATCH_EN: 0
; COMPUTE_PGM_RSRC2:USER_SGPR: 6
; COMPUTE_PGM_RSRC2:TRAP_HANDLER: 0
; COMPUTE_PGM_RSRC2:TGID_X_EN: 1
; COMPUTE_PGM_RSRC2:TGID_Y_EN: 0
; COMPUTE_PGM_RSRC2:TGID_Z_EN: 0
; COMPUTE_PGM_RSRC2:TIDIG_COMP_CNT: 0
; COMPUTE_PGM_RSRC3_GFX90A:ACCUM_OFFSET: 0
; COMPUTE_PGM_RSRC3_GFX90A:TG_SPLIT: 0
	.section	.text._ZN7rocprim17ROCPRIM_400000_NS6detail17trampoline_kernelINS0_14default_configENS1_25partition_config_selectorILNS1_17partition_subalgoE0EiNS0_10empty_typeEbEEZZNS1_14partition_implILS5_0ELb0ES3_jN6thrust23THRUST_200600_302600_NS6detail15normal_iteratorINSA_10device_ptrIiEEEEPS6_SG_NS0_5tupleIJSF_NSA_16discard_iteratorINSA_11use_defaultEEEEEENSH_IJSG_SG_EEES6_PlJ7is_evenIiEEEE10hipError_tPvRmT3_T4_T5_T6_T7_T9_mT8_P12ihipStream_tbDpT10_ENKUlT_T0_E_clISt17integral_constantIbLb0EES19_EEDaS14_S15_EUlS14_E_NS1_11comp_targetILNS1_3genE8ELNS1_11target_archE1030ELNS1_3gpuE2ELNS1_3repE0EEENS1_30default_config_static_selectorELNS0_4arch9wavefront6targetE1EEEvT1_,"axG",@progbits,_ZN7rocprim17ROCPRIM_400000_NS6detail17trampoline_kernelINS0_14default_configENS1_25partition_config_selectorILNS1_17partition_subalgoE0EiNS0_10empty_typeEbEEZZNS1_14partition_implILS5_0ELb0ES3_jN6thrust23THRUST_200600_302600_NS6detail15normal_iteratorINSA_10device_ptrIiEEEEPS6_SG_NS0_5tupleIJSF_NSA_16discard_iteratorINSA_11use_defaultEEEEEENSH_IJSG_SG_EEES6_PlJ7is_evenIiEEEE10hipError_tPvRmT3_T4_T5_T6_T7_T9_mT8_P12ihipStream_tbDpT10_ENKUlT_T0_E_clISt17integral_constantIbLb0EES19_EEDaS14_S15_EUlS14_E_NS1_11comp_targetILNS1_3genE8ELNS1_11target_archE1030ELNS1_3gpuE2ELNS1_3repE0EEENS1_30default_config_static_selectorELNS0_4arch9wavefront6targetE1EEEvT1_,comdat
	.protected	_ZN7rocprim17ROCPRIM_400000_NS6detail17trampoline_kernelINS0_14default_configENS1_25partition_config_selectorILNS1_17partition_subalgoE0EiNS0_10empty_typeEbEEZZNS1_14partition_implILS5_0ELb0ES3_jN6thrust23THRUST_200600_302600_NS6detail15normal_iteratorINSA_10device_ptrIiEEEEPS6_SG_NS0_5tupleIJSF_NSA_16discard_iteratorINSA_11use_defaultEEEEEENSH_IJSG_SG_EEES6_PlJ7is_evenIiEEEE10hipError_tPvRmT3_T4_T5_T6_T7_T9_mT8_P12ihipStream_tbDpT10_ENKUlT_T0_E_clISt17integral_constantIbLb0EES19_EEDaS14_S15_EUlS14_E_NS1_11comp_targetILNS1_3genE8ELNS1_11target_archE1030ELNS1_3gpuE2ELNS1_3repE0EEENS1_30default_config_static_selectorELNS0_4arch9wavefront6targetE1EEEvT1_ ; -- Begin function _ZN7rocprim17ROCPRIM_400000_NS6detail17trampoline_kernelINS0_14default_configENS1_25partition_config_selectorILNS1_17partition_subalgoE0EiNS0_10empty_typeEbEEZZNS1_14partition_implILS5_0ELb0ES3_jN6thrust23THRUST_200600_302600_NS6detail15normal_iteratorINSA_10device_ptrIiEEEEPS6_SG_NS0_5tupleIJSF_NSA_16discard_iteratorINSA_11use_defaultEEEEEENSH_IJSG_SG_EEES6_PlJ7is_evenIiEEEE10hipError_tPvRmT3_T4_T5_T6_T7_T9_mT8_P12ihipStream_tbDpT10_ENKUlT_T0_E_clISt17integral_constantIbLb0EES19_EEDaS14_S15_EUlS14_E_NS1_11comp_targetILNS1_3genE8ELNS1_11target_archE1030ELNS1_3gpuE2ELNS1_3repE0EEENS1_30default_config_static_selectorELNS0_4arch9wavefront6targetE1EEEvT1_
	.globl	_ZN7rocprim17ROCPRIM_400000_NS6detail17trampoline_kernelINS0_14default_configENS1_25partition_config_selectorILNS1_17partition_subalgoE0EiNS0_10empty_typeEbEEZZNS1_14partition_implILS5_0ELb0ES3_jN6thrust23THRUST_200600_302600_NS6detail15normal_iteratorINSA_10device_ptrIiEEEEPS6_SG_NS0_5tupleIJSF_NSA_16discard_iteratorINSA_11use_defaultEEEEEENSH_IJSG_SG_EEES6_PlJ7is_evenIiEEEE10hipError_tPvRmT3_T4_T5_T6_T7_T9_mT8_P12ihipStream_tbDpT10_ENKUlT_T0_E_clISt17integral_constantIbLb0EES19_EEDaS14_S15_EUlS14_E_NS1_11comp_targetILNS1_3genE8ELNS1_11target_archE1030ELNS1_3gpuE2ELNS1_3repE0EEENS1_30default_config_static_selectorELNS0_4arch9wavefront6targetE1EEEvT1_
	.p2align	8
	.type	_ZN7rocprim17ROCPRIM_400000_NS6detail17trampoline_kernelINS0_14default_configENS1_25partition_config_selectorILNS1_17partition_subalgoE0EiNS0_10empty_typeEbEEZZNS1_14partition_implILS5_0ELb0ES3_jN6thrust23THRUST_200600_302600_NS6detail15normal_iteratorINSA_10device_ptrIiEEEEPS6_SG_NS0_5tupleIJSF_NSA_16discard_iteratorINSA_11use_defaultEEEEEENSH_IJSG_SG_EEES6_PlJ7is_evenIiEEEE10hipError_tPvRmT3_T4_T5_T6_T7_T9_mT8_P12ihipStream_tbDpT10_ENKUlT_T0_E_clISt17integral_constantIbLb0EES19_EEDaS14_S15_EUlS14_E_NS1_11comp_targetILNS1_3genE8ELNS1_11target_archE1030ELNS1_3gpuE2ELNS1_3repE0EEENS1_30default_config_static_selectorELNS0_4arch9wavefront6targetE1EEEvT1_,@function
_ZN7rocprim17ROCPRIM_400000_NS6detail17trampoline_kernelINS0_14default_configENS1_25partition_config_selectorILNS1_17partition_subalgoE0EiNS0_10empty_typeEbEEZZNS1_14partition_implILS5_0ELb0ES3_jN6thrust23THRUST_200600_302600_NS6detail15normal_iteratorINSA_10device_ptrIiEEEEPS6_SG_NS0_5tupleIJSF_NSA_16discard_iteratorINSA_11use_defaultEEEEEENSH_IJSG_SG_EEES6_PlJ7is_evenIiEEEE10hipError_tPvRmT3_T4_T5_T6_T7_T9_mT8_P12ihipStream_tbDpT10_ENKUlT_T0_E_clISt17integral_constantIbLb0EES19_EEDaS14_S15_EUlS14_E_NS1_11comp_targetILNS1_3genE8ELNS1_11target_archE1030ELNS1_3gpuE2ELNS1_3repE0EEENS1_30default_config_static_selectorELNS0_4arch9wavefront6targetE1EEEvT1_: ; @_ZN7rocprim17ROCPRIM_400000_NS6detail17trampoline_kernelINS0_14default_configENS1_25partition_config_selectorILNS1_17partition_subalgoE0EiNS0_10empty_typeEbEEZZNS1_14partition_implILS5_0ELb0ES3_jN6thrust23THRUST_200600_302600_NS6detail15normal_iteratorINSA_10device_ptrIiEEEEPS6_SG_NS0_5tupleIJSF_NSA_16discard_iteratorINSA_11use_defaultEEEEEENSH_IJSG_SG_EEES6_PlJ7is_evenIiEEEE10hipError_tPvRmT3_T4_T5_T6_T7_T9_mT8_P12ihipStream_tbDpT10_ENKUlT_T0_E_clISt17integral_constantIbLb0EES19_EEDaS14_S15_EUlS14_E_NS1_11comp_targetILNS1_3genE8ELNS1_11target_archE1030ELNS1_3gpuE2ELNS1_3repE0EEENS1_30default_config_static_selectorELNS0_4arch9wavefront6targetE1EEEvT1_
; %bb.0:
	.section	.rodata,"a",@progbits
	.p2align	6, 0x0
	.amdhsa_kernel _ZN7rocprim17ROCPRIM_400000_NS6detail17trampoline_kernelINS0_14default_configENS1_25partition_config_selectorILNS1_17partition_subalgoE0EiNS0_10empty_typeEbEEZZNS1_14partition_implILS5_0ELb0ES3_jN6thrust23THRUST_200600_302600_NS6detail15normal_iteratorINSA_10device_ptrIiEEEEPS6_SG_NS0_5tupleIJSF_NSA_16discard_iteratorINSA_11use_defaultEEEEEENSH_IJSG_SG_EEES6_PlJ7is_evenIiEEEE10hipError_tPvRmT3_T4_T5_T6_T7_T9_mT8_P12ihipStream_tbDpT10_ENKUlT_T0_E_clISt17integral_constantIbLb0EES19_EEDaS14_S15_EUlS14_E_NS1_11comp_targetILNS1_3genE8ELNS1_11target_archE1030ELNS1_3gpuE2ELNS1_3repE0EEENS1_30default_config_static_selectorELNS0_4arch9wavefront6targetE1EEEvT1_
		.amdhsa_group_segment_fixed_size 0
		.amdhsa_private_segment_fixed_size 0
		.amdhsa_kernarg_size 128
		.amdhsa_user_sgpr_count 6
		.amdhsa_user_sgpr_private_segment_buffer 1
		.amdhsa_user_sgpr_dispatch_ptr 0
		.amdhsa_user_sgpr_queue_ptr 0
		.amdhsa_user_sgpr_kernarg_segment_ptr 1
		.amdhsa_user_sgpr_dispatch_id 0
		.amdhsa_user_sgpr_flat_scratch_init 0
		.amdhsa_user_sgpr_kernarg_preload_length 0
		.amdhsa_user_sgpr_kernarg_preload_offset 0
		.amdhsa_user_sgpr_private_segment_size 0
		.amdhsa_uses_dynamic_stack 0
		.amdhsa_system_sgpr_private_segment_wavefront_offset 0
		.amdhsa_system_sgpr_workgroup_id_x 1
		.amdhsa_system_sgpr_workgroup_id_y 0
		.amdhsa_system_sgpr_workgroup_id_z 0
		.amdhsa_system_sgpr_workgroup_info 0
		.amdhsa_system_vgpr_workitem_id 0
		.amdhsa_next_free_vgpr 1
		.amdhsa_next_free_sgpr 0
		.amdhsa_accum_offset 4
		.amdhsa_reserve_vcc 0
		.amdhsa_reserve_flat_scratch 0
		.amdhsa_float_round_mode_32 0
		.amdhsa_float_round_mode_16_64 0
		.amdhsa_float_denorm_mode_32 3
		.amdhsa_float_denorm_mode_16_64 3
		.amdhsa_dx10_clamp 1
		.amdhsa_ieee_mode 1
		.amdhsa_fp16_overflow 0
		.amdhsa_tg_split 0
		.amdhsa_exception_fp_ieee_invalid_op 0
		.amdhsa_exception_fp_denorm_src 0
		.amdhsa_exception_fp_ieee_div_zero 0
		.amdhsa_exception_fp_ieee_overflow 0
		.amdhsa_exception_fp_ieee_underflow 0
		.amdhsa_exception_fp_ieee_inexact 0
		.amdhsa_exception_int_div_zero 0
	.end_amdhsa_kernel
	.section	.text._ZN7rocprim17ROCPRIM_400000_NS6detail17trampoline_kernelINS0_14default_configENS1_25partition_config_selectorILNS1_17partition_subalgoE0EiNS0_10empty_typeEbEEZZNS1_14partition_implILS5_0ELb0ES3_jN6thrust23THRUST_200600_302600_NS6detail15normal_iteratorINSA_10device_ptrIiEEEEPS6_SG_NS0_5tupleIJSF_NSA_16discard_iteratorINSA_11use_defaultEEEEEENSH_IJSG_SG_EEES6_PlJ7is_evenIiEEEE10hipError_tPvRmT3_T4_T5_T6_T7_T9_mT8_P12ihipStream_tbDpT10_ENKUlT_T0_E_clISt17integral_constantIbLb0EES19_EEDaS14_S15_EUlS14_E_NS1_11comp_targetILNS1_3genE8ELNS1_11target_archE1030ELNS1_3gpuE2ELNS1_3repE0EEENS1_30default_config_static_selectorELNS0_4arch9wavefront6targetE1EEEvT1_,"axG",@progbits,_ZN7rocprim17ROCPRIM_400000_NS6detail17trampoline_kernelINS0_14default_configENS1_25partition_config_selectorILNS1_17partition_subalgoE0EiNS0_10empty_typeEbEEZZNS1_14partition_implILS5_0ELb0ES3_jN6thrust23THRUST_200600_302600_NS6detail15normal_iteratorINSA_10device_ptrIiEEEEPS6_SG_NS0_5tupleIJSF_NSA_16discard_iteratorINSA_11use_defaultEEEEEENSH_IJSG_SG_EEES6_PlJ7is_evenIiEEEE10hipError_tPvRmT3_T4_T5_T6_T7_T9_mT8_P12ihipStream_tbDpT10_ENKUlT_T0_E_clISt17integral_constantIbLb0EES19_EEDaS14_S15_EUlS14_E_NS1_11comp_targetILNS1_3genE8ELNS1_11target_archE1030ELNS1_3gpuE2ELNS1_3repE0EEENS1_30default_config_static_selectorELNS0_4arch9wavefront6targetE1EEEvT1_,comdat
.Lfunc_end2722:
	.size	_ZN7rocprim17ROCPRIM_400000_NS6detail17trampoline_kernelINS0_14default_configENS1_25partition_config_selectorILNS1_17partition_subalgoE0EiNS0_10empty_typeEbEEZZNS1_14partition_implILS5_0ELb0ES3_jN6thrust23THRUST_200600_302600_NS6detail15normal_iteratorINSA_10device_ptrIiEEEEPS6_SG_NS0_5tupleIJSF_NSA_16discard_iteratorINSA_11use_defaultEEEEEENSH_IJSG_SG_EEES6_PlJ7is_evenIiEEEE10hipError_tPvRmT3_T4_T5_T6_T7_T9_mT8_P12ihipStream_tbDpT10_ENKUlT_T0_E_clISt17integral_constantIbLb0EES19_EEDaS14_S15_EUlS14_E_NS1_11comp_targetILNS1_3genE8ELNS1_11target_archE1030ELNS1_3gpuE2ELNS1_3repE0EEENS1_30default_config_static_selectorELNS0_4arch9wavefront6targetE1EEEvT1_, .Lfunc_end2722-_ZN7rocprim17ROCPRIM_400000_NS6detail17trampoline_kernelINS0_14default_configENS1_25partition_config_selectorILNS1_17partition_subalgoE0EiNS0_10empty_typeEbEEZZNS1_14partition_implILS5_0ELb0ES3_jN6thrust23THRUST_200600_302600_NS6detail15normal_iteratorINSA_10device_ptrIiEEEEPS6_SG_NS0_5tupleIJSF_NSA_16discard_iteratorINSA_11use_defaultEEEEEENSH_IJSG_SG_EEES6_PlJ7is_evenIiEEEE10hipError_tPvRmT3_T4_T5_T6_T7_T9_mT8_P12ihipStream_tbDpT10_ENKUlT_T0_E_clISt17integral_constantIbLb0EES19_EEDaS14_S15_EUlS14_E_NS1_11comp_targetILNS1_3genE8ELNS1_11target_archE1030ELNS1_3gpuE2ELNS1_3repE0EEENS1_30default_config_static_selectorELNS0_4arch9wavefront6targetE1EEEvT1_
                                        ; -- End function
	.section	.AMDGPU.csdata,"",@progbits
; Kernel info:
; codeLenInByte = 0
; NumSgprs: 4
; NumVgprs: 0
; NumAgprs: 0
; TotalNumVgprs: 0
; ScratchSize: 0
; MemoryBound: 0
; FloatMode: 240
; IeeeMode: 1
; LDSByteSize: 0 bytes/workgroup (compile time only)
; SGPRBlocks: 0
; VGPRBlocks: 0
; NumSGPRsForWavesPerEU: 4
; NumVGPRsForWavesPerEU: 1
; AccumOffset: 4
; Occupancy: 8
; WaveLimiterHint : 0
; COMPUTE_PGM_RSRC2:SCRATCH_EN: 0
; COMPUTE_PGM_RSRC2:USER_SGPR: 6
; COMPUTE_PGM_RSRC2:TRAP_HANDLER: 0
; COMPUTE_PGM_RSRC2:TGID_X_EN: 1
; COMPUTE_PGM_RSRC2:TGID_Y_EN: 0
; COMPUTE_PGM_RSRC2:TGID_Z_EN: 0
; COMPUTE_PGM_RSRC2:TIDIG_COMP_CNT: 0
; COMPUTE_PGM_RSRC3_GFX90A:ACCUM_OFFSET: 0
; COMPUTE_PGM_RSRC3_GFX90A:TG_SPLIT: 0
	.section	.text._ZN7rocprim17ROCPRIM_400000_NS6detail17trampoline_kernelINS0_14default_configENS1_25partition_config_selectorILNS1_17partition_subalgoE0EiNS0_10empty_typeEbEEZZNS1_14partition_implILS5_0ELb0ES3_jN6thrust23THRUST_200600_302600_NS6detail15normal_iteratorINSA_10device_ptrIiEEEEPS6_SG_NS0_5tupleIJSF_NSA_16discard_iteratorINSA_11use_defaultEEEEEENSH_IJSG_SG_EEES6_PlJ7is_evenIiEEEE10hipError_tPvRmT3_T4_T5_T6_T7_T9_mT8_P12ihipStream_tbDpT10_ENKUlT_T0_E_clISt17integral_constantIbLb1EES19_EEDaS14_S15_EUlS14_E_NS1_11comp_targetILNS1_3genE0ELNS1_11target_archE4294967295ELNS1_3gpuE0ELNS1_3repE0EEENS1_30default_config_static_selectorELNS0_4arch9wavefront6targetE1EEEvT1_,"axG",@progbits,_ZN7rocprim17ROCPRIM_400000_NS6detail17trampoline_kernelINS0_14default_configENS1_25partition_config_selectorILNS1_17partition_subalgoE0EiNS0_10empty_typeEbEEZZNS1_14partition_implILS5_0ELb0ES3_jN6thrust23THRUST_200600_302600_NS6detail15normal_iteratorINSA_10device_ptrIiEEEEPS6_SG_NS0_5tupleIJSF_NSA_16discard_iteratorINSA_11use_defaultEEEEEENSH_IJSG_SG_EEES6_PlJ7is_evenIiEEEE10hipError_tPvRmT3_T4_T5_T6_T7_T9_mT8_P12ihipStream_tbDpT10_ENKUlT_T0_E_clISt17integral_constantIbLb1EES19_EEDaS14_S15_EUlS14_E_NS1_11comp_targetILNS1_3genE0ELNS1_11target_archE4294967295ELNS1_3gpuE0ELNS1_3repE0EEENS1_30default_config_static_selectorELNS0_4arch9wavefront6targetE1EEEvT1_,comdat
	.protected	_ZN7rocprim17ROCPRIM_400000_NS6detail17trampoline_kernelINS0_14default_configENS1_25partition_config_selectorILNS1_17partition_subalgoE0EiNS0_10empty_typeEbEEZZNS1_14partition_implILS5_0ELb0ES3_jN6thrust23THRUST_200600_302600_NS6detail15normal_iteratorINSA_10device_ptrIiEEEEPS6_SG_NS0_5tupleIJSF_NSA_16discard_iteratorINSA_11use_defaultEEEEEENSH_IJSG_SG_EEES6_PlJ7is_evenIiEEEE10hipError_tPvRmT3_T4_T5_T6_T7_T9_mT8_P12ihipStream_tbDpT10_ENKUlT_T0_E_clISt17integral_constantIbLb1EES19_EEDaS14_S15_EUlS14_E_NS1_11comp_targetILNS1_3genE0ELNS1_11target_archE4294967295ELNS1_3gpuE0ELNS1_3repE0EEENS1_30default_config_static_selectorELNS0_4arch9wavefront6targetE1EEEvT1_ ; -- Begin function _ZN7rocprim17ROCPRIM_400000_NS6detail17trampoline_kernelINS0_14default_configENS1_25partition_config_selectorILNS1_17partition_subalgoE0EiNS0_10empty_typeEbEEZZNS1_14partition_implILS5_0ELb0ES3_jN6thrust23THRUST_200600_302600_NS6detail15normal_iteratorINSA_10device_ptrIiEEEEPS6_SG_NS0_5tupleIJSF_NSA_16discard_iteratorINSA_11use_defaultEEEEEENSH_IJSG_SG_EEES6_PlJ7is_evenIiEEEE10hipError_tPvRmT3_T4_T5_T6_T7_T9_mT8_P12ihipStream_tbDpT10_ENKUlT_T0_E_clISt17integral_constantIbLb1EES19_EEDaS14_S15_EUlS14_E_NS1_11comp_targetILNS1_3genE0ELNS1_11target_archE4294967295ELNS1_3gpuE0ELNS1_3repE0EEENS1_30default_config_static_selectorELNS0_4arch9wavefront6targetE1EEEvT1_
	.globl	_ZN7rocprim17ROCPRIM_400000_NS6detail17trampoline_kernelINS0_14default_configENS1_25partition_config_selectorILNS1_17partition_subalgoE0EiNS0_10empty_typeEbEEZZNS1_14partition_implILS5_0ELb0ES3_jN6thrust23THRUST_200600_302600_NS6detail15normal_iteratorINSA_10device_ptrIiEEEEPS6_SG_NS0_5tupleIJSF_NSA_16discard_iteratorINSA_11use_defaultEEEEEENSH_IJSG_SG_EEES6_PlJ7is_evenIiEEEE10hipError_tPvRmT3_T4_T5_T6_T7_T9_mT8_P12ihipStream_tbDpT10_ENKUlT_T0_E_clISt17integral_constantIbLb1EES19_EEDaS14_S15_EUlS14_E_NS1_11comp_targetILNS1_3genE0ELNS1_11target_archE4294967295ELNS1_3gpuE0ELNS1_3repE0EEENS1_30default_config_static_selectorELNS0_4arch9wavefront6targetE1EEEvT1_
	.p2align	8
	.type	_ZN7rocprim17ROCPRIM_400000_NS6detail17trampoline_kernelINS0_14default_configENS1_25partition_config_selectorILNS1_17partition_subalgoE0EiNS0_10empty_typeEbEEZZNS1_14partition_implILS5_0ELb0ES3_jN6thrust23THRUST_200600_302600_NS6detail15normal_iteratorINSA_10device_ptrIiEEEEPS6_SG_NS0_5tupleIJSF_NSA_16discard_iteratorINSA_11use_defaultEEEEEENSH_IJSG_SG_EEES6_PlJ7is_evenIiEEEE10hipError_tPvRmT3_T4_T5_T6_T7_T9_mT8_P12ihipStream_tbDpT10_ENKUlT_T0_E_clISt17integral_constantIbLb1EES19_EEDaS14_S15_EUlS14_E_NS1_11comp_targetILNS1_3genE0ELNS1_11target_archE4294967295ELNS1_3gpuE0ELNS1_3repE0EEENS1_30default_config_static_selectorELNS0_4arch9wavefront6targetE1EEEvT1_,@function
_ZN7rocprim17ROCPRIM_400000_NS6detail17trampoline_kernelINS0_14default_configENS1_25partition_config_selectorILNS1_17partition_subalgoE0EiNS0_10empty_typeEbEEZZNS1_14partition_implILS5_0ELb0ES3_jN6thrust23THRUST_200600_302600_NS6detail15normal_iteratorINSA_10device_ptrIiEEEEPS6_SG_NS0_5tupleIJSF_NSA_16discard_iteratorINSA_11use_defaultEEEEEENSH_IJSG_SG_EEES6_PlJ7is_evenIiEEEE10hipError_tPvRmT3_T4_T5_T6_T7_T9_mT8_P12ihipStream_tbDpT10_ENKUlT_T0_E_clISt17integral_constantIbLb1EES19_EEDaS14_S15_EUlS14_E_NS1_11comp_targetILNS1_3genE0ELNS1_11target_archE4294967295ELNS1_3gpuE0ELNS1_3repE0EEENS1_30default_config_static_selectorELNS0_4arch9wavefront6targetE1EEEvT1_: ; @_ZN7rocprim17ROCPRIM_400000_NS6detail17trampoline_kernelINS0_14default_configENS1_25partition_config_selectorILNS1_17partition_subalgoE0EiNS0_10empty_typeEbEEZZNS1_14partition_implILS5_0ELb0ES3_jN6thrust23THRUST_200600_302600_NS6detail15normal_iteratorINSA_10device_ptrIiEEEEPS6_SG_NS0_5tupleIJSF_NSA_16discard_iteratorINSA_11use_defaultEEEEEENSH_IJSG_SG_EEES6_PlJ7is_evenIiEEEE10hipError_tPvRmT3_T4_T5_T6_T7_T9_mT8_P12ihipStream_tbDpT10_ENKUlT_T0_E_clISt17integral_constantIbLb1EES19_EEDaS14_S15_EUlS14_E_NS1_11comp_targetILNS1_3genE0ELNS1_11target_archE4294967295ELNS1_3gpuE0ELNS1_3repE0EEENS1_30default_config_static_selectorELNS0_4arch9wavefront6targetE1EEEvT1_
; %bb.0:
	.section	.rodata,"a",@progbits
	.p2align	6, 0x0
	.amdhsa_kernel _ZN7rocprim17ROCPRIM_400000_NS6detail17trampoline_kernelINS0_14default_configENS1_25partition_config_selectorILNS1_17partition_subalgoE0EiNS0_10empty_typeEbEEZZNS1_14partition_implILS5_0ELb0ES3_jN6thrust23THRUST_200600_302600_NS6detail15normal_iteratorINSA_10device_ptrIiEEEEPS6_SG_NS0_5tupleIJSF_NSA_16discard_iteratorINSA_11use_defaultEEEEEENSH_IJSG_SG_EEES6_PlJ7is_evenIiEEEE10hipError_tPvRmT3_T4_T5_T6_T7_T9_mT8_P12ihipStream_tbDpT10_ENKUlT_T0_E_clISt17integral_constantIbLb1EES19_EEDaS14_S15_EUlS14_E_NS1_11comp_targetILNS1_3genE0ELNS1_11target_archE4294967295ELNS1_3gpuE0ELNS1_3repE0EEENS1_30default_config_static_selectorELNS0_4arch9wavefront6targetE1EEEvT1_
		.amdhsa_group_segment_fixed_size 0
		.amdhsa_private_segment_fixed_size 0
		.amdhsa_kernarg_size 144
		.amdhsa_user_sgpr_count 6
		.amdhsa_user_sgpr_private_segment_buffer 1
		.amdhsa_user_sgpr_dispatch_ptr 0
		.amdhsa_user_sgpr_queue_ptr 0
		.amdhsa_user_sgpr_kernarg_segment_ptr 1
		.amdhsa_user_sgpr_dispatch_id 0
		.amdhsa_user_sgpr_flat_scratch_init 0
		.amdhsa_user_sgpr_kernarg_preload_length 0
		.amdhsa_user_sgpr_kernarg_preload_offset 0
		.amdhsa_user_sgpr_private_segment_size 0
		.amdhsa_uses_dynamic_stack 0
		.amdhsa_system_sgpr_private_segment_wavefront_offset 0
		.amdhsa_system_sgpr_workgroup_id_x 1
		.amdhsa_system_sgpr_workgroup_id_y 0
		.amdhsa_system_sgpr_workgroup_id_z 0
		.amdhsa_system_sgpr_workgroup_info 0
		.amdhsa_system_vgpr_workitem_id 0
		.amdhsa_next_free_vgpr 1
		.amdhsa_next_free_sgpr 0
		.amdhsa_accum_offset 4
		.amdhsa_reserve_vcc 0
		.amdhsa_reserve_flat_scratch 0
		.amdhsa_float_round_mode_32 0
		.amdhsa_float_round_mode_16_64 0
		.amdhsa_float_denorm_mode_32 3
		.amdhsa_float_denorm_mode_16_64 3
		.amdhsa_dx10_clamp 1
		.amdhsa_ieee_mode 1
		.amdhsa_fp16_overflow 0
		.amdhsa_tg_split 0
		.amdhsa_exception_fp_ieee_invalid_op 0
		.amdhsa_exception_fp_denorm_src 0
		.amdhsa_exception_fp_ieee_div_zero 0
		.amdhsa_exception_fp_ieee_overflow 0
		.amdhsa_exception_fp_ieee_underflow 0
		.amdhsa_exception_fp_ieee_inexact 0
		.amdhsa_exception_int_div_zero 0
	.end_amdhsa_kernel
	.section	.text._ZN7rocprim17ROCPRIM_400000_NS6detail17trampoline_kernelINS0_14default_configENS1_25partition_config_selectorILNS1_17partition_subalgoE0EiNS0_10empty_typeEbEEZZNS1_14partition_implILS5_0ELb0ES3_jN6thrust23THRUST_200600_302600_NS6detail15normal_iteratorINSA_10device_ptrIiEEEEPS6_SG_NS0_5tupleIJSF_NSA_16discard_iteratorINSA_11use_defaultEEEEEENSH_IJSG_SG_EEES6_PlJ7is_evenIiEEEE10hipError_tPvRmT3_T4_T5_T6_T7_T9_mT8_P12ihipStream_tbDpT10_ENKUlT_T0_E_clISt17integral_constantIbLb1EES19_EEDaS14_S15_EUlS14_E_NS1_11comp_targetILNS1_3genE0ELNS1_11target_archE4294967295ELNS1_3gpuE0ELNS1_3repE0EEENS1_30default_config_static_selectorELNS0_4arch9wavefront6targetE1EEEvT1_,"axG",@progbits,_ZN7rocprim17ROCPRIM_400000_NS6detail17trampoline_kernelINS0_14default_configENS1_25partition_config_selectorILNS1_17partition_subalgoE0EiNS0_10empty_typeEbEEZZNS1_14partition_implILS5_0ELb0ES3_jN6thrust23THRUST_200600_302600_NS6detail15normal_iteratorINSA_10device_ptrIiEEEEPS6_SG_NS0_5tupleIJSF_NSA_16discard_iteratorINSA_11use_defaultEEEEEENSH_IJSG_SG_EEES6_PlJ7is_evenIiEEEE10hipError_tPvRmT3_T4_T5_T6_T7_T9_mT8_P12ihipStream_tbDpT10_ENKUlT_T0_E_clISt17integral_constantIbLb1EES19_EEDaS14_S15_EUlS14_E_NS1_11comp_targetILNS1_3genE0ELNS1_11target_archE4294967295ELNS1_3gpuE0ELNS1_3repE0EEENS1_30default_config_static_selectorELNS0_4arch9wavefront6targetE1EEEvT1_,comdat
.Lfunc_end2723:
	.size	_ZN7rocprim17ROCPRIM_400000_NS6detail17trampoline_kernelINS0_14default_configENS1_25partition_config_selectorILNS1_17partition_subalgoE0EiNS0_10empty_typeEbEEZZNS1_14partition_implILS5_0ELb0ES3_jN6thrust23THRUST_200600_302600_NS6detail15normal_iteratorINSA_10device_ptrIiEEEEPS6_SG_NS0_5tupleIJSF_NSA_16discard_iteratorINSA_11use_defaultEEEEEENSH_IJSG_SG_EEES6_PlJ7is_evenIiEEEE10hipError_tPvRmT3_T4_T5_T6_T7_T9_mT8_P12ihipStream_tbDpT10_ENKUlT_T0_E_clISt17integral_constantIbLb1EES19_EEDaS14_S15_EUlS14_E_NS1_11comp_targetILNS1_3genE0ELNS1_11target_archE4294967295ELNS1_3gpuE0ELNS1_3repE0EEENS1_30default_config_static_selectorELNS0_4arch9wavefront6targetE1EEEvT1_, .Lfunc_end2723-_ZN7rocprim17ROCPRIM_400000_NS6detail17trampoline_kernelINS0_14default_configENS1_25partition_config_selectorILNS1_17partition_subalgoE0EiNS0_10empty_typeEbEEZZNS1_14partition_implILS5_0ELb0ES3_jN6thrust23THRUST_200600_302600_NS6detail15normal_iteratorINSA_10device_ptrIiEEEEPS6_SG_NS0_5tupleIJSF_NSA_16discard_iteratorINSA_11use_defaultEEEEEENSH_IJSG_SG_EEES6_PlJ7is_evenIiEEEE10hipError_tPvRmT3_T4_T5_T6_T7_T9_mT8_P12ihipStream_tbDpT10_ENKUlT_T0_E_clISt17integral_constantIbLb1EES19_EEDaS14_S15_EUlS14_E_NS1_11comp_targetILNS1_3genE0ELNS1_11target_archE4294967295ELNS1_3gpuE0ELNS1_3repE0EEENS1_30default_config_static_selectorELNS0_4arch9wavefront6targetE1EEEvT1_
                                        ; -- End function
	.section	.AMDGPU.csdata,"",@progbits
; Kernel info:
; codeLenInByte = 0
; NumSgprs: 4
; NumVgprs: 0
; NumAgprs: 0
; TotalNumVgprs: 0
; ScratchSize: 0
; MemoryBound: 0
; FloatMode: 240
; IeeeMode: 1
; LDSByteSize: 0 bytes/workgroup (compile time only)
; SGPRBlocks: 0
; VGPRBlocks: 0
; NumSGPRsForWavesPerEU: 4
; NumVGPRsForWavesPerEU: 1
; AccumOffset: 4
; Occupancy: 8
; WaveLimiterHint : 0
; COMPUTE_PGM_RSRC2:SCRATCH_EN: 0
; COMPUTE_PGM_RSRC2:USER_SGPR: 6
; COMPUTE_PGM_RSRC2:TRAP_HANDLER: 0
; COMPUTE_PGM_RSRC2:TGID_X_EN: 1
; COMPUTE_PGM_RSRC2:TGID_Y_EN: 0
; COMPUTE_PGM_RSRC2:TGID_Z_EN: 0
; COMPUTE_PGM_RSRC2:TIDIG_COMP_CNT: 0
; COMPUTE_PGM_RSRC3_GFX90A:ACCUM_OFFSET: 0
; COMPUTE_PGM_RSRC3_GFX90A:TG_SPLIT: 0
	.section	.text._ZN7rocprim17ROCPRIM_400000_NS6detail17trampoline_kernelINS0_14default_configENS1_25partition_config_selectorILNS1_17partition_subalgoE0EiNS0_10empty_typeEbEEZZNS1_14partition_implILS5_0ELb0ES3_jN6thrust23THRUST_200600_302600_NS6detail15normal_iteratorINSA_10device_ptrIiEEEEPS6_SG_NS0_5tupleIJSF_NSA_16discard_iteratorINSA_11use_defaultEEEEEENSH_IJSG_SG_EEES6_PlJ7is_evenIiEEEE10hipError_tPvRmT3_T4_T5_T6_T7_T9_mT8_P12ihipStream_tbDpT10_ENKUlT_T0_E_clISt17integral_constantIbLb1EES19_EEDaS14_S15_EUlS14_E_NS1_11comp_targetILNS1_3genE5ELNS1_11target_archE942ELNS1_3gpuE9ELNS1_3repE0EEENS1_30default_config_static_selectorELNS0_4arch9wavefront6targetE1EEEvT1_,"axG",@progbits,_ZN7rocprim17ROCPRIM_400000_NS6detail17trampoline_kernelINS0_14default_configENS1_25partition_config_selectorILNS1_17partition_subalgoE0EiNS0_10empty_typeEbEEZZNS1_14partition_implILS5_0ELb0ES3_jN6thrust23THRUST_200600_302600_NS6detail15normal_iteratorINSA_10device_ptrIiEEEEPS6_SG_NS0_5tupleIJSF_NSA_16discard_iteratorINSA_11use_defaultEEEEEENSH_IJSG_SG_EEES6_PlJ7is_evenIiEEEE10hipError_tPvRmT3_T4_T5_T6_T7_T9_mT8_P12ihipStream_tbDpT10_ENKUlT_T0_E_clISt17integral_constantIbLb1EES19_EEDaS14_S15_EUlS14_E_NS1_11comp_targetILNS1_3genE5ELNS1_11target_archE942ELNS1_3gpuE9ELNS1_3repE0EEENS1_30default_config_static_selectorELNS0_4arch9wavefront6targetE1EEEvT1_,comdat
	.protected	_ZN7rocprim17ROCPRIM_400000_NS6detail17trampoline_kernelINS0_14default_configENS1_25partition_config_selectorILNS1_17partition_subalgoE0EiNS0_10empty_typeEbEEZZNS1_14partition_implILS5_0ELb0ES3_jN6thrust23THRUST_200600_302600_NS6detail15normal_iteratorINSA_10device_ptrIiEEEEPS6_SG_NS0_5tupleIJSF_NSA_16discard_iteratorINSA_11use_defaultEEEEEENSH_IJSG_SG_EEES6_PlJ7is_evenIiEEEE10hipError_tPvRmT3_T4_T5_T6_T7_T9_mT8_P12ihipStream_tbDpT10_ENKUlT_T0_E_clISt17integral_constantIbLb1EES19_EEDaS14_S15_EUlS14_E_NS1_11comp_targetILNS1_3genE5ELNS1_11target_archE942ELNS1_3gpuE9ELNS1_3repE0EEENS1_30default_config_static_selectorELNS0_4arch9wavefront6targetE1EEEvT1_ ; -- Begin function _ZN7rocprim17ROCPRIM_400000_NS6detail17trampoline_kernelINS0_14default_configENS1_25partition_config_selectorILNS1_17partition_subalgoE0EiNS0_10empty_typeEbEEZZNS1_14partition_implILS5_0ELb0ES3_jN6thrust23THRUST_200600_302600_NS6detail15normal_iteratorINSA_10device_ptrIiEEEEPS6_SG_NS0_5tupleIJSF_NSA_16discard_iteratorINSA_11use_defaultEEEEEENSH_IJSG_SG_EEES6_PlJ7is_evenIiEEEE10hipError_tPvRmT3_T4_T5_T6_T7_T9_mT8_P12ihipStream_tbDpT10_ENKUlT_T0_E_clISt17integral_constantIbLb1EES19_EEDaS14_S15_EUlS14_E_NS1_11comp_targetILNS1_3genE5ELNS1_11target_archE942ELNS1_3gpuE9ELNS1_3repE0EEENS1_30default_config_static_selectorELNS0_4arch9wavefront6targetE1EEEvT1_
	.globl	_ZN7rocprim17ROCPRIM_400000_NS6detail17trampoline_kernelINS0_14default_configENS1_25partition_config_selectorILNS1_17partition_subalgoE0EiNS0_10empty_typeEbEEZZNS1_14partition_implILS5_0ELb0ES3_jN6thrust23THRUST_200600_302600_NS6detail15normal_iteratorINSA_10device_ptrIiEEEEPS6_SG_NS0_5tupleIJSF_NSA_16discard_iteratorINSA_11use_defaultEEEEEENSH_IJSG_SG_EEES6_PlJ7is_evenIiEEEE10hipError_tPvRmT3_T4_T5_T6_T7_T9_mT8_P12ihipStream_tbDpT10_ENKUlT_T0_E_clISt17integral_constantIbLb1EES19_EEDaS14_S15_EUlS14_E_NS1_11comp_targetILNS1_3genE5ELNS1_11target_archE942ELNS1_3gpuE9ELNS1_3repE0EEENS1_30default_config_static_selectorELNS0_4arch9wavefront6targetE1EEEvT1_
	.p2align	8
	.type	_ZN7rocprim17ROCPRIM_400000_NS6detail17trampoline_kernelINS0_14default_configENS1_25partition_config_selectorILNS1_17partition_subalgoE0EiNS0_10empty_typeEbEEZZNS1_14partition_implILS5_0ELb0ES3_jN6thrust23THRUST_200600_302600_NS6detail15normal_iteratorINSA_10device_ptrIiEEEEPS6_SG_NS0_5tupleIJSF_NSA_16discard_iteratorINSA_11use_defaultEEEEEENSH_IJSG_SG_EEES6_PlJ7is_evenIiEEEE10hipError_tPvRmT3_T4_T5_T6_T7_T9_mT8_P12ihipStream_tbDpT10_ENKUlT_T0_E_clISt17integral_constantIbLb1EES19_EEDaS14_S15_EUlS14_E_NS1_11comp_targetILNS1_3genE5ELNS1_11target_archE942ELNS1_3gpuE9ELNS1_3repE0EEENS1_30default_config_static_selectorELNS0_4arch9wavefront6targetE1EEEvT1_,@function
_ZN7rocprim17ROCPRIM_400000_NS6detail17trampoline_kernelINS0_14default_configENS1_25partition_config_selectorILNS1_17partition_subalgoE0EiNS0_10empty_typeEbEEZZNS1_14partition_implILS5_0ELb0ES3_jN6thrust23THRUST_200600_302600_NS6detail15normal_iteratorINSA_10device_ptrIiEEEEPS6_SG_NS0_5tupleIJSF_NSA_16discard_iteratorINSA_11use_defaultEEEEEENSH_IJSG_SG_EEES6_PlJ7is_evenIiEEEE10hipError_tPvRmT3_T4_T5_T6_T7_T9_mT8_P12ihipStream_tbDpT10_ENKUlT_T0_E_clISt17integral_constantIbLb1EES19_EEDaS14_S15_EUlS14_E_NS1_11comp_targetILNS1_3genE5ELNS1_11target_archE942ELNS1_3gpuE9ELNS1_3repE0EEENS1_30default_config_static_selectorELNS0_4arch9wavefront6targetE1EEEvT1_: ; @_ZN7rocprim17ROCPRIM_400000_NS6detail17trampoline_kernelINS0_14default_configENS1_25partition_config_selectorILNS1_17partition_subalgoE0EiNS0_10empty_typeEbEEZZNS1_14partition_implILS5_0ELb0ES3_jN6thrust23THRUST_200600_302600_NS6detail15normal_iteratorINSA_10device_ptrIiEEEEPS6_SG_NS0_5tupleIJSF_NSA_16discard_iteratorINSA_11use_defaultEEEEEENSH_IJSG_SG_EEES6_PlJ7is_evenIiEEEE10hipError_tPvRmT3_T4_T5_T6_T7_T9_mT8_P12ihipStream_tbDpT10_ENKUlT_T0_E_clISt17integral_constantIbLb1EES19_EEDaS14_S15_EUlS14_E_NS1_11comp_targetILNS1_3genE5ELNS1_11target_archE942ELNS1_3gpuE9ELNS1_3repE0EEENS1_30default_config_static_selectorELNS0_4arch9wavefront6targetE1EEEvT1_
; %bb.0:
	.section	.rodata,"a",@progbits
	.p2align	6, 0x0
	.amdhsa_kernel _ZN7rocprim17ROCPRIM_400000_NS6detail17trampoline_kernelINS0_14default_configENS1_25partition_config_selectorILNS1_17partition_subalgoE0EiNS0_10empty_typeEbEEZZNS1_14partition_implILS5_0ELb0ES3_jN6thrust23THRUST_200600_302600_NS6detail15normal_iteratorINSA_10device_ptrIiEEEEPS6_SG_NS0_5tupleIJSF_NSA_16discard_iteratorINSA_11use_defaultEEEEEENSH_IJSG_SG_EEES6_PlJ7is_evenIiEEEE10hipError_tPvRmT3_T4_T5_T6_T7_T9_mT8_P12ihipStream_tbDpT10_ENKUlT_T0_E_clISt17integral_constantIbLb1EES19_EEDaS14_S15_EUlS14_E_NS1_11comp_targetILNS1_3genE5ELNS1_11target_archE942ELNS1_3gpuE9ELNS1_3repE0EEENS1_30default_config_static_selectorELNS0_4arch9wavefront6targetE1EEEvT1_
		.amdhsa_group_segment_fixed_size 0
		.amdhsa_private_segment_fixed_size 0
		.amdhsa_kernarg_size 144
		.amdhsa_user_sgpr_count 6
		.amdhsa_user_sgpr_private_segment_buffer 1
		.amdhsa_user_sgpr_dispatch_ptr 0
		.amdhsa_user_sgpr_queue_ptr 0
		.amdhsa_user_sgpr_kernarg_segment_ptr 1
		.amdhsa_user_sgpr_dispatch_id 0
		.amdhsa_user_sgpr_flat_scratch_init 0
		.amdhsa_user_sgpr_kernarg_preload_length 0
		.amdhsa_user_sgpr_kernarg_preload_offset 0
		.amdhsa_user_sgpr_private_segment_size 0
		.amdhsa_uses_dynamic_stack 0
		.amdhsa_system_sgpr_private_segment_wavefront_offset 0
		.amdhsa_system_sgpr_workgroup_id_x 1
		.amdhsa_system_sgpr_workgroup_id_y 0
		.amdhsa_system_sgpr_workgroup_id_z 0
		.amdhsa_system_sgpr_workgroup_info 0
		.amdhsa_system_vgpr_workitem_id 0
		.amdhsa_next_free_vgpr 1
		.amdhsa_next_free_sgpr 0
		.amdhsa_accum_offset 4
		.amdhsa_reserve_vcc 0
		.amdhsa_reserve_flat_scratch 0
		.amdhsa_float_round_mode_32 0
		.amdhsa_float_round_mode_16_64 0
		.amdhsa_float_denorm_mode_32 3
		.amdhsa_float_denorm_mode_16_64 3
		.amdhsa_dx10_clamp 1
		.amdhsa_ieee_mode 1
		.amdhsa_fp16_overflow 0
		.amdhsa_tg_split 0
		.amdhsa_exception_fp_ieee_invalid_op 0
		.amdhsa_exception_fp_denorm_src 0
		.amdhsa_exception_fp_ieee_div_zero 0
		.amdhsa_exception_fp_ieee_overflow 0
		.amdhsa_exception_fp_ieee_underflow 0
		.amdhsa_exception_fp_ieee_inexact 0
		.amdhsa_exception_int_div_zero 0
	.end_amdhsa_kernel
	.section	.text._ZN7rocprim17ROCPRIM_400000_NS6detail17trampoline_kernelINS0_14default_configENS1_25partition_config_selectorILNS1_17partition_subalgoE0EiNS0_10empty_typeEbEEZZNS1_14partition_implILS5_0ELb0ES3_jN6thrust23THRUST_200600_302600_NS6detail15normal_iteratorINSA_10device_ptrIiEEEEPS6_SG_NS0_5tupleIJSF_NSA_16discard_iteratorINSA_11use_defaultEEEEEENSH_IJSG_SG_EEES6_PlJ7is_evenIiEEEE10hipError_tPvRmT3_T4_T5_T6_T7_T9_mT8_P12ihipStream_tbDpT10_ENKUlT_T0_E_clISt17integral_constantIbLb1EES19_EEDaS14_S15_EUlS14_E_NS1_11comp_targetILNS1_3genE5ELNS1_11target_archE942ELNS1_3gpuE9ELNS1_3repE0EEENS1_30default_config_static_selectorELNS0_4arch9wavefront6targetE1EEEvT1_,"axG",@progbits,_ZN7rocprim17ROCPRIM_400000_NS6detail17trampoline_kernelINS0_14default_configENS1_25partition_config_selectorILNS1_17partition_subalgoE0EiNS0_10empty_typeEbEEZZNS1_14partition_implILS5_0ELb0ES3_jN6thrust23THRUST_200600_302600_NS6detail15normal_iteratorINSA_10device_ptrIiEEEEPS6_SG_NS0_5tupleIJSF_NSA_16discard_iteratorINSA_11use_defaultEEEEEENSH_IJSG_SG_EEES6_PlJ7is_evenIiEEEE10hipError_tPvRmT3_T4_T5_T6_T7_T9_mT8_P12ihipStream_tbDpT10_ENKUlT_T0_E_clISt17integral_constantIbLb1EES19_EEDaS14_S15_EUlS14_E_NS1_11comp_targetILNS1_3genE5ELNS1_11target_archE942ELNS1_3gpuE9ELNS1_3repE0EEENS1_30default_config_static_selectorELNS0_4arch9wavefront6targetE1EEEvT1_,comdat
.Lfunc_end2724:
	.size	_ZN7rocprim17ROCPRIM_400000_NS6detail17trampoline_kernelINS0_14default_configENS1_25partition_config_selectorILNS1_17partition_subalgoE0EiNS0_10empty_typeEbEEZZNS1_14partition_implILS5_0ELb0ES3_jN6thrust23THRUST_200600_302600_NS6detail15normal_iteratorINSA_10device_ptrIiEEEEPS6_SG_NS0_5tupleIJSF_NSA_16discard_iteratorINSA_11use_defaultEEEEEENSH_IJSG_SG_EEES6_PlJ7is_evenIiEEEE10hipError_tPvRmT3_T4_T5_T6_T7_T9_mT8_P12ihipStream_tbDpT10_ENKUlT_T0_E_clISt17integral_constantIbLb1EES19_EEDaS14_S15_EUlS14_E_NS1_11comp_targetILNS1_3genE5ELNS1_11target_archE942ELNS1_3gpuE9ELNS1_3repE0EEENS1_30default_config_static_selectorELNS0_4arch9wavefront6targetE1EEEvT1_, .Lfunc_end2724-_ZN7rocprim17ROCPRIM_400000_NS6detail17trampoline_kernelINS0_14default_configENS1_25partition_config_selectorILNS1_17partition_subalgoE0EiNS0_10empty_typeEbEEZZNS1_14partition_implILS5_0ELb0ES3_jN6thrust23THRUST_200600_302600_NS6detail15normal_iteratorINSA_10device_ptrIiEEEEPS6_SG_NS0_5tupleIJSF_NSA_16discard_iteratorINSA_11use_defaultEEEEEENSH_IJSG_SG_EEES6_PlJ7is_evenIiEEEE10hipError_tPvRmT3_T4_T5_T6_T7_T9_mT8_P12ihipStream_tbDpT10_ENKUlT_T0_E_clISt17integral_constantIbLb1EES19_EEDaS14_S15_EUlS14_E_NS1_11comp_targetILNS1_3genE5ELNS1_11target_archE942ELNS1_3gpuE9ELNS1_3repE0EEENS1_30default_config_static_selectorELNS0_4arch9wavefront6targetE1EEEvT1_
                                        ; -- End function
	.section	.AMDGPU.csdata,"",@progbits
; Kernel info:
; codeLenInByte = 0
; NumSgprs: 4
; NumVgprs: 0
; NumAgprs: 0
; TotalNumVgprs: 0
; ScratchSize: 0
; MemoryBound: 0
; FloatMode: 240
; IeeeMode: 1
; LDSByteSize: 0 bytes/workgroup (compile time only)
; SGPRBlocks: 0
; VGPRBlocks: 0
; NumSGPRsForWavesPerEU: 4
; NumVGPRsForWavesPerEU: 1
; AccumOffset: 4
; Occupancy: 8
; WaveLimiterHint : 0
; COMPUTE_PGM_RSRC2:SCRATCH_EN: 0
; COMPUTE_PGM_RSRC2:USER_SGPR: 6
; COMPUTE_PGM_RSRC2:TRAP_HANDLER: 0
; COMPUTE_PGM_RSRC2:TGID_X_EN: 1
; COMPUTE_PGM_RSRC2:TGID_Y_EN: 0
; COMPUTE_PGM_RSRC2:TGID_Z_EN: 0
; COMPUTE_PGM_RSRC2:TIDIG_COMP_CNT: 0
; COMPUTE_PGM_RSRC3_GFX90A:ACCUM_OFFSET: 0
; COMPUTE_PGM_RSRC3_GFX90A:TG_SPLIT: 0
	.section	.text._ZN7rocprim17ROCPRIM_400000_NS6detail17trampoline_kernelINS0_14default_configENS1_25partition_config_selectorILNS1_17partition_subalgoE0EiNS0_10empty_typeEbEEZZNS1_14partition_implILS5_0ELb0ES3_jN6thrust23THRUST_200600_302600_NS6detail15normal_iteratorINSA_10device_ptrIiEEEEPS6_SG_NS0_5tupleIJSF_NSA_16discard_iteratorINSA_11use_defaultEEEEEENSH_IJSG_SG_EEES6_PlJ7is_evenIiEEEE10hipError_tPvRmT3_T4_T5_T6_T7_T9_mT8_P12ihipStream_tbDpT10_ENKUlT_T0_E_clISt17integral_constantIbLb1EES19_EEDaS14_S15_EUlS14_E_NS1_11comp_targetILNS1_3genE4ELNS1_11target_archE910ELNS1_3gpuE8ELNS1_3repE0EEENS1_30default_config_static_selectorELNS0_4arch9wavefront6targetE1EEEvT1_,"axG",@progbits,_ZN7rocprim17ROCPRIM_400000_NS6detail17trampoline_kernelINS0_14default_configENS1_25partition_config_selectorILNS1_17partition_subalgoE0EiNS0_10empty_typeEbEEZZNS1_14partition_implILS5_0ELb0ES3_jN6thrust23THRUST_200600_302600_NS6detail15normal_iteratorINSA_10device_ptrIiEEEEPS6_SG_NS0_5tupleIJSF_NSA_16discard_iteratorINSA_11use_defaultEEEEEENSH_IJSG_SG_EEES6_PlJ7is_evenIiEEEE10hipError_tPvRmT3_T4_T5_T6_T7_T9_mT8_P12ihipStream_tbDpT10_ENKUlT_T0_E_clISt17integral_constantIbLb1EES19_EEDaS14_S15_EUlS14_E_NS1_11comp_targetILNS1_3genE4ELNS1_11target_archE910ELNS1_3gpuE8ELNS1_3repE0EEENS1_30default_config_static_selectorELNS0_4arch9wavefront6targetE1EEEvT1_,comdat
	.protected	_ZN7rocprim17ROCPRIM_400000_NS6detail17trampoline_kernelINS0_14default_configENS1_25partition_config_selectorILNS1_17partition_subalgoE0EiNS0_10empty_typeEbEEZZNS1_14partition_implILS5_0ELb0ES3_jN6thrust23THRUST_200600_302600_NS6detail15normal_iteratorINSA_10device_ptrIiEEEEPS6_SG_NS0_5tupleIJSF_NSA_16discard_iteratorINSA_11use_defaultEEEEEENSH_IJSG_SG_EEES6_PlJ7is_evenIiEEEE10hipError_tPvRmT3_T4_T5_T6_T7_T9_mT8_P12ihipStream_tbDpT10_ENKUlT_T0_E_clISt17integral_constantIbLb1EES19_EEDaS14_S15_EUlS14_E_NS1_11comp_targetILNS1_3genE4ELNS1_11target_archE910ELNS1_3gpuE8ELNS1_3repE0EEENS1_30default_config_static_selectorELNS0_4arch9wavefront6targetE1EEEvT1_ ; -- Begin function _ZN7rocprim17ROCPRIM_400000_NS6detail17trampoline_kernelINS0_14default_configENS1_25partition_config_selectorILNS1_17partition_subalgoE0EiNS0_10empty_typeEbEEZZNS1_14partition_implILS5_0ELb0ES3_jN6thrust23THRUST_200600_302600_NS6detail15normal_iteratorINSA_10device_ptrIiEEEEPS6_SG_NS0_5tupleIJSF_NSA_16discard_iteratorINSA_11use_defaultEEEEEENSH_IJSG_SG_EEES6_PlJ7is_evenIiEEEE10hipError_tPvRmT3_T4_T5_T6_T7_T9_mT8_P12ihipStream_tbDpT10_ENKUlT_T0_E_clISt17integral_constantIbLb1EES19_EEDaS14_S15_EUlS14_E_NS1_11comp_targetILNS1_3genE4ELNS1_11target_archE910ELNS1_3gpuE8ELNS1_3repE0EEENS1_30default_config_static_selectorELNS0_4arch9wavefront6targetE1EEEvT1_
	.globl	_ZN7rocprim17ROCPRIM_400000_NS6detail17trampoline_kernelINS0_14default_configENS1_25partition_config_selectorILNS1_17partition_subalgoE0EiNS0_10empty_typeEbEEZZNS1_14partition_implILS5_0ELb0ES3_jN6thrust23THRUST_200600_302600_NS6detail15normal_iteratorINSA_10device_ptrIiEEEEPS6_SG_NS0_5tupleIJSF_NSA_16discard_iteratorINSA_11use_defaultEEEEEENSH_IJSG_SG_EEES6_PlJ7is_evenIiEEEE10hipError_tPvRmT3_T4_T5_T6_T7_T9_mT8_P12ihipStream_tbDpT10_ENKUlT_T0_E_clISt17integral_constantIbLb1EES19_EEDaS14_S15_EUlS14_E_NS1_11comp_targetILNS1_3genE4ELNS1_11target_archE910ELNS1_3gpuE8ELNS1_3repE0EEENS1_30default_config_static_selectorELNS0_4arch9wavefront6targetE1EEEvT1_
	.p2align	8
	.type	_ZN7rocprim17ROCPRIM_400000_NS6detail17trampoline_kernelINS0_14default_configENS1_25partition_config_selectorILNS1_17partition_subalgoE0EiNS0_10empty_typeEbEEZZNS1_14partition_implILS5_0ELb0ES3_jN6thrust23THRUST_200600_302600_NS6detail15normal_iteratorINSA_10device_ptrIiEEEEPS6_SG_NS0_5tupleIJSF_NSA_16discard_iteratorINSA_11use_defaultEEEEEENSH_IJSG_SG_EEES6_PlJ7is_evenIiEEEE10hipError_tPvRmT3_T4_T5_T6_T7_T9_mT8_P12ihipStream_tbDpT10_ENKUlT_T0_E_clISt17integral_constantIbLb1EES19_EEDaS14_S15_EUlS14_E_NS1_11comp_targetILNS1_3genE4ELNS1_11target_archE910ELNS1_3gpuE8ELNS1_3repE0EEENS1_30default_config_static_selectorELNS0_4arch9wavefront6targetE1EEEvT1_,@function
_ZN7rocprim17ROCPRIM_400000_NS6detail17trampoline_kernelINS0_14default_configENS1_25partition_config_selectorILNS1_17partition_subalgoE0EiNS0_10empty_typeEbEEZZNS1_14partition_implILS5_0ELb0ES3_jN6thrust23THRUST_200600_302600_NS6detail15normal_iteratorINSA_10device_ptrIiEEEEPS6_SG_NS0_5tupleIJSF_NSA_16discard_iteratorINSA_11use_defaultEEEEEENSH_IJSG_SG_EEES6_PlJ7is_evenIiEEEE10hipError_tPvRmT3_T4_T5_T6_T7_T9_mT8_P12ihipStream_tbDpT10_ENKUlT_T0_E_clISt17integral_constantIbLb1EES19_EEDaS14_S15_EUlS14_E_NS1_11comp_targetILNS1_3genE4ELNS1_11target_archE910ELNS1_3gpuE8ELNS1_3repE0EEENS1_30default_config_static_selectorELNS0_4arch9wavefront6targetE1EEEvT1_: ; @_ZN7rocprim17ROCPRIM_400000_NS6detail17trampoline_kernelINS0_14default_configENS1_25partition_config_selectorILNS1_17partition_subalgoE0EiNS0_10empty_typeEbEEZZNS1_14partition_implILS5_0ELb0ES3_jN6thrust23THRUST_200600_302600_NS6detail15normal_iteratorINSA_10device_ptrIiEEEEPS6_SG_NS0_5tupleIJSF_NSA_16discard_iteratorINSA_11use_defaultEEEEEENSH_IJSG_SG_EEES6_PlJ7is_evenIiEEEE10hipError_tPvRmT3_T4_T5_T6_T7_T9_mT8_P12ihipStream_tbDpT10_ENKUlT_T0_E_clISt17integral_constantIbLb1EES19_EEDaS14_S15_EUlS14_E_NS1_11comp_targetILNS1_3genE4ELNS1_11target_archE910ELNS1_3gpuE8ELNS1_3repE0EEENS1_30default_config_static_selectorELNS0_4arch9wavefront6targetE1EEEvT1_
; %bb.0:
	s_load_dwordx2 s[24:25], s[4:5], 0x28
	s_load_dwordx4 s[20:23], s[4:5], 0x50
	s_load_dwordx2 s[2:3], s[4:5], 0x60
	s_load_dwordx2 s[26:27], s[4:5], 0x70
	v_cmp_eq_u32_e64 s[0:1], 0, v0
	s_and_saveexec_b64 s[6:7], s[0:1]
	s_cbranch_execz .LBB2725_4
; %bb.1:
	s_mov_b64 s[10:11], exec
	v_mbcnt_lo_u32_b32 v1, s10, 0
	v_mbcnt_hi_u32_b32 v1, s11, v1
	v_cmp_eq_u32_e32 vcc, 0, v1
                                        ; implicit-def: $vgpr2
	s_and_saveexec_b64 s[8:9], vcc
	s_cbranch_execz .LBB2725_3
; %bb.2:
	s_load_dwordx2 s[12:13], s[4:5], 0x80
	s_bcnt1_i32_b64 s10, s[10:11]
	v_mov_b32_e32 v2, 0
	v_mov_b32_e32 v3, s10
	s_waitcnt lgkmcnt(0)
	global_atomic_add v2, v2, v3, s[12:13] glc
.LBB2725_3:
	s_or_b64 exec, exec, s[8:9]
	s_waitcnt vmcnt(0)
	v_readfirstlane_b32 s8, v2
	v_add_u32_e32 v1, s8, v1
	v_mov_b32_e32 v2, 0
	ds_write_b32 v2, v1
.LBB2725_4:
	s_or_b64 exec, exec, s[6:7]
	v_mov_b32_e32 v3, 0
	s_load_dwordx4 s[8:11], s[4:5], 0x8
	s_load_dword s6, s[4:5], 0x78
	s_waitcnt lgkmcnt(0)
	s_barrier
	ds_read_b32 v1, v3
	s_waitcnt lgkmcnt(0)
	s_barrier
	global_load_dwordx2 v[12:13], v3, s[22:23]
	v_mov_b32_e32 v5, s3
	s_lshl_b64 s[4:5], s[10:11], 2
	s_movk_i32 s3, 0xa00
	s_add_u32 s7, s8, s4
	v_mul_lo_u32 v2, v1, s3
	s_mul_i32 s3, s6, 0xa00
	s_addc_u32 s8, s9, s5
	s_add_i32 s5, s3, s10
	s_add_i32 s4, s6, -1
	s_sub_i32 s33, s2, s5
	v_mov_b32_e32 v4, s2
	s_add_u32 s2, s10, s3
	v_readfirstlane_b32 s36, v1
	s_addc_u32 s3, s11, 0
	s_cmp_eq_u32 s36, s4
	s_cselect_b64 s[22:23], -1, 0
	s_cmp_lg_u32 s36, s4
	v_cmp_lt_u64_e32 vcc, s[2:3], v[4:5]
	s_cselect_b64 s[2:3], -1, 0
	v_lshlrev_b64 v[2:3], 2, v[2:3]
	s_or_b64 s[4:5], vcc, s[2:3]
	v_mov_b32_e32 v1, s8
	v_add_co_u32_e32 v14, vcc, s7, v2
	v_addc_co_u32_e32 v15, vcc, v1, v3, vcc
	s_mov_b64 s[2:3], -1
	s_and_b64 vcc, exec, s[4:5]
	v_lshlrev_b32_e32 v1, 2, v0
	s_cbranch_vccz .LBB2725_6
; %bb.5:
	v_add_co_u32_e32 v2, vcc, v14, v1
	v_addc_co_u32_e32 v3, vcc, 0, v15, vcc
	v_add_co_u32_e32 v4, vcc, 0x1000, v2
	v_addc_co_u32_e32 v5, vcc, 0, v3, vcc
	flat_load_dword v6, v[2:3]
	flat_load_dword v7, v[2:3] offset:1024
	flat_load_dword v8, v[2:3] offset:2048
	;; [unrolled: 1-line block ×3, first 2 shown]
	flat_load_dword v10, v[4:5]
	flat_load_dword v11, v[4:5] offset:1024
	flat_load_dword v16, v[4:5] offset:2048
	;; [unrolled: 1-line block ×3, first 2 shown]
	v_add_co_u32_e32 v2, vcc, 0x2000, v2
	v_addc_co_u32_e32 v3, vcc, 0, v3, vcc
	flat_load_dword v4, v[2:3]
	flat_load_dword v5, v[2:3] offset:1024
	s_mov_b64 s[2:3], 0
	s_waitcnt vmcnt(0) lgkmcnt(0)
	ds_write2st64_b32 v1, v6, v7 offset1:4
	ds_write2st64_b32 v1, v8, v9 offset0:8 offset1:12
	ds_write2st64_b32 v1, v10, v11 offset0:16 offset1:20
	;; [unrolled: 1-line block ×4, first 2 shown]
	s_waitcnt lgkmcnt(0)
	s_barrier
.LBB2725_6:
	s_andn2_b64 vcc, exec, s[2:3]
	s_addk_i32 s33, 0xa00
	s_cbranch_vccnz .LBB2725_28
; %bb.7:
	v_cmp_gt_u32_e32 vcc, s33, v0
                                        ; implicit-def: $vgpr2_vgpr3_vgpr4_vgpr5_vgpr6_vgpr7_vgpr8_vgpr9_vgpr10_vgpr11
	s_and_saveexec_b64 s[2:3], vcc
	s_cbranch_execz .LBB2725_9
; %bb.8:
	v_add_co_u32_e32 v2, vcc, v14, v1
	v_addc_co_u32_e32 v3, vcc, 0, v15, vcc
	flat_load_dword v2, v[2:3]
.LBB2725_9:
	s_or_b64 exec, exec, s[2:3]
	v_or_b32_e32 v16, 0x100, v0
	v_cmp_gt_u32_e32 vcc, s33, v16
	s_and_saveexec_b64 s[2:3], vcc
	s_cbranch_execz .LBB2725_11
; %bb.10:
	v_add_co_u32_e32 v16, vcc, v14, v1
	v_addc_co_u32_e32 v17, vcc, 0, v15, vcc
	flat_load_dword v3, v[16:17] offset:1024
.LBB2725_11:
	s_or_b64 exec, exec, s[2:3]
	v_or_b32_e32 v16, 0x200, v0
	v_cmp_gt_u32_e32 vcc, s33, v16
	s_and_saveexec_b64 s[2:3], vcc
	s_cbranch_execz .LBB2725_13
; %bb.12:
	v_add_co_u32_e32 v16, vcc, v14, v1
	v_addc_co_u32_e32 v17, vcc, 0, v15, vcc
	flat_load_dword v4, v[16:17] offset:2048
.LBB2725_13:
	;; [unrolled: 10-line block ×3, first 2 shown]
	s_or_b64 exec, exec, s[2:3]
	v_or_b32_e32 v16, 0x400, v0
	v_cmp_gt_u32_e32 vcc, s33, v16
	s_and_saveexec_b64 s[2:3], vcc
	s_cbranch_execz .LBB2725_17
; %bb.16:
	v_lshlrev_b32_e32 v6, 2, v16
	v_add_co_u32_e32 v16, vcc, v14, v6
	v_addc_co_u32_e32 v17, vcc, 0, v15, vcc
	flat_load_dword v6, v[16:17]
.LBB2725_17:
	s_or_b64 exec, exec, s[2:3]
	v_or_b32_e32 v16, 0x500, v0
	v_cmp_gt_u32_e32 vcc, s33, v16
	s_and_saveexec_b64 s[2:3], vcc
	s_cbranch_execz .LBB2725_19
; %bb.18:
	v_lshlrev_b32_e32 v7, 2, v16
	v_add_co_u32_e32 v16, vcc, v14, v7
	v_addc_co_u32_e32 v17, vcc, 0, v15, vcc
	flat_load_dword v7, v[16:17]
.LBB2725_19:
	;; [unrolled: 11-line block ×6, first 2 shown]
	s_or_b64 exec, exec, s[2:3]
	s_waitcnt vmcnt(0) lgkmcnt(0)
	ds_write2st64_b32 v1, v2, v3 offset1:4
	ds_write2st64_b32 v1, v4, v5 offset0:8 offset1:12
	ds_write2st64_b32 v1, v6, v7 offset0:16 offset1:20
	;; [unrolled: 1-line block ×4, first 2 shown]
	s_waitcnt lgkmcnt(0)
	s_barrier
.LBB2725_28:
	v_mul_u32_u24_e32 v25, 10, v0
	v_lshlrev_b32_e32 v31, 2, v25
	ds_read2_b64 v[6:9], v31 offset1:1
	ds_read2_b64 v[2:5], v31 offset0:2 offset1:3
	ds_read_b64 v[10:11], v31 offset:32
	v_cndmask_b32_e64 v14, 0, 1, s[4:5]
	v_cmp_ne_u32_e64 s[2:3], 1, v14
	s_andn2_b64 vcc, exec, s[4:5]
	s_waitcnt lgkmcnt(2)
	v_xor_b32_e32 v23, -1, v6
	v_xor_b32_e32 v22, -1, v7
	v_xor_b32_e32 v21, -1, v8
	v_xor_b32_e32 v20, -1, v9
	s_waitcnt lgkmcnt(1)
	v_xor_b32_e32 v19, -1, v2
	v_xor_b32_e32 v18, -1, v3
	;; [unrolled: 1-line block ×4, first 2 shown]
	s_waitcnt lgkmcnt(0)
	v_xor_b32_e32 v15, -1, v10
	v_xor_b32_e32 v14, -1, v11
	s_barrier
	s_cbranch_vccnz .LBB2725_30
; %bb.29:
	v_mov_b32_e32 v24, 1
	v_and_b32_e32 v27, 1, v23
	v_and_b32_sdwa v28, v22, v24 dst_sel:BYTE_1 dst_unused:UNUSED_PAD src0_sel:DWORD src1_sel:DWORD
	v_and_b32_e32 v29, 1, v21
	v_and_b32_sdwa v30, v20, v24 dst_sel:BYTE_1 dst_unused:UNUSED_PAD src0_sel:DWORD src1_sel:DWORD
	;; [unrolled: 2-line block ×4, first 2 shown]
	v_or_b32_e32 v27, v27, v28
	v_or_b32_sdwa v28, v29, v30 dst_sel:WORD_1 dst_unused:UNUSED_PAD src0_sel:DWORD src1_sel:DWORD
	v_or_b32_sdwa v28, v27, v28 dst_sel:DWORD dst_unused:UNUSED_PAD src0_sel:WORD_0 src1_sel:DWORD
	v_or_b32_e32 v27, v32, v33
	v_or_b32_sdwa v29, v34, v35 dst_sel:WORD_1 dst_unused:UNUSED_PAD src0_sel:DWORD src1_sel:DWORD
	v_and_b32_e32 v26, 1, v15
	v_and_b32_e32 v24, 1, v14
	v_or_b32_sdwa v27, v27, v29 dst_sel:DWORD dst_unused:UNUSED_PAD src0_sel:WORD_0 src1_sel:DWORD
	s_cbranch_execz .LBB2725_31
	s_branch .LBB2725_32
.LBB2725_30:
                                        ; implicit-def: $vgpr24
                                        ; implicit-def: $vgpr26
                                        ; implicit-def: $vgpr27
                                        ; implicit-def: $vgpr28
.LBB2725_31:
	v_or_b32_e32 v34, 1, v25
	v_cmp_gt_u32_e32 vcc, s33, v25
	v_add_u32_e32 v24, 2, v25
	v_cndmask_b32_e64 v35, 0, 1, vcc
	v_cmp_gt_u32_e32 vcc, s33, v34
	v_add_u32_e32 v33, 3, v25
	v_cndmask_b32_e64 v34, 0, 1, vcc
	;; [unrolled: 3-line block ×3, first 2 shown]
	v_cmp_gt_u32_e32 vcc, s33, v33
	v_add_u32_e32 v32, 5, v25
	v_and_b32_e32 v21, v24, v21
	v_cndmask_b32_e64 v24, 0, 1, vcc
	v_cmp_gt_u32_e32 vcc, s33, v26
	v_add_u32_e32 v27, 6, v25
	v_and_b32_sdwa v20, v24, v20 dst_sel:BYTE_1 dst_unused:UNUSED_PAD src0_sel:DWORD src1_sel:DWORD
	v_cndmask_b32_e64 v24, 0, 1, vcc
	v_cmp_gt_u32_e32 vcc, s33, v32
	v_add_u32_e32 v30, 7, v25
	v_and_b32_e32 v19, v24, v19
	v_cndmask_b32_e64 v24, 0, 1, vcc
	v_cmp_gt_u32_e32 vcc, s33, v27
	v_add_u32_e32 v28, 8, v25
	v_and_b32_sdwa v18, v24, v18 dst_sel:BYTE_1 dst_unused:UNUSED_PAD src0_sel:DWORD src1_sel:DWORD
	v_cndmask_b32_e64 v24, 0, 1, vcc
	v_cmp_gt_u32_e32 vcc, s33, v30
	v_add_u32_e32 v29, 9, v25
	v_and_b32_e32 v17, v24, v17
	v_cndmask_b32_e64 v24, 0, 1, vcc
	v_cmp_gt_u32_e32 vcc, s33, v28
	v_and_b32_sdwa v16, v24, v16 dst_sel:BYTE_1 dst_unused:UNUSED_PAD src0_sel:DWORD src1_sel:DWORD
	v_cndmask_b32_e64 v24, 0, 1, vcc
	v_cmp_gt_u32_e32 vcc, s33, v29
	v_and_b32_e32 v23, v35, v23
	v_and_b32_sdwa v22, v34, v22 dst_sel:BYTE_1 dst_unused:UNUSED_PAD src0_sel:DWORD src1_sel:DWORD
	v_and_b32_e32 v26, v24, v15
	v_cndmask_b32_e64 v15, 0, 1, vcc
	v_and_b32_e32 v24, v15, v14
	v_or_b32_e32 v14, v23, v22
	v_or_b32_sdwa v15, v21, v20 dst_sel:WORD_1 dst_unused:UNUSED_PAD src0_sel:DWORD src1_sel:DWORD
	v_or_b32_sdwa v28, v14, v15 dst_sel:DWORD dst_unused:UNUSED_PAD src0_sel:WORD_0 src1_sel:DWORD
	v_or_b32_e32 v14, v19, v18
	v_or_b32_sdwa v15, v17, v16 dst_sel:WORD_1 dst_unused:UNUSED_PAD src0_sel:DWORD src1_sel:DWORD
	v_or_b32_sdwa v27, v14, v15 dst_sel:DWORD dst_unused:UNUSED_PAD src0_sel:WORD_0 src1_sel:DWORD
.LBB2725_32:
	v_bfe_u32 v32, v28, 16, 8
	v_lshrrev_b32_e32 v30, 24, v28
	v_add_u32_sdwa v15, v28, v28 dst_sel:DWORD dst_unused:UNUSED_PAD src0_sel:BYTE_1 src1_sel:BYTE_0
	v_and_b32_e32 v33, 0xff, v27
	v_bfe_u32 v34, v27, 8, 8
	v_add3_u32 v15, v15, v32, v30
	v_bfe_u32 v35, v27, 16, 8
	v_lshrrev_b32_e32 v29, 24, v27
	v_add3_u32 v15, v15, v33, v34
	v_and_b32_e32 v36, 0xff, v26
	v_and_b32_e32 v14, 0xff, v24
	v_add3_u32 v15, v15, v35, v29
	v_add3_u32 v39, v15, v36, v14
	v_mbcnt_lo_u32_b32 v14, -1, 0
	v_mbcnt_hi_u32_b32 v37, -1, v14
	v_and_b32_e32 v14, 15, v37
	v_cmp_eq_u32_e64 s[16:17], 0, v14
	v_cmp_lt_u32_e64 s[14:15], 1, v14
	v_cmp_lt_u32_e64 s[12:13], 3, v14
	;; [unrolled: 1-line block ×3, first 2 shown]
	v_and_b32_e32 v14, 16, v37
	v_cmp_eq_u32_e64 s[8:9], 0, v14
	v_or_b32_e32 v14, 63, v0
	s_cmp_lg_u32 s36, 0
	v_cmp_lt_u32_e64 s[4:5], 31, v37
	v_lshrrev_b32_e32 v38, 6, v0
	v_cmp_eq_u32_e64 s[6:7], v14, v0
	s_cbranch_scc0 .LBB2725_63
; %bb.33:
	v_mov_b32_dpp v14, v39 row_shr:1 row_mask:0xf bank_mask:0xf
	v_cndmask_b32_e64 v14, v14, 0, s[16:17]
	v_add_u32_e32 v14, v14, v39
	s_nop 1
	v_mov_b32_dpp v15, v14 row_shr:2 row_mask:0xf bank_mask:0xf
	v_cndmask_b32_e64 v15, 0, v15, s[14:15]
	v_add_u32_e32 v14, v14, v15
	s_nop 1
	;; [unrolled: 4-line block ×4, first 2 shown]
	v_mov_b32_dpp v15, v14 row_bcast:15 row_mask:0xf bank_mask:0xf
	v_cndmask_b32_e64 v15, v15, 0, s[8:9]
	v_add_u32_e32 v14, v14, v15
	s_nop 1
	v_mov_b32_dpp v15, v14 row_bcast:31 row_mask:0xf bank_mask:0xf
	v_cndmask_b32_e64 v15, 0, v15, s[4:5]
	v_add_u32_e32 v14, v14, v15
	s_and_saveexec_b64 s[18:19], s[6:7]
	s_cbranch_execz .LBB2725_35
; %bb.34:
	v_lshlrev_b32_e32 v15, 2, v38
	ds_write_b32 v15, v14
.LBB2725_35:
	s_or_b64 exec, exec, s[18:19]
	v_cmp_gt_u32_e32 vcc, 4, v0
	s_waitcnt lgkmcnt(0)
	s_barrier
	s_and_saveexec_b64 s[18:19], vcc
	s_cbranch_execz .LBB2725_37
; %bb.36:
	ds_read_b32 v15, v1
	v_and_b32_e32 v16, 3, v37
	v_cmp_ne_u32_e32 vcc, 0, v16
	s_waitcnt lgkmcnt(0)
	v_mov_b32_dpp v17, v15 row_shr:1 row_mask:0xf bank_mask:0xf
	v_cndmask_b32_e32 v17, 0, v17, vcc
	v_add_u32_e32 v15, v17, v15
	v_cmp_lt_u32_e32 vcc, 1, v16
	s_nop 0
	v_mov_b32_dpp v17, v15 row_shr:2 row_mask:0xf bank_mask:0xf
	v_cndmask_b32_e32 v16, 0, v17, vcc
	v_add_u32_e32 v15, v15, v16
	ds_write_b32 v1, v15
.LBB2725_37:
	s_or_b64 exec, exec, s[18:19]
	v_cmp_gt_u32_e32 vcc, 64, v0
	v_cmp_lt_u32_e64 s[18:19], 63, v0
	s_waitcnt lgkmcnt(0)
	s_barrier
	s_waitcnt lgkmcnt(0)
                                        ; implicit-def: $vgpr40
	s_and_saveexec_b64 s[28:29], s[18:19]
	s_cbranch_execz .LBB2725_39
; %bb.38:
	v_lshl_add_u32 v15, v38, 2, -4
	ds_read_b32 v40, v15
	s_waitcnt lgkmcnt(0)
	v_add_u32_e32 v14, v40, v14
.LBB2725_39:
	s_or_b64 exec, exec, s[28:29]
	v_add_u32_e32 v15, -1, v37
	v_and_b32_e32 v16, 64, v37
	v_cmp_lt_i32_e64 s[18:19], v15, v16
	v_cndmask_b32_e64 v15, v15, v37, s[18:19]
	v_lshlrev_b32_e32 v15, 2, v15
	ds_bpermute_b32 v41, v15, v14
	v_cmp_eq_u32_e64 s[18:19], 0, v37
	s_and_saveexec_b64 s[28:29], vcc
	s_cbranch_execz .LBB2725_62
; %bb.40:
	v_mov_b32_e32 v23, 0
	ds_read_b32 v14, v23 offset:12
	s_and_saveexec_b64 s[30:31], s[18:19]
	s_cbranch_execz .LBB2725_42
; %bb.41:
	s_add_i32 s34, s36, 64
	s_mov_b32 s35, 0
	s_lshl_b64 s[34:35], s[34:35], 3
	s_add_u32 s34, s26, s34
	v_mov_b32_e32 v15, 1
	s_addc_u32 s35, s27, s35
	s_waitcnt lgkmcnt(0)
	global_store_dwordx2 v23, v[14:15], s[34:35]
.LBB2725_42:
	s_or_b64 exec, exec, s[30:31]
	v_xad_u32 v16, v37, -1, s36
	v_add_u32_e32 v22, 64, v16
	v_lshlrev_b64 v[18:19], 3, v[22:23]
	v_mov_b32_e32 v15, s27
	v_add_co_u32_e32 v18, vcc, s26, v18
	v_addc_co_u32_e32 v19, vcc, v15, v19, vcc
	global_load_dwordx2 v[20:21], v[18:19], off glc
	s_waitcnt vmcnt(0)
	v_cmp_eq_u16_sdwa s[34:35], v21, v23 src0_sel:BYTE_0 src1_sel:DWORD
	s_and_saveexec_b64 s[30:31], s[34:35]
	s_cbranch_execz .LBB2725_48
; %bb.43:
	s_mov_b32 s37, 1
	s_mov_b64 s[34:35], 0
	v_mov_b32_e32 v15, 0
.LBB2725_44:                            ; =>This Loop Header: Depth=1
                                        ;     Child Loop BB2725_45 Depth 2
	s_max_u32 s38, s37, 1
.LBB2725_45:                            ;   Parent Loop BB2725_44 Depth=1
                                        ; =>  This Inner Loop Header: Depth=2
	s_add_i32 s38, s38, -1
	s_cmp_eq_u32 s38, 0
	s_sleep 1
	s_cbranch_scc0 .LBB2725_45
; %bb.46:                               ;   in Loop: Header=BB2725_44 Depth=1
	global_load_dwordx2 v[20:21], v[18:19], off glc
	s_cmp_lt_u32 s37, 32
	s_cselect_b64 s[38:39], -1, 0
	s_cmp_lg_u64 s[38:39], 0
	s_addc_u32 s37, s37, 0
	s_waitcnt vmcnt(0)
	v_cmp_ne_u16_sdwa s[38:39], v21, v15 src0_sel:BYTE_0 src1_sel:DWORD
	s_or_b64 s[34:35], s[38:39], s[34:35]
	s_andn2_b64 exec, exec, s[34:35]
	s_cbranch_execnz .LBB2725_44
; %bb.47:
	s_or_b64 exec, exec, s[34:35]
.LBB2725_48:
	s_or_b64 exec, exec, s[30:31]
	v_and_b32_e32 v43, 63, v37
	v_mov_b32_e32 v42, 2
	v_cmp_ne_u32_e32 vcc, 63, v43
	v_cmp_eq_u16_sdwa s[30:31], v21, v42 src0_sel:BYTE_0 src1_sel:DWORD
	v_lshlrev_b64 v[18:19], v37, -1
	v_addc_co_u32_e32 v22, vcc, 0, v37, vcc
	v_and_b32_e32 v15, s31, v19
	v_lshlrev_b32_e32 v44, 2, v22
	v_or_b32_e32 v15, 0x80000000, v15
	ds_bpermute_b32 v22, v44, v20
	v_and_b32_e32 v17, s30, v18
	v_ffbl_b32_e32 v15, v15
	v_add_u32_e32 v15, 32, v15
	v_ffbl_b32_e32 v17, v17
	v_min_u32_e32 v15, v17, v15
	v_cmp_lt_u32_e32 vcc, v43, v15
	s_waitcnt lgkmcnt(0)
	v_cndmask_b32_e32 v17, 0, v22, vcc
	v_cmp_gt_u32_e32 vcc, 62, v43
	v_add_u32_e32 v17, v17, v20
	v_cndmask_b32_e64 v20, 0, 1, vcc
	v_lshlrev_b32_e32 v20, 1, v20
	v_add_lshl_u32 v45, v20, v37, 2
	ds_bpermute_b32 v20, v45, v17
	v_add_u32_e32 v46, 2, v43
	v_cmp_le_u32_e32 vcc, v46, v15
	v_add_u32_e32 v48, 4, v43
	v_add_u32_e32 v50, 8, v43
	s_waitcnt lgkmcnt(0)
	v_cndmask_b32_e32 v20, 0, v20, vcc
	v_cmp_gt_u32_e32 vcc, 60, v43
	v_add_u32_e32 v17, v17, v20
	v_cndmask_b32_e64 v20, 0, 1, vcc
	v_lshlrev_b32_e32 v20, 2, v20
	v_add_lshl_u32 v47, v20, v37, 2
	ds_bpermute_b32 v20, v47, v17
	v_cmp_le_u32_e32 vcc, v48, v15
	v_add_u32_e32 v52, 16, v43
	v_add_u32_e32 v54, 32, v43
	s_waitcnt lgkmcnt(0)
	v_cndmask_b32_e32 v20, 0, v20, vcc
	v_cmp_gt_u32_e32 vcc, 56, v43
	v_add_u32_e32 v17, v17, v20
	v_cndmask_b32_e64 v20, 0, 1, vcc
	v_lshlrev_b32_e32 v20, 3, v20
	v_add_lshl_u32 v49, v20, v37, 2
	ds_bpermute_b32 v20, v49, v17
	v_cmp_le_u32_e32 vcc, v50, v15
	s_waitcnt lgkmcnt(0)
	v_cndmask_b32_e32 v20, 0, v20, vcc
	v_cmp_gt_u32_e32 vcc, 48, v43
	v_add_u32_e32 v17, v17, v20
	v_cndmask_b32_e64 v20, 0, 1, vcc
	v_lshlrev_b32_e32 v20, 4, v20
	v_add_lshl_u32 v51, v20, v37, 2
	ds_bpermute_b32 v20, v51, v17
	v_cmp_le_u32_e32 vcc, v52, v15
	;; [unrolled: 9-line block ×3, first 2 shown]
	s_waitcnt lgkmcnt(0)
	v_cndmask_b32_e32 v15, 0, v20, vcc
	v_add_u32_e32 v20, v17, v15
	v_mov_b32_e32 v17, 0
	s_branch .LBB2725_50
.LBB2725_49:                            ;   in Loop: Header=BB2725_50 Depth=1
	s_or_b64 exec, exec, s[30:31]
	v_cmp_eq_u16_sdwa s[30:31], v21, v42 src0_sel:BYTE_0 src1_sel:DWORD
	v_and_b32_e32 v22, s31, v19
	v_or_b32_e32 v22, 0x80000000, v22
	ds_bpermute_b32 v55, v44, v20
	v_and_b32_e32 v23, s30, v18
	v_ffbl_b32_e32 v22, v22
	v_add_u32_e32 v22, 32, v22
	v_ffbl_b32_e32 v23, v23
	v_min_u32_e32 v22, v23, v22
	v_cmp_lt_u32_e32 vcc, v43, v22
	s_waitcnt lgkmcnt(0)
	v_cndmask_b32_e32 v23, 0, v55, vcc
	v_add_u32_e32 v20, v23, v20
	ds_bpermute_b32 v23, v45, v20
	v_cmp_le_u32_e32 vcc, v46, v22
	v_subrev_u32_e32 v16, 64, v16
	s_waitcnt lgkmcnt(0)
	v_cndmask_b32_e32 v23, 0, v23, vcc
	v_add_u32_e32 v20, v20, v23
	ds_bpermute_b32 v23, v47, v20
	v_cmp_le_u32_e32 vcc, v48, v22
	s_waitcnt lgkmcnt(0)
	v_cndmask_b32_e32 v23, 0, v23, vcc
	v_add_u32_e32 v20, v20, v23
	ds_bpermute_b32 v23, v49, v20
	v_cmp_le_u32_e32 vcc, v50, v22
	;; [unrolled: 5-line block ×4, first 2 shown]
	s_waitcnt lgkmcnt(0)
	v_cndmask_b32_e32 v22, 0, v23, vcc
	v_add3_u32 v20, v22, v15, v20
.LBB2725_50:                            ; =>This Loop Header: Depth=1
                                        ;     Child Loop BB2725_53 Depth 2
                                        ;       Child Loop BB2725_54 Depth 3
	v_cmp_ne_u16_sdwa s[30:31], v21, v42 src0_sel:BYTE_0 src1_sel:DWORD
	v_cndmask_b32_e64 v15, 0, 1, s[30:31]
	;;#ASMSTART
	;;#ASMEND
	v_cmp_ne_u32_e32 vcc, 0, v15
	s_cmp_lg_u64 vcc, exec
	v_mov_b32_e32 v15, v20
	s_cbranch_scc1 .LBB2725_57
; %bb.51:                               ;   in Loop: Header=BB2725_50 Depth=1
	v_lshlrev_b64 v[20:21], 3, v[16:17]
	v_mov_b32_e32 v23, s27
	v_add_co_u32_e32 v22, vcc, s26, v20
	v_addc_co_u32_e32 v23, vcc, v23, v21, vcc
	global_load_dwordx2 v[20:21], v[22:23], off glc
	s_waitcnt vmcnt(0)
	v_cmp_eq_u16_sdwa s[34:35], v21, v17 src0_sel:BYTE_0 src1_sel:DWORD
	s_and_saveexec_b64 s[30:31], s[34:35]
	s_cbranch_execz .LBB2725_49
; %bb.52:                               ;   in Loop: Header=BB2725_50 Depth=1
	s_mov_b32 s37, 1
	s_mov_b64 s[34:35], 0
.LBB2725_53:                            ;   Parent Loop BB2725_50 Depth=1
                                        ; =>  This Loop Header: Depth=2
                                        ;       Child Loop BB2725_54 Depth 3
	s_max_u32 s38, s37, 1
.LBB2725_54:                            ;   Parent Loop BB2725_50 Depth=1
                                        ;     Parent Loop BB2725_53 Depth=2
                                        ; =>    This Inner Loop Header: Depth=3
	s_add_i32 s38, s38, -1
	s_cmp_eq_u32 s38, 0
	s_sleep 1
	s_cbranch_scc0 .LBB2725_54
; %bb.55:                               ;   in Loop: Header=BB2725_53 Depth=2
	global_load_dwordx2 v[20:21], v[22:23], off glc
	s_cmp_lt_u32 s37, 32
	s_cselect_b64 s[38:39], -1, 0
	s_cmp_lg_u64 s[38:39], 0
	s_addc_u32 s37, s37, 0
	s_waitcnt vmcnt(0)
	v_cmp_ne_u16_sdwa s[38:39], v21, v17 src0_sel:BYTE_0 src1_sel:DWORD
	s_or_b64 s[34:35], s[38:39], s[34:35]
	s_andn2_b64 exec, exec, s[34:35]
	s_cbranch_execnz .LBB2725_53
; %bb.56:                               ;   in Loop: Header=BB2725_50 Depth=1
	s_or_b64 exec, exec, s[34:35]
	s_branch .LBB2725_49
.LBB2725_57:                            ;   in Loop: Header=BB2725_50 Depth=1
                                        ; implicit-def: $vgpr20
                                        ; implicit-def: $vgpr21
	s_cbranch_execz .LBB2725_50
; %bb.58:
	s_and_saveexec_b64 s[30:31], s[18:19]
	s_cbranch_execz .LBB2725_60
; %bb.59:
	s_add_i32 s34, s36, 64
	s_mov_b32 s35, 0
	s_lshl_b64 s[34:35], s[34:35], 3
	s_add_u32 s34, s26, s34
	v_add_u32_e32 v16, v15, v14
	v_mov_b32_e32 v17, 2
	s_addc_u32 s35, s27, s35
	v_mov_b32_e32 v18, 0
	global_store_dwordx2 v18, v[16:17], s[34:35]
	ds_write_b64 v18, v[14:15] offset:10240
.LBB2725_60:
	s_or_b64 exec, exec, s[30:31]
	s_and_b64 exec, exec, s[0:1]
	s_cbranch_execz .LBB2725_62
; %bb.61:
	v_mov_b32_e32 v14, 0
	ds_write_b32 v14, v15 offset:12
.LBB2725_62:
	s_or_b64 exec, exec, s[28:29]
	v_mov_b32_e32 v14, 0
	s_waitcnt lgkmcnt(0)
	s_barrier
	ds_read_b32 v15, v14 offset:12
	v_cndmask_b32_e64 v16, v41, v40, s[18:19]
	v_cndmask_b32_e64 v16, v16, 0, s[0:1]
	s_waitcnt lgkmcnt(0)
	s_barrier
	v_add_u32_e32 v42, v15, v16
	v_add_u32_sdwa v41, v42, v28 dst_sel:DWORD dst_unused:UNUSED_PAD src0_sel:DWORD src1_sel:BYTE_0
	v_add_u32_sdwa v40, v41, v28 dst_sel:DWORD dst_unused:UNUSED_PAD src0_sel:DWORD src1_sel:BYTE_1
	v_add_u32_e32 v23, v40, v32
	v_add_u32_e32 v22, v23, v30
	ds_read_b64 v[14:15], v14 offset:10240
	v_add_u32_e32 v21, v22, v33
	v_add_u32_e32 v20, v21, v34
	;; [unrolled: 1-line block ×5, first 2 shown]
	s_waitcnt lgkmcnt(0)
	v_mov_b32_e32 v16, v15
	s_branch .LBB2725_73
.LBB2725_63:
                                        ; implicit-def: $vgpr16
                                        ; implicit-def: $vgpr14
                                        ; implicit-def: $vgpr17
                                        ; implicit-def: $vgpr18
                                        ; implicit-def: $vgpr19
                                        ; implicit-def: $vgpr20
                                        ; implicit-def: $vgpr21
                                        ; implicit-def: $vgpr22
                                        ; implicit-def: $vgpr23
                                        ; implicit-def: $vgpr40
                                        ; implicit-def: $vgpr41
                                        ; implicit-def: $vgpr42
	s_cbranch_execz .LBB2725_73
; %bb.64:
	s_nop 0
	v_mov_b32_dpp v14, v39 row_shr:1 row_mask:0xf bank_mask:0xf
	v_cndmask_b32_e64 v14, v14, 0, s[16:17]
	v_add_u32_e32 v14, v14, v39
	s_nop 1
	v_mov_b32_dpp v15, v14 row_shr:2 row_mask:0xf bank_mask:0xf
	v_cndmask_b32_e64 v15, 0, v15, s[14:15]
	v_add_u32_e32 v14, v14, v15
	;; [unrolled: 4-line block ×4, first 2 shown]
	s_nop 1
	v_mov_b32_dpp v15, v14 row_bcast:15 row_mask:0xf bank_mask:0xf
	v_cndmask_b32_e64 v15, v15, 0, s[8:9]
	v_add_u32_e32 v14, v14, v15
	s_nop 1
	v_mov_b32_dpp v15, v14 row_bcast:31 row_mask:0xf bank_mask:0xf
	v_cndmask_b32_e64 v15, 0, v15, s[4:5]
	v_add_u32_e32 v14, v14, v15
	s_and_saveexec_b64 s[4:5], s[6:7]
	s_cbranch_execz .LBB2725_66
; %bb.65:
	v_lshlrev_b32_e32 v15, 2, v38
	ds_write_b32 v15, v14
.LBB2725_66:
	s_or_b64 exec, exec, s[4:5]
	v_cmp_gt_u32_e32 vcc, 4, v0
	s_waitcnt lgkmcnt(0)
	s_barrier
	s_and_saveexec_b64 s[4:5], vcc
	s_cbranch_execz .LBB2725_68
; %bb.67:
	s_movk_i32 s6, 0xffdc
	v_mad_i32_i24 v15, v0, s6, v31
	ds_read_b32 v16, v15
	v_and_b32_e32 v17, 3, v37
	v_cmp_ne_u32_e32 vcc, 0, v17
	s_waitcnt lgkmcnt(0)
	v_mov_b32_dpp v18, v16 row_shr:1 row_mask:0xf bank_mask:0xf
	v_cndmask_b32_e32 v18, 0, v18, vcc
	v_add_u32_e32 v16, v18, v16
	v_cmp_lt_u32_e32 vcc, 1, v17
	s_nop 0
	v_mov_b32_dpp v18, v16 row_shr:2 row_mask:0xf bank_mask:0xf
	v_cndmask_b32_e32 v17, 0, v18, vcc
	v_add_u32_e32 v16, v16, v17
	ds_write_b32 v15, v16
.LBB2725_68:
	s_or_b64 exec, exec, s[4:5]
	v_cmp_lt_u32_e32 vcc, 63, v0
	v_mov_b32_e32 v15, 0
	v_mov_b32_e32 v16, 0
	s_waitcnt lgkmcnt(0)
	s_barrier
	s_and_saveexec_b64 s[4:5], vcc
	s_cbranch_execz .LBB2725_70
; %bb.69:
	v_lshl_add_u32 v16, v38, 2, -4
	ds_read_b32 v16, v16
.LBB2725_70:
	s_or_b64 exec, exec, s[4:5]
	v_add_u32_e32 v17, -1, v37
	v_and_b32_e32 v18, 64, v37
	v_cmp_lt_i32_e32 vcc, v17, v18
	v_cndmask_b32_e32 v17, v17, v37, vcc
	s_waitcnt lgkmcnt(0)
	v_add_u32_e32 v14, v16, v14
	v_lshlrev_b32_e32 v17, 2, v17
	ds_bpermute_b32 v17, v17, v14
	ds_read_b32 v14, v15 offset:12
	s_and_saveexec_b64 s[4:5], s[0:1]
	s_cbranch_execz .LBB2725_72
; %bb.71:
	v_mov_b32_e32 v18, 0
	v_mov_b32_e32 v15, 2
	s_waitcnt lgkmcnt(0)
	global_store_dwordx2 v18, v[14:15], s[26:27] offset:512
.LBB2725_72:
	s_or_b64 exec, exec, s[4:5]
	v_cmp_eq_u32_e32 vcc, 0, v37
	s_waitcnt lgkmcnt(1)
	v_cndmask_b32_e32 v15, v17, v16, vcc
	v_cndmask_b32_e64 v42, v15, 0, s[0:1]
	v_add_u32_sdwa v41, v42, v28 dst_sel:DWORD dst_unused:UNUSED_PAD src0_sel:DWORD src1_sel:BYTE_0
	v_add_u32_sdwa v40, v41, v28 dst_sel:DWORD dst_unused:UNUSED_PAD src0_sel:DWORD src1_sel:BYTE_1
	v_add_u32_e32 v23, v40, v32
	v_add_u32_e32 v22, v23, v30
	;; [unrolled: 1-line block ×6, first 2 shown]
	v_mov_b32_e32 v16, 0
	v_add_u32_e32 v17, v18, v36
	s_waitcnt lgkmcnt(0)
	s_barrier
.LBB2725_73:
	v_add_u32_e32 v25, v14, v25
	v_sub_u32_e32 v32, v42, v16
	v_and_b32_e32 v34, 1, v28
	v_sub_u32_e32 v33, v25, v32
	v_cmp_eq_u32_e32 vcc, 1, v34
	v_cndmask_b32_e32 v32, v33, v32, vcc
	v_lshlrev_b32_e32 v32, 2, v32
	v_lshrrev_b32_e32 v31, 8, v28
	ds_write_b32 v32, v6
	v_sub_u32_e32 v6, v41, v16
	v_sub_u32_e32 v32, v25, v6
	v_and_b32_e32 v31, 1, v31
	v_add_u32_e32 v32, 1, v32
	v_cmp_eq_u32_e32 vcc, 1, v31
	v_cndmask_b32_e32 v6, v32, v6, vcc
	v_lshlrev_b32_e32 v6, 2, v6
	ds_write_b32 v6, v7
	v_sub_u32_e32 v6, v40, v16
	v_mov_b32_e32 v31, 1
	v_sub_u32_e32 v7, v25, v6
	v_and_b32_sdwa v28, v31, v28 dst_sel:DWORD dst_unused:UNUSED_PAD src0_sel:DWORD src1_sel:WORD_1
	v_add_u32_e32 v7, 2, v7
	v_cmp_eq_u32_e32 vcc, 1, v28
	v_cndmask_b32_e32 v6, v7, v6, vcc
	v_lshlrev_b32_e32 v6, 2, v6
	ds_write_b32 v6, v8
	v_sub_u32_e32 v6, v23, v16
	v_sub_u32_e32 v7, v25, v6
	v_and_b32_e32 v8, 1, v30
	v_add_u32_e32 v7, 3, v7
	v_cmp_eq_u32_e32 vcc, 1, v8
	v_cndmask_b32_e32 v6, v7, v6, vcc
	v_lshlrev_b32_e32 v6, 2, v6
	ds_write_b32 v6, v9
	v_sub_u32_e32 v6, v22, v16
	v_sub_u32_e32 v7, v25, v6
	v_and_b32_e32 v8, 1, v27
	v_add_u32_e32 v7, 4, v7
	v_cmp_eq_u32_e32 vcc, 1, v8
	v_cndmask_b32_e32 v6, v7, v6, vcc
	v_lshlrev_b32_e32 v6, 2, v6
	v_lshrrev_b32_e32 v15, 8, v27
	ds_write_b32 v6, v2
	v_sub_u32_e32 v2, v21, v16
	v_sub_u32_e32 v6, v25, v2
	v_and_b32_e32 v7, 1, v15
	v_add_u32_e32 v6, 5, v6
	v_cmp_eq_u32_e32 vcc, 1, v7
	v_cndmask_b32_e32 v2, v6, v2, vcc
	v_lshlrev_b32_e32 v2, 2, v2
	ds_write_b32 v2, v3
	v_sub_u32_e32 v2, v20, v16
	v_sub_u32_e32 v3, v25, v2
	v_and_b32_sdwa v6, v31, v27 dst_sel:DWORD dst_unused:UNUSED_PAD src0_sel:DWORD src1_sel:WORD_1
	v_add_u32_e32 v3, 6, v3
	v_cmp_eq_u32_e32 vcc, 1, v6
	v_cndmask_b32_e32 v2, v3, v2, vcc
	v_lshlrev_b32_e32 v2, 2, v2
	ds_write_b32 v2, v4
	v_sub_u32_e32 v2, v19, v16
	v_sub_u32_e32 v3, v25, v2
	v_and_b32_e32 v4, 1, v29
	v_add_u32_e32 v3, 7, v3
	v_cmp_eq_u32_e32 vcc, 1, v4
	v_cndmask_b32_e32 v2, v3, v2, vcc
	v_lshlrev_b32_e32 v2, 2, v2
	ds_write_b32 v2, v5
	v_sub_u32_e32 v2, v18, v16
	v_sub_u32_e32 v3, v25, v2
	v_and_b32_e32 v4, 1, v26
	v_add_u32_e32 v3, 8, v3
	v_cmp_eq_u32_e32 vcc, 1, v4
	v_cndmask_b32_e32 v2, v3, v2, vcc
	v_lshlrev_b32_e32 v2, 2, v2
	ds_write_b32 v2, v10
	v_sub_u32_e32 v2, v17, v16
	v_sub_u32_e32 v3, v25, v2
	v_and_b32_e32 v4, 1, v24
	v_add_u32_e32 v3, 9, v3
	v_cmp_eq_u32_e32 vcc, 1, v4
	v_cndmask_b32_e32 v2, v3, v2, vcc
	v_lshlrev_b32_e32 v2, 2, v2
	ds_write_b32 v2, v11
	s_waitcnt lgkmcnt(0)
	s_barrier
	ds_read2st64_b32 v[18:19], v1 offset1:4
	ds_read2st64_b32 v[10:11], v1 offset0:8 offset1:12
	ds_read2st64_b32 v[8:9], v1 offset0:16 offset1:20
	;; [unrolled: 1-line block ×4, first 2 shown]
	v_or_b32_e32 v29, 0x100, v0
	v_or_b32_e32 v28, 0x200, v0
	;; [unrolled: 1-line block ×9, first 2 shown]
	s_and_b64 vcc, exec, s[2:3]
	s_waitcnt vmcnt(0)
	v_lshlrev_b64 v[20:21], 2, v[12:13]
	s_cbranch_vccnz .LBB2725_85
; %bb.74:
	v_mov_b32_e32 v17, 0
	v_mov_b32_e32 v4, s25
	v_add_co_u32_e32 v30, vcc, s24, v20
	v_addc_co_u32_e32 v31, vcc, v4, v21, vcc
	v_lshlrev_b64 v[4:5], 2, v[16:17]
	v_add_co_u32_e32 v4, vcc, v30, v4
	v_addc_co_u32_e32 v5, vcc, v31, v5, vcc
	v_cmp_gt_u32_e32 vcc, v14, v0
	s_and_saveexec_b64 s[2:3], vcc
	s_cbranch_execnz .LBB2725_102
; %bb.75:
	s_or_b64 exec, exec, s[2:3]
	v_cmp_lt_u32_e32 vcc, v29, v14
	s_and_saveexec_b64 s[2:3], vcc
	s_cbranch_execnz .LBB2725_103
.LBB2725_76:
	s_or_b64 exec, exec, s[2:3]
	v_cmp_lt_u32_e32 vcc, v28, v14
	s_and_saveexec_b64 s[2:3], vcc
	s_cbranch_execnz .LBB2725_104
.LBB2725_77:
	s_or_b64 exec, exec, s[2:3]
	v_cmp_lt_u32_e32 vcc, v27, v14
	s_and_saveexec_b64 s[2:3], vcc
	s_cbranch_execnz .LBB2725_105
.LBB2725_78:
	s_or_b64 exec, exec, s[2:3]
	v_cmp_lt_u32_e32 vcc, v26, v14
	s_and_saveexec_b64 s[2:3], vcc
	s_cbranch_execnz .LBB2725_106
.LBB2725_79:
	s_or_b64 exec, exec, s[2:3]
	v_cmp_lt_u32_e32 vcc, v25, v14
	s_and_saveexec_b64 s[2:3], vcc
	s_cbranch_execnz .LBB2725_107
.LBB2725_80:
	s_or_b64 exec, exec, s[2:3]
	v_cmp_lt_u32_e32 vcc, v24, v14
	s_and_saveexec_b64 s[2:3], vcc
	s_cbranch_execnz .LBB2725_108
.LBB2725_81:
	s_or_b64 exec, exec, s[2:3]
	v_cmp_lt_u32_e32 vcc, v23, v14
	s_and_saveexec_b64 s[2:3], vcc
	s_cbranch_execnz .LBB2725_109
.LBB2725_82:
	s_or_b64 exec, exec, s[2:3]
	v_cmp_lt_u32_e32 vcc, v22, v14
	s_and_saveexec_b64 s[2:3], vcc
	s_cbranch_execz .LBB2725_84
.LBB2725_83:
	v_lshlrev_b32_e32 v17, 2, v22
	v_readfirstlane_b32 s4, v4
	v_readfirstlane_b32 s5, v5
	s_waitcnt lgkmcnt(0)
	s_nop 3
	global_store_dword v17, v2, s[4:5]
.LBB2725_84:
	s_or_b64 exec, exec, s[2:3]
	v_cmp_lt_u32_e64 s[2:3], v15, v14
	s_branch .LBB2725_97
.LBB2725_85:
	s_mov_b64 s[2:3], 0
                                        ; implicit-def: $vgpr4_vgpr5
	s_cbranch_execz .LBB2725_97
; %bb.86:
	v_mov_b32_e32 v17, 0
	v_mov_b32_e32 v4, s25
	v_add_co_u32_e32 v20, vcc, s24, v20
	v_addc_co_u32_e32 v21, vcc, v4, v21, vcc
	v_lshlrev_b64 v[4:5], 2, v[16:17]
	v_add_co_u32_e32 v4, vcc, v20, v4
	v_min_u32_e32 v30, s33, v14
	v_addc_co_u32_e32 v5, vcc, v21, v5, vcc
	v_cmp_gt_u32_e32 vcc, v30, v0
	s_and_saveexec_b64 s[2:3], vcc
	s_cbranch_execnz .LBB2725_110
; %bb.87:
	s_or_b64 exec, exec, s[2:3]
	v_cmp_lt_u32_e32 vcc, v29, v30
	s_and_saveexec_b64 s[2:3], vcc
	s_cbranch_execnz .LBB2725_111
.LBB2725_88:
	s_or_b64 exec, exec, s[2:3]
	v_cmp_lt_u32_e32 vcc, v28, v30
	s_and_saveexec_b64 s[2:3], vcc
	s_cbranch_execnz .LBB2725_112
.LBB2725_89:
	s_or_b64 exec, exec, s[2:3]
	v_cmp_lt_u32_e32 vcc, v27, v30
	s_and_saveexec_b64 s[2:3], vcc
	s_cbranch_execnz .LBB2725_113
.LBB2725_90:
	s_or_b64 exec, exec, s[2:3]
	v_cmp_lt_u32_e32 vcc, v26, v30
	s_and_saveexec_b64 s[2:3], vcc
	s_cbranch_execnz .LBB2725_114
.LBB2725_91:
	s_or_b64 exec, exec, s[2:3]
	v_cmp_lt_u32_e32 vcc, v25, v30
	s_and_saveexec_b64 s[2:3], vcc
	s_cbranch_execnz .LBB2725_115
.LBB2725_92:
	s_or_b64 exec, exec, s[2:3]
	v_cmp_lt_u32_e32 vcc, v24, v30
	s_and_saveexec_b64 s[2:3], vcc
	s_cbranch_execnz .LBB2725_116
.LBB2725_93:
	s_or_b64 exec, exec, s[2:3]
	v_cmp_lt_u32_e32 vcc, v23, v30
	s_and_saveexec_b64 s[2:3], vcc
	s_cbranch_execnz .LBB2725_117
.LBB2725_94:
	s_or_b64 exec, exec, s[2:3]
	v_cmp_lt_u32_e32 vcc, v22, v30
	s_and_saveexec_b64 s[2:3], vcc
	s_cbranch_execz .LBB2725_96
.LBB2725_95:
	v_lshlrev_b32_e32 v0, 2, v22
	v_readfirstlane_b32 s4, v4
	v_readfirstlane_b32 s5, v5
	s_waitcnt lgkmcnt(0)
	s_nop 3
	global_store_dword v0, v2, s[4:5]
.LBB2725_96:
	s_or_b64 exec, exec, s[2:3]
	v_cmp_lt_u32_e64 s[2:3], v15, v30
.LBB2725_97:
	s_and_saveexec_b64 s[4:5], s[2:3]
	s_cbranch_execnz .LBB2725_100
; %bb.98:
	s_or_b64 exec, exec, s[4:5]
	s_and_b64 s[0:1], s[0:1], s[22:23]
	s_and_saveexec_b64 s[2:3], s[0:1]
	s_cbranch_execnz .LBB2725_101
.LBB2725_99:
	s_endpgm
.LBB2725_100:
	v_lshlrev_b32_e32 v0, 2, v15
	v_readfirstlane_b32 s2, v4
	v_readfirstlane_b32 s3, v5
	s_waitcnt lgkmcnt(0)
	s_nop 3
	global_store_dword v0, v3, s[2:3]
	s_or_b64 exec, exec, s[4:5]
	s_and_b64 s[0:1], s[0:1], s[22:23]
	s_and_saveexec_b64 s[2:3], s[0:1]
	s_cbranch_execz .LBB2725_99
.LBB2725_101:
	v_add_co_u32_e32 v0, vcc, v12, v14
	v_addc_co_u32_e32 v1, vcc, 0, v13, vcc
	v_add_co_u32_e32 v0, vcc, v0, v16
	s_waitcnt lgkmcnt(0)
	v_mov_b32_e32 v2, 0
	v_addc_co_u32_e32 v1, vcc, 0, v1, vcc
	global_store_dwordx2 v2, v[0:1], s[20:21]
	s_endpgm
.LBB2725_102:
	v_readfirstlane_b32 s4, v4
	v_readfirstlane_b32 s5, v5
	s_waitcnt lgkmcnt(4)
	s_nop 3
	global_store_dword v1, v18, s[4:5]
	s_or_b64 exec, exec, s[2:3]
	v_cmp_lt_u32_e32 vcc, v29, v14
	s_and_saveexec_b64 s[2:3], vcc
	s_cbranch_execz .LBB2725_76
.LBB2725_103:
	v_readfirstlane_b32 s4, v4
	v_readfirstlane_b32 s5, v5
	s_waitcnt lgkmcnt(4)
	s_nop 3
	global_store_dword v1, v19, s[4:5] offset:1024
	s_or_b64 exec, exec, s[2:3]
	v_cmp_lt_u32_e32 vcc, v28, v14
	s_and_saveexec_b64 s[2:3], vcc
	s_cbranch_execz .LBB2725_77
.LBB2725_104:
	v_readfirstlane_b32 s4, v4
	v_readfirstlane_b32 s5, v5
	s_waitcnt lgkmcnt(3)
	s_nop 3
	global_store_dword v1, v10, s[4:5] offset:2048
	s_or_b64 exec, exec, s[2:3]
	v_cmp_lt_u32_e32 vcc, v27, v14
	s_and_saveexec_b64 s[2:3], vcc
	s_cbranch_execz .LBB2725_78
.LBB2725_105:
	v_readfirstlane_b32 s4, v4
	v_readfirstlane_b32 s5, v5
	s_waitcnt lgkmcnt(3)
	s_nop 3
	global_store_dword v1, v11, s[4:5] offset:3072
	s_or_b64 exec, exec, s[2:3]
	v_cmp_lt_u32_e32 vcc, v26, v14
	s_and_saveexec_b64 s[2:3], vcc
	s_cbranch_execz .LBB2725_79
.LBB2725_106:
	v_lshlrev_b32_e32 v17, 2, v26
	v_readfirstlane_b32 s4, v4
	v_readfirstlane_b32 s5, v5
	s_waitcnt lgkmcnt(2)
	s_nop 3
	global_store_dword v17, v8, s[4:5]
	s_or_b64 exec, exec, s[2:3]
	v_cmp_lt_u32_e32 vcc, v25, v14
	s_and_saveexec_b64 s[2:3], vcc
	s_cbranch_execz .LBB2725_80
.LBB2725_107:
	v_lshlrev_b32_e32 v17, 2, v25
	v_readfirstlane_b32 s4, v4
	v_readfirstlane_b32 s5, v5
	s_waitcnt lgkmcnt(2)
	s_nop 3
	global_store_dword v17, v9, s[4:5]
	s_or_b64 exec, exec, s[2:3]
	v_cmp_lt_u32_e32 vcc, v24, v14
	s_and_saveexec_b64 s[2:3], vcc
	s_cbranch_execz .LBB2725_81
.LBB2725_108:
	v_lshlrev_b32_e32 v17, 2, v24
	v_readfirstlane_b32 s4, v4
	v_readfirstlane_b32 s5, v5
	s_waitcnt lgkmcnt(1)
	s_nop 3
	global_store_dword v17, v6, s[4:5]
	s_or_b64 exec, exec, s[2:3]
	v_cmp_lt_u32_e32 vcc, v23, v14
	s_and_saveexec_b64 s[2:3], vcc
	s_cbranch_execz .LBB2725_82
.LBB2725_109:
	v_lshlrev_b32_e32 v17, 2, v23
	v_readfirstlane_b32 s4, v4
	v_readfirstlane_b32 s5, v5
	s_waitcnt lgkmcnt(1)
	s_nop 3
	global_store_dword v17, v7, s[4:5]
	s_or_b64 exec, exec, s[2:3]
	v_cmp_lt_u32_e32 vcc, v22, v14
	s_and_saveexec_b64 s[2:3], vcc
	s_cbranch_execnz .LBB2725_83
	s_branch .LBB2725_84
.LBB2725_110:
	v_readfirstlane_b32 s4, v4
	v_readfirstlane_b32 s5, v5
	s_waitcnt lgkmcnt(4)
	s_nop 3
	global_store_dword v1, v18, s[4:5]
	s_or_b64 exec, exec, s[2:3]
	v_cmp_lt_u32_e32 vcc, v29, v30
	s_and_saveexec_b64 s[2:3], vcc
	s_cbranch_execz .LBB2725_88
.LBB2725_111:
	v_readfirstlane_b32 s4, v4
	v_readfirstlane_b32 s5, v5
	s_waitcnt lgkmcnt(4)
	s_nop 3
	global_store_dword v1, v19, s[4:5] offset:1024
	s_or_b64 exec, exec, s[2:3]
	v_cmp_lt_u32_e32 vcc, v28, v30
	s_and_saveexec_b64 s[2:3], vcc
	s_cbranch_execz .LBB2725_89
.LBB2725_112:
	v_readfirstlane_b32 s4, v4
	v_readfirstlane_b32 s5, v5
	s_waitcnt lgkmcnt(3)
	s_nop 3
	global_store_dword v1, v10, s[4:5] offset:2048
	s_or_b64 exec, exec, s[2:3]
	v_cmp_lt_u32_e32 vcc, v27, v30
	s_and_saveexec_b64 s[2:3], vcc
	s_cbranch_execz .LBB2725_90
.LBB2725_113:
	v_readfirstlane_b32 s4, v4
	v_readfirstlane_b32 s5, v5
	s_waitcnt lgkmcnt(3)
	s_nop 3
	global_store_dword v1, v11, s[4:5] offset:3072
	s_or_b64 exec, exec, s[2:3]
	v_cmp_lt_u32_e32 vcc, v26, v30
	s_and_saveexec_b64 s[2:3], vcc
	s_cbranch_execz .LBB2725_91
.LBB2725_114:
	v_lshlrev_b32_e32 v0, 2, v26
	v_readfirstlane_b32 s4, v4
	v_readfirstlane_b32 s5, v5
	s_waitcnt lgkmcnt(2)
	s_nop 3
	global_store_dword v0, v8, s[4:5]
	s_or_b64 exec, exec, s[2:3]
	v_cmp_lt_u32_e32 vcc, v25, v30
	s_and_saveexec_b64 s[2:3], vcc
	s_cbranch_execz .LBB2725_92
.LBB2725_115:
	v_lshlrev_b32_e32 v0, 2, v25
	v_readfirstlane_b32 s4, v4
	v_readfirstlane_b32 s5, v5
	s_waitcnt lgkmcnt(2)
	s_nop 3
	global_store_dword v0, v9, s[4:5]
	s_or_b64 exec, exec, s[2:3]
	v_cmp_lt_u32_e32 vcc, v24, v30
	s_and_saveexec_b64 s[2:3], vcc
	s_cbranch_execz .LBB2725_93
.LBB2725_116:
	v_lshlrev_b32_e32 v0, 2, v24
	v_readfirstlane_b32 s4, v4
	v_readfirstlane_b32 s5, v5
	s_waitcnt lgkmcnt(1)
	s_nop 3
	global_store_dword v0, v6, s[4:5]
	s_or_b64 exec, exec, s[2:3]
	v_cmp_lt_u32_e32 vcc, v23, v30
	s_and_saveexec_b64 s[2:3], vcc
	s_cbranch_execz .LBB2725_94
.LBB2725_117:
	v_lshlrev_b32_e32 v0, 2, v23
	v_readfirstlane_b32 s4, v4
	v_readfirstlane_b32 s5, v5
	s_waitcnt lgkmcnt(1)
	s_nop 3
	global_store_dword v0, v7, s[4:5]
	s_or_b64 exec, exec, s[2:3]
	v_cmp_lt_u32_e32 vcc, v22, v30
	s_and_saveexec_b64 s[2:3], vcc
	s_cbranch_execnz .LBB2725_95
	s_branch .LBB2725_96
	.section	.rodata,"a",@progbits
	.p2align	6, 0x0
	.amdhsa_kernel _ZN7rocprim17ROCPRIM_400000_NS6detail17trampoline_kernelINS0_14default_configENS1_25partition_config_selectorILNS1_17partition_subalgoE0EiNS0_10empty_typeEbEEZZNS1_14partition_implILS5_0ELb0ES3_jN6thrust23THRUST_200600_302600_NS6detail15normal_iteratorINSA_10device_ptrIiEEEEPS6_SG_NS0_5tupleIJSF_NSA_16discard_iteratorINSA_11use_defaultEEEEEENSH_IJSG_SG_EEES6_PlJ7is_evenIiEEEE10hipError_tPvRmT3_T4_T5_T6_T7_T9_mT8_P12ihipStream_tbDpT10_ENKUlT_T0_E_clISt17integral_constantIbLb1EES19_EEDaS14_S15_EUlS14_E_NS1_11comp_targetILNS1_3genE4ELNS1_11target_archE910ELNS1_3gpuE8ELNS1_3repE0EEENS1_30default_config_static_selectorELNS0_4arch9wavefront6targetE1EEEvT1_
		.amdhsa_group_segment_fixed_size 10248
		.amdhsa_private_segment_fixed_size 0
		.amdhsa_kernarg_size 144
		.amdhsa_user_sgpr_count 6
		.amdhsa_user_sgpr_private_segment_buffer 1
		.amdhsa_user_sgpr_dispatch_ptr 0
		.amdhsa_user_sgpr_queue_ptr 0
		.amdhsa_user_sgpr_kernarg_segment_ptr 1
		.amdhsa_user_sgpr_dispatch_id 0
		.amdhsa_user_sgpr_flat_scratch_init 0
		.amdhsa_user_sgpr_kernarg_preload_length 0
		.amdhsa_user_sgpr_kernarg_preload_offset 0
		.amdhsa_user_sgpr_private_segment_size 0
		.amdhsa_uses_dynamic_stack 0
		.amdhsa_system_sgpr_private_segment_wavefront_offset 0
		.amdhsa_system_sgpr_workgroup_id_x 1
		.amdhsa_system_sgpr_workgroup_id_y 0
		.amdhsa_system_sgpr_workgroup_id_z 0
		.amdhsa_system_sgpr_workgroup_info 0
		.amdhsa_system_vgpr_workitem_id 0
		.amdhsa_next_free_vgpr 56
		.amdhsa_next_free_sgpr 40
		.amdhsa_accum_offset 56
		.amdhsa_reserve_vcc 1
		.amdhsa_reserve_flat_scratch 0
		.amdhsa_float_round_mode_32 0
		.amdhsa_float_round_mode_16_64 0
		.amdhsa_float_denorm_mode_32 3
		.amdhsa_float_denorm_mode_16_64 3
		.amdhsa_dx10_clamp 1
		.amdhsa_ieee_mode 1
		.amdhsa_fp16_overflow 0
		.amdhsa_tg_split 0
		.amdhsa_exception_fp_ieee_invalid_op 0
		.amdhsa_exception_fp_denorm_src 0
		.amdhsa_exception_fp_ieee_div_zero 0
		.amdhsa_exception_fp_ieee_overflow 0
		.amdhsa_exception_fp_ieee_underflow 0
		.amdhsa_exception_fp_ieee_inexact 0
		.amdhsa_exception_int_div_zero 0
	.end_amdhsa_kernel
	.section	.text._ZN7rocprim17ROCPRIM_400000_NS6detail17trampoline_kernelINS0_14default_configENS1_25partition_config_selectorILNS1_17partition_subalgoE0EiNS0_10empty_typeEbEEZZNS1_14partition_implILS5_0ELb0ES3_jN6thrust23THRUST_200600_302600_NS6detail15normal_iteratorINSA_10device_ptrIiEEEEPS6_SG_NS0_5tupleIJSF_NSA_16discard_iteratorINSA_11use_defaultEEEEEENSH_IJSG_SG_EEES6_PlJ7is_evenIiEEEE10hipError_tPvRmT3_T4_T5_T6_T7_T9_mT8_P12ihipStream_tbDpT10_ENKUlT_T0_E_clISt17integral_constantIbLb1EES19_EEDaS14_S15_EUlS14_E_NS1_11comp_targetILNS1_3genE4ELNS1_11target_archE910ELNS1_3gpuE8ELNS1_3repE0EEENS1_30default_config_static_selectorELNS0_4arch9wavefront6targetE1EEEvT1_,"axG",@progbits,_ZN7rocprim17ROCPRIM_400000_NS6detail17trampoline_kernelINS0_14default_configENS1_25partition_config_selectorILNS1_17partition_subalgoE0EiNS0_10empty_typeEbEEZZNS1_14partition_implILS5_0ELb0ES3_jN6thrust23THRUST_200600_302600_NS6detail15normal_iteratorINSA_10device_ptrIiEEEEPS6_SG_NS0_5tupleIJSF_NSA_16discard_iteratorINSA_11use_defaultEEEEEENSH_IJSG_SG_EEES6_PlJ7is_evenIiEEEE10hipError_tPvRmT3_T4_T5_T6_T7_T9_mT8_P12ihipStream_tbDpT10_ENKUlT_T0_E_clISt17integral_constantIbLb1EES19_EEDaS14_S15_EUlS14_E_NS1_11comp_targetILNS1_3genE4ELNS1_11target_archE910ELNS1_3gpuE8ELNS1_3repE0EEENS1_30default_config_static_selectorELNS0_4arch9wavefront6targetE1EEEvT1_,comdat
.Lfunc_end2725:
	.size	_ZN7rocprim17ROCPRIM_400000_NS6detail17trampoline_kernelINS0_14default_configENS1_25partition_config_selectorILNS1_17partition_subalgoE0EiNS0_10empty_typeEbEEZZNS1_14partition_implILS5_0ELb0ES3_jN6thrust23THRUST_200600_302600_NS6detail15normal_iteratorINSA_10device_ptrIiEEEEPS6_SG_NS0_5tupleIJSF_NSA_16discard_iteratorINSA_11use_defaultEEEEEENSH_IJSG_SG_EEES6_PlJ7is_evenIiEEEE10hipError_tPvRmT3_T4_T5_T6_T7_T9_mT8_P12ihipStream_tbDpT10_ENKUlT_T0_E_clISt17integral_constantIbLb1EES19_EEDaS14_S15_EUlS14_E_NS1_11comp_targetILNS1_3genE4ELNS1_11target_archE910ELNS1_3gpuE8ELNS1_3repE0EEENS1_30default_config_static_selectorELNS0_4arch9wavefront6targetE1EEEvT1_, .Lfunc_end2725-_ZN7rocprim17ROCPRIM_400000_NS6detail17trampoline_kernelINS0_14default_configENS1_25partition_config_selectorILNS1_17partition_subalgoE0EiNS0_10empty_typeEbEEZZNS1_14partition_implILS5_0ELb0ES3_jN6thrust23THRUST_200600_302600_NS6detail15normal_iteratorINSA_10device_ptrIiEEEEPS6_SG_NS0_5tupleIJSF_NSA_16discard_iteratorINSA_11use_defaultEEEEEENSH_IJSG_SG_EEES6_PlJ7is_evenIiEEEE10hipError_tPvRmT3_T4_T5_T6_T7_T9_mT8_P12ihipStream_tbDpT10_ENKUlT_T0_E_clISt17integral_constantIbLb1EES19_EEDaS14_S15_EUlS14_E_NS1_11comp_targetILNS1_3genE4ELNS1_11target_archE910ELNS1_3gpuE8ELNS1_3repE0EEENS1_30default_config_static_selectorELNS0_4arch9wavefront6targetE1EEEvT1_
                                        ; -- End function
	.section	.AMDGPU.csdata,"",@progbits
; Kernel info:
; codeLenInByte = 5352
; NumSgprs: 44
; NumVgprs: 56
; NumAgprs: 0
; TotalNumVgprs: 56
; ScratchSize: 0
; MemoryBound: 0
; FloatMode: 240
; IeeeMode: 1
; LDSByteSize: 10248 bytes/workgroup (compile time only)
; SGPRBlocks: 5
; VGPRBlocks: 6
; NumSGPRsForWavesPerEU: 44
; NumVGPRsForWavesPerEU: 56
; AccumOffset: 56
; Occupancy: 6
; WaveLimiterHint : 1
; COMPUTE_PGM_RSRC2:SCRATCH_EN: 0
; COMPUTE_PGM_RSRC2:USER_SGPR: 6
; COMPUTE_PGM_RSRC2:TRAP_HANDLER: 0
; COMPUTE_PGM_RSRC2:TGID_X_EN: 1
; COMPUTE_PGM_RSRC2:TGID_Y_EN: 0
; COMPUTE_PGM_RSRC2:TGID_Z_EN: 0
; COMPUTE_PGM_RSRC2:TIDIG_COMP_CNT: 0
; COMPUTE_PGM_RSRC3_GFX90A:ACCUM_OFFSET: 13
; COMPUTE_PGM_RSRC3_GFX90A:TG_SPLIT: 0
	.section	.text._ZN7rocprim17ROCPRIM_400000_NS6detail17trampoline_kernelINS0_14default_configENS1_25partition_config_selectorILNS1_17partition_subalgoE0EiNS0_10empty_typeEbEEZZNS1_14partition_implILS5_0ELb0ES3_jN6thrust23THRUST_200600_302600_NS6detail15normal_iteratorINSA_10device_ptrIiEEEEPS6_SG_NS0_5tupleIJSF_NSA_16discard_iteratorINSA_11use_defaultEEEEEENSH_IJSG_SG_EEES6_PlJ7is_evenIiEEEE10hipError_tPvRmT3_T4_T5_T6_T7_T9_mT8_P12ihipStream_tbDpT10_ENKUlT_T0_E_clISt17integral_constantIbLb1EES19_EEDaS14_S15_EUlS14_E_NS1_11comp_targetILNS1_3genE3ELNS1_11target_archE908ELNS1_3gpuE7ELNS1_3repE0EEENS1_30default_config_static_selectorELNS0_4arch9wavefront6targetE1EEEvT1_,"axG",@progbits,_ZN7rocprim17ROCPRIM_400000_NS6detail17trampoline_kernelINS0_14default_configENS1_25partition_config_selectorILNS1_17partition_subalgoE0EiNS0_10empty_typeEbEEZZNS1_14partition_implILS5_0ELb0ES3_jN6thrust23THRUST_200600_302600_NS6detail15normal_iteratorINSA_10device_ptrIiEEEEPS6_SG_NS0_5tupleIJSF_NSA_16discard_iteratorINSA_11use_defaultEEEEEENSH_IJSG_SG_EEES6_PlJ7is_evenIiEEEE10hipError_tPvRmT3_T4_T5_T6_T7_T9_mT8_P12ihipStream_tbDpT10_ENKUlT_T0_E_clISt17integral_constantIbLb1EES19_EEDaS14_S15_EUlS14_E_NS1_11comp_targetILNS1_3genE3ELNS1_11target_archE908ELNS1_3gpuE7ELNS1_3repE0EEENS1_30default_config_static_selectorELNS0_4arch9wavefront6targetE1EEEvT1_,comdat
	.protected	_ZN7rocprim17ROCPRIM_400000_NS6detail17trampoline_kernelINS0_14default_configENS1_25partition_config_selectorILNS1_17partition_subalgoE0EiNS0_10empty_typeEbEEZZNS1_14partition_implILS5_0ELb0ES3_jN6thrust23THRUST_200600_302600_NS6detail15normal_iteratorINSA_10device_ptrIiEEEEPS6_SG_NS0_5tupleIJSF_NSA_16discard_iteratorINSA_11use_defaultEEEEEENSH_IJSG_SG_EEES6_PlJ7is_evenIiEEEE10hipError_tPvRmT3_T4_T5_T6_T7_T9_mT8_P12ihipStream_tbDpT10_ENKUlT_T0_E_clISt17integral_constantIbLb1EES19_EEDaS14_S15_EUlS14_E_NS1_11comp_targetILNS1_3genE3ELNS1_11target_archE908ELNS1_3gpuE7ELNS1_3repE0EEENS1_30default_config_static_selectorELNS0_4arch9wavefront6targetE1EEEvT1_ ; -- Begin function _ZN7rocprim17ROCPRIM_400000_NS6detail17trampoline_kernelINS0_14default_configENS1_25partition_config_selectorILNS1_17partition_subalgoE0EiNS0_10empty_typeEbEEZZNS1_14partition_implILS5_0ELb0ES3_jN6thrust23THRUST_200600_302600_NS6detail15normal_iteratorINSA_10device_ptrIiEEEEPS6_SG_NS0_5tupleIJSF_NSA_16discard_iteratorINSA_11use_defaultEEEEEENSH_IJSG_SG_EEES6_PlJ7is_evenIiEEEE10hipError_tPvRmT3_T4_T5_T6_T7_T9_mT8_P12ihipStream_tbDpT10_ENKUlT_T0_E_clISt17integral_constantIbLb1EES19_EEDaS14_S15_EUlS14_E_NS1_11comp_targetILNS1_3genE3ELNS1_11target_archE908ELNS1_3gpuE7ELNS1_3repE0EEENS1_30default_config_static_selectorELNS0_4arch9wavefront6targetE1EEEvT1_
	.globl	_ZN7rocprim17ROCPRIM_400000_NS6detail17trampoline_kernelINS0_14default_configENS1_25partition_config_selectorILNS1_17partition_subalgoE0EiNS0_10empty_typeEbEEZZNS1_14partition_implILS5_0ELb0ES3_jN6thrust23THRUST_200600_302600_NS6detail15normal_iteratorINSA_10device_ptrIiEEEEPS6_SG_NS0_5tupleIJSF_NSA_16discard_iteratorINSA_11use_defaultEEEEEENSH_IJSG_SG_EEES6_PlJ7is_evenIiEEEE10hipError_tPvRmT3_T4_T5_T6_T7_T9_mT8_P12ihipStream_tbDpT10_ENKUlT_T0_E_clISt17integral_constantIbLb1EES19_EEDaS14_S15_EUlS14_E_NS1_11comp_targetILNS1_3genE3ELNS1_11target_archE908ELNS1_3gpuE7ELNS1_3repE0EEENS1_30default_config_static_selectorELNS0_4arch9wavefront6targetE1EEEvT1_
	.p2align	8
	.type	_ZN7rocprim17ROCPRIM_400000_NS6detail17trampoline_kernelINS0_14default_configENS1_25partition_config_selectorILNS1_17partition_subalgoE0EiNS0_10empty_typeEbEEZZNS1_14partition_implILS5_0ELb0ES3_jN6thrust23THRUST_200600_302600_NS6detail15normal_iteratorINSA_10device_ptrIiEEEEPS6_SG_NS0_5tupleIJSF_NSA_16discard_iteratorINSA_11use_defaultEEEEEENSH_IJSG_SG_EEES6_PlJ7is_evenIiEEEE10hipError_tPvRmT3_T4_T5_T6_T7_T9_mT8_P12ihipStream_tbDpT10_ENKUlT_T0_E_clISt17integral_constantIbLb1EES19_EEDaS14_S15_EUlS14_E_NS1_11comp_targetILNS1_3genE3ELNS1_11target_archE908ELNS1_3gpuE7ELNS1_3repE0EEENS1_30default_config_static_selectorELNS0_4arch9wavefront6targetE1EEEvT1_,@function
_ZN7rocprim17ROCPRIM_400000_NS6detail17trampoline_kernelINS0_14default_configENS1_25partition_config_selectorILNS1_17partition_subalgoE0EiNS0_10empty_typeEbEEZZNS1_14partition_implILS5_0ELb0ES3_jN6thrust23THRUST_200600_302600_NS6detail15normal_iteratorINSA_10device_ptrIiEEEEPS6_SG_NS0_5tupleIJSF_NSA_16discard_iteratorINSA_11use_defaultEEEEEENSH_IJSG_SG_EEES6_PlJ7is_evenIiEEEE10hipError_tPvRmT3_T4_T5_T6_T7_T9_mT8_P12ihipStream_tbDpT10_ENKUlT_T0_E_clISt17integral_constantIbLb1EES19_EEDaS14_S15_EUlS14_E_NS1_11comp_targetILNS1_3genE3ELNS1_11target_archE908ELNS1_3gpuE7ELNS1_3repE0EEENS1_30default_config_static_selectorELNS0_4arch9wavefront6targetE1EEEvT1_: ; @_ZN7rocprim17ROCPRIM_400000_NS6detail17trampoline_kernelINS0_14default_configENS1_25partition_config_selectorILNS1_17partition_subalgoE0EiNS0_10empty_typeEbEEZZNS1_14partition_implILS5_0ELb0ES3_jN6thrust23THRUST_200600_302600_NS6detail15normal_iteratorINSA_10device_ptrIiEEEEPS6_SG_NS0_5tupleIJSF_NSA_16discard_iteratorINSA_11use_defaultEEEEEENSH_IJSG_SG_EEES6_PlJ7is_evenIiEEEE10hipError_tPvRmT3_T4_T5_T6_T7_T9_mT8_P12ihipStream_tbDpT10_ENKUlT_T0_E_clISt17integral_constantIbLb1EES19_EEDaS14_S15_EUlS14_E_NS1_11comp_targetILNS1_3genE3ELNS1_11target_archE908ELNS1_3gpuE7ELNS1_3repE0EEENS1_30default_config_static_selectorELNS0_4arch9wavefront6targetE1EEEvT1_
; %bb.0:
	.section	.rodata,"a",@progbits
	.p2align	6, 0x0
	.amdhsa_kernel _ZN7rocprim17ROCPRIM_400000_NS6detail17trampoline_kernelINS0_14default_configENS1_25partition_config_selectorILNS1_17partition_subalgoE0EiNS0_10empty_typeEbEEZZNS1_14partition_implILS5_0ELb0ES3_jN6thrust23THRUST_200600_302600_NS6detail15normal_iteratorINSA_10device_ptrIiEEEEPS6_SG_NS0_5tupleIJSF_NSA_16discard_iteratorINSA_11use_defaultEEEEEENSH_IJSG_SG_EEES6_PlJ7is_evenIiEEEE10hipError_tPvRmT3_T4_T5_T6_T7_T9_mT8_P12ihipStream_tbDpT10_ENKUlT_T0_E_clISt17integral_constantIbLb1EES19_EEDaS14_S15_EUlS14_E_NS1_11comp_targetILNS1_3genE3ELNS1_11target_archE908ELNS1_3gpuE7ELNS1_3repE0EEENS1_30default_config_static_selectorELNS0_4arch9wavefront6targetE1EEEvT1_
		.amdhsa_group_segment_fixed_size 0
		.amdhsa_private_segment_fixed_size 0
		.amdhsa_kernarg_size 144
		.amdhsa_user_sgpr_count 6
		.amdhsa_user_sgpr_private_segment_buffer 1
		.amdhsa_user_sgpr_dispatch_ptr 0
		.amdhsa_user_sgpr_queue_ptr 0
		.amdhsa_user_sgpr_kernarg_segment_ptr 1
		.amdhsa_user_sgpr_dispatch_id 0
		.amdhsa_user_sgpr_flat_scratch_init 0
		.amdhsa_user_sgpr_kernarg_preload_length 0
		.amdhsa_user_sgpr_kernarg_preload_offset 0
		.amdhsa_user_sgpr_private_segment_size 0
		.amdhsa_uses_dynamic_stack 0
		.amdhsa_system_sgpr_private_segment_wavefront_offset 0
		.amdhsa_system_sgpr_workgroup_id_x 1
		.amdhsa_system_sgpr_workgroup_id_y 0
		.amdhsa_system_sgpr_workgroup_id_z 0
		.amdhsa_system_sgpr_workgroup_info 0
		.amdhsa_system_vgpr_workitem_id 0
		.amdhsa_next_free_vgpr 1
		.amdhsa_next_free_sgpr 0
		.amdhsa_accum_offset 4
		.amdhsa_reserve_vcc 0
		.amdhsa_reserve_flat_scratch 0
		.amdhsa_float_round_mode_32 0
		.amdhsa_float_round_mode_16_64 0
		.amdhsa_float_denorm_mode_32 3
		.amdhsa_float_denorm_mode_16_64 3
		.amdhsa_dx10_clamp 1
		.amdhsa_ieee_mode 1
		.amdhsa_fp16_overflow 0
		.amdhsa_tg_split 0
		.amdhsa_exception_fp_ieee_invalid_op 0
		.amdhsa_exception_fp_denorm_src 0
		.amdhsa_exception_fp_ieee_div_zero 0
		.amdhsa_exception_fp_ieee_overflow 0
		.amdhsa_exception_fp_ieee_underflow 0
		.amdhsa_exception_fp_ieee_inexact 0
		.amdhsa_exception_int_div_zero 0
	.end_amdhsa_kernel
	.section	.text._ZN7rocprim17ROCPRIM_400000_NS6detail17trampoline_kernelINS0_14default_configENS1_25partition_config_selectorILNS1_17partition_subalgoE0EiNS0_10empty_typeEbEEZZNS1_14partition_implILS5_0ELb0ES3_jN6thrust23THRUST_200600_302600_NS6detail15normal_iteratorINSA_10device_ptrIiEEEEPS6_SG_NS0_5tupleIJSF_NSA_16discard_iteratorINSA_11use_defaultEEEEEENSH_IJSG_SG_EEES6_PlJ7is_evenIiEEEE10hipError_tPvRmT3_T4_T5_T6_T7_T9_mT8_P12ihipStream_tbDpT10_ENKUlT_T0_E_clISt17integral_constantIbLb1EES19_EEDaS14_S15_EUlS14_E_NS1_11comp_targetILNS1_3genE3ELNS1_11target_archE908ELNS1_3gpuE7ELNS1_3repE0EEENS1_30default_config_static_selectorELNS0_4arch9wavefront6targetE1EEEvT1_,"axG",@progbits,_ZN7rocprim17ROCPRIM_400000_NS6detail17trampoline_kernelINS0_14default_configENS1_25partition_config_selectorILNS1_17partition_subalgoE0EiNS0_10empty_typeEbEEZZNS1_14partition_implILS5_0ELb0ES3_jN6thrust23THRUST_200600_302600_NS6detail15normal_iteratorINSA_10device_ptrIiEEEEPS6_SG_NS0_5tupleIJSF_NSA_16discard_iteratorINSA_11use_defaultEEEEEENSH_IJSG_SG_EEES6_PlJ7is_evenIiEEEE10hipError_tPvRmT3_T4_T5_T6_T7_T9_mT8_P12ihipStream_tbDpT10_ENKUlT_T0_E_clISt17integral_constantIbLb1EES19_EEDaS14_S15_EUlS14_E_NS1_11comp_targetILNS1_3genE3ELNS1_11target_archE908ELNS1_3gpuE7ELNS1_3repE0EEENS1_30default_config_static_selectorELNS0_4arch9wavefront6targetE1EEEvT1_,comdat
.Lfunc_end2726:
	.size	_ZN7rocprim17ROCPRIM_400000_NS6detail17trampoline_kernelINS0_14default_configENS1_25partition_config_selectorILNS1_17partition_subalgoE0EiNS0_10empty_typeEbEEZZNS1_14partition_implILS5_0ELb0ES3_jN6thrust23THRUST_200600_302600_NS6detail15normal_iteratorINSA_10device_ptrIiEEEEPS6_SG_NS0_5tupleIJSF_NSA_16discard_iteratorINSA_11use_defaultEEEEEENSH_IJSG_SG_EEES6_PlJ7is_evenIiEEEE10hipError_tPvRmT3_T4_T5_T6_T7_T9_mT8_P12ihipStream_tbDpT10_ENKUlT_T0_E_clISt17integral_constantIbLb1EES19_EEDaS14_S15_EUlS14_E_NS1_11comp_targetILNS1_3genE3ELNS1_11target_archE908ELNS1_3gpuE7ELNS1_3repE0EEENS1_30default_config_static_selectorELNS0_4arch9wavefront6targetE1EEEvT1_, .Lfunc_end2726-_ZN7rocprim17ROCPRIM_400000_NS6detail17trampoline_kernelINS0_14default_configENS1_25partition_config_selectorILNS1_17partition_subalgoE0EiNS0_10empty_typeEbEEZZNS1_14partition_implILS5_0ELb0ES3_jN6thrust23THRUST_200600_302600_NS6detail15normal_iteratorINSA_10device_ptrIiEEEEPS6_SG_NS0_5tupleIJSF_NSA_16discard_iteratorINSA_11use_defaultEEEEEENSH_IJSG_SG_EEES6_PlJ7is_evenIiEEEE10hipError_tPvRmT3_T4_T5_T6_T7_T9_mT8_P12ihipStream_tbDpT10_ENKUlT_T0_E_clISt17integral_constantIbLb1EES19_EEDaS14_S15_EUlS14_E_NS1_11comp_targetILNS1_3genE3ELNS1_11target_archE908ELNS1_3gpuE7ELNS1_3repE0EEENS1_30default_config_static_selectorELNS0_4arch9wavefront6targetE1EEEvT1_
                                        ; -- End function
	.section	.AMDGPU.csdata,"",@progbits
; Kernel info:
; codeLenInByte = 0
; NumSgprs: 4
; NumVgprs: 0
; NumAgprs: 0
; TotalNumVgprs: 0
; ScratchSize: 0
; MemoryBound: 0
; FloatMode: 240
; IeeeMode: 1
; LDSByteSize: 0 bytes/workgroup (compile time only)
; SGPRBlocks: 0
; VGPRBlocks: 0
; NumSGPRsForWavesPerEU: 4
; NumVGPRsForWavesPerEU: 1
; AccumOffset: 4
; Occupancy: 8
; WaveLimiterHint : 0
; COMPUTE_PGM_RSRC2:SCRATCH_EN: 0
; COMPUTE_PGM_RSRC2:USER_SGPR: 6
; COMPUTE_PGM_RSRC2:TRAP_HANDLER: 0
; COMPUTE_PGM_RSRC2:TGID_X_EN: 1
; COMPUTE_PGM_RSRC2:TGID_Y_EN: 0
; COMPUTE_PGM_RSRC2:TGID_Z_EN: 0
; COMPUTE_PGM_RSRC2:TIDIG_COMP_CNT: 0
; COMPUTE_PGM_RSRC3_GFX90A:ACCUM_OFFSET: 0
; COMPUTE_PGM_RSRC3_GFX90A:TG_SPLIT: 0
	.section	.text._ZN7rocprim17ROCPRIM_400000_NS6detail17trampoline_kernelINS0_14default_configENS1_25partition_config_selectorILNS1_17partition_subalgoE0EiNS0_10empty_typeEbEEZZNS1_14partition_implILS5_0ELb0ES3_jN6thrust23THRUST_200600_302600_NS6detail15normal_iteratorINSA_10device_ptrIiEEEEPS6_SG_NS0_5tupleIJSF_NSA_16discard_iteratorINSA_11use_defaultEEEEEENSH_IJSG_SG_EEES6_PlJ7is_evenIiEEEE10hipError_tPvRmT3_T4_T5_T6_T7_T9_mT8_P12ihipStream_tbDpT10_ENKUlT_T0_E_clISt17integral_constantIbLb1EES19_EEDaS14_S15_EUlS14_E_NS1_11comp_targetILNS1_3genE2ELNS1_11target_archE906ELNS1_3gpuE6ELNS1_3repE0EEENS1_30default_config_static_selectorELNS0_4arch9wavefront6targetE1EEEvT1_,"axG",@progbits,_ZN7rocprim17ROCPRIM_400000_NS6detail17trampoline_kernelINS0_14default_configENS1_25partition_config_selectorILNS1_17partition_subalgoE0EiNS0_10empty_typeEbEEZZNS1_14partition_implILS5_0ELb0ES3_jN6thrust23THRUST_200600_302600_NS6detail15normal_iteratorINSA_10device_ptrIiEEEEPS6_SG_NS0_5tupleIJSF_NSA_16discard_iteratorINSA_11use_defaultEEEEEENSH_IJSG_SG_EEES6_PlJ7is_evenIiEEEE10hipError_tPvRmT3_T4_T5_T6_T7_T9_mT8_P12ihipStream_tbDpT10_ENKUlT_T0_E_clISt17integral_constantIbLb1EES19_EEDaS14_S15_EUlS14_E_NS1_11comp_targetILNS1_3genE2ELNS1_11target_archE906ELNS1_3gpuE6ELNS1_3repE0EEENS1_30default_config_static_selectorELNS0_4arch9wavefront6targetE1EEEvT1_,comdat
	.protected	_ZN7rocprim17ROCPRIM_400000_NS6detail17trampoline_kernelINS0_14default_configENS1_25partition_config_selectorILNS1_17partition_subalgoE0EiNS0_10empty_typeEbEEZZNS1_14partition_implILS5_0ELb0ES3_jN6thrust23THRUST_200600_302600_NS6detail15normal_iteratorINSA_10device_ptrIiEEEEPS6_SG_NS0_5tupleIJSF_NSA_16discard_iteratorINSA_11use_defaultEEEEEENSH_IJSG_SG_EEES6_PlJ7is_evenIiEEEE10hipError_tPvRmT3_T4_T5_T6_T7_T9_mT8_P12ihipStream_tbDpT10_ENKUlT_T0_E_clISt17integral_constantIbLb1EES19_EEDaS14_S15_EUlS14_E_NS1_11comp_targetILNS1_3genE2ELNS1_11target_archE906ELNS1_3gpuE6ELNS1_3repE0EEENS1_30default_config_static_selectorELNS0_4arch9wavefront6targetE1EEEvT1_ ; -- Begin function _ZN7rocprim17ROCPRIM_400000_NS6detail17trampoline_kernelINS0_14default_configENS1_25partition_config_selectorILNS1_17partition_subalgoE0EiNS0_10empty_typeEbEEZZNS1_14partition_implILS5_0ELb0ES3_jN6thrust23THRUST_200600_302600_NS6detail15normal_iteratorINSA_10device_ptrIiEEEEPS6_SG_NS0_5tupleIJSF_NSA_16discard_iteratorINSA_11use_defaultEEEEEENSH_IJSG_SG_EEES6_PlJ7is_evenIiEEEE10hipError_tPvRmT3_T4_T5_T6_T7_T9_mT8_P12ihipStream_tbDpT10_ENKUlT_T0_E_clISt17integral_constantIbLb1EES19_EEDaS14_S15_EUlS14_E_NS1_11comp_targetILNS1_3genE2ELNS1_11target_archE906ELNS1_3gpuE6ELNS1_3repE0EEENS1_30default_config_static_selectorELNS0_4arch9wavefront6targetE1EEEvT1_
	.globl	_ZN7rocprim17ROCPRIM_400000_NS6detail17trampoline_kernelINS0_14default_configENS1_25partition_config_selectorILNS1_17partition_subalgoE0EiNS0_10empty_typeEbEEZZNS1_14partition_implILS5_0ELb0ES3_jN6thrust23THRUST_200600_302600_NS6detail15normal_iteratorINSA_10device_ptrIiEEEEPS6_SG_NS0_5tupleIJSF_NSA_16discard_iteratorINSA_11use_defaultEEEEEENSH_IJSG_SG_EEES6_PlJ7is_evenIiEEEE10hipError_tPvRmT3_T4_T5_T6_T7_T9_mT8_P12ihipStream_tbDpT10_ENKUlT_T0_E_clISt17integral_constantIbLb1EES19_EEDaS14_S15_EUlS14_E_NS1_11comp_targetILNS1_3genE2ELNS1_11target_archE906ELNS1_3gpuE6ELNS1_3repE0EEENS1_30default_config_static_selectorELNS0_4arch9wavefront6targetE1EEEvT1_
	.p2align	8
	.type	_ZN7rocprim17ROCPRIM_400000_NS6detail17trampoline_kernelINS0_14default_configENS1_25partition_config_selectorILNS1_17partition_subalgoE0EiNS0_10empty_typeEbEEZZNS1_14partition_implILS5_0ELb0ES3_jN6thrust23THRUST_200600_302600_NS6detail15normal_iteratorINSA_10device_ptrIiEEEEPS6_SG_NS0_5tupleIJSF_NSA_16discard_iteratorINSA_11use_defaultEEEEEENSH_IJSG_SG_EEES6_PlJ7is_evenIiEEEE10hipError_tPvRmT3_T4_T5_T6_T7_T9_mT8_P12ihipStream_tbDpT10_ENKUlT_T0_E_clISt17integral_constantIbLb1EES19_EEDaS14_S15_EUlS14_E_NS1_11comp_targetILNS1_3genE2ELNS1_11target_archE906ELNS1_3gpuE6ELNS1_3repE0EEENS1_30default_config_static_selectorELNS0_4arch9wavefront6targetE1EEEvT1_,@function
_ZN7rocprim17ROCPRIM_400000_NS6detail17trampoline_kernelINS0_14default_configENS1_25partition_config_selectorILNS1_17partition_subalgoE0EiNS0_10empty_typeEbEEZZNS1_14partition_implILS5_0ELb0ES3_jN6thrust23THRUST_200600_302600_NS6detail15normal_iteratorINSA_10device_ptrIiEEEEPS6_SG_NS0_5tupleIJSF_NSA_16discard_iteratorINSA_11use_defaultEEEEEENSH_IJSG_SG_EEES6_PlJ7is_evenIiEEEE10hipError_tPvRmT3_T4_T5_T6_T7_T9_mT8_P12ihipStream_tbDpT10_ENKUlT_T0_E_clISt17integral_constantIbLb1EES19_EEDaS14_S15_EUlS14_E_NS1_11comp_targetILNS1_3genE2ELNS1_11target_archE906ELNS1_3gpuE6ELNS1_3repE0EEENS1_30default_config_static_selectorELNS0_4arch9wavefront6targetE1EEEvT1_: ; @_ZN7rocprim17ROCPRIM_400000_NS6detail17trampoline_kernelINS0_14default_configENS1_25partition_config_selectorILNS1_17partition_subalgoE0EiNS0_10empty_typeEbEEZZNS1_14partition_implILS5_0ELb0ES3_jN6thrust23THRUST_200600_302600_NS6detail15normal_iteratorINSA_10device_ptrIiEEEEPS6_SG_NS0_5tupleIJSF_NSA_16discard_iteratorINSA_11use_defaultEEEEEENSH_IJSG_SG_EEES6_PlJ7is_evenIiEEEE10hipError_tPvRmT3_T4_T5_T6_T7_T9_mT8_P12ihipStream_tbDpT10_ENKUlT_T0_E_clISt17integral_constantIbLb1EES19_EEDaS14_S15_EUlS14_E_NS1_11comp_targetILNS1_3genE2ELNS1_11target_archE906ELNS1_3gpuE6ELNS1_3repE0EEENS1_30default_config_static_selectorELNS0_4arch9wavefront6targetE1EEEvT1_
; %bb.0:
	.section	.rodata,"a",@progbits
	.p2align	6, 0x0
	.amdhsa_kernel _ZN7rocprim17ROCPRIM_400000_NS6detail17trampoline_kernelINS0_14default_configENS1_25partition_config_selectorILNS1_17partition_subalgoE0EiNS0_10empty_typeEbEEZZNS1_14partition_implILS5_0ELb0ES3_jN6thrust23THRUST_200600_302600_NS6detail15normal_iteratorINSA_10device_ptrIiEEEEPS6_SG_NS0_5tupleIJSF_NSA_16discard_iteratorINSA_11use_defaultEEEEEENSH_IJSG_SG_EEES6_PlJ7is_evenIiEEEE10hipError_tPvRmT3_T4_T5_T6_T7_T9_mT8_P12ihipStream_tbDpT10_ENKUlT_T0_E_clISt17integral_constantIbLb1EES19_EEDaS14_S15_EUlS14_E_NS1_11comp_targetILNS1_3genE2ELNS1_11target_archE906ELNS1_3gpuE6ELNS1_3repE0EEENS1_30default_config_static_selectorELNS0_4arch9wavefront6targetE1EEEvT1_
		.amdhsa_group_segment_fixed_size 0
		.amdhsa_private_segment_fixed_size 0
		.amdhsa_kernarg_size 144
		.amdhsa_user_sgpr_count 6
		.amdhsa_user_sgpr_private_segment_buffer 1
		.amdhsa_user_sgpr_dispatch_ptr 0
		.amdhsa_user_sgpr_queue_ptr 0
		.amdhsa_user_sgpr_kernarg_segment_ptr 1
		.amdhsa_user_sgpr_dispatch_id 0
		.amdhsa_user_sgpr_flat_scratch_init 0
		.amdhsa_user_sgpr_kernarg_preload_length 0
		.amdhsa_user_sgpr_kernarg_preload_offset 0
		.amdhsa_user_sgpr_private_segment_size 0
		.amdhsa_uses_dynamic_stack 0
		.amdhsa_system_sgpr_private_segment_wavefront_offset 0
		.amdhsa_system_sgpr_workgroup_id_x 1
		.amdhsa_system_sgpr_workgroup_id_y 0
		.amdhsa_system_sgpr_workgroup_id_z 0
		.amdhsa_system_sgpr_workgroup_info 0
		.amdhsa_system_vgpr_workitem_id 0
		.amdhsa_next_free_vgpr 1
		.amdhsa_next_free_sgpr 0
		.amdhsa_accum_offset 4
		.amdhsa_reserve_vcc 0
		.amdhsa_reserve_flat_scratch 0
		.amdhsa_float_round_mode_32 0
		.amdhsa_float_round_mode_16_64 0
		.amdhsa_float_denorm_mode_32 3
		.amdhsa_float_denorm_mode_16_64 3
		.amdhsa_dx10_clamp 1
		.amdhsa_ieee_mode 1
		.amdhsa_fp16_overflow 0
		.amdhsa_tg_split 0
		.amdhsa_exception_fp_ieee_invalid_op 0
		.amdhsa_exception_fp_denorm_src 0
		.amdhsa_exception_fp_ieee_div_zero 0
		.amdhsa_exception_fp_ieee_overflow 0
		.amdhsa_exception_fp_ieee_underflow 0
		.amdhsa_exception_fp_ieee_inexact 0
		.amdhsa_exception_int_div_zero 0
	.end_amdhsa_kernel
	.section	.text._ZN7rocprim17ROCPRIM_400000_NS6detail17trampoline_kernelINS0_14default_configENS1_25partition_config_selectorILNS1_17partition_subalgoE0EiNS0_10empty_typeEbEEZZNS1_14partition_implILS5_0ELb0ES3_jN6thrust23THRUST_200600_302600_NS6detail15normal_iteratorINSA_10device_ptrIiEEEEPS6_SG_NS0_5tupleIJSF_NSA_16discard_iteratorINSA_11use_defaultEEEEEENSH_IJSG_SG_EEES6_PlJ7is_evenIiEEEE10hipError_tPvRmT3_T4_T5_T6_T7_T9_mT8_P12ihipStream_tbDpT10_ENKUlT_T0_E_clISt17integral_constantIbLb1EES19_EEDaS14_S15_EUlS14_E_NS1_11comp_targetILNS1_3genE2ELNS1_11target_archE906ELNS1_3gpuE6ELNS1_3repE0EEENS1_30default_config_static_selectorELNS0_4arch9wavefront6targetE1EEEvT1_,"axG",@progbits,_ZN7rocprim17ROCPRIM_400000_NS6detail17trampoline_kernelINS0_14default_configENS1_25partition_config_selectorILNS1_17partition_subalgoE0EiNS0_10empty_typeEbEEZZNS1_14partition_implILS5_0ELb0ES3_jN6thrust23THRUST_200600_302600_NS6detail15normal_iteratorINSA_10device_ptrIiEEEEPS6_SG_NS0_5tupleIJSF_NSA_16discard_iteratorINSA_11use_defaultEEEEEENSH_IJSG_SG_EEES6_PlJ7is_evenIiEEEE10hipError_tPvRmT3_T4_T5_T6_T7_T9_mT8_P12ihipStream_tbDpT10_ENKUlT_T0_E_clISt17integral_constantIbLb1EES19_EEDaS14_S15_EUlS14_E_NS1_11comp_targetILNS1_3genE2ELNS1_11target_archE906ELNS1_3gpuE6ELNS1_3repE0EEENS1_30default_config_static_selectorELNS0_4arch9wavefront6targetE1EEEvT1_,comdat
.Lfunc_end2727:
	.size	_ZN7rocprim17ROCPRIM_400000_NS6detail17trampoline_kernelINS0_14default_configENS1_25partition_config_selectorILNS1_17partition_subalgoE0EiNS0_10empty_typeEbEEZZNS1_14partition_implILS5_0ELb0ES3_jN6thrust23THRUST_200600_302600_NS6detail15normal_iteratorINSA_10device_ptrIiEEEEPS6_SG_NS0_5tupleIJSF_NSA_16discard_iteratorINSA_11use_defaultEEEEEENSH_IJSG_SG_EEES6_PlJ7is_evenIiEEEE10hipError_tPvRmT3_T4_T5_T6_T7_T9_mT8_P12ihipStream_tbDpT10_ENKUlT_T0_E_clISt17integral_constantIbLb1EES19_EEDaS14_S15_EUlS14_E_NS1_11comp_targetILNS1_3genE2ELNS1_11target_archE906ELNS1_3gpuE6ELNS1_3repE0EEENS1_30default_config_static_selectorELNS0_4arch9wavefront6targetE1EEEvT1_, .Lfunc_end2727-_ZN7rocprim17ROCPRIM_400000_NS6detail17trampoline_kernelINS0_14default_configENS1_25partition_config_selectorILNS1_17partition_subalgoE0EiNS0_10empty_typeEbEEZZNS1_14partition_implILS5_0ELb0ES3_jN6thrust23THRUST_200600_302600_NS6detail15normal_iteratorINSA_10device_ptrIiEEEEPS6_SG_NS0_5tupleIJSF_NSA_16discard_iteratorINSA_11use_defaultEEEEEENSH_IJSG_SG_EEES6_PlJ7is_evenIiEEEE10hipError_tPvRmT3_T4_T5_T6_T7_T9_mT8_P12ihipStream_tbDpT10_ENKUlT_T0_E_clISt17integral_constantIbLb1EES19_EEDaS14_S15_EUlS14_E_NS1_11comp_targetILNS1_3genE2ELNS1_11target_archE906ELNS1_3gpuE6ELNS1_3repE0EEENS1_30default_config_static_selectorELNS0_4arch9wavefront6targetE1EEEvT1_
                                        ; -- End function
	.section	.AMDGPU.csdata,"",@progbits
; Kernel info:
; codeLenInByte = 0
; NumSgprs: 4
; NumVgprs: 0
; NumAgprs: 0
; TotalNumVgprs: 0
; ScratchSize: 0
; MemoryBound: 0
; FloatMode: 240
; IeeeMode: 1
; LDSByteSize: 0 bytes/workgroup (compile time only)
; SGPRBlocks: 0
; VGPRBlocks: 0
; NumSGPRsForWavesPerEU: 4
; NumVGPRsForWavesPerEU: 1
; AccumOffset: 4
; Occupancy: 8
; WaveLimiterHint : 0
; COMPUTE_PGM_RSRC2:SCRATCH_EN: 0
; COMPUTE_PGM_RSRC2:USER_SGPR: 6
; COMPUTE_PGM_RSRC2:TRAP_HANDLER: 0
; COMPUTE_PGM_RSRC2:TGID_X_EN: 1
; COMPUTE_PGM_RSRC2:TGID_Y_EN: 0
; COMPUTE_PGM_RSRC2:TGID_Z_EN: 0
; COMPUTE_PGM_RSRC2:TIDIG_COMP_CNT: 0
; COMPUTE_PGM_RSRC3_GFX90A:ACCUM_OFFSET: 0
; COMPUTE_PGM_RSRC3_GFX90A:TG_SPLIT: 0
	.section	.text._ZN7rocprim17ROCPRIM_400000_NS6detail17trampoline_kernelINS0_14default_configENS1_25partition_config_selectorILNS1_17partition_subalgoE0EiNS0_10empty_typeEbEEZZNS1_14partition_implILS5_0ELb0ES3_jN6thrust23THRUST_200600_302600_NS6detail15normal_iteratorINSA_10device_ptrIiEEEEPS6_SG_NS0_5tupleIJSF_NSA_16discard_iteratorINSA_11use_defaultEEEEEENSH_IJSG_SG_EEES6_PlJ7is_evenIiEEEE10hipError_tPvRmT3_T4_T5_T6_T7_T9_mT8_P12ihipStream_tbDpT10_ENKUlT_T0_E_clISt17integral_constantIbLb1EES19_EEDaS14_S15_EUlS14_E_NS1_11comp_targetILNS1_3genE10ELNS1_11target_archE1200ELNS1_3gpuE4ELNS1_3repE0EEENS1_30default_config_static_selectorELNS0_4arch9wavefront6targetE1EEEvT1_,"axG",@progbits,_ZN7rocprim17ROCPRIM_400000_NS6detail17trampoline_kernelINS0_14default_configENS1_25partition_config_selectorILNS1_17partition_subalgoE0EiNS0_10empty_typeEbEEZZNS1_14partition_implILS5_0ELb0ES3_jN6thrust23THRUST_200600_302600_NS6detail15normal_iteratorINSA_10device_ptrIiEEEEPS6_SG_NS0_5tupleIJSF_NSA_16discard_iteratorINSA_11use_defaultEEEEEENSH_IJSG_SG_EEES6_PlJ7is_evenIiEEEE10hipError_tPvRmT3_T4_T5_T6_T7_T9_mT8_P12ihipStream_tbDpT10_ENKUlT_T0_E_clISt17integral_constantIbLb1EES19_EEDaS14_S15_EUlS14_E_NS1_11comp_targetILNS1_3genE10ELNS1_11target_archE1200ELNS1_3gpuE4ELNS1_3repE0EEENS1_30default_config_static_selectorELNS0_4arch9wavefront6targetE1EEEvT1_,comdat
	.protected	_ZN7rocprim17ROCPRIM_400000_NS6detail17trampoline_kernelINS0_14default_configENS1_25partition_config_selectorILNS1_17partition_subalgoE0EiNS0_10empty_typeEbEEZZNS1_14partition_implILS5_0ELb0ES3_jN6thrust23THRUST_200600_302600_NS6detail15normal_iteratorINSA_10device_ptrIiEEEEPS6_SG_NS0_5tupleIJSF_NSA_16discard_iteratorINSA_11use_defaultEEEEEENSH_IJSG_SG_EEES6_PlJ7is_evenIiEEEE10hipError_tPvRmT3_T4_T5_T6_T7_T9_mT8_P12ihipStream_tbDpT10_ENKUlT_T0_E_clISt17integral_constantIbLb1EES19_EEDaS14_S15_EUlS14_E_NS1_11comp_targetILNS1_3genE10ELNS1_11target_archE1200ELNS1_3gpuE4ELNS1_3repE0EEENS1_30default_config_static_selectorELNS0_4arch9wavefront6targetE1EEEvT1_ ; -- Begin function _ZN7rocprim17ROCPRIM_400000_NS6detail17trampoline_kernelINS0_14default_configENS1_25partition_config_selectorILNS1_17partition_subalgoE0EiNS0_10empty_typeEbEEZZNS1_14partition_implILS5_0ELb0ES3_jN6thrust23THRUST_200600_302600_NS6detail15normal_iteratorINSA_10device_ptrIiEEEEPS6_SG_NS0_5tupleIJSF_NSA_16discard_iteratorINSA_11use_defaultEEEEEENSH_IJSG_SG_EEES6_PlJ7is_evenIiEEEE10hipError_tPvRmT3_T4_T5_T6_T7_T9_mT8_P12ihipStream_tbDpT10_ENKUlT_T0_E_clISt17integral_constantIbLb1EES19_EEDaS14_S15_EUlS14_E_NS1_11comp_targetILNS1_3genE10ELNS1_11target_archE1200ELNS1_3gpuE4ELNS1_3repE0EEENS1_30default_config_static_selectorELNS0_4arch9wavefront6targetE1EEEvT1_
	.globl	_ZN7rocprim17ROCPRIM_400000_NS6detail17trampoline_kernelINS0_14default_configENS1_25partition_config_selectorILNS1_17partition_subalgoE0EiNS0_10empty_typeEbEEZZNS1_14partition_implILS5_0ELb0ES3_jN6thrust23THRUST_200600_302600_NS6detail15normal_iteratorINSA_10device_ptrIiEEEEPS6_SG_NS0_5tupleIJSF_NSA_16discard_iteratorINSA_11use_defaultEEEEEENSH_IJSG_SG_EEES6_PlJ7is_evenIiEEEE10hipError_tPvRmT3_T4_T5_T6_T7_T9_mT8_P12ihipStream_tbDpT10_ENKUlT_T0_E_clISt17integral_constantIbLb1EES19_EEDaS14_S15_EUlS14_E_NS1_11comp_targetILNS1_3genE10ELNS1_11target_archE1200ELNS1_3gpuE4ELNS1_3repE0EEENS1_30default_config_static_selectorELNS0_4arch9wavefront6targetE1EEEvT1_
	.p2align	8
	.type	_ZN7rocprim17ROCPRIM_400000_NS6detail17trampoline_kernelINS0_14default_configENS1_25partition_config_selectorILNS1_17partition_subalgoE0EiNS0_10empty_typeEbEEZZNS1_14partition_implILS5_0ELb0ES3_jN6thrust23THRUST_200600_302600_NS6detail15normal_iteratorINSA_10device_ptrIiEEEEPS6_SG_NS0_5tupleIJSF_NSA_16discard_iteratorINSA_11use_defaultEEEEEENSH_IJSG_SG_EEES6_PlJ7is_evenIiEEEE10hipError_tPvRmT3_T4_T5_T6_T7_T9_mT8_P12ihipStream_tbDpT10_ENKUlT_T0_E_clISt17integral_constantIbLb1EES19_EEDaS14_S15_EUlS14_E_NS1_11comp_targetILNS1_3genE10ELNS1_11target_archE1200ELNS1_3gpuE4ELNS1_3repE0EEENS1_30default_config_static_selectorELNS0_4arch9wavefront6targetE1EEEvT1_,@function
_ZN7rocprim17ROCPRIM_400000_NS6detail17trampoline_kernelINS0_14default_configENS1_25partition_config_selectorILNS1_17partition_subalgoE0EiNS0_10empty_typeEbEEZZNS1_14partition_implILS5_0ELb0ES3_jN6thrust23THRUST_200600_302600_NS6detail15normal_iteratorINSA_10device_ptrIiEEEEPS6_SG_NS0_5tupleIJSF_NSA_16discard_iteratorINSA_11use_defaultEEEEEENSH_IJSG_SG_EEES6_PlJ7is_evenIiEEEE10hipError_tPvRmT3_T4_T5_T6_T7_T9_mT8_P12ihipStream_tbDpT10_ENKUlT_T0_E_clISt17integral_constantIbLb1EES19_EEDaS14_S15_EUlS14_E_NS1_11comp_targetILNS1_3genE10ELNS1_11target_archE1200ELNS1_3gpuE4ELNS1_3repE0EEENS1_30default_config_static_selectorELNS0_4arch9wavefront6targetE1EEEvT1_: ; @_ZN7rocprim17ROCPRIM_400000_NS6detail17trampoline_kernelINS0_14default_configENS1_25partition_config_selectorILNS1_17partition_subalgoE0EiNS0_10empty_typeEbEEZZNS1_14partition_implILS5_0ELb0ES3_jN6thrust23THRUST_200600_302600_NS6detail15normal_iteratorINSA_10device_ptrIiEEEEPS6_SG_NS0_5tupleIJSF_NSA_16discard_iteratorINSA_11use_defaultEEEEEENSH_IJSG_SG_EEES6_PlJ7is_evenIiEEEE10hipError_tPvRmT3_T4_T5_T6_T7_T9_mT8_P12ihipStream_tbDpT10_ENKUlT_T0_E_clISt17integral_constantIbLb1EES19_EEDaS14_S15_EUlS14_E_NS1_11comp_targetILNS1_3genE10ELNS1_11target_archE1200ELNS1_3gpuE4ELNS1_3repE0EEENS1_30default_config_static_selectorELNS0_4arch9wavefront6targetE1EEEvT1_
; %bb.0:
	.section	.rodata,"a",@progbits
	.p2align	6, 0x0
	.amdhsa_kernel _ZN7rocprim17ROCPRIM_400000_NS6detail17trampoline_kernelINS0_14default_configENS1_25partition_config_selectorILNS1_17partition_subalgoE0EiNS0_10empty_typeEbEEZZNS1_14partition_implILS5_0ELb0ES3_jN6thrust23THRUST_200600_302600_NS6detail15normal_iteratorINSA_10device_ptrIiEEEEPS6_SG_NS0_5tupleIJSF_NSA_16discard_iteratorINSA_11use_defaultEEEEEENSH_IJSG_SG_EEES6_PlJ7is_evenIiEEEE10hipError_tPvRmT3_T4_T5_T6_T7_T9_mT8_P12ihipStream_tbDpT10_ENKUlT_T0_E_clISt17integral_constantIbLb1EES19_EEDaS14_S15_EUlS14_E_NS1_11comp_targetILNS1_3genE10ELNS1_11target_archE1200ELNS1_3gpuE4ELNS1_3repE0EEENS1_30default_config_static_selectorELNS0_4arch9wavefront6targetE1EEEvT1_
		.amdhsa_group_segment_fixed_size 0
		.amdhsa_private_segment_fixed_size 0
		.amdhsa_kernarg_size 144
		.amdhsa_user_sgpr_count 6
		.amdhsa_user_sgpr_private_segment_buffer 1
		.amdhsa_user_sgpr_dispatch_ptr 0
		.amdhsa_user_sgpr_queue_ptr 0
		.amdhsa_user_sgpr_kernarg_segment_ptr 1
		.amdhsa_user_sgpr_dispatch_id 0
		.amdhsa_user_sgpr_flat_scratch_init 0
		.amdhsa_user_sgpr_kernarg_preload_length 0
		.amdhsa_user_sgpr_kernarg_preload_offset 0
		.amdhsa_user_sgpr_private_segment_size 0
		.amdhsa_uses_dynamic_stack 0
		.amdhsa_system_sgpr_private_segment_wavefront_offset 0
		.amdhsa_system_sgpr_workgroup_id_x 1
		.amdhsa_system_sgpr_workgroup_id_y 0
		.amdhsa_system_sgpr_workgroup_id_z 0
		.amdhsa_system_sgpr_workgroup_info 0
		.amdhsa_system_vgpr_workitem_id 0
		.amdhsa_next_free_vgpr 1
		.amdhsa_next_free_sgpr 0
		.amdhsa_accum_offset 4
		.amdhsa_reserve_vcc 0
		.amdhsa_reserve_flat_scratch 0
		.amdhsa_float_round_mode_32 0
		.amdhsa_float_round_mode_16_64 0
		.amdhsa_float_denorm_mode_32 3
		.amdhsa_float_denorm_mode_16_64 3
		.amdhsa_dx10_clamp 1
		.amdhsa_ieee_mode 1
		.amdhsa_fp16_overflow 0
		.amdhsa_tg_split 0
		.amdhsa_exception_fp_ieee_invalid_op 0
		.amdhsa_exception_fp_denorm_src 0
		.amdhsa_exception_fp_ieee_div_zero 0
		.amdhsa_exception_fp_ieee_overflow 0
		.amdhsa_exception_fp_ieee_underflow 0
		.amdhsa_exception_fp_ieee_inexact 0
		.amdhsa_exception_int_div_zero 0
	.end_amdhsa_kernel
	.section	.text._ZN7rocprim17ROCPRIM_400000_NS6detail17trampoline_kernelINS0_14default_configENS1_25partition_config_selectorILNS1_17partition_subalgoE0EiNS0_10empty_typeEbEEZZNS1_14partition_implILS5_0ELb0ES3_jN6thrust23THRUST_200600_302600_NS6detail15normal_iteratorINSA_10device_ptrIiEEEEPS6_SG_NS0_5tupleIJSF_NSA_16discard_iteratorINSA_11use_defaultEEEEEENSH_IJSG_SG_EEES6_PlJ7is_evenIiEEEE10hipError_tPvRmT3_T4_T5_T6_T7_T9_mT8_P12ihipStream_tbDpT10_ENKUlT_T0_E_clISt17integral_constantIbLb1EES19_EEDaS14_S15_EUlS14_E_NS1_11comp_targetILNS1_3genE10ELNS1_11target_archE1200ELNS1_3gpuE4ELNS1_3repE0EEENS1_30default_config_static_selectorELNS0_4arch9wavefront6targetE1EEEvT1_,"axG",@progbits,_ZN7rocprim17ROCPRIM_400000_NS6detail17trampoline_kernelINS0_14default_configENS1_25partition_config_selectorILNS1_17partition_subalgoE0EiNS0_10empty_typeEbEEZZNS1_14partition_implILS5_0ELb0ES3_jN6thrust23THRUST_200600_302600_NS6detail15normal_iteratorINSA_10device_ptrIiEEEEPS6_SG_NS0_5tupleIJSF_NSA_16discard_iteratorINSA_11use_defaultEEEEEENSH_IJSG_SG_EEES6_PlJ7is_evenIiEEEE10hipError_tPvRmT3_T4_T5_T6_T7_T9_mT8_P12ihipStream_tbDpT10_ENKUlT_T0_E_clISt17integral_constantIbLb1EES19_EEDaS14_S15_EUlS14_E_NS1_11comp_targetILNS1_3genE10ELNS1_11target_archE1200ELNS1_3gpuE4ELNS1_3repE0EEENS1_30default_config_static_selectorELNS0_4arch9wavefront6targetE1EEEvT1_,comdat
.Lfunc_end2728:
	.size	_ZN7rocprim17ROCPRIM_400000_NS6detail17trampoline_kernelINS0_14default_configENS1_25partition_config_selectorILNS1_17partition_subalgoE0EiNS0_10empty_typeEbEEZZNS1_14partition_implILS5_0ELb0ES3_jN6thrust23THRUST_200600_302600_NS6detail15normal_iteratorINSA_10device_ptrIiEEEEPS6_SG_NS0_5tupleIJSF_NSA_16discard_iteratorINSA_11use_defaultEEEEEENSH_IJSG_SG_EEES6_PlJ7is_evenIiEEEE10hipError_tPvRmT3_T4_T5_T6_T7_T9_mT8_P12ihipStream_tbDpT10_ENKUlT_T0_E_clISt17integral_constantIbLb1EES19_EEDaS14_S15_EUlS14_E_NS1_11comp_targetILNS1_3genE10ELNS1_11target_archE1200ELNS1_3gpuE4ELNS1_3repE0EEENS1_30default_config_static_selectorELNS0_4arch9wavefront6targetE1EEEvT1_, .Lfunc_end2728-_ZN7rocprim17ROCPRIM_400000_NS6detail17trampoline_kernelINS0_14default_configENS1_25partition_config_selectorILNS1_17partition_subalgoE0EiNS0_10empty_typeEbEEZZNS1_14partition_implILS5_0ELb0ES3_jN6thrust23THRUST_200600_302600_NS6detail15normal_iteratorINSA_10device_ptrIiEEEEPS6_SG_NS0_5tupleIJSF_NSA_16discard_iteratorINSA_11use_defaultEEEEEENSH_IJSG_SG_EEES6_PlJ7is_evenIiEEEE10hipError_tPvRmT3_T4_T5_T6_T7_T9_mT8_P12ihipStream_tbDpT10_ENKUlT_T0_E_clISt17integral_constantIbLb1EES19_EEDaS14_S15_EUlS14_E_NS1_11comp_targetILNS1_3genE10ELNS1_11target_archE1200ELNS1_3gpuE4ELNS1_3repE0EEENS1_30default_config_static_selectorELNS0_4arch9wavefront6targetE1EEEvT1_
                                        ; -- End function
	.section	.AMDGPU.csdata,"",@progbits
; Kernel info:
; codeLenInByte = 0
; NumSgprs: 4
; NumVgprs: 0
; NumAgprs: 0
; TotalNumVgprs: 0
; ScratchSize: 0
; MemoryBound: 0
; FloatMode: 240
; IeeeMode: 1
; LDSByteSize: 0 bytes/workgroup (compile time only)
; SGPRBlocks: 0
; VGPRBlocks: 0
; NumSGPRsForWavesPerEU: 4
; NumVGPRsForWavesPerEU: 1
; AccumOffset: 4
; Occupancy: 8
; WaveLimiterHint : 0
; COMPUTE_PGM_RSRC2:SCRATCH_EN: 0
; COMPUTE_PGM_RSRC2:USER_SGPR: 6
; COMPUTE_PGM_RSRC2:TRAP_HANDLER: 0
; COMPUTE_PGM_RSRC2:TGID_X_EN: 1
; COMPUTE_PGM_RSRC2:TGID_Y_EN: 0
; COMPUTE_PGM_RSRC2:TGID_Z_EN: 0
; COMPUTE_PGM_RSRC2:TIDIG_COMP_CNT: 0
; COMPUTE_PGM_RSRC3_GFX90A:ACCUM_OFFSET: 0
; COMPUTE_PGM_RSRC3_GFX90A:TG_SPLIT: 0
	.section	.text._ZN7rocprim17ROCPRIM_400000_NS6detail17trampoline_kernelINS0_14default_configENS1_25partition_config_selectorILNS1_17partition_subalgoE0EiNS0_10empty_typeEbEEZZNS1_14partition_implILS5_0ELb0ES3_jN6thrust23THRUST_200600_302600_NS6detail15normal_iteratorINSA_10device_ptrIiEEEEPS6_SG_NS0_5tupleIJSF_NSA_16discard_iteratorINSA_11use_defaultEEEEEENSH_IJSG_SG_EEES6_PlJ7is_evenIiEEEE10hipError_tPvRmT3_T4_T5_T6_T7_T9_mT8_P12ihipStream_tbDpT10_ENKUlT_T0_E_clISt17integral_constantIbLb1EES19_EEDaS14_S15_EUlS14_E_NS1_11comp_targetILNS1_3genE9ELNS1_11target_archE1100ELNS1_3gpuE3ELNS1_3repE0EEENS1_30default_config_static_selectorELNS0_4arch9wavefront6targetE1EEEvT1_,"axG",@progbits,_ZN7rocprim17ROCPRIM_400000_NS6detail17trampoline_kernelINS0_14default_configENS1_25partition_config_selectorILNS1_17partition_subalgoE0EiNS0_10empty_typeEbEEZZNS1_14partition_implILS5_0ELb0ES3_jN6thrust23THRUST_200600_302600_NS6detail15normal_iteratorINSA_10device_ptrIiEEEEPS6_SG_NS0_5tupleIJSF_NSA_16discard_iteratorINSA_11use_defaultEEEEEENSH_IJSG_SG_EEES6_PlJ7is_evenIiEEEE10hipError_tPvRmT3_T4_T5_T6_T7_T9_mT8_P12ihipStream_tbDpT10_ENKUlT_T0_E_clISt17integral_constantIbLb1EES19_EEDaS14_S15_EUlS14_E_NS1_11comp_targetILNS1_3genE9ELNS1_11target_archE1100ELNS1_3gpuE3ELNS1_3repE0EEENS1_30default_config_static_selectorELNS0_4arch9wavefront6targetE1EEEvT1_,comdat
	.protected	_ZN7rocprim17ROCPRIM_400000_NS6detail17trampoline_kernelINS0_14default_configENS1_25partition_config_selectorILNS1_17partition_subalgoE0EiNS0_10empty_typeEbEEZZNS1_14partition_implILS5_0ELb0ES3_jN6thrust23THRUST_200600_302600_NS6detail15normal_iteratorINSA_10device_ptrIiEEEEPS6_SG_NS0_5tupleIJSF_NSA_16discard_iteratorINSA_11use_defaultEEEEEENSH_IJSG_SG_EEES6_PlJ7is_evenIiEEEE10hipError_tPvRmT3_T4_T5_T6_T7_T9_mT8_P12ihipStream_tbDpT10_ENKUlT_T0_E_clISt17integral_constantIbLb1EES19_EEDaS14_S15_EUlS14_E_NS1_11comp_targetILNS1_3genE9ELNS1_11target_archE1100ELNS1_3gpuE3ELNS1_3repE0EEENS1_30default_config_static_selectorELNS0_4arch9wavefront6targetE1EEEvT1_ ; -- Begin function _ZN7rocprim17ROCPRIM_400000_NS6detail17trampoline_kernelINS0_14default_configENS1_25partition_config_selectorILNS1_17partition_subalgoE0EiNS0_10empty_typeEbEEZZNS1_14partition_implILS5_0ELb0ES3_jN6thrust23THRUST_200600_302600_NS6detail15normal_iteratorINSA_10device_ptrIiEEEEPS6_SG_NS0_5tupleIJSF_NSA_16discard_iteratorINSA_11use_defaultEEEEEENSH_IJSG_SG_EEES6_PlJ7is_evenIiEEEE10hipError_tPvRmT3_T4_T5_T6_T7_T9_mT8_P12ihipStream_tbDpT10_ENKUlT_T0_E_clISt17integral_constantIbLb1EES19_EEDaS14_S15_EUlS14_E_NS1_11comp_targetILNS1_3genE9ELNS1_11target_archE1100ELNS1_3gpuE3ELNS1_3repE0EEENS1_30default_config_static_selectorELNS0_4arch9wavefront6targetE1EEEvT1_
	.globl	_ZN7rocprim17ROCPRIM_400000_NS6detail17trampoline_kernelINS0_14default_configENS1_25partition_config_selectorILNS1_17partition_subalgoE0EiNS0_10empty_typeEbEEZZNS1_14partition_implILS5_0ELb0ES3_jN6thrust23THRUST_200600_302600_NS6detail15normal_iteratorINSA_10device_ptrIiEEEEPS6_SG_NS0_5tupleIJSF_NSA_16discard_iteratorINSA_11use_defaultEEEEEENSH_IJSG_SG_EEES6_PlJ7is_evenIiEEEE10hipError_tPvRmT3_T4_T5_T6_T7_T9_mT8_P12ihipStream_tbDpT10_ENKUlT_T0_E_clISt17integral_constantIbLb1EES19_EEDaS14_S15_EUlS14_E_NS1_11comp_targetILNS1_3genE9ELNS1_11target_archE1100ELNS1_3gpuE3ELNS1_3repE0EEENS1_30default_config_static_selectorELNS0_4arch9wavefront6targetE1EEEvT1_
	.p2align	8
	.type	_ZN7rocprim17ROCPRIM_400000_NS6detail17trampoline_kernelINS0_14default_configENS1_25partition_config_selectorILNS1_17partition_subalgoE0EiNS0_10empty_typeEbEEZZNS1_14partition_implILS5_0ELb0ES3_jN6thrust23THRUST_200600_302600_NS6detail15normal_iteratorINSA_10device_ptrIiEEEEPS6_SG_NS0_5tupleIJSF_NSA_16discard_iteratorINSA_11use_defaultEEEEEENSH_IJSG_SG_EEES6_PlJ7is_evenIiEEEE10hipError_tPvRmT3_T4_T5_T6_T7_T9_mT8_P12ihipStream_tbDpT10_ENKUlT_T0_E_clISt17integral_constantIbLb1EES19_EEDaS14_S15_EUlS14_E_NS1_11comp_targetILNS1_3genE9ELNS1_11target_archE1100ELNS1_3gpuE3ELNS1_3repE0EEENS1_30default_config_static_selectorELNS0_4arch9wavefront6targetE1EEEvT1_,@function
_ZN7rocprim17ROCPRIM_400000_NS6detail17trampoline_kernelINS0_14default_configENS1_25partition_config_selectorILNS1_17partition_subalgoE0EiNS0_10empty_typeEbEEZZNS1_14partition_implILS5_0ELb0ES3_jN6thrust23THRUST_200600_302600_NS6detail15normal_iteratorINSA_10device_ptrIiEEEEPS6_SG_NS0_5tupleIJSF_NSA_16discard_iteratorINSA_11use_defaultEEEEEENSH_IJSG_SG_EEES6_PlJ7is_evenIiEEEE10hipError_tPvRmT3_T4_T5_T6_T7_T9_mT8_P12ihipStream_tbDpT10_ENKUlT_T0_E_clISt17integral_constantIbLb1EES19_EEDaS14_S15_EUlS14_E_NS1_11comp_targetILNS1_3genE9ELNS1_11target_archE1100ELNS1_3gpuE3ELNS1_3repE0EEENS1_30default_config_static_selectorELNS0_4arch9wavefront6targetE1EEEvT1_: ; @_ZN7rocprim17ROCPRIM_400000_NS6detail17trampoline_kernelINS0_14default_configENS1_25partition_config_selectorILNS1_17partition_subalgoE0EiNS0_10empty_typeEbEEZZNS1_14partition_implILS5_0ELb0ES3_jN6thrust23THRUST_200600_302600_NS6detail15normal_iteratorINSA_10device_ptrIiEEEEPS6_SG_NS0_5tupleIJSF_NSA_16discard_iteratorINSA_11use_defaultEEEEEENSH_IJSG_SG_EEES6_PlJ7is_evenIiEEEE10hipError_tPvRmT3_T4_T5_T6_T7_T9_mT8_P12ihipStream_tbDpT10_ENKUlT_T0_E_clISt17integral_constantIbLb1EES19_EEDaS14_S15_EUlS14_E_NS1_11comp_targetILNS1_3genE9ELNS1_11target_archE1100ELNS1_3gpuE3ELNS1_3repE0EEENS1_30default_config_static_selectorELNS0_4arch9wavefront6targetE1EEEvT1_
; %bb.0:
	.section	.rodata,"a",@progbits
	.p2align	6, 0x0
	.amdhsa_kernel _ZN7rocprim17ROCPRIM_400000_NS6detail17trampoline_kernelINS0_14default_configENS1_25partition_config_selectorILNS1_17partition_subalgoE0EiNS0_10empty_typeEbEEZZNS1_14partition_implILS5_0ELb0ES3_jN6thrust23THRUST_200600_302600_NS6detail15normal_iteratorINSA_10device_ptrIiEEEEPS6_SG_NS0_5tupleIJSF_NSA_16discard_iteratorINSA_11use_defaultEEEEEENSH_IJSG_SG_EEES6_PlJ7is_evenIiEEEE10hipError_tPvRmT3_T4_T5_T6_T7_T9_mT8_P12ihipStream_tbDpT10_ENKUlT_T0_E_clISt17integral_constantIbLb1EES19_EEDaS14_S15_EUlS14_E_NS1_11comp_targetILNS1_3genE9ELNS1_11target_archE1100ELNS1_3gpuE3ELNS1_3repE0EEENS1_30default_config_static_selectorELNS0_4arch9wavefront6targetE1EEEvT1_
		.amdhsa_group_segment_fixed_size 0
		.amdhsa_private_segment_fixed_size 0
		.amdhsa_kernarg_size 144
		.amdhsa_user_sgpr_count 6
		.amdhsa_user_sgpr_private_segment_buffer 1
		.amdhsa_user_sgpr_dispatch_ptr 0
		.amdhsa_user_sgpr_queue_ptr 0
		.amdhsa_user_sgpr_kernarg_segment_ptr 1
		.amdhsa_user_sgpr_dispatch_id 0
		.amdhsa_user_sgpr_flat_scratch_init 0
		.amdhsa_user_sgpr_kernarg_preload_length 0
		.amdhsa_user_sgpr_kernarg_preload_offset 0
		.amdhsa_user_sgpr_private_segment_size 0
		.amdhsa_uses_dynamic_stack 0
		.amdhsa_system_sgpr_private_segment_wavefront_offset 0
		.amdhsa_system_sgpr_workgroup_id_x 1
		.amdhsa_system_sgpr_workgroup_id_y 0
		.amdhsa_system_sgpr_workgroup_id_z 0
		.amdhsa_system_sgpr_workgroup_info 0
		.amdhsa_system_vgpr_workitem_id 0
		.amdhsa_next_free_vgpr 1
		.amdhsa_next_free_sgpr 0
		.amdhsa_accum_offset 4
		.amdhsa_reserve_vcc 0
		.amdhsa_reserve_flat_scratch 0
		.amdhsa_float_round_mode_32 0
		.amdhsa_float_round_mode_16_64 0
		.amdhsa_float_denorm_mode_32 3
		.amdhsa_float_denorm_mode_16_64 3
		.amdhsa_dx10_clamp 1
		.amdhsa_ieee_mode 1
		.amdhsa_fp16_overflow 0
		.amdhsa_tg_split 0
		.amdhsa_exception_fp_ieee_invalid_op 0
		.amdhsa_exception_fp_denorm_src 0
		.amdhsa_exception_fp_ieee_div_zero 0
		.amdhsa_exception_fp_ieee_overflow 0
		.amdhsa_exception_fp_ieee_underflow 0
		.amdhsa_exception_fp_ieee_inexact 0
		.amdhsa_exception_int_div_zero 0
	.end_amdhsa_kernel
	.section	.text._ZN7rocprim17ROCPRIM_400000_NS6detail17trampoline_kernelINS0_14default_configENS1_25partition_config_selectorILNS1_17partition_subalgoE0EiNS0_10empty_typeEbEEZZNS1_14partition_implILS5_0ELb0ES3_jN6thrust23THRUST_200600_302600_NS6detail15normal_iteratorINSA_10device_ptrIiEEEEPS6_SG_NS0_5tupleIJSF_NSA_16discard_iteratorINSA_11use_defaultEEEEEENSH_IJSG_SG_EEES6_PlJ7is_evenIiEEEE10hipError_tPvRmT3_T4_T5_T6_T7_T9_mT8_P12ihipStream_tbDpT10_ENKUlT_T0_E_clISt17integral_constantIbLb1EES19_EEDaS14_S15_EUlS14_E_NS1_11comp_targetILNS1_3genE9ELNS1_11target_archE1100ELNS1_3gpuE3ELNS1_3repE0EEENS1_30default_config_static_selectorELNS0_4arch9wavefront6targetE1EEEvT1_,"axG",@progbits,_ZN7rocprim17ROCPRIM_400000_NS6detail17trampoline_kernelINS0_14default_configENS1_25partition_config_selectorILNS1_17partition_subalgoE0EiNS0_10empty_typeEbEEZZNS1_14partition_implILS5_0ELb0ES3_jN6thrust23THRUST_200600_302600_NS6detail15normal_iteratorINSA_10device_ptrIiEEEEPS6_SG_NS0_5tupleIJSF_NSA_16discard_iteratorINSA_11use_defaultEEEEEENSH_IJSG_SG_EEES6_PlJ7is_evenIiEEEE10hipError_tPvRmT3_T4_T5_T6_T7_T9_mT8_P12ihipStream_tbDpT10_ENKUlT_T0_E_clISt17integral_constantIbLb1EES19_EEDaS14_S15_EUlS14_E_NS1_11comp_targetILNS1_3genE9ELNS1_11target_archE1100ELNS1_3gpuE3ELNS1_3repE0EEENS1_30default_config_static_selectorELNS0_4arch9wavefront6targetE1EEEvT1_,comdat
.Lfunc_end2729:
	.size	_ZN7rocprim17ROCPRIM_400000_NS6detail17trampoline_kernelINS0_14default_configENS1_25partition_config_selectorILNS1_17partition_subalgoE0EiNS0_10empty_typeEbEEZZNS1_14partition_implILS5_0ELb0ES3_jN6thrust23THRUST_200600_302600_NS6detail15normal_iteratorINSA_10device_ptrIiEEEEPS6_SG_NS0_5tupleIJSF_NSA_16discard_iteratorINSA_11use_defaultEEEEEENSH_IJSG_SG_EEES6_PlJ7is_evenIiEEEE10hipError_tPvRmT3_T4_T5_T6_T7_T9_mT8_P12ihipStream_tbDpT10_ENKUlT_T0_E_clISt17integral_constantIbLb1EES19_EEDaS14_S15_EUlS14_E_NS1_11comp_targetILNS1_3genE9ELNS1_11target_archE1100ELNS1_3gpuE3ELNS1_3repE0EEENS1_30default_config_static_selectorELNS0_4arch9wavefront6targetE1EEEvT1_, .Lfunc_end2729-_ZN7rocprim17ROCPRIM_400000_NS6detail17trampoline_kernelINS0_14default_configENS1_25partition_config_selectorILNS1_17partition_subalgoE0EiNS0_10empty_typeEbEEZZNS1_14partition_implILS5_0ELb0ES3_jN6thrust23THRUST_200600_302600_NS6detail15normal_iteratorINSA_10device_ptrIiEEEEPS6_SG_NS0_5tupleIJSF_NSA_16discard_iteratorINSA_11use_defaultEEEEEENSH_IJSG_SG_EEES6_PlJ7is_evenIiEEEE10hipError_tPvRmT3_T4_T5_T6_T7_T9_mT8_P12ihipStream_tbDpT10_ENKUlT_T0_E_clISt17integral_constantIbLb1EES19_EEDaS14_S15_EUlS14_E_NS1_11comp_targetILNS1_3genE9ELNS1_11target_archE1100ELNS1_3gpuE3ELNS1_3repE0EEENS1_30default_config_static_selectorELNS0_4arch9wavefront6targetE1EEEvT1_
                                        ; -- End function
	.section	.AMDGPU.csdata,"",@progbits
; Kernel info:
; codeLenInByte = 0
; NumSgprs: 4
; NumVgprs: 0
; NumAgprs: 0
; TotalNumVgprs: 0
; ScratchSize: 0
; MemoryBound: 0
; FloatMode: 240
; IeeeMode: 1
; LDSByteSize: 0 bytes/workgroup (compile time only)
; SGPRBlocks: 0
; VGPRBlocks: 0
; NumSGPRsForWavesPerEU: 4
; NumVGPRsForWavesPerEU: 1
; AccumOffset: 4
; Occupancy: 8
; WaveLimiterHint : 0
; COMPUTE_PGM_RSRC2:SCRATCH_EN: 0
; COMPUTE_PGM_RSRC2:USER_SGPR: 6
; COMPUTE_PGM_RSRC2:TRAP_HANDLER: 0
; COMPUTE_PGM_RSRC2:TGID_X_EN: 1
; COMPUTE_PGM_RSRC2:TGID_Y_EN: 0
; COMPUTE_PGM_RSRC2:TGID_Z_EN: 0
; COMPUTE_PGM_RSRC2:TIDIG_COMP_CNT: 0
; COMPUTE_PGM_RSRC3_GFX90A:ACCUM_OFFSET: 0
; COMPUTE_PGM_RSRC3_GFX90A:TG_SPLIT: 0
	.section	.text._ZN7rocprim17ROCPRIM_400000_NS6detail17trampoline_kernelINS0_14default_configENS1_25partition_config_selectorILNS1_17partition_subalgoE0EiNS0_10empty_typeEbEEZZNS1_14partition_implILS5_0ELb0ES3_jN6thrust23THRUST_200600_302600_NS6detail15normal_iteratorINSA_10device_ptrIiEEEEPS6_SG_NS0_5tupleIJSF_NSA_16discard_iteratorINSA_11use_defaultEEEEEENSH_IJSG_SG_EEES6_PlJ7is_evenIiEEEE10hipError_tPvRmT3_T4_T5_T6_T7_T9_mT8_P12ihipStream_tbDpT10_ENKUlT_T0_E_clISt17integral_constantIbLb1EES19_EEDaS14_S15_EUlS14_E_NS1_11comp_targetILNS1_3genE8ELNS1_11target_archE1030ELNS1_3gpuE2ELNS1_3repE0EEENS1_30default_config_static_selectorELNS0_4arch9wavefront6targetE1EEEvT1_,"axG",@progbits,_ZN7rocprim17ROCPRIM_400000_NS6detail17trampoline_kernelINS0_14default_configENS1_25partition_config_selectorILNS1_17partition_subalgoE0EiNS0_10empty_typeEbEEZZNS1_14partition_implILS5_0ELb0ES3_jN6thrust23THRUST_200600_302600_NS6detail15normal_iteratorINSA_10device_ptrIiEEEEPS6_SG_NS0_5tupleIJSF_NSA_16discard_iteratorINSA_11use_defaultEEEEEENSH_IJSG_SG_EEES6_PlJ7is_evenIiEEEE10hipError_tPvRmT3_T4_T5_T6_T7_T9_mT8_P12ihipStream_tbDpT10_ENKUlT_T0_E_clISt17integral_constantIbLb1EES19_EEDaS14_S15_EUlS14_E_NS1_11comp_targetILNS1_3genE8ELNS1_11target_archE1030ELNS1_3gpuE2ELNS1_3repE0EEENS1_30default_config_static_selectorELNS0_4arch9wavefront6targetE1EEEvT1_,comdat
	.protected	_ZN7rocprim17ROCPRIM_400000_NS6detail17trampoline_kernelINS0_14default_configENS1_25partition_config_selectorILNS1_17partition_subalgoE0EiNS0_10empty_typeEbEEZZNS1_14partition_implILS5_0ELb0ES3_jN6thrust23THRUST_200600_302600_NS6detail15normal_iteratorINSA_10device_ptrIiEEEEPS6_SG_NS0_5tupleIJSF_NSA_16discard_iteratorINSA_11use_defaultEEEEEENSH_IJSG_SG_EEES6_PlJ7is_evenIiEEEE10hipError_tPvRmT3_T4_T5_T6_T7_T9_mT8_P12ihipStream_tbDpT10_ENKUlT_T0_E_clISt17integral_constantIbLb1EES19_EEDaS14_S15_EUlS14_E_NS1_11comp_targetILNS1_3genE8ELNS1_11target_archE1030ELNS1_3gpuE2ELNS1_3repE0EEENS1_30default_config_static_selectorELNS0_4arch9wavefront6targetE1EEEvT1_ ; -- Begin function _ZN7rocprim17ROCPRIM_400000_NS6detail17trampoline_kernelINS0_14default_configENS1_25partition_config_selectorILNS1_17partition_subalgoE0EiNS0_10empty_typeEbEEZZNS1_14partition_implILS5_0ELb0ES3_jN6thrust23THRUST_200600_302600_NS6detail15normal_iteratorINSA_10device_ptrIiEEEEPS6_SG_NS0_5tupleIJSF_NSA_16discard_iteratorINSA_11use_defaultEEEEEENSH_IJSG_SG_EEES6_PlJ7is_evenIiEEEE10hipError_tPvRmT3_T4_T5_T6_T7_T9_mT8_P12ihipStream_tbDpT10_ENKUlT_T0_E_clISt17integral_constantIbLb1EES19_EEDaS14_S15_EUlS14_E_NS1_11comp_targetILNS1_3genE8ELNS1_11target_archE1030ELNS1_3gpuE2ELNS1_3repE0EEENS1_30default_config_static_selectorELNS0_4arch9wavefront6targetE1EEEvT1_
	.globl	_ZN7rocprim17ROCPRIM_400000_NS6detail17trampoline_kernelINS0_14default_configENS1_25partition_config_selectorILNS1_17partition_subalgoE0EiNS0_10empty_typeEbEEZZNS1_14partition_implILS5_0ELb0ES3_jN6thrust23THRUST_200600_302600_NS6detail15normal_iteratorINSA_10device_ptrIiEEEEPS6_SG_NS0_5tupleIJSF_NSA_16discard_iteratorINSA_11use_defaultEEEEEENSH_IJSG_SG_EEES6_PlJ7is_evenIiEEEE10hipError_tPvRmT3_T4_T5_T6_T7_T9_mT8_P12ihipStream_tbDpT10_ENKUlT_T0_E_clISt17integral_constantIbLb1EES19_EEDaS14_S15_EUlS14_E_NS1_11comp_targetILNS1_3genE8ELNS1_11target_archE1030ELNS1_3gpuE2ELNS1_3repE0EEENS1_30default_config_static_selectorELNS0_4arch9wavefront6targetE1EEEvT1_
	.p2align	8
	.type	_ZN7rocprim17ROCPRIM_400000_NS6detail17trampoline_kernelINS0_14default_configENS1_25partition_config_selectorILNS1_17partition_subalgoE0EiNS0_10empty_typeEbEEZZNS1_14partition_implILS5_0ELb0ES3_jN6thrust23THRUST_200600_302600_NS6detail15normal_iteratorINSA_10device_ptrIiEEEEPS6_SG_NS0_5tupleIJSF_NSA_16discard_iteratorINSA_11use_defaultEEEEEENSH_IJSG_SG_EEES6_PlJ7is_evenIiEEEE10hipError_tPvRmT3_T4_T5_T6_T7_T9_mT8_P12ihipStream_tbDpT10_ENKUlT_T0_E_clISt17integral_constantIbLb1EES19_EEDaS14_S15_EUlS14_E_NS1_11comp_targetILNS1_3genE8ELNS1_11target_archE1030ELNS1_3gpuE2ELNS1_3repE0EEENS1_30default_config_static_selectorELNS0_4arch9wavefront6targetE1EEEvT1_,@function
_ZN7rocprim17ROCPRIM_400000_NS6detail17trampoline_kernelINS0_14default_configENS1_25partition_config_selectorILNS1_17partition_subalgoE0EiNS0_10empty_typeEbEEZZNS1_14partition_implILS5_0ELb0ES3_jN6thrust23THRUST_200600_302600_NS6detail15normal_iteratorINSA_10device_ptrIiEEEEPS6_SG_NS0_5tupleIJSF_NSA_16discard_iteratorINSA_11use_defaultEEEEEENSH_IJSG_SG_EEES6_PlJ7is_evenIiEEEE10hipError_tPvRmT3_T4_T5_T6_T7_T9_mT8_P12ihipStream_tbDpT10_ENKUlT_T0_E_clISt17integral_constantIbLb1EES19_EEDaS14_S15_EUlS14_E_NS1_11comp_targetILNS1_3genE8ELNS1_11target_archE1030ELNS1_3gpuE2ELNS1_3repE0EEENS1_30default_config_static_selectorELNS0_4arch9wavefront6targetE1EEEvT1_: ; @_ZN7rocprim17ROCPRIM_400000_NS6detail17trampoline_kernelINS0_14default_configENS1_25partition_config_selectorILNS1_17partition_subalgoE0EiNS0_10empty_typeEbEEZZNS1_14partition_implILS5_0ELb0ES3_jN6thrust23THRUST_200600_302600_NS6detail15normal_iteratorINSA_10device_ptrIiEEEEPS6_SG_NS0_5tupleIJSF_NSA_16discard_iteratorINSA_11use_defaultEEEEEENSH_IJSG_SG_EEES6_PlJ7is_evenIiEEEE10hipError_tPvRmT3_T4_T5_T6_T7_T9_mT8_P12ihipStream_tbDpT10_ENKUlT_T0_E_clISt17integral_constantIbLb1EES19_EEDaS14_S15_EUlS14_E_NS1_11comp_targetILNS1_3genE8ELNS1_11target_archE1030ELNS1_3gpuE2ELNS1_3repE0EEENS1_30default_config_static_selectorELNS0_4arch9wavefront6targetE1EEEvT1_
; %bb.0:
	.section	.rodata,"a",@progbits
	.p2align	6, 0x0
	.amdhsa_kernel _ZN7rocprim17ROCPRIM_400000_NS6detail17trampoline_kernelINS0_14default_configENS1_25partition_config_selectorILNS1_17partition_subalgoE0EiNS0_10empty_typeEbEEZZNS1_14partition_implILS5_0ELb0ES3_jN6thrust23THRUST_200600_302600_NS6detail15normal_iteratorINSA_10device_ptrIiEEEEPS6_SG_NS0_5tupleIJSF_NSA_16discard_iteratorINSA_11use_defaultEEEEEENSH_IJSG_SG_EEES6_PlJ7is_evenIiEEEE10hipError_tPvRmT3_T4_T5_T6_T7_T9_mT8_P12ihipStream_tbDpT10_ENKUlT_T0_E_clISt17integral_constantIbLb1EES19_EEDaS14_S15_EUlS14_E_NS1_11comp_targetILNS1_3genE8ELNS1_11target_archE1030ELNS1_3gpuE2ELNS1_3repE0EEENS1_30default_config_static_selectorELNS0_4arch9wavefront6targetE1EEEvT1_
		.amdhsa_group_segment_fixed_size 0
		.amdhsa_private_segment_fixed_size 0
		.amdhsa_kernarg_size 144
		.amdhsa_user_sgpr_count 6
		.amdhsa_user_sgpr_private_segment_buffer 1
		.amdhsa_user_sgpr_dispatch_ptr 0
		.amdhsa_user_sgpr_queue_ptr 0
		.amdhsa_user_sgpr_kernarg_segment_ptr 1
		.amdhsa_user_sgpr_dispatch_id 0
		.amdhsa_user_sgpr_flat_scratch_init 0
		.amdhsa_user_sgpr_kernarg_preload_length 0
		.amdhsa_user_sgpr_kernarg_preload_offset 0
		.amdhsa_user_sgpr_private_segment_size 0
		.amdhsa_uses_dynamic_stack 0
		.amdhsa_system_sgpr_private_segment_wavefront_offset 0
		.amdhsa_system_sgpr_workgroup_id_x 1
		.amdhsa_system_sgpr_workgroup_id_y 0
		.amdhsa_system_sgpr_workgroup_id_z 0
		.amdhsa_system_sgpr_workgroup_info 0
		.amdhsa_system_vgpr_workitem_id 0
		.amdhsa_next_free_vgpr 1
		.amdhsa_next_free_sgpr 0
		.amdhsa_accum_offset 4
		.amdhsa_reserve_vcc 0
		.amdhsa_reserve_flat_scratch 0
		.amdhsa_float_round_mode_32 0
		.amdhsa_float_round_mode_16_64 0
		.amdhsa_float_denorm_mode_32 3
		.amdhsa_float_denorm_mode_16_64 3
		.amdhsa_dx10_clamp 1
		.amdhsa_ieee_mode 1
		.amdhsa_fp16_overflow 0
		.amdhsa_tg_split 0
		.amdhsa_exception_fp_ieee_invalid_op 0
		.amdhsa_exception_fp_denorm_src 0
		.amdhsa_exception_fp_ieee_div_zero 0
		.amdhsa_exception_fp_ieee_overflow 0
		.amdhsa_exception_fp_ieee_underflow 0
		.amdhsa_exception_fp_ieee_inexact 0
		.amdhsa_exception_int_div_zero 0
	.end_amdhsa_kernel
	.section	.text._ZN7rocprim17ROCPRIM_400000_NS6detail17trampoline_kernelINS0_14default_configENS1_25partition_config_selectorILNS1_17partition_subalgoE0EiNS0_10empty_typeEbEEZZNS1_14partition_implILS5_0ELb0ES3_jN6thrust23THRUST_200600_302600_NS6detail15normal_iteratorINSA_10device_ptrIiEEEEPS6_SG_NS0_5tupleIJSF_NSA_16discard_iteratorINSA_11use_defaultEEEEEENSH_IJSG_SG_EEES6_PlJ7is_evenIiEEEE10hipError_tPvRmT3_T4_T5_T6_T7_T9_mT8_P12ihipStream_tbDpT10_ENKUlT_T0_E_clISt17integral_constantIbLb1EES19_EEDaS14_S15_EUlS14_E_NS1_11comp_targetILNS1_3genE8ELNS1_11target_archE1030ELNS1_3gpuE2ELNS1_3repE0EEENS1_30default_config_static_selectorELNS0_4arch9wavefront6targetE1EEEvT1_,"axG",@progbits,_ZN7rocprim17ROCPRIM_400000_NS6detail17trampoline_kernelINS0_14default_configENS1_25partition_config_selectorILNS1_17partition_subalgoE0EiNS0_10empty_typeEbEEZZNS1_14partition_implILS5_0ELb0ES3_jN6thrust23THRUST_200600_302600_NS6detail15normal_iteratorINSA_10device_ptrIiEEEEPS6_SG_NS0_5tupleIJSF_NSA_16discard_iteratorINSA_11use_defaultEEEEEENSH_IJSG_SG_EEES6_PlJ7is_evenIiEEEE10hipError_tPvRmT3_T4_T5_T6_T7_T9_mT8_P12ihipStream_tbDpT10_ENKUlT_T0_E_clISt17integral_constantIbLb1EES19_EEDaS14_S15_EUlS14_E_NS1_11comp_targetILNS1_3genE8ELNS1_11target_archE1030ELNS1_3gpuE2ELNS1_3repE0EEENS1_30default_config_static_selectorELNS0_4arch9wavefront6targetE1EEEvT1_,comdat
.Lfunc_end2730:
	.size	_ZN7rocprim17ROCPRIM_400000_NS6detail17trampoline_kernelINS0_14default_configENS1_25partition_config_selectorILNS1_17partition_subalgoE0EiNS0_10empty_typeEbEEZZNS1_14partition_implILS5_0ELb0ES3_jN6thrust23THRUST_200600_302600_NS6detail15normal_iteratorINSA_10device_ptrIiEEEEPS6_SG_NS0_5tupleIJSF_NSA_16discard_iteratorINSA_11use_defaultEEEEEENSH_IJSG_SG_EEES6_PlJ7is_evenIiEEEE10hipError_tPvRmT3_T4_T5_T6_T7_T9_mT8_P12ihipStream_tbDpT10_ENKUlT_T0_E_clISt17integral_constantIbLb1EES19_EEDaS14_S15_EUlS14_E_NS1_11comp_targetILNS1_3genE8ELNS1_11target_archE1030ELNS1_3gpuE2ELNS1_3repE0EEENS1_30default_config_static_selectorELNS0_4arch9wavefront6targetE1EEEvT1_, .Lfunc_end2730-_ZN7rocprim17ROCPRIM_400000_NS6detail17trampoline_kernelINS0_14default_configENS1_25partition_config_selectorILNS1_17partition_subalgoE0EiNS0_10empty_typeEbEEZZNS1_14partition_implILS5_0ELb0ES3_jN6thrust23THRUST_200600_302600_NS6detail15normal_iteratorINSA_10device_ptrIiEEEEPS6_SG_NS0_5tupleIJSF_NSA_16discard_iteratorINSA_11use_defaultEEEEEENSH_IJSG_SG_EEES6_PlJ7is_evenIiEEEE10hipError_tPvRmT3_T4_T5_T6_T7_T9_mT8_P12ihipStream_tbDpT10_ENKUlT_T0_E_clISt17integral_constantIbLb1EES19_EEDaS14_S15_EUlS14_E_NS1_11comp_targetILNS1_3genE8ELNS1_11target_archE1030ELNS1_3gpuE2ELNS1_3repE0EEENS1_30default_config_static_selectorELNS0_4arch9wavefront6targetE1EEEvT1_
                                        ; -- End function
	.section	.AMDGPU.csdata,"",@progbits
; Kernel info:
; codeLenInByte = 0
; NumSgprs: 4
; NumVgprs: 0
; NumAgprs: 0
; TotalNumVgprs: 0
; ScratchSize: 0
; MemoryBound: 0
; FloatMode: 240
; IeeeMode: 1
; LDSByteSize: 0 bytes/workgroup (compile time only)
; SGPRBlocks: 0
; VGPRBlocks: 0
; NumSGPRsForWavesPerEU: 4
; NumVGPRsForWavesPerEU: 1
; AccumOffset: 4
; Occupancy: 8
; WaveLimiterHint : 0
; COMPUTE_PGM_RSRC2:SCRATCH_EN: 0
; COMPUTE_PGM_RSRC2:USER_SGPR: 6
; COMPUTE_PGM_RSRC2:TRAP_HANDLER: 0
; COMPUTE_PGM_RSRC2:TGID_X_EN: 1
; COMPUTE_PGM_RSRC2:TGID_Y_EN: 0
; COMPUTE_PGM_RSRC2:TGID_Z_EN: 0
; COMPUTE_PGM_RSRC2:TIDIG_COMP_CNT: 0
; COMPUTE_PGM_RSRC3_GFX90A:ACCUM_OFFSET: 0
; COMPUTE_PGM_RSRC3_GFX90A:TG_SPLIT: 0
	.section	.text._ZN7rocprim17ROCPRIM_400000_NS6detail17trampoline_kernelINS0_14default_configENS1_25partition_config_selectorILNS1_17partition_subalgoE0EiNS0_10empty_typeEbEEZZNS1_14partition_implILS5_0ELb0ES3_jN6thrust23THRUST_200600_302600_NS6detail15normal_iteratorINSA_10device_ptrIiEEEEPS6_SG_NS0_5tupleIJSF_NSA_16discard_iteratorINSA_11use_defaultEEEEEENSH_IJSG_SG_EEES6_PlJ7is_evenIiEEEE10hipError_tPvRmT3_T4_T5_T6_T7_T9_mT8_P12ihipStream_tbDpT10_ENKUlT_T0_E_clISt17integral_constantIbLb1EES18_IbLb0EEEEDaS14_S15_EUlS14_E_NS1_11comp_targetILNS1_3genE0ELNS1_11target_archE4294967295ELNS1_3gpuE0ELNS1_3repE0EEENS1_30default_config_static_selectorELNS0_4arch9wavefront6targetE1EEEvT1_,"axG",@progbits,_ZN7rocprim17ROCPRIM_400000_NS6detail17trampoline_kernelINS0_14default_configENS1_25partition_config_selectorILNS1_17partition_subalgoE0EiNS0_10empty_typeEbEEZZNS1_14partition_implILS5_0ELb0ES3_jN6thrust23THRUST_200600_302600_NS6detail15normal_iteratorINSA_10device_ptrIiEEEEPS6_SG_NS0_5tupleIJSF_NSA_16discard_iteratorINSA_11use_defaultEEEEEENSH_IJSG_SG_EEES6_PlJ7is_evenIiEEEE10hipError_tPvRmT3_T4_T5_T6_T7_T9_mT8_P12ihipStream_tbDpT10_ENKUlT_T0_E_clISt17integral_constantIbLb1EES18_IbLb0EEEEDaS14_S15_EUlS14_E_NS1_11comp_targetILNS1_3genE0ELNS1_11target_archE4294967295ELNS1_3gpuE0ELNS1_3repE0EEENS1_30default_config_static_selectorELNS0_4arch9wavefront6targetE1EEEvT1_,comdat
	.protected	_ZN7rocprim17ROCPRIM_400000_NS6detail17trampoline_kernelINS0_14default_configENS1_25partition_config_selectorILNS1_17partition_subalgoE0EiNS0_10empty_typeEbEEZZNS1_14partition_implILS5_0ELb0ES3_jN6thrust23THRUST_200600_302600_NS6detail15normal_iteratorINSA_10device_ptrIiEEEEPS6_SG_NS0_5tupleIJSF_NSA_16discard_iteratorINSA_11use_defaultEEEEEENSH_IJSG_SG_EEES6_PlJ7is_evenIiEEEE10hipError_tPvRmT3_T4_T5_T6_T7_T9_mT8_P12ihipStream_tbDpT10_ENKUlT_T0_E_clISt17integral_constantIbLb1EES18_IbLb0EEEEDaS14_S15_EUlS14_E_NS1_11comp_targetILNS1_3genE0ELNS1_11target_archE4294967295ELNS1_3gpuE0ELNS1_3repE0EEENS1_30default_config_static_selectorELNS0_4arch9wavefront6targetE1EEEvT1_ ; -- Begin function _ZN7rocprim17ROCPRIM_400000_NS6detail17trampoline_kernelINS0_14default_configENS1_25partition_config_selectorILNS1_17partition_subalgoE0EiNS0_10empty_typeEbEEZZNS1_14partition_implILS5_0ELb0ES3_jN6thrust23THRUST_200600_302600_NS6detail15normal_iteratorINSA_10device_ptrIiEEEEPS6_SG_NS0_5tupleIJSF_NSA_16discard_iteratorINSA_11use_defaultEEEEEENSH_IJSG_SG_EEES6_PlJ7is_evenIiEEEE10hipError_tPvRmT3_T4_T5_T6_T7_T9_mT8_P12ihipStream_tbDpT10_ENKUlT_T0_E_clISt17integral_constantIbLb1EES18_IbLb0EEEEDaS14_S15_EUlS14_E_NS1_11comp_targetILNS1_3genE0ELNS1_11target_archE4294967295ELNS1_3gpuE0ELNS1_3repE0EEENS1_30default_config_static_selectorELNS0_4arch9wavefront6targetE1EEEvT1_
	.globl	_ZN7rocprim17ROCPRIM_400000_NS6detail17trampoline_kernelINS0_14default_configENS1_25partition_config_selectorILNS1_17partition_subalgoE0EiNS0_10empty_typeEbEEZZNS1_14partition_implILS5_0ELb0ES3_jN6thrust23THRUST_200600_302600_NS6detail15normal_iteratorINSA_10device_ptrIiEEEEPS6_SG_NS0_5tupleIJSF_NSA_16discard_iteratorINSA_11use_defaultEEEEEENSH_IJSG_SG_EEES6_PlJ7is_evenIiEEEE10hipError_tPvRmT3_T4_T5_T6_T7_T9_mT8_P12ihipStream_tbDpT10_ENKUlT_T0_E_clISt17integral_constantIbLb1EES18_IbLb0EEEEDaS14_S15_EUlS14_E_NS1_11comp_targetILNS1_3genE0ELNS1_11target_archE4294967295ELNS1_3gpuE0ELNS1_3repE0EEENS1_30default_config_static_selectorELNS0_4arch9wavefront6targetE1EEEvT1_
	.p2align	8
	.type	_ZN7rocprim17ROCPRIM_400000_NS6detail17trampoline_kernelINS0_14default_configENS1_25partition_config_selectorILNS1_17partition_subalgoE0EiNS0_10empty_typeEbEEZZNS1_14partition_implILS5_0ELb0ES3_jN6thrust23THRUST_200600_302600_NS6detail15normal_iteratorINSA_10device_ptrIiEEEEPS6_SG_NS0_5tupleIJSF_NSA_16discard_iteratorINSA_11use_defaultEEEEEENSH_IJSG_SG_EEES6_PlJ7is_evenIiEEEE10hipError_tPvRmT3_T4_T5_T6_T7_T9_mT8_P12ihipStream_tbDpT10_ENKUlT_T0_E_clISt17integral_constantIbLb1EES18_IbLb0EEEEDaS14_S15_EUlS14_E_NS1_11comp_targetILNS1_3genE0ELNS1_11target_archE4294967295ELNS1_3gpuE0ELNS1_3repE0EEENS1_30default_config_static_selectorELNS0_4arch9wavefront6targetE1EEEvT1_,@function
_ZN7rocprim17ROCPRIM_400000_NS6detail17trampoline_kernelINS0_14default_configENS1_25partition_config_selectorILNS1_17partition_subalgoE0EiNS0_10empty_typeEbEEZZNS1_14partition_implILS5_0ELb0ES3_jN6thrust23THRUST_200600_302600_NS6detail15normal_iteratorINSA_10device_ptrIiEEEEPS6_SG_NS0_5tupleIJSF_NSA_16discard_iteratorINSA_11use_defaultEEEEEENSH_IJSG_SG_EEES6_PlJ7is_evenIiEEEE10hipError_tPvRmT3_T4_T5_T6_T7_T9_mT8_P12ihipStream_tbDpT10_ENKUlT_T0_E_clISt17integral_constantIbLb1EES18_IbLb0EEEEDaS14_S15_EUlS14_E_NS1_11comp_targetILNS1_3genE0ELNS1_11target_archE4294967295ELNS1_3gpuE0ELNS1_3repE0EEENS1_30default_config_static_selectorELNS0_4arch9wavefront6targetE1EEEvT1_: ; @_ZN7rocprim17ROCPRIM_400000_NS6detail17trampoline_kernelINS0_14default_configENS1_25partition_config_selectorILNS1_17partition_subalgoE0EiNS0_10empty_typeEbEEZZNS1_14partition_implILS5_0ELb0ES3_jN6thrust23THRUST_200600_302600_NS6detail15normal_iteratorINSA_10device_ptrIiEEEEPS6_SG_NS0_5tupleIJSF_NSA_16discard_iteratorINSA_11use_defaultEEEEEENSH_IJSG_SG_EEES6_PlJ7is_evenIiEEEE10hipError_tPvRmT3_T4_T5_T6_T7_T9_mT8_P12ihipStream_tbDpT10_ENKUlT_T0_E_clISt17integral_constantIbLb1EES18_IbLb0EEEEDaS14_S15_EUlS14_E_NS1_11comp_targetILNS1_3genE0ELNS1_11target_archE4294967295ELNS1_3gpuE0ELNS1_3repE0EEENS1_30default_config_static_selectorELNS0_4arch9wavefront6targetE1EEEvT1_
; %bb.0:
	.section	.rodata,"a",@progbits
	.p2align	6, 0x0
	.amdhsa_kernel _ZN7rocprim17ROCPRIM_400000_NS6detail17trampoline_kernelINS0_14default_configENS1_25partition_config_selectorILNS1_17partition_subalgoE0EiNS0_10empty_typeEbEEZZNS1_14partition_implILS5_0ELb0ES3_jN6thrust23THRUST_200600_302600_NS6detail15normal_iteratorINSA_10device_ptrIiEEEEPS6_SG_NS0_5tupleIJSF_NSA_16discard_iteratorINSA_11use_defaultEEEEEENSH_IJSG_SG_EEES6_PlJ7is_evenIiEEEE10hipError_tPvRmT3_T4_T5_T6_T7_T9_mT8_P12ihipStream_tbDpT10_ENKUlT_T0_E_clISt17integral_constantIbLb1EES18_IbLb0EEEEDaS14_S15_EUlS14_E_NS1_11comp_targetILNS1_3genE0ELNS1_11target_archE4294967295ELNS1_3gpuE0ELNS1_3repE0EEENS1_30default_config_static_selectorELNS0_4arch9wavefront6targetE1EEEvT1_
		.amdhsa_group_segment_fixed_size 0
		.amdhsa_private_segment_fixed_size 0
		.amdhsa_kernarg_size 128
		.amdhsa_user_sgpr_count 6
		.amdhsa_user_sgpr_private_segment_buffer 1
		.amdhsa_user_sgpr_dispatch_ptr 0
		.amdhsa_user_sgpr_queue_ptr 0
		.amdhsa_user_sgpr_kernarg_segment_ptr 1
		.amdhsa_user_sgpr_dispatch_id 0
		.amdhsa_user_sgpr_flat_scratch_init 0
		.amdhsa_user_sgpr_kernarg_preload_length 0
		.amdhsa_user_sgpr_kernarg_preload_offset 0
		.amdhsa_user_sgpr_private_segment_size 0
		.amdhsa_uses_dynamic_stack 0
		.amdhsa_system_sgpr_private_segment_wavefront_offset 0
		.amdhsa_system_sgpr_workgroup_id_x 1
		.amdhsa_system_sgpr_workgroup_id_y 0
		.amdhsa_system_sgpr_workgroup_id_z 0
		.amdhsa_system_sgpr_workgroup_info 0
		.amdhsa_system_vgpr_workitem_id 0
		.amdhsa_next_free_vgpr 1
		.amdhsa_next_free_sgpr 0
		.amdhsa_accum_offset 4
		.amdhsa_reserve_vcc 0
		.amdhsa_reserve_flat_scratch 0
		.amdhsa_float_round_mode_32 0
		.amdhsa_float_round_mode_16_64 0
		.amdhsa_float_denorm_mode_32 3
		.amdhsa_float_denorm_mode_16_64 3
		.amdhsa_dx10_clamp 1
		.amdhsa_ieee_mode 1
		.amdhsa_fp16_overflow 0
		.amdhsa_tg_split 0
		.amdhsa_exception_fp_ieee_invalid_op 0
		.amdhsa_exception_fp_denorm_src 0
		.amdhsa_exception_fp_ieee_div_zero 0
		.amdhsa_exception_fp_ieee_overflow 0
		.amdhsa_exception_fp_ieee_underflow 0
		.amdhsa_exception_fp_ieee_inexact 0
		.amdhsa_exception_int_div_zero 0
	.end_amdhsa_kernel
	.section	.text._ZN7rocprim17ROCPRIM_400000_NS6detail17trampoline_kernelINS0_14default_configENS1_25partition_config_selectorILNS1_17partition_subalgoE0EiNS0_10empty_typeEbEEZZNS1_14partition_implILS5_0ELb0ES3_jN6thrust23THRUST_200600_302600_NS6detail15normal_iteratorINSA_10device_ptrIiEEEEPS6_SG_NS0_5tupleIJSF_NSA_16discard_iteratorINSA_11use_defaultEEEEEENSH_IJSG_SG_EEES6_PlJ7is_evenIiEEEE10hipError_tPvRmT3_T4_T5_T6_T7_T9_mT8_P12ihipStream_tbDpT10_ENKUlT_T0_E_clISt17integral_constantIbLb1EES18_IbLb0EEEEDaS14_S15_EUlS14_E_NS1_11comp_targetILNS1_3genE0ELNS1_11target_archE4294967295ELNS1_3gpuE0ELNS1_3repE0EEENS1_30default_config_static_selectorELNS0_4arch9wavefront6targetE1EEEvT1_,"axG",@progbits,_ZN7rocprim17ROCPRIM_400000_NS6detail17trampoline_kernelINS0_14default_configENS1_25partition_config_selectorILNS1_17partition_subalgoE0EiNS0_10empty_typeEbEEZZNS1_14partition_implILS5_0ELb0ES3_jN6thrust23THRUST_200600_302600_NS6detail15normal_iteratorINSA_10device_ptrIiEEEEPS6_SG_NS0_5tupleIJSF_NSA_16discard_iteratorINSA_11use_defaultEEEEEENSH_IJSG_SG_EEES6_PlJ7is_evenIiEEEE10hipError_tPvRmT3_T4_T5_T6_T7_T9_mT8_P12ihipStream_tbDpT10_ENKUlT_T0_E_clISt17integral_constantIbLb1EES18_IbLb0EEEEDaS14_S15_EUlS14_E_NS1_11comp_targetILNS1_3genE0ELNS1_11target_archE4294967295ELNS1_3gpuE0ELNS1_3repE0EEENS1_30default_config_static_selectorELNS0_4arch9wavefront6targetE1EEEvT1_,comdat
.Lfunc_end2731:
	.size	_ZN7rocprim17ROCPRIM_400000_NS6detail17trampoline_kernelINS0_14default_configENS1_25partition_config_selectorILNS1_17partition_subalgoE0EiNS0_10empty_typeEbEEZZNS1_14partition_implILS5_0ELb0ES3_jN6thrust23THRUST_200600_302600_NS6detail15normal_iteratorINSA_10device_ptrIiEEEEPS6_SG_NS0_5tupleIJSF_NSA_16discard_iteratorINSA_11use_defaultEEEEEENSH_IJSG_SG_EEES6_PlJ7is_evenIiEEEE10hipError_tPvRmT3_T4_T5_T6_T7_T9_mT8_P12ihipStream_tbDpT10_ENKUlT_T0_E_clISt17integral_constantIbLb1EES18_IbLb0EEEEDaS14_S15_EUlS14_E_NS1_11comp_targetILNS1_3genE0ELNS1_11target_archE4294967295ELNS1_3gpuE0ELNS1_3repE0EEENS1_30default_config_static_selectorELNS0_4arch9wavefront6targetE1EEEvT1_, .Lfunc_end2731-_ZN7rocprim17ROCPRIM_400000_NS6detail17trampoline_kernelINS0_14default_configENS1_25partition_config_selectorILNS1_17partition_subalgoE0EiNS0_10empty_typeEbEEZZNS1_14partition_implILS5_0ELb0ES3_jN6thrust23THRUST_200600_302600_NS6detail15normal_iteratorINSA_10device_ptrIiEEEEPS6_SG_NS0_5tupleIJSF_NSA_16discard_iteratorINSA_11use_defaultEEEEEENSH_IJSG_SG_EEES6_PlJ7is_evenIiEEEE10hipError_tPvRmT3_T4_T5_T6_T7_T9_mT8_P12ihipStream_tbDpT10_ENKUlT_T0_E_clISt17integral_constantIbLb1EES18_IbLb0EEEEDaS14_S15_EUlS14_E_NS1_11comp_targetILNS1_3genE0ELNS1_11target_archE4294967295ELNS1_3gpuE0ELNS1_3repE0EEENS1_30default_config_static_selectorELNS0_4arch9wavefront6targetE1EEEvT1_
                                        ; -- End function
	.section	.AMDGPU.csdata,"",@progbits
; Kernel info:
; codeLenInByte = 0
; NumSgprs: 4
; NumVgprs: 0
; NumAgprs: 0
; TotalNumVgprs: 0
; ScratchSize: 0
; MemoryBound: 0
; FloatMode: 240
; IeeeMode: 1
; LDSByteSize: 0 bytes/workgroup (compile time only)
; SGPRBlocks: 0
; VGPRBlocks: 0
; NumSGPRsForWavesPerEU: 4
; NumVGPRsForWavesPerEU: 1
; AccumOffset: 4
; Occupancy: 8
; WaveLimiterHint : 0
; COMPUTE_PGM_RSRC2:SCRATCH_EN: 0
; COMPUTE_PGM_RSRC2:USER_SGPR: 6
; COMPUTE_PGM_RSRC2:TRAP_HANDLER: 0
; COMPUTE_PGM_RSRC2:TGID_X_EN: 1
; COMPUTE_PGM_RSRC2:TGID_Y_EN: 0
; COMPUTE_PGM_RSRC2:TGID_Z_EN: 0
; COMPUTE_PGM_RSRC2:TIDIG_COMP_CNT: 0
; COMPUTE_PGM_RSRC3_GFX90A:ACCUM_OFFSET: 0
; COMPUTE_PGM_RSRC3_GFX90A:TG_SPLIT: 0
	.section	.text._ZN7rocprim17ROCPRIM_400000_NS6detail17trampoline_kernelINS0_14default_configENS1_25partition_config_selectorILNS1_17partition_subalgoE0EiNS0_10empty_typeEbEEZZNS1_14partition_implILS5_0ELb0ES3_jN6thrust23THRUST_200600_302600_NS6detail15normal_iteratorINSA_10device_ptrIiEEEEPS6_SG_NS0_5tupleIJSF_NSA_16discard_iteratorINSA_11use_defaultEEEEEENSH_IJSG_SG_EEES6_PlJ7is_evenIiEEEE10hipError_tPvRmT3_T4_T5_T6_T7_T9_mT8_P12ihipStream_tbDpT10_ENKUlT_T0_E_clISt17integral_constantIbLb1EES18_IbLb0EEEEDaS14_S15_EUlS14_E_NS1_11comp_targetILNS1_3genE5ELNS1_11target_archE942ELNS1_3gpuE9ELNS1_3repE0EEENS1_30default_config_static_selectorELNS0_4arch9wavefront6targetE1EEEvT1_,"axG",@progbits,_ZN7rocprim17ROCPRIM_400000_NS6detail17trampoline_kernelINS0_14default_configENS1_25partition_config_selectorILNS1_17partition_subalgoE0EiNS0_10empty_typeEbEEZZNS1_14partition_implILS5_0ELb0ES3_jN6thrust23THRUST_200600_302600_NS6detail15normal_iteratorINSA_10device_ptrIiEEEEPS6_SG_NS0_5tupleIJSF_NSA_16discard_iteratorINSA_11use_defaultEEEEEENSH_IJSG_SG_EEES6_PlJ7is_evenIiEEEE10hipError_tPvRmT3_T4_T5_T6_T7_T9_mT8_P12ihipStream_tbDpT10_ENKUlT_T0_E_clISt17integral_constantIbLb1EES18_IbLb0EEEEDaS14_S15_EUlS14_E_NS1_11comp_targetILNS1_3genE5ELNS1_11target_archE942ELNS1_3gpuE9ELNS1_3repE0EEENS1_30default_config_static_selectorELNS0_4arch9wavefront6targetE1EEEvT1_,comdat
	.protected	_ZN7rocprim17ROCPRIM_400000_NS6detail17trampoline_kernelINS0_14default_configENS1_25partition_config_selectorILNS1_17partition_subalgoE0EiNS0_10empty_typeEbEEZZNS1_14partition_implILS5_0ELb0ES3_jN6thrust23THRUST_200600_302600_NS6detail15normal_iteratorINSA_10device_ptrIiEEEEPS6_SG_NS0_5tupleIJSF_NSA_16discard_iteratorINSA_11use_defaultEEEEEENSH_IJSG_SG_EEES6_PlJ7is_evenIiEEEE10hipError_tPvRmT3_T4_T5_T6_T7_T9_mT8_P12ihipStream_tbDpT10_ENKUlT_T0_E_clISt17integral_constantIbLb1EES18_IbLb0EEEEDaS14_S15_EUlS14_E_NS1_11comp_targetILNS1_3genE5ELNS1_11target_archE942ELNS1_3gpuE9ELNS1_3repE0EEENS1_30default_config_static_selectorELNS0_4arch9wavefront6targetE1EEEvT1_ ; -- Begin function _ZN7rocprim17ROCPRIM_400000_NS6detail17trampoline_kernelINS0_14default_configENS1_25partition_config_selectorILNS1_17partition_subalgoE0EiNS0_10empty_typeEbEEZZNS1_14partition_implILS5_0ELb0ES3_jN6thrust23THRUST_200600_302600_NS6detail15normal_iteratorINSA_10device_ptrIiEEEEPS6_SG_NS0_5tupleIJSF_NSA_16discard_iteratorINSA_11use_defaultEEEEEENSH_IJSG_SG_EEES6_PlJ7is_evenIiEEEE10hipError_tPvRmT3_T4_T5_T6_T7_T9_mT8_P12ihipStream_tbDpT10_ENKUlT_T0_E_clISt17integral_constantIbLb1EES18_IbLb0EEEEDaS14_S15_EUlS14_E_NS1_11comp_targetILNS1_3genE5ELNS1_11target_archE942ELNS1_3gpuE9ELNS1_3repE0EEENS1_30default_config_static_selectorELNS0_4arch9wavefront6targetE1EEEvT1_
	.globl	_ZN7rocprim17ROCPRIM_400000_NS6detail17trampoline_kernelINS0_14default_configENS1_25partition_config_selectorILNS1_17partition_subalgoE0EiNS0_10empty_typeEbEEZZNS1_14partition_implILS5_0ELb0ES3_jN6thrust23THRUST_200600_302600_NS6detail15normal_iteratorINSA_10device_ptrIiEEEEPS6_SG_NS0_5tupleIJSF_NSA_16discard_iteratorINSA_11use_defaultEEEEEENSH_IJSG_SG_EEES6_PlJ7is_evenIiEEEE10hipError_tPvRmT3_T4_T5_T6_T7_T9_mT8_P12ihipStream_tbDpT10_ENKUlT_T0_E_clISt17integral_constantIbLb1EES18_IbLb0EEEEDaS14_S15_EUlS14_E_NS1_11comp_targetILNS1_3genE5ELNS1_11target_archE942ELNS1_3gpuE9ELNS1_3repE0EEENS1_30default_config_static_selectorELNS0_4arch9wavefront6targetE1EEEvT1_
	.p2align	8
	.type	_ZN7rocprim17ROCPRIM_400000_NS6detail17trampoline_kernelINS0_14default_configENS1_25partition_config_selectorILNS1_17partition_subalgoE0EiNS0_10empty_typeEbEEZZNS1_14partition_implILS5_0ELb0ES3_jN6thrust23THRUST_200600_302600_NS6detail15normal_iteratorINSA_10device_ptrIiEEEEPS6_SG_NS0_5tupleIJSF_NSA_16discard_iteratorINSA_11use_defaultEEEEEENSH_IJSG_SG_EEES6_PlJ7is_evenIiEEEE10hipError_tPvRmT3_T4_T5_T6_T7_T9_mT8_P12ihipStream_tbDpT10_ENKUlT_T0_E_clISt17integral_constantIbLb1EES18_IbLb0EEEEDaS14_S15_EUlS14_E_NS1_11comp_targetILNS1_3genE5ELNS1_11target_archE942ELNS1_3gpuE9ELNS1_3repE0EEENS1_30default_config_static_selectorELNS0_4arch9wavefront6targetE1EEEvT1_,@function
_ZN7rocprim17ROCPRIM_400000_NS6detail17trampoline_kernelINS0_14default_configENS1_25partition_config_selectorILNS1_17partition_subalgoE0EiNS0_10empty_typeEbEEZZNS1_14partition_implILS5_0ELb0ES3_jN6thrust23THRUST_200600_302600_NS6detail15normal_iteratorINSA_10device_ptrIiEEEEPS6_SG_NS0_5tupleIJSF_NSA_16discard_iteratorINSA_11use_defaultEEEEEENSH_IJSG_SG_EEES6_PlJ7is_evenIiEEEE10hipError_tPvRmT3_T4_T5_T6_T7_T9_mT8_P12ihipStream_tbDpT10_ENKUlT_T0_E_clISt17integral_constantIbLb1EES18_IbLb0EEEEDaS14_S15_EUlS14_E_NS1_11comp_targetILNS1_3genE5ELNS1_11target_archE942ELNS1_3gpuE9ELNS1_3repE0EEENS1_30default_config_static_selectorELNS0_4arch9wavefront6targetE1EEEvT1_: ; @_ZN7rocprim17ROCPRIM_400000_NS6detail17trampoline_kernelINS0_14default_configENS1_25partition_config_selectorILNS1_17partition_subalgoE0EiNS0_10empty_typeEbEEZZNS1_14partition_implILS5_0ELb0ES3_jN6thrust23THRUST_200600_302600_NS6detail15normal_iteratorINSA_10device_ptrIiEEEEPS6_SG_NS0_5tupleIJSF_NSA_16discard_iteratorINSA_11use_defaultEEEEEENSH_IJSG_SG_EEES6_PlJ7is_evenIiEEEE10hipError_tPvRmT3_T4_T5_T6_T7_T9_mT8_P12ihipStream_tbDpT10_ENKUlT_T0_E_clISt17integral_constantIbLb1EES18_IbLb0EEEEDaS14_S15_EUlS14_E_NS1_11comp_targetILNS1_3genE5ELNS1_11target_archE942ELNS1_3gpuE9ELNS1_3repE0EEENS1_30default_config_static_selectorELNS0_4arch9wavefront6targetE1EEEvT1_
; %bb.0:
	.section	.rodata,"a",@progbits
	.p2align	6, 0x0
	.amdhsa_kernel _ZN7rocprim17ROCPRIM_400000_NS6detail17trampoline_kernelINS0_14default_configENS1_25partition_config_selectorILNS1_17partition_subalgoE0EiNS0_10empty_typeEbEEZZNS1_14partition_implILS5_0ELb0ES3_jN6thrust23THRUST_200600_302600_NS6detail15normal_iteratorINSA_10device_ptrIiEEEEPS6_SG_NS0_5tupleIJSF_NSA_16discard_iteratorINSA_11use_defaultEEEEEENSH_IJSG_SG_EEES6_PlJ7is_evenIiEEEE10hipError_tPvRmT3_T4_T5_T6_T7_T9_mT8_P12ihipStream_tbDpT10_ENKUlT_T0_E_clISt17integral_constantIbLb1EES18_IbLb0EEEEDaS14_S15_EUlS14_E_NS1_11comp_targetILNS1_3genE5ELNS1_11target_archE942ELNS1_3gpuE9ELNS1_3repE0EEENS1_30default_config_static_selectorELNS0_4arch9wavefront6targetE1EEEvT1_
		.amdhsa_group_segment_fixed_size 0
		.amdhsa_private_segment_fixed_size 0
		.amdhsa_kernarg_size 128
		.amdhsa_user_sgpr_count 6
		.amdhsa_user_sgpr_private_segment_buffer 1
		.amdhsa_user_sgpr_dispatch_ptr 0
		.amdhsa_user_sgpr_queue_ptr 0
		.amdhsa_user_sgpr_kernarg_segment_ptr 1
		.amdhsa_user_sgpr_dispatch_id 0
		.amdhsa_user_sgpr_flat_scratch_init 0
		.amdhsa_user_sgpr_kernarg_preload_length 0
		.amdhsa_user_sgpr_kernarg_preload_offset 0
		.amdhsa_user_sgpr_private_segment_size 0
		.amdhsa_uses_dynamic_stack 0
		.amdhsa_system_sgpr_private_segment_wavefront_offset 0
		.amdhsa_system_sgpr_workgroup_id_x 1
		.amdhsa_system_sgpr_workgroup_id_y 0
		.amdhsa_system_sgpr_workgroup_id_z 0
		.amdhsa_system_sgpr_workgroup_info 0
		.amdhsa_system_vgpr_workitem_id 0
		.amdhsa_next_free_vgpr 1
		.amdhsa_next_free_sgpr 0
		.amdhsa_accum_offset 4
		.amdhsa_reserve_vcc 0
		.amdhsa_reserve_flat_scratch 0
		.amdhsa_float_round_mode_32 0
		.amdhsa_float_round_mode_16_64 0
		.amdhsa_float_denorm_mode_32 3
		.amdhsa_float_denorm_mode_16_64 3
		.amdhsa_dx10_clamp 1
		.amdhsa_ieee_mode 1
		.amdhsa_fp16_overflow 0
		.amdhsa_tg_split 0
		.amdhsa_exception_fp_ieee_invalid_op 0
		.amdhsa_exception_fp_denorm_src 0
		.amdhsa_exception_fp_ieee_div_zero 0
		.amdhsa_exception_fp_ieee_overflow 0
		.amdhsa_exception_fp_ieee_underflow 0
		.amdhsa_exception_fp_ieee_inexact 0
		.amdhsa_exception_int_div_zero 0
	.end_amdhsa_kernel
	.section	.text._ZN7rocprim17ROCPRIM_400000_NS6detail17trampoline_kernelINS0_14default_configENS1_25partition_config_selectorILNS1_17partition_subalgoE0EiNS0_10empty_typeEbEEZZNS1_14partition_implILS5_0ELb0ES3_jN6thrust23THRUST_200600_302600_NS6detail15normal_iteratorINSA_10device_ptrIiEEEEPS6_SG_NS0_5tupleIJSF_NSA_16discard_iteratorINSA_11use_defaultEEEEEENSH_IJSG_SG_EEES6_PlJ7is_evenIiEEEE10hipError_tPvRmT3_T4_T5_T6_T7_T9_mT8_P12ihipStream_tbDpT10_ENKUlT_T0_E_clISt17integral_constantIbLb1EES18_IbLb0EEEEDaS14_S15_EUlS14_E_NS1_11comp_targetILNS1_3genE5ELNS1_11target_archE942ELNS1_3gpuE9ELNS1_3repE0EEENS1_30default_config_static_selectorELNS0_4arch9wavefront6targetE1EEEvT1_,"axG",@progbits,_ZN7rocprim17ROCPRIM_400000_NS6detail17trampoline_kernelINS0_14default_configENS1_25partition_config_selectorILNS1_17partition_subalgoE0EiNS0_10empty_typeEbEEZZNS1_14partition_implILS5_0ELb0ES3_jN6thrust23THRUST_200600_302600_NS6detail15normal_iteratorINSA_10device_ptrIiEEEEPS6_SG_NS0_5tupleIJSF_NSA_16discard_iteratorINSA_11use_defaultEEEEEENSH_IJSG_SG_EEES6_PlJ7is_evenIiEEEE10hipError_tPvRmT3_T4_T5_T6_T7_T9_mT8_P12ihipStream_tbDpT10_ENKUlT_T0_E_clISt17integral_constantIbLb1EES18_IbLb0EEEEDaS14_S15_EUlS14_E_NS1_11comp_targetILNS1_3genE5ELNS1_11target_archE942ELNS1_3gpuE9ELNS1_3repE0EEENS1_30default_config_static_selectorELNS0_4arch9wavefront6targetE1EEEvT1_,comdat
.Lfunc_end2732:
	.size	_ZN7rocprim17ROCPRIM_400000_NS6detail17trampoline_kernelINS0_14default_configENS1_25partition_config_selectorILNS1_17partition_subalgoE0EiNS0_10empty_typeEbEEZZNS1_14partition_implILS5_0ELb0ES3_jN6thrust23THRUST_200600_302600_NS6detail15normal_iteratorINSA_10device_ptrIiEEEEPS6_SG_NS0_5tupleIJSF_NSA_16discard_iteratorINSA_11use_defaultEEEEEENSH_IJSG_SG_EEES6_PlJ7is_evenIiEEEE10hipError_tPvRmT3_T4_T5_T6_T7_T9_mT8_P12ihipStream_tbDpT10_ENKUlT_T0_E_clISt17integral_constantIbLb1EES18_IbLb0EEEEDaS14_S15_EUlS14_E_NS1_11comp_targetILNS1_3genE5ELNS1_11target_archE942ELNS1_3gpuE9ELNS1_3repE0EEENS1_30default_config_static_selectorELNS0_4arch9wavefront6targetE1EEEvT1_, .Lfunc_end2732-_ZN7rocprim17ROCPRIM_400000_NS6detail17trampoline_kernelINS0_14default_configENS1_25partition_config_selectorILNS1_17partition_subalgoE0EiNS0_10empty_typeEbEEZZNS1_14partition_implILS5_0ELb0ES3_jN6thrust23THRUST_200600_302600_NS6detail15normal_iteratorINSA_10device_ptrIiEEEEPS6_SG_NS0_5tupleIJSF_NSA_16discard_iteratorINSA_11use_defaultEEEEEENSH_IJSG_SG_EEES6_PlJ7is_evenIiEEEE10hipError_tPvRmT3_T4_T5_T6_T7_T9_mT8_P12ihipStream_tbDpT10_ENKUlT_T0_E_clISt17integral_constantIbLb1EES18_IbLb0EEEEDaS14_S15_EUlS14_E_NS1_11comp_targetILNS1_3genE5ELNS1_11target_archE942ELNS1_3gpuE9ELNS1_3repE0EEENS1_30default_config_static_selectorELNS0_4arch9wavefront6targetE1EEEvT1_
                                        ; -- End function
	.section	.AMDGPU.csdata,"",@progbits
; Kernel info:
; codeLenInByte = 0
; NumSgprs: 4
; NumVgprs: 0
; NumAgprs: 0
; TotalNumVgprs: 0
; ScratchSize: 0
; MemoryBound: 0
; FloatMode: 240
; IeeeMode: 1
; LDSByteSize: 0 bytes/workgroup (compile time only)
; SGPRBlocks: 0
; VGPRBlocks: 0
; NumSGPRsForWavesPerEU: 4
; NumVGPRsForWavesPerEU: 1
; AccumOffset: 4
; Occupancy: 8
; WaveLimiterHint : 0
; COMPUTE_PGM_RSRC2:SCRATCH_EN: 0
; COMPUTE_PGM_RSRC2:USER_SGPR: 6
; COMPUTE_PGM_RSRC2:TRAP_HANDLER: 0
; COMPUTE_PGM_RSRC2:TGID_X_EN: 1
; COMPUTE_PGM_RSRC2:TGID_Y_EN: 0
; COMPUTE_PGM_RSRC2:TGID_Z_EN: 0
; COMPUTE_PGM_RSRC2:TIDIG_COMP_CNT: 0
; COMPUTE_PGM_RSRC3_GFX90A:ACCUM_OFFSET: 0
; COMPUTE_PGM_RSRC3_GFX90A:TG_SPLIT: 0
	.section	.text._ZN7rocprim17ROCPRIM_400000_NS6detail17trampoline_kernelINS0_14default_configENS1_25partition_config_selectorILNS1_17partition_subalgoE0EiNS0_10empty_typeEbEEZZNS1_14partition_implILS5_0ELb0ES3_jN6thrust23THRUST_200600_302600_NS6detail15normal_iteratorINSA_10device_ptrIiEEEEPS6_SG_NS0_5tupleIJSF_NSA_16discard_iteratorINSA_11use_defaultEEEEEENSH_IJSG_SG_EEES6_PlJ7is_evenIiEEEE10hipError_tPvRmT3_T4_T5_T6_T7_T9_mT8_P12ihipStream_tbDpT10_ENKUlT_T0_E_clISt17integral_constantIbLb1EES18_IbLb0EEEEDaS14_S15_EUlS14_E_NS1_11comp_targetILNS1_3genE4ELNS1_11target_archE910ELNS1_3gpuE8ELNS1_3repE0EEENS1_30default_config_static_selectorELNS0_4arch9wavefront6targetE1EEEvT1_,"axG",@progbits,_ZN7rocprim17ROCPRIM_400000_NS6detail17trampoline_kernelINS0_14default_configENS1_25partition_config_selectorILNS1_17partition_subalgoE0EiNS0_10empty_typeEbEEZZNS1_14partition_implILS5_0ELb0ES3_jN6thrust23THRUST_200600_302600_NS6detail15normal_iteratorINSA_10device_ptrIiEEEEPS6_SG_NS0_5tupleIJSF_NSA_16discard_iteratorINSA_11use_defaultEEEEEENSH_IJSG_SG_EEES6_PlJ7is_evenIiEEEE10hipError_tPvRmT3_T4_T5_T6_T7_T9_mT8_P12ihipStream_tbDpT10_ENKUlT_T0_E_clISt17integral_constantIbLb1EES18_IbLb0EEEEDaS14_S15_EUlS14_E_NS1_11comp_targetILNS1_3genE4ELNS1_11target_archE910ELNS1_3gpuE8ELNS1_3repE0EEENS1_30default_config_static_selectorELNS0_4arch9wavefront6targetE1EEEvT1_,comdat
	.protected	_ZN7rocprim17ROCPRIM_400000_NS6detail17trampoline_kernelINS0_14default_configENS1_25partition_config_selectorILNS1_17partition_subalgoE0EiNS0_10empty_typeEbEEZZNS1_14partition_implILS5_0ELb0ES3_jN6thrust23THRUST_200600_302600_NS6detail15normal_iteratorINSA_10device_ptrIiEEEEPS6_SG_NS0_5tupleIJSF_NSA_16discard_iteratorINSA_11use_defaultEEEEEENSH_IJSG_SG_EEES6_PlJ7is_evenIiEEEE10hipError_tPvRmT3_T4_T5_T6_T7_T9_mT8_P12ihipStream_tbDpT10_ENKUlT_T0_E_clISt17integral_constantIbLb1EES18_IbLb0EEEEDaS14_S15_EUlS14_E_NS1_11comp_targetILNS1_3genE4ELNS1_11target_archE910ELNS1_3gpuE8ELNS1_3repE0EEENS1_30default_config_static_selectorELNS0_4arch9wavefront6targetE1EEEvT1_ ; -- Begin function _ZN7rocprim17ROCPRIM_400000_NS6detail17trampoline_kernelINS0_14default_configENS1_25partition_config_selectorILNS1_17partition_subalgoE0EiNS0_10empty_typeEbEEZZNS1_14partition_implILS5_0ELb0ES3_jN6thrust23THRUST_200600_302600_NS6detail15normal_iteratorINSA_10device_ptrIiEEEEPS6_SG_NS0_5tupleIJSF_NSA_16discard_iteratorINSA_11use_defaultEEEEEENSH_IJSG_SG_EEES6_PlJ7is_evenIiEEEE10hipError_tPvRmT3_T4_T5_T6_T7_T9_mT8_P12ihipStream_tbDpT10_ENKUlT_T0_E_clISt17integral_constantIbLb1EES18_IbLb0EEEEDaS14_S15_EUlS14_E_NS1_11comp_targetILNS1_3genE4ELNS1_11target_archE910ELNS1_3gpuE8ELNS1_3repE0EEENS1_30default_config_static_selectorELNS0_4arch9wavefront6targetE1EEEvT1_
	.globl	_ZN7rocprim17ROCPRIM_400000_NS6detail17trampoline_kernelINS0_14default_configENS1_25partition_config_selectorILNS1_17partition_subalgoE0EiNS0_10empty_typeEbEEZZNS1_14partition_implILS5_0ELb0ES3_jN6thrust23THRUST_200600_302600_NS6detail15normal_iteratorINSA_10device_ptrIiEEEEPS6_SG_NS0_5tupleIJSF_NSA_16discard_iteratorINSA_11use_defaultEEEEEENSH_IJSG_SG_EEES6_PlJ7is_evenIiEEEE10hipError_tPvRmT3_T4_T5_T6_T7_T9_mT8_P12ihipStream_tbDpT10_ENKUlT_T0_E_clISt17integral_constantIbLb1EES18_IbLb0EEEEDaS14_S15_EUlS14_E_NS1_11comp_targetILNS1_3genE4ELNS1_11target_archE910ELNS1_3gpuE8ELNS1_3repE0EEENS1_30default_config_static_selectorELNS0_4arch9wavefront6targetE1EEEvT1_
	.p2align	8
	.type	_ZN7rocprim17ROCPRIM_400000_NS6detail17trampoline_kernelINS0_14default_configENS1_25partition_config_selectorILNS1_17partition_subalgoE0EiNS0_10empty_typeEbEEZZNS1_14partition_implILS5_0ELb0ES3_jN6thrust23THRUST_200600_302600_NS6detail15normal_iteratorINSA_10device_ptrIiEEEEPS6_SG_NS0_5tupleIJSF_NSA_16discard_iteratorINSA_11use_defaultEEEEEENSH_IJSG_SG_EEES6_PlJ7is_evenIiEEEE10hipError_tPvRmT3_T4_T5_T6_T7_T9_mT8_P12ihipStream_tbDpT10_ENKUlT_T0_E_clISt17integral_constantIbLb1EES18_IbLb0EEEEDaS14_S15_EUlS14_E_NS1_11comp_targetILNS1_3genE4ELNS1_11target_archE910ELNS1_3gpuE8ELNS1_3repE0EEENS1_30default_config_static_selectorELNS0_4arch9wavefront6targetE1EEEvT1_,@function
_ZN7rocprim17ROCPRIM_400000_NS6detail17trampoline_kernelINS0_14default_configENS1_25partition_config_selectorILNS1_17partition_subalgoE0EiNS0_10empty_typeEbEEZZNS1_14partition_implILS5_0ELb0ES3_jN6thrust23THRUST_200600_302600_NS6detail15normal_iteratorINSA_10device_ptrIiEEEEPS6_SG_NS0_5tupleIJSF_NSA_16discard_iteratorINSA_11use_defaultEEEEEENSH_IJSG_SG_EEES6_PlJ7is_evenIiEEEE10hipError_tPvRmT3_T4_T5_T6_T7_T9_mT8_P12ihipStream_tbDpT10_ENKUlT_T0_E_clISt17integral_constantIbLb1EES18_IbLb0EEEEDaS14_S15_EUlS14_E_NS1_11comp_targetILNS1_3genE4ELNS1_11target_archE910ELNS1_3gpuE8ELNS1_3repE0EEENS1_30default_config_static_selectorELNS0_4arch9wavefront6targetE1EEEvT1_: ; @_ZN7rocprim17ROCPRIM_400000_NS6detail17trampoline_kernelINS0_14default_configENS1_25partition_config_selectorILNS1_17partition_subalgoE0EiNS0_10empty_typeEbEEZZNS1_14partition_implILS5_0ELb0ES3_jN6thrust23THRUST_200600_302600_NS6detail15normal_iteratorINSA_10device_ptrIiEEEEPS6_SG_NS0_5tupleIJSF_NSA_16discard_iteratorINSA_11use_defaultEEEEEENSH_IJSG_SG_EEES6_PlJ7is_evenIiEEEE10hipError_tPvRmT3_T4_T5_T6_T7_T9_mT8_P12ihipStream_tbDpT10_ENKUlT_T0_E_clISt17integral_constantIbLb1EES18_IbLb0EEEEDaS14_S15_EUlS14_E_NS1_11comp_targetILNS1_3genE4ELNS1_11target_archE910ELNS1_3gpuE8ELNS1_3repE0EEENS1_30default_config_static_selectorELNS0_4arch9wavefront6targetE1EEEvT1_
; %bb.0:
	s_load_dwordx2 s[8:9], s[4:5], 0x60
	s_load_dwordx4 s[0:3], s[4:5], 0x8
	s_load_dwordx4 s[24:27], s[4:5], 0x50
	s_load_dword s7, s[4:5], 0x78
	v_lshlrev_b32_e32 v1, 2, v0
	s_waitcnt lgkmcnt(0)
	v_mov_b32_e32 v3, s9
	s_lshl_b64 s[10:11], s[2:3], 2
	s_add_u32 s9, s0, s10
	s_addc_u32 s10, s1, s11
	s_add_i32 s11, s7, -1
	s_mulk_i32 s7, 0xa00
	s_add_i32 s1, s7, s2
	s_sub_i32 s33, s8, s1
	s_add_u32 s2, s2, s7
	s_addc_u32 s3, s3, 0
	s_cmp_eq_u32 s6, s11
	v_mov_b32_e32 v2, s8
	s_load_dwordx2 s[22:23], s[26:27], 0x0
	s_cselect_b64 s[26:27], -1, 0
	s_cmp_lg_u32 s6, s11
	s_mul_i32 s0, s6, 0xa00
	s_mov_b32 s1, 0
	v_cmp_lt_u64_e32 vcc, s[2:3], v[2:3]
	s_cselect_b64 s[2:3], -1, 0
	s_or_b64 s[2:3], s[2:3], vcc
	s_lshl_b64 s[0:1], s[0:1], 2
	s_add_u32 s7, s9, s0
	s_addc_u32 s8, s10, s1
	s_mov_b64 s[0:1], -1
	s_and_b64 vcc, exec, s[2:3]
	s_cbranch_vccz .LBB2733_2
; %bb.1:
	v_mov_b32_e32 v3, s8
	v_add_co_u32_e32 v2, vcc, s7, v1
	v_addc_co_u32_e32 v3, vcc, 0, v3, vcc
	v_add_co_u32_e32 v4, vcc, 0x1000, v2
	v_addc_co_u32_e32 v5, vcc, 0, v3, vcc
	flat_load_dword v6, v[2:3]
	flat_load_dword v7, v[2:3] offset:1024
	flat_load_dword v8, v[2:3] offset:2048
	;; [unrolled: 1-line block ×3, first 2 shown]
	flat_load_dword v10, v[4:5]
	flat_load_dword v11, v[4:5] offset:1024
	flat_load_dword v12, v[4:5] offset:2048
	flat_load_dword v13, v[4:5] offset:3072
	v_add_co_u32_e32 v2, vcc, 0x2000, v2
	v_addc_co_u32_e32 v3, vcc, 0, v3, vcc
	flat_load_dword v4, v[2:3]
	flat_load_dword v5, v[2:3] offset:1024
	s_mov_b64 s[0:1], 0
	s_waitcnt vmcnt(0) lgkmcnt(0)
	ds_write2st64_b32 v1, v6, v7 offset1:4
	ds_write2st64_b32 v1, v8, v9 offset0:8 offset1:12
	ds_write2st64_b32 v1, v10, v11 offset0:16 offset1:20
	;; [unrolled: 1-line block ×4, first 2 shown]
	s_waitcnt lgkmcnt(0)
	s_barrier
.LBB2733_2:
	s_andn2_b64 vcc, exec, s[0:1]
	s_addk_i32 s33, 0xa00
	s_cbranch_vccnz .LBB2733_24
; %bb.3:
	v_cmp_gt_u32_e32 vcc, s33, v0
                                        ; implicit-def: $vgpr2_vgpr3_vgpr4_vgpr5_vgpr6_vgpr7_vgpr8_vgpr9_vgpr10_vgpr11
	s_and_saveexec_b64 s[0:1], vcc
	s_cbranch_execz .LBB2733_5
; %bb.4:
	v_mov_b32_e32 v3, s8
	v_add_co_u32_e32 v2, vcc, s7, v1
	v_addc_co_u32_e32 v3, vcc, 0, v3, vcc
	flat_load_dword v2, v[2:3]
.LBB2733_5:
	s_or_b64 exec, exec, s[0:1]
	v_or_b32_e32 v12, 0x100, v0
	v_cmp_gt_u32_e32 vcc, s33, v12
	s_and_saveexec_b64 s[0:1], vcc
	s_cbranch_execz .LBB2733_7
; %bb.6:
	v_mov_b32_e32 v3, s8
	v_add_co_u32_e32 v12, vcc, s7, v1
	v_addc_co_u32_e32 v13, vcc, 0, v3, vcc
	flat_load_dword v3, v[12:13] offset:1024
.LBB2733_7:
	s_or_b64 exec, exec, s[0:1]
	v_or_b32_e32 v12, 0x200, v0
	v_cmp_gt_u32_e32 vcc, s33, v12
	s_and_saveexec_b64 s[0:1], vcc
	s_cbranch_execz .LBB2733_9
; %bb.8:
	v_mov_b32_e32 v4, s8
	v_add_co_u32_e32 v12, vcc, s7, v1
	v_addc_co_u32_e32 v13, vcc, 0, v4, vcc
	flat_load_dword v4, v[12:13] offset:2048
.LBB2733_9:
	;; [unrolled: 11-line block ×3, first 2 shown]
	s_or_b64 exec, exec, s[0:1]
	v_or_b32_e32 v12, 0x400, v0
	v_cmp_gt_u32_e32 vcc, s33, v12
	s_and_saveexec_b64 s[0:1], vcc
	s_cbranch_execz .LBB2733_13
; %bb.12:
	v_lshlrev_b32_e32 v6, 2, v12
	v_mov_b32_e32 v13, s8
	v_add_co_u32_e32 v12, vcc, s7, v6
	v_addc_co_u32_e32 v13, vcc, 0, v13, vcc
	flat_load_dword v6, v[12:13]
.LBB2733_13:
	s_or_b64 exec, exec, s[0:1]
	v_or_b32_e32 v12, 0x500, v0
	v_cmp_gt_u32_e32 vcc, s33, v12
	s_and_saveexec_b64 s[0:1], vcc
	s_cbranch_execz .LBB2733_15
; %bb.14:
	v_lshlrev_b32_e32 v7, 2, v12
	v_mov_b32_e32 v13, s8
	v_add_co_u32_e32 v12, vcc, s7, v7
	v_addc_co_u32_e32 v13, vcc, 0, v13, vcc
	flat_load_dword v7, v[12:13]
.LBB2733_15:
	;; [unrolled: 12-line block ×6, first 2 shown]
	s_or_b64 exec, exec, s[0:1]
	s_waitcnt vmcnt(0) lgkmcnt(0)
	ds_write2st64_b32 v1, v2, v3 offset1:4
	ds_write2st64_b32 v1, v4, v5 offset0:8 offset1:12
	ds_write2st64_b32 v1, v6, v7 offset0:16 offset1:20
	;; [unrolled: 1-line block ×4, first 2 shown]
	s_waitcnt lgkmcnt(0)
	s_barrier
.LBB2733_24:
	v_mul_u32_u24_e32 v23, 10, v0
	v_lshlrev_b32_e32 v29, 2, v23
	s_waitcnt lgkmcnt(0)
	ds_read2_b64 v[6:9], v29 offset1:1
	ds_read2_b64 v[2:5], v29 offset0:2 offset1:3
	ds_read_b64 v[10:11], v29 offset:32
	v_cndmask_b32_e64 v12, 0, 1, s[2:3]
	v_cmp_ne_u32_e64 s[0:1], 1, v12
	s_andn2_b64 vcc, exec, s[2:3]
	s_waitcnt lgkmcnt(2)
	v_xor_b32_e32 v21, -1, v6
	v_xor_b32_e32 v20, -1, v7
	;; [unrolled: 1-line block ×4, first 2 shown]
	s_waitcnt lgkmcnt(1)
	v_xor_b32_e32 v17, -1, v2
	v_xor_b32_e32 v16, -1, v3
	;; [unrolled: 1-line block ×4, first 2 shown]
	s_waitcnt lgkmcnt(0)
	v_xor_b32_e32 v13, -1, v10
	v_xor_b32_e32 v12, -1, v11
	s_barrier
	s_cbranch_vccnz .LBB2733_26
; %bb.25:
	v_mov_b32_e32 v22, 1
	v_and_b32_e32 v25, 1, v21
	v_and_b32_sdwa v26, v20, v22 dst_sel:BYTE_1 dst_unused:UNUSED_PAD src0_sel:DWORD src1_sel:DWORD
	v_and_b32_e32 v27, 1, v19
	v_and_b32_sdwa v28, v18, v22 dst_sel:BYTE_1 dst_unused:UNUSED_PAD src0_sel:DWORD src1_sel:DWORD
	;; [unrolled: 2-line block ×4, first 2 shown]
	v_or_b32_e32 v25, v25, v26
	v_or_b32_sdwa v26, v27, v28 dst_sel:WORD_1 dst_unused:UNUSED_PAD src0_sel:DWORD src1_sel:DWORD
	v_or_b32_sdwa v26, v25, v26 dst_sel:DWORD dst_unused:UNUSED_PAD src0_sel:WORD_0 src1_sel:DWORD
	v_or_b32_e32 v25, v30, v31
	v_or_b32_sdwa v27, v32, v33 dst_sel:WORD_1 dst_unused:UNUSED_PAD src0_sel:DWORD src1_sel:DWORD
	v_and_b32_e32 v24, 1, v13
	v_and_b32_e32 v22, 1, v12
	v_or_b32_sdwa v25, v25, v27 dst_sel:DWORD dst_unused:UNUSED_PAD src0_sel:WORD_0 src1_sel:DWORD
	s_load_dwordx2 s[28:29], s[4:5], 0x70
	s_cbranch_execz .LBB2733_27
	s_branch .LBB2733_28
.LBB2733_26:
                                        ; implicit-def: $vgpr22
                                        ; implicit-def: $vgpr24
                                        ; implicit-def: $vgpr25
                                        ; implicit-def: $vgpr26
	s_load_dwordx2 s[28:29], s[4:5], 0x70
.LBB2733_27:
	v_or_b32_e32 v32, 1, v23
	v_cmp_gt_u32_e32 vcc, s33, v23
	v_add_u32_e32 v22, 2, v23
	v_cndmask_b32_e64 v33, 0, 1, vcc
	v_cmp_gt_u32_e32 vcc, s33, v32
	v_add_u32_e32 v31, 3, v23
	v_cndmask_b32_e64 v32, 0, 1, vcc
	;; [unrolled: 3-line block ×3, first 2 shown]
	v_cmp_gt_u32_e32 vcc, s33, v31
	v_add_u32_e32 v30, 5, v23
	v_and_b32_e32 v19, v22, v19
	v_cndmask_b32_e64 v22, 0, 1, vcc
	v_cmp_gt_u32_e32 vcc, s33, v24
	v_add_u32_e32 v25, 6, v23
	v_and_b32_sdwa v18, v22, v18 dst_sel:BYTE_1 dst_unused:UNUSED_PAD src0_sel:DWORD src1_sel:DWORD
	v_cndmask_b32_e64 v22, 0, 1, vcc
	v_cmp_gt_u32_e32 vcc, s33, v30
	v_add_u32_e32 v28, 7, v23
	v_and_b32_e32 v17, v22, v17
	v_cndmask_b32_e64 v22, 0, 1, vcc
	v_cmp_gt_u32_e32 vcc, s33, v25
	v_add_u32_e32 v26, 8, v23
	v_and_b32_sdwa v16, v22, v16 dst_sel:BYTE_1 dst_unused:UNUSED_PAD src0_sel:DWORD src1_sel:DWORD
	v_cndmask_b32_e64 v22, 0, 1, vcc
	v_cmp_gt_u32_e32 vcc, s33, v28
	v_add_u32_e32 v27, 9, v23
	v_and_b32_e32 v15, v22, v15
	v_cndmask_b32_e64 v22, 0, 1, vcc
	v_cmp_gt_u32_e32 vcc, s33, v26
	v_and_b32_sdwa v14, v22, v14 dst_sel:BYTE_1 dst_unused:UNUSED_PAD src0_sel:DWORD src1_sel:DWORD
	v_cndmask_b32_e64 v22, 0, 1, vcc
	v_cmp_gt_u32_e32 vcc, s33, v27
	v_and_b32_e32 v21, v33, v21
	v_and_b32_sdwa v20, v32, v20 dst_sel:BYTE_1 dst_unused:UNUSED_PAD src0_sel:DWORD src1_sel:DWORD
	v_and_b32_e32 v24, v22, v13
	v_cndmask_b32_e64 v13, 0, 1, vcc
	v_and_b32_e32 v22, v13, v12
	v_or_b32_e32 v12, v21, v20
	v_or_b32_sdwa v13, v19, v18 dst_sel:WORD_1 dst_unused:UNUSED_PAD src0_sel:DWORD src1_sel:DWORD
	v_or_b32_sdwa v26, v12, v13 dst_sel:DWORD dst_unused:UNUSED_PAD src0_sel:WORD_0 src1_sel:DWORD
	v_or_b32_e32 v12, v17, v16
	v_or_b32_sdwa v13, v15, v14 dst_sel:WORD_1 dst_unused:UNUSED_PAD src0_sel:DWORD src1_sel:DWORD
	v_or_b32_sdwa v25, v12, v13 dst_sel:DWORD dst_unused:UNUSED_PAD src0_sel:WORD_0 src1_sel:DWORD
.LBB2733_28:
	v_bfe_u32 v30, v26, 16, 8
	v_lshrrev_b32_e32 v28, 24, v26
	v_add_u32_sdwa v13, v26, v26 dst_sel:DWORD dst_unused:UNUSED_PAD src0_sel:BYTE_1 src1_sel:BYTE_0
	v_and_b32_e32 v31, 0xff, v25
	v_bfe_u32 v32, v25, 8, 8
	v_add3_u32 v13, v13, v30, v28
	v_bfe_u32 v33, v25, 16, 8
	v_lshrrev_b32_e32 v27, 24, v25
	v_add3_u32 v13, v13, v31, v32
	v_and_b32_e32 v34, 0xff, v24
	v_and_b32_e32 v12, 0xff, v22
	v_add3_u32 v13, v13, v33, v27
	v_add3_u32 v37, v13, v34, v12
	v_mbcnt_lo_u32_b32 v12, -1, 0
	v_mbcnt_hi_u32_b32 v35, -1, v12
	v_and_b32_e32 v12, 15, v35
	v_cmp_eq_u32_e64 s[16:17], 0, v12
	v_cmp_lt_u32_e64 s[14:15], 1, v12
	v_cmp_lt_u32_e64 s[12:13], 3, v12
	;; [unrolled: 1-line block ×3, first 2 shown]
	v_and_b32_e32 v12, 16, v35
	v_cmp_eq_u32_e64 s[8:9], 0, v12
	v_or_b32_e32 v12, 63, v0
	s_cmp_lg_u32 s6, 0
	v_cmp_lt_u32_e64 s[2:3], 31, v35
	v_lshrrev_b32_e32 v36, 6, v0
	v_cmp_eq_u32_e64 s[20:21], v12, v0
	s_cbranch_scc0 .LBB2733_59
; %bb.29:
	v_mov_b32_dpp v12, v37 row_shr:1 row_mask:0xf bank_mask:0xf
	v_cndmask_b32_e64 v12, v12, 0, s[16:17]
	v_add_u32_e32 v12, v12, v37
	s_nop 1
	v_mov_b32_dpp v13, v12 row_shr:2 row_mask:0xf bank_mask:0xf
	v_cndmask_b32_e64 v13, 0, v13, s[14:15]
	v_add_u32_e32 v12, v12, v13
	s_nop 1
	;; [unrolled: 4-line block ×4, first 2 shown]
	v_mov_b32_dpp v13, v12 row_bcast:15 row_mask:0xf bank_mask:0xf
	v_cndmask_b32_e64 v13, v13, 0, s[8:9]
	v_add_u32_e32 v12, v12, v13
	s_nop 1
	v_mov_b32_dpp v13, v12 row_bcast:31 row_mask:0xf bank_mask:0xf
	v_cndmask_b32_e64 v13, 0, v13, s[2:3]
	v_add_u32_e32 v12, v12, v13
	s_and_saveexec_b64 s[18:19], s[20:21]
	s_cbranch_execz .LBB2733_31
; %bb.30:
	v_lshlrev_b32_e32 v13, 2, v36
	ds_write_b32 v13, v12
.LBB2733_31:
	s_or_b64 exec, exec, s[18:19]
	v_cmp_gt_u32_e32 vcc, 4, v0
	s_waitcnt lgkmcnt(0)
	s_barrier
	s_and_saveexec_b64 s[18:19], vcc
	s_cbranch_execz .LBB2733_33
; %bb.32:
	ds_read_b32 v13, v1
	v_and_b32_e32 v14, 3, v35
	v_cmp_ne_u32_e32 vcc, 0, v14
	s_waitcnt lgkmcnt(0)
	v_mov_b32_dpp v15, v13 row_shr:1 row_mask:0xf bank_mask:0xf
	v_cndmask_b32_e32 v15, 0, v15, vcc
	v_add_u32_e32 v13, v15, v13
	v_cmp_lt_u32_e32 vcc, 1, v14
	s_nop 0
	v_mov_b32_dpp v15, v13 row_shr:2 row_mask:0xf bank_mask:0xf
	v_cndmask_b32_e32 v14, 0, v15, vcc
	v_add_u32_e32 v13, v13, v14
	ds_write_b32 v1, v13
.LBB2733_33:
	s_or_b64 exec, exec, s[18:19]
	v_cmp_gt_u32_e32 vcc, 64, v0
	v_cmp_lt_u32_e64 s[18:19], 63, v0
	s_waitcnt lgkmcnt(0)
	s_barrier
	s_waitcnt lgkmcnt(0)
                                        ; implicit-def: $vgpr38
	s_and_saveexec_b64 s[30:31], s[18:19]
	s_cbranch_execz .LBB2733_35
; %bb.34:
	v_lshl_add_u32 v13, v36, 2, -4
	ds_read_b32 v38, v13
	s_waitcnt lgkmcnt(0)
	v_add_u32_e32 v12, v38, v12
.LBB2733_35:
	s_or_b64 exec, exec, s[30:31]
	v_add_u32_e32 v13, -1, v35
	v_and_b32_e32 v14, 64, v35
	v_cmp_lt_i32_e64 s[18:19], v13, v14
	v_cndmask_b32_e64 v13, v13, v35, s[18:19]
	v_lshlrev_b32_e32 v13, 2, v13
	ds_bpermute_b32 v39, v13, v12
	v_cmp_eq_u32_e64 s[18:19], 0, v35
	s_and_saveexec_b64 s[30:31], vcc
	s_cbranch_execz .LBB2733_58
; %bb.36:
	v_mov_b32_e32 v21, 0
	ds_read_b32 v12, v21 offset:12
	s_and_saveexec_b64 s[34:35], s[18:19]
	s_cbranch_execz .LBB2733_38
; %bb.37:
	s_add_i32 s36, s6, 64
	s_mov_b32 s37, 0
	s_lshl_b64 s[36:37], s[36:37], 3
	s_add_u32 s36, s28, s36
	v_mov_b32_e32 v13, 1
	s_addc_u32 s37, s29, s37
	s_waitcnt lgkmcnt(0)
	global_store_dwordx2 v21, v[12:13], s[36:37]
.LBB2733_38:
	s_or_b64 exec, exec, s[34:35]
	v_xad_u32 v14, v35, -1, s6
	v_add_u32_e32 v20, 64, v14
	v_lshlrev_b64 v[16:17], 3, v[20:21]
	v_mov_b32_e32 v13, s29
	v_add_co_u32_e32 v16, vcc, s28, v16
	v_addc_co_u32_e32 v17, vcc, v13, v17, vcc
	global_load_dwordx2 v[18:19], v[16:17], off glc
	s_waitcnt vmcnt(0)
	v_cmp_eq_u16_sdwa s[36:37], v19, v21 src0_sel:BYTE_0 src1_sel:DWORD
	s_and_saveexec_b64 s[34:35], s[36:37]
	s_cbranch_execz .LBB2733_44
; %bb.39:
	s_mov_b32 s7, 1
	s_mov_b64 s[36:37], 0
	v_mov_b32_e32 v13, 0
.LBB2733_40:                            ; =>This Loop Header: Depth=1
                                        ;     Child Loop BB2733_41 Depth 2
	s_max_u32 s38, s7, 1
.LBB2733_41:                            ;   Parent Loop BB2733_40 Depth=1
                                        ; =>  This Inner Loop Header: Depth=2
	s_add_i32 s38, s38, -1
	s_cmp_eq_u32 s38, 0
	s_sleep 1
	s_cbranch_scc0 .LBB2733_41
; %bb.42:                               ;   in Loop: Header=BB2733_40 Depth=1
	global_load_dwordx2 v[18:19], v[16:17], off glc
	s_cmp_lt_u32 s7, 32
	s_cselect_b64 s[38:39], -1, 0
	s_cmp_lg_u64 s[38:39], 0
	s_addc_u32 s7, s7, 0
	s_waitcnt vmcnt(0)
	v_cmp_ne_u16_sdwa s[38:39], v19, v13 src0_sel:BYTE_0 src1_sel:DWORD
	s_or_b64 s[36:37], s[38:39], s[36:37]
	s_andn2_b64 exec, exec, s[36:37]
	s_cbranch_execnz .LBB2733_40
; %bb.43:
	s_or_b64 exec, exec, s[36:37]
.LBB2733_44:
	s_or_b64 exec, exec, s[34:35]
	v_and_b32_e32 v41, 63, v35
	v_mov_b32_e32 v40, 2
	v_cmp_ne_u32_e32 vcc, 63, v41
	v_cmp_eq_u16_sdwa s[34:35], v19, v40 src0_sel:BYTE_0 src1_sel:DWORD
	v_lshlrev_b64 v[16:17], v35, -1
	v_addc_co_u32_e32 v20, vcc, 0, v35, vcc
	v_and_b32_e32 v13, s35, v17
	v_lshlrev_b32_e32 v42, 2, v20
	v_or_b32_e32 v13, 0x80000000, v13
	ds_bpermute_b32 v20, v42, v18
	v_and_b32_e32 v15, s34, v16
	v_ffbl_b32_e32 v13, v13
	v_add_u32_e32 v13, 32, v13
	v_ffbl_b32_e32 v15, v15
	v_min_u32_e32 v13, v15, v13
	v_cmp_lt_u32_e32 vcc, v41, v13
	s_waitcnt lgkmcnt(0)
	v_cndmask_b32_e32 v15, 0, v20, vcc
	v_cmp_gt_u32_e32 vcc, 62, v41
	v_add_u32_e32 v15, v15, v18
	v_cndmask_b32_e64 v18, 0, 1, vcc
	v_lshlrev_b32_e32 v18, 1, v18
	v_add_lshl_u32 v43, v18, v35, 2
	ds_bpermute_b32 v18, v43, v15
	v_add_u32_e32 v44, 2, v41
	v_cmp_le_u32_e32 vcc, v44, v13
	v_add_u32_e32 v46, 4, v41
	v_add_u32_e32 v48, 8, v41
	s_waitcnt lgkmcnt(0)
	v_cndmask_b32_e32 v18, 0, v18, vcc
	v_cmp_gt_u32_e32 vcc, 60, v41
	v_add_u32_e32 v15, v15, v18
	v_cndmask_b32_e64 v18, 0, 1, vcc
	v_lshlrev_b32_e32 v18, 2, v18
	v_add_lshl_u32 v45, v18, v35, 2
	ds_bpermute_b32 v18, v45, v15
	v_cmp_le_u32_e32 vcc, v46, v13
	v_add_u32_e32 v50, 16, v41
	v_add_u32_e32 v52, 32, v41
	s_waitcnt lgkmcnt(0)
	v_cndmask_b32_e32 v18, 0, v18, vcc
	v_cmp_gt_u32_e32 vcc, 56, v41
	v_add_u32_e32 v15, v15, v18
	v_cndmask_b32_e64 v18, 0, 1, vcc
	v_lshlrev_b32_e32 v18, 3, v18
	v_add_lshl_u32 v47, v18, v35, 2
	ds_bpermute_b32 v18, v47, v15
	v_cmp_le_u32_e32 vcc, v48, v13
	s_waitcnt lgkmcnt(0)
	v_cndmask_b32_e32 v18, 0, v18, vcc
	v_cmp_gt_u32_e32 vcc, 48, v41
	v_add_u32_e32 v15, v15, v18
	v_cndmask_b32_e64 v18, 0, 1, vcc
	v_lshlrev_b32_e32 v18, 4, v18
	v_add_lshl_u32 v49, v18, v35, 2
	ds_bpermute_b32 v18, v49, v15
	v_cmp_le_u32_e32 vcc, v50, v13
	;; [unrolled: 9-line block ×3, first 2 shown]
	s_waitcnt lgkmcnt(0)
	v_cndmask_b32_e32 v13, 0, v18, vcc
	v_add_u32_e32 v18, v15, v13
	v_mov_b32_e32 v15, 0
	s_branch .LBB2733_46
.LBB2733_45:                            ;   in Loop: Header=BB2733_46 Depth=1
	s_or_b64 exec, exec, s[34:35]
	v_cmp_eq_u16_sdwa s[34:35], v19, v40 src0_sel:BYTE_0 src1_sel:DWORD
	v_and_b32_e32 v20, s35, v17
	v_or_b32_e32 v20, 0x80000000, v20
	ds_bpermute_b32 v53, v42, v18
	v_and_b32_e32 v21, s34, v16
	v_ffbl_b32_e32 v20, v20
	v_add_u32_e32 v20, 32, v20
	v_ffbl_b32_e32 v21, v21
	v_min_u32_e32 v20, v21, v20
	v_cmp_lt_u32_e32 vcc, v41, v20
	s_waitcnt lgkmcnt(0)
	v_cndmask_b32_e32 v21, 0, v53, vcc
	v_add_u32_e32 v18, v21, v18
	ds_bpermute_b32 v21, v43, v18
	v_cmp_le_u32_e32 vcc, v44, v20
	v_subrev_u32_e32 v14, 64, v14
	s_waitcnt lgkmcnt(0)
	v_cndmask_b32_e32 v21, 0, v21, vcc
	v_add_u32_e32 v18, v18, v21
	ds_bpermute_b32 v21, v45, v18
	v_cmp_le_u32_e32 vcc, v46, v20
	s_waitcnt lgkmcnt(0)
	v_cndmask_b32_e32 v21, 0, v21, vcc
	v_add_u32_e32 v18, v18, v21
	ds_bpermute_b32 v21, v47, v18
	v_cmp_le_u32_e32 vcc, v48, v20
	;; [unrolled: 5-line block ×4, first 2 shown]
	s_waitcnt lgkmcnt(0)
	v_cndmask_b32_e32 v20, 0, v21, vcc
	v_add3_u32 v18, v20, v13, v18
.LBB2733_46:                            ; =>This Loop Header: Depth=1
                                        ;     Child Loop BB2733_49 Depth 2
                                        ;       Child Loop BB2733_50 Depth 3
	v_cmp_ne_u16_sdwa s[34:35], v19, v40 src0_sel:BYTE_0 src1_sel:DWORD
	v_cndmask_b32_e64 v13, 0, 1, s[34:35]
	;;#ASMSTART
	;;#ASMEND
	v_cmp_ne_u32_e32 vcc, 0, v13
	s_cmp_lg_u64 vcc, exec
	v_mov_b32_e32 v13, v18
	s_cbranch_scc1 .LBB2733_53
; %bb.47:                               ;   in Loop: Header=BB2733_46 Depth=1
	v_lshlrev_b64 v[18:19], 3, v[14:15]
	v_mov_b32_e32 v21, s29
	v_add_co_u32_e32 v20, vcc, s28, v18
	v_addc_co_u32_e32 v21, vcc, v21, v19, vcc
	global_load_dwordx2 v[18:19], v[20:21], off glc
	s_waitcnt vmcnt(0)
	v_cmp_eq_u16_sdwa s[36:37], v19, v15 src0_sel:BYTE_0 src1_sel:DWORD
	s_and_saveexec_b64 s[34:35], s[36:37]
	s_cbranch_execz .LBB2733_45
; %bb.48:                               ;   in Loop: Header=BB2733_46 Depth=1
	s_mov_b32 s7, 1
	s_mov_b64 s[36:37], 0
.LBB2733_49:                            ;   Parent Loop BB2733_46 Depth=1
                                        ; =>  This Loop Header: Depth=2
                                        ;       Child Loop BB2733_50 Depth 3
	s_max_u32 s38, s7, 1
.LBB2733_50:                            ;   Parent Loop BB2733_46 Depth=1
                                        ;     Parent Loop BB2733_49 Depth=2
                                        ; =>    This Inner Loop Header: Depth=3
	s_add_i32 s38, s38, -1
	s_cmp_eq_u32 s38, 0
	s_sleep 1
	s_cbranch_scc0 .LBB2733_50
; %bb.51:                               ;   in Loop: Header=BB2733_49 Depth=2
	global_load_dwordx2 v[18:19], v[20:21], off glc
	s_cmp_lt_u32 s7, 32
	s_cselect_b64 s[38:39], -1, 0
	s_cmp_lg_u64 s[38:39], 0
	s_addc_u32 s7, s7, 0
	s_waitcnt vmcnt(0)
	v_cmp_ne_u16_sdwa s[38:39], v19, v15 src0_sel:BYTE_0 src1_sel:DWORD
	s_or_b64 s[36:37], s[38:39], s[36:37]
	s_andn2_b64 exec, exec, s[36:37]
	s_cbranch_execnz .LBB2733_49
; %bb.52:                               ;   in Loop: Header=BB2733_46 Depth=1
	s_or_b64 exec, exec, s[36:37]
	s_branch .LBB2733_45
.LBB2733_53:                            ;   in Loop: Header=BB2733_46 Depth=1
                                        ; implicit-def: $vgpr18
                                        ; implicit-def: $vgpr19
	s_cbranch_execz .LBB2733_46
; %bb.54:
	s_and_saveexec_b64 s[34:35], s[18:19]
	s_cbranch_execz .LBB2733_56
; %bb.55:
	s_add_i32 s6, s6, 64
	s_mov_b32 s7, 0
	s_lshl_b64 s[6:7], s[6:7], 3
	s_add_u32 s6, s28, s6
	v_add_u32_e32 v14, v13, v12
	v_mov_b32_e32 v15, 2
	s_addc_u32 s7, s29, s7
	v_mov_b32_e32 v16, 0
	global_store_dwordx2 v16, v[14:15], s[6:7]
	ds_write_b64 v16, v[12:13] offset:10240
.LBB2733_56:
	s_or_b64 exec, exec, s[34:35]
	v_cmp_eq_u32_e32 vcc, 0, v0
	s_and_b64 exec, exec, vcc
	s_cbranch_execz .LBB2733_58
; %bb.57:
	v_mov_b32_e32 v12, 0
	ds_write_b32 v12, v13 offset:12
.LBB2733_58:
	s_or_b64 exec, exec, s[30:31]
	v_mov_b32_e32 v12, 0
	s_waitcnt lgkmcnt(0)
	s_barrier
	ds_read_b32 v13, v12 offset:12
	v_cndmask_b32_e64 v14, v39, v38, s[18:19]
	v_cmp_ne_u32_e32 vcc, 0, v0
	v_cndmask_b32_e32 v14, 0, v14, vcc
	s_waitcnt lgkmcnt(0)
	v_add_u32_e32 v40, v13, v14
	v_add_u32_sdwa v39, v40, v26 dst_sel:DWORD dst_unused:UNUSED_PAD src0_sel:DWORD src1_sel:BYTE_0
	v_add_u32_sdwa v38, v39, v26 dst_sel:DWORD dst_unused:UNUSED_PAD src0_sel:DWORD src1_sel:BYTE_1
	v_add_u32_e32 v21, v38, v30
	v_add_u32_e32 v20, v21, v28
	s_barrier
	ds_read_b64 v[12:13], v12 offset:10240
	v_add_u32_e32 v19, v20, v31
	v_add_u32_e32 v18, v19, v32
	;; [unrolled: 1-line block ×5, first 2 shown]
	s_waitcnt lgkmcnt(0)
	v_mov_b32_e32 v14, v13
	s_load_dwordx2 s[4:5], s[4:5], 0x28
	s_branch .LBB2733_69
.LBB2733_59:
                                        ; implicit-def: $vgpr14
                                        ; implicit-def: $vgpr12
                                        ; implicit-def: $vgpr15
                                        ; implicit-def: $vgpr16
                                        ; implicit-def: $vgpr17
                                        ; implicit-def: $vgpr18
                                        ; implicit-def: $vgpr19
                                        ; implicit-def: $vgpr20
                                        ; implicit-def: $vgpr21
                                        ; implicit-def: $vgpr38
                                        ; implicit-def: $vgpr39
                                        ; implicit-def: $vgpr40
	s_load_dwordx2 s[4:5], s[4:5], 0x28
	s_cbranch_execz .LBB2733_69
; %bb.60:
	v_mov_b32_dpp v12, v37 row_shr:1 row_mask:0xf bank_mask:0xf
	v_cndmask_b32_e64 v12, v12, 0, s[16:17]
	v_add_u32_e32 v12, v12, v37
	s_nop 1
	v_mov_b32_dpp v13, v12 row_shr:2 row_mask:0xf bank_mask:0xf
	v_cndmask_b32_e64 v13, 0, v13, s[14:15]
	v_add_u32_e32 v12, v12, v13
	s_nop 1
	;; [unrolled: 4-line block ×4, first 2 shown]
	v_mov_b32_dpp v13, v12 row_bcast:15 row_mask:0xf bank_mask:0xf
	v_cndmask_b32_e64 v13, v13, 0, s[8:9]
	v_add_u32_e32 v12, v12, v13
	s_nop 1
	v_mov_b32_dpp v13, v12 row_bcast:31 row_mask:0xf bank_mask:0xf
	v_cndmask_b32_e64 v13, 0, v13, s[2:3]
	v_add_u32_e32 v12, v12, v13
	s_and_saveexec_b64 s[2:3], s[20:21]
	s_cbranch_execz .LBB2733_62
; %bb.61:
	v_lshlrev_b32_e32 v13, 2, v36
	ds_write_b32 v13, v12
.LBB2733_62:
	s_or_b64 exec, exec, s[2:3]
	v_cmp_gt_u32_e32 vcc, 4, v0
	s_waitcnt lgkmcnt(0)
	s_barrier
	s_and_saveexec_b64 s[2:3], vcc
	s_cbranch_execz .LBB2733_64
; %bb.63:
	s_movk_i32 s6, 0xffdc
	v_mad_i32_i24 v13, v0, s6, v29
	ds_read_b32 v14, v13
	v_and_b32_e32 v15, 3, v35
	v_cmp_ne_u32_e32 vcc, 0, v15
	s_waitcnt lgkmcnt(0)
	v_mov_b32_dpp v16, v14 row_shr:1 row_mask:0xf bank_mask:0xf
	v_cndmask_b32_e32 v16, 0, v16, vcc
	v_add_u32_e32 v14, v16, v14
	v_cmp_lt_u32_e32 vcc, 1, v15
	s_nop 0
	v_mov_b32_dpp v16, v14 row_shr:2 row_mask:0xf bank_mask:0xf
	v_cndmask_b32_e32 v15, 0, v16, vcc
	v_add_u32_e32 v14, v14, v15
	ds_write_b32 v13, v14
.LBB2733_64:
	s_or_b64 exec, exec, s[2:3]
	v_cmp_lt_u32_e32 vcc, 63, v0
	v_mov_b32_e32 v13, 0
	v_mov_b32_e32 v14, 0
	s_waitcnt lgkmcnt(0)
	s_barrier
	s_and_saveexec_b64 s[2:3], vcc
	s_cbranch_execz .LBB2733_66
; %bb.65:
	v_lshl_add_u32 v14, v36, 2, -4
	ds_read_b32 v14, v14
.LBB2733_66:
	s_or_b64 exec, exec, s[2:3]
	v_add_u32_e32 v15, -1, v35
	v_and_b32_e32 v16, 64, v35
	v_cmp_lt_i32_e32 vcc, v15, v16
	v_cndmask_b32_e32 v15, v15, v35, vcc
	s_waitcnt lgkmcnt(0)
	v_add_u32_e32 v12, v14, v12
	v_lshlrev_b32_e32 v15, 2, v15
	ds_bpermute_b32 v15, v15, v12
	ds_read_b32 v12, v13 offset:12
	v_cmp_eq_u32_e32 vcc, 0, v0
	s_and_saveexec_b64 s[2:3], vcc
	s_cbranch_execz .LBB2733_68
; %bb.67:
	v_mov_b32_e32 v16, 0
	v_mov_b32_e32 v13, 2
	s_waitcnt lgkmcnt(0)
	global_store_dwordx2 v16, v[12:13], s[28:29] offset:512
.LBB2733_68:
	s_or_b64 exec, exec, s[2:3]
	v_cmp_eq_u32_e64 s[2:3], 0, v35
	s_waitcnt lgkmcnt(1)
	v_cndmask_b32_e64 v13, v15, v14, s[2:3]
	v_cndmask_b32_e64 v40, v13, 0, vcc
	v_add_u32_sdwa v39, v40, v26 dst_sel:DWORD dst_unused:UNUSED_PAD src0_sel:DWORD src1_sel:BYTE_0
	v_add_u32_sdwa v38, v39, v26 dst_sel:DWORD dst_unused:UNUSED_PAD src0_sel:DWORD src1_sel:BYTE_1
	v_add_u32_e32 v21, v38, v30
	v_add_u32_e32 v20, v21, v28
	;; [unrolled: 1-line block ×6, first 2 shown]
	v_mov_b32_e32 v14, 0
	v_add_u32_e32 v15, v16, v34
	s_waitcnt lgkmcnt(0)
	s_barrier
.LBB2733_69:
	v_add_u32_e32 v23, v12, v23
	v_sub_u32_e32 v30, v40, v14
	v_and_b32_e32 v32, 1, v26
	v_sub_u32_e32 v31, v23, v30
	v_cmp_eq_u32_e32 vcc, 1, v32
	v_cndmask_b32_e32 v30, v31, v30, vcc
	v_lshlrev_b32_e32 v30, 2, v30
	v_lshrrev_b32_e32 v29, 8, v26
	ds_write_b32 v30, v6
	v_sub_u32_e32 v6, v39, v14
	v_sub_u32_e32 v30, v23, v6
	v_and_b32_e32 v29, 1, v29
	v_add_u32_e32 v30, 1, v30
	v_cmp_eq_u32_e32 vcc, 1, v29
	v_cndmask_b32_e32 v6, v30, v6, vcc
	v_lshlrev_b32_e32 v6, 2, v6
	ds_write_b32 v6, v7
	v_sub_u32_e32 v6, v38, v14
	v_mov_b32_e32 v29, 1
	v_sub_u32_e32 v7, v23, v6
	v_and_b32_sdwa v26, v29, v26 dst_sel:DWORD dst_unused:UNUSED_PAD src0_sel:DWORD src1_sel:WORD_1
	v_add_u32_e32 v7, 2, v7
	v_cmp_eq_u32_e32 vcc, 1, v26
	v_cndmask_b32_e32 v6, v7, v6, vcc
	v_lshlrev_b32_e32 v6, 2, v6
	ds_write_b32 v6, v8
	v_sub_u32_e32 v6, v21, v14
	v_sub_u32_e32 v7, v23, v6
	v_and_b32_e32 v8, 1, v28
	v_add_u32_e32 v7, 3, v7
	v_cmp_eq_u32_e32 vcc, 1, v8
	v_cndmask_b32_e32 v6, v7, v6, vcc
	v_lshlrev_b32_e32 v6, 2, v6
	ds_write_b32 v6, v9
	v_sub_u32_e32 v6, v20, v14
	v_sub_u32_e32 v7, v23, v6
	v_and_b32_e32 v8, 1, v25
	v_add_u32_e32 v7, 4, v7
	v_cmp_eq_u32_e32 vcc, 1, v8
	v_cndmask_b32_e32 v6, v7, v6, vcc
	v_lshlrev_b32_e32 v6, 2, v6
	v_lshrrev_b32_e32 v13, 8, v25
	ds_write_b32 v6, v2
	v_sub_u32_e32 v2, v19, v14
	v_sub_u32_e32 v6, v23, v2
	v_and_b32_e32 v7, 1, v13
	v_add_u32_e32 v6, 5, v6
	v_cmp_eq_u32_e32 vcc, 1, v7
	v_cndmask_b32_e32 v2, v6, v2, vcc
	v_lshlrev_b32_e32 v2, 2, v2
	ds_write_b32 v2, v3
	v_sub_u32_e32 v2, v18, v14
	v_sub_u32_e32 v3, v23, v2
	v_and_b32_sdwa v6, v29, v25 dst_sel:DWORD dst_unused:UNUSED_PAD src0_sel:DWORD src1_sel:WORD_1
	v_add_u32_e32 v3, 6, v3
	v_cmp_eq_u32_e32 vcc, 1, v6
	v_cndmask_b32_e32 v2, v3, v2, vcc
	v_lshlrev_b32_e32 v2, 2, v2
	ds_write_b32 v2, v4
	v_sub_u32_e32 v2, v17, v14
	v_sub_u32_e32 v3, v23, v2
	v_and_b32_e32 v4, 1, v27
	v_add_u32_e32 v3, 7, v3
	v_cmp_eq_u32_e32 vcc, 1, v4
	v_cndmask_b32_e32 v2, v3, v2, vcc
	v_lshlrev_b32_e32 v2, 2, v2
	ds_write_b32 v2, v5
	v_sub_u32_e32 v2, v16, v14
	v_sub_u32_e32 v3, v23, v2
	v_and_b32_e32 v4, 1, v24
	;; [unrolled: 8-line block ×3, first 2 shown]
	v_add_u32_e32 v3, 9, v3
	v_cmp_eq_u32_e32 vcc, 1, v4
	v_cndmask_b32_e32 v2, v3, v2, vcc
	v_lshlrev_b32_e32 v2, 2, v2
	ds_write_b32 v2, v11
	s_waitcnt lgkmcnt(0)
	s_barrier
	ds_read2st64_b32 v[16:17], v1 offset1:4
	ds_read2st64_b32 v[10:11], v1 offset0:8 offset1:12
	ds_read2st64_b32 v[8:9], v1 offset0:16 offset1:20
	;; [unrolled: 1-line block ×4, first 2 shown]
	v_or_b32_e32 v25, 0x100, v0
	v_or_b32_e32 v24, 0x200, v0
	v_or_b32_e32 v23, 0x300, v0
	v_or_b32_e32 v22, 0x400, v0
	v_or_b32_e32 v21, 0x500, v0
	v_or_b32_e32 v20, 0x600, v0
	v_or_b32_e32 v19, 0x700, v0
	v_or_b32_e32 v18, 0x800, v0
	s_and_b64 vcc, exec, s[0:1]
	v_or_b32_e32 v13, 0x900, v0
	s_cbranch_vccnz .LBB2733_81
; %bb.70:
	s_lshl_b64 s[0:1], s[22:23], 2
	v_mov_b32_e32 v15, 0
	s_add_u32 s0, s4, s0
	s_addc_u32 s1, s5, s1
	v_lshlrev_b64 v[6:7], 2, v[14:15]
	v_mov_b32_e32 v15, s1
	v_add_co_u32_e32 v6, vcc, s0, v6
	v_addc_co_u32_e32 v7, vcc, v15, v7, vcc
	v_cmp_gt_u32_e32 vcc, v12, v0
	s_and_saveexec_b64 s[0:1], vcc
	s_cbranch_execnz .LBB2733_98
; %bb.71:
	s_or_b64 exec, exec, s[0:1]
	v_cmp_lt_u32_e32 vcc, v25, v12
	s_and_saveexec_b64 s[0:1], vcc
	s_cbranch_execnz .LBB2733_99
.LBB2733_72:
	s_or_b64 exec, exec, s[0:1]
	v_cmp_lt_u32_e32 vcc, v24, v12
	s_and_saveexec_b64 s[0:1], vcc
	s_cbranch_execnz .LBB2733_100
.LBB2733_73:
	s_or_b64 exec, exec, s[0:1]
	v_cmp_lt_u32_e32 vcc, v23, v12
	s_and_saveexec_b64 s[0:1], vcc
	s_cbranch_execnz .LBB2733_101
.LBB2733_74:
	s_or_b64 exec, exec, s[0:1]
	v_cmp_lt_u32_e32 vcc, v22, v12
	s_and_saveexec_b64 s[0:1], vcc
	s_cbranch_execnz .LBB2733_102
.LBB2733_75:
	s_or_b64 exec, exec, s[0:1]
	v_cmp_lt_u32_e32 vcc, v21, v12
	s_and_saveexec_b64 s[0:1], vcc
	s_cbranch_execnz .LBB2733_103
.LBB2733_76:
	s_or_b64 exec, exec, s[0:1]
	v_cmp_lt_u32_e32 vcc, v20, v12
	s_and_saveexec_b64 s[0:1], vcc
	s_cbranch_execnz .LBB2733_104
.LBB2733_77:
	s_or_b64 exec, exec, s[0:1]
	v_cmp_lt_u32_e32 vcc, v19, v12
	s_and_saveexec_b64 s[0:1], vcc
	s_cbranch_execnz .LBB2733_105
.LBB2733_78:
	s_or_b64 exec, exec, s[0:1]
	v_cmp_lt_u32_e32 vcc, v18, v12
	s_and_saveexec_b64 s[0:1], vcc
	s_cbranch_execz .LBB2733_80
.LBB2733_79:
	v_lshlrev_b32_e32 v15, 2, v18
	v_readfirstlane_b32 s2, v6
	v_readfirstlane_b32 s3, v7
	s_waitcnt lgkmcnt(0)
	s_nop 3
	global_store_dword v15, v2, s[2:3]
.LBB2733_80:
	s_or_b64 exec, exec, s[0:1]
	v_cmp_lt_u32_e64 s[0:1], v13, v12
	s_branch .LBB2733_93
.LBB2733_81:
	s_mov_b64 s[0:1], 0
                                        ; implicit-def: $vgpr6_vgpr7
	s_cbranch_execz .LBB2733_93
; %bb.82:
	s_lshl_b64 s[0:1], s[22:23], 2
	v_mov_b32_e32 v15, 0
	s_add_u32 s0, s4, s0
	s_addc_u32 s1, s5, s1
	v_lshlrev_b64 v[6:7], 2, v[14:15]
	v_mov_b32_e32 v15, s1
	v_add_co_u32_e32 v6, vcc, s0, v6
	v_min_u32_e32 v26, s33, v12
	v_addc_co_u32_e32 v7, vcc, v15, v7, vcc
	v_cmp_gt_u32_e32 vcc, v26, v0
	s_and_saveexec_b64 s[0:1], vcc
	s_cbranch_execnz .LBB2733_106
; %bb.83:
	s_or_b64 exec, exec, s[0:1]
	v_cmp_lt_u32_e32 vcc, v25, v26
	s_and_saveexec_b64 s[0:1], vcc
	s_cbranch_execnz .LBB2733_107
.LBB2733_84:
	s_or_b64 exec, exec, s[0:1]
	v_cmp_lt_u32_e32 vcc, v24, v26
	s_and_saveexec_b64 s[0:1], vcc
	s_cbranch_execnz .LBB2733_108
.LBB2733_85:
	s_or_b64 exec, exec, s[0:1]
	v_cmp_lt_u32_e32 vcc, v23, v26
	s_and_saveexec_b64 s[0:1], vcc
	s_cbranch_execnz .LBB2733_109
.LBB2733_86:
	s_or_b64 exec, exec, s[0:1]
	v_cmp_lt_u32_e32 vcc, v22, v26
	s_and_saveexec_b64 s[0:1], vcc
	s_cbranch_execnz .LBB2733_110
.LBB2733_87:
	s_or_b64 exec, exec, s[0:1]
	v_cmp_lt_u32_e32 vcc, v21, v26
	s_and_saveexec_b64 s[0:1], vcc
	s_cbranch_execnz .LBB2733_111
.LBB2733_88:
	s_or_b64 exec, exec, s[0:1]
	v_cmp_lt_u32_e32 vcc, v20, v26
	s_and_saveexec_b64 s[0:1], vcc
	s_cbranch_execnz .LBB2733_112
.LBB2733_89:
	s_or_b64 exec, exec, s[0:1]
	v_cmp_lt_u32_e32 vcc, v19, v26
	s_and_saveexec_b64 s[0:1], vcc
	s_cbranch_execnz .LBB2733_113
.LBB2733_90:
	s_or_b64 exec, exec, s[0:1]
	v_cmp_lt_u32_e32 vcc, v18, v26
	s_and_saveexec_b64 s[0:1], vcc
	s_cbranch_execz .LBB2733_92
.LBB2733_91:
	v_lshlrev_b32_e32 v1, 2, v18
	v_readfirstlane_b32 s2, v6
	v_readfirstlane_b32 s3, v7
	s_waitcnt lgkmcnt(0)
	s_nop 3
	global_store_dword v1, v2, s[2:3]
.LBB2733_92:
	s_or_b64 exec, exec, s[0:1]
	v_cmp_lt_u32_e64 s[0:1], v13, v26
.LBB2733_93:
	s_and_saveexec_b64 s[2:3], s[0:1]
	s_cbranch_execz .LBB2733_95
; %bb.94:
	v_lshlrev_b32_e32 v1, 2, v13
	v_readfirstlane_b32 s0, v6
	v_readfirstlane_b32 s1, v7
	s_waitcnt lgkmcnt(0)
	s_nop 3
	global_store_dword v1, v3, s[0:1]
.LBB2733_95:
	s_or_b64 exec, exec, s[2:3]
	v_cmp_eq_u32_e32 vcc, 0, v0
	s_and_b64 s[0:1], vcc, s[26:27]
	s_and_saveexec_b64 s[2:3], s[0:1]
	s_cbranch_execz .LBB2733_97
; %bb.96:
	v_mov_b32_e32 v0, s23
	v_add_co_u32_e32 v1, vcc, s22, v12
	s_waitcnt lgkmcnt(0)
	v_addc_co_u32_e32 v3, vcc, 0, v0, vcc
	v_add_co_u32_e32 v0, vcc, v1, v14
	v_mov_b32_e32 v2, 0
	v_addc_co_u32_e32 v1, vcc, 0, v3, vcc
	global_store_dwordx2 v2, v[0:1], s[24:25]
.LBB2733_97:
	s_endpgm
.LBB2733_98:
	v_readfirstlane_b32 s2, v6
	v_readfirstlane_b32 s3, v7
	s_waitcnt lgkmcnt(4)
	s_nop 3
	global_store_dword v1, v16, s[2:3]
	s_or_b64 exec, exec, s[0:1]
	v_cmp_lt_u32_e32 vcc, v25, v12
	s_and_saveexec_b64 s[0:1], vcc
	s_cbranch_execz .LBB2733_72
.LBB2733_99:
	v_readfirstlane_b32 s2, v6
	v_readfirstlane_b32 s3, v7
	s_waitcnt lgkmcnt(4)
	s_nop 3
	global_store_dword v1, v17, s[2:3] offset:1024
	s_or_b64 exec, exec, s[0:1]
	v_cmp_lt_u32_e32 vcc, v24, v12
	s_and_saveexec_b64 s[0:1], vcc
	s_cbranch_execz .LBB2733_73
.LBB2733_100:
	v_readfirstlane_b32 s2, v6
	v_readfirstlane_b32 s3, v7
	s_waitcnt lgkmcnt(3)
	s_nop 3
	global_store_dword v1, v10, s[2:3] offset:2048
	s_or_b64 exec, exec, s[0:1]
	v_cmp_lt_u32_e32 vcc, v23, v12
	s_and_saveexec_b64 s[0:1], vcc
	s_cbranch_execz .LBB2733_74
.LBB2733_101:
	v_readfirstlane_b32 s2, v6
	v_readfirstlane_b32 s3, v7
	s_waitcnt lgkmcnt(3)
	s_nop 3
	global_store_dword v1, v11, s[2:3] offset:3072
	s_or_b64 exec, exec, s[0:1]
	v_cmp_lt_u32_e32 vcc, v22, v12
	s_and_saveexec_b64 s[0:1], vcc
	s_cbranch_execz .LBB2733_75
.LBB2733_102:
	v_lshlrev_b32_e32 v15, 2, v22
	v_readfirstlane_b32 s2, v6
	v_readfirstlane_b32 s3, v7
	s_waitcnt lgkmcnt(2)
	s_nop 3
	global_store_dword v15, v8, s[2:3]
	s_or_b64 exec, exec, s[0:1]
	v_cmp_lt_u32_e32 vcc, v21, v12
	s_and_saveexec_b64 s[0:1], vcc
	s_cbranch_execz .LBB2733_76
.LBB2733_103:
	v_lshlrev_b32_e32 v15, 2, v21
	v_readfirstlane_b32 s2, v6
	v_readfirstlane_b32 s3, v7
	s_waitcnt lgkmcnt(2)
	s_nop 3
	global_store_dword v15, v9, s[2:3]
	s_or_b64 exec, exec, s[0:1]
	v_cmp_lt_u32_e32 vcc, v20, v12
	s_and_saveexec_b64 s[0:1], vcc
	s_cbranch_execz .LBB2733_77
.LBB2733_104:
	v_lshlrev_b32_e32 v15, 2, v20
	v_readfirstlane_b32 s2, v6
	v_readfirstlane_b32 s3, v7
	s_waitcnt lgkmcnt(1)
	s_nop 3
	global_store_dword v15, v4, s[2:3]
	s_or_b64 exec, exec, s[0:1]
	v_cmp_lt_u32_e32 vcc, v19, v12
	s_and_saveexec_b64 s[0:1], vcc
	s_cbranch_execz .LBB2733_78
.LBB2733_105:
	v_lshlrev_b32_e32 v15, 2, v19
	v_readfirstlane_b32 s2, v6
	v_readfirstlane_b32 s3, v7
	s_waitcnt lgkmcnt(1)
	s_nop 3
	global_store_dword v15, v5, s[2:3]
	s_or_b64 exec, exec, s[0:1]
	v_cmp_lt_u32_e32 vcc, v18, v12
	s_and_saveexec_b64 s[0:1], vcc
	s_cbranch_execnz .LBB2733_79
	s_branch .LBB2733_80
.LBB2733_106:
	v_readfirstlane_b32 s2, v6
	v_readfirstlane_b32 s3, v7
	s_waitcnt lgkmcnt(4)
	s_nop 3
	global_store_dword v1, v16, s[2:3]
	s_or_b64 exec, exec, s[0:1]
	v_cmp_lt_u32_e32 vcc, v25, v26
	s_and_saveexec_b64 s[0:1], vcc
	s_cbranch_execz .LBB2733_84
.LBB2733_107:
	v_readfirstlane_b32 s2, v6
	v_readfirstlane_b32 s3, v7
	s_waitcnt lgkmcnt(4)
	s_nop 3
	global_store_dword v1, v17, s[2:3] offset:1024
	s_or_b64 exec, exec, s[0:1]
	v_cmp_lt_u32_e32 vcc, v24, v26
	s_and_saveexec_b64 s[0:1], vcc
	s_cbranch_execz .LBB2733_85
.LBB2733_108:
	v_readfirstlane_b32 s2, v6
	v_readfirstlane_b32 s3, v7
	s_waitcnt lgkmcnt(3)
	s_nop 3
	global_store_dword v1, v10, s[2:3] offset:2048
	s_or_b64 exec, exec, s[0:1]
	v_cmp_lt_u32_e32 vcc, v23, v26
	s_and_saveexec_b64 s[0:1], vcc
	s_cbranch_execz .LBB2733_86
.LBB2733_109:
	v_readfirstlane_b32 s2, v6
	v_readfirstlane_b32 s3, v7
	s_waitcnt lgkmcnt(3)
	s_nop 3
	global_store_dword v1, v11, s[2:3] offset:3072
	s_or_b64 exec, exec, s[0:1]
	v_cmp_lt_u32_e32 vcc, v22, v26
	s_and_saveexec_b64 s[0:1], vcc
	s_cbranch_execz .LBB2733_87
.LBB2733_110:
	v_lshlrev_b32_e32 v1, 2, v22
	v_readfirstlane_b32 s2, v6
	v_readfirstlane_b32 s3, v7
	s_waitcnt lgkmcnt(2)
	s_nop 3
	global_store_dword v1, v8, s[2:3]
	s_or_b64 exec, exec, s[0:1]
	v_cmp_lt_u32_e32 vcc, v21, v26
	s_and_saveexec_b64 s[0:1], vcc
	s_cbranch_execz .LBB2733_88
.LBB2733_111:
	v_lshlrev_b32_e32 v1, 2, v21
	v_readfirstlane_b32 s2, v6
	v_readfirstlane_b32 s3, v7
	s_waitcnt lgkmcnt(2)
	s_nop 3
	global_store_dword v1, v9, s[2:3]
	s_or_b64 exec, exec, s[0:1]
	v_cmp_lt_u32_e32 vcc, v20, v26
	s_and_saveexec_b64 s[0:1], vcc
	s_cbranch_execz .LBB2733_89
.LBB2733_112:
	v_lshlrev_b32_e32 v1, 2, v20
	v_readfirstlane_b32 s2, v6
	v_readfirstlane_b32 s3, v7
	s_waitcnt lgkmcnt(1)
	s_nop 3
	global_store_dword v1, v4, s[2:3]
	s_or_b64 exec, exec, s[0:1]
	v_cmp_lt_u32_e32 vcc, v19, v26
	s_and_saveexec_b64 s[0:1], vcc
	s_cbranch_execz .LBB2733_90
.LBB2733_113:
	v_lshlrev_b32_e32 v1, 2, v19
	v_readfirstlane_b32 s2, v6
	v_readfirstlane_b32 s3, v7
	s_waitcnt lgkmcnt(1)
	s_nop 3
	global_store_dword v1, v5, s[2:3]
	s_or_b64 exec, exec, s[0:1]
	v_cmp_lt_u32_e32 vcc, v18, v26
	s_and_saveexec_b64 s[0:1], vcc
	s_cbranch_execnz .LBB2733_91
	s_branch .LBB2733_92
	.section	.rodata,"a",@progbits
	.p2align	6, 0x0
	.amdhsa_kernel _ZN7rocprim17ROCPRIM_400000_NS6detail17trampoline_kernelINS0_14default_configENS1_25partition_config_selectorILNS1_17partition_subalgoE0EiNS0_10empty_typeEbEEZZNS1_14partition_implILS5_0ELb0ES3_jN6thrust23THRUST_200600_302600_NS6detail15normal_iteratorINSA_10device_ptrIiEEEEPS6_SG_NS0_5tupleIJSF_NSA_16discard_iteratorINSA_11use_defaultEEEEEENSH_IJSG_SG_EEES6_PlJ7is_evenIiEEEE10hipError_tPvRmT3_T4_T5_T6_T7_T9_mT8_P12ihipStream_tbDpT10_ENKUlT_T0_E_clISt17integral_constantIbLb1EES18_IbLb0EEEEDaS14_S15_EUlS14_E_NS1_11comp_targetILNS1_3genE4ELNS1_11target_archE910ELNS1_3gpuE8ELNS1_3repE0EEENS1_30default_config_static_selectorELNS0_4arch9wavefront6targetE1EEEvT1_
		.amdhsa_group_segment_fixed_size 10248
		.amdhsa_private_segment_fixed_size 0
		.amdhsa_kernarg_size 128
		.amdhsa_user_sgpr_count 6
		.amdhsa_user_sgpr_private_segment_buffer 1
		.amdhsa_user_sgpr_dispatch_ptr 0
		.amdhsa_user_sgpr_queue_ptr 0
		.amdhsa_user_sgpr_kernarg_segment_ptr 1
		.amdhsa_user_sgpr_dispatch_id 0
		.amdhsa_user_sgpr_flat_scratch_init 0
		.amdhsa_user_sgpr_kernarg_preload_length 0
		.amdhsa_user_sgpr_kernarg_preload_offset 0
		.amdhsa_user_sgpr_private_segment_size 0
		.amdhsa_uses_dynamic_stack 0
		.amdhsa_system_sgpr_private_segment_wavefront_offset 0
		.amdhsa_system_sgpr_workgroup_id_x 1
		.amdhsa_system_sgpr_workgroup_id_y 0
		.amdhsa_system_sgpr_workgroup_id_z 0
		.amdhsa_system_sgpr_workgroup_info 0
		.amdhsa_system_vgpr_workitem_id 0
		.amdhsa_next_free_vgpr 54
		.amdhsa_next_free_sgpr 40
		.amdhsa_accum_offset 56
		.amdhsa_reserve_vcc 1
		.amdhsa_reserve_flat_scratch 0
		.amdhsa_float_round_mode_32 0
		.amdhsa_float_round_mode_16_64 0
		.amdhsa_float_denorm_mode_32 3
		.amdhsa_float_denorm_mode_16_64 3
		.amdhsa_dx10_clamp 1
		.amdhsa_ieee_mode 1
		.amdhsa_fp16_overflow 0
		.amdhsa_tg_split 0
		.amdhsa_exception_fp_ieee_invalid_op 0
		.amdhsa_exception_fp_denorm_src 0
		.amdhsa_exception_fp_ieee_div_zero 0
		.amdhsa_exception_fp_ieee_overflow 0
		.amdhsa_exception_fp_ieee_underflow 0
		.amdhsa_exception_fp_ieee_inexact 0
		.amdhsa_exception_int_div_zero 0
	.end_amdhsa_kernel
	.section	.text._ZN7rocprim17ROCPRIM_400000_NS6detail17trampoline_kernelINS0_14default_configENS1_25partition_config_selectorILNS1_17partition_subalgoE0EiNS0_10empty_typeEbEEZZNS1_14partition_implILS5_0ELb0ES3_jN6thrust23THRUST_200600_302600_NS6detail15normal_iteratorINSA_10device_ptrIiEEEEPS6_SG_NS0_5tupleIJSF_NSA_16discard_iteratorINSA_11use_defaultEEEEEENSH_IJSG_SG_EEES6_PlJ7is_evenIiEEEE10hipError_tPvRmT3_T4_T5_T6_T7_T9_mT8_P12ihipStream_tbDpT10_ENKUlT_T0_E_clISt17integral_constantIbLb1EES18_IbLb0EEEEDaS14_S15_EUlS14_E_NS1_11comp_targetILNS1_3genE4ELNS1_11target_archE910ELNS1_3gpuE8ELNS1_3repE0EEENS1_30default_config_static_selectorELNS0_4arch9wavefront6targetE1EEEvT1_,"axG",@progbits,_ZN7rocprim17ROCPRIM_400000_NS6detail17trampoline_kernelINS0_14default_configENS1_25partition_config_selectorILNS1_17partition_subalgoE0EiNS0_10empty_typeEbEEZZNS1_14partition_implILS5_0ELb0ES3_jN6thrust23THRUST_200600_302600_NS6detail15normal_iteratorINSA_10device_ptrIiEEEEPS6_SG_NS0_5tupleIJSF_NSA_16discard_iteratorINSA_11use_defaultEEEEEENSH_IJSG_SG_EEES6_PlJ7is_evenIiEEEE10hipError_tPvRmT3_T4_T5_T6_T7_T9_mT8_P12ihipStream_tbDpT10_ENKUlT_T0_E_clISt17integral_constantIbLb1EES18_IbLb0EEEEDaS14_S15_EUlS14_E_NS1_11comp_targetILNS1_3genE4ELNS1_11target_archE910ELNS1_3gpuE8ELNS1_3repE0EEENS1_30default_config_static_selectorELNS0_4arch9wavefront6targetE1EEEvT1_,comdat
.Lfunc_end2733:
	.size	_ZN7rocprim17ROCPRIM_400000_NS6detail17trampoline_kernelINS0_14default_configENS1_25partition_config_selectorILNS1_17partition_subalgoE0EiNS0_10empty_typeEbEEZZNS1_14partition_implILS5_0ELb0ES3_jN6thrust23THRUST_200600_302600_NS6detail15normal_iteratorINSA_10device_ptrIiEEEEPS6_SG_NS0_5tupleIJSF_NSA_16discard_iteratorINSA_11use_defaultEEEEEENSH_IJSG_SG_EEES6_PlJ7is_evenIiEEEE10hipError_tPvRmT3_T4_T5_T6_T7_T9_mT8_P12ihipStream_tbDpT10_ENKUlT_T0_E_clISt17integral_constantIbLb1EES18_IbLb0EEEEDaS14_S15_EUlS14_E_NS1_11comp_targetILNS1_3genE4ELNS1_11target_archE910ELNS1_3gpuE8ELNS1_3repE0EEENS1_30default_config_static_selectorELNS0_4arch9wavefront6targetE1EEEvT1_, .Lfunc_end2733-_ZN7rocprim17ROCPRIM_400000_NS6detail17trampoline_kernelINS0_14default_configENS1_25partition_config_selectorILNS1_17partition_subalgoE0EiNS0_10empty_typeEbEEZZNS1_14partition_implILS5_0ELb0ES3_jN6thrust23THRUST_200600_302600_NS6detail15normal_iteratorINSA_10device_ptrIiEEEEPS6_SG_NS0_5tupleIJSF_NSA_16discard_iteratorINSA_11use_defaultEEEEEENSH_IJSG_SG_EEES6_PlJ7is_evenIiEEEE10hipError_tPvRmT3_T4_T5_T6_T7_T9_mT8_P12ihipStream_tbDpT10_ENKUlT_T0_E_clISt17integral_constantIbLb1EES18_IbLb0EEEEDaS14_S15_EUlS14_E_NS1_11comp_targetILNS1_3genE4ELNS1_11target_archE910ELNS1_3gpuE8ELNS1_3repE0EEENS1_30default_config_static_selectorELNS0_4arch9wavefront6targetE1EEEvT1_
                                        ; -- End function
	.section	.AMDGPU.csdata,"",@progbits
; Kernel info:
; codeLenInByte = 5260
; NumSgprs: 44
; NumVgprs: 54
; NumAgprs: 0
; TotalNumVgprs: 54
; ScratchSize: 0
; MemoryBound: 0
; FloatMode: 240
; IeeeMode: 1
; LDSByteSize: 10248 bytes/workgroup (compile time only)
; SGPRBlocks: 5
; VGPRBlocks: 6
; NumSGPRsForWavesPerEU: 44
; NumVGPRsForWavesPerEU: 54
; AccumOffset: 56
; Occupancy: 6
; WaveLimiterHint : 1
; COMPUTE_PGM_RSRC2:SCRATCH_EN: 0
; COMPUTE_PGM_RSRC2:USER_SGPR: 6
; COMPUTE_PGM_RSRC2:TRAP_HANDLER: 0
; COMPUTE_PGM_RSRC2:TGID_X_EN: 1
; COMPUTE_PGM_RSRC2:TGID_Y_EN: 0
; COMPUTE_PGM_RSRC2:TGID_Z_EN: 0
; COMPUTE_PGM_RSRC2:TIDIG_COMP_CNT: 0
; COMPUTE_PGM_RSRC3_GFX90A:ACCUM_OFFSET: 13
; COMPUTE_PGM_RSRC3_GFX90A:TG_SPLIT: 0
	.section	.text._ZN7rocprim17ROCPRIM_400000_NS6detail17trampoline_kernelINS0_14default_configENS1_25partition_config_selectorILNS1_17partition_subalgoE0EiNS0_10empty_typeEbEEZZNS1_14partition_implILS5_0ELb0ES3_jN6thrust23THRUST_200600_302600_NS6detail15normal_iteratorINSA_10device_ptrIiEEEEPS6_SG_NS0_5tupleIJSF_NSA_16discard_iteratorINSA_11use_defaultEEEEEENSH_IJSG_SG_EEES6_PlJ7is_evenIiEEEE10hipError_tPvRmT3_T4_T5_T6_T7_T9_mT8_P12ihipStream_tbDpT10_ENKUlT_T0_E_clISt17integral_constantIbLb1EES18_IbLb0EEEEDaS14_S15_EUlS14_E_NS1_11comp_targetILNS1_3genE3ELNS1_11target_archE908ELNS1_3gpuE7ELNS1_3repE0EEENS1_30default_config_static_selectorELNS0_4arch9wavefront6targetE1EEEvT1_,"axG",@progbits,_ZN7rocprim17ROCPRIM_400000_NS6detail17trampoline_kernelINS0_14default_configENS1_25partition_config_selectorILNS1_17partition_subalgoE0EiNS0_10empty_typeEbEEZZNS1_14partition_implILS5_0ELb0ES3_jN6thrust23THRUST_200600_302600_NS6detail15normal_iteratorINSA_10device_ptrIiEEEEPS6_SG_NS0_5tupleIJSF_NSA_16discard_iteratorINSA_11use_defaultEEEEEENSH_IJSG_SG_EEES6_PlJ7is_evenIiEEEE10hipError_tPvRmT3_T4_T5_T6_T7_T9_mT8_P12ihipStream_tbDpT10_ENKUlT_T0_E_clISt17integral_constantIbLb1EES18_IbLb0EEEEDaS14_S15_EUlS14_E_NS1_11comp_targetILNS1_3genE3ELNS1_11target_archE908ELNS1_3gpuE7ELNS1_3repE0EEENS1_30default_config_static_selectorELNS0_4arch9wavefront6targetE1EEEvT1_,comdat
	.protected	_ZN7rocprim17ROCPRIM_400000_NS6detail17trampoline_kernelINS0_14default_configENS1_25partition_config_selectorILNS1_17partition_subalgoE0EiNS0_10empty_typeEbEEZZNS1_14partition_implILS5_0ELb0ES3_jN6thrust23THRUST_200600_302600_NS6detail15normal_iteratorINSA_10device_ptrIiEEEEPS6_SG_NS0_5tupleIJSF_NSA_16discard_iteratorINSA_11use_defaultEEEEEENSH_IJSG_SG_EEES6_PlJ7is_evenIiEEEE10hipError_tPvRmT3_T4_T5_T6_T7_T9_mT8_P12ihipStream_tbDpT10_ENKUlT_T0_E_clISt17integral_constantIbLb1EES18_IbLb0EEEEDaS14_S15_EUlS14_E_NS1_11comp_targetILNS1_3genE3ELNS1_11target_archE908ELNS1_3gpuE7ELNS1_3repE0EEENS1_30default_config_static_selectorELNS0_4arch9wavefront6targetE1EEEvT1_ ; -- Begin function _ZN7rocprim17ROCPRIM_400000_NS6detail17trampoline_kernelINS0_14default_configENS1_25partition_config_selectorILNS1_17partition_subalgoE0EiNS0_10empty_typeEbEEZZNS1_14partition_implILS5_0ELb0ES3_jN6thrust23THRUST_200600_302600_NS6detail15normal_iteratorINSA_10device_ptrIiEEEEPS6_SG_NS0_5tupleIJSF_NSA_16discard_iteratorINSA_11use_defaultEEEEEENSH_IJSG_SG_EEES6_PlJ7is_evenIiEEEE10hipError_tPvRmT3_T4_T5_T6_T7_T9_mT8_P12ihipStream_tbDpT10_ENKUlT_T0_E_clISt17integral_constantIbLb1EES18_IbLb0EEEEDaS14_S15_EUlS14_E_NS1_11comp_targetILNS1_3genE3ELNS1_11target_archE908ELNS1_3gpuE7ELNS1_3repE0EEENS1_30default_config_static_selectorELNS0_4arch9wavefront6targetE1EEEvT1_
	.globl	_ZN7rocprim17ROCPRIM_400000_NS6detail17trampoline_kernelINS0_14default_configENS1_25partition_config_selectorILNS1_17partition_subalgoE0EiNS0_10empty_typeEbEEZZNS1_14partition_implILS5_0ELb0ES3_jN6thrust23THRUST_200600_302600_NS6detail15normal_iteratorINSA_10device_ptrIiEEEEPS6_SG_NS0_5tupleIJSF_NSA_16discard_iteratorINSA_11use_defaultEEEEEENSH_IJSG_SG_EEES6_PlJ7is_evenIiEEEE10hipError_tPvRmT3_T4_T5_T6_T7_T9_mT8_P12ihipStream_tbDpT10_ENKUlT_T0_E_clISt17integral_constantIbLb1EES18_IbLb0EEEEDaS14_S15_EUlS14_E_NS1_11comp_targetILNS1_3genE3ELNS1_11target_archE908ELNS1_3gpuE7ELNS1_3repE0EEENS1_30default_config_static_selectorELNS0_4arch9wavefront6targetE1EEEvT1_
	.p2align	8
	.type	_ZN7rocprim17ROCPRIM_400000_NS6detail17trampoline_kernelINS0_14default_configENS1_25partition_config_selectorILNS1_17partition_subalgoE0EiNS0_10empty_typeEbEEZZNS1_14partition_implILS5_0ELb0ES3_jN6thrust23THRUST_200600_302600_NS6detail15normal_iteratorINSA_10device_ptrIiEEEEPS6_SG_NS0_5tupleIJSF_NSA_16discard_iteratorINSA_11use_defaultEEEEEENSH_IJSG_SG_EEES6_PlJ7is_evenIiEEEE10hipError_tPvRmT3_T4_T5_T6_T7_T9_mT8_P12ihipStream_tbDpT10_ENKUlT_T0_E_clISt17integral_constantIbLb1EES18_IbLb0EEEEDaS14_S15_EUlS14_E_NS1_11comp_targetILNS1_3genE3ELNS1_11target_archE908ELNS1_3gpuE7ELNS1_3repE0EEENS1_30default_config_static_selectorELNS0_4arch9wavefront6targetE1EEEvT1_,@function
_ZN7rocprim17ROCPRIM_400000_NS6detail17trampoline_kernelINS0_14default_configENS1_25partition_config_selectorILNS1_17partition_subalgoE0EiNS0_10empty_typeEbEEZZNS1_14partition_implILS5_0ELb0ES3_jN6thrust23THRUST_200600_302600_NS6detail15normal_iteratorINSA_10device_ptrIiEEEEPS6_SG_NS0_5tupleIJSF_NSA_16discard_iteratorINSA_11use_defaultEEEEEENSH_IJSG_SG_EEES6_PlJ7is_evenIiEEEE10hipError_tPvRmT3_T4_T5_T6_T7_T9_mT8_P12ihipStream_tbDpT10_ENKUlT_T0_E_clISt17integral_constantIbLb1EES18_IbLb0EEEEDaS14_S15_EUlS14_E_NS1_11comp_targetILNS1_3genE3ELNS1_11target_archE908ELNS1_3gpuE7ELNS1_3repE0EEENS1_30default_config_static_selectorELNS0_4arch9wavefront6targetE1EEEvT1_: ; @_ZN7rocprim17ROCPRIM_400000_NS6detail17trampoline_kernelINS0_14default_configENS1_25partition_config_selectorILNS1_17partition_subalgoE0EiNS0_10empty_typeEbEEZZNS1_14partition_implILS5_0ELb0ES3_jN6thrust23THRUST_200600_302600_NS6detail15normal_iteratorINSA_10device_ptrIiEEEEPS6_SG_NS0_5tupleIJSF_NSA_16discard_iteratorINSA_11use_defaultEEEEEENSH_IJSG_SG_EEES6_PlJ7is_evenIiEEEE10hipError_tPvRmT3_T4_T5_T6_T7_T9_mT8_P12ihipStream_tbDpT10_ENKUlT_T0_E_clISt17integral_constantIbLb1EES18_IbLb0EEEEDaS14_S15_EUlS14_E_NS1_11comp_targetILNS1_3genE3ELNS1_11target_archE908ELNS1_3gpuE7ELNS1_3repE0EEENS1_30default_config_static_selectorELNS0_4arch9wavefront6targetE1EEEvT1_
; %bb.0:
	.section	.rodata,"a",@progbits
	.p2align	6, 0x0
	.amdhsa_kernel _ZN7rocprim17ROCPRIM_400000_NS6detail17trampoline_kernelINS0_14default_configENS1_25partition_config_selectorILNS1_17partition_subalgoE0EiNS0_10empty_typeEbEEZZNS1_14partition_implILS5_0ELb0ES3_jN6thrust23THRUST_200600_302600_NS6detail15normal_iteratorINSA_10device_ptrIiEEEEPS6_SG_NS0_5tupleIJSF_NSA_16discard_iteratorINSA_11use_defaultEEEEEENSH_IJSG_SG_EEES6_PlJ7is_evenIiEEEE10hipError_tPvRmT3_T4_T5_T6_T7_T9_mT8_P12ihipStream_tbDpT10_ENKUlT_T0_E_clISt17integral_constantIbLb1EES18_IbLb0EEEEDaS14_S15_EUlS14_E_NS1_11comp_targetILNS1_3genE3ELNS1_11target_archE908ELNS1_3gpuE7ELNS1_3repE0EEENS1_30default_config_static_selectorELNS0_4arch9wavefront6targetE1EEEvT1_
		.amdhsa_group_segment_fixed_size 0
		.amdhsa_private_segment_fixed_size 0
		.amdhsa_kernarg_size 128
		.amdhsa_user_sgpr_count 6
		.amdhsa_user_sgpr_private_segment_buffer 1
		.amdhsa_user_sgpr_dispatch_ptr 0
		.amdhsa_user_sgpr_queue_ptr 0
		.amdhsa_user_sgpr_kernarg_segment_ptr 1
		.amdhsa_user_sgpr_dispatch_id 0
		.amdhsa_user_sgpr_flat_scratch_init 0
		.amdhsa_user_sgpr_kernarg_preload_length 0
		.amdhsa_user_sgpr_kernarg_preload_offset 0
		.amdhsa_user_sgpr_private_segment_size 0
		.amdhsa_uses_dynamic_stack 0
		.amdhsa_system_sgpr_private_segment_wavefront_offset 0
		.amdhsa_system_sgpr_workgroup_id_x 1
		.amdhsa_system_sgpr_workgroup_id_y 0
		.amdhsa_system_sgpr_workgroup_id_z 0
		.amdhsa_system_sgpr_workgroup_info 0
		.amdhsa_system_vgpr_workitem_id 0
		.amdhsa_next_free_vgpr 1
		.amdhsa_next_free_sgpr 0
		.amdhsa_accum_offset 4
		.amdhsa_reserve_vcc 0
		.amdhsa_reserve_flat_scratch 0
		.amdhsa_float_round_mode_32 0
		.amdhsa_float_round_mode_16_64 0
		.amdhsa_float_denorm_mode_32 3
		.amdhsa_float_denorm_mode_16_64 3
		.amdhsa_dx10_clamp 1
		.amdhsa_ieee_mode 1
		.amdhsa_fp16_overflow 0
		.amdhsa_tg_split 0
		.amdhsa_exception_fp_ieee_invalid_op 0
		.amdhsa_exception_fp_denorm_src 0
		.amdhsa_exception_fp_ieee_div_zero 0
		.amdhsa_exception_fp_ieee_overflow 0
		.amdhsa_exception_fp_ieee_underflow 0
		.amdhsa_exception_fp_ieee_inexact 0
		.amdhsa_exception_int_div_zero 0
	.end_amdhsa_kernel
	.section	.text._ZN7rocprim17ROCPRIM_400000_NS6detail17trampoline_kernelINS0_14default_configENS1_25partition_config_selectorILNS1_17partition_subalgoE0EiNS0_10empty_typeEbEEZZNS1_14partition_implILS5_0ELb0ES3_jN6thrust23THRUST_200600_302600_NS6detail15normal_iteratorINSA_10device_ptrIiEEEEPS6_SG_NS0_5tupleIJSF_NSA_16discard_iteratorINSA_11use_defaultEEEEEENSH_IJSG_SG_EEES6_PlJ7is_evenIiEEEE10hipError_tPvRmT3_T4_T5_T6_T7_T9_mT8_P12ihipStream_tbDpT10_ENKUlT_T0_E_clISt17integral_constantIbLb1EES18_IbLb0EEEEDaS14_S15_EUlS14_E_NS1_11comp_targetILNS1_3genE3ELNS1_11target_archE908ELNS1_3gpuE7ELNS1_3repE0EEENS1_30default_config_static_selectorELNS0_4arch9wavefront6targetE1EEEvT1_,"axG",@progbits,_ZN7rocprim17ROCPRIM_400000_NS6detail17trampoline_kernelINS0_14default_configENS1_25partition_config_selectorILNS1_17partition_subalgoE0EiNS0_10empty_typeEbEEZZNS1_14partition_implILS5_0ELb0ES3_jN6thrust23THRUST_200600_302600_NS6detail15normal_iteratorINSA_10device_ptrIiEEEEPS6_SG_NS0_5tupleIJSF_NSA_16discard_iteratorINSA_11use_defaultEEEEEENSH_IJSG_SG_EEES6_PlJ7is_evenIiEEEE10hipError_tPvRmT3_T4_T5_T6_T7_T9_mT8_P12ihipStream_tbDpT10_ENKUlT_T0_E_clISt17integral_constantIbLb1EES18_IbLb0EEEEDaS14_S15_EUlS14_E_NS1_11comp_targetILNS1_3genE3ELNS1_11target_archE908ELNS1_3gpuE7ELNS1_3repE0EEENS1_30default_config_static_selectorELNS0_4arch9wavefront6targetE1EEEvT1_,comdat
.Lfunc_end2734:
	.size	_ZN7rocprim17ROCPRIM_400000_NS6detail17trampoline_kernelINS0_14default_configENS1_25partition_config_selectorILNS1_17partition_subalgoE0EiNS0_10empty_typeEbEEZZNS1_14partition_implILS5_0ELb0ES3_jN6thrust23THRUST_200600_302600_NS6detail15normal_iteratorINSA_10device_ptrIiEEEEPS6_SG_NS0_5tupleIJSF_NSA_16discard_iteratorINSA_11use_defaultEEEEEENSH_IJSG_SG_EEES6_PlJ7is_evenIiEEEE10hipError_tPvRmT3_T4_T5_T6_T7_T9_mT8_P12ihipStream_tbDpT10_ENKUlT_T0_E_clISt17integral_constantIbLb1EES18_IbLb0EEEEDaS14_S15_EUlS14_E_NS1_11comp_targetILNS1_3genE3ELNS1_11target_archE908ELNS1_3gpuE7ELNS1_3repE0EEENS1_30default_config_static_selectorELNS0_4arch9wavefront6targetE1EEEvT1_, .Lfunc_end2734-_ZN7rocprim17ROCPRIM_400000_NS6detail17trampoline_kernelINS0_14default_configENS1_25partition_config_selectorILNS1_17partition_subalgoE0EiNS0_10empty_typeEbEEZZNS1_14partition_implILS5_0ELb0ES3_jN6thrust23THRUST_200600_302600_NS6detail15normal_iteratorINSA_10device_ptrIiEEEEPS6_SG_NS0_5tupleIJSF_NSA_16discard_iteratorINSA_11use_defaultEEEEEENSH_IJSG_SG_EEES6_PlJ7is_evenIiEEEE10hipError_tPvRmT3_T4_T5_T6_T7_T9_mT8_P12ihipStream_tbDpT10_ENKUlT_T0_E_clISt17integral_constantIbLb1EES18_IbLb0EEEEDaS14_S15_EUlS14_E_NS1_11comp_targetILNS1_3genE3ELNS1_11target_archE908ELNS1_3gpuE7ELNS1_3repE0EEENS1_30default_config_static_selectorELNS0_4arch9wavefront6targetE1EEEvT1_
                                        ; -- End function
	.section	.AMDGPU.csdata,"",@progbits
; Kernel info:
; codeLenInByte = 0
; NumSgprs: 4
; NumVgprs: 0
; NumAgprs: 0
; TotalNumVgprs: 0
; ScratchSize: 0
; MemoryBound: 0
; FloatMode: 240
; IeeeMode: 1
; LDSByteSize: 0 bytes/workgroup (compile time only)
; SGPRBlocks: 0
; VGPRBlocks: 0
; NumSGPRsForWavesPerEU: 4
; NumVGPRsForWavesPerEU: 1
; AccumOffset: 4
; Occupancy: 8
; WaveLimiterHint : 0
; COMPUTE_PGM_RSRC2:SCRATCH_EN: 0
; COMPUTE_PGM_RSRC2:USER_SGPR: 6
; COMPUTE_PGM_RSRC2:TRAP_HANDLER: 0
; COMPUTE_PGM_RSRC2:TGID_X_EN: 1
; COMPUTE_PGM_RSRC2:TGID_Y_EN: 0
; COMPUTE_PGM_RSRC2:TGID_Z_EN: 0
; COMPUTE_PGM_RSRC2:TIDIG_COMP_CNT: 0
; COMPUTE_PGM_RSRC3_GFX90A:ACCUM_OFFSET: 0
; COMPUTE_PGM_RSRC3_GFX90A:TG_SPLIT: 0
	.section	.text._ZN7rocprim17ROCPRIM_400000_NS6detail17trampoline_kernelINS0_14default_configENS1_25partition_config_selectorILNS1_17partition_subalgoE0EiNS0_10empty_typeEbEEZZNS1_14partition_implILS5_0ELb0ES3_jN6thrust23THRUST_200600_302600_NS6detail15normal_iteratorINSA_10device_ptrIiEEEEPS6_SG_NS0_5tupleIJSF_NSA_16discard_iteratorINSA_11use_defaultEEEEEENSH_IJSG_SG_EEES6_PlJ7is_evenIiEEEE10hipError_tPvRmT3_T4_T5_T6_T7_T9_mT8_P12ihipStream_tbDpT10_ENKUlT_T0_E_clISt17integral_constantIbLb1EES18_IbLb0EEEEDaS14_S15_EUlS14_E_NS1_11comp_targetILNS1_3genE2ELNS1_11target_archE906ELNS1_3gpuE6ELNS1_3repE0EEENS1_30default_config_static_selectorELNS0_4arch9wavefront6targetE1EEEvT1_,"axG",@progbits,_ZN7rocprim17ROCPRIM_400000_NS6detail17trampoline_kernelINS0_14default_configENS1_25partition_config_selectorILNS1_17partition_subalgoE0EiNS0_10empty_typeEbEEZZNS1_14partition_implILS5_0ELb0ES3_jN6thrust23THRUST_200600_302600_NS6detail15normal_iteratorINSA_10device_ptrIiEEEEPS6_SG_NS0_5tupleIJSF_NSA_16discard_iteratorINSA_11use_defaultEEEEEENSH_IJSG_SG_EEES6_PlJ7is_evenIiEEEE10hipError_tPvRmT3_T4_T5_T6_T7_T9_mT8_P12ihipStream_tbDpT10_ENKUlT_T0_E_clISt17integral_constantIbLb1EES18_IbLb0EEEEDaS14_S15_EUlS14_E_NS1_11comp_targetILNS1_3genE2ELNS1_11target_archE906ELNS1_3gpuE6ELNS1_3repE0EEENS1_30default_config_static_selectorELNS0_4arch9wavefront6targetE1EEEvT1_,comdat
	.protected	_ZN7rocprim17ROCPRIM_400000_NS6detail17trampoline_kernelINS0_14default_configENS1_25partition_config_selectorILNS1_17partition_subalgoE0EiNS0_10empty_typeEbEEZZNS1_14partition_implILS5_0ELb0ES3_jN6thrust23THRUST_200600_302600_NS6detail15normal_iteratorINSA_10device_ptrIiEEEEPS6_SG_NS0_5tupleIJSF_NSA_16discard_iteratorINSA_11use_defaultEEEEEENSH_IJSG_SG_EEES6_PlJ7is_evenIiEEEE10hipError_tPvRmT3_T4_T5_T6_T7_T9_mT8_P12ihipStream_tbDpT10_ENKUlT_T0_E_clISt17integral_constantIbLb1EES18_IbLb0EEEEDaS14_S15_EUlS14_E_NS1_11comp_targetILNS1_3genE2ELNS1_11target_archE906ELNS1_3gpuE6ELNS1_3repE0EEENS1_30default_config_static_selectorELNS0_4arch9wavefront6targetE1EEEvT1_ ; -- Begin function _ZN7rocprim17ROCPRIM_400000_NS6detail17trampoline_kernelINS0_14default_configENS1_25partition_config_selectorILNS1_17partition_subalgoE0EiNS0_10empty_typeEbEEZZNS1_14partition_implILS5_0ELb0ES3_jN6thrust23THRUST_200600_302600_NS6detail15normal_iteratorINSA_10device_ptrIiEEEEPS6_SG_NS0_5tupleIJSF_NSA_16discard_iteratorINSA_11use_defaultEEEEEENSH_IJSG_SG_EEES6_PlJ7is_evenIiEEEE10hipError_tPvRmT3_T4_T5_T6_T7_T9_mT8_P12ihipStream_tbDpT10_ENKUlT_T0_E_clISt17integral_constantIbLb1EES18_IbLb0EEEEDaS14_S15_EUlS14_E_NS1_11comp_targetILNS1_3genE2ELNS1_11target_archE906ELNS1_3gpuE6ELNS1_3repE0EEENS1_30default_config_static_selectorELNS0_4arch9wavefront6targetE1EEEvT1_
	.globl	_ZN7rocprim17ROCPRIM_400000_NS6detail17trampoline_kernelINS0_14default_configENS1_25partition_config_selectorILNS1_17partition_subalgoE0EiNS0_10empty_typeEbEEZZNS1_14partition_implILS5_0ELb0ES3_jN6thrust23THRUST_200600_302600_NS6detail15normal_iteratorINSA_10device_ptrIiEEEEPS6_SG_NS0_5tupleIJSF_NSA_16discard_iteratorINSA_11use_defaultEEEEEENSH_IJSG_SG_EEES6_PlJ7is_evenIiEEEE10hipError_tPvRmT3_T4_T5_T6_T7_T9_mT8_P12ihipStream_tbDpT10_ENKUlT_T0_E_clISt17integral_constantIbLb1EES18_IbLb0EEEEDaS14_S15_EUlS14_E_NS1_11comp_targetILNS1_3genE2ELNS1_11target_archE906ELNS1_3gpuE6ELNS1_3repE0EEENS1_30default_config_static_selectorELNS0_4arch9wavefront6targetE1EEEvT1_
	.p2align	8
	.type	_ZN7rocprim17ROCPRIM_400000_NS6detail17trampoline_kernelINS0_14default_configENS1_25partition_config_selectorILNS1_17partition_subalgoE0EiNS0_10empty_typeEbEEZZNS1_14partition_implILS5_0ELb0ES3_jN6thrust23THRUST_200600_302600_NS6detail15normal_iteratorINSA_10device_ptrIiEEEEPS6_SG_NS0_5tupleIJSF_NSA_16discard_iteratorINSA_11use_defaultEEEEEENSH_IJSG_SG_EEES6_PlJ7is_evenIiEEEE10hipError_tPvRmT3_T4_T5_T6_T7_T9_mT8_P12ihipStream_tbDpT10_ENKUlT_T0_E_clISt17integral_constantIbLb1EES18_IbLb0EEEEDaS14_S15_EUlS14_E_NS1_11comp_targetILNS1_3genE2ELNS1_11target_archE906ELNS1_3gpuE6ELNS1_3repE0EEENS1_30default_config_static_selectorELNS0_4arch9wavefront6targetE1EEEvT1_,@function
_ZN7rocprim17ROCPRIM_400000_NS6detail17trampoline_kernelINS0_14default_configENS1_25partition_config_selectorILNS1_17partition_subalgoE0EiNS0_10empty_typeEbEEZZNS1_14partition_implILS5_0ELb0ES3_jN6thrust23THRUST_200600_302600_NS6detail15normal_iteratorINSA_10device_ptrIiEEEEPS6_SG_NS0_5tupleIJSF_NSA_16discard_iteratorINSA_11use_defaultEEEEEENSH_IJSG_SG_EEES6_PlJ7is_evenIiEEEE10hipError_tPvRmT3_T4_T5_T6_T7_T9_mT8_P12ihipStream_tbDpT10_ENKUlT_T0_E_clISt17integral_constantIbLb1EES18_IbLb0EEEEDaS14_S15_EUlS14_E_NS1_11comp_targetILNS1_3genE2ELNS1_11target_archE906ELNS1_3gpuE6ELNS1_3repE0EEENS1_30default_config_static_selectorELNS0_4arch9wavefront6targetE1EEEvT1_: ; @_ZN7rocprim17ROCPRIM_400000_NS6detail17trampoline_kernelINS0_14default_configENS1_25partition_config_selectorILNS1_17partition_subalgoE0EiNS0_10empty_typeEbEEZZNS1_14partition_implILS5_0ELb0ES3_jN6thrust23THRUST_200600_302600_NS6detail15normal_iteratorINSA_10device_ptrIiEEEEPS6_SG_NS0_5tupleIJSF_NSA_16discard_iteratorINSA_11use_defaultEEEEEENSH_IJSG_SG_EEES6_PlJ7is_evenIiEEEE10hipError_tPvRmT3_T4_T5_T6_T7_T9_mT8_P12ihipStream_tbDpT10_ENKUlT_T0_E_clISt17integral_constantIbLb1EES18_IbLb0EEEEDaS14_S15_EUlS14_E_NS1_11comp_targetILNS1_3genE2ELNS1_11target_archE906ELNS1_3gpuE6ELNS1_3repE0EEENS1_30default_config_static_selectorELNS0_4arch9wavefront6targetE1EEEvT1_
; %bb.0:
	.section	.rodata,"a",@progbits
	.p2align	6, 0x0
	.amdhsa_kernel _ZN7rocprim17ROCPRIM_400000_NS6detail17trampoline_kernelINS0_14default_configENS1_25partition_config_selectorILNS1_17partition_subalgoE0EiNS0_10empty_typeEbEEZZNS1_14partition_implILS5_0ELb0ES3_jN6thrust23THRUST_200600_302600_NS6detail15normal_iteratorINSA_10device_ptrIiEEEEPS6_SG_NS0_5tupleIJSF_NSA_16discard_iteratorINSA_11use_defaultEEEEEENSH_IJSG_SG_EEES6_PlJ7is_evenIiEEEE10hipError_tPvRmT3_T4_T5_T6_T7_T9_mT8_P12ihipStream_tbDpT10_ENKUlT_T0_E_clISt17integral_constantIbLb1EES18_IbLb0EEEEDaS14_S15_EUlS14_E_NS1_11comp_targetILNS1_3genE2ELNS1_11target_archE906ELNS1_3gpuE6ELNS1_3repE0EEENS1_30default_config_static_selectorELNS0_4arch9wavefront6targetE1EEEvT1_
		.amdhsa_group_segment_fixed_size 0
		.amdhsa_private_segment_fixed_size 0
		.amdhsa_kernarg_size 128
		.amdhsa_user_sgpr_count 6
		.amdhsa_user_sgpr_private_segment_buffer 1
		.amdhsa_user_sgpr_dispatch_ptr 0
		.amdhsa_user_sgpr_queue_ptr 0
		.amdhsa_user_sgpr_kernarg_segment_ptr 1
		.amdhsa_user_sgpr_dispatch_id 0
		.amdhsa_user_sgpr_flat_scratch_init 0
		.amdhsa_user_sgpr_kernarg_preload_length 0
		.amdhsa_user_sgpr_kernarg_preload_offset 0
		.amdhsa_user_sgpr_private_segment_size 0
		.amdhsa_uses_dynamic_stack 0
		.amdhsa_system_sgpr_private_segment_wavefront_offset 0
		.amdhsa_system_sgpr_workgroup_id_x 1
		.amdhsa_system_sgpr_workgroup_id_y 0
		.amdhsa_system_sgpr_workgroup_id_z 0
		.amdhsa_system_sgpr_workgroup_info 0
		.amdhsa_system_vgpr_workitem_id 0
		.amdhsa_next_free_vgpr 1
		.amdhsa_next_free_sgpr 0
		.amdhsa_accum_offset 4
		.amdhsa_reserve_vcc 0
		.amdhsa_reserve_flat_scratch 0
		.amdhsa_float_round_mode_32 0
		.amdhsa_float_round_mode_16_64 0
		.amdhsa_float_denorm_mode_32 3
		.amdhsa_float_denorm_mode_16_64 3
		.amdhsa_dx10_clamp 1
		.amdhsa_ieee_mode 1
		.amdhsa_fp16_overflow 0
		.amdhsa_tg_split 0
		.amdhsa_exception_fp_ieee_invalid_op 0
		.amdhsa_exception_fp_denorm_src 0
		.amdhsa_exception_fp_ieee_div_zero 0
		.amdhsa_exception_fp_ieee_overflow 0
		.amdhsa_exception_fp_ieee_underflow 0
		.amdhsa_exception_fp_ieee_inexact 0
		.amdhsa_exception_int_div_zero 0
	.end_amdhsa_kernel
	.section	.text._ZN7rocprim17ROCPRIM_400000_NS6detail17trampoline_kernelINS0_14default_configENS1_25partition_config_selectorILNS1_17partition_subalgoE0EiNS0_10empty_typeEbEEZZNS1_14partition_implILS5_0ELb0ES3_jN6thrust23THRUST_200600_302600_NS6detail15normal_iteratorINSA_10device_ptrIiEEEEPS6_SG_NS0_5tupleIJSF_NSA_16discard_iteratorINSA_11use_defaultEEEEEENSH_IJSG_SG_EEES6_PlJ7is_evenIiEEEE10hipError_tPvRmT3_T4_T5_T6_T7_T9_mT8_P12ihipStream_tbDpT10_ENKUlT_T0_E_clISt17integral_constantIbLb1EES18_IbLb0EEEEDaS14_S15_EUlS14_E_NS1_11comp_targetILNS1_3genE2ELNS1_11target_archE906ELNS1_3gpuE6ELNS1_3repE0EEENS1_30default_config_static_selectorELNS0_4arch9wavefront6targetE1EEEvT1_,"axG",@progbits,_ZN7rocprim17ROCPRIM_400000_NS6detail17trampoline_kernelINS0_14default_configENS1_25partition_config_selectorILNS1_17partition_subalgoE0EiNS0_10empty_typeEbEEZZNS1_14partition_implILS5_0ELb0ES3_jN6thrust23THRUST_200600_302600_NS6detail15normal_iteratorINSA_10device_ptrIiEEEEPS6_SG_NS0_5tupleIJSF_NSA_16discard_iteratorINSA_11use_defaultEEEEEENSH_IJSG_SG_EEES6_PlJ7is_evenIiEEEE10hipError_tPvRmT3_T4_T5_T6_T7_T9_mT8_P12ihipStream_tbDpT10_ENKUlT_T0_E_clISt17integral_constantIbLb1EES18_IbLb0EEEEDaS14_S15_EUlS14_E_NS1_11comp_targetILNS1_3genE2ELNS1_11target_archE906ELNS1_3gpuE6ELNS1_3repE0EEENS1_30default_config_static_selectorELNS0_4arch9wavefront6targetE1EEEvT1_,comdat
.Lfunc_end2735:
	.size	_ZN7rocprim17ROCPRIM_400000_NS6detail17trampoline_kernelINS0_14default_configENS1_25partition_config_selectorILNS1_17partition_subalgoE0EiNS0_10empty_typeEbEEZZNS1_14partition_implILS5_0ELb0ES3_jN6thrust23THRUST_200600_302600_NS6detail15normal_iteratorINSA_10device_ptrIiEEEEPS6_SG_NS0_5tupleIJSF_NSA_16discard_iteratorINSA_11use_defaultEEEEEENSH_IJSG_SG_EEES6_PlJ7is_evenIiEEEE10hipError_tPvRmT3_T4_T5_T6_T7_T9_mT8_P12ihipStream_tbDpT10_ENKUlT_T0_E_clISt17integral_constantIbLb1EES18_IbLb0EEEEDaS14_S15_EUlS14_E_NS1_11comp_targetILNS1_3genE2ELNS1_11target_archE906ELNS1_3gpuE6ELNS1_3repE0EEENS1_30default_config_static_selectorELNS0_4arch9wavefront6targetE1EEEvT1_, .Lfunc_end2735-_ZN7rocprim17ROCPRIM_400000_NS6detail17trampoline_kernelINS0_14default_configENS1_25partition_config_selectorILNS1_17partition_subalgoE0EiNS0_10empty_typeEbEEZZNS1_14partition_implILS5_0ELb0ES3_jN6thrust23THRUST_200600_302600_NS6detail15normal_iteratorINSA_10device_ptrIiEEEEPS6_SG_NS0_5tupleIJSF_NSA_16discard_iteratorINSA_11use_defaultEEEEEENSH_IJSG_SG_EEES6_PlJ7is_evenIiEEEE10hipError_tPvRmT3_T4_T5_T6_T7_T9_mT8_P12ihipStream_tbDpT10_ENKUlT_T0_E_clISt17integral_constantIbLb1EES18_IbLb0EEEEDaS14_S15_EUlS14_E_NS1_11comp_targetILNS1_3genE2ELNS1_11target_archE906ELNS1_3gpuE6ELNS1_3repE0EEENS1_30default_config_static_selectorELNS0_4arch9wavefront6targetE1EEEvT1_
                                        ; -- End function
	.section	.AMDGPU.csdata,"",@progbits
; Kernel info:
; codeLenInByte = 0
; NumSgprs: 4
; NumVgprs: 0
; NumAgprs: 0
; TotalNumVgprs: 0
; ScratchSize: 0
; MemoryBound: 0
; FloatMode: 240
; IeeeMode: 1
; LDSByteSize: 0 bytes/workgroup (compile time only)
; SGPRBlocks: 0
; VGPRBlocks: 0
; NumSGPRsForWavesPerEU: 4
; NumVGPRsForWavesPerEU: 1
; AccumOffset: 4
; Occupancy: 8
; WaveLimiterHint : 0
; COMPUTE_PGM_RSRC2:SCRATCH_EN: 0
; COMPUTE_PGM_RSRC2:USER_SGPR: 6
; COMPUTE_PGM_RSRC2:TRAP_HANDLER: 0
; COMPUTE_PGM_RSRC2:TGID_X_EN: 1
; COMPUTE_PGM_RSRC2:TGID_Y_EN: 0
; COMPUTE_PGM_RSRC2:TGID_Z_EN: 0
; COMPUTE_PGM_RSRC2:TIDIG_COMP_CNT: 0
; COMPUTE_PGM_RSRC3_GFX90A:ACCUM_OFFSET: 0
; COMPUTE_PGM_RSRC3_GFX90A:TG_SPLIT: 0
	.section	.text._ZN7rocprim17ROCPRIM_400000_NS6detail17trampoline_kernelINS0_14default_configENS1_25partition_config_selectorILNS1_17partition_subalgoE0EiNS0_10empty_typeEbEEZZNS1_14partition_implILS5_0ELb0ES3_jN6thrust23THRUST_200600_302600_NS6detail15normal_iteratorINSA_10device_ptrIiEEEEPS6_SG_NS0_5tupleIJSF_NSA_16discard_iteratorINSA_11use_defaultEEEEEENSH_IJSG_SG_EEES6_PlJ7is_evenIiEEEE10hipError_tPvRmT3_T4_T5_T6_T7_T9_mT8_P12ihipStream_tbDpT10_ENKUlT_T0_E_clISt17integral_constantIbLb1EES18_IbLb0EEEEDaS14_S15_EUlS14_E_NS1_11comp_targetILNS1_3genE10ELNS1_11target_archE1200ELNS1_3gpuE4ELNS1_3repE0EEENS1_30default_config_static_selectorELNS0_4arch9wavefront6targetE1EEEvT1_,"axG",@progbits,_ZN7rocprim17ROCPRIM_400000_NS6detail17trampoline_kernelINS0_14default_configENS1_25partition_config_selectorILNS1_17partition_subalgoE0EiNS0_10empty_typeEbEEZZNS1_14partition_implILS5_0ELb0ES3_jN6thrust23THRUST_200600_302600_NS6detail15normal_iteratorINSA_10device_ptrIiEEEEPS6_SG_NS0_5tupleIJSF_NSA_16discard_iteratorINSA_11use_defaultEEEEEENSH_IJSG_SG_EEES6_PlJ7is_evenIiEEEE10hipError_tPvRmT3_T4_T5_T6_T7_T9_mT8_P12ihipStream_tbDpT10_ENKUlT_T0_E_clISt17integral_constantIbLb1EES18_IbLb0EEEEDaS14_S15_EUlS14_E_NS1_11comp_targetILNS1_3genE10ELNS1_11target_archE1200ELNS1_3gpuE4ELNS1_3repE0EEENS1_30default_config_static_selectorELNS0_4arch9wavefront6targetE1EEEvT1_,comdat
	.protected	_ZN7rocprim17ROCPRIM_400000_NS6detail17trampoline_kernelINS0_14default_configENS1_25partition_config_selectorILNS1_17partition_subalgoE0EiNS0_10empty_typeEbEEZZNS1_14partition_implILS5_0ELb0ES3_jN6thrust23THRUST_200600_302600_NS6detail15normal_iteratorINSA_10device_ptrIiEEEEPS6_SG_NS0_5tupleIJSF_NSA_16discard_iteratorINSA_11use_defaultEEEEEENSH_IJSG_SG_EEES6_PlJ7is_evenIiEEEE10hipError_tPvRmT3_T4_T5_T6_T7_T9_mT8_P12ihipStream_tbDpT10_ENKUlT_T0_E_clISt17integral_constantIbLb1EES18_IbLb0EEEEDaS14_S15_EUlS14_E_NS1_11comp_targetILNS1_3genE10ELNS1_11target_archE1200ELNS1_3gpuE4ELNS1_3repE0EEENS1_30default_config_static_selectorELNS0_4arch9wavefront6targetE1EEEvT1_ ; -- Begin function _ZN7rocprim17ROCPRIM_400000_NS6detail17trampoline_kernelINS0_14default_configENS1_25partition_config_selectorILNS1_17partition_subalgoE0EiNS0_10empty_typeEbEEZZNS1_14partition_implILS5_0ELb0ES3_jN6thrust23THRUST_200600_302600_NS6detail15normal_iteratorINSA_10device_ptrIiEEEEPS6_SG_NS0_5tupleIJSF_NSA_16discard_iteratorINSA_11use_defaultEEEEEENSH_IJSG_SG_EEES6_PlJ7is_evenIiEEEE10hipError_tPvRmT3_T4_T5_T6_T7_T9_mT8_P12ihipStream_tbDpT10_ENKUlT_T0_E_clISt17integral_constantIbLb1EES18_IbLb0EEEEDaS14_S15_EUlS14_E_NS1_11comp_targetILNS1_3genE10ELNS1_11target_archE1200ELNS1_3gpuE4ELNS1_3repE0EEENS1_30default_config_static_selectorELNS0_4arch9wavefront6targetE1EEEvT1_
	.globl	_ZN7rocprim17ROCPRIM_400000_NS6detail17trampoline_kernelINS0_14default_configENS1_25partition_config_selectorILNS1_17partition_subalgoE0EiNS0_10empty_typeEbEEZZNS1_14partition_implILS5_0ELb0ES3_jN6thrust23THRUST_200600_302600_NS6detail15normal_iteratorINSA_10device_ptrIiEEEEPS6_SG_NS0_5tupleIJSF_NSA_16discard_iteratorINSA_11use_defaultEEEEEENSH_IJSG_SG_EEES6_PlJ7is_evenIiEEEE10hipError_tPvRmT3_T4_T5_T6_T7_T9_mT8_P12ihipStream_tbDpT10_ENKUlT_T0_E_clISt17integral_constantIbLb1EES18_IbLb0EEEEDaS14_S15_EUlS14_E_NS1_11comp_targetILNS1_3genE10ELNS1_11target_archE1200ELNS1_3gpuE4ELNS1_3repE0EEENS1_30default_config_static_selectorELNS0_4arch9wavefront6targetE1EEEvT1_
	.p2align	8
	.type	_ZN7rocprim17ROCPRIM_400000_NS6detail17trampoline_kernelINS0_14default_configENS1_25partition_config_selectorILNS1_17partition_subalgoE0EiNS0_10empty_typeEbEEZZNS1_14partition_implILS5_0ELb0ES3_jN6thrust23THRUST_200600_302600_NS6detail15normal_iteratorINSA_10device_ptrIiEEEEPS6_SG_NS0_5tupleIJSF_NSA_16discard_iteratorINSA_11use_defaultEEEEEENSH_IJSG_SG_EEES6_PlJ7is_evenIiEEEE10hipError_tPvRmT3_T4_T5_T6_T7_T9_mT8_P12ihipStream_tbDpT10_ENKUlT_T0_E_clISt17integral_constantIbLb1EES18_IbLb0EEEEDaS14_S15_EUlS14_E_NS1_11comp_targetILNS1_3genE10ELNS1_11target_archE1200ELNS1_3gpuE4ELNS1_3repE0EEENS1_30default_config_static_selectorELNS0_4arch9wavefront6targetE1EEEvT1_,@function
_ZN7rocprim17ROCPRIM_400000_NS6detail17trampoline_kernelINS0_14default_configENS1_25partition_config_selectorILNS1_17partition_subalgoE0EiNS0_10empty_typeEbEEZZNS1_14partition_implILS5_0ELb0ES3_jN6thrust23THRUST_200600_302600_NS6detail15normal_iteratorINSA_10device_ptrIiEEEEPS6_SG_NS0_5tupleIJSF_NSA_16discard_iteratorINSA_11use_defaultEEEEEENSH_IJSG_SG_EEES6_PlJ7is_evenIiEEEE10hipError_tPvRmT3_T4_T5_T6_T7_T9_mT8_P12ihipStream_tbDpT10_ENKUlT_T0_E_clISt17integral_constantIbLb1EES18_IbLb0EEEEDaS14_S15_EUlS14_E_NS1_11comp_targetILNS1_3genE10ELNS1_11target_archE1200ELNS1_3gpuE4ELNS1_3repE0EEENS1_30default_config_static_selectorELNS0_4arch9wavefront6targetE1EEEvT1_: ; @_ZN7rocprim17ROCPRIM_400000_NS6detail17trampoline_kernelINS0_14default_configENS1_25partition_config_selectorILNS1_17partition_subalgoE0EiNS0_10empty_typeEbEEZZNS1_14partition_implILS5_0ELb0ES3_jN6thrust23THRUST_200600_302600_NS6detail15normal_iteratorINSA_10device_ptrIiEEEEPS6_SG_NS0_5tupleIJSF_NSA_16discard_iteratorINSA_11use_defaultEEEEEENSH_IJSG_SG_EEES6_PlJ7is_evenIiEEEE10hipError_tPvRmT3_T4_T5_T6_T7_T9_mT8_P12ihipStream_tbDpT10_ENKUlT_T0_E_clISt17integral_constantIbLb1EES18_IbLb0EEEEDaS14_S15_EUlS14_E_NS1_11comp_targetILNS1_3genE10ELNS1_11target_archE1200ELNS1_3gpuE4ELNS1_3repE0EEENS1_30default_config_static_selectorELNS0_4arch9wavefront6targetE1EEEvT1_
; %bb.0:
	.section	.rodata,"a",@progbits
	.p2align	6, 0x0
	.amdhsa_kernel _ZN7rocprim17ROCPRIM_400000_NS6detail17trampoline_kernelINS0_14default_configENS1_25partition_config_selectorILNS1_17partition_subalgoE0EiNS0_10empty_typeEbEEZZNS1_14partition_implILS5_0ELb0ES3_jN6thrust23THRUST_200600_302600_NS6detail15normal_iteratorINSA_10device_ptrIiEEEEPS6_SG_NS0_5tupleIJSF_NSA_16discard_iteratorINSA_11use_defaultEEEEEENSH_IJSG_SG_EEES6_PlJ7is_evenIiEEEE10hipError_tPvRmT3_T4_T5_T6_T7_T9_mT8_P12ihipStream_tbDpT10_ENKUlT_T0_E_clISt17integral_constantIbLb1EES18_IbLb0EEEEDaS14_S15_EUlS14_E_NS1_11comp_targetILNS1_3genE10ELNS1_11target_archE1200ELNS1_3gpuE4ELNS1_3repE0EEENS1_30default_config_static_selectorELNS0_4arch9wavefront6targetE1EEEvT1_
		.amdhsa_group_segment_fixed_size 0
		.amdhsa_private_segment_fixed_size 0
		.amdhsa_kernarg_size 128
		.amdhsa_user_sgpr_count 6
		.amdhsa_user_sgpr_private_segment_buffer 1
		.amdhsa_user_sgpr_dispatch_ptr 0
		.amdhsa_user_sgpr_queue_ptr 0
		.amdhsa_user_sgpr_kernarg_segment_ptr 1
		.amdhsa_user_sgpr_dispatch_id 0
		.amdhsa_user_sgpr_flat_scratch_init 0
		.amdhsa_user_sgpr_kernarg_preload_length 0
		.amdhsa_user_sgpr_kernarg_preload_offset 0
		.amdhsa_user_sgpr_private_segment_size 0
		.amdhsa_uses_dynamic_stack 0
		.amdhsa_system_sgpr_private_segment_wavefront_offset 0
		.amdhsa_system_sgpr_workgroup_id_x 1
		.amdhsa_system_sgpr_workgroup_id_y 0
		.amdhsa_system_sgpr_workgroup_id_z 0
		.amdhsa_system_sgpr_workgroup_info 0
		.amdhsa_system_vgpr_workitem_id 0
		.amdhsa_next_free_vgpr 1
		.amdhsa_next_free_sgpr 0
		.amdhsa_accum_offset 4
		.amdhsa_reserve_vcc 0
		.amdhsa_reserve_flat_scratch 0
		.amdhsa_float_round_mode_32 0
		.amdhsa_float_round_mode_16_64 0
		.amdhsa_float_denorm_mode_32 3
		.amdhsa_float_denorm_mode_16_64 3
		.amdhsa_dx10_clamp 1
		.amdhsa_ieee_mode 1
		.amdhsa_fp16_overflow 0
		.amdhsa_tg_split 0
		.amdhsa_exception_fp_ieee_invalid_op 0
		.amdhsa_exception_fp_denorm_src 0
		.amdhsa_exception_fp_ieee_div_zero 0
		.amdhsa_exception_fp_ieee_overflow 0
		.amdhsa_exception_fp_ieee_underflow 0
		.amdhsa_exception_fp_ieee_inexact 0
		.amdhsa_exception_int_div_zero 0
	.end_amdhsa_kernel
	.section	.text._ZN7rocprim17ROCPRIM_400000_NS6detail17trampoline_kernelINS0_14default_configENS1_25partition_config_selectorILNS1_17partition_subalgoE0EiNS0_10empty_typeEbEEZZNS1_14partition_implILS5_0ELb0ES3_jN6thrust23THRUST_200600_302600_NS6detail15normal_iteratorINSA_10device_ptrIiEEEEPS6_SG_NS0_5tupleIJSF_NSA_16discard_iteratorINSA_11use_defaultEEEEEENSH_IJSG_SG_EEES6_PlJ7is_evenIiEEEE10hipError_tPvRmT3_T4_T5_T6_T7_T9_mT8_P12ihipStream_tbDpT10_ENKUlT_T0_E_clISt17integral_constantIbLb1EES18_IbLb0EEEEDaS14_S15_EUlS14_E_NS1_11comp_targetILNS1_3genE10ELNS1_11target_archE1200ELNS1_3gpuE4ELNS1_3repE0EEENS1_30default_config_static_selectorELNS0_4arch9wavefront6targetE1EEEvT1_,"axG",@progbits,_ZN7rocprim17ROCPRIM_400000_NS6detail17trampoline_kernelINS0_14default_configENS1_25partition_config_selectorILNS1_17partition_subalgoE0EiNS0_10empty_typeEbEEZZNS1_14partition_implILS5_0ELb0ES3_jN6thrust23THRUST_200600_302600_NS6detail15normal_iteratorINSA_10device_ptrIiEEEEPS6_SG_NS0_5tupleIJSF_NSA_16discard_iteratorINSA_11use_defaultEEEEEENSH_IJSG_SG_EEES6_PlJ7is_evenIiEEEE10hipError_tPvRmT3_T4_T5_T6_T7_T9_mT8_P12ihipStream_tbDpT10_ENKUlT_T0_E_clISt17integral_constantIbLb1EES18_IbLb0EEEEDaS14_S15_EUlS14_E_NS1_11comp_targetILNS1_3genE10ELNS1_11target_archE1200ELNS1_3gpuE4ELNS1_3repE0EEENS1_30default_config_static_selectorELNS0_4arch9wavefront6targetE1EEEvT1_,comdat
.Lfunc_end2736:
	.size	_ZN7rocprim17ROCPRIM_400000_NS6detail17trampoline_kernelINS0_14default_configENS1_25partition_config_selectorILNS1_17partition_subalgoE0EiNS0_10empty_typeEbEEZZNS1_14partition_implILS5_0ELb0ES3_jN6thrust23THRUST_200600_302600_NS6detail15normal_iteratorINSA_10device_ptrIiEEEEPS6_SG_NS0_5tupleIJSF_NSA_16discard_iteratorINSA_11use_defaultEEEEEENSH_IJSG_SG_EEES6_PlJ7is_evenIiEEEE10hipError_tPvRmT3_T4_T5_T6_T7_T9_mT8_P12ihipStream_tbDpT10_ENKUlT_T0_E_clISt17integral_constantIbLb1EES18_IbLb0EEEEDaS14_S15_EUlS14_E_NS1_11comp_targetILNS1_3genE10ELNS1_11target_archE1200ELNS1_3gpuE4ELNS1_3repE0EEENS1_30default_config_static_selectorELNS0_4arch9wavefront6targetE1EEEvT1_, .Lfunc_end2736-_ZN7rocprim17ROCPRIM_400000_NS6detail17trampoline_kernelINS0_14default_configENS1_25partition_config_selectorILNS1_17partition_subalgoE0EiNS0_10empty_typeEbEEZZNS1_14partition_implILS5_0ELb0ES3_jN6thrust23THRUST_200600_302600_NS6detail15normal_iteratorINSA_10device_ptrIiEEEEPS6_SG_NS0_5tupleIJSF_NSA_16discard_iteratorINSA_11use_defaultEEEEEENSH_IJSG_SG_EEES6_PlJ7is_evenIiEEEE10hipError_tPvRmT3_T4_T5_T6_T7_T9_mT8_P12ihipStream_tbDpT10_ENKUlT_T0_E_clISt17integral_constantIbLb1EES18_IbLb0EEEEDaS14_S15_EUlS14_E_NS1_11comp_targetILNS1_3genE10ELNS1_11target_archE1200ELNS1_3gpuE4ELNS1_3repE0EEENS1_30default_config_static_selectorELNS0_4arch9wavefront6targetE1EEEvT1_
                                        ; -- End function
	.section	.AMDGPU.csdata,"",@progbits
; Kernel info:
; codeLenInByte = 0
; NumSgprs: 4
; NumVgprs: 0
; NumAgprs: 0
; TotalNumVgprs: 0
; ScratchSize: 0
; MemoryBound: 0
; FloatMode: 240
; IeeeMode: 1
; LDSByteSize: 0 bytes/workgroup (compile time only)
; SGPRBlocks: 0
; VGPRBlocks: 0
; NumSGPRsForWavesPerEU: 4
; NumVGPRsForWavesPerEU: 1
; AccumOffset: 4
; Occupancy: 8
; WaveLimiterHint : 0
; COMPUTE_PGM_RSRC2:SCRATCH_EN: 0
; COMPUTE_PGM_RSRC2:USER_SGPR: 6
; COMPUTE_PGM_RSRC2:TRAP_HANDLER: 0
; COMPUTE_PGM_RSRC2:TGID_X_EN: 1
; COMPUTE_PGM_RSRC2:TGID_Y_EN: 0
; COMPUTE_PGM_RSRC2:TGID_Z_EN: 0
; COMPUTE_PGM_RSRC2:TIDIG_COMP_CNT: 0
; COMPUTE_PGM_RSRC3_GFX90A:ACCUM_OFFSET: 0
; COMPUTE_PGM_RSRC3_GFX90A:TG_SPLIT: 0
	.section	.text._ZN7rocprim17ROCPRIM_400000_NS6detail17trampoline_kernelINS0_14default_configENS1_25partition_config_selectorILNS1_17partition_subalgoE0EiNS0_10empty_typeEbEEZZNS1_14partition_implILS5_0ELb0ES3_jN6thrust23THRUST_200600_302600_NS6detail15normal_iteratorINSA_10device_ptrIiEEEEPS6_SG_NS0_5tupleIJSF_NSA_16discard_iteratorINSA_11use_defaultEEEEEENSH_IJSG_SG_EEES6_PlJ7is_evenIiEEEE10hipError_tPvRmT3_T4_T5_T6_T7_T9_mT8_P12ihipStream_tbDpT10_ENKUlT_T0_E_clISt17integral_constantIbLb1EES18_IbLb0EEEEDaS14_S15_EUlS14_E_NS1_11comp_targetILNS1_3genE9ELNS1_11target_archE1100ELNS1_3gpuE3ELNS1_3repE0EEENS1_30default_config_static_selectorELNS0_4arch9wavefront6targetE1EEEvT1_,"axG",@progbits,_ZN7rocprim17ROCPRIM_400000_NS6detail17trampoline_kernelINS0_14default_configENS1_25partition_config_selectorILNS1_17partition_subalgoE0EiNS0_10empty_typeEbEEZZNS1_14partition_implILS5_0ELb0ES3_jN6thrust23THRUST_200600_302600_NS6detail15normal_iteratorINSA_10device_ptrIiEEEEPS6_SG_NS0_5tupleIJSF_NSA_16discard_iteratorINSA_11use_defaultEEEEEENSH_IJSG_SG_EEES6_PlJ7is_evenIiEEEE10hipError_tPvRmT3_T4_T5_T6_T7_T9_mT8_P12ihipStream_tbDpT10_ENKUlT_T0_E_clISt17integral_constantIbLb1EES18_IbLb0EEEEDaS14_S15_EUlS14_E_NS1_11comp_targetILNS1_3genE9ELNS1_11target_archE1100ELNS1_3gpuE3ELNS1_3repE0EEENS1_30default_config_static_selectorELNS0_4arch9wavefront6targetE1EEEvT1_,comdat
	.protected	_ZN7rocprim17ROCPRIM_400000_NS6detail17trampoline_kernelINS0_14default_configENS1_25partition_config_selectorILNS1_17partition_subalgoE0EiNS0_10empty_typeEbEEZZNS1_14partition_implILS5_0ELb0ES3_jN6thrust23THRUST_200600_302600_NS6detail15normal_iteratorINSA_10device_ptrIiEEEEPS6_SG_NS0_5tupleIJSF_NSA_16discard_iteratorINSA_11use_defaultEEEEEENSH_IJSG_SG_EEES6_PlJ7is_evenIiEEEE10hipError_tPvRmT3_T4_T5_T6_T7_T9_mT8_P12ihipStream_tbDpT10_ENKUlT_T0_E_clISt17integral_constantIbLb1EES18_IbLb0EEEEDaS14_S15_EUlS14_E_NS1_11comp_targetILNS1_3genE9ELNS1_11target_archE1100ELNS1_3gpuE3ELNS1_3repE0EEENS1_30default_config_static_selectorELNS0_4arch9wavefront6targetE1EEEvT1_ ; -- Begin function _ZN7rocprim17ROCPRIM_400000_NS6detail17trampoline_kernelINS0_14default_configENS1_25partition_config_selectorILNS1_17partition_subalgoE0EiNS0_10empty_typeEbEEZZNS1_14partition_implILS5_0ELb0ES3_jN6thrust23THRUST_200600_302600_NS6detail15normal_iteratorINSA_10device_ptrIiEEEEPS6_SG_NS0_5tupleIJSF_NSA_16discard_iteratorINSA_11use_defaultEEEEEENSH_IJSG_SG_EEES6_PlJ7is_evenIiEEEE10hipError_tPvRmT3_T4_T5_T6_T7_T9_mT8_P12ihipStream_tbDpT10_ENKUlT_T0_E_clISt17integral_constantIbLb1EES18_IbLb0EEEEDaS14_S15_EUlS14_E_NS1_11comp_targetILNS1_3genE9ELNS1_11target_archE1100ELNS1_3gpuE3ELNS1_3repE0EEENS1_30default_config_static_selectorELNS0_4arch9wavefront6targetE1EEEvT1_
	.globl	_ZN7rocprim17ROCPRIM_400000_NS6detail17trampoline_kernelINS0_14default_configENS1_25partition_config_selectorILNS1_17partition_subalgoE0EiNS0_10empty_typeEbEEZZNS1_14partition_implILS5_0ELb0ES3_jN6thrust23THRUST_200600_302600_NS6detail15normal_iteratorINSA_10device_ptrIiEEEEPS6_SG_NS0_5tupleIJSF_NSA_16discard_iteratorINSA_11use_defaultEEEEEENSH_IJSG_SG_EEES6_PlJ7is_evenIiEEEE10hipError_tPvRmT3_T4_T5_T6_T7_T9_mT8_P12ihipStream_tbDpT10_ENKUlT_T0_E_clISt17integral_constantIbLb1EES18_IbLb0EEEEDaS14_S15_EUlS14_E_NS1_11comp_targetILNS1_3genE9ELNS1_11target_archE1100ELNS1_3gpuE3ELNS1_3repE0EEENS1_30default_config_static_selectorELNS0_4arch9wavefront6targetE1EEEvT1_
	.p2align	8
	.type	_ZN7rocprim17ROCPRIM_400000_NS6detail17trampoline_kernelINS0_14default_configENS1_25partition_config_selectorILNS1_17partition_subalgoE0EiNS0_10empty_typeEbEEZZNS1_14partition_implILS5_0ELb0ES3_jN6thrust23THRUST_200600_302600_NS6detail15normal_iteratorINSA_10device_ptrIiEEEEPS6_SG_NS0_5tupleIJSF_NSA_16discard_iteratorINSA_11use_defaultEEEEEENSH_IJSG_SG_EEES6_PlJ7is_evenIiEEEE10hipError_tPvRmT3_T4_T5_T6_T7_T9_mT8_P12ihipStream_tbDpT10_ENKUlT_T0_E_clISt17integral_constantIbLb1EES18_IbLb0EEEEDaS14_S15_EUlS14_E_NS1_11comp_targetILNS1_3genE9ELNS1_11target_archE1100ELNS1_3gpuE3ELNS1_3repE0EEENS1_30default_config_static_selectorELNS0_4arch9wavefront6targetE1EEEvT1_,@function
_ZN7rocprim17ROCPRIM_400000_NS6detail17trampoline_kernelINS0_14default_configENS1_25partition_config_selectorILNS1_17partition_subalgoE0EiNS0_10empty_typeEbEEZZNS1_14partition_implILS5_0ELb0ES3_jN6thrust23THRUST_200600_302600_NS6detail15normal_iteratorINSA_10device_ptrIiEEEEPS6_SG_NS0_5tupleIJSF_NSA_16discard_iteratorINSA_11use_defaultEEEEEENSH_IJSG_SG_EEES6_PlJ7is_evenIiEEEE10hipError_tPvRmT3_T4_T5_T6_T7_T9_mT8_P12ihipStream_tbDpT10_ENKUlT_T0_E_clISt17integral_constantIbLb1EES18_IbLb0EEEEDaS14_S15_EUlS14_E_NS1_11comp_targetILNS1_3genE9ELNS1_11target_archE1100ELNS1_3gpuE3ELNS1_3repE0EEENS1_30default_config_static_selectorELNS0_4arch9wavefront6targetE1EEEvT1_: ; @_ZN7rocprim17ROCPRIM_400000_NS6detail17trampoline_kernelINS0_14default_configENS1_25partition_config_selectorILNS1_17partition_subalgoE0EiNS0_10empty_typeEbEEZZNS1_14partition_implILS5_0ELb0ES3_jN6thrust23THRUST_200600_302600_NS6detail15normal_iteratorINSA_10device_ptrIiEEEEPS6_SG_NS0_5tupleIJSF_NSA_16discard_iteratorINSA_11use_defaultEEEEEENSH_IJSG_SG_EEES6_PlJ7is_evenIiEEEE10hipError_tPvRmT3_T4_T5_T6_T7_T9_mT8_P12ihipStream_tbDpT10_ENKUlT_T0_E_clISt17integral_constantIbLb1EES18_IbLb0EEEEDaS14_S15_EUlS14_E_NS1_11comp_targetILNS1_3genE9ELNS1_11target_archE1100ELNS1_3gpuE3ELNS1_3repE0EEENS1_30default_config_static_selectorELNS0_4arch9wavefront6targetE1EEEvT1_
; %bb.0:
	.section	.rodata,"a",@progbits
	.p2align	6, 0x0
	.amdhsa_kernel _ZN7rocprim17ROCPRIM_400000_NS6detail17trampoline_kernelINS0_14default_configENS1_25partition_config_selectorILNS1_17partition_subalgoE0EiNS0_10empty_typeEbEEZZNS1_14partition_implILS5_0ELb0ES3_jN6thrust23THRUST_200600_302600_NS6detail15normal_iteratorINSA_10device_ptrIiEEEEPS6_SG_NS0_5tupleIJSF_NSA_16discard_iteratorINSA_11use_defaultEEEEEENSH_IJSG_SG_EEES6_PlJ7is_evenIiEEEE10hipError_tPvRmT3_T4_T5_T6_T7_T9_mT8_P12ihipStream_tbDpT10_ENKUlT_T0_E_clISt17integral_constantIbLb1EES18_IbLb0EEEEDaS14_S15_EUlS14_E_NS1_11comp_targetILNS1_3genE9ELNS1_11target_archE1100ELNS1_3gpuE3ELNS1_3repE0EEENS1_30default_config_static_selectorELNS0_4arch9wavefront6targetE1EEEvT1_
		.amdhsa_group_segment_fixed_size 0
		.amdhsa_private_segment_fixed_size 0
		.amdhsa_kernarg_size 128
		.amdhsa_user_sgpr_count 6
		.amdhsa_user_sgpr_private_segment_buffer 1
		.amdhsa_user_sgpr_dispatch_ptr 0
		.amdhsa_user_sgpr_queue_ptr 0
		.amdhsa_user_sgpr_kernarg_segment_ptr 1
		.amdhsa_user_sgpr_dispatch_id 0
		.amdhsa_user_sgpr_flat_scratch_init 0
		.amdhsa_user_sgpr_kernarg_preload_length 0
		.amdhsa_user_sgpr_kernarg_preload_offset 0
		.amdhsa_user_sgpr_private_segment_size 0
		.amdhsa_uses_dynamic_stack 0
		.amdhsa_system_sgpr_private_segment_wavefront_offset 0
		.amdhsa_system_sgpr_workgroup_id_x 1
		.amdhsa_system_sgpr_workgroup_id_y 0
		.amdhsa_system_sgpr_workgroup_id_z 0
		.amdhsa_system_sgpr_workgroup_info 0
		.amdhsa_system_vgpr_workitem_id 0
		.amdhsa_next_free_vgpr 1
		.amdhsa_next_free_sgpr 0
		.amdhsa_accum_offset 4
		.amdhsa_reserve_vcc 0
		.amdhsa_reserve_flat_scratch 0
		.amdhsa_float_round_mode_32 0
		.amdhsa_float_round_mode_16_64 0
		.amdhsa_float_denorm_mode_32 3
		.amdhsa_float_denorm_mode_16_64 3
		.amdhsa_dx10_clamp 1
		.amdhsa_ieee_mode 1
		.amdhsa_fp16_overflow 0
		.amdhsa_tg_split 0
		.amdhsa_exception_fp_ieee_invalid_op 0
		.amdhsa_exception_fp_denorm_src 0
		.amdhsa_exception_fp_ieee_div_zero 0
		.amdhsa_exception_fp_ieee_overflow 0
		.amdhsa_exception_fp_ieee_underflow 0
		.amdhsa_exception_fp_ieee_inexact 0
		.amdhsa_exception_int_div_zero 0
	.end_amdhsa_kernel
	.section	.text._ZN7rocprim17ROCPRIM_400000_NS6detail17trampoline_kernelINS0_14default_configENS1_25partition_config_selectorILNS1_17partition_subalgoE0EiNS0_10empty_typeEbEEZZNS1_14partition_implILS5_0ELb0ES3_jN6thrust23THRUST_200600_302600_NS6detail15normal_iteratorINSA_10device_ptrIiEEEEPS6_SG_NS0_5tupleIJSF_NSA_16discard_iteratorINSA_11use_defaultEEEEEENSH_IJSG_SG_EEES6_PlJ7is_evenIiEEEE10hipError_tPvRmT3_T4_T5_T6_T7_T9_mT8_P12ihipStream_tbDpT10_ENKUlT_T0_E_clISt17integral_constantIbLb1EES18_IbLb0EEEEDaS14_S15_EUlS14_E_NS1_11comp_targetILNS1_3genE9ELNS1_11target_archE1100ELNS1_3gpuE3ELNS1_3repE0EEENS1_30default_config_static_selectorELNS0_4arch9wavefront6targetE1EEEvT1_,"axG",@progbits,_ZN7rocprim17ROCPRIM_400000_NS6detail17trampoline_kernelINS0_14default_configENS1_25partition_config_selectorILNS1_17partition_subalgoE0EiNS0_10empty_typeEbEEZZNS1_14partition_implILS5_0ELb0ES3_jN6thrust23THRUST_200600_302600_NS6detail15normal_iteratorINSA_10device_ptrIiEEEEPS6_SG_NS0_5tupleIJSF_NSA_16discard_iteratorINSA_11use_defaultEEEEEENSH_IJSG_SG_EEES6_PlJ7is_evenIiEEEE10hipError_tPvRmT3_T4_T5_T6_T7_T9_mT8_P12ihipStream_tbDpT10_ENKUlT_T0_E_clISt17integral_constantIbLb1EES18_IbLb0EEEEDaS14_S15_EUlS14_E_NS1_11comp_targetILNS1_3genE9ELNS1_11target_archE1100ELNS1_3gpuE3ELNS1_3repE0EEENS1_30default_config_static_selectorELNS0_4arch9wavefront6targetE1EEEvT1_,comdat
.Lfunc_end2737:
	.size	_ZN7rocprim17ROCPRIM_400000_NS6detail17trampoline_kernelINS0_14default_configENS1_25partition_config_selectorILNS1_17partition_subalgoE0EiNS0_10empty_typeEbEEZZNS1_14partition_implILS5_0ELb0ES3_jN6thrust23THRUST_200600_302600_NS6detail15normal_iteratorINSA_10device_ptrIiEEEEPS6_SG_NS0_5tupleIJSF_NSA_16discard_iteratorINSA_11use_defaultEEEEEENSH_IJSG_SG_EEES6_PlJ7is_evenIiEEEE10hipError_tPvRmT3_T4_T5_T6_T7_T9_mT8_P12ihipStream_tbDpT10_ENKUlT_T0_E_clISt17integral_constantIbLb1EES18_IbLb0EEEEDaS14_S15_EUlS14_E_NS1_11comp_targetILNS1_3genE9ELNS1_11target_archE1100ELNS1_3gpuE3ELNS1_3repE0EEENS1_30default_config_static_selectorELNS0_4arch9wavefront6targetE1EEEvT1_, .Lfunc_end2737-_ZN7rocprim17ROCPRIM_400000_NS6detail17trampoline_kernelINS0_14default_configENS1_25partition_config_selectorILNS1_17partition_subalgoE0EiNS0_10empty_typeEbEEZZNS1_14partition_implILS5_0ELb0ES3_jN6thrust23THRUST_200600_302600_NS6detail15normal_iteratorINSA_10device_ptrIiEEEEPS6_SG_NS0_5tupleIJSF_NSA_16discard_iteratorINSA_11use_defaultEEEEEENSH_IJSG_SG_EEES6_PlJ7is_evenIiEEEE10hipError_tPvRmT3_T4_T5_T6_T7_T9_mT8_P12ihipStream_tbDpT10_ENKUlT_T0_E_clISt17integral_constantIbLb1EES18_IbLb0EEEEDaS14_S15_EUlS14_E_NS1_11comp_targetILNS1_3genE9ELNS1_11target_archE1100ELNS1_3gpuE3ELNS1_3repE0EEENS1_30default_config_static_selectorELNS0_4arch9wavefront6targetE1EEEvT1_
                                        ; -- End function
	.section	.AMDGPU.csdata,"",@progbits
; Kernel info:
; codeLenInByte = 0
; NumSgprs: 4
; NumVgprs: 0
; NumAgprs: 0
; TotalNumVgprs: 0
; ScratchSize: 0
; MemoryBound: 0
; FloatMode: 240
; IeeeMode: 1
; LDSByteSize: 0 bytes/workgroup (compile time only)
; SGPRBlocks: 0
; VGPRBlocks: 0
; NumSGPRsForWavesPerEU: 4
; NumVGPRsForWavesPerEU: 1
; AccumOffset: 4
; Occupancy: 8
; WaveLimiterHint : 0
; COMPUTE_PGM_RSRC2:SCRATCH_EN: 0
; COMPUTE_PGM_RSRC2:USER_SGPR: 6
; COMPUTE_PGM_RSRC2:TRAP_HANDLER: 0
; COMPUTE_PGM_RSRC2:TGID_X_EN: 1
; COMPUTE_PGM_RSRC2:TGID_Y_EN: 0
; COMPUTE_PGM_RSRC2:TGID_Z_EN: 0
; COMPUTE_PGM_RSRC2:TIDIG_COMP_CNT: 0
; COMPUTE_PGM_RSRC3_GFX90A:ACCUM_OFFSET: 0
; COMPUTE_PGM_RSRC3_GFX90A:TG_SPLIT: 0
	.section	.text._ZN7rocprim17ROCPRIM_400000_NS6detail17trampoline_kernelINS0_14default_configENS1_25partition_config_selectorILNS1_17partition_subalgoE0EiNS0_10empty_typeEbEEZZNS1_14partition_implILS5_0ELb0ES3_jN6thrust23THRUST_200600_302600_NS6detail15normal_iteratorINSA_10device_ptrIiEEEEPS6_SG_NS0_5tupleIJSF_NSA_16discard_iteratorINSA_11use_defaultEEEEEENSH_IJSG_SG_EEES6_PlJ7is_evenIiEEEE10hipError_tPvRmT3_T4_T5_T6_T7_T9_mT8_P12ihipStream_tbDpT10_ENKUlT_T0_E_clISt17integral_constantIbLb1EES18_IbLb0EEEEDaS14_S15_EUlS14_E_NS1_11comp_targetILNS1_3genE8ELNS1_11target_archE1030ELNS1_3gpuE2ELNS1_3repE0EEENS1_30default_config_static_selectorELNS0_4arch9wavefront6targetE1EEEvT1_,"axG",@progbits,_ZN7rocprim17ROCPRIM_400000_NS6detail17trampoline_kernelINS0_14default_configENS1_25partition_config_selectorILNS1_17partition_subalgoE0EiNS0_10empty_typeEbEEZZNS1_14partition_implILS5_0ELb0ES3_jN6thrust23THRUST_200600_302600_NS6detail15normal_iteratorINSA_10device_ptrIiEEEEPS6_SG_NS0_5tupleIJSF_NSA_16discard_iteratorINSA_11use_defaultEEEEEENSH_IJSG_SG_EEES6_PlJ7is_evenIiEEEE10hipError_tPvRmT3_T4_T5_T6_T7_T9_mT8_P12ihipStream_tbDpT10_ENKUlT_T0_E_clISt17integral_constantIbLb1EES18_IbLb0EEEEDaS14_S15_EUlS14_E_NS1_11comp_targetILNS1_3genE8ELNS1_11target_archE1030ELNS1_3gpuE2ELNS1_3repE0EEENS1_30default_config_static_selectorELNS0_4arch9wavefront6targetE1EEEvT1_,comdat
	.protected	_ZN7rocprim17ROCPRIM_400000_NS6detail17trampoline_kernelINS0_14default_configENS1_25partition_config_selectorILNS1_17partition_subalgoE0EiNS0_10empty_typeEbEEZZNS1_14partition_implILS5_0ELb0ES3_jN6thrust23THRUST_200600_302600_NS6detail15normal_iteratorINSA_10device_ptrIiEEEEPS6_SG_NS0_5tupleIJSF_NSA_16discard_iteratorINSA_11use_defaultEEEEEENSH_IJSG_SG_EEES6_PlJ7is_evenIiEEEE10hipError_tPvRmT3_T4_T5_T6_T7_T9_mT8_P12ihipStream_tbDpT10_ENKUlT_T0_E_clISt17integral_constantIbLb1EES18_IbLb0EEEEDaS14_S15_EUlS14_E_NS1_11comp_targetILNS1_3genE8ELNS1_11target_archE1030ELNS1_3gpuE2ELNS1_3repE0EEENS1_30default_config_static_selectorELNS0_4arch9wavefront6targetE1EEEvT1_ ; -- Begin function _ZN7rocprim17ROCPRIM_400000_NS6detail17trampoline_kernelINS0_14default_configENS1_25partition_config_selectorILNS1_17partition_subalgoE0EiNS0_10empty_typeEbEEZZNS1_14partition_implILS5_0ELb0ES3_jN6thrust23THRUST_200600_302600_NS6detail15normal_iteratorINSA_10device_ptrIiEEEEPS6_SG_NS0_5tupleIJSF_NSA_16discard_iteratorINSA_11use_defaultEEEEEENSH_IJSG_SG_EEES6_PlJ7is_evenIiEEEE10hipError_tPvRmT3_T4_T5_T6_T7_T9_mT8_P12ihipStream_tbDpT10_ENKUlT_T0_E_clISt17integral_constantIbLb1EES18_IbLb0EEEEDaS14_S15_EUlS14_E_NS1_11comp_targetILNS1_3genE8ELNS1_11target_archE1030ELNS1_3gpuE2ELNS1_3repE0EEENS1_30default_config_static_selectorELNS0_4arch9wavefront6targetE1EEEvT1_
	.globl	_ZN7rocprim17ROCPRIM_400000_NS6detail17trampoline_kernelINS0_14default_configENS1_25partition_config_selectorILNS1_17partition_subalgoE0EiNS0_10empty_typeEbEEZZNS1_14partition_implILS5_0ELb0ES3_jN6thrust23THRUST_200600_302600_NS6detail15normal_iteratorINSA_10device_ptrIiEEEEPS6_SG_NS0_5tupleIJSF_NSA_16discard_iteratorINSA_11use_defaultEEEEEENSH_IJSG_SG_EEES6_PlJ7is_evenIiEEEE10hipError_tPvRmT3_T4_T5_T6_T7_T9_mT8_P12ihipStream_tbDpT10_ENKUlT_T0_E_clISt17integral_constantIbLb1EES18_IbLb0EEEEDaS14_S15_EUlS14_E_NS1_11comp_targetILNS1_3genE8ELNS1_11target_archE1030ELNS1_3gpuE2ELNS1_3repE0EEENS1_30default_config_static_selectorELNS0_4arch9wavefront6targetE1EEEvT1_
	.p2align	8
	.type	_ZN7rocprim17ROCPRIM_400000_NS6detail17trampoline_kernelINS0_14default_configENS1_25partition_config_selectorILNS1_17partition_subalgoE0EiNS0_10empty_typeEbEEZZNS1_14partition_implILS5_0ELb0ES3_jN6thrust23THRUST_200600_302600_NS6detail15normal_iteratorINSA_10device_ptrIiEEEEPS6_SG_NS0_5tupleIJSF_NSA_16discard_iteratorINSA_11use_defaultEEEEEENSH_IJSG_SG_EEES6_PlJ7is_evenIiEEEE10hipError_tPvRmT3_T4_T5_T6_T7_T9_mT8_P12ihipStream_tbDpT10_ENKUlT_T0_E_clISt17integral_constantIbLb1EES18_IbLb0EEEEDaS14_S15_EUlS14_E_NS1_11comp_targetILNS1_3genE8ELNS1_11target_archE1030ELNS1_3gpuE2ELNS1_3repE0EEENS1_30default_config_static_selectorELNS0_4arch9wavefront6targetE1EEEvT1_,@function
_ZN7rocprim17ROCPRIM_400000_NS6detail17trampoline_kernelINS0_14default_configENS1_25partition_config_selectorILNS1_17partition_subalgoE0EiNS0_10empty_typeEbEEZZNS1_14partition_implILS5_0ELb0ES3_jN6thrust23THRUST_200600_302600_NS6detail15normal_iteratorINSA_10device_ptrIiEEEEPS6_SG_NS0_5tupleIJSF_NSA_16discard_iteratorINSA_11use_defaultEEEEEENSH_IJSG_SG_EEES6_PlJ7is_evenIiEEEE10hipError_tPvRmT3_T4_T5_T6_T7_T9_mT8_P12ihipStream_tbDpT10_ENKUlT_T0_E_clISt17integral_constantIbLb1EES18_IbLb0EEEEDaS14_S15_EUlS14_E_NS1_11comp_targetILNS1_3genE8ELNS1_11target_archE1030ELNS1_3gpuE2ELNS1_3repE0EEENS1_30default_config_static_selectorELNS0_4arch9wavefront6targetE1EEEvT1_: ; @_ZN7rocprim17ROCPRIM_400000_NS6detail17trampoline_kernelINS0_14default_configENS1_25partition_config_selectorILNS1_17partition_subalgoE0EiNS0_10empty_typeEbEEZZNS1_14partition_implILS5_0ELb0ES3_jN6thrust23THRUST_200600_302600_NS6detail15normal_iteratorINSA_10device_ptrIiEEEEPS6_SG_NS0_5tupleIJSF_NSA_16discard_iteratorINSA_11use_defaultEEEEEENSH_IJSG_SG_EEES6_PlJ7is_evenIiEEEE10hipError_tPvRmT3_T4_T5_T6_T7_T9_mT8_P12ihipStream_tbDpT10_ENKUlT_T0_E_clISt17integral_constantIbLb1EES18_IbLb0EEEEDaS14_S15_EUlS14_E_NS1_11comp_targetILNS1_3genE8ELNS1_11target_archE1030ELNS1_3gpuE2ELNS1_3repE0EEENS1_30default_config_static_selectorELNS0_4arch9wavefront6targetE1EEEvT1_
; %bb.0:
	.section	.rodata,"a",@progbits
	.p2align	6, 0x0
	.amdhsa_kernel _ZN7rocprim17ROCPRIM_400000_NS6detail17trampoline_kernelINS0_14default_configENS1_25partition_config_selectorILNS1_17partition_subalgoE0EiNS0_10empty_typeEbEEZZNS1_14partition_implILS5_0ELb0ES3_jN6thrust23THRUST_200600_302600_NS6detail15normal_iteratorINSA_10device_ptrIiEEEEPS6_SG_NS0_5tupleIJSF_NSA_16discard_iteratorINSA_11use_defaultEEEEEENSH_IJSG_SG_EEES6_PlJ7is_evenIiEEEE10hipError_tPvRmT3_T4_T5_T6_T7_T9_mT8_P12ihipStream_tbDpT10_ENKUlT_T0_E_clISt17integral_constantIbLb1EES18_IbLb0EEEEDaS14_S15_EUlS14_E_NS1_11comp_targetILNS1_3genE8ELNS1_11target_archE1030ELNS1_3gpuE2ELNS1_3repE0EEENS1_30default_config_static_selectorELNS0_4arch9wavefront6targetE1EEEvT1_
		.amdhsa_group_segment_fixed_size 0
		.amdhsa_private_segment_fixed_size 0
		.amdhsa_kernarg_size 128
		.amdhsa_user_sgpr_count 6
		.amdhsa_user_sgpr_private_segment_buffer 1
		.amdhsa_user_sgpr_dispatch_ptr 0
		.amdhsa_user_sgpr_queue_ptr 0
		.amdhsa_user_sgpr_kernarg_segment_ptr 1
		.amdhsa_user_sgpr_dispatch_id 0
		.amdhsa_user_sgpr_flat_scratch_init 0
		.amdhsa_user_sgpr_kernarg_preload_length 0
		.amdhsa_user_sgpr_kernarg_preload_offset 0
		.amdhsa_user_sgpr_private_segment_size 0
		.amdhsa_uses_dynamic_stack 0
		.amdhsa_system_sgpr_private_segment_wavefront_offset 0
		.amdhsa_system_sgpr_workgroup_id_x 1
		.amdhsa_system_sgpr_workgroup_id_y 0
		.amdhsa_system_sgpr_workgroup_id_z 0
		.amdhsa_system_sgpr_workgroup_info 0
		.amdhsa_system_vgpr_workitem_id 0
		.amdhsa_next_free_vgpr 1
		.amdhsa_next_free_sgpr 0
		.amdhsa_accum_offset 4
		.amdhsa_reserve_vcc 0
		.amdhsa_reserve_flat_scratch 0
		.amdhsa_float_round_mode_32 0
		.amdhsa_float_round_mode_16_64 0
		.amdhsa_float_denorm_mode_32 3
		.amdhsa_float_denorm_mode_16_64 3
		.amdhsa_dx10_clamp 1
		.amdhsa_ieee_mode 1
		.amdhsa_fp16_overflow 0
		.amdhsa_tg_split 0
		.amdhsa_exception_fp_ieee_invalid_op 0
		.amdhsa_exception_fp_denorm_src 0
		.amdhsa_exception_fp_ieee_div_zero 0
		.amdhsa_exception_fp_ieee_overflow 0
		.amdhsa_exception_fp_ieee_underflow 0
		.amdhsa_exception_fp_ieee_inexact 0
		.amdhsa_exception_int_div_zero 0
	.end_amdhsa_kernel
	.section	.text._ZN7rocprim17ROCPRIM_400000_NS6detail17trampoline_kernelINS0_14default_configENS1_25partition_config_selectorILNS1_17partition_subalgoE0EiNS0_10empty_typeEbEEZZNS1_14partition_implILS5_0ELb0ES3_jN6thrust23THRUST_200600_302600_NS6detail15normal_iteratorINSA_10device_ptrIiEEEEPS6_SG_NS0_5tupleIJSF_NSA_16discard_iteratorINSA_11use_defaultEEEEEENSH_IJSG_SG_EEES6_PlJ7is_evenIiEEEE10hipError_tPvRmT3_T4_T5_T6_T7_T9_mT8_P12ihipStream_tbDpT10_ENKUlT_T0_E_clISt17integral_constantIbLb1EES18_IbLb0EEEEDaS14_S15_EUlS14_E_NS1_11comp_targetILNS1_3genE8ELNS1_11target_archE1030ELNS1_3gpuE2ELNS1_3repE0EEENS1_30default_config_static_selectorELNS0_4arch9wavefront6targetE1EEEvT1_,"axG",@progbits,_ZN7rocprim17ROCPRIM_400000_NS6detail17trampoline_kernelINS0_14default_configENS1_25partition_config_selectorILNS1_17partition_subalgoE0EiNS0_10empty_typeEbEEZZNS1_14partition_implILS5_0ELb0ES3_jN6thrust23THRUST_200600_302600_NS6detail15normal_iteratorINSA_10device_ptrIiEEEEPS6_SG_NS0_5tupleIJSF_NSA_16discard_iteratorINSA_11use_defaultEEEEEENSH_IJSG_SG_EEES6_PlJ7is_evenIiEEEE10hipError_tPvRmT3_T4_T5_T6_T7_T9_mT8_P12ihipStream_tbDpT10_ENKUlT_T0_E_clISt17integral_constantIbLb1EES18_IbLb0EEEEDaS14_S15_EUlS14_E_NS1_11comp_targetILNS1_3genE8ELNS1_11target_archE1030ELNS1_3gpuE2ELNS1_3repE0EEENS1_30default_config_static_selectorELNS0_4arch9wavefront6targetE1EEEvT1_,comdat
.Lfunc_end2738:
	.size	_ZN7rocprim17ROCPRIM_400000_NS6detail17trampoline_kernelINS0_14default_configENS1_25partition_config_selectorILNS1_17partition_subalgoE0EiNS0_10empty_typeEbEEZZNS1_14partition_implILS5_0ELb0ES3_jN6thrust23THRUST_200600_302600_NS6detail15normal_iteratorINSA_10device_ptrIiEEEEPS6_SG_NS0_5tupleIJSF_NSA_16discard_iteratorINSA_11use_defaultEEEEEENSH_IJSG_SG_EEES6_PlJ7is_evenIiEEEE10hipError_tPvRmT3_T4_T5_T6_T7_T9_mT8_P12ihipStream_tbDpT10_ENKUlT_T0_E_clISt17integral_constantIbLb1EES18_IbLb0EEEEDaS14_S15_EUlS14_E_NS1_11comp_targetILNS1_3genE8ELNS1_11target_archE1030ELNS1_3gpuE2ELNS1_3repE0EEENS1_30default_config_static_selectorELNS0_4arch9wavefront6targetE1EEEvT1_, .Lfunc_end2738-_ZN7rocprim17ROCPRIM_400000_NS6detail17trampoline_kernelINS0_14default_configENS1_25partition_config_selectorILNS1_17partition_subalgoE0EiNS0_10empty_typeEbEEZZNS1_14partition_implILS5_0ELb0ES3_jN6thrust23THRUST_200600_302600_NS6detail15normal_iteratorINSA_10device_ptrIiEEEEPS6_SG_NS0_5tupleIJSF_NSA_16discard_iteratorINSA_11use_defaultEEEEEENSH_IJSG_SG_EEES6_PlJ7is_evenIiEEEE10hipError_tPvRmT3_T4_T5_T6_T7_T9_mT8_P12ihipStream_tbDpT10_ENKUlT_T0_E_clISt17integral_constantIbLb1EES18_IbLb0EEEEDaS14_S15_EUlS14_E_NS1_11comp_targetILNS1_3genE8ELNS1_11target_archE1030ELNS1_3gpuE2ELNS1_3repE0EEENS1_30default_config_static_selectorELNS0_4arch9wavefront6targetE1EEEvT1_
                                        ; -- End function
	.section	.AMDGPU.csdata,"",@progbits
; Kernel info:
; codeLenInByte = 0
; NumSgprs: 4
; NumVgprs: 0
; NumAgprs: 0
; TotalNumVgprs: 0
; ScratchSize: 0
; MemoryBound: 0
; FloatMode: 240
; IeeeMode: 1
; LDSByteSize: 0 bytes/workgroup (compile time only)
; SGPRBlocks: 0
; VGPRBlocks: 0
; NumSGPRsForWavesPerEU: 4
; NumVGPRsForWavesPerEU: 1
; AccumOffset: 4
; Occupancy: 8
; WaveLimiterHint : 0
; COMPUTE_PGM_RSRC2:SCRATCH_EN: 0
; COMPUTE_PGM_RSRC2:USER_SGPR: 6
; COMPUTE_PGM_RSRC2:TRAP_HANDLER: 0
; COMPUTE_PGM_RSRC2:TGID_X_EN: 1
; COMPUTE_PGM_RSRC2:TGID_Y_EN: 0
; COMPUTE_PGM_RSRC2:TGID_Z_EN: 0
; COMPUTE_PGM_RSRC2:TIDIG_COMP_CNT: 0
; COMPUTE_PGM_RSRC3_GFX90A:ACCUM_OFFSET: 0
; COMPUTE_PGM_RSRC3_GFX90A:TG_SPLIT: 0
	.section	.text._ZN7rocprim17ROCPRIM_400000_NS6detail17trampoline_kernelINS0_14default_configENS1_25partition_config_selectorILNS1_17partition_subalgoE0EiNS0_10empty_typeEbEEZZNS1_14partition_implILS5_0ELb0ES3_jN6thrust23THRUST_200600_302600_NS6detail15normal_iteratorINSA_10device_ptrIiEEEEPS6_SG_NS0_5tupleIJSF_NSA_16discard_iteratorINSA_11use_defaultEEEEEENSH_IJSG_SG_EEES6_PlJ7is_evenIiEEEE10hipError_tPvRmT3_T4_T5_T6_T7_T9_mT8_P12ihipStream_tbDpT10_ENKUlT_T0_E_clISt17integral_constantIbLb0EES18_IbLb1EEEEDaS14_S15_EUlS14_E_NS1_11comp_targetILNS1_3genE0ELNS1_11target_archE4294967295ELNS1_3gpuE0ELNS1_3repE0EEENS1_30default_config_static_selectorELNS0_4arch9wavefront6targetE1EEEvT1_,"axG",@progbits,_ZN7rocprim17ROCPRIM_400000_NS6detail17trampoline_kernelINS0_14default_configENS1_25partition_config_selectorILNS1_17partition_subalgoE0EiNS0_10empty_typeEbEEZZNS1_14partition_implILS5_0ELb0ES3_jN6thrust23THRUST_200600_302600_NS6detail15normal_iteratorINSA_10device_ptrIiEEEEPS6_SG_NS0_5tupleIJSF_NSA_16discard_iteratorINSA_11use_defaultEEEEEENSH_IJSG_SG_EEES6_PlJ7is_evenIiEEEE10hipError_tPvRmT3_T4_T5_T6_T7_T9_mT8_P12ihipStream_tbDpT10_ENKUlT_T0_E_clISt17integral_constantIbLb0EES18_IbLb1EEEEDaS14_S15_EUlS14_E_NS1_11comp_targetILNS1_3genE0ELNS1_11target_archE4294967295ELNS1_3gpuE0ELNS1_3repE0EEENS1_30default_config_static_selectorELNS0_4arch9wavefront6targetE1EEEvT1_,comdat
	.protected	_ZN7rocprim17ROCPRIM_400000_NS6detail17trampoline_kernelINS0_14default_configENS1_25partition_config_selectorILNS1_17partition_subalgoE0EiNS0_10empty_typeEbEEZZNS1_14partition_implILS5_0ELb0ES3_jN6thrust23THRUST_200600_302600_NS6detail15normal_iteratorINSA_10device_ptrIiEEEEPS6_SG_NS0_5tupleIJSF_NSA_16discard_iteratorINSA_11use_defaultEEEEEENSH_IJSG_SG_EEES6_PlJ7is_evenIiEEEE10hipError_tPvRmT3_T4_T5_T6_T7_T9_mT8_P12ihipStream_tbDpT10_ENKUlT_T0_E_clISt17integral_constantIbLb0EES18_IbLb1EEEEDaS14_S15_EUlS14_E_NS1_11comp_targetILNS1_3genE0ELNS1_11target_archE4294967295ELNS1_3gpuE0ELNS1_3repE0EEENS1_30default_config_static_selectorELNS0_4arch9wavefront6targetE1EEEvT1_ ; -- Begin function _ZN7rocprim17ROCPRIM_400000_NS6detail17trampoline_kernelINS0_14default_configENS1_25partition_config_selectorILNS1_17partition_subalgoE0EiNS0_10empty_typeEbEEZZNS1_14partition_implILS5_0ELb0ES3_jN6thrust23THRUST_200600_302600_NS6detail15normal_iteratorINSA_10device_ptrIiEEEEPS6_SG_NS0_5tupleIJSF_NSA_16discard_iteratorINSA_11use_defaultEEEEEENSH_IJSG_SG_EEES6_PlJ7is_evenIiEEEE10hipError_tPvRmT3_T4_T5_T6_T7_T9_mT8_P12ihipStream_tbDpT10_ENKUlT_T0_E_clISt17integral_constantIbLb0EES18_IbLb1EEEEDaS14_S15_EUlS14_E_NS1_11comp_targetILNS1_3genE0ELNS1_11target_archE4294967295ELNS1_3gpuE0ELNS1_3repE0EEENS1_30default_config_static_selectorELNS0_4arch9wavefront6targetE1EEEvT1_
	.globl	_ZN7rocprim17ROCPRIM_400000_NS6detail17trampoline_kernelINS0_14default_configENS1_25partition_config_selectorILNS1_17partition_subalgoE0EiNS0_10empty_typeEbEEZZNS1_14partition_implILS5_0ELb0ES3_jN6thrust23THRUST_200600_302600_NS6detail15normal_iteratorINSA_10device_ptrIiEEEEPS6_SG_NS0_5tupleIJSF_NSA_16discard_iteratorINSA_11use_defaultEEEEEENSH_IJSG_SG_EEES6_PlJ7is_evenIiEEEE10hipError_tPvRmT3_T4_T5_T6_T7_T9_mT8_P12ihipStream_tbDpT10_ENKUlT_T0_E_clISt17integral_constantIbLb0EES18_IbLb1EEEEDaS14_S15_EUlS14_E_NS1_11comp_targetILNS1_3genE0ELNS1_11target_archE4294967295ELNS1_3gpuE0ELNS1_3repE0EEENS1_30default_config_static_selectorELNS0_4arch9wavefront6targetE1EEEvT1_
	.p2align	8
	.type	_ZN7rocprim17ROCPRIM_400000_NS6detail17trampoline_kernelINS0_14default_configENS1_25partition_config_selectorILNS1_17partition_subalgoE0EiNS0_10empty_typeEbEEZZNS1_14partition_implILS5_0ELb0ES3_jN6thrust23THRUST_200600_302600_NS6detail15normal_iteratorINSA_10device_ptrIiEEEEPS6_SG_NS0_5tupleIJSF_NSA_16discard_iteratorINSA_11use_defaultEEEEEENSH_IJSG_SG_EEES6_PlJ7is_evenIiEEEE10hipError_tPvRmT3_T4_T5_T6_T7_T9_mT8_P12ihipStream_tbDpT10_ENKUlT_T0_E_clISt17integral_constantIbLb0EES18_IbLb1EEEEDaS14_S15_EUlS14_E_NS1_11comp_targetILNS1_3genE0ELNS1_11target_archE4294967295ELNS1_3gpuE0ELNS1_3repE0EEENS1_30default_config_static_selectorELNS0_4arch9wavefront6targetE1EEEvT1_,@function
_ZN7rocprim17ROCPRIM_400000_NS6detail17trampoline_kernelINS0_14default_configENS1_25partition_config_selectorILNS1_17partition_subalgoE0EiNS0_10empty_typeEbEEZZNS1_14partition_implILS5_0ELb0ES3_jN6thrust23THRUST_200600_302600_NS6detail15normal_iteratorINSA_10device_ptrIiEEEEPS6_SG_NS0_5tupleIJSF_NSA_16discard_iteratorINSA_11use_defaultEEEEEENSH_IJSG_SG_EEES6_PlJ7is_evenIiEEEE10hipError_tPvRmT3_T4_T5_T6_T7_T9_mT8_P12ihipStream_tbDpT10_ENKUlT_T0_E_clISt17integral_constantIbLb0EES18_IbLb1EEEEDaS14_S15_EUlS14_E_NS1_11comp_targetILNS1_3genE0ELNS1_11target_archE4294967295ELNS1_3gpuE0ELNS1_3repE0EEENS1_30default_config_static_selectorELNS0_4arch9wavefront6targetE1EEEvT1_: ; @_ZN7rocprim17ROCPRIM_400000_NS6detail17trampoline_kernelINS0_14default_configENS1_25partition_config_selectorILNS1_17partition_subalgoE0EiNS0_10empty_typeEbEEZZNS1_14partition_implILS5_0ELb0ES3_jN6thrust23THRUST_200600_302600_NS6detail15normal_iteratorINSA_10device_ptrIiEEEEPS6_SG_NS0_5tupleIJSF_NSA_16discard_iteratorINSA_11use_defaultEEEEEENSH_IJSG_SG_EEES6_PlJ7is_evenIiEEEE10hipError_tPvRmT3_T4_T5_T6_T7_T9_mT8_P12ihipStream_tbDpT10_ENKUlT_T0_E_clISt17integral_constantIbLb0EES18_IbLb1EEEEDaS14_S15_EUlS14_E_NS1_11comp_targetILNS1_3genE0ELNS1_11target_archE4294967295ELNS1_3gpuE0ELNS1_3repE0EEENS1_30default_config_static_selectorELNS0_4arch9wavefront6targetE1EEEvT1_
; %bb.0:
	.section	.rodata,"a",@progbits
	.p2align	6, 0x0
	.amdhsa_kernel _ZN7rocprim17ROCPRIM_400000_NS6detail17trampoline_kernelINS0_14default_configENS1_25partition_config_selectorILNS1_17partition_subalgoE0EiNS0_10empty_typeEbEEZZNS1_14partition_implILS5_0ELb0ES3_jN6thrust23THRUST_200600_302600_NS6detail15normal_iteratorINSA_10device_ptrIiEEEEPS6_SG_NS0_5tupleIJSF_NSA_16discard_iteratorINSA_11use_defaultEEEEEENSH_IJSG_SG_EEES6_PlJ7is_evenIiEEEE10hipError_tPvRmT3_T4_T5_T6_T7_T9_mT8_P12ihipStream_tbDpT10_ENKUlT_T0_E_clISt17integral_constantIbLb0EES18_IbLb1EEEEDaS14_S15_EUlS14_E_NS1_11comp_targetILNS1_3genE0ELNS1_11target_archE4294967295ELNS1_3gpuE0ELNS1_3repE0EEENS1_30default_config_static_selectorELNS0_4arch9wavefront6targetE1EEEvT1_
		.amdhsa_group_segment_fixed_size 0
		.amdhsa_private_segment_fixed_size 0
		.amdhsa_kernarg_size 144
		.amdhsa_user_sgpr_count 6
		.amdhsa_user_sgpr_private_segment_buffer 1
		.amdhsa_user_sgpr_dispatch_ptr 0
		.amdhsa_user_sgpr_queue_ptr 0
		.amdhsa_user_sgpr_kernarg_segment_ptr 1
		.amdhsa_user_sgpr_dispatch_id 0
		.amdhsa_user_sgpr_flat_scratch_init 0
		.amdhsa_user_sgpr_kernarg_preload_length 0
		.amdhsa_user_sgpr_kernarg_preload_offset 0
		.amdhsa_user_sgpr_private_segment_size 0
		.amdhsa_uses_dynamic_stack 0
		.amdhsa_system_sgpr_private_segment_wavefront_offset 0
		.amdhsa_system_sgpr_workgroup_id_x 1
		.amdhsa_system_sgpr_workgroup_id_y 0
		.amdhsa_system_sgpr_workgroup_id_z 0
		.amdhsa_system_sgpr_workgroup_info 0
		.amdhsa_system_vgpr_workitem_id 0
		.amdhsa_next_free_vgpr 1
		.amdhsa_next_free_sgpr 0
		.amdhsa_accum_offset 4
		.amdhsa_reserve_vcc 0
		.amdhsa_reserve_flat_scratch 0
		.amdhsa_float_round_mode_32 0
		.amdhsa_float_round_mode_16_64 0
		.amdhsa_float_denorm_mode_32 3
		.amdhsa_float_denorm_mode_16_64 3
		.amdhsa_dx10_clamp 1
		.amdhsa_ieee_mode 1
		.amdhsa_fp16_overflow 0
		.amdhsa_tg_split 0
		.amdhsa_exception_fp_ieee_invalid_op 0
		.amdhsa_exception_fp_denorm_src 0
		.amdhsa_exception_fp_ieee_div_zero 0
		.amdhsa_exception_fp_ieee_overflow 0
		.amdhsa_exception_fp_ieee_underflow 0
		.amdhsa_exception_fp_ieee_inexact 0
		.amdhsa_exception_int_div_zero 0
	.end_amdhsa_kernel
	.section	.text._ZN7rocprim17ROCPRIM_400000_NS6detail17trampoline_kernelINS0_14default_configENS1_25partition_config_selectorILNS1_17partition_subalgoE0EiNS0_10empty_typeEbEEZZNS1_14partition_implILS5_0ELb0ES3_jN6thrust23THRUST_200600_302600_NS6detail15normal_iteratorINSA_10device_ptrIiEEEEPS6_SG_NS0_5tupleIJSF_NSA_16discard_iteratorINSA_11use_defaultEEEEEENSH_IJSG_SG_EEES6_PlJ7is_evenIiEEEE10hipError_tPvRmT3_T4_T5_T6_T7_T9_mT8_P12ihipStream_tbDpT10_ENKUlT_T0_E_clISt17integral_constantIbLb0EES18_IbLb1EEEEDaS14_S15_EUlS14_E_NS1_11comp_targetILNS1_3genE0ELNS1_11target_archE4294967295ELNS1_3gpuE0ELNS1_3repE0EEENS1_30default_config_static_selectorELNS0_4arch9wavefront6targetE1EEEvT1_,"axG",@progbits,_ZN7rocprim17ROCPRIM_400000_NS6detail17trampoline_kernelINS0_14default_configENS1_25partition_config_selectorILNS1_17partition_subalgoE0EiNS0_10empty_typeEbEEZZNS1_14partition_implILS5_0ELb0ES3_jN6thrust23THRUST_200600_302600_NS6detail15normal_iteratorINSA_10device_ptrIiEEEEPS6_SG_NS0_5tupleIJSF_NSA_16discard_iteratorINSA_11use_defaultEEEEEENSH_IJSG_SG_EEES6_PlJ7is_evenIiEEEE10hipError_tPvRmT3_T4_T5_T6_T7_T9_mT8_P12ihipStream_tbDpT10_ENKUlT_T0_E_clISt17integral_constantIbLb0EES18_IbLb1EEEEDaS14_S15_EUlS14_E_NS1_11comp_targetILNS1_3genE0ELNS1_11target_archE4294967295ELNS1_3gpuE0ELNS1_3repE0EEENS1_30default_config_static_selectorELNS0_4arch9wavefront6targetE1EEEvT1_,comdat
.Lfunc_end2739:
	.size	_ZN7rocprim17ROCPRIM_400000_NS6detail17trampoline_kernelINS0_14default_configENS1_25partition_config_selectorILNS1_17partition_subalgoE0EiNS0_10empty_typeEbEEZZNS1_14partition_implILS5_0ELb0ES3_jN6thrust23THRUST_200600_302600_NS6detail15normal_iteratorINSA_10device_ptrIiEEEEPS6_SG_NS0_5tupleIJSF_NSA_16discard_iteratorINSA_11use_defaultEEEEEENSH_IJSG_SG_EEES6_PlJ7is_evenIiEEEE10hipError_tPvRmT3_T4_T5_T6_T7_T9_mT8_P12ihipStream_tbDpT10_ENKUlT_T0_E_clISt17integral_constantIbLb0EES18_IbLb1EEEEDaS14_S15_EUlS14_E_NS1_11comp_targetILNS1_3genE0ELNS1_11target_archE4294967295ELNS1_3gpuE0ELNS1_3repE0EEENS1_30default_config_static_selectorELNS0_4arch9wavefront6targetE1EEEvT1_, .Lfunc_end2739-_ZN7rocprim17ROCPRIM_400000_NS6detail17trampoline_kernelINS0_14default_configENS1_25partition_config_selectorILNS1_17partition_subalgoE0EiNS0_10empty_typeEbEEZZNS1_14partition_implILS5_0ELb0ES3_jN6thrust23THRUST_200600_302600_NS6detail15normal_iteratorINSA_10device_ptrIiEEEEPS6_SG_NS0_5tupleIJSF_NSA_16discard_iteratorINSA_11use_defaultEEEEEENSH_IJSG_SG_EEES6_PlJ7is_evenIiEEEE10hipError_tPvRmT3_T4_T5_T6_T7_T9_mT8_P12ihipStream_tbDpT10_ENKUlT_T0_E_clISt17integral_constantIbLb0EES18_IbLb1EEEEDaS14_S15_EUlS14_E_NS1_11comp_targetILNS1_3genE0ELNS1_11target_archE4294967295ELNS1_3gpuE0ELNS1_3repE0EEENS1_30default_config_static_selectorELNS0_4arch9wavefront6targetE1EEEvT1_
                                        ; -- End function
	.section	.AMDGPU.csdata,"",@progbits
; Kernel info:
; codeLenInByte = 0
; NumSgprs: 4
; NumVgprs: 0
; NumAgprs: 0
; TotalNumVgprs: 0
; ScratchSize: 0
; MemoryBound: 0
; FloatMode: 240
; IeeeMode: 1
; LDSByteSize: 0 bytes/workgroup (compile time only)
; SGPRBlocks: 0
; VGPRBlocks: 0
; NumSGPRsForWavesPerEU: 4
; NumVGPRsForWavesPerEU: 1
; AccumOffset: 4
; Occupancy: 8
; WaveLimiterHint : 0
; COMPUTE_PGM_RSRC2:SCRATCH_EN: 0
; COMPUTE_PGM_RSRC2:USER_SGPR: 6
; COMPUTE_PGM_RSRC2:TRAP_HANDLER: 0
; COMPUTE_PGM_RSRC2:TGID_X_EN: 1
; COMPUTE_PGM_RSRC2:TGID_Y_EN: 0
; COMPUTE_PGM_RSRC2:TGID_Z_EN: 0
; COMPUTE_PGM_RSRC2:TIDIG_COMP_CNT: 0
; COMPUTE_PGM_RSRC3_GFX90A:ACCUM_OFFSET: 0
; COMPUTE_PGM_RSRC3_GFX90A:TG_SPLIT: 0
	.section	.text._ZN7rocprim17ROCPRIM_400000_NS6detail17trampoline_kernelINS0_14default_configENS1_25partition_config_selectorILNS1_17partition_subalgoE0EiNS0_10empty_typeEbEEZZNS1_14partition_implILS5_0ELb0ES3_jN6thrust23THRUST_200600_302600_NS6detail15normal_iteratorINSA_10device_ptrIiEEEEPS6_SG_NS0_5tupleIJSF_NSA_16discard_iteratorINSA_11use_defaultEEEEEENSH_IJSG_SG_EEES6_PlJ7is_evenIiEEEE10hipError_tPvRmT3_T4_T5_T6_T7_T9_mT8_P12ihipStream_tbDpT10_ENKUlT_T0_E_clISt17integral_constantIbLb0EES18_IbLb1EEEEDaS14_S15_EUlS14_E_NS1_11comp_targetILNS1_3genE5ELNS1_11target_archE942ELNS1_3gpuE9ELNS1_3repE0EEENS1_30default_config_static_selectorELNS0_4arch9wavefront6targetE1EEEvT1_,"axG",@progbits,_ZN7rocprim17ROCPRIM_400000_NS6detail17trampoline_kernelINS0_14default_configENS1_25partition_config_selectorILNS1_17partition_subalgoE0EiNS0_10empty_typeEbEEZZNS1_14partition_implILS5_0ELb0ES3_jN6thrust23THRUST_200600_302600_NS6detail15normal_iteratorINSA_10device_ptrIiEEEEPS6_SG_NS0_5tupleIJSF_NSA_16discard_iteratorINSA_11use_defaultEEEEEENSH_IJSG_SG_EEES6_PlJ7is_evenIiEEEE10hipError_tPvRmT3_T4_T5_T6_T7_T9_mT8_P12ihipStream_tbDpT10_ENKUlT_T0_E_clISt17integral_constantIbLb0EES18_IbLb1EEEEDaS14_S15_EUlS14_E_NS1_11comp_targetILNS1_3genE5ELNS1_11target_archE942ELNS1_3gpuE9ELNS1_3repE0EEENS1_30default_config_static_selectorELNS0_4arch9wavefront6targetE1EEEvT1_,comdat
	.protected	_ZN7rocprim17ROCPRIM_400000_NS6detail17trampoline_kernelINS0_14default_configENS1_25partition_config_selectorILNS1_17partition_subalgoE0EiNS0_10empty_typeEbEEZZNS1_14partition_implILS5_0ELb0ES3_jN6thrust23THRUST_200600_302600_NS6detail15normal_iteratorINSA_10device_ptrIiEEEEPS6_SG_NS0_5tupleIJSF_NSA_16discard_iteratorINSA_11use_defaultEEEEEENSH_IJSG_SG_EEES6_PlJ7is_evenIiEEEE10hipError_tPvRmT3_T4_T5_T6_T7_T9_mT8_P12ihipStream_tbDpT10_ENKUlT_T0_E_clISt17integral_constantIbLb0EES18_IbLb1EEEEDaS14_S15_EUlS14_E_NS1_11comp_targetILNS1_3genE5ELNS1_11target_archE942ELNS1_3gpuE9ELNS1_3repE0EEENS1_30default_config_static_selectorELNS0_4arch9wavefront6targetE1EEEvT1_ ; -- Begin function _ZN7rocprim17ROCPRIM_400000_NS6detail17trampoline_kernelINS0_14default_configENS1_25partition_config_selectorILNS1_17partition_subalgoE0EiNS0_10empty_typeEbEEZZNS1_14partition_implILS5_0ELb0ES3_jN6thrust23THRUST_200600_302600_NS6detail15normal_iteratorINSA_10device_ptrIiEEEEPS6_SG_NS0_5tupleIJSF_NSA_16discard_iteratorINSA_11use_defaultEEEEEENSH_IJSG_SG_EEES6_PlJ7is_evenIiEEEE10hipError_tPvRmT3_T4_T5_T6_T7_T9_mT8_P12ihipStream_tbDpT10_ENKUlT_T0_E_clISt17integral_constantIbLb0EES18_IbLb1EEEEDaS14_S15_EUlS14_E_NS1_11comp_targetILNS1_3genE5ELNS1_11target_archE942ELNS1_3gpuE9ELNS1_3repE0EEENS1_30default_config_static_selectorELNS0_4arch9wavefront6targetE1EEEvT1_
	.globl	_ZN7rocprim17ROCPRIM_400000_NS6detail17trampoline_kernelINS0_14default_configENS1_25partition_config_selectorILNS1_17partition_subalgoE0EiNS0_10empty_typeEbEEZZNS1_14partition_implILS5_0ELb0ES3_jN6thrust23THRUST_200600_302600_NS6detail15normal_iteratorINSA_10device_ptrIiEEEEPS6_SG_NS0_5tupleIJSF_NSA_16discard_iteratorINSA_11use_defaultEEEEEENSH_IJSG_SG_EEES6_PlJ7is_evenIiEEEE10hipError_tPvRmT3_T4_T5_T6_T7_T9_mT8_P12ihipStream_tbDpT10_ENKUlT_T0_E_clISt17integral_constantIbLb0EES18_IbLb1EEEEDaS14_S15_EUlS14_E_NS1_11comp_targetILNS1_3genE5ELNS1_11target_archE942ELNS1_3gpuE9ELNS1_3repE0EEENS1_30default_config_static_selectorELNS0_4arch9wavefront6targetE1EEEvT1_
	.p2align	8
	.type	_ZN7rocprim17ROCPRIM_400000_NS6detail17trampoline_kernelINS0_14default_configENS1_25partition_config_selectorILNS1_17partition_subalgoE0EiNS0_10empty_typeEbEEZZNS1_14partition_implILS5_0ELb0ES3_jN6thrust23THRUST_200600_302600_NS6detail15normal_iteratorINSA_10device_ptrIiEEEEPS6_SG_NS0_5tupleIJSF_NSA_16discard_iteratorINSA_11use_defaultEEEEEENSH_IJSG_SG_EEES6_PlJ7is_evenIiEEEE10hipError_tPvRmT3_T4_T5_T6_T7_T9_mT8_P12ihipStream_tbDpT10_ENKUlT_T0_E_clISt17integral_constantIbLb0EES18_IbLb1EEEEDaS14_S15_EUlS14_E_NS1_11comp_targetILNS1_3genE5ELNS1_11target_archE942ELNS1_3gpuE9ELNS1_3repE0EEENS1_30default_config_static_selectorELNS0_4arch9wavefront6targetE1EEEvT1_,@function
_ZN7rocprim17ROCPRIM_400000_NS6detail17trampoline_kernelINS0_14default_configENS1_25partition_config_selectorILNS1_17partition_subalgoE0EiNS0_10empty_typeEbEEZZNS1_14partition_implILS5_0ELb0ES3_jN6thrust23THRUST_200600_302600_NS6detail15normal_iteratorINSA_10device_ptrIiEEEEPS6_SG_NS0_5tupleIJSF_NSA_16discard_iteratorINSA_11use_defaultEEEEEENSH_IJSG_SG_EEES6_PlJ7is_evenIiEEEE10hipError_tPvRmT3_T4_T5_T6_T7_T9_mT8_P12ihipStream_tbDpT10_ENKUlT_T0_E_clISt17integral_constantIbLb0EES18_IbLb1EEEEDaS14_S15_EUlS14_E_NS1_11comp_targetILNS1_3genE5ELNS1_11target_archE942ELNS1_3gpuE9ELNS1_3repE0EEENS1_30default_config_static_selectorELNS0_4arch9wavefront6targetE1EEEvT1_: ; @_ZN7rocprim17ROCPRIM_400000_NS6detail17trampoline_kernelINS0_14default_configENS1_25partition_config_selectorILNS1_17partition_subalgoE0EiNS0_10empty_typeEbEEZZNS1_14partition_implILS5_0ELb0ES3_jN6thrust23THRUST_200600_302600_NS6detail15normal_iteratorINSA_10device_ptrIiEEEEPS6_SG_NS0_5tupleIJSF_NSA_16discard_iteratorINSA_11use_defaultEEEEEENSH_IJSG_SG_EEES6_PlJ7is_evenIiEEEE10hipError_tPvRmT3_T4_T5_T6_T7_T9_mT8_P12ihipStream_tbDpT10_ENKUlT_T0_E_clISt17integral_constantIbLb0EES18_IbLb1EEEEDaS14_S15_EUlS14_E_NS1_11comp_targetILNS1_3genE5ELNS1_11target_archE942ELNS1_3gpuE9ELNS1_3repE0EEENS1_30default_config_static_selectorELNS0_4arch9wavefront6targetE1EEEvT1_
; %bb.0:
	.section	.rodata,"a",@progbits
	.p2align	6, 0x0
	.amdhsa_kernel _ZN7rocprim17ROCPRIM_400000_NS6detail17trampoline_kernelINS0_14default_configENS1_25partition_config_selectorILNS1_17partition_subalgoE0EiNS0_10empty_typeEbEEZZNS1_14partition_implILS5_0ELb0ES3_jN6thrust23THRUST_200600_302600_NS6detail15normal_iteratorINSA_10device_ptrIiEEEEPS6_SG_NS0_5tupleIJSF_NSA_16discard_iteratorINSA_11use_defaultEEEEEENSH_IJSG_SG_EEES6_PlJ7is_evenIiEEEE10hipError_tPvRmT3_T4_T5_T6_T7_T9_mT8_P12ihipStream_tbDpT10_ENKUlT_T0_E_clISt17integral_constantIbLb0EES18_IbLb1EEEEDaS14_S15_EUlS14_E_NS1_11comp_targetILNS1_3genE5ELNS1_11target_archE942ELNS1_3gpuE9ELNS1_3repE0EEENS1_30default_config_static_selectorELNS0_4arch9wavefront6targetE1EEEvT1_
		.amdhsa_group_segment_fixed_size 0
		.amdhsa_private_segment_fixed_size 0
		.amdhsa_kernarg_size 144
		.amdhsa_user_sgpr_count 6
		.amdhsa_user_sgpr_private_segment_buffer 1
		.amdhsa_user_sgpr_dispatch_ptr 0
		.amdhsa_user_sgpr_queue_ptr 0
		.amdhsa_user_sgpr_kernarg_segment_ptr 1
		.amdhsa_user_sgpr_dispatch_id 0
		.amdhsa_user_sgpr_flat_scratch_init 0
		.amdhsa_user_sgpr_kernarg_preload_length 0
		.amdhsa_user_sgpr_kernarg_preload_offset 0
		.amdhsa_user_sgpr_private_segment_size 0
		.amdhsa_uses_dynamic_stack 0
		.amdhsa_system_sgpr_private_segment_wavefront_offset 0
		.amdhsa_system_sgpr_workgroup_id_x 1
		.amdhsa_system_sgpr_workgroup_id_y 0
		.amdhsa_system_sgpr_workgroup_id_z 0
		.amdhsa_system_sgpr_workgroup_info 0
		.amdhsa_system_vgpr_workitem_id 0
		.amdhsa_next_free_vgpr 1
		.amdhsa_next_free_sgpr 0
		.amdhsa_accum_offset 4
		.amdhsa_reserve_vcc 0
		.amdhsa_reserve_flat_scratch 0
		.amdhsa_float_round_mode_32 0
		.amdhsa_float_round_mode_16_64 0
		.amdhsa_float_denorm_mode_32 3
		.amdhsa_float_denorm_mode_16_64 3
		.amdhsa_dx10_clamp 1
		.amdhsa_ieee_mode 1
		.amdhsa_fp16_overflow 0
		.amdhsa_tg_split 0
		.amdhsa_exception_fp_ieee_invalid_op 0
		.amdhsa_exception_fp_denorm_src 0
		.amdhsa_exception_fp_ieee_div_zero 0
		.amdhsa_exception_fp_ieee_overflow 0
		.amdhsa_exception_fp_ieee_underflow 0
		.amdhsa_exception_fp_ieee_inexact 0
		.amdhsa_exception_int_div_zero 0
	.end_amdhsa_kernel
	.section	.text._ZN7rocprim17ROCPRIM_400000_NS6detail17trampoline_kernelINS0_14default_configENS1_25partition_config_selectorILNS1_17partition_subalgoE0EiNS0_10empty_typeEbEEZZNS1_14partition_implILS5_0ELb0ES3_jN6thrust23THRUST_200600_302600_NS6detail15normal_iteratorINSA_10device_ptrIiEEEEPS6_SG_NS0_5tupleIJSF_NSA_16discard_iteratorINSA_11use_defaultEEEEEENSH_IJSG_SG_EEES6_PlJ7is_evenIiEEEE10hipError_tPvRmT3_T4_T5_T6_T7_T9_mT8_P12ihipStream_tbDpT10_ENKUlT_T0_E_clISt17integral_constantIbLb0EES18_IbLb1EEEEDaS14_S15_EUlS14_E_NS1_11comp_targetILNS1_3genE5ELNS1_11target_archE942ELNS1_3gpuE9ELNS1_3repE0EEENS1_30default_config_static_selectorELNS0_4arch9wavefront6targetE1EEEvT1_,"axG",@progbits,_ZN7rocprim17ROCPRIM_400000_NS6detail17trampoline_kernelINS0_14default_configENS1_25partition_config_selectorILNS1_17partition_subalgoE0EiNS0_10empty_typeEbEEZZNS1_14partition_implILS5_0ELb0ES3_jN6thrust23THRUST_200600_302600_NS6detail15normal_iteratorINSA_10device_ptrIiEEEEPS6_SG_NS0_5tupleIJSF_NSA_16discard_iteratorINSA_11use_defaultEEEEEENSH_IJSG_SG_EEES6_PlJ7is_evenIiEEEE10hipError_tPvRmT3_T4_T5_T6_T7_T9_mT8_P12ihipStream_tbDpT10_ENKUlT_T0_E_clISt17integral_constantIbLb0EES18_IbLb1EEEEDaS14_S15_EUlS14_E_NS1_11comp_targetILNS1_3genE5ELNS1_11target_archE942ELNS1_3gpuE9ELNS1_3repE0EEENS1_30default_config_static_selectorELNS0_4arch9wavefront6targetE1EEEvT1_,comdat
.Lfunc_end2740:
	.size	_ZN7rocprim17ROCPRIM_400000_NS6detail17trampoline_kernelINS0_14default_configENS1_25partition_config_selectorILNS1_17partition_subalgoE0EiNS0_10empty_typeEbEEZZNS1_14partition_implILS5_0ELb0ES3_jN6thrust23THRUST_200600_302600_NS6detail15normal_iteratorINSA_10device_ptrIiEEEEPS6_SG_NS0_5tupleIJSF_NSA_16discard_iteratorINSA_11use_defaultEEEEEENSH_IJSG_SG_EEES6_PlJ7is_evenIiEEEE10hipError_tPvRmT3_T4_T5_T6_T7_T9_mT8_P12ihipStream_tbDpT10_ENKUlT_T0_E_clISt17integral_constantIbLb0EES18_IbLb1EEEEDaS14_S15_EUlS14_E_NS1_11comp_targetILNS1_3genE5ELNS1_11target_archE942ELNS1_3gpuE9ELNS1_3repE0EEENS1_30default_config_static_selectorELNS0_4arch9wavefront6targetE1EEEvT1_, .Lfunc_end2740-_ZN7rocprim17ROCPRIM_400000_NS6detail17trampoline_kernelINS0_14default_configENS1_25partition_config_selectorILNS1_17partition_subalgoE0EiNS0_10empty_typeEbEEZZNS1_14partition_implILS5_0ELb0ES3_jN6thrust23THRUST_200600_302600_NS6detail15normal_iteratorINSA_10device_ptrIiEEEEPS6_SG_NS0_5tupleIJSF_NSA_16discard_iteratorINSA_11use_defaultEEEEEENSH_IJSG_SG_EEES6_PlJ7is_evenIiEEEE10hipError_tPvRmT3_T4_T5_T6_T7_T9_mT8_P12ihipStream_tbDpT10_ENKUlT_T0_E_clISt17integral_constantIbLb0EES18_IbLb1EEEEDaS14_S15_EUlS14_E_NS1_11comp_targetILNS1_3genE5ELNS1_11target_archE942ELNS1_3gpuE9ELNS1_3repE0EEENS1_30default_config_static_selectorELNS0_4arch9wavefront6targetE1EEEvT1_
                                        ; -- End function
	.section	.AMDGPU.csdata,"",@progbits
; Kernel info:
; codeLenInByte = 0
; NumSgprs: 4
; NumVgprs: 0
; NumAgprs: 0
; TotalNumVgprs: 0
; ScratchSize: 0
; MemoryBound: 0
; FloatMode: 240
; IeeeMode: 1
; LDSByteSize: 0 bytes/workgroup (compile time only)
; SGPRBlocks: 0
; VGPRBlocks: 0
; NumSGPRsForWavesPerEU: 4
; NumVGPRsForWavesPerEU: 1
; AccumOffset: 4
; Occupancy: 8
; WaveLimiterHint : 0
; COMPUTE_PGM_RSRC2:SCRATCH_EN: 0
; COMPUTE_PGM_RSRC2:USER_SGPR: 6
; COMPUTE_PGM_RSRC2:TRAP_HANDLER: 0
; COMPUTE_PGM_RSRC2:TGID_X_EN: 1
; COMPUTE_PGM_RSRC2:TGID_Y_EN: 0
; COMPUTE_PGM_RSRC2:TGID_Z_EN: 0
; COMPUTE_PGM_RSRC2:TIDIG_COMP_CNT: 0
; COMPUTE_PGM_RSRC3_GFX90A:ACCUM_OFFSET: 0
; COMPUTE_PGM_RSRC3_GFX90A:TG_SPLIT: 0
	.section	.text._ZN7rocprim17ROCPRIM_400000_NS6detail17trampoline_kernelINS0_14default_configENS1_25partition_config_selectorILNS1_17partition_subalgoE0EiNS0_10empty_typeEbEEZZNS1_14partition_implILS5_0ELb0ES3_jN6thrust23THRUST_200600_302600_NS6detail15normal_iteratorINSA_10device_ptrIiEEEEPS6_SG_NS0_5tupleIJSF_NSA_16discard_iteratorINSA_11use_defaultEEEEEENSH_IJSG_SG_EEES6_PlJ7is_evenIiEEEE10hipError_tPvRmT3_T4_T5_T6_T7_T9_mT8_P12ihipStream_tbDpT10_ENKUlT_T0_E_clISt17integral_constantIbLb0EES18_IbLb1EEEEDaS14_S15_EUlS14_E_NS1_11comp_targetILNS1_3genE4ELNS1_11target_archE910ELNS1_3gpuE8ELNS1_3repE0EEENS1_30default_config_static_selectorELNS0_4arch9wavefront6targetE1EEEvT1_,"axG",@progbits,_ZN7rocprim17ROCPRIM_400000_NS6detail17trampoline_kernelINS0_14default_configENS1_25partition_config_selectorILNS1_17partition_subalgoE0EiNS0_10empty_typeEbEEZZNS1_14partition_implILS5_0ELb0ES3_jN6thrust23THRUST_200600_302600_NS6detail15normal_iteratorINSA_10device_ptrIiEEEEPS6_SG_NS0_5tupleIJSF_NSA_16discard_iteratorINSA_11use_defaultEEEEEENSH_IJSG_SG_EEES6_PlJ7is_evenIiEEEE10hipError_tPvRmT3_T4_T5_T6_T7_T9_mT8_P12ihipStream_tbDpT10_ENKUlT_T0_E_clISt17integral_constantIbLb0EES18_IbLb1EEEEDaS14_S15_EUlS14_E_NS1_11comp_targetILNS1_3genE4ELNS1_11target_archE910ELNS1_3gpuE8ELNS1_3repE0EEENS1_30default_config_static_selectorELNS0_4arch9wavefront6targetE1EEEvT1_,comdat
	.protected	_ZN7rocprim17ROCPRIM_400000_NS6detail17trampoline_kernelINS0_14default_configENS1_25partition_config_selectorILNS1_17partition_subalgoE0EiNS0_10empty_typeEbEEZZNS1_14partition_implILS5_0ELb0ES3_jN6thrust23THRUST_200600_302600_NS6detail15normal_iteratorINSA_10device_ptrIiEEEEPS6_SG_NS0_5tupleIJSF_NSA_16discard_iteratorINSA_11use_defaultEEEEEENSH_IJSG_SG_EEES6_PlJ7is_evenIiEEEE10hipError_tPvRmT3_T4_T5_T6_T7_T9_mT8_P12ihipStream_tbDpT10_ENKUlT_T0_E_clISt17integral_constantIbLb0EES18_IbLb1EEEEDaS14_S15_EUlS14_E_NS1_11comp_targetILNS1_3genE4ELNS1_11target_archE910ELNS1_3gpuE8ELNS1_3repE0EEENS1_30default_config_static_selectorELNS0_4arch9wavefront6targetE1EEEvT1_ ; -- Begin function _ZN7rocprim17ROCPRIM_400000_NS6detail17trampoline_kernelINS0_14default_configENS1_25partition_config_selectorILNS1_17partition_subalgoE0EiNS0_10empty_typeEbEEZZNS1_14partition_implILS5_0ELb0ES3_jN6thrust23THRUST_200600_302600_NS6detail15normal_iteratorINSA_10device_ptrIiEEEEPS6_SG_NS0_5tupleIJSF_NSA_16discard_iteratorINSA_11use_defaultEEEEEENSH_IJSG_SG_EEES6_PlJ7is_evenIiEEEE10hipError_tPvRmT3_T4_T5_T6_T7_T9_mT8_P12ihipStream_tbDpT10_ENKUlT_T0_E_clISt17integral_constantIbLb0EES18_IbLb1EEEEDaS14_S15_EUlS14_E_NS1_11comp_targetILNS1_3genE4ELNS1_11target_archE910ELNS1_3gpuE8ELNS1_3repE0EEENS1_30default_config_static_selectorELNS0_4arch9wavefront6targetE1EEEvT1_
	.globl	_ZN7rocprim17ROCPRIM_400000_NS6detail17trampoline_kernelINS0_14default_configENS1_25partition_config_selectorILNS1_17partition_subalgoE0EiNS0_10empty_typeEbEEZZNS1_14partition_implILS5_0ELb0ES3_jN6thrust23THRUST_200600_302600_NS6detail15normal_iteratorINSA_10device_ptrIiEEEEPS6_SG_NS0_5tupleIJSF_NSA_16discard_iteratorINSA_11use_defaultEEEEEENSH_IJSG_SG_EEES6_PlJ7is_evenIiEEEE10hipError_tPvRmT3_T4_T5_T6_T7_T9_mT8_P12ihipStream_tbDpT10_ENKUlT_T0_E_clISt17integral_constantIbLb0EES18_IbLb1EEEEDaS14_S15_EUlS14_E_NS1_11comp_targetILNS1_3genE4ELNS1_11target_archE910ELNS1_3gpuE8ELNS1_3repE0EEENS1_30default_config_static_selectorELNS0_4arch9wavefront6targetE1EEEvT1_
	.p2align	8
	.type	_ZN7rocprim17ROCPRIM_400000_NS6detail17trampoline_kernelINS0_14default_configENS1_25partition_config_selectorILNS1_17partition_subalgoE0EiNS0_10empty_typeEbEEZZNS1_14partition_implILS5_0ELb0ES3_jN6thrust23THRUST_200600_302600_NS6detail15normal_iteratorINSA_10device_ptrIiEEEEPS6_SG_NS0_5tupleIJSF_NSA_16discard_iteratorINSA_11use_defaultEEEEEENSH_IJSG_SG_EEES6_PlJ7is_evenIiEEEE10hipError_tPvRmT3_T4_T5_T6_T7_T9_mT8_P12ihipStream_tbDpT10_ENKUlT_T0_E_clISt17integral_constantIbLb0EES18_IbLb1EEEEDaS14_S15_EUlS14_E_NS1_11comp_targetILNS1_3genE4ELNS1_11target_archE910ELNS1_3gpuE8ELNS1_3repE0EEENS1_30default_config_static_selectorELNS0_4arch9wavefront6targetE1EEEvT1_,@function
_ZN7rocprim17ROCPRIM_400000_NS6detail17trampoline_kernelINS0_14default_configENS1_25partition_config_selectorILNS1_17partition_subalgoE0EiNS0_10empty_typeEbEEZZNS1_14partition_implILS5_0ELb0ES3_jN6thrust23THRUST_200600_302600_NS6detail15normal_iteratorINSA_10device_ptrIiEEEEPS6_SG_NS0_5tupleIJSF_NSA_16discard_iteratorINSA_11use_defaultEEEEEENSH_IJSG_SG_EEES6_PlJ7is_evenIiEEEE10hipError_tPvRmT3_T4_T5_T6_T7_T9_mT8_P12ihipStream_tbDpT10_ENKUlT_T0_E_clISt17integral_constantIbLb0EES18_IbLb1EEEEDaS14_S15_EUlS14_E_NS1_11comp_targetILNS1_3genE4ELNS1_11target_archE910ELNS1_3gpuE8ELNS1_3repE0EEENS1_30default_config_static_selectorELNS0_4arch9wavefront6targetE1EEEvT1_: ; @_ZN7rocprim17ROCPRIM_400000_NS6detail17trampoline_kernelINS0_14default_configENS1_25partition_config_selectorILNS1_17partition_subalgoE0EiNS0_10empty_typeEbEEZZNS1_14partition_implILS5_0ELb0ES3_jN6thrust23THRUST_200600_302600_NS6detail15normal_iteratorINSA_10device_ptrIiEEEEPS6_SG_NS0_5tupleIJSF_NSA_16discard_iteratorINSA_11use_defaultEEEEEENSH_IJSG_SG_EEES6_PlJ7is_evenIiEEEE10hipError_tPvRmT3_T4_T5_T6_T7_T9_mT8_P12ihipStream_tbDpT10_ENKUlT_T0_E_clISt17integral_constantIbLb0EES18_IbLb1EEEEDaS14_S15_EUlS14_E_NS1_11comp_targetILNS1_3genE4ELNS1_11target_archE910ELNS1_3gpuE8ELNS1_3repE0EEENS1_30default_config_static_selectorELNS0_4arch9wavefront6targetE1EEEvT1_
; %bb.0:
	s_load_dwordx2 s[24:25], s[4:5], 0x28
	s_load_dwordx4 s[20:23], s[4:5], 0x50
	s_load_dwordx2 s[2:3], s[4:5], 0x60
	s_load_dwordx2 s[26:27], s[4:5], 0x70
	v_cmp_eq_u32_e64 s[0:1], 0, v0
	s_and_saveexec_b64 s[6:7], s[0:1]
	s_cbranch_execz .LBB2741_4
; %bb.1:
	s_mov_b64 s[10:11], exec
	v_mbcnt_lo_u32_b32 v1, s10, 0
	v_mbcnt_hi_u32_b32 v1, s11, v1
	v_cmp_eq_u32_e32 vcc, 0, v1
                                        ; implicit-def: $vgpr2
	s_and_saveexec_b64 s[8:9], vcc
	s_cbranch_execz .LBB2741_3
; %bb.2:
	s_load_dwordx2 s[12:13], s[4:5], 0x80
	s_bcnt1_i32_b64 s10, s[10:11]
	v_mov_b32_e32 v2, 0
	v_mov_b32_e32 v3, s10
	s_waitcnt lgkmcnt(0)
	global_atomic_add v2, v2, v3, s[12:13] glc
.LBB2741_3:
	s_or_b64 exec, exec, s[8:9]
	s_waitcnt vmcnt(0)
	v_readfirstlane_b32 s8, v2
	v_add_u32_e32 v1, s8, v1
	v_mov_b32_e32 v2, 0
	ds_write_b32 v2, v1
.LBB2741_4:
	s_or_b64 exec, exec, s[6:7]
	v_mov_b32_e32 v3, 0
	s_load_dwordx4 s[8:11], s[4:5], 0x8
	s_load_dword s6, s[4:5], 0x78
	s_waitcnt lgkmcnt(0)
	s_barrier
	ds_read_b32 v1, v3
	s_waitcnt lgkmcnt(0)
	s_barrier
	global_load_dwordx2 v[12:13], v3, s[22:23]
	v_mov_b32_e32 v5, s3
	s_lshl_b64 s[4:5], s[10:11], 2
	s_movk_i32 s3, 0xa00
	s_add_u32 s7, s8, s4
	v_mul_lo_u32 v2, v1, s3
	s_mul_i32 s3, s6, 0xa00
	s_addc_u32 s8, s9, s5
	s_add_i32 s5, s3, s10
	s_add_i32 s4, s6, -1
	s_sub_i32 s33, s2, s5
	v_mov_b32_e32 v4, s2
	s_add_u32 s2, s10, s3
	v_readfirstlane_b32 s36, v1
	s_addc_u32 s3, s11, 0
	s_cmp_eq_u32 s36, s4
	s_cselect_b64 s[22:23], -1, 0
	s_cmp_lg_u32 s36, s4
	v_cmp_lt_u64_e32 vcc, s[2:3], v[4:5]
	s_cselect_b64 s[2:3], -1, 0
	v_lshlrev_b64 v[2:3], 2, v[2:3]
	s_or_b64 s[4:5], vcc, s[2:3]
	v_mov_b32_e32 v1, s8
	v_add_co_u32_e32 v14, vcc, s7, v2
	v_addc_co_u32_e32 v15, vcc, v1, v3, vcc
	s_mov_b64 s[2:3], -1
	s_and_b64 vcc, exec, s[4:5]
	v_lshlrev_b32_e32 v1, 2, v0
	s_cbranch_vccz .LBB2741_6
; %bb.5:
	v_add_co_u32_e32 v2, vcc, v14, v1
	v_addc_co_u32_e32 v3, vcc, 0, v15, vcc
	v_add_co_u32_e32 v4, vcc, 0x1000, v2
	v_addc_co_u32_e32 v5, vcc, 0, v3, vcc
	flat_load_dword v6, v[2:3]
	flat_load_dword v7, v[2:3] offset:1024
	flat_load_dword v8, v[2:3] offset:2048
	;; [unrolled: 1-line block ×3, first 2 shown]
	flat_load_dword v10, v[4:5]
	flat_load_dword v11, v[4:5] offset:1024
	flat_load_dword v16, v[4:5] offset:2048
	;; [unrolled: 1-line block ×3, first 2 shown]
	v_add_co_u32_e32 v2, vcc, 0x2000, v2
	v_addc_co_u32_e32 v3, vcc, 0, v3, vcc
	flat_load_dword v4, v[2:3]
	flat_load_dword v5, v[2:3] offset:1024
	s_mov_b64 s[2:3], 0
	s_waitcnt vmcnt(0) lgkmcnt(0)
	ds_write2st64_b32 v1, v6, v7 offset1:4
	ds_write2st64_b32 v1, v8, v9 offset0:8 offset1:12
	ds_write2st64_b32 v1, v10, v11 offset0:16 offset1:20
	;; [unrolled: 1-line block ×4, first 2 shown]
	s_waitcnt lgkmcnt(0)
	s_barrier
.LBB2741_6:
	s_andn2_b64 vcc, exec, s[2:3]
	s_addk_i32 s33, 0xa00
	s_cbranch_vccnz .LBB2741_28
; %bb.7:
	v_cmp_gt_u32_e32 vcc, s33, v0
                                        ; implicit-def: $vgpr2_vgpr3_vgpr4_vgpr5_vgpr6_vgpr7_vgpr8_vgpr9_vgpr10_vgpr11
	s_and_saveexec_b64 s[2:3], vcc
	s_cbranch_execz .LBB2741_9
; %bb.8:
	v_add_co_u32_e32 v2, vcc, v14, v1
	v_addc_co_u32_e32 v3, vcc, 0, v15, vcc
	flat_load_dword v2, v[2:3]
.LBB2741_9:
	s_or_b64 exec, exec, s[2:3]
	v_or_b32_e32 v16, 0x100, v0
	v_cmp_gt_u32_e32 vcc, s33, v16
	s_and_saveexec_b64 s[2:3], vcc
	s_cbranch_execz .LBB2741_11
; %bb.10:
	v_add_co_u32_e32 v16, vcc, v14, v1
	v_addc_co_u32_e32 v17, vcc, 0, v15, vcc
	flat_load_dword v3, v[16:17] offset:1024
.LBB2741_11:
	s_or_b64 exec, exec, s[2:3]
	v_or_b32_e32 v16, 0x200, v0
	v_cmp_gt_u32_e32 vcc, s33, v16
	s_and_saveexec_b64 s[2:3], vcc
	s_cbranch_execz .LBB2741_13
; %bb.12:
	v_add_co_u32_e32 v16, vcc, v14, v1
	v_addc_co_u32_e32 v17, vcc, 0, v15, vcc
	flat_load_dword v4, v[16:17] offset:2048
.LBB2741_13:
	;; [unrolled: 10-line block ×3, first 2 shown]
	s_or_b64 exec, exec, s[2:3]
	v_or_b32_e32 v16, 0x400, v0
	v_cmp_gt_u32_e32 vcc, s33, v16
	s_and_saveexec_b64 s[2:3], vcc
	s_cbranch_execz .LBB2741_17
; %bb.16:
	v_lshlrev_b32_e32 v6, 2, v16
	v_add_co_u32_e32 v16, vcc, v14, v6
	v_addc_co_u32_e32 v17, vcc, 0, v15, vcc
	flat_load_dword v6, v[16:17]
.LBB2741_17:
	s_or_b64 exec, exec, s[2:3]
	v_or_b32_e32 v16, 0x500, v0
	v_cmp_gt_u32_e32 vcc, s33, v16
	s_and_saveexec_b64 s[2:3], vcc
	s_cbranch_execz .LBB2741_19
; %bb.18:
	v_lshlrev_b32_e32 v7, 2, v16
	v_add_co_u32_e32 v16, vcc, v14, v7
	v_addc_co_u32_e32 v17, vcc, 0, v15, vcc
	flat_load_dword v7, v[16:17]
.LBB2741_19:
	;; [unrolled: 11-line block ×6, first 2 shown]
	s_or_b64 exec, exec, s[2:3]
	s_waitcnt vmcnt(0) lgkmcnt(0)
	ds_write2st64_b32 v1, v2, v3 offset1:4
	ds_write2st64_b32 v1, v4, v5 offset0:8 offset1:12
	ds_write2st64_b32 v1, v6, v7 offset0:16 offset1:20
	;; [unrolled: 1-line block ×4, first 2 shown]
	s_waitcnt lgkmcnt(0)
	s_barrier
.LBB2741_28:
	v_mul_u32_u24_e32 v25, 10, v0
	v_lshlrev_b32_e32 v31, 2, v25
	ds_read2_b64 v[6:9], v31 offset1:1
	ds_read2_b64 v[2:5], v31 offset0:2 offset1:3
	ds_read_b64 v[10:11], v31 offset:32
	v_cndmask_b32_e64 v14, 0, 1, s[4:5]
	v_cmp_ne_u32_e64 s[2:3], 1, v14
	s_andn2_b64 vcc, exec, s[4:5]
	s_waitcnt lgkmcnt(2)
	v_xor_b32_e32 v23, -1, v6
	v_xor_b32_e32 v22, -1, v7
	v_xor_b32_e32 v21, -1, v8
	v_xor_b32_e32 v20, -1, v9
	s_waitcnt lgkmcnt(1)
	v_xor_b32_e32 v19, -1, v2
	v_xor_b32_e32 v18, -1, v3
	;; [unrolled: 1-line block ×4, first 2 shown]
	s_waitcnt lgkmcnt(0)
	v_xor_b32_e32 v15, -1, v10
	v_xor_b32_e32 v14, -1, v11
	s_barrier
	s_cbranch_vccnz .LBB2741_30
; %bb.29:
	v_mov_b32_e32 v24, 1
	v_and_b32_e32 v27, 1, v23
	v_and_b32_sdwa v28, v22, v24 dst_sel:BYTE_1 dst_unused:UNUSED_PAD src0_sel:DWORD src1_sel:DWORD
	v_and_b32_e32 v29, 1, v21
	v_and_b32_sdwa v30, v20, v24 dst_sel:BYTE_1 dst_unused:UNUSED_PAD src0_sel:DWORD src1_sel:DWORD
	v_and_b32_e32 v32, 1, v19
	v_and_b32_sdwa v33, v18, v24 dst_sel:BYTE_1 dst_unused:UNUSED_PAD src0_sel:DWORD src1_sel:DWORD
	v_and_b32_e32 v34, 1, v17
	v_and_b32_sdwa v35, v16, v24 dst_sel:BYTE_1 dst_unused:UNUSED_PAD src0_sel:DWORD src1_sel:DWORD
	v_or_b32_e32 v27, v27, v28
	v_or_b32_sdwa v28, v29, v30 dst_sel:WORD_1 dst_unused:UNUSED_PAD src0_sel:DWORD src1_sel:DWORD
	v_or_b32_sdwa v28, v27, v28 dst_sel:DWORD dst_unused:UNUSED_PAD src0_sel:WORD_0 src1_sel:DWORD
	v_or_b32_e32 v27, v32, v33
	v_or_b32_sdwa v29, v34, v35 dst_sel:WORD_1 dst_unused:UNUSED_PAD src0_sel:DWORD src1_sel:DWORD
	v_and_b32_e32 v26, 1, v15
	v_and_b32_e32 v24, 1, v14
	v_or_b32_sdwa v27, v27, v29 dst_sel:DWORD dst_unused:UNUSED_PAD src0_sel:WORD_0 src1_sel:DWORD
	s_cbranch_execz .LBB2741_31
	s_branch .LBB2741_32
.LBB2741_30:
                                        ; implicit-def: $vgpr24
                                        ; implicit-def: $vgpr26
                                        ; implicit-def: $vgpr27
                                        ; implicit-def: $vgpr28
.LBB2741_31:
	v_or_b32_e32 v34, 1, v25
	v_cmp_gt_u32_e32 vcc, s33, v25
	v_add_u32_e32 v24, 2, v25
	v_cndmask_b32_e64 v35, 0, 1, vcc
	v_cmp_gt_u32_e32 vcc, s33, v34
	v_add_u32_e32 v33, 3, v25
	v_cndmask_b32_e64 v34, 0, 1, vcc
	;; [unrolled: 3-line block ×3, first 2 shown]
	v_cmp_gt_u32_e32 vcc, s33, v33
	v_add_u32_e32 v32, 5, v25
	v_and_b32_e32 v21, v24, v21
	v_cndmask_b32_e64 v24, 0, 1, vcc
	v_cmp_gt_u32_e32 vcc, s33, v26
	v_add_u32_e32 v27, 6, v25
	v_and_b32_sdwa v20, v24, v20 dst_sel:BYTE_1 dst_unused:UNUSED_PAD src0_sel:DWORD src1_sel:DWORD
	v_cndmask_b32_e64 v24, 0, 1, vcc
	v_cmp_gt_u32_e32 vcc, s33, v32
	v_add_u32_e32 v30, 7, v25
	v_and_b32_e32 v19, v24, v19
	v_cndmask_b32_e64 v24, 0, 1, vcc
	v_cmp_gt_u32_e32 vcc, s33, v27
	v_add_u32_e32 v28, 8, v25
	v_and_b32_sdwa v18, v24, v18 dst_sel:BYTE_1 dst_unused:UNUSED_PAD src0_sel:DWORD src1_sel:DWORD
	v_cndmask_b32_e64 v24, 0, 1, vcc
	v_cmp_gt_u32_e32 vcc, s33, v30
	v_add_u32_e32 v29, 9, v25
	v_and_b32_e32 v17, v24, v17
	v_cndmask_b32_e64 v24, 0, 1, vcc
	v_cmp_gt_u32_e32 vcc, s33, v28
	v_and_b32_sdwa v16, v24, v16 dst_sel:BYTE_1 dst_unused:UNUSED_PAD src0_sel:DWORD src1_sel:DWORD
	v_cndmask_b32_e64 v24, 0, 1, vcc
	v_cmp_gt_u32_e32 vcc, s33, v29
	v_and_b32_e32 v23, v35, v23
	v_and_b32_sdwa v22, v34, v22 dst_sel:BYTE_1 dst_unused:UNUSED_PAD src0_sel:DWORD src1_sel:DWORD
	v_and_b32_e32 v26, v24, v15
	v_cndmask_b32_e64 v15, 0, 1, vcc
	v_and_b32_e32 v24, v15, v14
	v_or_b32_e32 v14, v23, v22
	v_or_b32_sdwa v15, v21, v20 dst_sel:WORD_1 dst_unused:UNUSED_PAD src0_sel:DWORD src1_sel:DWORD
	v_or_b32_sdwa v28, v14, v15 dst_sel:DWORD dst_unused:UNUSED_PAD src0_sel:WORD_0 src1_sel:DWORD
	v_or_b32_e32 v14, v19, v18
	v_or_b32_sdwa v15, v17, v16 dst_sel:WORD_1 dst_unused:UNUSED_PAD src0_sel:DWORD src1_sel:DWORD
	v_or_b32_sdwa v27, v14, v15 dst_sel:DWORD dst_unused:UNUSED_PAD src0_sel:WORD_0 src1_sel:DWORD
.LBB2741_32:
	v_bfe_u32 v32, v28, 16, 8
	v_lshrrev_b32_e32 v30, 24, v28
	v_add_u32_sdwa v15, v28, v28 dst_sel:DWORD dst_unused:UNUSED_PAD src0_sel:BYTE_1 src1_sel:BYTE_0
	v_and_b32_e32 v33, 0xff, v27
	v_bfe_u32 v34, v27, 8, 8
	v_add3_u32 v15, v15, v32, v30
	v_bfe_u32 v35, v27, 16, 8
	v_lshrrev_b32_e32 v29, 24, v27
	v_add3_u32 v15, v15, v33, v34
	v_and_b32_e32 v36, 0xff, v26
	v_and_b32_e32 v14, 0xff, v24
	v_add3_u32 v15, v15, v35, v29
	v_add3_u32 v39, v15, v36, v14
	v_mbcnt_lo_u32_b32 v14, -1, 0
	v_mbcnt_hi_u32_b32 v37, -1, v14
	v_and_b32_e32 v14, 15, v37
	v_cmp_eq_u32_e64 s[16:17], 0, v14
	v_cmp_lt_u32_e64 s[14:15], 1, v14
	v_cmp_lt_u32_e64 s[12:13], 3, v14
	;; [unrolled: 1-line block ×3, first 2 shown]
	v_and_b32_e32 v14, 16, v37
	v_cmp_eq_u32_e64 s[8:9], 0, v14
	v_or_b32_e32 v14, 63, v0
	s_cmp_lg_u32 s36, 0
	v_cmp_lt_u32_e64 s[4:5], 31, v37
	v_lshrrev_b32_e32 v38, 6, v0
	v_cmp_eq_u32_e64 s[6:7], v14, v0
	s_cbranch_scc0 .LBB2741_59
; %bb.33:
	v_mov_b32_dpp v14, v39 row_shr:1 row_mask:0xf bank_mask:0xf
	v_cndmask_b32_e64 v14, v14, 0, s[16:17]
	v_add_u32_e32 v14, v14, v39
	s_nop 1
	v_mov_b32_dpp v15, v14 row_shr:2 row_mask:0xf bank_mask:0xf
	v_cndmask_b32_e64 v15, 0, v15, s[14:15]
	v_add_u32_e32 v14, v14, v15
	s_nop 1
	;; [unrolled: 4-line block ×4, first 2 shown]
	v_mov_b32_dpp v15, v14 row_bcast:15 row_mask:0xf bank_mask:0xf
	v_cndmask_b32_e64 v15, v15, 0, s[8:9]
	v_add_u32_e32 v14, v14, v15
	s_nop 1
	v_mov_b32_dpp v15, v14 row_bcast:31 row_mask:0xf bank_mask:0xf
	v_cndmask_b32_e64 v15, 0, v15, s[4:5]
	v_add_u32_e32 v14, v14, v15
	s_and_saveexec_b64 s[18:19], s[6:7]
	s_cbranch_execz .LBB2741_35
; %bb.34:
	v_lshlrev_b32_e32 v15, 2, v38
	ds_write_b32 v15, v14
.LBB2741_35:
	s_or_b64 exec, exec, s[18:19]
	v_cmp_gt_u32_e32 vcc, 4, v0
	s_waitcnt lgkmcnt(0)
	s_barrier
	s_and_saveexec_b64 s[18:19], vcc
	s_cbranch_execz .LBB2741_37
; %bb.36:
	ds_read_b32 v15, v1
	v_and_b32_e32 v16, 3, v37
	v_cmp_ne_u32_e32 vcc, 0, v16
	s_waitcnt lgkmcnt(0)
	v_mov_b32_dpp v17, v15 row_shr:1 row_mask:0xf bank_mask:0xf
	v_cndmask_b32_e32 v17, 0, v17, vcc
	v_add_u32_e32 v15, v17, v15
	v_cmp_lt_u32_e32 vcc, 1, v16
	s_nop 0
	v_mov_b32_dpp v17, v15 row_shr:2 row_mask:0xf bank_mask:0xf
	v_cndmask_b32_e32 v16, 0, v17, vcc
	v_add_u32_e32 v15, v15, v16
	ds_write_b32 v1, v15
.LBB2741_37:
	s_or_b64 exec, exec, s[18:19]
	v_cmp_gt_u32_e32 vcc, 64, v0
	v_cmp_lt_u32_e64 s[18:19], 63, v0
	s_waitcnt lgkmcnt(0)
	s_barrier
	s_waitcnt lgkmcnt(0)
                                        ; implicit-def: $vgpr40
	s_and_saveexec_b64 s[28:29], s[18:19]
	s_cbranch_execz .LBB2741_39
; %bb.38:
	v_lshl_add_u32 v15, v38, 2, -4
	ds_read_b32 v40, v15
	s_waitcnt lgkmcnt(0)
	v_add_u32_e32 v14, v40, v14
.LBB2741_39:
	s_or_b64 exec, exec, s[28:29]
	v_add_u32_e32 v15, -1, v37
	v_and_b32_e32 v16, 64, v37
	v_cmp_lt_i32_e64 s[18:19], v15, v16
	v_cndmask_b32_e64 v15, v15, v37, s[18:19]
	v_lshlrev_b32_e32 v15, 2, v15
	ds_bpermute_b32 v41, v15, v14
	v_cmp_eq_u32_e64 s[18:19], 0, v37
	s_and_saveexec_b64 s[28:29], vcc
	s_cbranch_execz .LBB2741_58
; %bb.40:
	v_mov_b32_e32 v21, 0
	ds_read_b32 v14, v21 offset:12
	s_and_saveexec_b64 s[30:31], s[18:19]
	s_cbranch_execz .LBB2741_42
; %bb.41:
	s_add_i32 s34, s36, 64
	s_mov_b32 s35, 0
	s_lshl_b64 s[34:35], s[34:35], 3
	s_add_u32 s34, s26, s34
	v_mov_b32_e32 v15, 1
	s_addc_u32 s35, s27, s35
	s_waitcnt lgkmcnt(0)
	global_store_dwordx2 v21, v[14:15], s[34:35]
.LBB2741_42:
	s_or_b64 exec, exec, s[30:31]
	v_xad_u32 v16, v37, -1, s36
	v_add_u32_e32 v20, 64, v16
	v_lshlrev_b64 v[18:19], 3, v[20:21]
	v_mov_b32_e32 v15, s27
	v_add_co_u32_e32 v22, vcc, s26, v18
	v_addc_co_u32_e32 v23, vcc, v15, v19, vcc
	global_load_dwordx2 v[18:19], v[22:23], off glc
	s_waitcnt vmcnt(0)
	v_cmp_eq_u16_sdwa s[34:35], v19, v21 src0_sel:BYTE_0 src1_sel:DWORD
	s_and_saveexec_b64 s[30:31], s[34:35]
	s_cbranch_execz .LBB2741_46
; %bb.43:
	s_mov_b64 s[34:35], 0
	v_mov_b32_e32 v15, 0
.LBB2741_44:                            ; =>This Inner Loop Header: Depth=1
	global_load_dwordx2 v[18:19], v[22:23], off glc
	s_waitcnt vmcnt(0)
	v_cmp_ne_u16_sdwa s[38:39], v19, v15 src0_sel:BYTE_0 src1_sel:DWORD
	s_or_b64 s[34:35], s[38:39], s[34:35]
	s_andn2_b64 exec, exec, s[34:35]
	s_cbranch_execnz .LBB2741_44
; %bb.45:
	s_or_b64 exec, exec, s[34:35]
.LBB2741_46:
	s_or_b64 exec, exec, s[30:31]
	v_and_b32_e32 v43, 63, v37
	v_mov_b32_e32 v42, 2
	v_cmp_ne_u32_e32 vcc, 63, v43
	v_cmp_eq_u16_sdwa s[30:31], v19, v42 src0_sel:BYTE_0 src1_sel:DWORD
	v_lshlrev_b64 v[20:21], v37, -1
	v_addc_co_u32_e32 v22, vcc, 0, v37, vcc
	v_and_b32_e32 v15, s31, v21
	v_lshlrev_b32_e32 v44, 2, v22
	v_or_b32_e32 v15, 0x80000000, v15
	ds_bpermute_b32 v22, v44, v18
	v_and_b32_e32 v17, s30, v20
	v_ffbl_b32_e32 v15, v15
	v_add_u32_e32 v15, 32, v15
	v_ffbl_b32_e32 v17, v17
	v_min_u32_e32 v15, v17, v15
	v_cmp_lt_u32_e32 vcc, v43, v15
	s_waitcnt lgkmcnt(0)
	v_cndmask_b32_e32 v17, 0, v22, vcc
	v_cmp_gt_u32_e32 vcc, 62, v43
	v_add_u32_e32 v17, v17, v18
	v_cndmask_b32_e64 v18, 0, 1, vcc
	v_lshlrev_b32_e32 v18, 1, v18
	v_add_lshl_u32 v45, v18, v37, 2
	ds_bpermute_b32 v18, v45, v17
	v_add_u32_e32 v46, 2, v43
	v_cmp_le_u32_e32 vcc, v46, v15
	v_add_u32_e32 v48, 4, v43
	v_add_u32_e32 v50, 8, v43
	s_waitcnt lgkmcnt(0)
	v_cndmask_b32_e32 v18, 0, v18, vcc
	v_cmp_gt_u32_e32 vcc, 60, v43
	v_add_u32_e32 v17, v17, v18
	v_cndmask_b32_e64 v18, 0, 1, vcc
	v_lshlrev_b32_e32 v18, 2, v18
	v_add_lshl_u32 v47, v18, v37, 2
	ds_bpermute_b32 v18, v47, v17
	v_cmp_le_u32_e32 vcc, v48, v15
	v_add_u32_e32 v52, 16, v43
	v_add_u32_e32 v54, 32, v43
	s_waitcnt lgkmcnt(0)
	v_cndmask_b32_e32 v18, 0, v18, vcc
	v_cmp_gt_u32_e32 vcc, 56, v43
	v_add_u32_e32 v17, v17, v18
	v_cndmask_b32_e64 v18, 0, 1, vcc
	v_lshlrev_b32_e32 v18, 3, v18
	v_add_lshl_u32 v49, v18, v37, 2
	ds_bpermute_b32 v18, v49, v17
	v_cmp_le_u32_e32 vcc, v50, v15
	s_waitcnt lgkmcnt(0)
	v_cndmask_b32_e32 v18, 0, v18, vcc
	v_cmp_gt_u32_e32 vcc, 48, v43
	v_add_u32_e32 v17, v17, v18
	v_cndmask_b32_e64 v18, 0, 1, vcc
	v_lshlrev_b32_e32 v18, 4, v18
	v_add_lshl_u32 v51, v18, v37, 2
	ds_bpermute_b32 v18, v51, v17
	v_cmp_le_u32_e32 vcc, v52, v15
	;; [unrolled: 9-line block ×3, first 2 shown]
	s_waitcnt lgkmcnt(0)
	v_cndmask_b32_e32 v15, 0, v18, vcc
	v_add_u32_e32 v18, v17, v15
	v_mov_b32_e32 v17, 0
	s_branch .LBB2741_48
.LBB2741_47:                            ;   in Loop: Header=BB2741_48 Depth=1
	s_or_b64 exec, exec, s[30:31]
	v_cmp_eq_u16_sdwa s[30:31], v19, v42 src0_sel:BYTE_0 src1_sel:DWORD
	v_and_b32_e32 v22, s31, v21
	v_or_b32_e32 v22, 0x80000000, v22
	ds_bpermute_b32 v55, v44, v18
	v_and_b32_e32 v23, s30, v20
	v_ffbl_b32_e32 v22, v22
	v_add_u32_e32 v22, 32, v22
	v_ffbl_b32_e32 v23, v23
	v_min_u32_e32 v22, v23, v22
	v_cmp_lt_u32_e32 vcc, v43, v22
	s_waitcnt lgkmcnt(0)
	v_cndmask_b32_e32 v23, 0, v55, vcc
	v_add_u32_e32 v18, v23, v18
	ds_bpermute_b32 v23, v45, v18
	v_cmp_le_u32_e32 vcc, v46, v22
	v_subrev_u32_e32 v16, 64, v16
	s_waitcnt lgkmcnt(0)
	v_cndmask_b32_e32 v23, 0, v23, vcc
	v_add_u32_e32 v18, v18, v23
	ds_bpermute_b32 v23, v47, v18
	v_cmp_le_u32_e32 vcc, v48, v22
	s_waitcnt lgkmcnt(0)
	v_cndmask_b32_e32 v23, 0, v23, vcc
	v_add_u32_e32 v18, v18, v23
	ds_bpermute_b32 v23, v49, v18
	v_cmp_le_u32_e32 vcc, v50, v22
	;; [unrolled: 5-line block ×4, first 2 shown]
	s_waitcnt lgkmcnt(0)
	v_cndmask_b32_e32 v22, 0, v23, vcc
	v_add3_u32 v18, v22, v15, v18
.LBB2741_48:                            ; =>This Loop Header: Depth=1
                                        ;     Child Loop BB2741_51 Depth 2
	v_cmp_ne_u16_sdwa s[30:31], v19, v42 src0_sel:BYTE_0 src1_sel:DWORD
	v_cndmask_b32_e64 v15, 0, 1, s[30:31]
	;;#ASMSTART
	;;#ASMEND
	v_cmp_ne_u32_e32 vcc, 0, v15
	s_cmp_lg_u64 vcc, exec
	v_mov_b32_e32 v15, v18
	s_cbranch_scc1 .LBB2741_53
; %bb.49:                               ;   in Loop: Header=BB2741_48 Depth=1
	v_lshlrev_b64 v[18:19], 3, v[16:17]
	v_mov_b32_e32 v23, s27
	v_add_co_u32_e32 v22, vcc, s26, v18
	v_addc_co_u32_e32 v23, vcc, v23, v19, vcc
	global_load_dwordx2 v[18:19], v[22:23], off glc
	s_waitcnt vmcnt(0)
	v_cmp_eq_u16_sdwa s[34:35], v19, v17 src0_sel:BYTE_0 src1_sel:DWORD
	s_and_saveexec_b64 s[30:31], s[34:35]
	s_cbranch_execz .LBB2741_47
; %bb.50:                               ;   in Loop: Header=BB2741_48 Depth=1
	s_mov_b64 s[34:35], 0
.LBB2741_51:                            ;   Parent Loop BB2741_48 Depth=1
                                        ; =>  This Inner Loop Header: Depth=2
	global_load_dwordx2 v[18:19], v[22:23], off glc
	s_waitcnt vmcnt(0)
	v_cmp_ne_u16_sdwa s[38:39], v19, v17 src0_sel:BYTE_0 src1_sel:DWORD
	s_or_b64 s[34:35], s[38:39], s[34:35]
	s_andn2_b64 exec, exec, s[34:35]
	s_cbranch_execnz .LBB2741_51
; %bb.52:                               ;   in Loop: Header=BB2741_48 Depth=1
	s_or_b64 exec, exec, s[34:35]
	s_branch .LBB2741_47
.LBB2741_53:                            ;   in Loop: Header=BB2741_48 Depth=1
                                        ; implicit-def: $vgpr18
                                        ; implicit-def: $vgpr19
	s_cbranch_execz .LBB2741_48
; %bb.54:
	s_and_saveexec_b64 s[30:31], s[18:19]
	s_cbranch_execz .LBB2741_56
; %bb.55:
	s_add_i32 s34, s36, 64
	s_mov_b32 s35, 0
	s_lshl_b64 s[34:35], s[34:35], 3
	s_add_u32 s34, s26, s34
	v_add_u32_e32 v16, v15, v14
	v_mov_b32_e32 v17, 2
	s_addc_u32 s35, s27, s35
	v_mov_b32_e32 v18, 0
	global_store_dwordx2 v18, v[16:17], s[34:35]
	ds_write_b64 v18, v[14:15] offset:10240
.LBB2741_56:
	s_or_b64 exec, exec, s[30:31]
	s_and_b64 exec, exec, s[0:1]
	s_cbranch_execz .LBB2741_58
; %bb.57:
	v_mov_b32_e32 v14, 0
	ds_write_b32 v14, v15 offset:12
.LBB2741_58:
	s_or_b64 exec, exec, s[28:29]
	v_mov_b32_e32 v14, 0
	s_waitcnt lgkmcnt(0)
	s_barrier
	ds_read_b32 v15, v14 offset:12
	v_cndmask_b32_e64 v16, v41, v40, s[18:19]
	v_cndmask_b32_e64 v16, v16, 0, s[0:1]
	s_waitcnt lgkmcnt(0)
	s_barrier
	v_add_u32_e32 v42, v15, v16
	v_add_u32_sdwa v41, v42, v28 dst_sel:DWORD dst_unused:UNUSED_PAD src0_sel:DWORD src1_sel:BYTE_0
	v_add_u32_sdwa v40, v41, v28 dst_sel:DWORD dst_unused:UNUSED_PAD src0_sel:DWORD src1_sel:BYTE_1
	v_add_u32_e32 v23, v40, v32
	v_add_u32_e32 v22, v23, v30
	ds_read_b64 v[14:15], v14 offset:10240
	v_add_u32_e32 v21, v22, v33
	v_add_u32_e32 v20, v21, v34
	;; [unrolled: 1-line block ×5, first 2 shown]
	s_waitcnt lgkmcnt(0)
	v_mov_b32_e32 v16, v15
	s_branch .LBB2741_69
.LBB2741_59:
                                        ; implicit-def: $vgpr16
                                        ; implicit-def: $vgpr14
                                        ; implicit-def: $vgpr17
                                        ; implicit-def: $vgpr18
                                        ; implicit-def: $vgpr19
                                        ; implicit-def: $vgpr20
                                        ; implicit-def: $vgpr21
                                        ; implicit-def: $vgpr22
                                        ; implicit-def: $vgpr23
                                        ; implicit-def: $vgpr40
                                        ; implicit-def: $vgpr41
                                        ; implicit-def: $vgpr42
	s_cbranch_execz .LBB2741_69
; %bb.60:
	s_nop 0
	v_mov_b32_dpp v14, v39 row_shr:1 row_mask:0xf bank_mask:0xf
	v_cndmask_b32_e64 v14, v14, 0, s[16:17]
	v_add_u32_e32 v14, v14, v39
	s_nop 1
	v_mov_b32_dpp v15, v14 row_shr:2 row_mask:0xf bank_mask:0xf
	v_cndmask_b32_e64 v15, 0, v15, s[14:15]
	v_add_u32_e32 v14, v14, v15
	;; [unrolled: 4-line block ×4, first 2 shown]
	s_nop 1
	v_mov_b32_dpp v15, v14 row_bcast:15 row_mask:0xf bank_mask:0xf
	v_cndmask_b32_e64 v15, v15, 0, s[8:9]
	v_add_u32_e32 v14, v14, v15
	s_nop 1
	v_mov_b32_dpp v15, v14 row_bcast:31 row_mask:0xf bank_mask:0xf
	v_cndmask_b32_e64 v15, 0, v15, s[4:5]
	v_add_u32_e32 v14, v14, v15
	s_and_saveexec_b64 s[4:5], s[6:7]
	s_cbranch_execz .LBB2741_62
; %bb.61:
	v_lshlrev_b32_e32 v15, 2, v38
	ds_write_b32 v15, v14
.LBB2741_62:
	s_or_b64 exec, exec, s[4:5]
	v_cmp_gt_u32_e32 vcc, 4, v0
	s_waitcnt lgkmcnt(0)
	s_barrier
	s_and_saveexec_b64 s[4:5], vcc
	s_cbranch_execz .LBB2741_64
; %bb.63:
	s_movk_i32 s6, 0xffdc
	v_mad_i32_i24 v15, v0, s6, v31
	ds_read_b32 v16, v15
	v_and_b32_e32 v17, 3, v37
	v_cmp_ne_u32_e32 vcc, 0, v17
	s_waitcnt lgkmcnt(0)
	v_mov_b32_dpp v18, v16 row_shr:1 row_mask:0xf bank_mask:0xf
	v_cndmask_b32_e32 v18, 0, v18, vcc
	v_add_u32_e32 v16, v18, v16
	v_cmp_lt_u32_e32 vcc, 1, v17
	s_nop 0
	v_mov_b32_dpp v18, v16 row_shr:2 row_mask:0xf bank_mask:0xf
	v_cndmask_b32_e32 v17, 0, v18, vcc
	v_add_u32_e32 v16, v16, v17
	ds_write_b32 v15, v16
.LBB2741_64:
	s_or_b64 exec, exec, s[4:5]
	v_cmp_lt_u32_e32 vcc, 63, v0
	v_mov_b32_e32 v15, 0
	v_mov_b32_e32 v16, 0
	s_waitcnt lgkmcnt(0)
	s_barrier
	s_and_saveexec_b64 s[4:5], vcc
	s_cbranch_execz .LBB2741_66
; %bb.65:
	v_lshl_add_u32 v16, v38, 2, -4
	ds_read_b32 v16, v16
.LBB2741_66:
	s_or_b64 exec, exec, s[4:5]
	v_add_u32_e32 v17, -1, v37
	v_and_b32_e32 v18, 64, v37
	v_cmp_lt_i32_e32 vcc, v17, v18
	v_cndmask_b32_e32 v17, v17, v37, vcc
	s_waitcnt lgkmcnt(0)
	v_add_u32_e32 v14, v16, v14
	v_lshlrev_b32_e32 v17, 2, v17
	ds_bpermute_b32 v17, v17, v14
	ds_read_b32 v14, v15 offset:12
	s_and_saveexec_b64 s[4:5], s[0:1]
	s_cbranch_execz .LBB2741_68
; %bb.67:
	v_mov_b32_e32 v18, 0
	v_mov_b32_e32 v15, 2
	s_waitcnt lgkmcnt(0)
	global_store_dwordx2 v18, v[14:15], s[26:27] offset:512
.LBB2741_68:
	s_or_b64 exec, exec, s[4:5]
	v_cmp_eq_u32_e32 vcc, 0, v37
	s_waitcnt lgkmcnt(1)
	v_cndmask_b32_e32 v15, v17, v16, vcc
	v_cndmask_b32_e64 v42, v15, 0, s[0:1]
	v_add_u32_sdwa v41, v42, v28 dst_sel:DWORD dst_unused:UNUSED_PAD src0_sel:DWORD src1_sel:BYTE_0
	v_add_u32_sdwa v40, v41, v28 dst_sel:DWORD dst_unused:UNUSED_PAD src0_sel:DWORD src1_sel:BYTE_1
	v_add_u32_e32 v23, v40, v32
	v_add_u32_e32 v22, v23, v30
	;; [unrolled: 1-line block ×6, first 2 shown]
	v_mov_b32_e32 v16, 0
	v_add_u32_e32 v17, v18, v36
	s_waitcnt lgkmcnt(0)
	s_barrier
.LBB2741_69:
	v_add_u32_e32 v25, v14, v25
	v_sub_u32_e32 v32, v42, v16
	v_and_b32_e32 v34, 1, v28
	v_sub_u32_e32 v33, v25, v32
	v_cmp_eq_u32_e32 vcc, 1, v34
	v_cndmask_b32_e32 v32, v33, v32, vcc
	v_lshlrev_b32_e32 v32, 2, v32
	v_lshrrev_b32_e32 v31, 8, v28
	ds_write_b32 v32, v6
	v_sub_u32_e32 v6, v41, v16
	v_sub_u32_e32 v32, v25, v6
	v_and_b32_e32 v31, 1, v31
	v_add_u32_e32 v32, 1, v32
	v_cmp_eq_u32_e32 vcc, 1, v31
	v_cndmask_b32_e32 v6, v32, v6, vcc
	v_lshlrev_b32_e32 v6, 2, v6
	ds_write_b32 v6, v7
	v_sub_u32_e32 v6, v40, v16
	v_mov_b32_e32 v31, 1
	v_sub_u32_e32 v7, v25, v6
	v_and_b32_sdwa v28, v31, v28 dst_sel:DWORD dst_unused:UNUSED_PAD src0_sel:DWORD src1_sel:WORD_1
	v_add_u32_e32 v7, 2, v7
	v_cmp_eq_u32_e32 vcc, 1, v28
	v_cndmask_b32_e32 v6, v7, v6, vcc
	v_lshlrev_b32_e32 v6, 2, v6
	ds_write_b32 v6, v8
	v_sub_u32_e32 v6, v23, v16
	v_sub_u32_e32 v7, v25, v6
	v_and_b32_e32 v8, 1, v30
	v_add_u32_e32 v7, 3, v7
	v_cmp_eq_u32_e32 vcc, 1, v8
	v_cndmask_b32_e32 v6, v7, v6, vcc
	v_lshlrev_b32_e32 v6, 2, v6
	ds_write_b32 v6, v9
	v_sub_u32_e32 v6, v22, v16
	v_sub_u32_e32 v7, v25, v6
	v_and_b32_e32 v8, 1, v27
	v_add_u32_e32 v7, 4, v7
	v_cmp_eq_u32_e32 vcc, 1, v8
	v_cndmask_b32_e32 v6, v7, v6, vcc
	v_lshlrev_b32_e32 v6, 2, v6
	v_lshrrev_b32_e32 v15, 8, v27
	ds_write_b32 v6, v2
	v_sub_u32_e32 v2, v21, v16
	v_sub_u32_e32 v6, v25, v2
	v_and_b32_e32 v7, 1, v15
	v_add_u32_e32 v6, 5, v6
	v_cmp_eq_u32_e32 vcc, 1, v7
	v_cndmask_b32_e32 v2, v6, v2, vcc
	v_lshlrev_b32_e32 v2, 2, v2
	ds_write_b32 v2, v3
	v_sub_u32_e32 v2, v20, v16
	v_sub_u32_e32 v3, v25, v2
	v_and_b32_sdwa v6, v31, v27 dst_sel:DWORD dst_unused:UNUSED_PAD src0_sel:DWORD src1_sel:WORD_1
	v_add_u32_e32 v3, 6, v3
	v_cmp_eq_u32_e32 vcc, 1, v6
	v_cndmask_b32_e32 v2, v3, v2, vcc
	v_lshlrev_b32_e32 v2, 2, v2
	ds_write_b32 v2, v4
	v_sub_u32_e32 v2, v19, v16
	v_sub_u32_e32 v3, v25, v2
	v_and_b32_e32 v4, 1, v29
	v_add_u32_e32 v3, 7, v3
	v_cmp_eq_u32_e32 vcc, 1, v4
	v_cndmask_b32_e32 v2, v3, v2, vcc
	v_lshlrev_b32_e32 v2, 2, v2
	ds_write_b32 v2, v5
	v_sub_u32_e32 v2, v18, v16
	v_sub_u32_e32 v3, v25, v2
	v_and_b32_e32 v4, 1, v26
	;; [unrolled: 8-line block ×3, first 2 shown]
	v_add_u32_e32 v3, 9, v3
	v_cmp_eq_u32_e32 vcc, 1, v4
	v_cndmask_b32_e32 v2, v3, v2, vcc
	v_lshlrev_b32_e32 v2, 2, v2
	ds_write_b32 v2, v11
	s_waitcnt lgkmcnt(0)
	s_barrier
	ds_read2st64_b32 v[18:19], v1 offset1:4
	ds_read2st64_b32 v[10:11], v1 offset0:8 offset1:12
	ds_read2st64_b32 v[8:9], v1 offset0:16 offset1:20
	;; [unrolled: 1-line block ×4, first 2 shown]
	v_or_b32_e32 v29, 0x100, v0
	v_or_b32_e32 v28, 0x200, v0
	;; [unrolled: 1-line block ×9, first 2 shown]
	s_and_b64 vcc, exec, s[2:3]
	s_waitcnt vmcnt(0)
	v_lshlrev_b64 v[20:21], 2, v[12:13]
	s_cbranch_vccnz .LBB2741_81
; %bb.70:
	v_mov_b32_e32 v17, 0
	v_mov_b32_e32 v4, s25
	v_add_co_u32_e32 v30, vcc, s24, v20
	v_addc_co_u32_e32 v31, vcc, v4, v21, vcc
	v_lshlrev_b64 v[4:5], 2, v[16:17]
	v_add_co_u32_e32 v4, vcc, v30, v4
	v_addc_co_u32_e32 v5, vcc, v31, v5, vcc
	v_cmp_gt_u32_e32 vcc, v14, v0
	s_and_saveexec_b64 s[2:3], vcc
	s_cbranch_execnz .LBB2741_98
; %bb.71:
	s_or_b64 exec, exec, s[2:3]
	v_cmp_lt_u32_e32 vcc, v29, v14
	s_and_saveexec_b64 s[2:3], vcc
	s_cbranch_execnz .LBB2741_99
.LBB2741_72:
	s_or_b64 exec, exec, s[2:3]
	v_cmp_lt_u32_e32 vcc, v28, v14
	s_and_saveexec_b64 s[2:3], vcc
	s_cbranch_execnz .LBB2741_100
.LBB2741_73:
	s_or_b64 exec, exec, s[2:3]
	v_cmp_lt_u32_e32 vcc, v27, v14
	s_and_saveexec_b64 s[2:3], vcc
	s_cbranch_execnz .LBB2741_101
.LBB2741_74:
	s_or_b64 exec, exec, s[2:3]
	v_cmp_lt_u32_e32 vcc, v26, v14
	s_and_saveexec_b64 s[2:3], vcc
	s_cbranch_execnz .LBB2741_102
.LBB2741_75:
	s_or_b64 exec, exec, s[2:3]
	v_cmp_lt_u32_e32 vcc, v25, v14
	s_and_saveexec_b64 s[2:3], vcc
	s_cbranch_execnz .LBB2741_103
.LBB2741_76:
	s_or_b64 exec, exec, s[2:3]
	v_cmp_lt_u32_e32 vcc, v24, v14
	s_and_saveexec_b64 s[2:3], vcc
	s_cbranch_execnz .LBB2741_104
.LBB2741_77:
	s_or_b64 exec, exec, s[2:3]
	v_cmp_lt_u32_e32 vcc, v23, v14
	s_and_saveexec_b64 s[2:3], vcc
	s_cbranch_execnz .LBB2741_105
.LBB2741_78:
	s_or_b64 exec, exec, s[2:3]
	v_cmp_lt_u32_e32 vcc, v22, v14
	s_and_saveexec_b64 s[2:3], vcc
	s_cbranch_execz .LBB2741_80
.LBB2741_79:
	v_lshlrev_b32_e32 v17, 2, v22
	v_readfirstlane_b32 s4, v4
	v_readfirstlane_b32 s5, v5
	s_waitcnt lgkmcnt(0)
	s_nop 3
	global_store_dword v17, v2, s[4:5]
.LBB2741_80:
	s_or_b64 exec, exec, s[2:3]
	v_cmp_lt_u32_e64 s[2:3], v15, v14
	s_branch .LBB2741_93
.LBB2741_81:
	s_mov_b64 s[2:3], 0
                                        ; implicit-def: $vgpr4_vgpr5
	s_cbranch_execz .LBB2741_93
; %bb.82:
	v_mov_b32_e32 v17, 0
	v_mov_b32_e32 v4, s25
	v_add_co_u32_e32 v20, vcc, s24, v20
	v_addc_co_u32_e32 v21, vcc, v4, v21, vcc
	v_lshlrev_b64 v[4:5], 2, v[16:17]
	v_add_co_u32_e32 v4, vcc, v20, v4
	v_min_u32_e32 v30, s33, v14
	v_addc_co_u32_e32 v5, vcc, v21, v5, vcc
	v_cmp_gt_u32_e32 vcc, v30, v0
	s_and_saveexec_b64 s[2:3], vcc
	s_cbranch_execnz .LBB2741_106
; %bb.83:
	s_or_b64 exec, exec, s[2:3]
	v_cmp_lt_u32_e32 vcc, v29, v30
	s_and_saveexec_b64 s[2:3], vcc
	s_cbranch_execnz .LBB2741_107
.LBB2741_84:
	s_or_b64 exec, exec, s[2:3]
	v_cmp_lt_u32_e32 vcc, v28, v30
	s_and_saveexec_b64 s[2:3], vcc
	s_cbranch_execnz .LBB2741_108
.LBB2741_85:
	s_or_b64 exec, exec, s[2:3]
	v_cmp_lt_u32_e32 vcc, v27, v30
	s_and_saveexec_b64 s[2:3], vcc
	s_cbranch_execnz .LBB2741_109
.LBB2741_86:
	s_or_b64 exec, exec, s[2:3]
	v_cmp_lt_u32_e32 vcc, v26, v30
	s_and_saveexec_b64 s[2:3], vcc
	s_cbranch_execnz .LBB2741_110
.LBB2741_87:
	s_or_b64 exec, exec, s[2:3]
	v_cmp_lt_u32_e32 vcc, v25, v30
	s_and_saveexec_b64 s[2:3], vcc
	s_cbranch_execnz .LBB2741_111
.LBB2741_88:
	s_or_b64 exec, exec, s[2:3]
	v_cmp_lt_u32_e32 vcc, v24, v30
	s_and_saveexec_b64 s[2:3], vcc
	s_cbranch_execnz .LBB2741_112
.LBB2741_89:
	s_or_b64 exec, exec, s[2:3]
	v_cmp_lt_u32_e32 vcc, v23, v30
	s_and_saveexec_b64 s[2:3], vcc
	s_cbranch_execnz .LBB2741_113
.LBB2741_90:
	s_or_b64 exec, exec, s[2:3]
	v_cmp_lt_u32_e32 vcc, v22, v30
	s_and_saveexec_b64 s[2:3], vcc
	s_cbranch_execz .LBB2741_92
.LBB2741_91:
	v_lshlrev_b32_e32 v0, 2, v22
	v_readfirstlane_b32 s4, v4
	v_readfirstlane_b32 s5, v5
	s_waitcnt lgkmcnt(0)
	s_nop 3
	global_store_dword v0, v2, s[4:5]
.LBB2741_92:
	s_or_b64 exec, exec, s[2:3]
	v_cmp_lt_u32_e64 s[2:3], v15, v30
.LBB2741_93:
	s_and_saveexec_b64 s[4:5], s[2:3]
	s_cbranch_execnz .LBB2741_96
; %bb.94:
	s_or_b64 exec, exec, s[4:5]
	s_and_b64 s[0:1], s[0:1], s[22:23]
	s_and_saveexec_b64 s[2:3], s[0:1]
	s_cbranch_execnz .LBB2741_97
.LBB2741_95:
	s_endpgm
.LBB2741_96:
	v_lshlrev_b32_e32 v0, 2, v15
	v_readfirstlane_b32 s2, v4
	v_readfirstlane_b32 s3, v5
	s_waitcnt lgkmcnt(0)
	s_nop 3
	global_store_dword v0, v3, s[2:3]
	s_or_b64 exec, exec, s[4:5]
	s_and_b64 s[0:1], s[0:1], s[22:23]
	s_and_saveexec_b64 s[2:3], s[0:1]
	s_cbranch_execz .LBB2741_95
.LBB2741_97:
	v_add_co_u32_e32 v0, vcc, v12, v14
	v_addc_co_u32_e32 v1, vcc, 0, v13, vcc
	v_add_co_u32_e32 v0, vcc, v0, v16
	s_waitcnt lgkmcnt(0)
	v_mov_b32_e32 v2, 0
	v_addc_co_u32_e32 v1, vcc, 0, v1, vcc
	global_store_dwordx2 v2, v[0:1], s[20:21]
	s_endpgm
.LBB2741_98:
	v_readfirstlane_b32 s4, v4
	v_readfirstlane_b32 s5, v5
	s_waitcnt lgkmcnt(4)
	s_nop 3
	global_store_dword v1, v18, s[4:5]
	s_or_b64 exec, exec, s[2:3]
	v_cmp_lt_u32_e32 vcc, v29, v14
	s_and_saveexec_b64 s[2:3], vcc
	s_cbranch_execz .LBB2741_72
.LBB2741_99:
	v_readfirstlane_b32 s4, v4
	v_readfirstlane_b32 s5, v5
	s_waitcnt lgkmcnt(4)
	s_nop 3
	global_store_dword v1, v19, s[4:5] offset:1024
	s_or_b64 exec, exec, s[2:3]
	v_cmp_lt_u32_e32 vcc, v28, v14
	s_and_saveexec_b64 s[2:3], vcc
	s_cbranch_execz .LBB2741_73
.LBB2741_100:
	v_readfirstlane_b32 s4, v4
	v_readfirstlane_b32 s5, v5
	s_waitcnt lgkmcnt(3)
	s_nop 3
	global_store_dword v1, v10, s[4:5] offset:2048
	s_or_b64 exec, exec, s[2:3]
	v_cmp_lt_u32_e32 vcc, v27, v14
	s_and_saveexec_b64 s[2:3], vcc
	s_cbranch_execz .LBB2741_74
.LBB2741_101:
	v_readfirstlane_b32 s4, v4
	v_readfirstlane_b32 s5, v5
	s_waitcnt lgkmcnt(3)
	s_nop 3
	global_store_dword v1, v11, s[4:5] offset:3072
	s_or_b64 exec, exec, s[2:3]
	v_cmp_lt_u32_e32 vcc, v26, v14
	s_and_saveexec_b64 s[2:3], vcc
	s_cbranch_execz .LBB2741_75
.LBB2741_102:
	v_lshlrev_b32_e32 v17, 2, v26
	v_readfirstlane_b32 s4, v4
	v_readfirstlane_b32 s5, v5
	s_waitcnt lgkmcnt(2)
	s_nop 3
	global_store_dword v17, v8, s[4:5]
	s_or_b64 exec, exec, s[2:3]
	v_cmp_lt_u32_e32 vcc, v25, v14
	s_and_saveexec_b64 s[2:3], vcc
	s_cbranch_execz .LBB2741_76
.LBB2741_103:
	v_lshlrev_b32_e32 v17, 2, v25
	v_readfirstlane_b32 s4, v4
	v_readfirstlane_b32 s5, v5
	s_waitcnt lgkmcnt(2)
	s_nop 3
	global_store_dword v17, v9, s[4:5]
	s_or_b64 exec, exec, s[2:3]
	v_cmp_lt_u32_e32 vcc, v24, v14
	s_and_saveexec_b64 s[2:3], vcc
	s_cbranch_execz .LBB2741_77
.LBB2741_104:
	v_lshlrev_b32_e32 v17, 2, v24
	v_readfirstlane_b32 s4, v4
	v_readfirstlane_b32 s5, v5
	s_waitcnt lgkmcnt(1)
	s_nop 3
	global_store_dword v17, v6, s[4:5]
	s_or_b64 exec, exec, s[2:3]
	v_cmp_lt_u32_e32 vcc, v23, v14
	s_and_saveexec_b64 s[2:3], vcc
	s_cbranch_execz .LBB2741_78
.LBB2741_105:
	v_lshlrev_b32_e32 v17, 2, v23
	v_readfirstlane_b32 s4, v4
	v_readfirstlane_b32 s5, v5
	s_waitcnt lgkmcnt(1)
	s_nop 3
	global_store_dword v17, v7, s[4:5]
	s_or_b64 exec, exec, s[2:3]
	v_cmp_lt_u32_e32 vcc, v22, v14
	s_and_saveexec_b64 s[2:3], vcc
	s_cbranch_execnz .LBB2741_79
	s_branch .LBB2741_80
.LBB2741_106:
	v_readfirstlane_b32 s4, v4
	v_readfirstlane_b32 s5, v5
	s_waitcnt lgkmcnt(4)
	s_nop 3
	global_store_dword v1, v18, s[4:5]
	s_or_b64 exec, exec, s[2:3]
	v_cmp_lt_u32_e32 vcc, v29, v30
	s_and_saveexec_b64 s[2:3], vcc
	s_cbranch_execz .LBB2741_84
.LBB2741_107:
	v_readfirstlane_b32 s4, v4
	v_readfirstlane_b32 s5, v5
	s_waitcnt lgkmcnt(4)
	s_nop 3
	global_store_dword v1, v19, s[4:5] offset:1024
	s_or_b64 exec, exec, s[2:3]
	v_cmp_lt_u32_e32 vcc, v28, v30
	s_and_saveexec_b64 s[2:3], vcc
	s_cbranch_execz .LBB2741_85
.LBB2741_108:
	v_readfirstlane_b32 s4, v4
	v_readfirstlane_b32 s5, v5
	s_waitcnt lgkmcnt(3)
	s_nop 3
	global_store_dword v1, v10, s[4:5] offset:2048
	s_or_b64 exec, exec, s[2:3]
	v_cmp_lt_u32_e32 vcc, v27, v30
	s_and_saveexec_b64 s[2:3], vcc
	s_cbranch_execz .LBB2741_86
.LBB2741_109:
	v_readfirstlane_b32 s4, v4
	v_readfirstlane_b32 s5, v5
	s_waitcnt lgkmcnt(3)
	s_nop 3
	global_store_dword v1, v11, s[4:5] offset:3072
	s_or_b64 exec, exec, s[2:3]
	v_cmp_lt_u32_e32 vcc, v26, v30
	s_and_saveexec_b64 s[2:3], vcc
	s_cbranch_execz .LBB2741_87
.LBB2741_110:
	v_lshlrev_b32_e32 v0, 2, v26
	v_readfirstlane_b32 s4, v4
	v_readfirstlane_b32 s5, v5
	s_waitcnt lgkmcnt(2)
	s_nop 3
	global_store_dword v0, v8, s[4:5]
	s_or_b64 exec, exec, s[2:3]
	v_cmp_lt_u32_e32 vcc, v25, v30
	s_and_saveexec_b64 s[2:3], vcc
	s_cbranch_execz .LBB2741_88
.LBB2741_111:
	v_lshlrev_b32_e32 v0, 2, v25
	v_readfirstlane_b32 s4, v4
	v_readfirstlane_b32 s5, v5
	s_waitcnt lgkmcnt(2)
	s_nop 3
	global_store_dword v0, v9, s[4:5]
	s_or_b64 exec, exec, s[2:3]
	v_cmp_lt_u32_e32 vcc, v24, v30
	s_and_saveexec_b64 s[2:3], vcc
	s_cbranch_execz .LBB2741_89
.LBB2741_112:
	v_lshlrev_b32_e32 v0, 2, v24
	v_readfirstlane_b32 s4, v4
	v_readfirstlane_b32 s5, v5
	s_waitcnt lgkmcnt(1)
	s_nop 3
	global_store_dword v0, v6, s[4:5]
	s_or_b64 exec, exec, s[2:3]
	v_cmp_lt_u32_e32 vcc, v23, v30
	s_and_saveexec_b64 s[2:3], vcc
	s_cbranch_execz .LBB2741_90
.LBB2741_113:
	v_lshlrev_b32_e32 v0, 2, v23
	v_readfirstlane_b32 s4, v4
	v_readfirstlane_b32 s5, v5
	s_waitcnt lgkmcnt(1)
	s_nop 3
	global_store_dword v0, v7, s[4:5]
	s_or_b64 exec, exec, s[2:3]
	v_cmp_lt_u32_e32 vcc, v22, v30
	s_and_saveexec_b64 s[2:3], vcc
	s_cbranch_execnz .LBB2741_91
	s_branch .LBB2741_92
	.section	.rodata,"a",@progbits
	.p2align	6, 0x0
	.amdhsa_kernel _ZN7rocprim17ROCPRIM_400000_NS6detail17trampoline_kernelINS0_14default_configENS1_25partition_config_selectorILNS1_17partition_subalgoE0EiNS0_10empty_typeEbEEZZNS1_14partition_implILS5_0ELb0ES3_jN6thrust23THRUST_200600_302600_NS6detail15normal_iteratorINSA_10device_ptrIiEEEEPS6_SG_NS0_5tupleIJSF_NSA_16discard_iteratorINSA_11use_defaultEEEEEENSH_IJSG_SG_EEES6_PlJ7is_evenIiEEEE10hipError_tPvRmT3_T4_T5_T6_T7_T9_mT8_P12ihipStream_tbDpT10_ENKUlT_T0_E_clISt17integral_constantIbLb0EES18_IbLb1EEEEDaS14_S15_EUlS14_E_NS1_11comp_targetILNS1_3genE4ELNS1_11target_archE910ELNS1_3gpuE8ELNS1_3repE0EEENS1_30default_config_static_selectorELNS0_4arch9wavefront6targetE1EEEvT1_
		.amdhsa_group_segment_fixed_size 10248
		.amdhsa_private_segment_fixed_size 0
		.amdhsa_kernarg_size 144
		.amdhsa_user_sgpr_count 6
		.amdhsa_user_sgpr_private_segment_buffer 1
		.amdhsa_user_sgpr_dispatch_ptr 0
		.amdhsa_user_sgpr_queue_ptr 0
		.amdhsa_user_sgpr_kernarg_segment_ptr 1
		.amdhsa_user_sgpr_dispatch_id 0
		.amdhsa_user_sgpr_flat_scratch_init 0
		.amdhsa_user_sgpr_kernarg_preload_length 0
		.amdhsa_user_sgpr_kernarg_preload_offset 0
		.amdhsa_user_sgpr_private_segment_size 0
		.amdhsa_uses_dynamic_stack 0
		.amdhsa_system_sgpr_private_segment_wavefront_offset 0
		.amdhsa_system_sgpr_workgroup_id_x 1
		.amdhsa_system_sgpr_workgroup_id_y 0
		.amdhsa_system_sgpr_workgroup_id_z 0
		.amdhsa_system_sgpr_workgroup_info 0
		.amdhsa_system_vgpr_workitem_id 0
		.amdhsa_next_free_vgpr 56
		.amdhsa_next_free_sgpr 40
		.amdhsa_accum_offset 56
		.amdhsa_reserve_vcc 1
		.amdhsa_reserve_flat_scratch 0
		.amdhsa_float_round_mode_32 0
		.amdhsa_float_round_mode_16_64 0
		.amdhsa_float_denorm_mode_32 3
		.amdhsa_float_denorm_mode_16_64 3
		.amdhsa_dx10_clamp 1
		.amdhsa_ieee_mode 1
		.amdhsa_fp16_overflow 0
		.amdhsa_tg_split 0
		.amdhsa_exception_fp_ieee_invalid_op 0
		.amdhsa_exception_fp_denorm_src 0
		.amdhsa_exception_fp_ieee_div_zero 0
		.amdhsa_exception_fp_ieee_overflow 0
		.amdhsa_exception_fp_ieee_underflow 0
		.amdhsa_exception_fp_ieee_inexact 0
		.amdhsa_exception_int_div_zero 0
	.end_amdhsa_kernel
	.section	.text._ZN7rocprim17ROCPRIM_400000_NS6detail17trampoline_kernelINS0_14default_configENS1_25partition_config_selectorILNS1_17partition_subalgoE0EiNS0_10empty_typeEbEEZZNS1_14partition_implILS5_0ELb0ES3_jN6thrust23THRUST_200600_302600_NS6detail15normal_iteratorINSA_10device_ptrIiEEEEPS6_SG_NS0_5tupleIJSF_NSA_16discard_iteratorINSA_11use_defaultEEEEEENSH_IJSG_SG_EEES6_PlJ7is_evenIiEEEE10hipError_tPvRmT3_T4_T5_T6_T7_T9_mT8_P12ihipStream_tbDpT10_ENKUlT_T0_E_clISt17integral_constantIbLb0EES18_IbLb1EEEEDaS14_S15_EUlS14_E_NS1_11comp_targetILNS1_3genE4ELNS1_11target_archE910ELNS1_3gpuE8ELNS1_3repE0EEENS1_30default_config_static_selectorELNS0_4arch9wavefront6targetE1EEEvT1_,"axG",@progbits,_ZN7rocprim17ROCPRIM_400000_NS6detail17trampoline_kernelINS0_14default_configENS1_25partition_config_selectorILNS1_17partition_subalgoE0EiNS0_10empty_typeEbEEZZNS1_14partition_implILS5_0ELb0ES3_jN6thrust23THRUST_200600_302600_NS6detail15normal_iteratorINSA_10device_ptrIiEEEEPS6_SG_NS0_5tupleIJSF_NSA_16discard_iteratorINSA_11use_defaultEEEEEENSH_IJSG_SG_EEES6_PlJ7is_evenIiEEEE10hipError_tPvRmT3_T4_T5_T6_T7_T9_mT8_P12ihipStream_tbDpT10_ENKUlT_T0_E_clISt17integral_constantIbLb0EES18_IbLb1EEEEDaS14_S15_EUlS14_E_NS1_11comp_targetILNS1_3genE4ELNS1_11target_archE910ELNS1_3gpuE8ELNS1_3repE0EEENS1_30default_config_static_selectorELNS0_4arch9wavefront6targetE1EEEvT1_,comdat
.Lfunc_end2741:
	.size	_ZN7rocprim17ROCPRIM_400000_NS6detail17trampoline_kernelINS0_14default_configENS1_25partition_config_selectorILNS1_17partition_subalgoE0EiNS0_10empty_typeEbEEZZNS1_14partition_implILS5_0ELb0ES3_jN6thrust23THRUST_200600_302600_NS6detail15normal_iteratorINSA_10device_ptrIiEEEEPS6_SG_NS0_5tupleIJSF_NSA_16discard_iteratorINSA_11use_defaultEEEEEENSH_IJSG_SG_EEES6_PlJ7is_evenIiEEEE10hipError_tPvRmT3_T4_T5_T6_T7_T9_mT8_P12ihipStream_tbDpT10_ENKUlT_T0_E_clISt17integral_constantIbLb0EES18_IbLb1EEEEDaS14_S15_EUlS14_E_NS1_11comp_targetILNS1_3genE4ELNS1_11target_archE910ELNS1_3gpuE8ELNS1_3repE0EEENS1_30default_config_static_selectorELNS0_4arch9wavefront6targetE1EEEvT1_, .Lfunc_end2741-_ZN7rocprim17ROCPRIM_400000_NS6detail17trampoline_kernelINS0_14default_configENS1_25partition_config_selectorILNS1_17partition_subalgoE0EiNS0_10empty_typeEbEEZZNS1_14partition_implILS5_0ELb0ES3_jN6thrust23THRUST_200600_302600_NS6detail15normal_iteratorINSA_10device_ptrIiEEEEPS6_SG_NS0_5tupleIJSF_NSA_16discard_iteratorINSA_11use_defaultEEEEEENSH_IJSG_SG_EEES6_PlJ7is_evenIiEEEE10hipError_tPvRmT3_T4_T5_T6_T7_T9_mT8_P12ihipStream_tbDpT10_ENKUlT_T0_E_clISt17integral_constantIbLb0EES18_IbLb1EEEEDaS14_S15_EUlS14_E_NS1_11comp_targetILNS1_3genE4ELNS1_11target_archE910ELNS1_3gpuE8ELNS1_3repE0EEENS1_30default_config_static_selectorELNS0_4arch9wavefront6targetE1EEEvT1_
                                        ; -- End function
	.section	.AMDGPU.csdata,"",@progbits
; Kernel info:
; codeLenInByte = 5272
; NumSgprs: 44
; NumVgprs: 56
; NumAgprs: 0
; TotalNumVgprs: 56
; ScratchSize: 0
; MemoryBound: 0
; FloatMode: 240
; IeeeMode: 1
; LDSByteSize: 10248 bytes/workgroup (compile time only)
; SGPRBlocks: 5
; VGPRBlocks: 6
; NumSGPRsForWavesPerEU: 44
; NumVGPRsForWavesPerEU: 56
; AccumOffset: 56
; Occupancy: 6
; WaveLimiterHint : 1
; COMPUTE_PGM_RSRC2:SCRATCH_EN: 0
; COMPUTE_PGM_RSRC2:USER_SGPR: 6
; COMPUTE_PGM_RSRC2:TRAP_HANDLER: 0
; COMPUTE_PGM_RSRC2:TGID_X_EN: 1
; COMPUTE_PGM_RSRC2:TGID_Y_EN: 0
; COMPUTE_PGM_RSRC2:TGID_Z_EN: 0
; COMPUTE_PGM_RSRC2:TIDIG_COMP_CNT: 0
; COMPUTE_PGM_RSRC3_GFX90A:ACCUM_OFFSET: 13
; COMPUTE_PGM_RSRC3_GFX90A:TG_SPLIT: 0
	.section	.text._ZN7rocprim17ROCPRIM_400000_NS6detail17trampoline_kernelINS0_14default_configENS1_25partition_config_selectorILNS1_17partition_subalgoE0EiNS0_10empty_typeEbEEZZNS1_14partition_implILS5_0ELb0ES3_jN6thrust23THRUST_200600_302600_NS6detail15normal_iteratorINSA_10device_ptrIiEEEEPS6_SG_NS0_5tupleIJSF_NSA_16discard_iteratorINSA_11use_defaultEEEEEENSH_IJSG_SG_EEES6_PlJ7is_evenIiEEEE10hipError_tPvRmT3_T4_T5_T6_T7_T9_mT8_P12ihipStream_tbDpT10_ENKUlT_T0_E_clISt17integral_constantIbLb0EES18_IbLb1EEEEDaS14_S15_EUlS14_E_NS1_11comp_targetILNS1_3genE3ELNS1_11target_archE908ELNS1_3gpuE7ELNS1_3repE0EEENS1_30default_config_static_selectorELNS0_4arch9wavefront6targetE1EEEvT1_,"axG",@progbits,_ZN7rocprim17ROCPRIM_400000_NS6detail17trampoline_kernelINS0_14default_configENS1_25partition_config_selectorILNS1_17partition_subalgoE0EiNS0_10empty_typeEbEEZZNS1_14partition_implILS5_0ELb0ES3_jN6thrust23THRUST_200600_302600_NS6detail15normal_iteratorINSA_10device_ptrIiEEEEPS6_SG_NS0_5tupleIJSF_NSA_16discard_iteratorINSA_11use_defaultEEEEEENSH_IJSG_SG_EEES6_PlJ7is_evenIiEEEE10hipError_tPvRmT3_T4_T5_T6_T7_T9_mT8_P12ihipStream_tbDpT10_ENKUlT_T0_E_clISt17integral_constantIbLb0EES18_IbLb1EEEEDaS14_S15_EUlS14_E_NS1_11comp_targetILNS1_3genE3ELNS1_11target_archE908ELNS1_3gpuE7ELNS1_3repE0EEENS1_30default_config_static_selectorELNS0_4arch9wavefront6targetE1EEEvT1_,comdat
	.protected	_ZN7rocprim17ROCPRIM_400000_NS6detail17trampoline_kernelINS0_14default_configENS1_25partition_config_selectorILNS1_17partition_subalgoE0EiNS0_10empty_typeEbEEZZNS1_14partition_implILS5_0ELb0ES3_jN6thrust23THRUST_200600_302600_NS6detail15normal_iteratorINSA_10device_ptrIiEEEEPS6_SG_NS0_5tupleIJSF_NSA_16discard_iteratorINSA_11use_defaultEEEEEENSH_IJSG_SG_EEES6_PlJ7is_evenIiEEEE10hipError_tPvRmT3_T4_T5_T6_T7_T9_mT8_P12ihipStream_tbDpT10_ENKUlT_T0_E_clISt17integral_constantIbLb0EES18_IbLb1EEEEDaS14_S15_EUlS14_E_NS1_11comp_targetILNS1_3genE3ELNS1_11target_archE908ELNS1_3gpuE7ELNS1_3repE0EEENS1_30default_config_static_selectorELNS0_4arch9wavefront6targetE1EEEvT1_ ; -- Begin function _ZN7rocprim17ROCPRIM_400000_NS6detail17trampoline_kernelINS0_14default_configENS1_25partition_config_selectorILNS1_17partition_subalgoE0EiNS0_10empty_typeEbEEZZNS1_14partition_implILS5_0ELb0ES3_jN6thrust23THRUST_200600_302600_NS6detail15normal_iteratorINSA_10device_ptrIiEEEEPS6_SG_NS0_5tupleIJSF_NSA_16discard_iteratorINSA_11use_defaultEEEEEENSH_IJSG_SG_EEES6_PlJ7is_evenIiEEEE10hipError_tPvRmT3_T4_T5_T6_T7_T9_mT8_P12ihipStream_tbDpT10_ENKUlT_T0_E_clISt17integral_constantIbLb0EES18_IbLb1EEEEDaS14_S15_EUlS14_E_NS1_11comp_targetILNS1_3genE3ELNS1_11target_archE908ELNS1_3gpuE7ELNS1_3repE0EEENS1_30default_config_static_selectorELNS0_4arch9wavefront6targetE1EEEvT1_
	.globl	_ZN7rocprim17ROCPRIM_400000_NS6detail17trampoline_kernelINS0_14default_configENS1_25partition_config_selectorILNS1_17partition_subalgoE0EiNS0_10empty_typeEbEEZZNS1_14partition_implILS5_0ELb0ES3_jN6thrust23THRUST_200600_302600_NS6detail15normal_iteratorINSA_10device_ptrIiEEEEPS6_SG_NS0_5tupleIJSF_NSA_16discard_iteratorINSA_11use_defaultEEEEEENSH_IJSG_SG_EEES6_PlJ7is_evenIiEEEE10hipError_tPvRmT3_T4_T5_T6_T7_T9_mT8_P12ihipStream_tbDpT10_ENKUlT_T0_E_clISt17integral_constantIbLb0EES18_IbLb1EEEEDaS14_S15_EUlS14_E_NS1_11comp_targetILNS1_3genE3ELNS1_11target_archE908ELNS1_3gpuE7ELNS1_3repE0EEENS1_30default_config_static_selectorELNS0_4arch9wavefront6targetE1EEEvT1_
	.p2align	8
	.type	_ZN7rocprim17ROCPRIM_400000_NS6detail17trampoline_kernelINS0_14default_configENS1_25partition_config_selectorILNS1_17partition_subalgoE0EiNS0_10empty_typeEbEEZZNS1_14partition_implILS5_0ELb0ES3_jN6thrust23THRUST_200600_302600_NS6detail15normal_iteratorINSA_10device_ptrIiEEEEPS6_SG_NS0_5tupleIJSF_NSA_16discard_iteratorINSA_11use_defaultEEEEEENSH_IJSG_SG_EEES6_PlJ7is_evenIiEEEE10hipError_tPvRmT3_T4_T5_T6_T7_T9_mT8_P12ihipStream_tbDpT10_ENKUlT_T0_E_clISt17integral_constantIbLb0EES18_IbLb1EEEEDaS14_S15_EUlS14_E_NS1_11comp_targetILNS1_3genE3ELNS1_11target_archE908ELNS1_3gpuE7ELNS1_3repE0EEENS1_30default_config_static_selectorELNS0_4arch9wavefront6targetE1EEEvT1_,@function
_ZN7rocprim17ROCPRIM_400000_NS6detail17trampoline_kernelINS0_14default_configENS1_25partition_config_selectorILNS1_17partition_subalgoE0EiNS0_10empty_typeEbEEZZNS1_14partition_implILS5_0ELb0ES3_jN6thrust23THRUST_200600_302600_NS6detail15normal_iteratorINSA_10device_ptrIiEEEEPS6_SG_NS0_5tupleIJSF_NSA_16discard_iteratorINSA_11use_defaultEEEEEENSH_IJSG_SG_EEES6_PlJ7is_evenIiEEEE10hipError_tPvRmT3_T4_T5_T6_T7_T9_mT8_P12ihipStream_tbDpT10_ENKUlT_T0_E_clISt17integral_constantIbLb0EES18_IbLb1EEEEDaS14_S15_EUlS14_E_NS1_11comp_targetILNS1_3genE3ELNS1_11target_archE908ELNS1_3gpuE7ELNS1_3repE0EEENS1_30default_config_static_selectorELNS0_4arch9wavefront6targetE1EEEvT1_: ; @_ZN7rocprim17ROCPRIM_400000_NS6detail17trampoline_kernelINS0_14default_configENS1_25partition_config_selectorILNS1_17partition_subalgoE0EiNS0_10empty_typeEbEEZZNS1_14partition_implILS5_0ELb0ES3_jN6thrust23THRUST_200600_302600_NS6detail15normal_iteratorINSA_10device_ptrIiEEEEPS6_SG_NS0_5tupleIJSF_NSA_16discard_iteratorINSA_11use_defaultEEEEEENSH_IJSG_SG_EEES6_PlJ7is_evenIiEEEE10hipError_tPvRmT3_T4_T5_T6_T7_T9_mT8_P12ihipStream_tbDpT10_ENKUlT_T0_E_clISt17integral_constantIbLb0EES18_IbLb1EEEEDaS14_S15_EUlS14_E_NS1_11comp_targetILNS1_3genE3ELNS1_11target_archE908ELNS1_3gpuE7ELNS1_3repE0EEENS1_30default_config_static_selectorELNS0_4arch9wavefront6targetE1EEEvT1_
; %bb.0:
	.section	.rodata,"a",@progbits
	.p2align	6, 0x0
	.amdhsa_kernel _ZN7rocprim17ROCPRIM_400000_NS6detail17trampoline_kernelINS0_14default_configENS1_25partition_config_selectorILNS1_17partition_subalgoE0EiNS0_10empty_typeEbEEZZNS1_14partition_implILS5_0ELb0ES3_jN6thrust23THRUST_200600_302600_NS6detail15normal_iteratorINSA_10device_ptrIiEEEEPS6_SG_NS0_5tupleIJSF_NSA_16discard_iteratorINSA_11use_defaultEEEEEENSH_IJSG_SG_EEES6_PlJ7is_evenIiEEEE10hipError_tPvRmT3_T4_T5_T6_T7_T9_mT8_P12ihipStream_tbDpT10_ENKUlT_T0_E_clISt17integral_constantIbLb0EES18_IbLb1EEEEDaS14_S15_EUlS14_E_NS1_11comp_targetILNS1_3genE3ELNS1_11target_archE908ELNS1_3gpuE7ELNS1_3repE0EEENS1_30default_config_static_selectorELNS0_4arch9wavefront6targetE1EEEvT1_
		.amdhsa_group_segment_fixed_size 0
		.amdhsa_private_segment_fixed_size 0
		.amdhsa_kernarg_size 144
		.amdhsa_user_sgpr_count 6
		.amdhsa_user_sgpr_private_segment_buffer 1
		.amdhsa_user_sgpr_dispatch_ptr 0
		.amdhsa_user_sgpr_queue_ptr 0
		.amdhsa_user_sgpr_kernarg_segment_ptr 1
		.amdhsa_user_sgpr_dispatch_id 0
		.amdhsa_user_sgpr_flat_scratch_init 0
		.amdhsa_user_sgpr_kernarg_preload_length 0
		.amdhsa_user_sgpr_kernarg_preload_offset 0
		.amdhsa_user_sgpr_private_segment_size 0
		.amdhsa_uses_dynamic_stack 0
		.amdhsa_system_sgpr_private_segment_wavefront_offset 0
		.amdhsa_system_sgpr_workgroup_id_x 1
		.amdhsa_system_sgpr_workgroup_id_y 0
		.amdhsa_system_sgpr_workgroup_id_z 0
		.amdhsa_system_sgpr_workgroup_info 0
		.amdhsa_system_vgpr_workitem_id 0
		.amdhsa_next_free_vgpr 1
		.amdhsa_next_free_sgpr 0
		.amdhsa_accum_offset 4
		.amdhsa_reserve_vcc 0
		.amdhsa_reserve_flat_scratch 0
		.amdhsa_float_round_mode_32 0
		.amdhsa_float_round_mode_16_64 0
		.amdhsa_float_denorm_mode_32 3
		.amdhsa_float_denorm_mode_16_64 3
		.amdhsa_dx10_clamp 1
		.amdhsa_ieee_mode 1
		.amdhsa_fp16_overflow 0
		.amdhsa_tg_split 0
		.amdhsa_exception_fp_ieee_invalid_op 0
		.amdhsa_exception_fp_denorm_src 0
		.amdhsa_exception_fp_ieee_div_zero 0
		.amdhsa_exception_fp_ieee_overflow 0
		.amdhsa_exception_fp_ieee_underflow 0
		.amdhsa_exception_fp_ieee_inexact 0
		.amdhsa_exception_int_div_zero 0
	.end_amdhsa_kernel
	.section	.text._ZN7rocprim17ROCPRIM_400000_NS6detail17trampoline_kernelINS0_14default_configENS1_25partition_config_selectorILNS1_17partition_subalgoE0EiNS0_10empty_typeEbEEZZNS1_14partition_implILS5_0ELb0ES3_jN6thrust23THRUST_200600_302600_NS6detail15normal_iteratorINSA_10device_ptrIiEEEEPS6_SG_NS0_5tupleIJSF_NSA_16discard_iteratorINSA_11use_defaultEEEEEENSH_IJSG_SG_EEES6_PlJ7is_evenIiEEEE10hipError_tPvRmT3_T4_T5_T6_T7_T9_mT8_P12ihipStream_tbDpT10_ENKUlT_T0_E_clISt17integral_constantIbLb0EES18_IbLb1EEEEDaS14_S15_EUlS14_E_NS1_11comp_targetILNS1_3genE3ELNS1_11target_archE908ELNS1_3gpuE7ELNS1_3repE0EEENS1_30default_config_static_selectorELNS0_4arch9wavefront6targetE1EEEvT1_,"axG",@progbits,_ZN7rocprim17ROCPRIM_400000_NS6detail17trampoline_kernelINS0_14default_configENS1_25partition_config_selectorILNS1_17partition_subalgoE0EiNS0_10empty_typeEbEEZZNS1_14partition_implILS5_0ELb0ES3_jN6thrust23THRUST_200600_302600_NS6detail15normal_iteratorINSA_10device_ptrIiEEEEPS6_SG_NS0_5tupleIJSF_NSA_16discard_iteratorINSA_11use_defaultEEEEEENSH_IJSG_SG_EEES6_PlJ7is_evenIiEEEE10hipError_tPvRmT3_T4_T5_T6_T7_T9_mT8_P12ihipStream_tbDpT10_ENKUlT_T0_E_clISt17integral_constantIbLb0EES18_IbLb1EEEEDaS14_S15_EUlS14_E_NS1_11comp_targetILNS1_3genE3ELNS1_11target_archE908ELNS1_3gpuE7ELNS1_3repE0EEENS1_30default_config_static_selectorELNS0_4arch9wavefront6targetE1EEEvT1_,comdat
.Lfunc_end2742:
	.size	_ZN7rocprim17ROCPRIM_400000_NS6detail17trampoline_kernelINS0_14default_configENS1_25partition_config_selectorILNS1_17partition_subalgoE0EiNS0_10empty_typeEbEEZZNS1_14partition_implILS5_0ELb0ES3_jN6thrust23THRUST_200600_302600_NS6detail15normal_iteratorINSA_10device_ptrIiEEEEPS6_SG_NS0_5tupleIJSF_NSA_16discard_iteratorINSA_11use_defaultEEEEEENSH_IJSG_SG_EEES6_PlJ7is_evenIiEEEE10hipError_tPvRmT3_T4_T5_T6_T7_T9_mT8_P12ihipStream_tbDpT10_ENKUlT_T0_E_clISt17integral_constantIbLb0EES18_IbLb1EEEEDaS14_S15_EUlS14_E_NS1_11comp_targetILNS1_3genE3ELNS1_11target_archE908ELNS1_3gpuE7ELNS1_3repE0EEENS1_30default_config_static_selectorELNS0_4arch9wavefront6targetE1EEEvT1_, .Lfunc_end2742-_ZN7rocprim17ROCPRIM_400000_NS6detail17trampoline_kernelINS0_14default_configENS1_25partition_config_selectorILNS1_17partition_subalgoE0EiNS0_10empty_typeEbEEZZNS1_14partition_implILS5_0ELb0ES3_jN6thrust23THRUST_200600_302600_NS6detail15normal_iteratorINSA_10device_ptrIiEEEEPS6_SG_NS0_5tupleIJSF_NSA_16discard_iteratorINSA_11use_defaultEEEEEENSH_IJSG_SG_EEES6_PlJ7is_evenIiEEEE10hipError_tPvRmT3_T4_T5_T6_T7_T9_mT8_P12ihipStream_tbDpT10_ENKUlT_T0_E_clISt17integral_constantIbLb0EES18_IbLb1EEEEDaS14_S15_EUlS14_E_NS1_11comp_targetILNS1_3genE3ELNS1_11target_archE908ELNS1_3gpuE7ELNS1_3repE0EEENS1_30default_config_static_selectorELNS0_4arch9wavefront6targetE1EEEvT1_
                                        ; -- End function
	.section	.AMDGPU.csdata,"",@progbits
; Kernel info:
; codeLenInByte = 0
; NumSgprs: 4
; NumVgprs: 0
; NumAgprs: 0
; TotalNumVgprs: 0
; ScratchSize: 0
; MemoryBound: 0
; FloatMode: 240
; IeeeMode: 1
; LDSByteSize: 0 bytes/workgroup (compile time only)
; SGPRBlocks: 0
; VGPRBlocks: 0
; NumSGPRsForWavesPerEU: 4
; NumVGPRsForWavesPerEU: 1
; AccumOffset: 4
; Occupancy: 8
; WaveLimiterHint : 0
; COMPUTE_PGM_RSRC2:SCRATCH_EN: 0
; COMPUTE_PGM_RSRC2:USER_SGPR: 6
; COMPUTE_PGM_RSRC2:TRAP_HANDLER: 0
; COMPUTE_PGM_RSRC2:TGID_X_EN: 1
; COMPUTE_PGM_RSRC2:TGID_Y_EN: 0
; COMPUTE_PGM_RSRC2:TGID_Z_EN: 0
; COMPUTE_PGM_RSRC2:TIDIG_COMP_CNT: 0
; COMPUTE_PGM_RSRC3_GFX90A:ACCUM_OFFSET: 0
; COMPUTE_PGM_RSRC3_GFX90A:TG_SPLIT: 0
	.section	.text._ZN7rocprim17ROCPRIM_400000_NS6detail17trampoline_kernelINS0_14default_configENS1_25partition_config_selectorILNS1_17partition_subalgoE0EiNS0_10empty_typeEbEEZZNS1_14partition_implILS5_0ELb0ES3_jN6thrust23THRUST_200600_302600_NS6detail15normal_iteratorINSA_10device_ptrIiEEEEPS6_SG_NS0_5tupleIJSF_NSA_16discard_iteratorINSA_11use_defaultEEEEEENSH_IJSG_SG_EEES6_PlJ7is_evenIiEEEE10hipError_tPvRmT3_T4_T5_T6_T7_T9_mT8_P12ihipStream_tbDpT10_ENKUlT_T0_E_clISt17integral_constantIbLb0EES18_IbLb1EEEEDaS14_S15_EUlS14_E_NS1_11comp_targetILNS1_3genE2ELNS1_11target_archE906ELNS1_3gpuE6ELNS1_3repE0EEENS1_30default_config_static_selectorELNS0_4arch9wavefront6targetE1EEEvT1_,"axG",@progbits,_ZN7rocprim17ROCPRIM_400000_NS6detail17trampoline_kernelINS0_14default_configENS1_25partition_config_selectorILNS1_17partition_subalgoE0EiNS0_10empty_typeEbEEZZNS1_14partition_implILS5_0ELb0ES3_jN6thrust23THRUST_200600_302600_NS6detail15normal_iteratorINSA_10device_ptrIiEEEEPS6_SG_NS0_5tupleIJSF_NSA_16discard_iteratorINSA_11use_defaultEEEEEENSH_IJSG_SG_EEES6_PlJ7is_evenIiEEEE10hipError_tPvRmT3_T4_T5_T6_T7_T9_mT8_P12ihipStream_tbDpT10_ENKUlT_T0_E_clISt17integral_constantIbLb0EES18_IbLb1EEEEDaS14_S15_EUlS14_E_NS1_11comp_targetILNS1_3genE2ELNS1_11target_archE906ELNS1_3gpuE6ELNS1_3repE0EEENS1_30default_config_static_selectorELNS0_4arch9wavefront6targetE1EEEvT1_,comdat
	.protected	_ZN7rocprim17ROCPRIM_400000_NS6detail17trampoline_kernelINS0_14default_configENS1_25partition_config_selectorILNS1_17partition_subalgoE0EiNS0_10empty_typeEbEEZZNS1_14partition_implILS5_0ELb0ES3_jN6thrust23THRUST_200600_302600_NS6detail15normal_iteratorINSA_10device_ptrIiEEEEPS6_SG_NS0_5tupleIJSF_NSA_16discard_iteratorINSA_11use_defaultEEEEEENSH_IJSG_SG_EEES6_PlJ7is_evenIiEEEE10hipError_tPvRmT3_T4_T5_T6_T7_T9_mT8_P12ihipStream_tbDpT10_ENKUlT_T0_E_clISt17integral_constantIbLb0EES18_IbLb1EEEEDaS14_S15_EUlS14_E_NS1_11comp_targetILNS1_3genE2ELNS1_11target_archE906ELNS1_3gpuE6ELNS1_3repE0EEENS1_30default_config_static_selectorELNS0_4arch9wavefront6targetE1EEEvT1_ ; -- Begin function _ZN7rocprim17ROCPRIM_400000_NS6detail17trampoline_kernelINS0_14default_configENS1_25partition_config_selectorILNS1_17partition_subalgoE0EiNS0_10empty_typeEbEEZZNS1_14partition_implILS5_0ELb0ES3_jN6thrust23THRUST_200600_302600_NS6detail15normal_iteratorINSA_10device_ptrIiEEEEPS6_SG_NS0_5tupleIJSF_NSA_16discard_iteratorINSA_11use_defaultEEEEEENSH_IJSG_SG_EEES6_PlJ7is_evenIiEEEE10hipError_tPvRmT3_T4_T5_T6_T7_T9_mT8_P12ihipStream_tbDpT10_ENKUlT_T0_E_clISt17integral_constantIbLb0EES18_IbLb1EEEEDaS14_S15_EUlS14_E_NS1_11comp_targetILNS1_3genE2ELNS1_11target_archE906ELNS1_3gpuE6ELNS1_3repE0EEENS1_30default_config_static_selectorELNS0_4arch9wavefront6targetE1EEEvT1_
	.globl	_ZN7rocprim17ROCPRIM_400000_NS6detail17trampoline_kernelINS0_14default_configENS1_25partition_config_selectorILNS1_17partition_subalgoE0EiNS0_10empty_typeEbEEZZNS1_14partition_implILS5_0ELb0ES3_jN6thrust23THRUST_200600_302600_NS6detail15normal_iteratorINSA_10device_ptrIiEEEEPS6_SG_NS0_5tupleIJSF_NSA_16discard_iteratorINSA_11use_defaultEEEEEENSH_IJSG_SG_EEES6_PlJ7is_evenIiEEEE10hipError_tPvRmT3_T4_T5_T6_T7_T9_mT8_P12ihipStream_tbDpT10_ENKUlT_T0_E_clISt17integral_constantIbLb0EES18_IbLb1EEEEDaS14_S15_EUlS14_E_NS1_11comp_targetILNS1_3genE2ELNS1_11target_archE906ELNS1_3gpuE6ELNS1_3repE0EEENS1_30default_config_static_selectorELNS0_4arch9wavefront6targetE1EEEvT1_
	.p2align	8
	.type	_ZN7rocprim17ROCPRIM_400000_NS6detail17trampoline_kernelINS0_14default_configENS1_25partition_config_selectorILNS1_17partition_subalgoE0EiNS0_10empty_typeEbEEZZNS1_14partition_implILS5_0ELb0ES3_jN6thrust23THRUST_200600_302600_NS6detail15normal_iteratorINSA_10device_ptrIiEEEEPS6_SG_NS0_5tupleIJSF_NSA_16discard_iteratorINSA_11use_defaultEEEEEENSH_IJSG_SG_EEES6_PlJ7is_evenIiEEEE10hipError_tPvRmT3_T4_T5_T6_T7_T9_mT8_P12ihipStream_tbDpT10_ENKUlT_T0_E_clISt17integral_constantIbLb0EES18_IbLb1EEEEDaS14_S15_EUlS14_E_NS1_11comp_targetILNS1_3genE2ELNS1_11target_archE906ELNS1_3gpuE6ELNS1_3repE0EEENS1_30default_config_static_selectorELNS0_4arch9wavefront6targetE1EEEvT1_,@function
_ZN7rocprim17ROCPRIM_400000_NS6detail17trampoline_kernelINS0_14default_configENS1_25partition_config_selectorILNS1_17partition_subalgoE0EiNS0_10empty_typeEbEEZZNS1_14partition_implILS5_0ELb0ES3_jN6thrust23THRUST_200600_302600_NS6detail15normal_iteratorINSA_10device_ptrIiEEEEPS6_SG_NS0_5tupleIJSF_NSA_16discard_iteratorINSA_11use_defaultEEEEEENSH_IJSG_SG_EEES6_PlJ7is_evenIiEEEE10hipError_tPvRmT3_T4_T5_T6_T7_T9_mT8_P12ihipStream_tbDpT10_ENKUlT_T0_E_clISt17integral_constantIbLb0EES18_IbLb1EEEEDaS14_S15_EUlS14_E_NS1_11comp_targetILNS1_3genE2ELNS1_11target_archE906ELNS1_3gpuE6ELNS1_3repE0EEENS1_30default_config_static_selectorELNS0_4arch9wavefront6targetE1EEEvT1_: ; @_ZN7rocprim17ROCPRIM_400000_NS6detail17trampoline_kernelINS0_14default_configENS1_25partition_config_selectorILNS1_17partition_subalgoE0EiNS0_10empty_typeEbEEZZNS1_14partition_implILS5_0ELb0ES3_jN6thrust23THRUST_200600_302600_NS6detail15normal_iteratorINSA_10device_ptrIiEEEEPS6_SG_NS0_5tupleIJSF_NSA_16discard_iteratorINSA_11use_defaultEEEEEENSH_IJSG_SG_EEES6_PlJ7is_evenIiEEEE10hipError_tPvRmT3_T4_T5_T6_T7_T9_mT8_P12ihipStream_tbDpT10_ENKUlT_T0_E_clISt17integral_constantIbLb0EES18_IbLb1EEEEDaS14_S15_EUlS14_E_NS1_11comp_targetILNS1_3genE2ELNS1_11target_archE906ELNS1_3gpuE6ELNS1_3repE0EEENS1_30default_config_static_selectorELNS0_4arch9wavefront6targetE1EEEvT1_
; %bb.0:
	.section	.rodata,"a",@progbits
	.p2align	6, 0x0
	.amdhsa_kernel _ZN7rocprim17ROCPRIM_400000_NS6detail17trampoline_kernelINS0_14default_configENS1_25partition_config_selectorILNS1_17partition_subalgoE0EiNS0_10empty_typeEbEEZZNS1_14partition_implILS5_0ELb0ES3_jN6thrust23THRUST_200600_302600_NS6detail15normal_iteratorINSA_10device_ptrIiEEEEPS6_SG_NS0_5tupleIJSF_NSA_16discard_iteratorINSA_11use_defaultEEEEEENSH_IJSG_SG_EEES6_PlJ7is_evenIiEEEE10hipError_tPvRmT3_T4_T5_T6_T7_T9_mT8_P12ihipStream_tbDpT10_ENKUlT_T0_E_clISt17integral_constantIbLb0EES18_IbLb1EEEEDaS14_S15_EUlS14_E_NS1_11comp_targetILNS1_3genE2ELNS1_11target_archE906ELNS1_3gpuE6ELNS1_3repE0EEENS1_30default_config_static_selectorELNS0_4arch9wavefront6targetE1EEEvT1_
		.amdhsa_group_segment_fixed_size 0
		.amdhsa_private_segment_fixed_size 0
		.amdhsa_kernarg_size 144
		.amdhsa_user_sgpr_count 6
		.amdhsa_user_sgpr_private_segment_buffer 1
		.amdhsa_user_sgpr_dispatch_ptr 0
		.amdhsa_user_sgpr_queue_ptr 0
		.amdhsa_user_sgpr_kernarg_segment_ptr 1
		.amdhsa_user_sgpr_dispatch_id 0
		.amdhsa_user_sgpr_flat_scratch_init 0
		.amdhsa_user_sgpr_kernarg_preload_length 0
		.amdhsa_user_sgpr_kernarg_preload_offset 0
		.amdhsa_user_sgpr_private_segment_size 0
		.amdhsa_uses_dynamic_stack 0
		.amdhsa_system_sgpr_private_segment_wavefront_offset 0
		.amdhsa_system_sgpr_workgroup_id_x 1
		.amdhsa_system_sgpr_workgroup_id_y 0
		.amdhsa_system_sgpr_workgroup_id_z 0
		.amdhsa_system_sgpr_workgroup_info 0
		.amdhsa_system_vgpr_workitem_id 0
		.amdhsa_next_free_vgpr 1
		.amdhsa_next_free_sgpr 0
		.amdhsa_accum_offset 4
		.amdhsa_reserve_vcc 0
		.amdhsa_reserve_flat_scratch 0
		.amdhsa_float_round_mode_32 0
		.amdhsa_float_round_mode_16_64 0
		.amdhsa_float_denorm_mode_32 3
		.amdhsa_float_denorm_mode_16_64 3
		.amdhsa_dx10_clamp 1
		.amdhsa_ieee_mode 1
		.amdhsa_fp16_overflow 0
		.amdhsa_tg_split 0
		.amdhsa_exception_fp_ieee_invalid_op 0
		.amdhsa_exception_fp_denorm_src 0
		.amdhsa_exception_fp_ieee_div_zero 0
		.amdhsa_exception_fp_ieee_overflow 0
		.amdhsa_exception_fp_ieee_underflow 0
		.amdhsa_exception_fp_ieee_inexact 0
		.amdhsa_exception_int_div_zero 0
	.end_amdhsa_kernel
	.section	.text._ZN7rocprim17ROCPRIM_400000_NS6detail17trampoline_kernelINS0_14default_configENS1_25partition_config_selectorILNS1_17partition_subalgoE0EiNS0_10empty_typeEbEEZZNS1_14partition_implILS5_0ELb0ES3_jN6thrust23THRUST_200600_302600_NS6detail15normal_iteratorINSA_10device_ptrIiEEEEPS6_SG_NS0_5tupleIJSF_NSA_16discard_iteratorINSA_11use_defaultEEEEEENSH_IJSG_SG_EEES6_PlJ7is_evenIiEEEE10hipError_tPvRmT3_T4_T5_T6_T7_T9_mT8_P12ihipStream_tbDpT10_ENKUlT_T0_E_clISt17integral_constantIbLb0EES18_IbLb1EEEEDaS14_S15_EUlS14_E_NS1_11comp_targetILNS1_3genE2ELNS1_11target_archE906ELNS1_3gpuE6ELNS1_3repE0EEENS1_30default_config_static_selectorELNS0_4arch9wavefront6targetE1EEEvT1_,"axG",@progbits,_ZN7rocprim17ROCPRIM_400000_NS6detail17trampoline_kernelINS0_14default_configENS1_25partition_config_selectorILNS1_17partition_subalgoE0EiNS0_10empty_typeEbEEZZNS1_14partition_implILS5_0ELb0ES3_jN6thrust23THRUST_200600_302600_NS6detail15normal_iteratorINSA_10device_ptrIiEEEEPS6_SG_NS0_5tupleIJSF_NSA_16discard_iteratorINSA_11use_defaultEEEEEENSH_IJSG_SG_EEES6_PlJ7is_evenIiEEEE10hipError_tPvRmT3_T4_T5_T6_T7_T9_mT8_P12ihipStream_tbDpT10_ENKUlT_T0_E_clISt17integral_constantIbLb0EES18_IbLb1EEEEDaS14_S15_EUlS14_E_NS1_11comp_targetILNS1_3genE2ELNS1_11target_archE906ELNS1_3gpuE6ELNS1_3repE0EEENS1_30default_config_static_selectorELNS0_4arch9wavefront6targetE1EEEvT1_,comdat
.Lfunc_end2743:
	.size	_ZN7rocprim17ROCPRIM_400000_NS6detail17trampoline_kernelINS0_14default_configENS1_25partition_config_selectorILNS1_17partition_subalgoE0EiNS0_10empty_typeEbEEZZNS1_14partition_implILS5_0ELb0ES3_jN6thrust23THRUST_200600_302600_NS6detail15normal_iteratorINSA_10device_ptrIiEEEEPS6_SG_NS0_5tupleIJSF_NSA_16discard_iteratorINSA_11use_defaultEEEEEENSH_IJSG_SG_EEES6_PlJ7is_evenIiEEEE10hipError_tPvRmT3_T4_T5_T6_T7_T9_mT8_P12ihipStream_tbDpT10_ENKUlT_T0_E_clISt17integral_constantIbLb0EES18_IbLb1EEEEDaS14_S15_EUlS14_E_NS1_11comp_targetILNS1_3genE2ELNS1_11target_archE906ELNS1_3gpuE6ELNS1_3repE0EEENS1_30default_config_static_selectorELNS0_4arch9wavefront6targetE1EEEvT1_, .Lfunc_end2743-_ZN7rocprim17ROCPRIM_400000_NS6detail17trampoline_kernelINS0_14default_configENS1_25partition_config_selectorILNS1_17partition_subalgoE0EiNS0_10empty_typeEbEEZZNS1_14partition_implILS5_0ELb0ES3_jN6thrust23THRUST_200600_302600_NS6detail15normal_iteratorINSA_10device_ptrIiEEEEPS6_SG_NS0_5tupleIJSF_NSA_16discard_iteratorINSA_11use_defaultEEEEEENSH_IJSG_SG_EEES6_PlJ7is_evenIiEEEE10hipError_tPvRmT3_T4_T5_T6_T7_T9_mT8_P12ihipStream_tbDpT10_ENKUlT_T0_E_clISt17integral_constantIbLb0EES18_IbLb1EEEEDaS14_S15_EUlS14_E_NS1_11comp_targetILNS1_3genE2ELNS1_11target_archE906ELNS1_3gpuE6ELNS1_3repE0EEENS1_30default_config_static_selectorELNS0_4arch9wavefront6targetE1EEEvT1_
                                        ; -- End function
	.section	.AMDGPU.csdata,"",@progbits
; Kernel info:
; codeLenInByte = 0
; NumSgprs: 4
; NumVgprs: 0
; NumAgprs: 0
; TotalNumVgprs: 0
; ScratchSize: 0
; MemoryBound: 0
; FloatMode: 240
; IeeeMode: 1
; LDSByteSize: 0 bytes/workgroup (compile time only)
; SGPRBlocks: 0
; VGPRBlocks: 0
; NumSGPRsForWavesPerEU: 4
; NumVGPRsForWavesPerEU: 1
; AccumOffset: 4
; Occupancy: 8
; WaveLimiterHint : 0
; COMPUTE_PGM_RSRC2:SCRATCH_EN: 0
; COMPUTE_PGM_RSRC2:USER_SGPR: 6
; COMPUTE_PGM_RSRC2:TRAP_HANDLER: 0
; COMPUTE_PGM_RSRC2:TGID_X_EN: 1
; COMPUTE_PGM_RSRC2:TGID_Y_EN: 0
; COMPUTE_PGM_RSRC2:TGID_Z_EN: 0
; COMPUTE_PGM_RSRC2:TIDIG_COMP_CNT: 0
; COMPUTE_PGM_RSRC3_GFX90A:ACCUM_OFFSET: 0
; COMPUTE_PGM_RSRC3_GFX90A:TG_SPLIT: 0
	.section	.text._ZN7rocprim17ROCPRIM_400000_NS6detail17trampoline_kernelINS0_14default_configENS1_25partition_config_selectorILNS1_17partition_subalgoE0EiNS0_10empty_typeEbEEZZNS1_14partition_implILS5_0ELb0ES3_jN6thrust23THRUST_200600_302600_NS6detail15normal_iteratorINSA_10device_ptrIiEEEEPS6_SG_NS0_5tupleIJSF_NSA_16discard_iteratorINSA_11use_defaultEEEEEENSH_IJSG_SG_EEES6_PlJ7is_evenIiEEEE10hipError_tPvRmT3_T4_T5_T6_T7_T9_mT8_P12ihipStream_tbDpT10_ENKUlT_T0_E_clISt17integral_constantIbLb0EES18_IbLb1EEEEDaS14_S15_EUlS14_E_NS1_11comp_targetILNS1_3genE10ELNS1_11target_archE1200ELNS1_3gpuE4ELNS1_3repE0EEENS1_30default_config_static_selectorELNS0_4arch9wavefront6targetE1EEEvT1_,"axG",@progbits,_ZN7rocprim17ROCPRIM_400000_NS6detail17trampoline_kernelINS0_14default_configENS1_25partition_config_selectorILNS1_17partition_subalgoE0EiNS0_10empty_typeEbEEZZNS1_14partition_implILS5_0ELb0ES3_jN6thrust23THRUST_200600_302600_NS6detail15normal_iteratorINSA_10device_ptrIiEEEEPS6_SG_NS0_5tupleIJSF_NSA_16discard_iteratorINSA_11use_defaultEEEEEENSH_IJSG_SG_EEES6_PlJ7is_evenIiEEEE10hipError_tPvRmT3_T4_T5_T6_T7_T9_mT8_P12ihipStream_tbDpT10_ENKUlT_T0_E_clISt17integral_constantIbLb0EES18_IbLb1EEEEDaS14_S15_EUlS14_E_NS1_11comp_targetILNS1_3genE10ELNS1_11target_archE1200ELNS1_3gpuE4ELNS1_3repE0EEENS1_30default_config_static_selectorELNS0_4arch9wavefront6targetE1EEEvT1_,comdat
	.protected	_ZN7rocprim17ROCPRIM_400000_NS6detail17trampoline_kernelINS0_14default_configENS1_25partition_config_selectorILNS1_17partition_subalgoE0EiNS0_10empty_typeEbEEZZNS1_14partition_implILS5_0ELb0ES3_jN6thrust23THRUST_200600_302600_NS6detail15normal_iteratorINSA_10device_ptrIiEEEEPS6_SG_NS0_5tupleIJSF_NSA_16discard_iteratorINSA_11use_defaultEEEEEENSH_IJSG_SG_EEES6_PlJ7is_evenIiEEEE10hipError_tPvRmT3_T4_T5_T6_T7_T9_mT8_P12ihipStream_tbDpT10_ENKUlT_T0_E_clISt17integral_constantIbLb0EES18_IbLb1EEEEDaS14_S15_EUlS14_E_NS1_11comp_targetILNS1_3genE10ELNS1_11target_archE1200ELNS1_3gpuE4ELNS1_3repE0EEENS1_30default_config_static_selectorELNS0_4arch9wavefront6targetE1EEEvT1_ ; -- Begin function _ZN7rocprim17ROCPRIM_400000_NS6detail17trampoline_kernelINS0_14default_configENS1_25partition_config_selectorILNS1_17partition_subalgoE0EiNS0_10empty_typeEbEEZZNS1_14partition_implILS5_0ELb0ES3_jN6thrust23THRUST_200600_302600_NS6detail15normal_iteratorINSA_10device_ptrIiEEEEPS6_SG_NS0_5tupleIJSF_NSA_16discard_iteratorINSA_11use_defaultEEEEEENSH_IJSG_SG_EEES6_PlJ7is_evenIiEEEE10hipError_tPvRmT3_T4_T5_T6_T7_T9_mT8_P12ihipStream_tbDpT10_ENKUlT_T0_E_clISt17integral_constantIbLb0EES18_IbLb1EEEEDaS14_S15_EUlS14_E_NS1_11comp_targetILNS1_3genE10ELNS1_11target_archE1200ELNS1_3gpuE4ELNS1_3repE0EEENS1_30default_config_static_selectorELNS0_4arch9wavefront6targetE1EEEvT1_
	.globl	_ZN7rocprim17ROCPRIM_400000_NS6detail17trampoline_kernelINS0_14default_configENS1_25partition_config_selectorILNS1_17partition_subalgoE0EiNS0_10empty_typeEbEEZZNS1_14partition_implILS5_0ELb0ES3_jN6thrust23THRUST_200600_302600_NS6detail15normal_iteratorINSA_10device_ptrIiEEEEPS6_SG_NS0_5tupleIJSF_NSA_16discard_iteratorINSA_11use_defaultEEEEEENSH_IJSG_SG_EEES6_PlJ7is_evenIiEEEE10hipError_tPvRmT3_T4_T5_T6_T7_T9_mT8_P12ihipStream_tbDpT10_ENKUlT_T0_E_clISt17integral_constantIbLb0EES18_IbLb1EEEEDaS14_S15_EUlS14_E_NS1_11comp_targetILNS1_3genE10ELNS1_11target_archE1200ELNS1_3gpuE4ELNS1_3repE0EEENS1_30default_config_static_selectorELNS0_4arch9wavefront6targetE1EEEvT1_
	.p2align	8
	.type	_ZN7rocprim17ROCPRIM_400000_NS6detail17trampoline_kernelINS0_14default_configENS1_25partition_config_selectorILNS1_17partition_subalgoE0EiNS0_10empty_typeEbEEZZNS1_14partition_implILS5_0ELb0ES3_jN6thrust23THRUST_200600_302600_NS6detail15normal_iteratorINSA_10device_ptrIiEEEEPS6_SG_NS0_5tupleIJSF_NSA_16discard_iteratorINSA_11use_defaultEEEEEENSH_IJSG_SG_EEES6_PlJ7is_evenIiEEEE10hipError_tPvRmT3_T4_T5_T6_T7_T9_mT8_P12ihipStream_tbDpT10_ENKUlT_T0_E_clISt17integral_constantIbLb0EES18_IbLb1EEEEDaS14_S15_EUlS14_E_NS1_11comp_targetILNS1_3genE10ELNS1_11target_archE1200ELNS1_3gpuE4ELNS1_3repE0EEENS1_30default_config_static_selectorELNS0_4arch9wavefront6targetE1EEEvT1_,@function
_ZN7rocprim17ROCPRIM_400000_NS6detail17trampoline_kernelINS0_14default_configENS1_25partition_config_selectorILNS1_17partition_subalgoE0EiNS0_10empty_typeEbEEZZNS1_14partition_implILS5_0ELb0ES3_jN6thrust23THRUST_200600_302600_NS6detail15normal_iteratorINSA_10device_ptrIiEEEEPS6_SG_NS0_5tupleIJSF_NSA_16discard_iteratorINSA_11use_defaultEEEEEENSH_IJSG_SG_EEES6_PlJ7is_evenIiEEEE10hipError_tPvRmT3_T4_T5_T6_T7_T9_mT8_P12ihipStream_tbDpT10_ENKUlT_T0_E_clISt17integral_constantIbLb0EES18_IbLb1EEEEDaS14_S15_EUlS14_E_NS1_11comp_targetILNS1_3genE10ELNS1_11target_archE1200ELNS1_3gpuE4ELNS1_3repE0EEENS1_30default_config_static_selectorELNS0_4arch9wavefront6targetE1EEEvT1_: ; @_ZN7rocprim17ROCPRIM_400000_NS6detail17trampoline_kernelINS0_14default_configENS1_25partition_config_selectorILNS1_17partition_subalgoE0EiNS0_10empty_typeEbEEZZNS1_14partition_implILS5_0ELb0ES3_jN6thrust23THRUST_200600_302600_NS6detail15normal_iteratorINSA_10device_ptrIiEEEEPS6_SG_NS0_5tupleIJSF_NSA_16discard_iteratorINSA_11use_defaultEEEEEENSH_IJSG_SG_EEES6_PlJ7is_evenIiEEEE10hipError_tPvRmT3_T4_T5_T6_T7_T9_mT8_P12ihipStream_tbDpT10_ENKUlT_T0_E_clISt17integral_constantIbLb0EES18_IbLb1EEEEDaS14_S15_EUlS14_E_NS1_11comp_targetILNS1_3genE10ELNS1_11target_archE1200ELNS1_3gpuE4ELNS1_3repE0EEENS1_30default_config_static_selectorELNS0_4arch9wavefront6targetE1EEEvT1_
; %bb.0:
	.section	.rodata,"a",@progbits
	.p2align	6, 0x0
	.amdhsa_kernel _ZN7rocprim17ROCPRIM_400000_NS6detail17trampoline_kernelINS0_14default_configENS1_25partition_config_selectorILNS1_17partition_subalgoE0EiNS0_10empty_typeEbEEZZNS1_14partition_implILS5_0ELb0ES3_jN6thrust23THRUST_200600_302600_NS6detail15normal_iteratorINSA_10device_ptrIiEEEEPS6_SG_NS0_5tupleIJSF_NSA_16discard_iteratorINSA_11use_defaultEEEEEENSH_IJSG_SG_EEES6_PlJ7is_evenIiEEEE10hipError_tPvRmT3_T4_T5_T6_T7_T9_mT8_P12ihipStream_tbDpT10_ENKUlT_T0_E_clISt17integral_constantIbLb0EES18_IbLb1EEEEDaS14_S15_EUlS14_E_NS1_11comp_targetILNS1_3genE10ELNS1_11target_archE1200ELNS1_3gpuE4ELNS1_3repE0EEENS1_30default_config_static_selectorELNS0_4arch9wavefront6targetE1EEEvT1_
		.amdhsa_group_segment_fixed_size 0
		.amdhsa_private_segment_fixed_size 0
		.amdhsa_kernarg_size 144
		.amdhsa_user_sgpr_count 6
		.amdhsa_user_sgpr_private_segment_buffer 1
		.amdhsa_user_sgpr_dispatch_ptr 0
		.amdhsa_user_sgpr_queue_ptr 0
		.amdhsa_user_sgpr_kernarg_segment_ptr 1
		.amdhsa_user_sgpr_dispatch_id 0
		.amdhsa_user_sgpr_flat_scratch_init 0
		.amdhsa_user_sgpr_kernarg_preload_length 0
		.amdhsa_user_sgpr_kernarg_preload_offset 0
		.amdhsa_user_sgpr_private_segment_size 0
		.amdhsa_uses_dynamic_stack 0
		.amdhsa_system_sgpr_private_segment_wavefront_offset 0
		.amdhsa_system_sgpr_workgroup_id_x 1
		.amdhsa_system_sgpr_workgroup_id_y 0
		.amdhsa_system_sgpr_workgroup_id_z 0
		.amdhsa_system_sgpr_workgroup_info 0
		.amdhsa_system_vgpr_workitem_id 0
		.amdhsa_next_free_vgpr 1
		.amdhsa_next_free_sgpr 0
		.amdhsa_accum_offset 4
		.amdhsa_reserve_vcc 0
		.amdhsa_reserve_flat_scratch 0
		.amdhsa_float_round_mode_32 0
		.amdhsa_float_round_mode_16_64 0
		.amdhsa_float_denorm_mode_32 3
		.amdhsa_float_denorm_mode_16_64 3
		.amdhsa_dx10_clamp 1
		.amdhsa_ieee_mode 1
		.amdhsa_fp16_overflow 0
		.amdhsa_tg_split 0
		.amdhsa_exception_fp_ieee_invalid_op 0
		.amdhsa_exception_fp_denorm_src 0
		.amdhsa_exception_fp_ieee_div_zero 0
		.amdhsa_exception_fp_ieee_overflow 0
		.amdhsa_exception_fp_ieee_underflow 0
		.amdhsa_exception_fp_ieee_inexact 0
		.amdhsa_exception_int_div_zero 0
	.end_amdhsa_kernel
	.section	.text._ZN7rocprim17ROCPRIM_400000_NS6detail17trampoline_kernelINS0_14default_configENS1_25partition_config_selectorILNS1_17partition_subalgoE0EiNS0_10empty_typeEbEEZZNS1_14partition_implILS5_0ELb0ES3_jN6thrust23THRUST_200600_302600_NS6detail15normal_iteratorINSA_10device_ptrIiEEEEPS6_SG_NS0_5tupleIJSF_NSA_16discard_iteratorINSA_11use_defaultEEEEEENSH_IJSG_SG_EEES6_PlJ7is_evenIiEEEE10hipError_tPvRmT3_T4_T5_T6_T7_T9_mT8_P12ihipStream_tbDpT10_ENKUlT_T0_E_clISt17integral_constantIbLb0EES18_IbLb1EEEEDaS14_S15_EUlS14_E_NS1_11comp_targetILNS1_3genE10ELNS1_11target_archE1200ELNS1_3gpuE4ELNS1_3repE0EEENS1_30default_config_static_selectorELNS0_4arch9wavefront6targetE1EEEvT1_,"axG",@progbits,_ZN7rocprim17ROCPRIM_400000_NS6detail17trampoline_kernelINS0_14default_configENS1_25partition_config_selectorILNS1_17partition_subalgoE0EiNS0_10empty_typeEbEEZZNS1_14partition_implILS5_0ELb0ES3_jN6thrust23THRUST_200600_302600_NS6detail15normal_iteratorINSA_10device_ptrIiEEEEPS6_SG_NS0_5tupleIJSF_NSA_16discard_iteratorINSA_11use_defaultEEEEEENSH_IJSG_SG_EEES6_PlJ7is_evenIiEEEE10hipError_tPvRmT3_T4_T5_T6_T7_T9_mT8_P12ihipStream_tbDpT10_ENKUlT_T0_E_clISt17integral_constantIbLb0EES18_IbLb1EEEEDaS14_S15_EUlS14_E_NS1_11comp_targetILNS1_3genE10ELNS1_11target_archE1200ELNS1_3gpuE4ELNS1_3repE0EEENS1_30default_config_static_selectorELNS0_4arch9wavefront6targetE1EEEvT1_,comdat
.Lfunc_end2744:
	.size	_ZN7rocprim17ROCPRIM_400000_NS6detail17trampoline_kernelINS0_14default_configENS1_25partition_config_selectorILNS1_17partition_subalgoE0EiNS0_10empty_typeEbEEZZNS1_14partition_implILS5_0ELb0ES3_jN6thrust23THRUST_200600_302600_NS6detail15normal_iteratorINSA_10device_ptrIiEEEEPS6_SG_NS0_5tupleIJSF_NSA_16discard_iteratorINSA_11use_defaultEEEEEENSH_IJSG_SG_EEES6_PlJ7is_evenIiEEEE10hipError_tPvRmT3_T4_T5_T6_T7_T9_mT8_P12ihipStream_tbDpT10_ENKUlT_T0_E_clISt17integral_constantIbLb0EES18_IbLb1EEEEDaS14_S15_EUlS14_E_NS1_11comp_targetILNS1_3genE10ELNS1_11target_archE1200ELNS1_3gpuE4ELNS1_3repE0EEENS1_30default_config_static_selectorELNS0_4arch9wavefront6targetE1EEEvT1_, .Lfunc_end2744-_ZN7rocprim17ROCPRIM_400000_NS6detail17trampoline_kernelINS0_14default_configENS1_25partition_config_selectorILNS1_17partition_subalgoE0EiNS0_10empty_typeEbEEZZNS1_14partition_implILS5_0ELb0ES3_jN6thrust23THRUST_200600_302600_NS6detail15normal_iteratorINSA_10device_ptrIiEEEEPS6_SG_NS0_5tupleIJSF_NSA_16discard_iteratorINSA_11use_defaultEEEEEENSH_IJSG_SG_EEES6_PlJ7is_evenIiEEEE10hipError_tPvRmT3_T4_T5_T6_T7_T9_mT8_P12ihipStream_tbDpT10_ENKUlT_T0_E_clISt17integral_constantIbLb0EES18_IbLb1EEEEDaS14_S15_EUlS14_E_NS1_11comp_targetILNS1_3genE10ELNS1_11target_archE1200ELNS1_3gpuE4ELNS1_3repE0EEENS1_30default_config_static_selectorELNS0_4arch9wavefront6targetE1EEEvT1_
                                        ; -- End function
	.section	.AMDGPU.csdata,"",@progbits
; Kernel info:
; codeLenInByte = 0
; NumSgprs: 4
; NumVgprs: 0
; NumAgprs: 0
; TotalNumVgprs: 0
; ScratchSize: 0
; MemoryBound: 0
; FloatMode: 240
; IeeeMode: 1
; LDSByteSize: 0 bytes/workgroup (compile time only)
; SGPRBlocks: 0
; VGPRBlocks: 0
; NumSGPRsForWavesPerEU: 4
; NumVGPRsForWavesPerEU: 1
; AccumOffset: 4
; Occupancy: 8
; WaveLimiterHint : 0
; COMPUTE_PGM_RSRC2:SCRATCH_EN: 0
; COMPUTE_PGM_RSRC2:USER_SGPR: 6
; COMPUTE_PGM_RSRC2:TRAP_HANDLER: 0
; COMPUTE_PGM_RSRC2:TGID_X_EN: 1
; COMPUTE_PGM_RSRC2:TGID_Y_EN: 0
; COMPUTE_PGM_RSRC2:TGID_Z_EN: 0
; COMPUTE_PGM_RSRC2:TIDIG_COMP_CNT: 0
; COMPUTE_PGM_RSRC3_GFX90A:ACCUM_OFFSET: 0
; COMPUTE_PGM_RSRC3_GFX90A:TG_SPLIT: 0
	.section	.text._ZN7rocprim17ROCPRIM_400000_NS6detail17trampoline_kernelINS0_14default_configENS1_25partition_config_selectorILNS1_17partition_subalgoE0EiNS0_10empty_typeEbEEZZNS1_14partition_implILS5_0ELb0ES3_jN6thrust23THRUST_200600_302600_NS6detail15normal_iteratorINSA_10device_ptrIiEEEEPS6_SG_NS0_5tupleIJSF_NSA_16discard_iteratorINSA_11use_defaultEEEEEENSH_IJSG_SG_EEES6_PlJ7is_evenIiEEEE10hipError_tPvRmT3_T4_T5_T6_T7_T9_mT8_P12ihipStream_tbDpT10_ENKUlT_T0_E_clISt17integral_constantIbLb0EES18_IbLb1EEEEDaS14_S15_EUlS14_E_NS1_11comp_targetILNS1_3genE9ELNS1_11target_archE1100ELNS1_3gpuE3ELNS1_3repE0EEENS1_30default_config_static_selectorELNS0_4arch9wavefront6targetE1EEEvT1_,"axG",@progbits,_ZN7rocprim17ROCPRIM_400000_NS6detail17trampoline_kernelINS0_14default_configENS1_25partition_config_selectorILNS1_17partition_subalgoE0EiNS0_10empty_typeEbEEZZNS1_14partition_implILS5_0ELb0ES3_jN6thrust23THRUST_200600_302600_NS6detail15normal_iteratorINSA_10device_ptrIiEEEEPS6_SG_NS0_5tupleIJSF_NSA_16discard_iteratorINSA_11use_defaultEEEEEENSH_IJSG_SG_EEES6_PlJ7is_evenIiEEEE10hipError_tPvRmT3_T4_T5_T6_T7_T9_mT8_P12ihipStream_tbDpT10_ENKUlT_T0_E_clISt17integral_constantIbLb0EES18_IbLb1EEEEDaS14_S15_EUlS14_E_NS1_11comp_targetILNS1_3genE9ELNS1_11target_archE1100ELNS1_3gpuE3ELNS1_3repE0EEENS1_30default_config_static_selectorELNS0_4arch9wavefront6targetE1EEEvT1_,comdat
	.protected	_ZN7rocprim17ROCPRIM_400000_NS6detail17trampoline_kernelINS0_14default_configENS1_25partition_config_selectorILNS1_17partition_subalgoE0EiNS0_10empty_typeEbEEZZNS1_14partition_implILS5_0ELb0ES3_jN6thrust23THRUST_200600_302600_NS6detail15normal_iteratorINSA_10device_ptrIiEEEEPS6_SG_NS0_5tupleIJSF_NSA_16discard_iteratorINSA_11use_defaultEEEEEENSH_IJSG_SG_EEES6_PlJ7is_evenIiEEEE10hipError_tPvRmT3_T4_T5_T6_T7_T9_mT8_P12ihipStream_tbDpT10_ENKUlT_T0_E_clISt17integral_constantIbLb0EES18_IbLb1EEEEDaS14_S15_EUlS14_E_NS1_11comp_targetILNS1_3genE9ELNS1_11target_archE1100ELNS1_3gpuE3ELNS1_3repE0EEENS1_30default_config_static_selectorELNS0_4arch9wavefront6targetE1EEEvT1_ ; -- Begin function _ZN7rocprim17ROCPRIM_400000_NS6detail17trampoline_kernelINS0_14default_configENS1_25partition_config_selectorILNS1_17partition_subalgoE0EiNS0_10empty_typeEbEEZZNS1_14partition_implILS5_0ELb0ES3_jN6thrust23THRUST_200600_302600_NS6detail15normal_iteratorINSA_10device_ptrIiEEEEPS6_SG_NS0_5tupleIJSF_NSA_16discard_iteratorINSA_11use_defaultEEEEEENSH_IJSG_SG_EEES6_PlJ7is_evenIiEEEE10hipError_tPvRmT3_T4_T5_T6_T7_T9_mT8_P12ihipStream_tbDpT10_ENKUlT_T0_E_clISt17integral_constantIbLb0EES18_IbLb1EEEEDaS14_S15_EUlS14_E_NS1_11comp_targetILNS1_3genE9ELNS1_11target_archE1100ELNS1_3gpuE3ELNS1_3repE0EEENS1_30default_config_static_selectorELNS0_4arch9wavefront6targetE1EEEvT1_
	.globl	_ZN7rocprim17ROCPRIM_400000_NS6detail17trampoline_kernelINS0_14default_configENS1_25partition_config_selectorILNS1_17partition_subalgoE0EiNS0_10empty_typeEbEEZZNS1_14partition_implILS5_0ELb0ES3_jN6thrust23THRUST_200600_302600_NS6detail15normal_iteratorINSA_10device_ptrIiEEEEPS6_SG_NS0_5tupleIJSF_NSA_16discard_iteratorINSA_11use_defaultEEEEEENSH_IJSG_SG_EEES6_PlJ7is_evenIiEEEE10hipError_tPvRmT3_T4_T5_T6_T7_T9_mT8_P12ihipStream_tbDpT10_ENKUlT_T0_E_clISt17integral_constantIbLb0EES18_IbLb1EEEEDaS14_S15_EUlS14_E_NS1_11comp_targetILNS1_3genE9ELNS1_11target_archE1100ELNS1_3gpuE3ELNS1_3repE0EEENS1_30default_config_static_selectorELNS0_4arch9wavefront6targetE1EEEvT1_
	.p2align	8
	.type	_ZN7rocprim17ROCPRIM_400000_NS6detail17trampoline_kernelINS0_14default_configENS1_25partition_config_selectorILNS1_17partition_subalgoE0EiNS0_10empty_typeEbEEZZNS1_14partition_implILS5_0ELb0ES3_jN6thrust23THRUST_200600_302600_NS6detail15normal_iteratorINSA_10device_ptrIiEEEEPS6_SG_NS0_5tupleIJSF_NSA_16discard_iteratorINSA_11use_defaultEEEEEENSH_IJSG_SG_EEES6_PlJ7is_evenIiEEEE10hipError_tPvRmT3_T4_T5_T6_T7_T9_mT8_P12ihipStream_tbDpT10_ENKUlT_T0_E_clISt17integral_constantIbLb0EES18_IbLb1EEEEDaS14_S15_EUlS14_E_NS1_11comp_targetILNS1_3genE9ELNS1_11target_archE1100ELNS1_3gpuE3ELNS1_3repE0EEENS1_30default_config_static_selectorELNS0_4arch9wavefront6targetE1EEEvT1_,@function
_ZN7rocprim17ROCPRIM_400000_NS6detail17trampoline_kernelINS0_14default_configENS1_25partition_config_selectorILNS1_17partition_subalgoE0EiNS0_10empty_typeEbEEZZNS1_14partition_implILS5_0ELb0ES3_jN6thrust23THRUST_200600_302600_NS6detail15normal_iteratorINSA_10device_ptrIiEEEEPS6_SG_NS0_5tupleIJSF_NSA_16discard_iteratorINSA_11use_defaultEEEEEENSH_IJSG_SG_EEES6_PlJ7is_evenIiEEEE10hipError_tPvRmT3_T4_T5_T6_T7_T9_mT8_P12ihipStream_tbDpT10_ENKUlT_T0_E_clISt17integral_constantIbLb0EES18_IbLb1EEEEDaS14_S15_EUlS14_E_NS1_11comp_targetILNS1_3genE9ELNS1_11target_archE1100ELNS1_3gpuE3ELNS1_3repE0EEENS1_30default_config_static_selectorELNS0_4arch9wavefront6targetE1EEEvT1_: ; @_ZN7rocprim17ROCPRIM_400000_NS6detail17trampoline_kernelINS0_14default_configENS1_25partition_config_selectorILNS1_17partition_subalgoE0EiNS0_10empty_typeEbEEZZNS1_14partition_implILS5_0ELb0ES3_jN6thrust23THRUST_200600_302600_NS6detail15normal_iteratorINSA_10device_ptrIiEEEEPS6_SG_NS0_5tupleIJSF_NSA_16discard_iteratorINSA_11use_defaultEEEEEENSH_IJSG_SG_EEES6_PlJ7is_evenIiEEEE10hipError_tPvRmT3_T4_T5_T6_T7_T9_mT8_P12ihipStream_tbDpT10_ENKUlT_T0_E_clISt17integral_constantIbLb0EES18_IbLb1EEEEDaS14_S15_EUlS14_E_NS1_11comp_targetILNS1_3genE9ELNS1_11target_archE1100ELNS1_3gpuE3ELNS1_3repE0EEENS1_30default_config_static_selectorELNS0_4arch9wavefront6targetE1EEEvT1_
; %bb.0:
	.section	.rodata,"a",@progbits
	.p2align	6, 0x0
	.amdhsa_kernel _ZN7rocprim17ROCPRIM_400000_NS6detail17trampoline_kernelINS0_14default_configENS1_25partition_config_selectorILNS1_17partition_subalgoE0EiNS0_10empty_typeEbEEZZNS1_14partition_implILS5_0ELb0ES3_jN6thrust23THRUST_200600_302600_NS6detail15normal_iteratorINSA_10device_ptrIiEEEEPS6_SG_NS0_5tupleIJSF_NSA_16discard_iteratorINSA_11use_defaultEEEEEENSH_IJSG_SG_EEES6_PlJ7is_evenIiEEEE10hipError_tPvRmT3_T4_T5_T6_T7_T9_mT8_P12ihipStream_tbDpT10_ENKUlT_T0_E_clISt17integral_constantIbLb0EES18_IbLb1EEEEDaS14_S15_EUlS14_E_NS1_11comp_targetILNS1_3genE9ELNS1_11target_archE1100ELNS1_3gpuE3ELNS1_3repE0EEENS1_30default_config_static_selectorELNS0_4arch9wavefront6targetE1EEEvT1_
		.amdhsa_group_segment_fixed_size 0
		.amdhsa_private_segment_fixed_size 0
		.amdhsa_kernarg_size 144
		.amdhsa_user_sgpr_count 6
		.amdhsa_user_sgpr_private_segment_buffer 1
		.amdhsa_user_sgpr_dispatch_ptr 0
		.amdhsa_user_sgpr_queue_ptr 0
		.amdhsa_user_sgpr_kernarg_segment_ptr 1
		.amdhsa_user_sgpr_dispatch_id 0
		.amdhsa_user_sgpr_flat_scratch_init 0
		.amdhsa_user_sgpr_kernarg_preload_length 0
		.amdhsa_user_sgpr_kernarg_preload_offset 0
		.amdhsa_user_sgpr_private_segment_size 0
		.amdhsa_uses_dynamic_stack 0
		.amdhsa_system_sgpr_private_segment_wavefront_offset 0
		.amdhsa_system_sgpr_workgroup_id_x 1
		.amdhsa_system_sgpr_workgroup_id_y 0
		.amdhsa_system_sgpr_workgroup_id_z 0
		.amdhsa_system_sgpr_workgroup_info 0
		.amdhsa_system_vgpr_workitem_id 0
		.amdhsa_next_free_vgpr 1
		.amdhsa_next_free_sgpr 0
		.amdhsa_accum_offset 4
		.amdhsa_reserve_vcc 0
		.amdhsa_reserve_flat_scratch 0
		.amdhsa_float_round_mode_32 0
		.amdhsa_float_round_mode_16_64 0
		.amdhsa_float_denorm_mode_32 3
		.amdhsa_float_denorm_mode_16_64 3
		.amdhsa_dx10_clamp 1
		.amdhsa_ieee_mode 1
		.amdhsa_fp16_overflow 0
		.amdhsa_tg_split 0
		.amdhsa_exception_fp_ieee_invalid_op 0
		.amdhsa_exception_fp_denorm_src 0
		.amdhsa_exception_fp_ieee_div_zero 0
		.amdhsa_exception_fp_ieee_overflow 0
		.amdhsa_exception_fp_ieee_underflow 0
		.amdhsa_exception_fp_ieee_inexact 0
		.amdhsa_exception_int_div_zero 0
	.end_amdhsa_kernel
	.section	.text._ZN7rocprim17ROCPRIM_400000_NS6detail17trampoline_kernelINS0_14default_configENS1_25partition_config_selectorILNS1_17partition_subalgoE0EiNS0_10empty_typeEbEEZZNS1_14partition_implILS5_0ELb0ES3_jN6thrust23THRUST_200600_302600_NS6detail15normal_iteratorINSA_10device_ptrIiEEEEPS6_SG_NS0_5tupleIJSF_NSA_16discard_iteratorINSA_11use_defaultEEEEEENSH_IJSG_SG_EEES6_PlJ7is_evenIiEEEE10hipError_tPvRmT3_T4_T5_T6_T7_T9_mT8_P12ihipStream_tbDpT10_ENKUlT_T0_E_clISt17integral_constantIbLb0EES18_IbLb1EEEEDaS14_S15_EUlS14_E_NS1_11comp_targetILNS1_3genE9ELNS1_11target_archE1100ELNS1_3gpuE3ELNS1_3repE0EEENS1_30default_config_static_selectorELNS0_4arch9wavefront6targetE1EEEvT1_,"axG",@progbits,_ZN7rocprim17ROCPRIM_400000_NS6detail17trampoline_kernelINS0_14default_configENS1_25partition_config_selectorILNS1_17partition_subalgoE0EiNS0_10empty_typeEbEEZZNS1_14partition_implILS5_0ELb0ES3_jN6thrust23THRUST_200600_302600_NS6detail15normal_iteratorINSA_10device_ptrIiEEEEPS6_SG_NS0_5tupleIJSF_NSA_16discard_iteratorINSA_11use_defaultEEEEEENSH_IJSG_SG_EEES6_PlJ7is_evenIiEEEE10hipError_tPvRmT3_T4_T5_T6_T7_T9_mT8_P12ihipStream_tbDpT10_ENKUlT_T0_E_clISt17integral_constantIbLb0EES18_IbLb1EEEEDaS14_S15_EUlS14_E_NS1_11comp_targetILNS1_3genE9ELNS1_11target_archE1100ELNS1_3gpuE3ELNS1_3repE0EEENS1_30default_config_static_selectorELNS0_4arch9wavefront6targetE1EEEvT1_,comdat
.Lfunc_end2745:
	.size	_ZN7rocprim17ROCPRIM_400000_NS6detail17trampoline_kernelINS0_14default_configENS1_25partition_config_selectorILNS1_17partition_subalgoE0EiNS0_10empty_typeEbEEZZNS1_14partition_implILS5_0ELb0ES3_jN6thrust23THRUST_200600_302600_NS6detail15normal_iteratorINSA_10device_ptrIiEEEEPS6_SG_NS0_5tupleIJSF_NSA_16discard_iteratorINSA_11use_defaultEEEEEENSH_IJSG_SG_EEES6_PlJ7is_evenIiEEEE10hipError_tPvRmT3_T4_T5_T6_T7_T9_mT8_P12ihipStream_tbDpT10_ENKUlT_T0_E_clISt17integral_constantIbLb0EES18_IbLb1EEEEDaS14_S15_EUlS14_E_NS1_11comp_targetILNS1_3genE9ELNS1_11target_archE1100ELNS1_3gpuE3ELNS1_3repE0EEENS1_30default_config_static_selectorELNS0_4arch9wavefront6targetE1EEEvT1_, .Lfunc_end2745-_ZN7rocprim17ROCPRIM_400000_NS6detail17trampoline_kernelINS0_14default_configENS1_25partition_config_selectorILNS1_17partition_subalgoE0EiNS0_10empty_typeEbEEZZNS1_14partition_implILS5_0ELb0ES3_jN6thrust23THRUST_200600_302600_NS6detail15normal_iteratorINSA_10device_ptrIiEEEEPS6_SG_NS0_5tupleIJSF_NSA_16discard_iteratorINSA_11use_defaultEEEEEENSH_IJSG_SG_EEES6_PlJ7is_evenIiEEEE10hipError_tPvRmT3_T4_T5_T6_T7_T9_mT8_P12ihipStream_tbDpT10_ENKUlT_T0_E_clISt17integral_constantIbLb0EES18_IbLb1EEEEDaS14_S15_EUlS14_E_NS1_11comp_targetILNS1_3genE9ELNS1_11target_archE1100ELNS1_3gpuE3ELNS1_3repE0EEENS1_30default_config_static_selectorELNS0_4arch9wavefront6targetE1EEEvT1_
                                        ; -- End function
	.section	.AMDGPU.csdata,"",@progbits
; Kernel info:
; codeLenInByte = 0
; NumSgprs: 4
; NumVgprs: 0
; NumAgprs: 0
; TotalNumVgprs: 0
; ScratchSize: 0
; MemoryBound: 0
; FloatMode: 240
; IeeeMode: 1
; LDSByteSize: 0 bytes/workgroup (compile time only)
; SGPRBlocks: 0
; VGPRBlocks: 0
; NumSGPRsForWavesPerEU: 4
; NumVGPRsForWavesPerEU: 1
; AccumOffset: 4
; Occupancy: 8
; WaveLimiterHint : 0
; COMPUTE_PGM_RSRC2:SCRATCH_EN: 0
; COMPUTE_PGM_RSRC2:USER_SGPR: 6
; COMPUTE_PGM_RSRC2:TRAP_HANDLER: 0
; COMPUTE_PGM_RSRC2:TGID_X_EN: 1
; COMPUTE_PGM_RSRC2:TGID_Y_EN: 0
; COMPUTE_PGM_RSRC2:TGID_Z_EN: 0
; COMPUTE_PGM_RSRC2:TIDIG_COMP_CNT: 0
; COMPUTE_PGM_RSRC3_GFX90A:ACCUM_OFFSET: 0
; COMPUTE_PGM_RSRC3_GFX90A:TG_SPLIT: 0
	.section	.text._ZN7rocprim17ROCPRIM_400000_NS6detail17trampoline_kernelINS0_14default_configENS1_25partition_config_selectorILNS1_17partition_subalgoE0EiNS0_10empty_typeEbEEZZNS1_14partition_implILS5_0ELb0ES3_jN6thrust23THRUST_200600_302600_NS6detail15normal_iteratorINSA_10device_ptrIiEEEEPS6_SG_NS0_5tupleIJSF_NSA_16discard_iteratorINSA_11use_defaultEEEEEENSH_IJSG_SG_EEES6_PlJ7is_evenIiEEEE10hipError_tPvRmT3_T4_T5_T6_T7_T9_mT8_P12ihipStream_tbDpT10_ENKUlT_T0_E_clISt17integral_constantIbLb0EES18_IbLb1EEEEDaS14_S15_EUlS14_E_NS1_11comp_targetILNS1_3genE8ELNS1_11target_archE1030ELNS1_3gpuE2ELNS1_3repE0EEENS1_30default_config_static_selectorELNS0_4arch9wavefront6targetE1EEEvT1_,"axG",@progbits,_ZN7rocprim17ROCPRIM_400000_NS6detail17trampoline_kernelINS0_14default_configENS1_25partition_config_selectorILNS1_17partition_subalgoE0EiNS0_10empty_typeEbEEZZNS1_14partition_implILS5_0ELb0ES3_jN6thrust23THRUST_200600_302600_NS6detail15normal_iteratorINSA_10device_ptrIiEEEEPS6_SG_NS0_5tupleIJSF_NSA_16discard_iteratorINSA_11use_defaultEEEEEENSH_IJSG_SG_EEES6_PlJ7is_evenIiEEEE10hipError_tPvRmT3_T4_T5_T6_T7_T9_mT8_P12ihipStream_tbDpT10_ENKUlT_T0_E_clISt17integral_constantIbLb0EES18_IbLb1EEEEDaS14_S15_EUlS14_E_NS1_11comp_targetILNS1_3genE8ELNS1_11target_archE1030ELNS1_3gpuE2ELNS1_3repE0EEENS1_30default_config_static_selectorELNS0_4arch9wavefront6targetE1EEEvT1_,comdat
	.protected	_ZN7rocprim17ROCPRIM_400000_NS6detail17trampoline_kernelINS0_14default_configENS1_25partition_config_selectorILNS1_17partition_subalgoE0EiNS0_10empty_typeEbEEZZNS1_14partition_implILS5_0ELb0ES3_jN6thrust23THRUST_200600_302600_NS6detail15normal_iteratorINSA_10device_ptrIiEEEEPS6_SG_NS0_5tupleIJSF_NSA_16discard_iteratorINSA_11use_defaultEEEEEENSH_IJSG_SG_EEES6_PlJ7is_evenIiEEEE10hipError_tPvRmT3_T4_T5_T6_T7_T9_mT8_P12ihipStream_tbDpT10_ENKUlT_T0_E_clISt17integral_constantIbLb0EES18_IbLb1EEEEDaS14_S15_EUlS14_E_NS1_11comp_targetILNS1_3genE8ELNS1_11target_archE1030ELNS1_3gpuE2ELNS1_3repE0EEENS1_30default_config_static_selectorELNS0_4arch9wavefront6targetE1EEEvT1_ ; -- Begin function _ZN7rocprim17ROCPRIM_400000_NS6detail17trampoline_kernelINS0_14default_configENS1_25partition_config_selectorILNS1_17partition_subalgoE0EiNS0_10empty_typeEbEEZZNS1_14partition_implILS5_0ELb0ES3_jN6thrust23THRUST_200600_302600_NS6detail15normal_iteratorINSA_10device_ptrIiEEEEPS6_SG_NS0_5tupleIJSF_NSA_16discard_iteratorINSA_11use_defaultEEEEEENSH_IJSG_SG_EEES6_PlJ7is_evenIiEEEE10hipError_tPvRmT3_T4_T5_T6_T7_T9_mT8_P12ihipStream_tbDpT10_ENKUlT_T0_E_clISt17integral_constantIbLb0EES18_IbLb1EEEEDaS14_S15_EUlS14_E_NS1_11comp_targetILNS1_3genE8ELNS1_11target_archE1030ELNS1_3gpuE2ELNS1_3repE0EEENS1_30default_config_static_selectorELNS0_4arch9wavefront6targetE1EEEvT1_
	.globl	_ZN7rocprim17ROCPRIM_400000_NS6detail17trampoline_kernelINS0_14default_configENS1_25partition_config_selectorILNS1_17partition_subalgoE0EiNS0_10empty_typeEbEEZZNS1_14partition_implILS5_0ELb0ES3_jN6thrust23THRUST_200600_302600_NS6detail15normal_iteratorINSA_10device_ptrIiEEEEPS6_SG_NS0_5tupleIJSF_NSA_16discard_iteratorINSA_11use_defaultEEEEEENSH_IJSG_SG_EEES6_PlJ7is_evenIiEEEE10hipError_tPvRmT3_T4_T5_T6_T7_T9_mT8_P12ihipStream_tbDpT10_ENKUlT_T0_E_clISt17integral_constantIbLb0EES18_IbLb1EEEEDaS14_S15_EUlS14_E_NS1_11comp_targetILNS1_3genE8ELNS1_11target_archE1030ELNS1_3gpuE2ELNS1_3repE0EEENS1_30default_config_static_selectorELNS0_4arch9wavefront6targetE1EEEvT1_
	.p2align	8
	.type	_ZN7rocprim17ROCPRIM_400000_NS6detail17trampoline_kernelINS0_14default_configENS1_25partition_config_selectorILNS1_17partition_subalgoE0EiNS0_10empty_typeEbEEZZNS1_14partition_implILS5_0ELb0ES3_jN6thrust23THRUST_200600_302600_NS6detail15normal_iteratorINSA_10device_ptrIiEEEEPS6_SG_NS0_5tupleIJSF_NSA_16discard_iteratorINSA_11use_defaultEEEEEENSH_IJSG_SG_EEES6_PlJ7is_evenIiEEEE10hipError_tPvRmT3_T4_T5_T6_T7_T9_mT8_P12ihipStream_tbDpT10_ENKUlT_T0_E_clISt17integral_constantIbLb0EES18_IbLb1EEEEDaS14_S15_EUlS14_E_NS1_11comp_targetILNS1_3genE8ELNS1_11target_archE1030ELNS1_3gpuE2ELNS1_3repE0EEENS1_30default_config_static_selectorELNS0_4arch9wavefront6targetE1EEEvT1_,@function
_ZN7rocprim17ROCPRIM_400000_NS6detail17trampoline_kernelINS0_14default_configENS1_25partition_config_selectorILNS1_17partition_subalgoE0EiNS0_10empty_typeEbEEZZNS1_14partition_implILS5_0ELb0ES3_jN6thrust23THRUST_200600_302600_NS6detail15normal_iteratorINSA_10device_ptrIiEEEEPS6_SG_NS0_5tupleIJSF_NSA_16discard_iteratorINSA_11use_defaultEEEEEENSH_IJSG_SG_EEES6_PlJ7is_evenIiEEEE10hipError_tPvRmT3_T4_T5_T6_T7_T9_mT8_P12ihipStream_tbDpT10_ENKUlT_T0_E_clISt17integral_constantIbLb0EES18_IbLb1EEEEDaS14_S15_EUlS14_E_NS1_11comp_targetILNS1_3genE8ELNS1_11target_archE1030ELNS1_3gpuE2ELNS1_3repE0EEENS1_30default_config_static_selectorELNS0_4arch9wavefront6targetE1EEEvT1_: ; @_ZN7rocprim17ROCPRIM_400000_NS6detail17trampoline_kernelINS0_14default_configENS1_25partition_config_selectorILNS1_17partition_subalgoE0EiNS0_10empty_typeEbEEZZNS1_14partition_implILS5_0ELb0ES3_jN6thrust23THRUST_200600_302600_NS6detail15normal_iteratorINSA_10device_ptrIiEEEEPS6_SG_NS0_5tupleIJSF_NSA_16discard_iteratorINSA_11use_defaultEEEEEENSH_IJSG_SG_EEES6_PlJ7is_evenIiEEEE10hipError_tPvRmT3_T4_T5_T6_T7_T9_mT8_P12ihipStream_tbDpT10_ENKUlT_T0_E_clISt17integral_constantIbLb0EES18_IbLb1EEEEDaS14_S15_EUlS14_E_NS1_11comp_targetILNS1_3genE8ELNS1_11target_archE1030ELNS1_3gpuE2ELNS1_3repE0EEENS1_30default_config_static_selectorELNS0_4arch9wavefront6targetE1EEEvT1_
; %bb.0:
	.section	.rodata,"a",@progbits
	.p2align	6, 0x0
	.amdhsa_kernel _ZN7rocprim17ROCPRIM_400000_NS6detail17trampoline_kernelINS0_14default_configENS1_25partition_config_selectorILNS1_17partition_subalgoE0EiNS0_10empty_typeEbEEZZNS1_14partition_implILS5_0ELb0ES3_jN6thrust23THRUST_200600_302600_NS6detail15normal_iteratorINSA_10device_ptrIiEEEEPS6_SG_NS0_5tupleIJSF_NSA_16discard_iteratorINSA_11use_defaultEEEEEENSH_IJSG_SG_EEES6_PlJ7is_evenIiEEEE10hipError_tPvRmT3_T4_T5_T6_T7_T9_mT8_P12ihipStream_tbDpT10_ENKUlT_T0_E_clISt17integral_constantIbLb0EES18_IbLb1EEEEDaS14_S15_EUlS14_E_NS1_11comp_targetILNS1_3genE8ELNS1_11target_archE1030ELNS1_3gpuE2ELNS1_3repE0EEENS1_30default_config_static_selectorELNS0_4arch9wavefront6targetE1EEEvT1_
		.amdhsa_group_segment_fixed_size 0
		.amdhsa_private_segment_fixed_size 0
		.amdhsa_kernarg_size 144
		.amdhsa_user_sgpr_count 6
		.amdhsa_user_sgpr_private_segment_buffer 1
		.amdhsa_user_sgpr_dispatch_ptr 0
		.amdhsa_user_sgpr_queue_ptr 0
		.amdhsa_user_sgpr_kernarg_segment_ptr 1
		.amdhsa_user_sgpr_dispatch_id 0
		.amdhsa_user_sgpr_flat_scratch_init 0
		.amdhsa_user_sgpr_kernarg_preload_length 0
		.amdhsa_user_sgpr_kernarg_preload_offset 0
		.amdhsa_user_sgpr_private_segment_size 0
		.amdhsa_uses_dynamic_stack 0
		.amdhsa_system_sgpr_private_segment_wavefront_offset 0
		.amdhsa_system_sgpr_workgroup_id_x 1
		.amdhsa_system_sgpr_workgroup_id_y 0
		.amdhsa_system_sgpr_workgroup_id_z 0
		.amdhsa_system_sgpr_workgroup_info 0
		.amdhsa_system_vgpr_workitem_id 0
		.amdhsa_next_free_vgpr 1
		.amdhsa_next_free_sgpr 0
		.amdhsa_accum_offset 4
		.amdhsa_reserve_vcc 0
		.amdhsa_reserve_flat_scratch 0
		.amdhsa_float_round_mode_32 0
		.amdhsa_float_round_mode_16_64 0
		.amdhsa_float_denorm_mode_32 3
		.amdhsa_float_denorm_mode_16_64 3
		.amdhsa_dx10_clamp 1
		.amdhsa_ieee_mode 1
		.amdhsa_fp16_overflow 0
		.amdhsa_tg_split 0
		.amdhsa_exception_fp_ieee_invalid_op 0
		.amdhsa_exception_fp_denorm_src 0
		.amdhsa_exception_fp_ieee_div_zero 0
		.amdhsa_exception_fp_ieee_overflow 0
		.amdhsa_exception_fp_ieee_underflow 0
		.amdhsa_exception_fp_ieee_inexact 0
		.amdhsa_exception_int_div_zero 0
	.end_amdhsa_kernel
	.section	.text._ZN7rocprim17ROCPRIM_400000_NS6detail17trampoline_kernelINS0_14default_configENS1_25partition_config_selectorILNS1_17partition_subalgoE0EiNS0_10empty_typeEbEEZZNS1_14partition_implILS5_0ELb0ES3_jN6thrust23THRUST_200600_302600_NS6detail15normal_iteratorINSA_10device_ptrIiEEEEPS6_SG_NS0_5tupleIJSF_NSA_16discard_iteratorINSA_11use_defaultEEEEEENSH_IJSG_SG_EEES6_PlJ7is_evenIiEEEE10hipError_tPvRmT3_T4_T5_T6_T7_T9_mT8_P12ihipStream_tbDpT10_ENKUlT_T0_E_clISt17integral_constantIbLb0EES18_IbLb1EEEEDaS14_S15_EUlS14_E_NS1_11comp_targetILNS1_3genE8ELNS1_11target_archE1030ELNS1_3gpuE2ELNS1_3repE0EEENS1_30default_config_static_selectorELNS0_4arch9wavefront6targetE1EEEvT1_,"axG",@progbits,_ZN7rocprim17ROCPRIM_400000_NS6detail17trampoline_kernelINS0_14default_configENS1_25partition_config_selectorILNS1_17partition_subalgoE0EiNS0_10empty_typeEbEEZZNS1_14partition_implILS5_0ELb0ES3_jN6thrust23THRUST_200600_302600_NS6detail15normal_iteratorINSA_10device_ptrIiEEEEPS6_SG_NS0_5tupleIJSF_NSA_16discard_iteratorINSA_11use_defaultEEEEEENSH_IJSG_SG_EEES6_PlJ7is_evenIiEEEE10hipError_tPvRmT3_T4_T5_T6_T7_T9_mT8_P12ihipStream_tbDpT10_ENKUlT_T0_E_clISt17integral_constantIbLb0EES18_IbLb1EEEEDaS14_S15_EUlS14_E_NS1_11comp_targetILNS1_3genE8ELNS1_11target_archE1030ELNS1_3gpuE2ELNS1_3repE0EEENS1_30default_config_static_selectorELNS0_4arch9wavefront6targetE1EEEvT1_,comdat
.Lfunc_end2746:
	.size	_ZN7rocprim17ROCPRIM_400000_NS6detail17trampoline_kernelINS0_14default_configENS1_25partition_config_selectorILNS1_17partition_subalgoE0EiNS0_10empty_typeEbEEZZNS1_14partition_implILS5_0ELb0ES3_jN6thrust23THRUST_200600_302600_NS6detail15normal_iteratorINSA_10device_ptrIiEEEEPS6_SG_NS0_5tupleIJSF_NSA_16discard_iteratorINSA_11use_defaultEEEEEENSH_IJSG_SG_EEES6_PlJ7is_evenIiEEEE10hipError_tPvRmT3_T4_T5_T6_T7_T9_mT8_P12ihipStream_tbDpT10_ENKUlT_T0_E_clISt17integral_constantIbLb0EES18_IbLb1EEEEDaS14_S15_EUlS14_E_NS1_11comp_targetILNS1_3genE8ELNS1_11target_archE1030ELNS1_3gpuE2ELNS1_3repE0EEENS1_30default_config_static_selectorELNS0_4arch9wavefront6targetE1EEEvT1_, .Lfunc_end2746-_ZN7rocprim17ROCPRIM_400000_NS6detail17trampoline_kernelINS0_14default_configENS1_25partition_config_selectorILNS1_17partition_subalgoE0EiNS0_10empty_typeEbEEZZNS1_14partition_implILS5_0ELb0ES3_jN6thrust23THRUST_200600_302600_NS6detail15normal_iteratorINSA_10device_ptrIiEEEEPS6_SG_NS0_5tupleIJSF_NSA_16discard_iteratorINSA_11use_defaultEEEEEENSH_IJSG_SG_EEES6_PlJ7is_evenIiEEEE10hipError_tPvRmT3_T4_T5_T6_T7_T9_mT8_P12ihipStream_tbDpT10_ENKUlT_T0_E_clISt17integral_constantIbLb0EES18_IbLb1EEEEDaS14_S15_EUlS14_E_NS1_11comp_targetILNS1_3genE8ELNS1_11target_archE1030ELNS1_3gpuE2ELNS1_3repE0EEENS1_30default_config_static_selectorELNS0_4arch9wavefront6targetE1EEEvT1_
                                        ; -- End function
	.section	.AMDGPU.csdata,"",@progbits
; Kernel info:
; codeLenInByte = 0
; NumSgprs: 4
; NumVgprs: 0
; NumAgprs: 0
; TotalNumVgprs: 0
; ScratchSize: 0
; MemoryBound: 0
; FloatMode: 240
; IeeeMode: 1
; LDSByteSize: 0 bytes/workgroup (compile time only)
; SGPRBlocks: 0
; VGPRBlocks: 0
; NumSGPRsForWavesPerEU: 4
; NumVGPRsForWavesPerEU: 1
; AccumOffset: 4
; Occupancy: 8
; WaveLimiterHint : 0
; COMPUTE_PGM_RSRC2:SCRATCH_EN: 0
; COMPUTE_PGM_RSRC2:USER_SGPR: 6
; COMPUTE_PGM_RSRC2:TRAP_HANDLER: 0
; COMPUTE_PGM_RSRC2:TGID_X_EN: 1
; COMPUTE_PGM_RSRC2:TGID_Y_EN: 0
; COMPUTE_PGM_RSRC2:TGID_Z_EN: 0
; COMPUTE_PGM_RSRC2:TIDIG_COMP_CNT: 0
; COMPUTE_PGM_RSRC3_GFX90A:ACCUM_OFFSET: 0
; COMPUTE_PGM_RSRC3_GFX90A:TG_SPLIT: 0
	.section	.text._ZN7rocprim17ROCPRIM_400000_NS6detail17trampoline_kernelINS0_14default_configENS1_25partition_config_selectorILNS1_17partition_subalgoE0EiNS0_10empty_typeEbEEZZNS1_14partition_implILS5_0ELb0ES3_jN6thrust23THRUST_200600_302600_NS6detail15normal_iteratorINSA_10device_ptrIiEEEEPS6_SG_NS0_5tupleIJNSA_16discard_iteratorINSA_11use_defaultEEESF_EEENSH_IJSG_SG_EEES6_PlJ7is_evenIiEEEE10hipError_tPvRmT3_T4_T5_T6_T7_T9_mT8_P12ihipStream_tbDpT10_ENKUlT_T0_E_clISt17integral_constantIbLb0EES19_EEDaS14_S15_EUlS14_E_NS1_11comp_targetILNS1_3genE0ELNS1_11target_archE4294967295ELNS1_3gpuE0ELNS1_3repE0EEENS1_30default_config_static_selectorELNS0_4arch9wavefront6targetE1EEEvT1_,"axG",@progbits,_ZN7rocprim17ROCPRIM_400000_NS6detail17trampoline_kernelINS0_14default_configENS1_25partition_config_selectorILNS1_17partition_subalgoE0EiNS0_10empty_typeEbEEZZNS1_14partition_implILS5_0ELb0ES3_jN6thrust23THRUST_200600_302600_NS6detail15normal_iteratorINSA_10device_ptrIiEEEEPS6_SG_NS0_5tupleIJNSA_16discard_iteratorINSA_11use_defaultEEESF_EEENSH_IJSG_SG_EEES6_PlJ7is_evenIiEEEE10hipError_tPvRmT3_T4_T5_T6_T7_T9_mT8_P12ihipStream_tbDpT10_ENKUlT_T0_E_clISt17integral_constantIbLb0EES19_EEDaS14_S15_EUlS14_E_NS1_11comp_targetILNS1_3genE0ELNS1_11target_archE4294967295ELNS1_3gpuE0ELNS1_3repE0EEENS1_30default_config_static_selectorELNS0_4arch9wavefront6targetE1EEEvT1_,comdat
	.protected	_ZN7rocprim17ROCPRIM_400000_NS6detail17trampoline_kernelINS0_14default_configENS1_25partition_config_selectorILNS1_17partition_subalgoE0EiNS0_10empty_typeEbEEZZNS1_14partition_implILS5_0ELb0ES3_jN6thrust23THRUST_200600_302600_NS6detail15normal_iteratorINSA_10device_ptrIiEEEEPS6_SG_NS0_5tupleIJNSA_16discard_iteratorINSA_11use_defaultEEESF_EEENSH_IJSG_SG_EEES6_PlJ7is_evenIiEEEE10hipError_tPvRmT3_T4_T5_T6_T7_T9_mT8_P12ihipStream_tbDpT10_ENKUlT_T0_E_clISt17integral_constantIbLb0EES19_EEDaS14_S15_EUlS14_E_NS1_11comp_targetILNS1_3genE0ELNS1_11target_archE4294967295ELNS1_3gpuE0ELNS1_3repE0EEENS1_30default_config_static_selectorELNS0_4arch9wavefront6targetE1EEEvT1_ ; -- Begin function _ZN7rocprim17ROCPRIM_400000_NS6detail17trampoline_kernelINS0_14default_configENS1_25partition_config_selectorILNS1_17partition_subalgoE0EiNS0_10empty_typeEbEEZZNS1_14partition_implILS5_0ELb0ES3_jN6thrust23THRUST_200600_302600_NS6detail15normal_iteratorINSA_10device_ptrIiEEEEPS6_SG_NS0_5tupleIJNSA_16discard_iteratorINSA_11use_defaultEEESF_EEENSH_IJSG_SG_EEES6_PlJ7is_evenIiEEEE10hipError_tPvRmT3_T4_T5_T6_T7_T9_mT8_P12ihipStream_tbDpT10_ENKUlT_T0_E_clISt17integral_constantIbLb0EES19_EEDaS14_S15_EUlS14_E_NS1_11comp_targetILNS1_3genE0ELNS1_11target_archE4294967295ELNS1_3gpuE0ELNS1_3repE0EEENS1_30default_config_static_selectorELNS0_4arch9wavefront6targetE1EEEvT1_
	.globl	_ZN7rocprim17ROCPRIM_400000_NS6detail17trampoline_kernelINS0_14default_configENS1_25partition_config_selectorILNS1_17partition_subalgoE0EiNS0_10empty_typeEbEEZZNS1_14partition_implILS5_0ELb0ES3_jN6thrust23THRUST_200600_302600_NS6detail15normal_iteratorINSA_10device_ptrIiEEEEPS6_SG_NS0_5tupleIJNSA_16discard_iteratorINSA_11use_defaultEEESF_EEENSH_IJSG_SG_EEES6_PlJ7is_evenIiEEEE10hipError_tPvRmT3_T4_T5_T6_T7_T9_mT8_P12ihipStream_tbDpT10_ENKUlT_T0_E_clISt17integral_constantIbLb0EES19_EEDaS14_S15_EUlS14_E_NS1_11comp_targetILNS1_3genE0ELNS1_11target_archE4294967295ELNS1_3gpuE0ELNS1_3repE0EEENS1_30default_config_static_selectorELNS0_4arch9wavefront6targetE1EEEvT1_
	.p2align	8
	.type	_ZN7rocprim17ROCPRIM_400000_NS6detail17trampoline_kernelINS0_14default_configENS1_25partition_config_selectorILNS1_17partition_subalgoE0EiNS0_10empty_typeEbEEZZNS1_14partition_implILS5_0ELb0ES3_jN6thrust23THRUST_200600_302600_NS6detail15normal_iteratorINSA_10device_ptrIiEEEEPS6_SG_NS0_5tupleIJNSA_16discard_iteratorINSA_11use_defaultEEESF_EEENSH_IJSG_SG_EEES6_PlJ7is_evenIiEEEE10hipError_tPvRmT3_T4_T5_T6_T7_T9_mT8_P12ihipStream_tbDpT10_ENKUlT_T0_E_clISt17integral_constantIbLb0EES19_EEDaS14_S15_EUlS14_E_NS1_11comp_targetILNS1_3genE0ELNS1_11target_archE4294967295ELNS1_3gpuE0ELNS1_3repE0EEENS1_30default_config_static_selectorELNS0_4arch9wavefront6targetE1EEEvT1_,@function
_ZN7rocprim17ROCPRIM_400000_NS6detail17trampoline_kernelINS0_14default_configENS1_25partition_config_selectorILNS1_17partition_subalgoE0EiNS0_10empty_typeEbEEZZNS1_14partition_implILS5_0ELb0ES3_jN6thrust23THRUST_200600_302600_NS6detail15normal_iteratorINSA_10device_ptrIiEEEEPS6_SG_NS0_5tupleIJNSA_16discard_iteratorINSA_11use_defaultEEESF_EEENSH_IJSG_SG_EEES6_PlJ7is_evenIiEEEE10hipError_tPvRmT3_T4_T5_T6_T7_T9_mT8_P12ihipStream_tbDpT10_ENKUlT_T0_E_clISt17integral_constantIbLb0EES19_EEDaS14_S15_EUlS14_E_NS1_11comp_targetILNS1_3genE0ELNS1_11target_archE4294967295ELNS1_3gpuE0ELNS1_3repE0EEENS1_30default_config_static_selectorELNS0_4arch9wavefront6targetE1EEEvT1_: ; @_ZN7rocprim17ROCPRIM_400000_NS6detail17trampoline_kernelINS0_14default_configENS1_25partition_config_selectorILNS1_17partition_subalgoE0EiNS0_10empty_typeEbEEZZNS1_14partition_implILS5_0ELb0ES3_jN6thrust23THRUST_200600_302600_NS6detail15normal_iteratorINSA_10device_ptrIiEEEEPS6_SG_NS0_5tupleIJNSA_16discard_iteratorINSA_11use_defaultEEESF_EEENSH_IJSG_SG_EEES6_PlJ7is_evenIiEEEE10hipError_tPvRmT3_T4_T5_T6_T7_T9_mT8_P12ihipStream_tbDpT10_ENKUlT_T0_E_clISt17integral_constantIbLb0EES19_EEDaS14_S15_EUlS14_E_NS1_11comp_targetILNS1_3genE0ELNS1_11target_archE4294967295ELNS1_3gpuE0ELNS1_3repE0EEENS1_30default_config_static_selectorELNS0_4arch9wavefront6targetE1EEEvT1_
; %bb.0:
	.section	.rodata,"a",@progbits
	.p2align	6, 0x0
	.amdhsa_kernel _ZN7rocprim17ROCPRIM_400000_NS6detail17trampoline_kernelINS0_14default_configENS1_25partition_config_selectorILNS1_17partition_subalgoE0EiNS0_10empty_typeEbEEZZNS1_14partition_implILS5_0ELb0ES3_jN6thrust23THRUST_200600_302600_NS6detail15normal_iteratorINSA_10device_ptrIiEEEEPS6_SG_NS0_5tupleIJNSA_16discard_iteratorINSA_11use_defaultEEESF_EEENSH_IJSG_SG_EEES6_PlJ7is_evenIiEEEE10hipError_tPvRmT3_T4_T5_T6_T7_T9_mT8_P12ihipStream_tbDpT10_ENKUlT_T0_E_clISt17integral_constantIbLb0EES19_EEDaS14_S15_EUlS14_E_NS1_11comp_targetILNS1_3genE0ELNS1_11target_archE4294967295ELNS1_3gpuE0ELNS1_3repE0EEENS1_30default_config_static_selectorELNS0_4arch9wavefront6targetE1EEEvT1_
		.amdhsa_group_segment_fixed_size 0
		.amdhsa_private_segment_fixed_size 0
		.amdhsa_kernarg_size 128
		.amdhsa_user_sgpr_count 6
		.amdhsa_user_sgpr_private_segment_buffer 1
		.amdhsa_user_sgpr_dispatch_ptr 0
		.amdhsa_user_sgpr_queue_ptr 0
		.amdhsa_user_sgpr_kernarg_segment_ptr 1
		.amdhsa_user_sgpr_dispatch_id 0
		.amdhsa_user_sgpr_flat_scratch_init 0
		.amdhsa_user_sgpr_kernarg_preload_length 0
		.amdhsa_user_sgpr_kernarg_preload_offset 0
		.amdhsa_user_sgpr_private_segment_size 0
		.amdhsa_uses_dynamic_stack 0
		.amdhsa_system_sgpr_private_segment_wavefront_offset 0
		.amdhsa_system_sgpr_workgroup_id_x 1
		.amdhsa_system_sgpr_workgroup_id_y 0
		.amdhsa_system_sgpr_workgroup_id_z 0
		.amdhsa_system_sgpr_workgroup_info 0
		.amdhsa_system_vgpr_workitem_id 0
		.amdhsa_next_free_vgpr 1
		.amdhsa_next_free_sgpr 0
		.amdhsa_accum_offset 4
		.amdhsa_reserve_vcc 0
		.amdhsa_reserve_flat_scratch 0
		.amdhsa_float_round_mode_32 0
		.amdhsa_float_round_mode_16_64 0
		.amdhsa_float_denorm_mode_32 3
		.amdhsa_float_denorm_mode_16_64 3
		.amdhsa_dx10_clamp 1
		.amdhsa_ieee_mode 1
		.amdhsa_fp16_overflow 0
		.amdhsa_tg_split 0
		.amdhsa_exception_fp_ieee_invalid_op 0
		.amdhsa_exception_fp_denorm_src 0
		.amdhsa_exception_fp_ieee_div_zero 0
		.amdhsa_exception_fp_ieee_overflow 0
		.amdhsa_exception_fp_ieee_underflow 0
		.amdhsa_exception_fp_ieee_inexact 0
		.amdhsa_exception_int_div_zero 0
	.end_amdhsa_kernel
	.section	.text._ZN7rocprim17ROCPRIM_400000_NS6detail17trampoline_kernelINS0_14default_configENS1_25partition_config_selectorILNS1_17partition_subalgoE0EiNS0_10empty_typeEbEEZZNS1_14partition_implILS5_0ELb0ES3_jN6thrust23THRUST_200600_302600_NS6detail15normal_iteratorINSA_10device_ptrIiEEEEPS6_SG_NS0_5tupleIJNSA_16discard_iteratorINSA_11use_defaultEEESF_EEENSH_IJSG_SG_EEES6_PlJ7is_evenIiEEEE10hipError_tPvRmT3_T4_T5_T6_T7_T9_mT8_P12ihipStream_tbDpT10_ENKUlT_T0_E_clISt17integral_constantIbLb0EES19_EEDaS14_S15_EUlS14_E_NS1_11comp_targetILNS1_3genE0ELNS1_11target_archE4294967295ELNS1_3gpuE0ELNS1_3repE0EEENS1_30default_config_static_selectorELNS0_4arch9wavefront6targetE1EEEvT1_,"axG",@progbits,_ZN7rocprim17ROCPRIM_400000_NS6detail17trampoline_kernelINS0_14default_configENS1_25partition_config_selectorILNS1_17partition_subalgoE0EiNS0_10empty_typeEbEEZZNS1_14partition_implILS5_0ELb0ES3_jN6thrust23THRUST_200600_302600_NS6detail15normal_iteratorINSA_10device_ptrIiEEEEPS6_SG_NS0_5tupleIJNSA_16discard_iteratorINSA_11use_defaultEEESF_EEENSH_IJSG_SG_EEES6_PlJ7is_evenIiEEEE10hipError_tPvRmT3_T4_T5_T6_T7_T9_mT8_P12ihipStream_tbDpT10_ENKUlT_T0_E_clISt17integral_constantIbLb0EES19_EEDaS14_S15_EUlS14_E_NS1_11comp_targetILNS1_3genE0ELNS1_11target_archE4294967295ELNS1_3gpuE0ELNS1_3repE0EEENS1_30default_config_static_selectorELNS0_4arch9wavefront6targetE1EEEvT1_,comdat
.Lfunc_end2747:
	.size	_ZN7rocprim17ROCPRIM_400000_NS6detail17trampoline_kernelINS0_14default_configENS1_25partition_config_selectorILNS1_17partition_subalgoE0EiNS0_10empty_typeEbEEZZNS1_14partition_implILS5_0ELb0ES3_jN6thrust23THRUST_200600_302600_NS6detail15normal_iteratorINSA_10device_ptrIiEEEEPS6_SG_NS0_5tupleIJNSA_16discard_iteratorINSA_11use_defaultEEESF_EEENSH_IJSG_SG_EEES6_PlJ7is_evenIiEEEE10hipError_tPvRmT3_T4_T5_T6_T7_T9_mT8_P12ihipStream_tbDpT10_ENKUlT_T0_E_clISt17integral_constantIbLb0EES19_EEDaS14_S15_EUlS14_E_NS1_11comp_targetILNS1_3genE0ELNS1_11target_archE4294967295ELNS1_3gpuE0ELNS1_3repE0EEENS1_30default_config_static_selectorELNS0_4arch9wavefront6targetE1EEEvT1_, .Lfunc_end2747-_ZN7rocprim17ROCPRIM_400000_NS6detail17trampoline_kernelINS0_14default_configENS1_25partition_config_selectorILNS1_17partition_subalgoE0EiNS0_10empty_typeEbEEZZNS1_14partition_implILS5_0ELb0ES3_jN6thrust23THRUST_200600_302600_NS6detail15normal_iteratorINSA_10device_ptrIiEEEEPS6_SG_NS0_5tupleIJNSA_16discard_iteratorINSA_11use_defaultEEESF_EEENSH_IJSG_SG_EEES6_PlJ7is_evenIiEEEE10hipError_tPvRmT3_T4_T5_T6_T7_T9_mT8_P12ihipStream_tbDpT10_ENKUlT_T0_E_clISt17integral_constantIbLb0EES19_EEDaS14_S15_EUlS14_E_NS1_11comp_targetILNS1_3genE0ELNS1_11target_archE4294967295ELNS1_3gpuE0ELNS1_3repE0EEENS1_30default_config_static_selectorELNS0_4arch9wavefront6targetE1EEEvT1_
                                        ; -- End function
	.section	.AMDGPU.csdata,"",@progbits
; Kernel info:
; codeLenInByte = 0
; NumSgprs: 4
; NumVgprs: 0
; NumAgprs: 0
; TotalNumVgprs: 0
; ScratchSize: 0
; MemoryBound: 0
; FloatMode: 240
; IeeeMode: 1
; LDSByteSize: 0 bytes/workgroup (compile time only)
; SGPRBlocks: 0
; VGPRBlocks: 0
; NumSGPRsForWavesPerEU: 4
; NumVGPRsForWavesPerEU: 1
; AccumOffset: 4
; Occupancy: 8
; WaveLimiterHint : 0
; COMPUTE_PGM_RSRC2:SCRATCH_EN: 0
; COMPUTE_PGM_RSRC2:USER_SGPR: 6
; COMPUTE_PGM_RSRC2:TRAP_HANDLER: 0
; COMPUTE_PGM_RSRC2:TGID_X_EN: 1
; COMPUTE_PGM_RSRC2:TGID_Y_EN: 0
; COMPUTE_PGM_RSRC2:TGID_Z_EN: 0
; COMPUTE_PGM_RSRC2:TIDIG_COMP_CNT: 0
; COMPUTE_PGM_RSRC3_GFX90A:ACCUM_OFFSET: 0
; COMPUTE_PGM_RSRC3_GFX90A:TG_SPLIT: 0
	.section	.text._ZN7rocprim17ROCPRIM_400000_NS6detail17trampoline_kernelINS0_14default_configENS1_25partition_config_selectorILNS1_17partition_subalgoE0EiNS0_10empty_typeEbEEZZNS1_14partition_implILS5_0ELb0ES3_jN6thrust23THRUST_200600_302600_NS6detail15normal_iteratorINSA_10device_ptrIiEEEEPS6_SG_NS0_5tupleIJNSA_16discard_iteratorINSA_11use_defaultEEESF_EEENSH_IJSG_SG_EEES6_PlJ7is_evenIiEEEE10hipError_tPvRmT3_T4_T5_T6_T7_T9_mT8_P12ihipStream_tbDpT10_ENKUlT_T0_E_clISt17integral_constantIbLb0EES19_EEDaS14_S15_EUlS14_E_NS1_11comp_targetILNS1_3genE5ELNS1_11target_archE942ELNS1_3gpuE9ELNS1_3repE0EEENS1_30default_config_static_selectorELNS0_4arch9wavefront6targetE1EEEvT1_,"axG",@progbits,_ZN7rocprim17ROCPRIM_400000_NS6detail17trampoline_kernelINS0_14default_configENS1_25partition_config_selectorILNS1_17partition_subalgoE0EiNS0_10empty_typeEbEEZZNS1_14partition_implILS5_0ELb0ES3_jN6thrust23THRUST_200600_302600_NS6detail15normal_iteratorINSA_10device_ptrIiEEEEPS6_SG_NS0_5tupleIJNSA_16discard_iteratorINSA_11use_defaultEEESF_EEENSH_IJSG_SG_EEES6_PlJ7is_evenIiEEEE10hipError_tPvRmT3_T4_T5_T6_T7_T9_mT8_P12ihipStream_tbDpT10_ENKUlT_T0_E_clISt17integral_constantIbLb0EES19_EEDaS14_S15_EUlS14_E_NS1_11comp_targetILNS1_3genE5ELNS1_11target_archE942ELNS1_3gpuE9ELNS1_3repE0EEENS1_30default_config_static_selectorELNS0_4arch9wavefront6targetE1EEEvT1_,comdat
	.protected	_ZN7rocprim17ROCPRIM_400000_NS6detail17trampoline_kernelINS0_14default_configENS1_25partition_config_selectorILNS1_17partition_subalgoE0EiNS0_10empty_typeEbEEZZNS1_14partition_implILS5_0ELb0ES3_jN6thrust23THRUST_200600_302600_NS6detail15normal_iteratorINSA_10device_ptrIiEEEEPS6_SG_NS0_5tupleIJNSA_16discard_iteratorINSA_11use_defaultEEESF_EEENSH_IJSG_SG_EEES6_PlJ7is_evenIiEEEE10hipError_tPvRmT3_T4_T5_T6_T7_T9_mT8_P12ihipStream_tbDpT10_ENKUlT_T0_E_clISt17integral_constantIbLb0EES19_EEDaS14_S15_EUlS14_E_NS1_11comp_targetILNS1_3genE5ELNS1_11target_archE942ELNS1_3gpuE9ELNS1_3repE0EEENS1_30default_config_static_selectorELNS0_4arch9wavefront6targetE1EEEvT1_ ; -- Begin function _ZN7rocprim17ROCPRIM_400000_NS6detail17trampoline_kernelINS0_14default_configENS1_25partition_config_selectorILNS1_17partition_subalgoE0EiNS0_10empty_typeEbEEZZNS1_14partition_implILS5_0ELb0ES3_jN6thrust23THRUST_200600_302600_NS6detail15normal_iteratorINSA_10device_ptrIiEEEEPS6_SG_NS0_5tupleIJNSA_16discard_iteratorINSA_11use_defaultEEESF_EEENSH_IJSG_SG_EEES6_PlJ7is_evenIiEEEE10hipError_tPvRmT3_T4_T5_T6_T7_T9_mT8_P12ihipStream_tbDpT10_ENKUlT_T0_E_clISt17integral_constantIbLb0EES19_EEDaS14_S15_EUlS14_E_NS1_11comp_targetILNS1_3genE5ELNS1_11target_archE942ELNS1_3gpuE9ELNS1_3repE0EEENS1_30default_config_static_selectorELNS0_4arch9wavefront6targetE1EEEvT1_
	.globl	_ZN7rocprim17ROCPRIM_400000_NS6detail17trampoline_kernelINS0_14default_configENS1_25partition_config_selectorILNS1_17partition_subalgoE0EiNS0_10empty_typeEbEEZZNS1_14partition_implILS5_0ELb0ES3_jN6thrust23THRUST_200600_302600_NS6detail15normal_iteratorINSA_10device_ptrIiEEEEPS6_SG_NS0_5tupleIJNSA_16discard_iteratorINSA_11use_defaultEEESF_EEENSH_IJSG_SG_EEES6_PlJ7is_evenIiEEEE10hipError_tPvRmT3_T4_T5_T6_T7_T9_mT8_P12ihipStream_tbDpT10_ENKUlT_T0_E_clISt17integral_constantIbLb0EES19_EEDaS14_S15_EUlS14_E_NS1_11comp_targetILNS1_3genE5ELNS1_11target_archE942ELNS1_3gpuE9ELNS1_3repE0EEENS1_30default_config_static_selectorELNS0_4arch9wavefront6targetE1EEEvT1_
	.p2align	8
	.type	_ZN7rocprim17ROCPRIM_400000_NS6detail17trampoline_kernelINS0_14default_configENS1_25partition_config_selectorILNS1_17partition_subalgoE0EiNS0_10empty_typeEbEEZZNS1_14partition_implILS5_0ELb0ES3_jN6thrust23THRUST_200600_302600_NS6detail15normal_iteratorINSA_10device_ptrIiEEEEPS6_SG_NS0_5tupleIJNSA_16discard_iteratorINSA_11use_defaultEEESF_EEENSH_IJSG_SG_EEES6_PlJ7is_evenIiEEEE10hipError_tPvRmT3_T4_T5_T6_T7_T9_mT8_P12ihipStream_tbDpT10_ENKUlT_T0_E_clISt17integral_constantIbLb0EES19_EEDaS14_S15_EUlS14_E_NS1_11comp_targetILNS1_3genE5ELNS1_11target_archE942ELNS1_3gpuE9ELNS1_3repE0EEENS1_30default_config_static_selectorELNS0_4arch9wavefront6targetE1EEEvT1_,@function
_ZN7rocprim17ROCPRIM_400000_NS6detail17trampoline_kernelINS0_14default_configENS1_25partition_config_selectorILNS1_17partition_subalgoE0EiNS0_10empty_typeEbEEZZNS1_14partition_implILS5_0ELb0ES3_jN6thrust23THRUST_200600_302600_NS6detail15normal_iteratorINSA_10device_ptrIiEEEEPS6_SG_NS0_5tupleIJNSA_16discard_iteratorINSA_11use_defaultEEESF_EEENSH_IJSG_SG_EEES6_PlJ7is_evenIiEEEE10hipError_tPvRmT3_T4_T5_T6_T7_T9_mT8_P12ihipStream_tbDpT10_ENKUlT_T0_E_clISt17integral_constantIbLb0EES19_EEDaS14_S15_EUlS14_E_NS1_11comp_targetILNS1_3genE5ELNS1_11target_archE942ELNS1_3gpuE9ELNS1_3repE0EEENS1_30default_config_static_selectorELNS0_4arch9wavefront6targetE1EEEvT1_: ; @_ZN7rocprim17ROCPRIM_400000_NS6detail17trampoline_kernelINS0_14default_configENS1_25partition_config_selectorILNS1_17partition_subalgoE0EiNS0_10empty_typeEbEEZZNS1_14partition_implILS5_0ELb0ES3_jN6thrust23THRUST_200600_302600_NS6detail15normal_iteratorINSA_10device_ptrIiEEEEPS6_SG_NS0_5tupleIJNSA_16discard_iteratorINSA_11use_defaultEEESF_EEENSH_IJSG_SG_EEES6_PlJ7is_evenIiEEEE10hipError_tPvRmT3_T4_T5_T6_T7_T9_mT8_P12ihipStream_tbDpT10_ENKUlT_T0_E_clISt17integral_constantIbLb0EES19_EEDaS14_S15_EUlS14_E_NS1_11comp_targetILNS1_3genE5ELNS1_11target_archE942ELNS1_3gpuE9ELNS1_3repE0EEENS1_30default_config_static_selectorELNS0_4arch9wavefront6targetE1EEEvT1_
; %bb.0:
	.section	.rodata,"a",@progbits
	.p2align	6, 0x0
	.amdhsa_kernel _ZN7rocprim17ROCPRIM_400000_NS6detail17trampoline_kernelINS0_14default_configENS1_25partition_config_selectorILNS1_17partition_subalgoE0EiNS0_10empty_typeEbEEZZNS1_14partition_implILS5_0ELb0ES3_jN6thrust23THRUST_200600_302600_NS6detail15normal_iteratorINSA_10device_ptrIiEEEEPS6_SG_NS0_5tupleIJNSA_16discard_iteratorINSA_11use_defaultEEESF_EEENSH_IJSG_SG_EEES6_PlJ7is_evenIiEEEE10hipError_tPvRmT3_T4_T5_T6_T7_T9_mT8_P12ihipStream_tbDpT10_ENKUlT_T0_E_clISt17integral_constantIbLb0EES19_EEDaS14_S15_EUlS14_E_NS1_11comp_targetILNS1_3genE5ELNS1_11target_archE942ELNS1_3gpuE9ELNS1_3repE0EEENS1_30default_config_static_selectorELNS0_4arch9wavefront6targetE1EEEvT1_
		.amdhsa_group_segment_fixed_size 0
		.amdhsa_private_segment_fixed_size 0
		.amdhsa_kernarg_size 128
		.amdhsa_user_sgpr_count 6
		.amdhsa_user_sgpr_private_segment_buffer 1
		.amdhsa_user_sgpr_dispatch_ptr 0
		.amdhsa_user_sgpr_queue_ptr 0
		.amdhsa_user_sgpr_kernarg_segment_ptr 1
		.amdhsa_user_sgpr_dispatch_id 0
		.amdhsa_user_sgpr_flat_scratch_init 0
		.amdhsa_user_sgpr_kernarg_preload_length 0
		.amdhsa_user_sgpr_kernarg_preload_offset 0
		.amdhsa_user_sgpr_private_segment_size 0
		.amdhsa_uses_dynamic_stack 0
		.amdhsa_system_sgpr_private_segment_wavefront_offset 0
		.amdhsa_system_sgpr_workgroup_id_x 1
		.amdhsa_system_sgpr_workgroup_id_y 0
		.amdhsa_system_sgpr_workgroup_id_z 0
		.amdhsa_system_sgpr_workgroup_info 0
		.amdhsa_system_vgpr_workitem_id 0
		.amdhsa_next_free_vgpr 1
		.amdhsa_next_free_sgpr 0
		.amdhsa_accum_offset 4
		.amdhsa_reserve_vcc 0
		.amdhsa_reserve_flat_scratch 0
		.amdhsa_float_round_mode_32 0
		.amdhsa_float_round_mode_16_64 0
		.amdhsa_float_denorm_mode_32 3
		.amdhsa_float_denorm_mode_16_64 3
		.amdhsa_dx10_clamp 1
		.amdhsa_ieee_mode 1
		.amdhsa_fp16_overflow 0
		.amdhsa_tg_split 0
		.amdhsa_exception_fp_ieee_invalid_op 0
		.amdhsa_exception_fp_denorm_src 0
		.amdhsa_exception_fp_ieee_div_zero 0
		.amdhsa_exception_fp_ieee_overflow 0
		.amdhsa_exception_fp_ieee_underflow 0
		.amdhsa_exception_fp_ieee_inexact 0
		.amdhsa_exception_int_div_zero 0
	.end_amdhsa_kernel
	.section	.text._ZN7rocprim17ROCPRIM_400000_NS6detail17trampoline_kernelINS0_14default_configENS1_25partition_config_selectorILNS1_17partition_subalgoE0EiNS0_10empty_typeEbEEZZNS1_14partition_implILS5_0ELb0ES3_jN6thrust23THRUST_200600_302600_NS6detail15normal_iteratorINSA_10device_ptrIiEEEEPS6_SG_NS0_5tupleIJNSA_16discard_iteratorINSA_11use_defaultEEESF_EEENSH_IJSG_SG_EEES6_PlJ7is_evenIiEEEE10hipError_tPvRmT3_T4_T5_T6_T7_T9_mT8_P12ihipStream_tbDpT10_ENKUlT_T0_E_clISt17integral_constantIbLb0EES19_EEDaS14_S15_EUlS14_E_NS1_11comp_targetILNS1_3genE5ELNS1_11target_archE942ELNS1_3gpuE9ELNS1_3repE0EEENS1_30default_config_static_selectorELNS0_4arch9wavefront6targetE1EEEvT1_,"axG",@progbits,_ZN7rocprim17ROCPRIM_400000_NS6detail17trampoline_kernelINS0_14default_configENS1_25partition_config_selectorILNS1_17partition_subalgoE0EiNS0_10empty_typeEbEEZZNS1_14partition_implILS5_0ELb0ES3_jN6thrust23THRUST_200600_302600_NS6detail15normal_iteratorINSA_10device_ptrIiEEEEPS6_SG_NS0_5tupleIJNSA_16discard_iteratorINSA_11use_defaultEEESF_EEENSH_IJSG_SG_EEES6_PlJ7is_evenIiEEEE10hipError_tPvRmT3_T4_T5_T6_T7_T9_mT8_P12ihipStream_tbDpT10_ENKUlT_T0_E_clISt17integral_constantIbLb0EES19_EEDaS14_S15_EUlS14_E_NS1_11comp_targetILNS1_3genE5ELNS1_11target_archE942ELNS1_3gpuE9ELNS1_3repE0EEENS1_30default_config_static_selectorELNS0_4arch9wavefront6targetE1EEEvT1_,comdat
.Lfunc_end2748:
	.size	_ZN7rocprim17ROCPRIM_400000_NS6detail17trampoline_kernelINS0_14default_configENS1_25partition_config_selectorILNS1_17partition_subalgoE0EiNS0_10empty_typeEbEEZZNS1_14partition_implILS5_0ELb0ES3_jN6thrust23THRUST_200600_302600_NS6detail15normal_iteratorINSA_10device_ptrIiEEEEPS6_SG_NS0_5tupleIJNSA_16discard_iteratorINSA_11use_defaultEEESF_EEENSH_IJSG_SG_EEES6_PlJ7is_evenIiEEEE10hipError_tPvRmT3_T4_T5_T6_T7_T9_mT8_P12ihipStream_tbDpT10_ENKUlT_T0_E_clISt17integral_constantIbLb0EES19_EEDaS14_S15_EUlS14_E_NS1_11comp_targetILNS1_3genE5ELNS1_11target_archE942ELNS1_3gpuE9ELNS1_3repE0EEENS1_30default_config_static_selectorELNS0_4arch9wavefront6targetE1EEEvT1_, .Lfunc_end2748-_ZN7rocprim17ROCPRIM_400000_NS6detail17trampoline_kernelINS0_14default_configENS1_25partition_config_selectorILNS1_17partition_subalgoE0EiNS0_10empty_typeEbEEZZNS1_14partition_implILS5_0ELb0ES3_jN6thrust23THRUST_200600_302600_NS6detail15normal_iteratorINSA_10device_ptrIiEEEEPS6_SG_NS0_5tupleIJNSA_16discard_iteratorINSA_11use_defaultEEESF_EEENSH_IJSG_SG_EEES6_PlJ7is_evenIiEEEE10hipError_tPvRmT3_T4_T5_T6_T7_T9_mT8_P12ihipStream_tbDpT10_ENKUlT_T0_E_clISt17integral_constantIbLb0EES19_EEDaS14_S15_EUlS14_E_NS1_11comp_targetILNS1_3genE5ELNS1_11target_archE942ELNS1_3gpuE9ELNS1_3repE0EEENS1_30default_config_static_selectorELNS0_4arch9wavefront6targetE1EEEvT1_
                                        ; -- End function
	.section	.AMDGPU.csdata,"",@progbits
; Kernel info:
; codeLenInByte = 0
; NumSgprs: 4
; NumVgprs: 0
; NumAgprs: 0
; TotalNumVgprs: 0
; ScratchSize: 0
; MemoryBound: 0
; FloatMode: 240
; IeeeMode: 1
; LDSByteSize: 0 bytes/workgroup (compile time only)
; SGPRBlocks: 0
; VGPRBlocks: 0
; NumSGPRsForWavesPerEU: 4
; NumVGPRsForWavesPerEU: 1
; AccumOffset: 4
; Occupancy: 8
; WaveLimiterHint : 0
; COMPUTE_PGM_RSRC2:SCRATCH_EN: 0
; COMPUTE_PGM_RSRC2:USER_SGPR: 6
; COMPUTE_PGM_RSRC2:TRAP_HANDLER: 0
; COMPUTE_PGM_RSRC2:TGID_X_EN: 1
; COMPUTE_PGM_RSRC2:TGID_Y_EN: 0
; COMPUTE_PGM_RSRC2:TGID_Z_EN: 0
; COMPUTE_PGM_RSRC2:TIDIG_COMP_CNT: 0
; COMPUTE_PGM_RSRC3_GFX90A:ACCUM_OFFSET: 0
; COMPUTE_PGM_RSRC3_GFX90A:TG_SPLIT: 0
	.section	.text._ZN7rocprim17ROCPRIM_400000_NS6detail17trampoline_kernelINS0_14default_configENS1_25partition_config_selectorILNS1_17partition_subalgoE0EiNS0_10empty_typeEbEEZZNS1_14partition_implILS5_0ELb0ES3_jN6thrust23THRUST_200600_302600_NS6detail15normal_iteratorINSA_10device_ptrIiEEEEPS6_SG_NS0_5tupleIJNSA_16discard_iteratorINSA_11use_defaultEEESF_EEENSH_IJSG_SG_EEES6_PlJ7is_evenIiEEEE10hipError_tPvRmT3_T4_T5_T6_T7_T9_mT8_P12ihipStream_tbDpT10_ENKUlT_T0_E_clISt17integral_constantIbLb0EES19_EEDaS14_S15_EUlS14_E_NS1_11comp_targetILNS1_3genE4ELNS1_11target_archE910ELNS1_3gpuE8ELNS1_3repE0EEENS1_30default_config_static_selectorELNS0_4arch9wavefront6targetE1EEEvT1_,"axG",@progbits,_ZN7rocprim17ROCPRIM_400000_NS6detail17trampoline_kernelINS0_14default_configENS1_25partition_config_selectorILNS1_17partition_subalgoE0EiNS0_10empty_typeEbEEZZNS1_14partition_implILS5_0ELb0ES3_jN6thrust23THRUST_200600_302600_NS6detail15normal_iteratorINSA_10device_ptrIiEEEEPS6_SG_NS0_5tupleIJNSA_16discard_iteratorINSA_11use_defaultEEESF_EEENSH_IJSG_SG_EEES6_PlJ7is_evenIiEEEE10hipError_tPvRmT3_T4_T5_T6_T7_T9_mT8_P12ihipStream_tbDpT10_ENKUlT_T0_E_clISt17integral_constantIbLb0EES19_EEDaS14_S15_EUlS14_E_NS1_11comp_targetILNS1_3genE4ELNS1_11target_archE910ELNS1_3gpuE8ELNS1_3repE0EEENS1_30default_config_static_selectorELNS0_4arch9wavefront6targetE1EEEvT1_,comdat
	.protected	_ZN7rocprim17ROCPRIM_400000_NS6detail17trampoline_kernelINS0_14default_configENS1_25partition_config_selectorILNS1_17partition_subalgoE0EiNS0_10empty_typeEbEEZZNS1_14partition_implILS5_0ELb0ES3_jN6thrust23THRUST_200600_302600_NS6detail15normal_iteratorINSA_10device_ptrIiEEEEPS6_SG_NS0_5tupleIJNSA_16discard_iteratorINSA_11use_defaultEEESF_EEENSH_IJSG_SG_EEES6_PlJ7is_evenIiEEEE10hipError_tPvRmT3_T4_T5_T6_T7_T9_mT8_P12ihipStream_tbDpT10_ENKUlT_T0_E_clISt17integral_constantIbLb0EES19_EEDaS14_S15_EUlS14_E_NS1_11comp_targetILNS1_3genE4ELNS1_11target_archE910ELNS1_3gpuE8ELNS1_3repE0EEENS1_30default_config_static_selectorELNS0_4arch9wavefront6targetE1EEEvT1_ ; -- Begin function _ZN7rocprim17ROCPRIM_400000_NS6detail17trampoline_kernelINS0_14default_configENS1_25partition_config_selectorILNS1_17partition_subalgoE0EiNS0_10empty_typeEbEEZZNS1_14partition_implILS5_0ELb0ES3_jN6thrust23THRUST_200600_302600_NS6detail15normal_iteratorINSA_10device_ptrIiEEEEPS6_SG_NS0_5tupleIJNSA_16discard_iteratorINSA_11use_defaultEEESF_EEENSH_IJSG_SG_EEES6_PlJ7is_evenIiEEEE10hipError_tPvRmT3_T4_T5_T6_T7_T9_mT8_P12ihipStream_tbDpT10_ENKUlT_T0_E_clISt17integral_constantIbLb0EES19_EEDaS14_S15_EUlS14_E_NS1_11comp_targetILNS1_3genE4ELNS1_11target_archE910ELNS1_3gpuE8ELNS1_3repE0EEENS1_30default_config_static_selectorELNS0_4arch9wavefront6targetE1EEEvT1_
	.globl	_ZN7rocprim17ROCPRIM_400000_NS6detail17trampoline_kernelINS0_14default_configENS1_25partition_config_selectorILNS1_17partition_subalgoE0EiNS0_10empty_typeEbEEZZNS1_14partition_implILS5_0ELb0ES3_jN6thrust23THRUST_200600_302600_NS6detail15normal_iteratorINSA_10device_ptrIiEEEEPS6_SG_NS0_5tupleIJNSA_16discard_iteratorINSA_11use_defaultEEESF_EEENSH_IJSG_SG_EEES6_PlJ7is_evenIiEEEE10hipError_tPvRmT3_T4_T5_T6_T7_T9_mT8_P12ihipStream_tbDpT10_ENKUlT_T0_E_clISt17integral_constantIbLb0EES19_EEDaS14_S15_EUlS14_E_NS1_11comp_targetILNS1_3genE4ELNS1_11target_archE910ELNS1_3gpuE8ELNS1_3repE0EEENS1_30default_config_static_selectorELNS0_4arch9wavefront6targetE1EEEvT1_
	.p2align	8
	.type	_ZN7rocprim17ROCPRIM_400000_NS6detail17trampoline_kernelINS0_14default_configENS1_25partition_config_selectorILNS1_17partition_subalgoE0EiNS0_10empty_typeEbEEZZNS1_14partition_implILS5_0ELb0ES3_jN6thrust23THRUST_200600_302600_NS6detail15normal_iteratorINSA_10device_ptrIiEEEEPS6_SG_NS0_5tupleIJNSA_16discard_iteratorINSA_11use_defaultEEESF_EEENSH_IJSG_SG_EEES6_PlJ7is_evenIiEEEE10hipError_tPvRmT3_T4_T5_T6_T7_T9_mT8_P12ihipStream_tbDpT10_ENKUlT_T0_E_clISt17integral_constantIbLb0EES19_EEDaS14_S15_EUlS14_E_NS1_11comp_targetILNS1_3genE4ELNS1_11target_archE910ELNS1_3gpuE8ELNS1_3repE0EEENS1_30default_config_static_selectorELNS0_4arch9wavefront6targetE1EEEvT1_,@function
_ZN7rocprim17ROCPRIM_400000_NS6detail17trampoline_kernelINS0_14default_configENS1_25partition_config_selectorILNS1_17partition_subalgoE0EiNS0_10empty_typeEbEEZZNS1_14partition_implILS5_0ELb0ES3_jN6thrust23THRUST_200600_302600_NS6detail15normal_iteratorINSA_10device_ptrIiEEEEPS6_SG_NS0_5tupleIJNSA_16discard_iteratorINSA_11use_defaultEEESF_EEENSH_IJSG_SG_EEES6_PlJ7is_evenIiEEEE10hipError_tPvRmT3_T4_T5_T6_T7_T9_mT8_P12ihipStream_tbDpT10_ENKUlT_T0_E_clISt17integral_constantIbLb0EES19_EEDaS14_S15_EUlS14_E_NS1_11comp_targetILNS1_3genE4ELNS1_11target_archE910ELNS1_3gpuE8ELNS1_3repE0EEENS1_30default_config_static_selectorELNS0_4arch9wavefront6targetE1EEEvT1_: ; @_ZN7rocprim17ROCPRIM_400000_NS6detail17trampoline_kernelINS0_14default_configENS1_25partition_config_selectorILNS1_17partition_subalgoE0EiNS0_10empty_typeEbEEZZNS1_14partition_implILS5_0ELb0ES3_jN6thrust23THRUST_200600_302600_NS6detail15normal_iteratorINSA_10device_ptrIiEEEEPS6_SG_NS0_5tupleIJNSA_16discard_iteratorINSA_11use_defaultEEESF_EEENSH_IJSG_SG_EEES6_PlJ7is_evenIiEEEE10hipError_tPvRmT3_T4_T5_T6_T7_T9_mT8_P12ihipStream_tbDpT10_ENKUlT_T0_E_clISt17integral_constantIbLb0EES19_EEDaS14_S15_EUlS14_E_NS1_11comp_targetILNS1_3genE4ELNS1_11target_archE910ELNS1_3gpuE8ELNS1_3repE0EEENS1_30default_config_static_selectorELNS0_4arch9wavefront6targetE1EEEvT1_
; %bb.0:
	s_load_dwordx2 s[0:1], s[4:5], 0x60
	s_load_dwordx4 s[20:23], s[4:5], 0x8
	s_load_dwordx4 s[24:27], s[4:5], 0x50
	s_load_dword s7, s[4:5], 0x78
	s_mul_i32 s8, s6, 0xa00
	s_waitcnt lgkmcnt(0)
	v_mov_b32_e32 v3, s1
	s_lshl_b64 s[2:3], s[22:23], 2
	s_add_u32 s10, s20, s2
	s_mul_i32 s1, s7, 0xa00
	s_addc_u32 s11, s21, s3
	s_add_i32 s3, s1, s22
	s_sub_i32 s33, s0, s3
	s_add_i32 s2, s7, -1
	s_addk_i32 s33, 0xa00
	v_mov_b32_e32 v2, s0
	s_add_u32 s0, s22, s1
	s_addc_u32 s1, s23, 0
	s_cmp_eq_u32 s6, s2
	s_load_dwordx2 s[28:29], s[26:27], 0x0
	s_cselect_b64 s[26:27], -1, 0
	s_cmp_lg_u32 s6, s2
	s_mov_b32 s9, 0
	v_cmp_lt_u64_e32 vcc, s[0:1], v[2:3]
	s_cselect_b64 s[0:1], -1, 0
	s_or_b64 s[2:3], s[0:1], vcc
	s_lshl_b64 s[30:31], s[8:9], 2
	s_add_u32 s7, s10, s30
	s_addc_u32 s10, s11, s31
	s_mov_b64 s[0:1], -1
	s_and_b64 vcc, exec, s[2:3]
	v_lshlrev_b32_e32 v22, 2, v0
	s_cbranch_vccz .LBB2749_2
; %bb.1:
	v_mov_b32_e32 v1, s10
	v_add_co_u32_e32 v2, vcc, s7, v22
	v_addc_co_u32_e32 v3, vcc, 0, v1, vcc
	v_add_co_u32_e32 v4, vcc, 0x1000, v2
	v_addc_co_u32_e32 v5, vcc, 0, v3, vcc
	flat_load_dword v1, v[2:3]
	flat_load_dword v6, v[2:3] offset:1024
	flat_load_dword v7, v[2:3] offset:2048
	;; [unrolled: 1-line block ×3, first 2 shown]
	flat_load_dword v9, v[4:5]
	flat_load_dword v10, v[4:5] offset:1024
	flat_load_dword v11, v[4:5] offset:2048
	;; [unrolled: 1-line block ×3, first 2 shown]
	v_add_co_u32_e32 v2, vcc, 0x2000, v2
	v_addc_co_u32_e32 v3, vcc, 0, v3, vcc
	flat_load_dword v4, v[2:3]
	flat_load_dword v5, v[2:3] offset:1024
	s_mov_b64 s[0:1], 0
	s_waitcnt vmcnt(0) lgkmcnt(0)
	ds_write2st64_b32 v22, v1, v6 offset1:4
	ds_write2st64_b32 v22, v7, v8 offset0:8 offset1:12
	ds_write2st64_b32 v22, v9, v10 offset0:16 offset1:20
	;; [unrolled: 1-line block ×4, first 2 shown]
	s_waitcnt lgkmcnt(0)
	s_barrier
.LBB2749_2:
	s_andn2_b64 vcc, exec, s[0:1]
	v_cmp_gt_u32_e64 s[0:1], s33, v0
	s_cbranch_vccnz .LBB2749_24
; %bb.3:
                                        ; implicit-def: $vgpr2_vgpr3_vgpr4_vgpr5_vgpr6_vgpr7_vgpr8_vgpr9_vgpr10_vgpr11
	s_and_saveexec_b64 s[8:9], s[0:1]
	s_cbranch_execz .LBB2749_5
; %bb.4:
	v_mov_b32_e32 v1, s10
	v_add_co_u32_e32 v2, vcc, s7, v22
	v_addc_co_u32_e32 v3, vcc, 0, v1, vcc
	flat_load_dword v2, v[2:3]
.LBB2749_5:
	s_or_b64 exec, exec, s[8:9]
	v_or_b32_e32 v1, 0x100, v0
	v_cmp_gt_u32_e32 vcc, s33, v1
	s_and_saveexec_b64 s[0:1], vcc
	s_cbranch_execz .LBB2749_7
; %bb.6:
	v_mov_b32_e32 v1, s10
	v_add_co_u32_e32 v12, vcc, s7, v22
	v_addc_co_u32_e32 v13, vcc, 0, v1, vcc
	flat_load_dword v3, v[12:13] offset:1024
.LBB2749_7:
	s_or_b64 exec, exec, s[0:1]
	v_or_b32_e32 v1, 0x200, v0
	v_cmp_gt_u32_e32 vcc, s33, v1
	s_and_saveexec_b64 s[0:1], vcc
	s_cbranch_execz .LBB2749_9
; %bb.8:
	v_mov_b32_e32 v1, s10
	v_add_co_u32_e32 v12, vcc, s7, v22
	v_addc_co_u32_e32 v13, vcc, 0, v1, vcc
	flat_load_dword v4, v[12:13] offset:2048
.LBB2749_9:
	;; [unrolled: 11-line block ×3, first 2 shown]
	s_or_b64 exec, exec, s[0:1]
	v_or_b32_e32 v1, 0x400, v0
	v_cmp_gt_u32_e32 vcc, s33, v1
	s_and_saveexec_b64 s[0:1], vcc
	s_cbranch_execz .LBB2749_13
; %bb.12:
	v_lshlrev_b32_e32 v1, 2, v1
	v_mov_b32_e32 v6, s10
	v_add_co_u32_e32 v12, vcc, s7, v1
	v_addc_co_u32_e32 v13, vcc, 0, v6, vcc
	flat_load_dword v6, v[12:13]
.LBB2749_13:
	s_or_b64 exec, exec, s[0:1]
	v_or_b32_e32 v1, 0x500, v0
	v_cmp_gt_u32_e32 vcc, s33, v1
	s_and_saveexec_b64 s[0:1], vcc
	s_cbranch_execz .LBB2749_15
; %bb.14:
	v_lshlrev_b32_e32 v1, 2, v1
	v_mov_b32_e32 v7, s10
	v_add_co_u32_e32 v12, vcc, s7, v1
	v_addc_co_u32_e32 v13, vcc, 0, v7, vcc
	flat_load_dword v7, v[12:13]
.LBB2749_15:
	;; [unrolled: 12-line block ×6, first 2 shown]
	s_or_b64 exec, exec, s[0:1]
	s_waitcnt vmcnt(0) lgkmcnt(0)
	ds_write2st64_b32 v22, v2, v3 offset1:4
	ds_write2st64_b32 v22, v4, v5 offset0:8 offset1:12
	ds_write2st64_b32 v22, v6, v7 offset0:16 offset1:20
	;; [unrolled: 1-line block ×4, first 2 shown]
	s_waitcnt lgkmcnt(0)
	s_barrier
.LBB2749_24:
	v_mul_u32_u24_e32 v23, 10, v0
	v_lshlrev_b32_e32 v29, 2, v23
	s_waitcnt lgkmcnt(0)
	ds_read2_b64 v[6:9], v29 offset1:1
	ds_read2_b64 v[2:5], v29 offset0:2 offset1:3
	ds_read_b64 v[10:11], v29 offset:32
	v_cndmask_b32_e64 v1, 0, 1, s[2:3]
	v_cmp_ne_u32_e64 s[0:1], 1, v1
	s_andn2_b64 vcc, exec, s[2:3]
	s_waitcnt lgkmcnt(2)
	v_xor_b32_e32 v21, -1, v6
	v_xor_b32_e32 v20, -1, v7
	v_xor_b32_e32 v19, -1, v8
	v_xor_b32_e32 v18, -1, v9
	s_waitcnt lgkmcnt(1)
	v_xor_b32_e32 v17, -1, v2
	v_xor_b32_e32 v16, -1, v3
	;; [unrolled: 1-line block ×4, first 2 shown]
	s_waitcnt lgkmcnt(0)
	v_xor_b32_e32 v13, -1, v10
	v_xor_b32_e32 v12, -1, v11
	s_barrier
	s_cbranch_vccnz .LBB2749_26
; %bb.25:
	v_mov_b32_e32 v1, 1
	v_and_b32_e32 v25, 1, v21
	v_and_b32_sdwa v26, v20, v1 dst_sel:BYTE_1 dst_unused:UNUSED_PAD src0_sel:DWORD src1_sel:DWORD
	v_and_b32_e32 v27, 1, v19
	v_and_b32_sdwa v28, v18, v1 dst_sel:BYTE_1 dst_unused:UNUSED_PAD src0_sel:DWORD src1_sel:DWORD
	;; [unrolled: 2-line block ×4, first 2 shown]
	v_or_b32_e32 v25, v25, v26
	v_or_b32_sdwa v26, v27, v28 dst_sel:WORD_1 dst_unused:UNUSED_PAD src0_sel:DWORD src1_sel:DWORD
	v_or_b32_sdwa v26, v25, v26 dst_sel:DWORD dst_unused:UNUSED_PAD src0_sel:WORD_0 src1_sel:DWORD
	v_or_b32_e32 v25, v30, v31
	v_or_b32_sdwa v27, v32, v33 dst_sel:WORD_1 dst_unused:UNUSED_PAD src0_sel:DWORD src1_sel:DWORD
	v_and_b32_e32 v24, 1, v13
	v_and_b32_e32 v1, 1, v12
	v_or_b32_sdwa v25, v25, v27 dst_sel:DWORD dst_unused:UNUSED_PAD src0_sel:WORD_0 src1_sel:DWORD
	s_load_dwordx2 s[34:35], s[4:5], 0x70
	s_cbranch_execz .LBB2749_27
	s_branch .LBB2749_28
.LBB2749_26:
                                        ; implicit-def: $vgpr1
                                        ; implicit-def: $vgpr24
                                        ; implicit-def: $vgpr25
                                        ; implicit-def: $vgpr26
	s_load_dwordx2 s[34:35], s[4:5], 0x70
.LBB2749_27:
	v_or_b32_e32 v32, 1, v23
	v_cmp_gt_u32_e32 vcc, s33, v23
	v_add_u32_e32 v1, 2, v23
	v_cndmask_b32_e64 v33, 0, 1, vcc
	v_cmp_gt_u32_e32 vcc, s33, v32
	v_add_u32_e32 v31, 3, v23
	v_cndmask_b32_e64 v32, 0, 1, vcc
	;; [unrolled: 3-line block ×3, first 2 shown]
	v_cmp_gt_u32_e32 vcc, s33, v31
	v_add_u32_e32 v30, 5, v23
	v_and_b32_e32 v19, v1, v19
	v_cndmask_b32_e64 v1, 0, 1, vcc
	v_cmp_gt_u32_e32 vcc, s33, v24
	v_add_u32_e32 v25, 6, v23
	v_and_b32_sdwa v18, v1, v18 dst_sel:BYTE_1 dst_unused:UNUSED_PAD src0_sel:DWORD src1_sel:DWORD
	v_cndmask_b32_e64 v1, 0, 1, vcc
	v_cmp_gt_u32_e32 vcc, s33, v30
	v_add_u32_e32 v28, 7, v23
	v_and_b32_e32 v17, v1, v17
	v_cndmask_b32_e64 v1, 0, 1, vcc
	v_cmp_gt_u32_e32 vcc, s33, v25
	v_add_u32_e32 v26, 8, v23
	v_and_b32_sdwa v16, v1, v16 dst_sel:BYTE_1 dst_unused:UNUSED_PAD src0_sel:DWORD src1_sel:DWORD
	v_cndmask_b32_e64 v1, 0, 1, vcc
	v_cmp_gt_u32_e32 vcc, s33, v28
	v_add_u32_e32 v27, 9, v23
	v_and_b32_e32 v15, v1, v15
	v_cndmask_b32_e64 v1, 0, 1, vcc
	v_cmp_gt_u32_e32 vcc, s33, v26
	v_and_b32_sdwa v14, v1, v14 dst_sel:BYTE_1 dst_unused:UNUSED_PAD src0_sel:DWORD src1_sel:DWORD
	v_cndmask_b32_e64 v1, 0, 1, vcc
	v_cmp_gt_u32_e32 vcc, s33, v27
	v_and_b32_e32 v21, v33, v21
	v_and_b32_sdwa v20, v32, v20 dst_sel:BYTE_1 dst_unused:UNUSED_PAD src0_sel:DWORD src1_sel:DWORD
	v_and_b32_e32 v24, v1, v13
	v_cndmask_b32_e64 v1, 0, 1, vcc
	v_and_b32_e32 v1, v1, v12
	v_or_b32_e32 v12, v21, v20
	v_or_b32_sdwa v13, v19, v18 dst_sel:WORD_1 dst_unused:UNUSED_PAD src0_sel:DWORD src1_sel:DWORD
	v_or_b32_sdwa v26, v12, v13 dst_sel:DWORD dst_unused:UNUSED_PAD src0_sel:WORD_0 src1_sel:DWORD
	v_or_b32_e32 v12, v17, v16
	v_or_b32_sdwa v13, v15, v14 dst_sel:WORD_1 dst_unused:UNUSED_PAD src0_sel:DWORD src1_sel:DWORD
	v_or_b32_sdwa v25, v12, v13 dst_sel:DWORD dst_unused:UNUSED_PAD src0_sel:WORD_0 src1_sel:DWORD
.LBB2749_28:
	v_bfe_u32 v30, v26, 16, 8
	v_lshrrev_b32_e32 v28, 24, v26
	v_add_u32_sdwa v13, v26, v26 dst_sel:DWORD dst_unused:UNUSED_PAD src0_sel:BYTE_1 src1_sel:BYTE_0
	v_and_b32_e32 v31, 0xff, v25
	v_bfe_u32 v32, v25, 8, 8
	v_add3_u32 v13, v13, v30, v28
	v_bfe_u32 v33, v25, 16, 8
	v_lshrrev_b32_e32 v27, 24, v25
	v_add3_u32 v13, v13, v31, v32
	v_and_b32_e32 v34, 0xff, v24
	v_and_b32_e32 v12, 0xff, v1
	v_add3_u32 v13, v13, v33, v27
	v_add3_u32 v37, v13, v34, v12
	v_mbcnt_lo_u32_b32 v12, -1, 0
	v_mbcnt_hi_u32_b32 v35, -1, v12
	v_and_b32_e32 v12, 15, v35
	v_cmp_eq_u32_e64 s[16:17], 0, v12
	v_cmp_lt_u32_e64 s[14:15], 1, v12
	v_cmp_lt_u32_e64 s[12:13], 3, v12
	;; [unrolled: 1-line block ×3, first 2 shown]
	v_and_b32_e32 v12, 16, v35
	v_cmp_eq_u32_e64 s[8:9], 0, v12
	v_or_b32_e32 v12, 63, v0
	s_cmp_lg_u32 s6, 0
	v_cmp_lt_u32_e64 s[2:3], 31, v35
	v_lshrrev_b32_e32 v36, 6, v0
	v_cmp_eq_u32_e64 s[20:21], v12, v0
	s_cbranch_scc0 .LBB2749_55
; %bb.29:
	v_mov_b32_dpp v12, v37 row_shr:1 row_mask:0xf bank_mask:0xf
	v_cndmask_b32_e64 v12, v12, 0, s[16:17]
	v_add_u32_e32 v12, v12, v37
	s_nop 1
	v_mov_b32_dpp v13, v12 row_shr:2 row_mask:0xf bank_mask:0xf
	v_cndmask_b32_e64 v13, 0, v13, s[14:15]
	v_add_u32_e32 v12, v12, v13
	s_nop 1
	;; [unrolled: 4-line block ×4, first 2 shown]
	v_mov_b32_dpp v13, v12 row_bcast:15 row_mask:0xf bank_mask:0xf
	v_cndmask_b32_e64 v13, v13, 0, s[8:9]
	v_add_u32_e32 v12, v12, v13
	s_nop 1
	v_mov_b32_dpp v13, v12 row_bcast:31 row_mask:0xf bank_mask:0xf
	v_cndmask_b32_e64 v13, 0, v13, s[2:3]
	v_add_u32_e32 v12, v12, v13
	s_and_saveexec_b64 s[18:19], s[20:21]
	s_cbranch_execz .LBB2749_31
; %bb.30:
	v_lshlrev_b32_e32 v13, 2, v36
	ds_write_b32 v13, v12
.LBB2749_31:
	s_or_b64 exec, exec, s[18:19]
	v_cmp_gt_u32_e32 vcc, 4, v0
	s_waitcnt lgkmcnt(0)
	s_barrier
	s_and_saveexec_b64 s[18:19], vcc
	s_cbranch_execz .LBB2749_33
; %bb.32:
	ds_read_b32 v13, v22
	v_and_b32_e32 v14, 3, v35
	v_cmp_ne_u32_e32 vcc, 0, v14
	s_waitcnt lgkmcnt(0)
	v_mov_b32_dpp v15, v13 row_shr:1 row_mask:0xf bank_mask:0xf
	v_cndmask_b32_e32 v15, 0, v15, vcc
	v_add_u32_e32 v13, v15, v13
	v_cmp_lt_u32_e32 vcc, 1, v14
	s_nop 0
	v_mov_b32_dpp v15, v13 row_shr:2 row_mask:0xf bank_mask:0xf
	v_cndmask_b32_e32 v14, 0, v15, vcc
	v_add_u32_e32 v13, v13, v14
	ds_write_b32 v22, v13
.LBB2749_33:
	s_or_b64 exec, exec, s[18:19]
	v_cmp_gt_u32_e32 vcc, 64, v0
	v_cmp_lt_u32_e64 s[18:19], 63, v0
	s_waitcnt lgkmcnt(0)
	s_barrier
	s_waitcnt lgkmcnt(0)
                                        ; implicit-def: $vgpr38
	s_and_saveexec_b64 s[36:37], s[18:19]
	s_cbranch_execz .LBB2749_35
; %bb.34:
	v_lshl_add_u32 v13, v36, 2, -4
	ds_read_b32 v38, v13
	s_waitcnt lgkmcnt(0)
	v_add_u32_e32 v12, v38, v12
.LBB2749_35:
	s_or_b64 exec, exec, s[36:37]
	v_add_u32_e32 v13, -1, v35
	v_and_b32_e32 v14, 64, v35
	v_cmp_lt_i32_e64 s[18:19], v13, v14
	v_cndmask_b32_e64 v13, v13, v35, s[18:19]
	v_lshlrev_b32_e32 v13, 2, v13
	ds_bpermute_b32 v39, v13, v12
	v_cmp_eq_u32_e64 s[18:19], 0, v35
	s_and_saveexec_b64 s[36:37], vcc
	s_cbranch_execz .LBB2749_54
; %bb.36:
	v_mov_b32_e32 v19, 0
	ds_read_b32 v12, v19 offset:12
	s_and_saveexec_b64 s[38:39], s[18:19]
	s_cbranch_execz .LBB2749_38
; %bb.37:
	s_add_i32 s40, s6, 64
	s_mov_b32 s41, 0
	s_lshl_b64 s[40:41], s[40:41], 3
	s_add_u32 s40, s34, s40
	v_mov_b32_e32 v13, 1
	s_addc_u32 s41, s35, s41
	s_waitcnt lgkmcnt(0)
	global_store_dwordx2 v19, v[12:13], s[40:41]
.LBB2749_38:
	s_or_b64 exec, exec, s[38:39]
	v_xad_u32 v14, v35, -1, s6
	v_add_u32_e32 v18, 64, v14
	v_lshlrev_b64 v[16:17], 3, v[18:19]
	v_mov_b32_e32 v13, s35
	v_add_co_u32_e32 v20, vcc, s34, v16
	v_addc_co_u32_e32 v21, vcc, v13, v17, vcc
	global_load_dwordx2 v[16:17], v[20:21], off glc
	s_waitcnt vmcnt(0)
	v_cmp_eq_u16_sdwa s[40:41], v17, v19 src0_sel:BYTE_0 src1_sel:DWORD
	s_and_saveexec_b64 s[38:39], s[40:41]
	s_cbranch_execz .LBB2749_42
; %bb.39:
	s_mov_b64 s[40:41], 0
	v_mov_b32_e32 v13, 0
.LBB2749_40:                            ; =>This Inner Loop Header: Depth=1
	global_load_dwordx2 v[16:17], v[20:21], off glc
	s_waitcnt vmcnt(0)
	v_cmp_ne_u16_sdwa s[42:43], v17, v13 src0_sel:BYTE_0 src1_sel:DWORD
	s_or_b64 s[40:41], s[42:43], s[40:41]
	s_andn2_b64 exec, exec, s[40:41]
	s_cbranch_execnz .LBB2749_40
; %bb.41:
	s_or_b64 exec, exec, s[40:41]
.LBB2749_42:
	s_or_b64 exec, exec, s[38:39]
	v_and_b32_e32 v41, 63, v35
	v_mov_b32_e32 v40, 2
	v_cmp_ne_u32_e32 vcc, 63, v41
	v_cmp_eq_u16_sdwa s[38:39], v17, v40 src0_sel:BYTE_0 src1_sel:DWORD
	v_lshlrev_b64 v[18:19], v35, -1
	v_addc_co_u32_e32 v20, vcc, 0, v35, vcc
	v_and_b32_e32 v13, s39, v19
	v_lshlrev_b32_e32 v42, 2, v20
	v_or_b32_e32 v13, 0x80000000, v13
	ds_bpermute_b32 v20, v42, v16
	v_and_b32_e32 v15, s38, v18
	v_ffbl_b32_e32 v13, v13
	v_add_u32_e32 v13, 32, v13
	v_ffbl_b32_e32 v15, v15
	v_min_u32_e32 v13, v15, v13
	v_cmp_lt_u32_e32 vcc, v41, v13
	s_waitcnt lgkmcnt(0)
	v_cndmask_b32_e32 v15, 0, v20, vcc
	v_cmp_gt_u32_e32 vcc, 62, v41
	v_add_u32_e32 v15, v15, v16
	v_cndmask_b32_e64 v16, 0, 1, vcc
	v_lshlrev_b32_e32 v16, 1, v16
	v_add_lshl_u32 v43, v16, v35, 2
	ds_bpermute_b32 v16, v43, v15
	v_add_u32_e32 v44, 2, v41
	v_cmp_le_u32_e32 vcc, v44, v13
	v_add_u32_e32 v46, 4, v41
	v_add_u32_e32 v48, 8, v41
	s_waitcnt lgkmcnt(0)
	v_cndmask_b32_e32 v16, 0, v16, vcc
	v_cmp_gt_u32_e32 vcc, 60, v41
	v_add_u32_e32 v15, v15, v16
	v_cndmask_b32_e64 v16, 0, 1, vcc
	v_lshlrev_b32_e32 v16, 2, v16
	v_add_lshl_u32 v45, v16, v35, 2
	ds_bpermute_b32 v16, v45, v15
	v_cmp_le_u32_e32 vcc, v46, v13
	v_add_u32_e32 v50, 16, v41
	v_add_u32_e32 v52, 32, v41
	s_waitcnt lgkmcnt(0)
	v_cndmask_b32_e32 v16, 0, v16, vcc
	v_cmp_gt_u32_e32 vcc, 56, v41
	v_add_u32_e32 v15, v15, v16
	v_cndmask_b32_e64 v16, 0, 1, vcc
	v_lshlrev_b32_e32 v16, 3, v16
	v_add_lshl_u32 v47, v16, v35, 2
	ds_bpermute_b32 v16, v47, v15
	v_cmp_le_u32_e32 vcc, v48, v13
	s_waitcnt lgkmcnt(0)
	v_cndmask_b32_e32 v16, 0, v16, vcc
	v_cmp_gt_u32_e32 vcc, 48, v41
	v_add_u32_e32 v15, v15, v16
	v_cndmask_b32_e64 v16, 0, 1, vcc
	v_lshlrev_b32_e32 v16, 4, v16
	v_add_lshl_u32 v49, v16, v35, 2
	ds_bpermute_b32 v16, v49, v15
	v_cmp_le_u32_e32 vcc, v50, v13
	;; [unrolled: 9-line block ×3, first 2 shown]
	s_waitcnt lgkmcnt(0)
	v_cndmask_b32_e32 v13, 0, v16, vcc
	v_add_u32_e32 v16, v15, v13
	v_mov_b32_e32 v15, 0
	s_branch .LBB2749_44
.LBB2749_43:                            ;   in Loop: Header=BB2749_44 Depth=1
	s_or_b64 exec, exec, s[38:39]
	v_cmp_eq_u16_sdwa s[38:39], v17, v40 src0_sel:BYTE_0 src1_sel:DWORD
	v_and_b32_e32 v20, s39, v19
	v_or_b32_e32 v20, 0x80000000, v20
	ds_bpermute_b32 v53, v42, v16
	v_and_b32_e32 v21, s38, v18
	v_ffbl_b32_e32 v20, v20
	v_add_u32_e32 v20, 32, v20
	v_ffbl_b32_e32 v21, v21
	v_min_u32_e32 v20, v21, v20
	v_cmp_lt_u32_e32 vcc, v41, v20
	s_waitcnt lgkmcnt(0)
	v_cndmask_b32_e32 v21, 0, v53, vcc
	v_add_u32_e32 v16, v21, v16
	ds_bpermute_b32 v21, v43, v16
	v_cmp_le_u32_e32 vcc, v44, v20
	v_subrev_u32_e32 v14, 64, v14
	s_waitcnt lgkmcnt(0)
	v_cndmask_b32_e32 v21, 0, v21, vcc
	v_add_u32_e32 v16, v16, v21
	ds_bpermute_b32 v21, v45, v16
	v_cmp_le_u32_e32 vcc, v46, v20
	s_waitcnt lgkmcnt(0)
	v_cndmask_b32_e32 v21, 0, v21, vcc
	v_add_u32_e32 v16, v16, v21
	ds_bpermute_b32 v21, v47, v16
	v_cmp_le_u32_e32 vcc, v48, v20
	;; [unrolled: 5-line block ×4, first 2 shown]
	s_waitcnt lgkmcnt(0)
	v_cndmask_b32_e32 v20, 0, v21, vcc
	v_add3_u32 v16, v20, v13, v16
.LBB2749_44:                            ; =>This Loop Header: Depth=1
                                        ;     Child Loop BB2749_47 Depth 2
	v_cmp_ne_u16_sdwa s[38:39], v17, v40 src0_sel:BYTE_0 src1_sel:DWORD
	v_cndmask_b32_e64 v13, 0, 1, s[38:39]
	;;#ASMSTART
	;;#ASMEND
	v_cmp_ne_u32_e32 vcc, 0, v13
	s_cmp_lg_u64 vcc, exec
	v_mov_b32_e32 v13, v16
	s_cbranch_scc1 .LBB2749_49
; %bb.45:                               ;   in Loop: Header=BB2749_44 Depth=1
	v_lshlrev_b64 v[16:17], 3, v[14:15]
	v_mov_b32_e32 v21, s35
	v_add_co_u32_e32 v20, vcc, s34, v16
	v_addc_co_u32_e32 v21, vcc, v21, v17, vcc
	global_load_dwordx2 v[16:17], v[20:21], off glc
	s_waitcnt vmcnt(0)
	v_cmp_eq_u16_sdwa s[40:41], v17, v15 src0_sel:BYTE_0 src1_sel:DWORD
	s_and_saveexec_b64 s[38:39], s[40:41]
	s_cbranch_execz .LBB2749_43
; %bb.46:                               ;   in Loop: Header=BB2749_44 Depth=1
	s_mov_b64 s[40:41], 0
.LBB2749_47:                            ;   Parent Loop BB2749_44 Depth=1
                                        ; =>  This Inner Loop Header: Depth=2
	global_load_dwordx2 v[16:17], v[20:21], off glc
	s_waitcnt vmcnt(0)
	v_cmp_ne_u16_sdwa s[42:43], v17, v15 src0_sel:BYTE_0 src1_sel:DWORD
	s_or_b64 s[40:41], s[42:43], s[40:41]
	s_andn2_b64 exec, exec, s[40:41]
	s_cbranch_execnz .LBB2749_47
; %bb.48:                               ;   in Loop: Header=BB2749_44 Depth=1
	s_or_b64 exec, exec, s[40:41]
	s_branch .LBB2749_43
.LBB2749_49:                            ;   in Loop: Header=BB2749_44 Depth=1
                                        ; implicit-def: $vgpr16
                                        ; implicit-def: $vgpr17
	s_cbranch_execz .LBB2749_44
; %bb.50:
	s_and_saveexec_b64 s[38:39], s[18:19]
	s_cbranch_execz .LBB2749_52
; %bb.51:
	s_add_i32 s6, s6, 64
	s_mov_b32 s7, 0
	s_lshl_b64 s[6:7], s[6:7], 3
	s_add_u32 s6, s34, s6
	v_add_u32_e32 v14, v13, v12
	v_mov_b32_e32 v15, 2
	s_addc_u32 s7, s35, s7
	v_mov_b32_e32 v16, 0
	global_store_dwordx2 v16, v[14:15], s[6:7]
	ds_write_b64 v16, v[12:13] offset:10240
.LBB2749_52:
	s_or_b64 exec, exec, s[38:39]
	v_cmp_eq_u32_e32 vcc, 0, v0
	s_and_b64 exec, exec, vcc
	s_cbranch_execz .LBB2749_54
; %bb.53:
	v_mov_b32_e32 v12, 0
	ds_write_b32 v12, v13 offset:12
.LBB2749_54:
	s_or_b64 exec, exec, s[36:37]
	v_mov_b32_e32 v12, 0
	s_waitcnt lgkmcnt(0)
	s_barrier
	ds_read_b32 v13, v12 offset:12
	v_cndmask_b32_e64 v14, v39, v38, s[18:19]
	v_cmp_ne_u32_e32 vcc, 0, v0
	v_cndmask_b32_e32 v14, 0, v14, vcc
	s_waitcnt lgkmcnt(0)
	v_add_u32_e32 v39, v13, v14
	v_add_u32_sdwa v38, v39, v26 dst_sel:DWORD dst_unused:UNUSED_PAD src0_sel:DWORD src1_sel:BYTE_0
	v_add_u32_sdwa v21, v38, v26 dst_sel:DWORD dst_unused:UNUSED_PAD src0_sel:DWORD src1_sel:BYTE_1
	v_add_u32_e32 v20, v21, v30
	v_add_u32_e32 v19, v20, v28
	v_add_u32_e32 v18, v19, v31
	s_barrier
	ds_read_b64 v[12:13], v12 offset:10240
	v_add_u32_e32 v17, v18, v32
	v_add_u32_e32 v16, v17, v33
	;; [unrolled: 1-line block ×4, first 2 shown]
	s_load_dwordx2 s[4:5], s[4:5], 0x38
	s_branch .LBB2749_65
.LBB2749_55:
                                        ; implicit-def: $vgpr13
                                        ; implicit-def: $vgpr14
                                        ; implicit-def: $vgpr15
                                        ; implicit-def: $vgpr16
                                        ; implicit-def: $vgpr17
                                        ; implicit-def: $vgpr18
                                        ; implicit-def: $vgpr19
                                        ; implicit-def: $vgpr20
                                        ; implicit-def: $vgpr21
                                        ; implicit-def: $vgpr38
                                        ; implicit-def: $vgpr39
	s_load_dwordx2 s[4:5], s[4:5], 0x38
	s_cbranch_execz .LBB2749_65
; %bb.56:
	s_waitcnt lgkmcnt(0)
	v_mov_b32_dpp v12, v37 row_shr:1 row_mask:0xf bank_mask:0xf
	v_cndmask_b32_e64 v12, v12, 0, s[16:17]
	v_add_u32_e32 v12, v12, v37
	s_nop 1
	v_mov_b32_dpp v13, v12 row_shr:2 row_mask:0xf bank_mask:0xf
	v_cndmask_b32_e64 v13, 0, v13, s[14:15]
	v_add_u32_e32 v12, v12, v13
	s_nop 1
	;; [unrolled: 4-line block ×4, first 2 shown]
	v_mov_b32_dpp v13, v12 row_bcast:15 row_mask:0xf bank_mask:0xf
	v_cndmask_b32_e64 v13, v13, 0, s[8:9]
	v_add_u32_e32 v12, v12, v13
	s_nop 1
	v_mov_b32_dpp v13, v12 row_bcast:31 row_mask:0xf bank_mask:0xf
	v_cndmask_b32_e64 v13, 0, v13, s[2:3]
	v_add_u32_e32 v12, v12, v13
	s_and_saveexec_b64 s[2:3], s[20:21]
	s_cbranch_execz .LBB2749_58
; %bb.57:
	v_lshlrev_b32_e32 v13, 2, v36
	ds_write_b32 v13, v12
.LBB2749_58:
	s_or_b64 exec, exec, s[2:3]
	v_cmp_gt_u32_e32 vcc, 4, v0
	s_waitcnt lgkmcnt(0)
	s_barrier
	s_and_saveexec_b64 s[2:3], vcc
	s_cbranch_execz .LBB2749_60
; %bb.59:
	s_movk_i32 s6, 0xffdc
	v_mad_i32_i24 v13, v0, s6, v29
	ds_read_b32 v14, v13
	v_and_b32_e32 v15, 3, v35
	v_cmp_ne_u32_e32 vcc, 0, v15
	s_waitcnt lgkmcnt(0)
	v_mov_b32_dpp v16, v14 row_shr:1 row_mask:0xf bank_mask:0xf
	v_cndmask_b32_e32 v16, 0, v16, vcc
	v_add_u32_e32 v14, v16, v14
	v_cmp_lt_u32_e32 vcc, 1, v15
	s_nop 0
	v_mov_b32_dpp v16, v14 row_shr:2 row_mask:0xf bank_mask:0xf
	v_cndmask_b32_e32 v15, 0, v16, vcc
	v_add_u32_e32 v14, v14, v15
	ds_write_b32 v13, v14
.LBB2749_60:
	s_or_b64 exec, exec, s[2:3]
	v_cmp_lt_u32_e32 vcc, 63, v0
	v_mov_b32_e32 v13, 0
	v_mov_b32_e32 v14, 0
	s_waitcnt lgkmcnt(0)
	s_barrier
	s_and_saveexec_b64 s[2:3], vcc
	s_cbranch_execz .LBB2749_62
; %bb.61:
	v_lshl_add_u32 v14, v36, 2, -4
	ds_read_b32 v14, v14
.LBB2749_62:
	s_or_b64 exec, exec, s[2:3]
	v_add_u32_e32 v15, -1, v35
	v_and_b32_e32 v16, 64, v35
	v_cmp_lt_i32_e32 vcc, v15, v16
	v_cndmask_b32_e32 v15, v15, v35, vcc
	s_waitcnt lgkmcnt(0)
	v_add_u32_e32 v12, v14, v12
	v_lshlrev_b32_e32 v15, 2, v15
	ds_bpermute_b32 v15, v15, v12
	ds_read_b32 v12, v13 offset:12
	v_cmp_eq_u32_e32 vcc, 0, v0
	s_and_saveexec_b64 s[2:3], vcc
	s_cbranch_execz .LBB2749_64
; %bb.63:
	v_mov_b32_e32 v16, 0
	v_mov_b32_e32 v13, 2
	s_waitcnt lgkmcnt(0)
	global_store_dwordx2 v16, v[12:13], s[34:35] offset:512
.LBB2749_64:
	s_or_b64 exec, exec, s[2:3]
	v_cmp_eq_u32_e64 s[2:3], 0, v35
	s_waitcnt lgkmcnt(1)
	v_cndmask_b32_e64 v14, v15, v14, s[2:3]
	v_cndmask_b32_e64 v39, v14, 0, vcc
	v_add_u32_sdwa v38, v39, v26 dst_sel:DWORD dst_unused:UNUSED_PAD src0_sel:DWORD src1_sel:BYTE_0
	v_add_u32_sdwa v21, v38, v26 dst_sel:DWORD dst_unused:UNUSED_PAD src0_sel:DWORD src1_sel:BYTE_1
	v_add_u32_e32 v20, v21, v30
	v_add_u32_e32 v19, v20, v28
	;; [unrolled: 1-line block ×6, first 2 shown]
	v_mov_b32_e32 v13, 0
	v_add_u32_e32 v14, v15, v34
	s_waitcnt lgkmcnt(0)
	s_barrier
.LBB2749_65:
	s_waitcnt lgkmcnt(0)
	v_add_u32_e32 v23, v12, v23
	v_sub_u32_e32 v31, v39, v13
	v_and_b32_e32 v33, 1, v26
	v_sub_u32_e32 v32, v23, v31
	v_cmp_eq_u32_e32 vcc, 1, v33
	v_cndmask_b32_e32 v31, v32, v31, vcc
	v_lshlrev_b32_e32 v31, 2, v31
	v_lshrrev_b32_e32 v30, 8, v26
	ds_write_b32 v31, v6
	v_sub_u32_e32 v6, v38, v13
	v_sub_u32_e32 v31, v23, v6
	v_and_b32_e32 v30, 1, v30
	v_add_u32_e32 v31, 1, v31
	v_cmp_eq_u32_e32 vcc, 1, v30
	v_cndmask_b32_e32 v6, v31, v6, vcc
	v_lshlrev_b32_e32 v6, 2, v6
	ds_write_b32 v6, v7
	v_sub_u32_e32 v6, v21, v13
	v_mov_b32_e32 v21, 1
	v_sub_u32_e32 v7, v23, v6
	v_and_b32_sdwa v26, v21, v26 dst_sel:DWORD dst_unused:UNUSED_PAD src0_sel:DWORD src1_sel:WORD_1
	v_add_u32_e32 v7, 2, v7
	v_cmp_eq_u32_e32 vcc, 1, v26
	v_cndmask_b32_e32 v6, v7, v6, vcc
	v_lshlrev_b32_e32 v6, 2, v6
	ds_write_b32 v6, v8
	v_sub_u32_e32 v6, v20, v13
	v_sub_u32_e32 v7, v23, v6
	v_and_b32_e32 v8, 1, v28
	v_add_u32_e32 v7, 3, v7
	v_cmp_eq_u32_e32 vcc, 1, v8
	v_cndmask_b32_e32 v6, v7, v6, vcc
	v_lshlrev_b32_e32 v6, 2, v6
	ds_write_b32 v6, v9
	v_sub_u32_e32 v6, v19, v13
	v_sub_u32_e32 v7, v23, v6
	v_and_b32_e32 v8, 1, v25
	v_add_u32_e32 v7, 4, v7
	v_cmp_eq_u32_e32 vcc, 1, v8
	v_cndmask_b32_e32 v6, v7, v6, vcc
	v_lshlrev_b32_e32 v6, 2, v6
	v_lshrrev_b32_e32 v29, 8, v25
	ds_write_b32 v6, v2
	v_sub_u32_e32 v2, v18, v13
	v_sub_u32_e32 v6, v23, v2
	v_and_b32_e32 v7, 1, v29
	v_add_u32_e32 v6, 5, v6
	v_cmp_eq_u32_e32 vcc, 1, v7
	v_cndmask_b32_e32 v2, v6, v2, vcc
	v_lshlrev_b32_e32 v2, 2, v2
	ds_write_b32 v2, v3
	v_sub_u32_e32 v2, v17, v13
	v_sub_u32_e32 v3, v23, v2
	v_and_b32_sdwa v6, v21, v25 dst_sel:DWORD dst_unused:UNUSED_PAD src0_sel:DWORD src1_sel:WORD_1
	v_add_u32_e32 v3, 6, v3
	v_cmp_eq_u32_e32 vcc, 1, v6
	v_cndmask_b32_e32 v2, v3, v2, vcc
	v_lshlrev_b32_e32 v2, 2, v2
	ds_write_b32 v2, v4
	v_sub_u32_e32 v2, v16, v13
	v_sub_u32_e32 v3, v23, v2
	v_and_b32_e32 v4, 1, v27
	v_add_u32_e32 v3, 7, v3
	v_cmp_eq_u32_e32 vcc, 1, v4
	v_cndmask_b32_e32 v2, v3, v2, vcc
	v_lshlrev_b32_e32 v2, 2, v2
	ds_write_b32 v2, v5
	v_sub_u32_e32 v2, v15, v13
	v_sub_u32_e32 v3, v23, v2
	v_and_b32_e32 v4, 1, v24
	;; [unrolled: 8-line block ×3, first 2 shown]
	v_add_u32_e32 v3, 9, v3
	v_cmp_eq_u32_e32 vcc, 1, v1
	v_cndmask_b32_e32 v1, v3, v2, vcc
	v_lshlrev_b32_e32 v1, 2, v1
	ds_write_b32 v1, v11
	v_mov_b32_e32 v1, s29
	v_add_co_u32_e32 v2, vcc, s28, v12
	v_addc_co_u32_e32 v1, vcc, 0, v1, vcc
	v_add_co_u32_e32 v2, vcc, v2, v13
	v_addc_co_u32_e32 v3, vcc, 0, v1, vcc
	v_mov_b32_e32 v1, s23
	v_sub_co_u32_e32 v28, vcc, s22, v2
	v_subb_co_u32_e32 v29, vcc, v1, v3, vcc
	v_lshlrev_b64 v[28:29], 2, v[28:29]
	s_waitcnt lgkmcnt(0)
	s_barrier
	ds_read2st64_b32 v[16:17], v22 offset1:4
	ds_read2st64_b32 v[14:15], v22 offset0:8 offset1:12
	ds_read2st64_b32 v[10:11], v22 offset0:16 offset1:20
	;; [unrolled: 1-line block ×4, first 2 shown]
	v_mov_b32_e32 v1, s5
	v_add_co_u32_e32 v6, vcc, s4, v28
	v_addc_co_u32_e32 v1, vcc, v1, v29, vcc
	v_mov_b32_e32 v13, s31
	v_add_co_u32_e32 v6, vcc, s30, v6
	v_addc_co_u32_e32 v1, vcc, v1, v13, vcc
	v_or_b32_e32 v26, 0x100, v0
	v_or_b32_e32 v25, 0x200, v0
	;; [unrolled: 1-line block ×9, first 2 shown]
	s_and_b64 vcc, exec, s[0:1]
	v_cmp_le_u32_e64 s[0:1], v12, v0
	s_cbranch_vccnz .LBB2749_77
; %bb.66:
	s_and_saveexec_b64 s[2:3], s[0:1]
	s_cbranch_execnz .LBB2749_102
; %bb.67:
	s_or_b64 exec, exec, s[2:3]
	v_cmp_ge_u32_e32 vcc, v26, v12
	s_and_saveexec_b64 s[0:1], vcc
	s_cbranch_execnz .LBB2749_103
.LBB2749_68:
	s_or_b64 exec, exec, s[0:1]
	v_cmp_ge_u32_e32 vcc, v25, v12
	s_and_saveexec_b64 s[0:1], vcc
	s_cbranch_execnz .LBB2749_104
.LBB2749_69:
	s_or_b64 exec, exec, s[0:1]
	v_cmp_ge_u32_e32 vcc, v24, v12
	s_and_saveexec_b64 s[0:1], vcc
	s_cbranch_execnz .LBB2749_105
.LBB2749_70:
	s_or_b64 exec, exec, s[0:1]
	v_cmp_ge_u32_e32 vcc, v23, v12
	s_and_saveexec_b64 s[0:1], vcc
	s_cbranch_execnz .LBB2749_106
.LBB2749_71:
	s_or_b64 exec, exec, s[0:1]
	v_cmp_ge_u32_e32 vcc, v21, v12
	s_and_saveexec_b64 s[0:1], vcc
	s_cbranch_execnz .LBB2749_107
.LBB2749_72:
	s_or_b64 exec, exec, s[0:1]
	v_cmp_ge_u32_e32 vcc, v20, v12
	s_and_saveexec_b64 s[0:1], vcc
	s_cbranch_execnz .LBB2749_108
.LBB2749_73:
	s_or_b64 exec, exec, s[0:1]
	v_cmp_ge_u32_e32 vcc, v19, v12
	s_and_saveexec_b64 s[0:1], vcc
	s_cbranch_execnz .LBB2749_109
.LBB2749_74:
	s_or_b64 exec, exec, s[0:1]
	v_cmp_ge_u32_e32 vcc, v18, v12
	s_and_saveexec_b64 s[0:1], vcc
	s_cbranch_execz .LBB2749_76
.LBB2749_75:
	v_lshlrev_b32_e32 v13, 2, v18
	v_readfirstlane_b32 s2, v6
	v_readfirstlane_b32 s3, v1
	s_waitcnt lgkmcnt(0)
	s_nop 3
	global_store_dword v13, v4, s[2:3]
.LBB2749_76:
	s_or_b64 exec, exec, s[0:1]
	v_cmp_ge_u32_e64 s[0:1], v7, v12
	s_branch .LBB2749_97
.LBB2749_77:
	s_mov_b64 s[0:1], 0
	s_cbranch_execz .LBB2749_97
; %bb.78:
	v_cmp_gt_u32_e32 vcc, s33, v0
	v_cmp_le_u32_e64 s[0:1], v12, v0
	s_and_b64 s[2:3], vcc, s[0:1]
	s_and_saveexec_b64 s[0:1], s[2:3]
	s_cbranch_execz .LBB2749_80
; %bb.79:
	v_readfirstlane_b32 s2, v6
	v_readfirstlane_b32 s3, v1
	s_waitcnt lgkmcnt(4)
	s_nop 3
	global_store_dword v22, v16, s[2:3]
.LBB2749_80:
	s_or_b64 exec, exec, s[0:1]
	v_cmp_gt_u32_e32 vcc, s33, v26
	v_cmp_ge_u32_e64 s[0:1], v26, v12
	s_and_b64 s[2:3], vcc, s[0:1]
	s_and_saveexec_b64 s[0:1], s[2:3]
	s_cbranch_execz .LBB2749_82
; %bb.81:
	v_readfirstlane_b32 s2, v6
	v_readfirstlane_b32 s3, v1
	s_waitcnt lgkmcnt(4)
	s_nop 3
	global_store_dword v22, v17, s[2:3] offset:1024
.LBB2749_82:
	s_or_b64 exec, exec, s[0:1]
	v_cmp_gt_u32_e32 vcc, s33, v25
	v_cmp_ge_u32_e64 s[0:1], v25, v12
	s_and_b64 s[2:3], vcc, s[0:1]
	s_and_saveexec_b64 s[0:1], s[2:3]
	s_cbranch_execz .LBB2749_84
; %bb.83:
	v_readfirstlane_b32 s2, v6
	v_readfirstlane_b32 s3, v1
	s_waitcnt lgkmcnt(3)
	s_nop 3
	global_store_dword v22, v14, s[2:3] offset:2048
.LBB2749_84:
	s_or_b64 exec, exec, s[0:1]
	v_cmp_gt_u32_e32 vcc, s33, v24
	v_cmp_ge_u32_e64 s[0:1], v24, v12
	s_and_b64 s[2:3], vcc, s[0:1]
	s_and_saveexec_b64 s[0:1], s[2:3]
	s_cbranch_execz .LBB2749_86
; %bb.85:
	v_readfirstlane_b32 s2, v6
	v_readfirstlane_b32 s3, v1
	s_waitcnt lgkmcnt(3)
	s_nop 3
	global_store_dword v22, v15, s[2:3] offset:3072
.LBB2749_86:
	s_or_b64 exec, exec, s[0:1]
	v_cmp_gt_u32_e32 vcc, s33, v23
	v_cmp_ge_u32_e64 s[0:1], v23, v12
	s_and_b64 s[2:3], vcc, s[0:1]
	s_and_saveexec_b64 s[0:1], s[2:3]
	s_cbranch_execz .LBB2749_88
; %bb.87:
	v_lshlrev_b32_e32 v13, 2, v23
	v_readfirstlane_b32 s2, v6
	v_readfirstlane_b32 s3, v1
	s_waitcnt lgkmcnt(2)
	s_nop 3
	global_store_dword v13, v10, s[2:3]
.LBB2749_88:
	s_or_b64 exec, exec, s[0:1]
	v_cmp_gt_u32_e32 vcc, s33, v21
	v_cmp_ge_u32_e64 s[0:1], v21, v12
	s_and_b64 s[2:3], vcc, s[0:1]
	s_and_saveexec_b64 s[0:1], s[2:3]
	s_cbranch_execz .LBB2749_90
; %bb.89:
	s_waitcnt lgkmcnt(2)
	v_lshlrev_b32_e32 v10, 2, v21
	v_readfirstlane_b32 s2, v6
	v_readfirstlane_b32 s3, v1
	s_nop 4
	global_store_dword v10, v11, s[2:3]
.LBB2749_90:
	s_or_b64 exec, exec, s[0:1]
	v_cmp_gt_u32_e32 vcc, s33, v20
	v_cmp_ge_u32_e64 s[0:1], v20, v12
	s_and_b64 s[2:3], vcc, s[0:1]
	s_and_saveexec_b64 s[0:1], s[2:3]
	s_cbranch_execz .LBB2749_92
; %bb.91:
	s_waitcnt lgkmcnt(2)
	v_lshlrev_b32_e32 v10, 2, v20
	v_readfirstlane_b32 s2, v6
	v_readfirstlane_b32 s3, v1
	s_waitcnt lgkmcnt(1)
	s_nop 3
	global_store_dword v10, v8, s[2:3]
.LBB2749_92:
	s_or_b64 exec, exec, s[0:1]
	v_cmp_gt_u32_e32 vcc, s33, v19
	v_cmp_ge_u32_e64 s[0:1], v19, v12
	s_and_b64 s[2:3], vcc, s[0:1]
	s_and_saveexec_b64 s[0:1], s[2:3]
	s_cbranch_execz .LBB2749_94
; %bb.93:
	s_waitcnt lgkmcnt(1)
	v_lshlrev_b32_e32 v8, 2, v19
	v_readfirstlane_b32 s2, v6
	v_readfirstlane_b32 s3, v1
	s_nop 4
	global_store_dword v8, v9, s[2:3]
.LBB2749_94:
	s_or_b64 exec, exec, s[0:1]
	v_cmp_gt_u32_e32 vcc, s33, v18
	v_cmp_ge_u32_e64 s[0:1], v18, v12
	s_and_b64 s[2:3], vcc, s[0:1]
	s_and_saveexec_b64 s[0:1], s[2:3]
	s_cbranch_execz .LBB2749_96
; %bb.95:
	s_waitcnt lgkmcnt(1)
	v_lshlrev_b32_e32 v8, 2, v18
	v_readfirstlane_b32 s2, v6
	v_readfirstlane_b32 s3, v1
	s_waitcnt lgkmcnt(0)
	s_nop 3
	global_store_dword v8, v4, s[2:3]
.LBB2749_96:
	s_or_b64 exec, exec, s[0:1]
	v_cmp_gt_u32_e32 vcc, s33, v7
	v_cmp_ge_u32_e64 s[0:1], v7, v12
	s_and_b64 s[0:1], vcc, s[0:1]
.LBB2749_97:
	s_and_saveexec_b64 s[2:3], s[0:1]
	s_cbranch_execz .LBB2749_99
; %bb.98:
	s_waitcnt lgkmcnt(0)
	v_lshlrev_b32_e32 v4, 2, v7
	v_readfirstlane_b32 s0, v6
	v_readfirstlane_b32 s1, v1
	s_nop 4
	global_store_dword v4, v5, s[0:1]
.LBB2749_99:
	s_or_b64 exec, exec, s[2:3]
	v_cmp_eq_u32_e32 vcc, 0, v0
	s_and_b64 s[0:1], vcc, s[26:27]
	s_and_saveexec_b64 s[2:3], s[0:1]
	s_cbranch_execz .LBB2749_101
; %bb.100:
	v_mov_b32_e32 v0, 0
	global_store_dwordx2 v0, v[2:3], s[24:25]
.LBB2749_101:
	s_endpgm
.LBB2749_102:
	v_readfirstlane_b32 s0, v6
	v_readfirstlane_b32 s1, v1
	s_waitcnt lgkmcnt(4)
	s_nop 3
	global_store_dword v22, v16, s[0:1]
	s_or_b64 exec, exec, s[2:3]
	v_cmp_ge_u32_e32 vcc, v26, v12
	s_and_saveexec_b64 s[0:1], vcc
	s_cbranch_execz .LBB2749_68
.LBB2749_103:
	v_readfirstlane_b32 s2, v6
	v_readfirstlane_b32 s3, v1
	s_waitcnt lgkmcnt(4)
	s_nop 3
	global_store_dword v22, v17, s[2:3] offset:1024
	s_or_b64 exec, exec, s[0:1]
	v_cmp_ge_u32_e32 vcc, v25, v12
	s_and_saveexec_b64 s[0:1], vcc
	s_cbranch_execz .LBB2749_69
.LBB2749_104:
	v_readfirstlane_b32 s2, v6
	v_readfirstlane_b32 s3, v1
	s_waitcnt lgkmcnt(3)
	s_nop 3
	global_store_dword v22, v14, s[2:3] offset:2048
	s_or_b64 exec, exec, s[0:1]
	v_cmp_ge_u32_e32 vcc, v24, v12
	s_and_saveexec_b64 s[0:1], vcc
	s_cbranch_execz .LBB2749_70
.LBB2749_105:
	v_readfirstlane_b32 s2, v6
	v_readfirstlane_b32 s3, v1
	s_waitcnt lgkmcnt(3)
	s_nop 3
	global_store_dword v22, v15, s[2:3] offset:3072
	s_or_b64 exec, exec, s[0:1]
	v_cmp_ge_u32_e32 vcc, v23, v12
	s_and_saveexec_b64 s[0:1], vcc
	s_cbranch_execz .LBB2749_71
.LBB2749_106:
	v_lshlrev_b32_e32 v13, 2, v23
	v_readfirstlane_b32 s2, v6
	v_readfirstlane_b32 s3, v1
	s_waitcnt lgkmcnt(2)
	s_nop 3
	global_store_dword v13, v10, s[2:3]
	s_or_b64 exec, exec, s[0:1]
	v_cmp_ge_u32_e32 vcc, v21, v12
	s_and_saveexec_b64 s[0:1], vcc
	s_cbranch_execz .LBB2749_72
.LBB2749_107:
	v_lshlrev_b32_e32 v13, 2, v21
	v_readfirstlane_b32 s2, v6
	v_readfirstlane_b32 s3, v1
	s_waitcnt lgkmcnt(2)
	s_nop 3
	global_store_dword v13, v11, s[2:3]
	s_or_b64 exec, exec, s[0:1]
	v_cmp_ge_u32_e32 vcc, v20, v12
	s_and_saveexec_b64 s[0:1], vcc
	s_cbranch_execz .LBB2749_73
.LBB2749_108:
	v_lshlrev_b32_e32 v13, 2, v20
	v_readfirstlane_b32 s2, v6
	v_readfirstlane_b32 s3, v1
	s_waitcnt lgkmcnt(1)
	s_nop 3
	global_store_dword v13, v8, s[2:3]
	s_or_b64 exec, exec, s[0:1]
	v_cmp_ge_u32_e32 vcc, v19, v12
	s_and_saveexec_b64 s[0:1], vcc
	s_cbranch_execz .LBB2749_74
.LBB2749_109:
	v_lshlrev_b32_e32 v13, 2, v19
	v_readfirstlane_b32 s2, v6
	v_readfirstlane_b32 s3, v1
	s_waitcnt lgkmcnt(1)
	s_nop 3
	global_store_dword v13, v9, s[2:3]
	s_or_b64 exec, exec, s[0:1]
	v_cmp_ge_u32_e32 vcc, v18, v12
	s_and_saveexec_b64 s[0:1], vcc
	s_cbranch_execnz .LBB2749_75
	s_branch .LBB2749_76
	.section	.rodata,"a",@progbits
	.p2align	6, 0x0
	.amdhsa_kernel _ZN7rocprim17ROCPRIM_400000_NS6detail17trampoline_kernelINS0_14default_configENS1_25partition_config_selectorILNS1_17partition_subalgoE0EiNS0_10empty_typeEbEEZZNS1_14partition_implILS5_0ELb0ES3_jN6thrust23THRUST_200600_302600_NS6detail15normal_iteratorINSA_10device_ptrIiEEEEPS6_SG_NS0_5tupleIJNSA_16discard_iteratorINSA_11use_defaultEEESF_EEENSH_IJSG_SG_EEES6_PlJ7is_evenIiEEEE10hipError_tPvRmT3_T4_T5_T6_T7_T9_mT8_P12ihipStream_tbDpT10_ENKUlT_T0_E_clISt17integral_constantIbLb0EES19_EEDaS14_S15_EUlS14_E_NS1_11comp_targetILNS1_3genE4ELNS1_11target_archE910ELNS1_3gpuE8ELNS1_3repE0EEENS1_30default_config_static_selectorELNS0_4arch9wavefront6targetE1EEEvT1_
		.amdhsa_group_segment_fixed_size 10248
		.amdhsa_private_segment_fixed_size 0
		.amdhsa_kernarg_size 128
		.amdhsa_user_sgpr_count 6
		.amdhsa_user_sgpr_private_segment_buffer 1
		.amdhsa_user_sgpr_dispatch_ptr 0
		.amdhsa_user_sgpr_queue_ptr 0
		.amdhsa_user_sgpr_kernarg_segment_ptr 1
		.amdhsa_user_sgpr_dispatch_id 0
		.amdhsa_user_sgpr_flat_scratch_init 0
		.amdhsa_user_sgpr_kernarg_preload_length 0
		.amdhsa_user_sgpr_kernarg_preload_offset 0
		.amdhsa_user_sgpr_private_segment_size 0
		.amdhsa_uses_dynamic_stack 0
		.amdhsa_system_sgpr_private_segment_wavefront_offset 0
		.amdhsa_system_sgpr_workgroup_id_x 1
		.amdhsa_system_sgpr_workgroup_id_y 0
		.amdhsa_system_sgpr_workgroup_id_z 0
		.amdhsa_system_sgpr_workgroup_info 0
		.amdhsa_system_vgpr_workitem_id 0
		.amdhsa_next_free_vgpr 54
		.amdhsa_next_free_sgpr 44
		.amdhsa_accum_offset 56
		.amdhsa_reserve_vcc 1
		.amdhsa_reserve_flat_scratch 0
		.amdhsa_float_round_mode_32 0
		.amdhsa_float_round_mode_16_64 0
		.amdhsa_float_denorm_mode_32 3
		.amdhsa_float_denorm_mode_16_64 3
		.amdhsa_dx10_clamp 1
		.amdhsa_ieee_mode 1
		.amdhsa_fp16_overflow 0
		.amdhsa_tg_split 0
		.amdhsa_exception_fp_ieee_invalid_op 0
		.amdhsa_exception_fp_denorm_src 0
		.amdhsa_exception_fp_ieee_div_zero 0
		.amdhsa_exception_fp_ieee_overflow 0
		.amdhsa_exception_fp_ieee_underflow 0
		.amdhsa_exception_fp_ieee_inexact 0
		.amdhsa_exception_int_div_zero 0
	.end_amdhsa_kernel
	.section	.text._ZN7rocprim17ROCPRIM_400000_NS6detail17trampoline_kernelINS0_14default_configENS1_25partition_config_selectorILNS1_17partition_subalgoE0EiNS0_10empty_typeEbEEZZNS1_14partition_implILS5_0ELb0ES3_jN6thrust23THRUST_200600_302600_NS6detail15normal_iteratorINSA_10device_ptrIiEEEEPS6_SG_NS0_5tupleIJNSA_16discard_iteratorINSA_11use_defaultEEESF_EEENSH_IJSG_SG_EEES6_PlJ7is_evenIiEEEE10hipError_tPvRmT3_T4_T5_T6_T7_T9_mT8_P12ihipStream_tbDpT10_ENKUlT_T0_E_clISt17integral_constantIbLb0EES19_EEDaS14_S15_EUlS14_E_NS1_11comp_targetILNS1_3genE4ELNS1_11target_archE910ELNS1_3gpuE8ELNS1_3repE0EEENS1_30default_config_static_selectorELNS0_4arch9wavefront6targetE1EEEvT1_,"axG",@progbits,_ZN7rocprim17ROCPRIM_400000_NS6detail17trampoline_kernelINS0_14default_configENS1_25partition_config_selectorILNS1_17partition_subalgoE0EiNS0_10empty_typeEbEEZZNS1_14partition_implILS5_0ELb0ES3_jN6thrust23THRUST_200600_302600_NS6detail15normal_iteratorINSA_10device_ptrIiEEEEPS6_SG_NS0_5tupleIJNSA_16discard_iteratorINSA_11use_defaultEEESF_EEENSH_IJSG_SG_EEES6_PlJ7is_evenIiEEEE10hipError_tPvRmT3_T4_T5_T6_T7_T9_mT8_P12ihipStream_tbDpT10_ENKUlT_T0_E_clISt17integral_constantIbLb0EES19_EEDaS14_S15_EUlS14_E_NS1_11comp_targetILNS1_3genE4ELNS1_11target_archE910ELNS1_3gpuE8ELNS1_3repE0EEENS1_30default_config_static_selectorELNS0_4arch9wavefront6targetE1EEEvT1_,comdat
.Lfunc_end2749:
	.size	_ZN7rocprim17ROCPRIM_400000_NS6detail17trampoline_kernelINS0_14default_configENS1_25partition_config_selectorILNS1_17partition_subalgoE0EiNS0_10empty_typeEbEEZZNS1_14partition_implILS5_0ELb0ES3_jN6thrust23THRUST_200600_302600_NS6detail15normal_iteratorINSA_10device_ptrIiEEEEPS6_SG_NS0_5tupleIJNSA_16discard_iteratorINSA_11use_defaultEEESF_EEENSH_IJSG_SG_EEES6_PlJ7is_evenIiEEEE10hipError_tPvRmT3_T4_T5_T6_T7_T9_mT8_P12ihipStream_tbDpT10_ENKUlT_T0_E_clISt17integral_constantIbLb0EES19_EEDaS14_S15_EUlS14_E_NS1_11comp_targetILNS1_3genE4ELNS1_11target_archE910ELNS1_3gpuE8ELNS1_3repE0EEENS1_30default_config_static_selectorELNS0_4arch9wavefront6targetE1EEEvT1_, .Lfunc_end2749-_ZN7rocprim17ROCPRIM_400000_NS6detail17trampoline_kernelINS0_14default_configENS1_25partition_config_selectorILNS1_17partition_subalgoE0EiNS0_10empty_typeEbEEZZNS1_14partition_implILS5_0ELb0ES3_jN6thrust23THRUST_200600_302600_NS6detail15normal_iteratorINSA_10device_ptrIiEEEEPS6_SG_NS0_5tupleIJNSA_16discard_iteratorINSA_11use_defaultEEESF_EEENSH_IJSG_SG_EEES6_PlJ7is_evenIiEEEE10hipError_tPvRmT3_T4_T5_T6_T7_T9_mT8_P12ihipStream_tbDpT10_ENKUlT_T0_E_clISt17integral_constantIbLb0EES19_EEDaS14_S15_EUlS14_E_NS1_11comp_targetILNS1_3genE4ELNS1_11target_archE910ELNS1_3gpuE8ELNS1_3repE0EEENS1_30default_config_static_selectorELNS0_4arch9wavefront6targetE1EEEvT1_
                                        ; -- End function
	.section	.AMDGPU.csdata,"",@progbits
; Kernel info:
; codeLenInByte = 5148
; NumSgprs: 48
; NumVgprs: 54
; NumAgprs: 0
; TotalNumVgprs: 54
; ScratchSize: 0
; MemoryBound: 0
; FloatMode: 240
; IeeeMode: 1
; LDSByteSize: 10248 bytes/workgroup (compile time only)
; SGPRBlocks: 5
; VGPRBlocks: 6
; NumSGPRsForWavesPerEU: 48
; NumVGPRsForWavesPerEU: 54
; AccumOffset: 56
; Occupancy: 6
; WaveLimiterHint : 1
; COMPUTE_PGM_RSRC2:SCRATCH_EN: 0
; COMPUTE_PGM_RSRC2:USER_SGPR: 6
; COMPUTE_PGM_RSRC2:TRAP_HANDLER: 0
; COMPUTE_PGM_RSRC2:TGID_X_EN: 1
; COMPUTE_PGM_RSRC2:TGID_Y_EN: 0
; COMPUTE_PGM_RSRC2:TGID_Z_EN: 0
; COMPUTE_PGM_RSRC2:TIDIG_COMP_CNT: 0
; COMPUTE_PGM_RSRC3_GFX90A:ACCUM_OFFSET: 13
; COMPUTE_PGM_RSRC3_GFX90A:TG_SPLIT: 0
	.section	.text._ZN7rocprim17ROCPRIM_400000_NS6detail17trampoline_kernelINS0_14default_configENS1_25partition_config_selectorILNS1_17partition_subalgoE0EiNS0_10empty_typeEbEEZZNS1_14partition_implILS5_0ELb0ES3_jN6thrust23THRUST_200600_302600_NS6detail15normal_iteratorINSA_10device_ptrIiEEEEPS6_SG_NS0_5tupleIJNSA_16discard_iteratorINSA_11use_defaultEEESF_EEENSH_IJSG_SG_EEES6_PlJ7is_evenIiEEEE10hipError_tPvRmT3_T4_T5_T6_T7_T9_mT8_P12ihipStream_tbDpT10_ENKUlT_T0_E_clISt17integral_constantIbLb0EES19_EEDaS14_S15_EUlS14_E_NS1_11comp_targetILNS1_3genE3ELNS1_11target_archE908ELNS1_3gpuE7ELNS1_3repE0EEENS1_30default_config_static_selectorELNS0_4arch9wavefront6targetE1EEEvT1_,"axG",@progbits,_ZN7rocprim17ROCPRIM_400000_NS6detail17trampoline_kernelINS0_14default_configENS1_25partition_config_selectorILNS1_17partition_subalgoE0EiNS0_10empty_typeEbEEZZNS1_14partition_implILS5_0ELb0ES3_jN6thrust23THRUST_200600_302600_NS6detail15normal_iteratorINSA_10device_ptrIiEEEEPS6_SG_NS0_5tupleIJNSA_16discard_iteratorINSA_11use_defaultEEESF_EEENSH_IJSG_SG_EEES6_PlJ7is_evenIiEEEE10hipError_tPvRmT3_T4_T5_T6_T7_T9_mT8_P12ihipStream_tbDpT10_ENKUlT_T0_E_clISt17integral_constantIbLb0EES19_EEDaS14_S15_EUlS14_E_NS1_11comp_targetILNS1_3genE3ELNS1_11target_archE908ELNS1_3gpuE7ELNS1_3repE0EEENS1_30default_config_static_selectorELNS0_4arch9wavefront6targetE1EEEvT1_,comdat
	.protected	_ZN7rocprim17ROCPRIM_400000_NS6detail17trampoline_kernelINS0_14default_configENS1_25partition_config_selectorILNS1_17partition_subalgoE0EiNS0_10empty_typeEbEEZZNS1_14partition_implILS5_0ELb0ES3_jN6thrust23THRUST_200600_302600_NS6detail15normal_iteratorINSA_10device_ptrIiEEEEPS6_SG_NS0_5tupleIJNSA_16discard_iteratorINSA_11use_defaultEEESF_EEENSH_IJSG_SG_EEES6_PlJ7is_evenIiEEEE10hipError_tPvRmT3_T4_T5_T6_T7_T9_mT8_P12ihipStream_tbDpT10_ENKUlT_T0_E_clISt17integral_constantIbLb0EES19_EEDaS14_S15_EUlS14_E_NS1_11comp_targetILNS1_3genE3ELNS1_11target_archE908ELNS1_3gpuE7ELNS1_3repE0EEENS1_30default_config_static_selectorELNS0_4arch9wavefront6targetE1EEEvT1_ ; -- Begin function _ZN7rocprim17ROCPRIM_400000_NS6detail17trampoline_kernelINS0_14default_configENS1_25partition_config_selectorILNS1_17partition_subalgoE0EiNS0_10empty_typeEbEEZZNS1_14partition_implILS5_0ELb0ES3_jN6thrust23THRUST_200600_302600_NS6detail15normal_iteratorINSA_10device_ptrIiEEEEPS6_SG_NS0_5tupleIJNSA_16discard_iteratorINSA_11use_defaultEEESF_EEENSH_IJSG_SG_EEES6_PlJ7is_evenIiEEEE10hipError_tPvRmT3_T4_T5_T6_T7_T9_mT8_P12ihipStream_tbDpT10_ENKUlT_T0_E_clISt17integral_constantIbLb0EES19_EEDaS14_S15_EUlS14_E_NS1_11comp_targetILNS1_3genE3ELNS1_11target_archE908ELNS1_3gpuE7ELNS1_3repE0EEENS1_30default_config_static_selectorELNS0_4arch9wavefront6targetE1EEEvT1_
	.globl	_ZN7rocprim17ROCPRIM_400000_NS6detail17trampoline_kernelINS0_14default_configENS1_25partition_config_selectorILNS1_17partition_subalgoE0EiNS0_10empty_typeEbEEZZNS1_14partition_implILS5_0ELb0ES3_jN6thrust23THRUST_200600_302600_NS6detail15normal_iteratorINSA_10device_ptrIiEEEEPS6_SG_NS0_5tupleIJNSA_16discard_iteratorINSA_11use_defaultEEESF_EEENSH_IJSG_SG_EEES6_PlJ7is_evenIiEEEE10hipError_tPvRmT3_T4_T5_T6_T7_T9_mT8_P12ihipStream_tbDpT10_ENKUlT_T0_E_clISt17integral_constantIbLb0EES19_EEDaS14_S15_EUlS14_E_NS1_11comp_targetILNS1_3genE3ELNS1_11target_archE908ELNS1_3gpuE7ELNS1_3repE0EEENS1_30default_config_static_selectorELNS0_4arch9wavefront6targetE1EEEvT1_
	.p2align	8
	.type	_ZN7rocprim17ROCPRIM_400000_NS6detail17trampoline_kernelINS0_14default_configENS1_25partition_config_selectorILNS1_17partition_subalgoE0EiNS0_10empty_typeEbEEZZNS1_14partition_implILS5_0ELb0ES3_jN6thrust23THRUST_200600_302600_NS6detail15normal_iteratorINSA_10device_ptrIiEEEEPS6_SG_NS0_5tupleIJNSA_16discard_iteratorINSA_11use_defaultEEESF_EEENSH_IJSG_SG_EEES6_PlJ7is_evenIiEEEE10hipError_tPvRmT3_T4_T5_T6_T7_T9_mT8_P12ihipStream_tbDpT10_ENKUlT_T0_E_clISt17integral_constantIbLb0EES19_EEDaS14_S15_EUlS14_E_NS1_11comp_targetILNS1_3genE3ELNS1_11target_archE908ELNS1_3gpuE7ELNS1_3repE0EEENS1_30default_config_static_selectorELNS0_4arch9wavefront6targetE1EEEvT1_,@function
_ZN7rocprim17ROCPRIM_400000_NS6detail17trampoline_kernelINS0_14default_configENS1_25partition_config_selectorILNS1_17partition_subalgoE0EiNS0_10empty_typeEbEEZZNS1_14partition_implILS5_0ELb0ES3_jN6thrust23THRUST_200600_302600_NS6detail15normal_iteratorINSA_10device_ptrIiEEEEPS6_SG_NS0_5tupleIJNSA_16discard_iteratorINSA_11use_defaultEEESF_EEENSH_IJSG_SG_EEES6_PlJ7is_evenIiEEEE10hipError_tPvRmT3_T4_T5_T6_T7_T9_mT8_P12ihipStream_tbDpT10_ENKUlT_T0_E_clISt17integral_constantIbLb0EES19_EEDaS14_S15_EUlS14_E_NS1_11comp_targetILNS1_3genE3ELNS1_11target_archE908ELNS1_3gpuE7ELNS1_3repE0EEENS1_30default_config_static_selectorELNS0_4arch9wavefront6targetE1EEEvT1_: ; @_ZN7rocprim17ROCPRIM_400000_NS6detail17trampoline_kernelINS0_14default_configENS1_25partition_config_selectorILNS1_17partition_subalgoE0EiNS0_10empty_typeEbEEZZNS1_14partition_implILS5_0ELb0ES3_jN6thrust23THRUST_200600_302600_NS6detail15normal_iteratorINSA_10device_ptrIiEEEEPS6_SG_NS0_5tupleIJNSA_16discard_iteratorINSA_11use_defaultEEESF_EEENSH_IJSG_SG_EEES6_PlJ7is_evenIiEEEE10hipError_tPvRmT3_T4_T5_T6_T7_T9_mT8_P12ihipStream_tbDpT10_ENKUlT_T0_E_clISt17integral_constantIbLb0EES19_EEDaS14_S15_EUlS14_E_NS1_11comp_targetILNS1_3genE3ELNS1_11target_archE908ELNS1_3gpuE7ELNS1_3repE0EEENS1_30default_config_static_selectorELNS0_4arch9wavefront6targetE1EEEvT1_
; %bb.0:
	.section	.rodata,"a",@progbits
	.p2align	6, 0x0
	.amdhsa_kernel _ZN7rocprim17ROCPRIM_400000_NS6detail17trampoline_kernelINS0_14default_configENS1_25partition_config_selectorILNS1_17partition_subalgoE0EiNS0_10empty_typeEbEEZZNS1_14partition_implILS5_0ELb0ES3_jN6thrust23THRUST_200600_302600_NS6detail15normal_iteratorINSA_10device_ptrIiEEEEPS6_SG_NS0_5tupleIJNSA_16discard_iteratorINSA_11use_defaultEEESF_EEENSH_IJSG_SG_EEES6_PlJ7is_evenIiEEEE10hipError_tPvRmT3_T4_T5_T6_T7_T9_mT8_P12ihipStream_tbDpT10_ENKUlT_T0_E_clISt17integral_constantIbLb0EES19_EEDaS14_S15_EUlS14_E_NS1_11comp_targetILNS1_3genE3ELNS1_11target_archE908ELNS1_3gpuE7ELNS1_3repE0EEENS1_30default_config_static_selectorELNS0_4arch9wavefront6targetE1EEEvT1_
		.amdhsa_group_segment_fixed_size 0
		.amdhsa_private_segment_fixed_size 0
		.amdhsa_kernarg_size 128
		.amdhsa_user_sgpr_count 6
		.amdhsa_user_sgpr_private_segment_buffer 1
		.amdhsa_user_sgpr_dispatch_ptr 0
		.amdhsa_user_sgpr_queue_ptr 0
		.amdhsa_user_sgpr_kernarg_segment_ptr 1
		.amdhsa_user_sgpr_dispatch_id 0
		.amdhsa_user_sgpr_flat_scratch_init 0
		.amdhsa_user_sgpr_kernarg_preload_length 0
		.amdhsa_user_sgpr_kernarg_preload_offset 0
		.amdhsa_user_sgpr_private_segment_size 0
		.amdhsa_uses_dynamic_stack 0
		.amdhsa_system_sgpr_private_segment_wavefront_offset 0
		.amdhsa_system_sgpr_workgroup_id_x 1
		.amdhsa_system_sgpr_workgroup_id_y 0
		.amdhsa_system_sgpr_workgroup_id_z 0
		.amdhsa_system_sgpr_workgroup_info 0
		.amdhsa_system_vgpr_workitem_id 0
		.amdhsa_next_free_vgpr 1
		.amdhsa_next_free_sgpr 0
		.amdhsa_accum_offset 4
		.amdhsa_reserve_vcc 0
		.amdhsa_reserve_flat_scratch 0
		.amdhsa_float_round_mode_32 0
		.amdhsa_float_round_mode_16_64 0
		.amdhsa_float_denorm_mode_32 3
		.amdhsa_float_denorm_mode_16_64 3
		.amdhsa_dx10_clamp 1
		.amdhsa_ieee_mode 1
		.amdhsa_fp16_overflow 0
		.amdhsa_tg_split 0
		.amdhsa_exception_fp_ieee_invalid_op 0
		.amdhsa_exception_fp_denorm_src 0
		.amdhsa_exception_fp_ieee_div_zero 0
		.amdhsa_exception_fp_ieee_overflow 0
		.amdhsa_exception_fp_ieee_underflow 0
		.amdhsa_exception_fp_ieee_inexact 0
		.amdhsa_exception_int_div_zero 0
	.end_amdhsa_kernel
	.section	.text._ZN7rocprim17ROCPRIM_400000_NS6detail17trampoline_kernelINS0_14default_configENS1_25partition_config_selectorILNS1_17partition_subalgoE0EiNS0_10empty_typeEbEEZZNS1_14partition_implILS5_0ELb0ES3_jN6thrust23THRUST_200600_302600_NS6detail15normal_iteratorINSA_10device_ptrIiEEEEPS6_SG_NS0_5tupleIJNSA_16discard_iteratorINSA_11use_defaultEEESF_EEENSH_IJSG_SG_EEES6_PlJ7is_evenIiEEEE10hipError_tPvRmT3_T4_T5_T6_T7_T9_mT8_P12ihipStream_tbDpT10_ENKUlT_T0_E_clISt17integral_constantIbLb0EES19_EEDaS14_S15_EUlS14_E_NS1_11comp_targetILNS1_3genE3ELNS1_11target_archE908ELNS1_3gpuE7ELNS1_3repE0EEENS1_30default_config_static_selectorELNS0_4arch9wavefront6targetE1EEEvT1_,"axG",@progbits,_ZN7rocprim17ROCPRIM_400000_NS6detail17trampoline_kernelINS0_14default_configENS1_25partition_config_selectorILNS1_17partition_subalgoE0EiNS0_10empty_typeEbEEZZNS1_14partition_implILS5_0ELb0ES3_jN6thrust23THRUST_200600_302600_NS6detail15normal_iteratorINSA_10device_ptrIiEEEEPS6_SG_NS0_5tupleIJNSA_16discard_iteratorINSA_11use_defaultEEESF_EEENSH_IJSG_SG_EEES6_PlJ7is_evenIiEEEE10hipError_tPvRmT3_T4_T5_T6_T7_T9_mT8_P12ihipStream_tbDpT10_ENKUlT_T0_E_clISt17integral_constantIbLb0EES19_EEDaS14_S15_EUlS14_E_NS1_11comp_targetILNS1_3genE3ELNS1_11target_archE908ELNS1_3gpuE7ELNS1_3repE0EEENS1_30default_config_static_selectorELNS0_4arch9wavefront6targetE1EEEvT1_,comdat
.Lfunc_end2750:
	.size	_ZN7rocprim17ROCPRIM_400000_NS6detail17trampoline_kernelINS0_14default_configENS1_25partition_config_selectorILNS1_17partition_subalgoE0EiNS0_10empty_typeEbEEZZNS1_14partition_implILS5_0ELb0ES3_jN6thrust23THRUST_200600_302600_NS6detail15normal_iteratorINSA_10device_ptrIiEEEEPS6_SG_NS0_5tupleIJNSA_16discard_iteratorINSA_11use_defaultEEESF_EEENSH_IJSG_SG_EEES6_PlJ7is_evenIiEEEE10hipError_tPvRmT3_T4_T5_T6_T7_T9_mT8_P12ihipStream_tbDpT10_ENKUlT_T0_E_clISt17integral_constantIbLb0EES19_EEDaS14_S15_EUlS14_E_NS1_11comp_targetILNS1_3genE3ELNS1_11target_archE908ELNS1_3gpuE7ELNS1_3repE0EEENS1_30default_config_static_selectorELNS0_4arch9wavefront6targetE1EEEvT1_, .Lfunc_end2750-_ZN7rocprim17ROCPRIM_400000_NS6detail17trampoline_kernelINS0_14default_configENS1_25partition_config_selectorILNS1_17partition_subalgoE0EiNS0_10empty_typeEbEEZZNS1_14partition_implILS5_0ELb0ES3_jN6thrust23THRUST_200600_302600_NS6detail15normal_iteratorINSA_10device_ptrIiEEEEPS6_SG_NS0_5tupleIJNSA_16discard_iteratorINSA_11use_defaultEEESF_EEENSH_IJSG_SG_EEES6_PlJ7is_evenIiEEEE10hipError_tPvRmT3_T4_T5_T6_T7_T9_mT8_P12ihipStream_tbDpT10_ENKUlT_T0_E_clISt17integral_constantIbLb0EES19_EEDaS14_S15_EUlS14_E_NS1_11comp_targetILNS1_3genE3ELNS1_11target_archE908ELNS1_3gpuE7ELNS1_3repE0EEENS1_30default_config_static_selectorELNS0_4arch9wavefront6targetE1EEEvT1_
                                        ; -- End function
	.section	.AMDGPU.csdata,"",@progbits
; Kernel info:
; codeLenInByte = 0
; NumSgprs: 4
; NumVgprs: 0
; NumAgprs: 0
; TotalNumVgprs: 0
; ScratchSize: 0
; MemoryBound: 0
; FloatMode: 240
; IeeeMode: 1
; LDSByteSize: 0 bytes/workgroup (compile time only)
; SGPRBlocks: 0
; VGPRBlocks: 0
; NumSGPRsForWavesPerEU: 4
; NumVGPRsForWavesPerEU: 1
; AccumOffset: 4
; Occupancy: 8
; WaveLimiterHint : 0
; COMPUTE_PGM_RSRC2:SCRATCH_EN: 0
; COMPUTE_PGM_RSRC2:USER_SGPR: 6
; COMPUTE_PGM_RSRC2:TRAP_HANDLER: 0
; COMPUTE_PGM_RSRC2:TGID_X_EN: 1
; COMPUTE_PGM_RSRC2:TGID_Y_EN: 0
; COMPUTE_PGM_RSRC2:TGID_Z_EN: 0
; COMPUTE_PGM_RSRC2:TIDIG_COMP_CNT: 0
; COMPUTE_PGM_RSRC3_GFX90A:ACCUM_OFFSET: 0
; COMPUTE_PGM_RSRC3_GFX90A:TG_SPLIT: 0
	.section	.text._ZN7rocprim17ROCPRIM_400000_NS6detail17trampoline_kernelINS0_14default_configENS1_25partition_config_selectorILNS1_17partition_subalgoE0EiNS0_10empty_typeEbEEZZNS1_14partition_implILS5_0ELb0ES3_jN6thrust23THRUST_200600_302600_NS6detail15normal_iteratorINSA_10device_ptrIiEEEEPS6_SG_NS0_5tupleIJNSA_16discard_iteratorINSA_11use_defaultEEESF_EEENSH_IJSG_SG_EEES6_PlJ7is_evenIiEEEE10hipError_tPvRmT3_T4_T5_T6_T7_T9_mT8_P12ihipStream_tbDpT10_ENKUlT_T0_E_clISt17integral_constantIbLb0EES19_EEDaS14_S15_EUlS14_E_NS1_11comp_targetILNS1_3genE2ELNS1_11target_archE906ELNS1_3gpuE6ELNS1_3repE0EEENS1_30default_config_static_selectorELNS0_4arch9wavefront6targetE1EEEvT1_,"axG",@progbits,_ZN7rocprim17ROCPRIM_400000_NS6detail17trampoline_kernelINS0_14default_configENS1_25partition_config_selectorILNS1_17partition_subalgoE0EiNS0_10empty_typeEbEEZZNS1_14partition_implILS5_0ELb0ES3_jN6thrust23THRUST_200600_302600_NS6detail15normal_iteratorINSA_10device_ptrIiEEEEPS6_SG_NS0_5tupleIJNSA_16discard_iteratorINSA_11use_defaultEEESF_EEENSH_IJSG_SG_EEES6_PlJ7is_evenIiEEEE10hipError_tPvRmT3_T4_T5_T6_T7_T9_mT8_P12ihipStream_tbDpT10_ENKUlT_T0_E_clISt17integral_constantIbLb0EES19_EEDaS14_S15_EUlS14_E_NS1_11comp_targetILNS1_3genE2ELNS1_11target_archE906ELNS1_3gpuE6ELNS1_3repE0EEENS1_30default_config_static_selectorELNS0_4arch9wavefront6targetE1EEEvT1_,comdat
	.protected	_ZN7rocprim17ROCPRIM_400000_NS6detail17trampoline_kernelINS0_14default_configENS1_25partition_config_selectorILNS1_17partition_subalgoE0EiNS0_10empty_typeEbEEZZNS1_14partition_implILS5_0ELb0ES3_jN6thrust23THRUST_200600_302600_NS6detail15normal_iteratorINSA_10device_ptrIiEEEEPS6_SG_NS0_5tupleIJNSA_16discard_iteratorINSA_11use_defaultEEESF_EEENSH_IJSG_SG_EEES6_PlJ7is_evenIiEEEE10hipError_tPvRmT3_T4_T5_T6_T7_T9_mT8_P12ihipStream_tbDpT10_ENKUlT_T0_E_clISt17integral_constantIbLb0EES19_EEDaS14_S15_EUlS14_E_NS1_11comp_targetILNS1_3genE2ELNS1_11target_archE906ELNS1_3gpuE6ELNS1_3repE0EEENS1_30default_config_static_selectorELNS0_4arch9wavefront6targetE1EEEvT1_ ; -- Begin function _ZN7rocprim17ROCPRIM_400000_NS6detail17trampoline_kernelINS0_14default_configENS1_25partition_config_selectorILNS1_17partition_subalgoE0EiNS0_10empty_typeEbEEZZNS1_14partition_implILS5_0ELb0ES3_jN6thrust23THRUST_200600_302600_NS6detail15normal_iteratorINSA_10device_ptrIiEEEEPS6_SG_NS0_5tupleIJNSA_16discard_iteratorINSA_11use_defaultEEESF_EEENSH_IJSG_SG_EEES6_PlJ7is_evenIiEEEE10hipError_tPvRmT3_T4_T5_T6_T7_T9_mT8_P12ihipStream_tbDpT10_ENKUlT_T0_E_clISt17integral_constantIbLb0EES19_EEDaS14_S15_EUlS14_E_NS1_11comp_targetILNS1_3genE2ELNS1_11target_archE906ELNS1_3gpuE6ELNS1_3repE0EEENS1_30default_config_static_selectorELNS0_4arch9wavefront6targetE1EEEvT1_
	.globl	_ZN7rocprim17ROCPRIM_400000_NS6detail17trampoline_kernelINS0_14default_configENS1_25partition_config_selectorILNS1_17partition_subalgoE0EiNS0_10empty_typeEbEEZZNS1_14partition_implILS5_0ELb0ES3_jN6thrust23THRUST_200600_302600_NS6detail15normal_iteratorINSA_10device_ptrIiEEEEPS6_SG_NS0_5tupleIJNSA_16discard_iteratorINSA_11use_defaultEEESF_EEENSH_IJSG_SG_EEES6_PlJ7is_evenIiEEEE10hipError_tPvRmT3_T4_T5_T6_T7_T9_mT8_P12ihipStream_tbDpT10_ENKUlT_T0_E_clISt17integral_constantIbLb0EES19_EEDaS14_S15_EUlS14_E_NS1_11comp_targetILNS1_3genE2ELNS1_11target_archE906ELNS1_3gpuE6ELNS1_3repE0EEENS1_30default_config_static_selectorELNS0_4arch9wavefront6targetE1EEEvT1_
	.p2align	8
	.type	_ZN7rocprim17ROCPRIM_400000_NS6detail17trampoline_kernelINS0_14default_configENS1_25partition_config_selectorILNS1_17partition_subalgoE0EiNS0_10empty_typeEbEEZZNS1_14partition_implILS5_0ELb0ES3_jN6thrust23THRUST_200600_302600_NS6detail15normal_iteratorINSA_10device_ptrIiEEEEPS6_SG_NS0_5tupleIJNSA_16discard_iteratorINSA_11use_defaultEEESF_EEENSH_IJSG_SG_EEES6_PlJ7is_evenIiEEEE10hipError_tPvRmT3_T4_T5_T6_T7_T9_mT8_P12ihipStream_tbDpT10_ENKUlT_T0_E_clISt17integral_constantIbLb0EES19_EEDaS14_S15_EUlS14_E_NS1_11comp_targetILNS1_3genE2ELNS1_11target_archE906ELNS1_3gpuE6ELNS1_3repE0EEENS1_30default_config_static_selectorELNS0_4arch9wavefront6targetE1EEEvT1_,@function
_ZN7rocprim17ROCPRIM_400000_NS6detail17trampoline_kernelINS0_14default_configENS1_25partition_config_selectorILNS1_17partition_subalgoE0EiNS0_10empty_typeEbEEZZNS1_14partition_implILS5_0ELb0ES3_jN6thrust23THRUST_200600_302600_NS6detail15normal_iteratorINSA_10device_ptrIiEEEEPS6_SG_NS0_5tupleIJNSA_16discard_iteratorINSA_11use_defaultEEESF_EEENSH_IJSG_SG_EEES6_PlJ7is_evenIiEEEE10hipError_tPvRmT3_T4_T5_T6_T7_T9_mT8_P12ihipStream_tbDpT10_ENKUlT_T0_E_clISt17integral_constantIbLb0EES19_EEDaS14_S15_EUlS14_E_NS1_11comp_targetILNS1_3genE2ELNS1_11target_archE906ELNS1_3gpuE6ELNS1_3repE0EEENS1_30default_config_static_selectorELNS0_4arch9wavefront6targetE1EEEvT1_: ; @_ZN7rocprim17ROCPRIM_400000_NS6detail17trampoline_kernelINS0_14default_configENS1_25partition_config_selectorILNS1_17partition_subalgoE0EiNS0_10empty_typeEbEEZZNS1_14partition_implILS5_0ELb0ES3_jN6thrust23THRUST_200600_302600_NS6detail15normal_iteratorINSA_10device_ptrIiEEEEPS6_SG_NS0_5tupleIJNSA_16discard_iteratorINSA_11use_defaultEEESF_EEENSH_IJSG_SG_EEES6_PlJ7is_evenIiEEEE10hipError_tPvRmT3_T4_T5_T6_T7_T9_mT8_P12ihipStream_tbDpT10_ENKUlT_T0_E_clISt17integral_constantIbLb0EES19_EEDaS14_S15_EUlS14_E_NS1_11comp_targetILNS1_3genE2ELNS1_11target_archE906ELNS1_3gpuE6ELNS1_3repE0EEENS1_30default_config_static_selectorELNS0_4arch9wavefront6targetE1EEEvT1_
; %bb.0:
	.section	.rodata,"a",@progbits
	.p2align	6, 0x0
	.amdhsa_kernel _ZN7rocprim17ROCPRIM_400000_NS6detail17trampoline_kernelINS0_14default_configENS1_25partition_config_selectorILNS1_17partition_subalgoE0EiNS0_10empty_typeEbEEZZNS1_14partition_implILS5_0ELb0ES3_jN6thrust23THRUST_200600_302600_NS6detail15normal_iteratorINSA_10device_ptrIiEEEEPS6_SG_NS0_5tupleIJNSA_16discard_iteratorINSA_11use_defaultEEESF_EEENSH_IJSG_SG_EEES6_PlJ7is_evenIiEEEE10hipError_tPvRmT3_T4_T5_T6_T7_T9_mT8_P12ihipStream_tbDpT10_ENKUlT_T0_E_clISt17integral_constantIbLb0EES19_EEDaS14_S15_EUlS14_E_NS1_11comp_targetILNS1_3genE2ELNS1_11target_archE906ELNS1_3gpuE6ELNS1_3repE0EEENS1_30default_config_static_selectorELNS0_4arch9wavefront6targetE1EEEvT1_
		.amdhsa_group_segment_fixed_size 0
		.amdhsa_private_segment_fixed_size 0
		.amdhsa_kernarg_size 128
		.amdhsa_user_sgpr_count 6
		.amdhsa_user_sgpr_private_segment_buffer 1
		.amdhsa_user_sgpr_dispatch_ptr 0
		.amdhsa_user_sgpr_queue_ptr 0
		.amdhsa_user_sgpr_kernarg_segment_ptr 1
		.amdhsa_user_sgpr_dispatch_id 0
		.amdhsa_user_sgpr_flat_scratch_init 0
		.amdhsa_user_sgpr_kernarg_preload_length 0
		.amdhsa_user_sgpr_kernarg_preload_offset 0
		.amdhsa_user_sgpr_private_segment_size 0
		.amdhsa_uses_dynamic_stack 0
		.amdhsa_system_sgpr_private_segment_wavefront_offset 0
		.amdhsa_system_sgpr_workgroup_id_x 1
		.amdhsa_system_sgpr_workgroup_id_y 0
		.amdhsa_system_sgpr_workgroup_id_z 0
		.amdhsa_system_sgpr_workgroup_info 0
		.amdhsa_system_vgpr_workitem_id 0
		.amdhsa_next_free_vgpr 1
		.amdhsa_next_free_sgpr 0
		.amdhsa_accum_offset 4
		.amdhsa_reserve_vcc 0
		.amdhsa_reserve_flat_scratch 0
		.amdhsa_float_round_mode_32 0
		.amdhsa_float_round_mode_16_64 0
		.amdhsa_float_denorm_mode_32 3
		.amdhsa_float_denorm_mode_16_64 3
		.amdhsa_dx10_clamp 1
		.amdhsa_ieee_mode 1
		.amdhsa_fp16_overflow 0
		.amdhsa_tg_split 0
		.amdhsa_exception_fp_ieee_invalid_op 0
		.amdhsa_exception_fp_denorm_src 0
		.amdhsa_exception_fp_ieee_div_zero 0
		.amdhsa_exception_fp_ieee_overflow 0
		.amdhsa_exception_fp_ieee_underflow 0
		.amdhsa_exception_fp_ieee_inexact 0
		.amdhsa_exception_int_div_zero 0
	.end_amdhsa_kernel
	.section	.text._ZN7rocprim17ROCPRIM_400000_NS6detail17trampoline_kernelINS0_14default_configENS1_25partition_config_selectorILNS1_17partition_subalgoE0EiNS0_10empty_typeEbEEZZNS1_14partition_implILS5_0ELb0ES3_jN6thrust23THRUST_200600_302600_NS6detail15normal_iteratorINSA_10device_ptrIiEEEEPS6_SG_NS0_5tupleIJNSA_16discard_iteratorINSA_11use_defaultEEESF_EEENSH_IJSG_SG_EEES6_PlJ7is_evenIiEEEE10hipError_tPvRmT3_T4_T5_T6_T7_T9_mT8_P12ihipStream_tbDpT10_ENKUlT_T0_E_clISt17integral_constantIbLb0EES19_EEDaS14_S15_EUlS14_E_NS1_11comp_targetILNS1_3genE2ELNS1_11target_archE906ELNS1_3gpuE6ELNS1_3repE0EEENS1_30default_config_static_selectorELNS0_4arch9wavefront6targetE1EEEvT1_,"axG",@progbits,_ZN7rocprim17ROCPRIM_400000_NS6detail17trampoline_kernelINS0_14default_configENS1_25partition_config_selectorILNS1_17partition_subalgoE0EiNS0_10empty_typeEbEEZZNS1_14partition_implILS5_0ELb0ES3_jN6thrust23THRUST_200600_302600_NS6detail15normal_iteratorINSA_10device_ptrIiEEEEPS6_SG_NS0_5tupleIJNSA_16discard_iteratorINSA_11use_defaultEEESF_EEENSH_IJSG_SG_EEES6_PlJ7is_evenIiEEEE10hipError_tPvRmT3_T4_T5_T6_T7_T9_mT8_P12ihipStream_tbDpT10_ENKUlT_T0_E_clISt17integral_constantIbLb0EES19_EEDaS14_S15_EUlS14_E_NS1_11comp_targetILNS1_3genE2ELNS1_11target_archE906ELNS1_3gpuE6ELNS1_3repE0EEENS1_30default_config_static_selectorELNS0_4arch9wavefront6targetE1EEEvT1_,comdat
.Lfunc_end2751:
	.size	_ZN7rocprim17ROCPRIM_400000_NS6detail17trampoline_kernelINS0_14default_configENS1_25partition_config_selectorILNS1_17partition_subalgoE0EiNS0_10empty_typeEbEEZZNS1_14partition_implILS5_0ELb0ES3_jN6thrust23THRUST_200600_302600_NS6detail15normal_iteratorINSA_10device_ptrIiEEEEPS6_SG_NS0_5tupleIJNSA_16discard_iteratorINSA_11use_defaultEEESF_EEENSH_IJSG_SG_EEES6_PlJ7is_evenIiEEEE10hipError_tPvRmT3_T4_T5_T6_T7_T9_mT8_P12ihipStream_tbDpT10_ENKUlT_T0_E_clISt17integral_constantIbLb0EES19_EEDaS14_S15_EUlS14_E_NS1_11comp_targetILNS1_3genE2ELNS1_11target_archE906ELNS1_3gpuE6ELNS1_3repE0EEENS1_30default_config_static_selectorELNS0_4arch9wavefront6targetE1EEEvT1_, .Lfunc_end2751-_ZN7rocprim17ROCPRIM_400000_NS6detail17trampoline_kernelINS0_14default_configENS1_25partition_config_selectorILNS1_17partition_subalgoE0EiNS0_10empty_typeEbEEZZNS1_14partition_implILS5_0ELb0ES3_jN6thrust23THRUST_200600_302600_NS6detail15normal_iteratorINSA_10device_ptrIiEEEEPS6_SG_NS0_5tupleIJNSA_16discard_iteratorINSA_11use_defaultEEESF_EEENSH_IJSG_SG_EEES6_PlJ7is_evenIiEEEE10hipError_tPvRmT3_T4_T5_T6_T7_T9_mT8_P12ihipStream_tbDpT10_ENKUlT_T0_E_clISt17integral_constantIbLb0EES19_EEDaS14_S15_EUlS14_E_NS1_11comp_targetILNS1_3genE2ELNS1_11target_archE906ELNS1_3gpuE6ELNS1_3repE0EEENS1_30default_config_static_selectorELNS0_4arch9wavefront6targetE1EEEvT1_
                                        ; -- End function
	.section	.AMDGPU.csdata,"",@progbits
; Kernel info:
; codeLenInByte = 0
; NumSgprs: 4
; NumVgprs: 0
; NumAgprs: 0
; TotalNumVgprs: 0
; ScratchSize: 0
; MemoryBound: 0
; FloatMode: 240
; IeeeMode: 1
; LDSByteSize: 0 bytes/workgroup (compile time only)
; SGPRBlocks: 0
; VGPRBlocks: 0
; NumSGPRsForWavesPerEU: 4
; NumVGPRsForWavesPerEU: 1
; AccumOffset: 4
; Occupancy: 8
; WaveLimiterHint : 0
; COMPUTE_PGM_RSRC2:SCRATCH_EN: 0
; COMPUTE_PGM_RSRC2:USER_SGPR: 6
; COMPUTE_PGM_RSRC2:TRAP_HANDLER: 0
; COMPUTE_PGM_RSRC2:TGID_X_EN: 1
; COMPUTE_PGM_RSRC2:TGID_Y_EN: 0
; COMPUTE_PGM_RSRC2:TGID_Z_EN: 0
; COMPUTE_PGM_RSRC2:TIDIG_COMP_CNT: 0
; COMPUTE_PGM_RSRC3_GFX90A:ACCUM_OFFSET: 0
; COMPUTE_PGM_RSRC3_GFX90A:TG_SPLIT: 0
	.section	.text._ZN7rocprim17ROCPRIM_400000_NS6detail17trampoline_kernelINS0_14default_configENS1_25partition_config_selectorILNS1_17partition_subalgoE0EiNS0_10empty_typeEbEEZZNS1_14partition_implILS5_0ELb0ES3_jN6thrust23THRUST_200600_302600_NS6detail15normal_iteratorINSA_10device_ptrIiEEEEPS6_SG_NS0_5tupleIJNSA_16discard_iteratorINSA_11use_defaultEEESF_EEENSH_IJSG_SG_EEES6_PlJ7is_evenIiEEEE10hipError_tPvRmT3_T4_T5_T6_T7_T9_mT8_P12ihipStream_tbDpT10_ENKUlT_T0_E_clISt17integral_constantIbLb0EES19_EEDaS14_S15_EUlS14_E_NS1_11comp_targetILNS1_3genE10ELNS1_11target_archE1200ELNS1_3gpuE4ELNS1_3repE0EEENS1_30default_config_static_selectorELNS0_4arch9wavefront6targetE1EEEvT1_,"axG",@progbits,_ZN7rocprim17ROCPRIM_400000_NS6detail17trampoline_kernelINS0_14default_configENS1_25partition_config_selectorILNS1_17partition_subalgoE0EiNS0_10empty_typeEbEEZZNS1_14partition_implILS5_0ELb0ES3_jN6thrust23THRUST_200600_302600_NS6detail15normal_iteratorINSA_10device_ptrIiEEEEPS6_SG_NS0_5tupleIJNSA_16discard_iteratorINSA_11use_defaultEEESF_EEENSH_IJSG_SG_EEES6_PlJ7is_evenIiEEEE10hipError_tPvRmT3_T4_T5_T6_T7_T9_mT8_P12ihipStream_tbDpT10_ENKUlT_T0_E_clISt17integral_constantIbLb0EES19_EEDaS14_S15_EUlS14_E_NS1_11comp_targetILNS1_3genE10ELNS1_11target_archE1200ELNS1_3gpuE4ELNS1_3repE0EEENS1_30default_config_static_selectorELNS0_4arch9wavefront6targetE1EEEvT1_,comdat
	.protected	_ZN7rocprim17ROCPRIM_400000_NS6detail17trampoline_kernelINS0_14default_configENS1_25partition_config_selectorILNS1_17partition_subalgoE0EiNS0_10empty_typeEbEEZZNS1_14partition_implILS5_0ELb0ES3_jN6thrust23THRUST_200600_302600_NS6detail15normal_iteratorINSA_10device_ptrIiEEEEPS6_SG_NS0_5tupleIJNSA_16discard_iteratorINSA_11use_defaultEEESF_EEENSH_IJSG_SG_EEES6_PlJ7is_evenIiEEEE10hipError_tPvRmT3_T4_T5_T6_T7_T9_mT8_P12ihipStream_tbDpT10_ENKUlT_T0_E_clISt17integral_constantIbLb0EES19_EEDaS14_S15_EUlS14_E_NS1_11comp_targetILNS1_3genE10ELNS1_11target_archE1200ELNS1_3gpuE4ELNS1_3repE0EEENS1_30default_config_static_selectorELNS0_4arch9wavefront6targetE1EEEvT1_ ; -- Begin function _ZN7rocprim17ROCPRIM_400000_NS6detail17trampoline_kernelINS0_14default_configENS1_25partition_config_selectorILNS1_17partition_subalgoE0EiNS0_10empty_typeEbEEZZNS1_14partition_implILS5_0ELb0ES3_jN6thrust23THRUST_200600_302600_NS6detail15normal_iteratorINSA_10device_ptrIiEEEEPS6_SG_NS0_5tupleIJNSA_16discard_iteratorINSA_11use_defaultEEESF_EEENSH_IJSG_SG_EEES6_PlJ7is_evenIiEEEE10hipError_tPvRmT3_T4_T5_T6_T7_T9_mT8_P12ihipStream_tbDpT10_ENKUlT_T0_E_clISt17integral_constantIbLb0EES19_EEDaS14_S15_EUlS14_E_NS1_11comp_targetILNS1_3genE10ELNS1_11target_archE1200ELNS1_3gpuE4ELNS1_3repE0EEENS1_30default_config_static_selectorELNS0_4arch9wavefront6targetE1EEEvT1_
	.globl	_ZN7rocprim17ROCPRIM_400000_NS6detail17trampoline_kernelINS0_14default_configENS1_25partition_config_selectorILNS1_17partition_subalgoE0EiNS0_10empty_typeEbEEZZNS1_14partition_implILS5_0ELb0ES3_jN6thrust23THRUST_200600_302600_NS6detail15normal_iteratorINSA_10device_ptrIiEEEEPS6_SG_NS0_5tupleIJNSA_16discard_iteratorINSA_11use_defaultEEESF_EEENSH_IJSG_SG_EEES6_PlJ7is_evenIiEEEE10hipError_tPvRmT3_T4_T5_T6_T7_T9_mT8_P12ihipStream_tbDpT10_ENKUlT_T0_E_clISt17integral_constantIbLb0EES19_EEDaS14_S15_EUlS14_E_NS1_11comp_targetILNS1_3genE10ELNS1_11target_archE1200ELNS1_3gpuE4ELNS1_3repE0EEENS1_30default_config_static_selectorELNS0_4arch9wavefront6targetE1EEEvT1_
	.p2align	8
	.type	_ZN7rocprim17ROCPRIM_400000_NS6detail17trampoline_kernelINS0_14default_configENS1_25partition_config_selectorILNS1_17partition_subalgoE0EiNS0_10empty_typeEbEEZZNS1_14partition_implILS5_0ELb0ES3_jN6thrust23THRUST_200600_302600_NS6detail15normal_iteratorINSA_10device_ptrIiEEEEPS6_SG_NS0_5tupleIJNSA_16discard_iteratorINSA_11use_defaultEEESF_EEENSH_IJSG_SG_EEES6_PlJ7is_evenIiEEEE10hipError_tPvRmT3_T4_T5_T6_T7_T9_mT8_P12ihipStream_tbDpT10_ENKUlT_T0_E_clISt17integral_constantIbLb0EES19_EEDaS14_S15_EUlS14_E_NS1_11comp_targetILNS1_3genE10ELNS1_11target_archE1200ELNS1_3gpuE4ELNS1_3repE0EEENS1_30default_config_static_selectorELNS0_4arch9wavefront6targetE1EEEvT1_,@function
_ZN7rocprim17ROCPRIM_400000_NS6detail17trampoline_kernelINS0_14default_configENS1_25partition_config_selectorILNS1_17partition_subalgoE0EiNS0_10empty_typeEbEEZZNS1_14partition_implILS5_0ELb0ES3_jN6thrust23THRUST_200600_302600_NS6detail15normal_iteratorINSA_10device_ptrIiEEEEPS6_SG_NS0_5tupleIJNSA_16discard_iteratorINSA_11use_defaultEEESF_EEENSH_IJSG_SG_EEES6_PlJ7is_evenIiEEEE10hipError_tPvRmT3_T4_T5_T6_T7_T9_mT8_P12ihipStream_tbDpT10_ENKUlT_T0_E_clISt17integral_constantIbLb0EES19_EEDaS14_S15_EUlS14_E_NS1_11comp_targetILNS1_3genE10ELNS1_11target_archE1200ELNS1_3gpuE4ELNS1_3repE0EEENS1_30default_config_static_selectorELNS0_4arch9wavefront6targetE1EEEvT1_: ; @_ZN7rocprim17ROCPRIM_400000_NS6detail17trampoline_kernelINS0_14default_configENS1_25partition_config_selectorILNS1_17partition_subalgoE0EiNS0_10empty_typeEbEEZZNS1_14partition_implILS5_0ELb0ES3_jN6thrust23THRUST_200600_302600_NS6detail15normal_iteratorINSA_10device_ptrIiEEEEPS6_SG_NS0_5tupleIJNSA_16discard_iteratorINSA_11use_defaultEEESF_EEENSH_IJSG_SG_EEES6_PlJ7is_evenIiEEEE10hipError_tPvRmT3_T4_T5_T6_T7_T9_mT8_P12ihipStream_tbDpT10_ENKUlT_T0_E_clISt17integral_constantIbLb0EES19_EEDaS14_S15_EUlS14_E_NS1_11comp_targetILNS1_3genE10ELNS1_11target_archE1200ELNS1_3gpuE4ELNS1_3repE0EEENS1_30default_config_static_selectorELNS0_4arch9wavefront6targetE1EEEvT1_
; %bb.0:
	.section	.rodata,"a",@progbits
	.p2align	6, 0x0
	.amdhsa_kernel _ZN7rocprim17ROCPRIM_400000_NS6detail17trampoline_kernelINS0_14default_configENS1_25partition_config_selectorILNS1_17partition_subalgoE0EiNS0_10empty_typeEbEEZZNS1_14partition_implILS5_0ELb0ES3_jN6thrust23THRUST_200600_302600_NS6detail15normal_iteratorINSA_10device_ptrIiEEEEPS6_SG_NS0_5tupleIJNSA_16discard_iteratorINSA_11use_defaultEEESF_EEENSH_IJSG_SG_EEES6_PlJ7is_evenIiEEEE10hipError_tPvRmT3_T4_T5_T6_T7_T9_mT8_P12ihipStream_tbDpT10_ENKUlT_T0_E_clISt17integral_constantIbLb0EES19_EEDaS14_S15_EUlS14_E_NS1_11comp_targetILNS1_3genE10ELNS1_11target_archE1200ELNS1_3gpuE4ELNS1_3repE0EEENS1_30default_config_static_selectorELNS0_4arch9wavefront6targetE1EEEvT1_
		.amdhsa_group_segment_fixed_size 0
		.amdhsa_private_segment_fixed_size 0
		.amdhsa_kernarg_size 128
		.amdhsa_user_sgpr_count 6
		.amdhsa_user_sgpr_private_segment_buffer 1
		.amdhsa_user_sgpr_dispatch_ptr 0
		.amdhsa_user_sgpr_queue_ptr 0
		.amdhsa_user_sgpr_kernarg_segment_ptr 1
		.amdhsa_user_sgpr_dispatch_id 0
		.amdhsa_user_sgpr_flat_scratch_init 0
		.amdhsa_user_sgpr_kernarg_preload_length 0
		.amdhsa_user_sgpr_kernarg_preload_offset 0
		.amdhsa_user_sgpr_private_segment_size 0
		.amdhsa_uses_dynamic_stack 0
		.amdhsa_system_sgpr_private_segment_wavefront_offset 0
		.amdhsa_system_sgpr_workgroup_id_x 1
		.amdhsa_system_sgpr_workgroup_id_y 0
		.amdhsa_system_sgpr_workgroup_id_z 0
		.amdhsa_system_sgpr_workgroup_info 0
		.amdhsa_system_vgpr_workitem_id 0
		.amdhsa_next_free_vgpr 1
		.amdhsa_next_free_sgpr 0
		.amdhsa_accum_offset 4
		.amdhsa_reserve_vcc 0
		.amdhsa_reserve_flat_scratch 0
		.amdhsa_float_round_mode_32 0
		.amdhsa_float_round_mode_16_64 0
		.amdhsa_float_denorm_mode_32 3
		.amdhsa_float_denorm_mode_16_64 3
		.amdhsa_dx10_clamp 1
		.amdhsa_ieee_mode 1
		.amdhsa_fp16_overflow 0
		.amdhsa_tg_split 0
		.amdhsa_exception_fp_ieee_invalid_op 0
		.amdhsa_exception_fp_denorm_src 0
		.amdhsa_exception_fp_ieee_div_zero 0
		.amdhsa_exception_fp_ieee_overflow 0
		.amdhsa_exception_fp_ieee_underflow 0
		.amdhsa_exception_fp_ieee_inexact 0
		.amdhsa_exception_int_div_zero 0
	.end_amdhsa_kernel
	.section	.text._ZN7rocprim17ROCPRIM_400000_NS6detail17trampoline_kernelINS0_14default_configENS1_25partition_config_selectorILNS1_17partition_subalgoE0EiNS0_10empty_typeEbEEZZNS1_14partition_implILS5_0ELb0ES3_jN6thrust23THRUST_200600_302600_NS6detail15normal_iteratorINSA_10device_ptrIiEEEEPS6_SG_NS0_5tupleIJNSA_16discard_iteratorINSA_11use_defaultEEESF_EEENSH_IJSG_SG_EEES6_PlJ7is_evenIiEEEE10hipError_tPvRmT3_T4_T5_T6_T7_T9_mT8_P12ihipStream_tbDpT10_ENKUlT_T0_E_clISt17integral_constantIbLb0EES19_EEDaS14_S15_EUlS14_E_NS1_11comp_targetILNS1_3genE10ELNS1_11target_archE1200ELNS1_3gpuE4ELNS1_3repE0EEENS1_30default_config_static_selectorELNS0_4arch9wavefront6targetE1EEEvT1_,"axG",@progbits,_ZN7rocprim17ROCPRIM_400000_NS6detail17trampoline_kernelINS0_14default_configENS1_25partition_config_selectorILNS1_17partition_subalgoE0EiNS0_10empty_typeEbEEZZNS1_14partition_implILS5_0ELb0ES3_jN6thrust23THRUST_200600_302600_NS6detail15normal_iteratorINSA_10device_ptrIiEEEEPS6_SG_NS0_5tupleIJNSA_16discard_iteratorINSA_11use_defaultEEESF_EEENSH_IJSG_SG_EEES6_PlJ7is_evenIiEEEE10hipError_tPvRmT3_T4_T5_T6_T7_T9_mT8_P12ihipStream_tbDpT10_ENKUlT_T0_E_clISt17integral_constantIbLb0EES19_EEDaS14_S15_EUlS14_E_NS1_11comp_targetILNS1_3genE10ELNS1_11target_archE1200ELNS1_3gpuE4ELNS1_3repE0EEENS1_30default_config_static_selectorELNS0_4arch9wavefront6targetE1EEEvT1_,comdat
.Lfunc_end2752:
	.size	_ZN7rocprim17ROCPRIM_400000_NS6detail17trampoline_kernelINS0_14default_configENS1_25partition_config_selectorILNS1_17partition_subalgoE0EiNS0_10empty_typeEbEEZZNS1_14partition_implILS5_0ELb0ES3_jN6thrust23THRUST_200600_302600_NS6detail15normal_iteratorINSA_10device_ptrIiEEEEPS6_SG_NS0_5tupleIJNSA_16discard_iteratorINSA_11use_defaultEEESF_EEENSH_IJSG_SG_EEES6_PlJ7is_evenIiEEEE10hipError_tPvRmT3_T4_T5_T6_T7_T9_mT8_P12ihipStream_tbDpT10_ENKUlT_T0_E_clISt17integral_constantIbLb0EES19_EEDaS14_S15_EUlS14_E_NS1_11comp_targetILNS1_3genE10ELNS1_11target_archE1200ELNS1_3gpuE4ELNS1_3repE0EEENS1_30default_config_static_selectorELNS0_4arch9wavefront6targetE1EEEvT1_, .Lfunc_end2752-_ZN7rocprim17ROCPRIM_400000_NS6detail17trampoline_kernelINS0_14default_configENS1_25partition_config_selectorILNS1_17partition_subalgoE0EiNS0_10empty_typeEbEEZZNS1_14partition_implILS5_0ELb0ES3_jN6thrust23THRUST_200600_302600_NS6detail15normal_iteratorINSA_10device_ptrIiEEEEPS6_SG_NS0_5tupleIJNSA_16discard_iteratorINSA_11use_defaultEEESF_EEENSH_IJSG_SG_EEES6_PlJ7is_evenIiEEEE10hipError_tPvRmT3_T4_T5_T6_T7_T9_mT8_P12ihipStream_tbDpT10_ENKUlT_T0_E_clISt17integral_constantIbLb0EES19_EEDaS14_S15_EUlS14_E_NS1_11comp_targetILNS1_3genE10ELNS1_11target_archE1200ELNS1_3gpuE4ELNS1_3repE0EEENS1_30default_config_static_selectorELNS0_4arch9wavefront6targetE1EEEvT1_
                                        ; -- End function
	.section	.AMDGPU.csdata,"",@progbits
; Kernel info:
; codeLenInByte = 0
; NumSgprs: 4
; NumVgprs: 0
; NumAgprs: 0
; TotalNumVgprs: 0
; ScratchSize: 0
; MemoryBound: 0
; FloatMode: 240
; IeeeMode: 1
; LDSByteSize: 0 bytes/workgroup (compile time only)
; SGPRBlocks: 0
; VGPRBlocks: 0
; NumSGPRsForWavesPerEU: 4
; NumVGPRsForWavesPerEU: 1
; AccumOffset: 4
; Occupancy: 8
; WaveLimiterHint : 0
; COMPUTE_PGM_RSRC2:SCRATCH_EN: 0
; COMPUTE_PGM_RSRC2:USER_SGPR: 6
; COMPUTE_PGM_RSRC2:TRAP_HANDLER: 0
; COMPUTE_PGM_RSRC2:TGID_X_EN: 1
; COMPUTE_PGM_RSRC2:TGID_Y_EN: 0
; COMPUTE_PGM_RSRC2:TGID_Z_EN: 0
; COMPUTE_PGM_RSRC2:TIDIG_COMP_CNT: 0
; COMPUTE_PGM_RSRC3_GFX90A:ACCUM_OFFSET: 0
; COMPUTE_PGM_RSRC3_GFX90A:TG_SPLIT: 0
	.section	.text._ZN7rocprim17ROCPRIM_400000_NS6detail17trampoline_kernelINS0_14default_configENS1_25partition_config_selectorILNS1_17partition_subalgoE0EiNS0_10empty_typeEbEEZZNS1_14partition_implILS5_0ELb0ES3_jN6thrust23THRUST_200600_302600_NS6detail15normal_iteratorINSA_10device_ptrIiEEEEPS6_SG_NS0_5tupleIJNSA_16discard_iteratorINSA_11use_defaultEEESF_EEENSH_IJSG_SG_EEES6_PlJ7is_evenIiEEEE10hipError_tPvRmT3_T4_T5_T6_T7_T9_mT8_P12ihipStream_tbDpT10_ENKUlT_T0_E_clISt17integral_constantIbLb0EES19_EEDaS14_S15_EUlS14_E_NS1_11comp_targetILNS1_3genE9ELNS1_11target_archE1100ELNS1_3gpuE3ELNS1_3repE0EEENS1_30default_config_static_selectorELNS0_4arch9wavefront6targetE1EEEvT1_,"axG",@progbits,_ZN7rocprim17ROCPRIM_400000_NS6detail17trampoline_kernelINS0_14default_configENS1_25partition_config_selectorILNS1_17partition_subalgoE0EiNS0_10empty_typeEbEEZZNS1_14partition_implILS5_0ELb0ES3_jN6thrust23THRUST_200600_302600_NS6detail15normal_iteratorINSA_10device_ptrIiEEEEPS6_SG_NS0_5tupleIJNSA_16discard_iteratorINSA_11use_defaultEEESF_EEENSH_IJSG_SG_EEES6_PlJ7is_evenIiEEEE10hipError_tPvRmT3_T4_T5_T6_T7_T9_mT8_P12ihipStream_tbDpT10_ENKUlT_T0_E_clISt17integral_constantIbLb0EES19_EEDaS14_S15_EUlS14_E_NS1_11comp_targetILNS1_3genE9ELNS1_11target_archE1100ELNS1_3gpuE3ELNS1_3repE0EEENS1_30default_config_static_selectorELNS0_4arch9wavefront6targetE1EEEvT1_,comdat
	.protected	_ZN7rocprim17ROCPRIM_400000_NS6detail17trampoline_kernelINS0_14default_configENS1_25partition_config_selectorILNS1_17partition_subalgoE0EiNS0_10empty_typeEbEEZZNS1_14partition_implILS5_0ELb0ES3_jN6thrust23THRUST_200600_302600_NS6detail15normal_iteratorINSA_10device_ptrIiEEEEPS6_SG_NS0_5tupleIJNSA_16discard_iteratorINSA_11use_defaultEEESF_EEENSH_IJSG_SG_EEES6_PlJ7is_evenIiEEEE10hipError_tPvRmT3_T4_T5_T6_T7_T9_mT8_P12ihipStream_tbDpT10_ENKUlT_T0_E_clISt17integral_constantIbLb0EES19_EEDaS14_S15_EUlS14_E_NS1_11comp_targetILNS1_3genE9ELNS1_11target_archE1100ELNS1_3gpuE3ELNS1_3repE0EEENS1_30default_config_static_selectorELNS0_4arch9wavefront6targetE1EEEvT1_ ; -- Begin function _ZN7rocprim17ROCPRIM_400000_NS6detail17trampoline_kernelINS0_14default_configENS1_25partition_config_selectorILNS1_17partition_subalgoE0EiNS0_10empty_typeEbEEZZNS1_14partition_implILS5_0ELb0ES3_jN6thrust23THRUST_200600_302600_NS6detail15normal_iteratorINSA_10device_ptrIiEEEEPS6_SG_NS0_5tupleIJNSA_16discard_iteratorINSA_11use_defaultEEESF_EEENSH_IJSG_SG_EEES6_PlJ7is_evenIiEEEE10hipError_tPvRmT3_T4_T5_T6_T7_T9_mT8_P12ihipStream_tbDpT10_ENKUlT_T0_E_clISt17integral_constantIbLb0EES19_EEDaS14_S15_EUlS14_E_NS1_11comp_targetILNS1_3genE9ELNS1_11target_archE1100ELNS1_3gpuE3ELNS1_3repE0EEENS1_30default_config_static_selectorELNS0_4arch9wavefront6targetE1EEEvT1_
	.globl	_ZN7rocprim17ROCPRIM_400000_NS6detail17trampoline_kernelINS0_14default_configENS1_25partition_config_selectorILNS1_17partition_subalgoE0EiNS0_10empty_typeEbEEZZNS1_14partition_implILS5_0ELb0ES3_jN6thrust23THRUST_200600_302600_NS6detail15normal_iteratorINSA_10device_ptrIiEEEEPS6_SG_NS0_5tupleIJNSA_16discard_iteratorINSA_11use_defaultEEESF_EEENSH_IJSG_SG_EEES6_PlJ7is_evenIiEEEE10hipError_tPvRmT3_T4_T5_T6_T7_T9_mT8_P12ihipStream_tbDpT10_ENKUlT_T0_E_clISt17integral_constantIbLb0EES19_EEDaS14_S15_EUlS14_E_NS1_11comp_targetILNS1_3genE9ELNS1_11target_archE1100ELNS1_3gpuE3ELNS1_3repE0EEENS1_30default_config_static_selectorELNS0_4arch9wavefront6targetE1EEEvT1_
	.p2align	8
	.type	_ZN7rocprim17ROCPRIM_400000_NS6detail17trampoline_kernelINS0_14default_configENS1_25partition_config_selectorILNS1_17partition_subalgoE0EiNS0_10empty_typeEbEEZZNS1_14partition_implILS5_0ELb0ES3_jN6thrust23THRUST_200600_302600_NS6detail15normal_iteratorINSA_10device_ptrIiEEEEPS6_SG_NS0_5tupleIJNSA_16discard_iteratorINSA_11use_defaultEEESF_EEENSH_IJSG_SG_EEES6_PlJ7is_evenIiEEEE10hipError_tPvRmT3_T4_T5_T6_T7_T9_mT8_P12ihipStream_tbDpT10_ENKUlT_T0_E_clISt17integral_constantIbLb0EES19_EEDaS14_S15_EUlS14_E_NS1_11comp_targetILNS1_3genE9ELNS1_11target_archE1100ELNS1_3gpuE3ELNS1_3repE0EEENS1_30default_config_static_selectorELNS0_4arch9wavefront6targetE1EEEvT1_,@function
_ZN7rocprim17ROCPRIM_400000_NS6detail17trampoline_kernelINS0_14default_configENS1_25partition_config_selectorILNS1_17partition_subalgoE0EiNS0_10empty_typeEbEEZZNS1_14partition_implILS5_0ELb0ES3_jN6thrust23THRUST_200600_302600_NS6detail15normal_iteratorINSA_10device_ptrIiEEEEPS6_SG_NS0_5tupleIJNSA_16discard_iteratorINSA_11use_defaultEEESF_EEENSH_IJSG_SG_EEES6_PlJ7is_evenIiEEEE10hipError_tPvRmT3_T4_T5_T6_T7_T9_mT8_P12ihipStream_tbDpT10_ENKUlT_T0_E_clISt17integral_constantIbLb0EES19_EEDaS14_S15_EUlS14_E_NS1_11comp_targetILNS1_3genE9ELNS1_11target_archE1100ELNS1_3gpuE3ELNS1_3repE0EEENS1_30default_config_static_selectorELNS0_4arch9wavefront6targetE1EEEvT1_: ; @_ZN7rocprim17ROCPRIM_400000_NS6detail17trampoline_kernelINS0_14default_configENS1_25partition_config_selectorILNS1_17partition_subalgoE0EiNS0_10empty_typeEbEEZZNS1_14partition_implILS5_0ELb0ES3_jN6thrust23THRUST_200600_302600_NS6detail15normal_iteratorINSA_10device_ptrIiEEEEPS6_SG_NS0_5tupleIJNSA_16discard_iteratorINSA_11use_defaultEEESF_EEENSH_IJSG_SG_EEES6_PlJ7is_evenIiEEEE10hipError_tPvRmT3_T4_T5_T6_T7_T9_mT8_P12ihipStream_tbDpT10_ENKUlT_T0_E_clISt17integral_constantIbLb0EES19_EEDaS14_S15_EUlS14_E_NS1_11comp_targetILNS1_3genE9ELNS1_11target_archE1100ELNS1_3gpuE3ELNS1_3repE0EEENS1_30default_config_static_selectorELNS0_4arch9wavefront6targetE1EEEvT1_
; %bb.0:
	.section	.rodata,"a",@progbits
	.p2align	6, 0x0
	.amdhsa_kernel _ZN7rocprim17ROCPRIM_400000_NS6detail17trampoline_kernelINS0_14default_configENS1_25partition_config_selectorILNS1_17partition_subalgoE0EiNS0_10empty_typeEbEEZZNS1_14partition_implILS5_0ELb0ES3_jN6thrust23THRUST_200600_302600_NS6detail15normal_iteratorINSA_10device_ptrIiEEEEPS6_SG_NS0_5tupleIJNSA_16discard_iteratorINSA_11use_defaultEEESF_EEENSH_IJSG_SG_EEES6_PlJ7is_evenIiEEEE10hipError_tPvRmT3_T4_T5_T6_T7_T9_mT8_P12ihipStream_tbDpT10_ENKUlT_T0_E_clISt17integral_constantIbLb0EES19_EEDaS14_S15_EUlS14_E_NS1_11comp_targetILNS1_3genE9ELNS1_11target_archE1100ELNS1_3gpuE3ELNS1_3repE0EEENS1_30default_config_static_selectorELNS0_4arch9wavefront6targetE1EEEvT1_
		.amdhsa_group_segment_fixed_size 0
		.amdhsa_private_segment_fixed_size 0
		.amdhsa_kernarg_size 128
		.amdhsa_user_sgpr_count 6
		.amdhsa_user_sgpr_private_segment_buffer 1
		.amdhsa_user_sgpr_dispatch_ptr 0
		.amdhsa_user_sgpr_queue_ptr 0
		.amdhsa_user_sgpr_kernarg_segment_ptr 1
		.amdhsa_user_sgpr_dispatch_id 0
		.amdhsa_user_sgpr_flat_scratch_init 0
		.amdhsa_user_sgpr_kernarg_preload_length 0
		.amdhsa_user_sgpr_kernarg_preload_offset 0
		.amdhsa_user_sgpr_private_segment_size 0
		.amdhsa_uses_dynamic_stack 0
		.amdhsa_system_sgpr_private_segment_wavefront_offset 0
		.amdhsa_system_sgpr_workgroup_id_x 1
		.amdhsa_system_sgpr_workgroup_id_y 0
		.amdhsa_system_sgpr_workgroup_id_z 0
		.amdhsa_system_sgpr_workgroup_info 0
		.amdhsa_system_vgpr_workitem_id 0
		.amdhsa_next_free_vgpr 1
		.amdhsa_next_free_sgpr 0
		.amdhsa_accum_offset 4
		.amdhsa_reserve_vcc 0
		.amdhsa_reserve_flat_scratch 0
		.amdhsa_float_round_mode_32 0
		.amdhsa_float_round_mode_16_64 0
		.amdhsa_float_denorm_mode_32 3
		.amdhsa_float_denorm_mode_16_64 3
		.amdhsa_dx10_clamp 1
		.amdhsa_ieee_mode 1
		.amdhsa_fp16_overflow 0
		.amdhsa_tg_split 0
		.amdhsa_exception_fp_ieee_invalid_op 0
		.amdhsa_exception_fp_denorm_src 0
		.amdhsa_exception_fp_ieee_div_zero 0
		.amdhsa_exception_fp_ieee_overflow 0
		.amdhsa_exception_fp_ieee_underflow 0
		.amdhsa_exception_fp_ieee_inexact 0
		.amdhsa_exception_int_div_zero 0
	.end_amdhsa_kernel
	.section	.text._ZN7rocprim17ROCPRIM_400000_NS6detail17trampoline_kernelINS0_14default_configENS1_25partition_config_selectorILNS1_17partition_subalgoE0EiNS0_10empty_typeEbEEZZNS1_14partition_implILS5_0ELb0ES3_jN6thrust23THRUST_200600_302600_NS6detail15normal_iteratorINSA_10device_ptrIiEEEEPS6_SG_NS0_5tupleIJNSA_16discard_iteratorINSA_11use_defaultEEESF_EEENSH_IJSG_SG_EEES6_PlJ7is_evenIiEEEE10hipError_tPvRmT3_T4_T5_T6_T7_T9_mT8_P12ihipStream_tbDpT10_ENKUlT_T0_E_clISt17integral_constantIbLb0EES19_EEDaS14_S15_EUlS14_E_NS1_11comp_targetILNS1_3genE9ELNS1_11target_archE1100ELNS1_3gpuE3ELNS1_3repE0EEENS1_30default_config_static_selectorELNS0_4arch9wavefront6targetE1EEEvT1_,"axG",@progbits,_ZN7rocprim17ROCPRIM_400000_NS6detail17trampoline_kernelINS0_14default_configENS1_25partition_config_selectorILNS1_17partition_subalgoE0EiNS0_10empty_typeEbEEZZNS1_14partition_implILS5_0ELb0ES3_jN6thrust23THRUST_200600_302600_NS6detail15normal_iteratorINSA_10device_ptrIiEEEEPS6_SG_NS0_5tupleIJNSA_16discard_iteratorINSA_11use_defaultEEESF_EEENSH_IJSG_SG_EEES6_PlJ7is_evenIiEEEE10hipError_tPvRmT3_T4_T5_T6_T7_T9_mT8_P12ihipStream_tbDpT10_ENKUlT_T0_E_clISt17integral_constantIbLb0EES19_EEDaS14_S15_EUlS14_E_NS1_11comp_targetILNS1_3genE9ELNS1_11target_archE1100ELNS1_3gpuE3ELNS1_3repE0EEENS1_30default_config_static_selectorELNS0_4arch9wavefront6targetE1EEEvT1_,comdat
.Lfunc_end2753:
	.size	_ZN7rocprim17ROCPRIM_400000_NS6detail17trampoline_kernelINS0_14default_configENS1_25partition_config_selectorILNS1_17partition_subalgoE0EiNS0_10empty_typeEbEEZZNS1_14partition_implILS5_0ELb0ES3_jN6thrust23THRUST_200600_302600_NS6detail15normal_iteratorINSA_10device_ptrIiEEEEPS6_SG_NS0_5tupleIJNSA_16discard_iteratorINSA_11use_defaultEEESF_EEENSH_IJSG_SG_EEES6_PlJ7is_evenIiEEEE10hipError_tPvRmT3_T4_T5_T6_T7_T9_mT8_P12ihipStream_tbDpT10_ENKUlT_T0_E_clISt17integral_constantIbLb0EES19_EEDaS14_S15_EUlS14_E_NS1_11comp_targetILNS1_3genE9ELNS1_11target_archE1100ELNS1_3gpuE3ELNS1_3repE0EEENS1_30default_config_static_selectorELNS0_4arch9wavefront6targetE1EEEvT1_, .Lfunc_end2753-_ZN7rocprim17ROCPRIM_400000_NS6detail17trampoline_kernelINS0_14default_configENS1_25partition_config_selectorILNS1_17partition_subalgoE0EiNS0_10empty_typeEbEEZZNS1_14partition_implILS5_0ELb0ES3_jN6thrust23THRUST_200600_302600_NS6detail15normal_iteratorINSA_10device_ptrIiEEEEPS6_SG_NS0_5tupleIJNSA_16discard_iteratorINSA_11use_defaultEEESF_EEENSH_IJSG_SG_EEES6_PlJ7is_evenIiEEEE10hipError_tPvRmT3_T4_T5_T6_T7_T9_mT8_P12ihipStream_tbDpT10_ENKUlT_T0_E_clISt17integral_constantIbLb0EES19_EEDaS14_S15_EUlS14_E_NS1_11comp_targetILNS1_3genE9ELNS1_11target_archE1100ELNS1_3gpuE3ELNS1_3repE0EEENS1_30default_config_static_selectorELNS0_4arch9wavefront6targetE1EEEvT1_
                                        ; -- End function
	.section	.AMDGPU.csdata,"",@progbits
; Kernel info:
; codeLenInByte = 0
; NumSgprs: 4
; NumVgprs: 0
; NumAgprs: 0
; TotalNumVgprs: 0
; ScratchSize: 0
; MemoryBound: 0
; FloatMode: 240
; IeeeMode: 1
; LDSByteSize: 0 bytes/workgroup (compile time only)
; SGPRBlocks: 0
; VGPRBlocks: 0
; NumSGPRsForWavesPerEU: 4
; NumVGPRsForWavesPerEU: 1
; AccumOffset: 4
; Occupancy: 8
; WaveLimiterHint : 0
; COMPUTE_PGM_RSRC2:SCRATCH_EN: 0
; COMPUTE_PGM_RSRC2:USER_SGPR: 6
; COMPUTE_PGM_RSRC2:TRAP_HANDLER: 0
; COMPUTE_PGM_RSRC2:TGID_X_EN: 1
; COMPUTE_PGM_RSRC2:TGID_Y_EN: 0
; COMPUTE_PGM_RSRC2:TGID_Z_EN: 0
; COMPUTE_PGM_RSRC2:TIDIG_COMP_CNT: 0
; COMPUTE_PGM_RSRC3_GFX90A:ACCUM_OFFSET: 0
; COMPUTE_PGM_RSRC3_GFX90A:TG_SPLIT: 0
	.section	.text._ZN7rocprim17ROCPRIM_400000_NS6detail17trampoline_kernelINS0_14default_configENS1_25partition_config_selectorILNS1_17partition_subalgoE0EiNS0_10empty_typeEbEEZZNS1_14partition_implILS5_0ELb0ES3_jN6thrust23THRUST_200600_302600_NS6detail15normal_iteratorINSA_10device_ptrIiEEEEPS6_SG_NS0_5tupleIJNSA_16discard_iteratorINSA_11use_defaultEEESF_EEENSH_IJSG_SG_EEES6_PlJ7is_evenIiEEEE10hipError_tPvRmT3_T4_T5_T6_T7_T9_mT8_P12ihipStream_tbDpT10_ENKUlT_T0_E_clISt17integral_constantIbLb0EES19_EEDaS14_S15_EUlS14_E_NS1_11comp_targetILNS1_3genE8ELNS1_11target_archE1030ELNS1_3gpuE2ELNS1_3repE0EEENS1_30default_config_static_selectorELNS0_4arch9wavefront6targetE1EEEvT1_,"axG",@progbits,_ZN7rocprim17ROCPRIM_400000_NS6detail17trampoline_kernelINS0_14default_configENS1_25partition_config_selectorILNS1_17partition_subalgoE0EiNS0_10empty_typeEbEEZZNS1_14partition_implILS5_0ELb0ES3_jN6thrust23THRUST_200600_302600_NS6detail15normal_iteratorINSA_10device_ptrIiEEEEPS6_SG_NS0_5tupleIJNSA_16discard_iteratorINSA_11use_defaultEEESF_EEENSH_IJSG_SG_EEES6_PlJ7is_evenIiEEEE10hipError_tPvRmT3_T4_T5_T6_T7_T9_mT8_P12ihipStream_tbDpT10_ENKUlT_T0_E_clISt17integral_constantIbLb0EES19_EEDaS14_S15_EUlS14_E_NS1_11comp_targetILNS1_3genE8ELNS1_11target_archE1030ELNS1_3gpuE2ELNS1_3repE0EEENS1_30default_config_static_selectorELNS0_4arch9wavefront6targetE1EEEvT1_,comdat
	.protected	_ZN7rocprim17ROCPRIM_400000_NS6detail17trampoline_kernelINS0_14default_configENS1_25partition_config_selectorILNS1_17partition_subalgoE0EiNS0_10empty_typeEbEEZZNS1_14partition_implILS5_0ELb0ES3_jN6thrust23THRUST_200600_302600_NS6detail15normal_iteratorINSA_10device_ptrIiEEEEPS6_SG_NS0_5tupleIJNSA_16discard_iteratorINSA_11use_defaultEEESF_EEENSH_IJSG_SG_EEES6_PlJ7is_evenIiEEEE10hipError_tPvRmT3_T4_T5_T6_T7_T9_mT8_P12ihipStream_tbDpT10_ENKUlT_T0_E_clISt17integral_constantIbLb0EES19_EEDaS14_S15_EUlS14_E_NS1_11comp_targetILNS1_3genE8ELNS1_11target_archE1030ELNS1_3gpuE2ELNS1_3repE0EEENS1_30default_config_static_selectorELNS0_4arch9wavefront6targetE1EEEvT1_ ; -- Begin function _ZN7rocprim17ROCPRIM_400000_NS6detail17trampoline_kernelINS0_14default_configENS1_25partition_config_selectorILNS1_17partition_subalgoE0EiNS0_10empty_typeEbEEZZNS1_14partition_implILS5_0ELb0ES3_jN6thrust23THRUST_200600_302600_NS6detail15normal_iteratorINSA_10device_ptrIiEEEEPS6_SG_NS0_5tupleIJNSA_16discard_iteratorINSA_11use_defaultEEESF_EEENSH_IJSG_SG_EEES6_PlJ7is_evenIiEEEE10hipError_tPvRmT3_T4_T5_T6_T7_T9_mT8_P12ihipStream_tbDpT10_ENKUlT_T0_E_clISt17integral_constantIbLb0EES19_EEDaS14_S15_EUlS14_E_NS1_11comp_targetILNS1_3genE8ELNS1_11target_archE1030ELNS1_3gpuE2ELNS1_3repE0EEENS1_30default_config_static_selectorELNS0_4arch9wavefront6targetE1EEEvT1_
	.globl	_ZN7rocprim17ROCPRIM_400000_NS6detail17trampoline_kernelINS0_14default_configENS1_25partition_config_selectorILNS1_17partition_subalgoE0EiNS0_10empty_typeEbEEZZNS1_14partition_implILS5_0ELb0ES3_jN6thrust23THRUST_200600_302600_NS6detail15normal_iteratorINSA_10device_ptrIiEEEEPS6_SG_NS0_5tupleIJNSA_16discard_iteratorINSA_11use_defaultEEESF_EEENSH_IJSG_SG_EEES6_PlJ7is_evenIiEEEE10hipError_tPvRmT3_T4_T5_T6_T7_T9_mT8_P12ihipStream_tbDpT10_ENKUlT_T0_E_clISt17integral_constantIbLb0EES19_EEDaS14_S15_EUlS14_E_NS1_11comp_targetILNS1_3genE8ELNS1_11target_archE1030ELNS1_3gpuE2ELNS1_3repE0EEENS1_30default_config_static_selectorELNS0_4arch9wavefront6targetE1EEEvT1_
	.p2align	8
	.type	_ZN7rocprim17ROCPRIM_400000_NS6detail17trampoline_kernelINS0_14default_configENS1_25partition_config_selectorILNS1_17partition_subalgoE0EiNS0_10empty_typeEbEEZZNS1_14partition_implILS5_0ELb0ES3_jN6thrust23THRUST_200600_302600_NS6detail15normal_iteratorINSA_10device_ptrIiEEEEPS6_SG_NS0_5tupleIJNSA_16discard_iteratorINSA_11use_defaultEEESF_EEENSH_IJSG_SG_EEES6_PlJ7is_evenIiEEEE10hipError_tPvRmT3_T4_T5_T6_T7_T9_mT8_P12ihipStream_tbDpT10_ENKUlT_T0_E_clISt17integral_constantIbLb0EES19_EEDaS14_S15_EUlS14_E_NS1_11comp_targetILNS1_3genE8ELNS1_11target_archE1030ELNS1_3gpuE2ELNS1_3repE0EEENS1_30default_config_static_selectorELNS0_4arch9wavefront6targetE1EEEvT1_,@function
_ZN7rocprim17ROCPRIM_400000_NS6detail17trampoline_kernelINS0_14default_configENS1_25partition_config_selectorILNS1_17partition_subalgoE0EiNS0_10empty_typeEbEEZZNS1_14partition_implILS5_0ELb0ES3_jN6thrust23THRUST_200600_302600_NS6detail15normal_iteratorINSA_10device_ptrIiEEEEPS6_SG_NS0_5tupleIJNSA_16discard_iteratorINSA_11use_defaultEEESF_EEENSH_IJSG_SG_EEES6_PlJ7is_evenIiEEEE10hipError_tPvRmT3_T4_T5_T6_T7_T9_mT8_P12ihipStream_tbDpT10_ENKUlT_T0_E_clISt17integral_constantIbLb0EES19_EEDaS14_S15_EUlS14_E_NS1_11comp_targetILNS1_3genE8ELNS1_11target_archE1030ELNS1_3gpuE2ELNS1_3repE0EEENS1_30default_config_static_selectorELNS0_4arch9wavefront6targetE1EEEvT1_: ; @_ZN7rocprim17ROCPRIM_400000_NS6detail17trampoline_kernelINS0_14default_configENS1_25partition_config_selectorILNS1_17partition_subalgoE0EiNS0_10empty_typeEbEEZZNS1_14partition_implILS5_0ELb0ES3_jN6thrust23THRUST_200600_302600_NS6detail15normal_iteratorINSA_10device_ptrIiEEEEPS6_SG_NS0_5tupleIJNSA_16discard_iteratorINSA_11use_defaultEEESF_EEENSH_IJSG_SG_EEES6_PlJ7is_evenIiEEEE10hipError_tPvRmT3_T4_T5_T6_T7_T9_mT8_P12ihipStream_tbDpT10_ENKUlT_T0_E_clISt17integral_constantIbLb0EES19_EEDaS14_S15_EUlS14_E_NS1_11comp_targetILNS1_3genE8ELNS1_11target_archE1030ELNS1_3gpuE2ELNS1_3repE0EEENS1_30default_config_static_selectorELNS0_4arch9wavefront6targetE1EEEvT1_
; %bb.0:
	.section	.rodata,"a",@progbits
	.p2align	6, 0x0
	.amdhsa_kernel _ZN7rocprim17ROCPRIM_400000_NS6detail17trampoline_kernelINS0_14default_configENS1_25partition_config_selectorILNS1_17partition_subalgoE0EiNS0_10empty_typeEbEEZZNS1_14partition_implILS5_0ELb0ES3_jN6thrust23THRUST_200600_302600_NS6detail15normal_iteratorINSA_10device_ptrIiEEEEPS6_SG_NS0_5tupleIJNSA_16discard_iteratorINSA_11use_defaultEEESF_EEENSH_IJSG_SG_EEES6_PlJ7is_evenIiEEEE10hipError_tPvRmT3_T4_T5_T6_T7_T9_mT8_P12ihipStream_tbDpT10_ENKUlT_T0_E_clISt17integral_constantIbLb0EES19_EEDaS14_S15_EUlS14_E_NS1_11comp_targetILNS1_3genE8ELNS1_11target_archE1030ELNS1_3gpuE2ELNS1_3repE0EEENS1_30default_config_static_selectorELNS0_4arch9wavefront6targetE1EEEvT1_
		.amdhsa_group_segment_fixed_size 0
		.amdhsa_private_segment_fixed_size 0
		.amdhsa_kernarg_size 128
		.amdhsa_user_sgpr_count 6
		.amdhsa_user_sgpr_private_segment_buffer 1
		.amdhsa_user_sgpr_dispatch_ptr 0
		.amdhsa_user_sgpr_queue_ptr 0
		.amdhsa_user_sgpr_kernarg_segment_ptr 1
		.amdhsa_user_sgpr_dispatch_id 0
		.amdhsa_user_sgpr_flat_scratch_init 0
		.amdhsa_user_sgpr_kernarg_preload_length 0
		.amdhsa_user_sgpr_kernarg_preload_offset 0
		.amdhsa_user_sgpr_private_segment_size 0
		.amdhsa_uses_dynamic_stack 0
		.amdhsa_system_sgpr_private_segment_wavefront_offset 0
		.amdhsa_system_sgpr_workgroup_id_x 1
		.amdhsa_system_sgpr_workgroup_id_y 0
		.amdhsa_system_sgpr_workgroup_id_z 0
		.amdhsa_system_sgpr_workgroup_info 0
		.amdhsa_system_vgpr_workitem_id 0
		.amdhsa_next_free_vgpr 1
		.amdhsa_next_free_sgpr 0
		.amdhsa_accum_offset 4
		.amdhsa_reserve_vcc 0
		.amdhsa_reserve_flat_scratch 0
		.amdhsa_float_round_mode_32 0
		.amdhsa_float_round_mode_16_64 0
		.amdhsa_float_denorm_mode_32 3
		.amdhsa_float_denorm_mode_16_64 3
		.amdhsa_dx10_clamp 1
		.amdhsa_ieee_mode 1
		.amdhsa_fp16_overflow 0
		.amdhsa_tg_split 0
		.amdhsa_exception_fp_ieee_invalid_op 0
		.amdhsa_exception_fp_denorm_src 0
		.amdhsa_exception_fp_ieee_div_zero 0
		.amdhsa_exception_fp_ieee_overflow 0
		.amdhsa_exception_fp_ieee_underflow 0
		.amdhsa_exception_fp_ieee_inexact 0
		.amdhsa_exception_int_div_zero 0
	.end_amdhsa_kernel
	.section	.text._ZN7rocprim17ROCPRIM_400000_NS6detail17trampoline_kernelINS0_14default_configENS1_25partition_config_selectorILNS1_17partition_subalgoE0EiNS0_10empty_typeEbEEZZNS1_14partition_implILS5_0ELb0ES3_jN6thrust23THRUST_200600_302600_NS6detail15normal_iteratorINSA_10device_ptrIiEEEEPS6_SG_NS0_5tupleIJNSA_16discard_iteratorINSA_11use_defaultEEESF_EEENSH_IJSG_SG_EEES6_PlJ7is_evenIiEEEE10hipError_tPvRmT3_T4_T5_T6_T7_T9_mT8_P12ihipStream_tbDpT10_ENKUlT_T0_E_clISt17integral_constantIbLb0EES19_EEDaS14_S15_EUlS14_E_NS1_11comp_targetILNS1_3genE8ELNS1_11target_archE1030ELNS1_3gpuE2ELNS1_3repE0EEENS1_30default_config_static_selectorELNS0_4arch9wavefront6targetE1EEEvT1_,"axG",@progbits,_ZN7rocprim17ROCPRIM_400000_NS6detail17trampoline_kernelINS0_14default_configENS1_25partition_config_selectorILNS1_17partition_subalgoE0EiNS0_10empty_typeEbEEZZNS1_14partition_implILS5_0ELb0ES3_jN6thrust23THRUST_200600_302600_NS6detail15normal_iteratorINSA_10device_ptrIiEEEEPS6_SG_NS0_5tupleIJNSA_16discard_iteratorINSA_11use_defaultEEESF_EEENSH_IJSG_SG_EEES6_PlJ7is_evenIiEEEE10hipError_tPvRmT3_T4_T5_T6_T7_T9_mT8_P12ihipStream_tbDpT10_ENKUlT_T0_E_clISt17integral_constantIbLb0EES19_EEDaS14_S15_EUlS14_E_NS1_11comp_targetILNS1_3genE8ELNS1_11target_archE1030ELNS1_3gpuE2ELNS1_3repE0EEENS1_30default_config_static_selectorELNS0_4arch9wavefront6targetE1EEEvT1_,comdat
.Lfunc_end2754:
	.size	_ZN7rocprim17ROCPRIM_400000_NS6detail17trampoline_kernelINS0_14default_configENS1_25partition_config_selectorILNS1_17partition_subalgoE0EiNS0_10empty_typeEbEEZZNS1_14partition_implILS5_0ELb0ES3_jN6thrust23THRUST_200600_302600_NS6detail15normal_iteratorINSA_10device_ptrIiEEEEPS6_SG_NS0_5tupleIJNSA_16discard_iteratorINSA_11use_defaultEEESF_EEENSH_IJSG_SG_EEES6_PlJ7is_evenIiEEEE10hipError_tPvRmT3_T4_T5_T6_T7_T9_mT8_P12ihipStream_tbDpT10_ENKUlT_T0_E_clISt17integral_constantIbLb0EES19_EEDaS14_S15_EUlS14_E_NS1_11comp_targetILNS1_3genE8ELNS1_11target_archE1030ELNS1_3gpuE2ELNS1_3repE0EEENS1_30default_config_static_selectorELNS0_4arch9wavefront6targetE1EEEvT1_, .Lfunc_end2754-_ZN7rocprim17ROCPRIM_400000_NS6detail17trampoline_kernelINS0_14default_configENS1_25partition_config_selectorILNS1_17partition_subalgoE0EiNS0_10empty_typeEbEEZZNS1_14partition_implILS5_0ELb0ES3_jN6thrust23THRUST_200600_302600_NS6detail15normal_iteratorINSA_10device_ptrIiEEEEPS6_SG_NS0_5tupleIJNSA_16discard_iteratorINSA_11use_defaultEEESF_EEENSH_IJSG_SG_EEES6_PlJ7is_evenIiEEEE10hipError_tPvRmT3_T4_T5_T6_T7_T9_mT8_P12ihipStream_tbDpT10_ENKUlT_T0_E_clISt17integral_constantIbLb0EES19_EEDaS14_S15_EUlS14_E_NS1_11comp_targetILNS1_3genE8ELNS1_11target_archE1030ELNS1_3gpuE2ELNS1_3repE0EEENS1_30default_config_static_selectorELNS0_4arch9wavefront6targetE1EEEvT1_
                                        ; -- End function
	.section	.AMDGPU.csdata,"",@progbits
; Kernel info:
; codeLenInByte = 0
; NumSgprs: 4
; NumVgprs: 0
; NumAgprs: 0
; TotalNumVgprs: 0
; ScratchSize: 0
; MemoryBound: 0
; FloatMode: 240
; IeeeMode: 1
; LDSByteSize: 0 bytes/workgroup (compile time only)
; SGPRBlocks: 0
; VGPRBlocks: 0
; NumSGPRsForWavesPerEU: 4
; NumVGPRsForWavesPerEU: 1
; AccumOffset: 4
; Occupancy: 8
; WaveLimiterHint : 0
; COMPUTE_PGM_RSRC2:SCRATCH_EN: 0
; COMPUTE_PGM_RSRC2:USER_SGPR: 6
; COMPUTE_PGM_RSRC2:TRAP_HANDLER: 0
; COMPUTE_PGM_RSRC2:TGID_X_EN: 1
; COMPUTE_PGM_RSRC2:TGID_Y_EN: 0
; COMPUTE_PGM_RSRC2:TGID_Z_EN: 0
; COMPUTE_PGM_RSRC2:TIDIG_COMP_CNT: 0
; COMPUTE_PGM_RSRC3_GFX90A:ACCUM_OFFSET: 0
; COMPUTE_PGM_RSRC3_GFX90A:TG_SPLIT: 0
	.section	.text._ZN7rocprim17ROCPRIM_400000_NS6detail17trampoline_kernelINS0_14default_configENS1_25partition_config_selectorILNS1_17partition_subalgoE0EiNS0_10empty_typeEbEEZZNS1_14partition_implILS5_0ELb0ES3_jN6thrust23THRUST_200600_302600_NS6detail15normal_iteratorINSA_10device_ptrIiEEEEPS6_SG_NS0_5tupleIJNSA_16discard_iteratorINSA_11use_defaultEEESF_EEENSH_IJSG_SG_EEES6_PlJ7is_evenIiEEEE10hipError_tPvRmT3_T4_T5_T6_T7_T9_mT8_P12ihipStream_tbDpT10_ENKUlT_T0_E_clISt17integral_constantIbLb1EES19_EEDaS14_S15_EUlS14_E_NS1_11comp_targetILNS1_3genE0ELNS1_11target_archE4294967295ELNS1_3gpuE0ELNS1_3repE0EEENS1_30default_config_static_selectorELNS0_4arch9wavefront6targetE1EEEvT1_,"axG",@progbits,_ZN7rocprim17ROCPRIM_400000_NS6detail17trampoline_kernelINS0_14default_configENS1_25partition_config_selectorILNS1_17partition_subalgoE0EiNS0_10empty_typeEbEEZZNS1_14partition_implILS5_0ELb0ES3_jN6thrust23THRUST_200600_302600_NS6detail15normal_iteratorINSA_10device_ptrIiEEEEPS6_SG_NS0_5tupleIJNSA_16discard_iteratorINSA_11use_defaultEEESF_EEENSH_IJSG_SG_EEES6_PlJ7is_evenIiEEEE10hipError_tPvRmT3_T4_T5_T6_T7_T9_mT8_P12ihipStream_tbDpT10_ENKUlT_T0_E_clISt17integral_constantIbLb1EES19_EEDaS14_S15_EUlS14_E_NS1_11comp_targetILNS1_3genE0ELNS1_11target_archE4294967295ELNS1_3gpuE0ELNS1_3repE0EEENS1_30default_config_static_selectorELNS0_4arch9wavefront6targetE1EEEvT1_,comdat
	.protected	_ZN7rocprim17ROCPRIM_400000_NS6detail17trampoline_kernelINS0_14default_configENS1_25partition_config_selectorILNS1_17partition_subalgoE0EiNS0_10empty_typeEbEEZZNS1_14partition_implILS5_0ELb0ES3_jN6thrust23THRUST_200600_302600_NS6detail15normal_iteratorINSA_10device_ptrIiEEEEPS6_SG_NS0_5tupleIJNSA_16discard_iteratorINSA_11use_defaultEEESF_EEENSH_IJSG_SG_EEES6_PlJ7is_evenIiEEEE10hipError_tPvRmT3_T4_T5_T6_T7_T9_mT8_P12ihipStream_tbDpT10_ENKUlT_T0_E_clISt17integral_constantIbLb1EES19_EEDaS14_S15_EUlS14_E_NS1_11comp_targetILNS1_3genE0ELNS1_11target_archE4294967295ELNS1_3gpuE0ELNS1_3repE0EEENS1_30default_config_static_selectorELNS0_4arch9wavefront6targetE1EEEvT1_ ; -- Begin function _ZN7rocprim17ROCPRIM_400000_NS6detail17trampoline_kernelINS0_14default_configENS1_25partition_config_selectorILNS1_17partition_subalgoE0EiNS0_10empty_typeEbEEZZNS1_14partition_implILS5_0ELb0ES3_jN6thrust23THRUST_200600_302600_NS6detail15normal_iteratorINSA_10device_ptrIiEEEEPS6_SG_NS0_5tupleIJNSA_16discard_iteratorINSA_11use_defaultEEESF_EEENSH_IJSG_SG_EEES6_PlJ7is_evenIiEEEE10hipError_tPvRmT3_T4_T5_T6_T7_T9_mT8_P12ihipStream_tbDpT10_ENKUlT_T0_E_clISt17integral_constantIbLb1EES19_EEDaS14_S15_EUlS14_E_NS1_11comp_targetILNS1_3genE0ELNS1_11target_archE4294967295ELNS1_3gpuE0ELNS1_3repE0EEENS1_30default_config_static_selectorELNS0_4arch9wavefront6targetE1EEEvT1_
	.globl	_ZN7rocprim17ROCPRIM_400000_NS6detail17trampoline_kernelINS0_14default_configENS1_25partition_config_selectorILNS1_17partition_subalgoE0EiNS0_10empty_typeEbEEZZNS1_14partition_implILS5_0ELb0ES3_jN6thrust23THRUST_200600_302600_NS6detail15normal_iteratorINSA_10device_ptrIiEEEEPS6_SG_NS0_5tupleIJNSA_16discard_iteratorINSA_11use_defaultEEESF_EEENSH_IJSG_SG_EEES6_PlJ7is_evenIiEEEE10hipError_tPvRmT3_T4_T5_T6_T7_T9_mT8_P12ihipStream_tbDpT10_ENKUlT_T0_E_clISt17integral_constantIbLb1EES19_EEDaS14_S15_EUlS14_E_NS1_11comp_targetILNS1_3genE0ELNS1_11target_archE4294967295ELNS1_3gpuE0ELNS1_3repE0EEENS1_30default_config_static_selectorELNS0_4arch9wavefront6targetE1EEEvT1_
	.p2align	8
	.type	_ZN7rocprim17ROCPRIM_400000_NS6detail17trampoline_kernelINS0_14default_configENS1_25partition_config_selectorILNS1_17partition_subalgoE0EiNS0_10empty_typeEbEEZZNS1_14partition_implILS5_0ELb0ES3_jN6thrust23THRUST_200600_302600_NS6detail15normal_iteratorINSA_10device_ptrIiEEEEPS6_SG_NS0_5tupleIJNSA_16discard_iteratorINSA_11use_defaultEEESF_EEENSH_IJSG_SG_EEES6_PlJ7is_evenIiEEEE10hipError_tPvRmT3_T4_T5_T6_T7_T9_mT8_P12ihipStream_tbDpT10_ENKUlT_T0_E_clISt17integral_constantIbLb1EES19_EEDaS14_S15_EUlS14_E_NS1_11comp_targetILNS1_3genE0ELNS1_11target_archE4294967295ELNS1_3gpuE0ELNS1_3repE0EEENS1_30default_config_static_selectorELNS0_4arch9wavefront6targetE1EEEvT1_,@function
_ZN7rocprim17ROCPRIM_400000_NS6detail17trampoline_kernelINS0_14default_configENS1_25partition_config_selectorILNS1_17partition_subalgoE0EiNS0_10empty_typeEbEEZZNS1_14partition_implILS5_0ELb0ES3_jN6thrust23THRUST_200600_302600_NS6detail15normal_iteratorINSA_10device_ptrIiEEEEPS6_SG_NS0_5tupleIJNSA_16discard_iteratorINSA_11use_defaultEEESF_EEENSH_IJSG_SG_EEES6_PlJ7is_evenIiEEEE10hipError_tPvRmT3_T4_T5_T6_T7_T9_mT8_P12ihipStream_tbDpT10_ENKUlT_T0_E_clISt17integral_constantIbLb1EES19_EEDaS14_S15_EUlS14_E_NS1_11comp_targetILNS1_3genE0ELNS1_11target_archE4294967295ELNS1_3gpuE0ELNS1_3repE0EEENS1_30default_config_static_selectorELNS0_4arch9wavefront6targetE1EEEvT1_: ; @_ZN7rocprim17ROCPRIM_400000_NS6detail17trampoline_kernelINS0_14default_configENS1_25partition_config_selectorILNS1_17partition_subalgoE0EiNS0_10empty_typeEbEEZZNS1_14partition_implILS5_0ELb0ES3_jN6thrust23THRUST_200600_302600_NS6detail15normal_iteratorINSA_10device_ptrIiEEEEPS6_SG_NS0_5tupleIJNSA_16discard_iteratorINSA_11use_defaultEEESF_EEENSH_IJSG_SG_EEES6_PlJ7is_evenIiEEEE10hipError_tPvRmT3_T4_T5_T6_T7_T9_mT8_P12ihipStream_tbDpT10_ENKUlT_T0_E_clISt17integral_constantIbLb1EES19_EEDaS14_S15_EUlS14_E_NS1_11comp_targetILNS1_3genE0ELNS1_11target_archE4294967295ELNS1_3gpuE0ELNS1_3repE0EEENS1_30default_config_static_selectorELNS0_4arch9wavefront6targetE1EEEvT1_
; %bb.0:
	.section	.rodata,"a",@progbits
	.p2align	6, 0x0
	.amdhsa_kernel _ZN7rocprim17ROCPRIM_400000_NS6detail17trampoline_kernelINS0_14default_configENS1_25partition_config_selectorILNS1_17partition_subalgoE0EiNS0_10empty_typeEbEEZZNS1_14partition_implILS5_0ELb0ES3_jN6thrust23THRUST_200600_302600_NS6detail15normal_iteratorINSA_10device_ptrIiEEEEPS6_SG_NS0_5tupleIJNSA_16discard_iteratorINSA_11use_defaultEEESF_EEENSH_IJSG_SG_EEES6_PlJ7is_evenIiEEEE10hipError_tPvRmT3_T4_T5_T6_T7_T9_mT8_P12ihipStream_tbDpT10_ENKUlT_T0_E_clISt17integral_constantIbLb1EES19_EEDaS14_S15_EUlS14_E_NS1_11comp_targetILNS1_3genE0ELNS1_11target_archE4294967295ELNS1_3gpuE0ELNS1_3repE0EEENS1_30default_config_static_selectorELNS0_4arch9wavefront6targetE1EEEvT1_
		.amdhsa_group_segment_fixed_size 0
		.amdhsa_private_segment_fixed_size 0
		.amdhsa_kernarg_size 144
		.amdhsa_user_sgpr_count 6
		.amdhsa_user_sgpr_private_segment_buffer 1
		.amdhsa_user_sgpr_dispatch_ptr 0
		.amdhsa_user_sgpr_queue_ptr 0
		.amdhsa_user_sgpr_kernarg_segment_ptr 1
		.amdhsa_user_sgpr_dispatch_id 0
		.amdhsa_user_sgpr_flat_scratch_init 0
		.amdhsa_user_sgpr_kernarg_preload_length 0
		.amdhsa_user_sgpr_kernarg_preload_offset 0
		.amdhsa_user_sgpr_private_segment_size 0
		.amdhsa_uses_dynamic_stack 0
		.amdhsa_system_sgpr_private_segment_wavefront_offset 0
		.amdhsa_system_sgpr_workgroup_id_x 1
		.amdhsa_system_sgpr_workgroup_id_y 0
		.amdhsa_system_sgpr_workgroup_id_z 0
		.amdhsa_system_sgpr_workgroup_info 0
		.amdhsa_system_vgpr_workitem_id 0
		.amdhsa_next_free_vgpr 1
		.amdhsa_next_free_sgpr 0
		.amdhsa_accum_offset 4
		.amdhsa_reserve_vcc 0
		.amdhsa_reserve_flat_scratch 0
		.amdhsa_float_round_mode_32 0
		.amdhsa_float_round_mode_16_64 0
		.amdhsa_float_denorm_mode_32 3
		.amdhsa_float_denorm_mode_16_64 3
		.amdhsa_dx10_clamp 1
		.amdhsa_ieee_mode 1
		.amdhsa_fp16_overflow 0
		.amdhsa_tg_split 0
		.amdhsa_exception_fp_ieee_invalid_op 0
		.amdhsa_exception_fp_denorm_src 0
		.amdhsa_exception_fp_ieee_div_zero 0
		.amdhsa_exception_fp_ieee_overflow 0
		.amdhsa_exception_fp_ieee_underflow 0
		.amdhsa_exception_fp_ieee_inexact 0
		.amdhsa_exception_int_div_zero 0
	.end_amdhsa_kernel
	.section	.text._ZN7rocprim17ROCPRIM_400000_NS6detail17trampoline_kernelINS0_14default_configENS1_25partition_config_selectorILNS1_17partition_subalgoE0EiNS0_10empty_typeEbEEZZNS1_14partition_implILS5_0ELb0ES3_jN6thrust23THRUST_200600_302600_NS6detail15normal_iteratorINSA_10device_ptrIiEEEEPS6_SG_NS0_5tupleIJNSA_16discard_iteratorINSA_11use_defaultEEESF_EEENSH_IJSG_SG_EEES6_PlJ7is_evenIiEEEE10hipError_tPvRmT3_T4_T5_T6_T7_T9_mT8_P12ihipStream_tbDpT10_ENKUlT_T0_E_clISt17integral_constantIbLb1EES19_EEDaS14_S15_EUlS14_E_NS1_11comp_targetILNS1_3genE0ELNS1_11target_archE4294967295ELNS1_3gpuE0ELNS1_3repE0EEENS1_30default_config_static_selectorELNS0_4arch9wavefront6targetE1EEEvT1_,"axG",@progbits,_ZN7rocprim17ROCPRIM_400000_NS6detail17trampoline_kernelINS0_14default_configENS1_25partition_config_selectorILNS1_17partition_subalgoE0EiNS0_10empty_typeEbEEZZNS1_14partition_implILS5_0ELb0ES3_jN6thrust23THRUST_200600_302600_NS6detail15normal_iteratorINSA_10device_ptrIiEEEEPS6_SG_NS0_5tupleIJNSA_16discard_iteratorINSA_11use_defaultEEESF_EEENSH_IJSG_SG_EEES6_PlJ7is_evenIiEEEE10hipError_tPvRmT3_T4_T5_T6_T7_T9_mT8_P12ihipStream_tbDpT10_ENKUlT_T0_E_clISt17integral_constantIbLb1EES19_EEDaS14_S15_EUlS14_E_NS1_11comp_targetILNS1_3genE0ELNS1_11target_archE4294967295ELNS1_3gpuE0ELNS1_3repE0EEENS1_30default_config_static_selectorELNS0_4arch9wavefront6targetE1EEEvT1_,comdat
.Lfunc_end2755:
	.size	_ZN7rocprim17ROCPRIM_400000_NS6detail17trampoline_kernelINS0_14default_configENS1_25partition_config_selectorILNS1_17partition_subalgoE0EiNS0_10empty_typeEbEEZZNS1_14partition_implILS5_0ELb0ES3_jN6thrust23THRUST_200600_302600_NS6detail15normal_iteratorINSA_10device_ptrIiEEEEPS6_SG_NS0_5tupleIJNSA_16discard_iteratorINSA_11use_defaultEEESF_EEENSH_IJSG_SG_EEES6_PlJ7is_evenIiEEEE10hipError_tPvRmT3_T4_T5_T6_T7_T9_mT8_P12ihipStream_tbDpT10_ENKUlT_T0_E_clISt17integral_constantIbLb1EES19_EEDaS14_S15_EUlS14_E_NS1_11comp_targetILNS1_3genE0ELNS1_11target_archE4294967295ELNS1_3gpuE0ELNS1_3repE0EEENS1_30default_config_static_selectorELNS0_4arch9wavefront6targetE1EEEvT1_, .Lfunc_end2755-_ZN7rocprim17ROCPRIM_400000_NS6detail17trampoline_kernelINS0_14default_configENS1_25partition_config_selectorILNS1_17partition_subalgoE0EiNS0_10empty_typeEbEEZZNS1_14partition_implILS5_0ELb0ES3_jN6thrust23THRUST_200600_302600_NS6detail15normal_iteratorINSA_10device_ptrIiEEEEPS6_SG_NS0_5tupleIJNSA_16discard_iteratorINSA_11use_defaultEEESF_EEENSH_IJSG_SG_EEES6_PlJ7is_evenIiEEEE10hipError_tPvRmT3_T4_T5_T6_T7_T9_mT8_P12ihipStream_tbDpT10_ENKUlT_T0_E_clISt17integral_constantIbLb1EES19_EEDaS14_S15_EUlS14_E_NS1_11comp_targetILNS1_3genE0ELNS1_11target_archE4294967295ELNS1_3gpuE0ELNS1_3repE0EEENS1_30default_config_static_selectorELNS0_4arch9wavefront6targetE1EEEvT1_
                                        ; -- End function
	.section	.AMDGPU.csdata,"",@progbits
; Kernel info:
; codeLenInByte = 0
; NumSgprs: 4
; NumVgprs: 0
; NumAgprs: 0
; TotalNumVgprs: 0
; ScratchSize: 0
; MemoryBound: 0
; FloatMode: 240
; IeeeMode: 1
; LDSByteSize: 0 bytes/workgroup (compile time only)
; SGPRBlocks: 0
; VGPRBlocks: 0
; NumSGPRsForWavesPerEU: 4
; NumVGPRsForWavesPerEU: 1
; AccumOffset: 4
; Occupancy: 8
; WaveLimiterHint : 0
; COMPUTE_PGM_RSRC2:SCRATCH_EN: 0
; COMPUTE_PGM_RSRC2:USER_SGPR: 6
; COMPUTE_PGM_RSRC2:TRAP_HANDLER: 0
; COMPUTE_PGM_RSRC2:TGID_X_EN: 1
; COMPUTE_PGM_RSRC2:TGID_Y_EN: 0
; COMPUTE_PGM_RSRC2:TGID_Z_EN: 0
; COMPUTE_PGM_RSRC2:TIDIG_COMP_CNT: 0
; COMPUTE_PGM_RSRC3_GFX90A:ACCUM_OFFSET: 0
; COMPUTE_PGM_RSRC3_GFX90A:TG_SPLIT: 0
	.section	.text._ZN7rocprim17ROCPRIM_400000_NS6detail17trampoline_kernelINS0_14default_configENS1_25partition_config_selectorILNS1_17partition_subalgoE0EiNS0_10empty_typeEbEEZZNS1_14partition_implILS5_0ELb0ES3_jN6thrust23THRUST_200600_302600_NS6detail15normal_iteratorINSA_10device_ptrIiEEEEPS6_SG_NS0_5tupleIJNSA_16discard_iteratorINSA_11use_defaultEEESF_EEENSH_IJSG_SG_EEES6_PlJ7is_evenIiEEEE10hipError_tPvRmT3_T4_T5_T6_T7_T9_mT8_P12ihipStream_tbDpT10_ENKUlT_T0_E_clISt17integral_constantIbLb1EES19_EEDaS14_S15_EUlS14_E_NS1_11comp_targetILNS1_3genE5ELNS1_11target_archE942ELNS1_3gpuE9ELNS1_3repE0EEENS1_30default_config_static_selectorELNS0_4arch9wavefront6targetE1EEEvT1_,"axG",@progbits,_ZN7rocprim17ROCPRIM_400000_NS6detail17trampoline_kernelINS0_14default_configENS1_25partition_config_selectorILNS1_17partition_subalgoE0EiNS0_10empty_typeEbEEZZNS1_14partition_implILS5_0ELb0ES3_jN6thrust23THRUST_200600_302600_NS6detail15normal_iteratorINSA_10device_ptrIiEEEEPS6_SG_NS0_5tupleIJNSA_16discard_iteratorINSA_11use_defaultEEESF_EEENSH_IJSG_SG_EEES6_PlJ7is_evenIiEEEE10hipError_tPvRmT3_T4_T5_T6_T7_T9_mT8_P12ihipStream_tbDpT10_ENKUlT_T0_E_clISt17integral_constantIbLb1EES19_EEDaS14_S15_EUlS14_E_NS1_11comp_targetILNS1_3genE5ELNS1_11target_archE942ELNS1_3gpuE9ELNS1_3repE0EEENS1_30default_config_static_selectorELNS0_4arch9wavefront6targetE1EEEvT1_,comdat
	.protected	_ZN7rocprim17ROCPRIM_400000_NS6detail17trampoline_kernelINS0_14default_configENS1_25partition_config_selectorILNS1_17partition_subalgoE0EiNS0_10empty_typeEbEEZZNS1_14partition_implILS5_0ELb0ES3_jN6thrust23THRUST_200600_302600_NS6detail15normal_iteratorINSA_10device_ptrIiEEEEPS6_SG_NS0_5tupleIJNSA_16discard_iteratorINSA_11use_defaultEEESF_EEENSH_IJSG_SG_EEES6_PlJ7is_evenIiEEEE10hipError_tPvRmT3_T4_T5_T6_T7_T9_mT8_P12ihipStream_tbDpT10_ENKUlT_T0_E_clISt17integral_constantIbLb1EES19_EEDaS14_S15_EUlS14_E_NS1_11comp_targetILNS1_3genE5ELNS1_11target_archE942ELNS1_3gpuE9ELNS1_3repE0EEENS1_30default_config_static_selectorELNS0_4arch9wavefront6targetE1EEEvT1_ ; -- Begin function _ZN7rocprim17ROCPRIM_400000_NS6detail17trampoline_kernelINS0_14default_configENS1_25partition_config_selectorILNS1_17partition_subalgoE0EiNS0_10empty_typeEbEEZZNS1_14partition_implILS5_0ELb0ES3_jN6thrust23THRUST_200600_302600_NS6detail15normal_iteratorINSA_10device_ptrIiEEEEPS6_SG_NS0_5tupleIJNSA_16discard_iteratorINSA_11use_defaultEEESF_EEENSH_IJSG_SG_EEES6_PlJ7is_evenIiEEEE10hipError_tPvRmT3_T4_T5_T6_T7_T9_mT8_P12ihipStream_tbDpT10_ENKUlT_T0_E_clISt17integral_constantIbLb1EES19_EEDaS14_S15_EUlS14_E_NS1_11comp_targetILNS1_3genE5ELNS1_11target_archE942ELNS1_3gpuE9ELNS1_3repE0EEENS1_30default_config_static_selectorELNS0_4arch9wavefront6targetE1EEEvT1_
	.globl	_ZN7rocprim17ROCPRIM_400000_NS6detail17trampoline_kernelINS0_14default_configENS1_25partition_config_selectorILNS1_17partition_subalgoE0EiNS0_10empty_typeEbEEZZNS1_14partition_implILS5_0ELb0ES3_jN6thrust23THRUST_200600_302600_NS6detail15normal_iteratorINSA_10device_ptrIiEEEEPS6_SG_NS0_5tupleIJNSA_16discard_iteratorINSA_11use_defaultEEESF_EEENSH_IJSG_SG_EEES6_PlJ7is_evenIiEEEE10hipError_tPvRmT3_T4_T5_T6_T7_T9_mT8_P12ihipStream_tbDpT10_ENKUlT_T0_E_clISt17integral_constantIbLb1EES19_EEDaS14_S15_EUlS14_E_NS1_11comp_targetILNS1_3genE5ELNS1_11target_archE942ELNS1_3gpuE9ELNS1_3repE0EEENS1_30default_config_static_selectorELNS0_4arch9wavefront6targetE1EEEvT1_
	.p2align	8
	.type	_ZN7rocprim17ROCPRIM_400000_NS6detail17trampoline_kernelINS0_14default_configENS1_25partition_config_selectorILNS1_17partition_subalgoE0EiNS0_10empty_typeEbEEZZNS1_14partition_implILS5_0ELb0ES3_jN6thrust23THRUST_200600_302600_NS6detail15normal_iteratorINSA_10device_ptrIiEEEEPS6_SG_NS0_5tupleIJNSA_16discard_iteratorINSA_11use_defaultEEESF_EEENSH_IJSG_SG_EEES6_PlJ7is_evenIiEEEE10hipError_tPvRmT3_T4_T5_T6_T7_T9_mT8_P12ihipStream_tbDpT10_ENKUlT_T0_E_clISt17integral_constantIbLb1EES19_EEDaS14_S15_EUlS14_E_NS1_11comp_targetILNS1_3genE5ELNS1_11target_archE942ELNS1_3gpuE9ELNS1_3repE0EEENS1_30default_config_static_selectorELNS0_4arch9wavefront6targetE1EEEvT1_,@function
_ZN7rocprim17ROCPRIM_400000_NS6detail17trampoline_kernelINS0_14default_configENS1_25partition_config_selectorILNS1_17partition_subalgoE0EiNS0_10empty_typeEbEEZZNS1_14partition_implILS5_0ELb0ES3_jN6thrust23THRUST_200600_302600_NS6detail15normal_iteratorINSA_10device_ptrIiEEEEPS6_SG_NS0_5tupleIJNSA_16discard_iteratorINSA_11use_defaultEEESF_EEENSH_IJSG_SG_EEES6_PlJ7is_evenIiEEEE10hipError_tPvRmT3_T4_T5_T6_T7_T9_mT8_P12ihipStream_tbDpT10_ENKUlT_T0_E_clISt17integral_constantIbLb1EES19_EEDaS14_S15_EUlS14_E_NS1_11comp_targetILNS1_3genE5ELNS1_11target_archE942ELNS1_3gpuE9ELNS1_3repE0EEENS1_30default_config_static_selectorELNS0_4arch9wavefront6targetE1EEEvT1_: ; @_ZN7rocprim17ROCPRIM_400000_NS6detail17trampoline_kernelINS0_14default_configENS1_25partition_config_selectorILNS1_17partition_subalgoE0EiNS0_10empty_typeEbEEZZNS1_14partition_implILS5_0ELb0ES3_jN6thrust23THRUST_200600_302600_NS6detail15normal_iteratorINSA_10device_ptrIiEEEEPS6_SG_NS0_5tupleIJNSA_16discard_iteratorINSA_11use_defaultEEESF_EEENSH_IJSG_SG_EEES6_PlJ7is_evenIiEEEE10hipError_tPvRmT3_T4_T5_T6_T7_T9_mT8_P12ihipStream_tbDpT10_ENKUlT_T0_E_clISt17integral_constantIbLb1EES19_EEDaS14_S15_EUlS14_E_NS1_11comp_targetILNS1_3genE5ELNS1_11target_archE942ELNS1_3gpuE9ELNS1_3repE0EEENS1_30default_config_static_selectorELNS0_4arch9wavefront6targetE1EEEvT1_
; %bb.0:
	.section	.rodata,"a",@progbits
	.p2align	6, 0x0
	.amdhsa_kernel _ZN7rocprim17ROCPRIM_400000_NS6detail17trampoline_kernelINS0_14default_configENS1_25partition_config_selectorILNS1_17partition_subalgoE0EiNS0_10empty_typeEbEEZZNS1_14partition_implILS5_0ELb0ES3_jN6thrust23THRUST_200600_302600_NS6detail15normal_iteratorINSA_10device_ptrIiEEEEPS6_SG_NS0_5tupleIJNSA_16discard_iteratorINSA_11use_defaultEEESF_EEENSH_IJSG_SG_EEES6_PlJ7is_evenIiEEEE10hipError_tPvRmT3_T4_T5_T6_T7_T9_mT8_P12ihipStream_tbDpT10_ENKUlT_T0_E_clISt17integral_constantIbLb1EES19_EEDaS14_S15_EUlS14_E_NS1_11comp_targetILNS1_3genE5ELNS1_11target_archE942ELNS1_3gpuE9ELNS1_3repE0EEENS1_30default_config_static_selectorELNS0_4arch9wavefront6targetE1EEEvT1_
		.amdhsa_group_segment_fixed_size 0
		.amdhsa_private_segment_fixed_size 0
		.amdhsa_kernarg_size 144
		.amdhsa_user_sgpr_count 6
		.amdhsa_user_sgpr_private_segment_buffer 1
		.amdhsa_user_sgpr_dispatch_ptr 0
		.amdhsa_user_sgpr_queue_ptr 0
		.amdhsa_user_sgpr_kernarg_segment_ptr 1
		.amdhsa_user_sgpr_dispatch_id 0
		.amdhsa_user_sgpr_flat_scratch_init 0
		.amdhsa_user_sgpr_kernarg_preload_length 0
		.amdhsa_user_sgpr_kernarg_preload_offset 0
		.amdhsa_user_sgpr_private_segment_size 0
		.amdhsa_uses_dynamic_stack 0
		.amdhsa_system_sgpr_private_segment_wavefront_offset 0
		.amdhsa_system_sgpr_workgroup_id_x 1
		.amdhsa_system_sgpr_workgroup_id_y 0
		.amdhsa_system_sgpr_workgroup_id_z 0
		.amdhsa_system_sgpr_workgroup_info 0
		.amdhsa_system_vgpr_workitem_id 0
		.amdhsa_next_free_vgpr 1
		.amdhsa_next_free_sgpr 0
		.amdhsa_accum_offset 4
		.amdhsa_reserve_vcc 0
		.amdhsa_reserve_flat_scratch 0
		.amdhsa_float_round_mode_32 0
		.amdhsa_float_round_mode_16_64 0
		.amdhsa_float_denorm_mode_32 3
		.amdhsa_float_denorm_mode_16_64 3
		.amdhsa_dx10_clamp 1
		.amdhsa_ieee_mode 1
		.amdhsa_fp16_overflow 0
		.amdhsa_tg_split 0
		.amdhsa_exception_fp_ieee_invalid_op 0
		.amdhsa_exception_fp_denorm_src 0
		.amdhsa_exception_fp_ieee_div_zero 0
		.amdhsa_exception_fp_ieee_overflow 0
		.amdhsa_exception_fp_ieee_underflow 0
		.amdhsa_exception_fp_ieee_inexact 0
		.amdhsa_exception_int_div_zero 0
	.end_amdhsa_kernel
	.section	.text._ZN7rocprim17ROCPRIM_400000_NS6detail17trampoline_kernelINS0_14default_configENS1_25partition_config_selectorILNS1_17partition_subalgoE0EiNS0_10empty_typeEbEEZZNS1_14partition_implILS5_0ELb0ES3_jN6thrust23THRUST_200600_302600_NS6detail15normal_iteratorINSA_10device_ptrIiEEEEPS6_SG_NS0_5tupleIJNSA_16discard_iteratorINSA_11use_defaultEEESF_EEENSH_IJSG_SG_EEES6_PlJ7is_evenIiEEEE10hipError_tPvRmT3_T4_T5_T6_T7_T9_mT8_P12ihipStream_tbDpT10_ENKUlT_T0_E_clISt17integral_constantIbLb1EES19_EEDaS14_S15_EUlS14_E_NS1_11comp_targetILNS1_3genE5ELNS1_11target_archE942ELNS1_3gpuE9ELNS1_3repE0EEENS1_30default_config_static_selectorELNS0_4arch9wavefront6targetE1EEEvT1_,"axG",@progbits,_ZN7rocprim17ROCPRIM_400000_NS6detail17trampoline_kernelINS0_14default_configENS1_25partition_config_selectorILNS1_17partition_subalgoE0EiNS0_10empty_typeEbEEZZNS1_14partition_implILS5_0ELb0ES3_jN6thrust23THRUST_200600_302600_NS6detail15normal_iteratorINSA_10device_ptrIiEEEEPS6_SG_NS0_5tupleIJNSA_16discard_iteratorINSA_11use_defaultEEESF_EEENSH_IJSG_SG_EEES6_PlJ7is_evenIiEEEE10hipError_tPvRmT3_T4_T5_T6_T7_T9_mT8_P12ihipStream_tbDpT10_ENKUlT_T0_E_clISt17integral_constantIbLb1EES19_EEDaS14_S15_EUlS14_E_NS1_11comp_targetILNS1_3genE5ELNS1_11target_archE942ELNS1_3gpuE9ELNS1_3repE0EEENS1_30default_config_static_selectorELNS0_4arch9wavefront6targetE1EEEvT1_,comdat
.Lfunc_end2756:
	.size	_ZN7rocprim17ROCPRIM_400000_NS6detail17trampoline_kernelINS0_14default_configENS1_25partition_config_selectorILNS1_17partition_subalgoE0EiNS0_10empty_typeEbEEZZNS1_14partition_implILS5_0ELb0ES3_jN6thrust23THRUST_200600_302600_NS6detail15normal_iteratorINSA_10device_ptrIiEEEEPS6_SG_NS0_5tupleIJNSA_16discard_iteratorINSA_11use_defaultEEESF_EEENSH_IJSG_SG_EEES6_PlJ7is_evenIiEEEE10hipError_tPvRmT3_T4_T5_T6_T7_T9_mT8_P12ihipStream_tbDpT10_ENKUlT_T0_E_clISt17integral_constantIbLb1EES19_EEDaS14_S15_EUlS14_E_NS1_11comp_targetILNS1_3genE5ELNS1_11target_archE942ELNS1_3gpuE9ELNS1_3repE0EEENS1_30default_config_static_selectorELNS0_4arch9wavefront6targetE1EEEvT1_, .Lfunc_end2756-_ZN7rocprim17ROCPRIM_400000_NS6detail17trampoline_kernelINS0_14default_configENS1_25partition_config_selectorILNS1_17partition_subalgoE0EiNS0_10empty_typeEbEEZZNS1_14partition_implILS5_0ELb0ES3_jN6thrust23THRUST_200600_302600_NS6detail15normal_iteratorINSA_10device_ptrIiEEEEPS6_SG_NS0_5tupleIJNSA_16discard_iteratorINSA_11use_defaultEEESF_EEENSH_IJSG_SG_EEES6_PlJ7is_evenIiEEEE10hipError_tPvRmT3_T4_T5_T6_T7_T9_mT8_P12ihipStream_tbDpT10_ENKUlT_T0_E_clISt17integral_constantIbLb1EES19_EEDaS14_S15_EUlS14_E_NS1_11comp_targetILNS1_3genE5ELNS1_11target_archE942ELNS1_3gpuE9ELNS1_3repE0EEENS1_30default_config_static_selectorELNS0_4arch9wavefront6targetE1EEEvT1_
                                        ; -- End function
	.section	.AMDGPU.csdata,"",@progbits
; Kernel info:
; codeLenInByte = 0
; NumSgprs: 4
; NumVgprs: 0
; NumAgprs: 0
; TotalNumVgprs: 0
; ScratchSize: 0
; MemoryBound: 0
; FloatMode: 240
; IeeeMode: 1
; LDSByteSize: 0 bytes/workgroup (compile time only)
; SGPRBlocks: 0
; VGPRBlocks: 0
; NumSGPRsForWavesPerEU: 4
; NumVGPRsForWavesPerEU: 1
; AccumOffset: 4
; Occupancy: 8
; WaveLimiterHint : 0
; COMPUTE_PGM_RSRC2:SCRATCH_EN: 0
; COMPUTE_PGM_RSRC2:USER_SGPR: 6
; COMPUTE_PGM_RSRC2:TRAP_HANDLER: 0
; COMPUTE_PGM_RSRC2:TGID_X_EN: 1
; COMPUTE_PGM_RSRC2:TGID_Y_EN: 0
; COMPUTE_PGM_RSRC2:TGID_Z_EN: 0
; COMPUTE_PGM_RSRC2:TIDIG_COMP_CNT: 0
; COMPUTE_PGM_RSRC3_GFX90A:ACCUM_OFFSET: 0
; COMPUTE_PGM_RSRC3_GFX90A:TG_SPLIT: 0
	.section	.text._ZN7rocprim17ROCPRIM_400000_NS6detail17trampoline_kernelINS0_14default_configENS1_25partition_config_selectorILNS1_17partition_subalgoE0EiNS0_10empty_typeEbEEZZNS1_14partition_implILS5_0ELb0ES3_jN6thrust23THRUST_200600_302600_NS6detail15normal_iteratorINSA_10device_ptrIiEEEEPS6_SG_NS0_5tupleIJNSA_16discard_iteratorINSA_11use_defaultEEESF_EEENSH_IJSG_SG_EEES6_PlJ7is_evenIiEEEE10hipError_tPvRmT3_T4_T5_T6_T7_T9_mT8_P12ihipStream_tbDpT10_ENKUlT_T0_E_clISt17integral_constantIbLb1EES19_EEDaS14_S15_EUlS14_E_NS1_11comp_targetILNS1_3genE4ELNS1_11target_archE910ELNS1_3gpuE8ELNS1_3repE0EEENS1_30default_config_static_selectorELNS0_4arch9wavefront6targetE1EEEvT1_,"axG",@progbits,_ZN7rocprim17ROCPRIM_400000_NS6detail17trampoline_kernelINS0_14default_configENS1_25partition_config_selectorILNS1_17partition_subalgoE0EiNS0_10empty_typeEbEEZZNS1_14partition_implILS5_0ELb0ES3_jN6thrust23THRUST_200600_302600_NS6detail15normal_iteratorINSA_10device_ptrIiEEEEPS6_SG_NS0_5tupleIJNSA_16discard_iteratorINSA_11use_defaultEEESF_EEENSH_IJSG_SG_EEES6_PlJ7is_evenIiEEEE10hipError_tPvRmT3_T4_T5_T6_T7_T9_mT8_P12ihipStream_tbDpT10_ENKUlT_T0_E_clISt17integral_constantIbLb1EES19_EEDaS14_S15_EUlS14_E_NS1_11comp_targetILNS1_3genE4ELNS1_11target_archE910ELNS1_3gpuE8ELNS1_3repE0EEENS1_30default_config_static_selectorELNS0_4arch9wavefront6targetE1EEEvT1_,comdat
	.protected	_ZN7rocprim17ROCPRIM_400000_NS6detail17trampoline_kernelINS0_14default_configENS1_25partition_config_selectorILNS1_17partition_subalgoE0EiNS0_10empty_typeEbEEZZNS1_14partition_implILS5_0ELb0ES3_jN6thrust23THRUST_200600_302600_NS6detail15normal_iteratorINSA_10device_ptrIiEEEEPS6_SG_NS0_5tupleIJNSA_16discard_iteratorINSA_11use_defaultEEESF_EEENSH_IJSG_SG_EEES6_PlJ7is_evenIiEEEE10hipError_tPvRmT3_T4_T5_T6_T7_T9_mT8_P12ihipStream_tbDpT10_ENKUlT_T0_E_clISt17integral_constantIbLb1EES19_EEDaS14_S15_EUlS14_E_NS1_11comp_targetILNS1_3genE4ELNS1_11target_archE910ELNS1_3gpuE8ELNS1_3repE0EEENS1_30default_config_static_selectorELNS0_4arch9wavefront6targetE1EEEvT1_ ; -- Begin function _ZN7rocprim17ROCPRIM_400000_NS6detail17trampoline_kernelINS0_14default_configENS1_25partition_config_selectorILNS1_17partition_subalgoE0EiNS0_10empty_typeEbEEZZNS1_14partition_implILS5_0ELb0ES3_jN6thrust23THRUST_200600_302600_NS6detail15normal_iteratorINSA_10device_ptrIiEEEEPS6_SG_NS0_5tupleIJNSA_16discard_iteratorINSA_11use_defaultEEESF_EEENSH_IJSG_SG_EEES6_PlJ7is_evenIiEEEE10hipError_tPvRmT3_T4_T5_T6_T7_T9_mT8_P12ihipStream_tbDpT10_ENKUlT_T0_E_clISt17integral_constantIbLb1EES19_EEDaS14_S15_EUlS14_E_NS1_11comp_targetILNS1_3genE4ELNS1_11target_archE910ELNS1_3gpuE8ELNS1_3repE0EEENS1_30default_config_static_selectorELNS0_4arch9wavefront6targetE1EEEvT1_
	.globl	_ZN7rocprim17ROCPRIM_400000_NS6detail17trampoline_kernelINS0_14default_configENS1_25partition_config_selectorILNS1_17partition_subalgoE0EiNS0_10empty_typeEbEEZZNS1_14partition_implILS5_0ELb0ES3_jN6thrust23THRUST_200600_302600_NS6detail15normal_iteratorINSA_10device_ptrIiEEEEPS6_SG_NS0_5tupleIJNSA_16discard_iteratorINSA_11use_defaultEEESF_EEENSH_IJSG_SG_EEES6_PlJ7is_evenIiEEEE10hipError_tPvRmT3_T4_T5_T6_T7_T9_mT8_P12ihipStream_tbDpT10_ENKUlT_T0_E_clISt17integral_constantIbLb1EES19_EEDaS14_S15_EUlS14_E_NS1_11comp_targetILNS1_3genE4ELNS1_11target_archE910ELNS1_3gpuE8ELNS1_3repE0EEENS1_30default_config_static_selectorELNS0_4arch9wavefront6targetE1EEEvT1_
	.p2align	8
	.type	_ZN7rocprim17ROCPRIM_400000_NS6detail17trampoline_kernelINS0_14default_configENS1_25partition_config_selectorILNS1_17partition_subalgoE0EiNS0_10empty_typeEbEEZZNS1_14partition_implILS5_0ELb0ES3_jN6thrust23THRUST_200600_302600_NS6detail15normal_iteratorINSA_10device_ptrIiEEEEPS6_SG_NS0_5tupleIJNSA_16discard_iteratorINSA_11use_defaultEEESF_EEENSH_IJSG_SG_EEES6_PlJ7is_evenIiEEEE10hipError_tPvRmT3_T4_T5_T6_T7_T9_mT8_P12ihipStream_tbDpT10_ENKUlT_T0_E_clISt17integral_constantIbLb1EES19_EEDaS14_S15_EUlS14_E_NS1_11comp_targetILNS1_3genE4ELNS1_11target_archE910ELNS1_3gpuE8ELNS1_3repE0EEENS1_30default_config_static_selectorELNS0_4arch9wavefront6targetE1EEEvT1_,@function
_ZN7rocprim17ROCPRIM_400000_NS6detail17trampoline_kernelINS0_14default_configENS1_25partition_config_selectorILNS1_17partition_subalgoE0EiNS0_10empty_typeEbEEZZNS1_14partition_implILS5_0ELb0ES3_jN6thrust23THRUST_200600_302600_NS6detail15normal_iteratorINSA_10device_ptrIiEEEEPS6_SG_NS0_5tupleIJNSA_16discard_iteratorINSA_11use_defaultEEESF_EEENSH_IJSG_SG_EEES6_PlJ7is_evenIiEEEE10hipError_tPvRmT3_T4_T5_T6_T7_T9_mT8_P12ihipStream_tbDpT10_ENKUlT_T0_E_clISt17integral_constantIbLb1EES19_EEDaS14_S15_EUlS14_E_NS1_11comp_targetILNS1_3genE4ELNS1_11target_archE910ELNS1_3gpuE8ELNS1_3repE0EEENS1_30default_config_static_selectorELNS0_4arch9wavefront6targetE1EEEvT1_: ; @_ZN7rocprim17ROCPRIM_400000_NS6detail17trampoline_kernelINS0_14default_configENS1_25partition_config_selectorILNS1_17partition_subalgoE0EiNS0_10empty_typeEbEEZZNS1_14partition_implILS5_0ELb0ES3_jN6thrust23THRUST_200600_302600_NS6detail15normal_iteratorINSA_10device_ptrIiEEEEPS6_SG_NS0_5tupleIJNSA_16discard_iteratorINSA_11use_defaultEEESF_EEENSH_IJSG_SG_EEES6_PlJ7is_evenIiEEEE10hipError_tPvRmT3_T4_T5_T6_T7_T9_mT8_P12ihipStream_tbDpT10_ENKUlT_T0_E_clISt17integral_constantIbLb1EES19_EEDaS14_S15_EUlS14_E_NS1_11comp_targetILNS1_3genE4ELNS1_11target_archE910ELNS1_3gpuE8ELNS1_3repE0EEENS1_30default_config_static_selectorELNS0_4arch9wavefront6targetE1EEEvT1_
; %bb.0:
	s_load_dwordx2 s[28:29], s[4:5], 0x38
	s_load_dwordx4 s[20:23], s[4:5], 0x50
	s_load_dwordx2 s[2:3], s[4:5], 0x60
	s_load_dwordx2 s[30:31], s[4:5], 0x70
	v_cmp_eq_u32_e64 s[0:1], 0, v0
	s_and_saveexec_b64 s[6:7], s[0:1]
	s_cbranch_execz .LBB2757_4
; %bb.1:
	s_mov_b64 s[10:11], exec
	v_mbcnt_lo_u32_b32 v1, s10, 0
	v_mbcnt_hi_u32_b32 v1, s11, v1
	v_cmp_eq_u32_e32 vcc, 0, v1
                                        ; implicit-def: $vgpr2
	s_and_saveexec_b64 s[8:9], vcc
	s_cbranch_execz .LBB2757_3
; %bb.2:
	s_load_dwordx2 s[12:13], s[4:5], 0x80
	s_bcnt1_i32_b64 s10, s[10:11]
	v_mov_b32_e32 v2, 0
	v_mov_b32_e32 v3, s10
	s_waitcnt lgkmcnt(0)
	global_atomic_add v2, v2, v3, s[12:13] glc
.LBB2757_3:
	s_or_b64 exec, exec, s[8:9]
	s_waitcnt vmcnt(0)
	v_readfirstlane_b32 s8, v2
	v_add_u32_e32 v1, s8, v1
	v_mov_b32_e32 v2, 0
	ds_write_b32 v2, v1
.LBB2757_4:
	s_or_b64 exec, exec, s[6:7]
	v_mov_b32_e32 v3, 0
	s_load_dwordx4 s[24:27], s[4:5], 0x8
	s_load_dword s6, s[4:5], 0x78
	s_waitcnt lgkmcnt(0)
	s_barrier
	ds_read_b32 v1, v3
	s_waitcnt lgkmcnt(0)
	s_barrier
	global_load_dwordx2 v[12:13], v3, s[22:23]
	v_mov_b32_e32 v5, s3
	s_lshl_b64 s[4:5], s[26:27], 2
	s_movk_i32 s3, 0xa00
	s_add_u32 s7, s24, s4
	v_mul_lo_u32 v2, v1, s3
	s_mul_i32 s3, s6, 0xa00
	s_addc_u32 s8, s25, s5
	s_add_i32 s5, s3, s26
	s_sub_i32 s33, s2, s5
	s_add_i32 s4, s6, -1
	s_addk_i32 s33, 0xa00
	v_mov_b32_e32 v4, s2
	s_add_u32 s2, s26, s3
	v_readfirstlane_b32 s38, v1
	s_addc_u32 s3, s27, 0
	s_cmp_eq_u32 s38, s4
	s_cselect_b64 s[22:23], -1, 0
	s_cmp_lg_u32 s38, s4
	v_cmp_lt_u64_e32 vcc, s[2:3], v[4:5]
	s_cselect_b64 s[2:3], -1, 0
	v_lshlrev_b64 v[14:15], 2, v[2:3]
	s_or_b64 s[4:5], vcc, s[2:3]
	v_mov_b32_e32 v2, s8
	v_add_co_u32_e32 v1, vcc, s7, v14
	v_addc_co_u32_e32 v16, vcc, v2, v15, vcc
	s_mov_b64 s[2:3], -1
	s_and_b64 vcc, exec, s[4:5]
	v_lshlrev_b32_e32 v26, 2, v0
	s_cbranch_vccz .LBB2757_6
; %bb.5:
	v_add_co_u32_e32 v2, vcc, v1, v26
	v_addc_co_u32_e32 v3, vcc, 0, v16, vcc
	v_add_co_u32_e32 v4, vcc, 0x1000, v2
	v_addc_co_u32_e32 v5, vcc, 0, v3, vcc
	flat_load_dword v6, v[2:3]
	flat_load_dword v7, v[2:3] offset:1024
	flat_load_dword v8, v[2:3] offset:2048
	;; [unrolled: 1-line block ×3, first 2 shown]
	flat_load_dword v10, v[4:5]
	flat_load_dword v11, v[4:5] offset:1024
	flat_load_dword v17, v[4:5] offset:2048
	;; [unrolled: 1-line block ×3, first 2 shown]
	v_add_co_u32_e32 v2, vcc, 0x2000, v2
	v_addc_co_u32_e32 v3, vcc, 0, v3, vcc
	flat_load_dword v4, v[2:3]
	flat_load_dword v5, v[2:3] offset:1024
	s_mov_b64 s[2:3], 0
	s_waitcnt vmcnt(0) lgkmcnt(0)
	ds_write2st64_b32 v26, v6, v7 offset1:4
	ds_write2st64_b32 v26, v8, v9 offset0:8 offset1:12
	ds_write2st64_b32 v26, v10, v11 offset0:16 offset1:20
	;; [unrolled: 1-line block ×4, first 2 shown]
	s_waitcnt lgkmcnt(0)
	s_barrier
.LBB2757_6:
	s_andn2_b64 vcc, exec, s[2:3]
	v_cmp_gt_u32_e64 s[2:3], s33, v0
	s_cbranch_vccnz .LBB2757_28
; %bb.7:
                                        ; implicit-def: $vgpr2_vgpr3_vgpr4_vgpr5_vgpr6_vgpr7_vgpr8_vgpr9_vgpr10_vgpr11
	s_and_saveexec_b64 s[6:7], s[2:3]
	s_cbranch_execz .LBB2757_9
; %bb.8:
	v_add_co_u32_e32 v2, vcc, v1, v26
	v_addc_co_u32_e32 v3, vcc, 0, v16, vcc
	flat_load_dword v2, v[2:3]
.LBB2757_9:
	s_or_b64 exec, exec, s[6:7]
	v_or_b32_e32 v17, 0x100, v0
	v_cmp_gt_u32_e32 vcc, s33, v17
	s_and_saveexec_b64 s[2:3], vcc
	s_cbranch_execz .LBB2757_11
; %bb.10:
	v_add_co_u32_e32 v18, vcc, v1, v26
	v_addc_co_u32_e32 v19, vcc, 0, v16, vcc
	flat_load_dword v3, v[18:19] offset:1024
.LBB2757_11:
	s_or_b64 exec, exec, s[2:3]
	v_or_b32_e32 v17, 0x200, v0
	v_cmp_gt_u32_e32 vcc, s33, v17
	s_and_saveexec_b64 s[2:3], vcc
	s_cbranch_execz .LBB2757_13
; %bb.12:
	v_add_co_u32_e32 v18, vcc, v1, v26
	v_addc_co_u32_e32 v19, vcc, 0, v16, vcc
	flat_load_dword v4, v[18:19] offset:2048
.LBB2757_13:
	;; [unrolled: 10-line block ×3, first 2 shown]
	s_or_b64 exec, exec, s[2:3]
	v_or_b32_e32 v17, 0x400, v0
	v_cmp_gt_u32_e32 vcc, s33, v17
	s_and_saveexec_b64 s[2:3], vcc
	s_cbranch_execz .LBB2757_17
; %bb.16:
	v_lshlrev_b32_e32 v6, 2, v17
	v_add_co_u32_e32 v18, vcc, v1, v6
	v_addc_co_u32_e32 v19, vcc, 0, v16, vcc
	flat_load_dword v6, v[18:19]
.LBB2757_17:
	s_or_b64 exec, exec, s[2:3]
	v_or_b32_e32 v17, 0x500, v0
	v_cmp_gt_u32_e32 vcc, s33, v17
	s_and_saveexec_b64 s[2:3], vcc
	s_cbranch_execz .LBB2757_19
; %bb.18:
	v_lshlrev_b32_e32 v7, 2, v17
	v_add_co_u32_e32 v18, vcc, v1, v7
	v_addc_co_u32_e32 v19, vcc, 0, v16, vcc
	flat_load_dword v7, v[18:19]
.LBB2757_19:
	;; [unrolled: 11-line block ×6, first 2 shown]
	s_or_b64 exec, exec, s[2:3]
	s_waitcnt vmcnt(0) lgkmcnt(0)
	ds_write2st64_b32 v26, v2, v3 offset1:4
	ds_write2st64_b32 v26, v4, v5 offset0:8 offset1:12
	ds_write2st64_b32 v26, v6, v7 offset0:16 offset1:20
	;; [unrolled: 1-line block ×4, first 2 shown]
	s_waitcnt lgkmcnt(0)
	s_barrier
.LBB2757_28:
	v_mul_u32_u24_e32 v27, 10, v0
	v_lshlrev_b32_e32 v33, 2, v27
	ds_read2_b64 v[6:9], v33 offset1:1
	ds_read2_b64 v[2:5], v33 offset0:2 offset1:3
	ds_read_b64 v[10:11], v33 offset:32
	v_cndmask_b32_e64 v1, 0, 1, s[4:5]
	v_cmp_ne_u32_e64 s[2:3], 1, v1
	s_andn2_b64 vcc, exec, s[4:5]
	s_waitcnt lgkmcnt(2)
	v_xor_b32_e32 v25, -1, v6
	v_xor_b32_e32 v24, -1, v7
	;; [unrolled: 1-line block ×4, first 2 shown]
	s_waitcnt lgkmcnt(1)
	v_xor_b32_e32 v21, -1, v2
	v_xor_b32_e32 v20, -1, v3
	;; [unrolled: 1-line block ×4, first 2 shown]
	s_waitcnt lgkmcnt(0)
	v_xor_b32_e32 v17, -1, v10
	v_xor_b32_e32 v16, -1, v11
	s_barrier
	s_cbranch_vccnz .LBB2757_30
; %bb.29:
	v_mov_b32_e32 v1, 1
	v_and_b32_e32 v29, 1, v25
	v_and_b32_sdwa v30, v24, v1 dst_sel:BYTE_1 dst_unused:UNUSED_PAD src0_sel:DWORD src1_sel:DWORD
	v_and_b32_e32 v31, 1, v23
	v_and_b32_sdwa v32, v22, v1 dst_sel:BYTE_1 dst_unused:UNUSED_PAD src0_sel:DWORD src1_sel:DWORD
	;; [unrolled: 2-line block ×4, first 2 shown]
	v_or_b32_e32 v29, v29, v30
	v_or_b32_sdwa v30, v31, v32 dst_sel:WORD_1 dst_unused:UNUSED_PAD src0_sel:DWORD src1_sel:DWORD
	v_or_b32_sdwa v30, v29, v30 dst_sel:DWORD dst_unused:UNUSED_PAD src0_sel:WORD_0 src1_sel:DWORD
	v_or_b32_e32 v29, v34, v35
	v_or_b32_sdwa v31, v36, v37 dst_sel:WORD_1 dst_unused:UNUSED_PAD src0_sel:DWORD src1_sel:DWORD
	v_and_b32_e32 v28, 1, v17
	v_and_b32_e32 v1, 1, v16
	v_or_b32_sdwa v29, v29, v31 dst_sel:DWORD dst_unused:UNUSED_PAD src0_sel:WORD_0 src1_sel:DWORD
	s_cbranch_execz .LBB2757_31
	s_branch .LBB2757_32
.LBB2757_30:
                                        ; implicit-def: $vgpr1
                                        ; implicit-def: $vgpr28
                                        ; implicit-def: $vgpr29
                                        ; implicit-def: $vgpr30
.LBB2757_31:
	v_or_b32_e32 v36, 1, v27
	v_cmp_gt_u32_e32 vcc, s33, v27
	v_add_u32_e32 v1, 2, v27
	v_cndmask_b32_e64 v37, 0, 1, vcc
	v_cmp_gt_u32_e32 vcc, s33, v36
	v_add_u32_e32 v35, 3, v27
	v_cndmask_b32_e64 v36, 0, 1, vcc
	;; [unrolled: 3-line block ×3, first 2 shown]
	v_cmp_gt_u32_e32 vcc, s33, v35
	v_add_u32_e32 v34, 5, v27
	v_and_b32_e32 v23, v1, v23
	v_cndmask_b32_e64 v1, 0, 1, vcc
	v_cmp_gt_u32_e32 vcc, s33, v28
	v_add_u32_e32 v29, 6, v27
	v_and_b32_sdwa v22, v1, v22 dst_sel:BYTE_1 dst_unused:UNUSED_PAD src0_sel:DWORD src1_sel:DWORD
	v_cndmask_b32_e64 v1, 0, 1, vcc
	v_cmp_gt_u32_e32 vcc, s33, v34
	v_add_u32_e32 v32, 7, v27
	v_and_b32_e32 v21, v1, v21
	v_cndmask_b32_e64 v1, 0, 1, vcc
	v_cmp_gt_u32_e32 vcc, s33, v29
	v_add_u32_e32 v30, 8, v27
	v_and_b32_sdwa v20, v1, v20 dst_sel:BYTE_1 dst_unused:UNUSED_PAD src0_sel:DWORD src1_sel:DWORD
	v_cndmask_b32_e64 v1, 0, 1, vcc
	v_cmp_gt_u32_e32 vcc, s33, v32
	v_add_u32_e32 v31, 9, v27
	v_and_b32_e32 v19, v1, v19
	v_cndmask_b32_e64 v1, 0, 1, vcc
	v_cmp_gt_u32_e32 vcc, s33, v30
	v_and_b32_sdwa v18, v1, v18 dst_sel:BYTE_1 dst_unused:UNUSED_PAD src0_sel:DWORD src1_sel:DWORD
	v_cndmask_b32_e64 v1, 0, 1, vcc
	v_cmp_gt_u32_e32 vcc, s33, v31
	v_and_b32_e32 v25, v37, v25
	v_and_b32_sdwa v24, v36, v24 dst_sel:BYTE_1 dst_unused:UNUSED_PAD src0_sel:DWORD src1_sel:DWORD
	v_and_b32_e32 v28, v1, v17
	v_cndmask_b32_e64 v1, 0, 1, vcc
	v_and_b32_e32 v1, v1, v16
	v_or_b32_e32 v16, v25, v24
	v_or_b32_sdwa v17, v23, v22 dst_sel:WORD_1 dst_unused:UNUSED_PAD src0_sel:DWORD src1_sel:DWORD
	v_or_b32_sdwa v30, v16, v17 dst_sel:DWORD dst_unused:UNUSED_PAD src0_sel:WORD_0 src1_sel:DWORD
	v_or_b32_e32 v16, v21, v20
	v_or_b32_sdwa v17, v19, v18 dst_sel:WORD_1 dst_unused:UNUSED_PAD src0_sel:DWORD src1_sel:DWORD
	v_or_b32_sdwa v29, v16, v17 dst_sel:DWORD dst_unused:UNUSED_PAD src0_sel:WORD_0 src1_sel:DWORD
.LBB2757_32:
	v_bfe_u32 v34, v30, 16, 8
	v_lshrrev_b32_e32 v32, 24, v30
	v_add_u32_sdwa v17, v30, v30 dst_sel:DWORD dst_unused:UNUSED_PAD src0_sel:BYTE_1 src1_sel:BYTE_0
	v_and_b32_e32 v35, 0xff, v29
	v_bfe_u32 v36, v29, 8, 8
	v_add3_u32 v17, v17, v34, v32
	v_bfe_u32 v37, v29, 16, 8
	v_lshrrev_b32_e32 v31, 24, v29
	v_add3_u32 v17, v17, v35, v36
	v_and_b32_e32 v38, 0xff, v28
	v_and_b32_e32 v16, 0xff, v1
	v_add3_u32 v17, v17, v37, v31
	v_add3_u32 v41, v17, v38, v16
	v_mbcnt_lo_u32_b32 v16, -1, 0
	v_mbcnt_hi_u32_b32 v39, -1, v16
	v_and_b32_e32 v16, 15, v39
	v_cmp_eq_u32_e64 s[16:17], 0, v16
	v_cmp_lt_u32_e64 s[14:15], 1, v16
	v_cmp_lt_u32_e64 s[12:13], 3, v16
	;; [unrolled: 1-line block ×3, first 2 shown]
	v_and_b32_e32 v16, 16, v39
	v_cmp_eq_u32_e64 s[8:9], 0, v16
	v_or_b32_e32 v16, 63, v0
	s_cmp_lg_u32 s38, 0
	v_cmp_lt_u32_e64 s[4:5], 31, v39
	v_lshrrev_b32_e32 v40, 6, v0
	v_cmp_eq_u32_e64 s[6:7], v16, v0
	s_cbranch_scc0 .LBB2757_63
; %bb.33:
	v_mov_b32_dpp v16, v41 row_shr:1 row_mask:0xf bank_mask:0xf
	v_cndmask_b32_e64 v16, v16, 0, s[16:17]
	v_add_u32_e32 v16, v16, v41
	s_nop 1
	v_mov_b32_dpp v17, v16 row_shr:2 row_mask:0xf bank_mask:0xf
	v_cndmask_b32_e64 v17, 0, v17, s[14:15]
	v_add_u32_e32 v16, v16, v17
	s_nop 1
	;; [unrolled: 4-line block ×4, first 2 shown]
	v_mov_b32_dpp v17, v16 row_bcast:15 row_mask:0xf bank_mask:0xf
	v_cndmask_b32_e64 v17, v17, 0, s[8:9]
	v_add_u32_e32 v16, v16, v17
	s_nop 1
	v_mov_b32_dpp v17, v16 row_bcast:31 row_mask:0xf bank_mask:0xf
	v_cndmask_b32_e64 v17, 0, v17, s[4:5]
	v_add_u32_e32 v16, v16, v17
	s_and_saveexec_b64 s[18:19], s[6:7]
	s_cbranch_execz .LBB2757_35
; %bb.34:
	v_lshlrev_b32_e32 v17, 2, v40
	ds_write_b32 v17, v16
.LBB2757_35:
	s_or_b64 exec, exec, s[18:19]
	v_cmp_gt_u32_e32 vcc, 4, v0
	s_waitcnt lgkmcnt(0)
	s_barrier
	s_and_saveexec_b64 s[18:19], vcc
	s_cbranch_execz .LBB2757_37
; %bb.36:
	ds_read_b32 v17, v26
	v_and_b32_e32 v18, 3, v39
	v_cmp_ne_u32_e32 vcc, 0, v18
	s_waitcnt lgkmcnt(0)
	v_mov_b32_dpp v19, v17 row_shr:1 row_mask:0xf bank_mask:0xf
	v_cndmask_b32_e32 v19, 0, v19, vcc
	v_add_u32_e32 v17, v19, v17
	v_cmp_lt_u32_e32 vcc, 1, v18
	s_nop 0
	v_mov_b32_dpp v19, v17 row_shr:2 row_mask:0xf bank_mask:0xf
	v_cndmask_b32_e32 v18, 0, v19, vcc
	v_add_u32_e32 v17, v17, v18
	ds_write_b32 v26, v17
.LBB2757_37:
	s_or_b64 exec, exec, s[18:19]
	v_cmp_gt_u32_e32 vcc, 64, v0
	v_cmp_lt_u32_e64 s[18:19], 63, v0
	s_waitcnt lgkmcnt(0)
	s_barrier
	s_waitcnt lgkmcnt(0)
                                        ; implicit-def: $vgpr42
	s_and_saveexec_b64 s[24:25], s[18:19]
	s_cbranch_execz .LBB2757_39
; %bb.38:
	v_lshl_add_u32 v17, v40, 2, -4
	ds_read_b32 v42, v17
	s_waitcnt lgkmcnt(0)
	v_add_u32_e32 v16, v42, v16
.LBB2757_39:
	s_or_b64 exec, exec, s[24:25]
	v_add_u32_e32 v17, -1, v39
	v_and_b32_e32 v18, 64, v39
	v_cmp_lt_i32_e64 s[18:19], v17, v18
	v_cndmask_b32_e64 v17, v17, v39, s[18:19]
	v_lshlrev_b32_e32 v17, 2, v17
	ds_bpermute_b32 v43, v17, v16
	v_cmp_eq_u32_e64 s[18:19], 0, v39
	s_and_saveexec_b64 s[24:25], vcc
	s_cbranch_execz .LBB2757_62
; %bb.40:
	v_mov_b32_e32 v25, 0
	ds_read_b32 v16, v25 offset:12
	s_and_saveexec_b64 s[34:35], s[18:19]
	s_cbranch_execz .LBB2757_42
; %bb.41:
	s_add_i32 s36, s38, 64
	s_mov_b32 s37, 0
	s_lshl_b64 s[36:37], s[36:37], 3
	s_add_u32 s36, s30, s36
	v_mov_b32_e32 v17, 1
	s_addc_u32 s37, s31, s37
	s_waitcnt lgkmcnt(0)
	global_store_dwordx2 v25, v[16:17], s[36:37]
.LBB2757_42:
	s_or_b64 exec, exec, s[34:35]
	v_xad_u32 v18, v39, -1, s38
	v_add_u32_e32 v24, 64, v18
	v_lshlrev_b64 v[20:21], 3, v[24:25]
	v_mov_b32_e32 v17, s31
	v_add_co_u32_e32 v20, vcc, s30, v20
	v_addc_co_u32_e32 v21, vcc, v17, v21, vcc
	global_load_dwordx2 v[22:23], v[20:21], off glc
	s_waitcnt vmcnt(0)
	v_cmp_eq_u16_sdwa s[36:37], v23, v25 src0_sel:BYTE_0 src1_sel:DWORD
	s_and_saveexec_b64 s[34:35], s[36:37]
	s_cbranch_execz .LBB2757_48
; %bb.43:
	s_mov_b32 s39, 1
	s_mov_b64 s[36:37], 0
	v_mov_b32_e32 v17, 0
.LBB2757_44:                            ; =>This Loop Header: Depth=1
                                        ;     Child Loop BB2757_45 Depth 2
	s_max_u32 s40, s39, 1
.LBB2757_45:                            ;   Parent Loop BB2757_44 Depth=1
                                        ; =>  This Inner Loop Header: Depth=2
	s_add_i32 s40, s40, -1
	s_cmp_eq_u32 s40, 0
	s_sleep 1
	s_cbranch_scc0 .LBB2757_45
; %bb.46:                               ;   in Loop: Header=BB2757_44 Depth=1
	global_load_dwordx2 v[22:23], v[20:21], off glc
	s_cmp_lt_u32 s39, 32
	s_cselect_b64 s[40:41], -1, 0
	s_cmp_lg_u64 s[40:41], 0
	s_addc_u32 s39, s39, 0
	s_waitcnt vmcnt(0)
	v_cmp_ne_u16_sdwa s[40:41], v23, v17 src0_sel:BYTE_0 src1_sel:DWORD
	s_or_b64 s[36:37], s[40:41], s[36:37]
	s_andn2_b64 exec, exec, s[36:37]
	s_cbranch_execnz .LBB2757_44
; %bb.47:
	s_or_b64 exec, exec, s[36:37]
.LBB2757_48:
	s_or_b64 exec, exec, s[34:35]
	v_and_b32_e32 v45, 63, v39
	v_mov_b32_e32 v44, 2
	v_cmp_ne_u32_e32 vcc, 63, v45
	v_cmp_eq_u16_sdwa s[34:35], v23, v44 src0_sel:BYTE_0 src1_sel:DWORD
	v_lshlrev_b64 v[20:21], v39, -1
	v_addc_co_u32_e32 v24, vcc, 0, v39, vcc
	v_and_b32_e32 v17, s35, v21
	v_lshlrev_b32_e32 v46, 2, v24
	v_or_b32_e32 v17, 0x80000000, v17
	ds_bpermute_b32 v24, v46, v22
	v_and_b32_e32 v19, s34, v20
	v_ffbl_b32_e32 v17, v17
	v_add_u32_e32 v17, 32, v17
	v_ffbl_b32_e32 v19, v19
	v_min_u32_e32 v17, v19, v17
	v_cmp_lt_u32_e32 vcc, v45, v17
	s_waitcnt lgkmcnt(0)
	v_cndmask_b32_e32 v19, 0, v24, vcc
	v_cmp_gt_u32_e32 vcc, 62, v45
	v_add_u32_e32 v19, v19, v22
	v_cndmask_b32_e64 v22, 0, 1, vcc
	v_lshlrev_b32_e32 v22, 1, v22
	v_add_lshl_u32 v47, v22, v39, 2
	ds_bpermute_b32 v22, v47, v19
	v_add_u32_e32 v48, 2, v45
	v_cmp_le_u32_e32 vcc, v48, v17
	v_add_u32_e32 v50, 4, v45
	v_add_u32_e32 v52, 8, v45
	s_waitcnt lgkmcnt(0)
	v_cndmask_b32_e32 v22, 0, v22, vcc
	v_cmp_gt_u32_e32 vcc, 60, v45
	v_add_u32_e32 v19, v19, v22
	v_cndmask_b32_e64 v22, 0, 1, vcc
	v_lshlrev_b32_e32 v22, 2, v22
	v_add_lshl_u32 v49, v22, v39, 2
	ds_bpermute_b32 v22, v49, v19
	v_cmp_le_u32_e32 vcc, v50, v17
	v_add_u32_e32 v54, 16, v45
	v_add_u32_e32 v56, 32, v45
	s_waitcnt lgkmcnt(0)
	v_cndmask_b32_e32 v22, 0, v22, vcc
	v_cmp_gt_u32_e32 vcc, 56, v45
	v_add_u32_e32 v19, v19, v22
	v_cndmask_b32_e64 v22, 0, 1, vcc
	v_lshlrev_b32_e32 v22, 3, v22
	v_add_lshl_u32 v51, v22, v39, 2
	ds_bpermute_b32 v22, v51, v19
	v_cmp_le_u32_e32 vcc, v52, v17
	s_waitcnt lgkmcnt(0)
	v_cndmask_b32_e32 v22, 0, v22, vcc
	v_cmp_gt_u32_e32 vcc, 48, v45
	v_add_u32_e32 v19, v19, v22
	v_cndmask_b32_e64 v22, 0, 1, vcc
	v_lshlrev_b32_e32 v22, 4, v22
	v_add_lshl_u32 v53, v22, v39, 2
	ds_bpermute_b32 v22, v53, v19
	v_cmp_le_u32_e32 vcc, v54, v17
	;; [unrolled: 9-line block ×3, first 2 shown]
	s_waitcnt lgkmcnt(0)
	v_cndmask_b32_e32 v17, 0, v22, vcc
	v_add_u32_e32 v22, v19, v17
	v_mov_b32_e32 v19, 0
	s_branch .LBB2757_50
.LBB2757_49:                            ;   in Loop: Header=BB2757_50 Depth=1
	s_or_b64 exec, exec, s[34:35]
	v_cmp_eq_u16_sdwa s[34:35], v23, v44 src0_sel:BYTE_0 src1_sel:DWORD
	v_and_b32_e32 v24, s35, v21
	v_or_b32_e32 v24, 0x80000000, v24
	ds_bpermute_b32 v57, v46, v22
	v_and_b32_e32 v25, s34, v20
	v_ffbl_b32_e32 v24, v24
	v_add_u32_e32 v24, 32, v24
	v_ffbl_b32_e32 v25, v25
	v_min_u32_e32 v24, v25, v24
	v_cmp_lt_u32_e32 vcc, v45, v24
	s_waitcnt lgkmcnt(0)
	v_cndmask_b32_e32 v25, 0, v57, vcc
	v_add_u32_e32 v22, v25, v22
	ds_bpermute_b32 v25, v47, v22
	v_cmp_le_u32_e32 vcc, v48, v24
	v_subrev_u32_e32 v18, 64, v18
	s_waitcnt lgkmcnt(0)
	v_cndmask_b32_e32 v25, 0, v25, vcc
	v_add_u32_e32 v22, v22, v25
	ds_bpermute_b32 v25, v49, v22
	v_cmp_le_u32_e32 vcc, v50, v24
	s_waitcnt lgkmcnt(0)
	v_cndmask_b32_e32 v25, 0, v25, vcc
	v_add_u32_e32 v22, v22, v25
	ds_bpermute_b32 v25, v51, v22
	v_cmp_le_u32_e32 vcc, v52, v24
	;; [unrolled: 5-line block ×4, first 2 shown]
	s_waitcnt lgkmcnt(0)
	v_cndmask_b32_e32 v24, 0, v25, vcc
	v_add3_u32 v22, v24, v17, v22
.LBB2757_50:                            ; =>This Loop Header: Depth=1
                                        ;     Child Loop BB2757_53 Depth 2
                                        ;       Child Loop BB2757_54 Depth 3
	v_cmp_ne_u16_sdwa s[34:35], v23, v44 src0_sel:BYTE_0 src1_sel:DWORD
	v_cndmask_b32_e64 v17, 0, 1, s[34:35]
	;;#ASMSTART
	;;#ASMEND
	v_cmp_ne_u32_e32 vcc, 0, v17
	s_cmp_lg_u64 vcc, exec
	v_mov_b32_e32 v17, v22
	s_cbranch_scc1 .LBB2757_57
; %bb.51:                               ;   in Loop: Header=BB2757_50 Depth=1
	v_lshlrev_b64 v[22:23], 3, v[18:19]
	v_mov_b32_e32 v25, s31
	v_add_co_u32_e32 v24, vcc, s30, v22
	v_addc_co_u32_e32 v25, vcc, v25, v23, vcc
	global_load_dwordx2 v[22:23], v[24:25], off glc
	s_waitcnt vmcnt(0)
	v_cmp_eq_u16_sdwa s[36:37], v23, v19 src0_sel:BYTE_0 src1_sel:DWORD
	s_and_saveexec_b64 s[34:35], s[36:37]
	s_cbranch_execz .LBB2757_49
; %bb.52:                               ;   in Loop: Header=BB2757_50 Depth=1
	s_mov_b32 s39, 1
	s_mov_b64 s[36:37], 0
.LBB2757_53:                            ;   Parent Loop BB2757_50 Depth=1
                                        ; =>  This Loop Header: Depth=2
                                        ;       Child Loop BB2757_54 Depth 3
	s_max_u32 s40, s39, 1
.LBB2757_54:                            ;   Parent Loop BB2757_50 Depth=1
                                        ;     Parent Loop BB2757_53 Depth=2
                                        ; =>    This Inner Loop Header: Depth=3
	s_add_i32 s40, s40, -1
	s_cmp_eq_u32 s40, 0
	s_sleep 1
	s_cbranch_scc0 .LBB2757_54
; %bb.55:                               ;   in Loop: Header=BB2757_53 Depth=2
	global_load_dwordx2 v[22:23], v[24:25], off glc
	s_cmp_lt_u32 s39, 32
	s_cselect_b64 s[40:41], -1, 0
	s_cmp_lg_u64 s[40:41], 0
	s_addc_u32 s39, s39, 0
	s_waitcnt vmcnt(0)
	v_cmp_ne_u16_sdwa s[40:41], v23, v19 src0_sel:BYTE_0 src1_sel:DWORD
	s_or_b64 s[36:37], s[40:41], s[36:37]
	s_andn2_b64 exec, exec, s[36:37]
	s_cbranch_execnz .LBB2757_53
; %bb.56:                               ;   in Loop: Header=BB2757_50 Depth=1
	s_or_b64 exec, exec, s[36:37]
	s_branch .LBB2757_49
.LBB2757_57:                            ;   in Loop: Header=BB2757_50 Depth=1
                                        ; implicit-def: $vgpr22
                                        ; implicit-def: $vgpr23
	s_cbranch_execz .LBB2757_50
; %bb.58:
	s_and_saveexec_b64 s[34:35], s[18:19]
	s_cbranch_execz .LBB2757_60
; %bb.59:
	s_add_i32 s36, s38, 64
	s_mov_b32 s37, 0
	s_lshl_b64 s[36:37], s[36:37], 3
	s_add_u32 s36, s30, s36
	v_add_u32_e32 v18, v17, v16
	v_mov_b32_e32 v19, 2
	s_addc_u32 s37, s31, s37
	v_mov_b32_e32 v20, 0
	global_store_dwordx2 v20, v[18:19], s[36:37]
	ds_write_b64 v20, v[16:17] offset:10240
.LBB2757_60:
	s_or_b64 exec, exec, s[34:35]
	s_and_b64 exec, exec, s[0:1]
	s_cbranch_execz .LBB2757_62
; %bb.61:
	v_mov_b32_e32 v16, 0
	ds_write_b32 v16, v17 offset:12
.LBB2757_62:
	s_or_b64 exec, exec, s[24:25]
	v_mov_b32_e32 v16, 0
	s_waitcnt lgkmcnt(0)
	s_barrier
	ds_read_b32 v17, v16 offset:12
	v_cndmask_b32_e64 v18, v43, v42, s[18:19]
	v_cndmask_b32_e64 v18, v18, 0, s[0:1]
	s_waitcnt lgkmcnt(0)
	s_barrier
	v_add_u32_e32 v43, v17, v18
	v_add_u32_sdwa v42, v43, v30 dst_sel:DWORD dst_unused:UNUSED_PAD src0_sel:DWORD src1_sel:BYTE_0
	v_add_u32_sdwa v25, v42, v30 dst_sel:DWORD dst_unused:UNUSED_PAD src0_sel:DWORD src1_sel:BYTE_1
	v_add_u32_e32 v24, v25, v34
	v_add_u32_e32 v23, v24, v32
	;; [unrolled: 1-line block ×3, first 2 shown]
	ds_read_b64 v[16:17], v16 offset:10240
	v_add_u32_e32 v21, v22, v36
	v_add_u32_e32 v20, v21, v37
	;; [unrolled: 1-line block ×4, first 2 shown]
	s_branch .LBB2757_73
.LBB2757_63:
                                        ; implicit-def: $vgpr17
                                        ; implicit-def: $vgpr18
                                        ; implicit-def: $vgpr19
                                        ; implicit-def: $vgpr20
                                        ; implicit-def: $vgpr21
                                        ; implicit-def: $vgpr22
                                        ; implicit-def: $vgpr23
                                        ; implicit-def: $vgpr24
                                        ; implicit-def: $vgpr25
                                        ; implicit-def: $vgpr42
                                        ; implicit-def: $vgpr43
	s_cbranch_execz .LBB2757_73
; %bb.64:
	s_waitcnt lgkmcnt(0)
	v_mov_b32_dpp v16, v41 row_shr:1 row_mask:0xf bank_mask:0xf
	v_cndmask_b32_e64 v16, v16, 0, s[16:17]
	v_add_u32_e32 v16, v16, v41
	s_nop 1
	v_mov_b32_dpp v17, v16 row_shr:2 row_mask:0xf bank_mask:0xf
	v_cndmask_b32_e64 v17, 0, v17, s[14:15]
	v_add_u32_e32 v16, v16, v17
	s_nop 1
	;; [unrolled: 4-line block ×4, first 2 shown]
	v_mov_b32_dpp v17, v16 row_bcast:15 row_mask:0xf bank_mask:0xf
	v_cndmask_b32_e64 v17, v17, 0, s[8:9]
	v_add_u32_e32 v16, v16, v17
	s_nop 1
	v_mov_b32_dpp v17, v16 row_bcast:31 row_mask:0xf bank_mask:0xf
	v_cndmask_b32_e64 v17, 0, v17, s[4:5]
	v_add_u32_e32 v16, v16, v17
	s_and_saveexec_b64 s[4:5], s[6:7]
	s_cbranch_execz .LBB2757_66
; %bb.65:
	v_lshlrev_b32_e32 v17, 2, v40
	ds_write_b32 v17, v16
.LBB2757_66:
	s_or_b64 exec, exec, s[4:5]
	v_cmp_gt_u32_e32 vcc, 4, v0
	s_waitcnt lgkmcnt(0)
	s_barrier
	s_and_saveexec_b64 s[4:5], vcc
	s_cbranch_execz .LBB2757_68
; %bb.67:
	s_movk_i32 s6, 0xffdc
	v_mad_i32_i24 v17, v0, s6, v33
	ds_read_b32 v18, v17
	v_and_b32_e32 v19, 3, v39
	v_cmp_ne_u32_e32 vcc, 0, v19
	s_waitcnt lgkmcnt(0)
	v_mov_b32_dpp v20, v18 row_shr:1 row_mask:0xf bank_mask:0xf
	v_cndmask_b32_e32 v20, 0, v20, vcc
	v_add_u32_e32 v18, v20, v18
	v_cmp_lt_u32_e32 vcc, 1, v19
	s_nop 0
	v_mov_b32_dpp v20, v18 row_shr:2 row_mask:0xf bank_mask:0xf
	v_cndmask_b32_e32 v19, 0, v20, vcc
	v_add_u32_e32 v18, v18, v19
	ds_write_b32 v17, v18
.LBB2757_68:
	s_or_b64 exec, exec, s[4:5]
	v_cmp_lt_u32_e32 vcc, 63, v0
	v_mov_b32_e32 v17, 0
	v_mov_b32_e32 v18, 0
	s_waitcnt lgkmcnt(0)
	s_barrier
	s_and_saveexec_b64 s[4:5], vcc
	s_cbranch_execz .LBB2757_70
; %bb.69:
	v_lshl_add_u32 v18, v40, 2, -4
	ds_read_b32 v18, v18
.LBB2757_70:
	s_or_b64 exec, exec, s[4:5]
	v_add_u32_e32 v19, -1, v39
	v_and_b32_e32 v20, 64, v39
	v_cmp_lt_i32_e32 vcc, v19, v20
	v_cndmask_b32_e32 v19, v19, v39, vcc
	s_waitcnt lgkmcnt(0)
	v_add_u32_e32 v16, v18, v16
	v_lshlrev_b32_e32 v19, 2, v19
	ds_bpermute_b32 v19, v19, v16
	ds_read_b32 v16, v17 offset:12
	s_and_saveexec_b64 s[4:5], s[0:1]
	s_cbranch_execz .LBB2757_72
; %bb.71:
	v_mov_b32_e32 v20, 0
	v_mov_b32_e32 v17, 2
	s_waitcnt lgkmcnt(0)
	global_store_dwordx2 v20, v[16:17], s[30:31] offset:512
.LBB2757_72:
	s_or_b64 exec, exec, s[4:5]
	v_cmp_eq_u32_e32 vcc, 0, v39
	s_waitcnt lgkmcnt(1)
	v_cndmask_b32_e32 v18, v19, v18, vcc
	v_cndmask_b32_e64 v43, v18, 0, s[0:1]
	v_add_u32_sdwa v42, v43, v30 dst_sel:DWORD dst_unused:UNUSED_PAD src0_sel:DWORD src1_sel:BYTE_0
	v_add_u32_sdwa v25, v42, v30 dst_sel:DWORD dst_unused:UNUSED_PAD src0_sel:DWORD src1_sel:BYTE_1
	v_add_u32_e32 v24, v25, v34
	v_add_u32_e32 v23, v24, v32
	;; [unrolled: 1-line block ×6, first 2 shown]
	v_mov_b32_e32 v17, 0
	v_add_u32_e32 v18, v19, v38
	s_waitcnt lgkmcnt(0)
	s_barrier
.LBB2757_73:
	s_waitcnt lgkmcnt(0)
	v_add_u32_e32 v27, v16, v27
	v_sub_u32_e32 v35, v43, v17
	v_and_b32_e32 v37, 1, v30
	v_sub_u32_e32 v36, v27, v35
	v_cmp_eq_u32_e32 vcc, 1, v37
	v_cndmask_b32_e32 v35, v36, v35, vcc
	v_lshlrev_b32_e32 v35, 2, v35
	v_lshrrev_b32_e32 v34, 8, v30
	ds_write_b32 v35, v6
	v_sub_u32_e32 v6, v42, v17
	v_sub_u32_e32 v35, v27, v6
	v_and_b32_e32 v34, 1, v34
	v_add_u32_e32 v35, 1, v35
	v_cmp_eq_u32_e32 vcc, 1, v34
	v_cndmask_b32_e32 v6, v35, v6, vcc
	v_lshlrev_b32_e32 v6, 2, v6
	ds_write_b32 v6, v7
	v_sub_u32_e32 v6, v25, v17
	v_mov_b32_e32 v25, 1
	v_sub_u32_e32 v7, v27, v6
	v_and_b32_sdwa v30, v25, v30 dst_sel:DWORD dst_unused:UNUSED_PAD src0_sel:DWORD src1_sel:WORD_1
	v_add_u32_e32 v7, 2, v7
	v_cmp_eq_u32_e32 vcc, 1, v30
	v_cndmask_b32_e32 v6, v7, v6, vcc
	v_lshlrev_b32_e32 v6, 2, v6
	ds_write_b32 v6, v8
	v_sub_u32_e32 v6, v24, v17
	v_sub_u32_e32 v7, v27, v6
	v_and_b32_e32 v8, 1, v32
	v_add_u32_e32 v7, 3, v7
	v_cmp_eq_u32_e32 vcc, 1, v8
	v_cndmask_b32_e32 v6, v7, v6, vcc
	v_lshlrev_b32_e32 v6, 2, v6
	ds_write_b32 v6, v9
	v_sub_u32_e32 v6, v23, v17
	v_sub_u32_e32 v7, v27, v6
	v_and_b32_e32 v8, 1, v29
	v_add_u32_e32 v7, 4, v7
	v_cmp_eq_u32_e32 vcc, 1, v8
	v_cndmask_b32_e32 v6, v7, v6, vcc
	v_lshlrev_b32_e32 v6, 2, v6
	v_lshrrev_b32_e32 v33, 8, v29
	ds_write_b32 v6, v2
	v_sub_u32_e32 v2, v22, v17
	v_sub_u32_e32 v6, v27, v2
	v_and_b32_e32 v7, 1, v33
	v_add_u32_e32 v6, 5, v6
	v_cmp_eq_u32_e32 vcc, 1, v7
	v_cndmask_b32_e32 v2, v6, v2, vcc
	v_lshlrev_b32_e32 v2, 2, v2
	ds_write_b32 v2, v3
	v_sub_u32_e32 v2, v21, v17
	v_sub_u32_e32 v3, v27, v2
	v_and_b32_sdwa v6, v25, v29 dst_sel:DWORD dst_unused:UNUSED_PAD src0_sel:DWORD src1_sel:WORD_1
	v_add_u32_e32 v3, 6, v3
	v_cmp_eq_u32_e32 vcc, 1, v6
	v_cndmask_b32_e32 v2, v3, v2, vcc
	v_lshlrev_b32_e32 v2, 2, v2
	ds_write_b32 v2, v4
	v_sub_u32_e32 v2, v20, v17
	v_sub_u32_e32 v3, v27, v2
	v_and_b32_e32 v4, 1, v31
	v_add_u32_e32 v3, 7, v3
	v_cmp_eq_u32_e32 vcc, 1, v4
	v_cndmask_b32_e32 v2, v3, v2, vcc
	v_lshlrev_b32_e32 v2, 2, v2
	ds_write_b32 v2, v5
	v_sub_u32_e32 v2, v19, v17
	v_sub_u32_e32 v3, v27, v2
	v_and_b32_e32 v4, 1, v28
	;; [unrolled: 8-line block ×3, first 2 shown]
	v_add_u32_e32 v3, 9, v3
	v_cmp_eq_u32_e32 vcc, 1, v1
	v_cndmask_b32_e32 v1, v3, v2, vcc
	v_lshlrev_b32_e32 v1, 2, v1
	ds_write_b32 v1, v11
	s_waitcnt vmcnt(0)
	v_add_co_u32_e32 v1, vcc, v12, v16
	v_addc_co_u32_e32 v3, vcc, 0, v13, vcc
	v_add_co_u32_e32 v2, vcc, v1, v17
	v_addc_co_u32_e32 v3, vcc, 0, v3, vcc
	v_mov_b32_e32 v1, s27
	v_sub_co_u32_e32 v12, vcc, s26, v2
	v_subb_co_u32_e32 v13, vcc, v1, v3, vcc
	v_lshlrev_b64 v[12:13], 2, v[12:13]
	s_waitcnt lgkmcnt(0)
	s_barrier
	ds_read2st64_b32 v[20:21], v26 offset1:4
	ds_read2st64_b32 v[18:19], v26 offset0:8 offset1:12
	ds_read2st64_b32 v[10:11], v26 offset0:16 offset1:20
	;; [unrolled: 1-line block ×4, first 2 shown]
	v_mov_b32_e32 v1, s29
	v_add_co_u32_e32 v6, vcc, s28, v12
	v_addc_co_u32_e32 v1, vcc, v1, v13, vcc
	v_add_co_u32_e32 v6, vcc, v6, v14
	v_addc_co_u32_e32 v1, vcc, v1, v15, vcc
	v_or_b32_e32 v30, 0x100, v0
	v_or_b32_e32 v29, 0x200, v0
	;; [unrolled: 1-line block ×9, first 2 shown]
	s_and_b64 vcc, exec, s[2:3]
	v_cmp_le_u32_e64 s[2:3], v16, v0
	s_cbranch_vccnz .LBB2757_85
; %bb.74:
	s_and_saveexec_b64 s[4:5], s[2:3]
	s_cbranch_execnz .LBB2757_110
; %bb.75:
	s_or_b64 exec, exec, s[4:5]
	v_cmp_ge_u32_e32 vcc, v30, v16
	s_and_saveexec_b64 s[2:3], vcc
	s_cbranch_execnz .LBB2757_111
.LBB2757_76:
	s_or_b64 exec, exec, s[2:3]
	v_cmp_ge_u32_e32 vcc, v29, v16
	s_and_saveexec_b64 s[2:3], vcc
	s_cbranch_execnz .LBB2757_112
.LBB2757_77:
	s_or_b64 exec, exec, s[2:3]
	v_cmp_ge_u32_e32 vcc, v28, v16
	s_and_saveexec_b64 s[2:3], vcc
	s_cbranch_execnz .LBB2757_113
.LBB2757_78:
	s_or_b64 exec, exec, s[2:3]
	v_cmp_ge_u32_e32 vcc, v27, v16
	s_and_saveexec_b64 s[2:3], vcc
	s_cbranch_execnz .LBB2757_114
.LBB2757_79:
	s_or_b64 exec, exec, s[2:3]
	v_cmp_ge_u32_e32 vcc, v25, v16
	s_and_saveexec_b64 s[2:3], vcc
	s_cbranch_execnz .LBB2757_115
.LBB2757_80:
	s_or_b64 exec, exec, s[2:3]
	v_cmp_ge_u32_e32 vcc, v24, v16
	s_and_saveexec_b64 s[2:3], vcc
	s_cbranch_execnz .LBB2757_116
.LBB2757_81:
	s_or_b64 exec, exec, s[2:3]
	v_cmp_ge_u32_e32 vcc, v23, v16
	s_and_saveexec_b64 s[2:3], vcc
	s_cbranch_execnz .LBB2757_117
.LBB2757_82:
	s_or_b64 exec, exec, s[2:3]
	v_cmp_ge_u32_e32 vcc, v22, v16
	s_and_saveexec_b64 s[2:3], vcc
	s_cbranch_execz .LBB2757_84
.LBB2757_83:
	v_lshlrev_b32_e32 v12, 2, v22
	v_readfirstlane_b32 s4, v6
	v_readfirstlane_b32 s5, v1
	s_waitcnt lgkmcnt(0)
	s_nop 3
	global_store_dword v12, v4, s[4:5]
.LBB2757_84:
	s_or_b64 exec, exec, s[2:3]
	v_cmp_ge_u32_e64 s[2:3], v7, v16
	s_branch .LBB2757_105
.LBB2757_85:
	s_mov_b64 s[2:3], 0
	s_cbranch_execz .LBB2757_105
; %bb.86:
	v_cmp_gt_u32_e32 vcc, s33, v0
	v_cmp_le_u32_e64 s[2:3], v16, v0
	s_and_b64 s[4:5], vcc, s[2:3]
	s_and_saveexec_b64 s[2:3], s[4:5]
	s_cbranch_execz .LBB2757_88
; %bb.87:
	v_readfirstlane_b32 s4, v6
	v_readfirstlane_b32 s5, v1
	s_waitcnt lgkmcnt(4)
	s_nop 3
	global_store_dword v26, v20, s[4:5]
.LBB2757_88:
	s_or_b64 exec, exec, s[2:3]
	v_cmp_gt_u32_e32 vcc, s33, v30
	v_cmp_ge_u32_e64 s[2:3], v30, v16
	s_and_b64 s[4:5], vcc, s[2:3]
	s_and_saveexec_b64 s[2:3], s[4:5]
	s_cbranch_execz .LBB2757_90
; %bb.89:
	v_readfirstlane_b32 s4, v6
	v_readfirstlane_b32 s5, v1
	s_waitcnt lgkmcnt(4)
	s_nop 3
	global_store_dword v26, v21, s[4:5] offset:1024
.LBB2757_90:
	s_or_b64 exec, exec, s[2:3]
	v_cmp_gt_u32_e32 vcc, s33, v29
	v_cmp_ge_u32_e64 s[2:3], v29, v16
	s_and_b64 s[4:5], vcc, s[2:3]
	s_and_saveexec_b64 s[2:3], s[4:5]
	s_cbranch_execz .LBB2757_92
; %bb.91:
	v_readfirstlane_b32 s4, v6
	v_readfirstlane_b32 s5, v1
	s_waitcnt lgkmcnt(3)
	s_nop 3
	global_store_dword v26, v18, s[4:5] offset:2048
.LBB2757_92:
	;; [unrolled: 13-line block ×3, first 2 shown]
	s_or_b64 exec, exec, s[2:3]
	v_cmp_gt_u32_e32 vcc, s33, v27
	v_cmp_ge_u32_e64 s[2:3], v27, v16
	s_and_b64 s[4:5], vcc, s[2:3]
	s_and_saveexec_b64 s[2:3], s[4:5]
	s_cbranch_execz .LBB2757_96
; %bb.95:
	v_lshlrev_b32_e32 v0, 2, v27
	v_readfirstlane_b32 s4, v6
	v_readfirstlane_b32 s5, v1
	s_waitcnt lgkmcnt(2)
	s_nop 3
	global_store_dword v0, v10, s[4:5]
.LBB2757_96:
	s_or_b64 exec, exec, s[2:3]
	v_cmp_gt_u32_e32 vcc, s33, v25
	v_cmp_ge_u32_e64 s[2:3], v25, v16
	s_and_b64 s[4:5], vcc, s[2:3]
	s_and_saveexec_b64 s[2:3], s[4:5]
	s_cbranch_execz .LBB2757_98
; %bb.97:
	v_lshlrev_b32_e32 v0, 2, v25
	v_readfirstlane_b32 s4, v6
	v_readfirstlane_b32 s5, v1
	s_waitcnt lgkmcnt(2)
	s_nop 3
	global_store_dword v0, v11, s[4:5]
.LBB2757_98:
	;; [unrolled: 14-line block ×5, first 2 shown]
	s_or_b64 exec, exec, s[2:3]
	v_cmp_gt_u32_e32 vcc, s33, v7
	v_cmp_ge_u32_e64 s[2:3], v7, v16
	s_and_b64 s[2:3], vcc, s[2:3]
.LBB2757_105:
	s_and_saveexec_b64 s[4:5], s[2:3]
	s_cbranch_execnz .LBB2757_108
; %bb.106:
	s_or_b64 exec, exec, s[4:5]
	s_and_b64 s[0:1], s[0:1], s[22:23]
	s_and_saveexec_b64 s[2:3], s[0:1]
	s_cbranch_execnz .LBB2757_109
.LBB2757_107:
	s_endpgm
.LBB2757_108:
	v_lshlrev_b32_e32 v0, 2, v7
	v_readfirstlane_b32 s2, v6
	v_readfirstlane_b32 s3, v1
	s_waitcnt lgkmcnt(0)
	s_nop 3
	global_store_dword v0, v5, s[2:3]
	s_or_b64 exec, exec, s[4:5]
	s_and_b64 s[0:1], s[0:1], s[22:23]
	s_and_saveexec_b64 s[2:3], s[0:1]
	s_cbranch_execz .LBB2757_107
.LBB2757_109:
	v_mov_b32_e32 v0, 0
	global_store_dwordx2 v0, v[2:3], s[20:21]
	s_endpgm
.LBB2757_110:
	v_readfirstlane_b32 s2, v6
	v_readfirstlane_b32 s3, v1
	s_waitcnt lgkmcnt(4)
	s_nop 3
	global_store_dword v26, v20, s[2:3]
	s_or_b64 exec, exec, s[4:5]
	v_cmp_ge_u32_e32 vcc, v30, v16
	s_and_saveexec_b64 s[2:3], vcc
	s_cbranch_execz .LBB2757_76
.LBB2757_111:
	v_readfirstlane_b32 s4, v6
	v_readfirstlane_b32 s5, v1
	s_waitcnt lgkmcnt(4)
	s_nop 3
	global_store_dword v26, v21, s[4:5] offset:1024
	s_or_b64 exec, exec, s[2:3]
	v_cmp_ge_u32_e32 vcc, v29, v16
	s_and_saveexec_b64 s[2:3], vcc
	s_cbranch_execz .LBB2757_77
.LBB2757_112:
	v_readfirstlane_b32 s4, v6
	v_readfirstlane_b32 s5, v1
	s_waitcnt lgkmcnt(3)
	s_nop 3
	global_store_dword v26, v18, s[4:5] offset:2048
	s_or_b64 exec, exec, s[2:3]
	v_cmp_ge_u32_e32 vcc, v28, v16
	s_and_saveexec_b64 s[2:3], vcc
	s_cbranch_execz .LBB2757_78
.LBB2757_113:
	v_readfirstlane_b32 s4, v6
	v_readfirstlane_b32 s5, v1
	s_waitcnt lgkmcnt(3)
	s_nop 3
	global_store_dword v26, v19, s[4:5] offset:3072
	s_or_b64 exec, exec, s[2:3]
	v_cmp_ge_u32_e32 vcc, v27, v16
	s_and_saveexec_b64 s[2:3], vcc
	s_cbranch_execz .LBB2757_79
.LBB2757_114:
	v_lshlrev_b32_e32 v12, 2, v27
	v_readfirstlane_b32 s4, v6
	v_readfirstlane_b32 s5, v1
	s_waitcnt lgkmcnt(2)
	s_nop 3
	global_store_dword v12, v10, s[4:5]
	s_or_b64 exec, exec, s[2:3]
	v_cmp_ge_u32_e32 vcc, v25, v16
	s_and_saveexec_b64 s[2:3], vcc
	s_cbranch_execz .LBB2757_80
.LBB2757_115:
	v_lshlrev_b32_e32 v12, 2, v25
	v_readfirstlane_b32 s4, v6
	v_readfirstlane_b32 s5, v1
	s_waitcnt lgkmcnt(2)
	s_nop 3
	global_store_dword v12, v11, s[4:5]
	s_or_b64 exec, exec, s[2:3]
	v_cmp_ge_u32_e32 vcc, v24, v16
	s_and_saveexec_b64 s[2:3], vcc
	s_cbranch_execz .LBB2757_81
.LBB2757_116:
	v_lshlrev_b32_e32 v12, 2, v24
	v_readfirstlane_b32 s4, v6
	v_readfirstlane_b32 s5, v1
	s_waitcnt lgkmcnt(1)
	s_nop 3
	global_store_dword v12, v8, s[4:5]
	s_or_b64 exec, exec, s[2:3]
	v_cmp_ge_u32_e32 vcc, v23, v16
	s_and_saveexec_b64 s[2:3], vcc
	s_cbranch_execz .LBB2757_82
.LBB2757_117:
	v_lshlrev_b32_e32 v12, 2, v23
	v_readfirstlane_b32 s4, v6
	v_readfirstlane_b32 s5, v1
	s_waitcnt lgkmcnt(1)
	s_nop 3
	global_store_dword v12, v9, s[4:5]
	s_or_b64 exec, exec, s[2:3]
	v_cmp_ge_u32_e32 vcc, v22, v16
	s_and_saveexec_b64 s[2:3], vcc
	s_cbranch_execnz .LBB2757_83
	s_branch .LBB2757_84
	.section	.rodata,"a",@progbits
	.p2align	6, 0x0
	.amdhsa_kernel _ZN7rocprim17ROCPRIM_400000_NS6detail17trampoline_kernelINS0_14default_configENS1_25partition_config_selectorILNS1_17partition_subalgoE0EiNS0_10empty_typeEbEEZZNS1_14partition_implILS5_0ELb0ES3_jN6thrust23THRUST_200600_302600_NS6detail15normal_iteratorINSA_10device_ptrIiEEEEPS6_SG_NS0_5tupleIJNSA_16discard_iteratorINSA_11use_defaultEEESF_EEENSH_IJSG_SG_EEES6_PlJ7is_evenIiEEEE10hipError_tPvRmT3_T4_T5_T6_T7_T9_mT8_P12ihipStream_tbDpT10_ENKUlT_T0_E_clISt17integral_constantIbLb1EES19_EEDaS14_S15_EUlS14_E_NS1_11comp_targetILNS1_3genE4ELNS1_11target_archE910ELNS1_3gpuE8ELNS1_3repE0EEENS1_30default_config_static_selectorELNS0_4arch9wavefront6targetE1EEEvT1_
		.amdhsa_group_segment_fixed_size 10248
		.amdhsa_private_segment_fixed_size 0
		.amdhsa_kernarg_size 144
		.amdhsa_user_sgpr_count 6
		.amdhsa_user_sgpr_private_segment_buffer 1
		.amdhsa_user_sgpr_dispatch_ptr 0
		.amdhsa_user_sgpr_queue_ptr 0
		.amdhsa_user_sgpr_kernarg_segment_ptr 1
		.amdhsa_user_sgpr_dispatch_id 0
		.amdhsa_user_sgpr_flat_scratch_init 0
		.amdhsa_user_sgpr_kernarg_preload_length 0
		.amdhsa_user_sgpr_kernarg_preload_offset 0
		.amdhsa_user_sgpr_private_segment_size 0
		.amdhsa_uses_dynamic_stack 0
		.amdhsa_system_sgpr_private_segment_wavefront_offset 0
		.amdhsa_system_sgpr_workgroup_id_x 1
		.amdhsa_system_sgpr_workgroup_id_y 0
		.amdhsa_system_sgpr_workgroup_id_z 0
		.amdhsa_system_sgpr_workgroup_info 0
		.amdhsa_system_vgpr_workitem_id 0
		.amdhsa_next_free_vgpr 58
		.amdhsa_next_free_sgpr 42
		.amdhsa_accum_offset 60
		.amdhsa_reserve_vcc 1
		.amdhsa_reserve_flat_scratch 0
		.amdhsa_float_round_mode_32 0
		.amdhsa_float_round_mode_16_64 0
		.amdhsa_float_denorm_mode_32 3
		.amdhsa_float_denorm_mode_16_64 3
		.amdhsa_dx10_clamp 1
		.amdhsa_ieee_mode 1
		.amdhsa_fp16_overflow 0
		.amdhsa_tg_split 0
		.amdhsa_exception_fp_ieee_invalid_op 0
		.amdhsa_exception_fp_denorm_src 0
		.amdhsa_exception_fp_ieee_div_zero 0
		.amdhsa_exception_fp_ieee_overflow 0
		.amdhsa_exception_fp_ieee_underflow 0
		.amdhsa_exception_fp_ieee_inexact 0
		.amdhsa_exception_int_div_zero 0
	.end_amdhsa_kernel
	.section	.text._ZN7rocprim17ROCPRIM_400000_NS6detail17trampoline_kernelINS0_14default_configENS1_25partition_config_selectorILNS1_17partition_subalgoE0EiNS0_10empty_typeEbEEZZNS1_14partition_implILS5_0ELb0ES3_jN6thrust23THRUST_200600_302600_NS6detail15normal_iteratorINSA_10device_ptrIiEEEEPS6_SG_NS0_5tupleIJNSA_16discard_iteratorINSA_11use_defaultEEESF_EEENSH_IJSG_SG_EEES6_PlJ7is_evenIiEEEE10hipError_tPvRmT3_T4_T5_T6_T7_T9_mT8_P12ihipStream_tbDpT10_ENKUlT_T0_E_clISt17integral_constantIbLb1EES19_EEDaS14_S15_EUlS14_E_NS1_11comp_targetILNS1_3genE4ELNS1_11target_archE910ELNS1_3gpuE8ELNS1_3repE0EEENS1_30default_config_static_selectorELNS0_4arch9wavefront6targetE1EEEvT1_,"axG",@progbits,_ZN7rocprim17ROCPRIM_400000_NS6detail17trampoline_kernelINS0_14default_configENS1_25partition_config_selectorILNS1_17partition_subalgoE0EiNS0_10empty_typeEbEEZZNS1_14partition_implILS5_0ELb0ES3_jN6thrust23THRUST_200600_302600_NS6detail15normal_iteratorINSA_10device_ptrIiEEEEPS6_SG_NS0_5tupleIJNSA_16discard_iteratorINSA_11use_defaultEEESF_EEENSH_IJSG_SG_EEES6_PlJ7is_evenIiEEEE10hipError_tPvRmT3_T4_T5_T6_T7_T9_mT8_P12ihipStream_tbDpT10_ENKUlT_T0_E_clISt17integral_constantIbLb1EES19_EEDaS14_S15_EUlS14_E_NS1_11comp_targetILNS1_3genE4ELNS1_11target_archE910ELNS1_3gpuE8ELNS1_3repE0EEENS1_30default_config_static_selectorELNS0_4arch9wavefront6targetE1EEEvT1_,comdat
.Lfunc_end2757:
	.size	_ZN7rocprim17ROCPRIM_400000_NS6detail17trampoline_kernelINS0_14default_configENS1_25partition_config_selectorILNS1_17partition_subalgoE0EiNS0_10empty_typeEbEEZZNS1_14partition_implILS5_0ELb0ES3_jN6thrust23THRUST_200600_302600_NS6detail15normal_iteratorINSA_10device_ptrIiEEEEPS6_SG_NS0_5tupleIJNSA_16discard_iteratorINSA_11use_defaultEEESF_EEENSH_IJSG_SG_EEES6_PlJ7is_evenIiEEEE10hipError_tPvRmT3_T4_T5_T6_T7_T9_mT8_P12ihipStream_tbDpT10_ENKUlT_T0_E_clISt17integral_constantIbLb1EES19_EEDaS14_S15_EUlS14_E_NS1_11comp_targetILNS1_3genE4ELNS1_11target_archE910ELNS1_3gpuE8ELNS1_3repE0EEENS1_30default_config_static_selectorELNS0_4arch9wavefront6targetE1EEEvT1_, .Lfunc_end2757-_ZN7rocprim17ROCPRIM_400000_NS6detail17trampoline_kernelINS0_14default_configENS1_25partition_config_selectorILNS1_17partition_subalgoE0EiNS0_10empty_typeEbEEZZNS1_14partition_implILS5_0ELb0ES3_jN6thrust23THRUST_200600_302600_NS6detail15normal_iteratorINSA_10device_ptrIiEEEEPS6_SG_NS0_5tupleIJNSA_16discard_iteratorINSA_11use_defaultEEESF_EEENSH_IJSG_SG_EEES6_PlJ7is_evenIiEEEE10hipError_tPvRmT3_T4_T5_T6_T7_T9_mT8_P12ihipStream_tbDpT10_ENKUlT_T0_E_clISt17integral_constantIbLb1EES19_EEDaS14_S15_EUlS14_E_NS1_11comp_targetILNS1_3genE4ELNS1_11target_archE910ELNS1_3gpuE8ELNS1_3repE0EEENS1_30default_config_static_selectorELNS0_4arch9wavefront6targetE1EEEvT1_
                                        ; -- End function
	.section	.AMDGPU.csdata,"",@progbits
; Kernel info:
; codeLenInByte = 5300
; NumSgprs: 46
; NumVgprs: 58
; NumAgprs: 0
; TotalNumVgprs: 58
; ScratchSize: 0
; MemoryBound: 0
; FloatMode: 240
; IeeeMode: 1
; LDSByteSize: 10248 bytes/workgroup (compile time only)
; SGPRBlocks: 5
; VGPRBlocks: 7
; NumSGPRsForWavesPerEU: 46
; NumVGPRsForWavesPerEU: 58
; AccumOffset: 60
; Occupancy: 6
; WaveLimiterHint : 1
; COMPUTE_PGM_RSRC2:SCRATCH_EN: 0
; COMPUTE_PGM_RSRC2:USER_SGPR: 6
; COMPUTE_PGM_RSRC2:TRAP_HANDLER: 0
; COMPUTE_PGM_RSRC2:TGID_X_EN: 1
; COMPUTE_PGM_RSRC2:TGID_Y_EN: 0
; COMPUTE_PGM_RSRC2:TGID_Z_EN: 0
; COMPUTE_PGM_RSRC2:TIDIG_COMP_CNT: 0
; COMPUTE_PGM_RSRC3_GFX90A:ACCUM_OFFSET: 14
; COMPUTE_PGM_RSRC3_GFX90A:TG_SPLIT: 0
	.section	.text._ZN7rocprim17ROCPRIM_400000_NS6detail17trampoline_kernelINS0_14default_configENS1_25partition_config_selectorILNS1_17partition_subalgoE0EiNS0_10empty_typeEbEEZZNS1_14partition_implILS5_0ELb0ES3_jN6thrust23THRUST_200600_302600_NS6detail15normal_iteratorINSA_10device_ptrIiEEEEPS6_SG_NS0_5tupleIJNSA_16discard_iteratorINSA_11use_defaultEEESF_EEENSH_IJSG_SG_EEES6_PlJ7is_evenIiEEEE10hipError_tPvRmT3_T4_T5_T6_T7_T9_mT8_P12ihipStream_tbDpT10_ENKUlT_T0_E_clISt17integral_constantIbLb1EES19_EEDaS14_S15_EUlS14_E_NS1_11comp_targetILNS1_3genE3ELNS1_11target_archE908ELNS1_3gpuE7ELNS1_3repE0EEENS1_30default_config_static_selectorELNS0_4arch9wavefront6targetE1EEEvT1_,"axG",@progbits,_ZN7rocprim17ROCPRIM_400000_NS6detail17trampoline_kernelINS0_14default_configENS1_25partition_config_selectorILNS1_17partition_subalgoE0EiNS0_10empty_typeEbEEZZNS1_14partition_implILS5_0ELb0ES3_jN6thrust23THRUST_200600_302600_NS6detail15normal_iteratorINSA_10device_ptrIiEEEEPS6_SG_NS0_5tupleIJNSA_16discard_iteratorINSA_11use_defaultEEESF_EEENSH_IJSG_SG_EEES6_PlJ7is_evenIiEEEE10hipError_tPvRmT3_T4_T5_T6_T7_T9_mT8_P12ihipStream_tbDpT10_ENKUlT_T0_E_clISt17integral_constantIbLb1EES19_EEDaS14_S15_EUlS14_E_NS1_11comp_targetILNS1_3genE3ELNS1_11target_archE908ELNS1_3gpuE7ELNS1_3repE0EEENS1_30default_config_static_selectorELNS0_4arch9wavefront6targetE1EEEvT1_,comdat
	.protected	_ZN7rocprim17ROCPRIM_400000_NS6detail17trampoline_kernelINS0_14default_configENS1_25partition_config_selectorILNS1_17partition_subalgoE0EiNS0_10empty_typeEbEEZZNS1_14partition_implILS5_0ELb0ES3_jN6thrust23THRUST_200600_302600_NS6detail15normal_iteratorINSA_10device_ptrIiEEEEPS6_SG_NS0_5tupleIJNSA_16discard_iteratorINSA_11use_defaultEEESF_EEENSH_IJSG_SG_EEES6_PlJ7is_evenIiEEEE10hipError_tPvRmT3_T4_T5_T6_T7_T9_mT8_P12ihipStream_tbDpT10_ENKUlT_T0_E_clISt17integral_constantIbLb1EES19_EEDaS14_S15_EUlS14_E_NS1_11comp_targetILNS1_3genE3ELNS1_11target_archE908ELNS1_3gpuE7ELNS1_3repE0EEENS1_30default_config_static_selectorELNS0_4arch9wavefront6targetE1EEEvT1_ ; -- Begin function _ZN7rocprim17ROCPRIM_400000_NS6detail17trampoline_kernelINS0_14default_configENS1_25partition_config_selectorILNS1_17partition_subalgoE0EiNS0_10empty_typeEbEEZZNS1_14partition_implILS5_0ELb0ES3_jN6thrust23THRUST_200600_302600_NS6detail15normal_iteratorINSA_10device_ptrIiEEEEPS6_SG_NS0_5tupleIJNSA_16discard_iteratorINSA_11use_defaultEEESF_EEENSH_IJSG_SG_EEES6_PlJ7is_evenIiEEEE10hipError_tPvRmT3_T4_T5_T6_T7_T9_mT8_P12ihipStream_tbDpT10_ENKUlT_T0_E_clISt17integral_constantIbLb1EES19_EEDaS14_S15_EUlS14_E_NS1_11comp_targetILNS1_3genE3ELNS1_11target_archE908ELNS1_3gpuE7ELNS1_3repE0EEENS1_30default_config_static_selectorELNS0_4arch9wavefront6targetE1EEEvT1_
	.globl	_ZN7rocprim17ROCPRIM_400000_NS6detail17trampoline_kernelINS0_14default_configENS1_25partition_config_selectorILNS1_17partition_subalgoE0EiNS0_10empty_typeEbEEZZNS1_14partition_implILS5_0ELb0ES3_jN6thrust23THRUST_200600_302600_NS6detail15normal_iteratorINSA_10device_ptrIiEEEEPS6_SG_NS0_5tupleIJNSA_16discard_iteratorINSA_11use_defaultEEESF_EEENSH_IJSG_SG_EEES6_PlJ7is_evenIiEEEE10hipError_tPvRmT3_T4_T5_T6_T7_T9_mT8_P12ihipStream_tbDpT10_ENKUlT_T0_E_clISt17integral_constantIbLb1EES19_EEDaS14_S15_EUlS14_E_NS1_11comp_targetILNS1_3genE3ELNS1_11target_archE908ELNS1_3gpuE7ELNS1_3repE0EEENS1_30default_config_static_selectorELNS0_4arch9wavefront6targetE1EEEvT1_
	.p2align	8
	.type	_ZN7rocprim17ROCPRIM_400000_NS6detail17trampoline_kernelINS0_14default_configENS1_25partition_config_selectorILNS1_17partition_subalgoE0EiNS0_10empty_typeEbEEZZNS1_14partition_implILS5_0ELb0ES3_jN6thrust23THRUST_200600_302600_NS6detail15normal_iteratorINSA_10device_ptrIiEEEEPS6_SG_NS0_5tupleIJNSA_16discard_iteratorINSA_11use_defaultEEESF_EEENSH_IJSG_SG_EEES6_PlJ7is_evenIiEEEE10hipError_tPvRmT3_T4_T5_T6_T7_T9_mT8_P12ihipStream_tbDpT10_ENKUlT_T0_E_clISt17integral_constantIbLb1EES19_EEDaS14_S15_EUlS14_E_NS1_11comp_targetILNS1_3genE3ELNS1_11target_archE908ELNS1_3gpuE7ELNS1_3repE0EEENS1_30default_config_static_selectorELNS0_4arch9wavefront6targetE1EEEvT1_,@function
_ZN7rocprim17ROCPRIM_400000_NS6detail17trampoline_kernelINS0_14default_configENS1_25partition_config_selectorILNS1_17partition_subalgoE0EiNS0_10empty_typeEbEEZZNS1_14partition_implILS5_0ELb0ES3_jN6thrust23THRUST_200600_302600_NS6detail15normal_iteratorINSA_10device_ptrIiEEEEPS6_SG_NS0_5tupleIJNSA_16discard_iteratorINSA_11use_defaultEEESF_EEENSH_IJSG_SG_EEES6_PlJ7is_evenIiEEEE10hipError_tPvRmT3_T4_T5_T6_T7_T9_mT8_P12ihipStream_tbDpT10_ENKUlT_T0_E_clISt17integral_constantIbLb1EES19_EEDaS14_S15_EUlS14_E_NS1_11comp_targetILNS1_3genE3ELNS1_11target_archE908ELNS1_3gpuE7ELNS1_3repE0EEENS1_30default_config_static_selectorELNS0_4arch9wavefront6targetE1EEEvT1_: ; @_ZN7rocprim17ROCPRIM_400000_NS6detail17trampoline_kernelINS0_14default_configENS1_25partition_config_selectorILNS1_17partition_subalgoE0EiNS0_10empty_typeEbEEZZNS1_14partition_implILS5_0ELb0ES3_jN6thrust23THRUST_200600_302600_NS6detail15normal_iteratorINSA_10device_ptrIiEEEEPS6_SG_NS0_5tupleIJNSA_16discard_iteratorINSA_11use_defaultEEESF_EEENSH_IJSG_SG_EEES6_PlJ7is_evenIiEEEE10hipError_tPvRmT3_T4_T5_T6_T7_T9_mT8_P12ihipStream_tbDpT10_ENKUlT_T0_E_clISt17integral_constantIbLb1EES19_EEDaS14_S15_EUlS14_E_NS1_11comp_targetILNS1_3genE3ELNS1_11target_archE908ELNS1_3gpuE7ELNS1_3repE0EEENS1_30default_config_static_selectorELNS0_4arch9wavefront6targetE1EEEvT1_
; %bb.0:
	.section	.rodata,"a",@progbits
	.p2align	6, 0x0
	.amdhsa_kernel _ZN7rocprim17ROCPRIM_400000_NS6detail17trampoline_kernelINS0_14default_configENS1_25partition_config_selectorILNS1_17partition_subalgoE0EiNS0_10empty_typeEbEEZZNS1_14partition_implILS5_0ELb0ES3_jN6thrust23THRUST_200600_302600_NS6detail15normal_iteratorINSA_10device_ptrIiEEEEPS6_SG_NS0_5tupleIJNSA_16discard_iteratorINSA_11use_defaultEEESF_EEENSH_IJSG_SG_EEES6_PlJ7is_evenIiEEEE10hipError_tPvRmT3_T4_T5_T6_T7_T9_mT8_P12ihipStream_tbDpT10_ENKUlT_T0_E_clISt17integral_constantIbLb1EES19_EEDaS14_S15_EUlS14_E_NS1_11comp_targetILNS1_3genE3ELNS1_11target_archE908ELNS1_3gpuE7ELNS1_3repE0EEENS1_30default_config_static_selectorELNS0_4arch9wavefront6targetE1EEEvT1_
		.amdhsa_group_segment_fixed_size 0
		.amdhsa_private_segment_fixed_size 0
		.amdhsa_kernarg_size 144
		.amdhsa_user_sgpr_count 6
		.amdhsa_user_sgpr_private_segment_buffer 1
		.amdhsa_user_sgpr_dispatch_ptr 0
		.amdhsa_user_sgpr_queue_ptr 0
		.amdhsa_user_sgpr_kernarg_segment_ptr 1
		.amdhsa_user_sgpr_dispatch_id 0
		.amdhsa_user_sgpr_flat_scratch_init 0
		.amdhsa_user_sgpr_kernarg_preload_length 0
		.amdhsa_user_sgpr_kernarg_preload_offset 0
		.amdhsa_user_sgpr_private_segment_size 0
		.amdhsa_uses_dynamic_stack 0
		.amdhsa_system_sgpr_private_segment_wavefront_offset 0
		.amdhsa_system_sgpr_workgroup_id_x 1
		.amdhsa_system_sgpr_workgroup_id_y 0
		.amdhsa_system_sgpr_workgroup_id_z 0
		.amdhsa_system_sgpr_workgroup_info 0
		.amdhsa_system_vgpr_workitem_id 0
		.amdhsa_next_free_vgpr 1
		.amdhsa_next_free_sgpr 0
		.amdhsa_accum_offset 4
		.amdhsa_reserve_vcc 0
		.amdhsa_reserve_flat_scratch 0
		.amdhsa_float_round_mode_32 0
		.amdhsa_float_round_mode_16_64 0
		.amdhsa_float_denorm_mode_32 3
		.amdhsa_float_denorm_mode_16_64 3
		.amdhsa_dx10_clamp 1
		.amdhsa_ieee_mode 1
		.amdhsa_fp16_overflow 0
		.amdhsa_tg_split 0
		.amdhsa_exception_fp_ieee_invalid_op 0
		.amdhsa_exception_fp_denorm_src 0
		.amdhsa_exception_fp_ieee_div_zero 0
		.amdhsa_exception_fp_ieee_overflow 0
		.amdhsa_exception_fp_ieee_underflow 0
		.amdhsa_exception_fp_ieee_inexact 0
		.amdhsa_exception_int_div_zero 0
	.end_amdhsa_kernel
	.section	.text._ZN7rocprim17ROCPRIM_400000_NS6detail17trampoline_kernelINS0_14default_configENS1_25partition_config_selectorILNS1_17partition_subalgoE0EiNS0_10empty_typeEbEEZZNS1_14partition_implILS5_0ELb0ES3_jN6thrust23THRUST_200600_302600_NS6detail15normal_iteratorINSA_10device_ptrIiEEEEPS6_SG_NS0_5tupleIJNSA_16discard_iteratorINSA_11use_defaultEEESF_EEENSH_IJSG_SG_EEES6_PlJ7is_evenIiEEEE10hipError_tPvRmT3_T4_T5_T6_T7_T9_mT8_P12ihipStream_tbDpT10_ENKUlT_T0_E_clISt17integral_constantIbLb1EES19_EEDaS14_S15_EUlS14_E_NS1_11comp_targetILNS1_3genE3ELNS1_11target_archE908ELNS1_3gpuE7ELNS1_3repE0EEENS1_30default_config_static_selectorELNS0_4arch9wavefront6targetE1EEEvT1_,"axG",@progbits,_ZN7rocprim17ROCPRIM_400000_NS6detail17trampoline_kernelINS0_14default_configENS1_25partition_config_selectorILNS1_17partition_subalgoE0EiNS0_10empty_typeEbEEZZNS1_14partition_implILS5_0ELb0ES3_jN6thrust23THRUST_200600_302600_NS6detail15normal_iteratorINSA_10device_ptrIiEEEEPS6_SG_NS0_5tupleIJNSA_16discard_iteratorINSA_11use_defaultEEESF_EEENSH_IJSG_SG_EEES6_PlJ7is_evenIiEEEE10hipError_tPvRmT3_T4_T5_T6_T7_T9_mT8_P12ihipStream_tbDpT10_ENKUlT_T0_E_clISt17integral_constantIbLb1EES19_EEDaS14_S15_EUlS14_E_NS1_11comp_targetILNS1_3genE3ELNS1_11target_archE908ELNS1_3gpuE7ELNS1_3repE0EEENS1_30default_config_static_selectorELNS0_4arch9wavefront6targetE1EEEvT1_,comdat
.Lfunc_end2758:
	.size	_ZN7rocprim17ROCPRIM_400000_NS6detail17trampoline_kernelINS0_14default_configENS1_25partition_config_selectorILNS1_17partition_subalgoE0EiNS0_10empty_typeEbEEZZNS1_14partition_implILS5_0ELb0ES3_jN6thrust23THRUST_200600_302600_NS6detail15normal_iteratorINSA_10device_ptrIiEEEEPS6_SG_NS0_5tupleIJNSA_16discard_iteratorINSA_11use_defaultEEESF_EEENSH_IJSG_SG_EEES6_PlJ7is_evenIiEEEE10hipError_tPvRmT3_T4_T5_T6_T7_T9_mT8_P12ihipStream_tbDpT10_ENKUlT_T0_E_clISt17integral_constantIbLb1EES19_EEDaS14_S15_EUlS14_E_NS1_11comp_targetILNS1_3genE3ELNS1_11target_archE908ELNS1_3gpuE7ELNS1_3repE0EEENS1_30default_config_static_selectorELNS0_4arch9wavefront6targetE1EEEvT1_, .Lfunc_end2758-_ZN7rocprim17ROCPRIM_400000_NS6detail17trampoline_kernelINS0_14default_configENS1_25partition_config_selectorILNS1_17partition_subalgoE0EiNS0_10empty_typeEbEEZZNS1_14partition_implILS5_0ELb0ES3_jN6thrust23THRUST_200600_302600_NS6detail15normal_iteratorINSA_10device_ptrIiEEEEPS6_SG_NS0_5tupleIJNSA_16discard_iteratorINSA_11use_defaultEEESF_EEENSH_IJSG_SG_EEES6_PlJ7is_evenIiEEEE10hipError_tPvRmT3_T4_T5_T6_T7_T9_mT8_P12ihipStream_tbDpT10_ENKUlT_T0_E_clISt17integral_constantIbLb1EES19_EEDaS14_S15_EUlS14_E_NS1_11comp_targetILNS1_3genE3ELNS1_11target_archE908ELNS1_3gpuE7ELNS1_3repE0EEENS1_30default_config_static_selectorELNS0_4arch9wavefront6targetE1EEEvT1_
                                        ; -- End function
	.section	.AMDGPU.csdata,"",@progbits
; Kernel info:
; codeLenInByte = 0
; NumSgprs: 4
; NumVgprs: 0
; NumAgprs: 0
; TotalNumVgprs: 0
; ScratchSize: 0
; MemoryBound: 0
; FloatMode: 240
; IeeeMode: 1
; LDSByteSize: 0 bytes/workgroup (compile time only)
; SGPRBlocks: 0
; VGPRBlocks: 0
; NumSGPRsForWavesPerEU: 4
; NumVGPRsForWavesPerEU: 1
; AccumOffset: 4
; Occupancy: 8
; WaveLimiterHint : 0
; COMPUTE_PGM_RSRC2:SCRATCH_EN: 0
; COMPUTE_PGM_RSRC2:USER_SGPR: 6
; COMPUTE_PGM_RSRC2:TRAP_HANDLER: 0
; COMPUTE_PGM_RSRC2:TGID_X_EN: 1
; COMPUTE_PGM_RSRC2:TGID_Y_EN: 0
; COMPUTE_PGM_RSRC2:TGID_Z_EN: 0
; COMPUTE_PGM_RSRC2:TIDIG_COMP_CNT: 0
; COMPUTE_PGM_RSRC3_GFX90A:ACCUM_OFFSET: 0
; COMPUTE_PGM_RSRC3_GFX90A:TG_SPLIT: 0
	.section	.text._ZN7rocprim17ROCPRIM_400000_NS6detail17trampoline_kernelINS0_14default_configENS1_25partition_config_selectorILNS1_17partition_subalgoE0EiNS0_10empty_typeEbEEZZNS1_14partition_implILS5_0ELb0ES3_jN6thrust23THRUST_200600_302600_NS6detail15normal_iteratorINSA_10device_ptrIiEEEEPS6_SG_NS0_5tupleIJNSA_16discard_iteratorINSA_11use_defaultEEESF_EEENSH_IJSG_SG_EEES6_PlJ7is_evenIiEEEE10hipError_tPvRmT3_T4_T5_T6_T7_T9_mT8_P12ihipStream_tbDpT10_ENKUlT_T0_E_clISt17integral_constantIbLb1EES19_EEDaS14_S15_EUlS14_E_NS1_11comp_targetILNS1_3genE2ELNS1_11target_archE906ELNS1_3gpuE6ELNS1_3repE0EEENS1_30default_config_static_selectorELNS0_4arch9wavefront6targetE1EEEvT1_,"axG",@progbits,_ZN7rocprim17ROCPRIM_400000_NS6detail17trampoline_kernelINS0_14default_configENS1_25partition_config_selectorILNS1_17partition_subalgoE0EiNS0_10empty_typeEbEEZZNS1_14partition_implILS5_0ELb0ES3_jN6thrust23THRUST_200600_302600_NS6detail15normal_iteratorINSA_10device_ptrIiEEEEPS6_SG_NS0_5tupleIJNSA_16discard_iteratorINSA_11use_defaultEEESF_EEENSH_IJSG_SG_EEES6_PlJ7is_evenIiEEEE10hipError_tPvRmT3_T4_T5_T6_T7_T9_mT8_P12ihipStream_tbDpT10_ENKUlT_T0_E_clISt17integral_constantIbLb1EES19_EEDaS14_S15_EUlS14_E_NS1_11comp_targetILNS1_3genE2ELNS1_11target_archE906ELNS1_3gpuE6ELNS1_3repE0EEENS1_30default_config_static_selectorELNS0_4arch9wavefront6targetE1EEEvT1_,comdat
	.protected	_ZN7rocprim17ROCPRIM_400000_NS6detail17trampoline_kernelINS0_14default_configENS1_25partition_config_selectorILNS1_17partition_subalgoE0EiNS0_10empty_typeEbEEZZNS1_14partition_implILS5_0ELb0ES3_jN6thrust23THRUST_200600_302600_NS6detail15normal_iteratorINSA_10device_ptrIiEEEEPS6_SG_NS0_5tupleIJNSA_16discard_iteratorINSA_11use_defaultEEESF_EEENSH_IJSG_SG_EEES6_PlJ7is_evenIiEEEE10hipError_tPvRmT3_T4_T5_T6_T7_T9_mT8_P12ihipStream_tbDpT10_ENKUlT_T0_E_clISt17integral_constantIbLb1EES19_EEDaS14_S15_EUlS14_E_NS1_11comp_targetILNS1_3genE2ELNS1_11target_archE906ELNS1_3gpuE6ELNS1_3repE0EEENS1_30default_config_static_selectorELNS0_4arch9wavefront6targetE1EEEvT1_ ; -- Begin function _ZN7rocprim17ROCPRIM_400000_NS6detail17trampoline_kernelINS0_14default_configENS1_25partition_config_selectorILNS1_17partition_subalgoE0EiNS0_10empty_typeEbEEZZNS1_14partition_implILS5_0ELb0ES3_jN6thrust23THRUST_200600_302600_NS6detail15normal_iteratorINSA_10device_ptrIiEEEEPS6_SG_NS0_5tupleIJNSA_16discard_iteratorINSA_11use_defaultEEESF_EEENSH_IJSG_SG_EEES6_PlJ7is_evenIiEEEE10hipError_tPvRmT3_T4_T5_T6_T7_T9_mT8_P12ihipStream_tbDpT10_ENKUlT_T0_E_clISt17integral_constantIbLb1EES19_EEDaS14_S15_EUlS14_E_NS1_11comp_targetILNS1_3genE2ELNS1_11target_archE906ELNS1_3gpuE6ELNS1_3repE0EEENS1_30default_config_static_selectorELNS0_4arch9wavefront6targetE1EEEvT1_
	.globl	_ZN7rocprim17ROCPRIM_400000_NS6detail17trampoline_kernelINS0_14default_configENS1_25partition_config_selectorILNS1_17partition_subalgoE0EiNS0_10empty_typeEbEEZZNS1_14partition_implILS5_0ELb0ES3_jN6thrust23THRUST_200600_302600_NS6detail15normal_iteratorINSA_10device_ptrIiEEEEPS6_SG_NS0_5tupleIJNSA_16discard_iteratorINSA_11use_defaultEEESF_EEENSH_IJSG_SG_EEES6_PlJ7is_evenIiEEEE10hipError_tPvRmT3_T4_T5_T6_T7_T9_mT8_P12ihipStream_tbDpT10_ENKUlT_T0_E_clISt17integral_constantIbLb1EES19_EEDaS14_S15_EUlS14_E_NS1_11comp_targetILNS1_3genE2ELNS1_11target_archE906ELNS1_3gpuE6ELNS1_3repE0EEENS1_30default_config_static_selectorELNS0_4arch9wavefront6targetE1EEEvT1_
	.p2align	8
	.type	_ZN7rocprim17ROCPRIM_400000_NS6detail17trampoline_kernelINS0_14default_configENS1_25partition_config_selectorILNS1_17partition_subalgoE0EiNS0_10empty_typeEbEEZZNS1_14partition_implILS5_0ELb0ES3_jN6thrust23THRUST_200600_302600_NS6detail15normal_iteratorINSA_10device_ptrIiEEEEPS6_SG_NS0_5tupleIJNSA_16discard_iteratorINSA_11use_defaultEEESF_EEENSH_IJSG_SG_EEES6_PlJ7is_evenIiEEEE10hipError_tPvRmT3_T4_T5_T6_T7_T9_mT8_P12ihipStream_tbDpT10_ENKUlT_T0_E_clISt17integral_constantIbLb1EES19_EEDaS14_S15_EUlS14_E_NS1_11comp_targetILNS1_3genE2ELNS1_11target_archE906ELNS1_3gpuE6ELNS1_3repE0EEENS1_30default_config_static_selectorELNS0_4arch9wavefront6targetE1EEEvT1_,@function
_ZN7rocprim17ROCPRIM_400000_NS6detail17trampoline_kernelINS0_14default_configENS1_25partition_config_selectorILNS1_17partition_subalgoE0EiNS0_10empty_typeEbEEZZNS1_14partition_implILS5_0ELb0ES3_jN6thrust23THRUST_200600_302600_NS6detail15normal_iteratorINSA_10device_ptrIiEEEEPS6_SG_NS0_5tupleIJNSA_16discard_iteratorINSA_11use_defaultEEESF_EEENSH_IJSG_SG_EEES6_PlJ7is_evenIiEEEE10hipError_tPvRmT3_T4_T5_T6_T7_T9_mT8_P12ihipStream_tbDpT10_ENKUlT_T0_E_clISt17integral_constantIbLb1EES19_EEDaS14_S15_EUlS14_E_NS1_11comp_targetILNS1_3genE2ELNS1_11target_archE906ELNS1_3gpuE6ELNS1_3repE0EEENS1_30default_config_static_selectorELNS0_4arch9wavefront6targetE1EEEvT1_: ; @_ZN7rocprim17ROCPRIM_400000_NS6detail17trampoline_kernelINS0_14default_configENS1_25partition_config_selectorILNS1_17partition_subalgoE0EiNS0_10empty_typeEbEEZZNS1_14partition_implILS5_0ELb0ES3_jN6thrust23THRUST_200600_302600_NS6detail15normal_iteratorINSA_10device_ptrIiEEEEPS6_SG_NS0_5tupleIJNSA_16discard_iteratorINSA_11use_defaultEEESF_EEENSH_IJSG_SG_EEES6_PlJ7is_evenIiEEEE10hipError_tPvRmT3_T4_T5_T6_T7_T9_mT8_P12ihipStream_tbDpT10_ENKUlT_T0_E_clISt17integral_constantIbLb1EES19_EEDaS14_S15_EUlS14_E_NS1_11comp_targetILNS1_3genE2ELNS1_11target_archE906ELNS1_3gpuE6ELNS1_3repE0EEENS1_30default_config_static_selectorELNS0_4arch9wavefront6targetE1EEEvT1_
; %bb.0:
	.section	.rodata,"a",@progbits
	.p2align	6, 0x0
	.amdhsa_kernel _ZN7rocprim17ROCPRIM_400000_NS6detail17trampoline_kernelINS0_14default_configENS1_25partition_config_selectorILNS1_17partition_subalgoE0EiNS0_10empty_typeEbEEZZNS1_14partition_implILS5_0ELb0ES3_jN6thrust23THRUST_200600_302600_NS6detail15normal_iteratorINSA_10device_ptrIiEEEEPS6_SG_NS0_5tupleIJNSA_16discard_iteratorINSA_11use_defaultEEESF_EEENSH_IJSG_SG_EEES6_PlJ7is_evenIiEEEE10hipError_tPvRmT3_T4_T5_T6_T7_T9_mT8_P12ihipStream_tbDpT10_ENKUlT_T0_E_clISt17integral_constantIbLb1EES19_EEDaS14_S15_EUlS14_E_NS1_11comp_targetILNS1_3genE2ELNS1_11target_archE906ELNS1_3gpuE6ELNS1_3repE0EEENS1_30default_config_static_selectorELNS0_4arch9wavefront6targetE1EEEvT1_
		.amdhsa_group_segment_fixed_size 0
		.amdhsa_private_segment_fixed_size 0
		.amdhsa_kernarg_size 144
		.amdhsa_user_sgpr_count 6
		.amdhsa_user_sgpr_private_segment_buffer 1
		.amdhsa_user_sgpr_dispatch_ptr 0
		.amdhsa_user_sgpr_queue_ptr 0
		.amdhsa_user_sgpr_kernarg_segment_ptr 1
		.amdhsa_user_sgpr_dispatch_id 0
		.amdhsa_user_sgpr_flat_scratch_init 0
		.amdhsa_user_sgpr_kernarg_preload_length 0
		.amdhsa_user_sgpr_kernarg_preload_offset 0
		.amdhsa_user_sgpr_private_segment_size 0
		.amdhsa_uses_dynamic_stack 0
		.amdhsa_system_sgpr_private_segment_wavefront_offset 0
		.amdhsa_system_sgpr_workgroup_id_x 1
		.amdhsa_system_sgpr_workgroup_id_y 0
		.amdhsa_system_sgpr_workgroup_id_z 0
		.amdhsa_system_sgpr_workgroup_info 0
		.amdhsa_system_vgpr_workitem_id 0
		.amdhsa_next_free_vgpr 1
		.amdhsa_next_free_sgpr 0
		.amdhsa_accum_offset 4
		.amdhsa_reserve_vcc 0
		.amdhsa_reserve_flat_scratch 0
		.amdhsa_float_round_mode_32 0
		.amdhsa_float_round_mode_16_64 0
		.amdhsa_float_denorm_mode_32 3
		.amdhsa_float_denorm_mode_16_64 3
		.amdhsa_dx10_clamp 1
		.amdhsa_ieee_mode 1
		.amdhsa_fp16_overflow 0
		.amdhsa_tg_split 0
		.amdhsa_exception_fp_ieee_invalid_op 0
		.amdhsa_exception_fp_denorm_src 0
		.amdhsa_exception_fp_ieee_div_zero 0
		.amdhsa_exception_fp_ieee_overflow 0
		.amdhsa_exception_fp_ieee_underflow 0
		.amdhsa_exception_fp_ieee_inexact 0
		.amdhsa_exception_int_div_zero 0
	.end_amdhsa_kernel
	.section	.text._ZN7rocprim17ROCPRIM_400000_NS6detail17trampoline_kernelINS0_14default_configENS1_25partition_config_selectorILNS1_17partition_subalgoE0EiNS0_10empty_typeEbEEZZNS1_14partition_implILS5_0ELb0ES3_jN6thrust23THRUST_200600_302600_NS6detail15normal_iteratorINSA_10device_ptrIiEEEEPS6_SG_NS0_5tupleIJNSA_16discard_iteratorINSA_11use_defaultEEESF_EEENSH_IJSG_SG_EEES6_PlJ7is_evenIiEEEE10hipError_tPvRmT3_T4_T5_T6_T7_T9_mT8_P12ihipStream_tbDpT10_ENKUlT_T0_E_clISt17integral_constantIbLb1EES19_EEDaS14_S15_EUlS14_E_NS1_11comp_targetILNS1_3genE2ELNS1_11target_archE906ELNS1_3gpuE6ELNS1_3repE0EEENS1_30default_config_static_selectorELNS0_4arch9wavefront6targetE1EEEvT1_,"axG",@progbits,_ZN7rocprim17ROCPRIM_400000_NS6detail17trampoline_kernelINS0_14default_configENS1_25partition_config_selectorILNS1_17partition_subalgoE0EiNS0_10empty_typeEbEEZZNS1_14partition_implILS5_0ELb0ES3_jN6thrust23THRUST_200600_302600_NS6detail15normal_iteratorINSA_10device_ptrIiEEEEPS6_SG_NS0_5tupleIJNSA_16discard_iteratorINSA_11use_defaultEEESF_EEENSH_IJSG_SG_EEES6_PlJ7is_evenIiEEEE10hipError_tPvRmT3_T4_T5_T6_T7_T9_mT8_P12ihipStream_tbDpT10_ENKUlT_T0_E_clISt17integral_constantIbLb1EES19_EEDaS14_S15_EUlS14_E_NS1_11comp_targetILNS1_3genE2ELNS1_11target_archE906ELNS1_3gpuE6ELNS1_3repE0EEENS1_30default_config_static_selectorELNS0_4arch9wavefront6targetE1EEEvT1_,comdat
.Lfunc_end2759:
	.size	_ZN7rocprim17ROCPRIM_400000_NS6detail17trampoline_kernelINS0_14default_configENS1_25partition_config_selectorILNS1_17partition_subalgoE0EiNS0_10empty_typeEbEEZZNS1_14partition_implILS5_0ELb0ES3_jN6thrust23THRUST_200600_302600_NS6detail15normal_iteratorINSA_10device_ptrIiEEEEPS6_SG_NS0_5tupleIJNSA_16discard_iteratorINSA_11use_defaultEEESF_EEENSH_IJSG_SG_EEES6_PlJ7is_evenIiEEEE10hipError_tPvRmT3_T4_T5_T6_T7_T9_mT8_P12ihipStream_tbDpT10_ENKUlT_T0_E_clISt17integral_constantIbLb1EES19_EEDaS14_S15_EUlS14_E_NS1_11comp_targetILNS1_3genE2ELNS1_11target_archE906ELNS1_3gpuE6ELNS1_3repE0EEENS1_30default_config_static_selectorELNS0_4arch9wavefront6targetE1EEEvT1_, .Lfunc_end2759-_ZN7rocprim17ROCPRIM_400000_NS6detail17trampoline_kernelINS0_14default_configENS1_25partition_config_selectorILNS1_17partition_subalgoE0EiNS0_10empty_typeEbEEZZNS1_14partition_implILS5_0ELb0ES3_jN6thrust23THRUST_200600_302600_NS6detail15normal_iteratorINSA_10device_ptrIiEEEEPS6_SG_NS0_5tupleIJNSA_16discard_iteratorINSA_11use_defaultEEESF_EEENSH_IJSG_SG_EEES6_PlJ7is_evenIiEEEE10hipError_tPvRmT3_T4_T5_T6_T7_T9_mT8_P12ihipStream_tbDpT10_ENKUlT_T0_E_clISt17integral_constantIbLb1EES19_EEDaS14_S15_EUlS14_E_NS1_11comp_targetILNS1_3genE2ELNS1_11target_archE906ELNS1_3gpuE6ELNS1_3repE0EEENS1_30default_config_static_selectorELNS0_4arch9wavefront6targetE1EEEvT1_
                                        ; -- End function
	.section	.AMDGPU.csdata,"",@progbits
; Kernel info:
; codeLenInByte = 0
; NumSgprs: 4
; NumVgprs: 0
; NumAgprs: 0
; TotalNumVgprs: 0
; ScratchSize: 0
; MemoryBound: 0
; FloatMode: 240
; IeeeMode: 1
; LDSByteSize: 0 bytes/workgroup (compile time only)
; SGPRBlocks: 0
; VGPRBlocks: 0
; NumSGPRsForWavesPerEU: 4
; NumVGPRsForWavesPerEU: 1
; AccumOffset: 4
; Occupancy: 8
; WaveLimiterHint : 0
; COMPUTE_PGM_RSRC2:SCRATCH_EN: 0
; COMPUTE_PGM_RSRC2:USER_SGPR: 6
; COMPUTE_PGM_RSRC2:TRAP_HANDLER: 0
; COMPUTE_PGM_RSRC2:TGID_X_EN: 1
; COMPUTE_PGM_RSRC2:TGID_Y_EN: 0
; COMPUTE_PGM_RSRC2:TGID_Z_EN: 0
; COMPUTE_PGM_RSRC2:TIDIG_COMP_CNT: 0
; COMPUTE_PGM_RSRC3_GFX90A:ACCUM_OFFSET: 0
; COMPUTE_PGM_RSRC3_GFX90A:TG_SPLIT: 0
	.section	.text._ZN7rocprim17ROCPRIM_400000_NS6detail17trampoline_kernelINS0_14default_configENS1_25partition_config_selectorILNS1_17partition_subalgoE0EiNS0_10empty_typeEbEEZZNS1_14partition_implILS5_0ELb0ES3_jN6thrust23THRUST_200600_302600_NS6detail15normal_iteratorINSA_10device_ptrIiEEEEPS6_SG_NS0_5tupleIJNSA_16discard_iteratorINSA_11use_defaultEEESF_EEENSH_IJSG_SG_EEES6_PlJ7is_evenIiEEEE10hipError_tPvRmT3_T4_T5_T6_T7_T9_mT8_P12ihipStream_tbDpT10_ENKUlT_T0_E_clISt17integral_constantIbLb1EES19_EEDaS14_S15_EUlS14_E_NS1_11comp_targetILNS1_3genE10ELNS1_11target_archE1200ELNS1_3gpuE4ELNS1_3repE0EEENS1_30default_config_static_selectorELNS0_4arch9wavefront6targetE1EEEvT1_,"axG",@progbits,_ZN7rocprim17ROCPRIM_400000_NS6detail17trampoline_kernelINS0_14default_configENS1_25partition_config_selectorILNS1_17partition_subalgoE0EiNS0_10empty_typeEbEEZZNS1_14partition_implILS5_0ELb0ES3_jN6thrust23THRUST_200600_302600_NS6detail15normal_iteratorINSA_10device_ptrIiEEEEPS6_SG_NS0_5tupleIJNSA_16discard_iteratorINSA_11use_defaultEEESF_EEENSH_IJSG_SG_EEES6_PlJ7is_evenIiEEEE10hipError_tPvRmT3_T4_T5_T6_T7_T9_mT8_P12ihipStream_tbDpT10_ENKUlT_T0_E_clISt17integral_constantIbLb1EES19_EEDaS14_S15_EUlS14_E_NS1_11comp_targetILNS1_3genE10ELNS1_11target_archE1200ELNS1_3gpuE4ELNS1_3repE0EEENS1_30default_config_static_selectorELNS0_4arch9wavefront6targetE1EEEvT1_,comdat
	.protected	_ZN7rocprim17ROCPRIM_400000_NS6detail17trampoline_kernelINS0_14default_configENS1_25partition_config_selectorILNS1_17partition_subalgoE0EiNS0_10empty_typeEbEEZZNS1_14partition_implILS5_0ELb0ES3_jN6thrust23THRUST_200600_302600_NS6detail15normal_iteratorINSA_10device_ptrIiEEEEPS6_SG_NS0_5tupleIJNSA_16discard_iteratorINSA_11use_defaultEEESF_EEENSH_IJSG_SG_EEES6_PlJ7is_evenIiEEEE10hipError_tPvRmT3_T4_T5_T6_T7_T9_mT8_P12ihipStream_tbDpT10_ENKUlT_T0_E_clISt17integral_constantIbLb1EES19_EEDaS14_S15_EUlS14_E_NS1_11comp_targetILNS1_3genE10ELNS1_11target_archE1200ELNS1_3gpuE4ELNS1_3repE0EEENS1_30default_config_static_selectorELNS0_4arch9wavefront6targetE1EEEvT1_ ; -- Begin function _ZN7rocprim17ROCPRIM_400000_NS6detail17trampoline_kernelINS0_14default_configENS1_25partition_config_selectorILNS1_17partition_subalgoE0EiNS0_10empty_typeEbEEZZNS1_14partition_implILS5_0ELb0ES3_jN6thrust23THRUST_200600_302600_NS6detail15normal_iteratorINSA_10device_ptrIiEEEEPS6_SG_NS0_5tupleIJNSA_16discard_iteratorINSA_11use_defaultEEESF_EEENSH_IJSG_SG_EEES6_PlJ7is_evenIiEEEE10hipError_tPvRmT3_T4_T5_T6_T7_T9_mT8_P12ihipStream_tbDpT10_ENKUlT_T0_E_clISt17integral_constantIbLb1EES19_EEDaS14_S15_EUlS14_E_NS1_11comp_targetILNS1_3genE10ELNS1_11target_archE1200ELNS1_3gpuE4ELNS1_3repE0EEENS1_30default_config_static_selectorELNS0_4arch9wavefront6targetE1EEEvT1_
	.globl	_ZN7rocprim17ROCPRIM_400000_NS6detail17trampoline_kernelINS0_14default_configENS1_25partition_config_selectorILNS1_17partition_subalgoE0EiNS0_10empty_typeEbEEZZNS1_14partition_implILS5_0ELb0ES3_jN6thrust23THRUST_200600_302600_NS6detail15normal_iteratorINSA_10device_ptrIiEEEEPS6_SG_NS0_5tupleIJNSA_16discard_iteratorINSA_11use_defaultEEESF_EEENSH_IJSG_SG_EEES6_PlJ7is_evenIiEEEE10hipError_tPvRmT3_T4_T5_T6_T7_T9_mT8_P12ihipStream_tbDpT10_ENKUlT_T0_E_clISt17integral_constantIbLb1EES19_EEDaS14_S15_EUlS14_E_NS1_11comp_targetILNS1_3genE10ELNS1_11target_archE1200ELNS1_3gpuE4ELNS1_3repE0EEENS1_30default_config_static_selectorELNS0_4arch9wavefront6targetE1EEEvT1_
	.p2align	8
	.type	_ZN7rocprim17ROCPRIM_400000_NS6detail17trampoline_kernelINS0_14default_configENS1_25partition_config_selectorILNS1_17partition_subalgoE0EiNS0_10empty_typeEbEEZZNS1_14partition_implILS5_0ELb0ES3_jN6thrust23THRUST_200600_302600_NS6detail15normal_iteratorINSA_10device_ptrIiEEEEPS6_SG_NS0_5tupleIJNSA_16discard_iteratorINSA_11use_defaultEEESF_EEENSH_IJSG_SG_EEES6_PlJ7is_evenIiEEEE10hipError_tPvRmT3_T4_T5_T6_T7_T9_mT8_P12ihipStream_tbDpT10_ENKUlT_T0_E_clISt17integral_constantIbLb1EES19_EEDaS14_S15_EUlS14_E_NS1_11comp_targetILNS1_3genE10ELNS1_11target_archE1200ELNS1_3gpuE4ELNS1_3repE0EEENS1_30default_config_static_selectorELNS0_4arch9wavefront6targetE1EEEvT1_,@function
_ZN7rocprim17ROCPRIM_400000_NS6detail17trampoline_kernelINS0_14default_configENS1_25partition_config_selectorILNS1_17partition_subalgoE0EiNS0_10empty_typeEbEEZZNS1_14partition_implILS5_0ELb0ES3_jN6thrust23THRUST_200600_302600_NS6detail15normal_iteratorINSA_10device_ptrIiEEEEPS6_SG_NS0_5tupleIJNSA_16discard_iteratorINSA_11use_defaultEEESF_EEENSH_IJSG_SG_EEES6_PlJ7is_evenIiEEEE10hipError_tPvRmT3_T4_T5_T6_T7_T9_mT8_P12ihipStream_tbDpT10_ENKUlT_T0_E_clISt17integral_constantIbLb1EES19_EEDaS14_S15_EUlS14_E_NS1_11comp_targetILNS1_3genE10ELNS1_11target_archE1200ELNS1_3gpuE4ELNS1_3repE0EEENS1_30default_config_static_selectorELNS0_4arch9wavefront6targetE1EEEvT1_: ; @_ZN7rocprim17ROCPRIM_400000_NS6detail17trampoline_kernelINS0_14default_configENS1_25partition_config_selectorILNS1_17partition_subalgoE0EiNS0_10empty_typeEbEEZZNS1_14partition_implILS5_0ELb0ES3_jN6thrust23THRUST_200600_302600_NS6detail15normal_iteratorINSA_10device_ptrIiEEEEPS6_SG_NS0_5tupleIJNSA_16discard_iteratorINSA_11use_defaultEEESF_EEENSH_IJSG_SG_EEES6_PlJ7is_evenIiEEEE10hipError_tPvRmT3_T4_T5_T6_T7_T9_mT8_P12ihipStream_tbDpT10_ENKUlT_T0_E_clISt17integral_constantIbLb1EES19_EEDaS14_S15_EUlS14_E_NS1_11comp_targetILNS1_3genE10ELNS1_11target_archE1200ELNS1_3gpuE4ELNS1_3repE0EEENS1_30default_config_static_selectorELNS0_4arch9wavefront6targetE1EEEvT1_
; %bb.0:
	.section	.rodata,"a",@progbits
	.p2align	6, 0x0
	.amdhsa_kernel _ZN7rocprim17ROCPRIM_400000_NS6detail17trampoline_kernelINS0_14default_configENS1_25partition_config_selectorILNS1_17partition_subalgoE0EiNS0_10empty_typeEbEEZZNS1_14partition_implILS5_0ELb0ES3_jN6thrust23THRUST_200600_302600_NS6detail15normal_iteratorINSA_10device_ptrIiEEEEPS6_SG_NS0_5tupleIJNSA_16discard_iteratorINSA_11use_defaultEEESF_EEENSH_IJSG_SG_EEES6_PlJ7is_evenIiEEEE10hipError_tPvRmT3_T4_T5_T6_T7_T9_mT8_P12ihipStream_tbDpT10_ENKUlT_T0_E_clISt17integral_constantIbLb1EES19_EEDaS14_S15_EUlS14_E_NS1_11comp_targetILNS1_3genE10ELNS1_11target_archE1200ELNS1_3gpuE4ELNS1_3repE0EEENS1_30default_config_static_selectorELNS0_4arch9wavefront6targetE1EEEvT1_
		.amdhsa_group_segment_fixed_size 0
		.amdhsa_private_segment_fixed_size 0
		.amdhsa_kernarg_size 144
		.amdhsa_user_sgpr_count 6
		.amdhsa_user_sgpr_private_segment_buffer 1
		.amdhsa_user_sgpr_dispatch_ptr 0
		.amdhsa_user_sgpr_queue_ptr 0
		.amdhsa_user_sgpr_kernarg_segment_ptr 1
		.amdhsa_user_sgpr_dispatch_id 0
		.amdhsa_user_sgpr_flat_scratch_init 0
		.amdhsa_user_sgpr_kernarg_preload_length 0
		.amdhsa_user_sgpr_kernarg_preload_offset 0
		.amdhsa_user_sgpr_private_segment_size 0
		.amdhsa_uses_dynamic_stack 0
		.amdhsa_system_sgpr_private_segment_wavefront_offset 0
		.amdhsa_system_sgpr_workgroup_id_x 1
		.amdhsa_system_sgpr_workgroup_id_y 0
		.amdhsa_system_sgpr_workgroup_id_z 0
		.amdhsa_system_sgpr_workgroup_info 0
		.amdhsa_system_vgpr_workitem_id 0
		.amdhsa_next_free_vgpr 1
		.amdhsa_next_free_sgpr 0
		.amdhsa_accum_offset 4
		.amdhsa_reserve_vcc 0
		.amdhsa_reserve_flat_scratch 0
		.amdhsa_float_round_mode_32 0
		.amdhsa_float_round_mode_16_64 0
		.amdhsa_float_denorm_mode_32 3
		.amdhsa_float_denorm_mode_16_64 3
		.amdhsa_dx10_clamp 1
		.amdhsa_ieee_mode 1
		.amdhsa_fp16_overflow 0
		.amdhsa_tg_split 0
		.amdhsa_exception_fp_ieee_invalid_op 0
		.amdhsa_exception_fp_denorm_src 0
		.amdhsa_exception_fp_ieee_div_zero 0
		.amdhsa_exception_fp_ieee_overflow 0
		.amdhsa_exception_fp_ieee_underflow 0
		.amdhsa_exception_fp_ieee_inexact 0
		.amdhsa_exception_int_div_zero 0
	.end_amdhsa_kernel
	.section	.text._ZN7rocprim17ROCPRIM_400000_NS6detail17trampoline_kernelINS0_14default_configENS1_25partition_config_selectorILNS1_17partition_subalgoE0EiNS0_10empty_typeEbEEZZNS1_14partition_implILS5_0ELb0ES3_jN6thrust23THRUST_200600_302600_NS6detail15normal_iteratorINSA_10device_ptrIiEEEEPS6_SG_NS0_5tupleIJNSA_16discard_iteratorINSA_11use_defaultEEESF_EEENSH_IJSG_SG_EEES6_PlJ7is_evenIiEEEE10hipError_tPvRmT3_T4_T5_T6_T7_T9_mT8_P12ihipStream_tbDpT10_ENKUlT_T0_E_clISt17integral_constantIbLb1EES19_EEDaS14_S15_EUlS14_E_NS1_11comp_targetILNS1_3genE10ELNS1_11target_archE1200ELNS1_3gpuE4ELNS1_3repE0EEENS1_30default_config_static_selectorELNS0_4arch9wavefront6targetE1EEEvT1_,"axG",@progbits,_ZN7rocprim17ROCPRIM_400000_NS6detail17trampoline_kernelINS0_14default_configENS1_25partition_config_selectorILNS1_17partition_subalgoE0EiNS0_10empty_typeEbEEZZNS1_14partition_implILS5_0ELb0ES3_jN6thrust23THRUST_200600_302600_NS6detail15normal_iteratorINSA_10device_ptrIiEEEEPS6_SG_NS0_5tupleIJNSA_16discard_iteratorINSA_11use_defaultEEESF_EEENSH_IJSG_SG_EEES6_PlJ7is_evenIiEEEE10hipError_tPvRmT3_T4_T5_T6_T7_T9_mT8_P12ihipStream_tbDpT10_ENKUlT_T0_E_clISt17integral_constantIbLb1EES19_EEDaS14_S15_EUlS14_E_NS1_11comp_targetILNS1_3genE10ELNS1_11target_archE1200ELNS1_3gpuE4ELNS1_3repE0EEENS1_30default_config_static_selectorELNS0_4arch9wavefront6targetE1EEEvT1_,comdat
.Lfunc_end2760:
	.size	_ZN7rocprim17ROCPRIM_400000_NS6detail17trampoline_kernelINS0_14default_configENS1_25partition_config_selectorILNS1_17partition_subalgoE0EiNS0_10empty_typeEbEEZZNS1_14partition_implILS5_0ELb0ES3_jN6thrust23THRUST_200600_302600_NS6detail15normal_iteratorINSA_10device_ptrIiEEEEPS6_SG_NS0_5tupleIJNSA_16discard_iteratorINSA_11use_defaultEEESF_EEENSH_IJSG_SG_EEES6_PlJ7is_evenIiEEEE10hipError_tPvRmT3_T4_T5_T6_T7_T9_mT8_P12ihipStream_tbDpT10_ENKUlT_T0_E_clISt17integral_constantIbLb1EES19_EEDaS14_S15_EUlS14_E_NS1_11comp_targetILNS1_3genE10ELNS1_11target_archE1200ELNS1_3gpuE4ELNS1_3repE0EEENS1_30default_config_static_selectorELNS0_4arch9wavefront6targetE1EEEvT1_, .Lfunc_end2760-_ZN7rocprim17ROCPRIM_400000_NS6detail17trampoline_kernelINS0_14default_configENS1_25partition_config_selectorILNS1_17partition_subalgoE0EiNS0_10empty_typeEbEEZZNS1_14partition_implILS5_0ELb0ES3_jN6thrust23THRUST_200600_302600_NS6detail15normal_iteratorINSA_10device_ptrIiEEEEPS6_SG_NS0_5tupleIJNSA_16discard_iteratorINSA_11use_defaultEEESF_EEENSH_IJSG_SG_EEES6_PlJ7is_evenIiEEEE10hipError_tPvRmT3_T4_T5_T6_T7_T9_mT8_P12ihipStream_tbDpT10_ENKUlT_T0_E_clISt17integral_constantIbLb1EES19_EEDaS14_S15_EUlS14_E_NS1_11comp_targetILNS1_3genE10ELNS1_11target_archE1200ELNS1_3gpuE4ELNS1_3repE0EEENS1_30default_config_static_selectorELNS0_4arch9wavefront6targetE1EEEvT1_
                                        ; -- End function
	.section	.AMDGPU.csdata,"",@progbits
; Kernel info:
; codeLenInByte = 0
; NumSgprs: 4
; NumVgprs: 0
; NumAgprs: 0
; TotalNumVgprs: 0
; ScratchSize: 0
; MemoryBound: 0
; FloatMode: 240
; IeeeMode: 1
; LDSByteSize: 0 bytes/workgroup (compile time only)
; SGPRBlocks: 0
; VGPRBlocks: 0
; NumSGPRsForWavesPerEU: 4
; NumVGPRsForWavesPerEU: 1
; AccumOffset: 4
; Occupancy: 8
; WaveLimiterHint : 0
; COMPUTE_PGM_RSRC2:SCRATCH_EN: 0
; COMPUTE_PGM_RSRC2:USER_SGPR: 6
; COMPUTE_PGM_RSRC2:TRAP_HANDLER: 0
; COMPUTE_PGM_RSRC2:TGID_X_EN: 1
; COMPUTE_PGM_RSRC2:TGID_Y_EN: 0
; COMPUTE_PGM_RSRC2:TGID_Z_EN: 0
; COMPUTE_PGM_RSRC2:TIDIG_COMP_CNT: 0
; COMPUTE_PGM_RSRC3_GFX90A:ACCUM_OFFSET: 0
; COMPUTE_PGM_RSRC3_GFX90A:TG_SPLIT: 0
	.section	.text._ZN7rocprim17ROCPRIM_400000_NS6detail17trampoline_kernelINS0_14default_configENS1_25partition_config_selectorILNS1_17partition_subalgoE0EiNS0_10empty_typeEbEEZZNS1_14partition_implILS5_0ELb0ES3_jN6thrust23THRUST_200600_302600_NS6detail15normal_iteratorINSA_10device_ptrIiEEEEPS6_SG_NS0_5tupleIJNSA_16discard_iteratorINSA_11use_defaultEEESF_EEENSH_IJSG_SG_EEES6_PlJ7is_evenIiEEEE10hipError_tPvRmT3_T4_T5_T6_T7_T9_mT8_P12ihipStream_tbDpT10_ENKUlT_T0_E_clISt17integral_constantIbLb1EES19_EEDaS14_S15_EUlS14_E_NS1_11comp_targetILNS1_3genE9ELNS1_11target_archE1100ELNS1_3gpuE3ELNS1_3repE0EEENS1_30default_config_static_selectorELNS0_4arch9wavefront6targetE1EEEvT1_,"axG",@progbits,_ZN7rocprim17ROCPRIM_400000_NS6detail17trampoline_kernelINS0_14default_configENS1_25partition_config_selectorILNS1_17partition_subalgoE0EiNS0_10empty_typeEbEEZZNS1_14partition_implILS5_0ELb0ES3_jN6thrust23THRUST_200600_302600_NS6detail15normal_iteratorINSA_10device_ptrIiEEEEPS6_SG_NS0_5tupleIJNSA_16discard_iteratorINSA_11use_defaultEEESF_EEENSH_IJSG_SG_EEES6_PlJ7is_evenIiEEEE10hipError_tPvRmT3_T4_T5_T6_T7_T9_mT8_P12ihipStream_tbDpT10_ENKUlT_T0_E_clISt17integral_constantIbLb1EES19_EEDaS14_S15_EUlS14_E_NS1_11comp_targetILNS1_3genE9ELNS1_11target_archE1100ELNS1_3gpuE3ELNS1_3repE0EEENS1_30default_config_static_selectorELNS0_4arch9wavefront6targetE1EEEvT1_,comdat
	.protected	_ZN7rocprim17ROCPRIM_400000_NS6detail17trampoline_kernelINS0_14default_configENS1_25partition_config_selectorILNS1_17partition_subalgoE0EiNS0_10empty_typeEbEEZZNS1_14partition_implILS5_0ELb0ES3_jN6thrust23THRUST_200600_302600_NS6detail15normal_iteratorINSA_10device_ptrIiEEEEPS6_SG_NS0_5tupleIJNSA_16discard_iteratorINSA_11use_defaultEEESF_EEENSH_IJSG_SG_EEES6_PlJ7is_evenIiEEEE10hipError_tPvRmT3_T4_T5_T6_T7_T9_mT8_P12ihipStream_tbDpT10_ENKUlT_T0_E_clISt17integral_constantIbLb1EES19_EEDaS14_S15_EUlS14_E_NS1_11comp_targetILNS1_3genE9ELNS1_11target_archE1100ELNS1_3gpuE3ELNS1_3repE0EEENS1_30default_config_static_selectorELNS0_4arch9wavefront6targetE1EEEvT1_ ; -- Begin function _ZN7rocprim17ROCPRIM_400000_NS6detail17trampoline_kernelINS0_14default_configENS1_25partition_config_selectorILNS1_17partition_subalgoE0EiNS0_10empty_typeEbEEZZNS1_14partition_implILS5_0ELb0ES3_jN6thrust23THRUST_200600_302600_NS6detail15normal_iteratorINSA_10device_ptrIiEEEEPS6_SG_NS0_5tupleIJNSA_16discard_iteratorINSA_11use_defaultEEESF_EEENSH_IJSG_SG_EEES6_PlJ7is_evenIiEEEE10hipError_tPvRmT3_T4_T5_T6_T7_T9_mT8_P12ihipStream_tbDpT10_ENKUlT_T0_E_clISt17integral_constantIbLb1EES19_EEDaS14_S15_EUlS14_E_NS1_11comp_targetILNS1_3genE9ELNS1_11target_archE1100ELNS1_3gpuE3ELNS1_3repE0EEENS1_30default_config_static_selectorELNS0_4arch9wavefront6targetE1EEEvT1_
	.globl	_ZN7rocprim17ROCPRIM_400000_NS6detail17trampoline_kernelINS0_14default_configENS1_25partition_config_selectorILNS1_17partition_subalgoE0EiNS0_10empty_typeEbEEZZNS1_14partition_implILS5_0ELb0ES3_jN6thrust23THRUST_200600_302600_NS6detail15normal_iteratorINSA_10device_ptrIiEEEEPS6_SG_NS0_5tupleIJNSA_16discard_iteratorINSA_11use_defaultEEESF_EEENSH_IJSG_SG_EEES6_PlJ7is_evenIiEEEE10hipError_tPvRmT3_T4_T5_T6_T7_T9_mT8_P12ihipStream_tbDpT10_ENKUlT_T0_E_clISt17integral_constantIbLb1EES19_EEDaS14_S15_EUlS14_E_NS1_11comp_targetILNS1_3genE9ELNS1_11target_archE1100ELNS1_3gpuE3ELNS1_3repE0EEENS1_30default_config_static_selectorELNS0_4arch9wavefront6targetE1EEEvT1_
	.p2align	8
	.type	_ZN7rocprim17ROCPRIM_400000_NS6detail17trampoline_kernelINS0_14default_configENS1_25partition_config_selectorILNS1_17partition_subalgoE0EiNS0_10empty_typeEbEEZZNS1_14partition_implILS5_0ELb0ES3_jN6thrust23THRUST_200600_302600_NS6detail15normal_iteratorINSA_10device_ptrIiEEEEPS6_SG_NS0_5tupleIJNSA_16discard_iteratorINSA_11use_defaultEEESF_EEENSH_IJSG_SG_EEES6_PlJ7is_evenIiEEEE10hipError_tPvRmT3_T4_T5_T6_T7_T9_mT8_P12ihipStream_tbDpT10_ENKUlT_T0_E_clISt17integral_constantIbLb1EES19_EEDaS14_S15_EUlS14_E_NS1_11comp_targetILNS1_3genE9ELNS1_11target_archE1100ELNS1_3gpuE3ELNS1_3repE0EEENS1_30default_config_static_selectorELNS0_4arch9wavefront6targetE1EEEvT1_,@function
_ZN7rocprim17ROCPRIM_400000_NS6detail17trampoline_kernelINS0_14default_configENS1_25partition_config_selectorILNS1_17partition_subalgoE0EiNS0_10empty_typeEbEEZZNS1_14partition_implILS5_0ELb0ES3_jN6thrust23THRUST_200600_302600_NS6detail15normal_iteratorINSA_10device_ptrIiEEEEPS6_SG_NS0_5tupleIJNSA_16discard_iteratorINSA_11use_defaultEEESF_EEENSH_IJSG_SG_EEES6_PlJ7is_evenIiEEEE10hipError_tPvRmT3_T4_T5_T6_T7_T9_mT8_P12ihipStream_tbDpT10_ENKUlT_T0_E_clISt17integral_constantIbLb1EES19_EEDaS14_S15_EUlS14_E_NS1_11comp_targetILNS1_3genE9ELNS1_11target_archE1100ELNS1_3gpuE3ELNS1_3repE0EEENS1_30default_config_static_selectorELNS0_4arch9wavefront6targetE1EEEvT1_: ; @_ZN7rocprim17ROCPRIM_400000_NS6detail17trampoline_kernelINS0_14default_configENS1_25partition_config_selectorILNS1_17partition_subalgoE0EiNS0_10empty_typeEbEEZZNS1_14partition_implILS5_0ELb0ES3_jN6thrust23THRUST_200600_302600_NS6detail15normal_iteratorINSA_10device_ptrIiEEEEPS6_SG_NS0_5tupleIJNSA_16discard_iteratorINSA_11use_defaultEEESF_EEENSH_IJSG_SG_EEES6_PlJ7is_evenIiEEEE10hipError_tPvRmT3_T4_T5_T6_T7_T9_mT8_P12ihipStream_tbDpT10_ENKUlT_T0_E_clISt17integral_constantIbLb1EES19_EEDaS14_S15_EUlS14_E_NS1_11comp_targetILNS1_3genE9ELNS1_11target_archE1100ELNS1_3gpuE3ELNS1_3repE0EEENS1_30default_config_static_selectorELNS0_4arch9wavefront6targetE1EEEvT1_
; %bb.0:
	.section	.rodata,"a",@progbits
	.p2align	6, 0x0
	.amdhsa_kernel _ZN7rocprim17ROCPRIM_400000_NS6detail17trampoline_kernelINS0_14default_configENS1_25partition_config_selectorILNS1_17partition_subalgoE0EiNS0_10empty_typeEbEEZZNS1_14partition_implILS5_0ELb0ES3_jN6thrust23THRUST_200600_302600_NS6detail15normal_iteratorINSA_10device_ptrIiEEEEPS6_SG_NS0_5tupleIJNSA_16discard_iteratorINSA_11use_defaultEEESF_EEENSH_IJSG_SG_EEES6_PlJ7is_evenIiEEEE10hipError_tPvRmT3_T4_T5_T6_T7_T9_mT8_P12ihipStream_tbDpT10_ENKUlT_T0_E_clISt17integral_constantIbLb1EES19_EEDaS14_S15_EUlS14_E_NS1_11comp_targetILNS1_3genE9ELNS1_11target_archE1100ELNS1_3gpuE3ELNS1_3repE0EEENS1_30default_config_static_selectorELNS0_4arch9wavefront6targetE1EEEvT1_
		.amdhsa_group_segment_fixed_size 0
		.amdhsa_private_segment_fixed_size 0
		.amdhsa_kernarg_size 144
		.amdhsa_user_sgpr_count 6
		.amdhsa_user_sgpr_private_segment_buffer 1
		.amdhsa_user_sgpr_dispatch_ptr 0
		.amdhsa_user_sgpr_queue_ptr 0
		.amdhsa_user_sgpr_kernarg_segment_ptr 1
		.amdhsa_user_sgpr_dispatch_id 0
		.amdhsa_user_sgpr_flat_scratch_init 0
		.amdhsa_user_sgpr_kernarg_preload_length 0
		.amdhsa_user_sgpr_kernarg_preload_offset 0
		.amdhsa_user_sgpr_private_segment_size 0
		.amdhsa_uses_dynamic_stack 0
		.amdhsa_system_sgpr_private_segment_wavefront_offset 0
		.amdhsa_system_sgpr_workgroup_id_x 1
		.amdhsa_system_sgpr_workgroup_id_y 0
		.amdhsa_system_sgpr_workgroup_id_z 0
		.amdhsa_system_sgpr_workgroup_info 0
		.amdhsa_system_vgpr_workitem_id 0
		.amdhsa_next_free_vgpr 1
		.amdhsa_next_free_sgpr 0
		.amdhsa_accum_offset 4
		.amdhsa_reserve_vcc 0
		.amdhsa_reserve_flat_scratch 0
		.amdhsa_float_round_mode_32 0
		.amdhsa_float_round_mode_16_64 0
		.amdhsa_float_denorm_mode_32 3
		.amdhsa_float_denorm_mode_16_64 3
		.amdhsa_dx10_clamp 1
		.amdhsa_ieee_mode 1
		.amdhsa_fp16_overflow 0
		.amdhsa_tg_split 0
		.amdhsa_exception_fp_ieee_invalid_op 0
		.amdhsa_exception_fp_denorm_src 0
		.amdhsa_exception_fp_ieee_div_zero 0
		.amdhsa_exception_fp_ieee_overflow 0
		.amdhsa_exception_fp_ieee_underflow 0
		.amdhsa_exception_fp_ieee_inexact 0
		.amdhsa_exception_int_div_zero 0
	.end_amdhsa_kernel
	.section	.text._ZN7rocprim17ROCPRIM_400000_NS6detail17trampoline_kernelINS0_14default_configENS1_25partition_config_selectorILNS1_17partition_subalgoE0EiNS0_10empty_typeEbEEZZNS1_14partition_implILS5_0ELb0ES3_jN6thrust23THRUST_200600_302600_NS6detail15normal_iteratorINSA_10device_ptrIiEEEEPS6_SG_NS0_5tupleIJNSA_16discard_iteratorINSA_11use_defaultEEESF_EEENSH_IJSG_SG_EEES6_PlJ7is_evenIiEEEE10hipError_tPvRmT3_T4_T5_T6_T7_T9_mT8_P12ihipStream_tbDpT10_ENKUlT_T0_E_clISt17integral_constantIbLb1EES19_EEDaS14_S15_EUlS14_E_NS1_11comp_targetILNS1_3genE9ELNS1_11target_archE1100ELNS1_3gpuE3ELNS1_3repE0EEENS1_30default_config_static_selectorELNS0_4arch9wavefront6targetE1EEEvT1_,"axG",@progbits,_ZN7rocprim17ROCPRIM_400000_NS6detail17trampoline_kernelINS0_14default_configENS1_25partition_config_selectorILNS1_17partition_subalgoE0EiNS0_10empty_typeEbEEZZNS1_14partition_implILS5_0ELb0ES3_jN6thrust23THRUST_200600_302600_NS6detail15normal_iteratorINSA_10device_ptrIiEEEEPS6_SG_NS0_5tupleIJNSA_16discard_iteratorINSA_11use_defaultEEESF_EEENSH_IJSG_SG_EEES6_PlJ7is_evenIiEEEE10hipError_tPvRmT3_T4_T5_T6_T7_T9_mT8_P12ihipStream_tbDpT10_ENKUlT_T0_E_clISt17integral_constantIbLb1EES19_EEDaS14_S15_EUlS14_E_NS1_11comp_targetILNS1_3genE9ELNS1_11target_archE1100ELNS1_3gpuE3ELNS1_3repE0EEENS1_30default_config_static_selectorELNS0_4arch9wavefront6targetE1EEEvT1_,comdat
.Lfunc_end2761:
	.size	_ZN7rocprim17ROCPRIM_400000_NS6detail17trampoline_kernelINS0_14default_configENS1_25partition_config_selectorILNS1_17partition_subalgoE0EiNS0_10empty_typeEbEEZZNS1_14partition_implILS5_0ELb0ES3_jN6thrust23THRUST_200600_302600_NS6detail15normal_iteratorINSA_10device_ptrIiEEEEPS6_SG_NS0_5tupleIJNSA_16discard_iteratorINSA_11use_defaultEEESF_EEENSH_IJSG_SG_EEES6_PlJ7is_evenIiEEEE10hipError_tPvRmT3_T4_T5_T6_T7_T9_mT8_P12ihipStream_tbDpT10_ENKUlT_T0_E_clISt17integral_constantIbLb1EES19_EEDaS14_S15_EUlS14_E_NS1_11comp_targetILNS1_3genE9ELNS1_11target_archE1100ELNS1_3gpuE3ELNS1_3repE0EEENS1_30default_config_static_selectorELNS0_4arch9wavefront6targetE1EEEvT1_, .Lfunc_end2761-_ZN7rocprim17ROCPRIM_400000_NS6detail17trampoline_kernelINS0_14default_configENS1_25partition_config_selectorILNS1_17partition_subalgoE0EiNS0_10empty_typeEbEEZZNS1_14partition_implILS5_0ELb0ES3_jN6thrust23THRUST_200600_302600_NS6detail15normal_iteratorINSA_10device_ptrIiEEEEPS6_SG_NS0_5tupleIJNSA_16discard_iteratorINSA_11use_defaultEEESF_EEENSH_IJSG_SG_EEES6_PlJ7is_evenIiEEEE10hipError_tPvRmT3_T4_T5_T6_T7_T9_mT8_P12ihipStream_tbDpT10_ENKUlT_T0_E_clISt17integral_constantIbLb1EES19_EEDaS14_S15_EUlS14_E_NS1_11comp_targetILNS1_3genE9ELNS1_11target_archE1100ELNS1_3gpuE3ELNS1_3repE0EEENS1_30default_config_static_selectorELNS0_4arch9wavefront6targetE1EEEvT1_
                                        ; -- End function
	.section	.AMDGPU.csdata,"",@progbits
; Kernel info:
; codeLenInByte = 0
; NumSgprs: 4
; NumVgprs: 0
; NumAgprs: 0
; TotalNumVgprs: 0
; ScratchSize: 0
; MemoryBound: 0
; FloatMode: 240
; IeeeMode: 1
; LDSByteSize: 0 bytes/workgroup (compile time only)
; SGPRBlocks: 0
; VGPRBlocks: 0
; NumSGPRsForWavesPerEU: 4
; NumVGPRsForWavesPerEU: 1
; AccumOffset: 4
; Occupancy: 8
; WaveLimiterHint : 0
; COMPUTE_PGM_RSRC2:SCRATCH_EN: 0
; COMPUTE_PGM_RSRC2:USER_SGPR: 6
; COMPUTE_PGM_RSRC2:TRAP_HANDLER: 0
; COMPUTE_PGM_RSRC2:TGID_X_EN: 1
; COMPUTE_PGM_RSRC2:TGID_Y_EN: 0
; COMPUTE_PGM_RSRC2:TGID_Z_EN: 0
; COMPUTE_PGM_RSRC2:TIDIG_COMP_CNT: 0
; COMPUTE_PGM_RSRC3_GFX90A:ACCUM_OFFSET: 0
; COMPUTE_PGM_RSRC3_GFX90A:TG_SPLIT: 0
	.section	.text._ZN7rocprim17ROCPRIM_400000_NS6detail17trampoline_kernelINS0_14default_configENS1_25partition_config_selectorILNS1_17partition_subalgoE0EiNS0_10empty_typeEbEEZZNS1_14partition_implILS5_0ELb0ES3_jN6thrust23THRUST_200600_302600_NS6detail15normal_iteratorINSA_10device_ptrIiEEEEPS6_SG_NS0_5tupleIJNSA_16discard_iteratorINSA_11use_defaultEEESF_EEENSH_IJSG_SG_EEES6_PlJ7is_evenIiEEEE10hipError_tPvRmT3_T4_T5_T6_T7_T9_mT8_P12ihipStream_tbDpT10_ENKUlT_T0_E_clISt17integral_constantIbLb1EES19_EEDaS14_S15_EUlS14_E_NS1_11comp_targetILNS1_3genE8ELNS1_11target_archE1030ELNS1_3gpuE2ELNS1_3repE0EEENS1_30default_config_static_selectorELNS0_4arch9wavefront6targetE1EEEvT1_,"axG",@progbits,_ZN7rocprim17ROCPRIM_400000_NS6detail17trampoline_kernelINS0_14default_configENS1_25partition_config_selectorILNS1_17partition_subalgoE0EiNS0_10empty_typeEbEEZZNS1_14partition_implILS5_0ELb0ES3_jN6thrust23THRUST_200600_302600_NS6detail15normal_iteratorINSA_10device_ptrIiEEEEPS6_SG_NS0_5tupleIJNSA_16discard_iteratorINSA_11use_defaultEEESF_EEENSH_IJSG_SG_EEES6_PlJ7is_evenIiEEEE10hipError_tPvRmT3_T4_T5_T6_T7_T9_mT8_P12ihipStream_tbDpT10_ENKUlT_T0_E_clISt17integral_constantIbLb1EES19_EEDaS14_S15_EUlS14_E_NS1_11comp_targetILNS1_3genE8ELNS1_11target_archE1030ELNS1_3gpuE2ELNS1_3repE0EEENS1_30default_config_static_selectorELNS0_4arch9wavefront6targetE1EEEvT1_,comdat
	.protected	_ZN7rocprim17ROCPRIM_400000_NS6detail17trampoline_kernelINS0_14default_configENS1_25partition_config_selectorILNS1_17partition_subalgoE0EiNS0_10empty_typeEbEEZZNS1_14partition_implILS5_0ELb0ES3_jN6thrust23THRUST_200600_302600_NS6detail15normal_iteratorINSA_10device_ptrIiEEEEPS6_SG_NS0_5tupleIJNSA_16discard_iteratorINSA_11use_defaultEEESF_EEENSH_IJSG_SG_EEES6_PlJ7is_evenIiEEEE10hipError_tPvRmT3_T4_T5_T6_T7_T9_mT8_P12ihipStream_tbDpT10_ENKUlT_T0_E_clISt17integral_constantIbLb1EES19_EEDaS14_S15_EUlS14_E_NS1_11comp_targetILNS1_3genE8ELNS1_11target_archE1030ELNS1_3gpuE2ELNS1_3repE0EEENS1_30default_config_static_selectorELNS0_4arch9wavefront6targetE1EEEvT1_ ; -- Begin function _ZN7rocprim17ROCPRIM_400000_NS6detail17trampoline_kernelINS0_14default_configENS1_25partition_config_selectorILNS1_17partition_subalgoE0EiNS0_10empty_typeEbEEZZNS1_14partition_implILS5_0ELb0ES3_jN6thrust23THRUST_200600_302600_NS6detail15normal_iteratorINSA_10device_ptrIiEEEEPS6_SG_NS0_5tupleIJNSA_16discard_iteratorINSA_11use_defaultEEESF_EEENSH_IJSG_SG_EEES6_PlJ7is_evenIiEEEE10hipError_tPvRmT3_T4_T5_T6_T7_T9_mT8_P12ihipStream_tbDpT10_ENKUlT_T0_E_clISt17integral_constantIbLb1EES19_EEDaS14_S15_EUlS14_E_NS1_11comp_targetILNS1_3genE8ELNS1_11target_archE1030ELNS1_3gpuE2ELNS1_3repE0EEENS1_30default_config_static_selectorELNS0_4arch9wavefront6targetE1EEEvT1_
	.globl	_ZN7rocprim17ROCPRIM_400000_NS6detail17trampoline_kernelINS0_14default_configENS1_25partition_config_selectorILNS1_17partition_subalgoE0EiNS0_10empty_typeEbEEZZNS1_14partition_implILS5_0ELb0ES3_jN6thrust23THRUST_200600_302600_NS6detail15normal_iteratorINSA_10device_ptrIiEEEEPS6_SG_NS0_5tupleIJNSA_16discard_iteratorINSA_11use_defaultEEESF_EEENSH_IJSG_SG_EEES6_PlJ7is_evenIiEEEE10hipError_tPvRmT3_T4_T5_T6_T7_T9_mT8_P12ihipStream_tbDpT10_ENKUlT_T0_E_clISt17integral_constantIbLb1EES19_EEDaS14_S15_EUlS14_E_NS1_11comp_targetILNS1_3genE8ELNS1_11target_archE1030ELNS1_3gpuE2ELNS1_3repE0EEENS1_30default_config_static_selectorELNS0_4arch9wavefront6targetE1EEEvT1_
	.p2align	8
	.type	_ZN7rocprim17ROCPRIM_400000_NS6detail17trampoline_kernelINS0_14default_configENS1_25partition_config_selectorILNS1_17partition_subalgoE0EiNS0_10empty_typeEbEEZZNS1_14partition_implILS5_0ELb0ES3_jN6thrust23THRUST_200600_302600_NS6detail15normal_iteratorINSA_10device_ptrIiEEEEPS6_SG_NS0_5tupleIJNSA_16discard_iteratorINSA_11use_defaultEEESF_EEENSH_IJSG_SG_EEES6_PlJ7is_evenIiEEEE10hipError_tPvRmT3_T4_T5_T6_T7_T9_mT8_P12ihipStream_tbDpT10_ENKUlT_T0_E_clISt17integral_constantIbLb1EES19_EEDaS14_S15_EUlS14_E_NS1_11comp_targetILNS1_3genE8ELNS1_11target_archE1030ELNS1_3gpuE2ELNS1_3repE0EEENS1_30default_config_static_selectorELNS0_4arch9wavefront6targetE1EEEvT1_,@function
_ZN7rocprim17ROCPRIM_400000_NS6detail17trampoline_kernelINS0_14default_configENS1_25partition_config_selectorILNS1_17partition_subalgoE0EiNS0_10empty_typeEbEEZZNS1_14partition_implILS5_0ELb0ES3_jN6thrust23THRUST_200600_302600_NS6detail15normal_iteratorINSA_10device_ptrIiEEEEPS6_SG_NS0_5tupleIJNSA_16discard_iteratorINSA_11use_defaultEEESF_EEENSH_IJSG_SG_EEES6_PlJ7is_evenIiEEEE10hipError_tPvRmT3_T4_T5_T6_T7_T9_mT8_P12ihipStream_tbDpT10_ENKUlT_T0_E_clISt17integral_constantIbLb1EES19_EEDaS14_S15_EUlS14_E_NS1_11comp_targetILNS1_3genE8ELNS1_11target_archE1030ELNS1_3gpuE2ELNS1_3repE0EEENS1_30default_config_static_selectorELNS0_4arch9wavefront6targetE1EEEvT1_: ; @_ZN7rocprim17ROCPRIM_400000_NS6detail17trampoline_kernelINS0_14default_configENS1_25partition_config_selectorILNS1_17partition_subalgoE0EiNS0_10empty_typeEbEEZZNS1_14partition_implILS5_0ELb0ES3_jN6thrust23THRUST_200600_302600_NS6detail15normal_iteratorINSA_10device_ptrIiEEEEPS6_SG_NS0_5tupleIJNSA_16discard_iteratorINSA_11use_defaultEEESF_EEENSH_IJSG_SG_EEES6_PlJ7is_evenIiEEEE10hipError_tPvRmT3_T4_T5_T6_T7_T9_mT8_P12ihipStream_tbDpT10_ENKUlT_T0_E_clISt17integral_constantIbLb1EES19_EEDaS14_S15_EUlS14_E_NS1_11comp_targetILNS1_3genE8ELNS1_11target_archE1030ELNS1_3gpuE2ELNS1_3repE0EEENS1_30default_config_static_selectorELNS0_4arch9wavefront6targetE1EEEvT1_
; %bb.0:
	.section	.rodata,"a",@progbits
	.p2align	6, 0x0
	.amdhsa_kernel _ZN7rocprim17ROCPRIM_400000_NS6detail17trampoline_kernelINS0_14default_configENS1_25partition_config_selectorILNS1_17partition_subalgoE0EiNS0_10empty_typeEbEEZZNS1_14partition_implILS5_0ELb0ES3_jN6thrust23THRUST_200600_302600_NS6detail15normal_iteratorINSA_10device_ptrIiEEEEPS6_SG_NS0_5tupleIJNSA_16discard_iteratorINSA_11use_defaultEEESF_EEENSH_IJSG_SG_EEES6_PlJ7is_evenIiEEEE10hipError_tPvRmT3_T4_T5_T6_T7_T9_mT8_P12ihipStream_tbDpT10_ENKUlT_T0_E_clISt17integral_constantIbLb1EES19_EEDaS14_S15_EUlS14_E_NS1_11comp_targetILNS1_3genE8ELNS1_11target_archE1030ELNS1_3gpuE2ELNS1_3repE0EEENS1_30default_config_static_selectorELNS0_4arch9wavefront6targetE1EEEvT1_
		.amdhsa_group_segment_fixed_size 0
		.amdhsa_private_segment_fixed_size 0
		.amdhsa_kernarg_size 144
		.amdhsa_user_sgpr_count 6
		.amdhsa_user_sgpr_private_segment_buffer 1
		.amdhsa_user_sgpr_dispatch_ptr 0
		.amdhsa_user_sgpr_queue_ptr 0
		.amdhsa_user_sgpr_kernarg_segment_ptr 1
		.amdhsa_user_sgpr_dispatch_id 0
		.amdhsa_user_sgpr_flat_scratch_init 0
		.amdhsa_user_sgpr_kernarg_preload_length 0
		.amdhsa_user_sgpr_kernarg_preload_offset 0
		.amdhsa_user_sgpr_private_segment_size 0
		.amdhsa_uses_dynamic_stack 0
		.amdhsa_system_sgpr_private_segment_wavefront_offset 0
		.amdhsa_system_sgpr_workgroup_id_x 1
		.amdhsa_system_sgpr_workgroup_id_y 0
		.amdhsa_system_sgpr_workgroup_id_z 0
		.amdhsa_system_sgpr_workgroup_info 0
		.amdhsa_system_vgpr_workitem_id 0
		.amdhsa_next_free_vgpr 1
		.amdhsa_next_free_sgpr 0
		.amdhsa_accum_offset 4
		.amdhsa_reserve_vcc 0
		.amdhsa_reserve_flat_scratch 0
		.amdhsa_float_round_mode_32 0
		.amdhsa_float_round_mode_16_64 0
		.amdhsa_float_denorm_mode_32 3
		.amdhsa_float_denorm_mode_16_64 3
		.amdhsa_dx10_clamp 1
		.amdhsa_ieee_mode 1
		.amdhsa_fp16_overflow 0
		.amdhsa_tg_split 0
		.amdhsa_exception_fp_ieee_invalid_op 0
		.amdhsa_exception_fp_denorm_src 0
		.amdhsa_exception_fp_ieee_div_zero 0
		.amdhsa_exception_fp_ieee_overflow 0
		.amdhsa_exception_fp_ieee_underflow 0
		.amdhsa_exception_fp_ieee_inexact 0
		.amdhsa_exception_int_div_zero 0
	.end_amdhsa_kernel
	.section	.text._ZN7rocprim17ROCPRIM_400000_NS6detail17trampoline_kernelINS0_14default_configENS1_25partition_config_selectorILNS1_17partition_subalgoE0EiNS0_10empty_typeEbEEZZNS1_14partition_implILS5_0ELb0ES3_jN6thrust23THRUST_200600_302600_NS6detail15normal_iteratorINSA_10device_ptrIiEEEEPS6_SG_NS0_5tupleIJNSA_16discard_iteratorINSA_11use_defaultEEESF_EEENSH_IJSG_SG_EEES6_PlJ7is_evenIiEEEE10hipError_tPvRmT3_T4_T5_T6_T7_T9_mT8_P12ihipStream_tbDpT10_ENKUlT_T0_E_clISt17integral_constantIbLb1EES19_EEDaS14_S15_EUlS14_E_NS1_11comp_targetILNS1_3genE8ELNS1_11target_archE1030ELNS1_3gpuE2ELNS1_3repE0EEENS1_30default_config_static_selectorELNS0_4arch9wavefront6targetE1EEEvT1_,"axG",@progbits,_ZN7rocprim17ROCPRIM_400000_NS6detail17trampoline_kernelINS0_14default_configENS1_25partition_config_selectorILNS1_17partition_subalgoE0EiNS0_10empty_typeEbEEZZNS1_14partition_implILS5_0ELb0ES3_jN6thrust23THRUST_200600_302600_NS6detail15normal_iteratorINSA_10device_ptrIiEEEEPS6_SG_NS0_5tupleIJNSA_16discard_iteratorINSA_11use_defaultEEESF_EEENSH_IJSG_SG_EEES6_PlJ7is_evenIiEEEE10hipError_tPvRmT3_T4_T5_T6_T7_T9_mT8_P12ihipStream_tbDpT10_ENKUlT_T0_E_clISt17integral_constantIbLb1EES19_EEDaS14_S15_EUlS14_E_NS1_11comp_targetILNS1_3genE8ELNS1_11target_archE1030ELNS1_3gpuE2ELNS1_3repE0EEENS1_30default_config_static_selectorELNS0_4arch9wavefront6targetE1EEEvT1_,comdat
.Lfunc_end2762:
	.size	_ZN7rocprim17ROCPRIM_400000_NS6detail17trampoline_kernelINS0_14default_configENS1_25partition_config_selectorILNS1_17partition_subalgoE0EiNS0_10empty_typeEbEEZZNS1_14partition_implILS5_0ELb0ES3_jN6thrust23THRUST_200600_302600_NS6detail15normal_iteratorINSA_10device_ptrIiEEEEPS6_SG_NS0_5tupleIJNSA_16discard_iteratorINSA_11use_defaultEEESF_EEENSH_IJSG_SG_EEES6_PlJ7is_evenIiEEEE10hipError_tPvRmT3_T4_T5_T6_T7_T9_mT8_P12ihipStream_tbDpT10_ENKUlT_T0_E_clISt17integral_constantIbLb1EES19_EEDaS14_S15_EUlS14_E_NS1_11comp_targetILNS1_3genE8ELNS1_11target_archE1030ELNS1_3gpuE2ELNS1_3repE0EEENS1_30default_config_static_selectorELNS0_4arch9wavefront6targetE1EEEvT1_, .Lfunc_end2762-_ZN7rocprim17ROCPRIM_400000_NS6detail17trampoline_kernelINS0_14default_configENS1_25partition_config_selectorILNS1_17partition_subalgoE0EiNS0_10empty_typeEbEEZZNS1_14partition_implILS5_0ELb0ES3_jN6thrust23THRUST_200600_302600_NS6detail15normal_iteratorINSA_10device_ptrIiEEEEPS6_SG_NS0_5tupleIJNSA_16discard_iteratorINSA_11use_defaultEEESF_EEENSH_IJSG_SG_EEES6_PlJ7is_evenIiEEEE10hipError_tPvRmT3_T4_T5_T6_T7_T9_mT8_P12ihipStream_tbDpT10_ENKUlT_T0_E_clISt17integral_constantIbLb1EES19_EEDaS14_S15_EUlS14_E_NS1_11comp_targetILNS1_3genE8ELNS1_11target_archE1030ELNS1_3gpuE2ELNS1_3repE0EEENS1_30default_config_static_selectorELNS0_4arch9wavefront6targetE1EEEvT1_
                                        ; -- End function
	.section	.AMDGPU.csdata,"",@progbits
; Kernel info:
; codeLenInByte = 0
; NumSgprs: 4
; NumVgprs: 0
; NumAgprs: 0
; TotalNumVgprs: 0
; ScratchSize: 0
; MemoryBound: 0
; FloatMode: 240
; IeeeMode: 1
; LDSByteSize: 0 bytes/workgroup (compile time only)
; SGPRBlocks: 0
; VGPRBlocks: 0
; NumSGPRsForWavesPerEU: 4
; NumVGPRsForWavesPerEU: 1
; AccumOffset: 4
; Occupancy: 8
; WaveLimiterHint : 0
; COMPUTE_PGM_RSRC2:SCRATCH_EN: 0
; COMPUTE_PGM_RSRC2:USER_SGPR: 6
; COMPUTE_PGM_RSRC2:TRAP_HANDLER: 0
; COMPUTE_PGM_RSRC2:TGID_X_EN: 1
; COMPUTE_PGM_RSRC2:TGID_Y_EN: 0
; COMPUTE_PGM_RSRC2:TGID_Z_EN: 0
; COMPUTE_PGM_RSRC2:TIDIG_COMP_CNT: 0
; COMPUTE_PGM_RSRC3_GFX90A:ACCUM_OFFSET: 0
; COMPUTE_PGM_RSRC3_GFX90A:TG_SPLIT: 0
	.section	.text._ZN7rocprim17ROCPRIM_400000_NS6detail17trampoline_kernelINS0_14default_configENS1_25partition_config_selectorILNS1_17partition_subalgoE0EiNS0_10empty_typeEbEEZZNS1_14partition_implILS5_0ELb0ES3_jN6thrust23THRUST_200600_302600_NS6detail15normal_iteratorINSA_10device_ptrIiEEEEPS6_SG_NS0_5tupleIJNSA_16discard_iteratorINSA_11use_defaultEEESF_EEENSH_IJSG_SG_EEES6_PlJ7is_evenIiEEEE10hipError_tPvRmT3_T4_T5_T6_T7_T9_mT8_P12ihipStream_tbDpT10_ENKUlT_T0_E_clISt17integral_constantIbLb1EES18_IbLb0EEEEDaS14_S15_EUlS14_E_NS1_11comp_targetILNS1_3genE0ELNS1_11target_archE4294967295ELNS1_3gpuE0ELNS1_3repE0EEENS1_30default_config_static_selectorELNS0_4arch9wavefront6targetE1EEEvT1_,"axG",@progbits,_ZN7rocprim17ROCPRIM_400000_NS6detail17trampoline_kernelINS0_14default_configENS1_25partition_config_selectorILNS1_17partition_subalgoE0EiNS0_10empty_typeEbEEZZNS1_14partition_implILS5_0ELb0ES3_jN6thrust23THRUST_200600_302600_NS6detail15normal_iteratorINSA_10device_ptrIiEEEEPS6_SG_NS0_5tupleIJNSA_16discard_iteratorINSA_11use_defaultEEESF_EEENSH_IJSG_SG_EEES6_PlJ7is_evenIiEEEE10hipError_tPvRmT3_T4_T5_T6_T7_T9_mT8_P12ihipStream_tbDpT10_ENKUlT_T0_E_clISt17integral_constantIbLb1EES18_IbLb0EEEEDaS14_S15_EUlS14_E_NS1_11comp_targetILNS1_3genE0ELNS1_11target_archE4294967295ELNS1_3gpuE0ELNS1_3repE0EEENS1_30default_config_static_selectorELNS0_4arch9wavefront6targetE1EEEvT1_,comdat
	.protected	_ZN7rocprim17ROCPRIM_400000_NS6detail17trampoline_kernelINS0_14default_configENS1_25partition_config_selectorILNS1_17partition_subalgoE0EiNS0_10empty_typeEbEEZZNS1_14partition_implILS5_0ELb0ES3_jN6thrust23THRUST_200600_302600_NS6detail15normal_iteratorINSA_10device_ptrIiEEEEPS6_SG_NS0_5tupleIJNSA_16discard_iteratorINSA_11use_defaultEEESF_EEENSH_IJSG_SG_EEES6_PlJ7is_evenIiEEEE10hipError_tPvRmT3_T4_T5_T6_T7_T9_mT8_P12ihipStream_tbDpT10_ENKUlT_T0_E_clISt17integral_constantIbLb1EES18_IbLb0EEEEDaS14_S15_EUlS14_E_NS1_11comp_targetILNS1_3genE0ELNS1_11target_archE4294967295ELNS1_3gpuE0ELNS1_3repE0EEENS1_30default_config_static_selectorELNS0_4arch9wavefront6targetE1EEEvT1_ ; -- Begin function _ZN7rocprim17ROCPRIM_400000_NS6detail17trampoline_kernelINS0_14default_configENS1_25partition_config_selectorILNS1_17partition_subalgoE0EiNS0_10empty_typeEbEEZZNS1_14partition_implILS5_0ELb0ES3_jN6thrust23THRUST_200600_302600_NS6detail15normal_iteratorINSA_10device_ptrIiEEEEPS6_SG_NS0_5tupleIJNSA_16discard_iteratorINSA_11use_defaultEEESF_EEENSH_IJSG_SG_EEES6_PlJ7is_evenIiEEEE10hipError_tPvRmT3_T4_T5_T6_T7_T9_mT8_P12ihipStream_tbDpT10_ENKUlT_T0_E_clISt17integral_constantIbLb1EES18_IbLb0EEEEDaS14_S15_EUlS14_E_NS1_11comp_targetILNS1_3genE0ELNS1_11target_archE4294967295ELNS1_3gpuE0ELNS1_3repE0EEENS1_30default_config_static_selectorELNS0_4arch9wavefront6targetE1EEEvT1_
	.globl	_ZN7rocprim17ROCPRIM_400000_NS6detail17trampoline_kernelINS0_14default_configENS1_25partition_config_selectorILNS1_17partition_subalgoE0EiNS0_10empty_typeEbEEZZNS1_14partition_implILS5_0ELb0ES3_jN6thrust23THRUST_200600_302600_NS6detail15normal_iteratorINSA_10device_ptrIiEEEEPS6_SG_NS0_5tupleIJNSA_16discard_iteratorINSA_11use_defaultEEESF_EEENSH_IJSG_SG_EEES6_PlJ7is_evenIiEEEE10hipError_tPvRmT3_T4_T5_T6_T7_T9_mT8_P12ihipStream_tbDpT10_ENKUlT_T0_E_clISt17integral_constantIbLb1EES18_IbLb0EEEEDaS14_S15_EUlS14_E_NS1_11comp_targetILNS1_3genE0ELNS1_11target_archE4294967295ELNS1_3gpuE0ELNS1_3repE0EEENS1_30default_config_static_selectorELNS0_4arch9wavefront6targetE1EEEvT1_
	.p2align	8
	.type	_ZN7rocprim17ROCPRIM_400000_NS6detail17trampoline_kernelINS0_14default_configENS1_25partition_config_selectorILNS1_17partition_subalgoE0EiNS0_10empty_typeEbEEZZNS1_14partition_implILS5_0ELb0ES3_jN6thrust23THRUST_200600_302600_NS6detail15normal_iteratorINSA_10device_ptrIiEEEEPS6_SG_NS0_5tupleIJNSA_16discard_iteratorINSA_11use_defaultEEESF_EEENSH_IJSG_SG_EEES6_PlJ7is_evenIiEEEE10hipError_tPvRmT3_T4_T5_T6_T7_T9_mT8_P12ihipStream_tbDpT10_ENKUlT_T0_E_clISt17integral_constantIbLb1EES18_IbLb0EEEEDaS14_S15_EUlS14_E_NS1_11comp_targetILNS1_3genE0ELNS1_11target_archE4294967295ELNS1_3gpuE0ELNS1_3repE0EEENS1_30default_config_static_selectorELNS0_4arch9wavefront6targetE1EEEvT1_,@function
_ZN7rocprim17ROCPRIM_400000_NS6detail17trampoline_kernelINS0_14default_configENS1_25partition_config_selectorILNS1_17partition_subalgoE0EiNS0_10empty_typeEbEEZZNS1_14partition_implILS5_0ELb0ES3_jN6thrust23THRUST_200600_302600_NS6detail15normal_iteratorINSA_10device_ptrIiEEEEPS6_SG_NS0_5tupleIJNSA_16discard_iteratorINSA_11use_defaultEEESF_EEENSH_IJSG_SG_EEES6_PlJ7is_evenIiEEEE10hipError_tPvRmT3_T4_T5_T6_T7_T9_mT8_P12ihipStream_tbDpT10_ENKUlT_T0_E_clISt17integral_constantIbLb1EES18_IbLb0EEEEDaS14_S15_EUlS14_E_NS1_11comp_targetILNS1_3genE0ELNS1_11target_archE4294967295ELNS1_3gpuE0ELNS1_3repE0EEENS1_30default_config_static_selectorELNS0_4arch9wavefront6targetE1EEEvT1_: ; @_ZN7rocprim17ROCPRIM_400000_NS6detail17trampoline_kernelINS0_14default_configENS1_25partition_config_selectorILNS1_17partition_subalgoE0EiNS0_10empty_typeEbEEZZNS1_14partition_implILS5_0ELb0ES3_jN6thrust23THRUST_200600_302600_NS6detail15normal_iteratorINSA_10device_ptrIiEEEEPS6_SG_NS0_5tupleIJNSA_16discard_iteratorINSA_11use_defaultEEESF_EEENSH_IJSG_SG_EEES6_PlJ7is_evenIiEEEE10hipError_tPvRmT3_T4_T5_T6_T7_T9_mT8_P12ihipStream_tbDpT10_ENKUlT_T0_E_clISt17integral_constantIbLb1EES18_IbLb0EEEEDaS14_S15_EUlS14_E_NS1_11comp_targetILNS1_3genE0ELNS1_11target_archE4294967295ELNS1_3gpuE0ELNS1_3repE0EEENS1_30default_config_static_selectorELNS0_4arch9wavefront6targetE1EEEvT1_
; %bb.0:
	.section	.rodata,"a",@progbits
	.p2align	6, 0x0
	.amdhsa_kernel _ZN7rocprim17ROCPRIM_400000_NS6detail17trampoline_kernelINS0_14default_configENS1_25partition_config_selectorILNS1_17partition_subalgoE0EiNS0_10empty_typeEbEEZZNS1_14partition_implILS5_0ELb0ES3_jN6thrust23THRUST_200600_302600_NS6detail15normal_iteratorINSA_10device_ptrIiEEEEPS6_SG_NS0_5tupleIJNSA_16discard_iteratorINSA_11use_defaultEEESF_EEENSH_IJSG_SG_EEES6_PlJ7is_evenIiEEEE10hipError_tPvRmT3_T4_T5_T6_T7_T9_mT8_P12ihipStream_tbDpT10_ENKUlT_T0_E_clISt17integral_constantIbLb1EES18_IbLb0EEEEDaS14_S15_EUlS14_E_NS1_11comp_targetILNS1_3genE0ELNS1_11target_archE4294967295ELNS1_3gpuE0ELNS1_3repE0EEENS1_30default_config_static_selectorELNS0_4arch9wavefront6targetE1EEEvT1_
		.amdhsa_group_segment_fixed_size 0
		.amdhsa_private_segment_fixed_size 0
		.amdhsa_kernarg_size 128
		.amdhsa_user_sgpr_count 6
		.amdhsa_user_sgpr_private_segment_buffer 1
		.amdhsa_user_sgpr_dispatch_ptr 0
		.amdhsa_user_sgpr_queue_ptr 0
		.amdhsa_user_sgpr_kernarg_segment_ptr 1
		.amdhsa_user_sgpr_dispatch_id 0
		.amdhsa_user_sgpr_flat_scratch_init 0
		.amdhsa_user_sgpr_kernarg_preload_length 0
		.amdhsa_user_sgpr_kernarg_preload_offset 0
		.amdhsa_user_sgpr_private_segment_size 0
		.amdhsa_uses_dynamic_stack 0
		.amdhsa_system_sgpr_private_segment_wavefront_offset 0
		.amdhsa_system_sgpr_workgroup_id_x 1
		.amdhsa_system_sgpr_workgroup_id_y 0
		.amdhsa_system_sgpr_workgroup_id_z 0
		.amdhsa_system_sgpr_workgroup_info 0
		.amdhsa_system_vgpr_workitem_id 0
		.amdhsa_next_free_vgpr 1
		.amdhsa_next_free_sgpr 0
		.amdhsa_accum_offset 4
		.amdhsa_reserve_vcc 0
		.amdhsa_reserve_flat_scratch 0
		.amdhsa_float_round_mode_32 0
		.amdhsa_float_round_mode_16_64 0
		.amdhsa_float_denorm_mode_32 3
		.amdhsa_float_denorm_mode_16_64 3
		.amdhsa_dx10_clamp 1
		.amdhsa_ieee_mode 1
		.amdhsa_fp16_overflow 0
		.amdhsa_tg_split 0
		.amdhsa_exception_fp_ieee_invalid_op 0
		.amdhsa_exception_fp_denorm_src 0
		.amdhsa_exception_fp_ieee_div_zero 0
		.amdhsa_exception_fp_ieee_overflow 0
		.amdhsa_exception_fp_ieee_underflow 0
		.amdhsa_exception_fp_ieee_inexact 0
		.amdhsa_exception_int_div_zero 0
	.end_amdhsa_kernel
	.section	.text._ZN7rocprim17ROCPRIM_400000_NS6detail17trampoline_kernelINS0_14default_configENS1_25partition_config_selectorILNS1_17partition_subalgoE0EiNS0_10empty_typeEbEEZZNS1_14partition_implILS5_0ELb0ES3_jN6thrust23THRUST_200600_302600_NS6detail15normal_iteratorINSA_10device_ptrIiEEEEPS6_SG_NS0_5tupleIJNSA_16discard_iteratorINSA_11use_defaultEEESF_EEENSH_IJSG_SG_EEES6_PlJ7is_evenIiEEEE10hipError_tPvRmT3_T4_T5_T6_T7_T9_mT8_P12ihipStream_tbDpT10_ENKUlT_T0_E_clISt17integral_constantIbLb1EES18_IbLb0EEEEDaS14_S15_EUlS14_E_NS1_11comp_targetILNS1_3genE0ELNS1_11target_archE4294967295ELNS1_3gpuE0ELNS1_3repE0EEENS1_30default_config_static_selectorELNS0_4arch9wavefront6targetE1EEEvT1_,"axG",@progbits,_ZN7rocprim17ROCPRIM_400000_NS6detail17trampoline_kernelINS0_14default_configENS1_25partition_config_selectorILNS1_17partition_subalgoE0EiNS0_10empty_typeEbEEZZNS1_14partition_implILS5_0ELb0ES3_jN6thrust23THRUST_200600_302600_NS6detail15normal_iteratorINSA_10device_ptrIiEEEEPS6_SG_NS0_5tupleIJNSA_16discard_iteratorINSA_11use_defaultEEESF_EEENSH_IJSG_SG_EEES6_PlJ7is_evenIiEEEE10hipError_tPvRmT3_T4_T5_T6_T7_T9_mT8_P12ihipStream_tbDpT10_ENKUlT_T0_E_clISt17integral_constantIbLb1EES18_IbLb0EEEEDaS14_S15_EUlS14_E_NS1_11comp_targetILNS1_3genE0ELNS1_11target_archE4294967295ELNS1_3gpuE0ELNS1_3repE0EEENS1_30default_config_static_selectorELNS0_4arch9wavefront6targetE1EEEvT1_,comdat
.Lfunc_end2763:
	.size	_ZN7rocprim17ROCPRIM_400000_NS6detail17trampoline_kernelINS0_14default_configENS1_25partition_config_selectorILNS1_17partition_subalgoE0EiNS0_10empty_typeEbEEZZNS1_14partition_implILS5_0ELb0ES3_jN6thrust23THRUST_200600_302600_NS6detail15normal_iteratorINSA_10device_ptrIiEEEEPS6_SG_NS0_5tupleIJNSA_16discard_iteratorINSA_11use_defaultEEESF_EEENSH_IJSG_SG_EEES6_PlJ7is_evenIiEEEE10hipError_tPvRmT3_T4_T5_T6_T7_T9_mT8_P12ihipStream_tbDpT10_ENKUlT_T0_E_clISt17integral_constantIbLb1EES18_IbLb0EEEEDaS14_S15_EUlS14_E_NS1_11comp_targetILNS1_3genE0ELNS1_11target_archE4294967295ELNS1_3gpuE0ELNS1_3repE0EEENS1_30default_config_static_selectorELNS0_4arch9wavefront6targetE1EEEvT1_, .Lfunc_end2763-_ZN7rocprim17ROCPRIM_400000_NS6detail17trampoline_kernelINS0_14default_configENS1_25partition_config_selectorILNS1_17partition_subalgoE0EiNS0_10empty_typeEbEEZZNS1_14partition_implILS5_0ELb0ES3_jN6thrust23THRUST_200600_302600_NS6detail15normal_iteratorINSA_10device_ptrIiEEEEPS6_SG_NS0_5tupleIJNSA_16discard_iteratorINSA_11use_defaultEEESF_EEENSH_IJSG_SG_EEES6_PlJ7is_evenIiEEEE10hipError_tPvRmT3_T4_T5_T6_T7_T9_mT8_P12ihipStream_tbDpT10_ENKUlT_T0_E_clISt17integral_constantIbLb1EES18_IbLb0EEEEDaS14_S15_EUlS14_E_NS1_11comp_targetILNS1_3genE0ELNS1_11target_archE4294967295ELNS1_3gpuE0ELNS1_3repE0EEENS1_30default_config_static_selectorELNS0_4arch9wavefront6targetE1EEEvT1_
                                        ; -- End function
	.section	.AMDGPU.csdata,"",@progbits
; Kernel info:
; codeLenInByte = 0
; NumSgprs: 4
; NumVgprs: 0
; NumAgprs: 0
; TotalNumVgprs: 0
; ScratchSize: 0
; MemoryBound: 0
; FloatMode: 240
; IeeeMode: 1
; LDSByteSize: 0 bytes/workgroup (compile time only)
; SGPRBlocks: 0
; VGPRBlocks: 0
; NumSGPRsForWavesPerEU: 4
; NumVGPRsForWavesPerEU: 1
; AccumOffset: 4
; Occupancy: 8
; WaveLimiterHint : 0
; COMPUTE_PGM_RSRC2:SCRATCH_EN: 0
; COMPUTE_PGM_RSRC2:USER_SGPR: 6
; COMPUTE_PGM_RSRC2:TRAP_HANDLER: 0
; COMPUTE_PGM_RSRC2:TGID_X_EN: 1
; COMPUTE_PGM_RSRC2:TGID_Y_EN: 0
; COMPUTE_PGM_RSRC2:TGID_Z_EN: 0
; COMPUTE_PGM_RSRC2:TIDIG_COMP_CNT: 0
; COMPUTE_PGM_RSRC3_GFX90A:ACCUM_OFFSET: 0
; COMPUTE_PGM_RSRC3_GFX90A:TG_SPLIT: 0
	.section	.text._ZN7rocprim17ROCPRIM_400000_NS6detail17trampoline_kernelINS0_14default_configENS1_25partition_config_selectorILNS1_17partition_subalgoE0EiNS0_10empty_typeEbEEZZNS1_14partition_implILS5_0ELb0ES3_jN6thrust23THRUST_200600_302600_NS6detail15normal_iteratorINSA_10device_ptrIiEEEEPS6_SG_NS0_5tupleIJNSA_16discard_iteratorINSA_11use_defaultEEESF_EEENSH_IJSG_SG_EEES6_PlJ7is_evenIiEEEE10hipError_tPvRmT3_T4_T5_T6_T7_T9_mT8_P12ihipStream_tbDpT10_ENKUlT_T0_E_clISt17integral_constantIbLb1EES18_IbLb0EEEEDaS14_S15_EUlS14_E_NS1_11comp_targetILNS1_3genE5ELNS1_11target_archE942ELNS1_3gpuE9ELNS1_3repE0EEENS1_30default_config_static_selectorELNS0_4arch9wavefront6targetE1EEEvT1_,"axG",@progbits,_ZN7rocprim17ROCPRIM_400000_NS6detail17trampoline_kernelINS0_14default_configENS1_25partition_config_selectorILNS1_17partition_subalgoE0EiNS0_10empty_typeEbEEZZNS1_14partition_implILS5_0ELb0ES3_jN6thrust23THRUST_200600_302600_NS6detail15normal_iteratorINSA_10device_ptrIiEEEEPS6_SG_NS0_5tupleIJNSA_16discard_iteratorINSA_11use_defaultEEESF_EEENSH_IJSG_SG_EEES6_PlJ7is_evenIiEEEE10hipError_tPvRmT3_T4_T5_T6_T7_T9_mT8_P12ihipStream_tbDpT10_ENKUlT_T0_E_clISt17integral_constantIbLb1EES18_IbLb0EEEEDaS14_S15_EUlS14_E_NS1_11comp_targetILNS1_3genE5ELNS1_11target_archE942ELNS1_3gpuE9ELNS1_3repE0EEENS1_30default_config_static_selectorELNS0_4arch9wavefront6targetE1EEEvT1_,comdat
	.protected	_ZN7rocprim17ROCPRIM_400000_NS6detail17trampoline_kernelINS0_14default_configENS1_25partition_config_selectorILNS1_17partition_subalgoE0EiNS0_10empty_typeEbEEZZNS1_14partition_implILS5_0ELb0ES3_jN6thrust23THRUST_200600_302600_NS6detail15normal_iteratorINSA_10device_ptrIiEEEEPS6_SG_NS0_5tupleIJNSA_16discard_iteratorINSA_11use_defaultEEESF_EEENSH_IJSG_SG_EEES6_PlJ7is_evenIiEEEE10hipError_tPvRmT3_T4_T5_T6_T7_T9_mT8_P12ihipStream_tbDpT10_ENKUlT_T0_E_clISt17integral_constantIbLb1EES18_IbLb0EEEEDaS14_S15_EUlS14_E_NS1_11comp_targetILNS1_3genE5ELNS1_11target_archE942ELNS1_3gpuE9ELNS1_3repE0EEENS1_30default_config_static_selectorELNS0_4arch9wavefront6targetE1EEEvT1_ ; -- Begin function _ZN7rocprim17ROCPRIM_400000_NS6detail17trampoline_kernelINS0_14default_configENS1_25partition_config_selectorILNS1_17partition_subalgoE0EiNS0_10empty_typeEbEEZZNS1_14partition_implILS5_0ELb0ES3_jN6thrust23THRUST_200600_302600_NS6detail15normal_iteratorINSA_10device_ptrIiEEEEPS6_SG_NS0_5tupleIJNSA_16discard_iteratorINSA_11use_defaultEEESF_EEENSH_IJSG_SG_EEES6_PlJ7is_evenIiEEEE10hipError_tPvRmT3_T4_T5_T6_T7_T9_mT8_P12ihipStream_tbDpT10_ENKUlT_T0_E_clISt17integral_constantIbLb1EES18_IbLb0EEEEDaS14_S15_EUlS14_E_NS1_11comp_targetILNS1_3genE5ELNS1_11target_archE942ELNS1_3gpuE9ELNS1_3repE0EEENS1_30default_config_static_selectorELNS0_4arch9wavefront6targetE1EEEvT1_
	.globl	_ZN7rocprim17ROCPRIM_400000_NS6detail17trampoline_kernelINS0_14default_configENS1_25partition_config_selectorILNS1_17partition_subalgoE0EiNS0_10empty_typeEbEEZZNS1_14partition_implILS5_0ELb0ES3_jN6thrust23THRUST_200600_302600_NS6detail15normal_iteratorINSA_10device_ptrIiEEEEPS6_SG_NS0_5tupleIJNSA_16discard_iteratorINSA_11use_defaultEEESF_EEENSH_IJSG_SG_EEES6_PlJ7is_evenIiEEEE10hipError_tPvRmT3_T4_T5_T6_T7_T9_mT8_P12ihipStream_tbDpT10_ENKUlT_T0_E_clISt17integral_constantIbLb1EES18_IbLb0EEEEDaS14_S15_EUlS14_E_NS1_11comp_targetILNS1_3genE5ELNS1_11target_archE942ELNS1_3gpuE9ELNS1_3repE0EEENS1_30default_config_static_selectorELNS0_4arch9wavefront6targetE1EEEvT1_
	.p2align	8
	.type	_ZN7rocprim17ROCPRIM_400000_NS6detail17trampoline_kernelINS0_14default_configENS1_25partition_config_selectorILNS1_17partition_subalgoE0EiNS0_10empty_typeEbEEZZNS1_14partition_implILS5_0ELb0ES3_jN6thrust23THRUST_200600_302600_NS6detail15normal_iteratorINSA_10device_ptrIiEEEEPS6_SG_NS0_5tupleIJNSA_16discard_iteratorINSA_11use_defaultEEESF_EEENSH_IJSG_SG_EEES6_PlJ7is_evenIiEEEE10hipError_tPvRmT3_T4_T5_T6_T7_T9_mT8_P12ihipStream_tbDpT10_ENKUlT_T0_E_clISt17integral_constantIbLb1EES18_IbLb0EEEEDaS14_S15_EUlS14_E_NS1_11comp_targetILNS1_3genE5ELNS1_11target_archE942ELNS1_3gpuE9ELNS1_3repE0EEENS1_30default_config_static_selectorELNS0_4arch9wavefront6targetE1EEEvT1_,@function
_ZN7rocprim17ROCPRIM_400000_NS6detail17trampoline_kernelINS0_14default_configENS1_25partition_config_selectorILNS1_17partition_subalgoE0EiNS0_10empty_typeEbEEZZNS1_14partition_implILS5_0ELb0ES3_jN6thrust23THRUST_200600_302600_NS6detail15normal_iteratorINSA_10device_ptrIiEEEEPS6_SG_NS0_5tupleIJNSA_16discard_iteratorINSA_11use_defaultEEESF_EEENSH_IJSG_SG_EEES6_PlJ7is_evenIiEEEE10hipError_tPvRmT3_T4_T5_T6_T7_T9_mT8_P12ihipStream_tbDpT10_ENKUlT_T0_E_clISt17integral_constantIbLb1EES18_IbLb0EEEEDaS14_S15_EUlS14_E_NS1_11comp_targetILNS1_3genE5ELNS1_11target_archE942ELNS1_3gpuE9ELNS1_3repE0EEENS1_30default_config_static_selectorELNS0_4arch9wavefront6targetE1EEEvT1_: ; @_ZN7rocprim17ROCPRIM_400000_NS6detail17trampoline_kernelINS0_14default_configENS1_25partition_config_selectorILNS1_17partition_subalgoE0EiNS0_10empty_typeEbEEZZNS1_14partition_implILS5_0ELb0ES3_jN6thrust23THRUST_200600_302600_NS6detail15normal_iteratorINSA_10device_ptrIiEEEEPS6_SG_NS0_5tupleIJNSA_16discard_iteratorINSA_11use_defaultEEESF_EEENSH_IJSG_SG_EEES6_PlJ7is_evenIiEEEE10hipError_tPvRmT3_T4_T5_T6_T7_T9_mT8_P12ihipStream_tbDpT10_ENKUlT_T0_E_clISt17integral_constantIbLb1EES18_IbLb0EEEEDaS14_S15_EUlS14_E_NS1_11comp_targetILNS1_3genE5ELNS1_11target_archE942ELNS1_3gpuE9ELNS1_3repE0EEENS1_30default_config_static_selectorELNS0_4arch9wavefront6targetE1EEEvT1_
; %bb.0:
	.section	.rodata,"a",@progbits
	.p2align	6, 0x0
	.amdhsa_kernel _ZN7rocprim17ROCPRIM_400000_NS6detail17trampoline_kernelINS0_14default_configENS1_25partition_config_selectorILNS1_17partition_subalgoE0EiNS0_10empty_typeEbEEZZNS1_14partition_implILS5_0ELb0ES3_jN6thrust23THRUST_200600_302600_NS6detail15normal_iteratorINSA_10device_ptrIiEEEEPS6_SG_NS0_5tupleIJNSA_16discard_iteratorINSA_11use_defaultEEESF_EEENSH_IJSG_SG_EEES6_PlJ7is_evenIiEEEE10hipError_tPvRmT3_T4_T5_T6_T7_T9_mT8_P12ihipStream_tbDpT10_ENKUlT_T0_E_clISt17integral_constantIbLb1EES18_IbLb0EEEEDaS14_S15_EUlS14_E_NS1_11comp_targetILNS1_3genE5ELNS1_11target_archE942ELNS1_3gpuE9ELNS1_3repE0EEENS1_30default_config_static_selectorELNS0_4arch9wavefront6targetE1EEEvT1_
		.amdhsa_group_segment_fixed_size 0
		.amdhsa_private_segment_fixed_size 0
		.amdhsa_kernarg_size 128
		.amdhsa_user_sgpr_count 6
		.amdhsa_user_sgpr_private_segment_buffer 1
		.amdhsa_user_sgpr_dispatch_ptr 0
		.amdhsa_user_sgpr_queue_ptr 0
		.amdhsa_user_sgpr_kernarg_segment_ptr 1
		.amdhsa_user_sgpr_dispatch_id 0
		.amdhsa_user_sgpr_flat_scratch_init 0
		.amdhsa_user_sgpr_kernarg_preload_length 0
		.amdhsa_user_sgpr_kernarg_preload_offset 0
		.amdhsa_user_sgpr_private_segment_size 0
		.amdhsa_uses_dynamic_stack 0
		.amdhsa_system_sgpr_private_segment_wavefront_offset 0
		.amdhsa_system_sgpr_workgroup_id_x 1
		.amdhsa_system_sgpr_workgroup_id_y 0
		.amdhsa_system_sgpr_workgroup_id_z 0
		.amdhsa_system_sgpr_workgroup_info 0
		.amdhsa_system_vgpr_workitem_id 0
		.amdhsa_next_free_vgpr 1
		.amdhsa_next_free_sgpr 0
		.amdhsa_accum_offset 4
		.amdhsa_reserve_vcc 0
		.amdhsa_reserve_flat_scratch 0
		.amdhsa_float_round_mode_32 0
		.amdhsa_float_round_mode_16_64 0
		.amdhsa_float_denorm_mode_32 3
		.amdhsa_float_denorm_mode_16_64 3
		.amdhsa_dx10_clamp 1
		.amdhsa_ieee_mode 1
		.amdhsa_fp16_overflow 0
		.amdhsa_tg_split 0
		.amdhsa_exception_fp_ieee_invalid_op 0
		.amdhsa_exception_fp_denorm_src 0
		.amdhsa_exception_fp_ieee_div_zero 0
		.amdhsa_exception_fp_ieee_overflow 0
		.amdhsa_exception_fp_ieee_underflow 0
		.amdhsa_exception_fp_ieee_inexact 0
		.amdhsa_exception_int_div_zero 0
	.end_amdhsa_kernel
	.section	.text._ZN7rocprim17ROCPRIM_400000_NS6detail17trampoline_kernelINS0_14default_configENS1_25partition_config_selectorILNS1_17partition_subalgoE0EiNS0_10empty_typeEbEEZZNS1_14partition_implILS5_0ELb0ES3_jN6thrust23THRUST_200600_302600_NS6detail15normal_iteratorINSA_10device_ptrIiEEEEPS6_SG_NS0_5tupleIJNSA_16discard_iteratorINSA_11use_defaultEEESF_EEENSH_IJSG_SG_EEES6_PlJ7is_evenIiEEEE10hipError_tPvRmT3_T4_T5_T6_T7_T9_mT8_P12ihipStream_tbDpT10_ENKUlT_T0_E_clISt17integral_constantIbLb1EES18_IbLb0EEEEDaS14_S15_EUlS14_E_NS1_11comp_targetILNS1_3genE5ELNS1_11target_archE942ELNS1_3gpuE9ELNS1_3repE0EEENS1_30default_config_static_selectorELNS0_4arch9wavefront6targetE1EEEvT1_,"axG",@progbits,_ZN7rocprim17ROCPRIM_400000_NS6detail17trampoline_kernelINS0_14default_configENS1_25partition_config_selectorILNS1_17partition_subalgoE0EiNS0_10empty_typeEbEEZZNS1_14partition_implILS5_0ELb0ES3_jN6thrust23THRUST_200600_302600_NS6detail15normal_iteratorINSA_10device_ptrIiEEEEPS6_SG_NS0_5tupleIJNSA_16discard_iteratorINSA_11use_defaultEEESF_EEENSH_IJSG_SG_EEES6_PlJ7is_evenIiEEEE10hipError_tPvRmT3_T4_T5_T6_T7_T9_mT8_P12ihipStream_tbDpT10_ENKUlT_T0_E_clISt17integral_constantIbLb1EES18_IbLb0EEEEDaS14_S15_EUlS14_E_NS1_11comp_targetILNS1_3genE5ELNS1_11target_archE942ELNS1_3gpuE9ELNS1_3repE0EEENS1_30default_config_static_selectorELNS0_4arch9wavefront6targetE1EEEvT1_,comdat
.Lfunc_end2764:
	.size	_ZN7rocprim17ROCPRIM_400000_NS6detail17trampoline_kernelINS0_14default_configENS1_25partition_config_selectorILNS1_17partition_subalgoE0EiNS0_10empty_typeEbEEZZNS1_14partition_implILS5_0ELb0ES3_jN6thrust23THRUST_200600_302600_NS6detail15normal_iteratorINSA_10device_ptrIiEEEEPS6_SG_NS0_5tupleIJNSA_16discard_iteratorINSA_11use_defaultEEESF_EEENSH_IJSG_SG_EEES6_PlJ7is_evenIiEEEE10hipError_tPvRmT3_T4_T5_T6_T7_T9_mT8_P12ihipStream_tbDpT10_ENKUlT_T0_E_clISt17integral_constantIbLb1EES18_IbLb0EEEEDaS14_S15_EUlS14_E_NS1_11comp_targetILNS1_3genE5ELNS1_11target_archE942ELNS1_3gpuE9ELNS1_3repE0EEENS1_30default_config_static_selectorELNS0_4arch9wavefront6targetE1EEEvT1_, .Lfunc_end2764-_ZN7rocprim17ROCPRIM_400000_NS6detail17trampoline_kernelINS0_14default_configENS1_25partition_config_selectorILNS1_17partition_subalgoE0EiNS0_10empty_typeEbEEZZNS1_14partition_implILS5_0ELb0ES3_jN6thrust23THRUST_200600_302600_NS6detail15normal_iteratorINSA_10device_ptrIiEEEEPS6_SG_NS0_5tupleIJNSA_16discard_iteratorINSA_11use_defaultEEESF_EEENSH_IJSG_SG_EEES6_PlJ7is_evenIiEEEE10hipError_tPvRmT3_T4_T5_T6_T7_T9_mT8_P12ihipStream_tbDpT10_ENKUlT_T0_E_clISt17integral_constantIbLb1EES18_IbLb0EEEEDaS14_S15_EUlS14_E_NS1_11comp_targetILNS1_3genE5ELNS1_11target_archE942ELNS1_3gpuE9ELNS1_3repE0EEENS1_30default_config_static_selectorELNS0_4arch9wavefront6targetE1EEEvT1_
                                        ; -- End function
	.section	.AMDGPU.csdata,"",@progbits
; Kernel info:
; codeLenInByte = 0
; NumSgprs: 4
; NumVgprs: 0
; NumAgprs: 0
; TotalNumVgprs: 0
; ScratchSize: 0
; MemoryBound: 0
; FloatMode: 240
; IeeeMode: 1
; LDSByteSize: 0 bytes/workgroup (compile time only)
; SGPRBlocks: 0
; VGPRBlocks: 0
; NumSGPRsForWavesPerEU: 4
; NumVGPRsForWavesPerEU: 1
; AccumOffset: 4
; Occupancy: 8
; WaveLimiterHint : 0
; COMPUTE_PGM_RSRC2:SCRATCH_EN: 0
; COMPUTE_PGM_RSRC2:USER_SGPR: 6
; COMPUTE_PGM_RSRC2:TRAP_HANDLER: 0
; COMPUTE_PGM_RSRC2:TGID_X_EN: 1
; COMPUTE_PGM_RSRC2:TGID_Y_EN: 0
; COMPUTE_PGM_RSRC2:TGID_Z_EN: 0
; COMPUTE_PGM_RSRC2:TIDIG_COMP_CNT: 0
; COMPUTE_PGM_RSRC3_GFX90A:ACCUM_OFFSET: 0
; COMPUTE_PGM_RSRC3_GFX90A:TG_SPLIT: 0
	.section	.text._ZN7rocprim17ROCPRIM_400000_NS6detail17trampoline_kernelINS0_14default_configENS1_25partition_config_selectorILNS1_17partition_subalgoE0EiNS0_10empty_typeEbEEZZNS1_14partition_implILS5_0ELb0ES3_jN6thrust23THRUST_200600_302600_NS6detail15normal_iteratorINSA_10device_ptrIiEEEEPS6_SG_NS0_5tupleIJNSA_16discard_iteratorINSA_11use_defaultEEESF_EEENSH_IJSG_SG_EEES6_PlJ7is_evenIiEEEE10hipError_tPvRmT3_T4_T5_T6_T7_T9_mT8_P12ihipStream_tbDpT10_ENKUlT_T0_E_clISt17integral_constantIbLb1EES18_IbLb0EEEEDaS14_S15_EUlS14_E_NS1_11comp_targetILNS1_3genE4ELNS1_11target_archE910ELNS1_3gpuE8ELNS1_3repE0EEENS1_30default_config_static_selectorELNS0_4arch9wavefront6targetE1EEEvT1_,"axG",@progbits,_ZN7rocprim17ROCPRIM_400000_NS6detail17trampoline_kernelINS0_14default_configENS1_25partition_config_selectorILNS1_17partition_subalgoE0EiNS0_10empty_typeEbEEZZNS1_14partition_implILS5_0ELb0ES3_jN6thrust23THRUST_200600_302600_NS6detail15normal_iteratorINSA_10device_ptrIiEEEEPS6_SG_NS0_5tupleIJNSA_16discard_iteratorINSA_11use_defaultEEESF_EEENSH_IJSG_SG_EEES6_PlJ7is_evenIiEEEE10hipError_tPvRmT3_T4_T5_T6_T7_T9_mT8_P12ihipStream_tbDpT10_ENKUlT_T0_E_clISt17integral_constantIbLb1EES18_IbLb0EEEEDaS14_S15_EUlS14_E_NS1_11comp_targetILNS1_3genE4ELNS1_11target_archE910ELNS1_3gpuE8ELNS1_3repE0EEENS1_30default_config_static_selectorELNS0_4arch9wavefront6targetE1EEEvT1_,comdat
	.protected	_ZN7rocprim17ROCPRIM_400000_NS6detail17trampoline_kernelINS0_14default_configENS1_25partition_config_selectorILNS1_17partition_subalgoE0EiNS0_10empty_typeEbEEZZNS1_14partition_implILS5_0ELb0ES3_jN6thrust23THRUST_200600_302600_NS6detail15normal_iteratorINSA_10device_ptrIiEEEEPS6_SG_NS0_5tupleIJNSA_16discard_iteratorINSA_11use_defaultEEESF_EEENSH_IJSG_SG_EEES6_PlJ7is_evenIiEEEE10hipError_tPvRmT3_T4_T5_T6_T7_T9_mT8_P12ihipStream_tbDpT10_ENKUlT_T0_E_clISt17integral_constantIbLb1EES18_IbLb0EEEEDaS14_S15_EUlS14_E_NS1_11comp_targetILNS1_3genE4ELNS1_11target_archE910ELNS1_3gpuE8ELNS1_3repE0EEENS1_30default_config_static_selectorELNS0_4arch9wavefront6targetE1EEEvT1_ ; -- Begin function _ZN7rocprim17ROCPRIM_400000_NS6detail17trampoline_kernelINS0_14default_configENS1_25partition_config_selectorILNS1_17partition_subalgoE0EiNS0_10empty_typeEbEEZZNS1_14partition_implILS5_0ELb0ES3_jN6thrust23THRUST_200600_302600_NS6detail15normal_iteratorINSA_10device_ptrIiEEEEPS6_SG_NS0_5tupleIJNSA_16discard_iteratorINSA_11use_defaultEEESF_EEENSH_IJSG_SG_EEES6_PlJ7is_evenIiEEEE10hipError_tPvRmT3_T4_T5_T6_T7_T9_mT8_P12ihipStream_tbDpT10_ENKUlT_T0_E_clISt17integral_constantIbLb1EES18_IbLb0EEEEDaS14_S15_EUlS14_E_NS1_11comp_targetILNS1_3genE4ELNS1_11target_archE910ELNS1_3gpuE8ELNS1_3repE0EEENS1_30default_config_static_selectorELNS0_4arch9wavefront6targetE1EEEvT1_
	.globl	_ZN7rocprim17ROCPRIM_400000_NS6detail17trampoline_kernelINS0_14default_configENS1_25partition_config_selectorILNS1_17partition_subalgoE0EiNS0_10empty_typeEbEEZZNS1_14partition_implILS5_0ELb0ES3_jN6thrust23THRUST_200600_302600_NS6detail15normal_iteratorINSA_10device_ptrIiEEEEPS6_SG_NS0_5tupleIJNSA_16discard_iteratorINSA_11use_defaultEEESF_EEENSH_IJSG_SG_EEES6_PlJ7is_evenIiEEEE10hipError_tPvRmT3_T4_T5_T6_T7_T9_mT8_P12ihipStream_tbDpT10_ENKUlT_T0_E_clISt17integral_constantIbLb1EES18_IbLb0EEEEDaS14_S15_EUlS14_E_NS1_11comp_targetILNS1_3genE4ELNS1_11target_archE910ELNS1_3gpuE8ELNS1_3repE0EEENS1_30default_config_static_selectorELNS0_4arch9wavefront6targetE1EEEvT1_
	.p2align	8
	.type	_ZN7rocprim17ROCPRIM_400000_NS6detail17trampoline_kernelINS0_14default_configENS1_25partition_config_selectorILNS1_17partition_subalgoE0EiNS0_10empty_typeEbEEZZNS1_14partition_implILS5_0ELb0ES3_jN6thrust23THRUST_200600_302600_NS6detail15normal_iteratorINSA_10device_ptrIiEEEEPS6_SG_NS0_5tupleIJNSA_16discard_iteratorINSA_11use_defaultEEESF_EEENSH_IJSG_SG_EEES6_PlJ7is_evenIiEEEE10hipError_tPvRmT3_T4_T5_T6_T7_T9_mT8_P12ihipStream_tbDpT10_ENKUlT_T0_E_clISt17integral_constantIbLb1EES18_IbLb0EEEEDaS14_S15_EUlS14_E_NS1_11comp_targetILNS1_3genE4ELNS1_11target_archE910ELNS1_3gpuE8ELNS1_3repE0EEENS1_30default_config_static_selectorELNS0_4arch9wavefront6targetE1EEEvT1_,@function
_ZN7rocprim17ROCPRIM_400000_NS6detail17trampoline_kernelINS0_14default_configENS1_25partition_config_selectorILNS1_17partition_subalgoE0EiNS0_10empty_typeEbEEZZNS1_14partition_implILS5_0ELb0ES3_jN6thrust23THRUST_200600_302600_NS6detail15normal_iteratorINSA_10device_ptrIiEEEEPS6_SG_NS0_5tupleIJNSA_16discard_iteratorINSA_11use_defaultEEESF_EEENSH_IJSG_SG_EEES6_PlJ7is_evenIiEEEE10hipError_tPvRmT3_T4_T5_T6_T7_T9_mT8_P12ihipStream_tbDpT10_ENKUlT_T0_E_clISt17integral_constantIbLb1EES18_IbLb0EEEEDaS14_S15_EUlS14_E_NS1_11comp_targetILNS1_3genE4ELNS1_11target_archE910ELNS1_3gpuE8ELNS1_3repE0EEENS1_30default_config_static_selectorELNS0_4arch9wavefront6targetE1EEEvT1_: ; @_ZN7rocprim17ROCPRIM_400000_NS6detail17trampoline_kernelINS0_14default_configENS1_25partition_config_selectorILNS1_17partition_subalgoE0EiNS0_10empty_typeEbEEZZNS1_14partition_implILS5_0ELb0ES3_jN6thrust23THRUST_200600_302600_NS6detail15normal_iteratorINSA_10device_ptrIiEEEEPS6_SG_NS0_5tupleIJNSA_16discard_iteratorINSA_11use_defaultEEESF_EEENSH_IJSG_SG_EEES6_PlJ7is_evenIiEEEE10hipError_tPvRmT3_T4_T5_T6_T7_T9_mT8_P12ihipStream_tbDpT10_ENKUlT_T0_E_clISt17integral_constantIbLb1EES18_IbLb0EEEEDaS14_S15_EUlS14_E_NS1_11comp_targetILNS1_3genE4ELNS1_11target_archE910ELNS1_3gpuE8ELNS1_3repE0EEENS1_30default_config_static_selectorELNS0_4arch9wavefront6targetE1EEEvT1_
; %bb.0:
	s_load_dwordx2 s[0:1], s[4:5], 0x60
	s_load_dwordx4 s[20:23], s[4:5], 0x8
	s_load_dwordx4 s[24:27], s[4:5], 0x50
	s_load_dword s7, s[4:5], 0x78
	s_mul_i32 s8, s6, 0xa00
	s_waitcnt lgkmcnt(0)
	v_mov_b32_e32 v3, s1
	s_lshl_b64 s[2:3], s[22:23], 2
	s_add_u32 s10, s20, s2
	s_mul_i32 s1, s7, 0xa00
	s_addc_u32 s11, s21, s3
	s_add_i32 s3, s1, s22
	s_sub_i32 s33, s0, s3
	s_add_i32 s2, s7, -1
	s_addk_i32 s33, 0xa00
	v_mov_b32_e32 v2, s0
	s_add_u32 s0, s22, s1
	s_addc_u32 s1, s23, 0
	s_cmp_eq_u32 s6, s2
	s_load_dwordx2 s[28:29], s[26:27], 0x0
	s_cselect_b64 s[26:27], -1, 0
	s_cmp_lg_u32 s6, s2
	s_mov_b32 s9, 0
	v_cmp_lt_u64_e32 vcc, s[0:1], v[2:3]
	s_cselect_b64 s[0:1], -1, 0
	s_or_b64 s[2:3], s[0:1], vcc
	s_lshl_b64 s[30:31], s[8:9], 2
	s_add_u32 s7, s10, s30
	s_addc_u32 s10, s11, s31
	s_mov_b64 s[0:1], -1
	s_and_b64 vcc, exec, s[2:3]
	v_lshlrev_b32_e32 v22, 2, v0
	s_cbranch_vccz .LBB2765_2
; %bb.1:
	v_mov_b32_e32 v1, s10
	v_add_co_u32_e32 v2, vcc, s7, v22
	v_addc_co_u32_e32 v3, vcc, 0, v1, vcc
	v_add_co_u32_e32 v4, vcc, 0x1000, v2
	v_addc_co_u32_e32 v5, vcc, 0, v3, vcc
	flat_load_dword v1, v[2:3]
	flat_load_dword v6, v[2:3] offset:1024
	flat_load_dword v7, v[2:3] offset:2048
	;; [unrolled: 1-line block ×3, first 2 shown]
	flat_load_dword v9, v[4:5]
	flat_load_dword v10, v[4:5] offset:1024
	flat_load_dword v11, v[4:5] offset:2048
	;; [unrolled: 1-line block ×3, first 2 shown]
	v_add_co_u32_e32 v2, vcc, 0x2000, v2
	v_addc_co_u32_e32 v3, vcc, 0, v3, vcc
	flat_load_dword v4, v[2:3]
	flat_load_dword v5, v[2:3] offset:1024
	s_mov_b64 s[0:1], 0
	s_waitcnt vmcnt(0) lgkmcnt(0)
	ds_write2st64_b32 v22, v1, v6 offset1:4
	ds_write2st64_b32 v22, v7, v8 offset0:8 offset1:12
	ds_write2st64_b32 v22, v9, v10 offset0:16 offset1:20
	;; [unrolled: 1-line block ×4, first 2 shown]
	s_waitcnt lgkmcnt(0)
	s_barrier
.LBB2765_2:
	s_andn2_b64 vcc, exec, s[0:1]
	v_cmp_gt_u32_e64 s[0:1], s33, v0
	s_cbranch_vccnz .LBB2765_24
; %bb.3:
                                        ; implicit-def: $vgpr2_vgpr3_vgpr4_vgpr5_vgpr6_vgpr7_vgpr8_vgpr9_vgpr10_vgpr11
	s_and_saveexec_b64 s[8:9], s[0:1]
	s_cbranch_execz .LBB2765_5
; %bb.4:
	v_mov_b32_e32 v1, s10
	v_add_co_u32_e32 v2, vcc, s7, v22
	v_addc_co_u32_e32 v3, vcc, 0, v1, vcc
	flat_load_dword v2, v[2:3]
.LBB2765_5:
	s_or_b64 exec, exec, s[8:9]
	v_or_b32_e32 v1, 0x100, v0
	v_cmp_gt_u32_e32 vcc, s33, v1
	s_and_saveexec_b64 s[0:1], vcc
	s_cbranch_execz .LBB2765_7
; %bb.6:
	v_mov_b32_e32 v1, s10
	v_add_co_u32_e32 v12, vcc, s7, v22
	v_addc_co_u32_e32 v13, vcc, 0, v1, vcc
	flat_load_dword v3, v[12:13] offset:1024
.LBB2765_7:
	s_or_b64 exec, exec, s[0:1]
	v_or_b32_e32 v1, 0x200, v0
	v_cmp_gt_u32_e32 vcc, s33, v1
	s_and_saveexec_b64 s[0:1], vcc
	s_cbranch_execz .LBB2765_9
; %bb.8:
	v_mov_b32_e32 v1, s10
	v_add_co_u32_e32 v12, vcc, s7, v22
	v_addc_co_u32_e32 v13, vcc, 0, v1, vcc
	flat_load_dword v4, v[12:13] offset:2048
.LBB2765_9:
	;; [unrolled: 11-line block ×3, first 2 shown]
	s_or_b64 exec, exec, s[0:1]
	v_or_b32_e32 v1, 0x400, v0
	v_cmp_gt_u32_e32 vcc, s33, v1
	s_and_saveexec_b64 s[0:1], vcc
	s_cbranch_execz .LBB2765_13
; %bb.12:
	v_lshlrev_b32_e32 v1, 2, v1
	v_mov_b32_e32 v6, s10
	v_add_co_u32_e32 v12, vcc, s7, v1
	v_addc_co_u32_e32 v13, vcc, 0, v6, vcc
	flat_load_dword v6, v[12:13]
.LBB2765_13:
	s_or_b64 exec, exec, s[0:1]
	v_or_b32_e32 v1, 0x500, v0
	v_cmp_gt_u32_e32 vcc, s33, v1
	s_and_saveexec_b64 s[0:1], vcc
	s_cbranch_execz .LBB2765_15
; %bb.14:
	v_lshlrev_b32_e32 v1, 2, v1
	v_mov_b32_e32 v7, s10
	v_add_co_u32_e32 v12, vcc, s7, v1
	v_addc_co_u32_e32 v13, vcc, 0, v7, vcc
	flat_load_dword v7, v[12:13]
.LBB2765_15:
	;; [unrolled: 12-line block ×6, first 2 shown]
	s_or_b64 exec, exec, s[0:1]
	s_waitcnt vmcnt(0) lgkmcnt(0)
	ds_write2st64_b32 v22, v2, v3 offset1:4
	ds_write2st64_b32 v22, v4, v5 offset0:8 offset1:12
	ds_write2st64_b32 v22, v6, v7 offset0:16 offset1:20
	;; [unrolled: 1-line block ×4, first 2 shown]
	s_waitcnt lgkmcnt(0)
	s_barrier
.LBB2765_24:
	v_mul_u32_u24_e32 v23, 10, v0
	v_lshlrev_b32_e32 v29, 2, v23
	s_waitcnt lgkmcnt(0)
	ds_read2_b64 v[6:9], v29 offset1:1
	ds_read2_b64 v[2:5], v29 offset0:2 offset1:3
	ds_read_b64 v[10:11], v29 offset:32
	v_cndmask_b32_e64 v1, 0, 1, s[2:3]
	v_cmp_ne_u32_e64 s[0:1], 1, v1
	s_andn2_b64 vcc, exec, s[2:3]
	s_waitcnt lgkmcnt(2)
	v_xor_b32_e32 v21, -1, v6
	v_xor_b32_e32 v20, -1, v7
	;; [unrolled: 1-line block ×4, first 2 shown]
	s_waitcnt lgkmcnt(1)
	v_xor_b32_e32 v17, -1, v2
	v_xor_b32_e32 v16, -1, v3
	;; [unrolled: 1-line block ×4, first 2 shown]
	s_waitcnt lgkmcnt(0)
	v_xor_b32_e32 v13, -1, v10
	v_xor_b32_e32 v12, -1, v11
	s_barrier
	s_cbranch_vccnz .LBB2765_26
; %bb.25:
	v_mov_b32_e32 v1, 1
	v_and_b32_e32 v25, 1, v21
	v_and_b32_sdwa v26, v20, v1 dst_sel:BYTE_1 dst_unused:UNUSED_PAD src0_sel:DWORD src1_sel:DWORD
	v_and_b32_e32 v27, 1, v19
	v_and_b32_sdwa v28, v18, v1 dst_sel:BYTE_1 dst_unused:UNUSED_PAD src0_sel:DWORD src1_sel:DWORD
	;; [unrolled: 2-line block ×4, first 2 shown]
	v_or_b32_e32 v25, v25, v26
	v_or_b32_sdwa v26, v27, v28 dst_sel:WORD_1 dst_unused:UNUSED_PAD src0_sel:DWORD src1_sel:DWORD
	v_or_b32_sdwa v26, v25, v26 dst_sel:DWORD dst_unused:UNUSED_PAD src0_sel:WORD_0 src1_sel:DWORD
	v_or_b32_e32 v25, v30, v31
	v_or_b32_sdwa v27, v32, v33 dst_sel:WORD_1 dst_unused:UNUSED_PAD src0_sel:DWORD src1_sel:DWORD
	v_and_b32_e32 v24, 1, v13
	v_and_b32_e32 v1, 1, v12
	v_or_b32_sdwa v25, v25, v27 dst_sel:DWORD dst_unused:UNUSED_PAD src0_sel:WORD_0 src1_sel:DWORD
	s_load_dwordx2 s[34:35], s[4:5], 0x70
	s_cbranch_execz .LBB2765_27
	s_branch .LBB2765_28
.LBB2765_26:
                                        ; implicit-def: $vgpr1
                                        ; implicit-def: $vgpr24
                                        ; implicit-def: $vgpr25
                                        ; implicit-def: $vgpr26
	s_load_dwordx2 s[34:35], s[4:5], 0x70
.LBB2765_27:
	v_or_b32_e32 v32, 1, v23
	v_cmp_gt_u32_e32 vcc, s33, v23
	v_add_u32_e32 v1, 2, v23
	v_cndmask_b32_e64 v33, 0, 1, vcc
	v_cmp_gt_u32_e32 vcc, s33, v32
	v_add_u32_e32 v31, 3, v23
	v_cndmask_b32_e64 v32, 0, 1, vcc
	;; [unrolled: 3-line block ×3, first 2 shown]
	v_cmp_gt_u32_e32 vcc, s33, v31
	v_add_u32_e32 v30, 5, v23
	v_and_b32_e32 v19, v1, v19
	v_cndmask_b32_e64 v1, 0, 1, vcc
	v_cmp_gt_u32_e32 vcc, s33, v24
	v_add_u32_e32 v25, 6, v23
	v_and_b32_sdwa v18, v1, v18 dst_sel:BYTE_1 dst_unused:UNUSED_PAD src0_sel:DWORD src1_sel:DWORD
	v_cndmask_b32_e64 v1, 0, 1, vcc
	v_cmp_gt_u32_e32 vcc, s33, v30
	v_add_u32_e32 v28, 7, v23
	v_and_b32_e32 v17, v1, v17
	v_cndmask_b32_e64 v1, 0, 1, vcc
	v_cmp_gt_u32_e32 vcc, s33, v25
	v_add_u32_e32 v26, 8, v23
	v_and_b32_sdwa v16, v1, v16 dst_sel:BYTE_1 dst_unused:UNUSED_PAD src0_sel:DWORD src1_sel:DWORD
	v_cndmask_b32_e64 v1, 0, 1, vcc
	v_cmp_gt_u32_e32 vcc, s33, v28
	v_add_u32_e32 v27, 9, v23
	v_and_b32_e32 v15, v1, v15
	v_cndmask_b32_e64 v1, 0, 1, vcc
	v_cmp_gt_u32_e32 vcc, s33, v26
	v_and_b32_sdwa v14, v1, v14 dst_sel:BYTE_1 dst_unused:UNUSED_PAD src0_sel:DWORD src1_sel:DWORD
	v_cndmask_b32_e64 v1, 0, 1, vcc
	v_cmp_gt_u32_e32 vcc, s33, v27
	v_and_b32_e32 v21, v33, v21
	v_and_b32_sdwa v20, v32, v20 dst_sel:BYTE_1 dst_unused:UNUSED_PAD src0_sel:DWORD src1_sel:DWORD
	v_and_b32_e32 v24, v1, v13
	v_cndmask_b32_e64 v1, 0, 1, vcc
	v_and_b32_e32 v1, v1, v12
	v_or_b32_e32 v12, v21, v20
	v_or_b32_sdwa v13, v19, v18 dst_sel:WORD_1 dst_unused:UNUSED_PAD src0_sel:DWORD src1_sel:DWORD
	v_or_b32_sdwa v26, v12, v13 dst_sel:DWORD dst_unused:UNUSED_PAD src0_sel:WORD_0 src1_sel:DWORD
	v_or_b32_e32 v12, v17, v16
	v_or_b32_sdwa v13, v15, v14 dst_sel:WORD_1 dst_unused:UNUSED_PAD src0_sel:DWORD src1_sel:DWORD
	v_or_b32_sdwa v25, v12, v13 dst_sel:DWORD dst_unused:UNUSED_PAD src0_sel:WORD_0 src1_sel:DWORD
.LBB2765_28:
	v_bfe_u32 v30, v26, 16, 8
	v_lshrrev_b32_e32 v28, 24, v26
	v_add_u32_sdwa v13, v26, v26 dst_sel:DWORD dst_unused:UNUSED_PAD src0_sel:BYTE_1 src1_sel:BYTE_0
	v_and_b32_e32 v31, 0xff, v25
	v_bfe_u32 v32, v25, 8, 8
	v_add3_u32 v13, v13, v30, v28
	v_bfe_u32 v33, v25, 16, 8
	v_lshrrev_b32_e32 v27, 24, v25
	v_add3_u32 v13, v13, v31, v32
	v_and_b32_e32 v34, 0xff, v24
	v_and_b32_e32 v12, 0xff, v1
	v_add3_u32 v13, v13, v33, v27
	v_add3_u32 v37, v13, v34, v12
	v_mbcnt_lo_u32_b32 v12, -1, 0
	v_mbcnt_hi_u32_b32 v35, -1, v12
	v_and_b32_e32 v12, 15, v35
	v_cmp_eq_u32_e64 s[16:17], 0, v12
	v_cmp_lt_u32_e64 s[14:15], 1, v12
	v_cmp_lt_u32_e64 s[12:13], 3, v12
	;; [unrolled: 1-line block ×3, first 2 shown]
	v_and_b32_e32 v12, 16, v35
	v_cmp_eq_u32_e64 s[8:9], 0, v12
	v_or_b32_e32 v12, 63, v0
	s_cmp_lg_u32 s6, 0
	v_cmp_lt_u32_e64 s[2:3], 31, v35
	v_lshrrev_b32_e32 v36, 6, v0
	v_cmp_eq_u32_e64 s[20:21], v12, v0
	s_cbranch_scc0 .LBB2765_59
; %bb.29:
	v_mov_b32_dpp v12, v37 row_shr:1 row_mask:0xf bank_mask:0xf
	v_cndmask_b32_e64 v12, v12, 0, s[16:17]
	v_add_u32_e32 v12, v12, v37
	s_nop 1
	v_mov_b32_dpp v13, v12 row_shr:2 row_mask:0xf bank_mask:0xf
	v_cndmask_b32_e64 v13, 0, v13, s[14:15]
	v_add_u32_e32 v12, v12, v13
	s_nop 1
	;; [unrolled: 4-line block ×4, first 2 shown]
	v_mov_b32_dpp v13, v12 row_bcast:15 row_mask:0xf bank_mask:0xf
	v_cndmask_b32_e64 v13, v13, 0, s[8:9]
	v_add_u32_e32 v12, v12, v13
	s_nop 1
	v_mov_b32_dpp v13, v12 row_bcast:31 row_mask:0xf bank_mask:0xf
	v_cndmask_b32_e64 v13, 0, v13, s[2:3]
	v_add_u32_e32 v12, v12, v13
	s_and_saveexec_b64 s[18:19], s[20:21]
	s_cbranch_execz .LBB2765_31
; %bb.30:
	v_lshlrev_b32_e32 v13, 2, v36
	ds_write_b32 v13, v12
.LBB2765_31:
	s_or_b64 exec, exec, s[18:19]
	v_cmp_gt_u32_e32 vcc, 4, v0
	s_waitcnt lgkmcnt(0)
	s_barrier
	s_and_saveexec_b64 s[18:19], vcc
	s_cbranch_execz .LBB2765_33
; %bb.32:
	ds_read_b32 v13, v22
	v_and_b32_e32 v14, 3, v35
	v_cmp_ne_u32_e32 vcc, 0, v14
	s_waitcnt lgkmcnt(0)
	v_mov_b32_dpp v15, v13 row_shr:1 row_mask:0xf bank_mask:0xf
	v_cndmask_b32_e32 v15, 0, v15, vcc
	v_add_u32_e32 v13, v15, v13
	v_cmp_lt_u32_e32 vcc, 1, v14
	s_nop 0
	v_mov_b32_dpp v15, v13 row_shr:2 row_mask:0xf bank_mask:0xf
	v_cndmask_b32_e32 v14, 0, v15, vcc
	v_add_u32_e32 v13, v13, v14
	ds_write_b32 v22, v13
.LBB2765_33:
	s_or_b64 exec, exec, s[18:19]
	v_cmp_gt_u32_e32 vcc, 64, v0
	v_cmp_lt_u32_e64 s[18:19], 63, v0
	s_waitcnt lgkmcnt(0)
	s_barrier
	s_waitcnt lgkmcnt(0)
                                        ; implicit-def: $vgpr38
	s_and_saveexec_b64 s[36:37], s[18:19]
	s_cbranch_execz .LBB2765_35
; %bb.34:
	v_lshl_add_u32 v13, v36, 2, -4
	ds_read_b32 v38, v13
	s_waitcnt lgkmcnt(0)
	v_add_u32_e32 v12, v38, v12
.LBB2765_35:
	s_or_b64 exec, exec, s[36:37]
	v_add_u32_e32 v13, -1, v35
	v_and_b32_e32 v14, 64, v35
	v_cmp_lt_i32_e64 s[18:19], v13, v14
	v_cndmask_b32_e64 v13, v13, v35, s[18:19]
	v_lshlrev_b32_e32 v13, 2, v13
	ds_bpermute_b32 v39, v13, v12
	v_cmp_eq_u32_e64 s[18:19], 0, v35
	s_and_saveexec_b64 s[36:37], vcc
	s_cbranch_execz .LBB2765_58
; %bb.36:
	v_mov_b32_e32 v21, 0
	ds_read_b32 v12, v21 offset:12
	s_and_saveexec_b64 s[38:39], s[18:19]
	s_cbranch_execz .LBB2765_38
; %bb.37:
	s_add_i32 s40, s6, 64
	s_mov_b32 s41, 0
	s_lshl_b64 s[40:41], s[40:41], 3
	s_add_u32 s40, s34, s40
	v_mov_b32_e32 v13, 1
	s_addc_u32 s41, s35, s41
	s_waitcnt lgkmcnt(0)
	global_store_dwordx2 v21, v[12:13], s[40:41]
.LBB2765_38:
	s_or_b64 exec, exec, s[38:39]
	v_xad_u32 v14, v35, -1, s6
	v_add_u32_e32 v20, 64, v14
	v_lshlrev_b64 v[16:17], 3, v[20:21]
	v_mov_b32_e32 v13, s35
	v_add_co_u32_e32 v16, vcc, s34, v16
	v_addc_co_u32_e32 v17, vcc, v13, v17, vcc
	global_load_dwordx2 v[18:19], v[16:17], off glc
	s_waitcnt vmcnt(0)
	v_cmp_eq_u16_sdwa s[40:41], v19, v21 src0_sel:BYTE_0 src1_sel:DWORD
	s_and_saveexec_b64 s[38:39], s[40:41]
	s_cbranch_execz .LBB2765_44
; %bb.39:
	s_mov_b32 s7, 1
	s_mov_b64 s[40:41], 0
	v_mov_b32_e32 v13, 0
.LBB2765_40:                            ; =>This Loop Header: Depth=1
                                        ;     Child Loop BB2765_41 Depth 2
	s_max_u32 s42, s7, 1
.LBB2765_41:                            ;   Parent Loop BB2765_40 Depth=1
                                        ; =>  This Inner Loop Header: Depth=2
	s_add_i32 s42, s42, -1
	s_cmp_eq_u32 s42, 0
	s_sleep 1
	s_cbranch_scc0 .LBB2765_41
; %bb.42:                               ;   in Loop: Header=BB2765_40 Depth=1
	global_load_dwordx2 v[18:19], v[16:17], off glc
	s_cmp_lt_u32 s7, 32
	s_cselect_b64 s[42:43], -1, 0
	s_cmp_lg_u64 s[42:43], 0
	s_addc_u32 s7, s7, 0
	s_waitcnt vmcnt(0)
	v_cmp_ne_u16_sdwa s[42:43], v19, v13 src0_sel:BYTE_0 src1_sel:DWORD
	s_or_b64 s[40:41], s[42:43], s[40:41]
	s_andn2_b64 exec, exec, s[40:41]
	s_cbranch_execnz .LBB2765_40
; %bb.43:
	s_or_b64 exec, exec, s[40:41]
.LBB2765_44:
	s_or_b64 exec, exec, s[38:39]
	v_and_b32_e32 v41, 63, v35
	v_mov_b32_e32 v40, 2
	v_cmp_ne_u32_e32 vcc, 63, v41
	v_cmp_eq_u16_sdwa s[38:39], v19, v40 src0_sel:BYTE_0 src1_sel:DWORD
	v_lshlrev_b64 v[16:17], v35, -1
	v_addc_co_u32_e32 v20, vcc, 0, v35, vcc
	v_and_b32_e32 v13, s39, v17
	v_lshlrev_b32_e32 v42, 2, v20
	v_or_b32_e32 v13, 0x80000000, v13
	ds_bpermute_b32 v20, v42, v18
	v_and_b32_e32 v15, s38, v16
	v_ffbl_b32_e32 v13, v13
	v_add_u32_e32 v13, 32, v13
	v_ffbl_b32_e32 v15, v15
	v_min_u32_e32 v13, v15, v13
	v_cmp_lt_u32_e32 vcc, v41, v13
	s_waitcnt lgkmcnt(0)
	v_cndmask_b32_e32 v15, 0, v20, vcc
	v_cmp_gt_u32_e32 vcc, 62, v41
	v_add_u32_e32 v15, v15, v18
	v_cndmask_b32_e64 v18, 0, 1, vcc
	v_lshlrev_b32_e32 v18, 1, v18
	v_add_lshl_u32 v43, v18, v35, 2
	ds_bpermute_b32 v18, v43, v15
	v_add_u32_e32 v44, 2, v41
	v_cmp_le_u32_e32 vcc, v44, v13
	v_add_u32_e32 v46, 4, v41
	v_add_u32_e32 v48, 8, v41
	s_waitcnt lgkmcnt(0)
	v_cndmask_b32_e32 v18, 0, v18, vcc
	v_cmp_gt_u32_e32 vcc, 60, v41
	v_add_u32_e32 v15, v15, v18
	v_cndmask_b32_e64 v18, 0, 1, vcc
	v_lshlrev_b32_e32 v18, 2, v18
	v_add_lshl_u32 v45, v18, v35, 2
	ds_bpermute_b32 v18, v45, v15
	v_cmp_le_u32_e32 vcc, v46, v13
	v_add_u32_e32 v50, 16, v41
	v_add_u32_e32 v52, 32, v41
	s_waitcnt lgkmcnt(0)
	v_cndmask_b32_e32 v18, 0, v18, vcc
	v_cmp_gt_u32_e32 vcc, 56, v41
	v_add_u32_e32 v15, v15, v18
	v_cndmask_b32_e64 v18, 0, 1, vcc
	v_lshlrev_b32_e32 v18, 3, v18
	v_add_lshl_u32 v47, v18, v35, 2
	ds_bpermute_b32 v18, v47, v15
	v_cmp_le_u32_e32 vcc, v48, v13
	s_waitcnt lgkmcnt(0)
	v_cndmask_b32_e32 v18, 0, v18, vcc
	v_cmp_gt_u32_e32 vcc, 48, v41
	v_add_u32_e32 v15, v15, v18
	v_cndmask_b32_e64 v18, 0, 1, vcc
	v_lshlrev_b32_e32 v18, 4, v18
	v_add_lshl_u32 v49, v18, v35, 2
	ds_bpermute_b32 v18, v49, v15
	v_cmp_le_u32_e32 vcc, v50, v13
	;; [unrolled: 9-line block ×3, first 2 shown]
	s_waitcnt lgkmcnt(0)
	v_cndmask_b32_e32 v13, 0, v18, vcc
	v_add_u32_e32 v18, v15, v13
	v_mov_b32_e32 v15, 0
	s_branch .LBB2765_46
.LBB2765_45:                            ;   in Loop: Header=BB2765_46 Depth=1
	s_or_b64 exec, exec, s[38:39]
	v_cmp_eq_u16_sdwa s[38:39], v19, v40 src0_sel:BYTE_0 src1_sel:DWORD
	v_and_b32_e32 v20, s39, v17
	v_or_b32_e32 v20, 0x80000000, v20
	ds_bpermute_b32 v53, v42, v18
	v_and_b32_e32 v21, s38, v16
	v_ffbl_b32_e32 v20, v20
	v_add_u32_e32 v20, 32, v20
	v_ffbl_b32_e32 v21, v21
	v_min_u32_e32 v20, v21, v20
	v_cmp_lt_u32_e32 vcc, v41, v20
	s_waitcnt lgkmcnt(0)
	v_cndmask_b32_e32 v21, 0, v53, vcc
	v_add_u32_e32 v18, v21, v18
	ds_bpermute_b32 v21, v43, v18
	v_cmp_le_u32_e32 vcc, v44, v20
	v_subrev_u32_e32 v14, 64, v14
	s_waitcnt lgkmcnt(0)
	v_cndmask_b32_e32 v21, 0, v21, vcc
	v_add_u32_e32 v18, v18, v21
	ds_bpermute_b32 v21, v45, v18
	v_cmp_le_u32_e32 vcc, v46, v20
	s_waitcnt lgkmcnt(0)
	v_cndmask_b32_e32 v21, 0, v21, vcc
	v_add_u32_e32 v18, v18, v21
	ds_bpermute_b32 v21, v47, v18
	v_cmp_le_u32_e32 vcc, v48, v20
	s_waitcnt lgkmcnt(0)
	v_cndmask_b32_e32 v21, 0, v21, vcc
	v_add_u32_e32 v18, v18, v21
	ds_bpermute_b32 v21, v49, v18
	v_cmp_le_u32_e32 vcc, v50, v20
	s_waitcnt lgkmcnt(0)
	v_cndmask_b32_e32 v21, 0, v21, vcc
	v_add_u32_e32 v18, v18, v21
	ds_bpermute_b32 v21, v51, v18
	v_cmp_le_u32_e32 vcc, v52, v20
	s_waitcnt lgkmcnt(0)
	v_cndmask_b32_e32 v20, 0, v21, vcc
	v_add3_u32 v18, v20, v13, v18
.LBB2765_46:                            ; =>This Loop Header: Depth=1
                                        ;     Child Loop BB2765_49 Depth 2
                                        ;       Child Loop BB2765_50 Depth 3
	v_cmp_ne_u16_sdwa s[38:39], v19, v40 src0_sel:BYTE_0 src1_sel:DWORD
	v_cndmask_b32_e64 v13, 0, 1, s[38:39]
	;;#ASMSTART
	;;#ASMEND
	v_cmp_ne_u32_e32 vcc, 0, v13
	s_cmp_lg_u64 vcc, exec
	v_mov_b32_e32 v13, v18
	s_cbranch_scc1 .LBB2765_53
; %bb.47:                               ;   in Loop: Header=BB2765_46 Depth=1
	v_lshlrev_b64 v[18:19], 3, v[14:15]
	v_mov_b32_e32 v21, s35
	v_add_co_u32_e32 v20, vcc, s34, v18
	v_addc_co_u32_e32 v21, vcc, v21, v19, vcc
	global_load_dwordx2 v[18:19], v[20:21], off glc
	s_waitcnt vmcnt(0)
	v_cmp_eq_u16_sdwa s[40:41], v19, v15 src0_sel:BYTE_0 src1_sel:DWORD
	s_and_saveexec_b64 s[38:39], s[40:41]
	s_cbranch_execz .LBB2765_45
; %bb.48:                               ;   in Loop: Header=BB2765_46 Depth=1
	s_mov_b32 s7, 1
	s_mov_b64 s[40:41], 0
.LBB2765_49:                            ;   Parent Loop BB2765_46 Depth=1
                                        ; =>  This Loop Header: Depth=2
                                        ;       Child Loop BB2765_50 Depth 3
	s_max_u32 s42, s7, 1
.LBB2765_50:                            ;   Parent Loop BB2765_46 Depth=1
                                        ;     Parent Loop BB2765_49 Depth=2
                                        ; =>    This Inner Loop Header: Depth=3
	s_add_i32 s42, s42, -1
	s_cmp_eq_u32 s42, 0
	s_sleep 1
	s_cbranch_scc0 .LBB2765_50
; %bb.51:                               ;   in Loop: Header=BB2765_49 Depth=2
	global_load_dwordx2 v[18:19], v[20:21], off glc
	s_cmp_lt_u32 s7, 32
	s_cselect_b64 s[42:43], -1, 0
	s_cmp_lg_u64 s[42:43], 0
	s_addc_u32 s7, s7, 0
	s_waitcnt vmcnt(0)
	v_cmp_ne_u16_sdwa s[42:43], v19, v15 src0_sel:BYTE_0 src1_sel:DWORD
	s_or_b64 s[40:41], s[42:43], s[40:41]
	s_andn2_b64 exec, exec, s[40:41]
	s_cbranch_execnz .LBB2765_49
; %bb.52:                               ;   in Loop: Header=BB2765_46 Depth=1
	s_or_b64 exec, exec, s[40:41]
	s_branch .LBB2765_45
.LBB2765_53:                            ;   in Loop: Header=BB2765_46 Depth=1
                                        ; implicit-def: $vgpr18
                                        ; implicit-def: $vgpr19
	s_cbranch_execz .LBB2765_46
; %bb.54:
	s_and_saveexec_b64 s[38:39], s[18:19]
	s_cbranch_execz .LBB2765_56
; %bb.55:
	s_add_i32 s6, s6, 64
	s_mov_b32 s7, 0
	s_lshl_b64 s[6:7], s[6:7], 3
	s_add_u32 s6, s34, s6
	v_add_u32_e32 v14, v13, v12
	v_mov_b32_e32 v15, 2
	s_addc_u32 s7, s35, s7
	v_mov_b32_e32 v16, 0
	global_store_dwordx2 v16, v[14:15], s[6:7]
	ds_write_b64 v16, v[12:13] offset:10240
.LBB2765_56:
	s_or_b64 exec, exec, s[38:39]
	v_cmp_eq_u32_e32 vcc, 0, v0
	s_and_b64 exec, exec, vcc
	s_cbranch_execz .LBB2765_58
; %bb.57:
	v_mov_b32_e32 v12, 0
	ds_write_b32 v12, v13 offset:12
.LBB2765_58:
	s_or_b64 exec, exec, s[36:37]
	v_mov_b32_e32 v12, 0
	s_waitcnt lgkmcnt(0)
	s_barrier
	ds_read_b32 v13, v12 offset:12
	v_cndmask_b32_e64 v14, v39, v38, s[18:19]
	v_cmp_ne_u32_e32 vcc, 0, v0
	v_cndmask_b32_e32 v14, 0, v14, vcc
	s_waitcnt lgkmcnt(0)
	v_add_u32_e32 v39, v13, v14
	v_add_u32_sdwa v38, v39, v26 dst_sel:DWORD dst_unused:UNUSED_PAD src0_sel:DWORD src1_sel:BYTE_0
	v_add_u32_sdwa v21, v38, v26 dst_sel:DWORD dst_unused:UNUSED_PAD src0_sel:DWORD src1_sel:BYTE_1
	v_add_u32_e32 v20, v21, v30
	v_add_u32_e32 v19, v20, v28
	;; [unrolled: 1-line block ×3, first 2 shown]
	s_barrier
	ds_read_b64 v[12:13], v12 offset:10240
	v_add_u32_e32 v17, v18, v32
	v_add_u32_e32 v16, v17, v33
	;; [unrolled: 1-line block ×4, first 2 shown]
	s_load_dwordx2 s[4:5], s[4:5], 0x38
	s_branch .LBB2765_69
.LBB2765_59:
                                        ; implicit-def: $vgpr13
                                        ; implicit-def: $vgpr14
                                        ; implicit-def: $vgpr15
                                        ; implicit-def: $vgpr16
                                        ; implicit-def: $vgpr17
                                        ; implicit-def: $vgpr18
                                        ; implicit-def: $vgpr19
                                        ; implicit-def: $vgpr20
                                        ; implicit-def: $vgpr21
                                        ; implicit-def: $vgpr38
                                        ; implicit-def: $vgpr39
	s_load_dwordx2 s[4:5], s[4:5], 0x38
	s_cbranch_execz .LBB2765_69
; %bb.60:
	s_waitcnt lgkmcnt(0)
	v_mov_b32_dpp v12, v37 row_shr:1 row_mask:0xf bank_mask:0xf
	v_cndmask_b32_e64 v12, v12, 0, s[16:17]
	v_add_u32_e32 v12, v12, v37
	s_nop 1
	v_mov_b32_dpp v13, v12 row_shr:2 row_mask:0xf bank_mask:0xf
	v_cndmask_b32_e64 v13, 0, v13, s[14:15]
	v_add_u32_e32 v12, v12, v13
	s_nop 1
	v_mov_b32_dpp v13, v12 row_shr:4 row_mask:0xf bank_mask:0xf
	v_cndmask_b32_e64 v13, 0, v13, s[12:13]
	v_add_u32_e32 v12, v12, v13
	s_nop 1
	v_mov_b32_dpp v13, v12 row_shr:8 row_mask:0xf bank_mask:0xf
	v_cndmask_b32_e64 v13, 0, v13, s[10:11]
	v_add_u32_e32 v12, v12, v13
	s_nop 1
	v_mov_b32_dpp v13, v12 row_bcast:15 row_mask:0xf bank_mask:0xf
	v_cndmask_b32_e64 v13, v13, 0, s[8:9]
	v_add_u32_e32 v12, v12, v13
	s_nop 1
	v_mov_b32_dpp v13, v12 row_bcast:31 row_mask:0xf bank_mask:0xf
	v_cndmask_b32_e64 v13, 0, v13, s[2:3]
	v_add_u32_e32 v12, v12, v13
	s_and_saveexec_b64 s[2:3], s[20:21]
	s_cbranch_execz .LBB2765_62
; %bb.61:
	v_lshlrev_b32_e32 v13, 2, v36
	ds_write_b32 v13, v12
.LBB2765_62:
	s_or_b64 exec, exec, s[2:3]
	v_cmp_gt_u32_e32 vcc, 4, v0
	s_waitcnt lgkmcnt(0)
	s_barrier
	s_and_saveexec_b64 s[2:3], vcc
	s_cbranch_execz .LBB2765_64
; %bb.63:
	s_movk_i32 s6, 0xffdc
	v_mad_i32_i24 v13, v0, s6, v29
	ds_read_b32 v14, v13
	v_and_b32_e32 v15, 3, v35
	v_cmp_ne_u32_e32 vcc, 0, v15
	s_waitcnt lgkmcnt(0)
	v_mov_b32_dpp v16, v14 row_shr:1 row_mask:0xf bank_mask:0xf
	v_cndmask_b32_e32 v16, 0, v16, vcc
	v_add_u32_e32 v14, v16, v14
	v_cmp_lt_u32_e32 vcc, 1, v15
	s_nop 0
	v_mov_b32_dpp v16, v14 row_shr:2 row_mask:0xf bank_mask:0xf
	v_cndmask_b32_e32 v15, 0, v16, vcc
	v_add_u32_e32 v14, v14, v15
	ds_write_b32 v13, v14
.LBB2765_64:
	s_or_b64 exec, exec, s[2:3]
	v_cmp_lt_u32_e32 vcc, 63, v0
	v_mov_b32_e32 v13, 0
	v_mov_b32_e32 v14, 0
	s_waitcnt lgkmcnt(0)
	s_barrier
	s_and_saveexec_b64 s[2:3], vcc
	s_cbranch_execz .LBB2765_66
; %bb.65:
	v_lshl_add_u32 v14, v36, 2, -4
	ds_read_b32 v14, v14
.LBB2765_66:
	s_or_b64 exec, exec, s[2:3]
	v_add_u32_e32 v15, -1, v35
	v_and_b32_e32 v16, 64, v35
	v_cmp_lt_i32_e32 vcc, v15, v16
	v_cndmask_b32_e32 v15, v15, v35, vcc
	s_waitcnt lgkmcnt(0)
	v_add_u32_e32 v12, v14, v12
	v_lshlrev_b32_e32 v15, 2, v15
	ds_bpermute_b32 v15, v15, v12
	ds_read_b32 v12, v13 offset:12
	v_cmp_eq_u32_e32 vcc, 0, v0
	s_and_saveexec_b64 s[2:3], vcc
	s_cbranch_execz .LBB2765_68
; %bb.67:
	v_mov_b32_e32 v16, 0
	v_mov_b32_e32 v13, 2
	s_waitcnt lgkmcnt(0)
	global_store_dwordx2 v16, v[12:13], s[34:35] offset:512
.LBB2765_68:
	s_or_b64 exec, exec, s[2:3]
	v_cmp_eq_u32_e64 s[2:3], 0, v35
	s_waitcnt lgkmcnt(1)
	v_cndmask_b32_e64 v14, v15, v14, s[2:3]
	v_cndmask_b32_e64 v39, v14, 0, vcc
	v_add_u32_sdwa v38, v39, v26 dst_sel:DWORD dst_unused:UNUSED_PAD src0_sel:DWORD src1_sel:BYTE_0
	v_add_u32_sdwa v21, v38, v26 dst_sel:DWORD dst_unused:UNUSED_PAD src0_sel:DWORD src1_sel:BYTE_1
	v_add_u32_e32 v20, v21, v30
	v_add_u32_e32 v19, v20, v28
	v_add_u32_e32 v18, v19, v31
	v_add_u32_e32 v17, v18, v32
	v_add_u32_e32 v16, v17, v33
	v_add_u32_e32 v15, v16, v27
	v_mov_b32_e32 v13, 0
	v_add_u32_e32 v14, v15, v34
	s_waitcnt lgkmcnt(0)
	s_barrier
.LBB2765_69:
	s_waitcnt lgkmcnt(0)
	v_add_u32_e32 v23, v12, v23
	v_sub_u32_e32 v31, v39, v13
	v_and_b32_e32 v33, 1, v26
	v_sub_u32_e32 v32, v23, v31
	v_cmp_eq_u32_e32 vcc, 1, v33
	v_cndmask_b32_e32 v31, v32, v31, vcc
	v_lshlrev_b32_e32 v31, 2, v31
	v_lshrrev_b32_e32 v30, 8, v26
	ds_write_b32 v31, v6
	v_sub_u32_e32 v6, v38, v13
	v_sub_u32_e32 v31, v23, v6
	v_and_b32_e32 v30, 1, v30
	v_add_u32_e32 v31, 1, v31
	v_cmp_eq_u32_e32 vcc, 1, v30
	v_cndmask_b32_e32 v6, v31, v6, vcc
	v_lshlrev_b32_e32 v6, 2, v6
	ds_write_b32 v6, v7
	v_sub_u32_e32 v6, v21, v13
	v_mov_b32_e32 v21, 1
	v_sub_u32_e32 v7, v23, v6
	v_and_b32_sdwa v26, v21, v26 dst_sel:DWORD dst_unused:UNUSED_PAD src0_sel:DWORD src1_sel:WORD_1
	v_add_u32_e32 v7, 2, v7
	v_cmp_eq_u32_e32 vcc, 1, v26
	v_cndmask_b32_e32 v6, v7, v6, vcc
	v_lshlrev_b32_e32 v6, 2, v6
	ds_write_b32 v6, v8
	v_sub_u32_e32 v6, v20, v13
	v_sub_u32_e32 v7, v23, v6
	v_and_b32_e32 v8, 1, v28
	v_add_u32_e32 v7, 3, v7
	v_cmp_eq_u32_e32 vcc, 1, v8
	v_cndmask_b32_e32 v6, v7, v6, vcc
	v_lshlrev_b32_e32 v6, 2, v6
	ds_write_b32 v6, v9
	v_sub_u32_e32 v6, v19, v13
	v_sub_u32_e32 v7, v23, v6
	v_and_b32_e32 v8, 1, v25
	v_add_u32_e32 v7, 4, v7
	v_cmp_eq_u32_e32 vcc, 1, v8
	v_cndmask_b32_e32 v6, v7, v6, vcc
	v_lshlrev_b32_e32 v6, 2, v6
	v_lshrrev_b32_e32 v29, 8, v25
	ds_write_b32 v6, v2
	v_sub_u32_e32 v2, v18, v13
	v_sub_u32_e32 v6, v23, v2
	v_and_b32_e32 v7, 1, v29
	v_add_u32_e32 v6, 5, v6
	v_cmp_eq_u32_e32 vcc, 1, v7
	v_cndmask_b32_e32 v2, v6, v2, vcc
	v_lshlrev_b32_e32 v2, 2, v2
	ds_write_b32 v2, v3
	v_sub_u32_e32 v2, v17, v13
	v_sub_u32_e32 v3, v23, v2
	v_and_b32_sdwa v6, v21, v25 dst_sel:DWORD dst_unused:UNUSED_PAD src0_sel:DWORD src1_sel:WORD_1
	v_add_u32_e32 v3, 6, v3
	v_cmp_eq_u32_e32 vcc, 1, v6
	v_cndmask_b32_e32 v2, v3, v2, vcc
	v_lshlrev_b32_e32 v2, 2, v2
	ds_write_b32 v2, v4
	v_sub_u32_e32 v2, v16, v13
	v_sub_u32_e32 v3, v23, v2
	v_and_b32_e32 v4, 1, v27
	v_add_u32_e32 v3, 7, v3
	v_cmp_eq_u32_e32 vcc, 1, v4
	v_cndmask_b32_e32 v2, v3, v2, vcc
	v_lshlrev_b32_e32 v2, 2, v2
	ds_write_b32 v2, v5
	v_sub_u32_e32 v2, v15, v13
	v_sub_u32_e32 v3, v23, v2
	v_and_b32_e32 v4, 1, v24
	;; [unrolled: 8-line block ×3, first 2 shown]
	v_add_u32_e32 v3, 9, v3
	v_cmp_eq_u32_e32 vcc, 1, v1
	v_cndmask_b32_e32 v1, v3, v2, vcc
	v_lshlrev_b32_e32 v1, 2, v1
	ds_write_b32 v1, v11
	v_mov_b32_e32 v1, s29
	v_add_co_u32_e32 v2, vcc, s28, v12
	v_addc_co_u32_e32 v1, vcc, 0, v1, vcc
	v_add_co_u32_e32 v2, vcc, v2, v13
	v_addc_co_u32_e32 v3, vcc, 0, v1, vcc
	v_mov_b32_e32 v1, s23
	v_sub_co_u32_e32 v28, vcc, s22, v2
	v_subb_co_u32_e32 v29, vcc, v1, v3, vcc
	v_lshlrev_b64 v[28:29], 2, v[28:29]
	s_waitcnt lgkmcnt(0)
	s_barrier
	ds_read2st64_b32 v[16:17], v22 offset1:4
	ds_read2st64_b32 v[14:15], v22 offset0:8 offset1:12
	ds_read2st64_b32 v[10:11], v22 offset0:16 offset1:20
	;; [unrolled: 1-line block ×4, first 2 shown]
	v_mov_b32_e32 v1, s5
	v_add_co_u32_e32 v6, vcc, s4, v28
	v_addc_co_u32_e32 v1, vcc, v1, v29, vcc
	v_mov_b32_e32 v13, s31
	v_add_co_u32_e32 v6, vcc, s30, v6
	v_addc_co_u32_e32 v1, vcc, v1, v13, vcc
	v_or_b32_e32 v26, 0x100, v0
	v_or_b32_e32 v25, 0x200, v0
	;; [unrolled: 1-line block ×9, first 2 shown]
	s_and_b64 vcc, exec, s[0:1]
	v_cmp_le_u32_e64 s[0:1], v12, v0
	s_cbranch_vccnz .LBB2765_81
; %bb.70:
	s_and_saveexec_b64 s[2:3], s[0:1]
	s_cbranch_execnz .LBB2765_106
; %bb.71:
	s_or_b64 exec, exec, s[2:3]
	v_cmp_ge_u32_e32 vcc, v26, v12
	s_and_saveexec_b64 s[0:1], vcc
	s_cbranch_execnz .LBB2765_107
.LBB2765_72:
	s_or_b64 exec, exec, s[0:1]
	v_cmp_ge_u32_e32 vcc, v25, v12
	s_and_saveexec_b64 s[0:1], vcc
	s_cbranch_execnz .LBB2765_108
.LBB2765_73:
	s_or_b64 exec, exec, s[0:1]
	v_cmp_ge_u32_e32 vcc, v24, v12
	s_and_saveexec_b64 s[0:1], vcc
	s_cbranch_execnz .LBB2765_109
.LBB2765_74:
	s_or_b64 exec, exec, s[0:1]
	v_cmp_ge_u32_e32 vcc, v23, v12
	s_and_saveexec_b64 s[0:1], vcc
	s_cbranch_execnz .LBB2765_110
.LBB2765_75:
	s_or_b64 exec, exec, s[0:1]
	v_cmp_ge_u32_e32 vcc, v21, v12
	s_and_saveexec_b64 s[0:1], vcc
	s_cbranch_execnz .LBB2765_111
.LBB2765_76:
	s_or_b64 exec, exec, s[0:1]
	v_cmp_ge_u32_e32 vcc, v20, v12
	s_and_saveexec_b64 s[0:1], vcc
	s_cbranch_execnz .LBB2765_112
.LBB2765_77:
	s_or_b64 exec, exec, s[0:1]
	v_cmp_ge_u32_e32 vcc, v19, v12
	s_and_saveexec_b64 s[0:1], vcc
	s_cbranch_execnz .LBB2765_113
.LBB2765_78:
	s_or_b64 exec, exec, s[0:1]
	v_cmp_ge_u32_e32 vcc, v18, v12
	s_and_saveexec_b64 s[0:1], vcc
	s_cbranch_execz .LBB2765_80
.LBB2765_79:
	v_lshlrev_b32_e32 v13, 2, v18
	v_readfirstlane_b32 s2, v6
	v_readfirstlane_b32 s3, v1
	s_waitcnt lgkmcnt(0)
	s_nop 3
	global_store_dword v13, v4, s[2:3]
.LBB2765_80:
	s_or_b64 exec, exec, s[0:1]
	v_cmp_ge_u32_e64 s[0:1], v7, v12
	s_branch .LBB2765_101
.LBB2765_81:
	s_mov_b64 s[0:1], 0
	s_cbranch_execz .LBB2765_101
; %bb.82:
	v_cmp_gt_u32_e32 vcc, s33, v0
	v_cmp_le_u32_e64 s[0:1], v12, v0
	s_and_b64 s[2:3], vcc, s[0:1]
	s_and_saveexec_b64 s[0:1], s[2:3]
	s_cbranch_execz .LBB2765_84
; %bb.83:
	v_readfirstlane_b32 s2, v6
	v_readfirstlane_b32 s3, v1
	s_waitcnt lgkmcnt(4)
	s_nop 3
	global_store_dword v22, v16, s[2:3]
.LBB2765_84:
	s_or_b64 exec, exec, s[0:1]
	v_cmp_gt_u32_e32 vcc, s33, v26
	v_cmp_ge_u32_e64 s[0:1], v26, v12
	s_and_b64 s[2:3], vcc, s[0:1]
	s_and_saveexec_b64 s[0:1], s[2:3]
	s_cbranch_execz .LBB2765_86
; %bb.85:
	v_readfirstlane_b32 s2, v6
	v_readfirstlane_b32 s3, v1
	s_waitcnt lgkmcnt(4)
	s_nop 3
	global_store_dword v22, v17, s[2:3] offset:1024
.LBB2765_86:
	s_or_b64 exec, exec, s[0:1]
	v_cmp_gt_u32_e32 vcc, s33, v25
	v_cmp_ge_u32_e64 s[0:1], v25, v12
	s_and_b64 s[2:3], vcc, s[0:1]
	s_and_saveexec_b64 s[0:1], s[2:3]
	s_cbranch_execz .LBB2765_88
; %bb.87:
	v_readfirstlane_b32 s2, v6
	v_readfirstlane_b32 s3, v1
	s_waitcnt lgkmcnt(3)
	s_nop 3
	global_store_dword v22, v14, s[2:3] offset:2048
.LBB2765_88:
	;; [unrolled: 13-line block ×3, first 2 shown]
	s_or_b64 exec, exec, s[0:1]
	v_cmp_gt_u32_e32 vcc, s33, v23
	v_cmp_ge_u32_e64 s[0:1], v23, v12
	s_and_b64 s[2:3], vcc, s[0:1]
	s_and_saveexec_b64 s[0:1], s[2:3]
	s_cbranch_execz .LBB2765_92
; %bb.91:
	v_lshlrev_b32_e32 v13, 2, v23
	v_readfirstlane_b32 s2, v6
	v_readfirstlane_b32 s3, v1
	s_waitcnt lgkmcnt(2)
	s_nop 3
	global_store_dword v13, v10, s[2:3]
.LBB2765_92:
	s_or_b64 exec, exec, s[0:1]
	v_cmp_gt_u32_e32 vcc, s33, v21
	v_cmp_ge_u32_e64 s[0:1], v21, v12
	s_and_b64 s[2:3], vcc, s[0:1]
	s_and_saveexec_b64 s[0:1], s[2:3]
	s_cbranch_execz .LBB2765_94
; %bb.93:
	s_waitcnt lgkmcnt(2)
	v_lshlrev_b32_e32 v10, 2, v21
	v_readfirstlane_b32 s2, v6
	v_readfirstlane_b32 s3, v1
	s_nop 4
	global_store_dword v10, v11, s[2:3]
.LBB2765_94:
	s_or_b64 exec, exec, s[0:1]
	v_cmp_gt_u32_e32 vcc, s33, v20
	v_cmp_ge_u32_e64 s[0:1], v20, v12
	s_and_b64 s[2:3], vcc, s[0:1]
	s_and_saveexec_b64 s[0:1], s[2:3]
	s_cbranch_execz .LBB2765_96
; %bb.95:
	s_waitcnt lgkmcnt(2)
	v_lshlrev_b32_e32 v10, 2, v20
	v_readfirstlane_b32 s2, v6
	v_readfirstlane_b32 s3, v1
	s_waitcnt lgkmcnt(1)
	s_nop 3
	global_store_dword v10, v8, s[2:3]
.LBB2765_96:
	s_or_b64 exec, exec, s[0:1]
	v_cmp_gt_u32_e32 vcc, s33, v19
	v_cmp_ge_u32_e64 s[0:1], v19, v12
	s_and_b64 s[2:3], vcc, s[0:1]
	s_and_saveexec_b64 s[0:1], s[2:3]
	s_cbranch_execz .LBB2765_98
; %bb.97:
	s_waitcnt lgkmcnt(1)
	v_lshlrev_b32_e32 v8, 2, v19
	v_readfirstlane_b32 s2, v6
	v_readfirstlane_b32 s3, v1
	s_nop 4
	global_store_dword v8, v9, s[2:3]
.LBB2765_98:
	s_or_b64 exec, exec, s[0:1]
	v_cmp_gt_u32_e32 vcc, s33, v18
	v_cmp_ge_u32_e64 s[0:1], v18, v12
	s_and_b64 s[2:3], vcc, s[0:1]
	s_and_saveexec_b64 s[0:1], s[2:3]
	s_cbranch_execz .LBB2765_100
; %bb.99:
	s_waitcnt lgkmcnt(1)
	v_lshlrev_b32_e32 v8, 2, v18
	v_readfirstlane_b32 s2, v6
	v_readfirstlane_b32 s3, v1
	s_waitcnt lgkmcnt(0)
	s_nop 3
	global_store_dword v8, v4, s[2:3]
.LBB2765_100:
	s_or_b64 exec, exec, s[0:1]
	v_cmp_gt_u32_e32 vcc, s33, v7
	v_cmp_ge_u32_e64 s[0:1], v7, v12
	s_and_b64 s[0:1], vcc, s[0:1]
.LBB2765_101:
	s_and_saveexec_b64 s[2:3], s[0:1]
	s_cbranch_execz .LBB2765_103
; %bb.102:
	s_waitcnt lgkmcnt(0)
	v_lshlrev_b32_e32 v4, 2, v7
	v_readfirstlane_b32 s0, v6
	v_readfirstlane_b32 s1, v1
	s_nop 4
	global_store_dword v4, v5, s[0:1]
.LBB2765_103:
	s_or_b64 exec, exec, s[2:3]
	v_cmp_eq_u32_e32 vcc, 0, v0
	s_and_b64 s[0:1], vcc, s[26:27]
	s_and_saveexec_b64 s[2:3], s[0:1]
	s_cbranch_execz .LBB2765_105
; %bb.104:
	v_mov_b32_e32 v0, 0
	global_store_dwordx2 v0, v[2:3], s[24:25]
.LBB2765_105:
	s_endpgm
.LBB2765_106:
	v_readfirstlane_b32 s0, v6
	v_readfirstlane_b32 s1, v1
	s_waitcnt lgkmcnt(4)
	s_nop 3
	global_store_dword v22, v16, s[0:1]
	s_or_b64 exec, exec, s[2:3]
	v_cmp_ge_u32_e32 vcc, v26, v12
	s_and_saveexec_b64 s[0:1], vcc
	s_cbranch_execz .LBB2765_72
.LBB2765_107:
	v_readfirstlane_b32 s2, v6
	v_readfirstlane_b32 s3, v1
	s_waitcnt lgkmcnt(4)
	s_nop 3
	global_store_dword v22, v17, s[2:3] offset:1024
	s_or_b64 exec, exec, s[0:1]
	v_cmp_ge_u32_e32 vcc, v25, v12
	s_and_saveexec_b64 s[0:1], vcc
	s_cbranch_execz .LBB2765_73
.LBB2765_108:
	v_readfirstlane_b32 s2, v6
	v_readfirstlane_b32 s3, v1
	s_waitcnt lgkmcnt(3)
	s_nop 3
	global_store_dword v22, v14, s[2:3] offset:2048
	s_or_b64 exec, exec, s[0:1]
	v_cmp_ge_u32_e32 vcc, v24, v12
	s_and_saveexec_b64 s[0:1], vcc
	s_cbranch_execz .LBB2765_74
.LBB2765_109:
	v_readfirstlane_b32 s2, v6
	v_readfirstlane_b32 s3, v1
	s_waitcnt lgkmcnt(3)
	s_nop 3
	global_store_dword v22, v15, s[2:3] offset:3072
	s_or_b64 exec, exec, s[0:1]
	v_cmp_ge_u32_e32 vcc, v23, v12
	s_and_saveexec_b64 s[0:1], vcc
	s_cbranch_execz .LBB2765_75
.LBB2765_110:
	v_lshlrev_b32_e32 v13, 2, v23
	v_readfirstlane_b32 s2, v6
	v_readfirstlane_b32 s3, v1
	s_waitcnt lgkmcnt(2)
	s_nop 3
	global_store_dword v13, v10, s[2:3]
	s_or_b64 exec, exec, s[0:1]
	v_cmp_ge_u32_e32 vcc, v21, v12
	s_and_saveexec_b64 s[0:1], vcc
	s_cbranch_execz .LBB2765_76
.LBB2765_111:
	v_lshlrev_b32_e32 v13, 2, v21
	v_readfirstlane_b32 s2, v6
	v_readfirstlane_b32 s3, v1
	s_waitcnt lgkmcnt(2)
	s_nop 3
	global_store_dword v13, v11, s[2:3]
	s_or_b64 exec, exec, s[0:1]
	v_cmp_ge_u32_e32 vcc, v20, v12
	s_and_saveexec_b64 s[0:1], vcc
	s_cbranch_execz .LBB2765_77
.LBB2765_112:
	v_lshlrev_b32_e32 v13, 2, v20
	v_readfirstlane_b32 s2, v6
	v_readfirstlane_b32 s3, v1
	s_waitcnt lgkmcnt(1)
	s_nop 3
	global_store_dword v13, v8, s[2:3]
	s_or_b64 exec, exec, s[0:1]
	v_cmp_ge_u32_e32 vcc, v19, v12
	s_and_saveexec_b64 s[0:1], vcc
	s_cbranch_execz .LBB2765_78
.LBB2765_113:
	v_lshlrev_b32_e32 v13, 2, v19
	v_readfirstlane_b32 s2, v6
	v_readfirstlane_b32 s3, v1
	s_waitcnt lgkmcnt(1)
	s_nop 3
	global_store_dword v13, v9, s[2:3]
	s_or_b64 exec, exec, s[0:1]
	v_cmp_ge_u32_e32 vcc, v18, v12
	s_and_saveexec_b64 s[0:1], vcc
	s_cbranch_execnz .LBB2765_79
	s_branch .LBB2765_80
	.section	.rodata,"a",@progbits
	.p2align	6, 0x0
	.amdhsa_kernel _ZN7rocprim17ROCPRIM_400000_NS6detail17trampoline_kernelINS0_14default_configENS1_25partition_config_selectorILNS1_17partition_subalgoE0EiNS0_10empty_typeEbEEZZNS1_14partition_implILS5_0ELb0ES3_jN6thrust23THRUST_200600_302600_NS6detail15normal_iteratorINSA_10device_ptrIiEEEEPS6_SG_NS0_5tupleIJNSA_16discard_iteratorINSA_11use_defaultEEESF_EEENSH_IJSG_SG_EEES6_PlJ7is_evenIiEEEE10hipError_tPvRmT3_T4_T5_T6_T7_T9_mT8_P12ihipStream_tbDpT10_ENKUlT_T0_E_clISt17integral_constantIbLb1EES18_IbLb0EEEEDaS14_S15_EUlS14_E_NS1_11comp_targetILNS1_3genE4ELNS1_11target_archE910ELNS1_3gpuE8ELNS1_3repE0EEENS1_30default_config_static_selectorELNS0_4arch9wavefront6targetE1EEEvT1_
		.amdhsa_group_segment_fixed_size 10248
		.amdhsa_private_segment_fixed_size 0
		.amdhsa_kernarg_size 128
		.amdhsa_user_sgpr_count 6
		.amdhsa_user_sgpr_private_segment_buffer 1
		.amdhsa_user_sgpr_dispatch_ptr 0
		.amdhsa_user_sgpr_queue_ptr 0
		.amdhsa_user_sgpr_kernarg_segment_ptr 1
		.amdhsa_user_sgpr_dispatch_id 0
		.amdhsa_user_sgpr_flat_scratch_init 0
		.amdhsa_user_sgpr_kernarg_preload_length 0
		.amdhsa_user_sgpr_kernarg_preload_offset 0
		.amdhsa_user_sgpr_private_segment_size 0
		.amdhsa_uses_dynamic_stack 0
		.amdhsa_system_sgpr_private_segment_wavefront_offset 0
		.amdhsa_system_sgpr_workgroup_id_x 1
		.amdhsa_system_sgpr_workgroup_id_y 0
		.amdhsa_system_sgpr_workgroup_id_z 0
		.amdhsa_system_sgpr_workgroup_info 0
		.amdhsa_system_vgpr_workitem_id 0
		.amdhsa_next_free_vgpr 54
		.amdhsa_next_free_sgpr 44
		.amdhsa_accum_offset 56
		.amdhsa_reserve_vcc 1
		.amdhsa_reserve_flat_scratch 0
		.amdhsa_float_round_mode_32 0
		.amdhsa_float_round_mode_16_64 0
		.amdhsa_float_denorm_mode_32 3
		.amdhsa_float_denorm_mode_16_64 3
		.amdhsa_dx10_clamp 1
		.amdhsa_ieee_mode 1
		.amdhsa_fp16_overflow 0
		.amdhsa_tg_split 0
		.amdhsa_exception_fp_ieee_invalid_op 0
		.amdhsa_exception_fp_denorm_src 0
		.amdhsa_exception_fp_ieee_div_zero 0
		.amdhsa_exception_fp_ieee_overflow 0
		.amdhsa_exception_fp_ieee_underflow 0
		.amdhsa_exception_fp_ieee_inexact 0
		.amdhsa_exception_int_div_zero 0
	.end_amdhsa_kernel
	.section	.text._ZN7rocprim17ROCPRIM_400000_NS6detail17trampoline_kernelINS0_14default_configENS1_25partition_config_selectorILNS1_17partition_subalgoE0EiNS0_10empty_typeEbEEZZNS1_14partition_implILS5_0ELb0ES3_jN6thrust23THRUST_200600_302600_NS6detail15normal_iteratorINSA_10device_ptrIiEEEEPS6_SG_NS0_5tupleIJNSA_16discard_iteratorINSA_11use_defaultEEESF_EEENSH_IJSG_SG_EEES6_PlJ7is_evenIiEEEE10hipError_tPvRmT3_T4_T5_T6_T7_T9_mT8_P12ihipStream_tbDpT10_ENKUlT_T0_E_clISt17integral_constantIbLb1EES18_IbLb0EEEEDaS14_S15_EUlS14_E_NS1_11comp_targetILNS1_3genE4ELNS1_11target_archE910ELNS1_3gpuE8ELNS1_3repE0EEENS1_30default_config_static_selectorELNS0_4arch9wavefront6targetE1EEEvT1_,"axG",@progbits,_ZN7rocprim17ROCPRIM_400000_NS6detail17trampoline_kernelINS0_14default_configENS1_25partition_config_selectorILNS1_17partition_subalgoE0EiNS0_10empty_typeEbEEZZNS1_14partition_implILS5_0ELb0ES3_jN6thrust23THRUST_200600_302600_NS6detail15normal_iteratorINSA_10device_ptrIiEEEEPS6_SG_NS0_5tupleIJNSA_16discard_iteratorINSA_11use_defaultEEESF_EEENSH_IJSG_SG_EEES6_PlJ7is_evenIiEEEE10hipError_tPvRmT3_T4_T5_T6_T7_T9_mT8_P12ihipStream_tbDpT10_ENKUlT_T0_E_clISt17integral_constantIbLb1EES18_IbLb0EEEEDaS14_S15_EUlS14_E_NS1_11comp_targetILNS1_3genE4ELNS1_11target_archE910ELNS1_3gpuE8ELNS1_3repE0EEENS1_30default_config_static_selectorELNS0_4arch9wavefront6targetE1EEEvT1_,comdat
.Lfunc_end2765:
	.size	_ZN7rocprim17ROCPRIM_400000_NS6detail17trampoline_kernelINS0_14default_configENS1_25partition_config_selectorILNS1_17partition_subalgoE0EiNS0_10empty_typeEbEEZZNS1_14partition_implILS5_0ELb0ES3_jN6thrust23THRUST_200600_302600_NS6detail15normal_iteratorINSA_10device_ptrIiEEEEPS6_SG_NS0_5tupleIJNSA_16discard_iteratorINSA_11use_defaultEEESF_EEENSH_IJSG_SG_EEES6_PlJ7is_evenIiEEEE10hipError_tPvRmT3_T4_T5_T6_T7_T9_mT8_P12ihipStream_tbDpT10_ENKUlT_T0_E_clISt17integral_constantIbLb1EES18_IbLb0EEEEDaS14_S15_EUlS14_E_NS1_11comp_targetILNS1_3genE4ELNS1_11target_archE910ELNS1_3gpuE8ELNS1_3repE0EEENS1_30default_config_static_selectorELNS0_4arch9wavefront6targetE1EEEvT1_, .Lfunc_end2765-_ZN7rocprim17ROCPRIM_400000_NS6detail17trampoline_kernelINS0_14default_configENS1_25partition_config_selectorILNS1_17partition_subalgoE0EiNS0_10empty_typeEbEEZZNS1_14partition_implILS5_0ELb0ES3_jN6thrust23THRUST_200600_302600_NS6detail15normal_iteratorINSA_10device_ptrIiEEEEPS6_SG_NS0_5tupleIJNSA_16discard_iteratorINSA_11use_defaultEEESF_EEENSH_IJSG_SG_EEES6_PlJ7is_evenIiEEEE10hipError_tPvRmT3_T4_T5_T6_T7_T9_mT8_P12ihipStream_tbDpT10_ENKUlT_T0_E_clISt17integral_constantIbLb1EES18_IbLb0EEEEDaS14_S15_EUlS14_E_NS1_11comp_targetILNS1_3genE4ELNS1_11target_archE910ELNS1_3gpuE8ELNS1_3repE0EEENS1_30default_config_static_selectorELNS0_4arch9wavefront6targetE1EEEvT1_
                                        ; -- End function
	.section	.AMDGPU.csdata,"",@progbits
; Kernel info:
; codeLenInByte = 5228
; NumSgprs: 48
; NumVgprs: 54
; NumAgprs: 0
; TotalNumVgprs: 54
; ScratchSize: 0
; MemoryBound: 0
; FloatMode: 240
; IeeeMode: 1
; LDSByteSize: 10248 bytes/workgroup (compile time only)
; SGPRBlocks: 5
; VGPRBlocks: 6
; NumSGPRsForWavesPerEU: 48
; NumVGPRsForWavesPerEU: 54
; AccumOffset: 56
; Occupancy: 6
; WaveLimiterHint : 1
; COMPUTE_PGM_RSRC2:SCRATCH_EN: 0
; COMPUTE_PGM_RSRC2:USER_SGPR: 6
; COMPUTE_PGM_RSRC2:TRAP_HANDLER: 0
; COMPUTE_PGM_RSRC2:TGID_X_EN: 1
; COMPUTE_PGM_RSRC2:TGID_Y_EN: 0
; COMPUTE_PGM_RSRC2:TGID_Z_EN: 0
; COMPUTE_PGM_RSRC2:TIDIG_COMP_CNT: 0
; COMPUTE_PGM_RSRC3_GFX90A:ACCUM_OFFSET: 13
; COMPUTE_PGM_RSRC3_GFX90A:TG_SPLIT: 0
	.section	.text._ZN7rocprim17ROCPRIM_400000_NS6detail17trampoline_kernelINS0_14default_configENS1_25partition_config_selectorILNS1_17partition_subalgoE0EiNS0_10empty_typeEbEEZZNS1_14partition_implILS5_0ELb0ES3_jN6thrust23THRUST_200600_302600_NS6detail15normal_iteratorINSA_10device_ptrIiEEEEPS6_SG_NS0_5tupleIJNSA_16discard_iteratorINSA_11use_defaultEEESF_EEENSH_IJSG_SG_EEES6_PlJ7is_evenIiEEEE10hipError_tPvRmT3_T4_T5_T6_T7_T9_mT8_P12ihipStream_tbDpT10_ENKUlT_T0_E_clISt17integral_constantIbLb1EES18_IbLb0EEEEDaS14_S15_EUlS14_E_NS1_11comp_targetILNS1_3genE3ELNS1_11target_archE908ELNS1_3gpuE7ELNS1_3repE0EEENS1_30default_config_static_selectorELNS0_4arch9wavefront6targetE1EEEvT1_,"axG",@progbits,_ZN7rocprim17ROCPRIM_400000_NS6detail17trampoline_kernelINS0_14default_configENS1_25partition_config_selectorILNS1_17partition_subalgoE0EiNS0_10empty_typeEbEEZZNS1_14partition_implILS5_0ELb0ES3_jN6thrust23THRUST_200600_302600_NS6detail15normal_iteratorINSA_10device_ptrIiEEEEPS6_SG_NS0_5tupleIJNSA_16discard_iteratorINSA_11use_defaultEEESF_EEENSH_IJSG_SG_EEES6_PlJ7is_evenIiEEEE10hipError_tPvRmT3_T4_T5_T6_T7_T9_mT8_P12ihipStream_tbDpT10_ENKUlT_T0_E_clISt17integral_constantIbLb1EES18_IbLb0EEEEDaS14_S15_EUlS14_E_NS1_11comp_targetILNS1_3genE3ELNS1_11target_archE908ELNS1_3gpuE7ELNS1_3repE0EEENS1_30default_config_static_selectorELNS0_4arch9wavefront6targetE1EEEvT1_,comdat
	.protected	_ZN7rocprim17ROCPRIM_400000_NS6detail17trampoline_kernelINS0_14default_configENS1_25partition_config_selectorILNS1_17partition_subalgoE0EiNS0_10empty_typeEbEEZZNS1_14partition_implILS5_0ELb0ES3_jN6thrust23THRUST_200600_302600_NS6detail15normal_iteratorINSA_10device_ptrIiEEEEPS6_SG_NS0_5tupleIJNSA_16discard_iteratorINSA_11use_defaultEEESF_EEENSH_IJSG_SG_EEES6_PlJ7is_evenIiEEEE10hipError_tPvRmT3_T4_T5_T6_T7_T9_mT8_P12ihipStream_tbDpT10_ENKUlT_T0_E_clISt17integral_constantIbLb1EES18_IbLb0EEEEDaS14_S15_EUlS14_E_NS1_11comp_targetILNS1_3genE3ELNS1_11target_archE908ELNS1_3gpuE7ELNS1_3repE0EEENS1_30default_config_static_selectorELNS0_4arch9wavefront6targetE1EEEvT1_ ; -- Begin function _ZN7rocprim17ROCPRIM_400000_NS6detail17trampoline_kernelINS0_14default_configENS1_25partition_config_selectorILNS1_17partition_subalgoE0EiNS0_10empty_typeEbEEZZNS1_14partition_implILS5_0ELb0ES3_jN6thrust23THRUST_200600_302600_NS6detail15normal_iteratorINSA_10device_ptrIiEEEEPS6_SG_NS0_5tupleIJNSA_16discard_iteratorINSA_11use_defaultEEESF_EEENSH_IJSG_SG_EEES6_PlJ7is_evenIiEEEE10hipError_tPvRmT3_T4_T5_T6_T7_T9_mT8_P12ihipStream_tbDpT10_ENKUlT_T0_E_clISt17integral_constantIbLb1EES18_IbLb0EEEEDaS14_S15_EUlS14_E_NS1_11comp_targetILNS1_3genE3ELNS1_11target_archE908ELNS1_3gpuE7ELNS1_3repE0EEENS1_30default_config_static_selectorELNS0_4arch9wavefront6targetE1EEEvT1_
	.globl	_ZN7rocprim17ROCPRIM_400000_NS6detail17trampoline_kernelINS0_14default_configENS1_25partition_config_selectorILNS1_17partition_subalgoE0EiNS0_10empty_typeEbEEZZNS1_14partition_implILS5_0ELb0ES3_jN6thrust23THRUST_200600_302600_NS6detail15normal_iteratorINSA_10device_ptrIiEEEEPS6_SG_NS0_5tupleIJNSA_16discard_iteratorINSA_11use_defaultEEESF_EEENSH_IJSG_SG_EEES6_PlJ7is_evenIiEEEE10hipError_tPvRmT3_T4_T5_T6_T7_T9_mT8_P12ihipStream_tbDpT10_ENKUlT_T0_E_clISt17integral_constantIbLb1EES18_IbLb0EEEEDaS14_S15_EUlS14_E_NS1_11comp_targetILNS1_3genE3ELNS1_11target_archE908ELNS1_3gpuE7ELNS1_3repE0EEENS1_30default_config_static_selectorELNS0_4arch9wavefront6targetE1EEEvT1_
	.p2align	8
	.type	_ZN7rocprim17ROCPRIM_400000_NS6detail17trampoline_kernelINS0_14default_configENS1_25partition_config_selectorILNS1_17partition_subalgoE0EiNS0_10empty_typeEbEEZZNS1_14partition_implILS5_0ELb0ES3_jN6thrust23THRUST_200600_302600_NS6detail15normal_iteratorINSA_10device_ptrIiEEEEPS6_SG_NS0_5tupleIJNSA_16discard_iteratorINSA_11use_defaultEEESF_EEENSH_IJSG_SG_EEES6_PlJ7is_evenIiEEEE10hipError_tPvRmT3_T4_T5_T6_T7_T9_mT8_P12ihipStream_tbDpT10_ENKUlT_T0_E_clISt17integral_constantIbLb1EES18_IbLb0EEEEDaS14_S15_EUlS14_E_NS1_11comp_targetILNS1_3genE3ELNS1_11target_archE908ELNS1_3gpuE7ELNS1_3repE0EEENS1_30default_config_static_selectorELNS0_4arch9wavefront6targetE1EEEvT1_,@function
_ZN7rocprim17ROCPRIM_400000_NS6detail17trampoline_kernelINS0_14default_configENS1_25partition_config_selectorILNS1_17partition_subalgoE0EiNS0_10empty_typeEbEEZZNS1_14partition_implILS5_0ELb0ES3_jN6thrust23THRUST_200600_302600_NS6detail15normal_iteratorINSA_10device_ptrIiEEEEPS6_SG_NS0_5tupleIJNSA_16discard_iteratorINSA_11use_defaultEEESF_EEENSH_IJSG_SG_EEES6_PlJ7is_evenIiEEEE10hipError_tPvRmT3_T4_T5_T6_T7_T9_mT8_P12ihipStream_tbDpT10_ENKUlT_T0_E_clISt17integral_constantIbLb1EES18_IbLb0EEEEDaS14_S15_EUlS14_E_NS1_11comp_targetILNS1_3genE3ELNS1_11target_archE908ELNS1_3gpuE7ELNS1_3repE0EEENS1_30default_config_static_selectorELNS0_4arch9wavefront6targetE1EEEvT1_: ; @_ZN7rocprim17ROCPRIM_400000_NS6detail17trampoline_kernelINS0_14default_configENS1_25partition_config_selectorILNS1_17partition_subalgoE0EiNS0_10empty_typeEbEEZZNS1_14partition_implILS5_0ELb0ES3_jN6thrust23THRUST_200600_302600_NS6detail15normal_iteratorINSA_10device_ptrIiEEEEPS6_SG_NS0_5tupleIJNSA_16discard_iteratorINSA_11use_defaultEEESF_EEENSH_IJSG_SG_EEES6_PlJ7is_evenIiEEEE10hipError_tPvRmT3_T4_T5_T6_T7_T9_mT8_P12ihipStream_tbDpT10_ENKUlT_T0_E_clISt17integral_constantIbLb1EES18_IbLb0EEEEDaS14_S15_EUlS14_E_NS1_11comp_targetILNS1_3genE3ELNS1_11target_archE908ELNS1_3gpuE7ELNS1_3repE0EEENS1_30default_config_static_selectorELNS0_4arch9wavefront6targetE1EEEvT1_
; %bb.0:
	.section	.rodata,"a",@progbits
	.p2align	6, 0x0
	.amdhsa_kernel _ZN7rocprim17ROCPRIM_400000_NS6detail17trampoline_kernelINS0_14default_configENS1_25partition_config_selectorILNS1_17partition_subalgoE0EiNS0_10empty_typeEbEEZZNS1_14partition_implILS5_0ELb0ES3_jN6thrust23THRUST_200600_302600_NS6detail15normal_iteratorINSA_10device_ptrIiEEEEPS6_SG_NS0_5tupleIJNSA_16discard_iteratorINSA_11use_defaultEEESF_EEENSH_IJSG_SG_EEES6_PlJ7is_evenIiEEEE10hipError_tPvRmT3_T4_T5_T6_T7_T9_mT8_P12ihipStream_tbDpT10_ENKUlT_T0_E_clISt17integral_constantIbLb1EES18_IbLb0EEEEDaS14_S15_EUlS14_E_NS1_11comp_targetILNS1_3genE3ELNS1_11target_archE908ELNS1_3gpuE7ELNS1_3repE0EEENS1_30default_config_static_selectorELNS0_4arch9wavefront6targetE1EEEvT1_
		.amdhsa_group_segment_fixed_size 0
		.amdhsa_private_segment_fixed_size 0
		.amdhsa_kernarg_size 128
		.amdhsa_user_sgpr_count 6
		.amdhsa_user_sgpr_private_segment_buffer 1
		.amdhsa_user_sgpr_dispatch_ptr 0
		.amdhsa_user_sgpr_queue_ptr 0
		.amdhsa_user_sgpr_kernarg_segment_ptr 1
		.amdhsa_user_sgpr_dispatch_id 0
		.amdhsa_user_sgpr_flat_scratch_init 0
		.amdhsa_user_sgpr_kernarg_preload_length 0
		.amdhsa_user_sgpr_kernarg_preload_offset 0
		.amdhsa_user_sgpr_private_segment_size 0
		.amdhsa_uses_dynamic_stack 0
		.amdhsa_system_sgpr_private_segment_wavefront_offset 0
		.amdhsa_system_sgpr_workgroup_id_x 1
		.amdhsa_system_sgpr_workgroup_id_y 0
		.amdhsa_system_sgpr_workgroup_id_z 0
		.amdhsa_system_sgpr_workgroup_info 0
		.amdhsa_system_vgpr_workitem_id 0
		.amdhsa_next_free_vgpr 1
		.amdhsa_next_free_sgpr 0
		.amdhsa_accum_offset 4
		.amdhsa_reserve_vcc 0
		.amdhsa_reserve_flat_scratch 0
		.amdhsa_float_round_mode_32 0
		.amdhsa_float_round_mode_16_64 0
		.amdhsa_float_denorm_mode_32 3
		.amdhsa_float_denorm_mode_16_64 3
		.amdhsa_dx10_clamp 1
		.amdhsa_ieee_mode 1
		.amdhsa_fp16_overflow 0
		.amdhsa_tg_split 0
		.amdhsa_exception_fp_ieee_invalid_op 0
		.amdhsa_exception_fp_denorm_src 0
		.amdhsa_exception_fp_ieee_div_zero 0
		.amdhsa_exception_fp_ieee_overflow 0
		.amdhsa_exception_fp_ieee_underflow 0
		.amdhsa_exception_fp_ieee_inexact 0
		.amdhsa_exception_int_div_zero 0
	.end_amdhsa_kernel
	.section	.text._ZN7rocprim17ROCPRIM_400000_NS6detail17trampoline_kernelINS0_14default_configENS1_25partition_config_selectorILNS1_17partition_subalgoE0EiNS0_10empty_typeEbEEZZNS1_14partition_implILS5_0ELb0ES3_jN6thrust23THRUST_200600_302600_NS6detail15normal_iteratorINSA_10device_ptrIiEEEEPS6_SG_NS0_5tupleIJNSA_16discard_iteratorINSA_11use_defaultEEESF_EEENSH_IJSG_SG_EEES6_PlJ7is_evenIiEEEE10hipError_tPvRmT3_T4_T5_T6_T7_T9_mT8_P12ihipStream_tbDpT10_ENKUlT_T0_E_clISt17integral_constantIbLb1EES18_IbLb0EEEEDaS14_S15_EUlS14_E_NS1_11comp_targetILNS1_3genE3ELNS1_11target_archE908ELNS1_3gpuE7ELNS1_3repE0EEENS1_30default_config_static_selectorELNS0_4arch9wavefront6targetE1EEEvT1_,"axG",@progbits,_ZN7rocprim17ROCPRIM_400000_NS6detail17trampoline_kernelINS0_14default_configENS1_25partition_config_selectorILNS1_17partition_subalgoE0EiNS0_10empty_typeEbEEZZNS1_14partition_implILS5_0ELb0ES3_jN6thrust23THRUST_200600_302600_NS6detail15normal_iteratorINSA_10device_ptrIiEEEEPS6_SG_NS0_5tupleIJNSA_16discard_iteratorINSA_11use_defaultEEESF_EEENSH_IJSG_SG_EEES6_PlJ7is_evenIiEEEE10hipError_tPvRmT3_T4_T5_T6_T7_T9_mT8_P12ihipStream_tbDpT10_ENKUlT_T0_E_clISt17integral_constantIbLb1EES18_IbLb0EEEEDaS14_S15_EUlS14_E_NS1_11comp_targetILNS1_3genE3ELNS1_11target_archE908ELNS1_3gpuE7ELNS1_3repE0EEENS1_30default_config_static_selectorELNS0_4arch9wavefront6targetE1EEEvT1_,comdat
.Lfunc_end2766:
	.size	_ZN7rocprim17ROCPRIM_400000_NS6detail17trampoline_kernelINS0_14default_configENS1_25partition_config_selectorILNS1_17partition_subalgoE0EiNS0_10empty_typeEbEEZZNS1_14partition_implILS5_0ELb0ES3_jN6thrust23THRUST_200600_302600_NS6detail15normal_iteratorINSA_10device_ptrIiEEEEPS6_SG_NS0_5tupleIJNSA_16discard_iteratorINSA_11use_defaultEEESF_EEENSH_IJSG_SG_EEES6_PlJ7is_evenIiEEEE10hipError_tPvRmT3_T4_T5_T6_T7_T9_mT8_P12ihipStream_tbDpT10_ENKUlT_T0_E_clISt17integral_constantIbLb1EES18_IbLb0EEEEDaS14_S15_EUlS14_E_NS1_11comp_targetILNS1_3genE3ELNS1_11target_archE908ELNS1_3gpuE7ELNS1_3repE0EEENS1_30default_config_static_selectorELNS0_4arch9wavefront6targetE1EEEvT1_, .Lfunc_end2766-_ZN7rocprim17ROCPRIM_400000_NS6detail17trampoline_kernelINS0_14default_configENS1_25partition_config_selectorILNS1_17partition_subalgoE0EiNS0_10empty_typeEbEEZZNS1_14partition_implILS5_0ELb0ES3_jN6thrust23THRUST_200600_302600_NS6detail15normal_iteratorINSA_10device_ptrIiEEEEPS6_SG_NS0_5tupleIJNSA_16discard_iteratorINSA_11use_defaultEEESF_EEENSH_IJSG_SG_EEES6_PlJ7is_evenIiEEEE10hipError_tPvRmT3_T4_T5_T6_T7_T9_mT8_P12ihipStream_tbDpT10_ENKUlT_T0_E_clISt17integral_constantIbLb1EES18_IbLb0EEEEDaS14_S15_EUlS14_E_NS1_11comp_targetILNS1_3genE3ELNS1_11target_archE908ELNS1_3gpuE7ELNS1_3repE0EEENS1_30default_config_static_selectorELNS0_4arch9wavefront6targetE1EEEvT1_
                                        ; -- End function
	.section	.AMDGPU.csdata,"",@progbits
; Kernel info:
; codeLenInByte = 0
; NumSgprs: 4
; NumVgprs: 0
; NumAgprs: 0
; TotalNumVgprs: 0
; ScratchSize: 0
; MemoryBound: 0
; FloatMode: 240
; IeeeMode: 1
; LDSByteSize: 0 bytes/workgroup (compile time only)
; SGPRBlocks: 0
; VGPRBlocks: 0
; NumSGPRsForWavesPerEU: 4
; NumVGPRsForWavesPerEU: 1
; AccumOffset: 4
; Occupancy: 8
; WaveLimiterHint : 0
; COMPUTE_PGM_RSRC2:SCRATCH_EN: 0
; COMPUTE_PGM_RSRC2:USER_SGPR: 6
; COMPUTE_PGM_RSRC2:TRAP_HANDLER: 0
; COMPUTE_PGM_RSRC2:TGID_X_EN: 1
; COMPUTE_PGM_RSRC2:TGID_Y_EN: 0
; COMPUTE_PGM_RSRC2:TGID_Z_EN: 0
; COMPUTE_PGM_RSRC2:TIDIG_COMP_CNT: 0
; COMPUTE_PGM_RSRC3_GFX90A:ACCUM_OFFSET: 0
; COMPUTE_PGM_RSRC3_GFX90A:TG_SPLIT: 0
	.section	.text._ZN7rocprim17ROCPRIM_400000_NS6detail17trampoline_kernelINS0_14default_configENS1_25partition_config_selectorILNS1_17partition_subalgoE0EiNS0_10empty_typeEbEEZZNS1_14partition_implILS5_0ELb0ES3_jN6thrust23THRUST_200600_302600_NS6detail15normal_iteratorINSA_10device_ptrIiEEEEPS6_SG_NS0_5tupleIJNSA_16discard_iteratorINSA_11use_defaultEEESF_EEENSH_IJSG_SG_EEES6_PlJ7is_evenIiEEEE10hipError_tPvRmT3_T4_T5_T6_T7_T9_mT8_P12ihipStream_tbDpT10_ENKUlT_T0_E_clISt17integral_constantIbLb1EES18_IbLb0EEEEDaS14_S15_EUlS14_E_NS1_11comp_targetILNS1_3genE2ELNS1_11target_archE906ELNS1_3gpuE6ELNS1_3repE0EEENS1_30default_config_static_selectorELNS0_4arch9wavefront6targetE1EEEvT1_,"axG",@progbits,_ZN7rocprim17ROCPRIM_400000_NS6detail17trampoline_kernelINS0_14default_configENS1_25partition_config_selectorILNS1_17partition_subalgoE0EiNS0_10empty_typeEbEEZZNS1_14partition_implILS5_0ELb0ES3_jN6thrust23THRUST_200600_302600_NS6detail15normal_iteratorINSA_10device_ptrIiEEEEPS6_SG_NS0_5tupleIJNSA_16discard_iteratorINSA_11use_defaultEEESF_EEENSH_IJSG_SG_EEES6_PlJ7is_evenIiEEEE10hipError_tPvRmT3_T4_T5_T6_T7_T9_mT8_P12ihipStream_tbDpT10_ENKUlT_T0_E_clISt17integral_constantIbLb1EES18_IbLb0EEEEDaS14_S15_EUlS14_E_NS1_11comp_targetILNS1_3genE2ELNS1_11target_archE906ELNS1_3gpuE6ELNS1_3repE0EEENS1_30default_config_static_selectorELNS0_4arch9wavefront6targetE1EEEvT1_,comdat
	.protected	_ZN7rocprim17ROCPRIM_400000_NS6detail17trampoline_kernelINS0_14default_configENS1_25partition_config_selectorILNS1_17partition_subalgoE0EiNS0_10empty_typeEbEEZZNS1_14partition_implILS5_0ELb0ES3_jN6thrust23THRUST_200600_302600_NS6detail15normal_iteratorINSA_10device_ptrIiEEEEPS6_SG_NS0_5tupleIJNSA_16discard_iteratorINSA_11use_defaultEEESF_EEENSH_IJSG_SG_EEES6_PlJ7is_evenIiEEEE10hipError_tPvRmT3_T4_T5_T6_T7_T9_mT8_P12ihipStream_tbDpT10_ENKUlT_T0_E_clISt17integral_constantIbLb1EES18_IbLb0EEEEDaS14_S15_EUlS14_E_NS1_11comp_targetILNS1_3genE2ELNS1_11target_archE906ELNS1_3gpuE6ELNS1_3repE0EEENS1_30default_config_static_selectorELNS0_4arch9wavefront6targetE1EEEvT1_ ; -- Begin function _ZN7rocprim17ROCPRIM_400000_NS6detail17trampoline_kernelINS0_14default_configENS1_25partition_config_selectorILNS1_17partition_subalgoE0EiNS0_10empty_typeEbEEZZNS1_14partition_implILS5_0ELb0ES3_jN6thrust23THRUST_200600_302600_NS6detail15normal_iteratorINSA_10device_ptrIiEEEEPS6_SG_NS0_5tupleIJNSA_16discard_iteratorINSA_11use_defaultEEESF_EEENSH_IJSG_SG_EEES6_PlJ7is_evenIiEEEE10hipError_tPvRmT3_T4_T5_T6_T7_T9_mT8_P12ihipStream_tbDpT10_ENKUlT_T0_E_clISt17integral_constantIbLb1EES18_IbLb0EEEEDaS14_S15_EUlS14_E_NS1_11comp_targetILNS1_3genE2ELNS1_11target_archE906ELNS1_3gpuE6ELNS1_3repE0EEENS1_30default_config_static_selectorELNS0_4arch9wavefront6targetE1EEEvT1_
	.globl	_ZN7rocprim17ROCPRIM_400000_NS6detail17trampoline_kernelINS0_14default_configENS1_25partition_config_selectorILNS1_17partition_subalgoE0EiNS0_10empty_typeEbEEZZNS1_14partition_implILS5_0ELb0ES3_jN6thrust23THRUST_200600_302600_NS6detail15normal_iteratorINSA_10device_ptrIiEEEEPS6_SG_NS0_5tupleIJNSA_16discard_iteratorINSA_11use_defaultEEESF_EEENSH_IJSG_SG_EEES6_PlJ7is_evenIiEEEE10hipError_tPvRmT3_T4_T5_T6_T7_T9_mT8_P12ihipStream_tbDpT10_ENKUlT_T0_E_clISt17integral_constantIbLb1EES18_IbLb0EEEEDaS14_S15_EUlS14_E_NS1_11comp_targetILNS1_3genE2ELNS1_11target_archE906ELNS1_3gpuE6ELNS1_3repE0EEENS1_30default_config_static_selectorELNS0_4arch9wavefront6targetE1EEEvT1_
	.p2align	8
	.type	_ZN7rocprim17ROCPRIM_400000_NS6detail17trampoline_kernelINS0_14default_configENS1_25partition_config_selectorILNS1_17partition_subalgoE0EiNS0_10empty_typeEbEEZZNS1_14partition_implILS5_0ELb0ES3_jN6thrust23THRUST_200600_302600_NS6detail15normal_iteratorINSA_10device_ptrIiEEEEPS6_SG_NS0_5tupleIJNSA_16discard_iteratorINSA_11use_defaultEEESF_EEENSH_IJSG_SG_EEES6_PlJ7is_evenIiEEEE10hipError_tPvRmT3_T4_T5_T6_T7_T9_mT8_P12ihipStream_tbDpT10_ENKUlT_T0_E_clISt17integral_constantIbLb1EES18_IbLb0EEEEDaS14_S15_EUlS14_E_NS1_11comp_targetILNS1_3genE2ELNS1_11target_archE906ELNS1_3gpuE6ELNS1_3repE0EEENS1_30default_config_static_selectorELNS0_4arch9wavefront6targetE1EEEvT1_,@function
_ZN7rocprim17ROCPRIM_400000_NS6detail17trampoline_kernelINS0_14default_configENS1_25partition_config_selectorILNS1_17partition_subalgoE0EiNS0_10empty_typeEbEEZZNS1_14partition_implILS5_0ELb0ES3_jN6thrust23THRUST_200600_302600_NS6detail15normal_iteratorINSA_10device_ptrIiEEEEPS6_SG_NS0_5tupleIJNSA_16discard_iteratorINSA_11use_defaultEEESF_EEENSH_IJSG_SG_EEES6_PlJ7is_evenIiEEEE10hipError_tPvRmT3_T4_T5_T6_T7_T9_mT8_P12ihipStream_tbDpT10_ENKUlT_T0_E_clISt17integral_constantIbLb1EES18_IbLb0EEEEDaS14_S15_EUlS14_E_NS1_11comp_targetILNS1_3genE2ELNS1_11target_archE906ELNS1_3gpuE6ELNS1_3repE0EEENS1_30default_config_static_selectorELNS0_4arch9wavefront6targetE1EEEvT1_: ; @_ZN7rocprim17ROCPRIM_400000_NS6detail17trampoline_kernelINS0_14default_configENS1_25partition_config_selectorILNS1_17partition_subalgoE0EiNS0_10empty_typeEbEEZZNS1_14partition_implILS5_0ELb0ES3_jN6thrust23THRUST_200600_302600_NS6detail15normal_iteratorINSA_10device_ptrIiEEEEPS6_SG_NS0_5tupleIJNSA_16discard_iteratorINSA_11use_defaultEEESF_EEENSH_IJSG_SG_EEES6_PlJ7is_evenIiEEEE10hipError_tPvRmT3_T4_T5_T6_T7_T9_mT8_P12ihipStream_tbDpT10_ENKUlT_T0_E_clISt17integral_constantIbLb1EES18_IbLb0EEEEDaS14_S15_EUlS14_E_NS1_11comp_targetILNS1_3genE2ELNS1_11target_archE906ELNS1_3gpuE6ELNS1_3repE0EEENS1_30default_config_static_selectorELNS0_4arch9wavefront6targetE1EEEvT1_
; %bb.0:
	.section	.rodata,"a",@progbits
	.p2align	6, 0x0
	.amdhsa_kernel _ZN7rocprim17ROCPRIM_400000_NS6detail17trampoline_kernelINS0_14default_configENS1_25partition_config_selectorILNS1_17partition_subalgoE0EiNS0_10empty_typeEbEEZZNS1_14partition_implILS5_0ELb0ES3_jN6thrust23THRUST_200600_302600_NS6detail15normal_iteratorINSA_10device_ptrIiEEEEPS6_SG_NS0_5tupleIJNSA_16discard_iteratorINSA_11use_defaultEEESF_EEENSH_IJSG_SG_EEES6_PlJ7is_evenIiEEEE10hipError_tPvRmT3_T4_T5_T6_T7_T9_mT8_P12ihipStream_tbDpT10_ENKUlT_T0_E_clISt17integral_constantIbLb1EES18_IbLb0EEEEDaS14_S15_EUlS14_E_NS1_11comp_targetILNS1_3genE2ELNS1_11target_archE906ELNS1_3gpuE6ELNS1_3repE0EEENS1_30default_config_static_selectorELNS0_4arch9wavefront6targetE1EEEvT1_
		.amdhsa_group_segment_fixed_size 0
		.amdhsa_private_segment_fixed_size 0
		.amdhsa_kernarg_size 128
		.amdhsa_user_sgpr_count 6
		.amdhsa_user_sgpr_private_segment_buffer 1
		.amdhsa_user_sgpr_dispatch_ptr 0
		.amdhsa_user_sgpr_queue_ptr 0
		.amdhsa_user_sgpr_kernarg_segment_ptr 1
		.amdhsa_user_sgpr_dispatch_id 0
		.amdhsa_user_sgpr_flat_scratch_init 0
		.amdhsa_user_sgpr_kernarg_preload_length 0
		.amdhsa_user_sgpr_kernarg_preload_offset 0
		.amdhsa_user_sgpr_private_segment_size 0
		.amdhsa_uses_dynamic_stack 0
		.amdhsa_system_sgpr_private_segment_wavefront_offset 0
		.amdhsa_system_sgpr_workgroup_id_x 1
		.amdhsa_system_sgpr_workgroup_id_y 0
		.amdhsa_system_sgpr_workgroup_id_z 0
		.amdhsa_system_sgpr_workgroup_info 0
		.amdhsa_system_vgpr_workitem_id 0
		.amdhsa_next_free_vgpr 1
		.amdhsa_next_free_sgpr 0
		.amdhsa_accum_offset 4
		.amdhsa_reserve_vcc 0
		.amdhsa_reserve_flat_scratch 0
		.amdhsa_float_round_mode_32 0
		.amdhsa_float_round_mode_16_64 0
		.amdhsa_float_denorm_mode_32 3
		.amdhsa_float_denorm_mode_16_64 3
		.amdhsa_dx10_clamp 1
		.amdhsa_ieee_mode 1
		.amdhsa_fp16_overflow 0
		.amdhsa_tg_split 0
		.amdhsa_exception_fp_ieee_invalid_op 0
		.amdhsa_exception_fp_denorm_src 0
		.amdhsa_exception_fp_ieee_div_zero 0
		.amdhsa_exception_fp_ieee_overflow 0
		.amdhsa_exception_fp_ieee_underflow 0
		.amdhsa_exception_fp_ieee_inexact 0
		.amdhsa_exception_int_div_zero 0
	.end_amdhsa_kernel
	.section	.text._ZN7rocprim17ROCPRIM_400000_NS6detail17trampoline_kernelINS0_14default_configENS1_25partition_config_selectorILNS1_17partition_subalgoE0EiNS0_10empty_typeEbEEZZNS1_14partition_implILS5_0ELb0ES3_jN6thrust23THRUST_200600_302600_NS6detail15normal_iteratorINSA_10device_ptrIiEEEEPS6_SG_NS0_5tupleIJNSA_16discard_iteratorINSA_11use_defaultEEESF_EEENSH_IJSG_SG_EEES6_PlJ7is_evenIiEEEE10hipError_tPvRmT3_T4_T5_T6_T7_T9_mT8_P12ihipStream_tbDpT10_ENKUlT_T0_E_clISt17integral_constantIbLb1EES18_IbLb0EEEEDaS14_S15_EUlS14_E_NS1_11comp_targetILNS1_3genE2ELNS1_11target_archE906ELNS1_3gpuE6ELNS1_3repE0EEENS1_30default_config_static_selectorELNS0_4arch9wavefront6targetE1EEEvT1_,"axG",@progbits,_ZN7rocprim17ROCPRIM_400000_NS6detail17trampoline_kernelINS0_14default_configENS1_25partition_config_selectorILNS1_17partition_subalgoE0EiNS0_10empty_typeEbEEZZNS1_14partition_implILS5_0ELb0ES3_jN6thrust23THRUST_200600_302600_NS6detail15normal_iteratorINSA_10device_ptrIiEEEEPS6_SG_NS0_5tupleIJNSA_16discard_iteratorINSA_11use_defaultEEESF_EEENSH_IJSG_SG_EEES6_PlJ7is_evenIiEEEE10hipError_tPvRmT3_T4_T5_T6_T7_T9_mT8_P12ihipStream_tbDpT10_ENKUlT_T0_E_clISt17integral_constantIbLb1EES18_IbLb0EEEEDaS14_S15_EUlS14_E_NS1_11comp_targetILNS1_3genE2ELNS1_11target_archE906ELNS1_3gpuE6ELNS1_3repE0EEENS1_30default_config_static_selectorELNS0_4arch9wavefront6targetE1EEEvT1_,comdat
.Lfunc_end2767:
	.size	_ZN7rocprim17ROCPRIM_400000_NS6detail17trampoline_kernelINS0_14default_configENS1_25partition_config_selectorILNS1_17partition_subalgoE0EiNS0_10empty_typeEbEEZZNS1_14partition_implILS5_0ELb0ES3_jN6thrust23THRUST_200600_302600_NS6detail15normal_iteratorINSA_10device_ptrIiEEEEPS6_SG_NS0_5tupleIJNSA_16discard_iteratorINSA_11use_defaultEEESF_EEENSH_IJSG_SG_EEES6_PlJ7is_evenIiEEEE10hipError_tPvRmT3_T4_T5_T6_T7_T9_mT8_P12ihipStream_tbDpT10_ENKUlT_T0_E_clISt17integral_constantIbLb1EES18_IbLb0EEEEDaS14_S15_EUlS14_E_NS1_11comp_targetILNS1_3genE2ELNS1_11target_archE906ELNS1_3gpuE6ELNS1_3repE0EEENS1_30default_config_static_selectorELNS0_4arch9wavefront6targetE1EEEvT1_, .Lfunc_end2767-_ZN7rocprim17ROCPRIM_400000_NS6detail17trampoline_kernelINS0_14default_configENS1_25partition_config_selectorILNS1_17partition_subalgoE0EiNS0_10empty_typeEbEEZZNS1_14partition_implILS5_0ELb0ES3_jN6thrust23THRUST_200600_302600_NS6detail15normal_iteratorINSA_10device_ptrIiEEEEPS6_SG_NS0_5tupleIJNSA_16discard_iteratorINSA_11use_defaultEEESF_EEENSH_IJSG_SG_EEES6_PlJ7is_evenIiEEEE10hipError_tPvRmT3_T4_T5_T6_T7_T9_mT8_P12ihipStream_tbDpT10_ENKUlT_T0_E_clISt17integral_constantIbLb1EES18_IbLb0EEEEDaS14_S15_EUlS14_E_NS1_11comp_targetILNS1_3genE2ELNS1_11target_archE906ELNS1_3gpuE6ELNS1_3repE0EEENS1_30default_config_static_selectorELNS0_4arch9wavefront6targetE1EEEvT1_
                                        ; -- End function
	.section	.AMDGPU.csdata,"",@progbits
; Kernel info:
; codeLenInByte = 0
; NumSgprs: 4
; NumVgprs: 0
; NumAgprs: 0
; TotalNumVgprs: 0
; ScratchSize: 0
; MemoryBound: 0
; FloatMode: 240
; IeeeMode: 1
; LDSByteSize: 0 bytes/workgroup (compile time only)
; SGPRBlocks: 0
; VGPRBlocks: 0
; NumSGPRsForWavesPerEU: 4
; NumVGPRsForWavesPerEU: 1
; AccumOffset: 4
; Occupancy: 8
; WaveLimiterHint : 0
; COMPUTE_PGM_RSRC2:SCRATCH_EN: 0
; COMPUTE_PGM_RSRC2:USER_SGPR: 6
; COMPUTE_PGM_RSRC2:TRAP_HANDLER: 0
; COMPUTE_PGM_RSRC2:TGID_X_EN: 1
; COMPUTE_PGM_RSRC2:TGID_Y_EN: 0
; COMPUTE_PGM_RSRC2:TGID_Z_EN: 0
; COMPUTE_PGM_RSRC2:TIDIG_COMP_CNT: 0
; COMPUTE_PGM_RSRC3_GFX90A:ACCUM_OFFSET: 0
; COMPUTE_PGM_RSRC3_GFX90A:TG_SPLIT: 0
	.section	.text._ZN7rocprim17ROCPRIM_400000_NS6detail17trampoline_kernelINS0_14default_configENS1_25partition_config_selectorILNS1_17partition_subalgoE0EiNS0_10empty_typeEbEEZZNS1_14partition_implILS5_0ELb0ES3_jN6thrust23THRUST_200600_302600_NS6detail15normal_iteratorINSA_10device_ptrIiEEEEPS6_SG_NS0_5tupleIJNSA_16discard_iteratorINSA_11use_defaultEEESF_EEENSH_IJSG_SG_EEES6_PlJ7is_evenIiEEEE10hipError_tPvRmT3_T4_T5_T6_T7_T9_mT8_P12ihipStream_tbDpT10_ENKUlT_T0_E_clISt17integral_constantIbLb1EES18_IbLb0EEEEDaS14_S15_EUlS14_E_NS1_11comp_targetILNS1_3genE10ELNS1_11target_archE1200ELNS1_3gpuE4ELNS1_3repE0EEENS1_30default_config_static_selectorELNS0_4arch9wavefront6targetE1EEEvT1_,"axG",@progbits,_ZN7rocprim17ROCPRIM_400000_NS6detail17trampoline_kernelINS0_14default_configENS1_25partition_config_selectorILNS1_17partition_subalgoE0EiNS0_10empty_typeEbEEZZNS1_14partition_implILS5_0ELb0ES3_jN6thrust23THRUST_200600_302600_NS6detail15normal_iteratorINSA_10device_ptrIiEEEEPS6_SG_NS0_5tupleIJNSA_16discard_iteratorINSA_11use_defaultEEESF_EEENSH_IJSG_SG_EEES6_PlJ7is_evenIiEEEE10hipError_tPvRmT3_T4_T5_T6_T7_T9_mT8_P12ihipStream_tbDpT10_ENKUlT_T0_E_clISt17integral_constantIbLb1EES18_IbLb0EEEEDaS14_S15_EUlS14_E_NS1_11comp_targetILNS1_3genE10ELNS1_11target_archE1200ELNS1_3gpuE4ELNS1_3repE0EEENS1_30default_config_static_selectorELNS0_4arch9wavefront6targetE1EEEvT1_,comdat
	.protected	_ZN7rocprim17ROCPRIM_400000_NS6detail17trampoline_kernelINS0_14default_configENS1_25partition_config_selectorILNS1_17partition_subalgoE0EiNS0_10empty_typeEbEEZZNS1_14partition_implILS5_0ELb0ES3_jN6thrust23THRUST_200600_302600_NS6detail15normal_iteratorINSA_10device_ptrIiEEEEPS6_SG_NS0_5tupleIJNSA_16discard_iteratorINSA_11use_defaultEEESF_EEENSH_IJSG_SG_EEES6_PlJ7is_evenIiEEEE10hipError_tPvRmT3_T4_T5_T6_T7_T9_mT8_P12ihipStream_tbDpT10_ENKUlT_T0_E_clISt17integral_constantIbLb1EES18_IbLb0EEEEDaS14_S15_EUlS14_E_NS1_11comp_targetILNS1_3genE10ELNS1_11target_archE1200ELNS1_3gpuE4ELNS1_3repE0EEENS1_30default_config_static_selectorELNS0_4arch9wavefront6targetE1EEEvT1_ ; -- Begin function _ZN7rocprim17ROCPRIM_400000_NS6detail17trampoline_kernelINS0_14default_configENS1_25partition_config_selectorILNS1_17partition_subalgoE0EiNS0_10empty_typeEbEEZZNS1_14partition_implILS5_0ELb0ES3_jN6thrust23THRUST_200600_302600_NS6detail15normal_iteratorINSA_10device_ptrIiEEEEPS6_SG_NS0_5tupleIJNSA_16discard_iteratorINSA_11use_defaultEEESF_EEENSH_IJSG_SG_EEES6_PlJ7is_evenIiEEEE10hipError_tPvRmT3_T4_T5_T6_T7_T9_mT8_P12ihipStream_tbDpT10_ENKUlT_T0_E_clISt17integral_constantIbLb1EES18_IbLb0EEEEDaS14_S15_EUlS14_E_NS1_11comp_targetILNS1_3genE10ELNS1_11target_archE1200ELNS1_3gpuE4ELNS1_3repE0EEENS1_30default_config_static_selectorELNS0_4arch9wavefront6targetE1EEEvT1_
	.globl	_ZN7rocprim17ROCPRIM_400000_NS6detail17trampoline_kernelINS0_14default_configENS1_25partition_config_selectorILNS1_17partition_subalgoE0EiNS0_10empty_typeEbEEZZNS1_14partition_implILS5_0ELb0ES3_jN6thrust23THRUST_200600_302600_NS6detail15normal_iteratorINSA_10device_ptrIiEEEEPS6_SG_NS0_5tupleIJNSA_16discard_iteratorINSA_11use_defaultEEESF_EEENSH_IJSG_SG_EEES6_PlJ7is_evenIiEEEE10hipError_tPvRmT3_T4_T5_T6_T7_T9_mT8_P12ihipStream_tbDpT10_ENKUlT_T0_E_clISt17integral_constantIbLb1EES18_IbLb0EEEEDaS14_S15_EUlS14_E_NS1_11comp_targetILNS1_3genE10ELNS1_11target_archE1200ELNS1_3gpuE4ELNS1_3repE0EEENS1_30default_config_static_selectorELNS0_4arch9wavefront6targetE1EEEvT1_
	.p2align	8
	.type	_ZN7rocprim17ROCPRIM_400000_NS6detail17trampoline_kernelINS0_14default_configENS1_25partition_config_selectorILNS1_17partition_subalgoE0EiNS0_10empty_typeEbEEZZNS1_14partition_implILS5_0ELb0ES3_jN6thrust23THRUST_200600_302600_NS6detail15normal_iteratorINSA_10device_ptrIiEEEEPS6_SG_NS0_5tupleIJNSA_16discard_iteratorINSA_11use_defaultEEESF_EEENSH_IJSG_SG_EEES6_PlJ7is_evenIiEEEE10hipError_tPvRmT3_T4_T5_T6_T7_T9_mT8_P12ihipStream_tbDpT10_ENKUlT_T0_E_clISt17integral_constantIbLb1EES18_IbLb0EEEEDaS14_S15_EUlS14_E_NS1_11comp_targetILNS1_3genE10ELNS1_11target_archE1200ELNS1_3gpuE4ELNS1_3repE0EEENS1_30default_config_static_selectorELNS0_4arch9wavefront6targetE1EEEvT1_,@function
_ZN7rocprim17ROCPRIM_400000_NS6detail17trampoline_kernelINS0_14default_configENS1_25partition_config_selectorILNS1_17partition_subalgoE0EiNS0_10empty_typeEbEEZZNS1_14partition_implILS5_0ELb0ES3_jN6thrust23THRUST_200600_302600_NS6detail15normal_iteratorINSA_10device_ptrIiEEEEPS6_SG_NS0_5tupleIJNSA_16discard_iteratorINSA_11use_defaultEEESF_EEENSH_IJSG_SG_EEES6_PlJ7is_evenIiEEEE10hipError_tPvRmT3_T4_T5_T6_T7_T9_mT8_P12ihipStream_tbDpT10_ENKUlT_T0_E_clISt17integral_constantIbLb1EES18_IbLb0EEEEDaS14_S15_EUlS14_E_NS1_11comp_targetILNS1_3genE10ELNS1_11target_archE1200ELNS1_3gpuE4ELNS1_3repE0EEENS1_30default_config_static_selectorELNS0_4arch9wavefront6targetE1EEEvT1_: ; @_ZN7rocprim17ROCPRIM_400000_NS6detail17trampoline_kernelINS0_14default_configENS1_25partition_config_selectorILNS1_17partition_subalgoE0EiNS0_10empty_typeEbEEZZNS1_14partition_implILS5_0ELb0ES3_jN6thrust23THRUST_200600_302600_NS6detail15normal_iteratorINSA_10device_ptrIiEEEEPS6_SG_NS0_5tupleIJNSA_16discard_iteratorINSA_11use_defaultEEESF_EEENSH_IJSG_SG_EEES6_PlJ7is_evenIiEEEE10hipError_tPvRmT3_T4_T5_T6_T7_T9_mT8_P12ihipStream_tbDpT10_ENKUlT_T0_E_clISt17integral_constantIbLb1EES18_IbLb0EEEEDaS14_S15_EUlS14_E_NS1_11comp_targetILNS1_3genE10ELNS1_11target_archE1200ELNS1_3gpuE4ELNS1_3repE0EEENS1_30default_config_static_selectorELNS0_4arch9wavefront6targetE1EEEvT1_
; %bb.0:
	.section	.rodata,"a",@progbits
	.p2align	6, 0x0
	.amdhsa_kernel _ZN7rocprim17ROCPRIM_400000_NS6detail17trampoline_kernelINS0_14default_configENS1_25partition_config_selectorILNS1_17partition_subalgoE0EiNS0_10empty_typeEbEEZZNS1_14partition_implILS5_0ELb0ES3_jN6thrust23THRUST_200600_302600_NS6detail15normal_iteratorINSA_10device_ptrIiEEEEPS6_SG_NS0_5tupleIJNSA_16discard_iteratorINSA_11use_defaultEEESF_EEENSH_IJSG_SG_EEES6_PlJ7is_evenIiEEEE10hipError_tPvRmT3_T4_T5_T6_T7_T9_mT8_P12ihipStream_tbDpT10_ENKUlT_T0_E_clISt17integral_constantIbLb1EES18_IbLb0EEEEDaS14_S15_EUlS14_E_NS1_11comp_targetILNS1_3genE10ELNS1_11target_archE1200ELNS1_3gpuE4ELNS1_3repE0EEENS1_30default_config_static_selectorELNS0_4arch9wavefront6targetE1EEEvT1_
		.amdhsa_group_segment_fixed_size 0
		.amdhsa_private_segment_fixed_size 0
		.amdhsa_kernarg_size 128
		.amdhsa_user_sgpr_count 6
		.amdhsa_user_sgpr_private_segment_buffer 1
		.amdhsa_user_sgpr_dispatch_ptr 0
		.amdhsa_user_sgpr_queue_ptr 0
		.amdhsa_user_sgpr_kernarg_segment_ptr 1
		.amdhsa_user_sgpr_dispatch_id 0
		.amdhsa_user_sgpr_flat_scratch_init 0
		.amdhsa_user_sgpr_kernarg_preload_length 0
		.amdhsa_user_sgpr_kernarg_preload_offset 0
		.amdhsa_user_sgpr_private_segment_size 0
		.amdhsa_uses_dynamic_stack 0
		.amdhsa_system_sgpr_private_segment_wavefront_offset 0
		.amdhsa_system_sgpr_workgroup_id_x 1
		.amdhsa_system_sgpr_workgroup_id_y 0
		.amdhsa_system_sgpr_workgroup_id_z 0
		.amdhsa_system_sgpr_workgroup_info 0
		.amdhsa_system_vgpr_workitem_id 0
		.amdhsa_next_free_vgpr 1
		.amdhsa_next_free_sgpr 0
		.amdhsa_accum_offset 4
		.amdhsa_reserve_vcc 0
		.amdhsa_reserve_flat_scratch 0
		.amdhsa_float_round_mode_32 0
		.amdhsa_float_round_mode_16_64 0
		.amdhsa_float_denorm_mode_32 3
		.amdhsa_float_denorm_mode_16_64 3
		.amdhsa_dx10_clamp 1
		.amdhsa_ieee_mode 1
		.amdhsa_fp16_overflow 0
		.amdhsa_tg_split 0
		.amdhsa_exception_fp_ieee_invalid_op 0
		.amdhsa_exception_fp_denorm_src 0
		.amdhsa_exception_fp_ieee_div_zero 0
		.amdhsa_exception_fp_ieee_overflow 0
		.amdhsa_exception_fp_ieee_underflow 0
		.amdhsa_exception_fp_ieee_inexact 0
		.amdhsa_exception_int_div_zero 0
	.end_amdhsa_kernel
	.section	.text._ZN7rocprim17ROCPRIM_400000_NS6detail17trampoline_kernelINS0_14default_configENS1_25partition_config_selectorILNS1_17partition_subalgoE0EiNS0_10empty_typeEbEEZZNS1_14partition_implILS5_0ELb0ES3_jN6thrust23THRUST_200600_302600_NS6detail15normal_iteratorINSA_10device_ptrIiEEEEPS6_SG_NS0_5tupleIJNSA_16discard_iteratorINSA_11use_defaultEEESF_EEENSH_IJSG_SG_EEES6_PlJ7is_evenIiEEEE10hipError_tPvRmT3_T4_T5_T6_T7_T9_mT8_P12ihipStream_tbDpT10_ENKUlT_T0_E_clISt17integral_constantIbLb1EES18_IbLb0EEEEDaS14_S15_EUlS14_E_NS1_11comp_targetILNS1_3genE10ELNS1_11target_archE1200ELNS1_3gpuE4ELNS1_3repE0EEENS1_30default_config_static_selectorELNS0_4arch9wavefront6targetE1EEEvT1_,"axG",@progbits,_ZN7rocprim17ROCPRIM_400000_NS6detail17trampoline_kernelINS0_14default_configENS1_25partition_config_selectorILNS1_17partition_subalgoE0EiNS0_10empty_typeEbEEZZNS1_14partition_implILS5_0ELb0ES3_jN6thrust23THRUST_200600_302600_NS6detail15normal_iteratorINSA_10device_ptrIiEEEEPS6_SG_NS0_5tupleIJNSA_16discard_iteratorINSA_11use_defaultEEESF_EEENSH_IJSG_SG_EEES6_PlJ7is_evenIiEEEE10hipError_tPvRmT3_T4_T5_T6_T7_T9_mT8_P12ihipStream_tbDpT10_ENKUlT_T0_E_clISt17integral_constantIbLb1EES18_IbLb0EEEEDaS14_S15_EUlS14_E_NS1_11comp_targetILNS1_3genE10ELNS1_11target_archE1200ELNS1_3gpuE4ELNS1_3repE0EEENS1_30default_config_static_selectorELNS0_4arch9wavefront6targetE1EEEvT1_,comdat
.Lfunc_end2768:
	.size	_ZN7rocprim17ROCPRIM_400000_NS6detail17trampoline_kernelINS0_14default_configENS1_25partition_config_selectorILNS1_17partition_subalgoE0EiNS0_10empty_typeEbEEZZNS1_14partition_implILS5_0ELb0ES3_jN6thrust23THRUST_200600_302600_NS6detail15normal_iteratorINSA_10device_ptrIiEEEEPS6_SG_NS0_5tupleIJNSA_16discard_iteratorINSA_11use_defaultEEESF_EEENSH_IJSG_SG_EEES6_PlJ7is_evenIiEEEE10hipError_tPvRmT3_T4_T5_T6_T7_T9_mT8_P12ihipStream_tbDpT10_ENKUlT_T0_E_clISt17integral_constantIbLb1EES18_IbLb0EEEEDaS14_S15_EUlS14_E_NS1_11comp_targetILNS1_3genE10ELNS1_11target_archE1200ELNS1_3gpuE4ELNS1_3repE0EEENS1_30default_config_static_selectorELNS0_4arch9wavefront6targetE1EEEvT1_, .Lfunc_end2768-_ZN7rocprim17ROCPRIM_400000_NS6detail17trampoline_kernelINS0_14default_configENS1_25partition_config_selectorILNS1_17partition_subalgoE0EiNS0_10empty_typeEbEEZZNS1_14partition_implILS5_0ELb0ES3_jN6thrust23THRUST_200600_302600_NS6detail15normal_iteratorINSA_10device_ptrIiEEEEPS6_SG_NS0_5tupleIJNSA_16discard_iteratorINSA_11use_defaultEEESF_EEENSH_IJSG_SG_EEES6_PlJ7is_evenIiEEEE10hipError_tPvRmT3_T4_T5_T6_T7_T9_mT8_P12ihipStream_tbDpT10_ENKUlT_T0_E_clISt17integral_constantIbLb1EES18_IbLb0EEEEDaS14_S15_EUlS14_E_NS1_11comp_targetILNS1_3genE10ELNS1_11target_archE1200ELNS1_3gpuE4ELNS1_3repE0EEENS1_30default_config_static_selectorELNS0_4arch9wavefront6targetE1EEEvT1_
                                        ; -- End function
	.section	.AMDGPU.csdata,"",@progbits
; Kernel info:
; codeLenInByte = 0
; NumSgprs: 4
; NumVgprs: 0
; NumAgprs: 0
; TotalNumVgprs: 0
; ScratchSize: 0
; MemoryBound: 0
; FloatMode: 240
; IeeeMode: 1
; LDSByteSize: 0 bytes/workgroup (compile time only)
; SGPRBlocks: 0
; VGPRBlocks: 0
; NumSGPRsForWavesPerEU: 4
; NumVGPRsForWavesPerEU: 1
; AccumOffset: 4
; Occupancy: 8
; WaveLimiterHint : 0
; COMPUTE_PGM_RSRC2:SCRATCH_EN: 0
; COMPUTE_PGM_RSRC2:USER_SGPR: 6
; COMPUTE_PGM_RSRC2:TRAP_HANDLER: 0
; COMPUTE_PGM_RSRC2:TGID_X_EN: 1
; COMPUTE_PGM_RSRC2:TGID_Y_EN: 0
; COMPUTE_PGM_RSRC2:TGID_Z_EN: 0
; COMPUTE_PGM_RSRC2:TIDIG_COMP_CNT: 0
; COMPUTE_PGM_RSRC3_GFX90A:ACCUM_OFFSET: 0
; COMPUTE_PGM_RSRC3_GFX90A:TG_SPLIT: 0
	.section	.text._ZN7rocprim17ROCPRIM_400000_NS6detail17trampoline_kernelINS0_14default_configENS1_25partition_config_selectorILNS1_17partition_subalgoE0EiNS0_10empty_typeEbEEZZNS1_14partition_implILS5_0ELb0ES3_jN6thrust23THRUST_200600_302600_NS6detail15normal_iteratorINSA_10device_ptrIiEEEEPS6_SG_NS0_5tupleIJNSA_16discard_iteratorINSA_11use_defaultEEESF_EEENSH_IJSG_SG_EEES6_PlJ7is_evenIiEEEE10hipError_tPvRmT3_T4_T5_T6_T7_T9_mT8_P12ihipStream_tbDpT10_ENKUlT_T0_E_clISt17integral_constantIbLb1EES18_IbLb0EEEEDaS14_S15_EUlS14_E_NS1_11comp_targetILNS1_3genE9ELNS1_11target_archE1100ELNS1_3gpuE3ELNS1_3repE0EEENS1_30default_config_static_selectorELNS0_4arch9wavefront6targetE1EEEvT1_,"axG",@progbits,_ZN7rocprim17ROCPRIM_400000_NS6detail17trampoline_kernelINS0_14default_configENS1_25partition_config_selectorILNS1_17partition_subalgoE0EiNS0_10empty_typeEbEEZZNS1_14partition_implILS5_0ELb0ES3_jN6thrust23THRUST_200600_302600_NS6detail15normal_iteratorINSA_10device_ptrIiEEEEPS6_SG_NS0_5tupleIJNSA_16discard_iteratorINSA_11use_defaultEEESF_EEENSH_IJSG_SG_EEES6_PlJ7is_evenIiEEEE10hipError_tPvRmT3_T4_T5_T6_T7_T9_mT8_P12ihipStream_tbDpT10_ENKUlT_T0_E_clISt17integral_constantIbLb1EES18_IbLb0EEEEDaS14_S15_EUlS14_E_NS1_11comp_targetILNS1_3genE9ELNS1_11target_archE1100ELNS1_3gpuE3ELNS1_3repE0EEENS1_30default_config_static_selectorELNS0_4arch9wavefront6targetE1EEEvT1_,comdat
	.protected	_ZN7rocprim17ROCPRIM_400000_NS6detail17trampoline_kernelINS0_14default_configENS1_25partition_config_selectorILNS1_17partition_subalgoE0EiNS0_10empty_typeEbEEZZNS1_14partition_implILS5_0ELb0ES3_jN6thrust23THRUST_200600_302600_NS6detail15normal_iteratorINSA_10device_ptrIiEEEEPS6_SG_NS0_5tupleIJNSA_16discard_iteratorINSA_11use_defaultEEESF_EEENSH_IJSG_SG_EEES6_PlJ7is_evenIiEEEE10hipError_tPvRmT3_T4_T5_T6_T7_T9_mT8_P12ihipStream_tbDpT10_ENKUlT_T0_E_clISt17integral_constantIbLb1EES18_IbLb0EEEEDaS14_S15_EUlS14_E_NS1_11comp_targetILNS1_3genE9ELNS1_11target_archE1100ELNS1_3gpuE3ELNS1_3repE0EEENS1_30default_config_static_selectorELNS0_4arch9wavefront6targetE1EEEvT1_ ; -- Begin function _ZN7rocprim17ROCPRIM_400000_NS6detail17trampoline_kernelINS0_14default_configENS1_25partition_config_selectorILNS1_17partition_subalgoE0EiNS0_10empty_typeEbEEZZNS1_14partition_implILS5_0ELb0ES3_jN6thrust23THRUST_200600_302600_NS6detail15normal_iteratorINSA_10device_ptrIiEEEEPS6_SG_NS0_5tupleIJNSA_16discard_iteratorINSA_11use_defaultEEESF_EEENSH_IJSG_SG_EEES6_PlJ7is_evenIiEEEE10hipError_tPvRmT3_T4_T5_T6_T7_T9_mT8_P12ihipStream_tbDpT10_ENKUlT_T0_E_clISt17integral_constantIbLb1EES18_IbLb0EEEEDaS14_S15_EUlS14_E_NS1_11comp_targetILNS1_3genE9ELNS1_11target_archE1100ELNS1_3gpuE3ELNS1_3repE0EEENS1_30default_config_static_selectorELNS0_4arch9wavefront6targetE1EEEvT1_
	.globl	_ZN7rocprim17ROCPRIM_400000_NS6detail17trampoline_kernelINS0_14default_configENS1_25partition_config_selectorILNS1_17partition_subalgoE0EiNS0_10empty_typeEbEEZZNS1_14partition_implILS5_0ELb0ES3_jN6thrust23THRUST_200600_302600_NS6detail15normal_iteratorINSA_10device_ptrIiEEEEPS6_SG_NS0_5tupleIJNSA_16discard_iteratorINSA_11use_defaultEEESF_EEENSH_IJSG_SG_EEES6_PlJ7is_evenIiEEEE10hipError_tPvRmT3_T4_T5_T6_T7_T9_mT8_P12ihipStream_tbDpT10_ENKUlT_T0_E_clISt17integral_constantIbLb1EES18_IbLb0EEEEDaS14_S15_EUlS14_E_NS1_11comp_targetILNS1_3genE9ELNS1_11target_archE1100ELNS1_3gpuE3ELNS1_3repE0EEENS1_30default_config_static_selectorELNS0_4arch9wavefront6targetE1EEEvT1_
	.p2align	8
	.type	_ZN7rocprim17ROCPRIM_400000_NS6detail17trampoline_kernelINS0_14default_configENS1_25partition_config_selectorILNS1_17partition_subalgoE0EiNS0_10empty_typeEbEEZZNS1_14partition_implILS5_0ELb0ES3_jN6thrust23THRUST_200600_302600_NS6detail15normal_iteratorINSA_10device_ptrIiEEEEPS6_SG_NS0_5tupleIJNSA_16discard_iteratorINSA_11use_defaultEEESF_EEENSH_IJSG_SG_EEES6_PlJ7is_evenIiEEEE10hipError_tPvRmT3_T4_T5_T6_T7_T9_mT8_P12ihipStream_tbDpT10_ENKUlT_T0_E_clISt17integral_constantIbLb1EES18_IbLb0EEEEDaS14_S15_EUlS14_E_NS1_11comp_targetILNS1_3genE9ELNS1_11target_archE1100ELNS1_3gpuE3ELNS1_3repE0EEENS1_30default_config_static_selectorELNS0_4arch9wavefront6targetE1EEEvT1_,@function
_ZN7rocprim17ROCPRIM_400000_NS6detail17trampoline_kernelINS0_14default_configENS1_25partition_config_selectorILNS1_17partition_subalgoE0EiNS0_10empty_typeEbEEZZNS1_14partition_implILS5_0ELb0ES3_jN6thrust23THRUST_200600_302600_NS6detail15normal_iteratorINSA_10device_ptrIiEEEEPS6_SG_NS0_5tupleIJNSA_16discard_iteratorINSA_11use_defaultEEESF_EEENSH_IJSG_SG_EEES6_PlJ7is_evenIiEEEE10hipError_tPvRmT3_T4_T5_T6_T7_T9_mT8_P12ihipStream_tbDpT10_ENKUlT_T0_E_clISt17integral_constantIbLb1EES18_IbLb0EEEEDaS14_S15_EUlS14_E_NS1_11comp_targetILNS1_3genE9ELNS1_11target_archE1100ELNS1_3gpuE3ELNS1_3repE0EEENS1_30default_config_static_selectorELNS0_4arch9wavefront6targetE1EEEvT1_: ; @_ZN7rocprim17ROCPRIM_400000_NS6detail17trampoline_kernelINS0_14default_configENS1_25partition_config_selectorILNS1_17partition_subalgoE0EiNS0_10empty_typeEbEEZZNS1_14partition_implILS5_0ELb0ES3_jN6thrust23THRUST_200600_302600_NS6detail15normal_iteratorINSA_10device_ptrIiEEEEPS6_SG_NS0_5tupleIJNSA_16discard_iteratorINSA_11use_defaultEEESF_EEENSH_IJSG_SG_EEES6_PlJ7is_evenIiEEEE10hipError_tPvRmT3_T4_T5_T6_T7_T9_mT8_P12ihipStream_tbDpT10_ENKUlT_T0_E_clISt17integral_constantIbLb1EES18_IbLb0EEEEDaS14_S15_EUlS14_E_NS1_11comp_targetILNS1_3genE9ELNS1_11target_archE1100ELNS1_3gpuE3ELNS1_3repE0EEENS1_30default_config_static_selectorELNS0_4arch9wavefront6targetE1EEEvT1_
; %bb.0:
	.section	.rodata,"a",@progbits
	.p2align	6, 0x0
	.amdhsa_kernel _ZN7rocprim17ROCPRIM_400000_NS6detail17trampoline_kernelINS0_14default_configENS1_25partition_config_selectorILNS1_17partition_subalgoE0EiNS0_10empty_typeEbEEZZNS1_14partition_implILS5_0ELb0ES3_jN6thrust23THRUST_200600_302600_NS6detail15normal_iteratorINSA_10device_ptrIiEEEEPS6_SG_NS0_5tupleIJNSA_16discard_iteratorINSA_11use_defaultEEESF_EEENSH_IJSG_SG_EEES6_PlJ7is_evenIiEEEE10hipError_tPvRmT3_T4_T5_T6_T7_T9_mT8_P12ihipStream_tbDpT10_ENKUlT_T0_E_clISt17integral_constantIbLb1EES18_IbLb0EEEEDaS14_S15_EUlS14_E_NS1_11comp_targetILNS1_3genE9ELNS1_11target_archE1100ELNS1_3gpuE3ELNS1_3repE0EEENS1_30default_config_static_selectorELNS0_4arch9wavefront6targetE1EEEvT1_
		.amdhsa_group_segment_fixed_size 0
		.amdhsa_private_segment_fixed_size 0
		.amdhsa_kernarg_size 128
		.amdhsa_user_sgpr_count 6
		.amdhsa_user_sgpr_private_segment_buffer 1
		.amdhsa_user_sgpr_dispatch_ptr 0
		.amdhsa_user_sgpr_queue_ptr 0
		.amdhsa_user_sgpr_kernarg_segment_ptr 1
		.amdhsa_user_sgpr_dispatch_id 0
		.amdhsa_user_sgpr_flat_scratch_init 0
		.amdhsa_user_sgpr_kernarg_preload_length 0
		.amdhsa_user_sgpr_kernarg_preload_offset 0
		.amdhsa_user_sgpr_private_segment_size 0
		.amdhsa_uses_dynamic_stack 0
		.amdhsa_system_sgpr_private_segment_wavefront_offset 0
		.amdhsa_system_sgpr_workgroup_id_x 1
		.amdhsa_system_sgpr_workgroup_id_y 0
		.amdhsa_system_sgpr_workgroup_id_z 0
		.amdhsa_system_sgpr_workgroup_info 0
		.amdhsa_system_vgpr_workitem_id 0
		.amdhsa_next_free_vgpr 1
		.amdhsa_next_free_sgpr 0
		.amdhsa_accum_offset 4
		.amdhsa_reserve_vcc 0
		.amdhsa_reserve_flat_scratch 0
		.amdhsa_float_round_mode_32 0
		.amdhsa_float_round_mode_16_64 0
		.amdhsa_float_denorm_mode_32 3
		.amdhsa_float_denorm_mode_16_64 3
		.amdhsa_dx10_clamp 1
		.amdhsa_ieee_mode 1
		.amdhsa_fp16_overflow 0
		.amdhsa_tg_split 0
		.amdhsa_exception_fp_ieee_invalid_op 0
		.amdhsa_exception_fp_denorm_src 0
		.amdhsa_exception_fp_ieee_div_zero 0
		.amdhsa_exception_fp_ieee_overflow 0
		.amdhsa_exception_fp_ieee_underflow 0
		.amdhsa_exception_fp_ieee_inexact 0
		.amdhsa_exception_int_div_zero 0
	.end_amdhsa_kernel
	.section	.text._ZN7rocprim17ROCPRIM_400000_NS6detail17trampoline_kernelINS0_14default_configENS1_25partition_config_selectorILNS1_17partition_subalgoE0EiNS0_10empty_typeEbEEZZNS1_14partition_implILS5_0ELb0ES3_jN6thrust23THRUST_200600_302600_NS6detail15normal_iteratorINSA_10device_ptrIiEEEEPS6_SG_NS0_5tupleIJNSA_16discard_iteratorINSA_11use_defaultEEESF_EEENSH_IJSG_SG_EEES6_PlJ7is_evenIiEEEE10hipError_tPvRmT3_T4_T5_T6_T7_T9_mT8_P12ihipStream_tbDpT10_ENKUlT_T0_E_clISt17integral_constantIbLb1EES18_IbLb0EEEEDaS14_S15_EUlS14_E_NS1_11comp_targetILNS1_3genE9ELNS1_11target_archE1100ELNS1_3gpuE3ELNS1_3repE0EEENS1_30default_config_static_selectorELNS0_4arch9wavefront6targetE1EEEvT1_,"axG",@progbits,_ZN7rocprim17ROCPRIM_400000_NS6detail17trampoline_kernelINS0_14default_configENS1_25partition_config_selectorILNS1_17partition_subalgoE0EiNS0_10empty_typeEbEEZZNS1_14partition_implILS5_0ELb0ES3_jN6thrust23THRUST_200600_302600_NS6detail15normal_iteratorINSA_10device_ptrIiEEEEPS6_SG_NS0_5tupleIJNSA_16discard_iteratorINSA_11use_defaultEEESF_EEENSH_IJSG_SG_EEES6_PlJ7is_evenIiEEEE10hipError_tPvRmT3_T4_T5_T6_T7_T9_mT8_P12ihipStream_tbDpT10_ENKUlT_T0_E_clISt17integral_constantIbLb1EES18_IbLb0EEEEDaS14_S15_EUlS14_E_NS1_11comp_targetILNS1_3genE9ELNS1_11target_archE1100ELNS1_3gpuE3ELNS1_3repE0EEENS1_30default_config_static_selectorELNS0_4arch9wavefront6targetE1EEEvT1_,comdat
.Lfunc_end2769:
	.size	_ZN7rocprim17ROCPRIM_400000_NS6detail17trampoline_kernelINS0_14default_configENS1_25partition_config_selectorILNS1_17partition_subalgoE0EiNS0_10empty_typeEbEEZZNS1_14partition_implILS5_0ELb0ES3_jN6thrust23THRUST_200600_302600_NS6detail15normal_iteratorINSA_10device_ptrIiEEEEPS6_SG_NS0_5tupleIJNSA_16discard_iteratorINSA_11use_defaultEEESF_EEENSH_IJSG_SG_EEES6_PlJ7is_evenIiEEEE10hipError_tPvRmT3_T4_T5_T6_T7_T9_mT8_P12ihipStream_tbDpT10_ENKUlT_T0_E_clISt17integral_constantIbLb1EES18_IbLb0EEEEDaS14_S15_EUlS14_E_NS1_11comp_targetILNS1_3genE9ELNS1_11target_archE1100ELNS1_3gpuE3ELNS1_3repE0EEENS1_30default_config_static_selectorELNS0_4arch9wavefront6targetE1EEEvT1_, .Lfunc_end2769-_ZN7rocprim17ROCPRIM_400000_NS6detail17trampoline_kernelINS0_14default_configENS1_25partition_config_selectorILNS1_17partition_subalgoE0EiNS0_10empty_typeEbEEZZNS1_14partition_implILS5_0ELb0ES3_jN6thrust23THRUST_200600_302600_NS6detail15normal_iteratorINSA_10device_ptrIiEEEEPS6_SG_NS0_5tupleIJNSA_16discard_iteratorINSA_11use_defaultEEESF_EEENSH_IJSG_SG_EEES6_PlJ7is_evenIiEEEE10hipError_tPvRmT3_T4_T5_T6_T7_T9_mT8_P12ihipStream_tbDpT10_ENKUlT_T0_E_clISt17integral_constantIbLb1EES18_IbLb0EEEEDaS14_S15_EUlS14_E_NS1_11comp_targetILNS1_3genE9ELNS1_11target_archE1100ELNS1_3gpuE3ELNS1_3repE0EEENS1_30default_config_static_selectorELNS0_4arch9wavefront6targetE1EEEvT1_
                                        ; -- End function
	.section	.AMDGPU.csdata,"",@progbits
; Kernel info:
; codeLenInByte = 0
; NumSgprs: 4
; NumVgprs: 0
; NumAgprs: 0
; TotalNumVgprs: 0
; ScratchSize: 0
; MemoryBound: 0
; FloatMode: 240
; IeeeMode: 1
; LDSByteSize: 0 bytes/workgroup (compile time only)
; SGPRBlocks: 0
; VGPRBlocks: 0
; NumSGPRsForWavesPerEU: 4
; NumVGPRsForWavesPerEU: 1
; AccumOffset: 4
; Occupancy: 8
; WaveLimiterHint : 0
; COMPUTE_PGM_RSRC2:SCRATCH_EN: 0
; COMPUTE_PGM_RSRC2:USER_SGPR: 6
; COMPUTE_PGM_RSRC2:TRAP_HANDLER: 0
; COMPUTE_PGM_RSRC2:TGID_X_EN: 1
; COMPUTE_PGM_RSRC2:TGID_Y_EN: 0
; COMPUTE_PGM_RSRC2:TGID_Z_EN: 0
; COMPUTE_PGM_RSRC2:TIDIG_COMP_CNT: 0
; COMPUTE_PGM_RSRC3_GFX90A:ACCUM_OFFSET: 0
; COMPUTE_PGM_RSRC3_GFX90A:TG_SPLIT: 0
	.section	.text._ZN7rocprim17ROCPRIM_400000_NS6detail17trampoline_kernelINS0_14default_configENS1_25partition_config_selectorILNS1_17partition_subalgoE0EiNS0_10empty_typeEbEEZZNS1_14partition_implILS5_0ELb0ES3_jN6thrust23THRUST_200600_302600_NS6detail15normal_iteratorINSA_10device_ptrIiEEEEPS6_SG_NS0_5tupleIJNSA_16discard_iteratorINSA_11use_defaultEEESF_EEENSH_IJSG_SG_EEES6_PlJ7is_evenIiEEEE10hipError_tPvRmT3_T4_T5_T6_T7_T9_mT8_P12ihipStream_tbDpT10_ENKUlT_T0_E_clISt17integral_constantIbLb1EES18_IbLb0EEEEDaS14_S15_EUlS14_E_NS1_11comp_targetILNS1_3genE8ELNS1_11target_archE1030ELNS1_3gpuE2ELNS1_3repE0EEENS1_30default_config_static_selectorELNS0_4arch9wavefront6targetE1EEEvT1_,"axG",@progbits,_ZN7rocprim17ROCPRIM_400000_NS6detail17trampoline_kernelINS0_14default_configENS1_25partition_config_selectorILNS1_17partition_subalgoE0EiNS0_10empty_typeEbEEZZNS1_14partition_implILS5_0ELb0ES3_jN6thrust23THRUST_200600_302600_NS6detail15normal_iteratorINSA_10device_ptrIiEEEEPS6_SG_NS0_5tupleIJNSA_16discard_iteratorINSA_11use_defaultEEESF_EEENSH_IJSG_SG_EEES6_PlJ7is_evenIiEEEE10hipError_tPvRmT3_T4_T5_T6_T7_T9_mT8_P12ihipStream_tbDpT10_ENKUlT_T0_E_clISt17integral_constantIbLb1EES18_IbLb0EEEEDaS14_S15_EUlS14_E_NS1_11comp_targetILNS1_3genE8ELNS1_11target_archE1030ELNS1_3gpuE2ELNS1_3repE0EEENS1_30default_config_static_selectorELNS0_4arch9wavefront6targetE1EEEvT1_,comdat
	.protected	_ZN7rocprim17ROCPRIM_400000_NS6detail17trampoline_kernelINS0_14default_configENS1_25partition_config_selectorILNS1_17partition_subalgoE0EiNS0_10empty_typeEbEEZZNS1_14partition_implILS5_0ELb0ES3_jN6thrust23THRUST_200600_302600_NS6detail15normal_iteratorINSA_10device_ptrIiEEEEPS6_SG_NS0_5tupleIJNSA_16discard_iteratorINSA_11use_defaultEEESF_EEENSH_IJSG_SG_EEES6_PlJ7is_evenIiEEEE10hipError_tPvRmT3_T4_T5_T6_T7_T9_mT8_P12ihipStream_tbDpT10_ENKUlT_T0_E_clISt17integral_constantIbLb1EES18_IbLb0EEEEDaS14_S15_EUlS14_E_NS1_11comp_targetILNS1_3genE8ELNS1_11target_archE1030ELNS1_3gpuE2ELNS1_3repE0EEENS1_30default_config_static_selectorELNS0_4arch9wavefront6targetE1EEEvT1_ ; -- Begin function _ZN7rocprim17ROCPRIM_400000_NS6detail17trampoline_kernelINS0_14default_configENS1_25partition_config_selectorILNS1_17partition_subalgoE0EiNS0_10empty_typeEbEEZZNS1_14partition_implILS5_0ELb0ES3_jN6thrust23THRUST_200600_302600_NS6detail15normal_iteratorINSA_10device_ptrIiEEEEPS6_SG_NS0_5tupleIJNSA_16discard_iteratorINSA_11use_defaultEEESF_EEENSH_IJSG_SG_EEES6_PlJ7is_evenIiEEEE10hipError_tPvRmT3_T4_T5_T6_T7_T9_mT8_P12ihipStream_tbDpT10_ENKUlT_T0_E_clISt17integral_constantIbLb1EES18_IbLb0EEEEDaS14_S15_EUlS14_E_NS1_11comp_targetILNS1_3genE8ELNS1_11target_archE1030ELNS1_3gpuE2ELNS1_3repE0EEENS1_30default_config_static_selectorELNS0_4arch9wavefront6targetE1EEEvT1_
	.globl	_ZN7rocprim17ROCPRIM_400000_NS6detail17trampoline_kernelINS0_14default_configENS1_25partition_config_selectorILNS1_17partition_subalgoE0EiNS0_10empty_typeEbEEZZNS1_14partition_implILS5_0ELb0ES3_jN6thrust23THRUST_200600_302600_NS6detail15normal_iteratorINSA_10device_ptrIiEEEEPS6_SG_NS0_5tupleIJNSA_16discard_iteratorINSA_11use_defaultEEESF_EEENSH_IJSG_SG_EEES6_PlJ7is_evenIiEEEE10hipError_tPvRmT3_T4_T5_T6_T7_T9_mT8_P12ihipStream_tbDpT10_ENKUlT_T0_E_clISt17integral_constantIbLb1EES18_IbLb0EEEEDaS14_S15_EUlS14_E_NS1_11comp_targetILNS1_3genE8ELNS1_11target_archE1030ELNS1_3gpuE2ELNS1_3repE0EEENS1_30default_config_static_selectorELNS0_4arch9wavefront6targetE1EEEvT1_
	.p2align	8
	.type	_ZN7rocprim17ROCPRIM_400000_NS6detail17trampoline_kernelINS0_14default_configENS1_25partition_config_selectorILNS1_17partition_subalgoE0EiNS0_10empty_typeEbEEZZNS1_14partition_implILS5_0ELb0ES3_jN6thrust23THRUST_200600_302600_NS6detail15normal_iteratorINSA_10device_ptrIiEEEEPS6_SG_NS0_5tupleIJNSA_16discard_iteratorINSA_11use_defaultEEESF_EEENSH_IJSG_SG_EEES6_PlJ7is_evenIiEEEE10hipError_tPvRmT3_T4_T5_T6_T7_T9_mT8_P12ihipStream_tbDpT10_ENKUlT_T0_E_clISt17integral_constantIbLb1EES18_IbLb0EEEEDaS14_S15_EUlS14_E_NS1_11comp_targetILNS1_3genE8ELNS1_11target_archE1030ELNS1_3gpuE2ELNS1_3repE0EEENS1_30default_config_static_selectorELNS0_4arch9wavefront6targetE1EEEvT1_,@function
_ZN7rocprim17ROCPRIM_400000_NS6detail17trampoline_kernelINS0_14default_configENS1_25partition_config_selectorILNS1_17partition_subalgoE0EiNS0_10empty_typeEbEEZZNS1_14partition_implILS5_0ELb0ES3_jN6thrust23THRUST_200600_302600_NS6detail15normal_iteratorINSA_10device_ptrIiEEEEPS6_SG_NS0_5tupleIJNSA_16discard_iteratorINSA_11use_defaultEEESF_EEENSH_IJSG_SG_EEES6_PlJ7is_evenIiEEEE10hipError_tPvRmT3_T4_T5_T6_T7_T9_mT8_P12ihipStream_tbDpT10_ENKUlT_T0_E_clISt17integral_constantIbLb1EES18_IbLb0EEEEDaS14_S15_EUlS14_E_NS1_11comp_targetILNS1_3genE8ELNS1_11target_archE1030ELNS1_3gpuE2ELNS1_3repE0EEENS1_30default_config_static_selectorELNS0_4arch9wavefront6targetE1EEEvT1_: ; @_ZN7rocprim17ROCPRIM_400000_NS6detail17trampoline_kernelINS0_14default_configENS1_25partition_config_selectorILNS1_17partition_subalgoE0EiNS0_10empty_typeEbEEZZNS1_14partition_implILS5_0ELb0ES3_jN6thrust23THRUST_200600_302600_NS6detail15normal_iteratorINSA_10device_ptrIiEEEEPS6_SG_NS0_5tupleIJNSA_16discard_iteratorINSA_11use_defaultEEESF_EEENSH_IJSG_SG_EEES6_PlJ7is_evenIiEEEE10hipError_tPvRmT3_T4_T5_T6_T7_T9_mT8_P12ihipStream_tbDpT10_ENKUlT_T0_E_clISt17integral_constantIbLb1EES18_IbLb0EEEEDaS14_S15_EUlS14_E_NS1_11comp_targetILNS1_3genE8ELNS1_11target_archE1030ELNS1_3gpuE2ELNS1_3repE0EEENS1_30default_config_static_selectorELNS0_4arch9wavefront6targetE1EEEvT1_
; %bb.0:
	.section	.rodata,"a",@progbits
	.p2align	6, 0x0
	.amdhsa_kernel _ZN7rocprim17ROCPRIM_400000_NS6detail17trampoline_kernelINS0_14default_configENS1_25partition_config_selectorILNS1_17partition_subalgoE0EiNS0_10empty_typeEbEEZZNS1_14partition_implILS5_0ELb0ES3_jN6thrust23THRUST_200600_302600_NS6detail15normal_iteratorINSA_10device_ptrIiEEEEPS6_SG_NS0_5tupleIJNSA_16discard_iteratorINSA_11use_defaultEEESF_EEENSH_IJSG_SG_EEES6_PlJ7is_evenIiEEEE10hipError_tPvRmT3_T4_T5_T6_T7_T9_mT8_P12ihipStream_tbDpT10_ENKUlT_T0_E_clISt17integral_constantIbLb1EES18_IbLb0EEEEDaS14_S15_EUlS14_E_NS1_11comp_targetILNS1_3genE8ELNS1_11target_archE1030ELNS1_3gpuE2ELNS1_3repE0EEENS1_30default_config_static_selectorELNS0_4arch9wavefront6targetE1EEEvT1_
		.amdhsa_group_segment_fixed_size 0
		.amdhsa_private_segment_fixed_size 0
		.amdhsa_kernarg_size 128
		.amdhsa_user_sgpr_count 6
		.amdhsa_user_sgpr_private_segment_buffer 1
		.amdhsa_user_sgpr_dispatch_ptr 0
		.amdhsa_user_sgpr_queue_ptr 0
		.amdhsa_user_sgpr_kernarg_segment_ptr 1
		.amdhsa_user_sgpr_dispatch_id 0
		.amdhsa_user_sgpr_flat_scratch_init 0
		.amdhsa_user_sgpr_kernarg_preload_length 0
		.amdhsa_user_sgpr_kernarg_preload_offset 0
		.amdhsa_user_sgpr_private_segment_size 0
		.amdhsa_uses_dynamic_stack 0
		.amdhsa_system_sgpr_private_segment_wavefront_offset 0
		.amdhsa_system_sgpr_workgroup_id_x 1
		.amdhsa_system_sgpr_workgroup_id_y 0
		.amdhsa_system_sgpr_workgroup_id_z 0
		.amdhsa_system_sgpr_workgroup_info 0
		.amdhsa_system_vgpr_workitem_id 0
		.amdhsa_next_free_vgpr 1
		.amdhsa_next_free_sgpr 0
		.amdhsa_accum_offset 4
		.amdhsa_reserve_vcc 0
		.amdhsa_reserve_flat_scratch 0
		.amdhsa_float_round_mode_32 0
		.amdhsa_float_round_mode_16_64 0
		.amdhsa_float_denorm_mode_32 3
		.amdhsa_float_denorm_mode_16_64 3
		.amdhsa_dx10_clamp 1
		.amdhsa_ieee_mode 1
		.amdhsa_fp16_overflow 0
		.amdhsa_tg_split 0
		.amdhsa_exception_fp_ieee_invalid_op 0
		.amdhsa_exception_fp_denorm_src 0
		.amdhsa_exception_fp_ieee_div_zero 0
		.amdhsa_exception_fp_ieee_overflow 0
		.amdhsa_exception_fp_ieee_underflow 0
		.amdhsa_exception_fp_ieee_inexact 0
		.amdhsa_exception_int_div_zero 0
	.end_amdhsa_kernel
	.section	.text._ZN7rocprim17ROCPRIM_400000_NS6detail17trampoline_kernelINS0_14default_configENS1_25partition_config_selectorILNS1_17partition_subalgoE0EiNS0_10empty_typeEbEEZZNS1_14partition_implILS5_0ELb0ES3_jN6thrust23THRUST_200600_302600_NS6detail15normal_iteratorINSA_10device_ptrIiEEEEPS6_SG_NS0_5tupleIJNSA_16discard_iteratorINSA_11use_defaultEEESF_EEENSH_IJSG_SG_EEES6_PlJ7is_evenIiEEEE10hipError_tPvRmT3_T4_T5_T6_T7_T9_mT8_P12ihipStream_tbDpT10_ENKUlT_T0_E_clISt17integral_constantIbLb1EES18_IbLb0EEEEDaS14_S15_EUlS14_E_NS1_11comp_targetILNS1_3genE8ELNS1_11target_archE1030ELNS1_3gpuE2ELNS1_3repE0EEENS1_30default_config_static_selectorELNS0_4arch9wavefront6targetE1EEEvT1_,"axG",@progbits,_ZN7rocprim17ROCPRIM_400000_NS6detail17trampoline_kernelINS0_14default_configENS1_25partition_config_selectorILNS1_17partition_subalgoE0EiNS0_10empty_typeEbEEZZNS1_14partition_implILS5_0ELb0ES3_jN6thrust23THRUST_200600_302600_NS6detail15normal_iteratorINSA_10device_ptrIiEEEEPS6_SG_NS0_5tupleIJNSA_16discard_iteratorINSA_11use_defaultEEESF_EEENSH_IJSG_SG_EEES6_PlJ7is_evenIiEEEE10hipError_tPvRmT3_T4_T5_T6_T7_T9_mT8_P12ihipStream_tbDpT10_ENKUlT_T0_E_clISt17integral_constantIbLb1EES18_IbLb0EEEEDaS14_S15_EUlS14_E_NS1_11comp_targetILNS1_3genE8ELNS1_11target_archE1030ELNS1_3gpuE2ELNS1_3repE0EEENS1_30default_config_static_selectorELNS0_4arch9wavefront6targetE1EEEvT1_,comdat
.Lfunc_end2770:
	.size	_ZN7rocprim17ROCPRIM_400000_NS6detail17trampoline_kernelINS0_14default_configENS1_25partition_config_selectorILNS1_17partition_subalgoE0EiNS0_10empty_typeEbEEZZNS1_14partition_implILS5_0ELb0ES3_jN6thrust23THRUST_200600_302600_NS6detail15normal_iteratorINSA_10device_ptrIiEEEEPS6_SG_NS0_5tupleIJNSA_16discard_iteratorINSA_11use_defaultEEESF_EEENSH_IJSG_SG_EEES6_PlJ7is_evenIiEEEE10hipError_tPvRmT3_T4_T5_T6_T7_T9_mT8_P12ihipStream_tbDpT10_ENKUlT_T0_E_clISt17integral_constantIbLb1EES18_IbLb0EEEEDaS14_S15_EUlS14_E_NS1_11comp_targetILNS1_3genE8ELNS1_11target_archE1030ELNS1_3gpuE2ELNS1_3repE0EEENS1_30default_config_static_selectorELNS0_4arch9wavefront6targetE1EEEvT1_, .Lfunc_end2770-_ZN7rocprim17ROCPRIM_400000_NS6detail17trampoline_kernelINS0_14default_configENS1_25partition_config_selectorILNS1_17partition_subalgoE0EiNS0_10empty_typeEbEEZZNS1_14partition_implILS5_0ELb0ES3_jN6thrust23THRUST_200600_302600_NS6detail15normal_iteratorINSA_10device_ptrIiEEEEPS6_SG_NS0_5tupleIJNSA_16discard_iteratorINSA_11use_defaultEEESF_EEENSH_IJSG_SG_EEES6_PlJ7is_evenIiEEEE10hipError_tPvRmT3_T4_T5_T6_T7_T9_mT8_P12ihipStream_tbDpT10_ENKUlT_T0_E_clISt17integral_constantIbLb1EES18_IbLb0EEEEDaS14_S15_EUlS14_E_NS1_11comp_targetILNS1_3genE8ELNS1_11target_archE1030ELNS1_3gpuE2ELNS1_3repE0EEENS1_30default_config_static_selectorELNS0_4arch9wavefront6targetE1EEEvT1_
                                        ; -- End function
	.section	.AMDGPU.csdata,"",@progbits
; Kernel info:
; codeLenInByte = 0
; NumSgprs: 4
; NumVgprs: 0
; NumAgprs: 0
; TotalNumVgprs: 0
; ScratchSize: 0
; MemoryBound: 0
; FloatMode: 240
; IeeeMode: 1
; LDSByteSize: 0 bytes/workgroup (compile time only)
; SGPRBlocks: 0
; VGPRBlocks: 0
; NumSGPRsForWavesPerEU: 4
; NumVGPRsForWavesPerEU: 1
; AccumOffset: 4
; Occupancy: 8
; WaveLimiterHint : 0
; COMPUTE_PGM_RSRC2:SCRATCH_EN: 0
; COMPUTE_PGM_RSRC2:USER_SGPR: 6
; COMPUTE_PGM_RSRC2:TRAP_HANDLER: 0
; COMPUTE_PGM_RSRC2:TGID_X_EN: 1
; COMPUTE_PGM_RSRC2:TGID_Y_EN: 0
; COMPUTE_PGM_RSRC2:TGID_Z_EN: 0
; COMPUTE_PGM_RSRC2:TIDIG_COMP_CNT: 0
; COMPUTE_PGM_RSRC3_GFX90A:ACCUM_OFFSET: 0
; COMPUTE_PGM_RSRC3_GFX90A:TG_SPLIT: 0
	.section	.text._ZN7rocprim17ROCPRIM_400000_NS6detail17trampoline_kernelINS0_14default_configENS1_25partition_config_selectorILNS1_17partition_subalgoE0EiNS0_10empty_typeEbEEZZNS1_14partition_implILS5_0ELb0ES3_jN6thrust23THRUST_200600_302600_NS6detail15normal_iteratorINSA_10device_ptrIiEEEEPS6_SG_NS0_5tupleIJNSA_16discard_iteratorINSA_11use_defaultEEESF_EEENSH_IJSG_SG_EEES6_PlJ7is_evenIiEEEE10hipError_tPvRmT3_T4_T5_T6_T7_T9_mT8_P12ihipStream_tbDpT10_ENKUlT_T0_E_clISt17integral_constantIbLb0EES18_IbLb1EEEEDaS14_S15_EUlS14_E_NS1_11comp_targetILNS1_3genE0ELNS1_11target_archE4294967295ELNS1_3gpuE0ELNS1_3repE0EEENS1_30default_config_static_selectorELNS0_4arch9wavefront6targetE1EEEvT1_,"axG",@progbits,_ZN7rocprim17ROCPRIM_400000_NS6detail17trampoline_kernelINS0_14default_configENS1_25partition_config_selectorILNS1_17partition_subalgoE0EiNS0_10empty_typeEbEEZZNS1_14partition_implILS5_0ELb0ES3_jN6thrust23THRUST_200600_302600_NS6detail15normal_iteratorINSA_10device_ptrIiEEEEPS6_SG_NS0_5tupleIJNSA_16discard_iteratorINSA_11use_defaultEEESF_EEENSH_IJSG_SG_EEES6_PlJ7is_evenIiEEEE10hipError_tPvRmT3_T4_T5_T6_T7_T9_mT8_P12ihipStream_tbDpT10_ENKUlT_T0_E_clISt17integral_constantIbLb0EES18_IbLb1EEEEDaS14_S15_EUlS14_E_NS1_11comp_targetILNS1_3genE0ELNS1_11target_archE4294967295ELNS1_3gpuE0ELNS1_3repE0EEENS1_30default_config_static_selectorELNS0_4arch9wavefront6targetE1EEEvT1_,comdat
	.protected	_ZN7rocprim17ROCPRIM_400000_NS6detail17trampoline_kernelINS0_14default_configENS1_25partition_config_selectorILNS1_17partition_subalgoE0EiNS0_10empty_typeEbEEZZNS1_14partition_implILS5_0ELb0ES3_jN6thrust23THRUST_200600_302600_NS6detail15normal_iteratorINSA_10device_ptrIiEEEEPS6_SG_NS0_5tupleIJNSA_16discard_iteratorINSA_11use_defaultEEESF_EEENSH_IJSG_SG_EEES6_PlJ7is_evenIiEEEE10hipError_tPvRmT3_T4_T5_T6_T7_T9_mT8_P12ihipStream_tbDpT10_ENKUlT_T0_E_clISt17integral_constantIbLb0EES18_IbLb1EEEEDaS14_S15_EUlS14_E_NS1_11comp_targetILNS1_3genE0ELNS1_11target_archE4294967295ELNS1_3gpuE0ELNS1_3repE0EEENS1_30default_config_static_selectorELNS0_4arch9wavefront6targetE1EEEvT1_ ; -- Begin function _ZN7rocprim17ROCPRIM_400000_NS6detail17trampoline_kernelINS0_14default_configENS1_25partition_config_selectorILNS1_17partition_subalgoE0EiNS0_10empty_typeEbEEZZNS1_14partition_implILS5_0ELb0ES3_jN6thrust23THRUST_200600_302600_NS6detail15normal_iteratorINSA_10device_ptrIiEEEEPS6_SG_NS0_5tupleIJNSA_16discard_iteratorINSA_11use_defaultEEESF_EEENSH_IJSG_SG_EEES6_PlJ7is_evenIiEEEE10hipError_tPvRmT3_T4_T5_T6_T7_T9_mT8_P12ihipStream_tbDpT10_ENKUlT_T0_E_clISt17integral_constantIbLb0EES18_IbLb1EEEEDaS14_S15_EUlS14_E_NS1_11comp_targetILNS1_3genE0ELNS1_11target_archE4294967295ELNS1_3gpuE0ELNS1_3repE0EEENS1_30default_config_static_selectorELNS0_4arch9wavefront6targetE1EEEvT1_
	.globl	_ZN7rocprim17ROCPRIM_400000_NS6detail17trampoline_kernelINS0_14default_configENS1_25partition_config_selectorILNS1_17partition_subalgoE0EiNS0_10empty_typeEbEEZZNS1_14partition_implILS5_0ELb0ES3_jN6thrust23THRUST_200600_302600_NS6detail15normal_iteratorINSA_10device_ptrIiEEEEPS6_SG_NS0_5tupleIJNSA_16discard_iteratorINSA_11use_defaultEEESF_EEENSH_IJSG_SG_EEES6_PlJ7is_evenIiEEEE10hipError_tPvRmT3_T4_T5_T6_T7_T9_mT8_P12ihipStream_tbDpT10_ENKUlT_T0_E_clISt17integral_constantIbLb0EES18_IbLb1EEEEDaS14_S15_EUlS14_E_NS1_11comp_targetILNS1_3genE0ELNS1_11target_archE4294967295ELNS1_3gpuE0ELNS1_3repE0EEENS1_30default_config_static_selectorELNS0_4arch9wavefront6targetE1EEEvT1_
	.p2align	8
	.type	_ZN7rocprim17ROCPRIM_400000_NS6detail17trampoline_kernelINS0_14default_configENS1_25partition_config_selectorILNS1_17partition_subalgoE0EiNS0_10empty_typeEbEEZZNS1_14partition_implILS5_0ELb0ES3_jN6thrust23THRUST_200600_302600_NS6detail15normal_iteratorINSA_10device_ptrIiEEEEPS6_SG_NS0_5tupleIJNSA_16discard_iteratorINSA_11use_defaultEEESF_EEENSH_IJSG_SG_EEES6_PlJ7is_evenIiEEEE10hipError_tPvRmT3_T4_T5_T6_T7_T9_mT8_P12ihipStream_tbDpT10_ENKUlT_T0_E_clISt17integral_constantIbLb0EES18_IbLb1EEEEDaS14_S15_EUlS14_E_NS1_11comp_targetILNS1_3genE0ELNS1_11target_archE4294967295ELNS1_3gpuE0ELNS1_3repE0EEENS1_30default_config_static_selectorELNS0_4arch9wavefront6targetE1EEEvT1_,@function
_ZN7rocprim17ROCPRIM_400000_NS6detail17trampoline_kernelINS0_14default_configENS1_25partition_config_selectorILNS1_17partition_subalgoE0EiNS0_10empty_typeEbEEZZNS1_14partition_implILS5_0ELb0ES3_jN6thrust23THRUST_200600_302600_NS6detail15normal_iteratorINSA_10device_ptrIiEEEEPS6_SG_NS0_5tupleIJNSA_16discard_iteratorINSA_11use_defaultEEESF_EEENSH_IJSG_SG_EEES6_PlJ7is_evenIiEEEE10hipError_tPvRmT3_T4_T5_T6_T7_T9_mT8_P12ihipStream_tbDpT10_ENKUlT_T0_E_clISt17integral_constantIbLb0EES18_IbLb1EEEEDaS14_S15_EUlS14_E_NS1_11comp_targetILNS1_3genE0ELNS1_11target_archE4294967295ELNS1_3gpuE0ELNS1_3repE0EEENS1_30default_config_static_selectorELNS0_4arch9wavefront6targetE1EEEvT1_: ; @_ZN7rocprim17ROCPRIM_400000_NS6detail17trampoline_kernelINS0_14default_configENS1_25partition_config_selectorILNS1_17partition_subalgoE0EiNS0_10empty_typeEbEEZZNS1_14partition_implILS5_0ELb0ES3_jN6thrust23THRUST_200600_302600_NS6detail15normal_iteratorINSA_10device_ptrIiEEEEPS6_SG_NS0_5tupleIJNSA_16discard_iteratorINSA_11use_defaultEEESF_EEENSH_IJSG_SG_EEES6_PlJ7is_evenIiEEEE10hipError_tPvRmT3_T4_T5_T6_T7_T9_mT8_P12ihipStream_tbDpT10_ENKUlT_T0_E_clISt17integral_constantIbLb0EES18_IbLb1EEEEDaS14_S15_EUlS14_E_NS1_11comp_targetILNS1_3genE0ELNS1_11target_archE4294967295ELNS1_3gpuE0ELNS1_3repE0EEENS1_30default_config_static_selectorELNS0_4arch9wavefront6targetE1EEEvT1_
; %bb.0:
	.section	.rodata,"a",@progbits
	.p2align	6, 0x0
	.amdhsa_kernel _ZN7rocprim17ROCPRIM_400000_NS6detail17trampoline_kernelINS0_14default_configENS1_25partition_config_selectorILNS1_17partition_subalgoE0EiNS0_10empty_typeEbEEZZNS1_14partition_implILS5_0ELb0ES3_jN6thrust23THRUST_200600_302600_NS6detail15normal_iteratorINSA_10device_ptrIiEEEEPS6_SG_NS0_5tupleIJNSA_16discard_iteratorINSA_11use_defaultEEESF_EEENSH_IJSG_SG_EEES6_PlJ7is_evenIiEEEE10hipError_tPvRmT3_T4_T5_T6_T7_T9_mT8_P12ihipStream_tbDpT10_ENKUlT_T0_E_clISt17integral_constantIbLb0EES18_IbLb1EEEEDaS14_S15_EUlS14_E_NS1_11comp_targetILNS1_3genE0ELNS1_11target_archE4294967295ELNS1_3gpuE0ELNS1_3repE0EEENS1_30default_config_static_selectorELNS0_4arch9wavefront6targetE1EEEvT1_
		.amdhsa_group_segment_fixed_size 0
		.amdhsa_private_segment_fixed_size 0
		.amdhsa_kernarg_size 144
		.amdhsa_user_sgpr_count 6
		.amdhsa_user_sgpr_private_segment_buffer 1
		.amdhsa_user_sgpr_dispatch_ptr 0
		.amdhsa_user_sgpr_queue_ptr 0
		.amdhsa_user_sgpr_kernarg_segment_ptr 1
		.amdhsa_user_sgpr_dispatch_id 0
		.amdhsa_user_sgpr_flat_scratch_init 0
		.amdhsa_user_sgpr_kernarg_preload_length 0
		.amdhsa_user_sgpr_kernarg_preload_offset 0
		.amdhsa_user_sgpr_private_segment_size 0
		.amdhsa_uses_dynamic_stack 0
		.amdhsa_system_sgpr_private_segment_wavefront_offset 0
		.amdhsa_system_sgpr_workgroup_id_x 1
		.amdhsa_system_sgpr_workgroup_id_y 0
		.amdhsa_system_sgpr_workgroup_id_z 0
		.amdhsa_system_sgpr_workgroup_info 0
		.amdhsa_system_vgpr_workitem_id 0
		.amdhsa_next_free_vgpr 1
		.amdhsa_next_free_sgpr 0
		.amdhsa_accum_offset 4
		.amdhsa_reserve_vcc 0
		.amdhsa_reserve_flat_scratch 0
		.amdhsa_float_round_mode_32 0
		.amdhsa_float_round_mode_16_64 0
		.amdhsa_float_denorm_mode_32 3
		.amdhsa_float_denorm_mode_16_64 3
		.amdhsa_dx10_clamp 1
		.amdhsa_ieee_mode 1
		.amdhsa_fp16_overflow 0
		.amdhsa_tg_split 0
		.amdhsa_exception_fp_ieee_invalid_op 0
		.amdhsa_exception_fp_denorm_src 0
		.amdhsa_exception_fp_ieee_div_zero 0
		.amdhsa_exception_fp_ieee_overflow 0
		.amdhsa_exception_fp_ieee_underflow 0
		.amdhsa_exception_fp_ieee_inexact 0
		.amdhsa_exception_int_div_zero 0
	.end_amdhsa_kernel
	.section	.text._ZN7rocprim17ROCPRIM_400000_NS6detail17trampoline_kernelINS0_14default_configENS1_25partition_config_selectorILNS1_17partition_subalgoE0EiNS0_10empty_typeEbEEZZNS1_14partition_implILS5_0ELb0ES3_jN6thrust23THRUST_200600_302600_NS6detail15normal_iteratorINSA_10device_ptrIiEEEEPS6_SG_NS0_5tupleIJNSA_16discard_iteratorINSA_11use_defaultEEESF_EEENSH_IJSG_SG_EEES6_PlJ7is_evenIiEEEE10hipError_tPvRmT3_T4_T5_T6_T7_T9_mT8_P12ihipStream_tbDpT10_ENKUlT_T0_E_clISt17integral_constantIbLb0EES18_IbLb1EEEEDaS14_S15_EUlS14_E_NS1_11comp_targetILNS1_3genE0ELNS1_11target_archE4294967295ELNS1_3gpuE0ELNS1_3repE0EEENS1_30default_config_static_selectorELNS0_4arch9wavefront6targetE1EEEvT1_,"axG",@progbits,_ZN7rocprim17ROCPRIM_400000_NS6detail17trampoline_kernelINS0_14default_configENS1_25partition_config_selectorILNS1_17partition_subalgoE0EiNS0_10empty_typeEbEEZZNS1_14partition_implILS5_0ELb0ES3_jN6thrust23THRUST_200600_302600_NS6detail15normal_iteratorINSA_10device_ptrIiEEEEPS6_SG_NS0_5tupleIJNSA_16discard_iteratorINSA_11use_defaultEEESF_EEENSH_IJSG_SG_EEES6_PlJ7is_evenIiEEEE10hipError_tPvRmT3_T4_T5_T6_T7_T9_mT8_P12ihipStream_tbDpT10_ENKUlT_T0_E_clISt17integral_constantIbLb0EES18_IbLb1EEEEDaS14_S15_EUlS14_E_NS1_11comp_targetILNS1_3genE0ELNS1_11target_archE4294967295ELNS1_3gpuE0ELNS1_3repE0EEENS1_30default_config_static_selectorELNS0_4arch9wavefront6targetE1EEEvT1_,comdat
.Lfunc_end2771:
	.size	_ZN7rocprim17ROCPRIM_400000_NS6detail17trampoline_kernelINS0_14default_configENS1_25partition_config_selectorILNS1_17partition_subalgoE0EiNS0_10empty_typeEbEEZZNS1_14partition_implILS5_0ELb0ES3_jN6thrust23THRUST_200600_302600_NS6detail15normal_iteratorINSA_10device_ptrIiEEEEPS6_SG_NS0_5tupleIJNSA_16discard_iteratorINSA_11use_defaultEEESF_EEENSH_IJSG_SG_EEES6_PlJ7is_evenIiEEEE10hipError_tPvRmT3_T4_T5_T6_T7_T9_mT8_P12ihipStream_tbDpT10_ENKUlT_T0_E_clISt17integral_constantIbLb0EES18_IbLb1EEEEDaS14_S15_EUlS14_E_NS1_11comp_targetILNS1_3genE0ELNS1_11target_archE4294967295ELNS1_3gpuE0ELNS1_3repE0EEENS1_30default_config_static_selectorELNS0_4arch9wavefront6targetE1EEEvT1_, .Lfunc_end2771-_ZN7rocprim17ROCPRIM_400000_NS6detail17trampoline_kernelINS0_14default_configENS1_25partition_config_selectorILNS1_17partition_subalgoE0EiNS0_10empty_typeEbEEZZNS1_14partition_implILS5_0ELb0ES3_jN6thrust23THRUST_200600_302600_NS6detail15normal_iteratorINSA_10device_ptrIiEEEEPS6_SG_NS0_5tupleIJNSA_16discard_iteratorINSA_11use_defaultEEESF_EEENSH_IJSG_SG_EEES6_PlJ7is_evenIiEEEE10hipError_tPvRmT3_T4_T5_T6_T7_T9_mT8_P12ihipStream_tbDpT10_ENKUlT_T0_E_clISt17integral_constantIbLb0EES18_IbLb1EEEEDaS14_S15_EUlS14_E_NS1_11comp_targetILNS1_3genE0ELNS1_11target_archE4294967295ELNS1_3gpuE0ELNS1_3repE0EEENS1_30default_config_static_selectorELNS0_4arch9wavefront6targetE1EEEvT1_
                                        ; -- End function
	.section	.AMDGPU.csdata,"",@progbits
; Kernel info:
; codeLenInByte = 0
; NumSgprs: 4
; NumVgprs: 0
; NumAgprs: 0
; TotalNumVgprs: 0
; ScratchSize: 0
; MemoryBound: 0
; FloatMode: 240
; IeeeMode: 1
; LDSByteSize: 0 bytes/workgroup (compile time only)
; SGPRBlocks: 0
; VGPRBlocks: 0
; NumSGPRsForWavesPerEU: 4
; NumVGPRsForWavesPerEU: 1
; AccumOffset: 4
; Occupancy: 8
; WaveLimiterHint : 0
; COMPUTE_PGM_RSRC2:SCRATCH_EN: 0
; COMPUTE_PGM_RSRC2:USER_SGPR: 6
; COMPUTE_PGM_RSRC2:TRAP_HANDLER: 0
; COMPUTE_PGM_RSRC2:TGID_X_EN: 1
; COMPUTE_PGM_RSRC2:TGID_Y_EN: 0
; COMPUTE_PGM_RSRC2:TGID_Z_EN: 0
; COMPUTE_PGM_RSRC2:TIDIG_COMP_CNT: 0
; COMPUTE_PGM_RSRC3_GFX90A:ACCUM_OFFSET: 0
; COMPUTE_PGM_RSRC3_GFX90A:TG_SPLIT: 0
	.section	.text._ZN7rocprim17ROCPRIM_400000_NS6detail17trampoline_kernelINS0_14default_configENS1_25partition_config_selectorILNS1_17partition_subalgoE0EiNS0_10empty_typeEbEEZZNS1_14partition_implILS5_0ELb0ES3_jN6thrust23THRUST_200600_302600_NS6detail15normal_iteratorINSA_10device_ptrIiEEEEPS6_SG_NS0_5tupleIJNSA_16discard_iteratorINSA_11use_defaultEEESF_EEENSH_IJSG_SG_EEES6_PlJ7is_evenIiEEEE10hipError_tPvRmT3_T4_T5_T6_T7_T9_mT8_P12ihipStream_tbDpT10_ENKUlT_T0_E_clISt17integral_constantIbLb0EES18_IbLb1EEEEDaS14_S15_EUlS14_E_NS1_11comp_targetILNS1_3genE5ELNS1_11target_archE942ELNS1_3gpuE9ELNS1_3repE0EEENS1_30default_config_static_selectorELNS0_4arch9wavefront6targetE1EEEvT1_,"axG",@progbits,_ZN7rocprim17ROCPRIM_400000_NS6detail17trampoline_kernelINS0_14default_configENS1_25partition_config_selectorILNS1_17partition_subalgoE0EiNS0_10empty_typeEbEEZZNS1_14partition_implILS5_0ELb0ES3_jN6thrust23THRUST_200600_302600_NS6detail15normal_iteratorINSA_10device_ptrIiEEEEPS6_SG_NS0_5tupleIJNSA_16discard_iteratorINSA_11use_defaultEEESF_EEENSH_IJSG_SG_EEES6_PlJ7is_evenIiEEEE10hipError_tPvRmT3_T4_T5_T6_T7_T9_mT8_P12ihipStream_tbDpT10_ENKUlT_T0_E_clISt17integral_constantIbLb0EES18_IbLb1EEEEDaS14_S15_EUlS14_E_NS1_11comp_targetILNS1_3genE5ELNS1_11target_archE942ELNS1_3gpuE9ELNS1_3repE0EEENS1_30default_config_static_selectorELNS0_4arch9wavefront6targetE1EEEvT1_,comdat
	.protected	_ZN7rocprim17ROCPRIM_400000_NS6detail17trampoline_kernelINS0_14default_configENS1_25partition_config_selectorILNS1_17partition_subalgoE0EiNS0_10empty_typeEbEEZZNS1_14partition_implILS5_0ELb0ES3_jN6thrust23THRUST_200600_302600_NS6detail15normal_iteratorINSA_10device_ptrIiEEEEPS6_SG_NS0_5tupleIJNSA_16discard_iteratorINSA_11use_defaultEEESF_EEENSH_IJSG_SG_EEES6_PlJ7is_evenIiEEEE10hipError_tPvRmT3_T4_T5_T6_T7_T9_mT8_P12ihipStream_tbDpT10_ENKUlT_T0_E_clISt17integral_constantIbLb0EES18_IbLb1EEEEDaS14_S15_EUlS14_E_NS1_11comp_targetILNS1_3genE5ELNS1_11target_archE942ELNS1_3gpuE9ELNS1_3repE0EEENS1_30default_config_static_selectorELNS0_4arch9wavefront6targetE1EEEvT1_ ; -- Begin function _ZN7rocprim17ROCPRIM_400000_NS6detail17trampoline_kernelINS0_14default_configENS1_25partition_config_selectorILNS1_17partition_subalgoE0EiNS0_10empty_typeEbEEZZNS1_14partition_implILS5_0ELb0ES3_jN6thrust23THRUST_200600_302600_NS6detail15normal_iteratorINSA_10device_ptrIiEEEEPS6_SG_NS0_5tupleIJNSA_16discard_iteratorINSA_11use_defaultEEESF_EEENSH_IJSG_SG_EEES6_PlJ7is_evenIiEEEE10hipError_tPvRmT3_T4_T5_T6_T7_T9_mT8_P12ihipStream_tbDpT10_ENKUlT_T0_E_clISt17integral_constantIbLb0EES18_IbLb1EEEEDaS14_S15_EUlS14_E_NS1_11comp_targetILNS1_3genE5ELNS1_11target_archE942ELNS1_3gpuE9ELNS1_3repE0EEENS1_30default_config_static_selectorELNS0_4arch9wavefront6targetE1EEEvT1_
	.globl	_ZN7rocprim17ROCPRIM_400000_NS6detail17trampoline_kernelINS0_14default_configENS1_25partition_config_selectorILNS1_17partition_subalgoE0EiNS0_10empty_typeEbEEZZNS1_14partition_implILS5_0ELb0ES3_jN6thrust23THRUST_200600_302600_NS6detail15normal_iteratorINSA_10device_ptrIiEEEEPS6_SG_NS0_5tupleIJNSA_16discard_iteratorINSA_11use_defaultEEESF_EEENSH_IJSG_SG_EEES6_PlJ7is_evenIiEEEE10hipError_tPvRmT3_T4_T5_T6_T7_T9_mT8_P12ihipStream_tbDpT10_ENKUlT_T0_E_clISt17integral_constantIbLb0EES18_IbLb1EEEEDaS14_S15_EUlS14_E_NS1_11comp_targetILNS1_3genE5ELNS1_11target_archE942ELNS1_3gpuE9ELNS1_3repE0EEENS1_30default_config_static_selectorELNS0_4arch9wavefront6targetE1EEEvT1_
	.p2align	8
	.type	_ZN7rocprim17ROCPRIM_400000_NS6detail17trampoline_kernelINS0_14default_configENS1_25partition_config_selectorILNS1_17partition_subalgoE0EiNS0_10empty_typeEbEEZZNS1_14partition_implILS5_0ELb0ES3_jN6thrust23THRUST_200600_302600_NS6detail15normal_iteratorINSA_10device_ptrIiEEEEPS6_SG_NS0_5tupleIJNSA_16discard_iteratorINSA_11use_defaultEEESF_EEENSH_IJSG_SG_EEES6_PlJ7is_evenIiEEEE10hipError_tPvRmT3_T4_T5_T6_T7_T9_mT8_P12ihipStream_tbDpT10_ENKUlT_T0_E_clISt17integral_constantIbLb0EES18_IbLb1EEEEDaS14_S15_EUlS14_E_NS1_11comp_targetILNS1_3genE5ELNS1_11target_archE942ELNS1_3gpuE9ELNS1_3repE0EEENS1_30default_config_static_selectorELNS0_4arch9wavefront6targetE1EEEvT1_,@function
_ZN7rocprim17ROCPRIM_400000_NS6detail17trampoline_kernelINS0_14default_configENS1_25partition_config_selectorILNS1_17partition_subalgoE0EiNS0_10empty_typeEbEEZZNS1_14partition_implILS5_0ELb0ES3_jN6thrust23THRUST_200600_302600_NS6detail15normal_iteratorINSA_10device_ptrIiEEEEPS6_SG_NS0_5tupleIJNSA_16discard_iteratorINSA_11use_defaultEEESF_EEENSH_IJSG_SG_EEES6_PlJ7is_evenIiEEEE10hipError_tPvRmT3_T4_T5_T6_T7_T9_mT8_P12ihipStream_tbDpT10_ENKUlT_T0_E_clISt17integral_constantIbLb0EES18_IbLb1EEEEDaS14_S15_EUlS14_E_NS1_11comp_targetILNS1_3genE5ELNS1_11target_archE942ELNS1_3gpuE9ELNS1_3repE0EEENS1_30default_config_static_selectorELNS0_4arch9wavefront6targetE1EEEvT1_: ; @_ZN7rocprim17ROCPRIM_400000_NS6detail17trampoline_kernelINS0_14default_configENS1_25partition_config_selectorILNS1_17partition_subalgoE0EiNS0_10empty_typeEbEEZZNS1_14partition_implILS5_0ELb0ES3_jN6thrust23THRUST_200600_302600_NS6detail15normal_iteratorINSA_10device_ptrIiEEEEPS6_SG_NS0_5tupleIJNSA_16discard_iteratorINSA_11use_defaultEEESF_EEENSH_IJSG_SG_EEES6_PlJ7is_evenIiEEEE10hipError_tPvRmT3_T4_T5_T6_T7_T9_mT8_P12ihipStream_tbDpT10_ENKUlT_T0_E_clISt17integral_constantIbLb0EES18_IbLb1EEEEDaS14_S15_EUlS14_E_NS1_11comp_targetILNS1_3genE5ELNS1_11target_archE942ELNS1_3gpuE9ELNS1_3repE0EEENS1_30default_config_static_selectorELNS0_4arch9wavefront6targetE1EEEvT1_
; %bb.0:
	.section	.rodata,"a",@progbits
	.p2align	6, 0x0
	.amdhsa_kernel _ZN7rocprim17ROCPRIM_400000_NS6detail17trampoline_kernelINS0_14default_configENS1_25partition_config_selectorILNS1_17partition_subalgoE0EiNS0_10empty_typeEbEEZZNS1_14partition_implILS5_0ELb0ES3_jN6thrust23THRUST_200600_302600_NS6detail15normal_iteratorINSA_10device_ptrIiEEEEPS6_SG_NS0_5tupleIJNSA_16discard_iteratorINSA_11use_defaultEEESF_EEENSH_IJSG_SG_EEES6_PlJ7is_evenIiEEEE10hipError_tPvRmT3_T4_T5_T6_T7_T9_mT8_P12ihipStream_tbDpT10_ENKUlT_T0_E_clISt17integral_constantIbLb0EES18_IbLb1EEEEDaS14_S15_EUlS14_E_NS1_11comp_targetILNS1_3genE5ELNS1_11target_archE942ELNS1_3gpuE9ELNS1_3repE0EEENS1_30default_config_static_selectorELNS0_4arch9wavefront6targetE1EEEvT1_
		.amdhsa_group_segment_fixed_size 0
		.amdhsa_private_segment_fixed_size 0
		.amdhsa_kernarg_size 144
		.amdhsa_user_sgpr_count 6
		.amdhsa_user_sgpr_private_segment_buffer 1
		.amdhsa_user_sgpr_dispatch_ptr 0
		.amdhsa_user_sgpr_queue_ptr 0
		.amdhsa_user_sgpr_kernarg_segment_ptr 1
		.amdhsa_user_sgpr_dispatch_id 0
		.amdhsa_user_sgpr_flat_scratch_init 0
		.amdhsa_user_sgpr_kernarg_preload_length 0
		.amdhsa_user_sgpr_kernarg_preload_offset 0
		.amdhsa_user_sgpr_private_segment_size 0
		.amdhsa_uses_dynamic_stack 0
		.amdhsa_system_sgpr_private_segment_wavefront_offset 0
		.amdhsa_system_sgpr_workgroup_id_x 1
		.amdhsa_system_sgpr_workgroup_id_y 0
		.amdhsa_system_sgpr_workgroup_id_z 0
		.amdhsa_system_sgpr_workgroup_info 0
		.amdhsa_system_vgpr_workitem_id 0
		.amdhsa_next_free_vgpr 1
		.amdhsa_next_free_sgpr 0
		.amdhsa_accum_offset 4
		.amdhsa_reserve_vcc 0
		.amdhsa_reserve_flat_scratch 0
		.amdhsa_float_round_mode_32 0
		.amdhsa_float_round_mode_16_64 0
		.amdhsa_float_denorm_mode_32 3
		.amdhsa_float_denorm_mode_16_64 3
		.amdhsa_dx10_clamp 1
		.amdhsa_ieee_mode 1
		.amdhsa_fp16_overflow 0
		.amdhsa_tg_split 0
		.amdhsa_exception_fp_ieee_invalid_op 0
		.amdhsa_exception_fp_denorm_src 0
		.amdhsa_exception_fp_ieee_div_zero 0
		.amdhsa_exception_fp_ieee_overflow 0
		.amdhsa_exception_fp_ieee_underflow 0
		.amdhsa_exception_fp_ieee_inexact 0
		.amdhsa_exception_int_div_zero 0
	.end_amdhsa_kernel
	.section	.text._ZN7rocprim17ROCPRIM_400000_NS6detail17trampoline_kernelINS0_14default_configENS1_25partition_config_selectorILNS1_17partition_subalgoE0EiNS0_10empty_typeEbEEZZNS1_14partition_implILS5_0ELb0ES3_jN6thrust23THRUST_200600_302600_NS6detail15normal_iteratorINSA_10device_ptrIiEEEEPS6_SG_NS0_5tupleIJNSA_16discard_iteratorINSA_11use_defaultEEESF_EEENSH_IJSG_SG_EEES6_PlJ7is_evenIiEEEE10hipError_tPvRmT3_T4_T5_T6_T7_T9_mT8_P12ihipStream_tbDpT10_ENKUlT_T0_E_clISt17integral_constantIbLb0EES18_IbLb1EEEEDaS14_S15_EUlS14_E_NS1_11comp_targetILNS1_3genE5ELNS1_11target_archE942ELNS1_3gpuE9ELNS1_3repE0EEENS1_30default_config_static_selectorELNS0_4arch9wavefront6targetE1EEEvT1_,"axG",@progbits,_ZN7rocprim17ROCPRIM_400000_NS6detail17trampoline_kernelINS0_14default_configENS1_25partition_config_selectorILNS1_17partition_subalgoE0EiNS0_10empty_typeEbEEZZNS1_14partition_implILS5_0ELb0ES3_jN6thrust23THRUST_200600_302600_NS6detail15normal_iteratorINSA_10device_ptrIiEEEEPS6_SG_NS0_5tupleIJNSA_16discard_iteratorINSA_11use_defaultEEESF_EEENSH_IJSG_SG_EEES6_PlJ7is_evenIiEEEE10hipError_tPvRmT3_T4_T5_T6_T7_T9_mT8_P12ihipStream_tbDpT10_ENKUlT_T0_E_clISt17integral_constantIbLb0EES18_IbLb1EEEEDaS14_S15_EUlS14_E_NS1_11comp_targetILNS1_3genE5ELNS1_11target_archE942ELNS1_3gpuE9ELNS1_3repE0EEENS1_30default_config_static_selectorELNS0_4arch9wavefront6targetE1EEEvT1_,comdat
.Lfunc_end2772:
	.size	_ZN7rocprim17ROCPRIM_400000_NS6detail17trampoline_kernelINS0_14default_configENS1_25partition_config_selectorILNS1_17partition_subalgoE0EiNS0_10empty_typeEbEEZZNS1_14partition_implILS5_0ELb0ES3_jN6thrust23THRUST_200600_302600_NS6detail15normal_iteratorINSA_10device_ptrIiEEEEPS6_SG_NS0_5tupleIJNSA_16discard_iteratorINSA_11use_defaultEEESF_EEENSH_IJSG_SG_EEES6_PlJ7is_evenIiEEEE10hipError_tPvRmT3_T4_T5_T6_T7_T9_mT8_P12ihipStream_tbDpT10_ENKUlT_T0_E_clISt17integral_constantIbLb0EES18_IbLb1EEEEDaS14_S15_EUlS14_E_NS1_11comp_targetILNS1_3genE5ELNS1_11target_archE942ELNS1_3gpuE9ELNS1_3repE0EEENS1_30default_config_static_selectorELNS0_4arch9wavefront6targetE1EEEvT1_, .Lfunc_end2772-_ZN7rocprim17ROCPRIM_400000_NS6detail17trampoline_kernelINS0_14default_configENS1_25partition_config_selectorILNS1_17partition_subalgoE0EiNS0_10empty_typeEbEEZZNS1_14partition_implILS5_0ELb0ES3_jN6thrust23THRUST_200600_302600_NS6detail15normal_iteratorINSA_10device_ptrIiEEEEPS6_SG_NS0_5tupleIJNSA_16discard_iteratorINSA_11use_defaultEEESF_EEENSH_IJSG_SG_EEES6_PlJ7is_evenIiEEEE10hipError_tPvRmT3_T4_T5_T6_T7_T9_mT8_P12ihipStream_tbDpT10_ENKUlT_T0_E_clISt17integral_constantIbLb0EES18_IbLb1EEEEDaS14_S15_EUlS14_E_NS1_11comp_targetILNS1_3genE5ELNS1_11target_archE942ELNS1_3gpuE9ELNS1_3repE0EEENS1_30default_config_static_selectorELNS0_4arch9wavefront6targetE1EEEvT1_
                                        ; -- End function
	.section	.AMDGPU.csdata,"",@progbits
; Kernel info:
; codeLenInByte = 0
; NumSgprs: 4
; NumVgprs: 0
; NumAgprs: 0
; TotalNumVgprs: 0
; ScratchSize: 0
; MemoryBound: 0
; FloatMode: 240
; IeeeMode: 1
; LDSByteSize: 0 bytes/workgroup (compile time only)
; SGPRBlocks: 0
; VGPRBlocks: 0
; NumSGPRsForWavesPerEU: 4
; NumVGPRsForWavesPerEU: 1
; AccumOffset: 4
; Occupancy: 8
; WaveLimiterHint : 0
; COMPUTE_PGM_RSRC2:SCRATCH_EN: 0
; COMPUTE_PGM_RSRC2:USER_SGPR: 6
; COMPUTE_PGM_RSRC2:TRAP_HANDLER: 0
; COMPUTE_PGM_RSRC2:TGID_X_EN: 1
; COMPUTE_PGM_RSRC2:TGID_Y_EN: 0
; COMPUTE_PGM_RSRC2:TGID_Z_EN: 0
; COMPUTE_PGM_RSRC2:TIDIG_COMP_CNT: 0
; COMPUTE_PGM_RSRC3_GFX90A:ACCUM_OFFSET: 0
; COMPUTE_PGM_RSRC3_GFX90A:TG_SPLIT: 0
	.section	.text._ZN7rocprim17ROCPRIM_400000_NS6detail17trampoline_kernelINS0_14default_configENS1_25partition_config_selectorILNS1_17partition_subalgoE0EiNS0_10empty_typeEbEEZZNS1_14partition_implILS5_0ELb0ES3_jN6thrust23THRUST_200600_302600_NS6detail15normal_iteratorINSA_10device_ptrIiEEEEPS6_SG_NS0_5tupleIJNSA_16discard_iteratorINSA_11use_defaultEEESF_EEENSH_IJSG_SG_EEES6_PlJ7is_evenIiEEEE10hipError_tPvRmT3_T4_T5_T6_T7_T9_mT8_P12ihipStream_tbDpT10_ENKUlT_T0_E_clISt17integral_constantIbLb0EES18_IbLb1EEEEDaS14_S15_EUlS14_E_NS1_11comp_targetILNS1_3genE4ELNS1_11target_archE910ELNS1_3gpuE8ELNS1_3repE0EEENS1_30default_config_static_selectorELNS0_4arch9wavefront6targetE1EEEvT1_,"axG",@progbits,_ZN7rocprim17ROCPRIM_400000_NS6detail17trampoline_kernelINS0_14default_configENS1_25partition_config_selectorILNS1_17partition_subalgoE0EiNS0_10empty_typeEbEEZZNS1_14partition_implILS5_0ELb0ES3_jN6thrust23THRUST_200600_302600_NS6detail15normal_iteratorINSA_10device_ptrIiEEEEPS6_SG_NS0_5tupleIJNSA_16discard_iteratorINSA_11use_defaultEEESF_EEENSH_IJSG_SG_EEES6_PlJ7is_evenIiEEEE10hipError_tPvRmT3_T4_T5_T6_T7_T9_mT8_P12ihipStream_tbDpT10_ENKUlT_T0_E_clISt17integral_constantIbLb0EES18_IbLb1EEEEDaS14_S15_EUlS14_E_NS1_11comp_targetILNS1_3genE4ELNS1_11target_archE910ELNS1_3gpuE8ELNS1_3repE0EEENS1_30default_config_static_selectorELNS0_4arch9wavefront6targetE1EEEvT1_,comdat
	.protected	_ZN7rocprim17ROCPRIM_400000_NS6detail17trampoline_kernelINS0_14default_configENS1_25partition_config_selectorILNS1_17partition_subalgoE0EiNS0_10empty_typeEbEEZZNS1_14partition_implILS5_0ELb0ES3_jN6thrust23THRUST_200600_302600_NS6detail15normal_iteratorINSA_10device_ptrIiEEEEPS6_SG_NS0_5tupleIJNSA_16discard_iteratorINSA_11use_defaultEEESF_EEENSH_IJSG_SG_EEES6_PlJ7is_evenIiEEEE10hipError_tPvRmT3_T4_T5_T6_T7_T9_mT8_P12ihipStream_tbDpT10_ENKUlT_T0_E_clISt17integral_constantIbLb0EES18_IbLb1EEEEDaS14_S15_EUlS14_E_NS1_11comp_targetILNS1_3genE4ELNS1_11target_archE910ELNS1_3gpuE8ELNS1_3repE0EEENS1_30default_config_static_selectorELNS0_4arch9wavefront6targetE1EEEvT1_ ; -- Begin function _ZN7rocprim17ROCPRIM_400000_NS6detail17trampoline_kernelINS0_14default_configENS1_25partition_config_selectorILNS1_17partition_subalgoE0EiNS0_10empty_typeEbEEZZNS1_14partition_implILS5_0ELb0ES3_jN6thrust23THRUST_200600_302600_NS6detail15normal_iteratorINSA_10device_ptrIiEEEEPS6_SG_NS0_5tupleIJNSA_16discard_iteratorINSA_11use_defaultEEESF_EEENSH_IJSG_SG_EEES6_PlJ7is_evenIiEEEE10hipError_tPvRmT3_T4_T5_T6_T7_T9_mT8_P12ihipStream_tbDpT10_ENKUlT_T0_E_clISt17integral_constantIbLb0EES18_IbLb1EEEEDaS14_S15_EUlS14_E_NS1_11comp_targetILNS1_3genE4ELNS1_11target_archE910ELNS1_3gpuE8ELNS1_3repE0EEENS1_30default_config_static_selectorELNS0_4arch9wavefront6targetE1EEEvT1_
	.globl	_ZN7rocprim17ROCPRIM_400000_NS6detail17trampoline_kernelINS0_14default_configENS1_25partition_config_selectorILNS1_17partition_subalgoE0EiNS0_10empty_typeEbEEZZNS1_14partition_implILS5_0ELb0ES3_jN6thrust23THRUST_200600_302600_NS6detail15normal_iteratorINSA_10device_ptrIiEEEEPS6_SG_NS0_5tupleIJNSA_16discard_iteratorINSA_11use_defaultEEESF_EEENSH_IJSG_SG_EEES6_PlJ7is_evenIiEEEE10hipError_tPvRmT3_T4_T5_T6_T7_T9_mT8_P12ihipStream_tbDpT10_ENKUlT_T0_E_clISt17integral_constantIbLb0EES18_IbLb1EEEEDaS14_S15_EUlS14_E_NS1_11comp_targetILNS1_3genE4ELNS1_11target_archE910ELNS1_3gpuE8ELNS1_3repE0EEENS1_30default_config_static_selectorELNS0_4arch9wavefront6targetE1EEEvT1_
	.p2align	8
	.type	_ZN7rocprim17ROCPRIM_400000_NS6detail17trampoline_kernelINS0_14default_configENS1_25partition_config_selectorILNS1_17partition_subalgoE0EiNS0_10empty_typeEbEEZZNS1_14partition_implILS5_0ELb0ES3_jN6thrust23THRUST_200600_302600_NS6detail15normal_iteratorINSA_10device_ptrIiEEEEPS6_SG_NS0_5tupleIJNSA_16discard_iteratorINSA_11use_defaultEEESF_EEENSH_IJSG_SG_EEES6_PlJ7is_evenIiEEEE10hipError_tPvRmT3_T4_T5_T6_T7_T9_mT8_P12ihipStream_tbDpT10_ENKUlT_T0_E_clISt17integral_constantIbLb0EES18_IbLb1EEEEDaS14_S15_EUlS14_E_NS1_11comp_targetILNS1_3genE4ELNS1_11target_archE910ELNS1_3gpuE8ELNS1_3repE0EEENS1_30default_config_static_selectorELNS0_4arch9wavefront6targetE1EEEvT1_,@function
_ZN7rocprim17ROCPRIM_400000_NS6detail17trampoline_kernelINS0_14default_configENS1_25partition_config_selectorILNS1_17partition_subalgoE0EiNS0_10empty_typeEbEEZZNS1_14partition_implILS5_0ELb0ES3_jN6thrust23THRUST_200600_302600_NS6detail15normal_iteratorINSA_10device_ptrIiEEEEPS6_SG_NS0_5tupleIJNSA_16discard_iteratorINSA_11use_defaultEEESF_EEENSH_IJSG_SG_EEES6_PlJ7is_evenIiEEEE10hipError_tPvRmT3_T4_T5_T6_T7_T9_mT8_P12ihipStream_tbDpT10_ENKUlT_T0_E_clISt17integral_constantIbLb0EES18_IbLb1EEEEDaS14_S15_EUlS14_E_NS1_11comp_targetILNS1_3genE4ELNS1_11target_archE910ELNS1_3gpuE8ELNS1_3repE0EEENS1_30default_config_static_selectorELNS0_4arch9wavefront6targetE1EEEvT1_: ; @_ZN7rocprim17ROCPRIM_400000_NS6detail17trampoline_kernelINS0_14default_configENS1_25partition_config_selectorILNS1_17partition_subalgoE0EiNS0_10empty_typeEbEEZZNS1_14partition_implILS5_0ELb0ES3_jN6thrust23THRUST_200600_302600_NS6detail15normal_iteratorINSA_10device_ptrIiEEEEPS6_SG_NS0_5tupleIJNSA_16discard_iteratorINSA_11use_defaultEEESF_EEENSH_IJSG_SG_EEES6_PlJ7is_evenIiEEEE10hipError_tPvRmT3_T4_T5_T6_T7_T9_mT8_P12ihipStream_tbDpT10_ENKUlT_T0_E_clISt17integral_constantIbLb0EES18_IbLb1EEEEDaS14_S15_EUlS14_E_NS1_11comp_targetILNS1_3genE4ELNS1_11target_archE910ELNS1_3gpuE8ELNS1_3repE0EEENS1_30default_config_static_selectorELNS0_4arch9wavefront6targetE1EEEvT1_
; %bb.0:
	s_load_dwordx2 s[28:29], s[4:5], 0x38
	s_load_dwordx4 s[20:23], s[4:5], 0x50
	s_load_dwordx2 s[2:3], s[4:5], 0x60
	s_load_dwordx2 s[30:31], s[4:5], 0x70
	v_cmp_eq_u32_e64 s[0:1], 0, v0
	s_and_saveexec_b64 s[6:7], s[0:1]
	s_cbranch_execz .LBB2773_4
; %bb.1:
	s_mov_b64 s[10:11], exec
	v_mbcnt_lo_u32_b32 v1, s10, 0
	v_mbcnt_hi_u32_b32 v1, s11, v1
	v_cmp_eq_u32_e32 vcc, 0, v1
                                        ; implicit-def: $vgpr2
	s_and_saveexec_b64 s[8:9], vcc
	s_cbranch_execz .LBB2773_3
; %bb.2:
	s_load_dwordx2 s[12:13], s[4:5], 0x80
	s_bcnt1_i32_b64 s10, s[10:11]
	v_mov_b32_e32 v2, 0
	v_mov_b32_e32 v3, s10
	s_waitcnt lgkmcnt(0)
	global_atomic_add v2, v2, v3, s[12:13] glc
.LBB2773_3:
	s_or_b64 exec, exec, s[8:9]
	s_waitcnt vmcnt(0)
	v_readfirstlane_b32 s8, v2
	v_add_u32_e32 v1, s8, v1
	v_mov_b32_e32 v2, 0
	ds_write_b32 v2, v1
.LBB2773_4:
	s_or_b64 exec, exec, s[6:7]
	v_mov_b32_e32 v3, 0
	s_load_dwordx4 s[24:27], s[4:5], 0x8
	s_load_dword s6, s[4:5], 0x78
	s_waitcnt lgkmcnt(0)
	s_barrier
	ds_read_b32 v1, v3
	s_waitcnt lgkmcnt(0)
	s_barrier
	global_load_dwordx2 v[12:13], v3, s[22:23]
	v_mov_b32_e32 v5, s3
	s_lshl_b64 s[4:5], s[26:27], 2
	s_movk_i32 s3, 0xa00
	s_add_u32 s7, s24, s4
	v_mul_lo_u32 v2, v1, s3
	s_mul_i32 s3, s6, 0xa00
	s_addc_u32 s8, s25, s5
	s_add_i32 s5, s3, s26
	s_sub_i32 s33, s2, s5
	s_add_i32 s4, s6, -1
	s_addk_i32 s33, 0xa00
	v_mov_b32_e32 v4, s2
	s_add_u32 s2, s26, s3
	v_readfirstlane_b32 s38, v1
	s_addc_u32 s3, s27, 0
	s_cmp_eq_u32 s38, s4
	s_cselect_b64 s[22:23], -1, 0
	s_cmp_lg_u32 s38, s4
	v_cmp_lt_u64_e32 vcc, s[2:3], v[4:5]
	s_cselect_b64 s[2:3], -1, 0
	v_lshlrev_b64 v[14:15], 2, v[2:3]
	s_or_b64 s[4:5], vcc, s[2:3]
	v_mov_b32_e32 v2, s8
	v_add_co_u32_e32 v1, vcc, s7, v14
	v_addc_co_u32_e32 v16, vcc, v2, v15, vcc
	s_mov_b64 s[2:3], -1
	s_and_b64 vcc, exec, s[4:5]
	v_lshlrev_b32_e32 v26, 2, v0
	s_cbranch_vccz .LBB2773_6
; %bb.5:
	v_add_co_u32_e32 v2, vcc, v1, v26
	v_addc_co_u32_e32 v3, vcc, 0, v16, vcc
	v_add_co_u32_e32 v4, vcc, 0x1000, v2
	v_addc_co_u32_e32 v5, vcc, 0, v3, vcc
	flat_load_dword v6, v[2:3]
	flat_load_dword v7, v[2:3] offset:1024
	flat_load_dword v8, v[2:3] offset:2048
	flat_load_dword v9, v[2:3] offset:3072
	flat_load_dword v10, v[4:5]
	flat_load_dword v11, v[4:5] offset:1024
	flat_load_dword v17, v[4:5] offset:2048
	;; [unrolled: 1-line block ×3, first 2 shown]
	v_add_co_u32_e32 v2, vcc, 0x2000, v2
	v_addc_co_u32_e32 v3, vcc, 0, v3, vcc
	flat_load_dword v4, v[2:3]
	flat_load_dword v5, v[2:3] offset:1024
	s_mov_b64 s[2:3], 0
	s_waitcnt vmcnt(0) lgkmcnt(0)
	ds_write2st64_b32 v26, v6, v7 offset1:4
	ds_write2st64_b32 v26, v8, v9 offset0:8 offset1:12
	ds_write2st64_b32 v26, v10, v11 offset0:16 offset1:20
	;; [unrolled: 1-line block ×4, first 2 shown]
	s_waitcnt lgkmcnt(0)
	s_barrier
.LBB2773_6:
	s_andn2_b64 vcc, exec, s[2:3]
	v_cmp_gt_u32_e64 s[2:3], s33, v0
	s_cbranch_vccnz .LBB2773_28
; %bb.7:
                                        ; implicit-def: $vgpr2_vgpr3_vgpr4_vgpr5_vgpr6_vgpr7_vgpr8_vgpr9_vgpr10_vgpr11
	s_and_saveexec_b64 s[6:7], s[2:3]
	s_cbranch_execz .LBB2773_9
; %bb.8:
	v_add_co_u32_e32 v2, vcc, v1, v26
	v_addc_co_u32_e32 v3, vcc, 0, v16, vcc
	flat_load_dword v2, v[2:3]
.LBB2773_9:
	s_or_b64 exec, exec, s[6:7]
	v_or_b32_e32 v17, 0x100, v0
	v_cmp_gt_u32_e32 vcc, s33, v17
	s_and_saveexec_b64 s[2:3], vcc
	s_cbranch_execz .LBB2773_11
; %bb.10:
	v_add_co_u32_e32 v18, vcc, v1, v26
	v_addc_co_u32_e32 v19, vcc, 0, v16, vcc
	flat_load_dword v3, v[18:19] offset:1024
.LBB2773_11:
	s_or_b64 exec, exec, s[2:3]
	v_or_b32_e32 v17, 0x200, v0
	v_cmp_gt_u32_e32 vcc, s33, v17
	s_and_saveexec_b64 s[2:3], vcc
	s_cbranch_execz .LBB2773_13
; %bb.12:
	v_add_co_u32_e32 v18, vcc, v1, v26
	v_addc_co_u32_e32 v19, vcc, 0, v16, vcc
	flat_load_dword v4, v[18:19] offset:2048
.LBB2773_13:
	;; [unrolled: 10-line block ×3, first 2 shown]
	s_or_b64 exec, exec, s[2:3]
	v_or_b32_e32 v17, 0x400, v0
	v_cmp_gt_u32_e32 vcc, s33, v17
	s_and_saveexec_b64 s[2:3], vcc
	s_cbranch_execz .LBB2773_17
; %bb.16:
	v_lshlrev_b32_e32 v6, 2, v17
	v_add_co_u32_e32 v18, vcc, v1, v6
	v_addc_co_u32_e32 v19, vcc, 0, v16, vcc
	flat_load_dword v6, v[18:19]
.LBB2773_17:
	s_or_b64 exec, exec, s[2:3]
	v_or_b32_e32 v17, 0x500, v0
	v_cmp_gt_u32_e32 vcc, s33, v17
	s_and_saveexec_b64 s[2:3], vcc
	s_cbranch_execz .LBB2773_19
; %bb.18:
	v_lshlrev_b32_e32 v7, 2, v17
	v_add_co_u32_e32 v18, vcc, v1, v7
	v_addc_co_u32_e32 v19, vcc, 0, v16, vcc
	flat_load_dword v7, v[18:19]
.LBB2773_19:
	;; [unrolled: 11-line block ×6, first 2 shown]
	s_or_b64 exec, exec, s[2:3]
	s_waitcnt vmcnt(0) lgkmcnt(0)
	ds_write2st64_b32 v26, v2, v3 offset1:4
	ds_write2st64_b32 v26, v4, v5 offset0:8 offset1:12
	ds_write2st64_b32 v26, v6, v7 offset0:16 offset1:20
	;; [unrolled: 1-line block ×4, first 2 shown]
	s_waitcnt lgkmcnt(0)
	s_barrier
.LBB2773_28:
	v_mul_u32_u24_e32 v27, 10, v0
	v_lshlrev_b32_e32 v33, 2, v27
	ds_read2_b64 v[6:9], v33 offset1:1
	ds_read2_b64 v[2:5], v33 offset0:2 offset1:3
	ds_read_b64 v[10:11], v33 offset:32
	v_cndmask_b32_e64 v1, 0, 1, s[4:5]
	v_cmp_ne_u32_e64 s[2:3], 1, v1
	s_andn2_b64 vcc, exec, s[4:5]
	s_waitcnt lgkmcnt(2)
	v_xor_b32_e32 v25, -1, v6
	v_xor_b32_e32 v24, -1, v7
	;; [unrolled: 1-line block ×4, first 2 shown]
	s_waitcnt lgkmcnt(1)
	v_xor_b32_e32 v21, -1, v2
	v_xor_b32_e32 v20, -1, v3
	;; [unrolled: 1-line block ×4, first 2 shown]
	s_waitcnt lgkmcnt(0)
	v_xor_b32_e32 v17, -1, v10
	v_xor_b32_e32 v16, -1, v11
	s_barrier
	s_cbranch_vccnz .LBB2773_30
; %bb.29:
	v_mov_b32_e32 v1, 1
	v_and_b32_e32 v29, 1, v25
	v_and_b32_sdwa v30, v24, v1 dst_sel:BYTE_1 dst_unused:UNUSED_PAD src0_sel:DWORD src1_sel:DWORD
	v_and_b32_e32 v31, 1, v23
	v_and_b32_sdwa v32, v22, v1 dst_sel:BYTE_1 dst_unused:UNUSED_PAD src0_sel:DWORD src1_sel:DWORD
	;; [unrolled: 2-line block ×4, first 2 shown]
	v_or_b32_e32 v29, v29, v30
	v_or_b32_sdwa v30, v31, v32 dst_sel:WORD_1 dst_unused:UNUSED_PAD src0_sel:DWORD src1_sel:DWORD
	v_or_b32_sdwa v30, v29, v30 dst_sel:DWORD dst_unused:UNUSED_PAD src0_sel:WORD_0 src1_sel:DWORD
	v_or_b32_e32 v29, v34, v35
	v_or_b32_sdwa v31, v36, v37 dst_sel:WORD_1 dst_unused:UNUSED_PAD src0_sel:DWORD src1_sel:DWORD
	v_and_b32_e32 v28, 1, v17
	v_and_b32_e32 v1, 1, v16
	v_or_b32_sdwa v29, v29, v31 dst_sel:DWORD dst_unused:UNUSED_PAD src0_sel:WORD_0 src1_sel:DWORD
	s_cbranch_execz .LBB2773_31
	s_branch .LBB2773_32
.LBB2773_30:
                                        ; implicit-def: $vgpr1
                                        ; implicit-def: $vgpr28
                                        ; implicit-def: $vgpr29
                                        ; implicit-def: $vgpr30
.LBB2773_31:
	v_or_b32_e32 v36, 1, v27
	v_cmp_gt_u32_e32 vcc, s33, v27
	v_add_u32_e32 v1, 2, v27
	v_cndmask_b32_e64 v37, 0, 1, vcc
	v_cmp_gt_u32_e32 vcc, s33, v36
	v_add_u32_e32 v35, 3, v27
	v_cndmask_b32_e64 v36, 0, 1, vcc
	;; [unrolled: 3-line block ×3, first 2 shown]
	v_cmp_gt_u32_e32 vcc, s33, v35
	v_add_u32_e32 v34, 5, v27
	v_and_b32_e32 v23, v1, v23
	v_cndmask_b32_e64 v1, 0, 1, vcc
	v_cmp_gt_u32_e32 vcc, s33, v28
	v_add_u32_e32 v29, 6, v27
	v_and_b32_sdwa v22, v1, v22 dst_sel:BYTE_1 dst_unused:UNUSED_PAD src0_sel:DWORD src1_sel:DWORD
	v_cndmask_b32_e64 v1, 0, 1, vcc
	v_cmp_gt_u32_e32 vcc, s33, v34
	v_add_u32_e32 v32, 7, v27
	v_and_b32_e32 v21, v1, v21
	v_cndmask_b32_e64 v1, 0, 1, vcc
	v_cmp_gt_u32_e32 vcc, s33, v29
	v_add_u32_e32 v30, 8, v27
	v_and_b32_sdwa v20, v1, v20 dst_sel:BYTE_1 dst_unused:UNUSED_PAD src0_sel:DWORD src1_sel:DWORD
	v_cndmask_b32_e64 v1, 0, 1, vcc
	v_cmp_gt_u32_e32 vcc, s33, v32
	v_add_u32_e32 v31, 9, v27
	v_and_b32_e32 v19, v1, v19
	v_cndmask_b32_e64 v1, 0, 1, vcc
	v_cmp_gt_u32_e32 vcc, s33, v30
	v_and_b32_sdwa v18, v1, v18 dst_sel:BYTE_1 dst_unused:UNUSED_PAD src0_sel:DWORD src1_sel:DWORD
	v_cndmask_b32_e64 v1, 0, 1, vcc
	v_cmp_gt_u32_e32 vcc, s33, v31
	v_and_b32_e32 v25, v37, v25
	v_and_b32_sdwa v24, v36, v24 dst_sel:BYTE_1 dst_unused:UNUSED_PAD src0_sel:DWORD src1_sel:DWORD
	v_and_b32_e32 v28, v1, v17
	v_cndmask_b32_e64 v1, 0, 1, vcc
	v_and_b32_e32 v1, v1, v16
	v_or_b32_e32 v16, v25, v24
	v_or_b32_sdwa v17, v23, v22 dst_sel:WORD_1 dst_unused:UNUSED_PAD src0_sel:DWORD src1_sel:DWORD
	v_or_b32_sdwa v30, v16, v17 dst_sel:DWORD dst_unused:UNUSED_PAD src0_sel:WORD_0 src1_sel:DWORD
	v_or_b32_e32 v16, v21, v20
	v_or_b32_sdwa v17, v19, v18 dst_sel:WORD_1 dst_unused:UNUSED_PAD src0_sel:DWORD src1_sel:DWORD
	v_or_b32_sdwa v29, v16, v17 dst_sel:DWORD dst_unused:UNUSED_PAD src0_sel:WORD_0 src1_sel:DWORD
.LBB2773_32:
	v_bfe_u32 v34, v30, 16, 8
	v_lshrrev_b32_e32 v32, 24, v30
	v_add_u32_sdwa v17, v30, v30 dst_sel:DWORD dst_unused:UNUSED_PAD src0_sel:BYTE_1 src1_sel:BYTE_0
	v_and_b32_e32 v35, 0xff, v29
	v_bfe_u32 v36, v29, 8, 8
	v_add3_u32 v17, v17, v34, v32
	v_bfe_u32 v37, v29, 16, 8
	v_lshrrev_b32_e32 v31, 24, v29
	v_add3_u32 v17, v17, v35, v36
	v_and_b32_e32 v38, 0xff, v28
	v_and_b32_e32 v16, 0xff, v1
	v_add3_u32 v17, v17, v37, v31
	v_add3_u32 v41, v17, v38, v16
	v_mbcnt_lo_u32_b32 v16, -1, 0
	v_mbcnt_hi_u32_b32 v39, -1, v16
	v_and_b32_e32 v16, 15, v39
	v_cmp_eq_u32_e64 s[16:17], 0, v16
	v_cmp_lt_u32_e64 s[14:15], 1, v16
	v_cmp_lt_u32_e64 s[12:13], 3, v16
	v_cmp_lt_u32_e64 s[10:11], 7, v16
	v_and_b32_e32 v16, 16, v39
	v_cmp_eq_u32_e64 s[8:9], 0, v16
	v_or_b32_e32 v16, 63, v0
	s_cmp_lg_u32 s38, 0
	v_cmp_lt_u32_e64 s[4:5], 31, v39
	v_lshrrev_b32_e32 v40, 6, v0
	v_cmp_eq_u32_e64 s[6:7], v16, v0
	s_cbranch_scc0 .LBB2773_59
; %bb.33:
	v_mov_b32_dpp v16, v41 row_shr:1 row_mask:0xf bank_mask:0xf
	v_cndmask_b32_e64 v16, v16, 0, s[16:17]
	v_add_u32_e32 v16, v16, v41
	s_nop 1
	v_mov_b32_dpp v17, v16 row_shr:2 row_mask:0xf bank_mask:0xf
	v_cndmask_b32_e64 v17, 0, v17, s[14:15]
	v_add_u32_e32 v16, v16, v17
	s_nop 1
	;; [unrolled: 4-line block ×4, first 2 shown]
	v_mov_b32_dpp v17, v16 row_bcast:15 row_mask:0xf bank_mask:0xf
	v_cndmask_b32_e64 v17, v17, 0, s[8:9]
	v_add_u32_e32 v16, v16, v17
	s_nop 1
	v_mov_b32_dpp v17, v16 row_bcast:31 row_mask:0xf bank_mask:0xf
	v_cndmask_b32_e64 v17, 0, v17, s[4:5]
	v_add_u32_e32 v16, v16, v17
	s_and_saveexec_b64 s[18:19], s[6:7]
	s_cbranch_execz .LBB2773_35
; %bb.34:
	v_lshlrev_b32_e32 v17, 2, v40
	ds_write_b32 v17, v16
.LBB2773_35:
	s_or_b64 exec, exec, s[18:19]
	v_cmp_gt_u32_e32 vcc, 4, v0
	s_waitcnt lgkmcnt(0)
	s_barrier
	s_and_saveexec_b64 s[18:19], vcc
	s_cbranch_execz .LBB2773_37
; %bb.36:
	ds_read_b32 v17, v26
	v_and_b32_e32 v18, 3, v39
	v_cmp_ne_u32_e32 vcc, 0, v18
	s_waitcnt lgkmcnt(0)
	v_mov_b32_dpp v19, v17 row_shr:1 row_mask:0xf bank_mask:0xf
	v_cndmask_b32_e32 v19, 0, v19, vcc
	v_add_u32_e32 v17, v19, v17
	v_cmp_lt_u32_e32 vcc, 1, v18
	s_nop 0
	v_mov_b32_dpp v19, v17 row_shr:2 row_mask:0xf bank_mask:0xf
	v_cndmask_b32_e32 v18, 0, v19, vcc
	v_add_u32_e32 v17, v17, v18
	ds_write_b32 v26, v17
.LBB2773_37:
	s_or_b64 exec, exec, s[18:19]
	v_cmp_gt_u32_e32 vcc, 64, v0
	v_cmp_lt_u32_e64 s[18:19], 63, v0
	s_waitcnt lgkmcnt(0)
	s_barrier
	s_waitcnt lgkmcnt(0)
                                        ; implicit-def: $vgpr42
	s_and_saveexec_b64 s[24:25], s[18:19]
	s_cbranch_execz .LBB2773_39
; %bb.38:
	v_lshl_add_u32 v17, v40, 2, -4
	ds_read_b32 v42, v17
	s_waitcnt lgkmcnt(0)
	v_add_u32_e32 v16, v42, v16
.LBB2773_39:
	s_or_b64 exec, exec, s[24:25]
	v_add_u32_e32 v17, -1, v39
	v_and_b32_e32 v18, 64, v39
	v_cmp_lt_i32_e64 s[18:19], v17, v18
	v_cndmask_b32_e64 v17, v17, v39, s[18:19]
	v_lshlrev_b32_e32 v17, 2, v17
	ds_bpermute_b32 v43, v17, v16
	v_cmp_eq_u32_e64 s[18:19], 0, v39
	s_and_saveexec_b64 s[24:25], vcc
	s_cbranch_execz .LBB2773_58
; %bb.40:
	v_mov_b32_e32 v23, 0
	ds_read_b32 v16, v23 offset:12
	s_and_saveexec_b64 s[34:35], s[18:19]
	s_cbranch_execz .LBB2773_42
; %bb.41:
	s_add_i32 s36, s38, 64
	s_mov_b32 s37, 0
	s_lshl_b64 s[36:37], s[36:37], 3
	s_add_u32 s36, s30, s36
	v_mov_b32_e32 v17, 1
	s_addc_u32 s37, s31, s37
	s_waitcnt lgkmcnt(0)
	global_store_dwordx2 v23, v[16:17], s[36:37]
.LBB2773_42:
	s_or_b64 exec, exec, s[34:35]
	v_xad_u32 v18, v39, -1, s38
	v_add_u32_e32 v22, 64, v18
	v_lshlrev_b64 v[20:21], 3, v[22:23]
	v_mov_b32_e32 v17, s31
	v_add_co_u32_e32 v24, vcc, s30, v20
	v_addc_co_u32_e32 v25, vcc, v17, v21, vcc
	global_load_dwordx2 v[20:21], v[24:25], off glc
	s_waitcnt vmcnt(0)
	v_cmp_eq_u16_sdwa s[36:37], v21, v23 src0_sel:BYTE_0 src1_sel:DWORD
	s_and_saveexec_b64 s[34:35], s[36:37]
	s_cbranch_execz .LBB2773_46
; %bb.43:
	s_mov_b64 s[36:37], 0
	v_mov_b32_e32 v17, 0
.LBB2773_44:                            ; =>This Inner Loop Header: Depth=1
	global_load_dwordx2 v[20:21], v[24:25], off glc
	s_waitcnt vmcnt(0)
	v_cmp_ne_u16_sdwa s[40:41], v21, v17 src0_sel:BYTE_0 src1_sel:DWORD
	s_or_b64 s[36:37], s[40:41], s[36:37]
	s_andn2_b64 exec, exec, s[36:37]
	s_cbranch_execnz .LBB2773_44
; %bb.45:
	s_or_b64 exec, exec, s[36:37]
.LBB2773_46:
	s_or_b64 exec, exec, s[34:35]
	v_and_b32_e32 v45, 63, v39
	v_mov_b32_e32 v44, 2
	v_cmp_ne_u32_e32 vcc, 63, v45
	v_cmp_eq_u16_sdwa s[34:35], v21, v44 src0_sel:BYTE_0 src1_sel:DWORD
	v_lshlrev_b64 v[22:23], v39, -1
	v_addc_co_u32_e32 v24, vcc, 0, v39, vcc
	v_and_b32_e32 v17, s35, v23
	v_lshlrev_b32_e32 v46, 2, v24
	v_or_b32_e32 v17, 0x80000000, v17
	ds_bpermute_b32 v24, v46, v20
	v_and_b32_e32 v19, s34, v22
	v_ffbl_b32_e32 v17, v17
	v_add_u32_e32 v17, 32, v17
	v_ffbl_b32_e32 v19, v19
	v_min_u32_e32 v17, v19, v17
	v_cmp_lt_u32_e32 vcc, v45, v17
	s_waitcnt lgkmcnt(0)
	v_cndmask_b32_e32 v19, 0, v24, vcc
	v_cmp_gt_u32_e32 vcc, 62, v45
	v_add_u32_e32 v19, v19, v20
	v_cndmask_b32_e64 v20, 0, 1, vcc
	v_lshlrev_b32_e32 v20, 1, v20
	v_add_lshl_u32 v47, v20, v39, 2
	ds_bpermute_b32 v20, v47, v19
	v_add_u32_e32 v48, 2, v45
	v_cmp_le_u32_e32 vcc, v48, v17
	v_add_u32_e32 v50, 4, v45
	v_add_u32_e32 v52, 8, v45
	s_waitcnt lgkmcnt(0)
	v_cndmask_b32_e32 v20, 0, v20, vcc
	v_cmp_gt_u32_e32 vcc, 60, v45
	v_add_u32_e32 v19, v19, v20
	v_cndmask_b32_e64 v20, 0, 1, vcc
	v_lshlrev_b32_e32 v20, 2, v20
	v_add_lshl_u32 v49, v20, v39, 2
	ds_bpermute_b32 v20, v49, v19
	v_cmp_le_u32_e32 vcc, v50, v17
	v_add_u32_e32 v54, 16, v45
	v_add_u32_e32 v56, 32, v45
	s_waitcnt lgkmcnt(0)
	v_cndmask_b32_e32 v20, 0, v20, vcc
	v_cmp_gt_u32_e32 vcc, 56, v45
	v_add_u32_e32 v19, v19, v20
	v_cndmask_b32_e64 v20, 0, 1, vcc
	v_lshlrev_b32_e32 v20, 3, v20
	v_add_lshl_u32 v51, v20, v39, 2
	ds_bpermute_b32 v20, v51, v19
	v_cmp_le_u32_e32 vcc, v52, v17
	s_waitcnt lgkmcnt(0)
	v_cndmask_b32_e32 v20, 0, v20, vcc
	v_cmp_gt_u32_e32 vcc, 48, v45
	v_add_u32_e32 v19, v19, v20
	v_cndmask_b32_e64 v20, 0, 1, vcc
	v_lshlrev_b32_e32 v20, 4, v20
	v_add_lshl_u32 v53, v20, v39, 2
	ds_bpermute_b32 v20, v53, v19
	v_cmp_le_u32_e32 vcc, v54, v17
	;; [unrolled: 9-line block ×3, first 2 shown]
	s_waitcnt lgkmcnt(0)
	v_cndmask_b32_e32 v17, 0, v20, vcc
	v_add_u32_e32 v20, v19, v17
	v_mov_b32_e32 v19, 0
	s_branch .LBB2773_48
.LBB2773_47:                            ;   in Loop: Header=BB2773_48 Depth=1
	s_or_b64 exec, exec, s[34:35]
	v_cmp_eq_u16_sdwa s[34:35], v21, v44 src0_sel:BYTE_0 src1_sel:DWORD
	v_and_b32_e32 v24, s35, v23
	v_or_b32_e32 v24, 0x80000000, v24
	ds_bpermute_b32 v57, v46, v20
	v_and_b32_e32 v25, s34, v22
	v_ffbl_b32_e32 v24, v24
	v_add_u32_e32 v24, 32, v24
	v_ffbl_b32_e32 v25, v25
	v_min_u32_e32 v24, v25, v24
	v_cmp_lt_u32_e32 vcc, v45, v24
	s_waitcnt lgkmcnt(0)
	v_cndmask_b32_e32 v25, 0, v57, vcc
	v_add_u32_e32 v20, v25, v20
	ds_bpermute_b32 v25, v47, v20
	v_cmp_le_u32_e32 vcc, v48, v24
	v_subrev_u32_e32 v18, 64, v18
	s_waitcnt lgkmcnt(0)
	v_cndmask_b32_e32 v25, 0, v25, vcc
	v_add_u32_e32 v20, v20, v25
	ds_bpermute_b32 v25, v49, v20
	v_cmp_le_u32_e32 vcc, v50, v24
	s_waitcnt lgkmcnt(0)
	v_cndmask_b32_e32 v25, 0, v25, vcc
	v_add_u32_e32 v20, v20, v25
	ds_bpermute_b32 v25, v51, v20
	v_cmp_le_u32_e32 vcc, v52, v24
	;; [unrolled: 5-line block ×4, first 2 shown]
	s_waitcnt lgkmcnt(0)
	v_cndmask_b32_e32 v24, 0, v25, vcc
	v_add3_u32 v20, v24, v17, v20
.LBB2773_48:                            ; =>This Loop Header: Depth=1
                                        ;     Child Loop BB2773_51 Depth 2
	v_cmp_ne_u16_sdwa s[34:35], v21, v44 src0_sel:BYTE_0 src1_sel:DWORD
	v_cndmask_b32_e64 v17, 0, 1, s[34:35]
	;;#ASMSTART
	;;#ASMEND
	v_cmp_ne_u32_e32 vcc, 0, v17
	s_cmp_lg_u64 vcc, exec
	v_mov_b32_e32 v17, v20
	s_cbranch_scc1 .LBB2773_53
; %bb.49:                               ;   in Loop: Header=BB2773_48 Depth=1
	v_lshlrev_b64 v[20:21], 3, v[18:19]
	v_mov_b32_e32 v25, s31
	v_add_co_u32_e32 v24, vcc, s30, v20
	v_addc_co_u32_e32 v25, vcc, v25, v21, vcc
	global_load_dwordx2 v[20:21], v[24:25], off glc
	s_waitcnt vmcnt(0)
	v_cmp_eq_u16_sdwa s[36:37], v21, v19 src0_sel:BYTE_0 src1_sel:DWORD
	s_and_saveexec_b64 s[34:35], s[36:37]
	s_cbranch_execz .LBB2773_47
; %bb.50:                               ;   in Loop: Header=BB2773_48 Depth=1
	s_mov_b64 s[36:37], 0
.LBB2773_51:                            ;   Parent Loop BB2773_48 Depth=1
                                        ; =>  This Inner Loop Header: Depth=2
	global_load_dwordx2 v[20:21], v[24:25], off glc
	s_waitcnt vmcnt(0)
	v_cmp_ne_u16_sdwa s[40:41], v21, v19 src0_sel:BYTE_0 src1_sel:DWORD
	s_or_b64 s[36:37], s[40:41], s[36:37]
	s_andn2_b64 exec, exec, s[36:37]
	s_cbranch_execnz .LBB2773_51
; %bb.52:                               ;   in Loop: Header=BB2773_48 Depth=1
	s_or_b64 exec, exec, s[36:37]
	s_branch .LBB2773_47
.LBB2773_53:                            ;   in Loop: Header=BB2773_48 Depth=1
                                        ; implicit-def: $vgpr20
                                        ; implicit-def: $vgpr21
	s_cbranch_execz .LBB2773_48
; %bb.54:
	s_and_saveexec_b64 s[34:35], s[18:19]
	s_cbranch_execz .LBB2773_56
; %bb.55:
	s_add_i32 s36, s38, 64
	s_mov_b32 s37, 0
	s_lshl_b64 s[36:37], s[36:37], 3
	s_add_u32 s36, s30, s36
	v_add_u32_e32 v18, v17, v16
	v_mov_b32_e32 v19, 2
	s_addc_u32 s37, s31, s37
	v_mov_b32_e32 v20, 0
	global_store_dwordx2 v20, v[18:19], s[36:37]
	ds_write_b64 v20, v[16:17] offset:10240
.LBB2773_56:
	s_or_b64 exec, exec, s[34:35]
	s_and_b64 exec, exec, s[0:1]
	s_cbranch_execz .LBB2773_58
; %bb.57:
	v_mov_b32_e32 v16, 0
	ds_write_b32 v16, v17 offset:12
.LBB2773_58:
	s_or_b64 exec, exec, s[24:25]
	v_mov_b32_e32 v16, 0
	s_waitcnt lgkmcnt(0)
	s_barrier
	ds_read_b32 v17, v16 offset:12
	v_cndmask_b32_e64 v18, v43, v42, s[18:19]
	v_cndmask_b32_e64 v18, v18, 0, s[0:1]
	s_waitcnt lgkmcnt(0)
	s_barrier
	v_add_u32_e32 v43, v17, v18
	v_add_u32_sdwa v42, v43, v30 dst_sel:DWORD dst_unused:UNUSED_PAD src0_sel:DWORD src1_sel:BYTE_0
	v_add_u32_sdwa v25, v42, v30 dst_sel:DWORD dst_unused:UNUSED_PAD src0_sel:DWORD src1_sel:BYTE_1
	v_add_u32_e32 v24, v25, v34
	v_add_u32_e32 v23, v24, v32
	;; [unrolled: 1-line block ×3, first 2 shown]
	ds_read_b64 v[16:17], v16 offset:10240
	v_add_u32_e32 v21, v22, v36
	v_add_u32_e32 v20, v21, v37
	;; [unrolled: 1-line block ×4, first 2 shown]
	s_branch .LBB2773_69
.LBB2773_59:
                                        ; implicit-def: $vgpr17
                                        ; implicit-def: $vgpr18
                                        ; implicit-def: $vgpr19
                                        ; implicit-def: $vgpr20
                                        ; implicit-def: $vgpr21
                                        ; implicit-def: $vgpr22
                                        ; implicit-def: $vgpr23
                                        ; implicit-def: $vgpr24
                                        ; implicit-def: $vgpr25
                                        ; implicit-def: $vgpr42
                                        ; implicit-def: $vgpr43
	s_cbranch_execz .LBB2773_69
; %bb.60:
	s_waitcnt lgkmcnt(0)
	v_mov_b32_dpp v16, v41 row_shr:1 row_mask:0xf bank_mask:0xf
	v_cndmask_b32_e64 v16, v16, 0, s[16:17]
	v_add_u32_e32 v16, v16, v41
	s_nop 1
	v_mov_b32_dpp v17, v16 row_shr:2 row_mask:0xf bank_mask:0xf
	v_cndmask_b32_e64 v17, 0, v17, s[14:15]
	v_add_u32_e32 v16, v16, v17
	s_nop 1
	;; [unrolled: 4-line block ×4, first 2 shown]
	v_mov_b32_dpp v17, v16 row_bcast:15 row_mask:0xf bank_mask:0xf
	v_cndmask_b32_e64 v17, v17, 0, s[8:9]
	v_add_u32_e32 v16, v16, v17
	s_nop 1
	v_mov_b32_dpp v17, v16 row_bcast:31 row_mask:0xf bank_mask:0xf
	v_cndmask_b32_e64 v17, 0, v17, s[4:5]
	v_add_u32_e32 v16, v16, v17
	s_and_saveexec_b64 s[4:5], s[6:7]
	s_cbranch_execz .LBB2773_62
; %bb.61:
	v_lshlrev_b32_e32 v17, 2, v40
	ds_write_b32 v17, v16
.LBB2773_62:
	s_or_b64 exec, exec, s[4:5]
	v_cmp_gt_u32_e32 vcc, 4, v0
	s_waitcnt lgkmcnt(0)
	s_barrier
	s_and_saveexec_b64 s[4:5], vcc
	s_cbranch_execz .LBB2773_64
; %bb.63:
	s_movk_i32 s6, 0xffdc
	v_mad_i32_i24 v17, v0, s6, v33
	ds_read_b32 v18, v17
	v_and_b32_e32 v19, 3, v39
	v_cmp_ne_u32_e32 vcc, 0, v19
	s_waitcnt lgkmcnt(0)
	v_mov_b32_dpp v20, v18 row_shr:1 row_mask:0xf bank_mask:0xf
	v_cndmask_b32_e32 v20, 0, v20, vcc
	v_add_u32_e32 v18, v20, v18
	v_cmp_lt_u32_e32 vcc, 1, v19
	s_nop 0
	v_mov_b32_dpp v20, v18 row_shr:2 row_mask:0xf bank_mask:0xf
	v_cndmask_b32_e32 v19, 0, v20, vcc
	v_add_u32_e32 v18, v18, v19
	ds_write_b32 v17, v18
.LBB2773_64:
	s_or_b64 exec, exec, s[4:5]
	v_cmp_lt_u32_e32 vcc, 63, v0
	v_mov_b32_e32 v17, 0
	v_mov_b32_e32 v18, 0
	s_waitcnt lgkmcnt(0)
	s_barrier
	s_and_saveexec_b64 s[4:5], vcc
	s_cbranch_execz .LBB2773_66
; %bb.65:
	v_lshl_add_u32 v18, v40, 2, -4
	ds_read_b32 v18, v18
.LBB2773_66:
	s_or_b64 exec, exec, s[4:5]
	v_add_u32_e32 v19, -1, v39
	v_and_b32_e32 v20, 64, v39
	v_cmp_lt_i32_e32 vcc, v19, v20
	v_cndmask_b32_e32 v19, v19, v39, vcc
	s_waitcnt lgkmcnt(0)
	v_add_u32_e32 v16, v18, v16
	v_lshlrev_b32_e32 v19, 2, v19
	ds_bpermute_b32 v19, v19, v16
	ds_read_b32 v16, v17 offset:12
	s_and_saveexec_b64 s[4:5], s[0:1]
	s_cbranch_execz .LBB2773_68
; %bb.67:
	v_mov_b32_e32 v20, 0
	v_mov_b32_e32 v17, 2
	s_waitcnt lgkmcnt(0)
	global_store_dwordx2 v20, v[16:17], s[30:31] offset:512
.LBB2773_68:
	s_or_b64 exec, exec, s[4:5]
	v_cmp_eq_u32_e32 vcc, 0, v39
	s_waitcnt lgkmcnt(1)
	v_cndmask_b32_e32 v18, v19, v18, vcc
	v_cndmask_b32_e64 v43, v18, 0, s[0:1]
	v_add_u32_sdwa v42, v43, v30 dst_sel:DWORD dst_unused:UNUSED_PAD src0_sel:DWORD src1_sel:BYTE_0
	v_add_u32_sdwa v25, v42, v30 dst_sel:DWORD dst_unused:UNUSED_PAD src0_sel:DWORD src1_sel:BYTE_1
	v_add_u32_e32 v24, v25, v34
	v_add_u32_e32 v23, v24, v32
	v_add_u32_e32 v22, v23, v35
	v_add_u32_e32 v21, v22, v36
	v_add_u32_e32 v20, v21, v37
	v_add_u32_e32 v19, v20, v31
	v_mov_b32_e32 v17, 0
	v_add_u32_e32 v18, v19, v38
	s_waitcnt lgkmcnt(0)
	s_barrier
.LBB2773_69:
	s_waitcnt lgkmcnt(0)
	v_add_u32_e32 v27, v16, v27
	v_sub_u32_e32 v35, v43, v17
	v_and_b32_e32 v37, 1, v30
	v_sub_u32_e32 v36, v27, v35
	v_cmp_eq_u32_e32 vcc, 1, v37
	v_cndmask_b32_e32 v35, v36, v35, vcc
	v_lshlrev_b32_e32 v35, 2, v35
	v_lshrrev_b32_e32 v34, 8, v30
	ds_write_b32 v35, v6
	v_sub_u32_e32 v6, v42, v17
	v_sub_u32_e32 v35, v27, v6
	v_and_b32_e32 v34, 1, v34
	v_add_u32_e32 v35, 1, v35
	v_cmp_eq_u32_e32 vcc, 1, v34
	v_cndmask_b32_e32 v6, v35, v6, vcc
	v_lshlrev_b32_e32 v6, 2, v6
	ds_write_b32 v6, v7
	v_sub_u32_e32 v6, v25, v17
	v_mov_b32_e32 v25, 1
	v_sub_u32_e32 v7, v27, v6
	v_and_b32_sdwa v30, v25, v30 dst_sel:DWORD dst_unused:UNUSED_PAD src0_sel:DWORD src1_sel:WORD_1
	v_add_u32_e32 v7, 2, v7
	v_cmp_eq_u32_e32 vcc, 1, v30
	v_cndmask_b32_e32 v6, v7, v6, vcc
	v_lshlrev_b32_e32 v6, 2, v6
	ds_write_b32 v6, v8
	v_sub_u32_e32 v6, v24, v17
	v_sub_u32_e32 v7, v27, v6
	v_and_b32_e32 v8, 1, v32
	v_add_u32_e32 v7, 3, v7
	v_cmp_eq_u32_e32 vcc, 1, v8
	v_cndmask_b32_e32 v6, v7, v6, vcc
	v_lshlrev_b32_e32 v6, 2, v6
	ds_write_b32 v6, v9
	v_sub_u32_e32 v6, v23, v17
	v_sub_u32_e32 v7, v27, v6
	v_and_b32_e32 v8, 1, v29
	v_add_u32_e32 v7, 4, v7
	v_cmp_eq_u32_e32 vcc, 1, v8
	v_cndmask_b32_e32 v6, v7, v6, vcc
	v_lshlrev_b32_e32 v6, 2, v6
	v_lshrrev_b32_e32 v33, 8, v29
	ds_write_b32 v6, v2
	v_sub_u32_e32 v2, v22, v17
	v_sub_u32_e32 v6, v27, v2
	v_and_b32_e32 v7, 1, v33
	v_add_u32_e32 v6, 5, v6
	v_cmp_eq_u32_e32 vcc, 1, v7
	v_cndmask_b32_e32 v2, v6, v2, vcc
	v_lshlrev_b32_e32 v2, 2, v2
	ds_write_b32 v2, v3
	v_sub_u32_e32 v2, v21, v17
	v_sub_u32_e32 v3, v27, v2
	v_and_b32_sdwa v6, v25, v29 dst_sel:DWORD dst_unused:UNUSED_PAD src0_sel:DWORD src1_sel:WORD_1
	v_add_u32_e32 v3, 6, v3
	v_cmp_eq_u32_e32 vcc, 1, v6
	v_cndmask_b32_e32 v2, v3, v2, vcc
	v_lshlrev_b32_e32 v2, 2, v2
	ds_write_b32 v2, v4
	v_sub_u32_e32 v2, v20, v17
	v_sub_u32_e32 v3, v27, v2
	v_and_b32_e32 v4, 1, v31
	v_add_u32_e32 v3, 7, v3
	v_cmp_eq_u32_e32 vcc, 1, v4
	v_cndmask_b32_e32 v2, v3, v2, vcc
	v_lshlrev_b32_e32 v2, 2, v2
	ds_write_b32 v2, v5
	v_sub_u32_e32 v2, v19, v17
	v_sub_u32_e32 v3, v27, v2
	v_and_b32_e32 v4, 1, v28
	;; [unrolled: 8-line block ×3, first 2 shown]
	v_add_u32_e32 v3, 9, v3
	v_cmp_eq_u32_e32 vcc, 1, v1
	v_cndmask_b32_e32 v1, v3, v2, vcc
	v_lshlrev_b32_e32 v1, 2, v1
	ds_write_b32 v1, v11
	s_waitcnt vmcnt(0)
	v_add_co_u32_e32 v1, vcc, v12, v16
	v_addc_co_u32_e32 v3, vcc, 0, v13, vcc
	v_add_co_u32_e32 v2, vcc, v1, v17
	v_addc_co_u32_e32 v3, vcc, 0, v3, vcc
	v_mov_b32_e32 v1, s27
	v_sub_co_u32_e32 v12, vcc, s26, v2
	v_subb_co_u32_e32 v13, vcc, v1, v3, vcc
	v_lshlrev_b64 v[12:13], 2, v[12:13]
	s_waitcnt lgkmcnt(0)
	s_barrier
	ds_read2st64_b32 v[20:21], v26 offset1:4
	ds_read2st64_b32 v[18:19], v26 offset0:8 offset1:12
	ds_read2st64_b32 v[10:11], v26 offset0:16 offset1:20
	;; [unrolled: 1-line block ×4, first 2 shown]
	v_mov_b32_e32 v1, s29
	v_add_co_u32_e32 v6, vcc, s28, v12
	v_addc_co_u32_e32 v1, vcc, v1, v13, vcc
	v_add_co_u32_e32 v6, vcc, v6, v14
	v_addc_co_u32_e32 v1, vcc, v1, v15, vcc
	v_or_b32_e32 v30, 0x100, v0
	v_or_b32_e32 v29, 0x200, v0
	;; [unrolled: 1-line block ×9, first 2 shown]
	s_and_b64 vcc, exec, s[2:3]
	v_cmp_le_u32_e64 s[2:3], v16, v0
	s_cbranch_vccnz .LBB2773_81
; %bb.70:
	s_and_saveexec_b64 s[4:5], s[2:3]
	s_cbranch_execnz .LBB2773_106
; %bb.71:
	s_or_b64 exec, exec, s[4:5]
	v_cmp_ge_u32_e32 vcc, v30, v16
	s_and_saveexec_b64 s[2:3], vcc
	s_cbranch_execnz .LBB2773_107
.LBB2773_72:
	s_or_b64 exec, exec, s[2:3]
	v_cmp_ge_u32_e32 vcc, v29, v16
	s_and_saveexec_b64 s[2:3], vcc
	s_cbranch_execnz .LBB2773_108
.LBB2773_73:
	s_or_b64 exec, exec, s[2:3]
	v_cmp_ge_u32_e32 vcc, v28, v16
	s_and_saveexec_b64 s[2:3], vcc
	s_cbranch_execnz .LBB2773_109
.LBB2773_74:
	s_or_b64 exec, exec, s[2:3]
	v_cmp_ge_u32_e32 vcc, v27, v16
	s_and_saveexec_b64 s[2:3], vcc
	s_cbranch_execnz .LBB2773_110
.LBB2773_75:
	s_or_b64 exec, exec, s[2:3]
	v_cmp_ge_u32_e32 vcc, v25, v16
	s_and_saveexec_b64 s[2:3], vcc
	s_cbranch_execnz .LBB2773_111
.LBB2773_76:
	s_or_b64 exec, exec, s[2:3]
	v_cmp_ge_u32_e32 vcc, v24, v16
	s_and_saveexec_b64 s[2:3], vcc
	s_cbranch_execnz .LBB2773_112
.LBB2773_77:
	s_or_b64 exec, exec, s[2:3]
	v_cmp_ge_u32_e32 vcc, v23, v16
	s_and_saveexec_b64 s[2:3], vcc
	s_cbranch_execnz .LBB2773_113
.LBB2773_78:
	s_or_b64 exec, exec, s[2:3]
	v_cmp_ge_u32_e32 vcc, v22, v16
	s_and_saveexec_b64 s[2:3], vcc
	s_cbranch_execz .LBB2773_80
.LBB2773_79:
	v_lshlrev_b32_e32 v12, 2, v22
	v_readfirstlane_b32 s4, v6
	v_readfirstlane_b32 s5, v1
	s_waitcnt lgkmcnt(0)
	s_nop 3
	global_store_dword v12, v4, s[4:5]
.LBB2773_80:
	s_or_b64 exec, exec, s[2:3]
	v_cmp_ge_u32_e64 s[2:3], v7, v16
	s_branch .LBB2773_101
.LBB2773_81:
	s_mov_b64 s[2:3], 0
	s_cbranch_execz .LBB2773_101
; %bb.82:
	v_cmp_gt_u32_e32 vcc, s33, v0
	v_cmp_le_u32_e64 s[2:3], v16, v0
	s_and_b64 s[4:5], vcc, s[2:3]
	s_and_saveexec_b64 s[2:3], s[4:5]
	s_cbranch_execz .LBB2773_84
; %bb.83:
	v_readfirstlane_b32 s4, v6
	v_readfirstlane_b32 s5, v1
	s_waitcnt lgkmcnt(4)
	s_nop 3
	global_store_dword v26, v20, s[4:5]
.LBB2773_84:
	s_or_b64 exec, exec, s[2:3]
	v_cmp_gt_u32_e32 vcc, s33, v30
	v_cmp_ge_u32_e64 s[2:3], v30, v16
	s_and_b64 s[4:5], vcc, s[2:3]
	s_and_saveexec_b64 s[2:3], s[4:5]
	s_cbranch_execz .LBB2773_86
; %bb.85:
	v_readfirstlane_b32 s4, v6
	v_readfirstlane_b32 s5, v1
	s_waitcnt lgkmcnt(4)
	s_nop 3
	global_store_dword v26, v21, s[4:5] offset:1024
.LBB2773_86:
	s_or_b64 exec, exec, s[2:3]
	v_cmp_gt_u32_e32 vcc, s33, v29
	v_cmp_ge_u32_e64 s[2:3], v29, v16
	s_and_b64 s[4:5], vcc, s[2:3]
	s_and_saveexec_b64 s[2:3], s[4:5]
	s_cbranch_execz .LBB2773_88
; %bb.87:
	v_readfirstlane_b32 s4, v6
	v_readfirstlane_b32 s5, v1
	s_waitcnt lgkmcnt(3)
	s_nop 3
	global_store_dword v26, v18, s[4:5] offset:2048
.LBB2773_88:
	s_or_b64 exec, exec, s[2:3]
	v_cmp_gt_u32_e32 vcc, s33, v28
	v_cmp_ge_u32_e64 s[2:3], v28, v16
	s_and_b64 s[4:5], vcc, s[2:3]
	s_and_saveexec_b64 s[2:3], s[4:5]
	s_cbranch_execz .LBB2773_90
; %bb.89:
	v_readfirstlane_b32 s4, v6
	v_readfirstlane_b32 s5, v1
	s_waitcnt lgkmcnt(3)
	s_nop 3
	global_store_dword v26, v19, s[4:5] offset:3072
.LBB2773_90:
	s_or_b64 exec, exec, s[2:3]
	v_cmp_gt_u32_e32 vcc, s33, v27
	v_cmp_ge_u32_e64 s[2:3], v27, v16
	s_and_b64 s[4:5], vcc, s[2:3]
	s_and_saveexec_b64 s[2:3], s[4:5]
	s_cbranch_execz .LBB2773_92
; %bb.91:
	v_lshlrev_b32_e32 v0, 2, v27
	v_readfirstlane_b32 s4, v6
	v_readfirstlane_b32 s5, v1
	s_waitcnt lgkmcnt(2)
	s_nop 3
	global_store_dword v0, v10, s[4:5]
.LBB2773_92:
	s_or_b64 exec, exec, s[2:3]
	v_cmp_gt_u32_e32 vcc, s33, v25
	v_cmp_ge_u32_e64 s[2:3], v25, v16
	s_and_b64 s[4:5], vcc, s[2:3]
	s_and_saveexec_b64 s[2:3], s[4:5]
	s_cbranch_execz .LBB2773_94
; %bb.93:
	v_lshlrev_b32_e32 v0, 2, v25
	v_readfirstlane_b32 s4, v6
	v_readfirstlane_b32 s5, v1
	s_waitcnt lgkmcnt(2)
	s_nop 3
	global_store_dword v0, v11, s[4:5]
.LBB2773_94:
	;; [unrolled: 14-line block ×5, first 2 shown]
	s_or_b64 exec, exec, s[2:3]
	v_cmp_gt_u32_e32 vcc, s33, v7
	v_cmp_ge_u32_e64 s[2:3], v7, v16
	s_and_b64 s[2:3], vcc, s[2:3]
.LBB2773_101:
	s_and_saveexec_b64 s[4:5], s[2:3]
	s_cbranch_execnz .LBB2773_104
; %bb.102:
	s_or_b64 exec, exec, s[4:5]
	s_and_b64 s[0:1], s[0:1], s[22:23]
	s_and_saveexec_b64 s[2:3], s[0:1]
	s_cbranch_execnz .LBB2773_105
.LBB2773_103:
	s_endpgm
.LBB2773_104:
	v_lshlrev_b32_e32 v0, 2, v7
	v_readfirstlane_b32 s2, v6
	v_readfirstlane_b32 s3, v1
	s_waitcnt lgkmcnt(0)
	s_nop 3
	global_store_dword v0, v5, s[2:3]
	s_or_b64 exec, exec, s[4:5]
	s_and_b64 s[0:1], s[0:1], s[22:23]
	s_and_saveexec_b64 s[2:3], s[0:1]
	s_cbranch_execz .LBB2773_103
.LBB2773_105:
	v_mov_b32_e32 v0, 0
	global_store_dwordx2 v0, v[2:3], s[20:21]
	s_endpgm
.LBB2773_106:
	v_readfirstlane_b32 s2, v6
	v_readfirstlane_b32 s3, v1
	s_waitcnt lgkmcnt(4)
	s_nop 3
	global_store_dword v26, v20, s[2:3]
	s_or_b64 exec, exec, s[4:5]
	v_cmp_ge_u32_e32 vcc, v30, v16
	s_and_saveexec_b64 s[2:3], vcc
	s_cbranch_execz .LBB2773_72
.LBB2773_107:
	v_readfirstlane_b32 s4, v6
	v_readfirstlane_b32 s5, v1
	s_waitcnt lgkmcnt(4)
	s_nop 3
	global_store_dword v26, v21, s[4:5] offset:1024
	s_or_b64 exec, exec, s[2:3]
	v_cmp_ge_u32_e32 vcc, v29, v16
	s_and_saveexec_b64 s[2:3], vcc
	s_cbranch_execz .LBB2773_73
.LBB2773_108:
	v_readfirstlane_b32 s4, v6
	v_readfirstlane_b32 s5, v1
	s_waitcnt lgkmcnt(3)
	s_nop 3
	global_store_dword v26, v18, s[4:5] offset:2048
	s_or_b64 exec, exec, s[2:3]
	v_cmp_ge_u32_e32 vcc, v28, v16
	s_and_saveexec_b64 s[2:3], vcc
	s_cbranch_execz .LBB2773_74
.LBB2773_109:
	v_readfirstlane_b32 s4, v6
	v_readfirstlane_b32 s5, v1
	s_waitcnt lgkmcnt(3)
	s_nop 3
	global_store_dword v26, v19, s[4:5] offset:3072
	s_or_b64 exec, exec, s[2:3]
	v_cmp_ge_u32_e32 vcc, v27, v16
	s_and_saveexec_b64 s[2:3], vcc
	s_cbranch_execz .LBB2773_75
.LBB2773_110:
	v_lshlrev_b32_e32 v12, 2, v27
	v_readfirstlane_b32 s4, v6
	v_readfirstlane_b32 s5, v1
	s_waitcnt lgkmcnt(2)
	s_nop 3
	global_store_dword v12, v10, s[4:5]
	s_or_b64 exec, exec, s[2:3]
	v_cmp_ge_u32_e32 vcc, v25, v16
	s_and_saveexec_b64 s[2:3], vcc
	s_cbranch_execz .LBB2773_76
.LBB2773_111:
	v_lshlrev_b32_e32 v12, 2, v25
	v_readfirstlane_b32 s4, v6
	v_readfirstlane_b32 s5, v1
	s_waitcnt lgkmcnt(2)
	s_nop 3
	global_store_dword v12, v11, s[4:5]
	s_or_b64 exec, exec, s[2:3]
	v_cmp_ge_u32_e32 vcc, v24, v16
	s_and_saveexec_b64 s[2:3], vcc
	s_cbranch_execz .LBB2773_77
.LBB2773_112:
	v_lshlrev_b32_e32 v12, 2, v24
	v_readfirstlane_b32 s4, v6
	v_readfirstlane_b32 s5, v1
	s_waitcnt lgkmcnt(1)
	s_nop 3
	global_store_dword v12, v8, s[4:5]
	s_or_b64 exec, exec, s[2:3]
	v_cmp_ge_u32_e32 vcc, v23, v16
	s_and_saveexec_b64 s[2:3], vcc
	s_cbranch_execz .LBB2773_78
.LBB2773_113:
	v_lshlrev_b32_e32 v12, 2, v23
	v_readfirstlane_b32 s4, v6
	v_readfirstlane_b32 s5, v1
	s_waitcnt lgkmcnt(1)
	s_nop 3
	global_store_dword v12, v9, s[4:5]
	s_or_b64 exec, exec, s[2:3]
	v_cmp_ge_u32_e32 vcc, v22, v16
	s_and_saveexec_b64 s[2:3], vcc
	s_cbranch_execnz .LBB2773_79
	s_branch .LBB2773_80
	.section	.rodata,"a",@progbits
	.p2align	6, 0x0
	.amdhsa_kernel _ZN7rocprim17ROCPRIM_400000_NS6detail17trampoline_kernelINS0_14default_configENS1_25partition_config_selectorILNS1_17partition_subalgoE0EiNS0_10empty_typeEbEEZZNS1_14partition_implILS5_0ELb0ES3_jN6thrust23THRUST_200600_302600_NS6detail15normal_iteratorINSA_10device_ptrIiEEEEPS6_SG_NS0_5tupleIJNSA_16discard_iteratorINSA_11use_defaultEEESF_EEENSH_IJSG_SG_EEES6_PlJ7is_evenIiEEEE10hipError_tPvRmT3_T4_T5_T6_T7_T9_mT8_P12ihipStream_tbDpT10_ENKUlT_T0_E_clISt17integral_constantIbLb0EES18_IbLb1EEEEDaS14_S15_EUlS14_E_NS1_11comp_targetILNS1_3genE4ELNS1_11target_archE910ELNS1_3gpuE8ELNS1_3repE0EEENS1_30default_config_static_selectorELNS0_4arch9wavefront6targetE1EEEvT1_
		.amdhsa_group_segment_fixed_size 10248
		.amdhsa_private_segment_fixed_size 0
		.amdhsa_kernarg_size 144
		.amdhsa_user_sgpr_count 6
		.amdhsa_user_sgpr_private_segment_buffer 1
		.amdhsa_user_sgpr_dispatch_ptr 0
		.amdhsa_user_sgpr_queue_ptr 0
		.amdhsa_user_sgpr_kernarg_segment_ptr 1
		.amdhsa_user_sgpr_dispatch_id 0
		.amdhsa_user_sgpr_flat_scratch_init 0
		.amdhsa_user_sgpr_kernarg_preload_length 0
		.amdhsa_user_sgpr_kernarg_preload_offset 0
		.amdhsa_user_sgpr_private_segment_size 0
		.amdhsa_uses_dynamic_stack 0
		.amdhsa_system_sgpr_private_segment_wavefront_offset 0
		.amdhsa_system_sgpr_workgroup_id_x 1
		.amdhsa_system_sgpr_workgroup_id_y 0
		.amdhsa_system_sgpr_workgroup_id_z 0
		.amdhsa_system_sgpr_workgroup_info 0
		.amdhsa_system_vgpr_workitem_id 0
		.amdhsa_next_free_vgpr 58
		.amdhsa_next_free_sgpr 42
		.amdhsa_accum_offset 60
		.amdhsa_reserve_vcc 1
		.amdhsa_reserve_flat_scratch 0
		.amdhsa_float_round_mode_32 0
		.amdhsa_float_round_mode_16_64 0
		.amdhsa_float_denorm_mode_32 3
		.amdhsa_float_denorm_mode_16_64 3
		.amdhsa_dx10_clamp 1
		.amdhsa_ieee_mode 1
		.amdhsa_fp16_overflow 0
		.amdhsa_tg_split 0
		.amdhsa_exception_fp_ieee_invalid_op 0
		.amdhsa_exception_fp_denorm_src 0
		.amdhsa_exception_fp_ieee_div_zero 0
		.amdhsa_exception_fp_ieee_overflow 0
		.amdhsa_exception_fp_ieee_underflow 0
		.amdhsa_exception_fp_ieee_inexact 0
		.amdhsa_exception_int_div_zero 0
	.end_amdhsa_kernel
	.section	.text._ZN7rocprim17ROCPRIM_400000_NS6detail17trampoline_kernelINS0_14default_configENS1_25partition_config_selectorILNS1_17partition_subalgoE0EiNS0_10empty_typeEbEEZZNS1_14partition_implILS5_0ELb0ES3_jN6thrust23THRUST_200600_302600_NS6detail15normal_iteratorINSA_10device_ptrIiEEEEPS6_SG_NS0_5tupleIJNSA_16discard_iteratorINSA_11use_defaultEEESF_EEENSH_IJSG_SG_EEES6_PlJ7is_evenIiEEEE10hipError_tPvRmT3_T4_T5_T6_T7_T9_mT8_P12ihipStream_tbDpT10_ENKUlT_T0_E_clISt17integral_constantIbLb0EES18_IbLb1EEEEDaS14_S15_EUlS14_E_NS1_11comp_targetILNS1_3genE4ELNS1_11target_archE910ELNS1_3gpuE8ELNS1_3repE0EEENS1_30default_config_static_selectorELNS0_4arch9wavefront6targetE1EEEvT1_,"axG",@progbits,_ZN7rocprim17ROCPRIM_400000_NS6detail17trampoline_kernelINS0_14default_configENS1_25partition_config_selectorILNS1_17partition_subalgoE0EiNS0_10empty_typeEbEEZZNS1_14partition_implILS5_0ELb0ES3_jN6thrust23THRUST_200600_302600_NS6detail15normal_iteratorINSA_10device_ptrIiEEEEPS6_SG_NS0_5tupleIJNSA_16discard_iteratorINSA_11use_defaultEEESF_EEENSH_IJSG_SG_EEES6_PlJ7is_evenIiEEEE10hipError_tPvRmT3_T4_T5_T6_T7_T9_mT8_P12ihipStream_tbDpT10_ENKUlT_T0_E_clISt17integral_constantIbLb0EES18_IbLb1EEEEDaS14_S15_EUlS14_E_NS1_11comp_targetILNS1_3genE4ELNS1_11target_archE910ELNS1_3gpuE8ELNS1_3repE0EEENS1_30default_config_static_selectorELNS0_4arch9wavefront6targetE1EEEvT1_,comdat
.Lfunc_end2773:
	.size	_ZN7rocprim17ROCPRIM_400000_NS6detail17trampoline_kernelINS0_14default_configENS1_25partition_config_selectorILNS1_17partition_subalgoE0EiNS0_10empty_typeEbEEZZNS1_14partition_implILS5_0ELb0ES3_jN6thrust23THRUST_200600_302600_NS6detail15normal_iteratorINSA_10device_ptrIiEEEEPS6_SG_NS0_5tupleIJNSA_16discard_iteratorINSA_11use_defaultEEESF_EEENSH_IJSG_SG_EEES6_PlJ7is_evenIiEEEE10hipError_tPvRmT3_T4_T5_T6_T7_T9_mT8_P12ihipStream_tbDpT10_ENKUlT_T0_E_clISt17integral_constantIbLb0EES18_IbLb1EEEEDaS14_S15_EUlS14_E_NS1_11comp_targetILNS1_3genE4ELNS1_11target_archE910ELNS1_3gpuE8ELNS1_3repE0EEENS1_30default_config_static_selectorELNS0_4arch9wavefront6targetE1EEEvT1_, .Lfunc_end2773-_ZN7rocprim17ROCPRIM_400000_NS6detail17trampoline_kernelINS0_14default_configENS1_25partition_config_selectorILNS1_17partition_subalgoE0EiNS0_10empty_typeEbEEZZNS1_14partition_implILS5_0ELb0ES3_jN6thrust23THRUST_200600_302600_NS6detail15normal_iteratorINSA_10device_ptrIiEEEEPS6_SG_NS0_5tupleIJNSA_16discard_iteratorINSA_11use_defaultEEESF_EEENSH_IJSG_SG_EEES6_PlJ7is_evenIiEEEE10hipError_tPvRmT3_T4_T5_T6_T7_T9_mT8_P12ihipStream_tbDpT10_ENKUlT_T0_E_clISt17integral_constantIbLb0EES18_IbLb1EEEEDaS14_S15_EUlS14_E_NS1_11comp_targetILNS1_3genE4ELNS1_11target_archE910ELNS1_3gpuE8ELNS1_3repE0EEENS1_30default_config_static_selectorELNS0_4arch9wavefront6targetE1EEEvT1_
                                        ; -- End function
	.section	.AMDGPU.csdata,"",@progbits
; Kernel info:
; codeLenInByte = 5220
; NumSgprs: 46
; NumVgprs: 58
; NumAgprs: 0
; TotalNumVgprs: 58
; ScratchSize: 0
; MemoryBound: 0
; FloatMode: 240
; IeeeMode: 1
; LDSByteSize: 10248 bytes/workgroup (compile time only)
; SGPRBlocks: 5
; VGPRBlocks: 7
; NumSGPRsForWavesPerEU: 46
; NumVGPRsForWavesPerEU: 58
; AccumOffset: 60
; Occupancy: 6
; WaveLimiterHint : 1
; COMPUTE_PGM_RSRC2:SCRATCH_EN: 0
; COMPUTE_PGM_RSRC2:USER_SGPR: 6
; COMPUTE_PGM_RSRC2:TRAP_HANDLER: 0
; COMPUTE_PGM_RSRC2:TGID_X_EN: 1
; COMPUTE_PGM_RSRC2:TGID_Y_EN: 0
; COMPUTE_PGM_RSRC2:TGID_Z_EN: 0
; COMPUTE_PGM_RSRC2:TIDIG_COMP_CNT: 0
; COMPUTE_PGM_RSRC3_GFX90A:ACCUM_OFFSET: 14
; COMPUTE_PGM_RSRC3_GFX90A:TG_SPLIT: 0
	.section	.text._ZN7rocprim17ROCPRIM_400000_NS6detail17trampoline_kernelINS0_14default_configENS1_25partition_config_selectorILNS1_17partition_subalgoE0EiNS0_10empty_typeEbEEZZNS1_14partition_implILS5_0ELb0ES3_jN6thrust23THRUST_200600_302600_NS6detail15normal_iteratorINSA_10device_ptrIiEEEEPS6_SG_NS0_5tupleIJNSA_16discard_iteratorINSA_11use_defaultEEESF_EEENSH_IJSG_SG_EEES6_PlJ7is_evenIiEEEE10hipError_tPvRmT3_T4_T5_T6_T7_T9_mT8_P12ihipStream_tbDpT10_ENKUlT_T0_E_clISt17integral_constantIbLb0EES18_IbLb1EEEEDaS14_S15_EUlS14_E_NS1_11comp_targetILNS1_3genE3ELNS1_11target_archE908ELNS1_3gpuE7ELNS1_3repE0EEENS1_30default_config_static_selectorELNS0_4arch9wavefront6targetE1EEEvT1_,"axG",@progbits,_ZN7rocprim17ROCPRIM_400000_NS6detail17trampoline_kernelINS0_14default_configENS1_25partition_config_selectorILNS1_17partition_subalgoE0EiNS0_10empty_typeEbEEZZNS1_14partition_implILS5_0ELb0ES3_jN6thrust23THRUST_200600_302600_NS6detail15normal_iteratorINSA_10device_ptrIiEEEEPS6_SG_NS0_5tupleIJNSA_16discard_iteratorINSA_11use_defaultEEESF_EEENSH_IJSG_SG_EEES6_PlJ7is_evenIiEEEE10hipError_tPvRmT3_T4_T5_T6_T7_T9_mT8_P12ihipStream_tbDpT10_ENKUlT_T0_E_clISt17integral_constantIbLb0EES18_IbLb1EEEEDaS14_S15_EUlS14_E_NS1_11comp_targetILNS1_3genE3ELNS1_11target_archE908ELNS1_3gpuE7ELNS1_3repE0EEENS1_30default_config_static_selectorELNS0_4arch9wavefront6targetE1EEEvT1_,comdat
	.protected	_ZN7rocprim17ROCPRIM_400000_NS6detail17trampoline_kernelINS0_14default_configENS1_25partition_config_selectorILNS1_17partition_subalgoE0EiNS0_10empty_typeEbEEZZNS1_14partition_implILS5_0ELb0ES3_jN6thrust23THRUST_200600_302600_NS6detail15normal_iteratorINSA_10device_ptrIiEEEEPS6_SG_NS0_5tupleIJNSA_16discard_iteratorINSA_11use_defaultEEESF_EEENSH_IJSG_SG_EEES6_PlJ7is_evenIiEEEE10hipError_tPvRmT3_T4_T5_T6_T7_T9_mT8_P12ihipStream_tbDpT10_ENKUlT_T0_E_clISt17integral_constantIbLb0EES18_IbLb1EEEEDaS14_S15_EUlS14_E_NS1_11comp_targetILNS1_3genE3ELNS1_11target_archE908ELNS1_3gpuE7ELNS1_3repE0EEENS1_30default_config_static_selectorELNS0_4arch9wavefront6targetE1EEEvT1_ ; -- Begin function _ZN7rocprim17ROCPRIM_400000_NS6detail17trampoline_kernelINS0_14default_configENS1_25partition_config_selectorILNS1_17partition_subalgoE0EiNS0_10empty_typeEbEEZZNS1_14partition_implILS5_0ELb0ES3_jN6thrust23THRUST_200600_302600_NS6detail15normal_iteratorINSA_10device_ptrIiEEEEPS6_SG_NS0_5tupleIJNSA_16discard_iteratorINSA_11use_defaultEEESF_EEENSH_IJSG_SG_EEES6_PlJ7is_evenIiEEEE10hipError_tPvRmT3_T4_T5_T6_T7_T9_mT8_P12ihipStream_tbDpT10_ENKUlT_T0_E_clISt17integral_constantIbLb0EES18_IbLb1EEEEDaS14_S15_EUlS14_E_NS1_11comp_targetILNS1_3genE3ELNS1_11target_archE908ELNS1_3gpuE7ELNS1_3repE0EEENS1_30default_config_static_selectorELNS0_4arch9wavefront6targetE1EEEvT1_
	.globl	_ZN7rocprim17ROCPRIM_400000_NS6detail17trampoline_kernelINS0_14default_configENS1_25partition_config_selectorILNS1_17partition_subalgoE0EiNS0_10empty_typeEbEEZZNS1_14partition_implILS5_0ELb0ES3_jN6thrust23THRUST_200600_302600_NS6detail15normal_iteratorINSA_10device_ptrIiEEEEPS6_SG_NS0_5tupleIJNSA_16discard_iteratorINSA_11use_defaultEEESF_EEENSH_IJSG_SG_EEES6_PlJ7is_evenIiEEEE10hipError_tPvRmT3_T4_T5_T6_T7_T9_mT8_P12ihipStream_tbDpT10_ENKUlT_T0_E_clISt17integral_constantIbLb0EES18_IbLb1EEEEDaS14_S15_EUlS14_E_NS1_11comp_targetILNS1_3genE3ELNS1_11target_archE908ELNS1_3gpuE7ELNS1_3repE0EEENS1_30default_config_static_selectorELNS0_4arch9wavefront6targetE1EEEvT1_
	.p2align	8
	.type	_ZN7rocprim17ROCPRIM_400000_NS6detail17trampoline_kernelINS0_14default_configENS1_25partition_config_selectorILNS1_17partition_subalgoE0EiNS0_10empty_typeEbEEZZNS1_14partition_implILS5_0ELb0ES3_jN6thrust23THRUST_200600_302600_NS6detail15normal_iteratorINSA_10device_ptrIiEEEEPS6_SG_NS0_5tupleIJNSA_16discard_iteratorINSA_11use_defaultEEESF_EEENSH_IJSG_SG_EEES6_PlJ7is_evenIiEEEE10hipError_tPvRmT3_T4_T5_T6_T7_T9_mT8_P12ihipStream_tbDpT10_ENKUlT_T0_E_clISt17integral_constantIbLb0EES18_IbLb1EEEEDaS14_S15_EUlS14_E_NS1_11comp_targetILNS1_3genE3ELNS1_11target_archE908ELNS1_3gpuE7ELNS1_3repE0EEENS1_30default_config_static_selectorELNS0_4arch9wavefront6targetE1EEEvT1_,@function
_ZN7rocprim17ROCPRIM_400000_NS6detail17trampoline_kernelINS0_14default_configENS1_25partition_config_selectorILNS1_17partition_subalgoE0EiNS0_10empty_typeEbEEZZNS1_14partition_implILS5_0ELb0ES3_jN6thrust23THRUST_200600_302600_NS6detail15normal_iteratorINSA_10device_ptrIiEEEEPS6_SG_NS0_5tupleIJNSA_16discard_iteratorINSA_11use_defaultEEESF_EEENSH_IJSG_SG_EEES6_PlJ7is_evenIiEEEE10hipError_tPvRmT3_T4_T5_T6_T7_T9_mT8_P12ihipStream_tbDpT10_ENKUlT_T0_E_clISt17integral_constantIbLb0EES18_IbLb1EEEEDaS14_S15_EUlS14_E_NS1_11comp_targetILNS1_3genE3ELNS1_11target_archE908ELNS1_3gpuE7ELNS1_3repE0EEENS1_30default_config_static_selectorELNS0_4arch9wavefront6targetE1EEEvT1_: ; @_ZN7rocprim17ROCPRIM_400000_NS6detail17trampoline_kernelINS0_14default_configENS1_25partition_config_selectorILNS1_17partition_subalgoE0EiNS0_10empty_typeEbEEZZNS1_14partition_implILS5_0ELb0ES3_jN6thrust23THRUST_200600_302600_NS6detail15normal_iteratorINSA_10device_ptrIiEEEEPS6_SG_NS0_5tupleIJNSA_16discard_iteratorINSA_11use_defaultEEESF_EEENSH_IJSG_SG_EEES6_PlJ7is_evenIiEEEE10hipError_tPvRmT3_T4_T5_T6_T7_T9_mT8_P12ihipStream_tbDpT10_ENKUlT_T0_E_clISt17integral_constantIbLb0EES18_IbLb1EEEEDaS14_S15_EUlS14_E_NS1_11comp_targetILNS1_3genE3ELNS1_11target_archE908ELNS1_3gpuE7ELNS1_3repE0EEENS1_30default_config_static_selectorELNS0_4arch9wavefront6targetE1EEEvT1_
; %bb.0:
	.section	.rodata,"a",@progbits
	.p2align	6, 0x0
	.amdhsa_kernel _ZN7rocprim17ROCPRIM_400000_NS6detail17trampoline_kernelINS0_14default_configENS1_25partition_config_selectorILNS1_17partition_subalgoE0EiNS0_10empty_typeEbEEZZNS1_14partition_implILS5_0ELb0ES3_jN6thrust23THRUST_200600_302600_NS6detail15normal_iteratorINSA_10device_ptrIiEEEEPS6_SG_NS0_5tupleIJNSA_16discard_iteratorINSA_11use_defaultEEESF_EEENSH_IJSG_SG_EEES6_PlJ7is_evenIiEEEE10hipError_tPvRmT3_T4_T5_T6_T7_T9_mT8_P12ihipStream_tbDpT10_ENKUlT_T0_E_clISt17integral_constantIbLb0EES18_IbLb1EEEEDaS14_S15_EUlS14_E_NS1_11comp_targetILNS1_3genE3ELNS1_11target_archE908ELNS1_3gpuE7ELNS1_3repE0EEENS1_30default_config_static_selectorELNS0_4arch9wavefront6targetE1EEEvT1_
		.amdhsa_group_segment_fixed_size 0
		.amdhsa_private_segment_fixed_size 0
		.amdhsa_kernarg_size 144
		.amdhsa_user_sgpr_count 6
		.amdhsa_user_sgpr_private_segment_buffer 1
		.amdhsa_user_sgpr_dispatch_ptr 0
		.amdhsa_user_sgpr_queue_ptr 0
		.amdhsa_user_sgpr_kernarg_segment_ptr 1
		.amdhsa_user_sgpr_dispatch_id 0
		.amdhsa_user_sgpr_flat_scratch_init 0
		.amdhsa_user_sgpr_kernarg_preload_length 0
		.amdhsa_user_sgpr_kernarg_preload_offset 0
		.amdhsa_user_sgpr_private_segment_size 0
		.amdhsa_uses_dynamic_stack 0
		.amdhsa_system_sgpr_private_segment_wavefront_offset 0
		.amdhsa_system_sgpr_workgroup_id_x 1
		.amdhsa_system_sgpr_workgroup_id_y 0
		.amdhsa_system_sgpr_workgroup_id_z 0
		.amdhsa_system_sgpr_workgroup_info 0
		.amdhsa_system_vgpr_workitem_id 0
		.amdhsa_next_free_vgpr 1
		.amdhsa_next_free_sgpr 0
		.amdhsa_accum_offset 4
		.amdhsa_reserve_vcc 0
		.amdhsa_reserve_flat_scratch 0
		.amdhsa_float_round_mode_32 0
		.amdhsa_float_round_mode_16_64 0
		.amdhsa_float_denorm_mode_32 3
		.amdhsa_float_denorm_mode_16_64 3
		.amdhsa_dx10_clamp 1
		.amdhsa_ieee_mode 1
		.amdhsa_fp16_overflow 0
		.amdhsa_tg_split 0
		.amdhsa_exception_fp_ieee_invalid_op 0
		.amdhsa_exception_fp_denorm_src 0
		.amdhsa_exception_fp_ieee_div_zero 0
		.amdhsa_exception_fp_ieee_overflow 0
		.amdhsa_exception_fp_ieee_underflow 0
		.amdhsa_exception_fp_ieee_inexact 0
		.amdhsa_exception_int_div_zero 0
	.end_amdhsa_kernel
	.section	.text._ZN7rocprim17ROCPRIM_400000_NS6detail17trampoline_kernelINS0_14default_configENS1_25partition_config_selectorILNS1_17partition_subalgoE0EiNS0_10empty_typeEbEEZZNS1_14partition_implILS5_0ELb0ES3_jN6thrust23THRUST_200600_302600_NS6detail15normal_iteratorINSA_10device_ptrIiEEEEPS6_SG_NS0_5tupleIJNSA_16discard_iteratorINSA_11use_defaultEEESF_EEENSH_IJSG_SG_EEES6_PlJ7is_evenIiEEEE10hipError_tPvRmT3_T4_T5_T6_T7_T9_mT8_P12ihipStream_tbDpT10_ENKUlT_T0_E_clISt17integral_constantIbLb0EES18_IbLb1EEEEDaS14_S15_EUlS14_E_NS1_11comp_targetILNS1_3genE3ELNS1_11target_archE908ELNS1_3gpuE7ELNS1_3repE0EEENS1_30default_config_static_selectorELNS0_4arch9wavefront6targetE1EEEvT1_,"axG",@progbits,_ZN7rocprim17ROCPRIM_400000_NS6detail17trampoline_kernelINS0_14default_configENS1_25partition_config_selectorILNS1_17partition_subalgoE0EiNS0_10empty_typeEbEEZZNS1_14partition_implILS5_0ELb0ES3_jN6thrust23THRUST_200600_302600_NS6detail15normal_iteratorINSA_10device_ptrIiEEEEPS6_SG_NS0_5tupleIJNSA_16discard_iteratorINSA_11use_defaultEEESF_EEENSH_IJSG_SG_EEES6_PlJ7is_evenIiEEEE10hipError_tPvRmT3_T4_T5_T6_T7_T9_mT8_P12ihipStream_tbDpT10_ENKUlT_T0_E_clISt17integral_constantIbLb0EES18_IbLb1EEEEDaS14_S15_EUlS14_E_NS1_11comp_targetILNS1_3genE3ELNS1_11target_archE908ELNS1_3gpuE7ELNS1_3repE0EEENS1_30default_config_static_selectorELNS0_4arch9wavefront6targetE1EEEvT1_,comdat
.Lfunc_end2774:
	.size	_ZN7rocprim17ROCPRIM_400000_NS6detail17trampoline_kernelINS0_14default_configENS1_25partition_config_selectorILNS1_17partition_subalgoE0EiNS0_10empty_typeEbEEZZNS1_14partition_implILS5_0ELb0ES3_jN6thrust23THRUST_200600_302600_NS6detail15normal_iteratorINSA_10device_ptrIiEEEEPS6_SG_NS0_5tupleIJNSA_16discard_iteratorINSA_11use_defaultEEESF_EEENSH_IJSG_SG_EEES6_PlJ7is_evenIiEEEE10hipError_tPvRmT3_T4_T5_T6_T7_T9_mT8_P12ihipStream_tbDpT10_ENKUlT_T0_E_clISt17integral_constantIbLb0EES18_IbLb1EEEEDaS14_S15_EUlS14_E_NS1_11comp_targetILNS1_3genE3ELNS1_11target_archE908ELNS1_3gpuE7ELNS1_3repE0EEENS1_30default_config_static_selectorELNS0_4arch9wavefront6targetE1EEEvT1_, .Lfunc_end2774-_ZN7rocprim17ROCPRIM_400000_NS6detail17trampoline_kernelINS0_14default_configENS1_25partition_config_selectorILNS1_17partition_subalgoE0EiNS0_10empty_typeEbEEZZNS1_14partition_implILS5_0ELb0ES3_jN6thrust23THRUST_200600_302600_NS6detail15normal_iteratorINSA_10device_ptrIiEEEEPS6_SG_NS0_5tupleIJNSA_16discard_iteratorINSA_11use_defaultEEESF_EEENSH_IJSG_SG_EEES6_PlJ7is_evenIiEEEE10hipError_tPvRmT3_T4_T5_T6_T7_T9_mT8_P12ihipStream_tbDpT10_ENKUlT_T0_E_clISt17integral_constantIbLb0EES18_IbLb1EEEEDaS14_S15_EUlS14_E_NS1_11comp_targetILNS1_3genE3ELNS1_11target_archE908ELNS1_3gpuE7ELNS1_3repE0EEENS1_30default_config_static_selectorELNS0_4arch9wavefront6targetE1EEEvT1_
                                        ; -- End function
	.section	.AMDGPU.csdata,"",@progbits
; Kernel info:
; codeLenInByte = 0
; NumSgprs: 4
; NumVgprs: 0
; NumAgprs: 0
; TotalNumVgprs: 0
; ScratchSize: 0
; MemoryBound: 0
; FloatMode: 240
; IeeeMode: 1
; LDSByteSize: 0 bytes/workgroup (compile time only)
; SGPRBlocks: 0
; VGPRBlocks: 0
; NumSGPRsForWavesPerEU: 4
; NumVGPRsForWavesPerEU: 1
; AccumOffset: 4
; Occupancy: 8
; WaveLimiterHint : 0
; COMPUTE_PGM_RSRC2:SCRATCH_EN: 0
; COMPUTE_PGM_RSRC2:USER_SGPR: 6
; COMPUTE_PGM_RSRC2:TRAP_HANDLER: 0
; COMPUTE_PGM_RSRC2:TGID_X_EN: 1
; COMPUTE_PGM_RSRC2:TGID_Y_EN: 0
; COMPUTE_PGM_RSRC2:TGID_Z_EN: 0
; COMPUTE_PGM_RSRC2:TIDIG_COMP_CNT: 0
; COMPUTE_PGM_RSRC3_GFX90A:ACCUM_OFFSET: 0
; COMPUTE_PGM_RSRC3_GFX90A:TG_SPLIT: 0
	.section	.text._ZN7rocprim17ROCPRIM_400000_NS6detail17trampoline_kernelINS0_14default_configENS1_25partition_config_selectorILNS1_17partition_subalgoE0EiNS0_10empty_typeEbEEZZNS1_14partition_implILS5_0ELb0ES3_jN6thrust23THRUST_200600_302600_NS6detail15normal_iteratorINSA_10device_ptrIiEEEEPS6_SG_NS0_5tupleIJNSA_16discard_iteratorINSA_11use_defaultEEESF_EEENSH_IJSG_SG_EEES6_PlJ7is_evenIiEEEE10hipError_tPvRmT3_T4_T5_T6_T7_T9_mT8_P12ihipStream_tbDpT10_ENKUlT_T0_E_clISt17integral_constantIbLb0EES18_IbLb1EEEEDaS14_S15_EUlS14_E_NS1_11comp_targetILNS1_3genE2ELNS1_11target_archE906ELNS1_3gpuE6ELNS1_3repE0EEENS1_30default_config_static_selectorELNS0_4arch9wavefront6targetE1EEEvT1_,"axG",@progbits,_ZN7rocprim17ROCPRIM_400000_NS6detail17trampoline_kernelINS0_14default_configENS1_25partition_config_selectorILNS1_17partition_subalgoE0EiNS0_10empty_typeEbEEZZNS1_14partition_implILS5_0ELb0ES3_jN6thrust23THRUST_200600_302600_NS6detail15normal_iteratorINSA_10device_ptrIiEEEEPS6_SG_NS0_5tupleIJNSA_16discard_iteratorINSA_11use_defaultEEESF_EEENSH_IJSG_SG_EEES6_PlJ7is_evenIiEEEE10hipError_tPvRmT3_T4_T5_T6_T7_T9_mT8_P12ihipStream_tbDpT10_ENKUlT_T0_E_clISt17integral_constantIbLb0EES18_IbLb1EEEEDaS14_S15_EUlS14_E_NS1_11comp_targetILNS1_3genE2ELNS1_11target_archE906ELNS1_3gpuE6ELNS1_3repE0EEENS1_30default_config_static_selectorELNS0_4arch9wavefront6targetE1EEEvT1_,comdat
	.protected	_ZN7rocprim17ROCPRIM_400000_NS6detail17trampoline_kernelINS0_14default_configENS1_25partition_config_selectorILNS1_17partition_subalgoE0EiNS0_10empty_typeEbEEZZNS1_14partition_implILS5_0ELb0ES3_jN6thrust23THRUST_200600_302600_NS6detail15normal_iteratorINSA_10device_ptrIiEEEEPS6_SG_NS0_5tupleIJNSA_16discard_iteratorINSA_11use_defaultEEESF_EEENSH_IJSG_SG_EEES6_PlJ7is_evenIiEEEE10hipError_tPvRmT3_T4_T5_T6_T7_T9_mT8_P12ihipStream_tbDpT10_ENKUlT_T0_E_clISt17integral_constantIbLb0EES18_IbLb1EEEEDaS14_S15_EUlS14_E_NS1_11comp_targetILNS1_3genE2ELNS1_11target_archE906ELNS1_3gpuE6ELNS1_3repE0EEENS1_30default_config_static_selectorELNS0_4arch9wavefront6targetE1EEEvT1_ ; -- Begin function _ZN7rocprim17ROCPRIM_400000_NS6detail17trampoline_kernelINS0_14default_configENS1_25partition_config_selectorILNS1_17partition_subalgoE0EiNS0_10empty_typeEbEEZZNS1_14partition_implILS5_0ELb0ES3_jN6thrust23THRUST_200600_302600_NS6detail15normal_iteratorINSA_10device_ptrIiEEEEPS6_SG_NS0_5tupleIJNSA_16discard_iteratorINSA_11use_defaultEEESF_EEENSH_IJSG_SG_EEES6_PlJ7is_evenIiEEEE10hipError_tPvRmT3_T4_T5_T6_T7_T9_mT8_P12ihipStream_tbDpT10_ENKUlT_T0_E_clISt17integral_constantIbLb0EES18_IbLb1EEEEDaS14_S15_EUlS14_E_NS1_11comp_targetILNS1_3genE2ELNS1_11target_archE906ELNS1_3gpuE6ELNS1_3repE0EEENS1_30default_config_static_selectorELNS0_4arch9wavefront6targetE1EEEvT1_
	.globl	_ZN7rocprim17ROCPRIM_400000_NS6detail17trampoline_kernelINS0_14default_configENS1_25partition_config_selectorILNS1_17partition_subalgoE0EiNS0_10empty_typeEbEEZZNS1_14partition_implILS5_0ELb0ES3_jN6thrust23THRUST_200600_302600_NS6detail15normal_iteratorINSA_10device_ptrIiEEEEPS6_SG_NS0_5tupleIJNSA_16discard_iteratorINSA_11use_defaultEEESF_EEENSH_IJSG_SG_EEES6_PlJ7is_evenIiEEEE10hipError_tPvRmT3_T4_T5_T6_T7_T9_mT8_P12ihipStream_tbDpT10_ENKUlT_T0_E_clISt17integral_constantIbLb0EES18_IbLb1EEEEDaS14_S15_EUlS14_E_NS1_11comp_targetILNS1_3genE2ELNS1_11target_archE906ELNS1_3gpuE6ELNS1_3repE0EEENS1_30default_config_static_selectorELNS0_4arch9wavefront6targetE1EEEvT1_
	.p2align	8
	.type	_ZN7rocprim17ROCPRIM_400000_NS6detail17trampoline_kernelINS0_14default_configENS1_25partition_config_selectorILNS1_17partition_subalgoE0EiNS0_10empty_typeEbEEZZNS1_14partition_implILS5_0ELb0ES3_jN6thrust23THRUST_200600_302600_NS6detail15normal_iteratorINSA_10device_ptrIiEEEEPS6_SG_NS0_5tupleIJNSA_16discard_iteratorINSA_11use_defaultEEESF_EEENSH_IJSG_SG_EEES6_PlJ7is_evenIiEEEE10hipError_tPvRmT3_T4_T5_T6_T7_T9_mT8_P12ihipStream_tbDpT10_ENKUlT_T0_E_clISt17integral_constantIbLb0EES18_IbLb1EEEEDaS14_S15_EUlS14_E_NS1_11comp_targetILNS1_3genE2ELNS1_11target_archE906ELNS1_3gpuE6ELNS1_3repE0EEENS1_30default_config_static_selectorELNS0_4arch9wavefront6targetE1EEEvT1_,@function
_ZN7rocprim17ROCPRIM_400000_NS6detail17trampoline_kernelINS0_14default_configENS1_25partition_config_selectorILNS1_17partition_subalgoE0EiNS0_10empty_typeEbEEZZNS1_14partition_implILS5_0ELb0ES3_jN6thrust23THRUST_200600_302600_NS6detail15normal_iteratorINSA_10device_ptrIiEEEEPS6_SG_NS0_5tupleIJNSA_16discard_iteratorINSA_11use_defaultEEESF_EEENSH_IJSG_SG_EEES6_PlJ7is_evenIiEEEE10hipError_tPvRmT3_T4_T5_T6_T7_T9_mT8_P12ihipStream_tbDpT10_ENKUlT_T0_E_clISt17integral_constantIbLb0EES18_IbLb1EEEEDaS14_S15_EUlS14_E_NS1_11comp_targetILNS1_3genE2ELNS1_11target_archE906ELNS1_3gpuE6ELNS1_3repE0EEENS1_30default_config_static_selectorELNS0_4arch9wavefront6targetE1EEEvT1_: ; @_ZN7rocprim17ROCPRIM_400000_NS6detail17trampoline_kernelINS0_14default_configENS1_25partition_config_selectorILNS1_17partition_subalgoE0EiNS0_10empty_typeEbEEZZNS1_14partition_implILS5_0ELb0ES3_jN6thrust23THRUST_200600_302600_NS6detail15normal_iteratorINSA_10device_ptrIiEEEEPS6_SG_NS0_5tupleIJNSA_16discard_iteratorINSA_11use_defaultEEESF_EEENSH_IJSG_SG_EEES6_PlJ7is_evenIiEEEE10hipError_tPvRmT3_T4_T5_T6_T7_T9_mT8_P12ihipStream_tbDpT10_ENKUlT_T0_E_clISt17integral_constantIbLb0EES18_IbLb1EEEEDaS14_S15_EUlS14_E_NS1_11comp_targetILNS1_3genE2ELNS1_11target_archE906ELNS1_3gpuE6ELNS1_3repE0EEENS1_30default_config_static_selectorELNS0_4arch9wavefront6targetE1EEEvT1_
; %bb.0:
	.section	.rodata,"a",@progbits
	.p2align	6, 0x0
	.amdhsa_kernel _ZN7rocprim17ROCPRIM_400000_NS6detail17trampoline_kernelINS0_14default_configENS1_25partition_config_selectorILNS1_17partition_subalgoE0EiNS0_10empty_typeEbEEZZNS1_14partition_implILS5_0ELb0ES3_jN6thrust23THRUST_200600_302600_NS6detail15normal_iteratorINSA_10device_ptrIiEEEEPS6_SG_NS0_5tupleIJNSA_16discard_iteratorINSA_11use_defaultEEESF_EEENSH_IJSG_SG_EEES6_PlJ7is_evenIiEEEE10hipError_tPvRmT3_T4_T5_T6_T7_T9_mT8_P12ihipStream_tbDpT10_ENKUlT_T0_E_clISt17integral_constantIbLb0EES18_IbLb1EEEEDaS14_S15_EUlS14_E_NS1_11comp_targetILNS1_3genE2ELNS1_11target_archE906ELNS1_3gpuE6ELNS1_3repE0EEENS1_30default_config_static_selectorELNS0_4arch9wavefront6targetE1EEEvT1_
		.amdhsa_group_segment_fixed_size 0
		.amdhsa_private_segment_fixed_size 0
		.amdhsa_kernarg_size 144
		.amdhsa_user_sgpr_count 6
		.amdhsa_user_sgpr_private_segment_buffer 1
		.amdhsa_user_sgpr_dispatch_ptr 0
		.amdhsa_user_sgpr_queue_ptr 0
		.amdhsa_user_sgpr_kernarg_segment_ptr 1
		.amdhsa_user_sgpr_dispatch_id 0
		.amdhsa_user_sgpr_flat_scratch_init 0
		.amdhsa_user_sgpr_kernarg_preload_length 0
		.amdhsa_user_sgpr_kernarg_preload_offset 0
		.amdhsa_user_sgpr_private_segment_size 0
		.amdhsa_uses_dynamic_stack 0
		.amdhsa_system_sgpr_private_segment_wavefront_offset 0
		.amdhsa_system_sgpr_workgroup_id_x 1
		.amdhsa_system_sgpr_workgroup_id_y 0
		.amdhsa_system_sgpr_workgroup_id_z 0
		.amdhsa_system_sgpr_workgroup_info 0
		.amdhsa_system_vgpr_workitem_id 0
		.amdhsa_next_free_vgpr 1
		.amdhsa_next_free_sgpr 0
		.amdhsa_accum_offset 4
		.amdhsa_reserve_vcc 0
		.amdhsa_reserve_flat_scratch 0
		.amdhsa_float_round_mode_32 0
		.amdhsa_float_round_mode_16_64 0
		.amdhsa_float_denorm_mode_32 3
		.amdhsa_float_denorm_mode_16_64 3
		.amdhsa_dx10_clamp 1
		.amdhsa_ieee_mode 1
		.amdhsa_fp16_overflow 0
		.amdhsa_tg_split 0
		.amdhsa_exception_fp_ieee_invalid_op 0
		.amdhsa_exception_fp_denorm_src 0
		.amdhsa_exception_fp_ieee_div_zero 0
		.amdhsa_exception_fp_ieee_overflow 0
		.amdhsa_exception_fp_ieee_underflow 0
		.amdhsa_exception_fp_ieee_inexact 0
		.amdhsa_exception_int_div_zero 0
	.end_amdhsa_kernel
	.section	.text._ZN7rocprim17ROCPRIM_400000_NS6detail17trampoline_kernelINS0_14default_configENS1_25partition_config_selectorILNS1_17partition_subalgoE0EiNS0_10empty_typeEbEEZZNS1_14partition_implILS5_0ELb0ES3_jN6thrust23THRUST_200600_302600_NS6detail15normal_iteratorINSA_10device_ptrIiEEEEPS6_SG_NS0_5tupleIJNSA_16discard_iteratorINSA_11use_defaultEEESF_EEENSH_IJSG_SG_EEES6_PlJ7is_evenIiEEEE10hipError_tPvRmT3_T4_T5_T6_T7_T9_mT8_P12ihipStream_tbDpT10_ENKUlT_T0_E_clISt17integral_constantIbLb0EES18_IbLb1EEEEDaS14_S15_EUlS14_E_NS1_11comp_targetILNS1_3genE2ELNS1_11target_archE906ELNS1_3gpuE6ELNS1_3repE0EEENS1_30default_config_static_selectorELNS0_4arch9wavefront6targetE1EEEvT1_,"axG",@progbits,_ZN7rocprim17ROCPRIM_400000_NS6detail17trampoline_kernelINS0_14default_configENS1_25partition_config_selectorILNS1_17partition_subalgoE0EiNS0_10empty_typeEbEEZZNS1_14partition_implILS5_0ELb0ES3_jN6thrust23THRUST_200600_302600_NS6detail15normal_iteratorINSA_10device_ptrIiEEEEPS6_SG_NS0_5tupleIJNSA_16discard_iteratorINSA_11use_defaultEEESF_EEENSH_IJSG_SG_EEES6_PlJ7is_evenIiEEEE10hipError_tPvRmT3_T4_T5_T6_T7_T9_mT8_P12ihipStream_tbDpT10_ENKUlT_T0_E_clISt17integral_constantIbLb0EES18_IbLb1EEEEDaS14_S15_EUlS14_E_NS1_11comp_targetILNS1_3genE2ELNS1_11target_archE906ELNS1_3gpuE6ELNS1_3repE0EEENS1_30default_config_static_selectorELNS0_4arch9wavefront6targetE1EEEvT1_,comdat
.Lfunc_end2775:
	.size	_ZN7rocprim17ROCPRIM_400000_NS6detail17trampoline_kernelINS0_14default_configENS1_25partition_config_selectorILNS1_17partition_subalgoE0EiNS0_10empty_typeEbEEZZNS1_14partition_implILS5_0ELb0ES3_jN6thrust23THRUST_200600_302600_NS6detail15normal_iteratorINSA_10device_ptrIiEEEEPS6_SG_NS0_5tupleIJNSA_16discard_iteratorINSA_11use_defaultEEESF_EEENSH_IJSG_SG_EEES6_PlJ7is_evenIiEEEE10hipError_tPvRmT3_T4_T5_T6_T7_T9_mT8_P12ihipStream_tbDpT10_ENKUlT_T0_E_clISt17integral_constantIbLb0EES18_IbLb1EEEEDaS14_S15_EUlS14_E_NS1_11comp_targetILNS1_3genE2ELNS1_11target_archE906ELNS1_3gpuE6ELNS1_3repE0EEENS1_30default_config_static_selectorELNS0_4arch9wavefront6targetE1EEEvT1_, .Lfunc_end2775-_ZN7rocprim17ROCPRIM_400000_NS6detail17trampoline_kernelINS0_14default_configENS1_25partition_config_selectorILNS1_17partition_subalgoE0EiNS0_10empty_typeEbEEZZNS1_14partition_implILS5_0ELb0ES3_jN6thrust23THRUST_200600_302600_NS6detail15normal_iteratorINSA_10device_ptrIiEEEEPS6_SG_NS0_5tupleIJNSA_16discard_iteratorINSA_11use_defaultEEESF_EEENSH_IJSG_SG_EEES6_PlJ7is_evenIiEEEE10hipError_tPvRmT3_T4_T5_T6_T7_T9_mT8_P12ihipStream_tbDpT10_ENKUlT_T0_E_clISt17integral_constantIbLb0EES18_IbLb1EEEEDaS14_S15_EUlS14_E_NS1_11comp_targetILNS1_3genE2ELNS1_11target_archE906ELNS1_3gpuE6ELNS1_3repE0EEENS1_30default_config_static_selectorELNS0_4arch9wavefront6targetE1EEEvT1_
                                        ; -- End function
	.section	.AMDGPU.csdata,"",@progbits
; Kernel info:
; codeLenInByte = 0
; NumSgprs: 4
; NumVgprs: 0
; NumAgprs: 0
; TotalNumVgprs: 0
; ScratchSize: 0
; MemoryBound: 0
; FloatMode: 240
; IeeeMode: 1
; LDSByteSize: 0 bytes/workgroup (compile time only)
; SGPRBlocks: 0
; VGPRBlocks: 0
; NumSGPRsForWavesPerEU: 4
; NumVGPRsForWavesPerEU: 1
; AccumOffset: 4
; Occupancy: 8
; WaveLimiterHint : 0
; COMPUTE_PGM_RSRC2:SCRATCH_EN: 0
; COMPUTE_PGM_RSRC2:USER_SGPR: 6
; COMPUTE_PGM_RSRC2:TRAP_HANDLER: 0
; COMPUTE_PGM_RSRC2:TGID_X_EN: 1
; COMPUTE_PGM_RSRC2:TGID_Y_EN: 0
; COMPUTE_PGM_RSRC2:TGID_Z_EN: 0
; COMPUTE_PGM_RSRC2:TIDIG_COMP_CNT: 0
; COMPUTE_PGM_RSRC3_GFX90A:ACCUM_OFFSET: 0
; COMPUTE_PGM_RSRC3_GFX90A:TG_SPLIT: 0
	.section	.text._ZN7rocprim17ROCPRIM_400000_NS6detail17trampoline_kernelINS0_14default_configENS1_25partition_config_selectorILNS1_17partition_subalgoE0EiNS0_10empty_typeEbEEZZNS1_14partition_implILS5_0ELb0ES3_jN6thrust23THRUST_200600_302600_NS6detail15normal_iteratorINSA_10device_ptrIiEEEEPS6_SG_NS0_5tupleIJNSA_16discard_iteratorINSA_11use_defaultEEESF_EEENSH_IJSG_SG_EEES6_PlJ7is_evenIiEEEE10hipError_tPvRmT3_T4_T5_T6_T7_T9_mT8_P12ihipStream_tbDpT10_ENKUlT_T0_E_clISt17integral_constantIbLb0EES18_IbLb1EEEEDaS14_S15_EUlS14_E_NS1_11comp_targetILNS1_3genE10ELNS1_11target_archE1200ELNS1_3gpuE4ELNS1_3repE0EEENS1_30default_config_static_selectorELNS0_4arch9wavefront6targetE1EEEvT1_,"axG",@progbits,_ZN7rocprim17ROCPRIM_400000_NS6detail17trampoline_kernelINS0_14default_configENS1_25partition_config_selectorILNS1_17partition_subalgoE0EiNS0_10empty_typeEbEEZZNS1_14partition_implILS5_0ELb0ES3_jN6thrust23THRUST_200600_302600_NS6detail15normal_iteratorINSA_10device_ptrIiEEEEPS6_SG_NS0_5tupleIJNSA_16discard_iteratorINSA_11use_defaultEEESF_EEENSH_IJSG_SG_EEES6_PlJ7is_evenIiEEEE10hipError_tPvRmT3_T4_T5_T6_T7_T9_mT8_P12ihipStream_tbDpT10_ENKUlT_T0_E_clISt17integral_constantIbLb0EES18_IbLb1EEEEDaS14_S15_EUlS14_E_NS1_11comp_targetILNS1_3genE10ELNS1_11target_archE1200ELNS1_3gpuE4ELNS1_3repE0EEENS1_30default_config_static_selectorELNS0_4arch9wavefront6targetE1EEEvT1_,comdat
	.protected	_ZN7rocprim17ROCPRIM_400000_NS6detail17trampoline_kernelINS0_14default_configENS1_25partition_config_selectorILNS1_17partition_subalgoE0EiNS0_10empty_typeEbEEZZNS1_14partition_implILS5_0ELb0ES3_jN6thrust23THRUST_200600_302600_NS6detail15normal_iteratorINSA_10device_ptrIiEEEEPS6_SG_NS0_5tupleIJNSA_16discard_iteratorINSA_11use_defaultEEESF_EEENSH_IJSG_SG_EEES6_PlJ7is_evenIiEEEE10hipError_tPvRmT3_T4_T5_T6_T7_T9_mT8_P12ihipStream_tbDpT10_ENKUlT_T0_E_clISt17integral_constantIbLb0EES18_IbLb1EEEEDaS14_S15_EUlS14_E_NS1_11comp_targetILNS1_3genE10ELNS1_11target_archE1200ELNS1_3gpuE4ELNS1_3repE0EEENS1_30default_config_static_selectorELNS0_4arch9wavefront6targetE1EEEvT1_ ; -- Begin function _ZN7rocprim17ROCPRIM_400000_NS6detail17trampoline_kernelINS0_14default_configENS1_25partition_config_selectorILNS1_17partition_subalgoE0EiNS0_10empty_typeEbEEZZNS1_14partition_implILS5_0ELb0ES3_jN6thrust23THRUST_200600_302600_NS6detail15normal_iteratorINSA_10device_ptrIiEEEEPS6_SG_NS0_5tupleIJNSA_16discard_iteratorINSA_11use_defaultEEESF_EEENSH_IJSG_SG_EEES6_PlJ7is_evenIiEEEE10hipError_tPvRmT3_T4_T5_T6_T7_T9_mT8_P12ihipStream_tbDpT10_ENKUlT_T0_E_clISt17integral_constantIbLb0EES18_IbLb1EEEEDaS14_S15_EUlS14_E_NS1_11comp_targetILNS1_3genE10ELNS1_11target_archE1200ELNS1_3gpuE4ELNS1_3repE0EEENS1_30default_config_static_selectorELNS0_4arch9wavefront6targetE1EEEvT1_
	.globl	_ZN7rocprim17ROCPRIM_400000_NS6detail17trampoline_kernelINS0_14default_configENS1_25partition_config_selectorILNS1_17partition_subalgoE0EiNS0_10empty_typeEbEEZZNS1_14partition_implILS5_0ELb0ES3_jN6thrust23THRUST_200600_302600_NS6detail15normal_iteratorINSA_10device_ptrIiEEEEPS6_SG_NS0_5tupleIJNSA_16discard_iteratorINSA_11use_defaultEEESF_EEENSH_IJSG_SG_EEES6_PlJ7is_evenIiEEEE10hipError_tPvRmT3_T4_T5_T6_T7_T9_mT8_P12ihipStream_tbDpT10_ENKUlT_T0_E_clISt17integral_constantIbLb0EES18_IbLb1EEEEDaS14_S15_EUlS14_E_NS1_11comp_targetILNS1_3genE10ELNS1_11target_archE1200ELNS1_3gpuE4ELNS1_3repE0EEENS1_30default_config_static_selectorELNS0_4arch9wavefront6targetE1EEEvT1_
	.p2align	8
	.type	_ZN7rocprim17ROCPRIM_400000_NS6detail17trampoline_kernelINS0_14default_configENS1_25partition_config_selectorILNS1_17partition_subalgoE0EiNS0_10empty_typeEbEEZZNS1_14partition_implILS5_0ELb0ES3_jN6thrust23THRUST_200600_302600_NS6detail15normal_iteratorINSA_10device_ptrIiEEEEPS6_SG_NS0_5tupleIJNSA_16discard_iteratorINSA_11use_defaultEEESF_EEENSH_IJSG_SG_EEES6_PlJ7is_evenIiEEEE10hipError_tPvRmT3_T4_T5_T6_T7_T9_mT8_P12ihipStream_tbDpT10_ENKUlT_T0_E_clISt17integral_constantIbLb0EES18_IbLb1EEEEDaS14_S15_EUlS14_E_NS1_11comp_targetILNS1_3genE10ELNS1_11target_archE1200ELNS1_3gpuE4ELNS1_3repE0EEENS1_30default_config_static_selectorELNS0_4arch9wavefront6targetE1EEEvT1_,@function
_ZN7rocprim17ROCPRIM_400000_NS6detail17trampoline_kernelINS0_14default_configENS1_25partition_config_selectorILNS1_17partition_subalgoE0EiNS0_10empty_typeEbEEZZNS1_14partition_implILS5_0ELb0ES3_jN6thrust23THRUST_200600_302600_NS6detail15normal_iteratorINSA_10device_ptrIiEEEEPS6_SG_NS0_5tupleIJNSA_16discard_iteratorINSA_11use_defaultEEESF_EEENSH_IJSG_SG_EEES6_PlJ7is_evenIiEEEE10hipError_tPvRmT3_T4_T5_T6_T7_T9_mT8_P12ihipStream_tbDpT10_ENKUlT_T0_E_clISt17integral_constantIbLb0EES18_IbLb1EEEEDaS14_S15_EUlS14_E_NS1_11comp_targetILNS1_3genE10ELNS1_11target_archE1200ELNS1_3gpuE4ELNS1_3repE0EEENS1_30default_config_static_selectorELNS0_4arch9wavefront6targetE1EEEvT1_: ; @_ZN7rocprim17ROCPRIM_400000_NS6detail17trampoline_kernelINS0_14default_configENS1_25partition_config_selectorILNS1_17partition_subalgoE0EiNS0_10empty_typeEbEEZZNS1_14partition_implILS5_0ELb0ES3_jN6thrust23THRUST_200600_302600_NS6detail15normal_iteratorINSA_10device_ptrIiEEEEPS6_SG_NS0_5tupleIJNSA_16discard_iteratorINSA_11use_defaultEEESF_EEENSH_IJSG_SG_EEES6_PlJ7is_evenIiEEEE10hipError_tPvRmT3_T4_T5_T6_T7_T9_mT8_P12ihipStream_tbDpT10_ENKUlT_T0_E_clISt17integral_constantIbLb0EES18_IbLb1EEEEDaS14_S15_EUlS14_E_NS1_11comp_targetILNS1_3genE10ELNS1_11target_archE1200ELNS1_3gpuE4ELNS1_3repE0EEENS1_30default_config_static_selectorELNS0_4arch9wavefront6targetE1EEEvT1_
; %bb.0:
	.section	.rodata,"a",@progbits
	.p2align	6, 0x0
	.amdhsa_kernel _ZN7rocprim17ROCPRIM_400000_NS6detail17trampoline_kernelINS0_14default_configENS1_25partition_config_selectorILNS1_17partition_subalgoE0EiNS0_10empty_typeEbEEZZNS1_14partition_implILS5_0ELb0ES3_jN6thrust23THRUST_200600_302600_NS6detail15normal_iteratorINSA_10device_ptrIiEEEEPS6_SG_NS0_5tupleIJNSA_16discard_iteratorINSA_11use_defaultEEESF_EEENSH_IJSG_SG_EEES6_PlJ7is_evenIiEEEE10hipError_tPvRmT3_T4_T5_T6_T7_T9_mT8_P12ihipStream_tbDpT10_ENKUlT_T0_E_clISt17integral_constantIbLb0EES18_IbLb1EEEEDaS14_S15_EUlS14_E_NS1_11comp_targetILNS1_3genE10ELNS1_11target_archE1200ELNS1_3gpuE4ELNS1_3repE0EEENS1_30default_config_static_selectorELNS0_4arch9wavefront6targetE1EEEvT1_
		.amdhsa_group_segment_fixed_size 0
		.amdhsa_private_segment_fixed_size 0
		.amdhsa_kernarg_size 144
		.amdhsa_user_sgpr_count 6
		.amdhsa_user_sgpr_private_segment_buffer 1
		.amdhsa_user_sgpr_dispatch_ptr 0
		.amdhsa_user_sgpr_queue_ptr 0
		.amdhsa_user_sgpr_kernarg_segment_ptr 1
		.amdhsa_user_sgpr_dispatch_id 0
		.amdhsa_user_sgpr_flat_scratch_init 0
		.amdhsa_user_sgpr_kernarg_preload_length 0
		.amdhsa_user_sgpr_kernarg_preload_offset 0
		.amdhsa_user_sgpr_private_segment_size 0
		.amdhsa_uses_dynamic_stack 0
		.amdhsa_system_sgpr_private_segment_wavefront_offset 0
		.amdhsa_system_sgpr_workgroup_id_x 1
		.amdhsa_system_sgpr_workgroup_id_y 0
		.amdhsa_system_sgpr_workgroup_id_z 0
		.amdhsa_system_sgpr_workgroup_info 0
		.amdhsa_system_vgpr_workitem_id 0
		.amdhsa_next_free_vgpr 1
		.amdhsa_next_free_sgpr 0
		.amdhsa_accum_offset 4
		.amdhsa_reserve_vcc 0
		.amdhsa_reserve_flat_scratch 0
		.amdhsa_float_round_mode_32 0
		.amdhsa_float_round_mode_16_64 0
		.amdhsa_float_denorm_mode_32 3
		.amdhsa_float_denorm_mode_16_64 3
		.amdhsa_dx10_clamp 1
		.amdhsa_ieee_mode 1
		.amdhsa_fp16_overflow 0
		.amdhsa_tg_split 0
		.amdhsa_exception_fp_ieee_invalid_op 0
		.amdhsa_exception_fp_denorm_src 0
		.amdhsa_exception_fp_ieee_div_zero 0
		.amdhsa_exception_fp_ieee_overflow 0
		.amdhsa_exception_fp_ieee_underflow 0
		.amdhsa_exception_fp_ieee_inexact 0
		.amdhsa_exception_int_div_zero 0
	.end_amdhsa_kernel
	.section	.text._ZN7rocprim17ROCPRIM_400000_NS6detail17trampoline_kernelINS0_14default_configENS1_25partition_config_selectorILNS1_17partition_subalgoE0EiNS0_10empty_typeEbEEZZNS1_14partition_implILS5_0ELb0ES3_jN6thrust23THRUST_200600_302600_NS6detail15normal_iteratorINSA_10device_ptrIiEEEEPS6_SG_NS0_5tupleIJNSA_16discard_iteratorINSA_11use_defaultEEESF_EEENSH_IJSG_SG_EEES6_PlJ7is_evenIiEEEE10hipError_tPvRmT3_T4_T5_T6_T7_T9_mT8_P12ihipStream_tbDpT10_ENKUlT_T0_E_clISt17integral_constantIbLb0EES18_IbLb1EEEEDaS14_S15_EUlS14_E_NS1_11comp_targetILNS1_3genE10ELNS1_11target_archE1200ELNS1_3gpuE4ELNS1_3repE0EEENS1_30default_config_static_selectorELNS0_4arch9wavefront6targetE1EEEvT1_,"axG",@progbits,_ZN7rocprim17ROCPRIM_400000_NS6detail17trampoline_kernelINS0_14default_configENS1_25partition_config_selectorILNS1_17partition_subalgoE0EiNS0_10empty_typeEbEEZZNS1_14partition_implILS5_0ELb0ES3_jN6thrust23THRUST_200600_302600_NS6detail15normal_iteratorINSA_10device_ptrIiEEEEPS6_SG_NS0_5tupleIJNSA_16discard_iteratorINSA_11use_defaultEEESF_EEENSH_IJSG_SG_EEES6_PlJ7is_evenIiEEEE10hipError_tPvRmT3_T4_T5_T6_T7_T9_mT8_P12ihipStream_tbDpT10_ENKUlT_T0_E_clISt17integral_constantIbLb0EES18_IbLb1EEEEDaS14_S15_EUlS14_E_NS1_11comp_targetILNS1_3genE10ELNS1_11target_archE1200ELNS1_3gpuE4ELNS1_3repE0EEENS1_30default_config_static_selectorELNS0_4arch9wavefront6targetE1EEEvT1_,comdat
.Lfunc_end2776:
	.size	_ZN7rocprim17ROCPRIM_400000_NS6detail17trampoline_kernelINS0_14default_configENS1_25partition_config_selectorILNS1_17partition_subalgoE0EiNS0_10empty_typeEbEEZZNS1_14partition_implILS5_0ELb0ES3_jN6thrust23THRUST_200600_302600_NS6detail15normal_iteratorINSA_10device_ptrIiEEEEPS6_SG_NS0_5tupleIJNSA_16discard_iteratorINSA_11use_defaultEEESF_EEENSH_IJSG_SG_EEES6_PlJ7is_evenIiEEEE10hipError_tPvRmT3_T4_T5_T6_T7_T9_mT8_P12ihipStream_tbDpT10_ENKUlT_T0_E_clISt17integral_constantIbLb0EES18_IbLb1EEEEDaS14_S15_EUlS14_E_NS1_11comp_targetILNS1_3genE10ELNS1_11target_archE1200ELNS1_3gpuE4ELNS1_3repE0EEENS1_30default_config_static_selectorELNS0_4arch9wavefront6targetE1EEEvT1_, .Lfunc_end2776-_ZN7rocprim17ROCPRIM_400000_NS6detail17trampoline_kernelINS0_14default_configENS1_25partition_config_selectorILNS1_17partition_subalgoE0EiNS0_10empty_typeEbEEZZNS1_14partition_implILS5_0ELb0ES3_jN6thrust23THRUST_200600_302600_NS6detail15normal_iteratorINSA_10device_ptrIiEEEEPS6_SG_NS0_5tupleIJNSA_16discard_iteratorINSA_11use_defaultEEESF_EEENSH_IJSG_SG_EEES6_PlJ7is_evenIiEEEE10hipError_tPvRmT3_T4_T5_T6_T7_T9_mT8_P12ihipStream_tbDpT10_ENKUlT_T0_E_clISt17integral_constantIbLb0EES18_IbLb1EEEEDaS14_S15_EUlS14_E_NS1_11comp_targetILNS1_3genE10ELNS1_11target_archE1200ELNS1_3gpuE4ELNS1_3repE0EEENS1_30default_config_static_selectorELNS0_4arch9wavefront6targetE1EEEvT1_
                                        ; -- End function
	.section	.AMDGPU.csdata,"",@progbits
; Kernel info:
; codeLenInByte = 0
; NumSgprs: 4
; NumVgprs: 0
; NumAgprs: 0
; TotalNumVgprs: 0
; ScratchSize: 0
; MemoryBound: 0
; FloatMode: 240
; IeeeMode: 1
; LDSByteSize: 0 bytes/workgroup (compile time only)
; SGPRBlocks: 0
; VGPRBlocks: 0
; NumSGPRsForWavesPerEU: 4
; NumVGPRsForWavesPerEU: 1
; AccumOffset: 4
; Occupancy: 8
; WaveLimiterHint : 0
; COMPUTE_PGM_RSRC2:SCRATCH_EN: 0
; COMPUTE_PGM_RSRC2:USER_SGPR: 6
; COMPUTE_PGM_RSRC2:TRAP_HANDLER: 0
; COMPUTE_PGM_RSRC2:TGID_X_EN: 1
; COMPUTE_PGM_RSRC2:TGID_Y_EN: 0
; COMPUTE_PGM_RSRC2:TGID_Z_EN: 0
; COMPUTE_PGM_RSRC2:TIDIG_COMP_CNT: 0
; COMPUTE_PGM_RSRC3_GFX90A:ACCUM_OFFSET: 0
; COMPUTE_PGM_RSRC3_GFX90A:TG_SPLIT: 0
	.section	.text._ZN7rocprim17ROCPRIM_400000_NS6detail17trampoline_kernelINS0_14default_configENS1_25partition_config_selectorILNS1_17partition_subalgoE0EiNS0_10empty_typeEbEEZZNS1_14partition_implILS5_0ELb0ES3_jN6thrust23THRUST_200600_302600_NS6detail15normal_iteratorINSA_10device_ptrIiEEEEPS6_SG_NS0_5tupleIJNSA_16discard_iteratorINSA_11use_defaultEEESF_EEENSH_IJSG_SG_EEES6_PlJ7is_evenIiEEEE10hipError_tPvRmT3_T4_T5_T6_T7_T9_mT8_P12ihipStream_tbDpT10_ENKUlT_T0_E_clISt17integral_constantIbLb0EES18_IbLb1EEEEDaS14_S15_EUlS14_E_NS1_11comp_targetILNS1_3genE9ELNS1_11target_archE1100ELNS1_3gpuE3ELNS1_3repE0EEENS1_30default_config_static_selectorELNS0_4arch9wavefront6targetE1EEEvT1_,"axG",@progbits,_ZN7rocprim17ROCPRIM_400000_NS6detail17trampoline_kernelINS0_14default_configENS1_25partition_config_selectorILNS1_17partition_subalgoE0EiNS0_10empty_typeEbEEZZNS1_14partition_implILS5_0ELb0ES3_jN6thrust23THRUST_200600_302600_NS6detail15normal_iteratorINSA_10device_ptrIiEEEEPS6_SG_NS0_5tupleIJNSA_16discard_iteratorINSA_11use_defaultEEESF_EEENSH_IJSG_SG_EEES6_PlJ7is_evenIiEEEE10hipError_tPvRmT3_T4_T5_T6_T7_T9_mT8_P12ihipStream_tbDpT10_ENKUlT_T0_E_clISt17integral_constantIbLb0EES18_IbLb1EEEEDaS14_S15_EUlS14_E_NS1_11comp_targetILNS1_3genE9ELNS1_11target_archE1100ELNS1_3gpuE3ELNS1_3repE0EEENS1_30default_config_static_selectorELNS0_4arch9wavefront6targetE1EEEvT1_,comdat
	.protected	_ZN7rocprim17ROCPRIM_400000_NS6detail17trampoline_kernelINS0_14default_configENS1_25partition_config_selectorILNS1_17partition_subalgoE0EiNS0_10empty_typeEbEEZZNS1_14partition_implILS5_0ELb0ES3_jN6thrust23THRUST_200600_302600_NS6detail15normal_iteratorINSA_10device_ptrIiEEEEPS6_SG_NS0_5tupleIJNSA_16discard_iteratorINSA_11use_defaultEEESF_EEENSH_IJSG_SG_EEES6_PlJ7is_evenIiEEEE10hipError_tPvRmT3_T4_T5_T6_T7_T9_mT8_P12ihipStream_tbDpT10_ENKUlT_T0_E_clISt17integral_constantIbLb0EES18_IbLb1EEEEDaS14_S15_EUlS14_E_NS1_11comp_targetILNS1_3genE9ELNS1_11target_archE1100ELNS1_3gpuE3ELNS1_3repE0EEENS1_30default_config_static_selectorELNS0_4arch9wavefront6targetE1EEEvT1_ ; -- Begin function _ZN7rocprim17ROCPRIM_400000_NS6detail17trampoline_kernelINS0_14default_configENS1_25partition_config_selectorILNS1_17partition_subalgoE0EiNS0_10empty_typeEbEEZZNS1_14partition_implILS5_0ELb0ES3_jN6thrust23THRUST_200600_302600_NS6detail15normal_iteratorINSA_10device_ptrIiEEEEPS6_SG_NS0_5tupleIJNSA_16discard_iteratorINSA_11use_defaultEEESF_EEENSH_IJSG_SG_EEES6_PlJ7is_evenIiEEEE10hipError_tPvRmT3_T4_T5_T6_T7_T9_mT8_P12ihipStream_tbDpT10_ENKUlT_T0_E_clISt17integral_constantIbLb0EES18_IbLb1EEEEDaS14_S15_EUlS14_E_NS1_11comp_targetILNS1_3genE9ELNS1_11target_archE1100ELNS1_3gpuE3ELNS1_3repE0EEENS1_30default_config_static_selectorELNS0_4arch9wavefront6targetE1EEEvT1_
	.globl	_ZN7rocprim17ROCPRIM_400000_NS6detail17trampoline_kernelINS0_14default_configENS1_25partition_config_selectorILNS1_17partition_subalgoE0EiNS0_10empty_typeEbEEZZNS1_14partition_implILS5_0ELb0ES3_jN6thrust23THRUST_200600_302600_NS6detail15normal_iteratorINSA_10device_ptrIiEEEEPS6_SG_NS0_5tupleIJNSA_16discard_iteratorINSA_11use_defaultEEESF_EEENSH_IJSG_SG_EEES6_PlJ7is_evenIiEEEE10hipError_tPvRmT3_T4_T5_T6_T7_T9_mT8_P12ihipStream_tbDpT10_ENKUlT_T0_E_clISt17integral_constantIbLb0EES18_IbLb1EEEEDaS14_S15_EUlS14_E_NS1_11comp_targetILNS1_3genE9ELNS1_11target_archE1100ELNS1_3gpuE3ELNS1_3repE0EEENS1_30default_config_static_selectorELNS0_4arch9wavefront6targetE1EEEvT1_
	.p2align	8
	.type	_ZN7rocprim17ROCPRIM_400000_NS6detail17trampoline_kernelINS0_14default_configENS1_25partition_config_selectorILNS1_17partition_subalgoE0EiNS0_10empty_typeEbEEZZNS1_14partition_implILS5_0ELb0ES3_jN6thrust23THRUST_200600_302600_NS6detail15normal_iteratorINSA_10device_ptrIiEEEEPS6_SG_NS0_5tupleIJNSA_16discard_iteratorINSA_11use_defaultEEESF_EEENSH_IJSG_SG_EEES6_PlJ7is_evenIiEEEE10hipError_tPvRmT3_T4_T5_T6_T7_T9_mT8_P12ihipStream_tbDpT10_ENKUlT_T0_E_clISt17integral_constantIbLb0EES18_IbLb1EEEEDaS14_S15_EUlS14_E_NS1_11comp_targetILNS1_3genE9ELNS1_11target_archE1100ELNS1_3gpuE3ELNS1_3repE0EEENS1_30default_config_static_selectorELNS0_4arch9wavefront6targetE1EEEvT1_,@function
_ZN7rocprim17ROCPRIM_400000_NS6detail17trampoline_kernelINS0_14default_configENS1_25partition_config_selectorILNS1_17partition_subalgoE0EiNS0_10empty_typeEbEEZZNS1_14partition_implILS5_0ELb0ES3_jN6thrust23THRUST_200600_302600_NS6detail15normal_iteratorINSA_10device_ptrIiEEEEPS6_SG_NS0_5tupleIJNSA_16discard_iteratorINSA_11use_defaultEEESF_EEENSH_IJSG_SG_EEES6_PlJ7is_evenIiEEEE10hipError_tPvRmT3_T4_T5_T6_T7_T9_mT8_P12ihipStream_tbDpT10_ENKUlT_T0_E_clISt17integral_constantIbLb0EES18_IbLb1EEEEDaS14_S15_EUlS14_E_NS1_11comp_targetILNS1_3genE9ELNS1_11target_archE1100ELNS1_3gpuE3ELNS1_3repE0EEENS1_30default_config_static_selectorELNS0_4arch9wavefront6targetE1EEEvT1_: ; @_ZN7rocprim17ROCPRIM_400000_NS6detail17trampoline_kernelINS0_14default_configENS1_25partition_config_selectorILNS1_17partition_subalgoE0EiNS0_10empty_typeEbEEZZNS1_14partition_implILS5_0ELb0ES3_jN6thrust23THRUST_200600_302600_NS6detail15normal_iteratorINSA_10device_ptrIiEEEEPS6_SG_NS0_5tupleIJNSA_16discard_iteratorINSA_11use_defaultEEESF_EEENSH_IJSG_SG_EEES6_PlJ7is_evenIiEEEE10hipError_tPvRmT3_T4_T5_T6_T7_T9_mT8_P12ihipStream_tbDpT10_ENKUlT_T0_E_clISt17integral_constantIbLb0EES18_IbLb1EEEEDaS14_S15_EUlS14_E_NS1_11comp_targetILNS1_3genE9ELNS1_11target_archE1100ELNS1_3gpuE3ELNS1_3repE0EEENS1_30default_config_static_selectorELNS0_4arch9wavefront6targetE1EEEvT1_
; %bb.0:
	.section	.rodata,"a",@progbits
	.p2align	6, 0x0
	.amdhsa_kernel _ZN7rocprim17ROCPRIM_400000_NS6detail17trampoline_kernelINS0_14default_configENS1_25partition_config_selectorILNS1_17partition_subalgoE0EiNS0_10empty_typeEbEEZZNS1_14partition_implILS5_0ELb0ES3_jN6thrust23THRUST_200600_302600_NS6detail15normal_iteratorINSA_10device_ptrIiEEEEPS6_SG_NS0_5tupleIJNSA_16discard_iteratorINSA_11use_defaultEEESF_EEENSH_IJSG_SG_EEES6_PlJ7is_evenIiEEEE10hipError_tPvRmT3_T4_T5_T6_T7_T9_mT8_P12ihipStream_tbDpT10_ENKUlT_T0_E_clISt17integral_constantIbLb0EES18_IbLb1EEEEDaS14_S15_EUlS14_E_NS1_11comp_targetILNS1_3genE9ELNS1_11target_archE1100ELNS1_3gpuE3ELNS1_3repE0EEENS1_30default_config_static_selectorELNS0_4arch9wavefront6targetE1EEEvT1_
		.amdhsa_group_segment_fixed_size 0
		.amdhsa_private_segment_fixed_size 0
		.amdhsa_kernarg_size 144
		.amdhsa_user_sgpr_count 6
		.amdhsa_user_sgpr_private_segment_buffer 1
		.amdhsa_user_sgpr_dispatch_ptr 0
		.amdhsa_user_sgpr_queue_ptr 0
		.amdhsa_user_sgpr_kernarg_segment_ptr 1
		.amdhsa_user_sgpr_dispatch_id 0
		.amdhsa_user_sgpr_flat_scratch_init 0
		.amdhsa_user_sgpr_kernarg_preload_length 0
		.amdhsa_user_sgpr_kernarg_preload_offset 0
		.amdhsa_user_sgpr_private_segment_size 0
		.amdhsa_uses_dynamic_stack 0
		.amdhsa_system_sgpr_private_segment_wavefront_offset 0
		.amdhsa_system_sgpr_workgroup_id_x 1
		.amdhsa_system_sgpr_workgroup_id_y 0
		.amdhsa_system_sgpr_workgroup_id_z 0
		.amdhsa_system_sgpr_workgroup_info 0
		.amdhsa_system_vgpr_workitem_id 0
		.amdhsa_next_free_vgpr 1
		.amdhsa_next_free_sgpr 0
		.amdhsa_accum_offset 4
		.amdhsa_reserve_vcc 0
		.amdhsa_reserve_flat_scratch 0
		.amdhsa_float_round_mode_32 0
		.amdhsa_float_round_mode_16_64 0
		.amdhsa_float_denorm_mode_32 3
		.amdhsa_float_denorm_mode_16_64 3
		.amdhsa_dx10_clamp 1
		.amdhsa_ieee_mode 1
		.amdhsa_fp16_overflow 0
		.amdhsa_tg_split 0
		.amdhsa_exception_fp_ieee_invalid_op 0
		.amdhsa_exception_fp_denorm_src 0
		.amdhsa_exception_fp_ieee_div_zero 0
		.amdhsa_exception_fp_ieee_overflow 0
		.amdhsa_exception_fp_ieee_underflow 0
		.amdhsa_exception_fp_ieee_inexact 0
		.amdhsa_exception_int_div_zero 0
	.end_amdhsa_kernel
	.section	.text._ZN7rocprim17ROCPRIM_400000_NS6detail17trampoline_kernelINS0_14default_configENS1_25partition_config_selectorILNS1_17partition_subalgoE0EiNS0_10empty_typeEbEEZZNS1_14partition_implILS5_0ELb0ES3_jN6thrust23THRUST_200600_302600_NS6detail15normal_iteratorINSA_10device_ptrIiEEEEPS6_SG_NS0_5tupleIJNSA_16discard_iteratorINSA_11use_defaultEEESF_EEENSH_IJSG_SG_EEES6_PlJ7is_evenIiEEEE10hipError_tPvRmT3_T4_T5_T6_T7_T9_mT8_P12ihipStream_tbDpT10_ENKUlT_T0_E_clISt17integral_constantIbLb0EES18_IbLb1EEEEDaS14_S15_EUlS14_E_NS1_11comp_targetILNS1_3genE9ELNS1_11target_archE1100ELNS1_3gpuE3ELNS1_3repE0EEENS1_30default_config_static_selectorELNS0_4arch9wavefront6targetE1EEEvT1_,"axG",@progbits,_ZN7rocprim17ROCPRIM_400000_NS6detail17trampoline_kernelINS0_14default_configENS1_25partition_config_selectorILNS1_17partition_subalgoE0EiNS0_10empty_typeEbEEZZNS1_14partition_implILS5_0ELb0ES3_jN6thrust23THRUST_200600_302600_NS6detail15normal_iteratorINSA_10device_ptrIiEEEEPS6_SG_NS0_5tupleIJNSA_16discard_iteratorINSA_11use_defaultEEESF_EEENSH_IJSG_SG_EEES6_PlJ7is_evenIiEEEE10hipError_tPvRmT3_T4_T5_T6_T7_T9_mT8_P12ihipStream_tbDpT10_ENKUlT_T0_E_clISt17integral_constantIbLb0EES18_IbLb1EEEEDaS14_S15_EUlS14_E_NS1_11comp_targetILNS1_3genE9ELNS1_11target_archE1100ELNS1_3gpuE3ELNS1_3repE0EEENS1_30default_config_static_selectorELNS0_4arch9wavefront6targetE1EEEvT1_,comdat
.Lfunc_end2777:
	.size	_ZN7rocprim17ROCPRIM_400000_NS6detail17trampoline_kernelINS0_14default_configENS1_25partition_config_selectorILNS1_17partition_subalgoE0EiNS0_10empty_typeEbEEZZNS1_14partition_implILS5_0ELb0ES3_jN6thrust23THRUST_200600_302600_NS6detail15normal_iteratorINSA_10device_ptrIiEEEEPS6_SG_NS0_5tupleIJNSA_16discard_iteratorINSA_11use_defaultEEESF_EEENSH_IJSG_SG_EEES6_PlJ7is_evenIiEEEE10hipError_tPvRmT3_T4_T5_T6_T7_T9_mT8_P12ihipStream_tbDpT10_ENKUlT_T0_E_clISt17integral_constantIbLb0EES18_IbLb1EEEEDaS14_S15_EUlS14_E_NS1_11comp_targetILNS1_3genE9ELNS1_11target_archE1100ELNS1_3gpuE3ELNS1_3repE0EEENS1_30default_config_static_selectorELNS0_4arch9wavefront6targetE1EEEvT1_, .Lfunc_end2777-_ZN7rocprim17ROCPRIM_400000_NS6detail17trampoline_kernelINS0_14default_configENS1_25partition_config_selectorILNS1_17partition_subalgoE0EiNS0_10empty_typeEbEEZZNS1_14partition_implILS5_0ELb0ES3_jN6thrust23THRUST_200600_302600_NS6detail15normal_iteratorINSA_10device_ptrIiEEEEPS6_SG_NS0_5tupleIJNSA_16discard_iteratorINSA_11use_defaultEEESF_EEENSH_IJSG_SG_EEES6_PlJ7is_evenIiEEEE10hipError_tPvRmT3_T4_T5_T6_T7_T9_mT8_P12ihipStream_tbDpT10_ENKUlT_T0_E_clISt17integral_constantIbLb0EES18_IbLb1EEEEDaS14_S15_EUlS14_E_NS1_11comp_targetILNS1_3genE9ELNS1_11target_archE1100ELNS1_3gpuE3ELNS1_3repE0EEENS1_30default_config_static_selectorELNS0_4arch9wavefront6targetE1EEEvT1_
                                        ; -- End function
	.section	.AMDGPU.csdata,"",@progbits
; Kernel info:
; codeLenInByte = 0
; NumSgprs: 4
; NumVgprs: 0
; NumAgprs: 0
; TotalNumVgprs: 0
; ScratchSize: 0
; MemoryBound: 0
; FloatMode: 240
; IeeeMode: 1
; LDSByteSize: 0 bytes/workgroup (compile time only)
; SGPRBlocks: 0
; VGPRBlocks: 0
; NumSGPRsForWavesPerEU: 4
; NumVGPRsForWavesPerEU: 1
; AccumOffset: 4
; Occupancy: 8
; WaveLimiterHint : 0
; COMPUTE_PGM_RSRC2:SCRATCH_EN: 0
; COMPUTE_PGM_RSRC2:USER_SGPR: 6
; COMPUTE_PGM_RSRC2:TRAP_HANDLER: 0
; COMPUTE_PGM_RSRC2:TGID_X_EN: 1
; COMPUTE_PGM_RSRC2:TGID_Y_EN: 0
; COMPUTE_PGM_RSRC2:TGID_Z_EN: 0
; COMPUTE_PGM_RSRC2:TIDIG_COMP_CNT: 0
; COMPUTE_PGM_RSRC3_GFX90A:ACCUM_OFFSET: 0
; COMPUTE_PGM_RSRC3_GFX90A:TG_SPLIT: 0
	.section	.text._ZN7rocprim17ROCPRIM_400000_NS6detail17trampoline_kernelINS0_14default_configENS1_25partition_config_selectorILNS1_17partition_subalgoE0EiNS0_10empty_typeEbEEZZNS1_14partition_implILS5_0ELb0ES3_jN6thrust23THRUST_200600_302600_NS6detail15normal_iteratorINSA_10device_ptrIiEEEEPS6_SG_NS0_5tupleIJNSA_16discard_iteratorINSA_11use_defaultEEESF_EEENSH_IJSG_SG_EEES6_PlJ7is_evenIiEEEE10hipError_tPvRmT3_T4_T5_T6_T7_T9_mT8_P12ihipStream_tbDpT10_ENKUlT_T0_E_clISt17integral_constantIbLb0EES18_IbLb1EEEEDaS14_S15_EUlS14_E_NS1_11comp_targetILNS1_3genE8ELNS1_11target_archE1030ELNS1_3gpuE2ELNS1_3repE0EEENS1_30default_config_static_selectorELNS0_4arch9wavefront6targetE1EEEvT1_,"axG",@progbits,_ZN7rocprim17ROCPRIM_400000_NS6detail17trampoline_kernelINS0_14default_configENS1_25partition_config_selectorILNS1_17partition_subalgoE0EiNS0_10empty_typeEbEEZZNS1_14partition_implILS5_0ELb0ES3_jN6thrust23THRUST_200600_302600_NS6detail15normal_iteratorINSA_10device_ptrIiEEEEPS6_SG_NS0_5tupleIJNSA_16discard_iteratorINSA_11use_defaultEEESF_EEENSH_IJSG_SG_EEES6_PlJ7is_evenIiEEEE10hipError_tPvRmT3_T4_T5_T6_T7_T9_mT8_P12ihipStream_tbDpT10_ENKUlT_T0_E_clISt17integral_constantIbLb0EES18_IbLb1EEEEDaS14_S15_EUlS14_E_NS1_11comp_targetILNS1_3genE8ELNS1_11target_archE1030ELNS1_3gpuE2ELNS1_3repE0EEENS1_30default_config_static_selectorELNS0_4arch9wavefront6targetE1EEEvT1_,comdat
	.protected	_ZN7rocprim17ROCPRIM_400000_NS6detail17trampoline_kernelINS0_14default_configENS1_25partition_config_selectorILNS1_17partition_subalgoE0EiNS0_10empty_typeEbEEZZNS1_14partition_implILS5_0ELb0ES3_jN6thrust23THRUST_200600_302600_NS6detail15normal_iteratorINSA_10device_ptrIiEEEEPS6_SG_NS0_5tupleIJNSA_16discard_iteratorINSA_11use_defaultEEESF_EEENSH_IJSG_SG_EEES6_PlJ7is_evenIiEEEE10hipError_tPvRmT3_T4_T5_T6_T7_T9_mT8_P12ihipStream_tbDpT10_ENKUlT_T0_E_clISt17integral_constantIbLb0EES18_IbLb1EEEEDaS14_S15_EUlS14_E_NS1_11comp_targetILNS1_3genE8ELNS1_11target_archE1030ELNS1_3gpuE2ELNS1_3repE0EEENS1_30default_config_static_selectorELNS0_4arch9wavefront6targetE1EEEvT1_ ; -- Begin function _ZN7rocprim17ROCPRIM_400000_NS6detail17trampoline_kernelINS0_14default_configENS1_25partition_config_selectorILNS1_17partition_subalgoE0EiNS0_10empty_typeEbEEZZNS1_14partition_implILS5_0ELb0ES3_jN6thrust23THRUST_200600_302600_NS6detail15normal_iteratorINSA_10device_ptrIiEEEEPS6_SG_NS0_5tupleIJNSA_16discard_iteratorINSA_11use_defaultEEESF_EEENSH_IJSG_SG_EEES6_PlJ7is_evenIiEEEE10hipError_tPvRmT3_T4_T5_T6_T7_T9_mT8_P12ihipStream_tbDpT10_ENKUlT_T0_E_clISt17integral_constantIbLb0EES18_IbLb1EEEEDaS14_S15_EUlS14_E_NS1_11comp_targetILNS1_3genE8ELNS1_11target_archE1030ELNS1_3gpuE2ELNS1_3repE0EEENS1_30default_config_static_selectorELNS0_4arch9wavefront6targetE1EEEvT1_
	.globl	_ZN7rocprim17ROCPRIM_400000_NS6detail17trampoline_kernelINS0_14default_configENS1_25partition_config_selectorILNS1_17partition_subalgoE0EiNS0_10empty_typeEbEEZZNS1_14partition_implILS5_0ELb0ES3_jN6thrust23THRUST_200600_302600_NS6detail15normal_iteratorINSA_10device_ptrIiEEEEPS6_SG_NS0_5tupleIJNSA_16discard_iteratorINSA_11use_defaultEEESF_EEENSH_IJSG_SG_EEES6_PlJ7is_evenIiEEEE10hipError_tPvRmT3_T4_T5_T6_T7_T9_mT8_P12ihipStream_tbDpT10_ENKUlT_T0_E_clISt17integral_constantIbLb0EES18_IbLb1EEEEDaS14_S15_EUlS14_E_NS1_11comp_targetILNS1_3genE8ELNS1_11target_archE1030ELNS1_3gpuE2ELNS1_3repE0EEENS1_30default_config_static_selectorELNS0_4arch9wavefront6targetE1EEEvT1_
	.p2align	8
	.type	_ZN7rocprim17ROCPRIM_400000_NS6detail17trampoline_kernelINS0_14default_configENS1_25partition_config_selectorILNS1_17partition_subalgoE0EiNS0_10empty_typeEbEEZZNS1_14partition_implILS5_0ELb0ES3_jN6thrust23THRUST_200600_302600_NS6detail15normal_iteratorINSA_10device_ptrIiEEEEPS6_SG_NS0_5tupleIJNSA_16discard_iteratorINSA_11use_defaultEEESF_EEENSH_IJSG_SG_EEES6_PlJ7is_evenIiEEEE10hipError_tPvRmT3_T4_T5_T6_T7_T9_mT8_P12ihipStream_tbDpT10_ENKUlT_T0_E_clISt17integral_constantIbLb0EES18_IbLb1EEEEDaS14_S15_EUlS14_E_NS1_11comp_targetILNS1_3genE8ELNS1_11target_archE1030ELNS1_3gpuE2ELNS1_3repE0EEENS1_30default_config_static_selectorELNS0_4arch9wavefront6targetE1EEEvT1_,@function
_ZN7rocprim17ROCPRIM_400000_NS6detail17trampoline_kernelINS0_14default_configENS1_25partition_config_selectorILNS1_17partition_subalgoE0EiNS0_10empty_typeEbEEZZNS1_14partition_implILS5_0ELb0ES3_jN6thrust23THRUST_200600_302600_NS6detail15normal_iteratorINSA_10device_ptrIiEEEEPS6_SG_NS0_5tupleIJNSA_16discard_iteratorINSA_11use_defaultEEESF_EEENSH_IJSG_SG_EEES6_PlJ7is_evenIiEEEE10hipError_tPvRmT3_T4_T5_T6_T7_T9_mT8_P12ihipStream_tbDpT10_ENKUlT_T0_E_clISt17integral_constantIbLb0EES18_IbLb1EEEEDaS14_S15_EUlS14_E_NS1_11comp_targetILNS1_3genE8ELNS1_11target_archE1030ELNS1_3gpuE2ELNS1_3repE0EEENS1_30default_config_static_selectorELNS0_4arch9wavefront6targetE1EEEvT1_: ; @_ZN7rocprim17ROCPRIM_400000_NS6detail17trampoline_kernelINS0_14default_configENS1_25partition_config_selectorILNS1_17partition_subalgoE0EiNS0_10empty_typeEbEEZZNS1_14partition_implILS5_0ELb0ES3_jN6thrust23THRUST_200600_302600_NS6detail15normal_iteratorINSA_10device_ptrIiEEEEPS6_SG_NS0_5tupleIJNSA_16discard_iteratorINSA_11use_defaultEEESF_EEENSH_IJSG_SG_EEES6_PlJ7is_evenIiEEEE10hipError_tPvRmT3_T4_T5_T6_T7_T9_mT8_P12ihipStream_tbDpT10_ENKUlT_T0_E_clISt17integral_constantIbLb0EES18_IbLb1EEEEDaS14_S15_EUlS14_E_NS1_11comp_targetILNS1_3genE8ELNS1_11target_archE1030ELNS1_3gpuE2ELNS1_3repE0EEENS1_30default_config_static_selectorELNS0_4arch9wavefront6targetE1EEEvT1_
; %bb.0:
	.section	.rodata,"a",@progbits
	.p2align	6, 0x0
	.amdhsa_kernel _ZN7rocprim17ROCPRIM_400000_NS6detail17trampoline_kernelINS0_14default_configENS1_25partition_config_selectorILNS1_17partition_subalgoE0EiNS0_10empty_typeEbEEZZNS1_14partition_implILS5_0ELb0ES3_jN6thrust23THRUST_200600_302600_NS6detail15normal_iteratorINSA_10device_ptrIiEEEEPS6_SG_NS0_5tupleIJNSA_16discard_iteratorINSA_11use_defaultEEESF_EEENSH_IJSG_SG_EEES6_PlJ7is_evenIiEEEE10hipError_tPvRmT3_T4_T5_T6_T7_T9_mT8_P12ihipStream_tbDpT10_ENKUlT_T0_E_clISt17integral_constantIbLb0EES18_IbLb1EEEEDaS14_S15_EUlS14_E_NS1_11comp_targetILNS1_3genE8ELNS1_11target_archE1030ELNS1_3gpuE2ELNS1_3repE0EEENS1_30default_config_static_selectorELNS0_4arch9wavefront6targetE1EEEvT1_
		.amdhsa_group_segment_fixed_size 0
		.amdhsa_private_segment_fixed_size 0
		.amdhsa_kernarg_size 144
		.amdhsa_user_sgpr_count 6
		.amdhsa_user_sgpr_private_segment_buffer 1
		.amdhsa_user_sgpr_dispatch_ptr 0
		.amdhsa_user_sgpr_queue_ptr 0
		.amdhsa_user_sgpr_kernarg_segment_ptr 1
		.amdhsa_user_sgpr_dispatch_id 0
		.amdhsa_user_sgpr_flat_scratch_init 0
		.amdhsa_user_sgpr_kernarg_preload_length 0
		.amdhsa_user_sgpr_kernarg_preload_offset 0
		.amdhsa_user_sgpr_private_segment_size 0
		.amdhsa_uses_dynamic_stack 0
		.amdhsa_system_sgpr_private_segment_wavefront_offset 0
		.amdhsa_system_sgpr_workgroup_id_x 1
		.amdhsa_system_sgpr_workgroup_id_y 0
		.amdhsa_system_sgpr_workgroup_id_z 0
		.amdhsa_system_sgpr_workgroup_info 0
		.amdhsa_system_vgpr_workitem_id 0
		.amdhsa_next_free_vgpr 1
		.amdhsa_next_free_sgpr 0
		.amdhsa_accum_offset 4
		.amdhsa_reserve_vcc 0
		.amdhsa_reserve_flat_scratch 0
		.amdhsa_float_round_mode_32 0
		.amdhsa_float_round_mode_16_64 0
		.amdhsa_float_denorm_mode_32 3
		.amdhsa_float_denorm_mode_16_64 3
		.amdhsa_dx10_clamp 1
		.amdhsa_ieee_mode 1
		.amdhsa_fp16_overflow 0
		.amdhsa_tg_split 0
		.amdhsa_exception_fp_ieee_invalid_op 0
		.amdhsa_exception_fp_denorm_src 0
		.amdhsa_exception_fp_ieee_div_zero 0
		.amdhsa_exception_fp_ieee_overflow 0
		.amdhsa_exception_fp_ieee_underflow 0
		.amdhsa_exception_fp_ieee_inexact 0
		.amdhsa_exception_int_div_zero 0
	.end_amdhsa_kernel
	.section	.text._ZN7rocprim17ROCPRIM_400000_NS6detail17trampoline_kernelINS0_14default_configENS1_25partition_config_selectorILNS1_17partition_subalgoE0EiNS0_10empty_typeEbEEZZNS1_14partition_implILS5_0ELb0ES3_jN6thrust23THRUST_200600_302600_NS6detail15normal_iteratorINSA_10device_ptrIiEEEEPS6_SG_NS0_5tupleIJNSA_16discard_iteratorINSA_11use_defaultEEESF_EEENSH_IJSG_SG_EEES6_PlJ7is_evenIiEEEE10hipError_tPvRmT3_T4_T5_T6_T7_T9_mT8_P12ihipStream_tbDpT10_ENKUlT_T0_E_clISt17integral_constantIbLb0EES18_IbLb1EEEEDaS14_S15_EUlS14_E_NS1_11comp_targetILNS1_3genE8ELNS1_11target_archE1030ELNS1_3gpuE2ELNS1_3repE0EEENS1_30default_config_static_selectorELNS0_4arch9wavefront6targetE1EEEvT1_,"axG",@progbits,_ZN7rocprim17ROCPRIM_400000_NS6detail17trampoline_kernelINS0_14default_configENS1_25partition_config_selectorILNS1_17partition_subalgoE0EiNS0_10empty_typeEbEEZZNS1_14partition_implILS5_0ELb0ES3_jN6thrust23THRUST_200600_302600_NS6detail15normal_iteratorINSA_10device_ptrIiEEEEPS6_SG_NS0_5tupleIJNSA_16discard_iteratorINSA_11use_defaultEEESF_EEENSH_IJSG_SG_EEES6_PlJ7is_evenIiEEEE10hipError_tPvRmT3_T4_T5_T6_T7_T9_mT8_P12ihipStream_tbDpT10_ENKUlT_T0_E_clISt17integral_constantIbLb0EES18_IbLb1EEEEDaS14_S15_EUlS14_E_NS1_11comp_targetILNS1_3genE8ELNS1_11target_archE1030ELNS1_3gpuE2ELNS1_3repE0EEENS1_30default_config_static_selectorELNS0_4arch9wavefront6targetE1EEEvT1_,comdat
.Lfunc_end2778:
	.size	_ZN7rocprim17ROCPRIM_400000_NS6detail17trampoline_kernelINS0_14default_configENS1_25partition_config_selectorILNS1_17partition_subalgoE0EiNS0_10empty_typeEbEEZZNS1_14partition_implILS5_0ELb0ES3_jN6thrust23THRUST_200600_302600_NS6detail15normal_iteratorINSA_10device_ptrIiEEEEPS6_SG_NS0_5tupleIJNSA_16discard_iteratorINSA_11use_defaultEEESF_EEENSH_IJSG_SG_EEES6_PlJ7is_evenIiEEEE10hipError_tPvRmT3_T4_T5_T6_T7_T9_mT8_P12ihipStream_tbDpT10_ENKUlT_T0_E_clISt17integral_constantIbLb0EES18_IbLb1EEEEDaS14_S15_EUlS14_E_NS1_11comp_targetILNS1_3genE8ELNS1_11target_archE1030ELNS1_3gpuE2ELNS1_3repE0EEENS1_30default_config_static_selectorELNS0_4arch9wavefront6targetE1EEEvT1_, .Lfunc_end2778-_ZN7rocprim17ROCPRIM_400000_NS6detail17trampoline_kernelINS0_14default_configENS1_25partition_config_selectorILNS1_17partition_subalgoE0EiNS0_10empty_typeEbEEZZNS1_14partition_implILS5_0ELb0ES3_jN6thrust23THRUST_200600_302600_NS6detail15normal_iteratorINSA_10device_ptrIiEEEEPS6_SG_NS0_5tupleIJNSA_16discard_iteratorINSA_11use_defaultEEESF_EEENSH_IJSG_SG_EEES6_PlJ7is_evenIiEEEE10hipError_tPvRmT3_T4_T5_T6_T7_T9_mT8_P12ihipStream_tbDpT10_ENKUlT_T0_E_clISt17integral_constantIbLb0EES18_IbLb1EEEEDaS14_S15_EUlS14_E_NS1_11comp_targetILNS1_3genE8ELNS1_11target_archE1030ELNS1_3gpuE2ELNS1_3repE0EEENS1_30default_config_static_selectorELNS0_4arch9wavefront6targetE1EEEvT1_
                                        ; -- End function
	.section	.AMDGPU.csdata,"",@progbits
; Kernel info:
; codeLenInByte = 0
; NumSgprs: 4
; NumVgprs: 0
; NumAgprs: 0
; TotalNumVgprs: 0
; ScratchSize: 0
; MemoryBound: 0
; FloatMode: 240
; IeeeMode: 1
; LDSByteSize: 0 bytes/workgroup (compile time only)
; SGPRBlocks: 0
; VGPRBlocks: 0
; NumSGPRsForWavesPerEU: 4
; NumVGPRsForWavesPerEU: 1
; AccumOffset: 4
; Occupancy: 8
; WaveLimiterHint : 0
; COMPUTE_PGM_RSRC2:SCRATCH_EN: 0
; COMPUTE_PGM_RSRC2:USER_SGPR: 6
; COMPUTE_PGM_RSRC2:TRAP_HANDLER: 0
; COMPUTE_PGM_RSRC2:TGID_X_EN: 1
; COMPUTE_PGM_RSRC2:TGID_Y_EN: 0
; COMPUTE_PGM_RSRC2:TGID_Z_EN: 0
; COMPUTE_PGM_RSRC2:TIDIG_COMP_CNT: 0
; COMPUTE_PGM_RSRC3_GFX90A:ACCUM_OFFSET: 0
; COMPUTE_PGM_RSRC3_GFX90A:TG_SPLIT: 0
	.section	.text._ZN7rocprim17ROCPRIM_400000_NS6detail17trampoline_kernelINS0_14default_configENS1_25partition_config_selectorILNS1_17partition_subalgoE0EsNS0_10empty_typeEbEEZZNS1_14partition_implILS5_0ELb0ES3_jN6thrust23THRUST_200600_302600_NS6detail15normal_iteratorINSA_10device_ptrIsEEEEPS6_SG_NS0_5tupleIJNSA_16discard_iteratorINSA_11use_defaultEEESK_EEENSH_IJSG_SG_EEES6_PlJ7is_evenIsEEEE10hipError_tPvRmT3_T4_T5_T6_T7_T9_mT8_P12ihipStream_tbDpT10_ENKUlT_T0_E_clISt17integral_constantIbLb0EES19_EEDaS14_S15_EUlS14_E_NS1_11comp_targetILNS1_3genE0ELNS1_11target_archE4294967295ELNS1_3gpuE0ELNS1_3repE0EEENS1_30default_config_static_selectorELNS0_4arch9wavefront6targetE1EEEvT1_,"axG",@progbits,_ZN7rocprim17ROCPRIM_400000_NS6detail17trampoline_kernelINS0_14default_configENS1_25partition_config_selectorILNS1_17partition_subalgoE0EsNS0_10empty_typeEbEEZZNS1_14partition_implILS5_0ELb0ES3_jN6thrust23THRUST_200600_302600_NS6detail15normal_iteratorINSA_10device_ptrIsEEEEPS6_SG_NS0_5tupleIJNSA_16discard_iteratorINSA_11use_defaultEEESK_EEENSH_IJSG_SG_EEES6_PlJ7is_evenIsEEEE10hipError_tPvRmT3_T4_T5_T6_T7_T9_mT8_P12ihipStream_tbDpT10_ENKUlT_T0_E_clISt17integral_constantIbLb0EES19_EEDaS14_S15_EUlS14_E_NS1_11comp_targetILNS1_3genE0ELNS1_11target_archE4294967295ELNS1_3gpuE0ELNS1_3repE0EEENS1_30default_config_static_selectorELNS0_4arch9wavefront6targetE1EEEvT1_,comdat
	.protected	_ZN7rocprim17ROCPRIM_400000_NS6detail17trampoline_kernelINS0_14default_configENS1_25partition_config_selectorILNS1_17partition_subalgoE0EsNS0_10empty_typeEbEEZZNS1_14partition_implILS5_0ELb0ES3_jN6thrust23THRUST_200600_302600_NS6detail15normal_iteratorINSA_10device_ptrIsEEEEPS6_SG_NS0_5tupleIJNSA_16discard_iteratorINSA_11use_defaultEEESK_EEENSH_IJSG_SG_EEES6_PlJ7is_evenIsEEEE10hipError_tPvRmT3_T4_T5_T6_T7_T9_mT8_P12ihipStream_tbDpT10_ENKUlT_T0_E_clISt17integral_constantIbLb0EES19_EEDaS14_S15_EUlS14_E_NS1_11comp_targetILNS1_3genE0ELNS1_11target_archE4294967295ELNS1_3gpuE0ELNS1_3repE0EEENS1_30default_config_static_selectorELNS0_4arch9wavefront6targetE1EEEvT1_ ; -- Begin function _ZN7rocprim17ROCPRIM_400000_NS6detail17trampoline_kernelINS0_14default_configENS1_25partition_config_selectorILNS1_17partition_subalgoE0EsNS0_10empty_typeEbEEZZNS1_14partition_implILS5_0ELb0ES3_jN6thrust23THRUST_200600_302600_NS6detail15normal_iteratorINSA_10device_ptrIsEEEEPS6_SG_NS0_5tupleIJNSA_16discard_iteratorINSA_11use_defaultEEESK_EEENSH_IJSG_SG_EEES6_PlJ7is_evenIsEEEE10hipError_tPvRmT3_T4_T5_T6_T7_T9_mT8_P12ihipStream_tbDpT10_ENKUlT_T0_E_clISt17integral_constantIbLb0EES19_EEDaS14_S15_EUlS14_E_NS1_11comp_targetILNS1_3genE0ELNS1_11target_archE4294967295ELNS1_3gpuE0ELNS1_3repE0EEENS1_30default_config_static_selectorELNS0_4arch9wavefront6targetE1EEEvT1_
	.globl	_ZN7rocprim17ROCPRIM_400000_NS6detail17trampoline_kernelINS0_14default_configENS1_25partition_config_selectorILNS1_17partition_subalgoE0EsNS0_10empty_typeEbEEZZNS1_14partition_implILS5_0ELb0ES3_jN6thrust23THRUST_200600_302600_NS6detail15normal_iteratorINSA_10device_ptrIsEEEEPS6_SG_NS0_5tupleIJNSA_16discard_iteratorINSA_11use_defaultEEESK_EEENSH_IJSG_SG_EEES6_PlJ7is_evenIsEEEE10hipError_tPvRmT3_T4_T5_T6_T7_T9_mT8_P12ihipStream_tbDpT10_ENKUlT_T0_E_clISt17integral_constantIbLb0EES19_EEDaS14_S15_EUlS14_E_NS1_11comp_targetILNS1_3genE0ELNS1_11target_archE4294967295ELNS1_3gpuE0ELNS1_3repE0EEENS1_30default_config_static_selectorELNS0_4arch9wavefront6targetE1EEEvT1_
	.p2align	8
	.type	_ZN7rocprim17ROCPRIM_400000_NS6detail17trampoline_kernelINS0_14default_configENS1_25partition_config_selectorILNS1_17partition_subalgoE0EsNS0_10empty_typeEbEEZZNS1_14partition_implILS5_0ELb0ES3_jN6thrust23THRUST_200600_302600_NS6detail15normal_iteratorINSA_10device_ptrIsEEEEPS6_SG_NS0_5tupleIJNSA_16discard_iteratorINSA_11use_defaultEEESK_EEENSH_IJSG_SG_EEES6_PlJ7is_evenIsEEEE10hipError_tPvRmT3_T4_T5_T6_T7_T9_mT8_P12ihipStream_tbDpT10_ENKUlT_T0_E_clISt17integral_constantIbLb0EES19_EEDaS14_S15_EUlS14_E_NS1_11comp_targetILNS1_3genE0ELNS1_11target_archE4294967295ELNS1_3gpuE0ELNS1_3repE0EEENS1_30default_config_static_selectorELNS0_4arch9wavefront6targetE1EEEvT1_,@function
_ZN7rocprim17ROCPRIM_400000_NS6detail17trampoline_kernelINS0_14default_configENS1_25partition_config_selectorILNS1_17partition_subalgoE0EsNS0_10empty_typeEbEEZZNS1_14partition_implILS5_0ELb0ES3_jN6thrust23THRUST_200600_302600_NS6detail15normal_iteratorINSA_10device_ptrIsEEEEPS6_SG_NS0_5tupleIJNSA_16discard_iteratorINSA_11use_defaultEEESK_EEENSH_IJSG_SG_EEES6_PlJ7is_evenIsEEEE10hipError_tPvRmT3_T4_T5_T6_T7_T9_mT8_P12ihipStream_tbDpT10_ENKUlT_T0_E_clISt17integral_constantIbLb0EES19_EEDaS14_S15_EUlS14_E_NS1_11comp_targetILNS1_3genE0ELNS1_11target_archE4294967295ELNS1_3gpuE0ELNS1_3repE0EEENS1_30default_config_static_selectorELNS0_4arch9wavefront6targetE1EEEvT1_: ; @_ZN7rocprim17ROCPRIM_400000_NS6detail17trampoline_kernelINS0_14default_configENS1_25partition_config_selectorILNS1_17partition_subalgoE0EsNS0_10empty_typeEbEEZZNS1_14partition_implILS5_0ELb0ES3_jN6thrust23THRUST_200600_302600_NS6detail15normal_iteratorINSA_10device_ptrIsEEEEPS6_SG_NS0_5tupleIJNSA_16discard_iteratorINSA_11use_defaultEEESK_EEENSH_IJSG_SG_EEES6_PlJ7is_evenIsEEEE10hipError_tPvRmT3_T4_T5_T6_T7_T9_mT8_P12ihipStream_tbDpT10_ENKUlT_T0_E_clISt17integral_constantIbLb0EES19_EEDaS14_S15_EUlS14_E_NS1_11comp_targetILNS1_3genE0ELNS1_11target_archE4294967295ELNS1_3gpuE0ELNS1_3repE0EEENS1_30default_config_static_selectorELNS0_4arch9wavefront6targetE1EEEvT1_
; %bb.0:
	.section	.rodata,"a",@progbits
	.p2align	6, 0x0
	.amdhsa_kernel _ZN7rocprim17ROCPRIM_400000_NS6detail17trampoline_kernelINS0_14default_configENS1_25partition_config_selectorILNS1_17partition_subalgoE0EsNS0_10empty_typeEbEEZZNS1_14partition_implILS5_0ELb0ES3_jN6thrust23THRUST_200600_302600_NS6detail15normal_iteratorINSA_10device_ptrIsEEEEPS6_SG_NS0_5tupleIJNSA_16discard_iteratorINSA_11use_defaultEEESK_EEENSH_IJSG_SG_EEES6_PlJ7is_evenIsEEEE10hipError_tPvRmT3_T4_T5_T6_T7_T9_mT8_P12ihipStream_tbDpT10_ENKUlT_T0_E_clISt17integral_constantIbLb0EES19_EEDaS14_S15_EUlS14_E_NS1_11comp_targetILNS1_3genE0ELNS1_11target_archE4294967295ELNS1_3gpuE0ELNS1_3repE0EEENS1_30default_config_static_selectorELNS0_4arch9wavefront6targetE1EEEvT1_
		.amdhsa_group_segment_fixed_size 0
		.amdhsa_private_segment_fixed_size 0
		.amdhsa_kernarg_size 136
		.amdhsa_user_sgpr_count 6
		.amdhsa_user_sgpr_private_segment_buffer 1
		.amdhsa_user_sgpr_dispatch_ptr 0
		.amdhsa_user_sgpr_queue_ptr 0
		.amdhsa_user_sgpr_kernarg_segment_ptr 1
		.amdhsa_user_sgpr_dispatch_id 0
		.amdhsa_user_sgpr_flat_scratch_init 0
		.amdhsa_user_sgpr_kernarg_preload_length 0
		.amdhsa_user_sgpr_kernarg_preload_offset 0
		.amdhsa_user_sgpr_private_segment_size 0
		.amdhsa_uses_dynamic_stack 0
		.amdhsa_system_sgpr_private_segment_wavefront_offset 0
		.amdhsa_system_sgpr_workgroup_id_x 1
		.amdhsa_system_sgpr_workgroup_id_y 0
		.amdhsa_system_sgpr_workgroup_id_z 0
		.amdhsa_system_sgpr_workgroup_info 0
		.amdhsa_system_vgpr_workitem_id 0
		.amdhsa_next_free_vgpr 1
		.amdhsa_next_free_sgpr 0
		.amdhsa_accum_offset 4
		.amdhsa_reserve_vcc 0
		.amdhsa_reserve_flat_scratch 0
		.amdhsa_float_round_mode_32 0
		.amdhsa_float_round_mode_16_64 0
		.amdhsa_float_denorm_mode_32 3
		.amdhsa_float_denorm_mode_16_64 3
		.amdhsa_dx10_clamp 1
		.amdhsa_ieee_mode 1
		.amdhsa_fp16_overflow 0
		.amdhsa_tg_split 0
		.amdhsa_exception_fp_ieee_invalid_op 0
		.amdhsa_exception_fp_denorm_src 0
		.amdhsa_exception_fp_ieee_div_zero 0
		.amdhsa_exception_fp_ieee_overflow 0
		.amdhsa_exception_fp_ieee_underflow 0
		.amdhsa_exception_fp_ieee_inexact 0
		.amdhsa_exception_int_div_zero 0
	.end_amdhsa_kernel
	.section	.text._ZN7rocprim17ROCPRIM_400000_NS6detail17trampoline_kernelINS0_14default_configENS1_25partition_config_selectorILNS1_17partition_subalgoE0EsNS0_10empty_typeEbEEZZNS1_14partition_implILS5_0ELb0ES3_jN6thrust23THRUST_200600_302600_NS6detail15normal_iteratorINSA_10device_ptrIsEEEEPS6_SG_NS0_5tupleIJNSA_16discard_iteratorINSA_11use_defaultEEESK_EEENSH_IJSG_SG_EEES6_PlJ7is_evenIsEEEE10hipError_tPvRmT3_T4_T5_T6_T7_T9_mT8_P12ihipStream_tbDpT10_ENKUlT_T0_E_clISt17integral_constantIbLb0EES19_EEDaS14_S15_EUlS14_E_NS1_11comp_targetILNS1_3genE0ELNS1_11target_archE4294967295ELNS1_3gpuE0ELNS1_3repE0EEENS1_30default_config_static_selectorELNS0_4arch9wavefront6targetE1EEEvT1_,"axG",@progbits,_ZN7rocprim17ROCPRIM_400000_NS6detail17trampoline_kernelINS0_14default_configENS1_25partition_config_selectorILNS1_17partition_subalgoE0EsNS0_10empty_typeEbEEZZNS1_14partition_implILS5_0ELb0ES3_jN6thrust23THRUST_200600_302600_NS6detail15normal_iteratorINSA_10device_ptrIsEEEEPS6_SG_NS0_5tupleIJNSA_16discard_iteratorINSA_11use_defaultEEESK_EEENSH_IJSG_SG_EEES6_PlJ7is_evenIsEEEE10hipError_tPvRmT3_T4_T5_T6_T7_T9_mT8_P12ihipStream_tbDpT10_ENKUlT_T0_E_clISt17integral_constantIbLb0EES19_EEDaS14_S15_EUlS14_E_NS1_11comp_targetILNS1_3genE0ELNS1_11target_archE4294967295ELNS1_3gpuE0ELNS1_3repE0EEENS1_30default_config_static_selectorELNS0_4arch9wavefront6targetE1EEEvT1_,comdat
.Lfunc_end2779:
	.size	_ZN7rocprim17ROCPRIM_400000_NS6detail17trampoline_kernelINS0_14default_configENS1_25partition_config_selectorILNS1_17partition_subalgoE0EsNS0_10empty_typeEbEEZZNS1_14partition_implILS5_0ELb0ES3_jN6thrust23THRUST_200600_302600_NS6detail15normal_iteratorINSA_10device_ptrIsEEEEPS6_SG_NS0_5tupleIJNSA_16discard_iteratorINSA_11use_defaultEEESK_EEENSH_IJSG_SG_EEES6_PlJ7is_evenIsEEEE10hipError_tPvRmT3_T4_T5_T6_T7_T9_mT8_P12ihipStream_tbDpT10_ENKUlT_T0_E_clISt17integral_constantIbLb0EES19_EEDaS14_S15_EUlS14_E_NS1_11comp_targetILNS1_3genE0ELNS1_11target_archE4294967295ELNS1_3gpuE0ELNS1_3repE0EEENS1_30default_config_static_selectorELNS0_4arch9wavefront6targetE1EEEvT1_, .Lfunc_end2779-_ZN7rocprim17ROCPRIM_400000_NS6detail17trampoline_kernelINS0_14default_configENS1_25partition_config_selectorILNS1_17partition_subalgoE0EsNS0_10empty_typeEbEEZZNS1_14partition_implILS5_0ELb0ES3_jN6thrust23THRUST_200600_302600_NS6detail15normal_iteratorINSA_10device_ptrIsEEEEPS6_SG_NS0_5tupleIJNSA_16discard_iteratorINSA_11use_defaultEEESK_EEENSH_IJSG_SG_EEES6_PlJ7is_evenIsEEEE10hipError_tPvRmT3_T4_T5_T6_T7_T9_mT8_P12ihipStream_tbDpT10_ENKUlT_T0_E_clISt17integral_constantIbLb0EES19_EEDaS14_S15_EUlS14_E_NS1_11comp_targetILNS1_3genE0ELNS1_11target_archE4294967295ELNS1_3gpuE0ELNS1_3repE0EEENS1_30default_config_static_selectorELNS0_4arch9wavefront6targetE1EEEvT1_
                                        ; -- End function
	.section	.AMDGPU.csdata,"",@progbits
; Kernel info:
; codeLenInByte = 0
; NumSgprs: 4
; NumVgprs: 0
; NumAgprs: 0
; TotalNumVgprs: 0
; ScratchSize: 0
; MemoryBound: 0
; FloatMode: 240
; IeeeMode: 1
; LDSByteSize: 0 bytes/workgroup (compile time only)
; SGPRBlocks: 0
; VGPRBlocks: 0
; NumSGPRsForWavesPerEU: 4
; NumVGPRsForWavesPerEU: 1
; AccumOffset: 4
; Occupancy: 8
; WaveLimiterHint : 0
; COMPUTE_PGM_RSRC2:SCRATCH_EN: 0
; COMPUTE_PGM_RSRC2:USER_SGPR: 6
; COMPUTE_PGM_RSRC2:TRAP_HANDLER: 0
; COMPUTE_PGM_RSRC2:TGID_X_EN: 1
; COMPUTE_PGM_RSRC2:TGID_Y_EN: 0
; COMPUTE_PGM_RSRC2:TGID_Z_EN: 0
; COMPUTE_PGM_RSRC2:TIDIG_COMP_CNT: 0
; COMPUTE_PGM_RSRC3_GFX90A:ACCUM_OFFSET: 0
; COMPUTE_PGM_RSRC3_GFX90A:TG_SPLIT: 0
	.section	.text._ZN7rocprim17ROCPRIM_400000_NS6detail17trampoline_kernelINS0_14default_configENS1_25partition_config_selectorILNS1_17partition_subalgoE0EsNS0_10empty_typeEbEEZZNS1_14partition_implILS5_0ELb0ES3_jN6thrust23THRUST_200600_302600_NS6detail15normal_iteratorINSA_10device_ptrIsEEEEPS6_SG_NS0_5tupleIJNSA_16discard_iteratorINSA_11use_defaultEEESK_EEENSH_IJSG_SG_EEES6_PlJ7is_evenIsEEEE10hipError_tPvRmT3_T4_T5_T6_T7_T9_mT8_P12ihipStream_tbDpT10_ENKUlT_T0_E_clISt17integral_constantIbLb0EES19_EEDaS14_S15_EUlS14_E_NS1_11comp_targetILNS1_3genE5ELNS1_11target_archE942ELNS1_3gpuE9ELNS1_3repE0EEENS1_30default_config_static_selectorELNS0_4arch9wavefront6targetE1EEEvT1_,"axG",@progbits,_ZN7rocprim17ROCPRIM_400000_NS6detail17trampoline_kernelINS0_14default_configENS1_25partition_config_selectorILNS1_17partition_subalgoE0EsNS0_10empty_typeEbEEZZNS1_14partition_implILS5_0ELb0ES3_jN6thrust23THRUST_200600_302600_NS6detail15normal_iteratorINSA_10device_ptrIsEEEEPS6_SG_NS0_5tupleIJNSA_16discard_iteratorINSA_11use_defaultEEESK_EEENSH_IJSG_SG_EEES6_PlJ7is_evenIsEEEE10hipError_tPvRmT3_T4_T5_T6_T7_T9_mT8_P12ihipStream_tbDpT10_ENKUlT_T0_E_clISt17integral_constantIbLb0EES19_EEDaS14_S15_EUlS14_E_NS1_11comp_targetILNS1_3genE5ELNS1_11target_archE942ELNS1_3gpuE9ELNS1_3repE0EEENS1_30default_config_static_selectorELNS0_4arch9wavefront6targetE1EEEvT1_,comdat
	.protected	_ZN7rocprim17ROCPRIM_400000_NS6detail17trampoline_kernelINS0_14default_configENS1_25partition_config_selectorILNS1_17partition_subalgoE0EsNS0_10empty_typeEbEEZZNS1_14partition_implILS5_0ELb0ES3_jN6thrust23THRUST_200600_302600_NS6detail15normal_iteratorINSA_10device_ptrIsEEEEPS6_SG_NS0_5tupleIJNSA_16discard_iteratorINSA_11use_defaultEEESK_EEENSH_IJSG_SG_EEES6_PlJ7is_evenIsEEEE10hipError_tPvRmT3_T4_T5_T6_T7_T9_mT8_P12ihipStream_tbDpT10_ENKUlT_T0_E_clISt17integral_constantIbLb0EES19_EEDaS14_S15_EUlS14_E_NS1_11comp_targetILNS1_3genE5ELNS1_11target_archE942ELNS1_3gpuE9ELNS1_3repE0EEENS1_30default_config_static_selectorELNS0_4arch9wavefront6targetE1EEEvT1_ ; -- Begin function _ZN7rocprim17ROCPRIM_400000_NS6detail17trampoline_kernelINS0_14default_configENS1_25partition_config_selectorILNS1_17partition_subalgoE0EsNS0_10empty_typeEbEEZZNS1_14partition_implILS5_0ELb0ES3_jN6thrust23THRUST_200600_302600_NS6detail15normal_iteratorINSA_10device_ptrIsEEEEPS6_SG_NS0_5tupleIJNSA_16discard_iteratorINSA_11use_defaultEEESK_EEENSH_IJSG_SG_EEES6_PlJ7is_evenIsEEEE10hipError_tPvRmT3_T4_T5_T6_T7_T9_mT8_P12ihipStream_tbDpT10_ENKUlT_T0_E_clISt17integral_constantIbLb0EES19_EEDaS14_S15_EUlS14_E_NS1_11comp_targetILNS1_3genE5ELNS1_11target_archE942ELNS1_3gpuE9ELNS1_3repE0EEENS1_30default_config_static_selectorELNS0_4arch9wavefront6targetE1EEEvT1_
	.globl	_ZN7rocprim17ROCPRIM_400000_NS6detail17trampoline_kernelINS0_14default_configENS1_25partition_config_selectorILNS1_17partition_subalgoE0EsNS0_10empty_typeEbEEZZNS1_14partition_implILS5_0ELb0ES3_jN6thrust23THRUST_200600_302600_NS6detail15normal_iteratorINSA_10device_ptrIsEEEEPS6_SG_NS0_5tupleIJNSA_16discard_iteratorINSA_11use_defaultEEESK_EEENSH_IJSG_SG_EEES6_PlJ7is_evenIsEEEE10hipError_tPvRmT3_T4_T5_T6_T7_T9_mT8_P12ihipStream_tbDpT10_ENKUlT_T0_E_clISt17integral_constantIbLb0EES19_EEDaS14_S15_EUlS14_E_NS1_11comp_targetILNS1_3genE5ELNS1_11target_archE942ELNS1_3gpuE9ELNS1_3repE0EEENS1_30default_config_static_selectorELNS0_4arch9wavefront6targetE1EEEvT1_
	.p2align	8
	.type	_ZN7rocprim17ROCPRIM_400000_NS6detail17trampoline_kernelINS0_14default_configENS1_25partition_config_selectorILNS1_17partition_subalgoE0EsNS0_10empty_typeEbEEZZNS1_14partition_implILS5_0ELb0ES3_jN6thrust23THRUST_200600_302600_NS6detail15normal_iteratorINSA_10device_ptrIsEEEEPS6_SG_NS0_5tupleIJNSA_16discard_iteratorINSA_11use_defaultEEESK_EEENSH_IJSG_SG_EEES6_PlJ7is_evenIsEEEE10hipError_tPvRmT3_T4_T5_T6_T7_T9_mT8_P12ihipStream_tbDpT10_ENKUlT_T0_E_clISt17integral_constantIbLb0EES19_EEDaS14_S15_EUlS14_E_NS1_11comp_targetILNS1_3genE5ELNS1_11target_archE942ELNS1_3gpuE9ELNS1_3repE0EEENS1_30default_config_static_selectorELNS0_4arch9wavefront6targetE1EEEvT1_,@function
_ZN7rocprim17ROCPRIM_400000_NS6detail17trampoline_kernelINS0_14default_configENS1_25partition_config_selectorILNS1_17partition_subalgoE0EsNS0_10empty_typeEbEEZZNS1_14partition_implILS5_0ELb0ES3_jN6thrust23THRUST_200600_302600_NS6detail15normal_iteratorINSA_10device_ptrIsEEEEPS6_SG_NS0_5tupleIJNSA_16discard_iteratorINSA_11use_defaultEEESK_EEENSH_IJSG_SG_EEES6_PlJ7is_evenIsEEEE10hipError_tPvRmT3_T4_T5_T6_T7_T9_mT8_P12ihipStream_tbDpT10_ENKUlT_T0_E_clISt17integral_constantIbLb0EES19_EEDaS14_S15_EUlS14_E_NS1_11comp_targetILNS1_3genE5ELNS1_11target_archE942ELNS1_3gpuE9ELNS1_3repE0EEENS1_30default_config_static_selectorELNS0_4arch9wavefront6targetE1EEEvT1_: ; @_ZN7rocprim17ROCPRIM_400000_NS6detail17trampoline_kernelINS0_14default_configENS1_25partition_config_selectorILNS1_17partition_subalgoE0EsNS0_10empty_typeEbEEZZNS1_14partition_implILS5_0ELb0ES3_jN6thrust23THRUST_200600_302600_NS6detail15normal_iteratorINSA_10device_ptrIsEEEEPS6_SG_NS0_5tupleIJNSA_16discard_iteratorINSA_11use_defaultEEESK_EEENSH_IJSG_SG_EEES6_PlJ7is_evenIsEEEE10hipError_tPvRmT3_T4_T5_T6_T7_T9_mT8_P12ihipStream_tbDpT10_ENKUlT_T0_E_clISt17integral_constantIbLb0EES19_EEDaS14_S15_EUlS14_E_NS1_11comp_targetILNS1_3genE5ELNS1_11target_archE942ELNS1_3gpuE9ELNS1_3repE0EEENS1_30default_config_static_selectorELNS0_4arch9wavefront6targetE1EEEvT1_
; %bb.0:
	.section	.rodata,"a",@progbits
	.p2align	6, 0x0
	.amdhsa_kernel _ZN7rocprim17ROCPRIM_400000_NS6detail17trampoline_kernelINS0_14default_configENS1_25partition_config_selectorILNS1_17partition_subalgoE0EsNS0_10empty_typeEbEEZZNS1_14partition_implILS5_0ELb0ES3_jN6thrust23THRUST_200600_302600_NS6detail15normal_iteratorINSA_10device_ptrIsEEEEPS6_SG_NS0_5tupleIJNSA_16discard_iteratorINSA_11use_defaultEEESK_EEENSH_IJSG_SG_EEES6_PlJ7is_evenIsEEEE10hipError_tPvRmT3_T4_T5_T6_T7_T9_mT8_P12ihipStream_tbDpT10_ENKUlT_T0_E_clISt17integral_constantIbLb0EES19_EEDaS14_S15_EUlS14_E_NS1_11comp_targetILNS1_3genE5ELNS1_11target_archE942ELNS1_3gpuE9ELNS1_3repE0EEENS1_30default_config_static_selectorELNS0_4arch9wavefront6targetE1EEEvT1_
		.amdhsa_group_segment_fixed_size 0
		.amdhsa_private_segment_fixed_size 0
		.amdhsa_kernarg_size 136
		.amdhsa_user_sgpr_count 6
		.amdhsa_user_sgpr_private_segment_buffer 1
		.amdhsa_user_sgpr_dispatch_ptr 0
		.amdhsa_user_sgpr_queue_ptr 0
		.amdhsa_user_sgpr_kernarg_segment_ptr 1
		.amdhsa_user_sgpr_dispatch_id 0
		.amdhsa_user_sgpr_flat_scratch_init 0
		.amdhsa_user_sgpr_kernarg_preload_length 0
		.amdhsa_user_sgpr_kernarg_preload_offset 0
		.amdhsa_user_sgpr_private_segment_size 0
		.amdhsa_uses_dynamic_stack 0
		.amdhsa_system_sgpr_private_segment_wavefront_offset 0
		.amdhsa_system_sgpr_workgroup_id_x 1
		.amdhsa_system_sgpr_workgroup_id_y 0
		.amdhsa_system_sgpr_workgroup_id_z 0
		.amdhsa_system_sgpr_workgroup_info 0
		.amdhsa_system_vgpr_workitem_id 0
		.amdhsa_next_free_vgpr 1
		.amdhsa_next_free_sgpr 0
		.amdhsa_accum_offset 4
		.amdhsa_reserve_vcc 0
		.amdhsa_reserve_flat_scratch 0
		.amdhsa_float_round_mode_32 0
		.amdhsa_float_round_mode_16_64 0
		.amdhsa_float_denorm_mode_32 3
		.amdhsa_float_denorm_mode_16_64 3
		.amdhsa_dx10_clamp 1
		.amdhsa_ieee_mode 1
		.amdhsa_fp16_overflow 0
		.amdhsa_tg_split 0
		.amdhsa_exception_fp_ieee_invalid_op 0
		.amdhsa_exception_fp_denorm_src 0
		.amdhsa_exception_fp_ieee_div_zero 0
		.amdhsa_exception_fp_ieee_overflow 0
		.amdhsa_exception_fp_ieee_underflow 0
		.amdhsa_exception_fp_ieee_inexact 0
		.amdhsa_exception_int_div_zero 0
	.end_amdhsa_kernel
	.section	.text._ZN7rocprim17ROCPRIM_400000_NS6detail17trampoline_kernelINS0_14default_configENS1_25partition_config_selectorILNS1_17partition_subalgoE0EsNS0_10empty_typeEbEEZZNS1_14partition_implILS5_0ELb0ES3_jN6thrust23THRUST_200600_302600_NS6detail15normal_iteratorINSA_10device_ptrIsEEEEPS6_SG_NS0_5tupleIJNSA_16discard_iteratorINSA_11use_defaultEEESK_EEENSH_IJSG_SG_EEES6_PlJ7is_evenIsEEEE10hipError_tPvRmT3_T4_T5_T6_T7_T9_mT8_P12ihipStream_tbDpT10_ENKUlT_T0_E_clISt17integral_constantIbLb0EES19_EEDaS14_S15_EUlS14_E_NS1_11comp_targetILNS1_3genE5ELNS1_11target_archE942ELNS1_3gpuE9ELNS1_3repE0EEENS1_30default_config_static_selectorELNS0_4arch9wavefront6targetE1EEEvT1_,"axG",@progbits,_ZN7rocprim17ROCPRIM_400000_NS6detail17trampoline_kernelINS0_14default_configENS1_25partition_config_selectorILNS1_17partition_subalgoE0EsNS0_10empty_typeEbEEZZNS1_14partition_implILS5_0ELb0ES3_jN6thrust23THRUST_200600_302600_NS6detail15normal_iteratorINSA_10device_ptrIsEEEEPS6_SG_NS0_5tupleIJNSA_16discard_iteratorINSA_11use_defaultEEESK_EEENSH_IJSG_SG_EEES6_PlJ7is_evenIsEEEE10hipError_tPvRmT3_T4_T5_T6_T7_T9_mT8_P12ihipStream_tbDpT10_ENKUlT_T0_E_clISt17integral_constantIbLb0EES19_EEDaS14_S15_EUlS14_E_NS1_11comp_targetILNS1_3genE5ELNS1_11target_archE942ELNS1_3gpuE9ELNS1_3repE0EEENS1_30default_config_static_selectorELNS0_4arch9wavefront6targetE1EEEvT1_,comdat
.Lfunc_end2780:
	.size	_ZN7rocprim17ROCPRIM_400000_NS6detail17trampoline_kernelINS0_14default_configENS1_25partition_config_selectorILNS1_17partition_subalgoE0EsNS0_10empty_typeEbEEZZNS1_14partition_implILS5_0ELb0ES3_jN6thrust23THRUST_200600_302600_NS6detail15normal_iteratorINSA_10device_ptrIsEEEEPS6_SG_NS0_5tupleIJNSA_16discard_iteratorINSA_11use_defaultEEESK_EEENSH_IJSG_SG_EEES6_PlJ7is_evenIsEEEE10hipError_tPvRmT3_T4_T5_T6_T7_T9_mT8_P12ihipStream_tbDpT10_ENKUlT_T0_E_clISt17integral_constantIbLb0EES19_EEDaS14_S15_EUlS14_E_NS1_11comp_targetILNS1_3genE5ELNS1_11target_archE942ELNS1_3gpuE9ELNS1_3repE0EEENS1_30default_config_static_selectorELNS0_4arch9wavefront6targetE1EEEvT1_, .Lfunc_end2780-_ZN7rocprim17ROCPRIM_400000_NS6detail17trampoline_kernelINS0_14default_configENS1_25partition_config_selectorILNS1_17partition_subalgoE0EsNS0_10empty_typeEbEEZZNS1_14partition_implILS5_0ELb0ES3_jN6thrust23THRUST_200600_302600_NS6detail15normal_iteratorINSA_10device_ptrIsEEEEPS6_SG_NS0_5tupleIJNSA_16discard_iteratorINSA_11use_defaultEEESK_EEENSH_IJSG_SG_EEES6_PlJ7is_evenIsEEEE10hipError_tPvRmT3_T4_T5_T6_T7_T9_mT8_P12ihipStream_tbDpT10_ENKUlT_T0_E_clISt17integral_constantIbLb0EES19_EEDaS14_S15_EUlS14_E_NS1_11comp_targetILNS1_3genE5ELNS1_11target_archE942ELNS1_3gpuE9ELNS1_3repE0EEENS1_30default_config_static_selectorELNS0_4arch9wavefront6targetE1EEEvT1_
                                        ; -- End function
	.section	.AMDGPU.csdata,"",@progbits
; Kernel info:
; codeLenInByte = 0
; NumSgprs: 4
; NumVgprs: 0
; NumAgprs: 0
; TotalNumVgprs: 0
; ScratchSize: 0
; MemoryBound: 0
; FloatMode: 240
; IeeeMode: 1
; LDSByteSize: 0 bytes/workgroup (compile time only)
; SGPRBlocks: 0
; VGPRBlocks: 0
; NumSGPRsForWavesPerEU: 4
; NumVGPRsForWavesPerEU: 1
; AccumOffset: 4
; Occupancy: 8
; WaveLimiterHint : 0
; COMPUTE_PGM_RSRC2:SCRATCH_EN: 0
; COMPUTE_PGM_RSRC2:USER_SGPR: 6
; COMPUTE_PGM_RSRC2:TRAP_HANDLER: 0
; COMPUTE_PGM_RSRC2:TGID_X_EN: 1
; COMPUTE_PGM_RSRC2:TGID_Y_EN: 0
; COMPUTE_PGM_RSRC2:TGID_Z_EN: 0
; COMPUTE_PGM_RSRC2:TIDIG_COMP_CNT: 0
; COMPUTE_PGM_RSRC3_GFX90A:ACCUM_OFFSET: 0
; COMPUTE_PGM_RSRC3_GFX90A:TG_SPLIT: 0
	.section	.text._ZN7rocprim17ROCPRIM_400000_NS6detail17trampoline_kernelINS0_14default_configENS1_25partition_config_selectorILNS1_17partition_subalgoE0EsNS0_10empty_typeEbEEZZNS1_14partition_implILS5_0ELb0ES3_jN6thrust23THRUST_200600_302600_NS6detail15normal_iteratorINSA_10device_ptrIsEEEEPS6_SG_NS0_5tupleIJNSA_16discard_iteratorINSA_11use_defaultEEESK_EEENSH_IJSG_SG_EEES6_PlJ7is_evenIsEEEE10hipError_tPvRmT3_T4_T5_T6_T7_T9_mT8_P12ihipStream_tbDpT10_ENKUlT_T0_E_clISt17integral_constantIbLb0EES19_EEDaS14_S15_EUlS14_E_NS1_11comp_targetILNS1_3genE4ELNS1_11target_archE910ELNS1_3gpuE8ELNS1_3repE0EEENS1_30default_config_static_selectorELNS0_4arch9wavefront6targetE1EEEvT1_,"axG",@progbits,_ZN7rocprim17ROCPRIM_400000_NS6detail17trampoline_kernelINS0_14default_configENS1_25partition_config_selectorILNS1_17partition_subalgoE0EsNS0_10empty_typeEbEEZZNS1_14partition_implILS5_0ELb0ES3_jN6thrust23THRUST_200600_302600_NS6detail15normal_iteratorINSA_10device_ptrIsEEEEPS6_SG_NS0_5tupleIJNSA_16discard_iteratorINSA_11use_defaultEEESK_EEENSH_IJSG_SG_EEES6_PlJ7is_evenIsEEEE10hipError_tPvRmT3_T4_T5_T6_T7_T9_mT8_P12ihipStream_tbDpT10_ENKUlT_T0_E_clISt17integral_constantIbLb0EES19_EEDaS14_S15_EUlS14_E_NS1_11comp_targetILNS1_3genE4ELNS1_11target_archE910ELNS1_3gpuE8ELNS1_3repE0EEENS1_30default_config_static_selectorELNS0_4arch9wavefront6targetE1EEEvT1_,comdat
	.protected	_ZN7rocprim17ROCPRIM_400000_NS6detail17trampoline_kernelINS0_14default_configENS1_25partition_config_selectorILNS1_17partition_subalgoE0EsNS0_10empty_typeEbEEZZNS1_14partition_implILS5_0ELb0ES3_jN6thrust23THRUST_200600_302600_NS6detail15normal_iteratorINSA_10device_ptrIsEEEEPS6_SG_NS0_5tupleIJNSA_16discard_iteratorINSA_11use_defaultEEESK_EEENSH_IJSG_SG_EEES6_PlJ7is_evenIsEEEE10hipError_tPvRmT3_T4_T5_T6_T7_T9_mT8_P12ihipStream_tbDpT10_ENKUlT_T0_E_clISt17integral_constantIbLb0EES19_EEDaS14_S15_EUlS14_E_NS1_11comp_targetILNS1_3genE4ELNS1_11target_archE910ELNS1_3gpuE8ELNS1_3repE0EEENS1_30default_config_static_selectorELNS0_4arch9wavefront6targetE1EEEvT1_ ; -- Begin function _ZN7rocprim17ROCPRIM_400000_NS6detail17trampoline_kernelINS0_14default_configENS1_25partition_config_selectorILNS1_17partition_subalgoE0EsNS0_10empty_typeEbEEZZNS1_14partition_implILS5_0ELb0ES3_jN6thrust23THRUST_200600_302600_NS6detail15normal_iteratorINSA_10device_ptrIsEEEEPS6_SG_NS0_5tupleIJNSA_16discard_iteratorINSA_11use_defaultEEESK_EEENSH_IJSG_SG_EEES6_PlJ7is_evenIsEEEE10hipError_tPvRmT3_T4_T5_T6_T7_T9_mT8_P12ihipStream_tbDpT10_ENKUlT_T0_E_clISt17integral_constantIbLb0EES19_EEDaS14_S15_EUlS14_E_NS1_11comp_targetILNS1_3genE4ELNS1_11target_archE910ELNS1_3gpuE8ELNS1_3repE0EEENS1_30default_config_static_selectorELNS0_4arch9wavefront6targetE1EEEvT1_
	.globl	_ZN7rocprim17ROCPRIM_400000_NS6detail17trampoline_kernelINS0_14default_configENS1_25partition_config_selectorILNS1_17partition_subalgoE0EsNS0_10empty_typeEbEEZZNS1_14partition_implILS5_0ELb0ES3_jN6thrust23THRUST_200600_302600_NS6detail15normal_iteratorINSA_10device_ptrIsEEEEPS6_SG_NS0_5tupleIJNSA_16discard_iteratorINSA_11use_defaultEEESK_EEENSH_IJSG_SG_EEES6_PlJ7is_evenIsEEEE10hipError_tPvRmT3_T4_T5_T6_T7_T9_mT8_P12ihipStream_tbDpT10_ENKUlT_T0_E_clISt17integral_constantIbLb0EES19_EEDaS14_S15_EUlS14_E_NS1_11comp_targetILNS1_3genE4ELNS1_11target_archE910ELNS1_3gpuE8ELNS1_3repE0EEENS1_30default_config_static_selectorELNS0_4arch9wavefront6targetE1EEEvT1_
	.p2align	8
	.type	_ZN7rocprim17ROCPRIM_400000_NS6detail17trampoline_kernelINS0_14default_configENS1_25partition_config_selectorILNS1_17partition_subalgoE0EsNS0_10empty_typeEbEEZZNS1_14partition_implILS5_0ELb0ES3_jN6thrust23THRUST_200600_302600_NS6detail15normal_iteratorINSA_10device_ptrIsEEEEPS6_SG_NS0_5tupleIJNSA_16discard_iteratorINSA_11use_defaultEEESK_EEENSH_IJSG_SG_EEES6_PlJ7is_evenIsEEEE10hipError_tPvRmT3_T4_T5_T6_T7_T9_mT8_P12ihipStream_tbDpT10_ENKUlT_T0_E_clISt17integral_constantIbLb0EES19_EEDaS14_S15_EUlS14_E_NS1_11comp_targetILNS1_3genE4ELNS1_11target_archE910ELNS1_3gpuE8ELNS1_3repE0EEENS1_30default_config_static_selectorELNS0_4arch9wavefront6targetE1EEEvT1_,@function
_ZN7rocprim17ROCPRIM_400000_NS6detail17trampoline_kernelINS0_14default_configENS1_25partition_config_selectorILNS1_17partition_subalgoE0EsNS0_10empty_typeEbEEZZNS1_14partition_implILS5_0ELb0ES3_jN6thrust23THRUST_200600_302600_NS6detail15normal_iteratorINSA_10device_ptrIsEEEEPS6_SG_NS0_5tupleIJNSA_16discard_iteratorINSA_11use_defaultEEESK_EEENSH_IJSG_SG_EEES6_PlJ7is_evenIsEEEE10hipError_tPvRmT3_T4_T5_T6_T7_T9_mT8_P12ihipStream_tbDpT10_ENKUlT_T0_E_clISt17integral_constantIbLb0EES19_EEDaS14_S15_EUlS14_E_NS1_11comp_targetILNS1_3genE4ELNS1_11target_archE910ELNS1_3gpuE8ELNS1_3repE0EEENS1_30default_config_static_selectorELNS0_4arch9wavefront6targetE1EEEvT1_: ; @_ZN7rocprim17ROCPRIM_400000_NS6detail17trampoline_kernelINS0_14default_configENS1_25partition_config_selectorILNS1_17partition_subalgoE0EsNS0_10empty_typeEbEEZZNS1_14partition_implILS5_0ELb0ES3_jN6thrust23THRUST_200600_302600_NS6detail15normal_iteratorINSA_10device_ptrIsEEEEPS6_SG_NS0_5tupleIJNSA_16discard_iteratorINSA_11use_defaultEEESK_EEENSH_IJSG_SG_EEES6_PlJ7is_evenIsEEEE10hipError_tPvRmT3_T4_T5_T6_T7_T9_mT8_P12ihipStream_tbDpT10_ENKUlT_T0_E_clISt17integral_constantIbLb0EES19_EEDaS14_S15_EUlS14_E_NS1_11comp_targetILNS1_3genE4ELNS1_11target_archE910ELNS1_3gpuE8ELNS1_3repE0EEENS1_30default_config_static_selectorELNS0_4arch9wavefront6targetE1EEEvT1_
; %bb.0:
	s_load_dwordx2 s[8:9], s[4:5], 0x68
	s_load_dwordx4 s[0:3], s[4:5], 0x8
	s_load_dwordx4 s[20:23], s[4:5], 0x58
	s_load_dword s7, s[4:5], 0x80
	v_lshlrev_b32_e32 v1, 1, v0
	s_waitcnt lgkmcnt(0)
	v_mov_b32_e32 v3, s9
	s_lshl_b64 s[10:11], s[2:3], 1
	s_add_u32 s9, s0, s10
	s_mul_i32 s0, s7, 0x1c00
	s_addc_u32 s12, s1, s11
	s_add_i32 s1, s0, s2
	s_add_i32 s13, s7, -1
	s_sub_i32 s7, s8, s1
	s_add_u32 s0, s2, s0
	s_addc_u32 s1, s3, 0
	s_cmp_eq_u32 s6, s13
	v_mov_b32_e32 v2, s8
	s_load_dwordx2 s[18:19], s[22:23], 0x0
	s_cselect_b64 s[22:23], -1, 0
	s_cmp_lg_u32 s6, s13
	s_mul_i32 s10, s6, 0x1c00
	s_mov_b32 s11, 0
	v_cmp_lt_u64_e32 vcc, s[0:1], v[2:3]
	s_cselect_b64 s[0:1], -1, 0
	s_or_b64 s[0:1], s[0:1], vcc
	s_lshl_b64 s[2:3], s[10:11], 1
	s_add_u32 s8, s9, s2
	s_addc_u32 s9, s12, s3
	s_mov_b64 s[2:3], -1
	s_and_b64 vcc, exec, s[0:1]
	s_cbranch_vccz .LBB2781_2
; %bb.1:
	v_mov_b32_e32 v3, s9
	v_add_co_u32_e32 v2, vcc, s8, v1
	v_addc_co_u32_e32 v3, vcc, 0, v3, vcc
	v_add_co_u32_e32 v4, vcc, 0x1000, v2
	v_addc_co_u32_e32 v5, vcc, 0, v3, vcc
	flat_load_ushort v6, v[2:3]
	flat_load_ushort v7, v[2:3] offset:512
	flat_load_ushort v8, v[2:3] offset:1024
	;; [unrolled: 1-line block ×7, first 2 shown]
	flat_load_ushort v14, v[4:5]
	flat_load_ushort v15, v[4:5] offset:512
	flat_load_ushort v16, v[4:5] offset:1024
	;; [unrolled: 1-line block ×7, first 2 shown]
	v_add_co_u32_e32 v4, vcc, 0x2000, v2
	v_addc_co_u32_e32 v5, vcc, 0, v3, vcc
	v_add_co_u32_e32 v2, vcc, 0x3000, v2
	v_addc_co_u32_e32 v3, vcc, 0, v3, vcc
	flat_load_ushort v22, v[4:5]
	flat_load_ushort v23, v[4:5] offset:512
	flat_load_ushort v24, v[4:5] offset:1024
	;; [unrolled: 1-line block ×7, first 2 shown]
	s_nop 0
	flat_load_ushort v4, v[2:3]
	flat_load_ushort v5, v[2:3] offset:512
	flat_load_ushort v30, v[2:3] offset:1024
	;; [unrolled: 1-line block ×3, first 2 shown]
	s_mov_b64 s[2:3], 0
	s_waitcnt vmcnt(0) lgkmcnt(0)
	ds_write_b16 v1, v6
	ds_write_b16 v1, v7 offset:512
	ds_write_b16 v1, v8 offset:1024
	;; [unrolled: 1-line block ×27, first 2 shown]
	s_waitcnt lgkmcnt(0)
	s_barrier
.LBB2781_2:
	s_andn2_b64 vcc, exec, s[2:3]
	s_addk_i32 s7, 0x1c00
	s_cbranch_vccnz .LBB2781_60
; %bb.3:
	v_cmp_gt_u32_e32 vcc, s7, v0
                                        ; implicit-def: $vgpr2
	s_and_saveexec_b64 s[2:3], vcc
	s_cbranch_execz .LBB2781_5
; %bb.4:
	v_mov_b32_e32 v3, s9
	v_add_co_u32_e32 v2, vcc, s8, v1
	v_addc_co_u32_e32 v3, vcc, 0, v3, vcc
	flat_load_ushort v2, v[2:3]
.LBB2781_5:
	s_or_b64 exec, exec, s[2:3]
	v_or_b32_e32 v3, 0x100, v0
	v_cmp_gt_u32_e32 vcc, s7, v3
                                        ; implicit-def: $vgpr3
	s_and_saveexec_b64 s[2:3], vcc
	s_cbranch_execz .LBB2781_7
; %bb.6:
	v_mov_b32_e32 v3, s9
	v_add_co_u32_e32 v4, vcc, s8, v1
	v_addc_co_u32_e32 v5, vcc, 0, v3, vcc
	flat_load_ushort v3, v[4:5] offset:512
.LBB2781_7:
	s_or_b64 exec, exec, s[2:3]
	v_or_b32_e32 v4, 0x200, v0
	v_cmp_gt_u32_e32 vcc, s7, v4
                                        ; implicit-def: $vgpr4
	s_and_saveexec_b64 s[2:3], vcc
	s_cbranch_execz .LBB2781_9
; %bb.8:
	v_mov_b32_e32 v5, s9
	v_add_co_u32_e32 v4, vcc, s8, v1
	v_addc_co_u32_e32 v5, vcc, 0, v5, vcc
	flat_load_ushort v4, v[4:5] offset:1024
.LBB2781_9:
	s_or_b64 exec, exec, s[2:3]
	v_or_b32_e32 v5, 0x300, v0
	v_cmp_gt_u32_e32 vcc, s7, v5
                                        ; implicit-def: $vgpr5
	s_and_saveexec_b64 s[2:3], vcc
	s_cbranch_execz .LBB2781_11
; %bb.10:
	v_mov_b32_e32 v5, s9
	v_add_co_u32_e32 v6, vcc, s8, v1
	v_addc_co_u32_e32 v7, vcc, 0, v5, vcc
	flat_load_ushort v5, v[6:7] offset:1536
.LBB2781_11:
	s_or_b64 exec, exec, s[2:3]
	v_or_b32_e32 v6, 0x400, v0
	v_cmp_gt_u32_e32 vcc, s7, v6
                                        ; implicit-def: $vgpr6
	s_and_saveexec_b64 s[2:3], vcc
	s_cbranch_execz .LBB2781_13
; %bb.12:
	v_mov_b32_e32 v7, s9
	v_add_co_u32_e32 v6, vcc, s8, v1
	v_addc_co_u32_e32 v7, vcc, 0, v7, vcc
	flat_load_ushort v6, v[6:7] offset:2048
.LBB2781_13:
	s_or_b64 exec, exec, s[2:3]
	v_or_b32_e32 v7, 0x500, v0
	v_cmp_gt_u32_e32 vcc, s7, v7
                                        ; implicit-def: $vgpr7
	s_and_saveexec_b64 s[2:3], vcc
	s_cbranch_execz .LBB2781_15
; %bb.14:
	v_mov_b32_e32 v7, s9
	v_add_co_u32_e32 v8, vcc, s8, v1
	v_addc_co_u32_e32 v9, vcc, 0, v7, vcc
	flat_load_ushort v7, v[8:9] offset:2560
.LBB2781_15:
	s_or_b64 exec, exec, s[2:3]
	v_or_b32_e32 v8, 0x600, v0
	v_cmp_gt_u32_e32 vcc, s7, v8
                                        ; implicit-def: $vgpr8
	s_and_saveexec_b64 s[2:3], vcc
	s_cbranch_execz .LBB2781_17
; %bb.16:
	v_mov_b32_e32 v9, s9
	v_add_co_u32_e32 v8, vcc, s8, v1
	v_addc_co_u32_e32 v9, vcc, 0, v9, vcc
	flat_load_ushort v8, v[8:9] offset:3072
.LBB2781_17:
	s_or_b64 exec, exec, s[2:3]
	v_or_b32_e32 v9, 0x700, v0
	v_cmp_gt_u32_e32 vcc, s7, v9
                                        ; implicit-def: $vgpr9
	s_and_saveexec_b64 s[2:3], vcc
	s_cbranch_execz .LBB2781_19
; %bb.18:
	v_mov_b32_e32 v9, s9
	v_add_co_u32_e32 v10, vcc, s8, v1
	v_addc_co_u32_e32 v11, vcc, 0, v9, vcc
	flat_load_ushort v9, v[10:11] offset:3584
.LBB2781_19:
	s_or_b64 exec, exec, s[2:3]
	v_or_b32_e32 v11, 0x800, v0
	v_cmp_gt_u32_e32 vcc, s7, v11
                                        ; implicit-def: $vgpr10
	s_and_saveexec_b64 s[2:3], vcc
	s_cbranch_execz .LBB2781_21
; %bb.20:
	v_lshlrev_b32_e32 v10, 1, v11
	v_mov_b32_e32 v11, s9
	v_add_co_u32_e32 v10, vcc, s8, v10
	v_addc_co_u32_e32 v11, vcc, 0, v11, vcc
	flat_load_ushort v10, v[10:11]
.LBB2781_21:
	s_or_b64 exec, exec, s[2:3]
	v_or_b32_e32 v12, 0x900, v0
	v_cmp_gt_u32_e32 vcc, s7, v12
                                        ; implicit-def: $vgpr11
	s_and_saveexec_b64 s[2:3], vcc
	s_cbranch_execz .LBB2781_23
; %bb.22:
	v_lshlrev_b32_e32 v11, 1, v12
	v_mov_b32_e32 v13, s9
	v_add_co_u32_e32 v12, vcc, s8, v11
	v_addc_co_u32_e32 v13, vcc, 0, v13, vcc
	flat_load_ushort v11, v[12:13]
.LBB2781_23:
	s_or_b64 exec, exec, s[2:3]
	v_or_b32_e32 v13, 0xa00, v0
	v_cmp_gt_u32_e32 vcc, s7, v13
                                        ; implicit-def: $vgpr12
	s_and_saveexec_b64 s[2:3], vcc
	s_cbranch_execz .LBB2781_25
; %bb.24:
	v_lshlrev_b32_e32 v12, 1, v13
	v_mov_b32_e32 v13, s9
	v_add_co_u32_e32 v12, vcc, s8, v12
	v_addc_co_u32_e32 v13, vcc, 0, v13, vcc
	flat_load_ushort v12, v[12:13]
.LBB2781_25:
	s_or_b64 exec, exec, s[2:3]
	v_or_b32_e32 v14, 0xb00, v0
	v_cmp_gt_u32_e32 vcc, s7, v14
                                        ; implicit-def: $vgpr13
	s_and_saveexec_b64 s[2:3], vcc
	s_cbranch_execz .LBB2781_27
; %bb.26:
	v_lshlrev_b32_e32 v13, 1, v14
	v_mov_b32_e32 v15, s9
	v_add_co_u32_e32 v14, vcc, s8, v13
	v_addc_co_u32_e32 v15, vcc, 0, v15, vcc
	flat_load_ushort v13, v[14:15]
.LBB2781_27:
	s_or_b64 exec, exec, s[2:3]
	v_or_b32_e32 v15, 0xc00, v0
	v_cmp_gt_u32_e32 vcc, s7, v15
                                        ; implicit-def: $vgpr14
	s_and_saveexec_b64 s[2:3], vcc
	s_cbranch_execz .LBB2781_29
; %bb.28:
	v_lshlrev_b32_e32 v14, 1, v15
	v_mov_b32_e32 v15, s9
	v_add_co_u32_e32 v14, vcc, s8, v14
	v_addc_co_u32_e32 v15, vcc, 0, v15, vcc
	flat_load_ushort v14, v[14:15]
.LBB2781_29:
	s_or_b64 exec, exec, s[2:3]
	v_or_b32_e32 v16, 0xd00, v0
	v_cmp_gt_u32_e32 vcc, s7, v16
                                        ; implicit-def: $vgpr15
	s_and_saveexec_b64 s[2:3], vcc
	s_cbranch_execz .LBB2781_31
; %bb.30:
	v_lshlrev_b32_e32 v15, 1, v16
	v_mov_b32_e32 v17, s9
	v_add_co_u32_e32 v16, vcc, s8, v15
	v_addc_co_u32_e32 v17, vcc, 0, v17, vcc
	flat_load_ushort v15, v[16:17]
.LBB2781_31:
	s_or_b64 exec, exec, s[2:3]
	v_or_b32_e32 v17, 0xe00, v0
	v_cmp_gt_u32_e32 vcc, s7, v17
                                        ; implicit-def: $vgpr16
	s_and_saveexec_b64 s[2:3], vcc
	s_cbranch_execz .LBB2781_33
; %bb.32:
	v_lshlrev_b32_e32 v16, 1, v17
	v_mov_b32_e32 v17, s9
	v_add_co_u32_e32 v16, vcc, s8, v16
	v_addc_co_u32_e32 v17, vcc, 0, v17, vcc
	flat_load_ushort v16, v[16:17]
.LBB2781_33:
	s_or_b64 exec, exec, s[2:3]
	v_or_b32_e32 v18, 0xf00, v0
	v_cmp_gt_u32_e32 vcc, s7, v18
                                        ; implicit-def: $vgpr17
	s_and_saveexec_b64 s[2:3], vcc
	s_cbranch_execz .LBB2781_35
; %bb.34:
	v_lshlrev_b32_e32 v17, 1, v18
	v_mov_b32_e32 v19, s9
	v_add_co_u32_e32 v18, vcc, s8, v17
	v_addc_co_u32_e32 v19, vcc, 0, v19, vcc
	flat_load_ushort v17, v[18:19]
.LBB2781_35:
	s_or_b64 exec, exec, s[2:3]
	v_or_b32_e32 v19, 0x1000, v0
	v_cmp_gt_u32_e32 vcc, s7, v19
                                        ; implicit-def: $vgpr18
	s_and_saveexec_b64 s[2:3], vcc
	s_cbranch_execz .LBB2781_37
; %bb.36:
	v_lshlrev_b32_e32 v18, 1, v19
	v_mov_b32_e32 v19, s9
	v_add_co_u32_e32 v18, vcc, s8, v18
	v_addc_co_u32_e32 v19, vcc, 0, v19, vcc
	flat_load_ushort v18, v[18:19]
.LBB2781_37:
	s_or_b64 exec, exec, s[2:3]
	v_or_b32_e32 v20, 0x1100, v0
	v_cmp_gt_u32_e32 vcc, s7, v20
                                        ; implicit-def: $vgpr19
	s_and_saveexec_b64 s[2:3], vcc
	s_cbranch_execz .LBB2781_39
; %bb.38:
	v_lshlrev_b32_e32 v19, 1, v20
	v_mov_b32_e32 v21, s9
	v_add_co_u32_e32 v20, vcc, s8, v19
	v_addc_co_u32_e32 v21, vcc, 0, v21, vcc
	flat_load_ushort v19, v[20:21]
.LBB2781_39:
	s_or_b64 exec, exec, s[2:3]
	v_or_b32_e32 v21, 0x1200, v0
	v_cmp_gt_u32_e32 vcc, s7, v21
                                        ; implicit-def: $vgpr20
	s_and_saveexec_b64 s[2:3], vcc
	s_cbranch_execz .LBB2781_41
; %bb.40:
	v_lshlrev_b32_e32 v20, 1, v21
	v_mov_b32_e32 v21, s9
	v_add_co_u32_e32 v20, vcc, s8, v20
	v_addc_co_u32_e32 v21, vcc, 0, v21, vcc
	flat_load_ushort v20, v[20:21]
.LBB2781_41:
	s_or_b64 exec, exec, s[2:3]
	v_or_b32_e32 v22, 0x1300, v0
	v_cmp_gt_u32_e32 vcc, s7, v22
                                        ; implicit-def: $vgpr21
	s_and_saveexec_b64 s[2:3], vcc
	s_cbranch_execz .LBB2781_43
; %bb.42:
	v_lshlrev_b32_e32 v21, 1, v22
	v_mov_b32_e32 v23, s9
	v_add_co_u32_e32 v22, vcc, s8, v21
	v_addc_co_u32_e32 v23, vcc, 0, v23, vcc
	flat_load_ushort v21, v[22:23]
.LBB2781_43:
	s_or_b64 exec, exec, s[2:3]
	v_or_b32_e32 v23, 0x1400, v0
	v_cmp_gt_u32_e32 vcc, s7, v23
                                        ; implicit-def: $vgpr22
	s_and_saveexec_b64 s[2:3], vcc
	s_cbranch_execz .LBB2781_45
; %bb.44:
	v_lshlrev_b32_e32 v22, 1, v23
	v_mov_b32_e32 v23, s9
	v_add_co_u32_e32 v22, vcc, s8, v22
	v_addc_co_u32_e32 v23, vcc, 0, v23, vcc
	flat_load_ushort v22, v[22:23]
.LBB2781_45:
	s_or_b64 exec, exec, s[2:3]
	v_or_b32_e32 v24, 0x1500, v0
	v_cmp_gt_u32_e32 vcc, s7, v24
                                        ; implicit-def: $vgpr23
	s_and_saveexec_b64 s[2:3], vcc
	s_cbranch_execz .LBB2781_47
; %bb.46:
	v_lshlrev_b32_e32 v23, 1, v24
	v_mov_b32_e32 v25, s9
	v_add_co_u32_e32 v24, vcc, s8, v23
	v_addc_co_u32_e32 v25, vcc, 0, v25, vcc
	flat_load_ushort v23, v[24:25]
.LBB2781_47:
	s_or_b64 exec, exec, s[2:3]
	v_or_b32_e32 v25, 0x1600, v0
	v_cmp_gt_u32_e32 vcc, s7, v25
                                        ; implicit-def: $vgpr24
	s_and_saveexec_b64 s[2:3], vcc
	s_cbranch_execz .LBB2781_49
; %bb.48:
	v_lshlrev_b32_e32 v24, 1, v25
	v_mov_b32_e32 v25, s9
	v_add_co_u32_e32 v24, vcc, s8, v24
	v_addc_co_u32_e32 v25, vcc, 0, v25, vcc
	flat_load_ushort v24, v[24:25]
.LBB2781_49:
	s_or_b64 exec, exec, s[2:3]
	v_or_b32_e32 v26, 0x1700, v0
	v_cmp_gt_u32_e32 vcc, s7, v26
                                        ; implicit-def: $vgpr25
	s_and_saveexec_b64 s[2:3], vcc
	s_cbranch_execz .LBB2781_51
; %bb.50:
	v_lshlrev_b32_e32 v25, 1, v26
	v_mov_b32_e32 v27, s9
	v_add_co_u32_e32 v26, vcc, s8, v25
	v_addc_co_u32_e32 v27, vcc, 0, v27, vcc
	flat_load_ushort v25, v[26:27]
.LBB2781_51:
	s_or_b64 exec, exec, s[2:3]
	v_or_b32_e32 v27, 0x1800, v0
	v_cmp_gt_u32_e32 vcc, s7, v27
                                        ; implicit-def: $vgpr26
	s_and_saveexec_b64 s[2:3], vcc
	s_cbranch_execz .LBB2781_53
; %bb.52:
	v_lshlrev_b32_e32 v26, 1, v27
	v_mov_b32_e32 v27, s9
	v_add_co_u32_e32 v26, vcc, s8, v26
	v_addc_co_u32_e32 v27, vcc, 0, v27, vcc
	flat_load_ushort v26, v[26:27]
.LBB2781_53:
	s_or_b64 exec, exec, s[2:3]
	v_or_b32_e32 v28, 0x1900, v0
	v_cmp_gt_u32_e32 vcc, s7, v28
                                        ; implicit-def: $vgpr27
	s_and_saveexec_b64 s[2:3], vcc
	s_cbranch_execz .LBB2781_55
; %bb.54:
	v_lshlrev_b32_e32 v27, 1, v28
	v_mov_b32_e32 v29, s9
	v_add_co_u32_e32 v28, vcc, s8, v27
	v_addc_co_u32_e32 v29, vcc, 0, v29, vcc
	flat_load_ushort v27, v[28:29]
.LBB2781_55:
	s_or_b64 exec, exec, s[2:3]
	v_or_b32_e32 v29, 0x1a00, v0
	v_cmp_gt_u32_e32 vcc, s7, v29
                                        ; implicit-def: $vgpr28
	s_and_saveexec_b64 s[2:3], vcc
	s_cbranch_execz .LBB2781_57
; %bb.56:
	v_lshlrev_b32_e32 v28, 1, v29
	v_mov_b32_e32 v29, s9
	v_add_co_u32_e32 v28, vcc, s8, v28
	v_addc_co_u32_e32 v29, vcc, 0, v29, vcc
	flat_load_ushort v28, v[28:29]
.LBB2781_57:
	s_or_b64 exec, exec, s[2:3]
	v_or_b32_e32 v30, 0x1b00, v0
	v_cmp_gt_u32_e32 vcc, s7, v30
                                        ; implicit-def: $vgpr29
	s_and_saveexec_b64 s[2:3], vcc
	s_cbranch_execz .LBB2781_59
; %bb.58:
	v_lshlrev_b32_e32 v29, 1, v30
	v_mov_b32_e32 v31, s9
	v_add_co_u32_e32 v30, vcc, s8, v29
	v_addc_co_u32_e32 v31, vcc, 0, v31, vcc
	flat_load_ushort v29, v[30:31]
.LBB2781_59:
	s_or_b64 exec, exec, s[2:3]
	s_waitcnt vmcnt(0) lgkmcnt(0)
	ds_write_b16 v1, v2
	ds_write_b16 v1, v3 offset:512
	ds_write_b16 v1, v4 offset:1024
	;; [unrolled: 1-line block ×27, first 2 shown]
	s_waitcnt lgkmcnt(0)
	s_barrier
.LBB2781_60:
	v_mul_u32_u24_e32 v38, 28, v0
	v_lshlrev_b32_e32 v6, 1, v38
	s_waitcnt lgkmcnt(0)
	ds_read_b64 v[14:15], v6 offset:48
	ds_read2_b64 v[2:5], v6 offset0:4 offset1:5
	ds_read2_b64 v[10:13], v6 offset1:1
	ds_read2_b64 v[6:9], v6 offset0:2 offset1:3
	s_andn2_b64 vcc, exec, s[0:1]
	s_waitcnt lgkmcnt(3)
	v_lshrrev_b32_e32 v26, 16, v14
	v_lshrrev_b32_e32 v1, 16, v15
	s_waitcnt lgkmcnt(2)
	v_lshrrev_b32_e32 v30, 16, v2
	v_lshrrev_b32_e32 v29, 16, v3
	v_lshrrev_b32_e32 v28, 16, v4
	v_lshrrev_b32_e32 v27, 16, v5
	s_waitcnt lgkmcnt(1)
	v_lshrrev_b32_e32 v39, 16, v10
	v_lshrrev_b32_e32 v37, 16, v11
	v_lshrrev_b32_e32 v36, 16, v12
	v_lshrrev_b32_e32 v35, 16, v13
	s_waitcnt lgkmcnt(0)
	v_lshrrev_b32_e32 v34, 16, v6
	v_lshrrev_b32_e32 v33, 16, v7
	v_lshrrev_b32_e32 v32, 16, v8
	v_lshrrev_b32_e32 v31, 16, v9
	v_xor_b32_e32 v85, -1, v10
	v_xor_b32_e32 v84, -1, v39
	;; [unrolled: 1-line block ×28, first 2 shown]
	s_barrier
	s_cbranch_vccnz .LBB2781_62
; %bb.61:
	v_and_b32_e32 v67, 1, v85
	v_and_b32_e32 v66, 1, v84
	;; [unrolled: 1-line block ×28, first 2 shown]
	s_load_dwordx2 s[24:25], s[4:5], 0x78
	s_cbranch_execz .LBB2781_63
	s_branch .LBB2781_64
.LBB2781_62:
                                        ; implicit-def: $vgpr67
                                        ; implicit-def: $vgpr66
                                        ; implicit-def: $vgpr65
                                        ; implicit-def: $vgpr64
                                        ; implicit-def: $vgpr63
                                        ; implicit-def: $vgpr62
                                        ; implicit-def: $vgpr61
                                        ; implicit-def: $vgpr60
                                        ; implicit-def: $vgpr59
                                        ; implicit-def: $vgpr58
                                        ; implicit-def: $vgpr57
                                        ; implicit-def: $vgpr56
                                        ; implicit-def: $vgpr55
                                        ; implicit-def: $vgpr54
                                        ; implicit-def: $vgpr53
                                        ; implicit-def: $vgpr52
                                        ; implicit-def: $vgpr51
                                        ; implicit-def: $vgpr50
                                        ; implicit-def: $vgpr49
                                        ; implicit-def: $vgpr48
                                        ; implicit-def: $vgpr47
                                        ; implicit-def: $vgpr46
                                        ; implicit-def: $vgpr45
                                        ; implicit-def: $vgpr44
                                        ; implicit-def: $vgpr43
                                        ; implicit-def: $vgpr42
                                        ; implicit-def: $vgpr40
                                        ; implicit-def: $vgpr41
	s_load_dwordx2 s[24:25], s[4:5], 0x78
.LBB2781_63:
	v_or_b32_e32 v49, 1, v38
	v_cmp_gt_u32_e32 vcc, s7, v38
	v_or_b32_e32 v50, 2, v38
	v_cndmask_b32_e64 v58, 0, 1, vcc
	v_cmp_gt_u32_e32 vcc, s7, v49
	v_or_b32_e32 v51, 3, v38
	v_cndmask_b32_e64 v49, 0, 1, vcc
	v_cmp_gt_u32_e32 vcc, s7, v50
	v_add_u32_e32 v52, 4, v38
	v_and_b32_e32 v66, v49, v84
	v_cndmask_b32_e64 v49, 0, 1, vcc
	v_cmp_gt_u32_e32 vcc, s7, v51
	v_add_u32_e32 v53, 5, v38
	v_and_b32_e32 v65, v49, v83
	;; [unrolled: 4-line block ×9, first 2 shown]
	v_and_b32_e32 v58, v49, v76
	v_cndmask_b32_e64 v49, 0, 1, vcc
	v_cmp_gt_u32_e32 vcc, s7, v87
	v_add_u32_e32 v89, 13, v38
	v_and_b32_e32 v57, v49, v75
	v_cndmask_b32_e64 v49, 0, 1, vcc
	v_cmp_gt_u32_e32 vcc, s7, v88
	v_add_u32_e32 v90, 14, v38
	;; [unrolled: 4-line block ×15, first 2 shown]
	v_and_b32_e32 v43, v20, v19
	v_cndmask_b32_e64 v19, 0, 1, vcc
	v_cmp_gt_u32_e32 vcc, s7, v40
	v_and_b32_e32 v42, v19, v18
	v_cndmask_b32_e64 v18, 0, 1, vcc
	v_cmp_gt_u32_e32 vcc, s7, v41
	v_and_b32_e32 v40, v18, v17
	v_cndmask_b32_e64 v17, 0, 1, vcc
	v_and_b32_e32 v41, v17, v16
.LBB2781_64:
	v_and_b32_e32 v92, 0xff, v43
	v_and_b32_e32 v93, 0xff, v42
	v_add_u32_sdwa v16, v40, v41 dst_sel:DWORD dst_unused:UNUSED_PAD src0_sel:BYTE_0 src1_sel:BYTE_0
	v_and_b32_e32 v90, 0xff, v45
	v_and_b32_e32 v91, 0xff, v44
	v_add3_u32 v16, v16, v93, v92
	v_and_b32_e32 v88, 0xff, v47
	v_and_b32_e32 v89, 0xff, v46
	v_add3_u32 v16, v16, v91, v90
	;; [unrolled: 3-line block ×12, first 2 shown]
	v_add3_u32 v96, v16, v69, v68
	v_mbcnt_lo_u32_b32 v16, -1, 0
	v_mbcnt_hi_u32_b32 v94, -1, v16
	v_and_b32_e32 v16, 15, v94
	v_cmp_eq_u32_e64 s[12:13], 0, v16
	v_cmp_lt_u32_e64 s[10:11], 1, v16
	v_cmp_lt_u32_e64 s[8:9], 3, v16
	;; [unrolled: 1-line block ×3, first 2 shown]
	v_and_b32_e32 v16, 16, v94
	v_cmp_eq_u32_e64 s[4:5], 0, v16
	v_or_b32_e32 v16, 63, v0
	s_cmp_lg_u32 s6, 0
	v_cmp_lt_u32_e64 s[0:1], 31, v94
	v_lshrrev_b32_e32 v95, 6, v0
	v_cmp_eq_u32_e64 s[2:3], v16, v0
	s_cbranch_scc0 .LBB2781_91
; %bb.65:
	v_mov_b32_dpp v16, v96 row_shr:1 row_mask:0xf bank_mask:0xf
	v_cndmask_b32_e64 v16, v16, 0, s[12:13]
	v_add_u32_e32 v16, v16, v96
	s_nop 1
	v_mov_b32_dpp v17, v16 row_shr:2 row_mask:0xf bank_mask:0xf
	v_cndmask_b32_e64 v17, 0, v17, s[10:11]
	v_add_u32_e32 v16, v16, v17
	s_nop 1
	;; [unrolled: 4-line block ×4, first 2 shown]
	v_mov_b32_dpp v17, v16 row_bcast:15 row_mask:0xf bank_mask:0xf
	v_cndmask_b32_e64 v17, v17, 0, s[4:5]
	v_add_u32_e32 v16, v16, v17
	s_nop 1
	v_mov_b32_dpp v17, v16 row_bcast:31 row_mask:0xf bank_mask:0xf
	v_cndmask_b32_e64 v17, 0, v17, s[0:1]
	v_add_u32_e32 v16, v16, v17
	s_and_saveexec_b64 s[14:15], s[2:3]
	s_cbranch_execz .LBB2781_67
; %bb.66:
	v_lshlrev_b32_e32 v17, 2, v95
	ds_write_b32 v17, v16
.LBB2781_67:
	s_or_b64 exec, exec, s[14:15]
	v_cmp_gt_u32_e32 vcc, 4, v0
	s_waitcnt lgkmcnt(0)
	s_barrier
	s_and_saveexec_b64 s[14:15], vcc
	s_cbranch_execz .LBB2781_69
; %bb.68:
	v_lshlrev_b32_e32 v17, 2, v0
	ds_read_b32 v18, v17
	v_and_b32_e32 v19, 3, v94
	v_cmp_ne_u32_e32 vcc, 0, v19
	s_waitcnt lgkmcnt(0)
	v_mov_b32_dpp v20, v18 row_shr:1 row_mask:0xf bank_mask:0xf
	v_cndmask_b32_e32 v20, 0, v20, vcc
	v_add_u32_e32 v18, v20, v18
	v_cmp_lt_u32_e32 vcc, 1, v19
	s_nop 0
	v_mov_b32_dpp v20, v18 row_shr:2 row_mask:0xf bank_mask:0xf
	v_cndmask_b32_e32 v19, 0, v20, vcc
	v_add_u32_e32 v18, v18, v19
	ds_write_b32 v17, v18
.LBB2781_69:
	s_or_b64 exec, exec, s[14:15]
	v_cmp_gt_u32_e32 vcc, 64, v0
	v_cmp_lt_u32_e64 s[14:15], 63, v0
	s_waitcnt lgkmcnt(0)
	s_barrier
	s_waitcnt lgkmcnt(0)
                                        ; implicit-def: $vgpr97
	s_and_saveexec_b64 s[26:27], s[14:15]
	s_cbranch_execz .LBB2781_71
; %bb.70:
	v_lshl_add_u32 v17, v95, 2, -4
	ds_read_b32 v97, v17
	s_waitcnt lgkmcnt(0)
	v_add_u32_e32 v16, v97, v16
.LBB2781_71:
	s_or_b64 exec, exec, s[26:27]
	v_add_u32_e32 v17, -1, v94
	v_and_b32_e32 v18, 64, v94
	v_cmp_lt_i32_e64 s[14:15], v17, v18
	v_cndmask_b32_e64 v17, v17, v94, s[14:15]
	v_lshlrev_b32_e32 v17, 2, v17
	ds_bpermute_b32 v98, v17, v16
	v_cmp_eq_u32_e64 s[14:15], 0, v94
	s_and_saveexec_b64 s[26:27], vcc
	s_cbranch_execz .LBB2781_90
; %bb.72:
	v_mov_b32_e32 v23, 0
	ds_read_b32 v16, v23 offset:12
	s_and_saveexec_b64 s[28:29], s[14:15]
	s_cbranch_execz .LBB2781_74
; %bb.73:
	s_add_i32 s30, s6, 64
	s_mov_b32 s31, 0
	s_lshl_b64 s[30:31], s[30:31], 3
	s_add_u32 s30, s24, s30
	v_mov_b32_e32 v17, 1
	s_addc_u32 s31, s25, s31
	s_waitcnt lgkmcnt(0)
	global_store_dwordx2 v23, v[16:17], s[30:31]
.LBB2781_74:
	s_or_b64 exec, exec, s[28:29]
	v_xad_u32 v18, v94, -1, s6
	v_add_u32_e32 v22, 64, v18
	v_lshlrev_b64 v[20:21], 3, v[22:23]
	v_mov_b32_e32 v17, s25
	v_add_co_u32_e32 v24, vcc, s24, v20
	v_addc_co_u32_e32 v25, vcc, v17, v21, vcc
	global_load_dwordx2 v[20:21], v[24:25], off glc
	s_waitcnt vmcnt(0)
	v_cmp_eq_u16_sdwa s[30:31], v21, v23 src0_sel:BYTE_0 src1_sel:DWORD
	s_and_saveexec_b64 s[28:29], s[30:31]
	s_cbranch_execz .LBB2781_78
; %bb.75:
	s_mov_b64 s[30:31], 0
	v_mov_b32_e32 v17, 0
.LBB2781_76:                            ; =>This Inner Loop Header: Depth=1
	global_load_dwordx2 v[20:21], v[24:25], off glc
	s_waitcnt vmcnt(0)
	v_cmp_ne_u16_sdwa s[34:35], v21, v17 src0_sel:BYTE_0 src1_sel:DWORD
	s_or_b64 s[30:31], s[34:35], s[30:31]
	s_andn2_b64 exec, exec, s[30:31]
	s_cbranch_execnz .LBB2781_76
; %bb.77:
	s_or_b64 exec, exec, s[30:31]
.LBB2781_78:
	s_or_b64 exec, exec, s[28:29]
	v_and_b32_e32 v100, 63, v94
	v_mov_b32_e32 v99, 2
	v_cmp_ne_u32_e32 vcc, 63, v100
	v_cmp_eq_u16_sdwa s[28:29], v21, v99 src0_sel:BYTE_0 src1_sel:DWORD
	v_lshlrev_b64 v[22:23], v94, -1
	v_addc_co_u32_e32 v24, vcc, 0, v94, vcc
	v_and_b32_e32 v17, s29, v23
	v_lshlrev_b32_e32 v101, 2, v24
	v_or_b32_e32 v17, 0x80000000, v17
	ds_bpermute_b32 v24, v101, v20
	v_and_b32_e32 v19, s28, v22
	v_ffbl_b32_e32 v17, v17
	v_add_u32_e32 v17, 32, v17
	v_ffbl_b32_e32 v19, v19
	v_min_u32_e32 v17, v19, v17
	v_cmp_lt_u32_e32 vcc, v100, v17
	s_waitcnt lgkmcnt(0)
	v_cndmask_b32_e32 v19, 0, v24, vcc
	v_cmp_gt_u32_e32 vcc, 62, v100
	v_add_u32_e32 v19, v19, v20
	v_cndmask_b32_e64 v20, 0, 1, vcc
	v_lshlrev_b32_e32 v20, 1, v20
	v_add_lshl_u32 v102, v20, v94, 2
	ds_bpermute_b32 v20, v102, v19
	v_add_u32_e32 v103, 2, v100
	v_cmp_le_u32_e32 vcc, v103, v17
	v_add_u32_e32 v105, 4, v100
	v_add_u32_e32 v107, 8, v100
	s_waitcnt lgkmcnt(0)
	v_cndmask_b32_e32 v20, 0, v20, vcc
	v_cmp_gt_u32_e32 vcc, 60, v100
	v_add_u32_e32 v19, v19, v20
	v_cndmask_b32_e64 v20, 0, 1, vcc
	v_lshlrev_b32_e32 v20, 2, v20
	v_add_lshl_u32 v104, v20, v94, 2
	ds_bpermute_b32 v20, v104, v19
	v_cmp_le_u32_e32 vcc, v105, v17
	v_add_u32_e32 v109, 16, v100
	v_add_u32_e32 v111, 32, v100
	s_waitcnt lgkmcnt(0)
	v_cndmask_b32_e32 v20, 0, v20, vcc
	v_cmp_gt_u32_e32 vcc, 56, v100
	v_add_u32_e32 v19, v19, v20
	v_cndmask_b32_e64 v20, 0, 1, vcc
	v_lshlrev_b32_e32 v20, 3, v20
	v_add_lshl_u32 v106, v20, v94, 2
	ds_bpermute_b32 v20, v106, v19
	v_cmp_le_u32_e32 vcc, v107, v17
	s_waitcnt lgkmcnt(0)
	v_cndmask_b32_e32 v20, 0, v20, vcc
	v_cmp_gt_u32_e32 vcc, 48, v100
	v_add_u32_e32 v19, v19, v20
	v_cndmask_b32_e64 v20, 0, 1, vcc
	v_lshlrev_b32_e32 v20, 4, v20
	v_add_lshl_u32 v108, v20, v94, 2
	ds_bpermute_b32 v20, v108, v19
	v_cmp_le_u32_e32 vcc, v109, v17
	s_waitcnt lgkmcnt(0)
	v_cndmask_b32_e32 v20, 0, v20, vcc
	v_cmp_gt_u32_e32 vcc, 32, v100
	v_add_u32_e32 v19, v19, v20
	v_cndmask_b32_e64 v20, 0, 1, vcc
	v_lshlrev_b32_e32 v20, 5, v20
	v_add_lshl_u32 v110, v20, v94, 2
	ds_bpermute_b32 v20, v110, v19
	v_cmp_le_u32_e32 vcc, v111, v17
	s_waitcnt lgkmcnt(0)
	v_cndmask_b32_e32 v17, 0, v20, vcc
	v_add_u32_e32 v20, v19, v17
	v_mov_b32_e32 v19, 0
	s_branch .LBB2781_80
.LBB2781_79:                            ;   in Loop: Header=BB2781_80 Depth=1
	s_or_b64 exec, exec, s[28:29]
	v_cmp_eq_u16_sdwa s[28:29], v21, v99 src0_sel:BYTE_0 src1_sel:DWORD
	v_and_b32_e32 v24, s29, v23
	v_or_b32_e32 v24, 0x80000000, v24
	ds_bpermute_b32 v112, v101, v20
	v_and_b32_e32 v25, s28, v22
	v_ffbl_b32_e32 v24, v24
	v_add_u32_e32 v24, 32, v24
	v_ffbl_b32_e32 v25, v25
	v_min_u32_e32 v24, v25, v24
	v_cmp_lt_u32_e32 vcc, v100, v24
	s_waitcnt lgkmcnt(0)
	v_cndmask_b32_e32 v25, 0, v112, vcc
	v_add_u32_e32 v20, v25, v20
	ds_bpermute_b32 v25, v102, v20
	v_cmp_le_u32_e32 vcc, v103, v24
	v_subrev_u32_e32 v18, 64, v18
	s_waitcnt lgkmcnt(0)
	v_cndmask_b32_e32 v25, 0, v25, vcc
	v_add_u32_e32 v20, v20, v25
	ds_bpermute_b32 v25, v104, v20
	v_cmp_le_u32_e32 vcc, v105, v24
	s_waitcnt lgkmcnt(0)
	v_cndmask_b32_e32 v25, 0, v25, vcc
	v_add_u32_e32 v20, v20, v25
	ds_bpermute_b32 v25, v106, v20
	v_cmp_le_u32_e32 vcc, v107, v24
	;; [unrolled: 5-line block ×4, first 2 shown]
	s_waitcnt lgkmcnt(0)
	v_cndmask_b32_e32 v24, 0, v25, vcc
	v_add3_u32 v20, v24, v17, v20
.LBB2781_80:                            ; =>This Loop Header: Depth=1
                                        ;     Child Loop BB2781_83 Depth 2
	v_cmp_ne_u16_sdwa s[28:29], v21, v99 src0_sel:BYTE_0 src1_sel:DWORD
	v_cndmask_b32_e64 v17, 0, 1, s[28:29]
	;;#ASMSTART
	;;#ASMEND
	v_cmp_ne_u32_e32 vcc, 0, v17
	s_cmp_lg_u64 vcc, exec
	v_mov_b32_e32 v17, v20
	s_cbranch_scc1 .LBB2781_85
; %bb.81:                               ;   in Loop: Header=BB2781_80 Depth=1
	v_lshlrev_b64 v[20:21], 3, v[18:19]
	v_mov_b32_e32 v25, s25
	v_add_co_u32_e32 v24, vcc, s24, v20
	v_addc_co_u32_e32 v25, vcc, v25, v21, vcc
	global_load_dwordx2 v[20:21], v[24:25], off glc
	s_waitcnt vmcnt(0)
	v_cmp_eq_u16_sdwa s[30:31], v21, v19 src0_sel:BYTE_0 src1_sel:DWORD
	s_and_saveexec_b64 s[28:29], s[30:31]
	s_cbranch_execz .LBB2781_79
; %bb.82:                               ;   in Loop: Header=BB2781_80 Depth=1
	s_mov_b64 s[30:31], 0
.LBB2781_83:                            ;   Parent Loop BB2781_80 Depth=1
                                        ; =>  This Inner Loop Header: Depth=2
	global_load_dwordx2 v[20:21], v[24:25], off glc
	s_waitcnt vmcnt(0)
	v_cmp_ne_u16_sdwa s[34:35], v21, v19 src0_sel:BYTE_0 src1_sel:DWORD
	s_or_b64 s[30:31], s[34:35], s[30:31]
	s_andn2_b64 exec, exec, s[30:31]
	s_cbranch_execnz .LBB2781_83
; %bb.84:                               ;   in Loop: Header=BB2781_80 Depth=1
	s_or_b64 exec, exec, s[30:31]
	s_branch .LBB2781_79
.LBB2781_85:                            ;   in Loop: Header=BB2781_80 Depth=1
                                        ; implicit-def: $vgpr20
                                        ; implicit-def: $vgpr21
	s_cbranch_execz .LBB2781_80
; %bb.86:
	s_and_saveexec_b64 s[28:29], s[14:15]
	s_cbranch_execz .LBB2781_88
; %bb.87:
	s_add_i32 s6, s6, 64
	s_mov_b32 s7, 0
	s_lshl_b64 s[6:7], s[6:7], 3
	s_add_u32 s6, s24, s6
	v_add_u32_e32 v18, v17, v16
	v_mov_b32_e32 v19, 2
	s_addc_u32 s7, s25, s7
	v_mov_b32_e32 v20, 0
	global_store_dwordx2 v20, v[18:19], s[6:7]
	ds_write_b64 v20, v[16:17] offset:14336
.LBB2781_88:
	s_or_b64 exec, exec, s[28:29]
	v_cmp_eq_u32_e32 vcc, 0, v0
	s_and_b64 exec, exec, vcc
	s_cbranch_execz .LBB2781_90
; %bb.89:
	v_mov_b32_e32 v16, 0
	ds_write_b32 v16, v17 offset:12
.LBB2781_90:
	s_or_b64 exec, exec, s[26:27]
	v_mov_b32_e32 v16, 0
	s_waitcnt lgkmcnt(0)
	s_barrier
	ds_read_b32 v19, v16 offset:12
	s_waitcnt lgkmcnt(0)
	s_barrier
	ds_read_b64 v[16:17], v16 offset:14336
	v_cndmask_b32_e64 v18, v98, v97, s[14:15]
	v_cmp_ne_u32_e32 vcc, 0, v0
	v_cndmask_b32_e32 v18, 0, v18, vcc
	v_add_u32_e32 v18, v19, v18
	s_branch .LBB2781_101
.LBB2781_91:
                                        ; implicit-def: $vgpr17
                                        ; implicit-def: $vgpr18
	s_cbranch_execz .LBB2781_101
; %bb.92:
	s_waitcnt lgkmcnt(0)
	v_mov_b32_dpp v16, v96 row_shr:1 row_mask:0xf bank_mask:0xf
	v_cndmask_b32_e64 v16, v16, 0, s[12:13]
	v_add_u32_e32 v16, v16, v96
	s_nop 1
	v_mov_b32_dpp v17, v16 row_shr:2 row_mask:0xf bank_mask:0xf
	v_cndmask_b32_e64 v17, 0, v17, s[10:11]
	v_add_u32_e32 v16, v16, v17
	s_nop 1
	;; [unrolled: 4-line block ×4, first 2 shown]
	v_mov_b32_dpp v17, v16 row_bcast:15 row_mask:0xf bank_mask:0xf
	v_cndmask_b32_e64 v17, v17, 0, s[4:5]
	v_add_u32_e32 v16, v16, v17
	s_nop 1
	v_mov_b32_dpp v17, v16 row_bcast:31 row_mask:0xf bank_mask:0xf
	v_cndmask_b32_e64 v17, 0, v17, s[0:1]
	v_add_u32_e32 v16, v16, v17
	s_and_saveexec_b64 s[0:1], s[2:3]
	s_cbranch_execz .LBB2781_94
; %bb.93:
	v_lshlrev_b32_e32 v17, 2, v95
	ds_write_b32 v17, v16
.LBB2781_94:
	s_or_b64 exec, exec, s[0:1]
	v_cmp_gt_u32_e32 vcc, 4, v0
	s_waitcnt lgkmcnt(0)
	s_barrier
	s_and_saveexec_b64 s[0:1], vcc
	s_cbranch_execz .LBB2781_96
; %bb.95:
	v_lshlrev_b32_e32 v17, 2, v0
	ds_read_b32 v18, v17
	v_and_b32_e32 v19, 3, v94
	v_cmp_ne_u32_e32 vcc, 0, v19
	s_waitcnt lgkmcnt(0)
	v_mov_b32_dpp v20, v18 row_shr:1 row_mask:0xf bank_mask:0xf
	v_cndmask_b32_e32 v20, 0, v20, vcc
	v_add_u32_e32 v18, v20, v18
	v_cmp_lt_u32_e32 vcc, 1, v19
	s_nop 0
	v_mov_b32_dpp v20, v18 row_shr:2 row_mask:0xf bank_mask:0xf
	v_cndmask_b32_e32 v19, 0, v20, vcc
	v_add_u32_e32 v18, v18, v19
	ds_write_b32 v17, v18
.LBB2781_96:
	s_or_b64 exec, exec, s[0:1]
	v_cmp_lt_u32_e32 vcc, 63, v0
	v_mov_b32_e32 v17, 0
	v_mov_b32_e32 v18, 0
	s_waitcnt lgkmcnt(0)
	s_barrier
	s_and_saveexec_b64 s[0:1], vcc
	s_cbranch_execz .LBB2781_98
; %bb.97:
	v_lshl_add_u32 v18, v95, 2, -4
	ds_read_b32 v18, v18
.LBB2781_98:
	s_or_b64 exec, exec, s[0:1]
	v_add_u32_e32 v19, -1, v94
	v_and_b32_e32 v20, 64, v94
	v_cmp_lt_i32_e32 vcc, v19, v20
	v_cndmask_b32_e32 v19, v19, v94, vcc
	s_waitcnt lgkmcnt(0)
	v_add_u32_e32 v16, v18, v16
	v_lshlrev_b32_e32 v19, 2, v19
	ds_bpermute_b32 v19, v19, v16
	ds_read_b32 v16, v17 offset:12
	v_cmp_eq_u32_e32 vcc, 0, v0
	s_and_saveexec_b64 s[0:1], vcc
	s_cbranch_execz .LBB2781_100
; %bb.99:
	v_mov_b32_e32 v20, 0
	v_mov_b32_e32 v17, 2
	s_waitcnt lgkmcnt(0)
	global_store_dwordx2 v20, v[16:17], s[24:25] offset:512
.LBB2781_100:
	s_or_b64 exec, exec, s[0:1]
	v_cmp_eq_u32_e64 s[0:1], 0, v94
	s_waitcnt lgkmcnt(1)
	v_cndmask_b32_e64 v18, v19, v18, s[0:1]
	v_mov_b32_e32 v17, 0
	v_cndmask_b32_e64 v18, v18, 0, vcc
	s_waitcnt lgkmcnt(0)
	s_barrier
.LBB2781_101:
	v_add_u32_e32 v19, v18, v68
	v_add_u32_e32 v20, v19, v69
	;; [unrolled: 1-line block ×19, first 2 shown]
	s_waitcnt lgkmcnt(0)
	v_add_u32_e32 v38, v16, v38
	v_sub_u32_e32 v18, v18, v17
	v_and_b32_e32 v67, 1, v67
	v_add_u32_e32 v80, v79, v87
	v_sub_u32_e32 v87, v38, v18
	v_cmp_eq_u32_e32 vcc, 1, v67
	v_cndmask_b32_e32 v18, v87, v18, vcc
	v_lshlrev_b32_e32 v18, 1, v18
	ds_write_b16 v18, v10
	v_sub_u32_e32 v10, v19, v17
	v_sub_u32_e32 v18, v38, v10
	v_and_b32_e32 v19, 1, v66
	v_add_u32_e32 v18, 1, v18
	v_cmp_eq_u32_e32 vcc, 1, v19
	v_cndmask_b32_e32 v10, v18, v10, vcc
	v_lshlrev_b32_e32 v10, 1, v10
	ds_write_b16 v10, v39
	v_sub_u32_e32 v10, v20, v17
	v_sub_u32_e32 v18, v38, v10
	v_and_b32_e32 v19, 1, v65
	v_add_u32_e32 v18, 2, v18
	;; [unrolled: 8-line block ×20, first 2 shown]
	v_cmp_eq_u32_e32 vcc, 1, v6
	v_cndmask_b32_e32 v2, v3, v2, vcc
	v_add_u32_e32 v81, v80, v88
	v_lshlrev_b32_e32 v2, 1, v2
	ds_write_b16 v2, v4
	v_sub_u32_e32 v2, v81, v17
	v_sub_u32_e32 v3, v38, v2
	v_and_b32_e32 v4, 1, v46
	v_add_u32_e32 v3, 21, v3
	v_cmp_eq_u32_e32 vcc, 1, v4
	v_cndmask_b32_e32 v2, v3, v2, vcc
	v_add_u32_e32 v82, v81, v89
	v_lshlrev_b32_e32 v2, 1, v2
	ds_write_b16 v2, v28
	v_sub_u32_e32 v2, v82, v17
	v_sub_u32_e32 v3, v38, v2
	v_and_b32_e32 v4, 1, v45
	v_add_u32_e32 v3, 22, v3
	;; [unrolled: 9-line block ×6, first 2 shown]
	v_cmp_eq_u32_e32 vcc, 1, v4
	v_cndmask_b32_e32 v2, v3, v2, vcc
	v_lshlrev_b32_e32 v2, 1, v2
	ds_write_b16 v2, v15
	v_sub_u32_sdwa v2, v40, v17 dst_sel:DWORD dst_unused:UNUSED_PAD src0_sel:BYTE_0 src1_sel:DWORD
	v_add_u32_e32 v2, v86, v2
	v_sub_u32_e32 v3, v38, v2
	v_and_b32_e32 v4, 1, v41
	v_add_u32_e32 v3, 27, v3
	v_cmp_eq_u32_e32 vcc, 1, v4
	v_cndmask_b32_e32 v2, v3, v2, vcc
	v_cmp_eq_u32_e32 vcc, 0, v0
	v_lshlrev_b32_e32 v2, 1, v2
	s_and_b64 s[0:1], vcc, s[22:23]
	ds_write_b16 v2, v1
	s_waitcnt lgkmcnt(0)
	s_barrier
	s_and_saveexec_b64 s[2:3], s[0:1]
	s_cbranch_execz .LBB2781_103
; %bb.102:
	v_mov_b32_e32 v0, s19
	v_add_co_u32_e32 v1, vcc, s18, v16
	v_addc_co_u32_e32 v3, vcc, 0, v0, vcc
	v_add_co_u32_e32 v0, vcc, v1, v17
	v_mov_b32_e32 v2, 0
	v_addc_co_u32_e32 v1, vcc, 0, v3, vcc
	global_store_dwordx2 v2, v[0:1], s[20:21]
.LBB2781_103:
	s_endpgm
	.section	.rodata,"a",@progbits
	.p2align	6, 0x0
	.amdhsa_kernel _ZN7rocprim17ROCPRIM_400000_NS6detail17trampoline_kernelINS0_14default_configENS1_25partition_config_selectorILNS1_17partition_subalgoE0EsNS0_10empty_typeEbEEZZNS1_14partition_implILS5_0ELb0ES3_jN6thrust23THRUST_200600_302600_NS6detail15normal_iteratorINSA_10device_ptrIsEEEEPS6_SG_NS0_5tupleIJNSA_16discard_iteratorINSA_11use_defaultEEESK_EEENSH_IJSG_SG_EEES6_PlJ7is_evenIsEEEE10hipError_tPvRmT3_T4_T5_T6_T7_T9_mT8_P12ihipStream_tbDpT10_ENKUlT_T0_E_clISt17integral_constantIbLb0EES19_EEDaS14_S15_EUlS14_E_NS1_11comp_targetILNS1_3genE4ELNS1_11target_archE910ELNS1_3gpuE8ELNS1_3repE0EEENS1_30default_config_static_selectorELNS0_4arch9wavefront6targetE1EEEvT1_
		.amdhsa_group_segment_fixed_size 14344
		.amdhsa_private_segment_fixed_size 0
		.amdhsa_kernarg_size 136
		.amdhsa_user_sgpr_count 6
		.amdhsa_user_sgpr_private_segment_buffer 1
		.amdhsa_user_sgpr_dispatch_ptr 0
		.amdhsa_user_sgpr_queue_ptr 0
		.amdhsa_user_sgpr_kernarg_segment_ptr 1
		.amdhsa_user_sgpr_dispatch_id 0
		.amdhsa_user_sgpr_flat_scratch_init 0
		.amdhsa_user_sgpr_kernarg_preload_length 0
		.amdhsa_user_sgpr_kernarg_preload_offset 0
		.amdhsa_user_sgpr_private_segment_size 0
		.amdhsa_uses_dynamic_stack 0
		.amdhsa_system_sgpr_private_segment_wavefront_offset 0
		.amdhsa_system_sgpr_workgroup_id_x 1
		.amdhsa_system_sgpr_workgroup_id_y 0
		.amdhsa_system_sgpr_workgroup_id_z 0
		.amdhsa_system_sgpr_workgroup_info 0
		.amdhsa_system_vgpr_workitem_id 0
		.amdhsa_next_free_vgpr 113
		.amdhsa_next_free_sgpr 36
		.amdhsa_accum_offset 116
		.amdhsa_reserve_vcc 1
		.amdhsa_reserve_flat_scratch 0
		.amdhsa_float_round_mode_32 0
		.amdhsa_float_round_mode_16_64 0
		.amdhsa_float_denorm_mode_32 3
		.amdhsa_float_denorm_mode_16_64 3
		.amdhsa_dx10_clamp 1
		.amdhsa_ieee_mode 1
		.amdhsa_fp16_overflow 0
		.amdhsa_tg_split 0
		.amdhsa_exception_fp_ieee_invalid_op 0
		.amdhsa_exception_fp_denorm_src 0
		.amdhsa_exception_fp_ieee_div_zero 0
		.amdhsa_exception_fp_ieee_overflow 0
		.amdhsa_exception_fp_ieee_underflow 0
		.amdhsa_exception_fp_ieee_inexact 0
		.amdhsa_exception_int_div_zero 0
	.end_amdhsa_kernel
	.section	.text._ZN7rocprim17ROCPRIM_400000_NS6detail17trampoline_kernelINS0_14default_configENS1_25partition_config_selectorILNS1_17partition_subalgoE0EsNS0_10empty_typeEbEEZZNS1_14partition_implILS5_0ELb0ES3_jN6thrust23THRUST_200600_302600_NS6detail15normal_iteratorINSA_10device_ptrIsEEEEPS6_SG_NS0_5tupleIJNSA_16discard_iteratorINSA_11use_defaultEEESK_EEENSH_IJSG_SG_EEES6_PlJ7is_evenIsEEEE10hipError_tPvRmT3_T4_T5_T6_T7_T9_mT8_P12ihipStream_tbDpT10_ENKUlT_T0_E_clISt17integral_constantIbLb0EES19_EEDaS14_S15_EUlS14_E_NS1_11comp_targetILNS1_3genE4ELNS1_11target_archE910ELNS1_3gpuE8ELNS1_3repE0EEENS1_30default_config_static_selectorELNS0_4arch9wavefront6targetE1EEEvT1_,"axG",@progbits,_ZN7rocprim17ROCPRIM_400000_NS6detail17trampoline_kernelINS0_14default_configENS1_25partition_config_selectorILNS1_17partition_subalgoE0EsNS0_10empty_typeEbEEZZNS1_14partition_implILS5_0ELb0ES3_jN6thrust23THRUST_200600_302600_NS6detail15normal_iteratorINSA_10device_ptrIsEEEEPS6_SG_NS0_5tupleIJNSA_16discard_iteratorINSA_11use_defaultEEESK_EEENSH_IJSG_SG_EEES6_PlJ7is_evenIsEEEE10hipError_tPvRmT3_T4_T5_T6_T7_T9_mT8_P12ihipStream_tbDpT10_ENKUlT_T0_E_clISt17integral_constantIbLb0EES19_EEDaS14_S15_EUlS14_E_NS1_11comp_targetILNS1_3genE4ELNS1_11target_archE910ELNS1_3gpuE8ELNS1_3repE0EEENS1_30default_config_static_selectorELNS0_4arch9wavefront6targetE1EEEvT1_,comdat
.Lfunc_end2781:
	.size	_ZN7rocprim17ROCPRIM_400000_NS6detail17trampoline_kernelINS0_14default_configENS1_25partition_config_selectorILNS1_17partition_subalgoE0EsNS0_10empty_typeEbEEZZNS1_14partition_implILS5_0ELb0ES3_jN6thrust23THRUST_200600_302600_NS6detail15normal_iteratorINSA_10device_ptrIsEEEEPS6_SG_NS0_5tupleIJNSA_16discard_iteratorINSA_11use_defaultEEESK_EEENSH_IJSG_SG_EEES6_PlJ7is_evenIsEEEE10hipError_tPvRmT3_T4_T5_T6_T7_T9_mT8_P12ihipStream_tbDpT10_ENKUlT_T0_E_clISt17integral_constantIbLb0EES19_EEDaS14_S15_EUlS14_E_NS1_11comp_targetILNS1_3genE4ELNS1_11target_archE910ELNS1_3gpuE8ELNS1_3repE0EEENS1_30default_config_static_selectorELNS0_4arch9wavefront6targetE1EEEvT1_, .Lfunc_end2781-_ZN7rocprim17ROCPRIM_400000_NS6detail17trampoline_kernelINS0_14default_configENS1_25partition_config_selectorILNS1_17partition_subalgoE0EsNS0_10empty_typeEbEEZZNS1_14partition_implILS5_0ELb0ES3_jN6thrust23THRUST_200600_302600_NS6detail15normal_iteratorINSA_10device_ptrIsEEEEPS6_SG_NS0_5tupleIJNSA_16discard_iteratorINSA_11use_defaultEEESK_EEENSH_IJSG_SG_EEES6_PlJ7is_evenIsEEEE10hipError_tPvRmT3_T4_T5_T6_T7_T9_mT8_P12ihipStream_tbDpT10_ENKUlT_T0_E_clISt17integral_constantIbLb0EES19_EEDaS14_S15_EUlS14_E_NS1_11comp_targetILNS1_3genE4ELNS1_11target_archE910ELNS1_3gpuE8ELNS1_3repE0EEENS1_30default_config_static_selectorELNS0_4arch9wavefront6targetE1EEEvT1_
                                        ; -- End function
	.section	.AMDGPU.csdata,"",@progbits
; Kernel info:
; codeLenInByte = 6564
; NumSgprs: 40
; NumVgprs: 113
; NumAgprs: 0
; TotalNumVgprs: 113
; ScratchSize: 0
; MemoryBound: 0
; FloatMode: 240
; IeeeMode: 1
; LDSByteSize: 14344 bytes/workgroup (compile time only)
; SGPRBlocks: 4
; VGPRBlocks: 14
; NumSGPRsForWavesPerEU: 40
; NumVGPRsForWavesPerEU: 113
; AccumOffset: 116
; Occupancy: 4
; WaveLimiterHint : 1
; COMPUTE_PGM_RSRC2:SCRATCH_EN: 0
; COMPUTE_PGM_RSRC2:USER_SGPR: 6
; COMPUTE_PGM_RSRC2:TRAP_HANDLER: 0
; COMPUTE_PGM_RSRC2:TGID_X_EN: 1
; COMPUTE_PGM_RSRC2:TGID_Y_EN: 0
; COMPUTE_PGM_RSRC2:TGID_Z_EN: 0
; COMPUTE_PGM_RSRC2:TIDIG_COMP_CNT: 0
; COMPUTE_PGM_RSRC3_GFX90A:ACCUM_OFFSET: 28
; COMPUTE_PGM_RSRC3_GFX90A:TG_SPLIT: 0
	.section	.text._ZN7rocprim17ROCPRIM_400000_NS6detail17trampoline_kernelINS0_14default_configENS1_25partition_config_selectorILNS1_17partition_subalgoE0EsNS0_10empty_typeEbEEZZNS1_14partition_implILS5_0ELb0ES3_jN6thrust23THRUST_200600_302600_NS6detail15normal_iteratorINSA_10device_ptrIsEEEEPS6_SG_NS0_5tupleIJNSA_16discard_iteratorINSA_11use_defaultEEESK_EEENSH_IJSG_SG_EEES6_PlJ7is_evenIsEEEE10hipError_tPvRmT3_T4_T5_T6_T7_T9_mT8_P12ihipStream_tbDpT10_ENKUlT_T0_E_clISt17integral_constantIbLb0EES19_EEDaS14_S15_EUlS14_E_NS1_11comp_targetILNS1_3genE3ELNS1_11target_archE908ELNS1_3gpuE7ELNS1_3repE0EEENS1_30default_config_static_selectorELNS0_4arch9wavefront6targetE1EEEvT1_,"axG",@progbits,_ZN7rocprim17ROCPRIM_400000_NS6detail17trampoline_kernelINS0_14default_configENS1_25partition_config_selectorILNS1_17partition_subalgoE0EsNS0_10empty_typeEbEEZZNS1_14partition_implILS5_0ELb0ES3_jN6thrust23THRUST_200600_302600_NS6detail15normal_iteratorINSA_10device_ptrIsEEEEPS6_SG_NS0_5tupleIJNSA_16discard_iteratorINSA_11use_defaultEEESK_EEENSH_IJSG_SG_EEES6_PlJ7is_evenIsEEEE10hipError_tPvRmT3_T4_T5_T6_T7_T9_mT8_P12ihipStream_tbDpT10_ENKUlT_T0_E_clISt17integral_constantIbLb0EES19_EEDaS14_S15_EUlS14_E_NS1_11comp_targetILNS1_3genE3ELNS1_11target_archE908ELNS1_3gpuE7ELNS1_3repE0EEENS1_30default_config_static_selectorELNS0_4arch9wavefront6targetE1EEEvT1_,comdat
	.protected	_ZN7rocprim17ROCPRIM_400000_NS6detail17trampoline_kernelINS0_14default_configENS1_25partition_config_selectorILNS1_17partition_subalgoE0EsNS0_10empty_typeEbEEZZNS1_14partition_implILS5_0ELb0ES3_jN6thrust23THRUST_200600_302600_NS6detail15normal_iteratorINSA_10device_ptrIsEEEEPS6_SG_NS0_5tupleIJNSA_16discard_iteratorINSA_11use_defaultEEESK_EEENSH_IJSG_SG_EEES6_PlJ7is_evenIsEEEE10hipError_tPvRmT3_T4_T5_T6_T7_T9_mT8_P12ihipStream_tbDpT10_ENKUlT_T0_E_clISt17integral_constantIbLb0EES19_EEDaS14_S15_EUlS14_E_NS1_11comp_targetILNS1_3genE3ELNS1_11target_archE908ELNS1_3gpuE7ELNS1_3repE0EEENS1_30default_config_static_selectorELNS0_4arch9wavefront6targetE1EEEvT1_ ; -- Begin function _ZN7rocprim17ROCPRIM_400000_NS6detail17trampoline_kernelINS0_14default_configENS1_25partition_config_selectorILNS1_17partition_subalgoE0EsNS0_10empty_typeEbEEZZNS1_14partition_implILS5_0ELb0ES3_jN6thrust23THRUST_200600_302600_NS6detail15normal_iteratorINSA_10device_ptrIsEEEEPS6_SG_NS0_5tupleIJNSA_16discard_iteratorINSA_11use_defaultEEESK_EEENSH_IJSG_SG_EEES6_PlJ7is_evenIsEEEE10hipError_tPvRmT3_T4_T5_T6_T7_T9_mT8_P12ihipStream_tbDpT10_ENKUlT_T0_E_clISt17integral_constantIbLb0EES19_EEDaS14_S15_EUlS14_E_NS1_11comp_targetILNS1_3genE3ELNS1_11target_archE908ELNS1_3gpuE7ELNS1_3repE0EEENS1_30default_config_static_selectorELNS0_4arch9wavefront6targetE1EEEvT1_
	.globl	_ZN7rocprim17ROCPRIM_400000_NS6detail17trampoline_kernelINS0_14default_configENS1_25partition_config_selectorILNS1_17partition_subalgoE0EsNS0_10empty_typeEbEEZZNS1_14partition_implILS5_0ELb0ES3_jN6thrust23THRUST_200600_302600_NS6detail15normal_iteratorINSA_10device_ptrIsEEEEPS6_SG_NS0_5tupleIJNSA_16discard_iteratorINSA_11use_defaultEEESK_EEENSH_IJSG_SG_EEES6_PlJ7is_evenIsEEEE10hipError_tPvRmT3_T4_T5_T6_T7_T9_mT8_P12ihipStream_tbDpT10_ENKUlT_T0_E_clISt17integral_constantIbLb0EES19_EEDaS14_S15_EUlS14_E_NS1_11comp_targetILNS1_3genE3ELNS1_11target_archE908ELNS1_3gpuE7ELNS1_3repE0EEENS1_30default_config_static_selectorELNS0_4arch9wavefront6targetE1EEEvT1_
	.p2align	8
	.type	_ZN7rocprim17ROCPRIM_400000_NS6detail17trampoline_kernelINS0_14default_configENS1_25partition_config_selectorILNS1_17partition_subalgoE0EsNS0_10empty_typeEbEEZZNS1_14partition_implILS5_0ELb0ES3_jN6thrust23THRUST_200600_302600_NS6detail15normal_iteratorINSA_10device_ptrIsEEEEPS6_SG_NS0_5tupleIJNSA_16discard_iteratorINSA_11use_defaultEEESK_EEENSH_IJSG_SG_EEES6_PlJ7is_evenIsEEEE10hipError_tPvRmT3_T4_T5_T6_T7_T9_mT8_P12ihipStream_tbDpT10_ENKUlT_T0_E_clISt17integral_constantIbLb0EES19_EEDaS14_S15_EUlS14_E_NS1_11comp_targetILNS1_3genE3ELNS1_11target_archE908ELNS1_3gpuE7ELNS1_3repE0EEENS1_30default_config_static_selectorELNS0_4arch9wavefront6targetE1EEEvT1_,@function
_ZN7rocprim17ROCPRIM_400000_NS6detail17trampoline_kernelINS0_14default_configENS1_25partition_config_selectorILNS1_17partition_subalgoE0EsNS0_10empty_typeEbEEZZNS1_14partition_implILS5_0ELb0ES3_jN6thrust23THRUST_200600_302600_NS6detail15normal_iteratorINSA_10device_ptrIsEEEEPS6_SG_NS0_5tupleIJNSA_16discard_iteratorINSA_11use_defaultEEESK_EEENSH_IJSG_SG_EEES6_PlJ7is_evenIsEEEE10hipError_tPvRmT3_T4_T5_T6_T7_T9_mT8_P12ihipStream_tbDpT10_ENKUlT_T0_E_clISt17integral_constantIbLb0EES19_EEDaS14_S15_EUlS14_E_NS1_11comp_targetILNS1_3genE3ELNS1_11target_archE908ELNS1_3gpuE7ELNS1_3repE0EEENS1_30default_config_static_selectorELNS0_4arch9wavefront6targetE1EEEvT1_: ; @_ZN7rocprim17ROCPRIM_400000_NS6detail17trampoline_kernelINS0_14default_configENS1_25partition_config_selectorILNS1_17partition_subalgoE0EsNS0_10empty_typeEbEEZZNS1_14partition_implILS5_0ELb0ES3_jN6thrust23THRUST_200600_302600_NS6detail15normal_iteratorINSA_10device_ptrIsEEEEPS6_SG_NS0_5tupleIJNSA_16discard_iteratorINSA_11use_defaultEEESK_EEENSH_IJSG_SG_EEES6_PlJ7is_evenIsEEEE10hipError_tPvRmT3_T4_T5_T6_T7_T9_mT8_P12ihipStream_tbDpT10_ENKUlT_T0_E_clISt17integral_constantIbLb0EES19_EEDaS14_S15_EUlS14_E_NS1_11comp_targetILNS1_3genE3ELNS1_11target_archE908ELNS1_3gpuE7ELNS1_3repE0EEENS1_30default_config_static_selectorELNS0_4arch9wavefront6targetE1EEEvT1_
; %bb.0:
	.section	.rodata,"a",@progbits
	.p2align	6, 0x0
	.amdhsa_kernel _ZN7rocprim17ROCPRIM_400000_NS6detail17trampoline_kernelINS0_14default_configENS1_25partition_config_selectorILNS1_17partition_subalgoE0EsNS0_10empty_typeEbEEZZNS1_14partition_implILS5_0ELb0ES3_jN6thrust23THRUST_200600_302600_NS6detail15normal_iteratorINSA_10device_ptrIsEEEEPS6_SG_NS0_5tupleIJNSA_16discard_iteratorINSA_11use_defaultEEESK_EEENSH_IJSG_SG_EEES6_PlJ7is_evenIsEEEE10hipError_tPvRmT3_T4_T5_T6_T7_T9_mT8_P12ihipStream_tbDpT10_ENKUlT_T0_E_clISt17integral_constantIbLb0EES19_EEDaS14_S15_EUlS14_E_NS1_11comp_targetILNS1_3genE3ELNS1_11target_archE908ELNS1_3gpuE7ELNS1_3repE0EEENS1_30default_config_static_selectorELNS0_4arch9wavefront6targetE1EEEvT1_
		.amdhsa_group_segment_fixed_size 0
		.amdhsa_private_segment_fixed_size 0
		.amdhsa_kernarg_size 136
		.amdhsa_user_sgpr_count 6
		.amdhsa_user_sgpr_private_segment_buffer 1
		.amdhsa_user_sgpr_dispatch_ptr 0
		.amdhsa_user_sgpr_queue_ptr 0
		.amdhsa_user_sgpr_kernarg_segment_ptr 1
		.amdhsa_user_sgpr_dispatch_id 0
		.amdhsa_user_sgpr_flat_scratch_init 0
		.amdhsa_user_sgpr_kernarg_preload_length 0
		.amdhsa_user_sgpr_kernarg_preload_offset 0
		.amdhsa_user_sgpr_private_segment_size 0
		.amdhsa_uses_dynamic_stack 0
		.amdhsa_system_sgpr_private_segment_wavefront_offset 0
		.amdhsa_system_sgpr_workgroup_id_x 1
		.amdhsa_system_sgpr_workgroup_id_y 0
		.amdhsa_system_sgpr_workgroup_id_z 0
		.amdhsa_system_sgpr_workgroup_info 0
		.amdhsa_system_vgpr_workitem_id 0
		.amdhsa_next_free_vgpr 1
		.amdhsa_next_free_sgpr 0
		.amdhsa_accum_offset 4
		.amdhsa_reserve_vcc 0
		.amdhsa_reserve_flat_scratch 0
		.amdhsa_float_round_mode_32 0
		.amdhsa_float_round_mode_16_64 0
		.amdhsa_float_denorm_mode_32 3
		.amdhsa_float_denorm_mode_16_64 3
		.amdhsa_dx10_clamp 1
		.amdhsa_ieee_mode 1
		.amdhsa_fp16_overflow 0
		.amdhsa_tg_split 0
		.amdhsa_exception_fp_ieee_invalid_op 0
		.amdhsa_exception_fp_denorm_src 0
		.amdhsa_exception_fp_ieee_div_zero 0
		.amdhsa_exception_fp_ieee_overflow 0
		.amdhsa_exception_fp_ieee_underflow 0
		.amdhsa_exception_fp_ieee_inexact 0
		.amdhsa_exception_int_div_zero 0
	.end_amdhsa_kernel
	.section	.text._ZN7rocprim17ROCPRIM_400000_NS6detail17trampoline_kernelINS0_14default_configENS1_25partition_config_selectorILNS1_17partition_subalgoE0EsNS0_10empty_typeEbEEZZNS1_14partition_implILS5_0ELb0ES3_jN6thrust23THRUST_200600_302600_NS6detail15normal_iteratorINSA_10device_ptrIsEEEEPS6_SG_NS0_5tupleIJNSA_16discard_iteratorINSA_11use_defaultEEESK_EEENSH_IJSG_SG_EEES6_PlJ7is_evenIsEEEE10hipError_tPvRmT3_T4_T5_T6_T7_T9_mT8_P12ihipStream_tbDpT10_ENKUlT_T0_E_clISt17integral_constantIbLb0EES19_EEDaS14_S15_EUlS14_E_NS1_11comp_targetILNS1_3genE3ELNS1_11target_archE908ELNS1_3gpuE7ELNS1_3repE0EEENS1_30default_config_static_selectorELNS0_4arch9wavefront6targetE1EEEvT1_,"axG",@progbits,_ZN7rocprim17ROCPRIM_400000_NS6detail17trampoline_kernelINS0_14default_configENS1_25partition_config_selectorILNS1_17partition_subalgoE0EsNS0_10empty_typeEbEEZZNS1_14partition_implILS5_0ELb0ES3_jN6thrust23THRUST_200600_302600_NS6detail15normal_iteratorINSA_10device_ptrIsEEEEPS6_SG_NS0_5tupleIJNSA_16discard_iteratorINSA_11use_defaultEEESK_EEENSH_IJSG_SG_EEES6_PlJ7is_evenIsEEEE10hipError_tPvRmT3_T4_T5_T6_T7_T9_mT8_P12ihipStream_tbDpT10_ENKUlT_T0_E_clISt17integral_constantIbLb0EES19_EEDaS14_S15_EUlS14_E_NS1_11comp_targetILNS1_3genE3ELNS1_11target_archE908ELNS1_3gpuE7ELNS1_3repE0EEENS1_30default_config_static_selectorELNS0_4arch9wavefront6targetE1EEEvT1_,comdat
.Lfunc_end2782:
	.size	_ZN7rocprim17ROCPRIM_400000_NS6detail17trampoline_kernelINS0_14default_configENS1_25partition_config_selectorILNS1_17partition_subalgoE0EsNS0_10empty_typeEbEEZZNS1_14partition_implILS5_0ELb0ES3_jN6thrust23THRUST_200600_302600_NS6detail15normal_iteratorINSA_10device_ptrIsEEEEPS6_SG_NS0_5tupleIJNSA_16discard_iteratorINSA_11use_defaultEEESK_EEENSH_IJSG_SG_EEES6_PlJ7is_evenIsEEEE10hipError_tPvRmT3_T4_T5_T6_T7_T9_mT8_P12ihipStream_tbDpT10_ENKUlT_T0_E_clISt17integral_constantIbLb0EES19_EEDaS14_S15_EUlS14_E_NS1_11comp_targetILNS1_3genE3ELNS1_11target_archE908ELNS1_3gpuE7ELNS1_3repE0EEENS1_30default_config_static_selectorELNS0_4arch9wavefront6targetE1EEEvT1_, .Lfunc_end2782-_ZN7rocprim17ROCPRIM_400000_NS6detail17trampoline_kernelINS0_14default_configENS1_25partition_config_selectorILNS1_17partition_subalgoE0EsNS0_10empty_typeEbEEZZNS1_14partition_implILS5_0ELb0ES3_jN6thrust23THRUST_200600_302600_NS6detail15normal_iteratorINSA_10device_ptrIsEEEEPS6_SG_NS0_5tupleIJNSA_16discard_iteratorINSA_11use_defaultEEESK_EEENSH_IJSG_SG_EEES6_PlJ7is_evenIsEEEE10hipError_tPvRmT3_T4_T5_T6_T7_T9_mT8_P12ihipStream_tbDpT10_ENKUlT_T0_E_clISt17integral_constantIbLb0EES19_EEDaS14_S15_EUlS14_E_NS1_11comp_targetILNS1_3genE3ELNS1_11target_archE908ELNS1_3gpuE7ELNS1_3repE0EEENS1_30default_config_static_selectorELNS0_4arch9wavefront6targetE1EEEvT1_
                                        ; -- End function
	.section	.AMDGPU.csdata,"",@progbits
; Kernel info:
; codeLenInByte = 0
; NumSgprs: 4
; NumVgprs: 0
; NumAgprs: 0
; TotalNumVgprs: 0
; ScratchSize: 0
; MemoryBound: 0
; FloatMode: 240
; IeeeMode: 1
; LDSByteSize: 0 bytes/workgroup (compile time only)
; SGPRBlocks: 0
; VGPRBlocks: 0
; NumSGPRsForWavesPerEU: 4
; NumVGPRsForWavesPerEU: 1
; AccumOffset: 4
; Occupancy: 8
; WaveLimiterHint : 0
; COMPUTE_PGM_RSRC2:SCRATCH_EN: 0
; COMPUTE_PGM_RSRC2:USER_SGPR: 6
; COMPUTE_PGM_RSRC2:TRAP_HANDLER: 0
; COMPUTE_PGM_RSRC2:TGID_X_EN: 1
; COMPUTE_PGM_RSRC2:TGID_Y_EN: 0
; COMPUTE_PGM_RSRC2:TGID_Z_EN: 0
; COMPUTE_PGM_RSRC2:TIDIG_COMP_CNT: 0
; COMPUTE_PGM_RSRC3_GFX90A:ACCUM_OFFSET: 0
; COMPUTE_PGM_RSRC3_GFX90A:TG_SPLIT: 0
	.section	.text._ZN7rocprim17ROCPRIM_400000_NS6detail17trampoline_kernelINS0_14default_configENS1_25partition_config_selectorILNS1_17partition_subalgoE0EsNS0_10empty_typeEbEEZZNS1_14partition_implILS5_0ELb0ES3_jN6thrust23THRUST_200600_302600_NS6detail15normal_iteratorINSA_10device_ptrIsEEEEPS6_SG_NS0_5tupleIJNSA_16discard_iteratorINSA_11use_defaultEEESK_EEENSH_IJSG_SG_EEES6_PlJ7is_evenIsEEEE10hipError_tPvRmT3_T4_T5_T6_T7_T9_mT8_P12ihipStream_tbDpT10_ENKUlT_T0_E_clISt17integral_constantIbLb0EES19_EEDaS14_S15_EUlS14_E_NS1_11comp_targetILNS1_3genE2ELNS1_11target_archE906ELNS1_3gpuE6ELNS1_3repE0EEENS1_30default_config_static_selectorELNS0_4arch9wavefront6targetE1EEEvT1_,"axG",@progbits,_ZN7rocprim17ROCPRIM_400000_NS6detail17trampoline_kernelINS0_14default_configENS1_25partition_config_selectorILNS1_17partition_subalgoE0EsNS0_10empty_typeEbEEZZNS1_14partition_implILS5_0ELb0ES3_jN6thrust23THRUST_200600_302600_NS6detail15normal_iteratorINSA_10device_ptrIsEEEEPS6_SG_NS0_5tupleIJNSA_16discard_iteratorINSA_11use_defaultEEESK_EEENSH_IJSG_SG_EEES6_PlJ7is_evenIsEEEE10hipError_tPvRmT3_T4_T5_T6_T7_T9_mT8_P12ihipStream_tbDpT10_ENKUlT_T0_E_clISt17integral_constantIbLb0EES19_EEDaS14_S15_EUlS14_E_NS1_11comp_targetILNS1_3genE2ELNS1_11target_archE906ELNS1_3gpuE6ELNS1_3repE0EEENS1_30default_config_static_selectorELNS0_4arch9wavefront6targetE1EEEvT1_,comdat
	.protected	_ZN7rocprim17ROCPRIM_400000_NS6detail17trampoline_kernelINS0_14default_configENS1_25partition_config_selectorILNS1_17partition_subalgoE0EsNS0_10empty_typeEbEEZZNS1_14partition_implILS5_0ELb0ES3_jN6thrust23THRUST_200600_302600_NS6detail15normal_iteratorINSA_10device_ptrIsEEEEPS6_SG_NS0_5tupleIJNSA_16discard_iteratorINSA_11use_defaultEEESK_EEENSH_IJSG_SG_EEES6_PlJ7is_evenIsEEEE10hipError_tPvRmT3_T4_T5_T6_T7_T9_mT8_P12ihipStream_tbDpT10_ENKUlT_T0_E_clISt17integral_constantIbLb0EES19_EEDaS14_S15_EUlS14_E_NS1_11comp_targetILNS1_3genE2ELNS1_11target_archE906ELNS1_3gpuE6ELNS1_3repE0EEENS1_30default_config_static_selectorELNS0_4arch9wavefront6targetE1EEEvT1_ ; -- Begin function _ZN7rocprim17ROCPRIM_400000_NS6detail17trampoline_kernelINS0_14default_configENS1_25partition_config_selectorILNS1_17partition_subalgoE0EsNS0_10empty_typeEbEEZZNS1_14partition_implILS5_0ELb0ES3_jN6thrust23THRUST_200600_302600_NS6detail15normal_iteratorINSA_10device_ptrIsEEEEPS6_SG_NS0_5tupleIJNSA_16discard_iteratorINSA_11use_defaultEEESK_EEENSH_IJSG_SG_EEES6_PlJ7is_evenIsEEEE10hipError_tPvRmT3_T4_T5_T6_T7_T9_mT8_P12ihipStream_tbDpT10_ENKUlT_T0_E_clISt17integral_constantIbLb0EES19_EEDaS14_S15_EUlS14_E_NS1_11comp_targetILNS1_3genE2ELNS1_11target_archE906ELNS1_3gpuE6ELNS1_3repE0EEENS1_30default_config_static_selectorELNS0_4arch9wavefront6targetE1EEEvT1_
	.globl	_ZN7rocprim17ROCPRIM_400000_NS6detail17trampoline_kernelINS0_14default_configENS1_25partition_config_selectorILNS1_17partition_subalgoE0EsNS0_10empty_typeEbEEZZNS1_14partition_implILS5_0ELb0ES3_jN6thrust23THRUST_200600_302600_NS6detail15normal_iteratorINSA_10device_ptrIsEEEEPS6_SG_NS0_5tupleIJNSA_16discard_iteratorINSA_11use_defaultEEESK_EEENSH_IJSG_SG_EEES6_PlJ7is_evenIsEEEE10hipError_tPvRmT3_T4_T5_T6_T7_T9_mT8_P12ihipStream_tbDpT10_ENKUlT_T0_E_clISt17integral_constantIbLb0EES19_EEDaS14_S15_EUlS14_E_NS1_11comp_targetILNS1_3genE2ELNS1_11target_archE906ELNS1_3gpuE6ELNS1_3repE0EEENS1_30default_config_static_selectorELNS0_4arch9wavefront6targetE1EEEvT1_
	.p2align	8
	.type	_ZN7rocprim17ROCPRIM_400000_NS6detail17trampoline_kernelINS0_14default_configENS1_25partition_config_selectorILNS1_17partition_subalgoE0EsNS0_10empty_typeEbEEZZNS1_14partition_implILS5_0ELb0ES3_jN6thrust23THRUST_200600_302600_NS6detail15normal_iteratorINSA_10device_ptrIsEEEEPS6_SG_NS0_5tupleIJNSA_16discard_iteratorINSA_11use_defaultEEESK_EEENSH_IJSG_SG_EEES6_PlJ7is_evenIsEEEE10hipError_tPvRmT3_T4_T5_T6_T7_T9_mT8_P12ihipStream_tbDpT10_ENKUlT_T0_E_clISt17integral_constantIbLb0EES19_EEDaS14_S15_EUlS14_E_NS1_11comp_targetILNS1_3genE2ELNS1_11target_archE906ELNS1_3gpuE6ELNS1_3repE0EEENS1_30default_config_static_selectorELNS0_4arch9wavefront6targetE1EEEvT1_,@function
_ZN7rocprim17ROCPRIM_400000_NS6detail17trampoline_kernelINS0_14default_configENS1_25partition_config_selectorILNS1_17partition_subalgoE0EsNS0_10empty_typeEbEEZZNS1_14partition_implILS5_0ELb0ES3_jN6thrust23THRUST_200600_302600_NS6detail15normal_iteratorINSA_10device_ptrIsEEEEPS6_SG_NS0_5tupleIJNSA_16discard_iteratorINSA_11use_defaultEEESK_EEENSH_IJSG_SG_EEES6_PlJ7is_evenIsEEEE10hipError_tPvRmT3_T4_T5_T6_T7_T9_mT8_P12ihipStream_tbDpT10_ENKUlT_T0_E_clISt17integral_constantIbLb0EES19_EEDaS14_S15_EUlS14_E_NS1_11comp_targetILNS1_3genE2ELNS1_11target_archE906ELNS1_3gpuE6ELNS1_3repE0EEENS1_30default_config_static_selectorELNS0_4arch9wavefront6targetE1EEEvT1_: ; @_ZN7rocprim17ROCPRIM_400000_NS6detail17trampoline_kernelINS0_14default_configENS1_25partition_config_selectorILNS1_17partition_subalgoE0EsNS0_10empty_typeEbEEZZNS1_14partition_implILS5_0ELb0ES3_jN6thrust23THRUST_200600_302600_NS6detail15normal_iteratorINSA_10device_ptrIsEEEEPS6_SG_NS0_5tupleIJNSA_16discard_iteratorINSA_11use_defaultEEESK_EEENSH_IJSG_SG_EEES6_PlJ7is_evenIsEEEE10hipError_tPvRmT3_T4_T5_T6_T7_T9_mT8_P12ihipStream_tbDpT10_ENKUlT_T0_E_clISt17integral_constantIbLb0EES19_EEDaS14_S15_EUlS14_E_NS1_11comp_targetILNS1_3genE2ELNS1_11target_archE906ELNS1_3gpuE6ELNS1_3repE0EEENS1_30default_config_static_selectorELNS0_4arch9wavefront6targetE1EEEvT1_
; %bb.0:
	.section	.rodata,"a",@progbits
	.p2align	6, 0x0
	.amdhsa_kernel _ZN7rocprim17ROCPRIM_400000_NS6detail17trampoline_kernelINS0_14default_configENS1_25partition_config_selectorILNS1_17partition_subalgoE0EsNS0_10empty_typeEbEEZZNS1_14partition_implILS5_0ELb0ES3_jN6thrust23THRUST_200600_302600_NS6detail15normal_iteratorINSA_10device_ptrIsEEEEPS6_SG_NS0_5tupleIJNSA_16discard_iteratorINSA_11use_defaultEEESK_EEENSH_IJSG_SG_EEES6_PlJ7is_evenIsEEEE10hipError_tPvRmT3_T4_T5_T6_T7_T9_mT8_P12ihipStream_tbDpT10_ENKUlT_T0_E_clISt17integral_constantIbLb0EES19_EEDaS14_S15_EUlS14_E_NS1_11comp_targetILNS1_3genE2ELNS1_11target_archE906ELNS1_3gpuE6ELNS1_3repE0EEENS1_30default_config_static_selectorELNS0_4arch9wavefront6targetE1EEEvT1_
		.amdhsa_group_segment_fixed_size 0
		.amdhsa_private_segment_fixed_size 0
		.amdhsa_kernarg_size 136
		.amdhsa_user_sgpr_count 6
		.amdhsa_user_sgpr_private_segment_buffer 1
		.amdhsa_user_sgpr_dispatch_ptr 0
		.amdhsa_user_sgpr_queue_ptr 0
		.amdhsa_user_sgpr_kernarg_segment_ptr 1
		.amdhsa_user_sgpr_dispatch_id 0
		.amdhsa_user_sgpr_flat_scratch_init 0
		.amdhsa_user_sgpr_kernarg_preload_length 0
		.amdhsa_user_sgpr_kernarg_preload_offset 0
		.amdhsa_user_sgpr_private_segment_size 0
		.amdhsa_uses_dynamic_stack 0
		.amdhsa_system_sgpr_private_segment_wavefront_offset 0
		.amdhsa_system_sgpr_workgroup_id_x 1
		.amdhsa_system_sgpr_workgroup_id_y 0
		.amdhsa_system_sgpr_workgroup_id_z 0
		.amdhsa_system_sgpr_workgroup_info 0
		.amdhsa_system_vgpr_workitem_id 0
		.amdhsa_next_free_vgpr 1
		.amdhsa_next_free_sgpr 0
		.amdhsa_accum_offset 4
		.amdhsa_reserve_vcc 0
		.amdhsa_reserve_flat_scratch 0
		.amdhsa_float_round_mode_32 0
		.amdhsa_float_round_mode_16_64 0
		.amdhsa_float_denorm_mode_32 3
		.amdhsa_float_denorm_mode_16_64 3
		.amdhsa_dx10_clamp 1
		.amdhsa_ieee_mode 1
		.amdhsa_fp16_overflow 0
		.amdhsa_tg_split 0
		.amdhsa_exception_fp_ieee_invalid_op 0
		.amdhsa_exception_fp_denorm_src 0
		.amdhsa_exception_fp_ieee_div_zero 0
		.amdhsa_exception_fp_ieee_overflow 0
		.amdhsa_exception_fp_ieee_underflow 0
		.amdhsa_exception_fp_ieee_inexact 0
		.amdhsa_exception_int_div_zero 0
	.end_amdhsa_kernel
	.section	.text._ZN7rocprim17ROCPRIM_400000_NS6detail17trampoline_kernelINS0_14default_configENS1_25partition_config_selectorILNS1_17partition_subalgoE0EsNS0_10empty_typeEbEEZZNS1_14partition_implILS5_0ELb0ES3_jN6thrust23THRUST_200600_302600_NS6detail15normal_iteratorINSA_10device_ptrIsEEEEPS6_SG_NS0_5tupleIJNSA_16discard_iteratorINSA_11use_defaultEEESK_EEENSH_IJSG_SG_EEES6_PlJ7is_evenIsEEEE10hipError_tPvRmT3_T4_T5_T6_T7_T9_mT8_P12ihipStream_tbDpT10_ENKUlT_T0_E_clISt17integral_constantIbLb0EES19_EEDaS14_S15_EUlS14_E_NS1_11comp_targetILNS1_3genE2ELNS1_11target_archE906ELNS1_3gpuE6ELNS1_3repE0EEENS1_30default_config_static_selectorELNS0_4arch9wavefront6targetE1EEEvT1_,"axG",@progbits,_ZN7rocprim17ROCPRIM_400000_NS6detail17trampoline_kernelINS0_14default_configENS1_25partition_config_selectorILNS1_17partition_subalgoE0EsNS0_10empty_typeEbEEZZNS1_14partition_implILS5_0ELb0ES3_jN6thrust23THRUST_200600_302600_NS6detail15normal_iteratorINSA_10device_ptrIsEEEEPS6_SG_NS0_5tupleIJNSA_16discard_iteratorINSA_11use_defaultEEESK_EEENSH_IJSG_SG_EEES6_PlJ7is_evenIsEEEE10hipError_tPvRmT3_T4_T5_T6_T7_T9_mT8_P12ihipStream_tbDpT10_ENKUlT_T0_E_clISt17integral_constantIbLb0EES19_EEDaS14_S15_EUlS14_E_NS1_11comp_targetILNS1_3genE2ELNS1_11target_archE906ELNS1_3gpuE6ELNS1_3repE0EEENS1_30default_config_static_selectorELNS0_4arch9wavefront6targetE1EEEvT1_,comdat
.Lfunc_end2783:
	.size	_ZN7rocprim17ROCPRIM_400000_NS6detail17trampoline_kernelINS0_14default_configENS1_25partition_config_selectorILNS1_17partition_subalgoE0EsNS0_10empty_typeEbEEZZNS1_14partition_implILS5_0ELb0ES3_jN6thrust23THRUST_200600_302600_NS6detail15normal_iteratorINSA_10device_ptrIsEEEEPS6_SG_NS0_5tupleIJNSA_16discard_iteratorINSA_11use_defaultEEESK_EEENSH_IJSG_SG_EEES6_PlJ7is_evenIsEEEE10hipError_tPvRmT3_T4_T5_T6_T7_T9_mT8_P12ihipStream_tbDpT10_ENKUlT_T0_E_clISt17integral_constantIbLb0EES19_EEDaS14_S15_EUlS14_E_NS1_11comp_targetILNS1_3genE2ELNS1_11target_archE906ELNS1_3gpuE6ELNS1_3repE0EEENS1_30default_config_static_selectorELNS0_4arch9wavefront6targetE1EEEvT1_, .Lfunc_end2783-_ZN7rocprim17ROCPRIM_400000_NS6detail17trampoline_kernelINS0_14default_configENS1_25partition_config_selectorILNS1_17partition_subalgoE0EsNS0_10empty_typeEbEEZZNS1_14partition_implILS5_0ELb0ES3_jN6thrust23THRUST_200600_302600_NS6detail15normal_iteratorINSA_10device_ptrIsEEEEPS6_SG_NS0_5tupleIJNSA_16discard_iteratorINSA_11use_defaultEEESK_EEENSH_IJSG_SG_EEES6_PlJ7is_evenIsEEEE10hipError_tPvRmT3_T4_T5_T6_T7_T9_mT8_P12ihipStream_tbDpT10_ENKUlT_T0_E_clISt17integral_constantIbLb0EES19_EEDaS14_S15_EUlS14_E_NS1_11comp_targetILNS1_3genE2ELNS1_11target_archE906ELNS1_3gpuE6ELNS1_3repE0EEENS1_30default_config_static_selectorELNS0_4arch9wavefront6targetE1EEEvT1_
                                        ; -- End function
	.section	.AMDGPU.csdata,"",@progbits
; Kernel info:
; codeLenInByte = 0
; NumSgprs: 4
; NumVgprs: 0
; NumAgprs: 0
; TotalNumVgprs: 0
; ScratchSize: 0
; MemoryBound: 0
; FloatMode: 240
; IeeeMode: 1
; LDSByteSize: 0 bytes/workgroup (compile time only)
; SGPRBlocks: 0
; VGPRBlocks: 0
; NumSGPRsForWavesPerEU: 4
; NumVGPRsForWavesPerEU: 1
; AccumOffset: 4
; Occupancy: 8
; WaveLimiterHint : 0
; COMPUTE_PGM_RSRC2:SCRATCH_EN: 0
; COMPUTE_PGM_RSRC2:USER_SGPR: 6
; COMPUTE_PGM_RSRC2:TRAP_HANDLER: 0
; COMPUTE_PGM_RSRC2:TGID_X_EN: 1
; COMPUTE_PGM_RSRC2:TGID_Y_EN: 0
; COMPUTE_PGM_RSRC2:TGID_Z_EN: 0
; COMPUTE_PGM_RSRC2:TIDIG_COMP_CNT: 0
; COMPUTE_PGM_RSRC3_GFX90A:ACCUM_OFFSET: 0
; COMPUTE_PGM_RSRC3_GFX90A:TG_SPLIT: 0
	.section	.text._ZN7rocprim17ROCPRIM_400000_NS6detail17trampoline_kernelINS0_14default_configENS1_25partition_config_selectorILNS1_17partition_subalgoE0EsNS0_10empty_typeEbEEZZNS1_14partition_implILS5_0ELb0ES3_jN6thrust23THRUST_200600_302600_NS6detail15normal_iteratorINSA_10device_ptrIsEEEEPS6_SG_NS0_5tupleIJNSA_16discard_iteratorINSA_11use_defaultEEESK_EEENSH_IJSG_SG_EEES6_PlJ7is_evenIsEEEE10hipError_tPvRmT3_T4_T5_T6_T7_T9_mT8_P12ihipStream_tbDpT10_ENKUlT_T0_E_clISt17integral_constantIbLb0EES19_EEDaS14_S15_EUlS14_E_NS1_11comp_targetILNS1_3genE10ELNS1_11target_archE1200ELNS1_3gpuE4ELNS1_3repE0EEENS1_30default_config_static_selectorELNS0_4arch9wavefront6targetE1EEEvT1_,"axG",@progbits,_ZN7rocprim17ROCPRIM_400000_NS6detail17trampoline_kernelINS0_14default_configENS1_25partition_config_selectorILNS1_17partition_subalgoE0EsNS0_10empty_typeEbEEZZNS1_14partition_implILS5_0ELb0ES3_jN6thrust23THRUST_200600_302600_NS6detail15normal_iteratorINSA_10device_ptrIsEEEEPS6_SG_NS0_5tupleIJNSA_16discard_iteratorINSA_11use_defaultEEESK_EEENSH_IJSG_SG_EEES6_PlJ7is_evenIsEEEE10hipError_tPvRmT3_T4_T5_T6_T7_T9_mT8_P12ihipStream_tbDpT10_ENKUlT_T0_E_clISt17integral_constantIbLb0EES19_EEDaS14_S15_EUlS14_E_NS1_11comp_targetILNS1_3genE10ELNS1_11target_archE1200ELNS1_3gpuE4ELNS1_3repE0EEENS1_30default_config_static_selectorELNS0_4arch9wavefront6targetE1EEEvT1_,comdat
	.protected	_ZN7rocprim17ROCPRIM_400000_NS6detail17trampoline_kernelINS0_14default_configENS1_25partition_config_selectorILNS1_17partition_subalgoE0EsNS0_10empty_typeEbEEZZNS1_14partition_implILS5_0ELb0ES3_jN6thrust23THRUST_200600_302600_NS6detail15normal_iteratorINSA_10device_ptrIsEEEEPS6_SG_NS0_5tupleIJNSA_16discard_iteratorINSA_11use_defaultEEESK_EEENSH_IJSG_SG_EEES6_PlJ7is_evenIsEEEE10hipError_tPvRmT3_T4_T5_T6_T7_T9_mT8_P12ihipStream_tbDpT10_ENKUlT_T0_E_clISt17integral_constantIbLb0EES19_EEDaS14_S15_EUlS14_E_NS1_11comp_targetILNS1_3genE10ELNS1_11target_archE1200ELNS1_3gpuE4ELNS1_3repE0EEENS1_30default_config_static_selectorELNS0_4arch9wavefront6targetE1EEEvT1_ ; -- Begin function _ZN7rocprim17ROCPRIM_400000_NS6detail17trampoline_kernelINS0_14default_configENS1_25partition_config_selectorILNS1_17partition_subalgoE0EsNS0_10empty_typeEbEEZZNS1_14partition_implILS5_0ELb0ES3_jN6thrust23THRUST_200600_302600_NS6detail15normal_iteratorINSA_10device_ptrIsEEEEPS6_SG_NS0_5tupleIJNSA_16discard_iteratorINSA_11use_defaultEEESK_EEENSH_IJSG_SG_EEES6_PlJ7is_evenIsEEEE10hipError_tPvRmT3_T4_T5_T6_T7_T9_mT8_P12ihipStream_tbDpT10_ENKUlT_T0_E_clISt17integral_constantIbLb0EES19_EEDaS14_S15_EUlS14_E_NS1_11comp_targetILNS1_3genE10ELNS1_11target_archE1200ELNS1_3gpuE4ELNS1_3repE0EEENS1_30default_config_static_selectorELNS0_4arch9wavefront6targetE1EEEvT1_
	.globl	_ZN7rocprim17ROCPRIM_400000_NS6detail17trampoline_kernelINS0_14default_configENS1_25partition_config_selectorILNS1_17partition_subalgoE0EsNS0_10empty_typeEbEEZZNS1_14partition_implILS5_0ELb0ES3_jN6thrust23THRUST_200600_302600_NS6detail15normal_iteratorINSA_10device_ptrIsEEEEPS6_SG_NS0_5tupleIJNSA_16discard_iteratorINSA_11use_defaultEEESK_EEENSH_IJSG_SG_EEES6_PlJ7is_evenIsEEEE10hipError_tPvRmT3_T4_T5_T6_T7_T9_mT8_P12ihipStream_tbDpT10_ENKUlT_T0_E_clISt17integral_constantIbLb0EES19_EEDaS14_S15_EUlS14_E_NS1_11comp_targetILNS1_3genE10ELNS1_11target_archE1200ELNS1_3gpuE4ELNS1_3repE0EEENS1_30default_config_static_selectorELNS0_4arch9wavefront6targetE1EEEvT1_
	.p2align	8
	.type	_ZN7rocprim17ROCPRIM_400000_NS6detail17trampoline_kernelINS0_14default_configENS1_25partition_config_selectorILNS1_17partition_subalgoE0EsNS0_10empty_typeEbEEZZNS1_14partition_implILS5_0ELb0ES3_jN6thrust23THRUST_200600_302600_NS6detail15normal_iteratorINSA_10device_ptrIsEEEEPS6_SG_NS0_5tupleIJNSA_16discard_iteratorINSA_11use_defaultEEESK_EEENSH_IJSG_SG_EEES6_PlJ7is_evenIsEEEE10hipError_tPvRmT3_T4_T5_T6_T7_T9_mT8_P12ihipStream_tbDpT10_ENKUlT_T0_E_clISt17integral_constantIbLb0EES19_EEDaS14_S15_EUlS14_E_NS1_11comp_targetILNS1_3genE10ELNS1_11target_archE1200ELNS1_3gpuE4ELNS1_3repE0EEENS1_30default_config_static_selectorELNS0_4arch9wavefront6targetE1EEEvT1_,@function
_ZN7rocprim17ROCPRIM_400000_NS6detail17trampoline_kernelINS0_14default_configENS1_25partition_config_selectorILNS1_17partition_subalgoE0EsNS0_10empty_typeEbEEZZNS1_14partition_implILS5_0ELb0ES3_jN6thrust23THRUST_200600_302600_NS6detail15normal_iteratorINSA_10device_ptrIsEEEEPS6_SG_NS0_5tupleIJNSA_16discard_iteratorINSA_11use_defaultEEESK_EEENSH_IJSG_SG_EEES6_PlJ7is_evenIsEEEE10hipError_tPvRmT3_T4_T5_T6_T7_T9_mT8_P12ihipStream_tbDpT10_ENKUlT_T0_E_clISt17integral_constantIbLb0EES19_EEDaS14_S15_EUlS14_E_NS1_11comp_targetILNS1_3genE10ELNS1_11target_archE1200ELNS1_3gpuE4ELNS1_3repE0EEENS1_30default_config_static_selectorELNS0_4arch9wavefront6targetE1EEEvT1_: ; @_ZN7rocprim17ROCPRIM_400000_NS6detail17trampoline_kernelINS0_14default_configENS1_25partition_config_selectorILNS1_17partition_subalgoE0EsNS0_10empty_typeEbEEZZNS1_14partition_implILS5_0ELb0ES3_jN6thrust23THRUST_200600_302600_NS6detail15normal_iteratorINSA_10device_ptrIsEEEEPS6_SG_NS0_5tupleIJNSA_16discard_iteratorINSA_11use_defaultEEESK_EEENSH_IJSG_SG_EEES6_PlJ7is_evenIsEEEE10hipError_tPvRmT3_T4_T5_T6_T7_T9_mT8_P12ihipStream_tbDpT10_ENKUlT_T0_E_clISt17integral_constantIbLb0EES19_EEDaS14_S15_EUlS14_E_NS1_11comp_targetILNS1_3genE10ELNS1_11target_archE1200ELNS1_3gpuE4ELNS1_3repE0EEENS1_30default_config_static_selectorELNS0_4arch9wavefront6targetE1EEEvT1_
; %bb.0:
	.section	.rodata,"a",@progbits
	.p2align	6, 0x0
	.amdhsa_kernel _ZN7rocprim17ROCPRIM_400000_NS6detail17trampoline_kernelINS0_14default_configENS1_25partition_config_selectorILNS1_17partition_subalgoE0EsNS0_10empty_typeEbEEZZNS1_14partition_implILS5_0ELb0ES3_jN6thrust23THRUST_200600_302600_NS6detail15normal_iteratorINSA_10device_ptrIsEEEEPS6_SG_NS0_5tupleIJNSA_16discard_iteratorINSA_11use_defaultEEESK_EEENSH_IJSG_SG_EEES6_PlJ7is_evenIsEEEE10hipError_tPvRmT3_T4_T5_T6_T7_T9_mT8_P12ihipStream_tbDpT10_ENKUlT_T0_E_clISt17integral_constantIbLb0EES19_EEDaS14_S15_EUlS14_E_NS1_11comp_targetILNS1_3genE10ELNS1_11target_archE1200ELNS1_3gpuE4ELNS1_3repE0EEENS1_30default_config_static_selectorELNS0_4arch9wavefront6targetE1EEEvT1_
		.amdhsa_group_segment_fixed_size 0
		.amdhsa_private_segment_fixed_size 0
		.amdhsa_kernarg_size 136
		.amdhsa_user_sgpr_count 6
		.amdhsa_user_sgpr_private_segment_buffer 1
		.amdhsa_user_sgpr_dispatch_ptr 0
		.amdhsa_user_sgpr_queue_ptr 0
		.amdhsa_user_sgpr_kernarg_segment_ptr 1
		.amdhsa_user_sgpr_dispatch_id 0
		.amdhsa_user_sgpr_flat_scratch_init 0
		.amdhsa_user_sgpr_kernarg_preload_length 0
		.amdhsa_user_sgpr_kernarg_preload_offset 0
		.amdhsa_user_sgpr_private_segment_size 0
		.amdhsa_uses_dynamic_stack 0
		.amdhsa_system_sgpr_private_segment_wavefront_offset 0
		.amdhsa_system_sgpr_workgroup_id_x 1
		.amdhsa_system_sgpr_workgroup_id_y 0
		.amdhsa_system_sgpr_workgroup_id_z 0
		.amdhsa_system_sgpr_workgroup_info 0
		.amdhsa_system_vgpr_workitem_id 0
		.amdhsa_next_free_vgpr 1
		.amdhsa_next_free_sgpr 0
		.amdhsa_accum_offset 4
		.amdhsa_reserve_vcc 0
		.amdhsa_reserve_flat_scratch 0
		.amdhsa_float_round_mode_32 0
		.amdhsa_float_round_mode_16_64 0
		.amdhsa_float_denorm_mode_32 3
		.amdhsa_float_denorm_mode_16_64 3
		.amdhsa_dx10_clamp 1
		.amdhsa_ieee_mode 1
		.amdhsa_fp16_overflow 0
		.amdhsa_tg_split 0
		.amdhsa_exception_fp_ieee_invalid_op 0
		.amdhsa_exception_fp_denorm_src 0
		.amdhsa_exception_fp_ieee_div_zero 0
		.amdhsa_exception_fp_ieee_overflow 0
		.amdhsa_exception_fp_ieee_underflow 0
		.amdhsa_exception_fp_ieee_inexact 0
		.amdhsa_exception_int_div_zero 0
	.end_amdhsa_kernel
	.section	.text._ZN7rocprim17ROCPRIM_400000_NS6detail17trampoline_kernelINS0_14default_configENS1_25partition_config_selectorILNS1_17partition_subalgoE0EsNS0_10empty_typeEbEEZZNS1_14partition_implILS5_0ELb0ES3_jN6thrust23THRUST_200600_302600_NS6detail15normal_iteratorINSA_10device_ptrIsEEEEPS6_SG_NS0_5tupleIJNSA_16discard_iteratorINSA_11use_defaultEEESK_EEENSH_IJSG_SG_EEES6_PlJ7is_evenIsEEEE10hipError_tPvRmT3_T4_T5_T6_T7_T9_mT8_P12ihipStream_tbDpT10_ENKUlT_T0_E_clISt17integral_constantIbLb0EES19_EEDaS14_S15_EUlS14_E_NS1_11comp_targetILNS1_3genE10ELNS1_11target_archE1200ELNS1_3gpuE4ELNS1_3repE0EEENS1_30default_config_static_selectorELNS0_4arch9wavefront6targetE1EEEvT1_,"axG",@progbits,_ZN7rocprim17ROCPRIM_400000_NS6detail17trampoline_kernelINS0_14default_configENS1_25partition_config_selectorILNS1_17partition_subalgoE0EsNS0_10empty_typeEbEEZZNS1_14partition_implILS5_0ELb0ES3_jN6thrust23THRUST_200600_302600_NS6detail15normal_iteratorINSA_10device_ptrIsEEEEPS6_SG_NS0_5tupleIJNSA_16discard_iteratorINSA_11use_defaultEEESK_EEENSH_IJSG_SG_EEES6_PlJ7is_evenIsEEEE10hipError_tPvRmT3_T4_T5_T6_T7_T9_mT8_P12ihipStream_tbDpT10_ENKUlT_T0_E_clISt17integral_constantIbLb0EES19_EEDaS14_S15_EUlS14_E_NS1_11comp_targetILNS1_3genE10ELNS1_11target_archE1200ELNS1_3gpuE4ELNS1_3repE0EEENS1_30default_config_static_selectorELNS0_4arch9wavefront6targetE1EEEvT1_,comdat
.Lfunc_end2784:
	.size	_ZN7rocprim17ROCPRIM_400000_NS6detail17trampoline_kernelINS0_14default_configENS1_25partition_config_selectorILNS1_17partition_subalgoE0EsNS0_10empty_typeEbEEZZNS1_14partition_implILS5_0ELb0ES3_jN6thrust23THRUST_200600_302600_NS6detail15normal_iteratorINSA_10device_ptrIsEEEEPS6_SG_NS0_5tupleIJNSA_16discard_iteratorINSA_11use_defaultEEESK_EEENSH_IJSG_SG_EEES6_PlJ7is_evenIsEEEE10hipError_tPvRmT3_T4_T5_T6_T7_T9_mT8_P12ihipStream_tbDpT10_ENKUlT_T0_E_clISt17integral_constantIbLb0EES19_EEDaS14_S15_EUlS14_E_NS1_11comp_targetILNS1_3genE10ELNS1_11target_archE1200ELNS1_3gpuE4ELNS1_3repE0EEENS1_30default_config_static_selectorELNS0_4arch9wavefront6targetE1EEEvT1_, .Lfunc_end2784-_ZN7rocprim17ROCPRIM_400000_NS6detail17trampoline_kernelINS0_14default_configENS1_25partition_config_selectorILNS1_17partition_subalgoE0EsNS0_10empty_typeEbEEZZNS1_14partition_implILS5_0ELb0ES3_jN6thrust23THRUST_200600_302600_NS6detail15normal_iteratorINSA_10device_ptrIsEEEEPS6_SG_NS0_5tupleIJNSA_16discard_iteratorINSA_11use_defaultEEESK_EEENSH_IJSG_SG_EEES6_PlJ7is_evenIsEEEE10hipError_tPvRmT3_T4_T5_T6_T7_T9_mT8_P12ihipStream_tbDpT10_ENKUlT_T0_E_clISt17integral_constantIbLb0EES19_EEDaS14_S15_EUlS14_E_NS1_11comp_targetILNS1_3genE10ELNS1_11target_archE1200ELNS1_3gpuE4ELNS1_3repE0EEENS1_30default_config_static_selectorELNS0_4arch9wavefront6targetE1EEEvT1_
                                        ; -- End function
	.section	.AMDGPU.csdata,"",@progbits
; Kernel info:
; codeLenInByte = 0
; NumSgprs: 4
; NumVgprs: 0
; NumAgprs: 0
; TotalNumVgprs: 0
; ScratchSize: 0
; MemoryBound: 0
; FloatMode: 240
; IeeeMode: 1
; LDSByteSize: 0 bytes/workgroup (compile time only)
; SGPRBlocks: 0
; VGPRBlocks: 0
; NumSGPRsForWavesPerEU: 4
; NumVGPRsForWavesPerEU: 1
; AccumOffset: 4
; Occupancy: 8
; WaveLimiterHint : 0
; COMPUTE_PGM_RSRC2:SCRATCH_EN: 0
; COMPUTE_PGM_RSRC2:USER_SGPR: 6
; COMPUTE_PGM_RSRC2:TRAP_HANDLER: 0
; COMPUTE_PGM_RSRC2:TGID_X_EN: 1
; COMPUTE_PGM_RSRC2:TGID_Y_EN: 0
; COMPUTE_PGM_RSRC2:TGID_Z_EN: 0
; COMPUTE_PGM_RSRC2:TIDIG_COMP_CNT: 0
; COMPUTE_PGM_RSRC3_GFX90A:ACCUM_OFFSET: 0
; COMPUTE_PGM_RSRC3_GFX90A:TG_SPLIT: 0
	.section	.text._ZN7rocprim17ROCPRIM_400000_NS6detail17trampoline_kernelINS0_14default_configENS1_25partition_config_selectorILNS1_17partition_subalgoE0EsNS0_10empty_typeEbEEZZNS1_14partition_implILS5_0ELb0ES3_jN6thrust23THRUST_200600_302600_NS6detail15normal_iteratorINSA_10device_ptrIsEEEEPS6_SG_NS0_5tupleIJNSA_16discard_iteratorINSA_11use_defaultEEESK_EEENSH_IJSG_SG_EEES6_PlJ7is_evenIsEEEE10hipError_tPvRmT3_T4_T5_T6_T7_T9_mT8_P12ihipStream_tbDpT10_ENKUlT_T0_E_clISt17integral_constantIbLb0EES19_EEDaS14_S15_EUlS14_E_NS1_11comp_targetILNS1_3genE9ELNS1_11target_archE1100ELNS1_3gpuE3ELNS1_3repE0EEENS1_30default_config_static_selectorELNS0_4arch9wavefront6targetE1EEEvT1_,"axG",@progbits,_ZN7rocprim17ROCPRIM_400000_NS6detail17trampoline_kernelINS0_14default_configENS1_25partition_config_selectorILNS1_17partition_subalgoE0EsNS0_10empty_typeEbEEZZNS1_14partition_implILS5_0ELb0ES3_jN6thrust23THRUST_200600_302600_NS6detail15normal_iteratorINSA_10device_ptrIsEEEEPS6_SG_NS0_5tupleIJNSA_16discard_iteratorINSA_11use_defaultEEESK_EEENSH_IJSG_SG_EEES6_PlJ7is_evenIsEEEE10hipError_tPvRmT3_T4_T5_T6_T7_T9_mT8_P12ihipStream_tbDpT10_ENKUlT_T0_E_clISt17integral_constantIbLb0EES19_EEDaS14_S15_EUlS14_E_NS1_11comp_targetILNS1_3genE9ELNS1_11target_archE1100ELNS1_3gpuE3ELNS1_3repE0EEENS1_30default_config_static_selectorELNS0_4arch9wavefront6targetE1EEEvT1_,comdat
	.protected	_ZN7rocprim17ROCPRIM_400000_NS6detail17trampoline_kernelINS0_14default_configENS1_25partition_config_selectorILNS1_17partition_subalgoE0EsNS0_10empty_typeEbEEZZNS1_14partition_implILS5_0ELb0ES3_jN6thrust23THRUST_200600_302600_NS6detail15normal_iteratorINSA_10device_ptrIsEEEEPS6_SG_NS0_5tupleIJNSA_16discard_iteratorINSA_11use_defaultEEESK_EEENSH_IJSG_SG_EEES6_PlJ7is_evenIsEEEE10hipError_tPvRmT3_T4_T5_T6_T7_T9_mT8_P12ihipStream_tbDpT10_ENKUlT_T0_E_clISt17integral_constantIbLb0EES19_EEDaS14_S15_EUlS14_E_NS1_11comp_targetILNS1_3genE9ELNS1_11target_archE1100ELNS1_3gpuE3ELNS1_3repE0EEENS1_30default_config_static_selectorELNS0_4arch9wavefront6targetE1EEEvT1_ ; -- Begin function _ZN7rocprim17ROCPRIM_400000_NS6detail17trampoline_kernelINS0_14default_configENS1_25partition_config_selectorILNS1_17partition_subalgoE0EsNS0_10empty_typeEbEEZZNS1_14partition_implILS5_0ELb0ES3_jN6thrust23THRUST_200600_302600_NS6detail15normal_iteratorINSA_10device_ptrIsEEEEPS6_SG_NS0_5tupleIJNSA_16discard_iteratorINSA_11use_defaultEEESK_EEENSH_IJSG_SG_EEES6_PlJ7is_evenIsEEEE10hipError_tPvRmT3_T4_T5_T6_T7_T9_mT8_P12ihipStream_tbDpT10_ENKUlT_T0_E_clISt17integral_constantIbLb0EES19_EEDaS14_S15_EUlS14_E_NS1_11comp_targetILNS1_3genE9ELNS1_11target_archE1100ELNS1_3gpuE3ELNS1_3repE0EEENS1_30default_config_static_selectorELNS0_4arch9wavefront6targetE1EEEvT1_
	.globl	_ZN7rocprim17ROCPRIM_400000_NS6detail17trampoline_kernelINS0_14default_configENS1_25partition_config_selectorILNS1_17partition_subalgoE0EsNS0_10empty_typeEbEEZZNS1_14partition_implILS5_0ELb0ES3_jN6thrust23THRUST_200600_302600_NS6detail15normal_iteratorINSA_10device_ptrIsEEEEPS6_SG_NS0_5tupleIJNSA_16discard_iteratorINSA_11use_defaultEEESK_EEENSH_IJSG_SG_EEES6_PlJ7is_evenIsEEEE10hipError_tPvRmT3_T4_T5_T6_T7_T9_mT8_P12ihipStream_tbDpT10_ENKUlT_T0_E_clISt17integral_constantIbLb0EES19_EEDaS14_S15_EUlS14_E_NS1_11comp_targetILNS1_3genE9ELNS1_11target_archE1100ELNS1_3gpuE3ELNS1_3repE0EEENS1_30default_config_static_selectorELNS0_4arch9wavefront6targetE1EEEvT1_
	.p2align	8
	.type	_ZN7rocprim17ROCPRIM_400000_NS6detail17trampoline_kernelINS0_14default_configENS1_25partition_config_selectorILNS1_17partition_subalgoE0EsNS0_10empty_typeEbEEZZNS1_14partition_implILS5_0ELb0ES3_jN6thrust23THRUST_200600_302600_NS6detail15normal_iteratorINSA_10device_ptrIsEEEEPS6_SG_NS0_5tupleIJNSA_16discard_iteratorINSA_11use_defaultEEESK_EEENSH_IJSG_SG_EEES6_PlJ7is_evenIsEEEE10hipError_tPvRmT3_T4_T5_T6_T7_T9_mT8_P12ihipStream_tbDpT10_ENKUlT_T0_E_clISt17integral_constantIbLb0EES19_EEDaS14_S15_EUlS14_E_NS1_11comp_targetILNS1_3genE9ELNS1_11target_archE1100ELNS1_3gpuE3ELNS1_3repE0EEENS1_30default_config_static_selectorELNS0_4arch9wavefront6targetE1EEEvT1_,@function
_ZN7rocprim17ROCPRIM_400000_NS6detail17trampoline_kernelINS0_14default_configENS1_25partition_config_selectorILNS1_17partition_subalgoE0EsNS0_10empty_typeEbEEZZNS1_14partition_implILS5_0ELb0ES3_jN6thrust23THRUST_200600_302600_NS6detail15normal_iteratorINSA_10device_ptrIsEEEEPS6_SG_NS0_5tupleIJNSA_16discard_iteratorINSA_11use_defaultEEESK_EEENSH_IJSG_SG_EEES6_PlJ7is_evenIsEEEE10hipError_tPvRmT3_T4_T5_T6_T7_T9_mT8_P12ihipStream_tbDpT10_ENKUlT_T0_E_clISt17integral_constantIbLb0EES19_EEDaS14_S15_EUlS14_E_NS1_11comp_targetILNS1_3genE9ELNS1_11target_archE1100ELNS1_3gpuE3ELNS1_3repE0EEENS1_30default_config_static_selectorELNS0_4arch9wavefront6targetE1EEEvT1_: ; @_ZN7rocprim17ROCPRIM_400000_NS6detail17trampoline_kernelINS0_14default_configENS1_25partition_config_selectorILNS1_17partition_subalgoE0EsNS0_10empty_typeEbEEZZNS1_14partition_implILS5_0ELb0ES3_jN6thrust23THRUST_200600_302600_NS6detail15normal_iteratorINSA_10device_ptrIsEEEEPS6_SG_NS0_5tupleIJNSA_16discard_iteratorINSA_11use_defaultEEESK_EEENSH_IJSG_SG_EEES6_PlJ7is_evenIsEEEE10hipError_tPvRmT3_T4_T5_T6_T7_T9_mT8_P12ihipStream_tbDpT10_ENKUlT_T0_E_clISt17integral_constantIbLb0EES19_EEDaS14_S15_EUlS14_E_NS1_11comp_targetILNS1_3genE9ELNS1_11target_archE1100ELNS1_3gpuE3ELNS1_3repE0EEENS1_30default_config_static_selectorELNS0_4arch9wavefront6targetE1EEEvT1_
; %bb.0:
	.section	.rodata,"a",@progbits
	.p2align	6, 0x0
	.amdhsa_kernel _ZN7rocprim17ROCPRIM_400000_NS6detail17trampoline_kernelINS0_14default_configENS1_25partition_config_selectorILNS1_17partition_subalgoE0EsNS0_10empty_typeEbEEZZNS1_14partition_implILS5_0ELb0ES3_jN6thrust23THRUST_200600_302600_NS6detail15normal_iteratorINSA_10device_ptrIsEEEEPS6_SG_NS0_5tupleIJNSA_16discard_iteratorINSA_11use_defaultEEESK_EEENSH_IJSG_SG_EEES6_PlJ7is_evenIsEEEE10hipError_tPvRmT3_T4_T5_T6_T7_T9_mT8_P12ihipStream_tbDpT10_ENKUlT_T0_E_clISt17integral_constantIbLb0EES19_EEDaS14_S15_EUlS14_E_NS1_11comp_targetILNS1_3genE9ELNS1_11target_archE1100ELNS1_3gpuE3ELNS1_3repE0EEENS1_30default_config_static_selectorELNS0_4arch9wavefront6targetE1EEEvT1_
		.amdhsa_group_segment_fixed_size 0
		.amdhsa_private_segment_fixed_size 0
		.amdhsa_kernarg_size 136
		.amdhsa_user_sgpr_count 6
		.amdhsa_user_sgpr_private_segment_buffer 1
		.amdhsa_user_sgpr_dispatch_ptr 0
		.amdhsa_user_sgpr_queue_ptr 0
		.amdhsa_user_sgpr_kernarg_segment_ptr 1
		.amdhsa_user_sgpr_dispatch_id 0
		.amdhsa_user_sgpr_flat_scratch_init 0
		.amdhsa_user_sgpr_kernarg_preload_length 0
		.amdhsa_user_sgpr_kernarg_preload_offset 0
		.amdhsa_user_sgpr_private_segment_size 0
		.amdhsa_uses_dynamic_stack 0
		.amdhsa_system_sgpr_private_segment_wavefront_offset 0
		.amdhsa_system_sgpr_workgroup_id_x 1
		.amdhsa_system_sgpr_workgroup_id_y 0
		.amdhsa_system_sgpr_workgroup_id_z 0
		.amdhsa_system_sgpr_workgroup_info 0
		.amdhsa_system_vgpr_workitem_id 0
		.amdhsa_next_free_vgpr 1
		.amdhsa_next_free_sgpr 0
		.amdhsa_accum_offset 4
		.amdhsa_reserve_vcc 0
		.amdhsa_reserve_flat_scratch 0
		.amdhsa_float_round_mode_32 0
		.amdhsa_float_round_mode_16_64 0
		.amdhsa_float_denorm_mode_32 3
		.amdhsa_float_denorm_mode_16_64 3
		.amdhsa_dx10_clamp 1
		.amdhsa_ieee_mode 1
		.amdhsa_fp16_overflow 0
		.amdhsa_tg_split 0
		.amdhsa_exception_fp_ieee_invalid_op 0
		.amdhsa_exception_fp_denorm_src 0
		.amdhsa_exception_fp_ieee_div_zero 0
		.amdhsa_exception_fp_ieee_overflow 0
		.amdhsa_exception_fp_ieee_underflow 0
		.amdhsa_exception_fp_ieee_inexact 0
		.amdhsa_exception_int_div_zero 0
	.end_amdhsa_kernel
	.section	.text._ZN7rocprim17ROCPRIM_400000_NS6detail17trampoline_kernelINS0_14default_configENS1_25partition_config_selectorILNS1_17partition_subalgoE0EsNS0_10empty_typeEbEEZZNS1_14partition_implILS5_0ELb0ES3_jN6thrust23THRUST_200600_302600_NS6detail15normal_iteratorINSA_10device_ptrIsEEEEPS6_SG_NS0_5tupleIJNSA_16discard_iteratorINSA_11use_defaultEEESK_EEENSH_IJSG_SG_EEES6_PlJ7is_evenIsEEEE10hipError_tPvRmT3_T4_T5_T6_T7_T9_mT8_P12ihipStream_tbDpT10_ENKUlT_T0_E_clISt17integral_constantIbLb0EES19_EEDaS14_S15_EUlS14_E_NS1_11comp_targetILNS1_3genE9ELNS1_11target_archE1100ELNS1_3gpuE3ELNS1_3repE0EEENS1_30default_config_static_selectorELNS0_4arch9wavefront6targetE1EEEvT1_,"axG",@progbits,_ZN7rocprim17ROCPRIM_400000_NS6detail17trampoline_kernelINS0_14default_configENS1_25partition_config_selectorILNS1_17partition_subalgoE0EsNS0_10empty_typeEbEEZZNS1_14partition_implILS5_0ELb0ES3_jN6thrust23THRUST_200600_302600_NS6detail15normal_iteratorINSA_10device_ptrIsEEEEPS6_SG_NS0_5tupleIJNSA_16discard_iteratorINSA_11use_defaultEEESK_EEENSH_IJSG_SG_EEES6_PlJ7is_evenIsEEEE10hipError_tPvRmT3_T4_T5_T6_T7_T9_mT8_P12ihipStream_tbDpT10_ENKUlT_T0_E_clISt17integral_constantIbLb0EES19_EEDaS14_S15_EUlS14_E_NS1_11comp_targetILNS1_3genE9ELNS1_11target_archE1100ELNS1_3gpuE3ELNS1_3repE0EEENS1_30default_config_static_selectorELNS0_4arch9wavefront6targetE1EEEvT1_,comdat
.Lfunc_end2785:
	.size	_ZN7rocprim17ROCPRIM_400000_NS6detail17trampoline_kernelINS0_14default_configENS1_25partition_config_selectorILNS1_17partition_subalgoE0EsNS0_10empty_typeEbEEZZNS1_14partition_implILS5_0ELb0ES3_jN6thrust23THRUST_200600_302600_NS6detail15normal_iteratorINSA_10device_ptrIsEEEEPS6_SG_NS0_5tupleIJNSA_16discard_iteratorINSA_11use_defaultEEESK_EEENSH_IJSG_SG_EEES6_PlJ7is_evenIsEEEE10hipError_tPvRmT3_T4_T5_T6_T7_T9_mT8_P12ihipStream_tbDpT10_ENKUlT_T0_E_clISt17integral_constantIbLb0EES19_EEDaS14_S15_EUlS14_E_NS1_11comp_targetILNS1_3genE9ELNS1_11target_archE1100ELNS1_3gpuE3ELNS1_3repE0EEENS1_30default_config_static_selectorELNS0_4arch9wavefront6targetE1EEEvT1_, .Lfunc_end2785-_ZN7rocprim17ROCPRIM_400000_NS6detail17trampoline_kernelINS0_14default_configENS1_25partition_config_selectorILNS1_17partition_subalgoE0EsNS0_10empty_typeEbEEZZNS1_14partition_implILS5_0ELb0ES3_jN6thrust23THRUST_200600_302600_NS6detail15normal_iteratorINSA_10device_ptrIsEEEEPS6_SG_NS0_5tupleIJNSA_16discard_iteratorINSA_11use_defaultEEESK_EEENSH_IJSG_SG_EEES6_PlJ7is_evenIsEEEE10hipError_tPvRmT3_T4_T5_T6_T7_T9_mT8_P12ihipStream_tbDpT10_ENKUlT_T0_E_clISt17integral_constantIbLb0EES19_EEDaS14_S15_EUlS14_E_NS1_11comp_targetILNS1_3genE9ELNS1_11target_archE1100ELNS1_3gpuE3ELNS1_3repE0EEENS1_30default_config_static_selectorELNS0_4arch9wavefront6targetE1EEEvT1_
                                        ; -- End function
	.section	.AMDGPU.csdata,"",@progbits
; Kernel info:
; codeLenInByte = 0
; NumSgprs: 4
; NumVgprs: 0
; NumAgprs: 0
; TotalNumVgprs: 0
; ScratchSize: 0
; MemoryBound: 0
; FloatMode: 240
; IeeeMode: 1
; LDSByteSize: 0 bytes/workgroup (compile time only)
; SGPRBlocks: 0
; VGPRBlocks: 0
; NumSGPRsForWavesPerEU: 4
; NumVGPRsForWavesPerEU: 1
; AccumOffset: 4
; Occupancy: 8
; WaveLimiterHint : 0
; COMPUTE_PGM_RSRC2:SCRATCH_EN: 0
; COMPUTE_PGM_RSRC2:USER_SGPR: 6
; COMPUTE_PGM_RSRC2:TRAP_HANDLER: 0
; COMPUTE_PGM_RSRC2:TGID_X_EN: 1
; COMPUTE_PGM_RSRC2:TGID_Y_EN: 0
; COMPUTE_PGM_RSRC2:TGID_Z_EN: 0
; COMPUTE_PGM_RSRC2:TIDIG_COMP_CNT: 0
; COMPUTE_PGM_RSRC3_GFX90A:ACCUM_OFFSET: 0
; COMPUTE_PGM_RSRC3_GFX90A:TG_SPLIT: 0
	.section	.text._ZN7rocprim17ROCPRIM_400000_NS6detail17trampoline_kernelINS0_14default_configENS1_25partition_config_selectorILNS1_17partition_subalgoE0EsNS0_10empty_typeEbEEZZNS1_14partition_implILS5_0ELb0ES3_jN6thrust23THRUST_200600_302600_NS6detail15normal_iteratorINSA_10device_ptrIsEEEEPS6_SG_NS0_5tupleIJNSA_16discard_iteratorINSA_11use_defaultEEESK_EEENSH_IJSG_SG_EEES6_PlJ7is_evenIsEEEE10hipError_tPvRmT3_T4_T5_T6_T7_T9_mT8_P12ihipStream_tbDpT10_ENKUlT_T0_E_clISt17integral_constantIbLb0EES19_EEDaS14_S15_EUlS14_E_NS1_11comp_targetILNS1_3genE8ELNS1_11target_archE1030ELNS1_3gpuE2ELNS1_3repE0EEENS1_30default_config_static_selectorELNS0_4arch9wavefront6targetE1EEEvT1_,"axG",@progbits,_ZN7rocprim17ROCPRIM_400000_NS6detail17trampoline_kernelINS0_14default_configENS1_25partition_config_selectorILNS1_17partition_subalgoE0EsNS0_10empty_typeEbEEZZNS1_14partition_implILS5_0ELb0ES3_jN6thrust23THRUST_200600_302600_NS6detail15normal_iteratorINSA_10device_ptrIsEEEEPS6_SG_NS0_5tupleIJNSA_16discard_iteratorINSA_11use_defaultEEESK_EEENSH_IJSG_SG_EEES6_PlJ7is_evenIsEEEE10hipError_tPvRmT3_T4_T5_T6_T7_T9_mT8_P12ihipStream_tbDpT10_ENKUlT_T0_E_clISt17integral_constantIbLb0EES19_EEDaS14_S15_EUlS14_E_NS1_11comp_targetILNS1_3genE8ELNS1_11target_archE1030ELNS1_3gpuE2ELNS1_3repE0EEENS1_30default_config_static_selectorELNS0_4arch9wavefront6targetE1EEEvT1_,comdat
	.protected	_ZN7rocprim17ROCPRIM_400000_NS6detail17trampoline_kernelINS0_14default_configENS1_25partition_config_selectorILNS1_17partition_subalgoE0EsNS0_10empty_typeEbEEZZNS1_14partition_implILS5_0ELb0ES3_jN6thrust23THRUST_200600_302600_NS6detail15normal_iteratorINSA_10device_ptrIsEEEEPS6_SG_NS0_5tupleIJNSA_16discard_iteratorINSA_11use_defaultEEESK_EEENSH_IJSG_SG_EEES6_PlJ7is_evenIsEEEE10hipError_tPvRmT3_T4_T5_T6_T7_T9_mT8_P12ihipStream_tbDpT10_ENKUlT_T0_E_clISt17integral_constantIbLb0EES19_EEDaS14_S15_EUlS14_E_NS1_11comp_targetILNS1_3genE8ELNS1_11target_archE1030ELNS1_3gpuE2ELNS1_3repE0EEENS1_30default_config_static_selectorELNS0_4arch9wavefront6targetE1EEEvT1_ ; -- Begin function _ZN7rocprim17ROCPRIM_400000_NS6detail17trampoline_kernelINS0_14default_configENS1_25partition_config_selectorILNS1_17partition_subalgoE0EsNS0_10empty_typeEbEEZZNS1_14partition_implILS5_0ELb0ES3_jN6thrust23THRUST_200600_302600_NS6detail15normal_iteratorINSA_10device_ptrIsEEEEPS6_SG_NS0_5tupleIJNSA_16discard_iteratorINSA_11use_defaultEEESK_EEENSH_IJSG_SG_EEES6_PlJ7is_evenIsEEEE10hipError_tPvRmT3_T4_T5_T6_T7_T9_mT8_P12ihipStream_tbDpT10_ENKUlT_T0_E_clISt17integral_constantIbLb0EES19_EEDaS14_S15_EUlS14_E_NS1_11comp_targetILNS1_3genE8ELNS1_11target_archE1030ELNS1_3gpuE2ELNS1_3repE0EEENS1_30default_config_static_selectorELNS0_4arch9wavefront6targetE1EEEvT1_
	.globl	_ZN7rocprim17ROCPRIM_400000_NS6detail17trampoline_kernelINS0_14default_configENS1_25partition_config_selectorILNS1_17partition_subalgoE0EsNS0_10empty_typeEbEEZZNS1_14partition_implILS5_0ELb0ES3_jN6thrust23THRUST_200600_302600_NS6detail15normal_iteratorINSA_10device_ptrIsEEEEPS6_SG_NS0_5tupleIJNSA_16discard_iteratorINSA_11use_defaultEEESK_EEENSH_IJSG_SG_EEES6_PlJ7is_evenIsEEEE10hipError_tPvRmT3_T4_T5_T6_T7_T9_mT8_P12ihipStream_tbDpT10_ENKUlT_T0_E_clISt17integral_constantIbLb0EES19_EEDaS14_S15_EUlS14_E_NS1_11comp_targetILNS1_3genE8ELNS1_11target_archE1030ELNS1_3gpuE2ELNS1_3repE0EEENS1_30default_config_static_selectorELNS0_4arch9wavefront6targetE1EEEvT1_
	.p2align	8
	.type	_ZN7rocprim17ROCPRIM_400000_NS6detail17trampoline_kernelINS0_14default_configENS1_25partition_config_selectorILNS1_17partition_subalgoE0EsNS0_10empty_typeEbEEZZNS1_14partition_implILS5_0ELb0ES3_jN6thrust23THRUST_200600_302600_NS6detail15normal_iteratorINSA_10device_ptrIsEEEEPS6_SG_NS0_5tupleIJNSA_16discard_iteratorINSA_11use_defaultEEESK_EEENSH_IJSG_SG_EEES6_PlJ7is_evenIsEEEE10hipError_tPvRmT3_T4_T5_T6_T7_T9_mT8_P12ihipStream_tbDpT10_ENKUlT_T0_E_clISt17integral_constantIbLb0EES19_EEDaS14_S15_EUlS14_E_NS1_11comp_targetILNS1_3genE8ELNS1_11target_archE1030ELNS1_3gpuE2ELNS1_3repE0EEENS1_30default_config_static_selectorELNS0_4arch9wavefront6targetE1EEEvT1_,@function
_ZN7rocprim17ROCPRIM_400000_NS6detail17trampoline_kernelINS0_14default_configENS1_25partition_config_selectorILNS1_17partition_subalgoE0EsNS0_10empty_typeEbEEZZNS1_14partition_implILS5_0ELb0ES3_jN6thrust23THRUST_200600_302600_NS6detail15normal_iteratorINSA_10device_ptrIsEEEEPS6_SG_NS0_5tupleIJNSA_16discard_iteratorINSA_11use_defaultEEESK_EEENSH_IJSG_SG_EEES6_PlJ7is_evenIsEEEE10hipError_tPvRmT3_T4_T5_T6_T7_T9_mT8_P12ihipStream_tbDpT10_ENKUlT_T0_E_clISt17integral_constantIbLb0EES19_EEDaS14_S15_EUlS14_E_NS1_11comp_targetILNS1_3genE8ELNS1_11target_archE1030ELNS1_3gpuE2ELNS1_3repE0EEENS1_30default_config_static_selectorELNS0_4arch9wavefront6targetE1EEEvT1_: ; @_ZN7rocprim17ROCPRIM_400000_NS6detail17trampoline_kernelINS0_14default_configENS1_25partition_config_selectorILNS1_17partition_subalgoE0EsNS0_10empty_typeEbEEZZNS1_14partition_implILS5_0ELb0ES3_jN6thrust23THRUST_200600_302600_NS6detail15normal_iteratorINSA_10device_ptrIsEEEEPS6_SG_NS0_5tupleIJNSA_16discard_iteratorINSA_11use_defaultEEESK_EEENSH_IJSG_SG_EEES6_PlJ7is_evenIsEEEE10hipError_tPvRmT3_T4_T5_T6_T7_T9_mT8_P12ihipStream_tbDpT10_ENKUlT_T0_E_clISt17integral_constantIbLb0EES19_EEDaS14_S15_EUlS14_E_NS1_11comp_targetILNS1_3genE8ELNS1_11target_archE1030ELNS1_3gpuE2ELNS1_3repE0EEENS1_30default_config_static_selectorELNS0_4arch9wavefront6targetE1EEEvT1_
; %bb.0:
	.section	.rodata,"a",@progbits
	.p2align	6, 0x0
	.amdhsa_kernel _ZN7rocprim17ROCPRIM_400000_NS6detail17trampoline_kernelINS0_14default_configENS1_25partition_config_selectorILNS1_17partition_subalgoE0EsNS0_10empty_typeEbEEZZNS1_14partition_implILS5_0ELb0ES3_jN6thrust23THRUST_200600_302600_NS6detail15normal_iteratorINSA_10device_ptrIsEEEEPS6_SG_NS0_5tupleIJNSA_16discard_iteratorINSA_11use_defaultEEESK_EEENSH_IJSG_SG_EEES6_PlJ7is_evenIsEEEE10hipError_tPvRmT3_T4_T5_T6_T7_T9_mT8_P12ihipStream_tbDpT10_ENKUlT_T0_E_clISt17integral_constantIbLb0EES19_EEDaS14_S15_EUlS14_E_NS1_11comp_targetILNS1_3genE8ELNS1_11target_archE1030ELNS1_3gpuE2ELNS1_3repE0EEENS1_30default_config_static_selectorELNS0_4arch9wavefront6targetE1EEEvT1_
		.amdhsa_group_segment_fixed_size 0
		.amdhsa_private_segment_fixed_size 0
		.amdhsa_kernarg_size 136
		.amdhsa_user_sgpr_count 6
		.amdhsa_user_sgpr_private_segment_buffer 1
		.amdhsa_user_sgpr_dispatch_ptr 0
		.amdhsa_user_sgpr_queue_ptr 0
		.amdhsa_user_sgpr_kernarg_segment_ptr 1
		.amdhsa_user_sgpr_dispatch_id 0
		.amdhsa_user_sgpr_flat_scratch_init 0
		.amdhsa_user_sgpr_kernarg_preload_length 0
		.amdhsa_user_sgpr_kernarg_preload_offset 0
		.amdhsa_user_sgpr_private_segment_size 0
		.amdhsa_uses_dynamic_stack 0
		.amdhsa_system_sgpr_private_segment_wavefront_offset 0
		.amdhsa_system_sgpr_workgroup_id_x 1
		.amdhsa_system_sgpr_workgroup_id_y 0
		.amdhsa_system_sgpr_workgroup_id_z 0
		.amdhsa_system_sgpr_workgroup_info 0
		.amdhsa_system_vgpr_workitem_id 0
		.amdhsa_next_free_vgpr 1
		.amdhsa_next_free_sgpr 0
		.amdhsa_accum_offset 4
		.amdhsa_reserve_vcc 0
		.amdhsa_reserve_flat_scratch 0
		.amdhsa_float_round_mode_32 0
		.amdhsa_float_round_mode_16_64 0
		.amdhsa_float_denorm_mode_32 3
		.amdhsa_float_denorm_mode_16_64 3
		.amdhsa_dx10_clamp 1
		.amdhsa_ieee_mode 1
		.amdhsa_fp16_overflow 0
		.amdhsa_tg_split 0
		.amdhsa_exception_fp_ieee_invalid_op 0
		.amdhsa_exception_fp_denorm_src 0
		.amdhsa_exception_fp_ieee_div_zero 0
		.amdhsa_exception_fp_ieee_overflow 0
		.amdhsa_exception_fp_ieee_underflow 0
		.amdhsa_exception_fp_ieee_inexact 0
		.amdhsa_exception_int_div_zero 0
	.end_amdhsa_kernel
	.section	.text._ZN7rocprim17ROCPRIM_400000_NS6detail17trampoline_kernelINS0_14default_configENS1_25partition_config_selectorILNS1_17partition_subalgoE0EsNS0_10empty_typeEbEEZZNS1_14partition_implILS5_0ELb0ES3_jN6thrust23THRUST_200600_302600_NS6detail15normal_iteratorINSA_10device_ptrIsEEEEPS6_SG_NS0_5tupleIJNSA_16discard_iteratorINSA_11use_defaultEEESK_EEENSH_IJSG_SG_EEES6_PlJ7is_evenIsEEEE10hipError_tPvRmT3_T4_T5_T6_T7_T9_mT8_P12ihipStream_tbDpT10_ENKUlT_T0_E_clISt17integral_constantIbLb0EES19_EEDaS14_S15_EUlS14_E_NS1_11comp_targetILNS1_3genE8ELNS1_11target_archE1030ELNS1_3gpuE2ELNS1_3repE0EEENS1_30default_config_static_selectorELNS0_4arch9wavefront6targetE1EEEvT1_,"axG",@progbits,_ZN7rocprim17ROCPRIM_400000_NS6detail17trampoline_kernelINS0_14default_configENS1_25partition_config_selectorILNS1_17partition_subalgoE0EsNS0_10empty_typeEbEEZZNS1_14partition_implILS5_0ELb0ES3_jN6thrust23THRUST_200600_302600_NS6detail15normal_iteratorINSA_10device_ptrIsEEEEPS6_SG_NS0_5tupleIJNSA_16discard_iteratorINSA_11use_defaultEEESK_EEENSH_IJSG_SG_EEES6_PlJ7is_evenIsEEEE10hipError_tPvRmT3_T4_T5_T6_T7_T9_mT8_P12ihipStream_tbDpT10_ENKUlT_T0_E_clISt17integral_constantIbLb0EES19_EEDaS14_S15_EUlS14_E_NS1_11comp_targetILNS1_3genE8ELNS1_11target_archE1030ELNS1_3gpuE2ELNS1_3repE0EEENS1_30default_config_static_selectorELNS0_4arch9wavefront6targetE1EEEvT1_,comdat
.Lfunc_end2786:
	.size	_ZN7rocprim17ROCPRIM_400000_NS6detail17trampoline_kernelINS0_14default_configENS1_25partition_config_selectorILNS1_17partition_subalgoE0EsNS0_10empty_typeEbEEZZNS1_14partition_implILS5_0ELb0ES3_jN6thrust23THRUST_200600_302600_NS6detail15normal_iteratorINSA_10device_ptrIsEEEEPS6_SG_NS0_5tupleIJNSA_16discard_iteratorINSA_11use_defaultEEESK_EEENSH_IJSG_SG_EEES6_PlJ7is_evenIsEEEE10hipError_tPvRmT3_T4_T5_T6_T7_T9_mT8_P12ihipStream_tbDpT10_ENKUlT_T0_E_clISt17integral_constantIbLb0EES19_EEDaS14_S15_EUlS14_E_NS1_11comp_targetILNS1_3genE8ELNS1_11target_archE1030ELNS1_3gpuE2ELNS1_3repE0EEENS1_30default_config_static_selectorELNS0_4arch9wavefront6targetE1EEEvT1_, .Lfunc_end2786-_ZN7rocprim17ROCPRIM_400000_NS6detail17trampoline_kernelINS0_14default_configENS1_25partition_config_selectorILNS1_17partition_subalgoE0EsNS0_10empty_typeEbEEZZNS1_14partition_implILS5_0ELb0ES3_jN6thrust23THRUST_200600_302600_NS6detail15normal_iteratorINSA_10device_ptrIsEEEEPS6_SG_NS0_5tupleIJNSA_16discard_iteratorINSA_11use_defaultEEESK_EEENSH_IJSG_SG_EEES6_PlJ7is_evenIsEEEE10hipError_tPvRmT3_T4_T5_T6_T7_T9_mT8_P12ihipStream_tbDpT10_ENKUlT_T0_E_clISt17integral_constantIbLb0EES19_EEDaS14_S15_EUlS14_E_NS1_11comp_targetILNS1_3genE8ELNS1_11target_archE1030ELNS1_3gpuE2ELNS1_3repE0EEENS1_30default_config_static_selectorELNS0_4arch9wavefront6targetE1EEEvT1_
                                        ; -- End function
	.section	.AMDGPU.csdata,"",@progbits
; Kernel info:
; codeLenInByte = 0
; NumSgprs: 4
; NumVgprs: 0
; NumAgprs: 0
; TotalNumVgprs: 0
; ScratchSize: 0
; MemoryBound: 0
; FloatMode: 240
; IeeeMode: 1
; LDSByteSize: 0 bytes/workgroup (compile time only)
; SGPRBlocks: 0
; VGPRBlocks: 0
; NumSGPRsForWavesPerEU: 4
; NumVGPRsForWavesPerEU: 1
; AccumOffset: 4
; Occupancy: 8
; WaveLimiterHint : 0
; COMPUTE_PGM_RSRC2:SCRATCH_EN: 0
; COMPUTE_PGM_RSRC2:USER_SGPR: 6
; COMPUTE_PGM_RSRC2:TRAP_HANDLER: 0
; COMPUTE_PGM_RSRC2:TGID_X_EN: 1
; COMPUTE_PGM_RSRC2:TGID_Y_EN: 0
; COMPUTE_PGM_RSRC2:TGID_Z_EN: 0
; COMPUTE_PGM_RSRC2:TIDIG_COMP_CNT: 0
; COMPUTE_PGM_RSRC3_GFX90A:ACCUM_OFFSET: 0
; COMPUTE_PGM_RSRC3_GFX90A:TG_SPLIT: 0
	.section	.text._ZN7rocprim17ROCPRIM_400000_NS6detail17trampoline_kernelINS0_14default_configENS1_25partition_config_selectorILNS1_17partition_subalgoE0EsNS0_10empty_typeEbEEZZNS1_14partition_implILS5_0ELb0ES3_jN6thrust23THRUST_200600_302600_NS6detail15normal_iteratorINSA_10device_ptrIsEEEEPS6_SG_NS0_5tupleIJNSA_16discard_iteratorINSA_11use_defaultEEESK_EEENSH_IJSG_SG_EEES6_PlJ7is_evenIsEEEE10hipError_tPvRmT3_T4_T5_T6_T7_T9_mT8_P12ihipStream_tbDpT10_ENKUlT_T0_E_clISt17integral_constantIbLb1EES19_EEDaS14_S15_EUlS14_E_NS1_11comp_targetILNS1_3genE0ELNS1_11target_archE4294967295ELNS1_3gpuE0ELNS1_3repE0EEENS1_30default_config_static_selectorELNS0_4arch9wavefront6targetE1EEEvT1_,"axG",@progbits,_ZN7rocprim17ROCPRIM_400000_NS6detail17trampoline_kernelINS0_14default_configENS1_25partition_config_selectorILNS1_17partition_subalgoE0EsNS0_10empty_typeEbEEZZNS1_14partition_implILS5_0ELb0ES3_jN6thrust23THRUST_200600_302600_NS6detail15normal_iteratorINSA_10device_ptrIsEEEEPS6_SG_NS0_5tupleIJNSA_16discard_iteratorINSA_11use_defaultEEESK_EEENSH_IJSG_SG_EEES6_PlJ7is_evenIsEEEE10hipError_tPvRmT3_T4_T5_T6_T7_T9_mT8_P12ihipStream_tbDpT10_ENKUlT_T0_E_clISt17integral_constantIbLb1EES19_EEDaS14_S15_EUlS14_E_NS1_11comp_targetILNS1_3genE0ELNS1_11target_archE4294967295ELNS1_3gpuE0ELNS1_3repE0EEENS1_30default_config_static_selectorELNS0_4arch9wavefront6targetE1EEEvT1_,comdat
	.protected	_ZN7rocprim17ROCPRIM_400000_NS6detail17trampoline_kernelINS0_14default_configENS1_25partition_config_selectorILNS1_17partition_subalgoE0EsNS0_10empty_typeEbEEZZNS1_14partition_implILS5_0ELb0ES3_jN6thrust23THRUST_200600_302600_NS6detail15normal_iteratorINSA_10device_ptrIsEEEEPS6_SG_NS0_5tupleIJNSA_16discard_iteratorINSA_11use_defaultEEESK_EEENSH_IJSG_SG_EEES6_PlJ7is_evenIsEEEE10hipError_tPvRmT3_T4_T5_T6_T7_T9_mT8_P12ihipStream_tbDpT10_ENKUlT_T0_E_clISt17integral_constantIbLb1EES19_EEDaS14_S15_EUlS14_E_NS1_11comp_targetILNS1_3genE0ELNS1_11target_archE4294967295ELNS1_3gpuE0ELNS1_3repE0EEENS1_30default_config_static_selectorELNS0_4arch9wavefront6targetE1EEEvT1_ ; -- Begin function _ZN7rocprim17ROCPRIM_400000_NS6detail17trampoline_kernelINS0_14default_configENS1_25partition_config_selectorILNS1_17partition_subalgoE0EsNS0_10empty_typeEbEEZZNS1_14partition_implILS5_0ELb0ES3_jN6thrust23THRUST_200600_302600_NS6detail15normal_iteratorINSA_10device_ptrIsEEEEPS6_SG_NS0_5tupleIJNSA_16discard_iteratorINSA_11use_defaultEEESK_EEENSH_IJSG_SG_EEES6_PlJ7is_evenIsEEEE10hipError_tPvRmT3_T4_T5_T6_T7_T9_mT8_P12ihipStream_tbDpT10_ENKUlT_T0_E_clISt17integral_constantIbLb1EES19_EEDaS14_S15_EUlS14_E_NS1_11comp_targetILNS1_3genE0ELNS1_11target_archE4294967295ELNS1_3gpuE0ELNS1_3repE0EEENS1_30default_config_static_selectorELNS0_4arch9wavefront6targetE1EEEvT1_
	.globl	_ZN7rocprim17ROCPRIM_400000_NS6detail17trampoline_kernelINS0_14default_configENS1_25partition_config_selectorILNS1_17partition_subalgoE0EsNS0_10empty_typeEbEEZZNS1_14partition_implILS5_0ELb0ES3_jN6thrust23THRUST_200600_302600_NS6detail15normal_iteratorINSA_10device_ptrIsEEEEPS6_SG_NS0_5tupleIJNSA_16discard_iteratorINSA_11use_defaultEEESK_EEENSH_IJSG_SG_EEES6_PlJ7is_evenIsEEEE10hipError_tPvRmT3_T4_T5_T6_T7_T9_mT8_P12ihipStream_tbDpT10_ENKUlT_T0_E_clISt17integral_constantIbLb1EES19_EEDaS14_S15_EUlS14_E_NS1_11comp_targetILNS1_3genE0ELNS1_11target_archE4294967295ELNS1_3gpuE0ELNS1_3repE0EEENS1_30default_config_static_selectorELNS0_4arch9wavefront6targetE1EEEvT1_
	.p2align	8
	.type	_ZN7rocprim17ROCPRIM_400000_NS6detail17trampoline_kernelINS0_14default_configENS1_25partition_config_selectorILNS1_17partition_subalgoE0EsNS0_10empty_typeEbEEZZNS1_14partition_implILS5_0ELb0ES3_jN6thrust23THRUST_200600_302600_NS6detail15normal_iteratorINSA_10device_ptrIsEEEEPS6_SG_NS0_5tupleIJNSA_16discard_iteratorINSA_11use_defaultEEESK_EEENSH_IJSG_SG_EEES6_PlJ7is_evenIsEEEE10hipError_tPvRmT3_T4_T5_T6_T7_T9_mT8_P12ihipStream_tbDpT10_ENKUlT_T0_E_clISt17integral_constantIbLb1EES19_EEDaS14_S15_EUlS14_E_NS1_11comp_targetILNS1_3genE0ELNS1_11target_archE4294967295ELNS1_3gpuE0ELNS1_3repE0EEENS1_30default_config_static_selectorELNS0_4arch9wavefront6targetE1EEEvT1_,@function
_ZN7rocprim17ROCPRIM_400000_NS6detail17trampoline_kernelINS0_14default_configENS1_25partition_config_selectorILNS1_17partition_subalgoE0EsNS0_10empty_typeEbEEZZNS1_14partition_implILS5_0ELb0ES3_jN6thrust23THRUST_200600_302600_NS6detail15normal_iteratorINSA_10device_ptrIsEEEEPS6_SG_NS0_5tupleIJNSA_16discard_iteratorINSA_11use_defaultEEESK_EEENSH_IJSG_SG_EEES6_PlJ7is_evenIsEEEE10hipError_tPvRmT3_T4_T5_T6_T7_T9_mT8_P12ihipStream_tbDpT10_ENKUlT_T0_E_clISt17integral_constantIbLb1EES19_EEDaS14_S15_EUlS14_E_NS1_11comp_targetILNS1_3genE0ELNS1_11target_archE4294967295ELNS1_3gpuE0ELNS1_3repE0EEENS1_30default_config_static_selectorELNS0_4arch9wavefront6targetE1EEEvT1_: ; @_ZN7rocprim17ROCPRIM_400000_NS6detail17trampoline_kernelINS0_14default_configENS1_25partition_config_selectorILNS1_17partition_subalgoE0EsNS0_10empty_typeEbEEZZNS1_14partition_implILS5_0ELb0ES3_jN6thrust23THRUST_200600_302600_NS6detail15normal_iteratorINSA_10device_ptrIsEEEEPS6_SG_NS0_5tupleIJNSA_16discard_iteratorINSA_11use_defaultEEESK_EEENSH_IJSG_SG_EEES6_PlJ7is_evenIsEEEE10hipError_tPvRmT3_T4_T5_T6_T7_T9_mT8_P12ihipStream_tbDpT10_ENKUlT_T0_E_clISt17integral_constantIbLb1EES19_EEDaS14_S15_EUlS14_E_NS1_11comp_targetILNS1_3genE0ELNS1_11target_archE4294967295ELNS1_3gpuE0ELNS1_3repE0EEENS1_30default_config_static_selectorELNS0_4arch9wavefront6targetE1EEEvT1_
; %bb.0:
	.section	.rodata,"a",@progbits
	.p2align	6, 0x0
	.amdhsa_kernel _ZN7rocprim17ROCPRIM_400000_NS6detail17trampoline_kernelINS0_14default_configENS1_25partition_config_selectorILNS1_17partition_subalgoE0EsNS0_10empty_typeEbEEZZNS1_14partition_implILS5_0ELb0ES3_jN6thrust23THRUST_200600_302600_NS6detail15normal_iteratorINSA_10device_ptrIsEEEEPS6_SG_NS0_5tupleIJNSA_16discard_iteratorINSA_11use_defaultEEESK_EEENSH_IJSG_SG_EEES6_PlJ7is_evenIsEEEE10hipError_tPvRmT3_T4_T5_T6_T7_T9_mT8_P12ihipStream_tbDpT10_ENKUlT_T0_E_clISt17integral_constantIbLb1EES19_EEDaS14_S15_EUlS14_E_NS1_11comp_targetILNS1_3genE0ELNS1_11target_archE4294967295ELNS1_3gpuE0ELNS1_3repE0EEENS1_30default_config_static_selectorELNS0_4arch9wavefront6targetE1EEEvT1_
		.amdhsa_group_segment_fixed_size 0
		.amdhsa_private_segment_fixed_size 0
		.amdhsa_kernarg_size 152
		.amdhsa_user_sgpr_count 6
		.amdhsa_user_sgpr_private_segment_buffer 1
		.amdhsa_user_sgpr_dispatch_ptr 0
		.amdhsa_user_sgpr_queue_ptr 0
		.amdhsa_user_sgpr_kernarg_segment_ptr 1
		.amdhsa_user_sgpr_dispatch_id 0
		.amdhsa_user_sgpr_flat_scratch_init 0
		.amdhsa_user_sgpr_kernarg_preload_length 0
		.amdhsa_user_sgpr_kernarg_preload_offset 0
		.amdhsa_user_sgpr_private_segment_size 0
		.amdhsa_uses_dynamic_stack 0
		.amdhsa_system_sgpr_private_segment_wavefront_offset 0
		.amdhsa_system_sgpr_workgroup_id_x 1
		.amdhsa_system_sgpr_workgroup_id_y 0
		.amdhsa_system_sgpr_workgroup_id_z 0
		.amdhsa_system_sgpr_workgroup_info 0
		.amdhsa_system_vgpr_workitem_id 0
		.amdhsa_next_free_vgpr 1
		.amdhsa_next_free_sgpr 0
		.amdhsa_accum_offset 4
		.amdhsa_reserve_vcc 0
		.amdhsa_reserve_flat_scratch 0
		.amdhsa_float_round_mode_32 0
		.amdhsa_float_round_mode_16_64 0
		.amdhsa_float_denorm_mode_32 3
		.amdhsa_float_denorm_mode_16_64 3
		.amdhsa_dx10_clamp 1
		.amdhsa_ieee_mode 1
		.amdhsa_fp16_overflow 0
		.amdhsa_tg_split 0
		.amdhsa_exception_fp_ieee_invalid_op 0
		.amdhsa_exception_fp_denorm_src 0
		.amdhsa_exception_fp_ieee_div_zero 0
		.amdhsa_exception_fp_ieee_overflow 0
		.amdhsa_exception_fp_ieee_underflow 0
		.amdhsa_exception_fp_ieee_inexact 0
		.amdhsa_exception_int_div_zero 0
	.end_amdhsa_kernel
	.section	.text._ZN7rocprim17ROCPRIM_400000_NS6detail17trampoline_kernelINS0_14default_configENS1_25partition_config_selectorILNS1_17partition_subalgoE0EsNS0_10empty_typeEbEEZZNS1_14partition_implILS5_0ELb0ES3_jN6thrust23THRUST_200600_302600_NS6detail15normal_iteratorINSA_10device_ptrIsEEEEPS6_SG_NS0_5tupleIJNSA_16discard_iteratorINSA_11use_defaultEEESK_EEENSH_IJSG_SG_EEES6_PlJ7is_evenIsEEEE10hipError_tPvRmT3_T4_T5_T6_T7_T9_mT8_P12ihipStream_tbDpT10_ENKUlT_T0_E_clISt17integral_constantIbLb1EES19_EEDaS14_S15_EUlS14_E_NS1_11comp_targetILNS1_3genE0ELNS1_11target_archE4294967295ELNS1_3gpuE0ELNS1_3repE0EEENS1_30default_config_static_selectorELNS0_4arch9wavefront6targetE1EEEvT1_,"axG",@progbits,_ZN7rocprim17ROCPRIM_400000_NS6detail17trampoline_kernelINS0_14default_configENS1_25partition_config_selectorILNS1_17partition_subalgoE0EsNS0_10empty_typeEbEEZZNS1_14partition_implILS5_0ELb0ES3_jN6thrust23THRUST_200600_302600_NS6detail15normal_iteratorINSA_10device_ptrIsEEEEPS6_SG_NS0_5tupleIJNSA_16discard_iteratorINSA_11use_defaultEEESK_EEENSH_IJSG_SG_EEES6_PlJ7is_evenIsEEEE10hipError_tPvRmT3_T4_T5_T6_T7_T9_mT8_P12ihipStream_tbDpT10_ENKUlT_T0_E_clISt17integral_constantIbLb1EES19_EEDaS14_S15_EUlS14_E_NS1_11comp_targetILNS1_3genE0ELNS1_11target_archE4294967295ELNS1_3gpuE0ELNS1_3repE0EEENS1_30default_config_static_selectorELNS0_4arch9wavefront6targetE1EEEvT1_,comdat
.Lfunc_end2787:
	.size	_ZN7rocprim17ROCPRIM_400000_NS6detail17trampoline_kernelINS0_14default_configENS1_25partition_config_selectorILNS1_17partition_subalgoE0EsNS0_10empty_typeEbEEZZNS1_14partition_implILS5_0ELb0ES3_jN6thrust23THRUST_200600_302600_NS6detail15normal_iteratorINSA_10device_ptrIsEEEEPS6_SG_NS0_5tupleIJNSA_16discard_iteratorINSA_11use_defaultEEESK_EEENSH_IJSG_SG_EEES6_PlJ7is_evenIsEEEE10hipError_tPvRmT3_T4_T5_T6_T7_T9_mT8_P12ihipStream_tbDpT10_ENKUlT_T0_E_clISt17integral_constantIbLb1EES19_EEDaS14_S15_EUlS14_E_NS1_11comp_targetILNS1_3genE0ELNS1_11target_archE4294967295ELNS1_3gpuE0ELNS1_3repE0EEENS1_30default_config_static_selectorELNS0_4arch9wavefront6targetE1EEEvT1_, .Lfunc_end2787-_ZN7rocprim17ROCPRIM_400000_NS6detail17trampoline_kernelINS0_14default_configENS1_25partition_config_selectorILNS1_17partition_subalgoE0EsNS0_10empty_typeEbEEZZNS1_14partition_implILS5_0ELb0ES3_jN6thrust23THRUST_200600_302600_NS6detail15normal_iteratorINSA_10device_ptrIsEEEEPS6_SG_NS0_5tupleIJNSA_16discard_iteratorINSA_11use_defaultEEESK_EEENSH_IJSG_SG_EEES6_PlJ7is_evenIsEEEE10hipError_tPvRmT3_T4_T5_T6_T7_T9_mT8_P12ihipStream_tbDpT10_ENKUlT_T0_E_clISt17integral_constantIbLb1EES19_EEDaS14_S15_EUlS14_E_NS1_11comp_targetILNS1_3genE0ELNS1_11target_archE4294967295ELNS1_3gpuE0ELNS1_3repE0EEENS1_30default_config_static_selectorELNS0_4arch9wavefront6targetE1EEEvT1_
                                        ; -- End function
	.section	.AMDGPU.csdata,"",@progbits
; Kernel info:
; codeLenInByte = 0
; NumSgprs: 4
; NumVgprs: 0
; NumAgprs: 0
; TotalNumVgprs: 0
; ScratchSize: 0
; MemoryBound: 0
; FloatMode: 240
; IeeeMode: 1
; LDSByteSize: 0 bytes/workgroup (compile time only)
; SGPRBlocks: 0
; VGPRBlocks: 0
; NumSGPRsForWavesPerEU: 4
; NumVGPRsForWavesPerEU: 1
; AccumOffset: 4
; Occupancy: 8
; WaveLimiterHint : 0
; COMPUTE_PGM_RSRC2:SCRATCH_EN: 0
; COMPUTE_PGM_RSRC2:USER_SGPR: 6
; COMPUTE_PGM_RSRC2:TRAP_HANDLER: 0
; COMPUTE_PGM_RSRC2:TGID_X_EN: 1
; COMPUTE_PGM_RSRC2:TGID_Y_EN: 0
; COMPUTE_PGM_RSRC2:TGID_Z_EN: 0
; COMPUTE_PGM_RSRC2:TIDIG_COMP_CNT: 0
; COMPUTE_PGM_RSRC3_GFX90A:ACCUM_OFFSET: 0
; COMPUTE_PGM_RSRC3_GFX90A:TG_SPLIT: 0
	.section	.text._ZN7rocprim17ROCPRIM_400000_NS6detail17trampoline_kernelINS0_14default_configENS1_25partition_config_selectorILNS1_17partition_subalgoE0EsNS0_10empty_typeEbEEZZNS1_14partition_implILS5_0ELb0ES3_jN6thrust23THRUST_200600_302600_NS6detail15normal_iteratorINSA_10device_ptrIsEEEEPS6_SG_NS0_5tupleIJNSA_16discard_iteratorINSA_11use_defaultEEESK_EEENSH_IJSG_SG_EEES6_PlJ7is_evenIsEEEE10hipError_tPvRmT3_T4_T5_T6_T7_T9_mT8_P12ihipStream_tbDpT10_ENKUlT_T0_E_clISt17integral_constantIbLb1EES19_EEDaS14_S15_EUlS14_E_NS1_11comp_targetILNS1_3genE5ELNS1_11target_archE942ELNS1_3gpuE9ELNS1_3repE0EEENS1_30default_config_static_selectorELNS0_4arch9wavefront6targetE1EEEvT1_,"axG",@progbits,_ZN7rocprim17ROCPRIM_400000_NS6detail17trampoline_kernelINS0_14default_configENS1_25partition_config_selectorILNS1_17partition_subalgoE0EsNS0_10empty_typeEbEEZZNS1_14partition_implILS5_0ELb0ES3_jN6thrust23THRUST_200600_302600_NS6detail15normal_iteratorINSA_10device_ptrIsEEEEPS6_SG_NS0_5tupleIJNSA_16discard_iteratorINSA_11use_defaultEEESK_EEENSH_IJSG_SG_EEES6_PlJ7is_evenIsEEEE10hipError_tPvRmT3_T4_T5_T6_T7_T9_mT8_P12ihipStream_tbDpT10_ENKUlT_T0_E_clISt17integral_constantIbLb1EES19_EEDaS14_S15_EUlS14_E_NS1_11comp_targetILNS1_3genE5ELNS1_11target_archE942ELNS1_3gpuE9ELNS1_3repE0EEENS1_30default_config_static_selectorELNS0_4arch9wavefront6targetE1EEEvT1_,comdat
	.protected	_ZN7rocprim17ROCPRIM_400000_NS6detail17trampoline_kernelINS0_14default_configENS1_25partition_config_selectorILNS1_17partition_subalgoE0EsNS0_10empty_typeEbEEZZNS1_14partition_implILS5_0ELb0ES3_jN6thrust23THRUST_200600_302600_NS6detail15normal_iteratorINSA_10device_ptrIsEEEEPS6_SG_NS0_5tupleIJNSA_16discard_iteratorINSA_11use_defaultEEESK_EEENSH_IJSG_SG_EEES6_PlJ7is_evenIsEEEE10hipError_tPvRmT3_T4_T5_T6_T7_T9_mT8_P12ihipStream_tbDpT10_ENKUlT_T0_E_clISt17integral_constantIbLb1EES19_EEDaS14_S15_EUlS14_E_NS1_11comp_targetILNS1_3genE5ELNS1_11target_archE942ELNS1_3gpuE9ELNS1_3repE0EEENS1_30default_config_static_selectorELNS0_4arch9wavefront6targetE1EEEvT1_ ; -- Begin function _ZN7rocprim17ROCPRIM_400000_NS6detail17trampoline_kernelINS0_14default_configENS1_25partition_config_selectorILNS1_17partition_subalgoE0EsNS0_10empty_typeEbEEZZNS1_14partition_implILS5_0ELb0ES3_jN6thrust23THRUST_200600_302600_NS6detail15normal_iteratorINSA_10device_ptrIsEEEEPS6_SG_NS0_5tupleIJNSA_16discard_iteratorINSA_11use_defaultEEESK_EEENSH_IJSG_SG_EEES6_PlJ7is_evenIsEEEE10hipError_tPvRmT3_T4_T5_T6_T7_T9_mT8_P12ihipStream_tbDpT10_ENKUlT_T0_E_clISt17integral_constantIbLb1EES19_EEDaS14_S15_EUlS14_E_NS1_11comp_targetILNS1_3genE5ELNS1_11target_archE942ELNS1_3gpuE9ELNS1_3repE0EEENS1_30default_config_static_selectorELNS0_4arch9wavefront6targetE1EEEvT1_
	.globl	_ZN7rocprim17ROCPRIM_400000_NS6detail17trampoline_kernelINS0_14default_configENS1_25partition_config_selectorILNS1_17partition_subalgoE0EsNS0_10empty_typeEbEEZZNS1_14partition_implILS5_0ELb0ES3_jN6thrust23THRUST_200600_302600_NS6detail15normal_iteratorINSA_10device_ptrIsEEEEPS6_SG_NS0_5tupleIJNSA_16discard_iteratorINSA_11use_defaultEEESK_EEENSH_IJSG_SG_EEES6_PlJ7is_evenIsEEEE10hipError_tPvRmT3_T4_T5_T6_T7_T9_mT8_P12ihipStream_tbDpT10_ENKUlT_T0_E_clISt17integral_constantIbLb1EES19_EEDaS14_S15_EUlS14_E_NS1_11comp_targetILNS1_3genE5ELNS1_11target_archE942ELNS1_3gpuE9ELNS1_3repE0EEENS1_30default_config_static_selectorELNS0_4arch9wavefront6targetE1EEEvT1_
	.p2align	8
	.type	_ZN7rocprim17ROCPRIM_400000_NS6detail17trampoline_kernelINS0_14default_configENS1_25partition_config_selectorILNS1_17partition_subalgoE0EsNS0_10empty_typeEbEEZZNS1_14partition_implILS5_0ELb0ES3_jN6thrust23THRUST_200600_302600_NS6detail15normal_iteratorINSA_10device_ptrIsEEEEPS6_SG_NS0_5tupleIJNSA_16discard_iteratorINSA_11use_defaultEEESK_EEENSH_IJSG_SG_EEES6_PlJ7is_evenIsEEEE10hipError_tPvRmT3_T4_T5_T6_T7_T9_mT8_P12ihipStream_tbDpT10_ENKUlT_T0_E_clISt17integral_constantIbLb1EES19_EEDaS14_S15_EUlS14_E_NS1_11comp_targetILNS1_3genE5ELNS1_11target_archE942ELNS1_3gpuE9ELNS1_3repE0EEENS1_30default_config_static_selectorELNS0_4arch9wavefront6targetE1EEEvT1_,@function
_ZN7rocprim17ROCPRIM_400000_NS6detail17trampoline_kernelINS0_14default_configENS1_25partition_config_selectorILNS1_17partition_subalgoE0EsNS0_10empty_typeEbEEZZNS1_14partition_implILS5_0ELb0ES3_jN6thrust23THRUST_200600_302600_NS6detail15normal_iteratorINSA_10device_ptrIsEEEEPS6_SG_NS0_5tupleIJNSA_16discard_iteratorINSA_11use_defaultEEESK_EEENSH_IJSG_SG_EEES6_PlJ7is_evenIsEEEE10hipError_tPvRmT3_T4_T5_T6_T7_T9_mT8_P12ihipStream_tbDpT10_ENKUlT_T0_E_clISt17integral_constantIbLb1EES19_EEDaS14_S15_EUlS14_E_NS1_11comp_targetILNS1_3genE5ELNS1_11target_archE942ELNS1_3gpuE9ELNS1_3repE0EEENS1_30default_config_static_selectorELNS0_4arch9wavefront6targetE1EEEvT1_: ; @_ZN7rocprim17ROCPRIM_400000_NS6detail17trampoline_kernelINS0_14default_configENS1_25partition_config_selectorILNS1_17partition_subalgoE0EsNS0_10empty_typeEbEEZZNS1_14partition_implILS5_0ELb0ES3_jN6thrust23THRUST_200600_302600_NS6detail15normal_iteratorINSA_10device_ptrIsEEEEPS6_SG_NS0_5tupleIJNSA_16discard_iteratorINSA_11use_defaultEEESK_EEENSH_IJSG_SG_EEES6_PlJ7is_evenIsEEEE10hipError_tPvRmT3_T4_T5_T6_T7_T9_mT8_P12ihipStream_tbDpT10_ENKUlT_T0_E_clISt17integral_constantIbLb1EES19_EEDaS14_S15_EUlS14_E_NS1_11comp_targetILNS1_3genE5ELNS1_11target_archE942ELNS1_3gpuE9ELNS1_3repE0EEENS1_30default_config_static_selectorELNS0_4arch9wavefront6targetE1EEEvT1_
; %bb.0:
	.section	.rodata,"a",@progbits
	.p2align	6, 0x0
	.amdhsa_kernel _ZN7rocprim17ROCPRIM_400000_NS6detail17trampoline_kernelINS0_14default_configENS1_25partition_config_selectorILNS1_17partition_subalgoE0EsNS0_10empty_typeEbEEZZNS1_14partition_implILS5_0ELb0ES3_jN6thrust23THRUST_200600_302600_NS6detail15normal_iteratorINSA_10device_ptrIsEEEEPS6_SG_NS0_5tupleIJNSA_16discard_iteratorINSA_11use_defaultEEESK_EEENSH_IJSG_SG_EEES6_PlJ7is_evenIsEEEE10hipError_tPvRmT3_T4_T5_T6_T7_T9_mT8_P12ihipStream_tbDpT10_ENKUlT_T0_E_clISt17integral_constantIbLb1EES19_EEDaS14_S15_EUlS14_E_NS1_11comp_targetILNS1_3genE5ELNS1_11target_archE942ELNS1_3gpuE9ELNS1_3repE0EEENS1_30default_config_static_selectorELNS0_4arch9wavefront6targetE1EEEvT1_
		.amdhsa_group_segment_fixed_size 0
		.amdhsa_private_segment_fixed_size 0
		.amdhsa_kernarg_size 152
		.amdhsa_user_sgpr_count 6
		.amdhsa_user_sgpr_private_segment_buffer 1
		.amdhsa_user_sgpr_dispatch_ptr 0
		.amdhsa_user_sgpr_queue_ptr 0
		.amdhsa_user_sgpr_kernarg_segment_ptr 1
		.amdhsa_user_sgpr_dispatch_id 0
		.amdhsa_user_sgpr_flat_scratch_init 0
		.amdhsa_user_sgpr_kernarg_preload_length 0
		.amdhsa_user_sgpr_kernarg_preload_offset 0
		.amdhsa_user_sgpr_private_segment_size 0
		.amdhsa_uses_dynamic_stack 0
		.amdhsa_system_sgpr_private_segment_wavefront_offset 0
		.amdhsa_system_sgpr_workgroup_id_x 1
		.amdhsa_system_sgpr_workgroup_id_y 0
		.amdhsa_system_sgpr_workgroup_id_z 0
		.amdhsa_system_sgpr_workgroup_info 0
		.amdhsa_system_vgpr_workitem_id 0
		.amdhsa_next_free_vgpr 1
		.amdhsa_next_free_sgpr 0
		.amdhsa_accum_offset 4
		.amdhsa_reserve_vcc 0
		.amdhsa_reserve_flat_scratch 0
		.amdhsa_float_round_mode_32 0
		.amdhsa_float_round_mode_16_64 0
		.amdhsa_float_denorm_mode_32 3
		.amdhsa_float_denorm_mode_16_64 3
		.amdhsa_dx10_clamp 1
		.amdhsa_ieee_mode 1
		.amdhsa_fp16_overflow 0
		.amdhsa_tg_split 0
		.amdhsa_exception_fp_ieee_invalid_op 0
		.amdhsa_exception_fp_denorm_src 0
		.amdhsa_exception_fp_ieee_div_zero 0
		.amdhsa_exception_fp_ieee_overflow 0
		.amdhsa_exception_fp_ieee_underflow 0
		.amdhsa_exception_fp_ieee_inexact 0
		.amdhsa_exception_int_div_zero 0
	.end_amdhsa_kernel
	.section	.text._ZN7rocprim17ROCPRIM_400000_NS6detail17trampoline_kernelINS0_14default_configENS1_25partition_config_selectorILNS1_17partition_subalgoE0EsNS0_10empty_typeEbEEZZNS1_14partition_implILS5_0ELb0ES3_jN6thrust23THRUST_200600_302600_NS6detail15normal_iteratorINSA_10device_ptrIsEEEEPS6_SG_NS0_5tupleIJNSA_16discard_iteratorINSA_11use_defaultEEESK_EEENSH_IJSG_SG_EEES6_PlJ7is_evenIsEEEE10hipError_tPvRmT3_T4_T5_T6_T7_T9_mT8_P12ihipStream_tbDpT10_ENKUlT_T0_E_clISt17integral_constantIbLb1EES19_EEDaS14_S15_EUlS14_E_NS1_11comp_targetILNS1_3genE5ELNS1_11target_archE942ELNS1_3gpuE9ELNS1_3repE0EEENS1_30default_config_static_selectorELNS0_4arch9wavefront6targetE1EEEvT1_,"axG",@progbits,_ZN7rocprim17ROCPRIM_400000_NS6detail17trampoline_kernelINS0_14default_configENS1_25partition_config_selectorILNS1_17partition_subalgoE0EsNS0_10empty_typeEbEEZZNS1_14partition_implILS5_0ELb0ES3_jN6thrust23THRUST_200600_302600_NS6detail15normal_iteratorINSA_10device_ptrIsEEEEPS6_SG_NS0_5tupleIJNSA_16discard_iteratorINSA_11use_defaultEEESK_EEENSH_IJSG_SG_EEES6_PlJ7is_evenIsEEEE10hipError_tPvRmT3_T4_T5_T6_T7_T9_mT8_P12ihipStream_tbDpT10_ENKUlT_T0_E_clISt17integral_constantIbLb1EES19_EEDaS14_S15_EUlS14_E_NS1_11comp_targetILNS1_3genE5ELNS1_11target_archE942ELNS1_3gpuE9ELNS1_3repE0EEENS1_30default_config_static_selectorELNS0_4arch9wavefront6targetE1EEEvT1_,comdat
.Lfunc_end2788:
	.size	_ZN7rocprim17ROCPRIM_400000_NS6detail17trampoline_kernelINS0_14default_configENS1_25partition_config_selectorILNS1_17partition_subalgoE0EsNS0_10empty_typeEbEEZZNS1_14partition_implILS5_0ELb0ES3_jN6thrust23THRUST_200600_302600_NS6detail15normal_iteratorINSA_10device_ptrIsEEEEPS6_SG_NS0_5tupleIJNSA_16discard_iteratorINSA_11use_defaultEEESK_EEENSH_IJSG_SG_EEES6_PlJ7is_evenIsEEEE10hipError_tPvRmT3_T4_T5_T6_T7_T9_mT8_P12ihipStream_tbDpT10_ENKUlT_T0_E_clISt17integral_constantIbLb1EES19_EEDaS14_S15_EUlS14_E_NS1_11comp_targetILNS1_3genE5ELNS1_11target_archE942ELNS1_3gpuE9ELNS1_3repE0EEENS1_30default_config_static_selectorELNS0_4arch9wavefront6targetE1EEEvT1_, .Lfunc_end2788-_ZN7rocprim17ROCPRIM_400000_NS6detail17trampoline_kernelINS0_14default_configENS1_25partition_config_selectorILNS1_17partition_subalgoE0EsNS0_10empty_typeEbEEZZNS1_14partition_implILS5_0ELb0ES3_jN6thrust23THRUST_200600_302600_NS6detail15normal_iteratorINSA_10device_ptrIsEEEEPS6_SG_NS0_5tupleIJNSA_16discard_iteratorINSA_11use_defaultEEESK_EEENSH_IJSG_SG_EEES6_PlJ7is_evenIsEEEE10hipError_tPvRmT3_T4_T5_T6_T7_T9_mT8_P12ihipStream_tbDpT10_ENKUlT_T0_E_clISt17integral_constantIbLb1EES19_EEDaS14_S15_EUlS14_E_NS1_11comp_targetILNS1_3genE5ELNS1_11target_archE942ELNS1_3gpuE9ELNS1_3repE0EEENS1_30default_config_static_selectorELNS0_4arch9wavefront6targetE1EEEvT1_
                                        ; -- End function
	.section	.AMDGPU.csdata,"",@progbits
; Kernel info:
; codeLenInByte = 0
; NumSgprs: 4
; NumVgprs: 0
; NumAgprs: 0
; TotalNumVgprs: 0
; ScratchSize: 0
; MemoryBound: 0
; FloatMode: 240
; IeeeMode: 1
; LDSByteSize: 0 bytes/workgroup (compile time only)
; SGPRBlocks: 0
; VGPRBlocks: 0
; NumSGPRsForWavesPerEU: 4
; NumVGPRsForWavesPerEU: 1
; AccumOffset: 4
; Occupancy: 8
; WaveLimiterHint : 0
; COMPUTE_PGM_RSRC2:SCRATCH_EN: 0
; COMPUTE_PGM_RSRC2:USER_SGPR: 6
; COMPUTE_PGM_RSRC2:TRAP_HANDLER: 0
; COMPUTE_PGM_RSRC2:TGID_X_EN: 1
; COMPUTE_PGM_RSRC2:TGID_Y_EN: 0
; COMPUTE_PGM_RSRC2:TGID_Z_EN: 0
; COMPUTE_PGM_RSRC2:TIDIG_COMP_CNT: 0
; COMPUTE_PGM_RSRC3_GFX90A:ACCUM_OFFSET: 0
; COMPUTE_PGM_RSRC3_GFX90A:TG_SPLIT: 0
	.section	.text._ZN7rocprim17ROCPRIM_400000_NS6detail17trampoline_kernelINS0_14default_configENS1_25partition_config_selectorILNS1_17partition_subalgoE0EsNS0_10empty_typeEbEEZZNS1_14partition_implILS5_0ELb0ES3_jN6thrust23THRUST_200600_302600_NS6detail15normal_iteratorINSA_10device_ptrIsEEEEPS6_SG_NS0_5tupleIJNSA_16discard_iteratorINSA_11use_defaultEEESK_EEENSH_IJSG_SG_EEES6_PlJ7is_evenIsEEEE10hipError_tPvRmT3_T4_T5_T6_T7_T9_mT8_P12ihipStream_tbDpT10_ENKUlT_T0_E_clISt17integral_constantIbLb1EES19_EEDaS14_S15_EUlS14_E_NS1_11comp_targetILNS1_3genE4ELNS1_11target_archE910ELNS1_3gpuE8ELNS1_3repE0EEENS1_30default_config_static_selectorELNS0_4arch9wavefront6targetE1EEEvT1_,"axG",@progbits,_ZN7rocprim17ROCPRIM_400000_NS6detail17trampoline_kernelINS0_14default_configENS1_25partition_config_selectorILNS1_17partition_subalgoE0EsNS0_10empty_typeEbEEZZNS1_14partition_implILS5_0ELb0ES3_jN6thrust23THRUST_200600_302600_NS6detail15normal_iteratorINSA_10device_ptrIsEEEEPS6_SG_NS0_5tupleIJNSA_16discard_iteratorINSA_11use_defaultEEESK_EEENSH_IJSG_SG_EEES6_PlJ7is_evenIsEEEE10hipError_tPvRmT3_T4_T5_T6_T7_T9_mT8_P12ihipStream_tbDpT10_ENKUlT_T0_E_clISt17integral_constantIbLb1EES19_EEDaS14_S15_EUlS14_E_NS1_11comp_targetILNS1_3genE4ELNS1_11target_archE910ELNS1_3gpuE8ELNS1_3repE0EEENS1_30default_config_static_selectorELNS0_4arch9wavefront6targetE1EEEvT1_,comdat
	.protected	_ZN7rocprim17ROCPRIM_400000_NS6detail17trampoline_kernelINS0_14default_configENS1_25partition_config_selectorILNS1_17partition_subalgoE0EsNS0_10empty_typeEbEEZZNS1_14partition_implILS5_0ELb0ES3_jN6thrust23THRUST_200600_302600_NS6detail15normal_iteratorINSA_10device_ptrIsEEEEPS6_SG_NS0_5tupleIJNSA_16discard_iteratorINSA_11use_defaultEEESK_EEENSH_IJSG_SG_EEES6_PlJ7is_evenIsEEEE10hipError_tPvRmT3_T4_T5_T6_T7_T9_mT8_P12ihipStream_tbDpT10_ENKUlT_T0_E_clISt17integral_constantIbLb1EES19_EEDaS14_S15_EUlS14_E_NS1_11comp_targetILNS1_3genE4ELNS1_11target_archE910ELNS1_3gpuE8ELNS1_3repE0EEENS1_30default_config_static_selectorELNS0_4arch9wavefront6targetE1EEEvT1_ ; -- Begin function _ZN7rocprim17ROCPRIM_400000_NS6detail17trampoline_kernelINS0_14default_configENS1_25partition_config_selectorILNS1_17partition_subalgoE0EsNS0_10empty_typeEbEEZZNS1_14partition_implILS5_0ELb0ES3_jN6thrust23THRUST_200600_302600_NS6detail15normal_iteratorINSA_10device_ptrIsEEEEPS6_SG_NS0_5tupleIJNSA_16discard_iteratorINSA_11use_defaultEEESK_EEENSH_IJSG_SG_EEES6_PlJ7is_evenIsEEEE10hipError_tPvRmT3_T4_T5_T6_T7_T9_mT8_P12ihipStream_tbDpT10_ENKUlT_T0_E_clISt17integral_constantIbLb1EES19_EEDaS14_S15_EUlS14_E_NS1_11comp_targetILNS1_3genE4ELNS1_11target_archE910ELNS1_3gpuE8ELNS1_3repE0EEENS1_30default_config_static_selectorELNS0_4arch9wavefront6targetE1EEEvT1_
	.globl	_ZN7rocprim17ROCPRIM_400000_NS6detail17trampoline_kernelINS0_14default_configENS1_25partition_config_selectorILNS1_17partition_subalgoE0EsNS0_10empty_typeEbEEZZNS1_14partition_implILS5_0ELb0ES3_jN6thrust23THRUST_200600_302600_NS6detail15normal_iteratorINSA_10device_ptrIsEEEEPS6_SG_NS0_5tupleIJNSA_16discard_iteratorINSA_11use_defaultEEESK_EEENSH_IJSG_SG_EEES6_PlJ7is_evenIsEEEE10hipError_tPvRmT3_T4_T5_T6_T7_T9_mT8_P12ihipStream_tbDpT10_ENKUlT_T0_E_clISt17integral_constantIbLb1EES19_EEDaS14_S15_EUlS14_E_NS1_11comp_targetILNS1_3genE4ELNS1_11target_archE910ELNS1_3gpuE8ELNS1_3repE0EEENS1_30default_config_static_selectorELNS0_4arch9wavefront6targetE1EEEvT1_
	.p2align	8
	.type	_ZN7rocprim17ROCPRIM_400000_NS6detail17trampoline_kernelINS0_14default_configENS1_25partition_config_selectorILNS1_17partition_subalgoE0EsNS0_10empty_typeEbEEZZNS1_14partition_implILS5_0ELb0ES3_jN6thrust23THRUST_200600_302600_NS6detail15normal_iteratorINSA_10device_ptrIsEEEEPS6_SG_NS0_5tupleIJNSA_16discard_iteratorINSA_11use_defaultEEESK_EEENSH_IJSG_SG_EEES6_PlJ7is_evenIsEEEE10hipError_tPvRmT3_T4_T5_T6_T7_T9_mT8_P12ihipStream_tbDpT10_ENKUlT_T0_E_clISt17integral_constantIbLb1EES19_EEDaS14_S15_EUlS14_E_NS1_11comp_targetILNS1_3genE4ELNS1_11target_archE910ELNS1_3gpuE8ELNS1_3repE0EEENS1_30default_config_static_selectorELNS0_4arch9wavefront6targetE1EEEvT1_,@function
_ZN7rocprim17ROCPRIM_400000_NS6detail17trampoline_kernelINS0_14default_configENS1_25partition_config_selectorILNS1_17partition_subalgoE0EsNS0_10empty_typeEbEEZZNS1_14partition_implILS5_0ELb0ES3_jN6thrust23THRUST_200600_302600_NS6detail15normal_iteratorINSA_10device_ptrIsEEEEPS6_SG_NS0_5tupleIJNSA_16discard_iteratorINSA_11use_defaultEEESK_EEENSH_IJSG_SG_EEES6_PlJ7is_evenIsEEEE10hipError_tPvRmT3_T4_T5_T6_T7_T9_mT8_P12ihipStream_tbDpT10_ENKUlT_T0_E_clISt17integral_constantIbLb1EES19_EEDaS14_S15_EUlS14_E_NS1_11comp_targetILNS1_3genE4ELNS1_11target_archE910ELNS1_3gpuE8ELNS1_3repE0EEENS1_30default_config_static_selectorELNS0_4arch9wavefront6targetE1EEEvT1_: ; @_ZN7rocprim17ROCPRIM_400000_NS6detail17trampoline_kernelINS0_14default_configENS1_25partition_config_selectorILNS1_17partition_subalgoE0EsNS0_10empty_typeEbEEZZNS1_14partition_implILS5_0ELb0ES3_jN6thrust23THRUST_200600_302600_NS6detail15normal_iteratorINSA_10device_ptrIsEEEEPS6_SG_NS0_5tupleIJNSA_16discard_iteratorINSA_11use_defaultEEESK_EEENSH_IJSG_SG_EEES6_PlJ7is_evenIsEEEE10hipError_tPvRmT3_T4_T5_T6_T7_T9_mT8_P12ihipStream_tbDpT10_ENKUlT_T0_E_clISt17integral_constantIbLb1EES19_EEDaS14_S15_EUlS14_E_NS1_11comp_targetILNS1_3genE4ELNS1_11target_archE910ELNS1_3gpuE8ELNS1_3repE0EEENS1_30default_config_static_selectorELNS0_4arch9wavefront6targetE1EEEvT1_
; %bb.0:
	s_load_dwordx2 s[2:3], s[4:5], 0x68
	s_load_dwordx4 s[20:23], s[4:5], 0x58
	s_load_dwordx2 s[24:25], s[4:5], 0x78
	v_cmp_eq_u32_e64 s[0:1], 0, v0
	s_and_saveexec_b64 s[6:7], s[0:1]
	s_cbranch_execz .LBB2789_4
; %bb.1:
	s_mov_b64 s[10:11], exec
	v_mbcnt_lo_u32_b32 v1, s10, 0
	v_mbcnt_hi_u32_b32 v1, s11, v1
	v_cmp_eq_u32_e32 vcc, 0, v1
                                        ; implicit-def: $vgpr2
	s_and_saveexec_b64 s[8:9], vcc
	s_cbranch_execz .LBB2789_3
; %bb.2:
	s_load_dwordx2 s[12:13], s[4:5], 0x88
	s_bcnt1_i32_b64 s10, s[10:11]
	v_mov_b32_e32 v2, 0
	v_mov_b32_e32 v3, s10
	s_waitcnt lgkmcnt(0)
	global_atomic_add v2, v2, v3, s[12:13] glc
.LBB2789_3:
	s_or_b64 exec, exec, s[8:9]
	s_waitcnt vmcnt(0)
	v_readfirstlane_b32 s8, v2
	v_add_u32_e32 v1, s8, v1
	v_mov_b32_e32 v2, 0
	ds_write_b32 v2, v1
.LBB2789_4:
	s_or_b64 exec, exec, s[6:7]
	v_mov_b32_e32 v3, 0
	s_load_dwordx4 s[8:11], s[4:5], 0x8
	s_load_dword s6, s[4:5], 0x80
	s_waitcnt lgkmcnt(0)
	s_barrier
	ds_read_b32 v1, v3
	s_waitcnt lgkmcnt(0)
	s_barrier
	global_load_dwordx2 v[14:15], v3, s[22:23]
	v_mov_b32_e32 v5, s3
	s_lshl_b64 s[4:5], s[10:11], 1
	s_movk_i32 s3, 0x1c00
	s_add_u32 s4, s8, s4
	v_mul_lo_u32 v2, v1, s3
	s_mul_i32 s3, s6, 0x1c00
	s_addc_u32 s5, s9, s5
	s_add_i32 s7, s6, -1
	s_add_i32 s6, s3, s10
	s_sub_i32 s6, s2, s6
	v_mov_b32_e32 v4, s2
	s_add_u32 s2, s10, s3
	v_readfirstlane_b32 s30, v1
	s_addc_u32 s3, s11, 0
	s_cmp_eq_u32 s30, s7
	s_cselect_b64 s[18:19], -1, 0
	s_cmp_lg_u32 s30, s7
	v_cmp_lt_u64_e32 vcc, s[2:3], v[4:5]
	s_cselect_b64 s[2:3], -1, 0
	v_lshlrev_b64 v[2:3], 1, v[2:3]
	s_or_b64 s[2:3], vcc, s[2:3]
	v_mov_b32_e32 v1, s5
	v_add_co_u32_e32 v2, vcc, s4, v2
	v_addc_co_u32_e32 v3, vcc, v1, v3, vcc
	s_mov_b64 s[4:5], -1
	s_and_b64 vcc, exec, s[2:3]
	v_lshlrev_b32_e32 v1, 1, v0
	s_cbranch_vccz .LBB2789_6
; %bb.5:
	v_add_co_u32_e32 v4, vcc, v2, v1
	v_addc_co_u32_e32 v5, vcc, 0, v3, vcc
	v_add_co_u32_e32 v6, vcc, 0x1000, v4
	v_addc_co_u32_e32 v7, vcc, 0, v5, vcc
	flat_load_ushort v8, v[4:5]
	flat_load_ushort v9, v[4:5] offset:512
	flat_load_ushort v10, v[4:5] offset:1024
	;; [unrolled: 1-line block ×7, first 2 shown]
	flat_load_ushort v18, v[6:7]
	flat_load_ushort v19, v[6:7] offset:512
	flat_load_ushort v20, v[6:7] offset:1024
	;; [unrolled: 1-line block ×7, first 2 shown]
	v_add_co_u32_e32 v6, vcc, 0x2000, v4
	v_addc_co_u32_e32 v7, vcc, 0, v5, vcc
	v_add_co_u32_e32 v4, vcc, 0x3000, v4
	v_addc_co_u32_e32 v5, vcc, 0, v5, vcc
	flat_load_ushort v26, v[6:7]
	flat_load_ushort v27, v[6:7] offset:512
	flat_load_ushort v28, v[6:7] offset:1024
	;; [unrolled: 1-line block ×7, first 2 shown]
	s_nop 0
	flat_load_ushort v6, v[4:5]
	flat_load_ushort v7, v[4:5] offset:512
	flat_load_ushort v34, v[4:5] offset:1024
	;; [unrolled: 1-line block ×3, first 2 shown]
	s_mov_b64 s[4:5], 0
	s_waitcnt vmcnt(0) lgkmcnt(0)
	ds_write_b16 v1, v8
	ds_write_b16 v1, v9 offset:512
	ds_write_b16 v1, v10 offset:1024
	;; [unrolled: 1-line block ×27, first 2 shown]
	s_waitcnt lgkmcnt(0)
	s_barrier
.LBB2789_6:
	s_andn2_b64 vcc, exec, s[4:5]
	s_addk_i32 s6, 0x1c00
	s_cbranch_vccnz .LBB2789_64
; %bb.7:
	v_cmp_gt_u32_e32 vcc, s6, v0
                                        ; implicit-def: $vgpr4
	s_and_saveexec_b64 s[4:5], vcc
	s_cbranch_execz .LBB2789_9
; %bb.8:
	v_add_co_u32_e32 v4, vcc, v2, v1
	v_addc_co_u32_e32 v5, vcc, 0, v3, vcc
	flat_load_ushort v4, v[4:5]
.LBB2789_9:
	s_or_b64 exec, exec, s[4:5]
	v_or_b32_e32 v5, 0x100, v0
	v_cmp_gt_u32_e32 vcc, s6, v5
                                        ; implicit-def: $vgpr5
	s_and_saveexec_b64 s[4:5], vcc
	s_cbranch_execz .LBB2789_11
; %bb.10:
	v_add_co_u32_e32 v6, vcc, v2, v1
	v_addc_co_u32_e32 v7, vcc, 0, v3, vcc
	flat_load_ushort v5, v[6:7] offset:512
.LBB2789_11:
	s_or_b64 exec, exec, s[4:5]
	v_or_b32_e32 v6, 0x200, v0
	v_cmp_gt_u32_e32 vcc, s6, v6
                                        ; implicit-def: $vgpr6
	s_and_saveexec_b64 s[4:5], vcc
	s_cbranch_execz .LBB2789_13
; %bb.12:
	v_add_co_u32_e32 v6, vcc, v2, v1
	v_addc_co_u32_e32 v7, vcc, 0, v3, vcc
	flat_load_ushort v6, v[6:7] offset:1024
.LBB2789_13:
	s_or_b64 exec, exec, s[4:5]
	v_or_b32_e32 v7, 0x300, v0
	v_cmp_gt_u32_e32 vcc, s6, v7
                                        ; implicit-def: $vgpr7
	s_and_saveexec_b64 s[4:5], vcc
	s_cbranch_execz .LBB2789_15
; %bb.14:
	v_add_co_u32_e32 v8, vcc, v2, v1
	v_addc_co_u32_e32 v9, vcc, 0, v3, vcc
	flat_load_ushort v7, v[8:9] offset:1536
.LBB2789_15:
	s_or_b64 exec, exec, s[4:5]
	v_or_b32_e32 v8, 0x400, v0
	v_cmp_gt_u32_e32 vcc, s6, v8
                                        ; implicit-def: $vgpr8
	s_and_saveexec_b64 s[4:5], vcc
	s_cbranch_execz .LBB2789_17
; %bb.16:
	v_add_co_u32_e32 v8, vcc, v2, v1
	v_addc_co_u32_e32 v9, vcc, 0, v3, vcc
	flat_load_ushort v8, v[8:9] offset:2048
.LBB2789_17:
	s_or_b64 exec, exec, s[4:5]
	v_or_b32_e32 v9, 0x500, v0
	v_cmp_gt_u32_e32 vcc, s6, v9
                                        ; implicit-def: $vgpr9
	s_and_saveexec_b64 s[4:5], vcc
	s_cbranch_execz .LBB2789_19
; %bb.18:
	v_add_co_u32_e32 v10, vcc, v2, v1
	v_addc_co_u32_e32 v11, vcc, 0, v3, vcc
	flat_load_ushort v9, v[10:11] offset:2560
.LBB2789_19:
	s_or_b64 exec, exec, s[4:5]
	v_or_b32_e32 v10, 0x600, v0
	v_cmp_gt_u32_e32 vcc, s6, v10
                                        ; implicit-def: $vgpr10
	s_and_saveexec_b64 s[4:5], vcc
	s_cbranch_execz .LBB2789_21
; %bb.20:
	v_add_co_u32_e32 v10, vcc, v2, v1
	v_addc_co_u32_e32 v11, vcc, 0, v3, vcc
	flat_load_ushort v10, v[10:11] offset:3072
.LBB2789_21:
	s_or_b64 exec, exec, s[4:5]
	v_or_b32_e32 v11, 0x700, v0
	v_cmp_gt_u32_e32 vcc, s6, v11
                                        ; implicit-def: $vgpr11
	s_and_saveexec_b64 s[4:5], vcc
	s_cbranch_execz .LBB2789_23
; %bb.22:
	v_add_co_u32_e32 v12, vcc, v2, v1
	v_addc_co_u32_e32 v13, vcc, 0, v3, vcc
	flat_load_ushort v11, v[12:13] offset:3584
.LBB2789_23:
	s_or_b64 exec, exec, s[4:5]
	v_or_b32_e32 v13, 0x800, v0
	v_cmp_gt_u32_e32 vcc, s6, v13
                                        ; implicit-def: $vgpr12
	s_and_saveexec_b64 s[4:5], vcc
	s_cbranch_execz .LBB2789_25
; %bb.24:
	v_lshlrev_b32_e32 v12, 1, v13
	v_add_co_u32_e32 v12, vcc, v2, v12
	v_addc_co_u32_e32 v13, vcc, 0, v3, vcc
	flat_load_ushort v12, v[12:13]
.LBB2789_25:
	s_or_b64 exec, exec, s[4:5]
	v_or_b32_e32 v16, 0x900, v0
	v_cmp_gt_u32_e32 vcc, s6, v16
                                        ; implicit-def: $vgpr13
	s_and_saveexec_b64 s[4:5], vcc
	s_cbranch_execz .LBB2789_27
; %bb.26:
	v_lshlrev_b32_e32 v13, 1, v16
	v_add_co_u32_e32 v16, vcc, v2, v13
	v_addc_co_u32_e32 v17, vcc, 0, v3, vcc
	flat_load_ushort v13, v[16:17]
.LBB2789_27:
	s_or_b64 exec, exec, s[4:5]
	v_or_b32_e32 v17, 0xa00, v0
	v_cmp_gt_u32_e32 vcc, s6, v17
                                        ; implicit-def: $vgpr16
	s_and_saveexec_b64 s[4:5], vcc
	s_cbranch_execz .LBB2789_29
; %bb.28:
	v_lshlrev_b32_e32 v16, 1, v17
	v_add_co_u32_e32 v16, vcc, v2, v16
	v_addc_co_u32_e32 v17, vcc, 0, v3, vcc
	flat_load_ushort v16, v[16:17]
.LBB2789_29:
	s_or_b64 exec, exec, s[4:5]
	v_or_b32_e32 v18, 0xb00, v0
	v_cmp_gt_u32_e32 vcc, s6, v18
                                        ; implicit-def: $vgpr17
	s_and_saveexec_b64 s[4:5], vcc
	s_cbranch_execz .LBB2789_31
; %bb.30:
	v_lshlrev_b32_e32 v17, 1, v18
	v_add_co_u32_e32 v18, vcc, v2, v17
	v_addc_co_u32_e32 v19, vcc, 0, v3, vcc
	flat_load_ushort v17, v[18:19]
.LBB2789_31:
	s_or_b64 exec, exec, s[4:5]
	v_or_b32_e32 v19, 0xc00, v0
	v_cmp_gt_u32_e32 vcc, s6, v19
                                        ; implicit-def: $vgpr18
	s_and_saveexec_b64 s[4:5], vcc
	s_cbranch_execz .LBB2789_33
; %bb.32:
	v_lshlrev_b32_e32 v18, 1, v19
	v_add_co_u32_e32 v18, vcc, v2, v18
	v_addc_co_u32_e32 v19, vcc, 0, v3, vcc
	flat_load_ushort v18, v[18:19]
.LBB2789_33:
	s_or_b64 exec, exec, s[4:5]
	v_or_b32_e32 v20, 0xd00, v0
	v_cmp_gt_u32_e32 vcc, s6, v20
                                        ; implicit-def: $vgpr19
	s_and_saveexec_b64 s[4:5], vcc
	s_cbranch_execz .LBB2789_35
; %bb.34:
	v_lshlrev_b32_e32 v19, 1, v20
	v_add_co_u32_e32 v20, vcc, v2, v19
	v_addc_co_u32_e32 v21, vcc, 0, v3, vcc
	flat_load_ushort v19, v[20:21]
.LBB2789_35:
	s_or_b64 exec, exec, s[4:5]
	v_or_b32_e32 v21, 0xe00, v0
	v_cmp_gt_u32_e32 vcc, s6, v21
                                        ; implicit-def: $vgpr20
	s_and_saveexec_b64 s[4:5], vcc
	s_cbranch_execz .LBB2789_37
; %bb.36:
	v_lshlrev_b32_e32 v20, 1, v21
	v_add_co_u32_e32 v20, vcc, v2, v20
	v_addc_co_u32_e32 v21, vcc, 0, v3, vcc
	flat_load_ushort v20, v[20:21]
.LBB2789_37:
	s_or_b64 exec, exec, s[4:5]
	v_or_b32_e32 v22, 0xf00, v0
	v_cmp_gt_u32_e32 vcc, s6, v22
                                        ; implicit-def: $vgpr21
	s_and_saveexec_b64 s[4:5], vcc
	s_cbranch_execz .LBB2789_39
; %bb.38:
	v_lshlrev_b32_e32 v21, 1, v22
	v_add_co_u32_e32 v22, vcc, v2, v21
	v_addc_co_u32_e32 v23, vcc, 0, v3, vcc
	flat_load_ushort v21, v[22:23]
.LBB2789_39:
	s_or_b64 exec, exec, s[4:5]
	v_or_b32_e32 v23, 0x1000, v0
	v_cmp_gt_u32_e32 vcc, s6, v23
                                        ; implicit-def: $vgpr22
	s_and_saveexec_b64 s[4:5], vcc
	s_cbranch_execz .LBB2789_41
; %bb.40:
	v_lshlrev_b32_e32 v22, 1, v23
	v_add_co_u32_e32 v22, vcc, v2, v22
	v_addc_co_u32_e32 v23, vcc, 0, v3, vcc
	flat_load_ushort v22, v[22:23]
.LBB2789_41:
	s_or_b64 exec, exec, s[4:5]
	v_or_b32_e32 v24, 0x1100, v0
	v_cmp_gt_u32_e32 vcc, s6, v24
                                        ; implicit-def: $vgpr23
	s_and_saveexec_b64 s[4:5], vcc
	s_cbranch_execz .LBB2789_43
; %bb.42:
	v_lshlrev_b32_e32 v23, 1, v24
	v_add_co_u32_e32 v24, vcc, v2, v23
	v_addc_co_u32_e32 v25, vcc, 0, v3, vcc
	flat_load_ushort v23, v[24:25]
.LBB2789_43:
	s_or_b64 exec, exec, s[4:5]
	v_or_b32_e32 v25, 0x1200, v0
	v_cmp_gt_u32_e32 vcc, s6, v25
                                        ; implicit-def: $vgpr24
	s_and_saveexec_b64 s[4:5], vcc
	s_cbranch_execz .LBB2789_45
; %bb.44:
	v_lshlrev_b32_e32 v24, 1, v25
	v_add_co_u32_e32 v24, vcc, v2, v24
	v_addc_co_u32_e32 v25, vcc, 0, v3, vcc
	flat_load_ushort v24, v[24:25]
.LBB2789_45:
	s_or_b64 exec, exec, s[4:5]
	v_or_b32_e32 v26, 0x1300, v0
	v_cmp_gt_u32_e32 vcc, s6, v26
                                        ; implicit-def: $vgpr25
	s_and_saveexec_b64 s[4:5], vcc
	s_cbranch_execz .LBB2789_47
; %bb.46:
	v_lshlrev_b32_e32 v25, 1, v26
	v_add_co_u32_e32 v26, vcc, v2, v25
	v_addc_co_u32_e32 v27, vcc, 0, v3, vcc
	flat_load_ushort v25, v[26:27]
.LBB2789_47:
	s_or_b64 exec, exec, s[4:5]
	v_or_b32_e32 v27, 0x1400, v0
	v_cmp_gt_u32_e32 vcc, s6, v27
                                        ; implicit-def: $vgpr26
	s_and_saveexec_b64 s[4:5], vcc
	s_cbranch_execz .LBB2789_49
; %bb.48:
	v_lshlrev_b32_e32 v26, 1, v27
	v_add_co_u32_e32 v26, vcc, v2, v26
	v_addc_co_u32_e32 v27, vcc, 0, v3, vcc
	flat_load_ushort v26, v[26:27]
.LBB2789_49:
	s_or_b64 exec, exec, s[4:5]
	v_or_b32_e32 v28, 0x1500, v0
	v_cmp_gt_u32_e32 vcc, s6, v28
                                        ; implicit-def: $vgpr27
	s_and_saveexec_b64 s[4:5], vcc
	s_cbranch_execz .LBB2789_51
; %bb.50:
	v_lshlrev_b32_e32 v27, 1, v28
	v_add_co_u32_e32 v28, vcc, v2, v27
	v_addc_co_u32_e32 v29, vcc, 0, v3, vcc
	flat_load_ushort v27, v[28:29]
.LBB2789_51:
	s_or_b64 exec, exec, s[4:5]
	v_or_b32_e32 v29, 0x1600, v0
	v_cmp_gt_u32_e32 vcc, s6, v29
                                        ; implicit-def: $vgpr28
	s_and_saveexec_b64 s[4:5], vcc
	s_cbranch_execz .LBB2789_53
; %bb.52:
	v_lshlrev_b32_e32 v28, 1, v29
	v_add_co_u32_e32 v28, vcc, v2, v28
	v_addc_co_u32_e32 v29, vcc, 0, v3, vcc
	flat_load_ushort v28, v[28:29]
.LBB2789_53:
	s_or_b64 exec, exec, s[4:5]
	v_or_b32_e32 v30, 0x1700, v0
	v_cmp_gt_u32_e32 vcc, s6, v30
                                        ; implicit-def: $vgpr29
	s_and_saveexec_b64 s[4:5], vcc
	s_cbranch_execz .LBB2789_55
; %bb.54:
	v_lshlrev_b32_e32 v29, 1, v30
	v_add_co_u32_e32 v30, vcc, v2, v29
	v_addc_co_u32_e32 v31, vcc, 0, v3, vcc
	flat_load_ushort v29, v[30:31]
.LBB2789_55:
	s_or_b64 exec, exec, s[4:5]
	v_or_b32_e32 v31, 0x1800, v0
	v_cmp_gt_u32_e32 vcc, s6, v31
                                        ; implicit-def: $vgpr30
	s_and_saveexec_b64 s[4:5], vcc
	s_cbranch_execz .LBB2789_57
; %bb.56:
	v_lshlrev_b32_e32 v30, 1, v31
	v_add_co_u32_e32 v30, vcc, v2, v30
	v_addc_co_u32_e32 v31, vcc, 0, v3, vcc
	flat_load_ushort v30, v[30:31]
.LBB2789_57:
	s_or_b64 exec, exec, s[4:5]
	v_or_b32_e32 v32, 0x1900, v0
	v_cmp_gt_u32_e32 vcc, s6, v32
                                        ; implicit-def: $vgpr31
	s_and_saveexec_b64 s[4:5], vcc
	s_cbranch_execz .LBB2789_59
; %bb.58:
	v_lshlrev_b32_e32 v31, 1, v32
	v_add_co_u32_e32 v32, vcc, v2, v31
	v_addc_co_u32_e32 v33, vcc, 0, v3, vcc
	flat_load_ushort v31, v[32:33]
.LBB2789_59:
	s_or_b64 exec, exec, s[4:5]
	v_or_b32_e32 v33, 0x1a00, v0
	v_cmp_gt_u32_e32 vcc, s6, v33
                                        ; implicit-def: $vgpr32
	s_and_saveexec_b64 s[4:5], vcc
	s_cbranch_execz .LBB2789_61
; %bb.60:
	v_lshlrev_b32_e32 v32, 1, v33
	v_add_co_u32_e32 v32, vcc, v2, v32
	v_addc_co_u32_e32 v33, vcc, 0, v3, vcc
	flat_load_ushort v32, v[32:33]
.LBB2789_61:
	s_or_b64 exec, exec, s[4:5]
	v_or_b32_e32 v34, 0x1b00, v0
	v_cmp_gt_u32_e32 vcc, s6, v34
                                        ; implicit-def: $vgpr33
	s_and_saveexec_b64 s[4:5], vcc
	s_cbranch_execz .LBB2789_63
; %bb.62:
	v_lshlrev_b32_e32 v33, 1, v34
	v_add_co_u32_e32 v2, vcc, v2, v33
	v_addc_co_u32_e32 v3, vcc, 0, v3, vcc
	flat_load_ushort v33, v[2:3]
.LBB2789_63:
	s_or_b64 exec, exec, s[4:5]
	s_waitcnt vmcnt(0) lgkmcnt(0)
	ds_write_b16 v1, v4
	ds_write_b16 v1, v5 offset:512
	ds_write_b16 v1, v6 offset:1024
	;; [unrolled: 1-line block ×27, first 2 shown]
	s_waitcnt lgkmcnt(0)
	s_barrier
.LBB2789_64:
	v_mul_u32_u24_e32 v40, 28, v0
	v_lshlrev_b32_e32 v6, 1, v40
	ds_read_b64 v[16:17], v6 offset:48
	ds_read2_b64 v[2:5], v6 offset0:4 offset1:5
	ds_read2_b64 v[10:13], v6 offset1:1
	ds_read2_b64 v[6:9], v6 offset0:2 offset1:3
	s_andn2_b64 vcc, exec, s[2:3]
	s_waitcnt lgkmcnt(3)
	v_lshrrev_b32_e32 v28, 16, v16
	v_lshrrev_b32_e32 v1, 16, v17
	s_waitcnt lgkmcnt(2)
	v_lshrrev_b32_e32 v32, 16, v2
	v_lshrrev_b32_e32 v31, 16, v3
	v_lshrrev_b32_e32 v30, 16, v4
	v_lshrrev_b32_e32 v29, 16, v5
	s_waitcnt lgkmcnt(1)
	v_lshrrev_b32_e32 v41, 16, v10
	v_lshrrev_b32_e32 v39, 16, v11
	;; [unrolled: 5-line block ×3, first 2 shown]
	v_lshrrev_b32_e32 v34, 16, v8
	v_lshrrev_b32_e32 v33, 16, v9
	v_xor_b32_e32 v87, -1, v10
	v_xor_b32_e32 v86, -1, v41
	;; [unrolled: 1-line block ×28, first 2 shown]
	s_barrier
	s_cbranch_vccnz .LBB2789_66
; %bb.65:
	v_and_b32_e32 v69, 1, v87
	v_and_b32_e32 v68, 1, v86
	;; [unrolled: 1-line block ×28, first 2 shown]
	s_cbranch_execz .LBB2789_67
	s_branch .LBB2789_68
.LBB2789_66:
                                        ; implicit-def: $vgpr69
                                        ; implicit-def: $vgpr68
                                        ; implicit-def: $vgpr67
                                        ; implicit-def: $vgpr66
                                        ; implicit-def: $vgpr65
                                        ; implicit-def: $vgpr64
                                        ; implicit-def: $vgpr63
                                        ; implicit-def: $vgpr62
                                        ; implicit-def: $vgpr61
                                        ; implicit-def: $vgpr60
                                        ; implicit-def: $vgpr59
                                        ; implicit-def: $vgpr58
                                        ; implicit-def: $vgpr57
                                        ; implicit-def: $vgpr56
                                        ; implicit-def: $vgpr55
                                        ; implicit-def: $vgpr54
                                        ; implicit-def: $vgpr53
                                        ; implicit-def: $vgpr52
                                        ; implicit-def: $vgpr51
                                        ; implicit-def: $vgpr50
                                        ; implicit-def: $vgpr49
                                        ; implicit-def: $vgpr48
                                        ; implicit-def: $vgpr47
                                        ; implicit-def: $vgpr46
                                        ; implicit-def: $vgpr45
                                        ; implicit-def: $vgpr44
                                        ; implicit-def: $vgpr42
                                        ; implicit-def: $vgpr43
.LBB2789_67:
	v_or_b32_e32 v51, 1, v40
	v_cmp_gt_u32_e32 vcc, s6, v40
	v_or_b32_e32 v52, 2, v40
	v_cndmask_b32_e64 v60, 0, 1, vcc
	v_cmp_gt_u32_e32 vcc, s6, v51
	v_or_b32_e32 v53, 3, v40
	v_cndmask_b32_e64 v51, 0, 1, vcc
	v_cmp_gt_u32_e32 vcc, s6, v52
	v_add_u32_e32 v54, 4, v40
	v_and_b32_e32 v68, v51, v86
	v_cndmask_b32_e64 v51, 0, 1, vcc
	v_cmp_gt_u32_e32 vcc, s6, v53
	v_add_u32_e32 v55, 5, v40
	v_and_b32_e32 v67, v51, v85
	;; [unrolled: 4-line block ×9, first 2 shown]
	v_and_b32_e32 v60, v51, v78
	v_cndmask_b32_e64 v51, 0, 1, vcc
	v_cmp_gt_u32_e32 vcc, s6, v89
	v_add_u32_e32 v91, 13, v40
	v_and_b32_e32 v59, v51, v77
	v_cndmask_b32_e64 v51, 0, 1, vcc
	v_cmp_gt_u32_e32 vcc, s6, v90
	v_add_u32_e32 v92, 14, v40
	;; [unrolled: 4-line block ×15, first 2 shown]
	v_and_b32_e32 v45, v22, v21
	v_cndmask_b32_e64 v21, 0, 1, vcc
	v_cmp_gt_u32_e32 vcc, s6, v42
	v_and_b32_e32 v44, v21, v20
	v_cndmask_b32_e64 v20, 0, 1, vcc
	v_cmp_gt_u32_e32 vcc, s6, v43
	v_and_b32_e32 v42, v20, v19
	v_cndmask_b32_e64 v19, 0, 1, vcc
	v_and_b32_e32 v43, v19, v18
.LBB2789_68:
	v_and_b32_e32 v94, 0xff, v45
	v_and_b32_e32 v95, 0xff, v44
	v_add_u32_sdwa v18, v42, v43 dst_sel:DWORD dst_unused:UNUSED_PAD src0_sel:BYTE_0 src1_sel:BYTE_0
	v_and_b32_e32 v92, 0xff, v47
	v_and_b32_e32 v93, 0xff, v46
	v_add3_u32 v18, v18, v95, v94
	v_and_b32_e32 v90, 0xff, v49
	v_and_b32_e32 v91, 0xff, v48
	v_add3_u32 v18, v18, v93, v92
	;; [unrolled: 3-line block ×12, first 2 shown]
	v_add3_u32 v98, v18, v71, v70
	v_mbcnt_lo_u32_b32 v18, -1, 0
	v_mbcnt_hi_u32_b32 v96, -1, v18
	v_and_b32_e32 v18, 15, v96
	v_cmp_eq_u32_e64 s[14:15], 0, v18
	v_cmp_lt_u32_e64 s[12:13], 1, v18
	v_cmp_lt_u32_e64 s[10:11], 3, v18
	;; [unrolled: 1-line block ×3, first 2 shown]
	v_and_b32_e32 v18, 16, v96
	v_cmp_eq_u32_e64 s[6:7], 0, v18
	v_or_b32_e32 v18, 63, v0
	s_cmp_lg_u32 s30, 0
	v_cmp_lt_u32_e64 s[2:3], 31, v96
	v_lshrrev_b32_e32 v97, 6, v0
	v_cmp_eq_u32_e64 s[4:5], v18, v0
	s_cbranch_scc0 .LBB2789_99
; %bb.69:
	v_mov_b32_dpp v18, v98 row_shr:1 row_mask:0xf bank_mask:0xf
	v_cndmask_b32_e64 v18, v18, 0, s[14:15]
	v_add_u32_e32 v18, v18, v98
	s_nop 1
	v_mov_b32_dpp v19, v18 row_shr:2 row_mask:0xf bank_mask:0xf
	v_cndmask_b32_e64 v19, 0, v19, s[12:13]
	v_add_u32_e32 v18, v18, v19
	s_nop 1
	;; [unrolled: 4-line block ×4, first 2 shown]
	v_mov_b32_dpp v19, v18 row_bcast:15 row_mask:0xf bank_mask:0xf
	v_cndmask_b32_e64 v19, v19, 0, s[6:7]
	v_add_u32_e32 v18, v18, v19
	s_nop 1
	v_mov_b32_dpp v19, v18 row_bcast:31 row_mask:0xf bank_mask:0xf
	v_cndmask_b32_e64 v19, 0, v19, s[2:3]
	v_add_u32_e32 v18, v18, v19
	s_and_saveexec_b64 s[16:17], s[4:5]
	s_cbranch_execz .LBB2789_71
; %bb.70:
	v_lshlrev_b32_e32 v19, 2, v97
	ds_write_b32 v19, v18
.LBB2789_71:
	s_or_b64 exec, exec, s[16:17]
	v_cmp_gt_u32_e32 vcc, 4, v0
	s_waitcnt lgkmcnt(0)
	s_barrier
	s_and_saveexec_b64 s[16:17], vcc
	s_cbranch_execz .LBB2789_73
; %bb.72:
	v_lshlrev_b32_e32 v19, 2, v0
	ds_read_b32 v20, v19
	v_and_b32_e32 v21, 3, v96
	v_cmp_ne_u32_e32 vcc, 0, v21
	s_waitcnt lgkmcnt(0)
	v_mov_b32_dpp v22, v20 row_shr:1 row_mask:0xf bank_mask:0xf
	v_cndmask_b32_e32 v22, 0, v22, vcc
	v_add_u32_e32 v20, v22, v20
	v_cmp_lt_u32_e32 vcc, 1, v21
	s_nop 0
	v_mov_b32_dpp v22, v20 row_shr:2 row_mask:0xf bank_mask:0xf
	v_cndmask_b32_e32 v21, 0, v22, vcc
	v_add_u32_e32 v20, v20, v21
	ds_write_b32 v19, v20
.LBB2789_73:
	s_or_b64 exec, exec, s[16:17]
	v_cmp_gt_u32_e32 vcc, 64, v0
	v_cmp_lt_u32_e64 s[16:17], 63, v0
	s_waitcnt lgkmcnt(0)
	s_barrier
	s_waitcnt lgkmcnt(0)
                                        ; implicit-def: $vgpr99
	s_and_saveexec_b64 s[22:23], s[16:17]
	s_cbranch_execz .LBB2789_75
; %bb.74:
	v_lshl_add_u32 v19, v97, 2, -4
	ds_read_b32 v99, v19
	s_waitcnt lgkmcnt(0)
	v_add_u32_e32 v18, v99, v18
.LBB2789_75:
	s_or_b64 exec, exec, s[22:23]
	v_add_u32_e32 v19, -1, v96
	v_and_b32_e32 v20, 64, v96
	v_cmp_lt_i32_e64 s[16:17], v19, v20
	v_cndmask_b32_e64 v19, v19, v96, s[16:17]
	v_lshlrev_b32_e32 v19, 2, v19
	ds_bpermute_b32 v100, v19, v18
	v_cmp_eq_u32_e64 s[16:17], 0, v96
	s_and_saveexec_b64 s[22:23], vcc
	s_cbranch_execz .LBB2789_98
; %bb.76:
	v_mov_b32_e32 v27, 0
	ds_read_b32 v18, v27 offset:12
	s_and_saveexec_b64 s[26:27], s[16:17]
	s_cbranch_execz .LBB2789_78
; %bb.77:
	s_add_i32 s28, s30, 64
	s_mov_b32 s29, 0
	s_lshl_b64 s[28:29], s[28:29], 3
	s_add_u32 s28, s24, s28
	v_mov_b32_e32 v19, 1
	s_addc_u32 s29, s25, s29
	s_waitcnt lgkmcnt(0)
	global_store_dwordx2 v27, v[18:19], s[28:29]
.LBB2789_78:
	s_or_b64 exec, exec, s[26:27]
	v_xad_u32 v20, v96, -1, s30
	v_add_u32_e32 v26, 64, v20
	v_lshlrev_b64 v[22:23], 3, v[26:27]
	v_mov_b32_e32 v19, s25
	v_add_co_u32_e32 v22, vcc, s24, v22
	v_addc_co_u32_e32 v23, vcc, v19, v23, vcc
	global_load_dwordx2 v[24:25], v[22:23], off glc
	s_waitcnt vmcnt(0)
	v_cmp_eq_u16_sdwa s[28:29], v25, v27 src0_sel:BYTE_0 src1_sel:DWORD
	s_and_saveexec_b64 s[26:27], s[28:29]
	s_cbranch_execz .LBB2789_84
; %bb.79:
	s_mov_b32 s31, 1
	s_mov_b64 s[28:29], 0
	v_mov_b32_e32 v19, 0
.LBB2789_80:                            ; =>This Loop Header: Depth=1
                                        ;     Child Loop BB2789_81 Depth 2
	s_max_u32 s33, s31, 1
.LBB2789_81:                            ;   Parent Loop BB2789_80 Depth=1
                                        ; =>  This Inner Loop Header: Depth=2
	s_add_i32 s33, s33, -1
	s_cmp_eq_u32 s33, 0
	s_sleep 1
	s_cbranch_scc0 .LBB2789_81
; %bb.82:                               ;   in Loop: Header=BB2789_80 Depth=1
	global_load_dwordx2 v[24:25], v[22:23], off glc
	s_cmp_lt_u32 s31, 32
	s_cselect_b64 s[34:35], -1, 0
	s_cmp_lg_u64 s[34:35], 0
	s_addc_u32 s31, s31, 0
	s_waitcnt vmcnt(0)
	v_cmp_ne_u16_sdwa s[34:35], v25, v19 src0_sel:BYTE_0 src1_sel:DWORD
	s_or_b64 s[28:29], s[34:35], s[28:29]
	s_andn2_b64 exec, exec, s[28:29]
	s_cbranch_execnz .LBB2789_80
; %bb.83:
	s_or_b64 exec, exec, s[28:29]
.LBB2789_84:
	s_or_b64 exec, exec, s[26:27]
	v_and_b32_e32 v102, 63, v96
	v_mov_b32_e32 v101, 2
	v_cmp_ne_u32_e32 vcc, 63, v102
	v_cmp_eq_u16_sdwa s[26:27], v25, v101 src0_sel:BYTE_0 src1_sel:DWORD
	v_lshlrev_b64 v[22:23], v96, -1
	v_addc_co_u32_e32 v26, vcc, 0, v96, vcc
	v_and_b32_e32 v19, s27, v23
	v_lshlrev_b32_e32 v103, 2, v26
	v_or_b32_e32 v19, 0x80000000, v19
	ds_bpermute_b32 v26, v103, v24
	v_and_b32_e32 v21, s26, v22
	v_ffbl_b32_e32 v19, v19
	v_add_u32_e32 v19, 32, v19
	v_ffbl_b32_e32 v21, v21
	v_min_u32_e32 v19, v21, v19
	v_cmp_lt_u32_e32 vcc, v102, v19
	s_waitcnt lgkmcnt(0)
	v_cndmask_b32_e32 v21, 0, v26, vcc
	v_cmp_gt_u32_e32 vcc, 62, v102
	v_add_u32_e32 v21, v21, v24
	v_cndmask_b32_e64 v24, 0, 1, vcc
	v_lshlrev_b32_e32 v24, 1, v24
	v_add_lshl_u32 v104, v24, v96, 2
	ds_bpermute_b32 v24, v104, v21
	v_add_u32_e32 v105, 2, v102
	v_cmp_le_u32_e32 vcc, v105, v19
	v_add_u32_e32 v107, 4, v102
	v_add_u32_e32 v109, 8, v102
	s_waitcnt lgkmcnt(0)
	v_cndmask_b32_e32 v24, 0, v24, vcc
	v_cmp_gt_u32_e32 vcc, 60, v102
	v_add_u32_e32 v21, v21, v24
	v_cndmask_b32_e64 v24, 0, 1, vcc
	v_lshlrev_b32_e32 v24, 2, v24
	v_add_lshl_u32 v106, v24, v96, 2
	ds_bpermute_b32 v24, v106, v21
	v_cmp_le_u32_e32 vcc, v107, v19
	v_add_u32_e32 v111, 16, v102
	v_add_u32_e32 v113, 32, v102
	s_waitcnt lgkmcnt(0)
	v_cndmask_b32_e32 v24, 0, v24, vcc
	v_cmp_gt_u32_e32 vcc, 56, v102
	v_add_u32_e32 v21, v21, v24
	v_cndmask_b32_e64 v24, 0, 1, vcc
	v_lshlrev_b32_e32 v24, 3, v24
	v_add_lshl_u32 v108, v24, v96, 2
	ds_bpermute_b32 v24, v108, v21
	v_cmp_le_u32_e32 vcc, v109, v19
	s_waitcnt lgkmcnt(0)
	v_cndmask_b32_e32 v24, 0, v24, vcc
	v_cmp_gt_u32_e32 vcc, 48, v102
	v_add_u32_e32 v21, v21, v24
	v_cndmask_b32_e64 v24, 0, 1, vcc
	v_lshlrev_b32_e32 v24, 4, v24
	v_add_lshl_u32 v110, v24, v96, 2
	ds_bpermute_b32 v24, v110, v21
	v_cmp_le_u32_e32 vcc, v111, v19
	;; [unrolled: 9-line block ×3, first 2 shown]
	s_waitcnt lgkmcnt(0)
	v_cndmask_b32_e32 v19, 0, v24, vcc
	v_add_u32_e32 v24, v21, v19
	v_mov_b32_e32 v21, 0
	s_branch .LBB2789_86
.LBB2789_85:                            ;   in Loop: Header=BB2789_86 Depth=1
	s_or_b64 exec, exec, s[26:27]
	v_cmp_eq_u16_sdwa s[26:27], v25, v101 src0_sel:BYTE_0 src1_sel:DWORD
	v_and_b32_e32 v26, s27, v23
	v_or_b32_e32 v26, 0x80000000, v26
	ds_bpermute_b32 v114, v103, v24
	v_and_b32_e32 v27, s26, v22
	v_ffbl_b32_e32 v26, v26
	v_add_u32_e32 v26, 32, v26
	v_ffbl_b32_e32 v27, v27
	v_min_u32_e32 v26, v27, v26
	v_cmp_lt_u32_e32 vcc, v102, v26
	s_waitcnt lgkmcnt(0)
	v_cndmask_b32_e32 v27, 0, v114, vcc
	v_add_u32_e32 v24, v27, v24
	ds_bpermute_b32 v27, v104, v24
	v_cmp_le_u32_e32 vcc, v105, v26
	v_subrev_u32_e32 v20, 64, v20
	s_waitcnt lgkmcnt(0)
	v_cndmask_b32_e32 v27, 0, v27, vcc
	v_add_u32_e32 v24, v24, v27
	ds_bpermute_b32 v27, v106, v24
	v_cmp_le_u32_e32 vcc, v107, v26
	s_waitcnt lgkmcnt(0)
	v_cndmask_b32_e32 v27, 0, v27, vcc
	v_add_u32_e32 v24, v24, v27
	ds_bpermute_b32 v27, v108, v24
	v_cmp_le_u32_e32 vcc, v109, v26
	;; [unrolled: 5-line block ×4, first 2 shown]
	s_waitcnt lgkmcnt(0)
	v_cndmask_b32_e32 v26, 0, v27, vcc
	v_add3_u32 v24, v26, v19, v24
.LBB2789_86:                            ; =>This Loop Header: Depth=1
                                        ;     Child Loop BB2789_89 Depth 2
                                        ;       Child Loop BB2789_90 Depth 3
	v_cmp_ne_u16_sdwa s[26:27], v25, v101 src0_sel:BYTE_0 src1_sel:DWORD
	v_cndmask_b32_e64 v19, 0, 1, s[26:27]
	;;#ASMSTART
	;;#ASMEND
	v_cmp_ne_u32_e32 vcc, 0, v19
	s_cmp_lg_u64 vcc, exec
	v_mov_b32_e32 v19, v24
	s_cbranch_scc1 .LBB2789_93
; %bb.87:                               ;   in Loop: Header=BB2789_86 Depth=1
	v_lshlrev_b64 v[24:25], 3, v[20:21]
	v_mov_b32_e32 v27, s25
	v_add_co_u32_e32 v26, vcc, s24, v24
	v_addc_co_u32_e32 v27, vcc, v27, v25, vcc
	global_load_dwordx2 v[24:25], v[26:27], off glc
	s_waitcnt vmcnt(0)
	v_cmp_eq_u16_sdwa s[28:29], v25, v21 src0_sel:BYTE_0 src1_sel:DWORD
	s_and_saveexec_b64 s[26:27], s[28:29]
	s_cbranch_execz .LBB2789_85
; %bb.88:                               ;   in Loop: Header=BB2789_86 Depth=1
	s_mov_b32 s31, 1
	s_mov_b64 s[28:29], 0
.LBB2789_89:                            ;   Parent Loop BB2789_86 Depth=1
                                        ; =>  This Loop Header: Depth=2
                                        ;       Child Loop BB2789_90 Depth 3
	s_max_u32 s33, s31, 1
.LBB2789_90:                            ;   Parent Loop BB2789_86 Depth=1
                                        ;     Parent Loop BB2789_89 Depth=2
                                        ; =>    This Inner Loop Header: Depth=3
	s_add_i32 s33, s33, -1
	s_cmp_eq_u32 s33, 0
	s_sleep 1
	s_cbranch_scc0 .LBB2789_90
; %bb.91:                               ;   in Loop: Header=BB2789_89 Depth=2
	global_load_dwordx2 v[24:25], v[26:27], off glc
	s_cmp_lt_u32 s31, 32
	s_cselect_b64 s[34:35], -1, 0
	s_cmp_lg_u64 s[34:35], 0
	s_addc_u32 s31, s31, 0
	s_waitcnt vmcnt(0)
	v_cmp_ne_u16_sdwa s[34:35], v25, v21 src0_sel:BYTE_0 src1_sel:DWORD
	s_or_b64 s[28:29], s[34:35], s[28:29]
	s_andn2_b64 exec, exec, s[28:29]
	s_cbranch_execnz .LBB2789_89
; %bb.92:                               ;   in Loop: Header=BB2789_86 Depth=1
	s_or_b64 exec, exec, s[28:29]
	s_branch .LBB2789_85
.LBB2789_93:                            ;   in Loop: Header=BB2789_86 Depth=1
                                        ; implicit-def: $vgpr24
                                        ; implicit-def: $vgpr25
	s_cbranch_execz .LBB2789_86
; %bb.94:
	s_and_saveexec_b64 s[26:27], s[16:17]
	s_cbranch_execz .LBB2789_96
; %bb.95:
	s_add_i32 s28, s30, 64
	s_mov_b32 s29, 0
	s_lshl_b64 s[28:29], s[28:29], 3
	s_add_u32 s28, s24, s28
	v_add_u32_e32 v20, v19, v18
	v_mov_b32_e32 v21, 2
	s_addc_u32 s29, s25, s29
	v_mov_b32_e32 v22, 0
	global_store_dwordx2 v22, v[20:21], s[28:29]
	ds_write_b64 v22, v[18:19] offset:14336
.LBB2789_96:
	s_or_b64 exec, exec, s[26:27]
	s_and_b64 exec, exec, s[0:1]
	s_cbranch_execz .LBB2789_98
; %bb.97:
	v_mov_b32_e32 v18, 0
	ds_write_b32 v18, v19 offset:12
.LBB2789_98:
	s_or_b64 exec, exec, s[22:23]
	v_mov_b32_e32 v18, 0
	s_waitcnt lgkmcnt(0)
	s_barrier
	ds_read_b32 v20, v18 offset:12
	s_waitcnt lgkmcnt(0)
	s_barrier
	ds_read_b64 v[18:19], v18 offset:14336
	v_cndmask_b32_e64 v21, v100, v99, s[16:17]
	v_cndmask_b32_e64 v21, v21, 0, s[0:1]
	v_add_u32_e32 v20, v20, v21
	s_branch .LBB2789_109
.LBB2789_99:
                                        ; implicit-def: $vgpr19
                                        ; implicit-def: $vgpr20
	s_cbranch_execz .LBB2789_109
; %bb.100:
	s_waitcnt lgkmcnt(0)
	v_mov_b32_dpp v18, v98 row_shr:1 row_mask:0xf bank_mask:0xf
	v_cndmask_b32_e64 v18, v18, 0, s[14:15]
	v_add_u32_e32 v18, v18, v98
	s_nop 1
	v_mov_b32_dpp v19, v18 row_shr:2 row_mask:0xf bank_mask:0xf
	v_cndmask_b32_e64 v19, 0, v19, s[12:13]
	v_add_u32_e32 v18, v18, v19
	s_nop 1
	;; [unrolled: 4-line block ×4, first 2 shown]
	v_mov_b32_dpp v19, v18 row_bcast:15 row_mask:0xf bank_mask:0xf
	v_cndmask_b32_e64 v19, v19, 0, s[6:7]
	v_add_u32_e32 v18, v18, v19
	s_nop 1
	v_mov_b32_dpp v19, v18 row_bcast:31 row_mask:0xf bank_mask:0xf
	v_cndmask_b32_e64 v19, 0, v19, s[2:3]
	v_add_u32_e32 v18, v18, v19
	s_and_saveexec_b64 s[2:3], s[4:5]
	s_cbranch_execz .LBB2789_102
; %bb.101:
	v_lshlrev_b32_e32 v19, 2, v97
	ds_write_b32 v19, v18
.LBB2789_102:
	s_or_b64 exec, exec, s[2:3]
	v_cmp_gt_u32_e32 vcc, 4, v0
	s_waitcnt lgkmcnt(0)
	s_barrier
	s_and_saveexec_b64 s[2:3], vcc
	s_cbranch_execz .LBB2789_104
; %bb.103:
	v_lshlrev_b32_e32 v19, 2, v0
	ds_read_b32 v20, v19
	v_and_b32_e32 v21, 3, v96
	v_cmp_ne_u32_e32 vcc, 0, v21
	s_waitcnt lgkmcnt(0)
	v_mov_b32_dpp v22, v20 row_shr:1 row_mask:0xf bank_mask:0xf
	v_cndmask_b32_e32 v22, 0, v22, vcc
	v_add_u32_e32 v20, v22, v20
	v_cmp_lt_u32_e32 vcc, 1, v21
	s_nop 0
	v_mov_b32_dpp v22, v20 row_shr:2 row_mask:0xf bank_mask:0xf
	v_cndmask_b32_e32 v21, 0, v22, vcc
	v_add_u32_e32 v20, v20, v21
	ds_write_b32 v19, v20
.LBB2789_104:
	s_or_b64 exec, exec, s[2:3]
	v_cmp_lt_u32_e32 vcc, 63, v0
	v_mov_b32_e32 v19, 0
	v_mov_b32_e32 v0, 0
	s_waitcnt lgkmcnt(0)
	s_barrier
	s_and_saveexec_b64 s[2:3], vcc
	s_cbranch_execz .LBB2789_106
; %bb.105:
	v_lshl_add_u32 v0, v97, 2, -4
	ds_read_b32 v0, v0
.LBB2789_106:
	s_or_b64 exec, exec, s[2:3]
	v_add_u32_e32 v20, -1, v96
	v_and_b32_e32 v21, 64, v96
	v_cmp_lt_i32_e32 vcc, v20, v21
	v_cndmask_b32_e32 v20, v20, v96, vcc
	s_waitcnt lgkmcnt(0)
	v_add_u32_e32 v18, v0, v18
	v_lshlrev_b32_e32 v20, 2, v20
	ds_bpermute_b32 v20, v20, v18
	ds_read_b32 v18, v19 offset:12
	s_and_saveexec_b64 s[2:3], s[0:1]
	s_cbranch_execz .LBB2789_108
; %bb.107:
	v_mov_b32_e32 v21, 0
	v_mov_b32_e32 v19, 2
	s_waitcnt lgkmcnt(0)
	global_store_dwordx2 v21, v[18:19], s[24:25] offset:512
.LBB2789_108:
	s_or_b64 exec, exec, s[2:3]
	v_cmp_eq_u32_e32 vcc, 0, v96
	s_waitcnt lgkmcnt(1)
	v_cndmask_b32_e32 v0, v20, v0, vcc
	v_mov_b32_e32 v19, 0
	v_cndmask_b32_e64 v20, v0, 0, s[0:1]
	s_waitcnt lgkmcnt(0)
	s_barrier
.LBB2789_109:
	v_add_u32_e32 v0, v20, v70
	v_add_u32_e32 v21, v0, v71
	;; [unrolled: 1-line block ×18, first 2 shown]
	s_waitcnt lgkmcnt(0)
	v_add_u32_e32 v40, v18, v40
	v_sub_u32_e32 v20, v20, v19
	v_and_b32_e32 v69, 1, v69
	v_add_u32_e32 v80, v79, v88
	v_sub_u32_e32 v88, v40, v20
	v_cmp_eq_u32_e32 vcc, 1, v69
	v_cndmask_b32_e32 v20, v88, v20, vcc
	v_lshlrev_b32_e32 v20, 1, v20
	v_sub_u32_e32 v0, v0, v19
	ds_write_b16 v20, v10
	v_sub_u32_e32 v10, v40, v0
	v_and_b32_e32 v20, 1, v68
	v_add_u32_e32 v10, 1, v10
	v_cmp_eq_u32_e32 vcc, 1, v20
	v_cndmask_b32_e32 v0, v10, v0, vcc
	v_lshlrev_b32_e32 v0, 1, v0
	ds_write_b16 v0, v41
	v_sub_u32_e32 v0, v21, v19
	v_sub_u32_e32 v10, v40, v0
	v_and_b32_e32 v20, 1, v67
	v_add_u32_e32 v10, 2, v10
	v_cmp_eq_u32_e32 vcc, 1, v20
	v_cndmask_b32_e32 v0, v10, v0, vcc
	v_lshlrev_b32_e32 v0, 1, v0
	ds_write_b16 v0, v11
	v_sub_u32_e32 v0, v22, v19
	v_sub_u32_e32 v10, v40, v0
	v_and_b32_e32 v11, 1, v66
	v_add_u32_e32 v10, 3, v10
	v_cmp_eq_u32_e32 vcc, 1, v11
	v_cndmask_b32_e32 v0, v10, v0, vcc
	v_lshlrev_b32_e32 v0, 1, v0
	ds_write_b16 v0, v39
	v_sub_u32_e32 v0, v23, v19
	v_sub_u32_e32 v10, v40, v0
	v_and_b32_e32 v11, 1, v65
	v_add_u32_e32 v10, 4, v10
	v_cmp_eq_u32_e32 vcc, 1, v11
	v_cndmask_b32_e32 v0, v10, v0, vcc
	v_lshlrev_b32_e32 v0, 1, v0
	ds_write_b16 v0, v12
	v_sub_u32_e32 v0, v24, v19
	v_sub_u32_e32 v10, v40, v0
	v_and_b32_e32 v11, 1, v64
	v_add_u32_e32 v10, 5, v10
	v_cmp_eq_u32_e32 vcc, 1, v11
	v_cndmask_b32_e32 v0, v10, v0, vcc
	v_lshlrev_b32_e32 v0, 1, v0
	ds_write_b16 v0, v38
	v_sub_u32_e32 v0, v25, v19
	v_sub_u32_e32 v10, v40, v0
	v_and_b32_e32 v11, 1, v63
	v_add_u32_e32 v10, 6, v10
	v_cmp_eq_u32_e32 vcc, 1, v11
	v_cndmask_b32_e32 v0, v10, v0, vcc
	v_lshlrev_b32_e32 v0, 1, v0
	ds_write_b16 v0, v13
	v_sub_u32_e32 v0, v26, v19
	v_sub_u32_e32 v10, v40, v0
	v_and_b32_e32 v11, 1, v62
	v_add_u32_e32 v10, 7, v10
	v_cmp_eq_u32_e32 vcc, 1, v11
	v_cndmask_b32_e32 v0, v10, v0, vcc
	v_lshlrev_b32_e32 v0, 1, v0
	ds_write_b16 v0, v37
	v_sub_u32_e32 v0, v27, v19
	v_sub_u32_e32 v10, v40, v0
	v_and_b32_e32 v11, 1, v61
	v_add_u32_e32 v10, 8, v10
	v_cmp_eq_u32_e32 vcc, 1, v11
	v_cndmask_b32_e32 v0, v10, v0, vcc
	v_lshlrev_b32_e32 v0, 1, v0
	ds_write_b16 v0, v6
	v_sub_u32_e32 v0, v70, v19
	v_sub_u32_e32 v6, v40, v0
	v_and_b32_e32 v10, 1, v60
	v_add_u32_e32 v6, 9, v6
	v_cmp_eq_u32_e32 vcc, 1, v10
	v_cndmask_b32_e32 v0, v6, v0, vcc
	v_lshlrev_b32_e32 v0, 1, v0
	ds_write_b16 v0, v36
	v_sub_u32_e32 v0, v71, v19
	v_sub_u32_e32 v6, v40, v0
	v_and_b32_e32 v10, 1, v59
	v_add_u32_e32 v6, 10, v6
	v_cmp_eq_u32_e32 vcc, 1, v10
	v_cndmask_b32_e32 v0, v6, v0, vcc
	v_lshlrev_b32_e32 v0, 1, v0
	ds_write_b16 v0, v7
	v_sub_u32_e32 v0, v72, v19
	v_sub_u32_e32 v6, v40, v0
	v_and_b32_e32 v7, 1, v58
	v_add_u32_e32 v6, 11, v6
	v_cmp_eq_u32_e32 vcc, 1, v7
	v_cndmask_b32_e32 v0, v6, v0, vcc
	v_lshlrev_b32_e32 v0, 1, v0
	ds_write_b16 v0, v35
	v_sub_u32_e32 v0, v73, v19
	v_sub_u32_e32 v6, v40, v0
	v_and_b32_e32 v7, 1, v57
	v_add_u32_e32 v6, 12, v6
	v_cmp_eq_u32_e32 vcc, 1, v7
	v_cndmask_b32_e32 v0, v6, v0, vcc
	v_lshlrev_b32_e32 v0, 1, v0
	ds_write_b16 v0, v8
	v_sub_u32_e32 v0, v74, v19
	v_sub_u32_e32 v6, v40, v0
	v_and_b32_e32 v7, 1, v56
	v_add_u32_e32 v6, 13, v6
	v_cmp_eq_u32_e32 vcc, 1, v7
	v_cndmask_b32_e32 v0, v6, v0, vcc
	v_lshlrev_b32_e32 v0, 1, v0
	ds_write_b16 v0, v34
	v_sub_u32_e32 v0, v75, v19
	v_sub_u32_e32 v6, v40, v0
	v_and_b32_e32 v7, 1, v55
	v_add_u32_e32 v6, 14, v6
	v_cmp_eq_u32_e32 vcc, 1, v7
	v_cndmask_b32_e32 v0, v6, v0, vcc
	v_lshlrev_b32_e32 v0, 1, v0
	ds_write_b16 v0, v9
	v_sub_u32_e32 v0, v76, v19
	v_sub_u32_e32 v6, v40, v0
	v_and_b32_e32 v7, 1, v54
	v_add_u32_e32 v6, 15, v6
	v_cmp_eq_u32_e32 vcc, 1, v7
	v_cndmask_b32_e32 v0, v6, v0, vcc
	v_lshlrev_b32_e32 v0, 1, v0
	ds_write_b16 v0, v33
	v_sub_u32_e32 v0, v77, v19
	v_sub_u32_e32 v6, v40, v0
	v_and_b32_e32 v7, 1, v53
	v_add_u32_e32 v6, 16, v6
	v_cmp_eq_u32_e32 vcc, 1, v7
	v_cndmask_b32_e32 v0, v6, v0, vcc
	v_lshlrev_b32_e32 v0, 1, v0
	ds_write_b16 v0, v2
	v_sub_u32_e32 v0, v78, v19
	v_sub_u32_e32 v2, v40, v0
	v_and_b32_e32 v6, 1, v52
	v_add_u32_e32 v2, 17, v2
	v_cmp_eq_u32_e32 vcc, 1, v6
	v_cndmask_b32_e32 v0, v2, v0, vcc
	v_lshlrev_b32_e32 v0, 1, v0
	ds_write_b16 v0, v32
	v_sub_u32_e32 v0, v79, v19
	v_sub_u32_e32 v2, v40, v0
	v_and_b32_e32 v6, 1, v51
	v_add_u32_e32 v2, 18, v2
	v_cmp_eq_u32_e32 vcc, 1, v6
	v_cndmask_b32_e32 v0, v2, v0, vcc
	v_lshlrev_b32_e32 v0, 1, v0
	ds_write_b16 v0, v3
	v_sub_u32_e32 v0, v80, v19
	v_sub_u32_e32 v2, v40, v0
	v_and_b32_e32 v3, 1, v50
	v_add_u32_e32 v2, 19, v2
	v_cmp_eq_u32_e32 vcc, 1, v3
	v_cndmask_b32_e32 v0, v2, v0, vcc
	v_add_u32_e32 v81, v80, v89
	v_lshlrev_b32_e32 v0, 1, v0
	ds_write_b16 v0, v31
	v_sub_u32_e32 v0, v81, v19
	v_sub_u32_e32 v2, v40, v0
	v_and_b32_e32 v3, 1, v49
	v_add_u32_e32 v2, 20, v2
	v_cmp_eq_u32_e32 vcc, 1, v3
	v_cndmask_b32_e32 v0, v2, v0, vcc
	v_add_u32_e32 v82, v81, v90
	v_lshlrev_b32_e32 v0, 1, v0
	ds_write_b16 v0, v4
	v_sub_u32_e32 v0, v82, v19
	;; [unrolled: 9-line block ×7, first 2 shown]
	v_sub_u32_e32 v2, v40, v0
	v_and_b32_e32 v3, 1, v42
	v_add_u32_e32 v2, 26, v2
	v_cmp_eq_u32_e32 vcc, 1, v3
	v_cndmask_b32_e32 v0, v2, v0, vcc
	v_lshlrev_b32_e32 v0, 1, v0
	ds_write_b16 v0, v17
	v_sub_u32_sdwa v0, v42, v19 dst_sel:DWORD dst_unused:UNUSED_PAD src0_sel:BYTE_0 src1_sel:DWORD
	v_add_u32_e32 v0, v87, v0
	v_sub_u32_e32 v2, v40, v0
	v_and_b32_e32 v3, 1, v43
	v_add_u32_e32 v2, 27, v2
	v_cmp_eq_u32_e32 vcc, 1, v3
	v_cndmask_b32_e32 v0, v2, v0, vcc
	v_lshlrev_b32_e32 v0, 1, v0
	s_and_b64 s[0:1], s[0:1], s[18:19]
	ds_write_b16 v0, v1
	s_waitcnt lgkmcnt(0)
	s_barrier
	s_and_saveexec_b64 s[2:3], s[0:1]
	s_cbranch_execz .LBB2789_111
; %bb.110:
	s_waitcnt vmcnt(0)
	v_add_co_u32_e32 v0, vcc, v14, v18
	v_addc_co_u32_e32 v1, vcc, 0, v15, vcc
	v_add_co_u32_e32 v0, vcc, v0, v19
	v_mov_b32_e32 v2, 0
	v_addc_co_u32_e32 v1, vcc, 0, v1, vcc
	global_store_dwordx2 v2, v[0:1], s[20:21]
.LBB2789_111:
	s_endpgm
	.section	.rodata,"a",@progbits
	.p2align	6, 0x0
	.amdhsa_kernel _ZN7rocprim17ROCPRIM_400000_NS6detail17trampoline_kernelINS0_14default_configENS1_25partition_config_selectorILNS1_17partition_subalgoE0EsNS0_10empty_typeEbEEZZNS1_14partition_implILS5_0ELb0ES3_jN6thrust23THRUST_200600_302600_NS6detail15normal_iteratorINSA_10device_ptrIsEEEEPS6_SG_NS0_5tupleIJNSA_16discard_iteratorINSA_11use_defaultEEESK_EEENSH_IJSG_SG_EEES6_PlJ7is_evenIsEEEE10hipError_tPvRmT3_T4_T5_T6_T7_T9_mT8_P12ihipStream_tbDpT10_ENKUlT_T0_E_clISt17integral_constantIbLb1EES19_EEDaS14_S15_EUlS14_E_NS1_11comp_targetILNS1_3genE4ELNS1_11target_archE910ELNS1_3gpuE8ELNS1_3repE0EEENS1_30default_config_static_selectorELNS0_4arch9wavefront6targetE1EEEvT1_
		.amdhsa_group_segment_fixed_size 14344
		.amdhsa_private_segment_fixed_size 0
		.amdhsa_kernarg_size 152
		.amdhsa_user_sgpr_count 6
		.amdhsa_user_sgpr_private_segment_buffer 1
		.amdhsa_user_sgpr_dispatch_ptr 0
		.amdhsa_user_sgpr_queue_ptr 0
		.amdhsa_user_sgpr_kernarg_segment_ptr 1
		.amdhsa_user_sgpr_dispatch_id 0
		.amdhsa_user_sgpr_flat_scratch_init 0
		.amdhsa_user_sgpr_kernarg_preload_length 0
		.amdhsa_user_sgpr_kernarg_preload_offset 0
		.amdhsa_user_sgpr_private_segment_size 0
		.amdhsa_uses_dynamic_stack 0
		.amdhsa_system_sgpr_private_segment_wavefront_offset 0
		.amdhsa_system_sgpr_workgroup_id_x 1
		.amdhsa_system_sgpr_workgroup_id_y 0
		.amdhsa_system_sgpr_workgroup_id_z 0
		.amdhsa_system_sgpr_workgroup_info 0
		.amdhsa_system_vgpr_workitem_id 0
		.amdhsa_next_free_vgpr 115
		.amdhsa_next_free_sgpr 36
		.amdhsa_accum_offset 116
		.amdhsa_reserve_vcc 1
		.amdhsa_reserve_flat_scratch 0
		.amdhsa_float_round_mode_32 0
		.amdhsa_float_round_mode_16_64 0
		.amdhsa_float_denorm_mode_32 3
		.amdhsa_float_denorm_mode_16_64 3
		.amdhsa_dx10_clamp 1
		.amdhsa_ieee_mode 1
		.amdhsa_fp16_overflow 0
		.amdhsa_tg_split 0
		.amdhsa_exception_fp_ieee_invalid_op 0
		.amdhsa_exception_fp_denorm_src 0
		.amdhsa_exception_fp_ieee_div_zero 0
		.amdhsa_exception_fp_ieee_overflow 0
		.amdhsa_exception_fp_ieee_underflow 0
		.amdhsa_exception_fp_ieee_inexact 0
		.amdhsa_exception_int_div_zero 0
	.end_amdhsa_kernel
	.section	.text._ZN7rocprim17ROCPRIM_400000_NS6detail17trampoline_kernelINS0_14default_configENS1_25partition_config_selectorILNS1_17partition_subalgoE0EsNS0_10empty_typeEbEEZZNS1_14partition_implILS5_0ELb0ES3_jN6thrust23THRUST_200600_302600_NS6detail15normal_iteratorINSA_10device_ptrIsEEEEPS6_SG_NS0_5tupleIJNSA_16discard_iteratorINSA_11use_defaultEEESK_EEENSH_IJSG_SG_EEES6_PlJ7is_evenIsEEEE10hipError_tPvRmT3_T4_T5_T6_T7_T9_mT8_P12ihipStream_tbDpT10_ENKUlT_T0_E_clISt17integral_constantIbLb1EES19_EEDaS14_S15_EUlS14_E_NS1_11comp_targetILNS1_3genE4ELNS1_11target_archE910ELNS1_3gpuE8ELNS1_3repE0EEENS1_30default_config_static_selectorELNS0_4arch9wavefront6targetE1EEEvT1_,"axG",@progbits,_ZN7rocprim17ROCPRIM_400000_NS6detail17trampoline_kernelINS0_14default_configENS1_25partition_config_selectorILNS1_17partition_subalgoE0EsNS0_10empty_typeEbEEZZNS1_14partition_implILS5_0ELb0ES3_jN6thrust23THRUST_200600_302600_NS6detail15normal_iteratorINSA_10device_ptrIsEEEEPS6_SG_NS0_5tupleIJNSA_16discard_iteratorINSA_11use_defaultEEESK_EEENSH_IJSG_SG_EEES6_PlJ7is_evenIsEEEE10hipError_tPvRmT3_T4_T5_T6_T7_T9_mT8_P12ihipStream_tbDpT10_ENKUlT_T0_E_clISt17integral_constantIbLb1EES19_EEDaS14_S15_EUlS14_E_NS1_11comp_targetILNS1_3genE4ELNS1_11target_archE910ELNS1_3gpuE8ELNS1_3repE0EEENS1_30default_config_static_selectorELNS0_4arch9wavefront6targetE1EEEvT1_,comdat
.Lfunc_end2789:
	.size	_ZN7rocprim17ROCPRIM_400000_NS6detail17trampoline_kernelINS0_14default_configENS1_25partition_config_selectorILNS1_17partition_subalgoE0EsNS0_10empty_typeEbEEZZNS1_14partition_implILS5_0ELb0ES3_jN6thrust23THRUST_200600_302600_NS6detail15normal_iteratorINSA_10device_ptrIsEEEEPS6_SG_NS0_5tupleIJNSA_16discard_iteratorINSA_11use_defaultEEESK_EEENSH_IJSG_SG_EEES6_PlJ7is_evenIsEEEE10hipError_tPvRmT3_T4_T5_T6_T7_T9_mT8_P12ihipStream_tbDpT10_ENKUlT_T0_E_clISt17integral_constantIbLb1EES19_EEDaS14_S15_EUlS14_E_NS1_11comp_targetILNS1_3genE4ELNS1_11target_archE910ELNS1_3gpuE8ELNS1_3repE0EEENS1_30default_config_static_selectorELNS0_4arch9wavefront6targetE1EEEvT1_, .Lfunc_end2789-_ZN7rocprim17ROCPRIM_400000_NS6detail17trampoline_kernelINS0_14default_configENS1_25partition_config_selectorILNS1_17partition_subalgoE0EsNS0_10empty_typeEbEEZZNS1_14partition_implILS5_0ELb0ES3_jN6thrust23THRUST_200600_302600_NS6detail15normal_iteratorINSA_10device_ptrIsEEEEPS6_SG_NS0_5tupleIJNSA_16discard_iteratorINSA_11use_defaultEEESK_EEENSH_IJSG_SG_EEES6_PlJ7is_evenIsEEEE10hipError_tPvRmT3_T4_T5_T6_T7_T9_mT8_P12ihipStream_tbDpT10_ENKUlT_T0_E_clISt17integral_constantIbLb1EES19_EEDaS14_S15_EUlS14_E_NS1_11comp_targetILNS1_3genE4ELNS1_11target_archE910ELNS1_3gpuE8ELNS1_3repE0EEENS1_30default_config_static_selectorELNS0_4arch9wavefront6targetE1EEEvT1_
                                        ; -- End function
	.section	.AMDGPU.csdata,"",@progbits
; Kernel info:
; codeLenInByte = 6644
; NumSgprs: 40
; NumVgprs: 115
; NumAgprs: 0
; TotalNumVgprs: 115
; ScratchSize: 0
; MemoryBound: 0
; FloatMode: 240
; IeeeMode: 1
; LDSByteSize: 14344 bytes/workgroup (compile time only)
; SGPRBlocks: 4
; VGPRBlocks: 14
; NumSGPRsForWavesPerEU: 40
; NumVGPRsForWavesPerEU: 115
; AccumOffset: 116
; Occupancy: 4
; WaveLimiterHint : 1
; COMPUTE_PGM_RSRC2:SCRATCH_EN: 0
; COMPUTE_PGM_RSRC2:USER_SGPR: 6
; COMPUTE_PGM_RSRC2:TRAP_HANDLER: 0
; COMPUTE_PGM_RSRC2:TGID_X_EN: 1
; COMPUTE_PGM_RSRC2:TGID_Y_EN: 0
; COMPUTE_PGM_RSRC2:TGID_Z_EN: 0
; COMPUTE_PGM_RSRC2:TIDIG_COMP_CNT: 0
; COMPUTE_PGM_RSRC3_GFX90A:ACCUM_OFFSET: 28
; COMPUTE_PGM_RSRC3_GFX90A:TG_SPLIT: 0
	.section	.text._ZN7rocprim17ROCPRIM_400000_NS6detail17trampoline_kernelINS0_14default_configENS1_25partition_config_selectorILNS1_17partition_subalgoE0EsNS0_10empty_typeEbEEZZNS1_14partition_implILS5_0ELb0ES3_jN6thrust23THRUST_200600_302600_NS6detail15normal_iteratorINSA_10device_ptrIsEEEEPS6_SG_NS0_5tupleIJNSA_16discard_iteratorINSA_11use_defaultEEESK_EEENSH_IJSG_SG_EEES6_PlJ7is_evenIsEEEE10hipError_tPvRmT3_T4_T5_T6_T7_T9_mT8_P12ihipStream_tbDpT10_ENKUlT_T0_E_clISt17integral_constantIbLb1EES19_EEDaS14_S15_EUlS14_E_NS1_11comp_targetILNS1_3genE3ELNS1_11target_archE908ELNS1_3gpuE7ELNS1_3repE0EEENS1_30default_config_static_selectorELNS0_4arch9wavefront6targetE1EEEvT1_,"axG",@progbits,_ZN7rocprim17ROCPRIM_400000_NS6detail17trampoline_kernelINS0_14default_configENS1_25partition_config_selectorILNS1_17partition_subalgoE0EsNS0_10empty_typeEbEEZZNS1_14partition_implILS5_0ELb0ES3_jN6thrust23THRUST_200600_302600_NS6detail15normal_iteratorINSA_10device_ptrIsEEEEPS6_SG_NS0_5tupleIJNSA_16discard_iteratorINSA_11use_defaultEEESK_EEENSH_IJSG_SG_EEES6_PlJ7is_evenIsEEEE10hipError_tPvRmT3_T4_T5_T6_T7_T9_mT8_P12ihipStream_tbDpT10_ENKUlT_T0_E_clISt17integral_constantIbLb1EES19_EEDaS14_S15_EUlS14_E_NS1_11comp_targetILNS1_3genE3ELNS1_11target_archE908ELNS1_3gpuE7ELNS1_3repE0EEENS1_30default_config_static_selectorELNS0_4arch9wavefront6targetE1EEEvT1_,comdat
	.protected	_ZN7rocprim17ROCPRIM_400000_NS6detail17trampoline_kernelINS0_14default_configENS1_25partition_config_selectorILNS1_17partition_subalgoE0EsNS0_10empty_typeEbEEZZNS1_14partition_implILS5_0ELb0ES3_jN6thrust23THRUST_200600_302600_NS6detail15normal_iteratorINSA_10device_ptrIsEEEEPS6_SG_NS0_5tupleIJNSA_16discard_iteratorINSA_11use_defaultEEESK_EEENSH_IJSG_SG_EEES6_PlJ7is_evenIsEEEE10hipError_tPvRmT3_T4_T5_T6_T7_T9_mT8_P12ihipStream_tbDpT10_ENKUlT_T0_E_clISt17integral_constantIbLb1EES19_EEDaS14_S15_EUlS14_E_NS1_11comp_targetILNS1_3genE3ELNS1_11target_archE908ELNS1_3gpuE7ELNS1_3repE0EEENS1_30default_config_static_selectorELNS0_4arch9wavefront6targetE1EEEvT1_ ; -- Begin function _ZN7rocprim17ROCPRIM_400000_NS6detail17trampoline_kernelINS0_14default_configENS1_25partition_config_selectorILNS1_17partition_subalgoE0EsNS0_10empty_typeEbEEZZNS1_14partition_implILS5_0ELb0ES3_jN6thrust23THRUST_200600_302600_NS6detail15normal_iteratorINSA_10device_ptrIsEEEEPS6_SG_NS0_5tupleIJNSA_16discard_iteratorINSA_11use_defaultEEESK_EEENSH_IJSG_SG_EEES6_PlJ7is_evenIsEEEE10hipError_tPvRmT3_T4_T5_T6_T7_T9_mT8_P12ihipStream_tbDpT10_ENKUlT_T0_E_clISt17integral_constantIbLb1EES19_EEDaS14_S15_EUlS14_E_NS1_11comp_targetILNS1_3genE3ELNS1_11target_archE908ELNS1_3gpuE7ELNS1_3repE0EEENS1_30default_config_static_selectorELNS0_4arch9wavefront6targetE1EEEvT1_
	.globl	_ZN7rocprim17ROCPRIM_400000_NS6detail17trampoline_kernelINS0_14default_configENS1_25partition_config_selectorILNS1_17partition_subalgoE0EsNS0_10empty_typeEbEEZZNS1_14partition_implILS5_0ELb0ES3_jN6thrust23THRUST_200600_302600_NS6detail15normal_iteratorINSA_10device_ptrIsEEEEPS6_SG_NS0_5tupleIJNSA_16discard_iteratorINSA_11use_defaultEEESK_EEENSH_IJSG_SG_EEES6_PlJ7is_evenIsEEEE10hipError_tPvRmT3_T4_T5_T6_T7_T9_mT8_P12ihipStream_tbDpT10_ENKUlT_T0_E_clISt17integral_constantIbLb1EES19_EEDaS14_S15_EUlS14_E_NS1_11comp_targetILNS1_3genE3ELNS1_11target_archE908ELNS1_3gpuE7ELNS1_3repE0EEENS1_30default_config_static_selectorELNS0_4arch9wavefront6targetE1EEEvT1_
	.p2align	8
	.type	_ZN7rocprim17ROCPRIM_400000_NS6detail17trampoline_kernelINS0_14default_configENS1_25partition_config_selectorILNS1_17partition_subalgoE0EsNS0_10empty_typeEbEEZZNS1_14partition_implILS5_0ELb0ES3_jN6thrust23THRUST_200600_302600_NS6detail15normal_iteratorINSA_10device_ptrIsEEEEPS6_SG_NS0_5tupleIJNSA_16discard_iteratorINSA_11use_defaultEEESK_EEENSH_IJSG_SG_EEES6_PlJ7is_evenIsEEEE10hipError_tPvRmT3_T4_T5_T6_T7_T9_mT8_P12ihipStream_tbDpT10_ENKUlT_T0_E_clISt17integral_constantIbLb1EES19_EEDaS14_S15_EUlS14_E_NS1_11comp_targetILNS1_3genE3ELNS1_11target_archE908ELNS1_3gpuE7ELNS1_3repE0EEENS1_30default_config_static_selectorELNS0_4arch9wavefront6targetE1EEEvT1_,@function
_ZN7rocprim17ROCPRIM_400000_NS6detail17trampoline_kernelINS0_14default_configENS1_25partition_config_selectorILNS1_17partition_subalgoE0EsNS0_10empty_typeEbEEZZNS1_14partition_implILS5_0ELb0ES3_jN6thrust23THRUST_200600_302600_NS6detail15normal_iteratorINSA_10device_ptrIsEEEEPS6_SG_NS0_5tupleIJNSA_16discard_iteratorINSA_11use_defaultEEESK_EEENSH_IJSG_SG_EEES6_PlJ7is_evenIsEEEE10hipError_tPvRmT3_T4_T5_T6_T7_T9_mT8_P12ihipStream_tbDpT10_ENKUlT_T0_E_clISt17integral_constantIbLb1EES19_EEDaS14_S15_EUlS14_E_NS1_11comp_targetILNS1_3genE3ELNS1_11target_archE908ELNS1_3gpuE7ELNS1_3repE0EEENS1_30default_config_static_selectorELNS0_4arch9wavefront6targetE1EEEvT1_: ; @_ZN7rocprim17ROCPRIM_400000_NS6detail17trampoline_kernelINS0_14default_configENS1_25partition_config_selectorILNS1_17partition_subalgoE0EsNS0_10empty_typeEbEEZZNS1_14partition_implILS5_0ELb0ES3_jN6thrust23THRUST_200600_302600_NS6detail15normal_iteratorINSA_10device_ptrIsEEEEPS6_SG_NS0_5tupleIJNSA_16discard_iteratorINSA_11use_defaultEEESK_EEENSH_IJSG_SG_EEES6_PlJ7is_evenIsEEEE10hipError_tPvRmT3_T4_T5_T6_T7_T9_mT8_P12ihipStream_tbDpT10_ENKUlT_T0_E_clISt17integral_constantIbLb1EES19_EEDaS14_S15_EUlS14_E_NS1_11comp_targetILNS1_3genE3ELNS1_11target_archE908ELNS1_3gpuE7ELNS1_3repE0EEENS1_30default_config_static_selectorELNS0_4arch9wavefront6targetE1EEEvT1_
; %bb.0:
	.section	.rodata,"a",@progbits
	.p2align	6, 0x0
	.amdhsa_kernel _ZN7rocprim17ROCPRIM_400000_NS6detail17trampoline_kernelINS0_14default_configENS1_25partition_config_selectorILNS1_17partition_subalgoE0EsNS0_10empty_typeEbEEZZNS1_14partition_implILS5_0ELb0ES3_jN6thrust23THRUST_200600_302600_NS6detail15normal_iteratorINSA_10device_ptrIsEEEEPS6_SG_NS0_5tupleIJNSA_16discard_iteratorINSA_11use_defaultEEESK_EEENSH_IJSG_SG_EEES6_PlJ7is_evenIsEEEE10hipError_tPvRmT3_T4_T5_T6_T7_T9_mT8_P12ihipStream_tbDpT10_ENKUlT_T0_E_clISt17integral_constantIbLb1EES19_EEDaS14_S15_EUlS14_E_NS1_11comp_targetILNS1_3genE3ELNS1_11target_archE908ELNS1_3gpuE7ELNS1_3repE0EEENS1_30default_config_static_selectorELNS0_4arch9wavefront6targetE1EEEvT1_
		.amdhsa_group_segment_fixed_size 0
		.amdhsa_private_segment_fixed_size 0
		.amdhsa_kernarg_size 152
		.amdhsa_user_sgpr_count 6
		.amdhsa_user_sgpr_private_segment_buffer 1
		.amdhsa_user_sgpr_dispatch_ptr 0
		.amdhsa_user_sgpr_queue_ptr 0
		.amdhsa_user_sgpr_kernarg_segment_ptr 1
		.amdhsa_user_sgpr_dispatch_id 0
		.amdhsa_user_sgpr_flat_scratch_init 0
		.amdhsa_user_sgpr_kernarg_preload_length 0
		.amdhsa_user_sgpr_kernarg_preload_offset 0
		.amdhsa_user_sgpr_private_segment_size 0
		.amdhsa_uses_dynamic_stack 0
		.amdhsa_system_sgpr_private_segment_wavefront_offset 0
		.amdhsa_system_sgpr_workgroup_id_x 1
		.amdhsa_system_sgpr_workgroup_id_y 0
		.amdhsa_system_sgpr_workgroup_id_z 0
		.amdhsa_system_sgpr_workgroup_info 0
		.amdhsa_system_vgpr_workitem_id 0
		.amdhsa_next_free_vgpr 1
		.amdhsa_next_free_sgpr 0
		.amdhsa_accum_offset 4
		.amdhsa_reserve_vcc 0
		.amdhsa_reserve_flat_scratch 0
		.amdhsa_float_round_mode_32 0
		.amdhsa_float_round_mode_16_64 0
		.amdhsa_float_denorm_mode_32 3
		.amdhsa_float_denorm_mode_16_64 3
		.amdhsa_dx10_clamp 1
		.amdhsa_ieee_mode 1
		.amdhsa_fp16_overflow 0
		.amdhsa_tg_split 0
		.amdhsa_exception_fp_ieee_invalid_op 0
		.amdhsa_exception_fp_denorm_src 0
		.amdhsa_exception_fp_ieee_div_zero 0
		.amdhsa_exception_fp_ieee_overflow 0
		.amdhsa_exception_fp_ieee_underflow 0
		.amdhsa_exception_fp_ieee_inexact 0
		.amdhsa_exception_int_div_zero 0
	.end_amdhsa_kernel
	.section	.text._ZN7rocprim17ROCPRIM_400000_NS6detail17trampoline_kernelINS0_14default_configENS1_25partition_config_selectorILNS1_17partition_subalgoE0EsNS0_10empty_typeEbEEZZNS1_14partition_implILS5_0ELb0ES3_jN6thrust23THRUST_200600_302600_NS6detail15normal_iteratorINSA_10device_ptrIsEEEEPS6_SG_NS0_5tupleIJNSA_16discard_iteratorINSA_11use_defaultEEESK_EEENSH_IJSG_SG_EEES6_PlJ7is_evenIsEEEE10hipError_tPvRmT3_T4_T5_T6_T7_T9_mT8_P12ihipStream_tbDpT10_ENKUlT_T0_E_clISt17integral_constantIbLb1EES19_EEDaS14_S15_EUlS14_E_NS1_11comp_targetILNS1_3genE3ELNS1_11target_archE908ELNS1_3gpuE7ELNS1_3repE0EEENS1_30default_config_static_selectorELNS0_4arch9wavefront6targetE1EEEvT1_,"axG",@progbits,_ZN7rocprim17ROCPRIM_400000_NS6detail17trampoline_kernelINS0_14default_configENS1_25partition_config_selectorILNS1_17partition_subalgoE0EsNS0_10empty_typeEbEEZZNS1_14partition_implILS5_0ELb0ES3_jN6thrust23THRUST_200600_302600_NS6detail15normal_iteratorINSA_10device_ptrIsEEEEPS6_SG_NS0_5tupleIJNSA_16discard_iteratorINSA_11use_defaultEEESK_EEENSH_IJSG_SG_EEES6_PlJ7is_evenIsEEEE10hipError_tPvRmT3_T4_T5_T6_T7_T9_mT8_P12ihipStream_tbDpT10_ENKUlT_T0_E_clISt17integral_constantIbLb1EES19_EEDaS14_S15_EUlS14_E_NS1_11comp_targetILNS1_3genE3ELNS1_11target_archE908ELNS1_3gpuE7ELNS1_3repE0EEENS1_30default_config_static_selectorELNS0_4arch9wavefront6targetE1EEEvT1_,comdat
.Lfunc_end2790:
	.size	_ZN7rocprim17ROCPRIM_400000_NS6detail17trampoline_kernelINS0_14default_configENS1_25partition_config_selectorILNS1_17partition_subalgoE0EsNS0_10empty_typeEbEEZZNS1_14partition_implILS5_0ELb0ES3_jN6thrust23THRUST_200600_302600_NS6detail15normal_iteratorINSA_10device_ptrIsEEEEPS6_SG_NS0_5tupleIJNSA_16discard_iteratorINSA_11use_defaultEEESK_EEENSH_IJSG_SG_EEES6_PlJ7is_evenIsEEEE10hipError_tPvRmT3_T4_T5_T6_T7_T9_mT8_P12ihipStream_tbDpT10_ENKUlT_T0_E_clISt17integral_constantIbLb1EES19_EEDaS14_S15_EUlS14_E_NS1_11comp_targetILNS1_3genE3ELNS1_11target_archE908ELNS1_3gpuE7ELNS1_3repE0EEENS1_30default_config_static_selectorELNS0_4arch9wavefront6targetE1EEEvT1_, .Lfunc_end2790-_ZN7rocprim17ROCPRIM_400000_NS6detail17trampoline_kernelINS0_14default_configENS1_25partition_config_selectorILNS1_17partition_subalgoE0EsNS0_10empty_typeEbEEZZNS1_14partition_implILS5_0ELb0ES3_jN6thrust23THRUST_200600_302600_NS6detail15normal_iteratorINSA_10device_ptrIsEEEEPS6_SG_NS0_5tupleIJNSA_16discard_iteratorINSA_11use_defaultEEESK_EEENSH_IJSG_SG_EEES6_PlJ7is_evenIsEEEE10hipError_tPvRmT3_T4_T5_T6_T7_T9_mT8_P12ihipStream_tbDpT10_ENKUlT_T0_E_clISt17integral_constantIbLb1EES19_EEDaS14_S15_EUlS14_E_NS1_11comp_targetILNS1_3genE3ELNS1_11target_archE908ELNS1_3gpuE7ELNS1_3repE0EEENS1_30default_config_static_selectorELNS0_4arch9wavefront6targetE1EEEvT1_
                                        ; -- End function
	.section	.AMDGPU.csdata,"",@progbits
; Kernel info:
; codeLenInByte = 0
; NumSgprs: 4
; NumVgprs: 0
; NumAgprs: 0
; TotalNumVgprs: 0
; ScratchSize: 0
; MemoryBound: 0
; FloatMode: 240
; IeeeMode: 1
; LDSByteSize: 0 bytes/workgroup (compile time only)
; SGPRBlocks: 0
; VGPRBlocks: 0
; NumSGPRsForWavesPerEU: 4
; NumVGPRsForWavesPerEU: 1
; AccumOffset: 4
; Occupancy: 8
; WaveLimiterHint : 0
; COMPUTE_PGM_RSRC2:SCRATCH_EN: 0
; COMPUTE_PGM_RSRC2:USER_SGPR: 6
; COMPUTE_PGM_RSRC2:TRAP_HANDLER: 0
; COMPUTE_PGM_RSRC2:TGID_X_EN: 1
; COMPUTE_PGM_RSRC2:TGID_Y_EN: 0
; COMPUTE_PGM_RSRC2:TGID_Z_EN: 0
; COMPUTE_PGM_RSRC2:TIDIG_COMP_CNT: 0
; COMPUTE_PGM_RSRC3_GFX90A:ACCUM_OFFSET: 0
; COMPUTE_PGM_RSRC3_GFX90A:TG_SPLIT: 0
	.section	.text._ZN7rocprim17ROCPRIM_400000_NS6detail17trampoline_kernelINS0_14default_configENS1_25partition_config_selectorILNS1_17partition_subalgoE0EsNS0_10empty_typeEbEEZZNS1_14partition_implILS5_0ELb0ES3_jN6thrust23THRUST_200600_302600_NS6detail15normal_iteratorINSA_10device_ptrIsEEEEPS6_SG_NS0_5tupleIJNSA_16discard_iteratorINSA_11use_defaultEEESK_EEENSH_IJSG_SG_EEES6_PlJ7is_evenIsEEEE10hipError_tPvRmT3_T4_T5_T6_T7_T9_mT8_P12ihipStream_tbDpT10_ENKUlT_T0_E_clISt17integral_constantIbLb1EES19_EEDaS14_S15_EUlS14_E_NS1_11comp_targetILNS1_3genE2ELNS1_11target_archE906ELNS1_3gpuE6ELNS1_3repE0EEENS1_30default_config_static_selectorELNS0_4arch9wavefront6targetE1EEEvT1_,"axG",@progbits,_ZN7rocprim17ROCPRIM_400000_NS6detail17trampoline_kernelINS0_14default_configENS1_25partition_config_selectorILNS1_17partition_subalgoE0EsNS0_10empty_typeEbEEZZNS1_14partition_implILS5_0ELb0ES3_jN6thrust23THRUST_200600_302600_NS6detail15normal_iteratorINSA_10device_ptrIsEEEEPS6_SG_NS0_5tupleIJNSA_16discard_iteratorINSA_11use_defaultEEESK_EEENSH_IJSG_SG_EEES6_PlJ7is_evenIsEEEE10hipError_tPvRmT3_T4_T5_T6_T7_T9_mT8_P12ihipStream_tbDpT10_ENKUlT_T0_E_clISt17integral_constantIbLb1EES19_EEDaS14_S15_EUlS14_E_NS1_11comp_targetILNS1_3genE2ELNS1_11target_archE906ELNS1_3gpuE6ELNS1_3repE0EEENS1_30default_config_static_selectorELNS0_4arch9wavefront6targetE1EEEvT1_,comdat
	.protected	_ZN7rocprim17ROCPRIM_400000_NS6detail17trampoline_kernelINS0_14default_configENS1_25partition_config_selectorILNS1_17partition_subalgoE0EsNS0_10empty_typeEbEEZZNS1_14partition_implILS5_0ELb0ES3_jN6thrust23THRUST_200600_302600_NS6detail15normal_iteratorINSA_10device_ptrIsEEEEPS6_SG_NS0_5tupleIJNSA_16discard_iteratorINSA_11use_defaultEEESK_EEENSH_IJSG_SG_EEES6_PlJ7is_evenIsEEEE10hipError_tPvRmT3_T4_T5_T6_T7_T9_mT8_P12ihipStream_tbDpT10_ENKUlT_T0_E_clISt17integral_constantIbLb1EES19_EEDaS14_S15_EUlS14_E_NS1_11comp_targetILNS1_3genE2ELNS1_11target_archE906ELNS1_3gpuE6ELNS1_3repE0EEENS1_30default_config_static_selectorELNS0_4arch9wavefront6targetE1EEEvT1_ ; -- Begin function _ZN7rocprim17ROCPRIM_400000_NS6detail17trampoline_kernelINS0_14default_configENS1_25partition_config_selectorILNS1_17partition_subalgoE0EsNS0_10empty_typeEbEEZZNS1_14partition_implILS5_0ELb0ES3_jN6thrust23THRUST_200600_302600_NS6detail15normal_iteratorINSA_10device_ptrIsEEEEPS6_SG_NS0_5tupleIJNSA_16discard_iteratorINSA_11use_defaultEEESK_EEENSH_IJSG_SG_EEES6_PlJ7is_evenIsEEEE10hipError_tPvRmT3_T4_T5_T6_T7_T9_mT8_P12ihipStream_tbDpT10_ENKUlT_T0_E_clISt17integral_constantIbLb1EES19_EEDaS14_S15_EUlS14_E_NS1_11comp_targetILNS1_3genE2ELNS1_11target_archE906ELNS1_3gpuE6ELNS1_3repE0EEENS1_30default_config_static_selectorELNS0_4arch9wavefront6targetE1EEEvT1_
	.globl	_ZN7rocprim17ROCPRIM_400000_NS6detail17trampoline_kernelINS0_14default_configENS1_25partition_config_selectorILNS1_17partition_subalgoE0EsNS0_10empty_typeEbEEZZNS1_14partition_implILS5_0ELb0ES3_jN6thrust23THRUST_200600_302600_NS6detail15normal_iteratorINSA_10device_ptrIsEEEEPS6_SG_NS0_5tupleIJNSA_16discard_iteratorINSA_11use_defaultEEESK_EEENSH_IJSG_SG_EEES6_PlJ7is_evenIsEEEE10hipError_tPvRmT3_T4_T5_T6_T7_T9_mT8_P12ihipStream_tbDpT10_ENKUlT_T0_E_clISt17integral_constantIbLb1EES19_EEDaS14_S15_EUlS14_E_NS1_11comp_targetILNS1_3genE2ELNS1_11target_archE906ELNS1_3gpuE6ELNS1_3repE0EEENS1_30default_config_static_selectorELNS0_4arch9wavefront6targetE1EEEvT1_
	.p2align	8
	.type	_ZN7rocprim17ROCPRIM_400000_NS6detail17trampoline_kernelINS0_14default_configENS1_25partition_config_selectorILNS1_17partition_subalgoE0EsNS0_10empty_typeEbEEZZNS1_14partition_implILS5_0ELb0ES3_jN6thrust23THRUST_200600_302600_NS6detail15normal_iteratorINSA_10device_ptrIsEEEEPS6_SG_NS0_5tupleIJNSA_16discard_iteratorINSA_11use_defaultEEESK_EEENSH_IJSG_SG_EEES6_PlJ7is_evenIsEEEE10hipError_tPvRmT3_T4_T5_T6_T7_T9_mT8_P12ihipStream_tbDpT10_ENKUlT_T0_E_clISt17integral_constantIbLb1EES19_EEDaS14_S15_EUlS14_E_NS1_11comp_targetILNS1_3genE2ELNS1_11target_archE906ELNS1_3gpuE6ELNS1_3repE0EEENS1_30default_config_static_selectorELNS0_4arch9wavefront6targetE1EEEvT1_,@function
_ZN7rocprim17ROCPRIM_400000_NS6detail17trampoline_kernelINS0_14default_configENS1_25partition_config_selectorILNS1_17partition_subalgoE0EsNS0_10empty_typeEbEEZZNS1_14partition_implILS5_0ELb0ES3_jN6thrust23THRUST_200600_302600_NS6detail15normal_iteratorINSA_10device_ptrIsEEEEPS6_SG_NS0_5tupleIJNSA_16discard_iteratorINSA_11use_defaultEEESK_EEENSH_IJSG_SG_EEES6_PlJ7is_evenIsEEEE10hipError_tPvRmT3_T4_T5_T6_T7_T9_mT8_P12ihipStream_tbDpT10_ENKUlT_T0_E_clISt17integral_constantIbLb1EES19_EEDaS14_S15_EUlS14_E_NS1_11comp_targetILNS1_3genE2ELNS1_11target_archE906ELNS1_3gpuE6ELNS1_3repE0EEENS1_30default_config_static_selectorELNS0_4arch9wavefront6targetE1EEEvT1_: ; @_ZN7rocprim17ROCPRIM_400000_NS6detail17trampoline_kernelINS0_14default_configENS1_25partition_config_selectorILNS1_17partition_subalgoE0EsNS0_10empty_typeEbEEZZNS1_14partition_implILS5_0ELb0ES3_jN6thrust23THRUST_200600_302600_NS6detail15normal_iteratorINSA_10device_ptrIsEEEEPS6_SG_NS0_5tupleIJNSA_16discard_iteratorINSA_11use_defaultEEESK_EEENSH_IJSG_SG_EEES6_PlJ7is_evenIsEEEE10hipError_tPvRmT3_T4_T5_T6_T7_T9_mT8_P12ihipStream_tbDpT10_ENKUlT_T0_E_clISt17integral_constantIbLb1EES19_EEDaS14_S15_EUlS14_E_NS1_11comp_targetILNS1_3genE2ELNS1_11target_archE906ELNS1_3gpuE6ELNS1_3repE0EEENS1_30default_config_static_selectorELNS0_4arch9wavefront6targetE1EEEvT1_
; %bb.0:
	.section	.rodata,"a",@progbits
	.p2align	6, 0x0
	.amdhsa_kernel _ZN7rocprim17ROCPRIM_400000_NS6detail17trampoline_kernelINS0_14default_configENS1_25partition_config_selectorILNS1_17partition_subalgoE0EsNS0_10empty_typeEbEEZZNS1_14partition_implILS5_0ELb0ES3_jN6thrust23THRUST_200600_302600_NS6detail15normal_iteratorINSA_10device_ptrIsEEEEPS6_SG_NS0_5tupleIJNSA_16discard_iteratorINSA_11use_defaultEEESK_EEENSH_IJSG_SG_EEES6_PlJ7is_evenIsEEEE10hipError_tPvRmT3_T4_T5_T6_T7_T9_mT8_P12ihipStream_tbDpT10_ENKUlT_T0_E_clISt17integral_constantIbLb1EES19_EEDaS14_S15_EUlS14_E_NS1_11comp_targetILNS1_3genE2ELNS1_11target_archE906ELNS1_3gpuE6ELNS1_3repE0EEENS1_30default_config_static_selectorELNS0_4arch9wavefront6targetE1EEEvT1_
		.amdhsa_group_segment_fixed_size 0
		.amdhsa_private_segment_fixed_size 0
		.amdhsa_kernarg_size 152
		.amdhsa_user_sgpr_count 6
		.amdhsa_user_sgpr_private_segment_buffer 1
		.amdhsa_user_sgpr_dispatch_ptr 0
		.amdhsa_user_sgpr_queue_ptr 0
		.amdhsa_user_sgpr_kernarg_segment_ptr 1
		.amdhsa_user_sgpr_dispatch_id 0
		.amdhsa_user_sgpr_flat_scratch_init 0
		.amdhsa_user_sgpr_kernarg_preload_length 0
		.amdhsa_user_sgpr_kernarg_preload_offset 0
		.amdhsa_user_sgpr_private_segment_size 0
		.amdhsa_uses_dynamic_stack 0
		.amdhsa_system_sgpr_private_segment_wavefront_offset 0
		.amdhsa_system_sgpr_workgroup_id_x 1
		.amdhsa_system_sgpr_workgroup_id_y 0
		.amdhsa_system_sgpr_workgroup_id_z 0
		.amdhsa_system_sgpr_workgroup_info 0
		.amdhsa_system_vgpr_workitem_id 0
		.amdhsa_next_free_vgpr 1
		.amdhsa_next_free_sgpr 0
		.amdhsa_accum_offset 4
		.amdhsa_reserve_vcc 0
		.amdhsa_reserve_flat_scratch 0
		.amdhsa_float_round_mode_32 0
		.amdhsa_float_round_mode_16_64 0
		.amdhsa_float_denorm_mode_32 3
		.amdhsa_float_denorm_mode_16_64 3
		.amdhsa_dx10_clamp 1
		.amdhsa_ieee_mode 1
		.amdhsa_fp16_overflow 0
		.amdhsa_tg_split 0
		.amdhsa_exception_fp_ieee_invalid_op 0
		.amdhsa_exception_fp_denorm_src 0
		.amdhsa_exception_fp_ieee_div_zero 0
		.amdhsa_exception_fp_ieee_overflow 0
		.amdhsa_exception_fp_ieee_underflow 0
		.amdhsa_exception_fp_ieee_inexact 0
		.amdhsa_exception_int_div_zero 0
	.end_amdhsa_kernel
	.section	.text._ZN7rocprim17ROCPRIM_400000_NS6detail17trampoline_kernelINS0_14default_configENS1_25partition_config_selectorILNS1_17partition_subalgoE0EsNS0_10empty_typeEbEEZZNS1_14partition_implILS5_0ELb0ES3_jN6thrust23THRUST_200600_302600_NS6detail15normal_iteratorINSA_10device_ptrIsEEEEPS6_SG_NS0_5tupleIJNSA_16discard_iteratorINSA_11use_defaultEEESK_EEENSH_IJSG_SG_EEES6_PlJ7is_evenIsEEEE10hipError_tPvRmT3_T4_T5_T6_T7_T9_mT8_P12ihipStream_tbDpT10_ENKUlT_T0_E_clISt17integral_constantIbLb1EES19_EEDaS14_S15_EUlS14_E_NS1_11comp_targetILNS1_3genE2ELNS1_11target_archE906ELNS1_3gpuE6ELNS1_3repE0EEENS1_30default_config_static_selectorELNS0_4arch9wavefront6targetE1EEEvT1_,"axG",@progbits,_ZN7rocprim17ROCPRIM_400000_NS6detail17trampoline_kernelINS0_14default_configENS1_25partition_config_selectorILNS1_17partition_subalgoE0EsNS0_10empty_typeEbEEZZNS1_14partition_implILS5_0ELb0ES3_jN6thrust23THRUST_200600_302600_NS6detail15normal_iteratorINSA_10device_ptrIsEEEEPS6_SG_NS0_5tupleIJNSA_16discard_iteratorINSA_11use_defaultEEESK_EEENSH_IJSG_SG_EEES6_PlJ7is_evenIsEEEE10hipError_tPvRmT3_T4_T5_T6_T7_T9_mT8_P12ihipStream_tbDpT10_ENKUlT_T0_E_clISt17integral_constantIbLb1EES19_EEDaS14_S15_EUlS14_E_NS1_11comp_targetILNS1_3genE2ELNS1_11target_archE906ELNS1_3gpuE6ELNS1_3repE0EEENS1_30default_config_static_selectorELNS0_4arch9wavefront6targetE1EEEvT1_,comdat
.Lfunc_end2791:
	.size	_ZN7rocprim17ROCPRIM_400000_NS6detail17trampoline_kernelINS0_14default_configENS1_25partition_config_selectorILNS1_17partition_subalgoE0EsNS0_10empty_typeEbEEZZNS1_14partition_implILS5_0ELb0ES3_jN6thrust23THRUST_200600_302600_NS6detail15normal_iteratorINSA_10device_ptrIsEEEEPS6_SG_NS0_5tupleIJNSA_16discard_iteratorINSA_11use_defaultEEESK_EEENSH_IJSG_SG_EEES6_PlJ7is_evenIsEEEE10hipError_tPvRmT3_T4_T5_T6_T7_T9_mT8_P12ihipStream_tbDpT10_ENKUlT_T0_E_clISt17integral_constantIbLb1EES19_EEDaS14_S15_EUlS14_E_NS1_11comp_targetILNS1_3genE2ELNS1_11target_archE906ELNS1_3gpuE6ELNS1_3repE0EEENS1_30default_config_static_selectorELNS0_4arch9wavefront6targetE1EEEvT1_, .Lfunc_end2791-_ZN7rocprim17ROCPRIM_400000_NS6detail17trampoline_kernelINS0_14default_configENS1_25partition_config_selectorILNS1_17partition_subalgoE0EsNS0_10empty_typeEbEEZZNS1_14partition_implILS5_0ELb0ES3_jN6thrust23THRUST_200600_302600_NS6detail15normal_iteratorINSA_10device_ptrIsEEEEPS6_SG_NS0_5tupleIJNSA_16discard_iteratorINSA_11use_defaultEEESK_EEENSH_IJSG_SG_EEES6_PlJ7is_evenIsEEEE10hipError_tPvRmT3_T4_T5_T6_T7_T9_mT8_P12ihipStream_tbDpT10_ENKUlT_T0_E_clISt17integral_constantIbLb1EES19_EEDaS14_S15_EUlS14_E_NS1_11comp_targetILNS1_3genE2ELNS1_11target_archE906ELNS1_3gpuE6ELNS1_3repE0EEENS1_30default_config_static_selectorELNS0_4arch9wavefront6targetE1EEEvT1_
                                        ; -- End function
	.section	.AMDGPU.csdata,"",@progbits
; Kernel info:
; codeLenInByte = 0
; NumSgprs: 4
; NumVgprs: 0
; NumAgprs: 0
; TotalNumVgprs: 0
; ScratchSize: 0
; MemoryBound: 0
; FloatMode: 240
; IeeeMode: 1
; LDSByteSize: 0 bytes/workgroup (compile time only)
; SGPRBlocks: 0
; VGPRBlocks: 0
; NumSGPRsForWavesPerEU: 4
; NumVGPRsForWavesPerEU: 1
; AccumOffset: 4
; Occupancy: 8
; WaveLimiterHint : 0
; COMPUTE_PGM_RSRC2:SCRATCH_EN: 0
; COMPUTE_PGM_RSRC2:USER_SGPR: 6
; COMPUTE_PGM_RSRC2:TRAP_HANDLER: 0
; COMPUTE_PGM_RSRC2:TGID_X_EN: 1
; COMPUTE_PGM_RSRC2:TGID_Y_EN: 0
; COMPUTE_PGM_RSRC2:TGID_Z_EN: 0
; COMPUTE_PGM_RSRC2:TIDIG_COMP_CNT: 0
; COMPUTE_PGM_RSRC3_GFX90A:ACCUM_OFFSET: 0
; COMPUTE_PGM_RSRC3_GFX90A:TG_SPLIT: 0
	.section	.text._ZN7rocprim17ROCPRIM_400000_NS6detail17trampoline_kernelINS0_14default_configENS1_25partition_config_selectorILNS1_17partition_subalgoE0EsNS0_10empty_typeEbEEZZNS1_14partition_implILS5_0ELb0ES3_jN6thrust23THRUST_200600_302600_NS6detail15normal_iteratorINSA_10device_ptrIsEEEEPS6_SG_NS0_5tupleIJNSA_16discard_iteratorINSA_11use_defaultEEESK_EEENSH_IJSG_SG_EEES6_PlJ7is_evenIsEEEE10hipError_tPvRmT3_T4_T5_T6_T7_T9_mT8_P12ihipStream_tbDpT10_ENKUlT_T0_E_clISt17integral_constantIbLb1EES19_EEDaS14_S15_EUlS14_E_NS1_11comp_targetILNS1_3genE10ELNS1_11target_archE1200ELNS1_3gpuE4ELNS1_3repE0EEENS1_30default_config_static_selectorELNS0_4arch9wavefront6targetE1EEEvT1_,"axG",@progbits,_ZN7rocprim17ROCPRIM_400000_NS6detail17trampoline_kernelINS0_14default_configENS1_25partition_config_selectorILNS1_17partition_subalgoE0EsNS0_10empty_typeEbEEZZNS1_14partition_implILS5_0ELb0ES3_jN6thrust23THRUST_200600_302600_NS6detail15normal_iteratorINSA_10device_ptrIsEEEEPS6_SG_NS0_5tupleIJNSA_16discard_iteratorINSA_11use_defaultEEESK_EEENSH_IJSG_SG_EEES6_PlJ7is_evenIsEEEE10hipError_tPvRmT3_T4_T5_T6_T7_T9_mT8_P12ihipStream_tbDpT10_ENKUlT_T0_E_clISt17integral_constantIbLb1EES19_EEDaS14_S15_EUlS14_E_NS1_11comp_targetILNS1_3genE10ELNS1_11target_archE1200ELNS1_3gpuE4ELNS1_3repE0EEENS1_30default_config_static_selectorELNS0_4arch9wavefront6targetE1EEEvT1_,comdat
	.protected	_ZN7rocprim17ROCPRIM_400000_NS6detail17trampoline_kernelINS0_14default_configENS1_25partition_config_selectorILNS1_17partition_subalgoE0EsNS0_10empty_typeEbEEZZNS1_14partition_implILS5_0ELb0ES3_jN6thrust23THRUST_200600_302600_NS6detail15normal_iteratorINSA_10device_ptrIsEEEEPS6_SG_NS0_5tupleIJNSA_16discard_iteratorINSA_11use_defaultEEESK_EEENSH_IJSG_SG_EEES6_PlJ7is_evenIsEEEE10hipError_tPvRmT3_T4_T5_T6_T7_T9_mT8_P12ihipStream_tbDpT10_ENKUlT_T0_E_clISt17integral_constantIbLb1EES19_EEDaS14_S15_EUlS14_E_NS1_11comp_targetILNS1_3genE10ELNS1_11target_archE1200ELNS1_3gpuE4ELNS1_3repE0EEENS1_30default_config_static_selectorELNS0_4arch9wavefront6targetE1EEEvT1_ ; -- Begin function _ZN7rocprim17ROCPRIM_400000_NS6detail17trampoline_kernelINS0_14default_configENS1_25partition_config_selectorILNS1_17partition_subalgoE0EsNS0_10empty_typeEbEEZZNS1_14partition_implILS5_0ELb0ES3_jN6thrust23THRUST_200600_302600_NS6detail15normal_iteratorINSA_10device_ptrIsEEEEPS6_SG_NS0_5tupleIJNSA_16discard_iteratorINSA_11use_defaultEEESK_EEENSH_IJSG_SG_EEES6_PlJ7is_evenIsEEEE10hipError_tPvRmT3_T4_T5_T6_T7_T9_mT8_P12ihipStream_tbDpT10_ENKUlT_T0_E_clISt17integral_constantIbLb1EES19_EEDaS14_S15_EUlS14_E_NS1_11comp_targetILNS1_3genE10ELNS1_11target_archE1200ELNS1_3gpuE4ELNS1_3repE0EEENS1_30default_config_static_selectorELNS0_4arch9wavefront6targetE1EEEvT1_
	.globl	_ZN7rocprim17ROCPRIM_400000_NS6detail17trampoline_kernelINS0_14default_configENS1_25partition_config_selectorILNS1_17partition_subalgoE0EsNS0_10empty_typeEbEEZZNS1_14partition_implILS5_0ELb0ES3_jN6thrust23THRUST_200600_302600_NS6detail15normal_iteratorINSA_10device_ptrIsEEEEPS6_SG_NS0_5tupleIJNSA_16discard_iteratorINSA_11use_defaultEEESK_EEENSH_IJSG_SG_EEES6_PlJ7is_evenIsEEEE10hipError_tPvRmT3_T4_T5_T6_T7_T9_mT8_P12ihipStream_tbDpT10_ENKUlT_T0_E_clISt17integral_constantIbLb1EES19_EEDaS14_S15_EUlS14_E_NS1_11comp_targetILNS1_3genE10ELNS1_11target_archE1200ELNS1_3gpuE4ELNS1_3repE0EEENS1_30default_config_static_selectorELNS0_4arch9wavefront6targetE1EEEvT1_
	.p2align	8
	.type	_ZN7rocprim17ROCPRIM_400000_NS6detail17trampoline_kernelINS0_14default_configENS1_25partition_config_selectorILNS1_17partition_subalgoE0EsNS0_10empty_typeEbEEZZNS1_14partition_implILS5_0ELb0ES3_jN6thrust23THRUST_200600_302600_NS6detail15normal_iteratorINSA_10device_ptrIsEEEEPS6_SG_NS0_5tupleIJNSA_16discard_iteratorINSA_11use_defaultEEESK_EEENSH_IJSG_SG_EEES6_PlJ7is_evenIsEEEE10hipError_tPvRmT3_T4_T5_T6_T7_T9_mT8_P12ihipStream_tbDpT10_ENKUlT_T0_E_clISt17integral_constantIbLb1EES19_EEDaS14_S15_EUlS14_E_NS1_11comp_targetILNS1_3genE10ELNS1_11target_archE1200ELNS1_3gpuE4ELNS1_3repE0EEENS1_30default_config_static_selectorELNS0_4arch9wavefront6targetE1EEEvT1_,@function
_ZN7rocprim17ROCPRIM_400000_NS6detail17trampoline_kernelINS0_14default_configENS1_25partition_config_selectorILNS1_17partition_subalgoE0EsNS0_10empty_typeEbEEZZNS1_14partition_implILS5_0ELb0ES3_jN6thrust23THRUST_200600_302600_NS6detail15normal_iteratorINSA_10device_ptrIsEEEEPS6_SG_NS0_5tupleIJNSA_16discard_iteratorINSA_11use_defaultEEESK_EEENSH_IJSG_SG_EEES6_PlJ7is_evenIsEEEE10hipError_tPvRmT3_T4_T5_T6_T7_T9_mT8_P12ihipStream_tbDpT10_ENKUlT_T0_E_clISt17integral_constantIbLb1EES19_EEDaS14_S15_EUlS14_E_NS1_11comp_targetILNS1_3genE10ELNS1_11target_archE1200ELNS1_3gpuE4ELNS1_3repE0EEENS1_30default_config_static_selectorELNS0_4arch9wavefront6targetE1EEEvT1_: ; @_ZN7rocprim17ROCPRIM_400000_NS6detail17trampoline_kernelINS0_14default_configENS1_25partition_config_selectorILNS1_17partition_subalgoE0EsNS0_10empty_typeEbEEZZNS1_14partition_implILS5_0ELb0ES3_jN6thrust23THRUST_200600_302600_NS6detail15normal_iteratorINSA_10device_ptrIsEEEEPS6_SG_NS0_5tupleIJNSA_16discard_iteratorINSA_11use_defaultEEESK_EEENSH_IJSG_SG_EEES6_PlJ7is_evenIsEEEE10hipError_tPvRmT3_T4_T5_T6_T7_T9_mT8_P12ihipStream_tbDpT10_ENKUlT_T0_E_clISt17integral_constantIbLb1EES19_EEDaS14_S15_EUlS14_E_NS1_11comp_targetILNS1_3genE10ELNS1_11target_archE1200ELNS1_3gpuE4ELNS1_3repE0EEENS1_30default_config_static_selectorELNS0_4arch9wavefront6targetE1EEEvT1_
; %bb.0:
	.section	.rodata,"a",@progbits
	.p2align	6, 0x0
	.amdhsa_kernel _ZN7rocprim17ROCPRIM_400000_NS6detail17trampoline_kernelINS0_14default_configENS1_25partition_config_selectorILNS1_17partition_subalgoE0EsNS0_10empty_typeEbEEZZNS1_14partition_implILS5_0ELb0ES3_jN6thrust23THRUST_200600_302600_NS6detail15normal_iteratorINSA_10device_ptrIsEEEEPS6_SG_NS0_5tupleIJNSA_16discard_iteratorINSA_11use_defaultEEESK_EEENSH_IJSG_SG_EEES6_PlJ7is_evenIsEEEE10hipError_tPvRmT3_T4_T5_T6_T7_T9_mT8_P12ihipStream_tbDpT10_ENKUlT_T0_E_clISt17integral_constantIbLb1EES19_EEDaS14_S15_EUlS14_E_NS1_11comp_targetILNS1_3genE10ELNS1_11target_archE1200ELNS1_3gpuE4ELNS1_3repE0EEENS1_30default_config_static_selectorELNS0_4arch9wavefront6targetE1EEEvT1_
		.amdhsa_group_segment_fixed_size 0
		.amdhsa_private_segment_fixed_size 0
		.amdhsa_kernarg_size 152
		.amdhsa_user_sgpr_count 6
		.amdhsa_user_sgpr_private_segment_buffer 1
		.amdhsa_user_sgpr_dispatch_ptr 0
		.amdhsa_user_sgpr_queue_ptr 0
		.amdhsa_user_sgpr_kernarg_segment_ptr 1
		.amdhsa_user_sgpr_dispatch_id 0
		.amdhsa_user_sgpr_flat_scratch_init 0
		.amdhsa_user_sgpr_kernarg_preload_length 0
		.amdhsa_user_sgpr_kernarg_preload_offset 0
		.amdhsa_user_sgpr_private_segment_size 0
		.amdhsa_uses_dynamic_stack 0
		.amdhsa_system_sgpr_private_segment_wavefront_offset 0
		.amdhsa_system_sgpr_workgroup_id_x 1
		.amdhsa_system_sgpr_workgroup_id_y 0
		.amdhsa_system_sgpr_workgroup_id_z 0
		.amdhsa_system_sgpr_workgroup_info 0
		.amdhsa_system_vgpr_workitem_id 0
		.amdhsa_next_free_vgpr 1
		.amdhsa_next_free_sgpr 0
		.amdhsa_accum_offset 4
		.amdhsa_reserve_vcc 0
		.amdhsa_reserve_flat_scratch 0
		.amdhsa_float_round_mode_32 0
		.amdhsa_float_round_mode_16_64 0
		.amdhsa_float_denorm_mode_32 3
		.amdhsa_float_denorm_mode_16_64 3
		.amdhsa_dx10_clamp 1
		.amdhsa_ieee_mode 1
		.amdhsa_fp16_overflow 0
		.amdhsa_tg_split 0
		.amdhsa_exception_fp_ieee_invalid_op 0
		.amdhsa_exception_fp_denorm_src 0
		.amdhsa_exception_fp_ieee_div_zero 0
		.amdhsa_exception_fp_ieee_overflow 0
		.amdhsa_exception_fp_ieee_underflow 0
		.amdhsa_exception_fp_ieee_inexact 0
		.amdhsa_exception_int_div_zero 0
	.end_amdhsa_kernel
	.section	.text._ZN7rocprim17ROCPRIM_400000_NS6detail17trampoline_kernelINS0_14default_configENS1_25partition_config_selectorILNS1_17partition_subalgoE0EsNS0_10empty_typeEbEEZZNS1_14partition_implILS5_0ELb0ES3_jN6thrust23THRUST_200600_302600_NS6detail15normal_iteratorINSA_10device_ptrIsEEEEPS6_SG_NS0_5tupleIJNSA_16discard_iteratorINSA_11use_defaultEEESK_EEENSH_IJSG_SG_EEES6_PlJ7is_evenIsEEEE10hipError_tPvRmT3_T4_T5_T6_T7_T9_mT8_P12ihipStream_tbDpT10_ENKUlT_T0_E_clISt17integral_constantIbLb1EES19_EEDaS14_S15_EUlS14_E_NS1_11comp_targetILNS1_3genE10ELNS1_11target_archE1200ELNS1_3gpuE4ELNS1_3repE0EEENS1_30default_config_static_selectorELNS0_4arch9wavefront6targetE1EEEvT1_,"axG",@progbits,_ZN7rocprim17ROCPRIM_400000_NS6detail17trampoline_kernelINS0_14default_configENS1_25partition_config_selectorILNS1_17partition_subalgoE0EsNS0_10empty_typeEbEEZZNS1_14partition_implILS5_0ELb0ES3_jN6thrust23THRUST_200600_302600_NS6detail15normal_iteratorINSA_10device_ptrIsEEEEPS6_SG_NS0_5tupleIJNSA_16discard_iteratorINSA_11use_defaultEEESK_EEENSH_IJSG_SG_EEES6_PlJ7is_evenIsEEEE10hipError_tPvRmT3_T4_T5_T6_T7_T9_mT8_P12ihipStream_tbDpT10_ENKUlT_T0_E_clISt17integral_constantIbLb1EES19_EEDaS14_S15_EUlS14_E_NS1_11comp_targetILNS1_3genE10ELNS1_11target_archE1200ELNS1_3gpuE4ELNS1_3repE0EEENS1_30default_config_static_selectorELNS0_4arch9wavefront6targetE1EEEvT1_,comdat
.Lfunc_end2792:
	.size	_ZN7rocprim17ROCPRIM_400000_NS6detail17trampoline_kernelINS0_14default_configENS1_25partition_config_selectorILNS1_17partition_subalgoE0EsNS0_10empty_typeEbEEZZNS1_14partition_implILS5_0ELb0ES3_jN6thrust23THRUST_200600_302600_NS6detail15normal_iteratorINSA_10device_ptrIsEEEEPS6_SG_NS0_5tupleIJNSA_16discard_iteratorINSA_11use_defaultEEESK_EEENSH_IJSG_SG_EEES6_PlJ7is_evenIsEEEE10hipError_tPvRmT3_T4_T5_T6_T7_T9_mT8_P12ihipStream_tbDpT10_ENKUlT_T0_E_clISt17integral_constantIbLb1EES19_EEDaS14_S15_EUlS14_E_NS1_11comp_targetILNS1_3genE10ELNS1_11target_archE1200ELNS1_3gpuE4ELNS1_3repE0EEENS1_30default_config_static_selectorELNS0_4arch9wavefront6targetE1EEEvT1_, .Lfunc_end2792-_ZN7rocprim17ROCPRIM_400000_NS6detail17trampoline_kernelINS0_14default_configENS1_25partition_config_selectorILNS1_17partition_subalgoE0EsNS0_10empty_typeEbEEZZNS1_14partition_implILS5_0ELb0ES3_jN6thrust23THRUST_200600_302600_NS6detail15normal_iteratorINSA_10device_ptrIsEEEEPS6_SG_NS0_5tupleIJNSA_16discard_iteratorINSA_11use_defaultEEESK_EEENSH_IJSG_SG_EEES6_PlJ7is_evenIsEEEE10hipError_tPvRmT3_T4_T5_T6_T7_T9_mT8_P12ihipStream_tbDpT10_ENKUlT_T0_E_clISt17integral_constantIbLb1EES19_EEDaS14_S15_EUlS14_E_NS1_11comp_targetILNS1_3genE10ELNS1_11target_archE1200ELNS1_3gpuE4ELNS1_3repE0EEENS1_30default_config_static_selectorELNS0_4arch9wavefront6targetE1EEEvT1_
                                        ; -- End function
	.section	.AMDGPU.csdata,"",@progbits
; Kernel info:
; codeLenInByte = 0
; NumSgprs: 4
; NumVgprs: 0
; NumAgprs: 0
; TotalNumVgprs: 0
; ScratchSize: 0
; MemoryBound: 0
; FloatMode: 240
; IeeeMode: 1
; LDSByteSize: 0 bytes/workgroup (compile time only)
; SGPRBlocks: 0
; VGPRBlocks: 0
; NumSGPRsForWavesPerEU: 4
; NumVGPRsForWavesPerEU: 1
; AccumOffset: 4
; Occupancy: 8
; WaveLimiterHint : 0
; COMPUTE_PGM_RSRC2:SCRATCH_EN: 0
; COMPUTE_PGM_RSRC2:USER_SGPR: 6
; COMPUTE_PGM_RSRC2:TRAP_HANDLER: 0
; COMPUTE_PGM_RSRC2:TGID_X_EN: 1
; COMPUTE_PGM_RSRC2:TGID_Y_EN: 0
; COMPUTE_PGM_RSRC2:TGID_Z_EN: 0
; COMPUTE_PGM_RSRC2:TIDIG_COMP_CNT: 0
; COMPUTE_PGM_RSRC3_GFX90A:ACCUM_OFFSET: 0
; COMPUTE_PGM_RSRC3_GFX90A:TG_SPLIT: 0
	.section	.text._ZN7rocprim17ROCPRIM_400000_NS6detail17trampoline_kernelINS0_14default_configENS1_25partition_config_selectorILNS1_17partition_subalgoE0EsNS0_10empty_typeEbEEZZNS1_14partition_implILS5_0ELb0ES3_jN6thrust23THRUST_200600_302600_NS6detail15normal_iteratorINSA_10device_ptrIsEEEEPS6_SG_NS0_5tupleIJNSA_16discard_iteratorINSA_11use_defaultEEESK_EEENSH_IJSG_SG_EEES6_PlJ7is_evenIsEEEE10hipError_tPvRmT3_T4_T5_T6_T7_T9_mT8_P12ihipStream_tbDpT10_ENKUlT_T0_E_clISt17integral_constantIbLb1EES19_EEDaS14_S15_EUlS14_E_NS1_11comp_targetILNS1_3genE9ELNS1_11target_archE1100ELNS1_3gpuE3ELNS1_3repE0EEENS1_30default_config_static_selectorELNS0_4arch9wavefront6targetE1EEEvT1_,"axG",@progbits,_ZN7rocprim17ROCPRIM_400000_NS6detail17trampoline_kernelINS0_14default_configENS1_25partition_config_selectorILNS1_17partition_subalgoE0EsNS0_10empty_typeEbEEZZNS1_14partition_implILS5_0ELb0ES3_jN6thrust23THRUST_200600_302600_NS6detail15normal_iteratorINSA_10device_ptrIsEEEEPS6_SG_NS0_5tupleIJNSA_16discard_iteratorINSA_11use_defaultEEESK_EEENSH_IJSG_SG_EEES6_PlJ7is_evenIsEEEE10hipError_tPvRmT3_T4_T5_T6_T7_T9_mT8_P12ihipStream_tbDpT10_ENKUlT_T0_E_clISt17integral_constantIbLb1EES19_EEDaS14_S15_EUlS14_E_NS1_11comp_targetILNS1_3genE9ELNS1_11target_archE1100ELNS1_3gpuE3ELNS1_3repE0EEENS1_30default_config_static_selectorELNS0_4arch9wavefront6targetE1EEEvT1_,comdat
	.protected	_ZN7rocprim17ROCPRIM_400000_NS6detail17trampoline_kernelINS0_14default_configENS1_25partition_config_selectorILNS1_17partition_subalgoE0EsNS0_10empty_typeEbEEZZNS1_14partition_implILS5_0ELb0ES3_jN6thrust23THRUST_200600_302600_NS6detail15normal_iteratorINSA_10device_ptrIsEEEEPS6_SG_NS0_5tupleIJNSA_16discard_iteratorINSA_11use_defaultEEESK_EEENSH_IJSG_SG_EEES6_PlJ7is_evenIsEEEE10hipError_tPvRmT3_T4_T5_T6_T7_T9_mT8_P12ihipStream_tbDpT10_ENKUlT_T0_E_clISt17integral_constantIbLb1EES19_EEDaS14_S15_EUlS14_E_NS1_11comp_targetILNS1_3genE9ELNS1_11target_archE1100ELNS1_3gpuE3ELNS1_3repE0EEENS1_30default_config_static_selectorELNS0_4arch9wavefront6targetE1EEEvT1_ ; -- Begin function _ZN7rocprim17ROCPRIM_400000_NS6detail17trampoline_kernelINS0_14default_configENS1_25partition_config_selectorILNS1_17partition_subalgoE0EsNS0_10empty_typeEbEEZZNS1_14partition_implILS5_0ELb0ES3_jN6thrust23THRUST_200600_302600_NS6detail15normal_iteratorINSA_10device_ptrIsEEEEPS6_SG_NS0_5tupleIJNSA_16discard_iteratorINSA_11use_defaultEEESK_EEENSH_IJSG_SG_EEES6_PlJ7is_evenIsEEEE10hipError_tPvRmT3_T4_T5_T6_T7_T9_mT8_P12ihipStream_tbDpT10_ENKUlT_T0_E_clISt17integral_constantIbLb1EES19_EEDaS14_S15_EUlS14_E_NS1_11comp_targetILNS1_3genE9ELNS1_11target_archE1100ELNS1_3gpuE3ELNS1_3repE0EEENS1_30default_config_static_selectorELNS0_4arch9wavefront6targetE1EEEvT1_
	.globl	_ZN7rocprim17ROCPRIM_400000_NS6detail17trampoline_kernelINS0_14default_configENS1_25partition_config_selectorILNS1_17partition_subalgoE0EsNS0_10empty_typeEbEEZZNS1_14partition_implILS5_0ELb0ES3_jN6thrust23THRUST_200600_302600_NS6detail15normal_iteratorINSA_10device_ptrIsEEEEPS6_SG_NS0_5tupleIJNSA_16discard_iteratorINSA_11use_defaultEEESK_EEENSH_IJSG_SG_EEES6_PlJ7is_evenIsEEEE10hipError_tPvRmT3_T4_T5_T6_T7_T9_mT8_P12ihipStream_tbDpT10_ENKUlT_T0_E_clISt17integral_constantIbLb1EES19_EEDaS14_S15_EUlS14_E_NS1_11comp_targetILNS1_3genE9ELNS1_11target_archE1100ELNS1_3gpuE3ELNS1_3repE0EEENS1_30default_config_static_selectorELNS0_4arch9wavefront6targetE1EEEvT1_
	.p2align	8
	.type	_ZN7rocprim17ROCPRIM_400000_NS6detail17trampoline_kernelINS0_14default_configENS1_25partition_config_selectorILNS1_17partition_subalgoE0EsNS0_10empty_typeEbEEZZNS1_14partition_implILS5_0ELb0ES3_jN6thrust23THRUST_200600_302600_NS6detail15normal_iteratorINSA_10device_ptrIsEEEEPS6_SG_NS0_5tupleIJNSA_16discard_iteratorINSA_11use_defaultEEESK_EEENSH_IJSG_SG_EEES6_PlJ7is_evenIsEEEE10hipError_tPvRmT3_T4_T5_T6_T7_T9_mT8_P12ihipStream_tbDpT10_ENKUlT_T0_E_clISt17integral_constantIbLb1EES19_EEDaS14_S15_EUlS14_E_NS1_11comp_targetILNS1_3genE9ELNS1_11target_archE1100ELNS1_3gpuE3ELNS1_3repE0EEENS1_30default_config_static_selectorELNS0_4arch9wavefront6targetE1EEEvT1_,@function
_ZN7rocprim17ROCPRIM_400000_NS6detail17trampoline_kernelINS0_14default_configENS1_25partition_config_selectorILNS1_17partition_subalgoE0EsNS0_10empty_typeEbEEZZNS1_14partition_implILS5_0ELb0ES3_jN6thrust23THRUST_200600_302600_NS6detail15normal_iteratorINSA_10device_ptrIsEEEEPS6_SG_NS0_5tupleIJNSA_16discard_iteratorINSA_11use_defaultEEESK_EEENSH_IJSG_SG_EEES6_PlJ7is_evenIsEEEE10hipError_tPvRmT3_T4_T5_T6_T7_T9_mT8_P12ihipStream_tbDpT10_ENKUlT_T0_E_clISt17integral_constantIbLb1EES19_EEDaS14_S15_EUlS14_E_NS1_11comp_targetILNS1_3genE9ELNS1_11target_archE1100ELNS1_3gpuE3ELNS1_3repE0EEENS1_30default_config_static_selectorELNS0_4arch9wavefront6targetE1EEEvT1_: ; @_ZN7rocprim17ROCPRIM_400000_NS6detail17trampoline_kernelINS0_14default_configENS1_25partition_config_selectorILNS1_17partition_subalgoE0EsNS0_10empty_typeEbEEZZNS1_14partition_implILS5_0ELb0ES3_jN6thrust23THRUST_200600_302600_NS6detail15normal_iteratorINSA_10device_ptrIsEEEEPS6_SG_NS0_5tupleIJNSA_16discard_iteratorINSA_11use_defaultEEESK_EEENSH_IJSG_SG_EEES6_PlJ7is_evenIsEEEE10hipError_tPvRmT3_T4_T5_T6_T7_T9_mT8_P12ihipStream_tbDpT10_ENKUlT_T0_E_clISt17integral_constantIbLb1EES19_EEDaS14_S15_EUlS14_E_NS1_11comp_targetILNS1_3genE9ELNS1_11target_archE1100ELNS1_3gpuE3ELNS1_3repE0EEENS1_30default_config_static_selectorELNS0_4arch9wavefront6targetE1EEEvT1_
; %bb.0:
	.section	.rodata,"a",@progbits
	.p2align	6, 0x0
	.amdhsa_kernel _ZN7rocprim17ROCPRIM_400000_NS6detail17trampoline_kernelINS0_14default_configENS1_25partition_config_selectorILNS1_17partition_subalgoE0EsNS0_10empty_typeEbEEZZNS1_14partition_implILS5_0ELb0ES3_jN6thrust23THRUST_200600_302600_NS6detail15normal_iteratorINSA_10device_ptrIsEEEEPS6_SG_NS0_5tupleIJNSA_16discard_iteratorINSA_11use_defaultEEESK_EEENSH_IJSG_SG_EEES6_PlJ7is_evenIsEEEE10hipError_tPvRmT3_T4_T5_T6_T7_T9_mT8_P12ihipStream_tbDpT10_ENKUlT_T0_E_clISt17integral_constantIbLb1EES19_EEDaS14_S15_EUlS14_E_NS1_11comp_targetILNS1_3genE9ELNS1_11target_archE1100ELNS1_3gpuE3ELNS1_3repE0EEENS1_30default_config_static_selectorELNS0_4arch9wavefront6targetE1EEEvT1_
		.amdhsa_group_segment_fixed_size 0
		.amdhsa_private_segment_fixed_size 0
		.amdhsa_kernarg_size 152
		.amdhsa_user_sgpr_count 6
		.amdhsa_user_sgpr_private_segment_buffer 1
		.amdhsa_user_sgpr_dispatch_ptr 0
		.amdhsa_user_sgpr_queue_ptr 0
		.amdhsa_user_sgpr_kernarg_segment_ptr 1
		.amdhsa_user_sgpr_dispatch_id 0
		.amdhsa_user_sgpr_flat_scratch_init 0
		.amdhsa_user_sgpr_kernarg_preload_length 0
		.amdhsa_user_sgpr_kernarg_preload_offset 0
		.amdhsa_user_sgpr_private_segment_size 0
		.amdhsa_uses_dynamic_stack 0
		.amdhsa_system_sgpr_private_segment_wavefront_offset 0
		.amdhsa_system_sgpr_workgroup_id_x 1
		.amdhsa_system_sgpr_workgroup_id_y 0
		.amdhsa_system_sgpr_workgroup_id_z 0
		.amdhsa_system_sgpr_workgroup_info 0
		.amdhsa_system_vgpr_workitem_id 0
		.amdhsa_next_free_vgpr 1
		.amdhsa_next_free_sgpr 0
		.amdhsa_accum_offset 4
		.amdhsa_reserve_vcc 0
		.amdhsa_reserve_flat_scratch 0
		.amdhsa_float_round_mode_32 0
		.amdhsa_float_round_mode_16_64 0
		.amdhsa_float_denorm_mode_32 3
		.amdhsa_float_denorm_mode_16_64 3
		.amdhsa_dx10_clamp 1
		.amdhsa_ieee_mode 1
		.amdhsa_fp16_overflow 0
		.amdhsa_tg_split 0
		.amdhsa_exception_fp_ieee_invalid_op 0
		.amdhsa_exception_fp_denorm_src 0
		.amdhsa_exception_fp_ieee_div_zero 0
		.amdhsa_exception_fp_ieee_overflow 0
		.amdhsa_exception_fp_ieee_underflow 0
		.amdhsa_exception_fp_ieee_inexact 0
		.amdhsa_exception_int_div_zero 0
	.end_amdhsa_kernel
	.section	.text._ZN7rocprim17ROCPRIM_400000_NS6detail17trampoline_kernelINS0_14default_configENS1_25partition_config_selectorILNS1_17partition_subalgoE0EsNS0_10empty_typeEbEEZZNS1_14partition_implILS5_0ELb0ES3_jN6thrust23THRUST_200600_302600_NS6detail15normal_iteratorINSA_10device_ptrIsEEEEPS6_SG_NS0_5tupleIJNSA_16discard_iteratorINSA_11use_defaultEEESK_EEENSH_IJSG_SG_EEES6_PlJ7is_evenIsEEEE10hipError_tPvRmT3_T4_T5_T6_T7_T9_mT8_P12ihipStream_tbDpT10_ENKUlT_T0_E_clISt17integral_constantIbLb1EES19_EEDaS14_S15_EUlS14_E_NS1_11comp_targetILNS1_3genE9ELNS1_11target_archE1100ELNS1_3gpuE3ELNS1_3repE0EEENS1_30default_config_static_selectorELNS0_4arch9wavefront6targetE1EEEvT1_,"axG",@progbits,_ZN7rocprim17ROCPRIM_400000_NS6detail17trampoline_kernelINS0_14default_configENS1_25partition_config_selectorILNS1_17partition_subalgoE0EsNS0_10empty_typeEbEEZZNS1_14partition_implILS5_0ELb0ES3_jN6thrust23THRUST_200600_302600_NS6detail15normal_iteratorINSA_10device_ptrIsEEEEPS6_SG_NS0_5tupleIJNSA_16discard_iteratorINSA_11use_defaultEEESK_EEENSH_IJSG_SG_EEES6_PlJ7is_evenIsEEEE10hipError_tPvRmT3_T4_T5_T6_T7_T9_mT8_P12ihipStream_tbDpT10_ENKUlT_T0_E_clISt17integral_constantIbLb1EES19_EEDaS14_S15_EUlS14_E_NS1_11comp_targetILNS1_3genE9ELNS1_11target_archE1100ELNS1_3gpuE3ELNS1_3repE0EEENS1_30default_config_static_selectorELNS0_4arch9wavefront6targetE1EEEvT1_,comdat
.Lfunc_end2793:
	.size	_ZN7rocprim17ROCPRIM_400000_NS6detail17trampoline_kernelINS0_14default_configENS1_25partition_config_selectorILNS1_17partition_subalgoE0EsNS0_10empty_typeEbEEZZNS1_14partition_implILS5_0ELb0ES3_jN6thrust23THRUST_200600_302600_NS6detail15normal_iteratorINSA_10device_ptrIsEEEEPS6_SG_NS0_5tupleIJNSA_16discard_iteratorINSA_11use_defaultEEESK_EEENSH_IJSG_SG_EEES6_PlJ7is_evenIsEEEE10hipError_tPvRmT3_T4_T5_T6_T7_T9_mT8_P12ihipStream_tbDpT10_ENKUlT_T0_E_clISt17integral_constantIbLb1EES19_EEDaS14_S15_EUlS14_E_NS1_11comp_targetILNS1_3genE9ELNS1_11target_archE1100ELNS1_3gpuE3ELNS1_3repE0EEENS1_30default_config_static_selectorELNS0_4arch9wavefront6targetE1EEEvT1_, .Lfunc_end2793-_ZN7rocprim17ROCPRIM_400000_NS6detail17trampoline_kernelINS0_14default_configENS1_25partition_config_selectorILNS1_17partition_subalgoE0EsNS0_10empty_typeEbEEZZNS1_14partition_implILS5_0ELb0ES3_jN6thrust23THRUST_200600_302600_NS6detail15normal_iteratorINSA_10device_ptrIsEEEEPS6_SG_NS0_5tupleIJNSA_16discard_iteratorINSA_11use_defaultEEESK_EEENSH_IJSG_SG_EEES6_PlJ7is_evenIsEEEE10hipError_tPvRmT3_T4_T5_T6_T7_T9_mT8_P12ihipStream_tbDpT10_ENKUlT_T0_E_clISt17integral_constantIbLb1EES19_EEDaS14_S15_EUlS14_E_NS1_11comp_targetILNS1_3genE9ELNS1_11target_archE1100ELNS1_3gpuE3ELNS1_3repE0EEENS1_30default_config_static_selectorELNS0_4arch9wavefront6targetE1EEEvT1_
                                        ; -- End function
	.section	.AMDGPU.csdata,"",@progbits
; Kernel info:
; codeLenInByte = 0
; NumSgprs: 4
; NumVgprs: 0
; NumAgprs: 0
; TotalNumVgprs: 0
; ScratchSize: 0
; MemoryBound: 0
; FloatMode: 240
; IeeeMode: 1
; LDSByteSize: 0 bytes/workgroup (compile time only)
; SGPRBlocks: 0
; VGPRBlocks: 0
; NumSGPRsForWavesPerEU: 4
; NumVGPRsForWavesPerEU: 1
; AccumOffset: 4
; Occupancy: 8
; WaveLimiterHint : 0
; COMPUTE_PGM_RSRC2:SCRATCH_EN: 0
; COMPUTE_PGM_RSRC2:USER_SGPR: 6
; COMPUTE_PGM_RSRC2:TRAP_HANDLER: 0
; COMPUTE_PGM_RSRC2:TGID_X_EN: 1
; COMPUTE_PGM_RSRC2:TGID_Y_EN: 0
; COMPUTE_PGM_RSRC2:TGID_Z_EN: 0
; COMPUTE_PGM_RSRC2:TIDIG_COMP_CNT: 0
; COMPUTE_PGM_RSRC3_GFX90A:ACCUM_OFFSET: 0
; COMPUTE_PGM_RSRC3_GFX90A:TG_SPLIT: 0
	.section	.text._ZN7rocprim17ROCPRIM_400000_NS6detail17trampoline_kernelINS0_14default_configENS1_25partition_config_selectorILNS1_17partition_subalgoE0EsNS0_10empty_typeEbEEZZNS1_14partition_implILS5_0ELb0ES3_jN6thrust23THRUST_200600_302600_NS6detail15normal_iteratorINSA_10device_ptrIsEEEEPS6_SG_NS0_5tupleIJNSA_16discard_iteratorINSA_11use_defaultEEESK_EEENSH_IJSG_SG_EEES6_PlJ7is_evenIsEEEE10hipError_tPvRmT3_T4_T5_T6_T7_T9_mT8_P12ihipStream_tbDpT10_ENKUlT_T0_E_clISt17integral_constantIbLb1EES19_EEDaS14_S15_EUlS14_E_NS1_11comp_targetILNS1_3genE8ELNS1_11target_archE1030ELNS1_3gpuE2ELNS1_3repE0EEENS1_30default_config_static_selectorELNS0_4arch9wavefront6targetE1EEEvT1_,"axG",@progbits,_ZN7rocprim17ROCPRIM_400000_NS6detail17trampoline_kernelINS0_14default_configENS1_25partition_config_selectorILNS1_17partition_subalgoE0EsNS0_10empty_typeEbEEZZNS1_14partition_implILS5_0ELb0ES3_jN6thrust23THRUST_200600_302600_NS6detail15normal_iteratorINSA_10device_ptrIsEEEEPS6_SG_NS0_5tupleIJNSA_16discard_iteratorINSA_11use_defaultEEESK_EEENSH_IJSG_SG_EEES6_PlJ7is_evenIsEEEE10hipError_tPvRmT3_T4_T5_T6_T7_T9_mT8_P12ihipStream_tbDpT10_ENKUlT_T0_E_clISt17integral_constantIbLb1EES19_EEDaS14_S15_EUlS14_E_NS1_11comp_targetILNS1_3genE8ELNS1_11target_archE1030ELNS1_3gpuE2ELNS1_3repE0EEENS1_30default_config_static_selectorELNS0_4arch9wavefront6targetE1EEEvT1_,comdat
	.protected	_ZN7rocprim17ROCPRIM_400000_NS6detail17trampoline_kernelINS0_14default_configENS1_25partition_config_selectorILNS1_17partition_subalgoE0EsNS0_10empty_typeEbEEZZNS1_14partition_implILS5_0ELb0ES3_jN6thrust23THRUST_200600_302600_NS6detail15normal_iteratorINSA_10device_ptrIsEEEEPS6_SG_NS0_5tupleIJNSA_16discard_iteratorINSA_11use_defaultEEESK_EEENSH_IJSG_SG_EEES6_PlJ7is_evenIsEEEE10hipError_tPvRmT3_T4_T5_T6_T7_T9_mT8_P12ihipStream_tbDpT10_ENKUlT_T0_E_clISt17integral_constantIbLb1EES19_EEDaS14_S15_EUlS14_E_NS1_11comp_targetILNS1_3genE8ELNS1_11target_archE1030ELNS1_3gpuE2ELNS1_3repE0EEENS1_30default_config_static_selectorELNS0_4arch9wavefront6targetE1EEEvT1_ ; -- Begin function _ZN7rocprim17ROCPRIM_400000_NS6detail17trampoline_kernelINS0_14default_configENS1_25partition_config_selectorILNS1_17partition_subalgoE0EsNS0_10empty_typeEbEEZZNS1_14partition_implILS5_0ELb0ES3_jN6thrust23THRUST_200600_302600_NS6detail15normal_iteratorINSA_10device_ptrIsEEEEPS6_SG_NS0_5tupleIJNSA_16discard_iteratorINSA_11use_defaultEEESK_EEENSH_IJSG_SG_EEES6_PlJ7is_evenIsEEEE10hipError_tPvRmT3_T4_T5_T6_T7_T9_mT8_P12ihipStream_tbDpT10_ENKUlT_T0_E_clISt17integral_constantIbLb1EES19_EEDaS14_S15_EUlS14_E_NS1_11comp_targetILNS1_3genE8ELNS1_11target_archE1030ELNS1_3gpuE2ELNS1_3repE0EEENS1_30default_config_static_selectorELNS0_4arch9wavefront6targetE1EEEvT1_
	.globl	_ZN7rocprim17ROCPRIM_400000_NS6detail17trampoline_kernelINS0_14default_configENS1_25partition_config_selectorILNS1_17partition_subalgoE0EsNS0_10empty_typeEbEEZZNS1_14partition_implILS5_0ELb0ES3_jN6thrust23THRUST_200600_302600_NS6detail15normal_iteratorINSA_10device_ptrIsEEEEPS6_SG_NS0_5tupleIJNSA_16discard_iteratorINSA_11use_defaultEEESK_EEENSH_IJSG_SG_EEES6_PlJ7is_evenIsEEEE10hipError_tPvRmT3_T4_T5_T6_T7_T9_mT8_P12ihipStream_tbDpT10_ENKUlT_T0_E_clISt17integral_constantIbLb1EES19_EEDaS14_S15_EUlS14_E_NS1_11comp_targetILNS1_3genE8ELNS1_11target_archE1030ELNS1_3gpuE2ELNS1_3repE0EEENS1_30default_config_static_selectorELNS0_4arch9wavefront6targetE1EEEvT1_
	.p2align	8
	.type	_ZN7rocprim17ROCPRIM_400000_NS6detail17trampoline_kernelINS0_14default_configENS1_25partition_config_selectorILNS1_17partition_subalgoE0EsNS0_10empty_typeEbEEZZNS1_14partition_implILS5_0ELb0ES3_jN6thrust23THRUST_200600_302600_NS6detail15normal_iteratorINSA_10device_ptrIsEEEEPS6_SG_NS0_5tupleIJNSA_16discard_iteratorINSA_11use_defaultEEESK_EEENSH_IJSG_SG_EEES6_PlJ7is_evenIsEEEE10hipError_tPvRmT3_T4_T5_T6_T7_T9_mT8_P12ihipStream_tbDpT10_ENKUlT_T0_E_clISt17integral_constantIbLb1EES19_EEDaS14_S15_EUlS14_E_NS1_11comp_targetILNS1_3genE8ELNS1_11target_archE1030ELNS1_3gpuE2ELNS1_3repE0EEENS1_30default_config_static_selectorELNS0_4arch9wavefront6targetE1EEEvT1_,@function
_ZN7rocprim17ROCPRIM_400000_NS6detail17trampoline_kernelINS0_14default_configENS1_25partition_config_selectorILNS1_17partition_subalgoE0EsNS0_10empty_typeEbEEZZNS1_14partition_implILS5_0ELb0ES3_jN6thrust23THRUST_200600_302600_NS6detail15normal_iteratorINSA_10device_ptrIsEEEEPS6_SG_NS0_5tupleIJNSA_16discard_iteratorINSA_11use_defaultEEESK_EEENSH_IJSG_SG_EEES6_PlJ7is_evenIsEEEE10hipError_tPvRmT3_T4_T5_T6_T7_T9_mT8_P12ihipStream_tbDpT10_ENKUlT_T0_E_clISt17integral_constantIbLb1EES19_EEDaS14_S15_EUlS14_E_NS1_11comp_targetILNS1_3genE8ELNS1_11target_archE1030ELNS1_3gpuE2ELNS1_3repE0EEENS1_30default_config_static_selectorELNS0_4arch9wavefront6targetE1EEEvT1_: ; @_ZN7rocprim17ROCPRIM_400000_NS6detail17trampoline_kernelINS0_14default_configENS1_25partition_config_selectorILNS1_17partition_subalgoE0EsNS0_10empty_typeEbEEZZNS1_14partition_implILS5_0ELb0ES3_jN6thrust23THRUST_200600_302600_NS6detail15normal_iteratorINSA_10device_ptrIsEEEEPS6_SG_NS0_5tupleIJNSA_16discard_iteratorINSA_11use_defaultEEESK_EEENSH_IJSG_SG_EEES6_PlJ7is_evenIsEEEE10hipError_tPvRmT3_T4_T5_T6_T7_T9_mT8_P12ihipStream_tbDpT10_ENKUlT_T0_E_clISt17integral_constantIbLb1EES19_EEDaS14_S15_EUlS14_E_NS1_11comp_targetILNS1_3genE8ELNS1_11target_archE1030ELNS1_3gpuE2ELNS1_3repE0EEENS1_30default_config_static_selectorELNS0_4arch9wavefront6targetE1EEEvT1_
; %bb.0:
	.section	.rodata,"a",@progbits
	.p2align	6, 0x0
	.amdhsa_kernel _ZN7rocprim17ROCPRIM_400000_NS6detail17trampoline_kernelINS0_14default_configENS1_25partition_config_selectorILNS1_17partition_subalgoE0EsNS0_10empty_typeEbEEZZNS1_14partition_implILS5_0ELb0ES3_jN6thrust23THRUST_200600_302600_NS6detail15normal_iteratorINSA_10device_ptrIsEEEEPS6_SG_NS0_5tupleIJNSA_16discard_iteratorINSA_11use_defaultEEESK_EEENSH_IJSG_SG_EEES6_PlJ7is_evenIsEEEE10hipError_tPvRmT3_T4_T5_T6_T7_T9_mT8_P12ihipStream_tbDpT10_ENKUlT_T0_E_clISt17integral_constantIbLb1EES19_EEDaS14_S15_EUlS14_E_NS1_11comp_targetILNS1_3genE8ELNS1_11target_archE1030ELNS1_3gpuE2ELNS1_3repE0EEENS1_30default_config_static_selectorELNS0_4arch9wavefront6targetE1EEEvT1_
		.amdhsa_group_segment_fixed_size 0
		.amdhsa_private_segment_fixed_size 0
		.amdhsa_kernarg_size 152
		.amdhsa_user_sgpr_count 6
		.amdhsa_user_sgpr_private_segment_buffer 1
		.amdhsa_user_sgpr_dispatch_ptr 0
		.amdhsa_user_sgpr_queue_ptr 0
		.amdhsa_user_sgpr_kernarg_segment_ptr 1
		.amdhsa_user_sgpr_dispatch_id 0
		.amdhsa_user_sgpr_flat_scratch_init 0
		.amdhsa_user_sgpr_kernarg_preload_length 0
		.amdhsa_user_sgpr_kernarg_preload_offset 0
		.amdhsa_user_sgpr_private_segment_size 0
		.amdhsa_uses_dynamic_stack 0
		.amdhsa_system_sgpr_private_segment_wavefront_offset 0
		.amdhsa_system_sgpr_workgroup_id_x 1
		.amdhsa_system_sgpr_workgroup_id_y 0
		.amdhsa_system_sgpr_workgroup_id_z 0
		.amdhsa_system_sgpr_workgroup_info 0
		.amdhsa_system_vgpr_workitem_id 0
		.amdhsa_next_free_vgpr 1
		.amdhsa_next_free_sgpr 0
		.amdhsa_accum_offset 4
		.amdhsa_reserve_vcc 0
		.amdhsa_reserve_flat_scratch 0
		.amdhsa_float_round_mode_32 0
		.amdhsa_float_round_mode_16_64 0
		.amdhsa_float_denorm_mode_32 3
		.amdhsa_float_denorm_mode_16_64 3
		.amdhsa_dx10_clamp 1
		.amdhsa_ieee_mode 1
		.amdhsa_fp16_overflow 0
		.amdhsa_tg_split 0
		.amdhsa_exception_fp_ieee_invalid_op 0
		.amdhsa_exception_fp_denorm_src 0
		.amdhsa_exception_fp_ieee_div_zero 0
		.amdhsa_exception_fp_ieee_overflow 0
		.amdhsa_exception_fp_ieee_underflow 0
		.amdhsa_exception_fp_ieee_inexact 0
		.amdhsa_exception_int_div_zero 0
	.end_amdhsa_kernel
	.section	.text._ZN7rocprim17ROCPRIM_400000_NS6detail17trampoline_kernelINS0_14default_configENS1_25partition_config_selectorILNS1_17partition_subalgoE0EsNS0_10empty_typeEbEEZZNS1_14partition_implILS5_0ELb0ES3_jN6thrust23THRUST_200600_302600_NS6detail15normal_iteratorINSA_10device_ptrIsEEEEPS6_SG_NS0_5tupleIJNSA_16discard_iteratorINSA_11use_defaultEEESK_EEENSH_IJSG_SG_EEES6_PlJ7is_evenIsEEEE10hipError_tPvRmT3_T4_T5_T6_T7_T9_mT8_P12ihipStream_tbDpT10_ENKUlT_T0_E_clISt17integral_constantIbLb1EES19_EEDaS14_S15_EUlS14_E_NS1_11comp_targetILNS1_3genE8ELNS1_11target_archE1030ELNS1_3gpuE2ELNS1_3repE0EEENS1_30default_config_static_selectorELNS0_4arch9wavefront6targetE1EEEvT1_,"axG",@progbits,_ZN7rocprim17ROCPRIM_400000_NS6detail17trampoline_kernelINS0_14default_configENS1_25partition_config_selectorILNS1_17partition_subalgoE0EsNS0_10empty_typeEbEEZZNS1_14partition_implILS5_0ELb0ES3_jN6thrust23THRUST_200600_302600_NS6detail15normal_iteratorINSA_10device_ptrIsEEEEPS6_SG_NS0_5tupleIJNSA_16discard_iteratorINSA_11use_defaultEEESK_EEENSH_IJSG_SG_EEES6_PlJ7is_evenIsEEEE10hipError_tPvRmT3_T4_T5_T6_T7_T9_mT8_P12ihipStream_tbDpT10_ENKUlT_T0_E_clISt17integral_constantIbLb1EES19_EEDaS14_S15_EUlS14_E_NS1_11comp_targetILNS1_3genE8ELNS1_11target_archE1030ELNS1_3gpuE2ELNS1_3repE0EEENS1_30default_config_static_selectorELNS0_4arch9wavefront6targetE1EEEvT1_,comdat
.Lfunc_end2794:
	.size	_ZN7rocprim17ROCPRIM_400000_NS6detail17trampoline_kernelINS0_14default_configENS1_25partition_config_selectorILNS1_17partition_subalgoE0EsNS0_10empty_typeEbEEZZNS1_14partition_implILS5_0ELb0ES3_jN6thrust23THRUST_200600_302600_NS6detail15normal_iteratorINSA_10device_ptrIsEEEEPS6_SG_NS0_5tupleIJNSA_16discard_iteratorINSA_11use_defaultEEESK_EEENSH_IJSG_SG_EEES6_PlJ7is_evenIsEEEE10hipError_tPvRmT3_T4_T5_T6_T7_T9_mT8_P12ihipStream_tbDpT10_ENKUlT_T0_E_clISt17integral_constantIbLb1EES19_EEDaS14_S15_EUlS14_E_NS1_11comp_targetILNS1_3genE8ELNS1_11target_archE1030ELNS1_3gpuE2ELNS1_3repE0EEENS1_30default_config_static_selectorELNS0_4arch9wavefront6targetE1EEEvT1_, .Lfunc_end2794-_ZN7rocprim17ROCPRIM_400000_NS6detail17trampoline_kernelINS0_14default_configENS1_25partition_config_selectorILNS1_17partition_subalgoE0EsNS0_10empty_typeEbEEZZNS1_14partition_implILS5_0ELb0ES3_jN6thrust23THRUST_200600_302600_NS6detail15normal_iteratorINSA_10device_ptrIsEEEEPS6_SG_NS0_5tupleIJNSA_16discard_iteratorINSA_11use_defaultEEESK_EEENSH_IJSG_SG_EEES6_PlJ7is_evenIsEEEE10hipError_tPvRmT3_T4_T5_T6_T7_T9_mT8_P12ihipStream_tbDpT10_ENKUlT_T0_E_clISt17integral_constantIbLb1EES19_EEDaS14_S15_EUlS14_E_NS1_11comp_targetILNS1_3genE8ELNS1_11target_archE1030ELNS1_3gpuE2ELNS1_3repE0EEENS1_30default_config_static_selectorELNS0_4arch9wavefront6targetE1EEEvT1_
                                        ; -- End function
	.section	.AMDGPU.csdata,"",@progbits
; Kernel info:
; codeLenInByte = 0
; NumSgprs: 4
; NumVgprs: 0
; NumAgprs: 0
; TotalNumVgprs: 0
; ScratchSize: 0
; MemoryBound: 0
; FloatMode: 240
; IeeeMode: 1
; LDSByteSize: 0 bytes/workgroup (compile time only)
; SGPRBlocks: 0
; VGPRBlocks: 0
; NumSGPRsForWavesPerEU: 4
; NumVGPRsForWavesPerEU: 1
; AccumOffset: 4
; Occupancy: 8
; WaveLimiterHint : 0
; COMPUTE_PGM_RSRC2:SCRATCH_EN: 0
; COMPUTE_PGM_RSRC2:USER_SGPR: 6
; COMPUTE_PGM_RSRC2:TRAP_HANDLER: 0
; COMPUTE_PGM_RSRC2:TGID_X_EN: 1
; COMPUTE_PGM_RSRC2:TGID_Y_EN: 0
; COMPUTE_PGM_RSRC2:TGID_Z_EN: 0
; COMPUTE_PGM_RSRC2:TIDIG_COMP_CNT: 0
; COMPUTE_PGM_RSRC3_GFX90A:ACCUM_OFFSET: 0
; COMPUTE_PGM_RSRC3_GFX90A:TG_SPLIT: 0
	.section	.text._ZN7rocprim17ROCPRIM_400000_NS6detail17trampoline_kernelINS0_14default_configENS1_25partition_config_selectorILNS1_17partition_subalgoE0EsNS0_10empty_typeEbEEZZNS1_14partition_implILS5_0ELb0ES3_jN6thrust23THRUST_200600_302600_NS6detail15normal_iteratorINSA_10device_ptrIsEEEEPS6_SG_NS0_5tupleIJNSA_16discard_iteratorINSA_11use_defaultEEESK_EEENSH_IJSG_SG_EEES6_PlJ7is_evenIsEEEE10hipError_tPvRmT3_T4_T5_T6_T7_T9_mT8_P12ihipStream_tbDpT10_ENKUlT_T0_E_clISt17integral_constantIbLb1EES18_IbLb0EEEEDaS14_S15_EUlS14_E_NS1_11comp_targetILNS1_3genE0ELNS1_11target_archE4294967295ELNS1_3gpuE0ELNS1_3repE0EEENS1_30default_config_static_selectorELNS0_4arch9wavefront6targetE1EEEvT1_,"axG",@progbits,_ZN7rocprim17ROCPRIM_400000_NS6detail17trampoline_kernelINS0_14default_configENS1_25partition_config_selectorILNS1_17partition_subalgoE0EsNS0_10empty_typeEbEEZZNS1_14partition_implILS5_0ELb0ES3_jN6thrust23THRUST_200600_302600_NS6detail15normal_iteratorINSA_10device_ptrIsEEEEPS6_SG_NS0_5tupleIJNSA_16discard_iteratorINSA_11use_defaultEEESK_EEENSH_IJSG_SG_EEES6_PlJ7is_evenIsEEEE10hipError_tPvRmT3_T4_T5_T6_T7_T9_mT8_P12ihipStream_tbDpT10_ENKUlT_T0_E_clISt17integral_constantIbLb1EES18_IbLb0EEEEDaS14_S15_EUlS14_E_NS1_11comp_targetILNS1_3genE0ELNS1_11target_archE4294967295ELNS1_3gpuE0ELNS1_3repE0EEENS1_30default_config_static_selectorELNS0_4arch9wavefront6targetE1EEEvT1_,comdat
	.protected	_ZN7rocprim17ROCPRIM_400000_NS6detail17trampoline_kernelINS0_14default_configENS1_25partition_config_selectorILNS1_17partition_subalgoE0EsNS0_10empty_typeEbEEZZNS1_14partition_implILS5_0ELb0ES3_jN6thrust23THRUST_200600_302600_NS6detail15normal_iteratorINSA_10device_ptrIsEEEEPS6_SG_NS0_5tupleIJNSA_16discard_iteratorINSA_11use_defaultEEESK_EEENSH_IJSG_SG_EEES6_PlJ7is_evenIsEEEE10hipError_tPvRmT3_T4_T5_T6_T7_T9_mT8_P12ihipStream_tbDpT10_ENKUlT_T0_E_clISt17integral_constantIbLb1EES18_IbLb0EEEEDaS14_S15_EUlS14_E_NS1_11comp_targetILNS1_3genE0ELNS1_11target_archE4294967295ELNS1_3gpuE0ELNS1_3repE0EEENS1_30default_config_static_selectorELNS0_4arch9wavefront6targetE1EEEvT1_ ; -- Begin function _ZN7rocprim17ROCPRIM_400000_NS6detail17trampoline_kernelINS0_14default_configENS1_25partition_config_selectorILNS1_17partition_subalgoE0EsNS0_10empty_typeEbEEZZNS1_14partition_implILS5_0ELb0ES3_jN6thrust23THRUST_200600_302600_NS6detail15normal_iteratorINSA_10device_ptrIsEEEEPS6_SG_NS0_5tupleIJNSA_16discard_iteratorINSA_11use_defaultEEESK_EEENSH_IJSG_SG_EEES6_PlJ7is_evenIsEEEE10hipError_tPvRmT3_T4_T5_T6_T7_T9_mT8_P12ihipStream_tbDpT10_ENKUlT_T0_E_clISt17integral_constantIbLb1EES18_IbLb0EEEEDaS14_S15_EUlS14_E_NS1_11comp_targetILNS1_3genE0ELNS1_11target_archE4294967295ELNS1_3gpuE0ELNS1_3repE0EEENS1_30default_config_static_selectorELNS0_4arch9wavefront6targetE1EEEvT1_
	.globl	_ZN7rocprim17ROCPRIM_400000_NS6detail17trampoline_kernelINS0_14default_configENS1_25partition_config_selectorILNS1_17partition_subalgoE0EsNS0_10empty_typeEbEEZZNS1_14partition_implILS5_0ELb0ES3_jN6thrust23THRUST_200600_302600_NS6detail15normal_iteratorINSA_10device_ptrIsEEEEPS6_SG_NS0_5tupleIJNSA_16discard_iteratorINSA_11use_defaultEEESK_EEENSH_IJSG_SG_EEES6_PlJ7is_evenIsEEEE10hipError_tPvRmT3_T4_T5_T6_T7_T9_mT8_P12ihipStream_tbDpT10_ENKUlT_T0_E_clISt17integral_constantIbLb1EES18_IbLb0EEEEDaS14_S15_EUlS14_E_NS1_11comp_targetILNS1_3genE0ELNS1_11target_archE4294967295ELNS1_3gpuE0ELNS1_3repE0EEENS1_30default_config_static_selectorELNS0_4arch9wavefront6targetE1EEEvT1_
	.p2align	8
	.type	_ZN7rocprim17ROCPRIM_400000_NS6detail17trampoline_kernelINS0_14default_configENS1_25partition_config_selectorILNS1_17partition_subalgoE0EsNS0_10empty_typeEbEEZZNS1_14partition_implILS5_0ELb0ES3_jN6thrust23THRUST_200600_302600_NS6detail15normal_iteratorINSA_10device_ptrIsEEEEPS6_SG_NS0_5tupleIJNSA_16discard_iteratorINSA_11use_defaultEEESK_EEENSH_IJSG_SG_EEES6_PlJ7is_evenIsEEEE10hipError_tPvRmT3_T4_T5_T6_T7_T9_mT8_P12ihipStream_tbDpT10_ENKUlT_T0_E_clISt17integral_constantIbLb1EES18_IbLb0EEEEDaS14_S15_EUlS14_E_NS1_11comp_targetILNS1_3genE0ELNS1_11target_archE4294967295ELNS1_3gpuE0ELNS1_3repE0EEENS1_30default_config_static_selectorELNS0_4arch9wavefront6targetE1EEEvT1_,@function
_ZN7rocprim17ROCPRIM_400000_NS6detail17trampoline_kernelINS0_14default_configENS1_25partition_config_selectorILNS1_17partition_subalgoE0EsNS0_10empty_typeEbEEZZNS1_14partition_implILS5_0ELb0ES3_jN6thrust23THRUST_200600_302600_NS6detail15normal_iteratorINSA_10device_ptrIsEEEEPS6_SG_NS0_5tupleIJNSA_16discard_iteratorINSA_11use_defaultEEESK_EEENSH_IJSG_SG_EEES6_PlJ7is_evenIsEEEE10hipError_tPvRmT3_T4_T5_T6_T7_T9_mT8_P12ihipStream_tbDpT10_ENKUlT_T0_E_clISt17integral_constantIbLb1EES18_IbLb0EEEEDaS14_S15_EUlS14_E_NS1_11comp_targetILNS1_3genE0ELNS1_11target_archE4294967295ELNS1_3gpuE0ELNS1_3repE0EEENS1_30default_config_static_selectorELNS0_4arch9wavefront6targetE1EEEvT1_: ; @_ZN7rocprim17ROCPRIM_400000_NS6detail17trampoline_kernelINS0_14default_configENS1_25partition_config_selectorILNS1_17partition_subalgoE0EsNS0_10empty_typeEbEEZZNS1_14partition_implILS5_0ELb0ES3_jN6thrust23THRUST_200600_302600_NS6detail15normal_iteratorINSA_10device_ptrIsEEEEPS6_SG_NS0_5tupleIJNSA_16discard_iteratorINSA_11use_defaultEEESK_EEENSH_IJSG_SG_EEES6_PlJ7is_evenIsEEEE10hipError_tPvRmT3_T4_T5_T6_T7_T9_mT8_P12ihipStream_tbDpT10_ENKUlT_T0_E_clISt17integral_constantIbLb1EES18_IbLb0EEEEDaS14_S15_EUlS14_E_NS1_11comp_targetILNS1_3genE0ELNS1_11target_archE4294967295ELNS1_3gpuE0ELNS1_3repE0EEENS1_30default_config_static_selectorELNS0_4arch9wavefront6targetE1EEEvT1_
; %bb.0:
	.section	.rodata,"a",@progbits
	.p2align	6, 0x0
	.amdhsa_kernel _ZN7rocprim17ROCPRIM_400000_NS6detail17trampoline_kernelINS0_14default_configENS1_25partition_config_selectorILNS1_17partition_subalgoE0EsNS0_10empty_typeEbEEZZNS1_14partition_implILS5_0ELb0ES3_jN6thrust23THRUST_200600_302600_NS6detail15normal_iteratorINSA_10device_ptrIsEEEEPS6_SG_NS0_5tupleIJNSA_16discard_iteratorINSA_11use_defaultEEESK_EEENSH_IJSG_SG_EEES6_PlJ7is_evenIsEEEE10hipError_tPvRmT3_T4_T5_T6_T7_T9_mT8_P12ihipStream_tbDpT10_ENKUlT_T0_E_clISt17integral_constantIbLb1EES18_IbLb0EEEEDaS14_S15_EUlS14_E_NS1_11comp_targetILNS1_3genE0ELNS1_11target_archE4294967295ELNS1_3gpuE0ELNS1_3repE0EEENS1_30default_config_static_selectorELNS0_4arch9wavefront6targetE1EEEvT1_
		.amdhsa_group_segment_fixed_size 0
		.amdhsa_private_segment_fixed_size 0
		.amdhsa_kernarg_size 136
		.amdhsa_user_sgpr_count 6
		.amdhsa_user_sgpr_private_segment_buffer 1
		.amdhsa_user_sgpr_dispatch_ptr 0
		.amdhsa_user_sgpr_queue_ptr 0
		.amdhsa_user_sgpr_kernarg_segment_ptr 1
		.amdhsa_user_sgpr_dispatch_id 0
		.amdhsa_user_sgpr_flat_scratch_init 0
		.amdhsa_user_sgpr_kernarg_preload_length 0
		.amdhsa_user_sgpr_kernarg_preload_offset 0
		.amdhsa_user_sgpr_private_segment_size 0
		.amdhsa_uses_dynamic_stack 0
		.amdhsa_system_sgpr_private_segment_wavefront_offset 0
		.amdhsa_system_sgpr_workgroup_id_x 1
		.amdhsa_system_sgpr_workgroup_id_y 0
		.amdhsa_system_sgpr_workgroup_id_z 0
		.amdhsa_system_sgpr_workgroup_info 0
		.amdhsa_system_vgpr_workitem_id 0
		.amdhsa_next_free_vgpr 1
		.amdhsa_next_free_sgpr 0
		.amdhsa_accum_offset 4
		.amdhsa_reserve_vcc 0
		.amdhsa_reserve_flat_scratch 0
		.amdhsa_float_round_mode_32 0
		.amdhsa_float_round_mode_16_64 0
		.amdhsa_float_denorm_mode_32 3
		.amdhsa_float_denorm_mode_16_64 3
		.amdhsa_dx10_clamp 1
		.amdhsa_ieee_mode 1
		.amdhsa_fp16_overflow 0
		.amdhsa_tg_split 0
		.amdhsa_exception_fp_ieee_invalid_op 0
		.amdhsa_exception_fp_denorm_src 0
		.amdhsa_exception_fp_ieee_div_zero 0
		.amdhsa_exception_fp_ieee_overflow 0
		.amdhsa_exception_fp_ieee_underflow 0
		.amdhsa_exception_fp_ieee_inexact 0
		.amdhsa_exception_int_div_zero 0
	.end_amdhsa_kernel
	.section	.text._ZN7rocprim17ROCPRIM_400000_NS6detail17trampoline_kernelINS0_14default_configENS1_25partition_config_selectorILNS1_17partition_subalgoE0EsNS0_10empty_typeEbEEZZNS1_14partition_implILS5_0ELb0ES3_jN6thrust23THRUST_200600_302600_NS6detail15normal_iteratorINSA_10device_ptrIsEEEEPS6_SG_NS0_5tupleIJNSA_16discard_iteratorINSA_11use_defaultEEESK_EEENSH_IJSG_SG_EEES6_PlJ7is_evenIsEEEE10hipError_tPvRmT3_T4_T5_T6_T7_T9_mT8_P12ihipStream_tbDpT10_ENKUlT_T0_E_clISt17integral_constantIbLb1EES18_IbLb0EEEEDaS14_S15_EUlS14_E_NS1_11comp_targetILNS1_3genE0ELNS1_11target_archE4294967295ELNS1_3gpuE0ELNS1_3repE0EEENS1_30default_config_static_selectorELNS0_4arch9wavefront6targetE1EEEvT1_,"axG",@progbits,_ZN7rocprim17ROCPRIM_400000_NS6detail17trampoline_kernelINS0_14default_configENS1_25partition_config_selectorILNS1_17partition_subalgoE0EsNS0_10empty_typeEbEEZZNS1_14partition_implILS5_0ELb0ES3_jN6thrust23THRUST_200600_302600_NS6detail15normal_iteratorINSA_10device_ptrIsEEEEPS6_SG_NS0_5tupleIJNSA_16discard_iteratorINSA_11use_defaultEEESK_EEENSH_IJSG_SG_EEES6_PlJ7is_evenIsEEEE10hipError_tPvRmT3_T4_T5_T6_T7_T9_mT8_P12ihipStream_tbDpT10_ENKUlT_T0_E_clISt17integral_constantIbLb1EES18_IbLb0EEEEDaS14_S15_EUlS14_E_NS1_11comp_targetILNS1_3genE0ELNS1_11target_archE4294967295ELNS1_3gpuE0ELNS1_3repE0EEENS1_30default_config_static_selectorELNS0_4arch9wavefront6targetE1EEEvT1_,comdat
.Lfunc_end2795:
	.size	_ZN7rocprim17ROCPRIM_400000_NS6detail17trampoline_kernelINS0_14default_configENS1_25partition_config_selectorILNS1_17partition_subalgoE0EsNS0_10empty_typeEbEEZZNS1_14partition_implILS5_0ELb0ES3_jN6thrust23THRUST_200600_302600_NS6detail15normal_iteratorINSA_10device_ptrIsEEEEPS6_SG_NS0_5tupleIJNSA_16discard_iteratorINSA_11use_defaultEEESK_EEENSH_IJSG_SG_EEES6_PlJ7is_evenIsEEEE10hipError_tPvRmT3_T4_T5_T6_T7_T9_mT8_P12ihipStream_tbDpT10_ENKUlT_T0_E_clISt17integral_constantIbLb1EES18_IbLb0EEEEDaS14_S15_EUlS14_E_NS1_11comp_targetILNS1_3genE0ELNS1_11target_archE4294967295ELNS1_3gpuE0ELNS1_3repE0EEENS1_30default_config_static_selectorELNS0_4arch9wavefront6targetE1EEEvT1_, .Lfunc_end2795-_ZN7rocprim17ROCPRIM_400000_NS6detail17trampoline_kernelINS0_14default_configENS1_25partition_config_selectorILNS1_17partition_subalgoE0EsNS0_10empty_typeEbEEZZNS1_14partition_implILS5_0ELb0ES3_jN6thrust23THRUST_200600_302600_NS6detail15normal_iteratorINSA_10device_ptrIsEEEEPS6_SG_NS0_5tupleIJNSA_16discard_iteratorINSA_11use_defaultEEESK_EEENSH_IJSG_SG_EEES6_PlJ7is_evenIsEEEE10hipError_tPvRmT3_T4_T5_T6_T7_T9_mT8_P12ihipStream_tbDpT10_ENKUlT_T0_E_clISt17integral_constantIbLb1EES18_IbLb0EEEEDaS14_S15_EUlS14_E_NS1_11comp_targetILNS1_3genE0ELNS1_11target_archE4294967295ELNS1_3gpuE0ELNS1_3repE0EEENS1_30default_config_static_selectorELNS0_4arch9wavefront6targetE1EEEvT1_
                                        ; -- End function
	.section	.AMDGPU.csdata,"",@progbits
; Kernel info:
; codeLenInByte = 0
; NumSgprs: 4
; NumVgprs: 0
; NumAgprs: 0
; TotalNumVgprs: 0
; ScratchSize: 0
; MemoryBound: 0
; FloatMode: 240
; IeeeMode: 1
; LDSByteSize: 0 bytes/workgroup (compile time only)
; SGPRBlocks: 0
; VGPRBlocks: 0
; NumSGPRsForWavesPerEU: 4
; NumVGPRsForWavesPerEU: 1
; AccumOffset: 4
; Occupancy: 8
; WaveLimiterHint : 0
; COMPUTE_PGM_RSRC2:SCRATCH_EN: 0
; COMPUTE_PGM_RSRC2:USER_SGPR: 6
; COMPUTE_PGM_RSRC2:TRAP_HANDLER: 0
; COMPUTE_PGM_RSRC2:TGID_X_EN: 1
; COMPUTE_PGM_RSRC2:TGID_Y_EN: 0
; COMPUTE_PGM_RSRC2:TGID_Z_EN: 0
; COMPUTE_PGM_RSRC2:TIDIG_COMP_CNT: 0
; COMPUTE_PGM_RSRC3_GFX90A:ACCUM_OFFSET: 0
; COMPUTE_PGM_RSRC3_GFX90A:TG_SPLIT: 0
	.section	.text._ZN7rocprim17ROCPRIM_400000_NS6detail17trampoline_kernelINS0_14default_configENS1_25partition_config_selectorILNS1_17partition_subalgoE0EsNS0_10empty_typeEbEEZZNS1_14partition_implILS5_0ELb0ES3_jN6thrust23THRUST_200600_302600_NS6detail15normal_iteratorINSA_10device_ptrIsEEEEPS6_SG_NS0_5tupleIJNSA_16discard_iteratorINSA_11use_defaultEEESK_EEENSH_IJSG_SG_EEES6_PlJ7is_evenIsEEEE10hipError_tPvRmT3_T4_T5_T6_T7_T9_mT8_P12ihipStream_tbDpT10_ENKUlT_T0_E_clISt17integral_constantIbLb1EES18_IbLb0EEEEDaS14_S15_EUlS14_E_NS1_11comp_targetILNS1_3genE5ELNS1_11target_archE942ELNS1_3gpuE9ELNS1_3repE0EEENS1_30default_config_static_selectorELNS0_4arch9wavefront6targetE1EEEvT1_,"axG",@progbits,_ZN7rocprim17ROCPRIM_400000_NS6detail17trampoline_kernelINS0_14default_configENS1_25partition_config_selectorILNS1_17partition_subalgoE0EsNS0_10empty_typeEbEEZZNS1_14partition_implILS5_0ELb0ES3_jN6thrust23THRUST_200600_302600_NS6detail15normal_iteratorINSA_10device_ptrIsEEEEPS6_SG_NS0_5tupleIJNSA_16discard_iteratorINSA_11use_defaultEEESK_EEENSH_IJSG_SG_EEES6_PlJ7is_evenIsEEEE10hipError_tPvRmT3_T4_T5_T6_T7_T9_mT8_P12ihipStream_tbDpT10_ENKUlT_T0_E_clISt17integral_constantIbLb1EES18_IbLb0EEEEDaS14_S15_EUlS14_E_NS1_11comp_targetILNS1_3genE5ELNS1_11target_archE942ELNS1_3gpuE9ELNS1_3repE0EEENS1_30default_config_static_selectorELNS0_4arch9wavefront6targetE1EEEvT1_,comdat
	.protected	_ZN7rocprim17ROCPRIM_400000_NS6detail17trampoline_kernelINS0_14default_configENS1_25partition_config_selectorILNS1_17partition_subalgoE0EsNS0_10empty_typeEbEEZZNS1_14partition_implILS5_0ELb0ES3_jN6thrust23THRUST_200600_302600_NS6detail15normal_iteratorINSA_10device_ptrIsEEEEPS6_SG_NS0_5tupleIJNSA_16discard_iteratorINSA_11use_defaultEEESK_EEENSH_IJSG_SG_EEES6_PlJ7is_evenIsEEEE10hipError_tPvRmT3_T4_T5_T6_T7_T9_mT8_P12ihipStream_tbDpT10_ENKUlT_T0_E_clISt17integral_constantIbLb1EES18_IbLb0EEEEDaS14_S15_EUlS14_E_NS1_11comp_targetILNS1_3genE5ELNS1_11target_archE942ELNS1_3gpuE9ELNS1_3repE0EEENS1_30default_config_static_selectorELNS0_4arch9wavefront6targetE1EEEvT1_ ; -- Begin function _ZN7rocprim17ROCPRIM_400000_NS6detail17trampoline_kernelINS0_14default_configENS1_25partition_config_selectorILNS1_17partition_subalgoE0EsNS0_10empty_typeEbEEZZNS1_14partition_implILS5_0ELb0ES3_jN6thrust23THRUST_200600_302600_NS6detail15normal_iteratorINSA_10device_ptrIsEEEEPS6_SG_NS0_5tupleIJNSA_16discard_iteratorINSA_11use_defaultEEESK_EEENSH_IJSG_SG_EEES6_PlJ7is_evenIsEEEE10hipError_tPvRmT3_T4_T5_T6_T7_T9_mT8_P12ihipStream_tbDpT10_ENKUlT_T0_E_clISt17integral_constantIbLb1EES18_IbLb0EEEEDaS14_S15_EUlS14_E_NS1_11comp_targetILNS1_3genE5ELNS1_11target_archE942ELNS1_3gpuE9ELNS1_3repE0EEENS1_30default_config_static_selectorELNS0_4arch9wavefront6targetE1EEEvT1_
	.globl	_ZN7rocprim17ROCPRIM_400000_NS6detail17trampoline_kernelINS0_14default_configENS1_25partition_config_selectorILNS1_17partition_subalgoE0EsNS0_10empty_typeEbEEZZNS1_14partition_implILS5_0ELb0ES3_jN6thrust23THRUST_200600_302600_NS6detail15normal_iteratorINSA_10device_ptrIsEEEEPS6_SG_NS0_5tupleIJNSA_16discard_iteratorINSA_11use_defaultEEESK_EEENSH_IJSG_SG_EEES6_PlJ7is_evenIsEEEE10hipError_tPvRmT3_T4_T5_T6_T7_T9_mT8_P12ihipStream_tbDpT10_ENKUlT_T0_E_clISt17integral_constantIbLb1EES18_IbLb0EEEEDaS14_S15_EUlS14_E_NS1_11comp_targetILNS1_3genE5ELNS1_11target_archE942ELNS1_3gpuE9ELNS1_3repE0EEENS1_30default_config_static_selectorELNS0_4arch9wavefront6targetE1EEEvT1_
	.p2align	8
	.type	_ZN7rocprim17ROCPRIM_400000_NS6detail17trampoline_kernelINS0_14default_configENS1_25partition_config_selectorILNS1_17partition_subalgoE0EsNS0_10empty_typeEbEEZZNS1_14partition_implILS5_0ELb0ES3_jN6thrust23THRUST_200600_302600_NS6detail15normal_iteratorINSA_10device_ptrIsEEEEPS6_SG_NS0_5tupleIJNSA_16discard_iteratorINSA_11use_defaultEEESK_EEENSH_IJSG_SG_EEES6_PlJ7is_evenIsEEEE10hipError_tPvRmT3_T4_T5_T6_T7_T9_mT8_P12ihipStream_tbDpT10_ENKUlT_T0_E_clISt17integral_constantIbLb1EES18_IbLb0EEEEDaS14_S15_EUlS14_E_NS1_11comp_targetILNS1_3genE5ELNS1_11target_archE942ELNS1_3gpuE9ELNS1_3repE0EEENS1_30default_config_static_selectorELNS0_4arch9wavefront6targetE1EEEvT1_,@function
_ZN7rocprim17ROCPRIM_400000_NS6detail17trampoline_kernelINS0_14default_configENS1_25partition_config_selectorILNS1_17partition_subalgoE0EsNS0_10empty_typeEbEEZZNS1_14partition_implILS5_0ELb0ES3_jN6thrust23THRUST_200600_302600_NS6detail15normal_iteratorINSA_10device_ptrIsEEEEPS6_SG_NS0_5tupleIJNSA_16discard_iteratorINSA_11use_defaultEEESK_EEENSH_IJSG_SG_EEES6_PlJ7is_evenIsEEEE10hipError_tPvRmT3_T4_T5_T6_T7_T9_mT8_P12ihipStream_tbDpT10_ENKUlT_T0_E_clISt17integral_constantIbLb1EES18_IbLb0EEEEDaS14_S15_EUlS14_E_NS1_11comp_targetILNS1_3genE5ELNS1_11target_archE942ELNS1_3gpuE9ELNS1_3repE0EEENS1_30default_config_static_selectorELNS0_4arch9wavefront6targetE1EEEvT1_: ; @_ZN7rocprim17ROCPRIM_400000_NS6detail17trampoline_kernelINS0_14default_configENS1_25partition_config_selectorILNS1_17partition_subalgoE0EsNS0_10empty_typeEbEEZZNS1_14partition_implILS5_0ELb0ES3_jN6thrust23THRUST_200600_302600_NS6detail15normal_iteratorINSA_10device_ptrIsEEEEPS6_SG_NS0_5tupleIJNSA_16discard_iteratorINSA_11use_defaultEEESK_EEENSH_IJSG_SG_EEES6_PlJ7is_evenIsEEEE10hipError_tPvRmT3_T4_T5_T6_T7_T9_mT8_P12ihipStream_tbDpT10_ENKUlT_T0_E_clISt17integral_constantIbLb1EES18_IbLb0EEEEDaS14_S15_EUlS14_E_NS1_11comp_targetILNS1_3genE5ELNS1_11target_archE942ELNS1_3gpuE9ELNS1_3repE0EEENS1_30default_config_static_selectorELNS0_4arch9wavefront6targetE1EEEvT1_
; %bb.0:
	.section	.rodata,"a",@progbits
	.p2align	6, 0x0
	.amdhsa_kernel _ZN7rocprim17ROCPRIM_400000_NS6detail17trampoline_kernelINS0_14default_configENS1_25partition_config_selectorILNS1_17partition_subalgoE0EsNS0_10empty_typeEbEEZZNS1_14partition_implILS5_0ELb0ES3_jN6thrust23THRUST_200600_302600_NS6detail15normal_iteratorINSA_10device_ptrIsEEEEPS6_SG_NS0_5tupleIJNSA_16discard_iteratorINSA_11use_defaultEEESK_EEENSH_IJSG_SG_EEES6_PlJ7is_evenIsEEEE10hipError_tPvRmT3_T4_T5_T6_T7_T9_mT8_P12ihipStream_tbDpT10_ENKUlT_T0_E_clISt17integral_constantIbLb1EES18_IbLb0EEEEDaS14_S15_EUlS14_E_NS1_11comp_targetILNS1_3genE5ELNS1_11target_archE942ELNS1_3gpuE9ELNS1_3repE0EEENS1_30default_config_static_selectorELNS0_4arch9wavefront6targetE1EEEvT1_
		.amdhsa_group_segment_fixed_size 0
		.amdhsa_private_segment_fixed_size 0
		.amdhsa_kernarg_size 136
		.amdhsa_user_sgpr_count 6
		.amdhsa_user_sgpr_private_segment_buffer 1
		.amdhsa_user_sgpr_dispatch_ptr 0
		.amdhsa_user_sgpr_queue_ptr 0
		.amdhsa_user_sgpr_kernarg_segment_ptr 1
		.amdhsa_user_sgpr_dispatch_id 0
		.amdhsa_user_sgpr_flat_scratch_init 0
		.amdhsa_user_sgpr_kernarg_preload_length 0
		.amdhsa_user_sgpr_kernarg_preload_offset 0
		.amdhsa_user_sgpr_private_segment_size 0
		.amdhsa_uses_dynamic_stack 0
		.amdhsa_system_sgpr_private_segment_wavefront_offset 0
		.amdhsa_system_sgpr_workgroup_id_x 1
		.amdhsa_system_sgpr_workgroup_id_y 0
		.amdhsa_system_sgpr_workgroup_id_z 0
		.amdhsa_system_sgpr_workgroup_info 0
		.amdhsa_system_vgpr_workitem_id 0
		.amdhsa_next_free_vgpr 1
		.amdhsa_next_free_sgpr 0
		.amdhsa_accum_offset 4
		.amdhsa_reserve_vcc 0
		.amdhsa_reserve_flat_scratch 0
		.amdhsa_float_round_mode_32 0
		.amdhsa_float_round_mode_16_64 0
		.amdhsa_float_denorm_mode_32 3
		.amdhsa_float_denorm_mode_16_64 3
		.amdhsa_dx10_clamp 1
		.amdhsa_ieee_mode 1
		.amdhsa_fp16_overflow 0
		.amdhsa_tg_split 0
		.amdhsa_exception_fp_ieee_invalid_op 0
		.amdhsa_exception_fp_denorm_src 0
		.amdhsa_exception_fp_ieee_div_zero 0
		.amdhsa_exception_fp_ieee_overflow 0
		.amdhsa_exception_fp_ieee_underflow 0
		.amdhsa_exception_fp_ieee_inexact 0
		.amdhsa_exception_int_div_zero 0
	.end_amdhsa_kernel
	.section	.text._ZN7rocprim17ROCPRIM_400000_NS6detail17trampoline_kernelINS0_14default_configENS1_25partition_config_selectorILNS1_17partition_subalgoE0EsNS0_10empty_typeEbEEZZNS1_14partition_implILS5_0ELb0ES3_jN6thrust23THRUST_200600_302600_NS6detail15normal_iteratorINSA_10device_ptrIsEEEEPS6_SG_NS0_5tupleIJNSA_16discard_iteratorINSA_11use_defaultEEESK_EEENSH_IJSG_SG_EEES6_PlJ7is_evenIsEEEE10hipError_tPvRmT3_T4_T5_T6_T7_T9_mT8_P12ihipStream_tbDpT10_ENKUlT_T0_E_clISt17integral_constantIbLb1EES18_IbLb0EEEEDaS14_S15_EUlS14_E_NS1_11comp_targetILNS1_3genE5ELNS1_11target_archE942ELNS1_3gpuE9ELNS1_3repE0EEENS1_30default_config_static_selectorELNS0_4arch9wavefront6targetE1EEEvT1_,"axG",@progbits,_ZN7rocprim17ROCPRIM_400000_NS6detail17trampoline_kernelINS0_14default_configENS1_25partition_config_selectorILNS1_17partition_subalgoE0EsNS0_10empty_typeEbEEZZNS1_14partition_implILS5_0ELb0ES3_jN6thrust23THRUST_200600_302600_NS6detail15normal_iteratorINSA_10device_ptrIsEEEEPS6_SG_NS0_5tupleIJNSA_16discard_iteratorINSA_11use_defaultEEESK_EEENSH_IJSG_SG_EEES6_PlJ7is_evenIsEEEE10hipError_tPvRmT3_T4_T5_T6_T7_T9_mT8_P12ihipStream_tbDpT10_ENKUlT_T0_E_clISt17integral_constantIbLb1EES18_IbLb0EEEEDaS14_S15_EUlS14_E_NS1_11comp_targetILNS1_3genE5ELNS1_11target_archE942ELNS1_3gpuE9ELNS1_3repE0EEENS1_30default_config_static_selectorELNS0_4arch9wavefront6targetE1EEEvT1_,comdat
.Lfunc_end2796:
	.size	_ZN7rocprim17ROCPRIM_400000_NS6detail17trampoline_kernelINS0_14default_configENS1_25partition_config_selectorILNS1_17partition_subalgoE0EsNS0_10empty_typeEbEEZZNS1_14partition_implILS5_0ELb0ES3_jN6thrust23THRUST_200600_302600_NS6detail15normal_iteratorINSA_10device_ptrIsEEEEPS6_SG_NS0_5tupleIJNSA_16discard_iteratorINSA_11use_defaultEEESK_EEENSH_IJSG_SG_EEES6_PlJ7is_evenIsEEEE10hipError_tPvRmT3_T4_T5_T6_T7_T9_mT8_P12ihipStream_tbDpT10_ENKUlT_T0_E_clISt17integral_constantIbLb1EES18_IbLb0EEEEDaS14_S15_EUlS14_E_NS1_11comp_targetILNS1_3genE5ELNS1_11target_archE942ELNS1_3gpuE9ELNS1_3repE0EEENS1_30default_config_static_selectorELNS0_4arch9wavefront6targetE1EEEvT1_, .Lfunc_end2796-_ZN7rocprim17ROCPRIM_400000_NS6detail17trampoline_kernelINS0_14default_configENS1_25partition_config_selectorILNS1_17partition_subalgoE0EsNS0_10empty_typeEbEEZZNS1_14partition_implILS5_0ELb0ES3_jN6thrust23THRUST_200600_302600_NS6detail15normal_iteratorINSA_10device_ptrIsEEEEPS6_SG_NS0_5tupleIJNSA_16discard_iteratorINSA_11use_defaultEEESK_EEENSH_IJSG_SG_EEES6_PlJ7is_evenIsEEEE10hipError_tPvRmT3_T4_T5_T6_T7_T9_mT8_P12ihipStream_tbDpT10_ENKUlT_T0_E_clISt17integral_constantIbLb1EES18_IbLb0EEEEDaS14_S15_EUlS14_E_NS1_11comp_targetILNS1_3genE5ELNS1_11target_archE942ELNS1_3gpuE9ELNS1_3repE0EEENS1_30default_config_static_selectorELNS0_4arch9wavefront6targetE1EEEvT1_
                                        ; -- End function
	.section	.AMDGPU.csdata,"",@progbits
; Kernel info:
; codeLenInByte = 0
; NumSgprs: 4
; NumVgprs: 0
; NumAgprs: 0
; TotalNumVgprs: 0
; ScratchSize: 0
; MemoryBound: 0
; FloatMode: 240
; IeeeMode: 1
; LDSByteSize: 0 bytes/workgroup (compile time only)
; SGPRBlocks: 0
; VGPRBlocks: 0
; NumSGPRsForWavesPerEU: 4
; NumVGPRsForWavesPerEU: 1
; AccumOffset: 4
; Occupancy: 8
; WaveLimiterHint : 0
; COMPUTE_PGM_RSRC2:SCRATCH_EN: 0
; COMPUTE_PGM_RSRC2:USER_SGPR: 6
; COMPUTE_PGM_RSRC2:TRAP_HANDLER: 0
; COMPUTE_PGM_RSRC2:TGID_X_EN: 1
; COMPUTE_PGM_RSRC2:TGID_Y_EN: 0
; COMPUTE_PGM_RSRC2:TGID_Z_EN: 0
; COMPUTE_PGM_RSRC2:TIDIG_COMP_CNT: 0
; COMPUTE_PGM_RSRC3_GFX90A:ACCUM_OFFSET: 0
; COMPUTE_PGM_RSRC3_GFX90A:TG_SPLIT: 0
	.section	.text._ZN7rocprim17ROCPRIM_400000_NS6detail17trampoline_kernelINS0_14default_configENS1_25partition_config_selectorILNS1_17partition_subalgoE0EsNS0_10empty_typeEbEEZZNS1_14partition_implILS5_0ELb0ES3_jN6thrust23THRUST_200600_302600_NS6detail15normal_iteratorINSA_10device_ptrIsEEEEPS6_SG_NS0_5tupleIJNSA_16discard_iteratorINSA_11use_defaultEEESK_EEENSH_IJSG_SG_EEES6_PlJ7is_evenIsEEEE10hipError_tPvRmT3_T4_T5_T6_T7_T9_mT8_P12ihipStream_tbDpT10_ENKUlT_T0_E_clISt17integral_constantIbLb1EES18_IbLb0EEEEDaS14_S15_EUlS14_E_NS1_11comp_targetILNS1_3genE4ELNS1_11target_archE910ELNS1_3gpuE8ELNS1_3repE0EEENS1_30default_config_static_selectorELNS0_4arch9wavefront6targetE1EEEvT1_,"axG",@progbits,_ZN7rocprim17ROCPRIM_400000_NS6detail17trampoline_kernelINS0_14default_configENS1_25partition_config_selectorILNS1_17partition_subalgoE0EsNS0_10empty_typeEbEEZZNS1_14partition_implILS5_0ELb0ES3_jN6thrust23THRUST_200600_302600_NS6detail15normal_iteratorINSA_10device_ptrIsEEEEPS6_SG_NS0_5tupleIJNSA_16discard_iteratorINSA_11use_defaultEEESK_EEENSH_IJSG_SG_EEES6_PlJ7is_evenIsEEEE10hipError_tPvRmT3_T4_T5_T6_T7_T9_mT8_P12ihipStream_tbDpT10_ENKUlT_T0_E_clISt17integral_constantIbLb1EES18_IbLb0EEEEDaS14_S15_EUlS14_E_NS1_11comp_targetILNS1_3genE4ELNS1_11target_archE910ELNS1_3gpuE8ELNS1_3repE0EEENS1_30default_config_static_selectorELNS0_4arch9wavefront6targetE1EEEvT1_,comdat
	.protected	_ZN7rocprim17ROCPRIM_400000_NS6detail17trampoline_kernelINS0_14default_configENS1_25partition_config_selectorILNS1_17partition_subalgoE0EsNS0_10empty_typeEbEEZZNS1_14partition_implILS5_0ELb0ES3_jN6thrust23THRUST_200600_302600_NS6detail15normal_iteratorINSA_10device_ptrIsEEEEPS6_SG_NS0_5tupleIJNSA_16discard_iteratorINSA_11use_defaultEEESK_EEENSH_IJSG_SG_EEES6_PlJ7is_evenIsEEEE10hipError_tPvRmT3_T4_T5_T6_T7_T9_mT8_P12ihipStream_tbDpT10_ENKUlT_T0_E_clISt17integral_constantIbLb1EES18_IbLb0EEEEDaS14_S15_EUlS14_E_NS1_11comp_targetILNS1_3genE4ELNS1_11target_archE910ELNS1_3gpuE8ELNS1_3repE0EEENS1_30default_config_static_selectorELNS0_4arch9wavefront6targetE1EEEvT1_ ; -- Begin function _ZN7rocprim17ROCPRIM_400000_NS6detail17trampoline_kernelINS0_14default_configENS1_25partition_config_selectorILNS1_17partition_subalgoE0EsNS0_10empty_typeEbEEZZNS1_14partition_implILS5_0ELb0ES3_jN6thrust23THRUST_200600_302600_NS6detail15normal_iteratorINSA_10device_ptrIsEEEEPS6_SG_NS0_5tupleIJNSA_16discard_iteratorINSA_11use_defaultEEESK_EEENSH_IJSG_SG_EEES6_PlJ7is_evenIsEEEE10hipError_tPvRmT3_T4_T5_T6_T7_T9_mT8_P12ihipStream_tbDpT10_ENKUlT_T0_E_clISt17integral_constantIbLb1EES18_IbLb0EEEEDaS14_S15_EUlS14_E_NS1_11comp_targetILNS1_3genE4ELNS1_11target_archE910ELNS1_3gpuE8ELNS1_3repE0EEENS1_30default_config_static_selectorELNS0_4arch9wavefront6targetE1EEEvT1_
	.globl	_ZN7rocprim17ROCPRIM_400000_NS6detail17trampoline_kernelINS0_14default_configENS1_25partition_config_selectorILNS1_17partition_subalgoE0EsNS0_10empty_typeEbEEZZNS1_14partition_implILS5_0ELb0ES3_jN6thrust23THRUST_200600_302600_NS6detail15normal_iteratorINSA_10device_ptrIsEEEEPS6_SG_NS0_5tupleIJNSA_16discard_iteratorINSA_11use_defaultEEESK_EEENSH_IJSG_SG_EEES6_PlJ7is_evenIsEEEE10hipError_tPvRmT3_T4_T5_T6_T7_T9_mT8_P12ihipStream_tbDpT10_ENKUlT_T0_E_clISt17integral_constantIbLb1EES18_IbLb0EEEEDaS14_S15_EUlS14_E_NS1_11comp_targetILNS1_3genE4ELNS1_11target_archE910ELNS1_3gpuE8ELNS1_3repE0EEENS1_30default_config_static_selectorELNS0_4arch9wavefront6targetE1EEEvT1_
	.p2align	8
	.type	_ZN7rocprim17ROCPRIM_400000_NS6detail17trampoline_kernelINS0_14default_configENS1_25partition_config_selectorILNS1_17partition_subalgoE0EsNS0_10empty_typeEbEEZZNS1_14partition_implILS5_0ELb0ES3_jN6thrust23THRUST_200600_302600_NS6detail15normal_iteratorINSA_10device_ptrIsEEEEPS6_SG_NS0_5tupleIJNSA_16discard_iteratorINSA_11use_defaultEEESK_EEENSH_IJSG_SG_EEES6_PlJ7is_evenIsEEEE10hipError_tPvRmT3_T4_T5_T6_T7_T9_mT8_P12ihipStream_tbDpT10_ENKUlT_T0_E_clISt17integral_constantIbLb1EES18_IbLb0EEEEDaS14_S15_EUlS14_E_NS1_11comp_targetILNS1_3genE4ELNS1_11target_archE910ELNS1_3gpuE8ELNS1_3repE0EEENS1_30default_config_static_selectorELNS0_4arch9wavefront6targetE1EEEvT1_,@function
_ZN7rocprim17ROCPRIM_400000_NS6detail17trampoline_kernelINS0_14default_configENS1_25partition_config_selectorILNS1_17partition_subalgoE0EsNS0_10empty_typeEbEEZZNS1_14partition_implILS5_0ELb0ES3_jN6thrust23THRUST_200600_302600_NS6detail15normal_iteratorINSA_10device_ptrIsEEEEPS6_SG_NS0_5tupleIJNSA_16discard_iteratorINSA_11use_defaultEEESK_EEENSH_IJSG_SG_EEES6_PlJ7is_evenIsEEEE10hipError_tPvRmT3_T4_T5_T6_T7_T9_mT8_P12ihipStream_tbDpT10_ENKUlT_T0_E_clISt17integral_constantIbLb1EES18_IbLb0EEEEDaS14_S15_EUlS14_E_NS1_11comp_targetILNS1_3genE4ELNS1_11target_archE910ELNS1_3gpuE8ELNS1_3repE0EEENS1_30default_config_static_selectorELNS0_4arch9wavefront6targetE1EEEvT1_: ; @_ZN7rocprim17ROCPRIM_400000_NS6detail17trampoline_kernelINS0_14default_configENS1_25partition_config_selectorILNS1_17partition_subalgoE0EsNS0_10empty_typeEbEEZZNS1_14partition_implILS5_0ELb0ES3_jN6thrust23THRUST_200600_302600_NS6detail15normal_iteratorINSA_10device_ptrIsEEEEPS6_SG_NS0_5tupleIJNSA_16discard_iteratorINSA_11use_defaultEEESK_EEENSH_IJSG_SG_EEES6_PlJ7is_evenIsEEEE10hipError_tPvRmT3_T4_T5_T6_T7_T9_mT8_P12ihipStream_tbDpT10_ENKUlT_T0_E_clISt17integral_constantIbLb1EES18_IbLb0EEEEDaS14_S15_EUlS14_E_NS1_11comp_targetILNS1_3genE4ELNS1_11target_archE910ELNS1_3gpuE8ELNS1_3repE0EEENS1_30default_config_static_selectorELNS0_4arch9wavefront6targetE1EEEvT1_
; %bb.0:
	s_load_dwordx2 s[8:9], s[4:5], 0x68
	s_load_dwordx4 s[0:3], s[4:5], 0x8
	s_load_dwordx4 s[20:23], s[4:5], 0x58
	s_load_dword s7, s[4:5], 0x80
	v_lshlrev_b32_e32 v1, 1, v0
	s_waitcnt lgkmcnt(0)
	v_mov_b32_e32 v3, s9
	s_lshl_b64 s[10:11], s[2:3], 1
	s_add_u32 s9, s0, s10
	s_mul_i32 s0, s7, 0x1c00
	s_addc_u32 s12, s1, s11
	s_add_i32 s1, s0, s2
	s_add_i32 s13, s7, -1
	s_sub_i32 s7, s8, s1
	s_add_u32 s0, s2, s0
	s_addc_u32 s1, s3, 0
	s_cmp_eq_u32 s6, s13
	v_mov_b32_e32 v2, s8
	s_load_dwordx2 s[18:19], s[22:23], 0x0
	s_cselect_b64 s[22:23], -1, 0
	s_cmp_lg_u32 s6, s13
	s_mul_i32 s10, s6, 0x1c00
	s_mov_b32 s11, 0
	v_cmp_lt_u64_e32 vcc, s[0:1], v[2:3]
	s_cselect_b64 s[0:1], -1, 0
	s_or_b64 s[0:1], s[0:1], vcc
	s_lshl_b64 s[2:3], s[10:11], 1
	s_add_u32 s8, s9, s2
	s_addc_u32 s9, s12, s3
	s_mov_b64 s[2:3], -1
	s_and_b64 vcc, exec, s[0:1]
	s_cbranch_vccz .LBB2797_2
; %bb.1:
	v_mov_b32_e32 v3, s9
	v_add_co_u32_e32 v2, vcc, s8, v1
	v_addc_co_u32_e32 v3, vcc, 0, v3, vcc
	v_add_co_u32_e32 v4, vcc, 0x1000, v2
	v_addc_co_u32_e32 v5, vcc, 0, v3, vcc
	flat_load_ushort v6, v[2:3]
	flat_load_ushort v7, v[2:3] offset:512
	flat_load_ushort v8, v[2:3] offset:1024
	;; [unrolled: 1-line block ×7, first 2 shown]
	flat_load_ushort v14, v[4:5]
	flat_load_ushort v15, v[4:5] offset:512
	flat_load_ushort v16, v[4:5] offset:1024
	;; [unrolled: 1-line block ×7, first 2 shown]
	v_add_co_u32_e32 v4, vcc, 0x2000, v2
	v_addc_co_u32_e32 v5, vcc, 0, v3, vcc
	v_add_co_u32_e32 v2, vcc, 0x3000, v2
	v_addc_co_u32_e32 v3, vcc, 0, v3, vcc
	flat_load_ushort v22, v[4:5]
	flat_load_ushort v23, v[4:5] offset:512
	flat_load_ushort v24, v[4:5] offset:1024
	flat_load_ushort v25, v[4:5] offset:1536
	flat_load_ushort v26, v[4:5] offset:2048
	flat_load_ushort v27, v[4:5] offset:2560
	flat_load_ushort v28, v[4:5] offset:3072
	flat_load_ushort v29, v[4:5] offset:3584
	s_nop 0
	flat_load_ushort v4, v[2:3]
	flat_load_ushort v5, v[2:3] offset:512
	flat_load_ushort v30, v[2:3] offset:1024
	;; [unrolled: 1-line block ×3, first 2 shown]
	s_mov_b64 s[2:3], 0
	s_waitcnt vmcnt(0) lgkmcnt(0)
	ds_write_b16 v1, v6
	ds_write_b16 v1, v7 offset:512
	ds_write_b16 v1, v8 offset:1024
	;; [unrolled: 1-line block ×27, first 2 shown]
	s_waitcnt lgkmcnt(0)
	s_barrier
.LBB2797_2:
	s_andn2_b64 vcc, exec, s[2:3]
	s_addk_i32 s7, 0x1c00
	s_cbranch_vccnz .LBB2797_60
; %bb.3:
	v_cmp_gt_u32_e32 vcc, s7, v0
                                        ; implicit-def: $vgpr2
	s_and_saveexec_b64 s[2:3], vcc
	s_cbranch_execz .LBB2797_5
; %bb.4:
	v_mov_b32_e32 v3, s9
	v_add_co_u32_e32 v2, vcc, s8, v1
	v_addc_co_u32_e32 v3, vcc, 0, v3, vcc
	flat_load_ushort v2, v[2:3]
.LBB2797_5:
	s_or_b64 exec, exec, s[2:3]
	v_or_b32_e32 v3, 0x100, v0
	v_cmp_gt_u32_e32 vcc, s7, v3
                                        ; implicit-def: $vgpr3
	s_and_saveexec_b64 s[2:3], vcc
	s_cbranch_execz .LBB2797_7
; %bb.6:
	v_mov_b32_e32 v3, s9
	v_add_co_u32_e32 v4, vcc, s8, v1
	v_addc_co_u32_e32 v5, vcc, 0, v3, vcc
	flat_load_ushort v3, v[4:5] offset:512
.LBB2797_7:
	s_or_b64 exec, exec, s[2:3]
	v_or_b32_e32 v4, 0x200, v0
	v_cmp_gt_u32_e32 vcc, s7, v4
                                        ; implicit-def: $vgpr4
	s_and_saveexec_b64 s[2:3], vcc
	s_cbranch_execz .LBB2797_9
; %bb.8:
	v_mov_b32_e32 v5, s9
	v_add_co_u32_e32 v4, vcc, s8, v1
	v_addc_co_u32_e32 v5, vcc, 0, v5, vcc
	flat_load_ushort v4, v[4:5] offset:1024
.LBB2797_9:
	s_or_b64 exec, exec, s[2:3]
	v_or_b32_e32 v5, 0x300, v0
	v_cmp_gt_u32_e32 vcc, s7, v5
                                        ; implicit-def: $vgpr5
	s_and_saveexec_b64 s[2:3], vcc
	s_cbranch_execz .LBB2797_11
; %bb.10:
	v_mov_b32_e32 v5, s9
	v_add_co_u32_e32 v6, vcc, s8, v1
	v_addc_co_u32_e32 v7, vcc, 0, v5, vcc
	flat_load_ushort v5, v[6:7] offset:1536
.LBB2797_11:
	s_or_b64 exec, exec, s[2:3]
	v_or_b32_e32 v6, 0x400, v0
	v_cmp_gt_u32_e32 vcc, s7, v6
                                        ; implicit-def: $vgpr6
	s_and_saveexec_b64 s[2:3], vcc
	s_cbranch_execz .LBB2797_13
; %bb.12:
	v_mov_b32_e32 v7, s9
	v_add_co_u32_e32 v6, vcc, s8, v1
	v_addc_co_u32_e32 v7, vcc, 0, v7, vcc
	flat_load_ushort v6, v[6:7] offset:2048
.LBB2797_13:
	s_or_b64 exec, exec, s[2:3]
	v_or_b32_e32 v7, 0x500, v0
	v_cmp_gt_u32_e32 vcc, s7, v7
                                        ; implicit-def: $vgpr7
	s_and_saveexec_b64 s[2:3], vcc
	s_cbranch_execz .LBB2797_15
; %bb.14:
	v_mov_b32_e32 v7, s9
	v_add_co_u32_e32 v8, vcc, s8, v1
	v_addc_co_u32_e32 v9, vcc, 0, v7, vcc
	flat_load_ushort v7, v[8:9] offset:2560
.LBB2797_15:
	s_or_b64 exec, exec, s[2:3]
	v_or_b32_e32 v8, 0x600, v0
	v_cmp_gt_u32_e32 vcc, s7, v8
                                        ; implicit-def: $vgpr8
	s_and_saveexec_b64 s[2:3], vcc
	s_cbranch_execz .LBB2797_17
; %bb.16:
	v_mov_b32_e32 v9, s9
	v_add_co_u32_e32 v8, vcc, s8, v1
	v_addc_co_u32_e32 v9, vcc, 0, v9, vcc
	flat_load_ushort v8, v[8:9] offset:3072
.LBB2797_17:
	s_or_b64 exec, exec, s[2:3]
	v_or_b32_e32 v9, 0x700, v0
	v_cmp_gt_u32_e32 vcc, s7, v9
                                        ; implicit-def: $vgpr9
	s_and_saveexec_b64 s[2:3], vcc
	s_cbranch_execz .LBB2797_19
; %bb.18:
	v_mov_b32_e32 v9, s9
	v_add_co_u32_e32 v10, vcc, s8, v1
	v_addc_co_u32_e32 v11, vcc, 0, v9, vcc
	flat_load_ushort v9, v[10:11] offset:3584
.LBB2797_19:
	s_or_b64 exec, exec, s[2:3]
	v_or_b32_e32 v11, 0x800, v0
	v_cmp_gt_u32_e32 vcc, s7, v11
                                        ; implicit-def: $vgpr10
	s_and_saveexec_b64 s[2:3], vcc
	s_cbranch_execz .LBB2797_21
; %bb.20:
	v_lshlrev_b32_e32 v10, 1, v11
	v_mov_b32_e32 v11, s9
	v_add_co_u32_e32 v10, vcc, s8, v10
	v_addc_co_u32_e32 v11, vcc, 0, v11, vcc
	flat_load_ushort v10, v[10:11]
.LBB2797_21:
	s_or_b64 exec, exec, s[2:3]
	v_or_b32_e32 v12, 0x900, v0
	v_cmp_gt_u32_e32 vcc, s7, v12
                                        ; implicit-def: $vgpr11
	s_and_saveexec_b64 s[2:3], vcc
	s_cbranch_execz .LBB2797_23
; %bb.22:
	v_lshlrev_b32_e32 v11, 1, v12
	v_mov_b32_e32 v13, s9
	v_add_co_u32_e32 v12, vcc, s8, v11
	v_addc_co_u32_e32 v13, vcc, 0, v13, vcc
	flat_load_ushort v11, v[12:13]
.LBB2797_23:
	s_or_b64 exec, exec, s[2:3]
	v_or_b32_e32 v13, 0xa00, v0
	v_cmp_gt_u32_e32 vcc, s7, v13
                                        ; implicit-def: $vgpr12
	s_and_saveexec_b64 s[2:3], vcc
	s_cbranch_execz .LBB2797_25
; %bb.24:
	v_lshlrev_b32_e32 v12, 1, v13
	v_mov_b32_e32 v13, s9
	v_add_co_u32_e32 v12, vcc, s8, v12
	v_addc_co_u32_e32 v13, vcc, 0, v13, vcc
	flat_load_ushort v12, v[12:13]
.LBB2797_25:
	s_or_b64 exec, exec, s[2:3]
	v_or_b32_e32 v14, 0xb00, v0
	v_cmp_gt_u32_e32 vcc, s7, v14
                                        ; implicit-def: $vgpr13
	s_and_saveexec_b64 s[2:3], vcc
	s_cbranch_execz .LBB2797_27
; %bb.26:
	v_lshlrev_b32_e32 v13, 1, v14
	v_mov_b32_e32 v15, s9
	v_add_co_u32_e32 v14, vcc, s8, v13
	v_addc_co_u32_e32 v15, vcc, 0, v15, vcc
	flat_load_ushort v13, v[14:15]
.LBB2797_27:
	s_or_b64 exec, exec, s[2:3]
	v_or_b32_e32 v15, 0xc00, v0
	v_cmp_gt_u32_e32 vcc, s7, v15
                                        ; implicit-def: $vgpr14
	s_and_saveexec_b64 s[2:3], vcc
	s_cbranch_execz .LBB2797_29
; %bb.28:
	v_lshlrev_b32_e32 v14, 1, v15
	v_mov_b32_e32 v15, s9
	v_add_co_u32_e32 v14, vcc, s8, v14
	v_addc_co_u32_e32 v15, vcc, 0, v15, vcc
	flat_load_ushort v14, v[14:15]
.LBB2797_29:
	s_or_b64 exec, exec, s[2:3]
	v_or_b32_e32 v16, 0xd00, v0
	v_cmp_gt_u32_e32 vcc, s7, v16
                                        ; implicit-def: $vgpr15
	s_and_saveexec_b64 s[2:3], vcc
	s_cbranch_execz .LBB2797_31
; %bb.30:
	v_lshlrev_b32_e32 v15, 1, v16
	v_mov_b32_e32 v17, s9
	v_add_co_u32_e32 v16, vcc, s8, v15
	v_addc_co_u32_e32 v17, vcc, 0, v17, vcc
	flat_load_ushort v15, v[16:17]
.LBB2797_31:
	s_or_b64 exec, exec, s[2:3]
	v_or_b32_e32 v17, 0xe00, v0
	v_cmp_gt_u32_e32 vcc, s7, v17
                                        ; implicit-def: $vgpr16
	s_and_saveexec_b64 s[2:3], vcc
	s_cbranch_execz .LBB2797_33
; %bb.32:
	v_lshlrev_b32_e32 v16, 1, v17
	v_mov_b32_e32 v17, s9
	v_add_co_u32_e32 v16, vcc, s8, v16
	v_addc_co_u32_e32 v17, vcc, 0, v17, vcc
	flat_load_ushort v16, v[16:17]
.LBB2797_33:
	s_or_b64 exec, exec, s[2:3]
	v_or_b32_e32 v18, 0xf00, v0
	v_cmp_gt_u32_e32 vcc, s7, v18
                                        ; implicit-def: $vgpr17
	s_and_saveexec_b64 s[2:3], vcc
	s_cbranch_execz .LBB2797_35
; %bb.34:
	v_lshlrev_b32_e32 v17, 1, v18
	v_mov_b32_e32 v19, s9
	v_add_co_u32_e32 v18, vcc, s8, v17
	v_addc_co_u32_e32 v19, vcc, 0, v19, vcc
	flat_load_ushort v17, v[18:19]
.LBB2797_35:
	s_or_b64 exec, exec, s[2:3]
	v_or_b32_e32 v19, 0x1000, v0
	v_cmp_gt_u32_e32 vcc, s7, v19
                                        ; implicit-def: $vgpr18
	s_and_saveexec_b64 s[2:3], vcc
	s_cbranch_execz .LBB2797_37
; %bb.36:
	v_lshlrev_b32_e32 v18, 1, v19
	v_mov_b32_e32 v19, s9
	v_add_co_u32_e32 v18, vcc, s8, v18
	v_addc_co_u32_e32 v19, vcc, 0, v19, vcc
	flat_load_ushort v18, v[18:19]
.LBB2797_37:
	s_or_b64 exec, exec, s[2:3]
	v_or_b32_e32 v20, 0x1100, v0
	v_cmp_gt_u32_e32 vcc, s7, v20
                                        ; implicit-def: $vgpr19
	s_and_saveexec_b64 s[2:3], vcc
	s_cbranch_execz .LBB2797_39
; %bb.38:
	v_lshlrev_b32_e32 v19, 1, v20
	v_mov_b32_e32 v21, s9
	v_add_co_u32_e32 v20, vcc, s8, v19
	v_addc_co_u32_e32 v21, vcc, 0, v21, vcc
	flat_load_ushort v19, v[20:21]
.LBB2797_39:
	s_or_b64 exec, exec, s[2:3]
	v_or_b32_e32 v21, 0x1200, v0
	v_cmp_gt_u32_e32 vcc, s7, v21
                                        ; implicit-def: $vgpr20
	s_and_saveexec_b64 s[2:3], vcc
	s_cbranch_execz .LBB2797_41
; %bb.40:
	v_lshlrev_b32_e32 v20, 1, v21
	v_mov_b32_e32 v21, s9
	v_add_co_u32_e32 v20, vcc, s8, v20
	v_addc_co_u32_e32 v21, vcc, 0, v21, vcc
	flat_load_ushort v20, v[20:21]
.LBB2797_41:
	s_or_b64 exec, exec, s[2:3]
	v_or_b32_e32 v22, 0x1300, v0
	v_cmp_gt_u32_e32 vcc, s7, v22
                                        ; implicit-def: $vgpr21
	s_and_saveexec_b64 s[2:3], vcc
	s_cbranch_execz .LBB2797_43
; %bb.42:
	v_lshlrev_b32_e32 v21, 1, v22
	v_mov_b32_e32 v23, s9
	v_add_co_u32_e32 v22, vcc, s8, v21
	v_addc_co_u32_e32 v23, vcc, 0, v23, vcc
	flat_load_ushort v21, v[22:23]
.LBB2797_43:
	s_or_b64 exec, exec, s[2:3]
	v_or_b32_e32 v23, 0x1400, v0
	v_cmp_gt_u32_e32 vcc, s7, v23
                                        ; implicit-def: $vgpr22
	s_and_saveexec_b64 s[2:3], vcc
	s_cbranch_execz .LBB2797_45
; %bb.44:
	v_lshlrev_b32_e32 v22, 1, v23
	v_mov_b32_e32 v23, s9
	v_add_co_u32_e32 v22, vcc, s8, v22
	v_addc_co_u32_e32 v23, vcc, 0, v23, vcc
	flat_load_ushort v22, v[22:23]
.LBB2797_45:
	s_or_b64 exec, exec, s[2:3]
	v_or_b32_e32 v24, 0x1500, v0
	v_cmp_gt_u32_e32 vcc, s7, v24
                                        ; implicit-def: $vgpr23
	s_and_saveexec_b64 s[2:3], vcc
	s_cbranch_execz .LBB2797_47
; %bb.46:
	v_lshlrev_b32_e32 v23, 1, v24
	v_mov_b32_e32 v25, s9
	v_add_co_u32_e32 v24, vcc, s8, v23
	v_addc_co_u32_e32 v25, vcc, 0, v25, vcc
	flat_load_ushort v23, v[24:25]
.LBB2797_47:
	s_or_b64 exec, exec, s[2:3]
	v_or_b32_e32 v25, 0x1600, v0
	v_cmp_gt_u32_e32 vcc, s7, v25
                                        ; implicit-def: $vgpr24
	s_and_saveexec_b64 s[2:3], vcc
	s_cbranch_execz .LBB2797_49
; %bb.48:
	v_lshlrev_b32_e32 v24, 1, v25
	v_mov_b32_e32 v25, s9
	v_add_co_u32_e32 v24, vcc, s8, v24
	v_addc_co_u32_e32 v25, vcc, 0, v25, vcc
	flat_load_ushort v24, v[24:25]
.LBB2797_49:
	s_or_b64 exec, exec, s[2:3]
	v_or_b32_e32 v26, 0x1700, v0
	v_cmp_gt_u32_e32 vcc, s7, v26
                                        ; implicit-def: $vgpr25
	s_and_saveexec_b64 s[2:3], vcc
	s_cbranch_execz .LBB2797_51
; %bb.50:
	v_lshlrev_b32_e32 v25, 1, v26
	v_mov_b32_e32 v27, s9
	v_add_co_u32_e32 v26, vcc, s8, v25
	v_addc_co_u32_e32 v27, vcc, 0, v27, vcc
	flat_load_ushort v25, v[26:27]
.LBB2797_51:
	s_or_b64 exec, exec, s[2:3]
	v_or_b32_e32 v27, 0x1800, v0
	v_cmp_gt_u32_e32 vcc, s7, v27
                                        ; implicit-def: $vgpr26
	s_and_saveexec_b64 s[2:3], vcc
	s_cbranch_execz .LBB2797_53
; %bb.52:
	v_lshlrev_b32_e32 v26, 1, v27
	v_mov_b32_e32 v27, s9
	v_add_co_u32_e32 v26, vcc, s8, v26
	v_addc_co_u32_e32 v27, vcc, 0, v27, vcc
	flat_load_ushort v26, v[26:27]
.LBB2797_53:
	s_or_b64 exec, exec, s[2:3]
	v_or_b32_e32 v28, 0x1900, v0
	v_cmp_gt_u32_e32 vcc, s7, v28
                                        ; implicit-def: $vgpr27
	s_and_saveexec_b64 s[2:3], vcc
	s_cbranch_execz .LBB2797_55
; %bb.54:
	v_lshlrev_b32_e32 v27, 1, v28
	v_mov_b32_e32 v29, s9
	v_add_co_u32_e32 v28, vcc, s8, v27
	v_addc_co_u32_e32 v29, vcc, 0, v29, vcc
	flat_load_ushort v27, v[28:29]
.LBB2797_55:
	s_or_b64 exec, exec, s[2:3]
	v_or_b32_e32 v29, 0x1a00, v0
	v_cmp_gt_u32_e32 vcc, s7, v29
                                        ; implicit-def: $vgpr28
	s_and_saveexec_b64 s[2:3], vcc
	s_cbranch_execz .LBB2797_57
; %bb.56:
	v_lshlrev_b32_e32 v28, 1, v29
	v_mov_b32_e32 v29, s9
	v_add_co_u32_e32 v28, vcc, s8, v28
	v_addc_co_u32_e32 v29, vcc, 0, v29, vcc
	flat_load_ushort v28, v[28:29]
.LBB2797_57:
	s_or_b64 exec, exec, s[2:3]
	v_or_b32_e32 v30, 0x1b00, v0
	v_cmp_gt_u32_e32 vcc, s7, v30
                                        ; implicit-def: $vgpr29
	s_and_saveexec_b64 s[2:3], vcc
	s_cbranch_execz .LBB2797_59
; %bb.58:
	v_lshlrev_b32_e32 v29, 1, v30
	v_mov_b32_e32 v31, s9
	v_add_co_u32_e32 v30, vcc, s8, v29
	v_addc_co_u32_e32 v31, vcc, 0, v31, vcc
	flat_load_ushort v29, v[30:31]
.LBB2797_59:
	s_or_b64 exec, exec, s[2:3]
	s_waitcnt vmcnt(0) lgkmcnt(0)
	ds_write_b16 v1, v2
	ds_write_b16 v1, v3 offset:512
	ds_write_b16 v1, v4 offset:1024
	;; [unrolled: 1-line block ×27, first 2 shown]
	s_waitcnt lgkmcnt(0)
	s_barrier
.LBB2797_60:
	v_mul_u32_u24_e32 v38, 28, v0
	v_lshlrev_b32_e32 v6, 1, v38
	s_waitcnt lgkmcnt(0)
	ds_read_b64 v[14:15], v6 offset:48
	ds_read2_b64 v[2:5], v6 offset0:4 offset1:5
	ds_read2_b64 v[10:13], v6 offset1:1
	ds_read2_b64 v[6:9], v6 offset0:2 offset1:3
	s_andn2_b64 vcc, exec, s[0:1]
	s_waitcnt lgkmcnt(3)
	v_lshrrev_b32_e32 v26, 16, v14
	v_lshrrev_b32_e32 v1, 16, v15
	s_waitcnt lgkmcnt(2)
	v_lshrrev_b32_e32 v30, 16, v2
	v_lshrrev_b32_e32 v29, 16, v3
	v_lshrrev_b32_e32 v28, 16, v4
	v_lshrrev_b32_e32 v27, 16, v5
	s_waitcnt lgkmcnt(1)
	v_lshrrev_b32_e32 v39, 16, v10
	v_lshrrev_b32_e32 v37, 16, v11
	;; [unrolled: 5-line block ×3, first 2 shown]
	v_lshrrev_b32_e32 v32, 16, v8
	v_lshrrev_b32_e32 v31, 16, v9
	v_xor_b32_e32 v85, -1, v10
	v_xor_b32_e32 v84, -1, v39
	;; [unrolled: 1-line block ×28, first 2 shown]
	s_barrier
	s_cbranch_vccnz .LBB2797_62
; %bb.61:
	v_and_b32_e32 v67, 1, v85
	v_and_b32_e32 v66, 1, v84
	;; [unrolled: 1-line block ×28, first 2 shown]
	s_load_dwordx2 s[24:25], s[4:5], 0x78
	s_cbranch_execz .LBB2797_63
	s_branch .LBB2797_64
.LBB2797_62:
                                        ; implicit-def: $vgpr67
                                        ; implicit-def: $vgpr66
                                        ; implicit-def: $vgpr65
                                        ; implicit-def: $vgpr64
                                        ; implicit-def: $vgpr63
                                        ; implicit-def: $vgpr62
                                        ; implicit-def: $vgpr61
                                        ; implicit-def: $vgpr60
                                        ; implicit-def: $vgpr59
                                        ; implicit-def: $vgpr58
                                        ; implicit-def: $vgpr57
                                        ; implicit-def: $vgpr56
                                        ; implicit-def: $vgpr55
                                        ; implicit-def: $vgpr54
                                        ; implicit-def: $vgpr53
                                        ; implicit-def: $vgpr52
                                        ; implicit-def: $vgpr51
                                        ; implicit-def: $vgpr50
                                        ; implicit-def: $vgpr49
                                        ; implicit-def: $vgpr48
                                        ; implicit-def: $vgpr47
                                        ; implicit-def: $vgpr46
                                        ; implicit-def: $vgpr45
                                        ; implicit-def: $vgpr44
                                        ; implicit-def: $vgpr43
                                        ; implicit-def: $vgpr42
                                        ; implicit-def: $vgpr40
                                        ; implicit-def: $vgpr41
	s_load_dwordx2 s[24:25], s[4:5], 0x78
.LBB2797_63:
	v_or_b32_e32 v49, 1, v38
	v_cmp_gt_u32_e32 vcc, s7, v38
	v_or_b32_e32 v50, 2, v38
	v_cndmask_b32_e64 v58, 0, 1, vcc
	v_cmp_gt_u32_e32 vcc, s7, v49
	v_or_b32_e32 v51, 3, v38
	v_cndmask_b32_e64 v49, 0, 1, vcc
	v_cmp_gt_u32_e32 vcc, s7, v50
	v_add_u32_e32 v52, 4, v38
	v_and_b32_e32 v66, v49, v84
	v_cndmask_b32_e64 v49, 0, 1, vcc
	v_cmp_gt_u32_e32 vcc, s7, v51
	v_add_u32_e32 v53, 5, v38
	v_and_b32_e32 v65, v49, v83
	;; [unrolled: 4-line block ×9, first 2 shown]
	v_and_b32_e32 v58, v49, v76
	v_cndmask_b32_e64 v49, 0, 1, vcc
	v_cmp_gt_u32_e32 vcc, s7, v87
	v_add_u32_e32 v89, 13, v38
	v_and_b32_e32 v57, v49, v75
	v_cndmask_b32_e64 v49, 0, 1, vcc
	v_cmp_gt_u32_e32 vcc, s7, v88
	v_add_u32_e32 v90, 14, v38
	;; [unrolled: 4-line block ×15, first 2 shown]
	v_and_b32_e32 v43, v20, v19
	v_cndmask_b32_e64 v19, 0, 1, vcc
	v_cmp_gt_u32_e32 vcc, s7, v40
	v_and_b32_e32 v42, v19, v18
	v_cndmask_b32_e64 v18, 0, 1, vcc
	v_cmp_gt_u32_e32 vcc, s7, v41
	v_and_b32_e32 v40, v18, v17
	v_cndmask_b32_e64 v17, 0, 1, vcc
	v_and_b32_e32 v41, v17, v16
.LBB2797_64:
	v_and_b32_e32 v92, 0xff, v43
	v_and_b32_e32 v93, 0xff, v42
	v_add_u32_sdwa v16, v40, v41 dst_sel:DWORD dst_unused:UNUSED_PAD src0_sel:BYTE_0 src1_sel:BYTE_0
	v_and_b32_e32 v90, 0xff, v45
	v_and_b32_e32 v91, 0xff, v44
	v_add3_u32 v16, v16, v93, v92
	v_and_b32_e32 v88, 0xff, v47
	v_and_b32_e32 v89, 0xff, v46
	v_add3_u32 v16, v16, v91, v90
	;; [unrolled: 3-line block ×12, first 2 shown]
	v_add3_u32 v96, v16, v69, v68
	v_mbcnt_lo_u32_b32 v16, -1, 0
	v_mbcnt_hi_u32_b32 v94, -1, v16
	v_and_b32_e32 v16, 15, v94
	v_cmp_eq_u32_e64 s[12:13], 0, v16
	v_cmp_lt_u32_e64 s[10:11], 1, v16
	v_cmp_lt_u32_e64 s[8:9], 3, v16
	;; [unrolled: 1-line block ×3, first 2 shown]
	v_and_b32_e32 v16, 16, v94
	v_cmp_eq_u32_e64 s[4:5], 0, v16
	v_or_b32_e32 v16, 63, v0
	s_cmp_lg_u32 s6, 0
	v_cmp_lt_u32_e64 s[0:1], 31, v94
	v_lshrrev_b32_e32 v95, 6, v0
	v_cmp_eq_u32_e64 s[2:3], v16, v0
	s_cbranch_scc0 .LBB2797_95
; %bb.65:
	v_mov_b32_dpp v16, v96 row_shr:1 row_mask:0xf bank_mask:0xf
	v_cndmask_b32_e64 v16, v16, 0, s[12:13]
	v_add_u32_e32 v16, v16, v96
	s_nop 1
	v_mov_b32_dpp v17, v16 row_shr:2 row_mask:0xf bank_mask:0xf
	v_cndmask_b32_e64 v17, 0, v17, s[10:11]
	v_add_u32_e32 v16, v16, v17
	s_nop 1
	;; [unrolled: 4-line block ×4, first 2 shown]
	v_mov_b32_dpp v17, v16 row_bcast:15 row_mask:0xf bank_mask:0xf
	v_cndmask_b32_e64 v17, v17, 0, s[4:5]
	v_add_u32_e32 v16, v16, v17
	s_nop 1
	v_mov_b32_dpp v17, v16 row_bcast:31 row_mask:0xf bank_mask:0xf
	v_cndmask_b32_e64 v17, 0, v17, s[0:1]
	v_add_u32_e32 v16, v16, v17
	s_and_saveexec_b64 s[14:15], s[2:3]
	s_cbranch_execz .LBB2797_67
; %bb.66:
	v_lshlrev_b32_e32 v17, 2, v95
	ds_write_b32 v17, v16
.LBB2797_67:
	s_or_b64 exec, exec, s[14:15]
	v_cmp_gt_u32_e32 vcc, 4, v0
	s_waitcnt lgkmcnt(0)
	s_barrier
	s_and_saveexec_b64 s[14:15], vcc
	s_cbranch_execz .LBB2797_69
; %bb.68:
	v_lshlrev_b32_e32 v17, 2, v0
	ds_read_b32 v18, v17
	v_and_b32_e32 v19, 3, v94
	v_cmp_ne_u32_e32 vcc, 0, v19
	s_waitcnt lgkmcnt(0)
	v_mov_b32_dpp v20, v18 row_shr:1 row_mask:0xf bank_mask:0xf
	v_cndmask_b32_e32 v20, 0, v20, vcc
	v_add_u32_e32 v18, v20, v18
	v_cmp_lt_u32_e32 vcc, 1, v19
	s_nop 0
	v_mov_b32_dpp v20, v18 row_shr:2 row_mask:0xf bank_mask:0xf
	v_cndmask_b32_e32 v19, 0, v20, vcc
	v_add_u32_e32 v18, v18, v19
	ds_write_b32 v17, v18
.LBB2797_69:
	s_or_b64 exec, exec, s[14:15]
	v_cmp_gt_u32_e32 vcc, 64, v0
	v_cmp_lt_u32_e64 s[14:15], 63, v0
	s_waitcnt lgkmcnt(0)
	s_barrier
	s_waitcnt lgkmcnt(0)
                                        ; implicit-def: $vgpr97
	s_and_saveexec_b64 s[26:27], s[14:15]
	s_cbranch_execz .LBB2797_71
; %bb.70:
	v_lshl_add_u32 v17, v95, 2, -4
	ds_read_b32 v97, v17
	s_waitcnt lgkmcnt(0)
	v_add_u32_e32 v16, v97, v16
.LBB2797_71:
	s_or_b64 exec, exec, s[26:27]
	v_add_u32_e32 v17, -1, v94
	v_and_b32_e32 v18, 64, v94
	v_cmp_lt_i32_e64 s[14:15], v17, v18
	v_cndmask_b32_e64 v17, v17, v94, s[14:15]
	v_lshlrev_b32_e32 v17, 2, v17
	ds_bpermute_b32 v98, v17, v16
	v_cmp_eq_u32_e64 s[14:15], 0, v94
	s_and_saveexec_b64 s[26:27], vcc
	s_cbranch_execz .LBB2797_94
; %bb.72:
	v_mov_b32_e32 v25, 0
	ds_read_b32 v16, v25 offset:12
	s_and_saveexec_b64 s[28:29], s[14:15]
	s_cbranch_execz .LBB2797_74
; %bb.73:
	s_add_i32 s30, s6, 64
	s_mov_b32 s31, 0
	s_lshl_b64 s[30:31], s[30:31], 3
	s_add_u32 s30, s24, s30
	v_mov_b32_e32 v17, 1
	s_addc_u32 s31, s25, s31
	s_waitcnt lgkmcnt(0)
	global_store_dwordx2 v25, v[16:17], s[30:31]
.LBB2797_74:
	s_or_b64 exec, exec, s[28:29]
	v_xad_u32 v18, v94, -1, s6
	v_add_u32_e32 v24, 64, v18
	v_lshlrev_b64 v[20:21], 3, v[24:25]
	v_mov_b32_e32 v17, s25
	v_add_co_u32_e32 v20, vcc, s24, v20
	v_addc_co_u32_e32 v21, vcc, v17, v21, vcc
	global_load_dwordx2 v[22:23], v[20:21], off glc
	s_waitcnt vmcnt(0)
	v_cmp_eq_u16_sdwa s[30:31], v23, v25 src0_sel:BYTE_0 src1_sel:DWORD
	s_and_saveexec_b64 s[28:29], s[30:31]
	s_cbranch_execz .LBB2797_80
; %bb.75:
	s_mov_b32 s7, 1
	s_mov_b64 s[30:31], 0
	v_mov_b32_e32 v17, 0
.LBB2797_76:                            ; =>This Loop Header: Depth=1
                                        ;     Child Loop BB2797_77 Depth 2
	s_max_u32 s33, s7, 1
.LBB2797_77:                            ;   Parent Loop BB2797_76 Depth=1
                                        ; =>  This Inner Loop Header: Depth=2
	s_add_i32 s33, s33, -1
	s_cmp_eq_u32 s33, 0
	s_sleep 1
	s_cbranch_scc0 .LBB2797_77
; %bb.78:                               ;   in Loop: Header=BB2797_76 Depth=1
	global_load_dwordx2 v[22:23], v[20:21], off glc
	s_cmp_lt_u32 s7, 32
	s_cselect_b64 s[34:35], -1, 0
	s_cmp_lg_u64 s[34:35], 0
	s_addc_u32 s7, s7, 0
	s_waitcnt vmcnt(0)
	v_cmp_ne_u16_sdwa s[34:35], v23, v17 src0_sel:BYTE_0 src1_sel:DWORD
	s_or_b64 s[30:31], s[34:35], s[30:31]
	s_andn2_b64 exec, exec, s[30:31]
	s_cbranch_execnz .LBB2797_76
; %bb.79:
	s_or_b64 exec, exec, s[30:31]
.LBB2797_80:
	s_or_b64 exec, exec, s[28:29]
	v_and_b32_e32 v100, 63, v94
	v_mov_b32_e32 v99, 2
	v_cmp_ne_u32_e32 vcc, 63, v100
	v_cmp_eq_u16_sdwa s[28:29], v23, v99 src0_sel:BYTE_0 src1_sel:DWORD
	v_lshlrev_b64 v[20:21], v94, -1
	v_addc_co_u32_e32 v24, vcc, 0, v94, vcc
	v_and_b32_e32 v17, s29, v21
	v_lshlrev_b32_e32 v101, 2, v24
	v_or_b32_e32 v17, 0x80000000, v17
	ds_bpermute_b32 v24, v101, v22
	v_and_b32_e32 v19, s28, v20
	v_ffbl_b32_e32 v17, v17
	v_add_u32_e32 v17, 32, v17
	v_ffbl_b32_e32 v19, v19
	v_min_u32_e32 v17, v19, v17
	v_cmp_lt_u32_e32 vcc, v100, v17
	s_waitcnt lgkmcnt(0)
	v_cndmask_b32_e32 v19, 0, v24, vcc
	v_cmp_gt_u32_e32 vcc, 62, v100
	v_add_u32_e32 v19, v19, v22
	v_cndmask_b32_e64 v22, 0, 1, vcc
	v_lshlrev_b32_e32 v22, 1, v22
	v_add_lshl_u32 v102, v22, v94, 2
	ds_bpermute_b32 v22, v102, v19
	v_add_u32_e32 v103, 2, v100
	v_cmp_le_u32_e32 vcc, v103, v17
	v_add_u32_e32 v105, 4, v100
	v_add_u32_e32 v107, 8, v100
	s_waitcnt lgkmcnt(0)
	v_cndmask_b32_e32 v22, 0, v22, vcc
	v_cmp_gt_u32_e32 vcc, 60, v100
	v_add_u32_e32 v19, v19, v22
	v_cndmask_b32_e64 v22, 0, 1, vcc
	v_lshlrev_b32_e32 v22, 2, v22
	v_add_lshl_u32 v104, v22, v94, 2
	ds_bpermute_b32 v22, v104, v19
	v_cmp_le_u32_e32 vcc, v105, v17
	v_add_u32_e32 v109, 16, v100
	v_add_u32_e32 v111, 32, v100
	s_waitcnt lgkmcnt(0)
	v_cndmask_b32_e32 v22, 0, v22, vcc
	v_cmp_gt_u32_e32 vcc, 56, v100
	v_add_u32_e32 v19, v19, v22
	v_cndmask_b32_e64 v22, 0, 1, vcc
	v_lshlrev_b32_e32 v22, 3, v22
	v_add_lshl_u32 v106, v22, v94, 2
	ds_bpermute_b32 v22, v106, v19
	v_cmp_le_u32_e32 vcc, v107, v17
	s_waitcnt lgkmcnt(0)
	v_cndmask_b32_e32 v22, 0, v22, vcc
	v_cmp_gt_u32_e32 vcc, 48, v100
	v_add_u32_e32 v19, v19, v22
	v_cndmask_b32_e64 v22, 0, 1, vcc
	v_lshlrev_b32_e32 v22, 4, v22
	v_add_lshl_u32 v108, v22, v94, 2
	ds_bpermute_b32 v22, v108, v19
	v_cmp_le_u32_e32 vcc, v109, v17
	;; [unrolled: 9-line block ×3, first 2 shown]
	s_waitcnt lgkmcnt(0)
	v_cndmask_b32_e32 v17, 0, v22, vcc
	v_add_u32_e32 v22, v19, v17
	v_mov_b32_e32 v19, 0
	s_branch .LBB2797_82
.LBB2797_81:                            ;   in Loop: Header=BB2797_82 Depth=1
	s_or_b64 exec, exec, s[28:29]
	v_cmp_eq_u16_sdwa s[28:29], v23, v99 src0_sel:BYTE_0 src1_sel:DWORD
	v_and_b32_e32 v24, s29, v21
	v_or_b32_e32 v24, 0x80000000, v24
	ds_bpermute_b32 v112, v101, v22
	v_and_b32_e32 v25, s28, v20
	v_ffbl_b32_e32 v24, v24
	v_add_u32_e32 v24, 32, v24
	v_ffbl_b32_e32 v25, v25
	v_min_u32_e32 v24, v25, v24
	v_cmp_lt_u32_e32 vcc, v100, v24
	s_waitcnt lgkmcnt(0)
	v_cndmask_b32_e32 v25, 0, v112, vcc
	v_add_u32_e32 v22, v25, v22
	ds_bpermute_b32 v25, v102, v22
	v_cmp_le_u32_e32 vcc, v103, v24
	v_subrev_u32_e32 v18, 64, v18
	s_waitcnt lgkmcnt(0)
	v_cndmask_b32_e32 v25, 0, v25, vcc
	v_add_u32_e32 v22, v22, v25
	ds_bpermute_b32 v25, v104, v22
	v_cmp_le_u32_e32 vcc, v105, v24
	s_waitcnt lgkmcnt(0)
	v_cndmask_b32_e32 v25, 0, v25, vcc
	v_add_u32_e32 v22, v22, v25
	ds_bpermute_b32 v25, v106, v22
	v_cmp_le_u32_e32 vcc, v107, v24
	;; [unrolled: 5-line block ×4, first 2 shown]
	s_waitcnt lgkmcnt(0)
	v_cndmask_b32_e32 v24, 0, v25, vcc
	v_add3_u32 v22, v24, v17, v22
.LBB2797_82:                            ; =>This Loop Header: Depth=1
                                        ;     Child Loop BB2797_85 Depth 2
                                        ;       Child Loop BB2797_86 Depth 3
	v_cmp_ne_u16_sdwa s[28:29], v23, v99 src0_sel:BYTE_0 src1_sel:DWORD
	v_cndmask_b32_e64 v17, 0, 1, s[28:29]
	;;#ASMSTART
	;;#ASMEND
	v_cmp_ne_u32_e32 vcc, 0, v17
	s_cmp_lg_u64 vcc, exec
	v_mov_b32_e32 v17, v22
	s_cbranch_scc1 .LBB2797_89
; %bb.83:                               ;   in Loop: Header=BB2797_82 Depth=1
	v_lshlrev_b64 v[22:23], 3, v[18:19]
	v_mov_b32_e32 v25, s25
	v_add_co_u32_e32 v24, vcc, s24, v22
	v_addc_co_u32_e32 v25, vcc, v25, v23, vcc
	global_load_dwordx2 v[22:23], v[24:25], off glc
	s_waitcnt vmcnt(0)
	v_cmp_eq_u16_sdwa s[30:31], v23, v19 src0_sel:BYTE_0 src1_sel:DWORD
	s_and_saveexec_b64 s[28:29], s[30:31]
	s_cbranch_execz .LBB2797_81
; %bb.84:                               ;   in Loop: Header=BB2797_82 Depth=1
	s_mov_b32 s7, 1
	s_mov_b64 s[30:31], 0
.LBB2797_85:                            ;   Parent Loop BB2797_82 Depth=1
                                        ; =>  This Loop Header: Depth=2
                                        ;       Child Loop BB2797_86 Depth 3
	s_max_u32 s33, s7, 1
.LBB2797_86:                            ;   Parent Loop BB2797_82 Depth=1
                                        ;     Parent Loop BB2797_85 Depth=2
                                        ; =>    This Inner Loop Header: Depth=3
	s_add_i32 s33, s33, -1
	s_cmp_eq_u32 s33, 0
	s_sleep 1
	s_cbranch_scc0 .LBB2797_86
; %bb.87:                               ;   in Loop: Header=BB2797_85 Depth=2
	global_load_dwordx2 v[22:23], v[24:25], off glc
	s_cmp_lt_u32 s7, 32
	s_cselect_b64 s[34:35], -1, 0
	s_cmp_lg_u64 s[34:35], 0
	s_addc_u32 s7, s7, 0
	s_waitcnt vmcnt(0)
	v_cmp_ne_u16_sdwa s[34:35], v23, v19 src0_sel:BYTE_0 src1_sel:DWORD
	s_or_b64 s[30:31], s[34:35], s[30:31]
	s_andn2_b64 exec, exec, s[30:31]
	s_cbranch_execnz .LBB2797_85
; %bb.88:                               ;   in Loop: Header=BB2797_82 Depth=1
	s_or_b64 exec, exec, s[30:31]
	s_branch .LBB2797_81
.LBB2797_89:                            ;   in Loop: Header=BB2797_82 Depth=1
                                        ; implicit-def: $vgpr22
                                        ; implicit-def: $vgpr23
	s_cbranch_execz .LBB2797_82
; %bb.90:
	s_and_saveexec_b64 s[28:29], s[14:15]
	s_cbranch_execz .LBB2797_92
; %bb.91:
	s_add_i32 s6, s6, 64
	s_mov_b32 s7, 0
	s_lshl_b64 s[6:7], s[6:7], 3
	s_add_u32 s6, s24, s6
	v_add_u32_e32 v18, v17, v16
	v_mov_b32_e32 v19, 2
	s_addc_u32 s7, s25, s7
	v_mov_b32_e32 v20, 0
	global_store_dwordx2 v20, v[18:19], s[6:7]
	ds_write_b64 v20, v[16:17] offset:14336
.LBB2797_92:
	s_or_b64 exec, exec, s[28:29]
	v_cmp_eq_u32_e32 vcc, 0, v0
	s_and_b64 exec, exec, vcc
	s_cbranch_execz .LBB2797_94
; %bb.93:
	v_mov_b32_e32 v16, 0
	ds_write_b32 v16, v17 offset:12
.LBB2797_94:
	s_or_b64 exec, exec, s[26:27]
	v_mov_b32_e32 v16, 0
	s_waitcnt lgkmcnt(0)
	s_barrier
	ds_read_b32 v19, v16 offset:12
	s_waitcnt lgkmcnt(0)
	s_barrier
	ds_read_b64 v[16:17], v16 offset:14336
	v_cndmask_b32_e64 v18, v98, v97, s[14:15]
	v_cmp_ne_u32_e32 vcc, 0, v0
	v_cndmask_b32_e32 v18, 0, v18, vcc
	v_add_u32_e32 v18, v19, v18
	s_branch .LBB2797_105
.LBB2797_95:
                                        ; implicit-def: $vgpr17
                                        ; implicit-def: $vgpr18
	s_cbranch_execz .LBB2797_105
; %bb.96:
	s_waitcnt lgkmcnt(0)
	v_mov_b32_dpp v16, v96 row_shr:1 row_mask:0xf bank_mask:0xf
	v_cndmask_b32_e64 v16, v16, 0, s[12:13]
	v_add_u32_e32 v16, v16, v96
	s_nop 1
	v_mov_b32_dpp v17, v16 row_shr:2 row_mask:0xf bank_mask:0xf
	v_cndmask_b32_e64 v17, 0, v17, s[10:11]
	v_add_u32_e32 v16, v16, v17
	s_nop 1
	;; [unrolled: 4-line block ×4, first 2 shown]
	v_mov_b32_dpp v17, v16 row_bcast:15 row_mask:0xf bank_mask:0xf
	v_cndmask_b32_e64 v17, v17, 0, s[4:5]
	v_add_u32_e32 v16, v16, v17
	s_nop 1
	v_mov_b32_dpp v17, v16 row_bcast:31 row_mask:0xf bank_mask:0xf
	v_cndmask_b32_e64 v17, 0, v17, s[0:1]
	v_add_u32_e32 v16, v16, v17
	s_and_saveexec_b64 s[0:1], s[2:3]
	s_cbranch_execz .LBB2797_98
; %bb.97:
	v_lshlrev_b32_e32 v17, 2, v95
	ds_write_b32 v17, v16
.LBB2797_98:
	s_or_b64 exec, exec, s[0:1]
	v_cmp_gt_u32_e32 vcc, 4, v0
	s_waitcnt lgkmcnt(0)
	s_barrier
	s_and_saveexec_b64 s[0:1], vcc
	s_cbranch_execz .LBB2797_100
; %bb.99:
	v_lshlrev_b32_e32 v17, 2, v0
	ds_read_b32 v18, v17
	v_and_b32_e32 v19, 3, v94
	v_cmp_ne_u32_e32 vcc, 0, v19
	s_waitcnt lgkmcnt(0)
	v_mov_b32_dpp v20, v18 row_shr:1 row_mask:0xf bank_mask:0xf
	v_cndmask_b32_e32 v20, 0, v20, vcc
	v_add_u32_e32 v18, v20, v18
	v_cmp_lt_u32_e32 vcc, 1, v19
	s_nop 0
	v_mov_b32_dpp v20, v18 row_shr:2 row_mask:0xf bank_mask:0xf
	v_cndmask_b32_e32 v19, 0, v20, vcc
	v_add_u32_e32 v18, v18, v19
	ds_write_b32 v17, v18
.LBB2797_100:
	s_or_b64 exec, exec, s[0:1]
	v_cmp_lt_u32_e32 vcc, 63, v0
	v_mov_b32_e32 v17, 0
	v_mov_b32_e32 v18, 0
	s_waitcnt lgkmcnt(0)
	s_barrier
	s_and_saveexec_b64 s[0:1], vcc
	s_cbranch_execz .LBB2797_102
; %bb.101:
	v_lshl_add_u32 v18, v95, 2, -4
	ds_read_b32 v18, v18
.LBB2797_102:
	s_or_b64 exec, exec, s[0:1]
	v_add_u32_e32 v19, -1, v94
	v_and_b32_e32 v20, 64, v94
	v_cmp_lt_i32_e32 vcc, v19, v20
	v_cndmask_b32_e32 v19, v19, v94, vcc
	s_waitcnt lgkmcnt(0)
	v_add_u32_e32 v16, v18, v16
	v_lshlrev_b32_e32 v19, 2, v19
	ds_bpermute_b32 v19, v19, v16
	ds_read_b32 v16, v17 offset:12
	v_cmp_eq_u32_e32 vcc, 0, v0
	s_and_saveexec_b64 s[0:1], vcc
	s_cbranch_execz .LBB2797_104
; %bb.103:
	v_mov_b32_e32 v20, 0
	v_mov_b32_e32 v17, 2
	s_waitcnt lgkmcnt(0)
	global_store_dwordx2 v20, v[16:17], s[24:25] offset:512
.LBB2797_104:
	s_or_b64 exec, exec, s[0:1]
	v_cmp_eq_u32_e64 s[0:1], 0, v94
	s_waitcnt lgkmcnt(1)
	v_cndmask_b32_e64 v18, v19, v18, s[0:1]
	v_mov_b32_e32 v17, 0
	v_cndmask_b32_e64 v18, v18, 0, vcc
	s_waitcnt lgkmcnt(0)
	s_barrier
.LBB2797_105:
	v_add_u32_e32 v19, v18, v68
	v_add_u32_e32 v20, v19, v69
	;; [unrolled: 1-line block ×19, first 2 shown]
	s_waitcnt lgkmcnt(0)
	v_add_u32_e32 v38, v16, v38
	v_sub_u32_e32 v18, v18, v17
	v_and_b32_e32 v67, 1, v67
	v_add_u32_e32 v80, v79, v87
	v_sub_u32_e32 v87, v38, v18
	v_cmp_eq_u32_e32 vcc, 1, v67
	v_cndmask_b32_e32 v18, v87, v18, vcc
	v_lshlrev_b32_e32 v18, 1, v18
	ds_write_b16 v18, v10
	v_sub_u32_e32 v10, v19, v17
	v_sub_u32_e32 v18, v38, v10
	v_and_b32_e32 v19, 1, v66
	v_add_u32_e32 v18, 1, v18
	v_cmp_eq_u32_e32 vcc, 1, v19
	v_cndmask_b32_e32 v10, v18, v10, vcc
	v_lshlrev_b32_e32 v10, 1, v10
	ds_write_b16 v10, v39
	v_sub_u32_e32 v10, v20, v17
	v_sub_u32_e32 v18, v38, v10
	v_and_b32_e32 v19, 1, v65
	v_add_u32_e32 v18, 2, v18
	;; [unrolled: 8-line block ×20, first 2 shown]
	v_cmp_eq_u32_e32 vcc, 1, v6
	v_cndmask_b32_e32 v2, v3, v2, vcc
	v_add_u32_e32 v81, v80, v88
	v_lshlrev_b32_e32 v2, 1, v2
	ds_write_b16 v2, v4
	v_sub_u32_e32 v2, v81, v17
	v_sub_u32_e32 v3, v38, v2
	v_and_b32_e32 v4, 1, v46
	v_add_u32_e32 v3, 21, v3
	v_cmp_eq_u32_e32 vcc, 1, v4
	v_cndmask_b32_e32 v2, v3, v2, vcc
	v_add_u32_e32 v82, v81, v89
	v_lshlrev_b32_e32 v2, 1, v2
	ds_write_b16 v2, v28
	v_sub_u32_e32 v2, v82, v17
	v_sub_u32_e32 v3, v38, v2
	v_and_b32_e32 v4, 1, v45
	v_add_u32_e32 v3, 22, v3
	;; [unrolled: 9-line block ×6, first 2 shown]
	v_cmp_eq_u32_e32 vcc, 1, v4
	v_cndmask_b32_e32 v2, v3, v2, vcc
	v_lshlrev_b32_e32 v2, 1, v2
	ds_write_b16 v2, v15
	v_sub_u32_sdwa v2, v40, v17 dst_sel:DWORD dst_unused:UNUSED_PAD src0_sel:BYTE_0 src1_sel:DWORD
	v_add_u32_e32 v2, v86, v2
	v_sub_u32_e32 v3, v38, v2
	v_and_b32_e32 v4, 1, v41
	v_add_u32_e32 v3, 27, v3
	v_cmp_eq_u32_e32 vcc, 1, v4
	v_cndmask_b32_e32 v2, v3, v2, vcc
	v_cmp_eq_u32_e32 vcc, 0, v0
	v_lshlrev_b32_e32 v2, 1, v2
	s_and_b64 s[0:1], vcc, s[22:23]
	ds_write_b16 v2, v1
	s_waitcnt lgkmcnt(0)
	s_barrier
	s_and_saveexec_b64 s[2:3], s[0:1]
	s_cbranch_execz .LBB2797_107
; %bb.106:
	v_mov_b32_e32 v0, s19
	v_add_co_u32_e32 v1, vcc, s18, v16
	v_addc_co_u32_e32 v3, vcc, 0, v0, vcc
	v_add_co_u32_e32 v0, vcc, v1, v17
	v_mov_b32_e32 v2, 0
	v_addc_co_u32_e32 v1, vcc, 0, v3, vcc
	global_store_dwordx2 v2, v[0:1], s[20:21]
.LBB2797_107:
	s_endpgm
	.section	.rodata,"a",@progbits
	.p2align	6, 0x0
	.amdhsa_kernel _ZN7rocprim17ROCPRIM_400000_NS6detail17trampoline_kernelINS0_14default_configENS1_25partition_config_selectorILNS1_17partition_subalgoE0EsNS0_10empty_typeEbEEZZNS1_14partition_implILS5_0ELb0ES3_jN6thrust23THRUST_200600_302600_NS6detail15normal_iteratorINSA_10device_ptrIsEEEEPS6_SG_NS0_5tupleIJNSA_16discard_iteratorINSA_11use_defaultEEESK_EEENSH_IJSG_SG_EEES6_PlJ7is_evenIsEEEE10hipError_tPvRmT3_T4_T5_T6_T7_T9_mT8_P12ihipStream_tbDpT10_ENKUlT_T0_E_clISt17integral_constantIbLb1EES18_IbLb0EEEEDaS14_S15_EUlS14_E_NS1_11comp_targetILNS1_3genE4ELNS1_11target_archE910ELNS1_3gpuE8ELNS1_3repE0EEENS1_30default_config_static_selectorELNS0_4arch9wavefront6targetE1EEEvT1_
		.amdhsa_group_segment_fixed_size 14344
		.amdhsa_private_segment_fixed_size 0
		.amdhsa_kernarg_size 136
		.amdhsa_user_sgpr_count 6
		.amdhsa_user_sgpr_private_segment_buffer 1
		.amdhsa_user_sgpr_dispatch_ptr 0
		.amdhsa_user_sgpr_queue_ptr 0
		.amdhsa_user_sgpr_kernarg_segment_ptr 1
		.amdhsa_user_sgpr_dispatch_id 0
		.amdhsa_user_sgpr_flat_scratch_init 0
		.amdhsa_user_sgpr_kernarg_preload_length 0
		.amdhsa_user_sgpr_kernarg_preload_offset 0
		.amdhsa_user_sgpr_private_segment_size 0
		.amdhsa_uses_dynamic_stack 0
		.amdhsa_system_sgpr_private_segment_wavefront_offset 0
		.amdhsa_system_sgpr_workgroup_id_x 1
		.amdhsa_system_sgpr_workgroup_id_y 0
		.amdhsa_system_sgpr_workgroup_id_z 0
		.amdhsa_system_sgpr_workgroup_info 0
		.amdhsa_system_vgpr_workitem_id 0
		.amdhsa_next_free_vgpr 113
		.amdhsa_next_free_sgpr 36
		.amdhsa_accum_offset 116
		.amdhsa_reserve_vcc 1
		.amdhsa_reserve_flat_scratch 0
		.amdhsa_float_round_mode_32 0
		.amdhsa_float_round_mode_16_64 0
		.amdhsa_float_denorm_mode_32 3
		.amdhsa_float_denorm_mode_16_64 3
		.amdhsa_dx10_clamp 1
		.amdhsa_ieee_mode 1
		.amdhsa_fp16_overflow 0
		.amdhsa_tg_split 0
		.amdhsa_exception_fp_ieee_invalid_op 0
		.amdhsa_exception_fp_denorm_src 0
		.amdhsa_exception_fp_ieee_div_zero 0
		.amdhsa_exception_fp_ieee_overflow 0
		.amdhsa_exception_fp_ieee_underflow 0
		.amdhsa_exception_fp_ieee_inexact 0
		.amdhsa_exception_int_div_zero 0
	.end_amdhsa_kernel
	.section	.text._ZN7rocprim17ROCPRIM_400000_NS6detail17trampoline_kernelINS0_14default_configENS1_25partition_config_selectorILNS1_17partition_subalgoE0EsNS0_10empty_typeEbEEZZNS1_14partition_implILS5_0ELb0ES3_jN6thrust23THRUST_200600_302600_NS6detail15normal_iteratorINSA_10device_ptrIsEEEEPS6_SG_NS0_5tupleIJNSA_16discard_iteratorINSA_11use_defaultEEESK_EEENSH_IJSG_SG_EEES6_PlJ7is_evenIsEEEE10hipError_tPvRmT3_T4_T5_T6_T7_T9_mT8_P12ihipStream_tbDpT10_ENKUlT_T0_E_clISt17integral_constantIbLb1EES18_IbLb0EEEEDaS14_S15_EUlS14_E_NS1_11comp_targetILNS1_3genE4ELNS1_11target_archE910ELNS1_3gpuE8ELNS1_3repE0EEENS1_30default_config_static_selectorELNS0_4arch9wavefront6targetE1EEEvT1_,"axG",@progbits,_ZN7rocprim17ROCPRIM_400000_NS6detail17trampoline_kernelINS0_14default_configENS1_25partition_config_selectorILNS1_17partition_subalgoE0EsNS0_10empty_typeEbEEZZNS1_14partition_implILS5_0ELb0ES3_jN6thrust23THRUST_200600_302600_NS6detail15normal_iteratorINSA_10device_ptrIsEEEEPS6_SG_NS0_5tupleIJNSA_16discard_iteratorINSA_11use_defaultEEESK_EEENSH_IJSG_SG_EEES6_PlJ7is_evenIsEEEE10hipError_tPvRmT3_T4_T5_T6_T7_T9_mT8_P12ihipStream_tbDpT10_ENKUlT_T0_E_clISt17integral_constantIbLb1EES18_IbLb0EEEEDaS14_S15_EUlS14_E_NS1_11comp_targetILNS1_3genE4ELNS1_11target_archE910ELNS1_3gpuE8ELNS1_3repE0EEENS1_30default_config_static_selectorELNS0_4arch9wavefront6targetE1EEEvT1_,comdat
.Lfunc_end2797:
	.size	_ZN7rocprim17ROCPRIM_400000_NS6detail17trampoline_kernelINS0_14default_configENS1_25partition_config_selectorILNS1_17partition_subalgoE0EsNS0_10empty_typeEbEEZZNS1_14partition_implILS5_0ELb0ES3_jN6thrust23THRUST_200600_302600_NS6detail15normal_iteratorINSA_10device_ptrIsEEEEPS6_SG_NS0_5tupleIJNSA_16discard_iteratorINSA_11use_defaultEEESK_EEENSH_IJSG_SG_EEES6_PlJ7is_evenIsEEEE10hipError_tPvRmT3_T4_T5_T6_T7_T9_mT8_P12ihipStream_tbDpT10_ENKUlT_T0_E_clISt17integral_constantIbLb1EES18_IbLb0EEEEDaS14_S15_EUlS14_E_NS1_11comp_targetILNS1_3genE4ELNS1_11target_archE910ELNS1_3gpuE8ELNS1_3repE0EEENS1_30default_config_static_selectorELNS0_4arch9wavefront6targetE1EEEvT1_, .Lfunc_end2797-_ZN7rocprim17ROCPRIM_400000_NS6detail17trampoline_kernelINS0_14default_configENS1_25partition_config_selectorILNS1_17partition_subalgoE0EsNS0_10empty_typeEbEEZZNS1_14partition_implILS5_0ELb0ES3_jN6thrust23THRUST_200600_302600_NS6detail15normal_iteratorINSA_10device_ptrIsEEEEPS6_SG_NS0_5tupleIJNSA_16discard_iteratorINSA_11use_defaultEEESK_EEENSH_IJSG_SG_EEES6_PlJ7is_evenIsEEEE10hipError_tPvRmT3_T4_T5_T6_T7_T9_mT8_P12ihipStream_tbDpT10_ENKUlT_T0_E_clISt17integral_constantIbLb1EES18_IbLb0EEEEDaS14_S15_EUlS14_E_NS1_11comp_targetILNS1_3genE4ELNS1_11target_archE910ELNS1_3gpuE8ELNS1_3repE0EEENS1_30default_config_static_selectorELNS0_4arch9wavefront6targetE1EEEvT1_
                                        ; -- End function
	.section	.AMDGPU.csdata,"",@progbits
; Kernel info:
; codeLenInByte = 6644
; NumSgprs: 40
; NumVgprs: 113
; NumAgprs: 0
; TotalNumVgprs: 113
; ScratchSize: 0
; MemoryBound: 0
; FloatMode: 240
; IeeeMode: 1
; LDSByteSize: 14344 bytes/workgroup (compile time only)
; SGPRBlocks: 4
; VGPRBlocks: 14
; NumSGPRsForWavesPerEU: 40
; NumVGPRsForWavesPerEU: 113
; AccumOffset: 116
; Occupancy: 4
; WaveLimiterHint : 1
; COMPUTE_PGM_RSRC2:SCRATCH_EN: 0
; COMPUTE_PGM_RSRC2:USER_SGPR: 6
; COMPUTE_PGM_RSRC2:TRAP_HANDLER: 0
; COMPUTE_PGM_RSRC2:TGID_X_EN: 1
; COMPUTE_PGM_RSRC2:TGID_Y_EN: 0
; COMPUTE_PGM_RSRC2:TGID_Z_EN: 0
; COMPUTE_PGM_RSRC2:TIDIG_COMP_CNT: 0
; COMPUTE_PGM_RSRC3_GFX90A:ACCUM_OFFSET: 28
; COMPUTE_PGM_RSRC3_GFX90A:TG_SPLIT: 0
	.section	.text._ZN7rocprim17ROCPRIM_400000_NS6detail17trampoline_kernelINS0_14default_configENS1_25partition_config_selectorILNS1_17partition_subalgoE0EsNS0_10empty_typeEbEEZZNS1_14partition_implILS5_0ELb0ES3_jN6thrust23THRUST_200600_302600_NS6detail15normal_iteratorINSA_10device_ptrIsEEEEPS6_SG_NS0_5tupleIJNSA_16discard_iteratorINSA_11use_defaultEEESK_EEENSH_IJSG_SG_EEES6_PlJ7is_evenIsEEEE10hipError_tPvRmT3_T4_T5_T6_T7_T9_mT8_P12ihipStream_tbDpT10_ENKUlT_T0_E_clISt17integral_constantIbLb1EES18_IbLb0EEEEDaS14_S15_EUlS14_E_NS1_11comp_targetILNS1_3genE3ELNS1_11target_archE908ELNS1_3gpuE7ELNS1_3repE0EEENS1_30default_config_static_selectorELNS0_4arch9wavefront6targetE1EEEvT1_,"axG",@progbits,_ZN7rocprim17ROCPRIM_400000_NS6detail17trampoline_kernelINS0_14default_configENS1_25partition_config_selectorILNS1_17partition_subalgoE0EsNS0_10empty_typeEbEEZZNS1_14partition_implILS5_0ELb0ES3_jN6thrust23THRUST_200600_302600_NS6detail15normal_iteratorINSA_10device_ptrIsEEEEPS6_SG_NS0_5tupleIJNSA_16discard_iteratorINSA_11use_defaultEEESK_EEENSH_IJSG_SG_EEES6_PlJ7is_evenIsEEEE10hipError_tPvRmT3_T4_T5_T6_T7_T9_mT8_P12ihipStream_tbDpT10_ENKUlT_T0_E_clISt17integral_constantIbLb1EES18_IbLb0EEEEDaS14_S15_EUlS14_E_NS1_11comp_targetILNS1_3genE3ELNS1_11target_archE908ELNS1_3gpuE7ELNS1_3repE0EEENS1_30default_config_static_selectorELNS0_4arch9wavefront6targetE1EEEvT1_,comdat
	.protected	_ZN7rocprim17ROCPRIM_400000_NS6detail17trampoline_kernelINS0_14default_configENS1_25partition_config_selectorILNS1_17partition_subalgoE0EsNS0_10empty_typeEbEEZZNS1_14partition_implILS5_0ELb0ES3_jN6thrust23THRUST_200600_302600_NS6detail15normal_iteratorINSA_10device_ptrIsEEEEPS6_SG_NS0_5tupleIJNSA_16discard_iteratorINSA_11use_defaultEEESK_EEENSH_IJSG_SG_EEES6_PlJ7is_evenIsEEEE10hipError_tPvRmT3_T4_T5_T6_T7_T9_mT8_P12ihipStream_tbDpT10_ENKUlT_T0_E_clISt17integral_constantIbLb1EES18_IbLb0EEEEDaS14_S15_EUlS14_E_NS1_11comp_targetILNS1_3genE3ELNS1_11target_archE908ELNS1_3gpuE7ELNS1_3repE0EEENS1_30default_config_static_selectorELNS0_4arch9wavefront6targetE1EEEvT1_ ; -- Begin function _ZN7rocprim17ROCPRIM_400000_NS6detail17trampoline_kernelINS0_14default_configENS1_25partition_config_selectorILNS1_17partition_subalgoE0EsNS0_10empty_typeEbEEZZNS1_14partition_implILS5_0ELb0ES3_jN6thrust23THRUST_200600_302600_NS6detail15normal_iteratorINSA_10device_ptrIsEEEEPS6_SG_NS0_5tupleIJNSA_16discard_iteratorINSA_11use_defaultEEESK_EEENSH_IJSG_SG_EEES6_PlJ7is_evenIsEEEE10hipError_tPvRmT3_T4_T5_T6_T7_T9_mT8_P12ihipStream_tbDpT10_ENKUlT_T0_E_clISt17integral_constantIbLb1EES18_IbLb0EEEEDaS14_S15_EUlS14_E_NS1_11comp_targetILNS1_3genE3ELNS1_11target_archE908ELNS1_3gpuE7ELNS1_3repE0EEENS1_30default_config_static_selectorELNS0_4arch9wavefront6targetE1EEEvT1_
	.globl	_ZN7rocprim17ROCPRIM_400000_NS6detail17trampoline_kernelINS0_14default_configENS1_25partition_config_selectorILNS1_17partition_subalgoE0EsNS0_10empty_typeEbEEZZNS1_14partition_implILS5_0ELb0ES3_jN6thrust23THRUST_200600_302600_NS6detail15normal_iteratorINSA_10device_ptrIsEEEEPS6_SG_NS0_5tupleIJNSA_16discard_iteratorINSA_11use_defaultEEESK_EEENSH_IJSG_SG_EEES6_PlJ7is_evenIsEEEE10hipError_tPvRmT3_T4_T5_T6_T7_T9_mT8_P12ihipStream_tbDpT10_ENKUlT_T0_E_clISt17integral_constantIbLb1EES18_IbLb0EEEEDaS14_S15_EUlS14_E_NS1_11comp_targetILNS1_3genE3ELNS1_11target_archE908ELNS1_3gpuE7ELNS1_3repE0EEENS1_30default_config_static_selectorELNS0_4arch9wavefront6targetE1EEEvT1_
	.p2align	8
	.type	_ZN7rocprim17ROCPRIM_400000_NS6detail17trampoline_kernelINS0_14default_configENS1_25partition_config_selectorILNS1_17partition_subalgoE0EsNS0_10empty_typeEbEEZZNS1_14partition_implILS5_0ELb0ES3_jN6thrust23THRUST_200600_302600_NS6detail15normal_iteratorINSA_10device_ptrIsEEEEPS6_SG_NS0_5tupleIJNSA_16discard_iteratorINSA_11use_defaultEEESK_EEENSH_IJSG_SG_EEES6_PlJ7is_evenIsEEEE10hipError_tPvRmT3_T4_T5_T6_T7_T9_mT8_P12ihipStream_tbDpT10_ENKUlT_T0_E_clISt17integral_constantIbLb1EES18_IbLb0EEEEDaS14_S15_EUlS14_E_NS1_11comp_targetILNS1_3genE3ELNS1_11target_archE908ELNS1_3gpuE7ELNS1_3repE0EEENS1_30default_config_static_selectorELNS0_4arch9wavefront6targetE1EEEvT1_,@function
_ZN7rocprim17ROCPRIM_400000_NS6detail17trampoline_kernelINS0_14default_configENS1_25partition_config_selectorILNS1_17partition_subalgoE0EsNS0_10empty_typeEbEEZZNS1_14partition_implILS5_0ELb0ES3_jN6thrust23THRUST_200600_302600_NS6detail15normal_iteratorINSA_10device_ptrIsEEEEPS6_SG_NS0_5tupleIJNSA_16discard_iteratorINSA_11use_defaultEEESK_EEENSH_IJSG_SG_EEES6_PlJ7is_evenIsEEEE10hipError_tPvRmT3_T4_T5_T6_T7_T9_mT8_P12ihipStream_tbDpT10_ENKUlT_T0_E_clISt17integral_constantIbLb1EES18_IbLb0EEEEDaS14_S15_EUlS14_E_NS1_11comp_targetILNS1_3genE3ELNS1_11target_archE908ELNS1_3gpuE7ELNS1_3repE0EEENS1_30default_config_static_selectorELNS0_4arch9wavefront6targetE1EEEvT1_: ; @_ZN7rocprim17ROCPRIM_400000_NS6detail17trampoline_kernelINS0_14default_configENS1_25partition_config_selectorILNS1_17partition_subalgoE0EsNS0_10empty_typeEbEEZZNS1_14partition_implILS5_0ELb0ES3_jN6thrust23THRUST_200600_302600_NS6detail15normal_iteratorINSA_10device_ptrIsEEEEPS6_SG_NS0_5tupleIJNSA_16discard_iteratorINSA_11use_defaultEEESK_EEENSH_IJSG_SG_EEES6_PlJ7is_evenIsEEEE10hipError_tPvRmT3_T4_T5_T6_T7_T9_mT8_P12ihipStream_tbDpT10_ENKUlT_T0_E_clISt17integral_constantIbLb1EES18_IbLb0EEEEDaS14_S15_EUlS14_E_NS1_11comp_targetILNS1_3genE3ELNS1_11target_archE908ELNS1_3gpuE7ELNS1_3repE0EEENS1_30default_config_static_selectorELNS0_4arch9wavefront6targetE1EEEvT1_
; %bb.0:
	.section	.rodata,"a",@progbits
	.p2align	6, 0x0
	.amdhsa_kernel _ZN7rocprim17ROCPRIM_400000_NS6detail17trampoline_kernelINS0_14default_configENS1_25partition_config_selectorILNS1_17partition_subalgoE0EsNS0_10empty_typeEbEEZZNS1_14partition_implILS5_0ELb0ES3_jN6thrust23THRUST_200600_302600_NS6detail15normal_iteratorINSA_10device_ptrIsEEEEPS6_SG_NS0_5tupleIJNSA_16discard_iteratorINSA_11use_defaultEEESK_EEENSH_IJSG_SG_EEES6_PlJ7is_evenIsEEEE10hipError_tPvRmT3_T4_T5_T6_T7_T9_mT8_P12ihipStream_tbDpT10_ENKUlT_T0_E_clISt17integral_constantIbLb1EES18_IbLb0EEEEDaS14_S15_EUlS14_E_NS1_11comp_targetILNS1_3genE3ELNS1_11target_archE908ELNS1_3gpuE7ELNS1_3repE0EEENS1_30default_config_static_selectorELNS0_4arch9wavefront6targetE1EEEvT1_
		.amdhsa_group_segment_fixed_size 0
		.amdhsa_private_segment_fixed_size 0
		.amdhsa_kernarg_size 136
		.amdhsa_user_sgpr_count 6
		.amdhsa_user_sgpr_private_segment_buffer 1
		.amdhsa_user_sgpr_dispatch_ptr 0
		.amdhsa_user_sgpr_queue_ptr 0
		.amdhsa_user_sgpr_kernarg_segment_ptr 1
		.amdhsa_user_sgpr_dispatch_id 0
		.amdhsa_user_sgpr_flat_scratch_init 0
		.amdhsa_user_sgpr_kernarg_preload_length 0
		.amdhsa_user_sgpr_kernarg_preload_offset 0
		.amdhsa_user_sgpr_private_segment_size 0
		.amdhsa_uses_dynamic_stack 0
		.amdhsa_system_sgpr_private_segment_wavefront_offset 0
		.amdhsa_system_sgpr_workgroup_id_x 1
		.amdhsa_system_sgpr_workgroup_id_y 0
		.amdhsa_system_sgpr_workgroup_id_z 0
		.amdhsa_system_sgpr_workgroup_info 0
		.amdhsa_system_vgpr_workitem_id 0
		.amdhsa_next_free_vgpr 1
		.amdhsa_next_free_sgpr 0
		.amdhsa_accum_offset 4
		.amdhsa_reserve_vcc 0
		.amdhsa_reserve_flat_scratch 0
		.amdhsa_float_round_mode_32 0
		.amdhsa_float_round_mode_16_64 0
		.amdhsa_float_denorm_mode_32 3
		.amdhsa_float_denorm_mode_16_64 3
		.amdhsa_dx10_clamp 1
		.amdhsa_ieee_mode 1
		.amdhsa_fp16_overflow 0
		.amdhsa_tg_split 0
		.amdhsa_exception_fp_ieee_invalid_op 0
		.amdhsa_exception_fp_denorm_src 0
		.amdhsa_exception_fp_ieee_div_zero 0
		.amdhsa_exception_fp_ieee_overflow 0
		.amdhsa_exception_fp_ieee_underflow 0
		.amdhsa_exception_fp_ieee_inexact 0
		.amdhsa_exception_int_div_zero 0
	.end_amdhsa_kernel
	.section	.text._ZN7rocprim17ROCPRIM_400000_NS6detail17trampoline_kernelINS0_14default_configENS1_25partition_config_selectorILNS1_17partition_subalgoE0EsNS0_10empty_typeEbEEZZNS1_14partition_implILS5_0ELb0ES3_jN6thrust23THRUST_200600_302600_NS6detail15normal_iteratorINSA_10device_ptrIsEEEEPS6_SG_NS0_5tupleIJNSA_16discard_iteratorINSA_11use_defaultEEESK_EEENSH_IJSG_SG_EEES6_PlJ7is_evenIsEEEE10hipError_tPvRmT3_T4_T5_T6_T7_T9_mT8_P12ihipStream_tbDpT10_ENKUlT_T0_E_clISt17integral_constantIbLb1EES18_IbLb0EEEEDaS14_S15_EUlS14_E_NS1_11comp_targetILNS1_3genE3ELNS1_11target_archE908ELNS1_3gpuE7ELNS1_3repE0EEENS1_30default_config_static_selectorELNS0_4arch9wavefront6targetE1EEEvT1_,"axG",@progbits,_ZN7rocprim17ROCPRIM_400000_NS6detail17trampoline_kernelINS0_14default_configENS1_25partition_config_selectorILNS1_17partition_subalgoE0EsNS0_10empty_typeEbEEZZNS1_14partition_implILS5_0ELb0ES3_jN6thrust23THRUST_200600_302600_NS6detail15normal_iteratorINSA_10device_ptrIsEEEEPS6_SG_NS0_5tupleIJNSA_16discard_iteratorINSA_11use_defaultEEESK_EEENSH_IJSG_SG_EEES6_PlJ7is_evenIsEEEE10hipError_tPvRmT3_T4_T5_T6_T7_T9_mT8_P12ihipStream_tbDpT10_ENKUlT_T0_E_clISt17integral_constantIbLb1EES18_IbLb0EEEEDaS14_S15_EUlS14_E_NS1_11comp_targetILNS1_3genE3ELNS1_11target_archE908ELNS1_3gpuE7ELNS1_3repE0EEENS1_30default_config_static_selectorELNS0_4arch9wavefront6targetE1EEEvT1_,comdat
.Lfunc_end2798:
	.size	_ZN7rocprim17ROCPRIM_400000_NS6detail17trampoline_kernelINS0_14default_configENS1_25partition_config_selectorILNS1_17partition_subalgoE0EsNS0_10empty_typeEbEEZZNS1_14partition_implILS5_0ELb0ES3_jN6thrust23THRUST_200600_302600_NS6detail15normal_iteratorINSA_10device_ptrIsEEEEPS6_SG_NS0_5tupleIJNSA_16discard_iteratorINSA_11use_defaultEEESK_EEENSH_IJSG_SG_EEES6_PlJ7is_evenIsEEEE10hipError_tPvRmT3_T4_T5_T6_T7_T9_mT8_P12ihipStream_tbDpT10_ENKUlT_T0_E_clISt17integral_constantIbLb1EES18_IbLb0EEEEDaS14_S15_EUlS14_E_NS1_11comp_targetILNS1_3genE3ELNS1_11target_archE908ELNS1_3gpuE7ELNS1_3repE0EEENS1_30default_config_static_selectorELNS0_4arch9wavefront6targetE1EEEvT1_, .Lfunc_end2798-_ZN7rocprim17ROCPRIM_400000_NS6detail17trampoline_kernelINS0_14default_configENS1_25partition_config_selectorILNS1_17partition_subalgoE0EsNS0_10empty_typeEbEEZZNS1_14partition_implILS5_0ELb0ES3_jN6thrust23THRUST_200600_302600_NS6detail15normal_iteratorINSA_10device_ptrIsEEEEPS6_SG_NS0_5tupleIJNSA_16discard_iteratorINSA_11use_defaultEEESK_EEENSH_IJSG_SG_EEES6_PlJ7is_evenIsEEEE10hipError_tPvRmT3_T4_T5_T6_T7_T9_mT8_P12ihipStream_tbDpT10_ENKUlT_T0_E_clISt17integral_constantIbLb1EES18_IbLb0EEEEDaS14_S15_EUlS14_E_NS1_11comp_targetILNS1_3genE3ELNS1_11target_archE908ELNS1_3gpuE7ELNS1_3repE0EEENS1_30default_config_static_selectorELNS0_4arch9wavefront6targetE1EEEvT1_
                                        ; -- End function
	.section	.AMDGPU.csdata,"",@progbits
; Kernel info:
; codeLenInByte = 0
; NumSgprs: 4
; NumVgprs: 0
; NumAgprs: 0
; TotalNumVgprs: 0
; ScratchSize: 0
; MemoryBound: 0
; FloatMode: 240
; IeeeMode: 1
; LDSByteSize: 0 bytes/workgroup (compile time only)
; SGPRBlocks: 0
; VGPRBlocks: 0
; NumSGPRsForWavesPerEU: 4
; NumVGPRsForWavesPerEU: 1
; AccumOffset: 4
; Occupancy: 8
; WaveLimiterHint : 0
; COMPUTE_PGM_RSRC2:SCRATCH_EN: 0
; COMPUTE_PGM_RSRC2:USER_SGPR: 6
; COMPUTE_PGM_RSRC2:TRAP_HANDLER: 0
; COMPUTE_PGM_RSRC2:TGID_X_EN: 1
; COMPUTE_PGM_RSRC2:TGID_Y_EN: 0
; COMPUTE_PGM_RSRC2:TGID_Z_EN: 0
; COMPUTE_PGM_RSRC2:TIDIG_COMP_CNT: 0
; COMPUTE_PGM_RSRC3_GFX90A:ACCUM_OFFSET: 0
; COMPUTE_PGM_RSRC3_GFX90A:TG_SPLIT: 0
	.section	.text._ZN7rocprim17ROCPRIM_400000_NS6detail17trampoline_kernelINS0_14default_configENS1_25partition_config_selectorILNS1_17partition_subalgoE0EsNS0_10empty_typeEbEEZZNS1_14partition_implILS5_0ELb0ES3_jN6thrust23THRUST_200600_302600_NS6detail15normal_iteratorINSA_10device_ptrIsEEEEPS6_SG_NS0_5tupleIJNSA_16discard_iteratorINSA_11use_defaultEEESK_EEENSH_IJSG_SG_EEES6_PlJ7is_evenIsEEEE10hipError_tPvRmT3_T4_T5_T6_T7_T9_mT8_P12ihipStream_tbDpT10_ENKUlT_T0_E_clISt17integral_constantIbLb1EES18_IbLb0EEEEDaS14_S15_EUlS14_E_NS1_11comp_targetILNS1_3genE2ELNS1_11target_archE906ELNS1_3gpuE6ELNS1_3repE0EEENS1_30default_config_static_selectorELNS0_4arch9wavefront6targetE1EEEvT1_,"axG",@progbits,_ZN7rocprim17ROCPRIM_400000_NS6detail17trampoline_kernelINS0_14default_configENS1_25partition_config_selectorILNS1_17partition_subalgoE0EsNS0_10empty_typeEbEEZZNS1_14partition_implILS5_0ELb0ES3_jN6thrust23THRUST_200600_302600_NS6detail15normal_iteratorINSA_10device_ptrIsEEEEPS6_SG_NS0_5tupleIJNSA_16discard_iteratorINSA_11use_defaultEEESK_EEENSH_IJSG_SG_EEES6_PlJ7is_evenIsEEEE10hipError_tPvRmT3_T4_T5_T6_T7_T9_mT8_P12ihipStream_tbDpT10_ENKUlT_T0_E_clISt17integral_constantIbLb1EES18_IbLb0EEEEDaS14_S15_EUlS14_E_NS1_11comp_targetILNS1_3genE2ELNS1_11target_archE906ELNS1_3gpuE6ELNS1_3repE0EEENS1_30default_config_static_selectorELNS0_4arch9wavefront6targetE1EEEvT1_,comdat
	.protected	_ZN7rocprim17ROCPRIM_400000_NS6detail17trampoline_kernelINS0_14default_configENS1_25partition_config_selectorILNS1_17partition_subalgoE0EsNS0_10empty_typeEbEEZZNS1_14partition_implILS5_0ELb0ES3_jN6thrust23THRUST_200600_302600_NS6detail15normal_iteratorINSA_10device_ptrIsEEEEPS6_SG_NS0_5tupleIJNSA_16discard_iteratorINSA_11use_defaultEEESK_EEENSH_IJSG_SG_EEES6_PlJ7is_evenIsEEEE10hipError_tPvRmT3_T4_T5_T6_T7_T9_mT8_P12ihipStream_tbDpT10_ENKUlT_T0_E_clISt17integral_constantIbLb1EES18_IbLb0EEEEDaS14_S15_EUlS14_E_NS1_11comp_targetILNS1_3genE2ELNS1_11target_archE906ELNS1_3gpuE6ELNS1_3repE0EEENS1_30default_config_static_selectorELNS0_4arch9wavefront6targetE1EEEvT1_ ; -- Begin function _ZN7rocprim17ROCPRIM_400000_NS6detail17trampoline_kernelINS0_14default_configENS1_25partition_config_selectorILNS1_17partition_subalgoE0EsNS0_10empty_typeEbEEZZNS1_14partition_implILS5_0ELb0ES3_jN6thrust23THRUST_200600_302600_NS6detail15normal_iteratorINSA_10device_ptrIsEEEEPS6_SG_NS0_5tupleIJNSA_16discard_iteratorINSA_11use_defaultEEESK_EEENSH_IJSG_SG_EEES6_PlJ7is_evenIsEEEE10hipError_tPvRmT3_T4_T5_T6_T7_T9_mT8_P12ihipStream_tbDpT10_ENKUlT_T0_E_clISt17integral_constantIbLb1EES18_IbLb0EEEEDaS14_S15_EUlS14_E_NS1_11comp_targetILNS1_3genE2ELNS1_11target_archE906ELNS1_3gpuE6ELNS1_3repE0EEENS1_30default_config_static_selectorELNS0_4arch9wavefront6targetE1EEEvT1_
	.globl	_ZN7rocprim17ROCPRIM_400000_NS6detail17trampoline_kernelINS0_14default_configENS1_25partition_config_selectorILNS1_17partition_subalgoE0EsNS0_10empty_typeEbEEZZNS1_14partition_implILS5_0ELb0ES3_jN6thrust23THRUST_200600_302600_NS6detail15normal_iteratorINSA_10device_ptrIsEEEEPS6_SG_NS0_5tupleIJNSA_16discard_iteratorINSA_11use_defaultEEESK_EEENSH_IJSG_SG_EEES6_PlJ7is_evenIsEEEE10hipError_tPvRmT3_T4_T5_T6_T7_T9_mT8_P12ihipStream_tbDpT10_ENKUlT_T0_E_clISt17integral_constantIbLb1EES18_IbLb0EEEEDaS14_S15_EUlS14_E_NS1_11comp_targetILNS1_3genE2ELNS1_11target_archE906ELNS1_3gpuE6ELNS1_3repE0EEENS1_30default_config_static_selectorELNS0_4arch9wavefront6targetE1EEEvT1_
	.p2align	8
	.type	_ZN7rocprim17ROCPRIM_400000_NS6detail17trampoline_kernelINS0_14default_configENS1_25partition_config_selectorILNS1_17partition_subalgoE0EsNS0_10empty_typeEbEEZZNS1_14partition_implILS5_0ELb0ES3_jN6thrust23THRUST_200600_302600_NS6detail15normal_iteratorINSA_10device_ptrIsEEEEPS6_SG_NS0_5tupleIJNSA_16discard_iteratorINSA_11use_defaultEEESK_EEENSH_IJSG_SG_EEES6_PlJ7is_evenIsEEEE10hipError_tPvRmT3_T4_T5_T6_T7_T9_mT8_P12ihipStream_tbDpT10_ENKUlT_T0_E_clISt17integral_constantIbLb1EES18_IbLb0EEEEDaS14_S15_EUlS14_E_NS1_11comp_targetILNS1_3genE2ELNS1_11target_archE906ELNS1_3gpuE6ELNS1_3repE0EEENS1_30default_config_static_selectorELNS0_4arch9wavefront6targetE1EEEvT1_,@function
_ZN7rocprim17ROCPRIM_400000_NS6detail17trampoline_kernelINS0_14default_configENS1_25partition_config_selectorILNS1_17partition_subalgoE0EsNS0_10empty_typeEbEEZZNS1_14partition_implILS5_0ELb0ES3_jN6thrust23THRUST_200600_302600_NS6detail15normal_iteratorINSA_10device_ptrIsEEEEPS6_SG_NS0_5tupleIJNSA_16discard_iteratorINSA_11use_defaultEEESK_EEENSH_IJSG_SG_EEES6_PlJ7is_evenIsEEEE10hipError_tPvRmT3_T4_T5_T6_T7_T9_mT8_P12ihipStream_tbDpT10_ENKUlT_T0_E_clISt17integral_constantIbLb1EES18_IbLb0EEEEDaS14_S15_EUlS14_E_NS1_11comp_targetILNS1_3genE2ELNS1_11target_archE906ELNS1_3gpuE6ELNS1_3repE0EEENS1_30default_config_static_selectorELNS0_4arch9wavefront6targetE1EEEvT1_: ; @_ZN7rocprim17ROCPRIM_400000_NS6detail17trampoline_kernelINS0_14default_configENS1_25partition_config_selectorILNS1_17partition_subalgoE0EsNS0_10empty_typeEbEEZZNS1_14partition_implILS5_0ELb0ES3_jN6thrust23THRUST_200600_302600_NS6detail15normal_iteratorINSA_10device_ptrIsEEEEPS6_SG_NS0_5tupleIJNSA_16discard_iteratorINSA_11use_defaultEEESK_EEENSH_IJSG_SG_EEES6_PlJ7is_evenIsEEEE10hipError_tPvRmT3_T4_T5_T6_T7_T9_mT8_P12ihipStream_tbDpT10_ENKUlT_T0_E_clISt17integral_constantIbLb1EES18_IbLb0EEEEDaS14_S15_EUlS14_E_NS1_11comp_targetILNS1_3genE2ELNS1_11target_archE906ELNS1_3gpuE6ELNS1_3repE0EEENS1_30default_config_static_selectorELNS0_4arch9wavefront6targetE1EEEvT1_
; %bb.0:
	.section	.rodata,"a",@progbits
	.p2align	6, 0x0
	.amdhsa_kernel _ZN7rocprim17ROCPRIM_400000_NS6detail17trampoline_kernelINS0_14default_configENS1_25partition_config_selectorILNS1_17partition_subalgoE0EsNS0_10empty_typeEbEEZZNS1_14partition_implILS5_0ELb0ES3_jN6thrust23THRUST_200600_302600_NS6detail15normal_iteratorINSA_10device_ptrIsEEEEPS6_SG_NS0_5tupleIJNSA_16discard_iteratorINSA_11use_defaultEEESK_EEENSH_IJSG_SG_EEES6_PlJ7is_evenIsEEEE10hipError_tPvRmT3_T4_T5_T6_T7_T9_mT8_P12ihipStream_tbDpT10_ENKUlT_T0_E_clISt17integral_constantIbLb1EES18_IbLb0EEEEDaS14_S15_EUlS14_E_NS1_11comp_targetILNS1_3genE2ELNS1_11target_archE906ELNS1_3gpuE6ELNS1_3repE0EEENS1_30default_config_static_selectorELNS0_4arch9wavefront6targetE1EEEvT1_
		.amdhsa_group_segment_fixed_size 0
		.amdhsa_private_segment_fixed_size 0
		.amdhsa_kernarg_size 136
		.amdhsa_user_sgpr_count 6
		.amdhsa_user_sgpr_private_segment_buffer 1
		.amdhsa_user_sgpr_dispatch_ptr 0
		.amdhsa_user_sgpr_queue_ptr 0
		.amdhsa_user_sgpr_kernarg_segment_ptr 1
		.amdhsa_user_sgpr_dispatch_id 0
		.amdhsa_user_sgpr_flat_scratch_init 0
		.amdhsa_user_sgpr_kernarg_preload_length 0
		.amdhsa_user_sgpr_kernarg_preload_offset 0
		.amdhsa_user_sgpr_private_segment_size 0
		.amdhsa_uses_dynamic_stack 0
		.amdhsa_system_sgpr_private_segment_wavefront_offset 0
		.amdhsa_system_sgpr_workgroup_id_x 1
		.amdhsa_system_sgpr_workgroup_id_y 0
		.amdhsa_system_sgpr_workgroup_id_z 0
		.amdhsa_system_sgpr_workgroup_info 0
		.amdhsa_system_vgpr_workitem_id 0
		.amdhsa_next_free_vgpr 1
		.amdhsa_next_free_sgpr 0
		.amdhsa_accum_offset 4
		.amdhsa_reserve_vcc 0
		.amdhsa_reserve_flat_scratch 0
		.amdhsa_float_round_mode_32 0
		.amdhsa_float_round_mode_16_64 0
		.amdhsa_float_denorm_mode_32 3
		.amdhsa_float_denorm_mode_16_64 3
		.amdhsa_dx10_clamp 1
		.amdhsa_ieee_mode 1
		.amdhsa_fp16_overflow 0
		.amdhsa_tg_split 0
		.amdhsa_exception_fp_ieee_invalid_op 0
		.amdhsa_exception_fp_denorm_src 0
		.amdhsa_exception_fp_ieee_div_zero 0
		.amdhsa_exception_fp_ieee_overflow 0
		.amdhsa_exception_fp_ieee_underflow 0
		.amdhsa_exception_fp_ieee_inexact 0
		.amdhsa_exception_int_div_zero 0
	.end_amdhsa_kernel
	.section	.text._ZN7rocprim17ROCPRIM_400000_NS6detail17trampoline_kernelINS0_14default_configENS1_25partition_config_selectorILNS1_17partition_subalgoE0EsNS0_10empty_typeEbEEZZNS1_14partition_implILS5_0ELb0ES3_jN6thrust23THRUST_200600_302600_NS6detail15normal_iteratorINSA_10device_ptrIsEEEEPS6_SG_NS0_5tupleIJNSA_16discard_iteratorINSA_11use_defaultEEESK_EEENSH_IJSG_SG_EEES6_PlJ7is_evenIsEEEE10hipError_tPvRmT3_T4_T5_T6_T7_T9_mT8_P12ihipStream_tbDpT10_ENKUlT_T0_E_clISt17integral_constantIbLb1EES18_IbLb0EEEEDaS14_S15_EUlS14_E_NS1_11comp_targetILNS1_3genE2ELNS1_11target_archE906ELNS1_3gpuE6ELNS1_3repE0EEENS1_30default_config_static_selectorELNS0_4arch9wavefront6targetE1EEEvT1_,"axG",@progbits,_ZN7rocprim17ROCPRIM_400000_NS6detail17trampoline_kernelINS0_14default_configENS1_25partition_config_selectorILNS1_17partition_subalgoE0EsNS0_10empty_typeEbEEZZNS1_14partition_implILS5_0ELb0ES3_jN6thrust23THRUST_200600_302600_NS6detail15normal_iteratorINSA_10device_ptrIsEEEEPS6_SG_NS0_5tupleIJNSA_16discard_iteratorINSA_11use_defaultEEESK_EEENSH_IJSG_SG_EEES6_PlJ7is_evenIsEEEE10hipError_tPvRmT3_T4_T5_T6_T7_T9_mT8_P12ihipStream_tbDpT10_ENKUlT_T0_E_clISt17integral_constantIbLb1EES18_IbLb0EEEEDaS14_S15_EUlS14_E_NS1_11comp_targetILNS1_3genE2ELNS1_11target_archE906ELNS1_3gpuE6ELNS1_3repE0EEENS1_30default_config_static_selectorELNS0_4arch9wavefront6targetE1EEEvT1_,comdat
.Lfunc_end2799:
	.size	_ZN7rocprim17ROCPRIM_400000_NS6detail17trampoline_kernelINS0_14default_configENS1_25partition_config_selectorILNS1_17partition_subalgoE0EsNS0_10empty_typeEbEEZZNS1_14partition_implILS5_0ELb0ES3_jN6thrust23THRUST_200600_302600_NS6detail15normal_iteratorINSA_10device_ptrIsEEEEPS6_SG_NS0_5tupleIJNSA_16discard_iteratorINSA_11use_defaultEEESK_EEENSH_IJSG_SG_EEES6_PlJ7is_evenIsEEEE10hipError_tPvRmT3_T4_T5_T6_T7_T9_mT8_P12ihipStream_tbDpT10_ENKUlT_T0_E_clISt17integral_constantIbLb1EES18_IbLb0EEEEDaS14_S15_EUlS14_E_NS1_11comp_targetILNS1_3genE2ELNS1_11target_archE906ELNS1_3gpuE6ELNS1_3repE0EEENS1_30default_config_static_selectorELNS0_4arch9wavefront6targetE1EEEvT1_, .Lfunc_end2799-_ZN7rocprim17ROCPRIM_400000_NS6detail17trampoline_kernelINS0_14default_configENS1_25partition_config_selectorILNS1_17partition_subalgoE0EsNS0_10empty_typeEbEEZZNS1_14partition_implILS5_0ELb0ES3_jN6thrust23THRUST_200600_302600_NS6detail15normal_iteratorINSA_10device_ptrIsEEEEPS6_SG_NS0_5tupleIJNSA_16discard_iteratorINSA_11use_defaultEEESK_EEENSH_IJSG_SG_EEES6_PlJ7is_evenIsEEEE10hipError_tPvRmT3_T4_T5_T6_T7_T9_mT8_P12ihipStream_tbDpT10_ENKUlT_T0_E_clISt17integral_constantIbLb1EES18_IbLb0EEEEDaS14_S15_EUlS14_E_NS1_11comp_targetILNS1_3genE2ELNS1_11target_archE906ELNS1_3gpuE6ELNS1_3repE0EEENS1_30default_config_static_selectorELNS0_4arch9wavefront6targetE1EEEvT1_
                                        ; -- End function
	.section	.AMDGPU.csdata,"",@progbits
; Kernel info:
; codeLenInByte = 0
; NumSgprs: 4
; NumVgprs: 0
; NumAgprs: 0
; TotalNumVgprs: 0
; ScratchSize: 0
; MemoryBound: 0
; FloatMode: 240
; IeeeMode: 1
; LDSByteSize: 0 bytes/workgroup (compile time only)
; SGPRBlocks: 0
; VGPRBlocks: 0
; NumSGPRsForWavesPerEU: 4
; NumVGPRsForWavesPerEU: 1
; AccumOffset: 4
; Occupancy: 8
; WaveLimiterHint : 0
; COMPUTE_PGM_RSRC2:SCRATCH_EN: 0
; COMPUTE_PGM_RSRC2:USER_SGPR: 6
; COMPUTE_PGM_RSRC2:TRAP_HANDLER: 0
; COMPUTE_PGM_RSRC2:TGID_X_EN: 1
; COMPUTE_PGM_RSRC2:TGID_Y_EN: 0
; COMPUTE_PGM_RSRC2:TGID_Z_EN: 0
; COMPUTE_PGM_RSRC2:TIDIG_COMP_CNT: 0
; COMPUTE_PGM_RSRC3_GFX90A:ACCUM_OFFSET: 0
; COMPUTE_PGM_RSRC3_GFX90A:TG_SPLIT: 0
	.section	.text._ZN7rocprim17ROCPRIM_400000_NS6detail17trampoline_kernelINS0_14default_configENS1_25partition_config_selectorILNS1_17partition_subalgoE0EsNS0_10empty_typeEbEEZZNS1_14partition_implILS5_0ELb0ES3_jN6thrust23THRUST_200600_302600_NS6detail15normal_iteratorINSA_10device_ptrIsEEEEPS6_SG_NS0_5tupleIJNSA_16discard_iteratorINSA_11use_defaultEEESK_EEENSH_IJSG_SG_EEES6_PlJ7is_evenIsEEEE10hipError_tPvRmT3_T4_T5_T6_T7_T9_mT8_P12ihipStream_tbDpT10_ENKUlT_T0_E_clISt17integral_constantIbLb1EES18_IbLb0EEEEDaS14_S15_EUlS14_E_NS1_11comp_targetILNS1_3genE10ELNS1_11target_archE1200ELNS1_3gpuE4ELNS1_3repE0EEENS1_30default_config_static_selectorELNS0_4arch9wavefront6targetE1EEEvT1_,"axG",@progbits,_ZN7rocprim17ROCPRIM_400000_NS6detail17trampoline_kernelINS0_14default_configENS1_25partition_config_selectorILNS1_17partition_subalgoE0EsNS0_10empty_typeEbEEZZNS1_14partition_implILS5_0ELb0ES3_jN6thrust23THRUST_200600_302600_NS6detail15normal_iteratorINSA_10device_ptrIsEEEEPS6_SG_NS0_5tupleIJNSA_16discard_iteratorINSA_11use_defaultEEESK_EEENSH_IJSG_SG_EEES6_PlJ7is_evenIsEEEE10hipError_tPvRmT3_T4_T5_T6_T7_T9_mT8_P12ihipStream_tbDpT10_ENKUlT_T0_E_clISt17integral_constantIbLb1EES18_IbLb0EEEEDaS14_S15_EUlS14_E_NS1_11comp_targetILNS1_3genE10ELNS1_11target_archE1200ELNS1_3gpuE4ELNS1_3repE0EEENS1_30default_config_static_selectorELNS0_4arch9wavefront6targetE1EEEvT1_,comdat
	.protected	_ZN7rocprim17ROCPRIM_400000_NS6detail17trampoline_kernelINS0_14default_configENS1_25partition_config_selectorILNS1_17partition_subalgoE0EsNS0_10empty_typeEbEEZZNS1_14partition_implILS5_0ELb0ES3_jN6thrust23THRUST_200600_302600_NS6detail15normal_iteratorINSA_10device_ptrIsEEEEPS6_SG_NS0_5tupleIJNSA_16discard_iteratorINSA_11use_defaultEEESK_EEENSH_IJSG_SG_EEES6_PlJ7is_evenIsEEEE10hipError_tPvRmT3_T4_T5_T6_T7_T9_mT8_P12ihipStream_tbDpT10_ENKUlT_T0_E_clISt17integral_constantIbLb1EES18_IbLb0EEEEDaS14_S15_EUlS14_E_NS1_11comp_targetILNS1_3genE10ELNS1_11target_archE1200ELNS1_3gpuE4ELNS1_3repE0EEENS1_30default_config_static_selectorELNS0_4arch9wavefront6targetE1EEEvT1_ ; -- Begin function _ZN7rocprim17ROCPRIM_400000_NS6detail17trampoline_kernelINS0_14default_configENS1_25partition_config_selectorILNS1_17partition_subalgoE0EsNS0_10empty_typeEbEEZZNS1_14partition_implILS5_0ELb0ES3_jN6thrust23THRUST_200600_302600_NS6detail15normal_iteratorINSA_10device_ptrIsEEEEPS6_SG_NS0_5tupleIJNSA_16discard_iteratorINSA_11use_defaultEEESK_EEENSH_IJSG_SG_EEES6_PlJ7is_evenIsEEEE10hipError_tPvRmT3_T4_T5_T6_T7_T9_mT8_P12ihipStream_tbDpT10_ENKUlT_T0_E_clISt17integral_constantIbLb1EES18_IbLb0EEEEDaS14_S15_EUlS14_E_NS1_11comp_targetILNS1_3genE10ELNS1_11target_archE1200ELNS1_3gpuE4ELNS1_3repE0EEENS1_30default_config_static_selectorELNS0_4arch9wavefront6targetE1EEEvT1_
	.globl	_ZN7rocprim17ROCPRIM_400000_NS6detail17trampoline_kernelINS0_14default_configENS1_25partition_config_selectorILNS1_17partition_subalgoE0EsNS0_10empty_typeEbEEZZNS1_14partition_implILS5_0ELb0ES3_jN6thrust23THRUST_200600_302600_NS6detail15normal_iteratorINSA_10device_ptrIsEEEEPS6_SG_NS0_5tupleIJNSA_16discard_iteratorINSA_11use_defaultEEESK_EEENSH_IJSG_SG_EEES6_PlJ7is_evenIsEEEE10hipError_tPvRmT3_T4_T5_T6_T7_T9_mT8_P12ihipStream_tbDpT10_ENKUlT_T0_E_clISt17integral_constantIbLb1EES18_IbLb0EEEEDaS14_S15_EUlS14_E_NS1_11comp_targetILNS1_3genE10ELNS1_11target_archE1200ELNS1_3gpuE4ELNS1_3repE0EEENS1_30default_config_static_selectorELNS0_4arch9wavefront6targetE1EEEvT1_
	.p2align	8
	.type	_ZN7rocprim17ROCPRIM_400000_NS6detail17trampoline_kernelINS0_14default_configENS1_25partition_config_selectorILNS1_17partition_subalgoE0EsNS0_10empty_typeEbEEZZNS1_14partition_implILS5_0ELb0ES3_jN6thrust23THRUST_200600_302600_NS6detail15normal_iteratorINSA_10device_ptrIsEEEEPS6_SG_NS0_5tupleIJNSA_16discard_iteratorINSA_11use_defaultEEESK_EEENSH_IJSG_SG_EEES6_PlJ7is_evenIsEEEE10hipError_tPvRmT3_T4_T5_T6_T7_T9_mT8_P12ihipStream_tbDpT10_ENKUlT_T0_E_clISt17integral_constantIbLb1EES18_IbLb0EEEEDaS14_S15_EUlS14_E_NS1_11comp_targetILNS1_3genE10ELNS1_11target_archE1200ELNS1_3gpuE4ELNS1_3repE0EEENS1_30default_config_static_selectorELNS0_4arch9wavefront6targetE1EEEvT1_,@function
_ZN7rocprim17ROCPRIM_400000_NS6detail17trampoline_kernelINS0_14default_configENS1_25partition_config_selectorILNS1_17partition_subalgoE0EsNS0_10empty_typeEbEEZZNS1_14partition_implILS5_0ELb0ES3_jN6thrust23THRUST_200600_302600_NS6detail15normal_iteratorINSA_10device_ptrIsEEEEPS6_SG_NS0_5tupleIJNSA_16discard_iteratorINSA_11use_defaultEEESK_EEENSH_IJSG_SG_EEES6_PlJ7is_evenIsEEEE10hipError_tPvRmT3_T4_T5_T6_T7_T9_mT8_P12ihipStream_tbDpT10_ENKUlT_T0_E_clISt17integral_constantIbLb1EES18_IbLb0EEEEDaS14_S15_EUlS14_E_NS1_11comp_targetILNS1_3genE10ELNS1_11target_archE1200ELNS1_3gpuE4ELNS1_3repE0EEENS1_30default_config_static_selectorELNS0_4arch9wavefront6targetE1EEEvT1_: ; @_ZN7rocprim17ROCPRIM_400000_NS6detail17trampoline_kernelINS0_14default_configENS1_25partition_config_selectorILNS1_17partition_subalgoE0EsNS0_10empty_typeEbEEZZNS1_14partition_implILS5_0ELb0ES3_jN6thrust23THRUST_200600_302600_NS6detail15normal_iteratorINSA_10device_ptrIsEEEEPS6_SG_NS0_5tupleIJNSA_16discard_iteratorINSA_11use_defaultEEESK_EEENSH_IJSG_SG_EEES6_PlJ7is_evenIsEEEE10hipError_tPvRmT3_T4_T5_T6_T7_T9_mT8_P12ihipStream_tbDpT10_ENKUlT_T0_E_clISt17integral_constantIbLb1EES18_IbLb0EEEEDaS14_S15_EUlS14_E_NS1_11comp_targetILNS1_3genE10ELNS1_11target_archE1200ELNS1_3gpuE4ELNS1_3repE0EEENS1_30default_config_static_selectorELNS0_4arch9wavefront6targetE1EEEvT1_
; %bb.0:
	.section	.rodata,"a",@progbits
	.p2align	6, 0x0
	.amdhsa_kernel _ZN7rocprim17ROCPRIM_400000_NS6detail17trampoline_kernelINS0_14default_configENS1_25partition_config_selectorILNS1_17partition_subalgoE0EsNS0_10empty_typeEbEEZZNS1_14partition_implILS5_0ELb0ES3_jN6thrust23THRUST_200600_302600_NS6detail15normal_iteratorINSA_10device_ptrIsEEEEPS6_SG_NS0_5tupleIJNSA_16discard_iteratorINSA_11use_defaultEEESK_EEENSH_IJSG_SG_EEES6_PlJ7is_evenIsEEEE10hipError_tPvRmT3_T4_T5_T6_T7_T9_mT8_P12ihipStream_tbDpT10_ENKUlT_T0_E_clISt17integral_constantIbLb1EES18_IbLb0EEEEDaS14_S15_EUlS14_E_NS1_11comp_targetILNS1_3genE10ELNS1_11target_archE1200ELNS1_3gpuE4ELNS1_3repE0EEENS1_30default_config_static_selectorELNS0_4arch9wavefront6targetE1EEEvT1_
		.amdhsa_group_segment_fixed_size 0
		.amdhsa_private_segment_fixed_size 0
		.amdhsa_kernarg_size 136
		.amdhsa_user_sgpr_count 6
		.amdhsa_user_sgpr_private_segment_buffer 1
		.amdhsa_user_sgpr_dispatch_ptr 0
		.amdhsa_user_sgpr_queue_ptr 0
		.amdhsa_user_sgpr_kernarg_segment_ptr 1
		.amdhsa_user_sgpr_dispatch_id 0
		.amdhsa_user_sgpr_flat_scratch_init 0
		.amdhsa_user_sgpr_kernarg_preload_length 0
		.amdhsa_user_sgpr_kernarg_preload_offset 0
		.amdhsa_user_sgpr_private_segment_size 0
		.amdhsa_uses_dynamic_stack 0
		.amdhsa_system_sgpr_private_segment_wavefront_offset 0
		.amdhsa_system_sgpr_workgroup_id_x 1
		.amdhsa_system_sgpr_workgroup_id_y 0
		.amdhsa_system_sgpr_workgroup_id_z 0
		.amdhsa_system_sgpr_workgroup_info 0
		.amdhsa_system_vgpr_workitem_id 0
		.amdhsa_next_free_vgpr 1
		.amdhsa_next_free_sgpr 0
		.amdhsa_accum_offset 4
		.amdhsa_reserve_vcc 0
		.amdhsa_reserve_flat_scratch 0
		.amdhsa_float_round_mode_32 0
		.amdhsa_float_round_mode_16_64 0
		.amdhsa_float_denorm_mode_32 3
		.amdhsa_float_denorm_mode_16_64 3
		.amdhsa_dx10_clamp 1
		.amdhsa_ieee_mode 1
		.amdhsa_fp16_overflow 0
		.amdhsa_tg_split 0
		.amdhsa_exception_fp_ieee_invalid_op 0
		.amdhsa_exception_fp_denorm_src 0
		.amdhsa_exception_fp_ieee_div_zero 0
		.amdhsa_exception_fp_ieee_overflow 0
		.amdhsa_exception_fp_ieee_underflow 0
		.amdhsa_exception_fp_ieee_inexact 0
		.amdhsa_exception_int_div_zero 0
	.end_amdhsa_kernel
	.section	.text._ZN7rocprim17ROCPRIM_400000_NS6detail17trampoline_kernelINS0_14default_configENS1_25partition_config_selectorILNS1_17partition_subalgoE0EsNS0_10empty_typeEbEEZZNS1_14partition_implILS5_0ELb0ES3_jN6thrust23THRUST_200600_302600_NS6detail15normal_iteratorINSA_10device_ptrIsEEEEPS6_SG_NS0_5tupleIJNSA_16discard_iteratorINSA_11use_defaultEEESK_EEENSH_IJSG_SG_EEES6_PlJ7is_evenIsEEEE10hipError_tPvRmT3_T4_T5_T6_T7_T9_mT8_P12ihipStream_tbDpT10_ENKUlT_T0_E_clISt17integral_constantIbLb1EES18_IbLb0EEEEDaS14_S15_EUlS14_E_NS1_11comp_targetILNS1_3genE10ELNS1_11target_archE1200ELNS1_3gpuE4ELNS1_3repE0EEENS1_30default_config_static_selectorELNS0_4arch9wavefront6targetE1EEEvT1_,"axG",@progbits,_ZN7rocprim17ROCPRIM_400000_NS6detail17trampoline_kernelINS0_14default_configENS1_25partition_config_selectorILNS1_17partition_subalgoE0EsNS0_10empty_typeEbEEZZNS1_14partition_implILS5_0ELb0ES3_jN6thrust23THRUST_200600_302600_NS6detail15normal_iteratorINSA_10device_ptrIsEEEEPS6_SG_NS0_5tupleIJNSA_16discard_iteratorINSA_11use_defaultEEESK_EEENSH_IJSG_SG_EEES6_PlJ7is_evenIsEEEE10hipError_tPvRmT3_T4_T5_T6_T7_T9_mT8_P12ihipStream_tbDpT10_ENKUlT_T0_E_clISt17integral_constantIbLb1EES18_IbLb0EEEEDaS14_S15_EUlS14_E_NS1_11comp_targetILNS1_3genE10ELNS1_11target_archE1200ELNS1_3gpuE4ELNS1_3repE0EEENS1_30default_config_static_selectorELNS0_4arch9wavefront6targetE1EEEvT1_,comdat
.Lfunc_end2800:
	.size	_ZN7rocprim17ROCPRIM_400000_NS6detail17trampoline_kernelINS0_14default_configENS1_25partition_config_selectorILNS1_17partition_subalgoE0EsNS0_10empty_typeEbEEZZNS1_14partition_implILS5_0ELb0ES3_jN6thrust23THRUST_200600_302600_NS6detail15normal_iteratorINSA_10device_ptrIsEEEEPS6_SG_NS0_5tupleIJNSA_16discard_iteratorINSA_11use_defaultEEESK_EEENSH_IJSG_SG_EEES6_PlJ7is_evenIsEEEE10hipError_tPvRmT3_T4_T5_T6_T7_T9_mT8_P12ihipStream_tbDpT10_ENKUlT_T0_E_clISt17integral_constantIbLb1EES18_IbLb0EEEEDaS14_S15_EUlS14_E_NS1_11comp_targetILNS1_3genE10ELNS1_11target_archE1200ELNS1_3gpuE4ELNS1_3repE0EEENS1_30default_config_static_selectorELNS0_4arch9wavefront6targetE1EEEvT1_, .Lfunc_end2800-_ZN7rocprim17ROCPRIM_400000_NS6detail17trampoline_kernelINS0_14default_configENS1_25partition_config_selectorILNS1_17partition_subalgoE0EsNS0_10empty_typeEbEEZZNS1_14partition_implILS5_0ELb0ES3_jN6thrust23THRUST_200600_302600_NS6detail15normal_iteratorINSA_10device_ptrIsEEEEPS6_SG_NS0_5tupleIJNSA_16discard_iteratorINSA_11use_defaultEEESK_EEENSH_IJSG_SG_EEES6_PlJ7is_evenIsEEEE10hipError_tPvRmT3_T4_T5_T6_T7_T9_mT8_P12ihipStream_tbDpT10_ENKUlT_T0_E_clISt17integral_constantIbLb1EES18_IbLb0EEEEDaS14_S15_EUlS14_E_NS1_11comp_targetILNS1_3genE10ELNS1_11target_archE1200ELNS1_3gpuE4ELNS1_3repE0EEENS1_30default_config_static_selectorELNS0_4arch9wavefront6targetE1EEEvT1_
                                        ; -- End function
	.section	.AMDGPU.csdata,"",@progbits
; Kernel info:
; codeLenInByte = 0
; NumSgprs: 4
; NumVgprs: 0
; NumAgprs: 0
; TotalNumVgprs: 0
; ScratchSize: 0
; MemoryBound: 0
; FloatMode: 240
; IeeeMode: 1
; LDSByteSize: 0 bytes/workgroup (compile time only)
; SGPRBlocks: 0
; VGPRBlocks: 0
; NumSGPRsForWavesPerEU: 4
; NumVGPRsForWavesPerEU: 1
; AccumOffset: 4
; Occupancy: 8
; WaveLimiterHint : 0
; COMPUTE_PGM_RSRC2:SCRATCH_EN: 0
; COMPUTE_PGM_RSRC2:USER_SGPR: 6
; COMPUTE_PGM_RSRC2:TRAP_HANDLER: 0
; COMPUTE_PGM_RSRC2:TGID_X_EN: 1
; COMPUTE_PGM_RSRC2:TGID_Y_EN: 0
; COMPUTE_PGM_RSRC2:TGID_Z_EN: 0
; COMPUTE_PGM_RSRC2:TIDIG_COMP_CNT: 0
; COMPUTE_PGM_RSRC3_GFX90A:ACCUM_OFFSET: 0
; COMPUTE_PGM_RSRC3_GFX90A:TG_SPLIT: 0
	.section	.text._ZN7rocprim17ROCPRIM_400000_NS6detail17trampoline_kernelINS0_14default_configENS1_25partition_config_selectorILNS1_17partition_subalgoE0EsNS0_10empty_typeEbEEZZNS1_14partition_implILS5_0ELb0ES3_jN6thrust23THRUST_200600_302600_NS6detail15normal_iteratorINSA_10device_ptrIsEEEEPS6_SG_NS0_5tupleIJNSA_16discard_iteratorINSA_11use_defaultEEESK_EEENSH_IJSG_SG_EEES6_PlJ7is_evenIsEEEE10hipError_tPvRmT3_T4_T5_T6_T7_T9_mT8_P12ihipStream_tbDpT10_ENKUlT_T0_E_clISt17integral_constantIbLb1EES18_IbLb0EEEEDaS14_S15_EUlS14_E_NS1_11comp_targetILNS1_3genE9ELNS1_11target_archE1100ELNS1_3gpuE3ELNS1_3repE0EEENS1_30default_config_static_selectorELNS0_4arch9wavefront6targetE1EEEvT1_,"axG",@progbits,_ZN7rocprim17ROCPRIM_400000_NS6detail17trampoline_kernelINS0_14default_configENS1_25partition_config_selectorILNS1_17partition_subalgoE0EsNS0_10empty_typeEbEEZZNS1_14partition_implILS5_0ELb0ES3_jN6thrust23THRUST_200600_302600_NS6detail15normal_iteratorINSA_10device_ptrIsEEEEPS6_SG_NS0_5tupleIJNSA_16discard_iteratorINSA_11use_defaultEEESK_EEENSH_IJSG_SG_EEES6_PlJ7is_evenIsEEEE10hipError_tPvRmT3_T4_T5_T6_T7_T9_mT8_P12ihipStream_tbDpT10_ENKUlT_T0_E_clISt17integral_constantIbLb1EES18_IbLb0EEEEDaS14_S15_EUlS14_E_NS1_11comp_targetILNS1_3genE9ELNS1_11target_archE1100ELNS1_3gpuE3ELNS1_3repE0EEENS1_30default_config_static_selectorELNS0_4arch9wavefront6targetE1EEEvT1_,comdat
	.protected	_ZN7rocprim17ROCPRIM_400000_NS6detail17trampoline_kernelINS0_14default_configENS1_25partition_config_selectorILNS1_17partition_subalgoE0EsNS0_10empty_typeEbEEZZNS1_14partition_implILS5_0ELb0ES3_jN6thrust23THRUST_200600_302600_NS6detail15normal_iteratorINSA_10device_ptrIsEEEEPS6_SG_NS0_5tupleIJNSA_16discard_iteratorINSA_11use_defaultEEESK_EEENSH_IJSG_SG_EEES6_PlJ7is_evenIsEEEE10hipError_tPvRmT3_T4_T5_T6_T7_T9_mT8_P12ihipStream_tbDpT10_ENKUlT_T0_E_clISt17integral_constantIbLb1EES18_IbLb0EEEEDaS14_S15_EUlS14_E_NS1_11comp_targetILNS1_3genE9ELNS1_11target_archE1100ELNS1_3gpuE3ELNS1_3repE0EEENS1_30default_config_static_selectorELNS0_4arch9wavefront6targetE1EEEvT1_ ; -- Begin function _ZN7rocprim17ROCPRIM_400000_NS6detail17trampoline_kernelINS0_14default_configENS1_25partition_config_selectorILNS1_17partition_subalgoE0EsNS0_10empty_typeEbEEZZNS1_14partition_implILS5_0ELb0ES3_jN6thrust23THRUST_200600_302600_NS6detail15normal_iteratorINSA_10device_ptrIsEEEEPS6_SG_NS0_5tupleIJNSA_16discard_iteratorINSA_11use_defaultEEESK_EEENSH_IJSG_SG_EEES6_PlJ7is_evenIsEEEE10hipError_tPvRmT3_T4_T5_T6_T7_T9_mT8_P12ihipStream_tbDpT10_ENKUlT_T0_E_clISt17integral_constantIbLb1EES18_IbLb0EEEEDaS14_S15_EUlS14_E_NS1_11comp_targetILNS1_3genE9ELNS1_11target_archE1100ELNS1_3gpuE3ELNS1_3repE0EEENS1_30default_config_static_selectorELNS0_4arch9wavefront6targetE1EEEvT1_
	.globl	_ZN7rocprim17ROCPRIM_400000_NS6detail17trampoline_kernelINS0_14default_configENS1_25partition_config_selectorILNS1_17partition_subalgoE0EsNS0_10empty_typeEbEEZZNS1_14partition_implILS5_0ELb0ES3_jN6thrust23THRUST_200600_302600_NS6detail15normal_iteratorINSA_10device_ptrIsEEEEPS6_SG_NS0_5tupleIJNSA_16discard_iteratorINSA_11use_defaultEEESK_EEENSH_IJSG_SG_EEES6_PlJ7is_evenIsEEEE10hipError_tPvRmT3_T4_T5_T6_T7_T9_mT8_P12ihipStream_tbDpT10_ENKUlT_T0_E_clISt17integral_constantIbLb1EES18_IbLb0EEEEDaS14_S15_EUlS14_E_NS1_11comp_targetILNS1_3genE9ELNS1_11target_archE1100ELNS1_3gpuE3ELNS1_3repE0EEENS1_30default_config_static_selectorELNS0_4arch9wavefront6targetE1EEEvT1_
	.p2align	8
	.type	_ZN7rocprim17ROCPRIM_400000_NS6detail17trampoline_kernelINS0_14default_configENS1_25partition_config_selectorILNS1_17partition_subalgoE0EsNS0_10empty_typeEbEEZZNS1_14partition_implILS5_0ELb0ES3_jN6thrust23THRUST_200600_302600_NS6detail15normal_iteratorINSA_10device_ptrIsEEEEPS6_SG_NS0_5tupleIJNSA_16discard_iteratorINSA_11use_defaultEEESK_EEENSH_IJSG_SG_EEES6_PlJ7is_evenIsEEEE10hipError_tPvRmT3_T4_T5_T6_T7_T9_mT8_P12ihipStream_tbDpT10_ENKUlT_T0_E_clISt17integral_constantIbLb1EES18_IbLb0EEEEDaS14_S15_EUlS14_E_NS1_11comp_targetILNS1_3genE9ELNS1_11target_archE1100ELNS1_3gpuE3ELNS1_3repE0EEENS1_30default_config_static_selectorELNS0_4arch9wavefront6targetE1EEEvT1_,@function
_ZN7rocprim17ROCPRIM_400000_NS6detail17trampoline_kernelINS0_14default_configENS1_25partition_config_selectorILNS1_17partition_subalgoE0EsNS0_10empty_typeEbEEZZNS1_14partition_implILS5_0ELb0ES3_jN6thrust23THRUST_200600_302600_NS6detail15normal_iteratorINSA_10device_ptrIsEEEEPS6_SG_NS0_5tupleIJNSA_16discard_iteratorINSA_11use_defaultEEESK_EEENSH_IJSG_SG_EEES6_PlJ7is_evenIsEEEE10hipError_tPvRmT3_T4_T5_T6_T7_T9_mT8_P12ihipStream_tbDpT10_ENKUlT_T0_E_clISt17integral_constantIbLb1EES18_IbLb0EEEEDaS14_S15_EUlS14_E_NS1_11comp_targetILNS1_3genE9ELNS1_11target_archE1100ELNS1_3gpuE3ELNS1_3repE0EEENS1_30default_config_static_selectorELNS0_4arch9wavefront6targetE1EEEvT1_: ; @_ZN7rocprim17ROCPRIM_400000_NS6detail17trampoline_kernelINS0_14default_configENS1_25partition_config_selectorILNS1_17partition_subalgoE0EsNS0_10empty_typeEbEEZZNS1_14partition_implILS5_0ELb0ES3_jN6thrust23THRUST_200600_302600_NS6detail15normal_iteratorINSA_10device_ptrIsEEEEPS6_SG_NS0_5tupleIJNSA_16discard_iteratorINSA_11use_defaultEEESK_EEENSH_IJSG_SG_EEES6_PlJ7is_evenIsEEEE10hipError_tPvRmT3_T4_T5_T6_T7_T9_mT8_P12ihipStream_tbDpT10_ENKUlT_T0_E_clISt17integral_constantIbLb1EES18_IbLb0EEEEDaS14_S15_EUlS14_E_NS1_11comp_targetILNS1_3genE9ELNS1_11target_archE1100ELNS1_3gpuE3ELNS1_3repE0EEENS1_30default_config_static_selectorELNS0_4arch9wavefront6targetE1EEEvT1_
; %bb.0:
	.section	.rodata,"a",@progbits
	.p2align	6, 0x0
	.amdhsa_kernel _ZN7rocprim17ROCPRIM_400000_NS6detail17trampoline_kernelINS0_14default_configENS1_25partition_config_selectorILNS1_17partition_subalgoE0EsNS0_10empty_typeEbEEZZNS1_14partition_implILS5_0ELb0ES3_jN6thrust23THRUST_200600_302600_NS6detail15normal_iteratorINSA_10device_ptrIsEEEEPS6_SG_NS0_5tupleIJNSA_16discard_iteratorINSA_11use_defaultEEESK_EEENSH_IJSG_SG_EEES6_PlJ7is_evenIsEEEE10hipError_tPvRmT3_T4_T5_T6_T7_T9_mT8_P12ihipStream_tbDpT10_ENKUlT_T0_E_clISt17integral_constantIbLb1EES18_IbLb0EEEEDaS14_S15_EUlS14_E_NS1_11comp_targetILNS1_3genE9ELNS1_11target_archE1100ELNS1_3gpuE3ELNS1_3repE0EEENS1_30default_config_static_selectorELNS0_4arch9wavefront6targetE1EEEvT1_
		.amdhsa_group_segment_fixed_size 0
		.amdhsa_private_segment_fixed_size 0
		.amdhsa_kernarg_size 136
		.amdhsa_user_sgpr_count 6
		.amdhsa_user_sgpr_private_segment_buffer 1
		.amdhsa_user_sgpr_dispatch_ptr 0
		.amdhsa_user_sgpr_queue_ptr 0
		.amdhsa_user_sgpr_kernarg_segment_ptr 1
		.amdhsa_user_sgpr_dispatch_id 0
		.amdhsa_user_sgpr_flat_scratch_init 0
		.amdhsa_user_sgpr_kernarg_preload_length 0
		.amdhsa_user_sgpr_kernarg_preload_offset 0
		.amdhsa_user_sgpr_private_segment_size 0
		.amdhsa_uses_dynamic_stack 0
		.amdhsa_system_sgpr_private_segment_wavefront_offset 0
		.amdhsa_system_sgpr_workgroup_id_x 1
		.amdhsa_system_sgpr_workgroup_id_y 0
		.amdhsa_system_sgpr_workgroup_id_z 0
		.amdhsa_system_sgpr_workgroup_info 0
		.amdhsa_system_vgpr_workitem_id 0
		.amdhsa_next_free_vgpr 1
		.amdhsa_next_free_sgpr 0
		.amdhsa_accum_offset 4
		.amdhsa_reserve_vcc 0
		.amdhsa_reserve_flat_scratch 0
		.amdhsa_float_round_mode_32 0
		.amdhsa_float_round_mode_16_64 0
		.amdhsa_float_denorm_mode_32 3
		.amdhsa_float_denorm_mode_16_64 3
		.amdhsa_dx10_clamp 1
		.amdhsa_ieee_mode 1
		.amdhsa_fp16_overflow 0
		.amdhsa_tg_split 0
		.amdhsa_exception_fp_ieee_invalid_op 0
		.amdhsa_exception_fp_denorm_src 0
		.amdhsa_exception_fp_ieee_div_zero 0
		.amdhsa_exception_fp_ieee_overflow 0
		.amdhsa_exception_fp_ieee_underflow 0
		.amdhsa_exception_fp_ieee_inexact 0
		.amdhsa_exception_int_div_zero 0
	.end_amdhsa_kernel
	.section	.text._ZN7rocprim17ROCPRIM_400000_NS6detail17trampoline_kernelINS0_14default_configENS1_25partition_config_selectorILNS1_17partition_subalgoE0EsNS0_10empty_typeEbEEZZNS1_14partition_implILS5_0ELb0ES3_jN6thrust23THRUST_200600_302600_NS6detail15normal_iteratorINSA_10device_ptrIsEEEEPS6_SG_NS0_5tupleIJNSA_16discard_iteratorINSA_11use_defaultEEESK_EEENSH_IJSG_SG_EEES6_PlJ7is_evenIsEEEE10hipError_tPvRmT3_T4_T5_T6_T7_T9_mT8_P12ihipStream_tbDpT10_ENKUlT_T0_E_clISt17integral_constantIbLb1EES18_IbLb0EEEEDaS14_S15_EUlS14_E_NS1_11comp_targetILNS1_3genE9ELNS1_11target_archE1100ELNS1_3gpuE3ELNS1_3repE0EEENS1_30default_config_static_selectorELNS0_4arch9wavefront6targetE1EEEvT1_,"axG",@progbits,_ZN7rocprim17ROCPRIM_400000_NS6detail17trampoline_kernelINS0_14default_configENS1_25partition_config_selectorILNS1_17partition_subalgoE0EsNS0_10empty_typeEbEEZZNS1_14partition_implILS5_0ELb0ES3_jN6thrust23THRUST_200600_302600_NS6detail15normal_iteratorINSA_10device_ptrIsEEEEPS6_SG_NS0_5tupleIJNSA_16discard_iteratorINSA_11use_defaultEEESK_EEENSH_IJSG_SG_EEES6_PlJ7is_evenIsEEEE10hipError_tPvRmT3_T4_T5_T6_T7_T9_mT8_P12ihipStream_tbDpT10_ENKUlT_T0_E_clISt17integral_constantIbLb1EES18_IbLb0EEEEDaS14_S15_EUlS14_E_NS1_11comp_targetILNS1_3genE9ELNS1_11target_archE1100ELNS1_3gpuE3ELNS1_3repE0EEENS1_30default_config_static_selectorELNS0_4arch9wavefront6targetE1EEEvT1_,comdat
.Lfunc_end2801:
	.size	_ZN7rocprim17ROCPRIM_400000_NS6detail17trampoline_kernelINS0_14default_configENS1_25partition_config_selectorILNS1_17partition_subalgoE0EsNS0_10empty_typeEbEEZZNS1_14partition_implILS5_0ELb0ES3_jN6thrust23THRUST_200600_302600_NS6detail15normal_iteratorINSA_10device_ptrIsEEEEPS6_SG_NS0_5tupleIJNSA_16discard_iteratorINSA_11use_defaultEEESK_EEENSH_IJSG_SG_EEES6_PlJ7is_evenIsEEEE10hipError_tPvRmT3_T4_T5_T6_T7_T9_mT8_P12ihipStream_tbDpT10_ENKUlT_T0_E_clISt17integral_constantIbLb1EES18_IbLb0EEEEDaS14_S15_EUlS14_E_NS1_11comp_targetILNS1_3genE9ELNS1_11target_archE1100ELNS1_3gpuE3ELNS1_3repE0EEENS1_30default_config_static_selectorELNS0_4arch9wavefront6targetE1EEEvT1_, .Lfunc_end2801-_ZN7rocprim17ROCPRIM_400000_NS6detail17trampoline_kernelINS0_14default_configENS1_25partition_config_selectorILNS1_17partition_subalgoE0EsNS0_10empty_typeEbEEZZNS1_14partition_implILS5_0ELb0ES3_jN6thrust23THRUST_200600_302600_NS6detail15normal_iteratorINSA_10device_ptrIsEEEEPS6_SG_NS0_5tupleIJNSA_16discard_iteratorINSA_11use_defaultEEESK_EEENSH_IJSG_SG_EEES6_PlJ7is_evenIsEEEE10hipError_tPvRmT3_T4_T5_T6_T7_T9_mT8_P12ihipStream_tbDpT10_ENKUlT_T0_E_clISt17integral_constantIbLb1EES18_IbLb0EEEEDaS14_S15_EUlS14_E_NS1_11comp_targetILNS1_3genE9ELNS1_11target_archE1100ELNS1_3gpuE3ELNS1_3repE0EEENS1_30default_config_static_selectorELNS0_4arch9wavefront6targetE1EEEvT1_
                                        ; -- End function
	.section	.AMDGPU.csdata,"",@progbits
; Kernel info:
; codeLenInByte = 0
; NumSgprs: 4
; NumVgprs: 0
; NumAgprs: 0
; TotalNumVgprs: 0
; ScratchSize: 0
; MemoryBound: 0
; FloatMode: 240
; IeeeMode: 1
; LDSByteSize: 0 bytes/workgroup (compile time only)
; SGPRBlocks: 0
; VGPRBlocks: 0
; NumSGPRsForWavesPerEU: 4
; NumVGPRsForWavesPerEU: 1
; AccumOffset: 4
; Occupancy: 8
; WaveLimiterHint : 0
; COMPUTE_PGM_RSRC2:SCRATCH_EN: 0
; COMPUTE_PGM_RSRC2:USER_SGPR: 6
; COMPUTE_PGM_RSRC2:TRAP_HANDLER: 0
; COMPUTE_PGM_RSRC2:TGID_X_EN: 1
; COMPUTE_PGM_RSRC2:TGID_Y_EN: 0
; COMPUTE_PGM_RSRC2:TGID_Z_EN: 0
; COMPUTE_PGM_RSRC2:TIDIG_COMP_CNT: 0
; COMPUTE_PGM_RSRC3_GFX90A:ACCUM_OFFSET: 0
; COMPUTE_PGM_RSRC3_GFX90A:TG_SPLIT: 0
	.section	.text._ZN7rocprim17ROCPRIM_400000_NS6detail17trampoline_kernelINS0_14default_configENS1_25partition_config_selectorILNS1_17partition_subalgoE0EsNS0_10empty_typeEbEEZZNS1_14partition_implILS5_0ELb0ES3_jN6thrust23THRUST_200600_302600_NS6detail15normal_iteratorINSA_10device_ptrIsEEEEPS6_SG_NS0_5tupleIJNSA_16discard_iteratorINSA_11use_defaultEEESK_EEENSH_IJSG_SG_EEES6_PlJ7is_evenIsEEEE10hipError_tPvRmT3_T4_T5_T6_T7_T9_mT8_P12ihipStream_tbDpT10_ENKUlT_T0_E_clISt17integral_constantIbLb1EES18_IbLb0EEEEDaS14_S15_EUlS14_E_NS1_11comp_targetILNS1_3genE8ELNS1_11target_archE1030ELNS1_3gpuE2ELNS1_3repE0EEENS1_30default_config_static_selectorELNS0_4arch9wavefront6targetE1EEEvT1_,"axG",@progbits,_ZN7rocprim17ROCPRIM_400000_NS6detail17trampoline_kernelINS0_14default_configENS1_25partition_config_selectorILNS1_17partition_subalgoE0EsNS0_10empty_typeEbEEZZNS1_14partition_implILS5_0ELb0ES3_jN6thrust23THRUST_200600_302600_NS6detail15normal_iteratorINSA_10device_ptrIsEEEEPS6_SG_NS0_5tupleIJNSA_16discard_iteratorINSA_11use_defaultEEESK_EEENSH_IJSG_SG_EEES6_PlJ7is_evenIsEEEE10hipError_tPvRmT3_T4_T5_T6_T7_T9_mT8_P12ihipStream_tbDpT10_ENKUlT_T0_E_clISt17integral_constantIbLb1EES18_IbLb0EEEEDaS14_S15_EUlS14_E_NS1_11comp_targetILNS1_3genE8ELNS1_11target_archE1030ELNS1_3gpuE2ELNS1_3repE0EEENS1_30default_config_static_selectorELNS0_4arch9wavefront6targetE1EEEvT1_,comdat
	.protected	_ZN7rocprim17ROCPRIM_400000_NS6detail17trampoline_kernelINS0_14default_configENS1_25partition_config_selectorILNS1_17partition_subalgoE0EsNS0_10empty_typeEbEEZZNS1_14partition_implILS5_0ELb0ES3_jN6thrust23THRUST_200600_302600_NS6detail15normal_iteratorINSA_10device_ptrIsEEEEPS6_SG_NS0_5tupleIJNSA_16discard_iteratorINSA_11use_defaultEEESK_EEENSH_IJSG_SG_EEES6_PlJ7is_evenIsEEEE10hipError_tPvRmT3_T4_T5_T6_T7_T9_mT8_P12ihipStream_tbDpT10_ENKUlT_T0_E_clISt17integral_constantIbLb1EES18_IbLb0EEEEDaS14_S15_EUlS14_E_NS1_11comp_targetILNS1_3genE8ELNS1_11target_archE1030ELNS1_3gpuE2ELNS1_3repE0EEENS1_30default_config_static_selectorELNS0_4arch9wavefront6targetE1EEEvT1_ ; -- Begin function _ZN7rocprim17ROCPRIM_400000_NS6detail17trampoline_kernelINS0_14default_configENS1_25partition_config_selectorILNS1_17partition_subalgoE0EsNS0_10empty_typeEbEEZZNS1_14partition_implILS5_0ELb0ES3_jN6thrust23THRUST_200600_302600_NS6detail15normal_iteratorINSA_10device_ptrIsEEEEPS6_SG_NS0_5tupleIJNSA_16discard_iteratorINSA_11use_defaultEEESK_EEENSH_IJSG_SG_EEES6_PlJ7is_evenIsEEEE10hipError_tPvRmT3_T4_T5_T6_T7_T9_mT8_P12ihipStream_tbDpT10_ENKUlT_T0_E_clISt17integral_constantIbLb1EES18_IbLb0EEEEDaS14_S15_EUlS14_E_NS1_11comp_targetILNS1_3genE8ELNS1_11target_archE1030ELNS1_3gpuE2ELNS1_3repE0EEENS1_30default_config_static_selectorELNS0_4arch9wavefront6targetE1EEEvT1_
	.globl	_ZN7rocprim17ROCPRIM_400000_NS6detail17trampoline_kernelINS0_14default_configENS1_25partition_config_selectorILNS1_17partition_subalgoE0EsNS0_10empty_typeEbEEZZNS1_14partition_implILS5_0ELb0ES3_jN6thrust23THRUST_200600_302600_NS6detail15normal_iteratorINSA_10device_ptrIsEEEEPS6_SG_NS0_5tupleIJNSA_16discard_iteratorINSA_11use_defaultEEESK_EEENSH_IJSG_SG_EEES6_PlJ7is_evenIsEEEE10hipError_tPvRmT3_T4_T5_T6_T7_T9_mT8_P12ihipStream_tbDpT10_ENKUlT_T0_E_clISt17integral_constantIbLb1EES18_IbLb0EEEEDaS14_S15_EUlS14_E_NS1_11comp_targetILNS1_3genE8ELNS1_11target_archE1030ELNS1_3gpuE2ELNS1_3repE0EEENS1_30default_config_static_selectorELNS0_4arch9wavefront6targetE1EEEvT1_
	.p2align	8
	.type	_ZN7rocprim17ROCPRIM_400000_NS6detail17trampoline_kernelINS0_14default_configENS1_25partition_config_selectorILNS1_17partition_subalgoE0EsNS0_10empty_typeEbEEZZNS1_14partition_implILS5_0ELb0ES3_jN6thrust23THRUST_200600_302600_NS6detail15normal_iteratorINSA_10device_ptrIsEEEEPS6_SG_NS0_5tupleIJNSA_16discard_iteratorINSA_11use_defaultEEESK_EEENSH_IJSG_SG_EEES6_PlJ7is_evenIsEEEE10hipError_tPvRmT3_T4_T5_T6_T7_T9_mT8_P12ihipStream_tbDpT10_ENKUlT_T0_E_clISt17integral_constantIbLb1EES18_IbLb0EEEEDaS14_S15_EUlS14_E_NS1_11comp_targetILNS1_3genE8ELNS1_11target_archE1030ELNS1_3gpuE2ELNS1_3repE0EEENS1_30default_config_static_selectorELNS0_4arch9wavefront6targetE1EEEvT1_,@function
_ZN7rocprim17ROCPRIM_400000_NS6detail17trampoline_kernelINS0_14default_configENS1_25partition_config_selectorILNS1_17partition_subalgoE0EsNS0_10empty_typeEbEEZZNS1_14partition_implILS5_0ELb0ES3_jN6thrust23THRUST_200600_302600_NS6detail15normal_iteratorINSA_10device_ptrIsEEEEPS6_SG_NS0_5tupleIJNSA_16discard_iteratorINSA_11use_defaultEEESK_EEENSH_IJSG_SG_EEES6_PlJ7is_evenIsEEEE10hipError_tPvRmT3_T4_T5_T6_T7_T9_mT8_P12ihipStream_tbDpT10_ENKUlT_T0_E_clISt17integral_constantIbLb1EES18_IbLb0EEEEDaS14_S15_EUlS14_E_NS1_11comp_targetILNS1_3genE8ELNS1_11target_archE1030ELNS1_3gpuE2ELNS1_3repE0EEENS1_30default_config_static_selectorELNS0_4arch9wavefront6targetE1EEEvT1_: ; @_ZN7rocprim17ROCPRIM_400000_NS6detail17trampoline_kernelINS0_14default_configENS1_25partition_config_selectorILNS1_17partition_subalgoE0EsNS0_10empty_typeEbEEZZNS1_14partition_implILS5_0ELb0ES3_jN6thrust23THRUST_200600_302600_NS6detail15normal_iteratorINSA_10device_ptrIsEEEEPS6_SG_NS0_5tupleIJNSA_16discard_iteratorINSA_11use_defaultEEESK_EEENSH_IJSG_SG_EEES6_PlJ7is_evenIsEEEE10hipError_tPvRmT3_T4_T5_T6_T7_T9_mT8_P12ihipStream_tbDpT10_ENKUlT_T0_E_clISt17integral_constantIbLb1EES18_IbLb0EEEEDaS14_S15_EUlS14_E_NS1_11comp_targetILNS1_3genE8ELNS1_11target_archE1030ELNS1_3gpuE2ELNS1_3repE0EEENS1_30default_config_static_selectorELNS0_4arch9wavefront6targetE1EEEvT1_
; %bb.0:
	.section	.rodata,"a",@progbits
	.p2align	6, 0x0
	.amdhsa_kernel _ZN7rocprim17ROCPRIM_400000_NS6detail17trampoline_kernelINS0_14default_configENS1_25partition_config_selectorILNS1_17partition_subalgoE0EsNS0_10empty_typeEbEEZZNS1_14partition_implILS5_0ELb0ES3_jN6thrust23THRUST_200600_302600_NS6detail15normal_iteratorINSA_10device_ptrIsEEEEPS6_SG_NS0_5tupleIJNSA_16discard_iteratorINSA_11use_defaultEEESK_EEENSH_IJSG_SG_EEES6_PlJ7is_evenIsEEEE10hipError_tPvRmT3_T4_T5_T6_T7_T9_mT8_P12ihipStream_tbDpT10_ENKUlT_T0_E_clISt17integral_constantIbLb1EES18_IbLb0EEEEDaS14_S15_EUlS14_E_NS1_11comp_targetILNS1_3genE8ELNS1_11target_archE1030ELNS1_3gpuE2ELNS1_3repE0EEENS1_30default_config_static_selectorELNS0_4arch9wavefront6targetE1EEEvT1_
		.amdhsa_group_segment_fixed_size 0
		.amdhsa_private_segment_fixed_size 0
		.amdhsa_kernarg_size 136
		.amdhsa_user_sgpr_count 6
		.amdhsa_user_sgpr_private_segment_buffer 1
		.amdhsa_user_sgpr_dispatch_ptr 0
		.amdhsa_user_sgpr_queue_ptr 0
		.amdhsa_user_sgpr_kernarg_segment_ptr 1
		.amdhsa_user_sgpr_dispatch_id 0
		.amdhsa_user_sgpr_flat_scratch_init 0
		.amdhsa_user_sgpr_kernarg_preload_length 0
		.amdhsa_user_sgpr_kernarg_preload_offset 0
		.amdhsa_user_sgpr_private_segment_size 0
		.amdhsa_uses_dynamic_stack 0
		.amdhsa_system_sgpr_private_segment_wavefront_offset 0
		.amdhsa_system_sgpr_workgroup_id_x 1
		.amdhsa_system_sgpr_workgroup_id_y 0
		.amdhsa_system_sgpr_workgroup_id_z 0
		.amdhsa_system_sgpr_workgroup_info 0
		.amdhsa_system_vgpr_workitem_id 0
		.amdhsa_next_free_vgpr 1
		.amdhsa_next_free_sgpr 0
		.amdhsa_accum_offset 4
		.amdhsa_reserve_vcc 0
		.amdhsa_reserve_flat_scratch 0
		.amdhsa_float_round_mode_32 0
		.amdhsa_float_round_mode_16_64 0
		.amdhsa_float_denorm_mode_32 3
		.amdhsa_float_denorm_mode_16_64 3
		.amdhsa_dx10_clamp 1
		.amdhsa_ieee_mode 1
		.amdhsa_fp16_overflow 0
		.amdhsa_tg_split 0
		.amdhsa_exception_fp_ieee_invalid_op 0
		.amdhsa_exception_fp_denorm_src 0
		.amdhsa_exception_fp_ieee_div_zero 0
		.amdhsa_exception_fp_ieee_overflow 0
		.amdhsa_exception_fp_ieee_underflow 0
		.amdhsa_exception_fp_ieee_inexact 0
		.amdhsa_exception_int_div_zero 0
	.end_amdhsa_kernel
	.section	.text._ZN7rocprim17ROCPRIM_400000_NS6detail17trampoline_kernelINS0_14default_configENS1_25partition_config_selectorILNS1_17partition_subalgoE0EsNS0_10empty_typeEbEEZZNS1_14partition_implILS5_0ELb0ES3_jN6thrust23THRUST_200600_302600_NS6detail15normal_iteratorINSA_10device_ptrIsEEEEPS6_SG_NS0_5tupleIJNSA_16discard_iteratorINSA_11use_defaultEEESK_EEENSH_IJSG_SG_EEES6_PlJ7is_evenIsEEEE10hipError_tPvRmT3_T4_T5_T6_T7_T9_mT8_P12ihipStream_tbDpT10_ENKUlT_T0_E_clISt17integral_constantIbLb1EES18_IbLb0EEEEDaS14_S15_EUlS14_E_NS1_11comp_targetILNS1_3genE8ELNS1_11target_archE1030ELNS1_3gpuE2ELNS1_3repE0EEENS1_30default_config_static_selectorELNS0_4arch9wavefront6targetE1EEEvT1_,"axG",@progbits,_ZN7rocprim17ROCPRIM_400000_NS6detail17trampoline_kernelINS0_14default_configENS1_25partition_config_selectorILNS1_17partition_subalgoE0EsNS0_10empty_typeEbEEZZNS1_14partition_implILS5_0ELb0ES3_jN6thrust23THRUST_200600_302600_NS6detail15normal_iteratorINSA_10device_ptrIsEEEEPS6_SG_NS0_5tupleIJNSA_16discard_iteratorINSA_11use_defaultEEESK_EEENSH_IJSG_SG_EEES6_PlJ7is_evenIsEEEE10hipError_tPvRmT3_T4_T5_T6_T7_T9_mT8_P12ihipStream_tbDpT10_ENKUlT_T0_E_clISt17integral_constantIbLb1EES18_IbLb0EEEEDaS14_S15_EUlS14_E_NS1_11comp_targetILNS1_3genE8ELNS1_11target_archE1030ELNS1_3gpuE2ELNS1_3repE0EEENS1_30default_config_static_selectorELNS0_4arch9wavefront6targetE1EEEvT1_,comdat
.Lfunc_end2802:
	.size	_ZN7rocprim17ROCPRIM_400000_NS6detail17trampoline_kernelINS0_14default_configENS1_25partition_config_selectorILNS1_17partition_subalgoE0EsNS0_10empty_typeEbEEZZNS1_14partition_implILS5_0ELb0ES3_jN6thrust23THRUST_200600_302600_NS6detail15normal_iteratorINSA_10device_ptrIsEEEEPS6_SG_NS0_5tupleIJNSA_16discard_iteratorINSA_11use_defaultEEESK_EEENSH_IJSG_SG_EEES6_PlJ7is_evenIsEEEE10hipError_tPvRmT3_T4_T5_T6_T7_T9_mT8_P12ihipStream_tbDpT10_ENKUlT_T0_E_clISt17integral_constantIbLb1EES18_IbLb0EEEEDaS14_S15_EUlS14_E_NS1_11comp_targetILNS1_3genE8ELNS1_11target_archE1030ELNS1_3gpuE2ELNS1_3repE0EEENS1_30default_config_static_selectorELNS0_4arch9wavefront6targetE1EEEvT1_, .Lfunc_end2802-_ZN7rocprim17ROCPRIM_400000_NS6detail17trampoline_kernelINS0_14default_configENS1_25partition_config_selectorILNS1_17partition_subalgoE0EsNS0_10empty_typeEbEEZZNS1_14partition_implILS5_0ELb0ES3_jN6thrust23THRUST_200600_302600_NS6detail15normal_iteratorINSA_10device_ptrIsEEEEPS6_SG_NS0_5tupleIJNSA_16discard_iteratorINSA_11use_defaultEEESK_EEENSH_IJSG_SG_EEES6_PlJ7is_evenIsEEEE10hipError_tPvRmT3_T4_T5_T6_T7_T9_mT8_P12ihipStream_tbDpT10_ENKUlT_T0_E_clISt17integral_constantIbLb1EES18_IbLb0EEEEDaS14_S15_EUlS14_E_NS1_11comp_targetILNS1_3genE8ELNS1_11target_archE1030ELNS1_3gpuE2ELNS1_3repE0EEENS1_30default_config_static_selectorELNS0_4arch9wavefront6targetE1EEEvT1_
                                        ; -- End function
	.section	.AMDGPU.csdata,"",@progbits
; Kernel info:
; codeLenInByte = 0
; NumSgprs: 4
; NumVgprs: 0
; NumAgprs: 0
; TotalNumVgprs: 0
; ScratchSize: 0
; MemoryBound: 0
; FloatMode: 240
; IeeeMode: 1
; LDSByteSize: 0 bytes/workgroup (compile time only)
; SGPRBlocks: 0
; VGPRBlocks: 0
; NumSGPRsForWavesPerEU: 4
; NumVGPRsForWavesPerEU: 1
; AccumOffset: 4
; Occupancy: 8
; WaveLimiterHint : 0
; COMPUTE_PGM_RSRC2:SCRATCH_EN: 0
; COMPUTE_PGM_RSRC2:USER_SGPR: 6
; COMPUTE_PGM_RSRC2:TRAP_HANDLER: 0
; COMPUTE_PGM_RSRC2:TGID_X_EN: 1
; COMPUTE_PGM_RSRC2:TGID_Y_EN: 0
; COMPUTE_PGM_RSRC2:TGID_Z_EN: 0
; COMPUTE_PGM_RSRC2:TIDIG_COMP_CNT: 0
; COMPUTE_PGM_RSRC3_GFX90A:ACCUM_OFFSET: 0
; COMPUTE_PGM_RSRC3_GFX90A:TG_SPLIT: 0
	.section	.text._ZN7rocprim17ROCPRIM_400000_NS6detail17trampoline_kernelINS0_14default_configENS1_25partition_config_selectorILNS1_17partition_subalgoE0EsNS0_10empty_typeEbEEZZNS1_14partition_implILS5_0ELb0ES3_jN6thrust23THRUST_200600_302600_NS6detail15normal_iteratorINSA_10device_ptrIsEEEEPS6_SG_NS0_5tupleIJNSA_16discard_iteratorINSA_11use_defaultEEESK_EEENSH_IJSG_SG_EEES6_PlJ7is_evenIsEEEE10hipError_tPvRmT3_T4_T5_T6_T7_T9_mT8_P12ihipStream_tbDpT10_ENKUlT_T0_E_clISt17integral_constantIbLb0EES18_IbLb1EEEEDaS14_S15_EUlS14_E_NS1_11comp_targetILNS1_3genE0ELNS1_11target_archE4294967295ELNS1_3gpuE0ELNS1_3repE0EEENS1_30default_config_static_selectorELNS0_4arch9wavefront6targetE1EEEvT1_,"axG",@progbits,_ZN7rocprim17ROCPRIM_400000_NS6detail17trampoline_kernelINS0_14default_configENS1_25partition_config_selectorILNS1_17partition_subalgoE0EsNS0_10empty_typeEbEEZZNS1_14partition_implILS5_0ELb0ES3_jN6thrust23THRUST_200600_302600_NS6detail15normal_iteratorINSA_10device_ptrIsEEEEPS6_SG_NS0_5tupleIJNSA_16discard_iteratorINSA_11use_defaultEEESK_EEENSH_IJSG_SG_EEES6_PlJ7is_evenIsEEEE10hipError_tPvRmT3_T4_T5_T6_T7_T9_mT8_P12ihipStream_tbDpT10_ENKUlT_T0_E_clISt17integral_constantIbLb0EES18_IbLb1EEEEDaS14_S15_EUlS14_E_NS1_11comp_targetILNS1_3genE0ELNS1_11target_archE4294967295ELNS1_3gpuE0ELNS1_3repE0EEENS1_30default_config_static_selectorELNS0_4arch9wavefront6targetE1EEEvT1_,comdat
	.protected	_ZN7rocprim17ROCPRIM_400000_NS6detail17trampoline_kernelINS0_14default_configENS1_25partition_config_selectorILNS1_17partition_subalgoE0EsNS0_10empty_typeEbEEZZNS1_14partition_implILS5_0ELb0ES3_jN6thrust23THRUST_200600_302600_NS6detail15normal_iteratorINSA_10device_ptrIsEEEEPS6_SG_NS0_5tupleIJNSA_16discard_iteratorINSA_11use_defaultEEESK_EEENSH_IJSG_SG_EEES6_PlJ7is_evenIsEEEE10hipError_tPvRmT3_T4_T5_T6_T7_T9_mT8_P12ihipStream_tbDpT10_ENKUlT_T0_E_clISt17integral_constantIbLb0EES18_IbLb1EEEEDaS14_S15_EUlS14_E_NS1_11comp_targetILNS1_3genE0ELNS1_11target_archE4294967295ELNS1_3gpuE0ELNS1_3repE0EEENS1_30default_config_static_selectorELNS0_4arch9wavefront6targetE1EEEvT1_ ; -- Begin function _ZN7rocprim17ROCPRIM_400000_NS6detail17trampoline_kernelINS0_14default_configENS1_25partition_config_selectorILNS1_17partition_subalgoE0EsNS0_10empty_typeEbEEZZNS1_14partition_implILS5_0ELb0ES3_jN6thrust23THRUST_200600_302600_NS6detail15normal_iteratorINSA_10device_ptrIsEEEEPS6_SG_NS0_5tupleIJNSA_16discard_iteratorINSA_11use_defaultEEESK_EEENSH_IJSG_SG_EEES6_PlJ7is_evenIsEEEE10hipError_tPvRmT3_T4_T5_T6_T7_T9_mT8_P12ihipStream_tbDpT10_ENKUlT_T0_E_clISt17integral_constantIbLb0EES18_IbLb1EEEEDaS14_S15_EUlS14_E_NS1_11comp_targetILNS1_3genE0ELNS1_11target_archE4294967295ELNS1_3gpuE0ELNS1_3repE0EEENS1_30default_config_static_selectorELNS0_4arch9wavefront6targetE1EEEvT1_
	.globl	_ZN7rocprim17ROCPRIM_400000_NS6detail17trampoline_kernelINS0_14default_configENS1_25partition_config_selectorILNS1_17partition_subalgoE0EsNS0_10empty_typeEbEEZZNS1_14partition_implILS5_0ELb0ES3_jN6thrust23THRUST_200600_302600_NS6detail15normal_iteratorINSA_10device_ptrIsEEEEPS6_SG_NS0_5tupleIJNSA_16discard_iteratorINSA_11use_defaultEEESK_EEENSH_IJSG_SG_EEES6_PlJ7is_evenIsEEEE10hipError_tPvRmT3_T4_T5_T6_T7_T9_mT8_P12ihipStream_tbDpT10_ENKUlT_T0_E_clISt17integral_constantIbLb0EES18_IbLb1EEEEDaS14_S15_EUlS14_E_NS1_11comp_targetILNS1_3genE0ELNS1_11target_archE4294967295ELNS1_3gpuE0ELNS1_3repE0EEENS1_30default_config_static_selectorELNS0_4arch9wavefront6targetE1EEEvT1_
	.p2align	8
	.type	_ZN7rocprim17ROCPRIM_400000_NS6detail17trampoline_kernelINS0_14default_configENS1_25partition_config_selectorILNS1_17partition_subalgoE0EsNS0_10empty_typeEbEEZZNS1_14partition_implILS5_0ELb0ES3_jN6thrust23THRUST_200600_302600_NS6detail15normal_iteratorINSA_10device_ptrIsEEEEPS6_SG_NS0_5tupleIJNSA_16discard_iteratorINSA_11use_defaultEEESK_EEENSH_IJSG_SG_EEES6_PlJ7is_evenIsEEEE10hipError_tPvRmT3_T4_T5_T6_T7_T9_mT8_P12ihipStream_tbDpT10_ENKUlT_T0_E_clISt17integral_constantIbLb0EES18_IbLb1EEEEDaS14_S15_EUlS14_E_NS1_11comp_targetILNS1_3genE0ELNS1_11target_archE4294967295ELNS1_3gpuE0ELNS1_3repE0EEENS1_30default_config_static_selectorELNS0_4arch9wavefront6targetE1EEEvT1_,@function
_ZN7rocprim17ROCPRIM_400000_NS6detail17trampoline_kernelINS0_14default_configENS1_25partition_config_selectorILNS1_17partition_subalgoE0EsNS0_10empty_typeEbEEZZNS1_14partition_implILS5_0ELb0ES3_jN6thrust23THRUST_200600_302600_NS6detail15normal_iteratorINSA_10device_ptrIsEEEEPS6_SG_NS0_5tupleIJNSA_16discard_iteratorINSA_11use_defaultEEESK_EEENSH_IJSG_SG_EEES6_PlJ7is_evenIsEEEE10hipError_tPvRmT3_T4_T5_T6_T7_T9_mT8_P12ihipStream_tbDpT10_ENKUlT_T0_E_clISt17integral_constantIbLb0EES18_IbLb1EEEEDaS14_S15_EUlS14_E_NS1_11comp_targetILNS1_3genE0ELNS1_11target_archE4294967295ELNS1_3gpuE0ELNS1_3repE0EEENS1_30default_config_static_selectorELNS0_4arch9wavefront6targetE1EEEvT1_: ; @_ZN7rocprim17ROCPRIM_400000_NS6detail17trampoline_kernelINS0_14default_configENS1_25partition_config_selectorILNS1_17partition_subalgoE0EsNS0_10empty_typeEbEEZZNS1_14partition_implILS5_0ELb0ES3_jN6thrust23THRUST_200600_302600_NS6detail15normal_iteratorINSA_10device_ptrIsEEEEPS6_SG_NS0_5tupleIJNSA_16discard_iteratorINSA_11use_defaultEEESK_EEENSH_IJSG_SG_EEES6_PlJ7is_evenIsEEEE10hipError_tPvRmT3_T4_T5_T6_T7_T9_mT8_P12ihipStream_tbDpT10_ENKUlT_T0_E_clISt17integral_constantIbLb0EES18_IbLb1EEEEDaS14_S15_EUlS14_E_NS1_11comp_targetILNS1_3genE0ELNS1_11target_archE4294967295ELNS1_3gpuE0ELNS1_3repE0EEENS1_30default_config_static_selectorELNS0_4arch9wavefront6targetE1EEEvT1_
; %bb.0:
	.section	.rodata,"a",@progbits
	.p2align	6, 0x0
	.amdhsa_kernel _ZN7rocprim17ROCPRIM_400000_NS6detail17trampoline_kernelINS0_14default_configENS1_25partition_config_selectorILNS1_17partition_subalgoE0EsNS0_10empty_typeEbEEZZNS1_14partition_implILS5_0ELb0ES3_jN6thrust23THRUST_200600_302600_NS6detail15normal_iteratorINSA_10device_ptrIsEEEEPS6_SG_NS0_5tupleIJNSA_16discard_iteratorINSA_11use_defaultEEESK_EEENSH_IJSG_SG_EEES6_PlJ7is_evenIsEEEE10hipError_tPvRmT3_T4_T5_T6_T7_T9_mT8_P12ihipStream_tbDpT10_ENKUlT_T0_E_clISt17integral_constantIbLb0EES18_IbLb1EEEEDaS14_S15_EUlS14_E_NS1_11comp_targetILNS1_3genE0ELNS1_11target_archE4294967295ELNS1_3gpuE0ELNS1_3repE0EEENS1_30default_config_static_selectorELNS0_4arch9wavefront6targetE1EEEvT1_
		.amdhsa_group_segment_fixed_size 0
		.amdhsa_private_segment_fixed_size 0
		.amdhsa_kernarg_size 152
		.amdhsa_user_sgpr_count 6
		.amdhsa_user_sgpr_private_segment_buffer 1
		.amdhsa_user_sgpr_dispatch_ptr 0
		.amdhsa_user_sgpr_queue_ptr 0
		.amdhsa_user_sgpr_kernarg_segment_ptr 1
		.amdhsa_user_sgpr_dispatch_id 0
		.amdhsa_user_sgpr_flat_scratch_init 0
		.amdhsa_user_sgpr_kernarg_preload_length 0
		.amdhsa_user_sgpr_kernarg_preload_offset 0
		.amdhsa_user_sgpr_private_segment_size 0
		.amdhsa_uses_dynamic_stack 0
		.amdhsa_system_sgpr_private_segment_wavefront_offset 0
		.amdhsa_system_sgpr_workgroup_id_x 1
		.amdhsa_system_sgpr_workgroup_id_y 0
		.amdhsa_system_sgpr_workgroup_id_z 0
		.amdhsa_system_sgpr_workgroup_info 0
		.amdhsa_system_vgpr_workitem_id 0
		.amdhsa_next_free_vgpr 1
		.amdhsa_next_free_sgpr 0
		.amdhsa_accum_offset 4
		.amdhsa_reserve_vcc 0
		.amdhsa_reserve_flat_scratch 0
		.amdhsa_float_round_mode_32 0
		.amdhsa_float_round_mode_16_64 0
		.amdhsa_float_denorm_mode_32 3
		.amdhsa_float_denorm_mode_16_64 3
		.amdhsa_dx10_clamp 1
		.amdhsa_ieee_mode 1
		.amdhsa_fp16_overflow 0
		.amdhsa_tg_split 0
		.amdhsa_exception_fp_ieee_invalid_op 0
		.amdhsa_exception_fp_denorm_src 0
		.amdhsa_exception_fp_ieee_div_zero 0
		.amdhsa_exception_fp_ieee_overflow 0
		.amdhsa_exception_fp_ieee_underflow 0
		.amdhsa_exception_fp_ieee_inexact 0
		.amdhsa_exception_int_div_zero 0
	.end_amdhsa_kernel
	.section	.text._ZN7rocprim17ROCPRIM_400000_NS6detail17trampoline_kernelINS0_14default_configENS1_25partition_config_selectorILNS1_17partition_subalgoE0EsNS0_10empty_typeEbEEZZNS1_14partition_implILS5_0ELb0ES3_jN6thrust23THRUST_200600_302600_NS6detail15normal_iteratorINSA_10device_ptrIsEEEEPS6_SG_NS0_5tupleIJNSA_16discard_iteratorINSA_11use_defaultEEESK_EEENSH_IJSG_SG_EEES6_PlJ7is_evenIsEEEE10hipError_tPvRmT3_T4_T5_T6_T7_T9_mT8_P12ihipStream_tbDpT10_ENKUlT_T0_E_clISt17integral_constantIbLb0EES18_IbLb1EEEEDaS14_S15_EUlS14_E_NS1_11comp_targetILNS1_3genE0ELNS1_11target_archE4294967295ELNS1_3gpuE0ELNS1_3repE0EEENS1_30default_config_static_selectorELNS0_4arch9wavefront6targetE1EEEvT1_,"axG",@progbits,_ZN7rocprim17ROCPRIM_400000_NS6detail17trampoline_kernelINS0_14default_configENS1_25partition_config_selectorILNS1_17partition_subalgoE0EsNS0_10empty_typeEbEEZZNS1_14partition_implILS5_0ELb0ES3_jN6thrust23THRUST_200600_302600_NS6detail15normal_iteratorINSA_10device_ptrIsEEEEPS6_SG_NS0_5tupleIJNSA_16discard_iteratorINSA_11use_defaultEEESK_EEENSH_IJSG_SG_EEES6_PlJ7is_evenIsEEEE10hipError_tPvRmT3_T4_T5_T6_T7_T9_mT8_P12ihipStream_tbDpT10_ENKUlT_T0_E_clISt17integral_constantIbLb0EES18_IbLb1EEEEDaS14_S15_EUlS14_E_NS1_11comp_targetILNS1_3genE0ELNS1_11target_archE4294967295ELNS1_3gpuE0ELNS1_3repE0EEENS1_30default_config_static_selectorELNS0_4arch9wavefront6targetE1EEEvT1_,comdat
.Lfunc_end2803:
	.size	_ZN7rocprim17ROCPRIM_400000_NS6detail17trampoline_kernelINS0_14default_configENS1_25partition_config_selectorILNS1_17partition_subalgoE0EsNS0_10empty_typeEbEEZZNS1_14partition_implILS5_0ELb0ES3_jN6thrust23THRUST_200600_302600_NS6detail15normal_iteratorINSA_10device_ptrIsEEEEPS6_SG_NS0_5tupleIJNSA_16discard_iteratorINSA_11use_defaultEEESK_EEENSH_IJSG_SG_EEES6_PlJ7is_evenIsEEEE10hipError_tPvRmT3_T4_T5_T6_T7_T9_mT8_P12ihipStream_tbDpT10_ENKUlT_T0_E_clISt17integral_constantIbLb0EES18_IbLb1EEEEDaS14_S15_EUlS14_E_NS1_11comp_targetILNS1_3genE0ELNS1_11target_archE4294967295ELNS1_3gpuE0ELNS1_3repE0EEENS1_30default_config_static_selectorELNS0_4arch9wavefront6targetE1EEEvT1_, .Lfunc_end2803-_ZN7rocprim17ROCPRIM_400000_NS6detail17trampoline_kernelINS0_14default_configENS1_25partition_config_selectorILNS1_17partition_subalgoE0EsNS0_10empty_typeEbEEZZNS1_14partition_implILS5_0ELb0ES3_jN6thrust23THRUST_200600_302600_NS6detail15normal_iteratorINSA_10device_ptrIsEEEEPS6_SG_NS0_5tupleIJNSA_16discard_iteratorINSA_11use_defaultEEESK_EEENSH_IJSG_SG_EEES6_PlJ7is_evenIsEEEE10hipError_tPvRmT3_T4_T5_T6_T7_T9_mT8_P12ihipStream_tbDpT10_ENKUlT_T0_E_clISt17integral_constantIbLb0EES18_IbLb1EEEEDaS14_S15_EUlS14_E_NS1_11comp_targetILNS1_3genE0ELNS1_11target_archE4294967295ELNS1_3gpuE0ELNS1_3repE0EEENS1_30default_config_static_selectorELNS0_4arch9wavefront6targetE1EEEvT1_
                                        ; -- End function
	.section	.AMDGPU.csdata,"",@progbits
; Kernel info:
; codeLenInByte = 0
; NumSgprs: 4
; NumVgprs: 0
; NumAgprs: 0
; TotalNumVgprs: 0
; ScratchSize: 0
; MemoryBound: 0
; FloatMode: 240
; IeeeMode: 1
; LDSByteSize: 0 bytes/workgroup (compile time only)
; SGPRBlocks: 0
; VGPRBlocks: 0
; NumSGPRsForWavesPerEU: 4
; NumVGPRsForWavesPerEU: 1
; AccumOffset: 4
; Occupancy: 8
; WaveLimiterHint : 0
; COMPUTE_PGM_RSRC2:SCRATCH_EN: 0
; COMPUTE_PGM_RSRC2:USER_SGPR: 6
; COMPUTE_PGM_RSRC2:TRAP_HANDLER: 0
; COMPUTE_PGM_RSRC2:TGID_X_EN: 1
; COMPUTE_PGM_RSRC2:TGID_Y_EN: 0
; COMPUTE_PGM_RSRC2:TGID_Z_EN: 0
; COMPUTE_PGM_RSRC2:TIDIG_COMP_CNT: 0
; COMPUTE_PGM_RSRC3_GFX90A:ACCUM_OFFSET: 0
; COMPUTE_PGM_RSRC3_GFX90A:TG_SPLIT: 0
	.section	.text._ZN7rocprim17ROCPRIM_400000_NS6detail17trampoline_kernelINS0_14default_configENS1_25partition_config_selectorILNS1_17partition_subalgoE0EsNS0_10empty_typeEbEEZZNS1_14partition_implILS5_0ELb0ES3_jN6thrust23THRUST_200600_302600_NS6detail15normal_iteratorINSA_10device_ptrIsEEEEPS6_SG_NS0_5tupleIJNSA_16discard_iteratorINSA_11use_defaultEEESK_EEENSH_IJSG_SG_EEES6_PlJ7is_evenIsEEEE10hipError_tPvRmT3_T4_T5_T6_T7_T9_mT8_P12ihipStream_tbDpT10_ENKUlT_T0_E_clISt17integral_constantIbLb0EES18_IbLb1EEEEDaS14_S15_EUlS14_E_NS1_11comp_targetILNS1_3genE5ELNS1_11target_archE942ELNS1_3gpuE9ELNS1_3repE0EEENS1_30default_config_static_selectorELNS0_4arch9wavefront6targetE1EEEvT1_,"axG",@progbits,_ZN7rocprim17ROCPRIM_400000_NS6detail17trampoline_kernelINS0_14default_configENS1_25partition_config_selectorILNS1_17partition_subalgoE0EsNS0_10empty_typeEbEEZZNS1_14partition_implILS5_0ELb0ES3_jN6thrust23THRUST_200600_302600_NS6detail15normal_iteratorINSA_10device_ptrIsEEEEPS6_SG_NS0_5tupleIJNSA_16discard_iteratorINSA_11use_defaultEEESK_EEENSH_IJSG_SG_EEES6_PlJ7is_evenIsEEEE10hipError_tPvRmT3_T4_T5_T6_T7_T9_mT8_P12ihipStream_tbDpT10_ENKUlT_T0_E_clISt17integral_constantIbLb0EES18_IbLb1EEEEDaS14_S15_EUlS14_E_NS1_11comp_targetILNS1_3genE5ELNS1_11target_archE942ELNS1_3gpuE9ELNS1_3repE0EEENS1_30default_config_static_selectorELNS0_4arch9wavefront6targetE1EEEvT1_,comdat
	.protected	_ZN7rocprim17ROCPRIM_400000_NS6detail17trampoline_kernelINS0_14default_configENS1_25partition_config_selectorILNS1_17partition_subalgoE0EsNS0_10empty_typeEbEEZZNS1_14partition_implILS5_0ELb0ES3_jN6thrust23THRUST_200600_302600_NS6detail15normal_iteratorINSA_10device_ptrIsEEEEPS6_SG_NS0_5tupleIJNSA_16discard_iteratorINSA_11use_defaultEEESK_EEENSH_IJSG_SG_EEES6_PlJ7is_evenIsEEEE10hipError_tPvRmT3_T4_T5_T6_T7_T9_mT8_P12ihipStream_tbDpT10_ENKUlT_T0_E_clISt17integral_constantIbLb0EES18_IbLb1EEEEDaS14_S15_EUlS14_E_NS1_11comp_targetILNS1_3genE5ELNS1_11target_archE942ELNS1_3gpuE9ELNS1_3repE0EEENS1_30default_config_static_selectorELNS0_4arch9wavefront6targetE1EEEvT1_ ; -- Begin function _ZN7rocprim17ROCPRIM_400000_NS6detail17trampoline_kernelINS0_14default_configENS1_25partition_config_selectorILNS1_17partition_subalgoE0EsNS0_10empty_typeEbEEZZNS1_14partition_implILS5_0ELb0ES3_jN6thrust23THRUST_200600_302600_NS6detail15normal_iteratorINSA_10device_ptrIsEEEEPS6_SG_NS0_5tupleIJNSA_16discard_iteratorINSA_11use_defaultEEESK_EEENSH_IJSG_SG_EEES6_PlJ7is_evenIsEEEE10hipError_tPvRmT3_T4_T5_T6_T7_T9_mT8_P12ihipStream_tbDpT10_ENKUlT_T0_E_clISt17integral_constantIbLb0EES18_IbLb1EEEEDaS14_S15_EUlS14_E_NS1_11comp_targetILNS1_3genE5ELNS1_11target_archE942ELNS1_3gpuE9ELNS1_3repE0EEENS1_30default_config_static_selectorELNS0_4arch9wavefront6targetE1EEEvT1_
	.globl	_ZN7rocprim17ROCPRIM_400000_NS6detail17trampoline_kernelINS0_14default_configENS1_25partition_config_selectorILNS1_17partition_subalgoE0EsNS0_10empty_typeEbEEZZNS1_14partition_implILS5_0ELb0ES3_jN6thrust23THRUST_200600_302600_NS6detail15normal_iteratorINSA_10device_ptrIsEEEEPS6_SG_NS0_5tupleIJNSA_16discard_iteratorINSA_11use_defaultEEESK_EEENSH_IJSG_SG_EEES6_PlJ7is_evenIsEEEE10hipError_tPvRmT3_T4_T5_T6_T7_T9_mT8_P12ihipStream_tbDpT10_ENKUlT_T0_E_clISt17integral_constantIbLb0EES18_IbLb1EEEEDaS14_S15_EUlS14_E_NS1_11comp_targetILNS1_3genE5ELNS1_11target_archE942ELNS1_3gpuE9ELNS1_3repE0EEENS1_30default_config_static_selectorELNS0_4arch9wavefront6targetE1EEEvT1_
	.p2align	8
	.type	_ZN7rocprim17ROCPRIM_400000_NS6detail17trampoline_kernelINS0_14default_configENS1_25partition_config_selectorILNS1_17partition_subalgoE0EsNS0_10empty_typeEbEEZZNS1_14partition_implILS5_0ELb0ES3_jN6thrust23THRUST_200600_302600_NS6detail15normal_iteratorINSA_10device_ptrIsEEEEPS6_SG_NS0_5tupleIJNSA_16discard_iteratorINSA_11use_defaultEEESK_EEENSH_IJSG_SG_EEES6_PlJ7is_evenIsEEEE10hipError_tPvRmT3_T4_T5_T6_T7_T9_mT8_P12ihipStream_tbDpT10_ENKUlT_T0_E_clISt17integral_constantIbLb0EES18_IbLb1EEEEDaS14_S15_EUlS14_E_NS1_11comp_targetILNS1_3genE5ELNS1_11target_archE942ELNS1_3gpuE9ELNS1_3repE0EEENS1_30default_config_static_selectorELNS0_4arch9wavefront6targetE1EEEvT1_,@function
_ZN7rocprim17ROCPRIM_400000_NS6detail17trampoline_kernelINS0_14default_configENS1_25partition_config_selectorILNS1_17partition_subalgoE0EsNS0_10empty_typeEbEEZZNS1_14partition_implILS5_0ELb0ES3_jN6thrust23THRUST_200600_302600_NS6detail15normal_iteratorINSA_10device_ptrIsEEEEPS6_SG_NS0_5tupleIJNSA_16discard_iteratorINSA_11use_defaultEEESK_EEENSH_IJSG_SG_EEES6_PlJ7is_evenIsEEEE10hipError_tPvRmT3_T4_T5_T6_T7_T9_mT8_P12ihipStream_tbDpT10_ENKUlT_T0_E_clISt17integral_constantIbLb0EES18_IbLb1EEEEDaS14_S15_EUlS14_E_NS1_11comp_targetILNS1_3genE5ELNS1_11target_archE942ELNS1_3gpuE9ELNS1_3repE0EEENS1_30default_config_static_selectorELNS0_4arch9wavefront6targetE1EEEvT1_: ; @_ZN7rocprim17ROCPRIM_400000_NS6detail17trampoline_kernelINS0_14default_configENS1_25partition_config_selectorILNS1_17partition_subalgoE0EsNS0_10empty_typeEbEEZZNS1_14partition_implILS5_0ELb0ES3_jN6thrust23THRUST_200600_302600_NS6detail15normal_iteratorINSA_10device_ptrIsEEEEPS6_SG_NS0_5tupleIJNSA_16discard_iteratorINSA_11use_defaultEEESK_EEENSH_IJSG_SG_EEES6_PlJ7is_evenIsEEEE10hipError_tPvRmT3_T4_T5_T6_T7_T9_mT8_P12ihipStream_tbDpT10_ENKUlT_T0_E_clISt17integral_constantIbLb0EES18_IbLb1EEEEDaS14_S15_EUlS14_E_NS1_11comp_targetILNS1_3genE5ELNS1_11target_archE942ELNS1_3gpuE9ELNS1_3repE0EEENS1_30default_config_static_selectorELNS0_4arch9wavefront6targetE1EEEvT1_
; %bb.0:
	.section	.rodata,"a",@progbits
	.p2align	6, 0x0
	.amdhsa_kernel _ZN7rocprim17ROCPRIM_400000_NS6detail17trampoline_kernelINS0_14default_configENS1_25partition_config_selectorILNS1_17partition_subalgoE0EsNS0_10empty_typeEbEEZZNS1_14partition_implILS5_0ELb0ES3_jN6thrust23THRUST_200600_302600_NS6detail15normal_iteratorINSA_10device_ptrIsEEEEPS6_SG_NS0_5tupleIJNSA_16discard_iteratorINSA_11use_defaultEEESK_EEENSH_IJSG_SG_EEES6_PlJ7is_evenIsEEEE10hipError_tPvRmT3_T4_T5_T6_T7_T9_mT8_P12ihipStream_tbDpT10_ENKUlT_T0_E_clISt17integral_constantIbLb0EES18_IbLb1EEEEDaS14_S15_EUlS14_E_NS1_11comp_targetILNS1_3genE5ELNS1_11target_archE942ELNS1_3gpuE9ELNS1_3repE0EEENS1_30default_config_static_selectorELNS0_4arch9wavefront6targetE1EEEvT1_
		.amdhsa_group_segment_fixed_size 0
		.amdhsa_private_segment_fixed_size 0
		.amdhsa_kernarg_size 152
		.amdhsa_user_sgpr_count 6
		.amdhsa_user_sgpr_private_segment_buffer 1
		.amdhsa_user_sgpr_dispatch_ptr 0
		.amdhsa_user_sgpr_queue_ptr 0
		.amdhsa_user_sgpr_kernarg_segment_ptr 1
		.amdhsa_user_sgpr_dispatch_id 0
		.amdhsa_user_sgpr_flat_scratch_init 0
		.amdhsa_user_sgpr_kernarg_preload_length 0
		.amdhsa_user_sgpr_kernarg_preload_offset 0
		.amdhsa_user_sgpr_private_segment_size 0
		.amdhsa_uses_dynamic_stack 0
		.amdhsa_system_sgpr_private_segment_wavefront_offset 0
		.amdhsa_system_sgpr_workgroup_id_x 1
		.amdhsa_system_sgpr_workgroup_id_y 0
		.amdhsa_system_sgpr_workgroup_id_z 0
		.amdhsa_system_sgpr_workgroup_info 0
		.amdhsa_system_vgpr_workitem_id 0
		.amdhsa_next_free_vgpr 1
		.amdhsa_next_free_sgpr 0
		.amdhsa_accum_offset 4
		.amdhsa_reserve_vcc 0
		.amdhsa_reserve_flat_scratch 0
		.amdhsa_float_round_mode_32 0
		.amdhsa_float_round_mode_16_64 0
		.amdhsa_float_denorm_mode_32 3
		.amdhsa_float_denorm_mode_16_64 3
		.amdhsa_dx10_clamp 1
		.amdhsa_ieee_mode 1
		.amdhsa_fp16_overflow 0
		.amdhsa_tg_split 0
		.amdhsa_exception_fp_ieee_invalid_op 0
		.amdhsa_exception_fp_denorm_src 0
		.amdhsa_exception_fp_ieee_div_zero 0
		.amdhsa_exception_fp_ieee_overflow 0
		.amdhsa_exception_fp_ieee_underflow 0
		.amdhsa_exception_fp_ieee_inexact 0
		.amdhsa_exception_int_div_zero 0
	.end_amdhsa_kernel
	.section	.text._ZN7rocprim17ROCPRIM_400000_NS6detail17trampoline_kernelINS0_14default_configENS1_25partition_config_selectorILNS1_17partition_subalgoE0EsNS0_10empty_typeEbEEZZNS1_14partition_implILS5_0ELb0ES3_jN6thrust23THRUST_200600_302600_NS6detail15normal_iteratorINSA_10device_ptrIsEEEEPS6_SG_NS0_5tupleIJNSA_16discard_iteratorINSA_11use_defaultEEESK_EEENSH_IJSG_SG_EEES6_PlJ7is_evenIsEEEE10hipError_tPvRmT3_T4_T5_T6_T7_T9_mT8_P12ihipStream_tbDpT10_ENKUlT_T0_E_clISt17integral_constantIbLb0EES18_IbLb1EEEEDaS14_S15_EUlS14_E_NS1_11comp_targetILNS1_3genE5ELNS1_11target_archE942ELNS1_3gpuE9ELNS1_3repE0EEENS1_30default_config_static_selectorELNS0_4arch9wavefront6targetE1EEEvT1_,"axG",@progbits,_ZN7rocprim17ROCPRIM_400000_NS6detail17trampoline_kernelINS0_14default_configENS1_25partition_config_selectorILNS1_17partition_subalgoE0EsNS0_10empty_typeEbEEZZNS1_14partition_implILS5_0ELb0ES3_jN6thrust23THRUST_200600_302600_NS6detail15normal_iteratorINSA_10device_ptrIsEEEEPS6_SG_NS0_5tupleIJNSA_16discard_iteratorINSA_11use_defaultEEESK_EEENSH_IJSG_SG_EEES6_PlJ7is_evenIsEEEE10hipError_tPvRmT3_T4_T5_T6_T7_T9_mT8_P12ihipStream_tbDpT10_ENKUlT_T0_E_clISt17integral_constantIbLb0EES18_IbLb1EEEEDaS14_S15_EUlS14_E_NS1_11comp_targetILNS1_3genE5ELNS1_11target_archE942ELNS1_3gpuE9ELNS1_3repE0EEENS1_30default_config_static_selectorELNS0_4arch9wavefront6targetE1EEEvT1_,comdat
.Lfunc_end2804:
	.size	_ZN7rocprim17ROCPRIM_400000_NS6detail17trampoline_kernelINS0_14default_configENS1_25partition_config_selectorILNS1_17partition_subalgoE0EsNS0_10empty_typeEbEEZZNS1_14partition_implILS5_0ELb0ES3_jN6thrust23THRUST_200600_302600_NS6detail15normal_iteratorINSA_10device_ptrIsEEEEPS6_SG_NS0_5tupleIJNSA_16discard_iteratorINSA_11use_defaultEEESK_EEENSH_IJSG_SG_EEES6_PlJ7is_evenIsEEEE10hipError_tPvRmT3_T4_T5_T6_T7_T9_mT8_P12ihipStream_tbDpT10_ENKUlT_T0_E_clISt17integral_constantIbLb0EES18_IbLb1EEEEDaS14_S15_EUlS14_E_NS1_11comp_targetILNS1_3genE5ELNS1_11target_archE942ELNS1_3gpuE9ELNS1_3repE0EEENS1_30default_config_static_selectorELNS0_4arch9wavefront6targetE1EEEvT1_, .Lfunc_end2804-_ZN7rocprim17ROCPRIM_400000_NS6detail17trampoline_kernelINS0_14default_configENS1_25partition_config_selectorILNS1_17partition_subalgoE0EsNS0_10empty_typeEbEEZZNS1_14partition_implILS5_0ELb0ES3_jN6thrust23THRUST_200600_302600_NS6detail15normal_iteratorINSA_10device_ptrIsEEEEPS6_SG_NS0_5tupleIJNSA_16discard_iteratorINSA_11use_defaultEEESK_EEENSH_IJSG_SG_EEES6_PlJ7is_evenIsEEEE10hipError_tPvRmT3_T4_T5_T6_T7_T9_mT8_P12ihipStream_tbDpT10_ENKUlT_T0_E_clISt17integral_constantIbLb0EES18_IbLb1EEEEDaS14_S15_EUlS14_E_NS1_11comp_targetILNS1_3genE5ELNS1_11target_archE942ELNS1_3gpuE9ELNS1_3repE0EEENS1_30default_config_static_selectorELNS0_4arch9wavefront6targetE1EEEvT1_
                                        ; -- End function
	.section	.AMDGPU.csdata,"",@progbits
; Kernel info:
; codeLenInByte = 0
; NumSgprs: 4
; NumVgprs: 0
; NumAgprs: 0
; TotalNumVgprs: 0
; ScratchSize: 0
; MemoryBound: 0
; FloatMode: 240
; IeeeMode: 1
; LDSByteSize: 0 bytes/workgroup (compile time only)
; SGPRBlocks: 0
; VGPRBlocks: 0
; NumSGPRsForWavesPerEU: 4
; NumVGPRsForWavesPerEU: 1
; AccumOffset: 4
; Occupancy: 8
; WaveLimiterHint : 0
; COMPUTE_PGM_RSRC2:SCRATCH_EN: 0
; COMPUTE_PGM_RSRC2:USER_SGPR: 6
; COMPUTE_PGM_RSRC2:TRAP_HANDLER: 0
; COMPUTE_PGM_RSRC2:TGID_X_EN: 1
; COMPUTE_PGM_RSRC2:TGID_Y_EN: 0
; COMPUTE_PGM_RSRC2:TGID_Z_EN: 0
; COMPUTE_PGM_RSRC2:TIDIG_COMP_CNT: 0
; COMPUTE_PGM_RSRC3_GFX90A:ACCUM_OFFSET: 0
; COMPUTE_PGM_RSRC3_GFX90A:TG_SPLIT: 0
	.section	.text._ZN7rocprim17ROCPRIM_400000_NS6detail17trampoline_kernelINS0_14default_configENS1_25partition_config_selectorILNS1_17partition_subalgoE0EsNS0_10empty_typeEbEEZZNS1_14partition_implILS5_0ELb0ES3_jN6thrust23THRUST_200600_302600_NS6detail15normal_iteratorINSA_10device_ptrIsEEEEPS6_SG_NS0_5tupleIJNSA_16discard_iteratorINSA_11use_defaultEEESK_EEENSH_IJSG_SG_EEES6_PlJ7is_evenIsEEEE10hipError_tPvRmT3_T4_T5_T6_T7_T9_mT8_P12ihipStream_tbDpT10_ENKUlT_T0_E_clISt17integral_constantIbLb0EES18_IbLb1EEEEDaS14_S15_EUlS14_E_NS1_11comp_targetILNS1_3genE4ELNS1_11target_archE910ELNS1_3gpuE8ELNS1_3repE0EEENS1_30default_config_static_selectorELNS0_4arch9wavefront6targetE1EEEvT1_,"axG",@progbits,_ZN7rocprim17ROCPRIM_400000_NS6detail17trampoline_kernelINS0_14default_configENS1_25partition_config_selectorILNS1_17partition_subalgoE0EsNS0_10empty_typeEbEEZZNS1_14partition_implILS5_0ELb0ES3_jN6thrust23THRUST_200600_302600_NS6detail15normal_iteratorINSA_10device_ptrIsEEEEPS6_SG_NS0_5tupleIJNSA_16discard_iteratorINSA_11use_defaultEEESK_EEENSH_IJSG_SG_EEES6_PlJ7is_evenIsEEEE10hipError_tPvRmT3_T4_T5_T6_T7_T9_mT8_P12ihipStream_tbDpT10_ENKUlT_T0_E_clISt17integral_constantIbLb0EES18_IbLb1EEEEDaS14_S15_EUlS14_E_NS1_11comp_targetILNS1_3genE4ELNS1_11target_archE910ELNS1_3gpuE8ELNS1_3repE0EEENS1_30default_config_static_selectorELNS0_4arch9wavefront6targetE1EEEvT1_,comdat
	.protected	_ZN7rocprim17ROCPRIM_400000_NS6detail17trampoline_kernelINS0_14default_configENS1_25partition_config_selectorILNS1_17partition_subalgoE0EsNS0_10empty_typeEbEEZZNS1_14partition_implILS5_0ELb0ES3_jN6thrust23THRUST_200600_302600_NS6detail15normal_iteratorINSA_10device_ptrIsEEEEPS6_SG_NS0_5tupleIJNSA_16discard_iteratorINSA_11use_defaultEEESK_EEENSH_IJSG_SG_EEES6_PlJ7is_evenIsEEEE10hipError_tPvRmT3_T4_T5_T6_T7_T9_mT8_P12ihipStream_tbDpT10_ENKUlT_T0_E_clISt17integral_constantIbLb0EES18_IbLb1EEEEDaS14_S15_EUlS14_E_NS1_11comp_targetILNS1_3genE4ELNS1_11target_archE910ELNS1_3gpuE8ELNS1_3repE0EEENS1_30default_config_static_selectorELNS0_4arch9wavefront6targetE1EEEvT1_ ; -- Begin function _ZN7rocprim17ROCPRIM_400000_NS6detail17trampoline_kernelINS0_14default_configENS1_25partition_config_selectorILNS1_17partition_subalgoE0EsNS0_10empty_typeEbEEZZNS1_14partition_implILS5_0ELb0ES3_jN6thrust23THRUST_200600_302600_NS6detail15normal_iteratorINSA_10device_ptrIsEEEEPS6_SG_NS0_5tupleIJNSA_16discard_iteratorINSA_11use_defaultEEESK_EEENSH_IJSG_SG_EEES6_PlJ7is_evenIsEEEE10hipError_tPvRmT3_T4_T5_T6_T7_T9_mT8_P12ihipStream_tbDpT10_ENKUlT_T0_E_clISt17integral_constantIbLb0EES18_IbLb1EEEEDaS14_S15_EUlS14_E_NS1_11comp_targetILNS1_3genE4ELNS1_11target_archE910ELNS1_3gpuE8ELNS1_3repE0EEENS1_30default_config_static_selectorELNS0_4arch9wavefront6targetE1EEEvT1_
	.globl	_ZN7rocprim17ROCPRIM_400000_NS6detail17trampoline_kernelINS0_14default_configENS1_25partition_config_selectorILNS1_17partition_subalgoE0EsNS0_10empty_typeEbEEZZNS1_14partition_implILS5_0ELb0ES3_jN6thrust23THRUST_200600_302600_NS6detail15normal_iteratorINSA_10device_ptrIsEEEEPS6_SG_NS0_5tupleIJNSA_16discard_iteratorINSA_11use_defaultEEESK_EEENSH_IJSG_SG_EEES6_PlJ7is_evenIsEEEE10hipError_tPvRmT3_T4_T5_T6_T7_T9_mT8_P12ihipStream_tbDpT10_ENKUlT_T0_E_clISt17integral_constantIbLb0EES18_IbLb1EEEEDaS14_S15_EUlS14_E_NS1_11comp_targetILNS1_3genE4ELNS1_11target_archE910ELNS1_3gpuE8ELNS1_3repE0EEENS1_30default_config_static_selectorELNS0_4arch9wavefront6targetE1EEEvT1_
	.p2align	8
	.type	_ZN7rocprim17ROCPRIM_400000_NS6detail17trampoline_kernelINS0_14default_configENS1_25partition_config_selectorILNS1_17partition_subalgoE0EsNS0_10empty_typeEbEEZZNS1_14partition_implILS5_0ELb0ES3_jN6thrust23THRUST_200600_302600_NS6detail15normal_iteratorINSA_10device_ptrIsEEEEPS6_SG_NS0_5tupleIJNSA_16discard_iteratorINSA_11use_defaultEEESK_EEENSH_IJSG_SG_EEES6_PlJ7is_evenIsEEEE10hipError_tPvRmT3_T4_T5_T6_T7_T9_mT8_P12ihipStream_tbDpT10_ENKUlT_T0_E_clISt17integral_constantIbLb0EES18_IbLb1EEEEDaS14_S15_EUlS14_E_NS1_11comp_targetILNS1_3genE4ELNS1_11target_archE910ELNS1_3gpuE8ELNS1_3repE0EEENS1_30default_config_static_selectorELNS0_4arch9wavefront6targetE1EEEvT1_,@function
_ZN7rocprim17ROCPRIM_400000_NS6detail17trampoline_kernelINS0_14default_configENS1_25partition_config_selectorILNS1_17partition_subalgoE0EsNS0_10empty_typeEbEEZZNS1_14partition_implILS5_0ELb0ES3_jN6thrust23THRUST_200600_302600_NS6detail15normal_iteratorINSA_10device_ptrIsEEEEPS6_SG_NS0_5tupleIJNSA_16discard_iteratorINSA_11use_defaultEEESK_EEENSH_IJSG_SG_EEES6_PlJ7is_evenIsEEEE10hipError_tPvRmT3_T4_T5_T6_T7_T9_mT8_P12ihipStream_tbDpT10_ENKUlT_T0_E_clISt17integral_constantIbLb0EES18_IbLb1EEEEDaS14_S15_EUlS14_E_NS1_11comp_targetILNS1_3genE4ELNS1_11target_archE910ELNS1_3gpuE8ELNS1_3repE0EEENS1_30default_config_static_selectorELNS0_4arch9wavefront6targetE1EEEvT1_: ; @_ZN7rocprim17ROCPRIM_400000_NS6detail17trampoline_kernelINS0_14default_configENS1_25partition_config_selectorILNS1_17partition_subalgoE0EsNS0_10empty_typeEbEEZZNS1_14partition_implILS5_0ELb0ES3_jN6thrust23THRUST_200600_302600_NS6detail15normal_iteratorINSA_10device_ptrIsEEEEPS6_SG_NS0_5tupleIJNSA_16discard_iteratorINSA_11use_defaultEEESK_EEENSH_IJSG_SG_EEES6_PlJ7is_evenIsEEEE10hipError_tPvRmT3_T4_T5_T6_T7_T9_mT8_P12ihipStream_tbDpT10_ENKUlT_T0_E_clISt17integral_constantIbLb0EES18_IbLb1EEEEDaS14_S15_EUlS14_E_NS1_11comp_targetILNS1_3genE4ELNS1_11target_archE910ELNS1_3gpuE8ELNS1_3repE0EEENS1_30default_config_static_selectorELNS0_4arch9wavefront6targetE1EEEvT1_
; %bb.0:
	s_load_dwordx2 s[2:3], s[4:5], 0x68
	s_load_dwordx4 s[20:23], s[4:5], 0x58
	s_load_dwordx2 s[24:25], s[4:5], 0x78
	v_cmp_eq_u32_e64 s[0:1], 0, v0
	s_and_saveexec_b64 s[6:7], s[0:1]
	s_cbranch_execz .LBB2805_4
; %bb.1:
	s_mov_b64 s[10:11], exec
	v_mbcnt_lo_u32_b32 v1, s10, 0
	v_mbcnt_hi_u32_b32 v1, s11, v1
	v_cmp_eq_u32_e32 vcc, 0, v1
                                        ; implicit-def: $vgpr2
	s_and_saveexec_b64 s[8:9], vcc
	s_cbranch_execz .LBB2805_3
; %bb.2:
	s_load_dwordx2 s[12:13], s[4:5], 0x88
	s_bcnt1_i32_b64 s10, s[10:11]
	v_mov_b32_e32 v2, 0
	v_mov_b32_e32 v3, s10
	s_waitcnt lgkmcnt(0)
	global_atomic_add v2, v2, v3, s[12:13] glc
.LBB2805_3:
	s_or_b64 exec, exec, s[8:9]
	s_waitcnt vmcnt(0)
	v_readfirstlane_b32 s8, v2
	v_add_u32_e32 v1, s8, v1
	v_mov_b32_e32 v2, 0
	ds_write_b32 v2, v1
.LBB2805_4:
	s_or_b64 exec, exec, s[6:7]
	v_mov_b32_e32 v3, 0
	s_load_dwordx4 s[8:11], s[4:5], 0x8
	s_load_dword s6, s[4:5], 0x80
	s_waitcnt lgkmcnt(0)
	s_barrier
	ds_read_b32 v1, v3
	s_waitcnt lgkmcnt(0)
	s_barrier
	global_load_dwordx2 v[14:15], v3, s[22:23]
	v_mov_b32_e32 v5, s3
	s_lshl_b64 s[4:5], s[10:11], 1
	s_movk_i32 s3, 0x1c00
	s_add_u32 s4, s8, s4
	v_mul_lo_u32 v2, v1, s3
	s_mul_i32 s3, s6, 0x1c00
	s_addc_u32 s5, s9, s5
	s_add_i32 s7, s6, -1
	s_add_i32 s6, s3, s10
	s_sub_i32 s6, s2, s6
	v_mov_b32_e32 v4, s2
	s_add_u32 s2, s10, s3
	v_readfirstlane_b32 s30, v1
	s_addc_u32 s3, s11, 0
	s_cmp_eq_u32 s30, s7
	s_cselect_b64 s[18:19], -1, 0
	s_cmp_lg_u32 s30, s7
	v_cmp_lt_u64_e32 vcc, s[2:3], v[4:5]
	s_cselect_b64 s[2:3], -1, 0
	v_lshlrev_b64 v[2:3], 1, v[2:3]
	s_or_b64 s[2:3], vcc, s[2:3]
	v_mov_b32_e32 v1, s5
	v_add_co_u32_e32 v2, vcc, s4, v2
	v_addc_co_u32_e32 v3, vcc, v1, v3, vcc
	s_mov_b64 s[4:5], -1
	s_and_b64 vcc, exec, s[2:3]
	v_lshlrev_b32_e32 v1, 1, v0
	s_cbranch_vccz .LBB2805_6
; %bb.5:
	v_add_co_u32_e32 v4, vcc, v2, v1
	v_addc_co_u32_e32 v5, vcc, 0, v3, vcc
	v_add_co_u32_e32 v6, vcc, 0x1000, v4
	v_addc_co_u32_e32 v7, vcc, 0, v5, vcc
	flat_load_ushort v8, v[4:5]
	flat_load_ushort v9, v[4:5] offset:512
	flat_load_ushort v10, v[4:5] offset:1024
	;; [unrolled: 1-line block ×7, first 2 shown]
	flat_load_ushort v18, v[6:7]
	flat_load_ushort v19, v[6:7] offset:512
	flat_load_ushort v20, v[6:7] offset:1024
	;; [unrolled: 1-line block ×7, first 2 shown]
	v_add_co_u32_e32 v6, vcc, 0x2000, v4
	v_addc_co_u32_e32 v7, vcc, 0, v5, vcc
	v_add_co_u32_e32 v4, vcc, 0x3000, v4
	v_addc_co_u32_e32 v5, vcc, 0, v5, vcc
	flat_load_ushort v26, v[6:7]
	flat_load_ushort v27, v[6:7] offset:512
	flat_load_ushort v28, v[6:7] offset:1024
	;; [unrolled: 1-line block ×7, first 2 shown]
	s_nop 0
	flat_load_ushort v6, v[4:5]
	flat_load_ushort v7, v[4:5] offset:512
	flat_load_ushort v34, v[4:5] offset:1024
	;; [unrolled: 1-line block ×3, first 2 shown]
	s_mov_b64 s[4:5], 0
	s_waitcnt vmcnt(0) lgkmcnt(0)
	ds_write_b16 v1, v8
	ds_write_b16 v1, v9 offset:512
	ds_write_b16 v1, v10 offset:1024
	;; [unrolled: 1-line block ×27, first 2 shown]
	s_waitcnt lgkmcnt(0)
	s_barrier
.LBB2805_6:
	s_andn2_b64 vcc, exec, s[4:5]
	s_addk_i32 s6, 0x1c00
	s_cbranch_vccnz .LBB2805_64
; %bb.7:
	v_cmp_gt_u32_e32 vcc, s6, v0
                                        ; implicit-def: $vgpr4
	s_and_saveexec_b64 s[4:5], vcc
	s_cbranch_execz .LBB2805_9
; %bb.8:
	v_add_co_u32_e32 v4, vcc, v2, v1
	v_addc_co_u32_e32 v5, vcc, 0, v3, vcc
	flat_load_ushort v4, v[4:5]
.LBB2805_9:
	s_or_b64 exec, exec, s[4:5]
	v_or_b32_e32 v5, 0x100, v0
	v_cmp_gt_u32_e32 vcc, s6, v5
                                        ; implicit-def: $vgpr5
	s_and_saveexec_b64 s[4:5], vcc
	s_cbranch_execz .LBB2805_11
; %bb.10:
	v_add_co_u32_e32 v6, vcc, v2, v1
	v_addc_co_u32_e32 v7, vcc, 0, v3, vcc
	flat_load_ushort v5, v[6:7] offset:512
.LBB2805_11:
	s_or_b64 exec, exec, s[4:5]
	v_or_b32_e32 v6, 0x200, v0
	v_cmp_gt_u32_e32 vcc, s6, v6
                                        ; implicit-def: $vgpr6
	s_and_saveexec_b64 s[4:5], vcc
	s_cbranch_execz .LBB2805_13
; %bb.12:
	v_add_co_u32_e32 v6, vcc, v2, v1
	v_addc_co_u32_e32 v7, vcc, 0, v3, vcc
	flat_load_ushort v6, v[6:7] offset:1024
.LBB2805_13:
	s_or_b64 exec, exec, s[4:5]
	v_or_b32_e32 v7, 0x300, v0
	v_cmp_gt_u32_e32 vcc, s6, v7
                                        ; implicit-def: $vgpr7
	s_and_saveexec_b64 s[4:5], vcc
	s_cbranch_execz .LBB2805_15
; %bb.14:
	v_add_co_u32_e32 v8, vcc, v2, v1
	v_addc_co_u32_e32 v9, vcc, 0, v3, vcc
	flat_load_ushort v7, v[8:9] offset:1536
.LBB2805_15:
	s_or_b64 exec, exec, s[4:5]
	v_or_b32_e32 v8, 0x400, v0
	v_cmp_gt_u32_e32 vcc, s6, v8
                                        ; implicit-def: $vgpr8
	s_and_saveexec_b64 s[4:5], vcc
	s_cbranch_execz .LBB2805_17
; %bb.16:
	v_add_co_u32_e32 v8, vcc, v2, v1
	v_addc_co_u32_e32 v9, vcc, 0, v3, vcc
	flat_load_ushort v8, v[8:9] offset:2048
.LBB2805_17:
	s_or_b64 exec, exec, s[4:5]
	v_or_b32_e32 v9, 0x500, v0
	v_cmp_gt_u32_e32 vcc, s6, v9
                                        ; implicit-def: $vgpr9
	s_and_saveexec_b64 s[4:5], vcc
	s_cbranch_execz .LBB2805_19
; %bb.18:
	v_add_co_u32_e32 v10, vcc, v2, v1
	v_addc_co_u32_e32 v11, vcc, 0, v3, vcc
	flat_load_ushort v9, v[10:11] offset:2560
.LBB2805_19:
	s_or_b64 exec, exec, s[4:5]
	v_or_b32_e32 v10, 0x600, v0
	v_cmp_gt_u32_e32 vcc, s6, v10
                                        ; implicit-def: $vgpr10
	s_and_saveexec_b64 s[4:5], vcc
	s_cbranch_execz .LBB2805_21
; %bb.20:
	v_add_co_u32_e32 v10, vcc, v2, v1
	v_addc_co_u32_e32 v11, vcc, 0, v3, vcc
	flat_load_ushort v10, v[10:11] offset:3072
.LBB2805_21:
	s_or_b64 exec, exec, s[4:5]
	v_or_b32_e32 v11, 0x700, v0
	v_cmp_gt_u32_e32 vcc, s6, v11
                                        ; implicit-def: $vgpr11
	s_and_saveexec_b64 s[4:5], vcc
	s_cbranch_execz .LBB2805_23
; %bb.22:
	v_add_co_u32_e32 v12, vcc, v2, v1
	v_addc_co_u32_e32 v13, vcc, 0, v3, vcc
	flat_load_ushort v11, v[12:13] offset:3584
.LBB2805_23:
	s_or_b64 exec, exec, s[4:5]
	v_or_b32_e32 v13, 0x800, v0
	v_cmp_gt_u32_e32 vcc, s6, v13
                                        ; implicit-def: $vgpr12
	s_and_saveexec_b64 s[4:5], vcc
	s_cbranch_execz .LBB2805_25
; %bb.24:
	v_lshlrev_b32_e32 v12, 1, v13
	v_add_co_u32_e32 v12, vcc, v2, v12
	v_addc_co_u32_e32 v13, vcc, 0, v3, vcc
	flat_load_ushort v12, v[12:13]
.LBB2805_25:
	s_or_b64 exec, exec, s[4:5]
	v_or_b32_e32 v16, 0x900, v0
	v_cmp_gt_u32_e32 vcc, s6, v16
                                        ; implicit-def: $vgpr13
	s_and_saveexec_b64 s[4:5], vcc
	s_cbranch_execz .LBB2805_27
; %bb.26:
	v_lshlrev_b32_e32 v13, 1, v16
	v_add_co_u32_e32 v16, vcc, v2, v13
	v_addc_co_u32_e32 v17, vcc, 0, v3, vcc
	flat_load_ushort v13, v[16:17]
.LBB2805_27:
	s_or_b64 exec, exec, s[4:5]
	v_or_b32_e32 v17, 0xa00, v0
	v_cmp_gt_u32_e32 vcc, s6, v17
                                        ; implicit-def: $vgpr16
	s_and_saveexec_b64 s[4:5], vcc
	s_cbranch_execz .LBB2805_29
; %bb.28:
	v_lshlrev_b32_e32 v16, 1, v17
	v_add_co_u32_e32 v16, vcc, v2, v16
	v_addc_co_u32_e32 v17, vcc, 0, v3, vcc
	flat_load_ushort v16, v[16:17]
.LBB2805_29:
	s_or_b64 exec, exec, s[4:5]
	v_or_b32_e32 v18, 0xb00, v0
	v_cmp_gt_u32_e32 vcc, s6, v18
                                        ; implicit-def: $vgpr17
	s_and_saveexec_b64 s[4:5], vcc
	s_cbranch_execz .LBB2805_31
; %bb.30:
	v_lshlrev_b32_e32 v17, 1, v18
	v_add_co_u32_e32 v18, vcc, v2, v17
	v_addc_co_u32_e32 v19, vcc, 0, v3, vcc
	flat_load_ushort v17, v[18:19]
.LBB2805_31:
	s_or_b64 exec, exec, s[4:5]
	v_or_b32_e32 v19, 0xc00, v0
	v_cmp_gt_u32_e32 vcc, s6, v19
                                        ; implicit-def: $vgpr18
	s_and_saveexec_b64 s[4:5], vcc
	s_cbranch_execz .LBB2805_33
; %bb.32:
	v_lshlrev_b32_e32 v18, 1, v19
	v_add_co_u32_e32 v18, vcc, v2, v18
	v_addc_co_u32_e32 v19, vcc, 0, v3, vcc
	flat_load_ushort v18, v[18:19]
.LBB2805_33:
	s_or_b64 exec, exec, s[4:5]
	v_or_b32_e32 v20, 0xd00, v0
	v_cmp_gt_u32_e32 vcc, s6, v20
                                        ; implicit-def: $vgpr19
	s_and_saveexec_b64 s[4:5], vcc
	s_cbranch_execz .LBB2805_35
; %bb.34:
	v_lshlrev_b32_e32 v19, 1, v20
	v_add_co_u32_e32 v20, vcc, v2, v19
	v_addc_co_u32_e32 v21, vcc, 0, v3, vcc
	flat_load_ushort v19, v[20:21]
.LBB2805_35:
	s_or_b64 exec, exec, s[4:5]
	v_or_b32_e32 v21, 0xe00, v0
	v_cmp_gt_u32_e32 vcc, s6, v21
                                        ; implicit-def: $vgpr20
	s_and_saveexec_b64 s[4:5], vcc
	s_cbranch_execz .LBB2805_37
; %bb.36:
	v_lshlrev_b32_e32 v20, 1, v21
	v_add_co_u32_e32 v20, vcc, v2, v20
	v_addc_co_u32_e32 v21, vcc, 0, v3, vcc
	flat_load_ushort v20, v[20:21]
.LBB2805_37:
	s_or_b64 exec, exec, s[4:5]
	v_or_b32_e32 v22, 0xf00, v0
	v_cmp_gt_u32_e32 vcc, s6, v22
                                        ; implicit-def: $vgpr21
	s_and_saveexec_b64 s[4:5], vcc
	s_cbranch_execz .LBB2805_39
; %bb.38:
	v_lshlrev_b32_e32 v21, 1, v22
	v_add_co_u32_e32 v22, vcc, v2, v21
	v_addc_co_u32_e32 v23, vcc, 0, v3, vcc
	flat_load_ushort v21, v[22:23]
.LBB2805_39:
	s_or_b64 exec, exec, s[4:5]
	v_or_b32_e32 v23, 0x1000, v0
	v_cmp_gt_u32_e32 vcc, s6, v23
                                        ; implicit-def: $vgpr22
	s_and_saveexec_b64 s[4:5], vcc
	s_cbranch_execz .LBB2805_41
; %bb.40:
	v_lshlrev_b32_e32 v22, 1, v23
	v_add_co_u32_e32 v22, vcc, v2, v22
	v_addc_co_u32_e32 v23, vcc, 0, v3, vcc
	flat_load_ushort v22, v[22:23]
.LBB2805_41:
	s_or_b64 exec, exec, s[4:5]
	v_or_b32_e32 v24, 0x1100, v0
	v_cmp_gt_u32_e32 vcc, s6, v24
                                        ; implicit-def: $vgpr23
	s_and_saveexec_b64 s[4:5], vcc
	s_cbranch_execz .LBB2805_43
; %bb.42:
	v_lshlrev_b32_e32 v23, 1, v24
	v_add_co_u32_e32 v24, vcc, v2, v23
	v_addc_co_u32_e32 v25, vcc, 0, v3, vcc
	flat_load_ushort v23, v[24:25]
.LBB2805_43:
	s_or_b64 exec, exec, s[4:5]
	v_or_b32_e32 v25, 0x1200, v0
	v_cmp_gt_u32_e32 vcc, s6, v25
                                        ; implicit-def: $vgpr24
	s_and_saveexec_b64 s[4:5], vcc
	s_cbranch_execz .LBB2805_45
; %bb.44:
	v_lshlrev_b32_e32 v24, 1, v25
	v_add_co_u32_e32 v24, vcc, v2, v24
	v_addc_co_u32_e32 v25, vcc, 0, v3, vcc
	flat_load_ushort v24, v[24:25]
.LBB2805_45:
	s_or_b64 exec, exec, s[4:5]
	v_or_b32_e32 v26, 0x1300, v0
	v_cmp_gt_u32_e32 vcc, s6, v26
                                        ; implicit-def: $vgpr25
	s_and_saveexec_b64 s[4:5], vcc
	s_cbranch_execz .LBB2805_47
; %bb.46:
	v_lshlrev_b32_e32 v25, 1, v26
	v_add_co_u32_e32 v26, vcc, v2, v25
	v_addc_co_u32_e32 v27, vcc, 0, v3, vcc
	flat_load_ushort v25, v[26:27]
.LBB2805_47:
	s_or_b64 exec, exec, s[4:5]
	v_or_b32_e32 v27, 0x1400, v0
	v_cmp_gt_u32_e32 vcc, s6, v27
                                        ; implicit-def: $vgpr26
	s_and_saveexec_b64 s[4:5], vcc
	s_cbranch_execz .LBB2805_49
; %bb.48:
	v_lshlrev_b32_e32 v26, 1, v27
	v_add_co_u32_e32 v26, vcc, v2, v26
	v_addc_co_u32_e32 v27, vcc, 0, v3, vcc
	flat_load_ushort v26, v[26:27]
.LBB2805_49:
	s_or_b64 exec, exec, s[4:5]
	v_or_b32_e32 v28, 0x1500, v0
	v_cmp_gt_u32_e32 vcc, s6, v28
                                        ; implicit-def: $vgpr27
	s_and_saveexec_b64 s[4:5], vcc
	s_cbranch_execz .LBB2805_51
; %bb.50:
	v_lshlrev_b32_e32 v27, 1, v28
	v_add_co_u32_e32 v28, vcc, v2, v27
	v_addc_co_u32_e32 v29, vcc, 0, v3, vcc
	flat_load_ushort v27, v[28:29]
.LBB2805_51:
	s_or_b64 exec, exec, s[4:5]
	v_or_b32_e32 v29, 0x1600, v0
	v_cmp_gt_u32_e32 vcc, s6, v29
                                        ; implicit-def: $vgpr28
	s_and_saveexec_b64 s[4:5], vcc
	s_cbranch_execz .LBB2805_53
; %bb.52:
	v_lshlrev_b32_e32 v28, 1, v29
	v_add_co_u32_e32 v28, vcc, v2, v28
	v_addc_co_u32_e32 v29, vcc, 0, v3, vcc
	flat_load_ushort v28, v[28:29]
.LBB2805_53:
	s_or_b64 exec, exec, s[4:5]
	v_or_b32_e32 v30, 0x1700, v0
	v_cmp_gt_u32_e32 vcc, s6, v30
                                        ; implicit-def: $vgpr29
	s_and_saveexec_b64 s[4:5], vcc
	s_cbranch_execz .LBB2805_55
; %bb.54:
	v_lshlrev_b32_e32 v29, 1, v30
	v_add_co_u32_e32 v30, vcc, v2, v29
	v_addc_co_u32_e32 v31, vcc, 0, v3, vcc
	flat_load_ushort v29, v[30:31]
.LBB2805_55:
	s_or_b64 exec, exec, s[4:5]
	v_or_b32_e32 v31, 0x1800, v0
	v_cmp_gt_u32_e32 vcc, s6, v31
                                        ; implicit-def: $vgpr30
	s_and_saveexec_b64 s[4:5], vcc
	s_cbranch_execz .LBB2805_57
; %bb.56:
	v_lshlrev_b32_e32 v30, 1, v31
	v_add_co_u32_e32 v30, vcc, v2, v30
	v_addc_co_u32_e32 v31, vcc, 0, v3, vcc
	flat_load_ushort v30, v[30:31]
.LBB2805_57:
	s_or_b64 exec, exec, s[4:5]
	v_or_b32_e32 v32, 0x1900, v0
	v_cmp_gt_u32_e32 vcc, s6, v32
                                        ; implicit-def: $vgpr31
	s_and_saveexec_b64 s[4:5], vcc
	s_cbranch_execz .LBB2805_59
; %bb.58:
	v_lshlrev_b32_e32 v31, 1, v32
	v_add_co_u32_e32 v32, vcc, v2, v31
	v_addc_co_u32_e32 v33, vcc, 0, v3, vcc
	flat_load_ushort v31, v[32:33]
.LBB2805_59:
	s_or_b64 exec, exec, s[4:5]
	v_or_b32_e32 v33, 0x1a00, v0
	v_cmp_gt_u32_e32 vcc, s6, v33
                                        ; implicit-def: $vgpr32
	s_and_saveexec_b64 s[4:5], vcc
	s_cbranch_execz .LBB2805_61
; %bb.60:
	v_lshlrev_b32_e32 v32, 1, v33
	v_add_co_u32_e32 v32, vcc, v2, v32
	v_addc_co_u32_e32 v33, vcc, 0, v3, vcc
	flat_load_ushort v32, v[32:33]
.LBB2805_61:
	s_or_b64 exec, exec, s[4:5]
	v_or_b32_e32 v34, 0x1b00, v0
	v_cmp_gt_u32_e32 vcc, s6, v34
                                        ; implicit-def: $vgpr33
	s_and_saveexec_b64 s[4:5], vcc
	s_cbranch_execz .LBB2805_63
; %bb.62:
	v_lshlrev_b32_e32 v33, 1, v34
	v_add_co_u32_e32 v2, vcc, v2, v33
	v_addc_co_u32_e32 v3, vcc, 0, v3, vcc
	flat_load_ushort v33, v[2:3]
.LBB2805_63:
	s_or_b64 exec, exec, s[4:5]
	s_waitcnt vmcnt(0) lgkmcnt(0)
	ds_write_b16 v1, v4
	ds_write_b16 v1, v5 offset:512
	ds_write_b16 v1, v6 offset:1024
	;; [unrolled: 1-line block ×27, first 2 shown]
	s_waitcnt lgkmcnt(0)
	s_barrier
.LBB2805_64:
	v_mul_u32_u24_e32 v40, 28, v0
	v_lshlrev_b32_e32 v6, 1, v40
	ds_read_b64 v[16:17], v6 offset:48
	ds_read2_b64 v[2:5], v6 offset0:4 offset1:5
	ds_read2_b64 v[10:13], v6 offset1:1
	ds_read2_b64 v[6:9], v6 offset0:2 offset1:3
	s_andn2_b64 vcc, exec, s[2:3]
	s_waitcnt lgkmcnt(3)
	v_lshrrev_b32_e32 v28, 16, v16
	v_lshrrev_b32_e32 v1, 16, v17
	s_waitcnt lgkmcnt(2)
	v_lshrrev_b32_e32 v32, 16, v2
	v_lshrrev_b32_e32 v31, 16, v3
	v_lshrrev_b32_e32 v30, 16, v4
	v_lshrrev_b32_e32 v29, 16, v5
	s_waitcnt lgkmcnt(1)
	v_lshrrev_b32_e32 v41, 16, v10
	v_lshrrev_b32_e32 v39, 16, v11
	;; [unrolled: 5-line block ×3, first 2 shown]
	v_lshrrev_b32_e32 v34, 16, v8
	v_lshrrev_b32_e32 v33, 16, v9
	v_xor_b32_e32 v87, -1, v10
	v_xor_b32_e32 v86, -1, v41
	;; [unrolled: 1-line block ×28, first 2 shown]
	s_barrier
	s_cbranch_vccnz .LBB2805_66
; %bb.65:
	v_and_b32_e32 v69, 1, v87
	v_and_b32_e32 v68, 1, v86
	;; [unrolled: 1-line block ×28, first 2 shown]
	s_cbranch_execz .LBB2805_67
	s_branch .LBB2805_68
.LBB2805_66:
                                        ; implicit-def: $vgpr69
                                        ; implicit-def: $vgpr68
                                        ; implicit-def: $vgpr67
                                        ; implicit-def: $vgpr66
                                        ; implicit-def: $vgpr65
                                        ; implicit-def: $vgpr64
                                        ; implicit-def: $vgpr63
                                        ; implicit-def: $vgpr62
                                        ; implicit-def: $vgpr61
                                        ; implicit-def: $vgpr60
                                        ; implicit-def: $vgpr59
                                        ; implicit-def: $vgpr58
                                        ; implicit-def: $vgpr57
                                        ; implicit-def: $vgpr56
                                        ; implicit-def: $vgpr55
                                        ; implicit-def: $vgpr54
                                        ; implicit-def: $vgpr53
                                        ; implicit-def: $vgpr52
                                        ; implicit-def: $vgpr51
                                        ; implicit-def: $vgpr50
                                        ; implicit-def: $vgpr49
                                        ; implicit-def: $vgpr48
                                        ; implicit-def: $vgpr47
                                        ; implicit-def: $vgpr46
                                        ; implicit-def: $vgpr45
                                        ; implicit-def: $vgpr44
                                        ; implicit-def: $vgpr42
                                        ; implicit-def: $vgpr43
.LBB2805_67:
	v_or_b32_e32 v51, 1, v40
	v_cmp_gt_u32_e32 vcc, s6, v40
	v_or_b32_e32 v52, 2, v40
	v_cndmask_b32_e64 v60, 0, 1, vcc
	v_cmp_gt_u32_e32 vcc, s6, v51
	v_or_b32_e32 v53, 3, v40
	v_cndmask_b32_e64 v51, 0, 1, vcc
	v_cmp_gt_u32_e32 vcc, s6, v52
	v_add_u32_e32 v54, 4, v40
	v_and_b32_e32 v68, v51, v86
	v_cndmask_b32_e64 v51, 0, 1, vcc
	v_cmp_gt_u32_e32 vcc, s6, v53
	v_add_u32_e32 v55, 5, v40
	v_and_b32_e32 v67, v51, v85
	;; [unrolled: 4-line block ×9, first 2 shown]
	v_and_b32_e32 v60, v51, v78
	v_cndmask_b32_e64 v51, 0, 1, vcc
	v_cmp_gt_u32_e32 vcc, s6, v89
	v_add_u32_e32 v91, 13, v40
	v_and_b32_e32 v59, v51, v77
	v_cndmask_b32_e64 v51, 0, 1, vcc
	v_cmp_gt_u32_e32 vcc, s6, v90
	v_add_u32_e32 v92, 14, v40
	;; [unrolled: 4-line block ×15, first 2 shown]
	v_and_b32_e32 v45, v22, v21
	v_cndmask_b32_e64 v21, 0, 1, vcc
	v_cmp_gt_u32_e32 vcc, s6, v42
	v_and_b32_e32 v44, v21, v20
	v_cndmask_b32_e64 v20, 0, 1, vcc
	v_cmp_gt_u32_e32 vcc, s6, v43
	v_and_b32_e32 v42, v20, v19
	v_cndmask_b32_e64 v19, 0, 1, vcc
	v_and_b32_e32 v43, v19, v18
.LBB2805_68:
	v_and_b32_e32 v94, 0xff, v45
	v_and_b32_e32 v95, 0xff, v44
	v_add_u32_sdwa v18, v42, v43 dst_sel:DWORD dst_unused:UNUSED_PAD src0_sel:BYTE_0 src1_sel:BYTE_0
	v_and_b32_e32 v92, 0xff, v47
	v_and_b32_e32 v93, 0xff, v46
	v_add3_u32 v18, v18, v95, v94
	v_and_b32_e32 v90, 0xff, v49
	v_and_b32_e32 v91, 0xff, v48
	v_add3_u32 v18, v18, v93, v92
	;; [unrolled: 3-line block ×12, first 2 shown]
	v_add3_u32 v98, v18, v71, v70
	v_mbcnt_lo_u32_b32 v18, -1, 0
	v_mbcnt_hi_u32_b32 v96, -1, v18
	v_and_b32_e32 v18, 15, v96
	v_cmp_eq_u32_e64 s[14:15], 0, v18
	v_cmp_lt_u32_e64 s[12:13], 1, v18
	v_cmp_lt_u32_e64 s[10:11], 3, v18
	v_cmp_lt_u32_e64 s[8:9], 7, v18
	v_and_b32_e32 v18, 16, v96
	v_cmp_eq_u32_e64 s[6:7], 0, v18
	v_or_b32_e32 v18, 63, v0
	s_cmp_lg_u32 s30, 0
	v_cmp_lt_u32_e64 s[2:3], 31, v96
	v_lshrrev_b32_e32 v97, 6, v0
	v_cmp_eq_u32_e64 s[4:5], v18, v0
	s_cbranch_scc0 .LBB2805_95
; %bb.69:
	v_mov_b32_dpp v18, v98 row_shr:1 row_mask:0xf bank_mask:0xf
	v_cndmask_b32_e64 v18, v18, 0, s[14:15]
	v_add_u32_e32 v18, v18, v98
	s_nop 1
	v_mov_b32_dpp v19, v18 row_shr:2 row_mask:0xf bank_mask:0xf
	v_cndmask_b32_e64 v19, 0, v19, s[12:13]
	v_add_u32_e32 v18, v18, v19
	s_nop 1
	;; [unrolled: 4-line block ×4, first 2 shown]
	v_mov_b32_dpp v19, v18 row_bcast:15 row_mask:0xf bank_mask:0xf
	v_cndmask_b32_e64 v19, v19, 0, s[6:7]
	v_add_u32_e32 v18, v18, v19
	s_nop 1
	v_mov_b32_dpp v19, v18 row_bcast:31 row_mask:0xf bank_mask:0xf
	v_cndmask_b32_e64 v19, 0, v19, s[2:3]
	v_add_u32_e32 v18, v18, v19
	s_and_saveexec_b64 s[16:17], s[4:5]
	s_cbranch_execz .LBB2805_71
; %bb.70:
	v_lshlrev_b32_e32 v19, 2, v97
	ds_write_b32 v19, v18
.LBB2805_71:
	s_or_b64 exec, exec, s[16:17]
	v_cmp_gt_u32_e32 vcc, 4, v0
	s_waitcnt lgkmcnt(0)
	s_barrier
	s_and_saveexec_b64 s[16:17], vcc
	s_cbranch_execz .LBB2805_73
; %bb.72:
	v_lshlrev_b32_e32 v19, 2, v0
	ds_read_b32 v20, v19
	v_and_b32_e32 v21, 3, v96
	v_cmp_ne_u32_e32 vcc, 0, v21
	s_waitcnt lgkmcnt(0)
	v_mov_b32_dpp v22, v20 row_shr:1 row_mask:0xf bank_mask:0xf
	v_cndmask_b32_e32 v22, 0, v22, vcc
	v_add_u32_e32 v20, v22, v20
	v_cmp_lt_u32_e32 vcc, 1, v21
	s_nop 0
	v_mov_b32_dpp v22, v20 row_shr:2 row_mask:0xf bank_mask:0xf
	v_cndmask_b32_e32 v21, 0, v22, vcc
	v_add_u32_e32 v20, v20, v21
	ds_write_b32 v19, v20
.LBB2805_73:
	s_or_b64 exec, exec, s[16:17]
	v_cmp_gt_u32_e32 vcc, 64, v0
	v_cmp_lt_u32_e64 s[16:17], 63, v0
	s_waitcnt lgkmcnt(0)
	s_barrier
	s_waitcnt lgkmcnt(0)
                                        ; implicit-def: $vgpr99
	s_and_saveexec_b64 s[22:23], s[16:17]
	s_cbranch_execz .LBB2805_75
; %bb.74:
	v_lshl_add_u32 v19, v97, 2, -4
	ds_read_b32 v99, v19
	s_waitcnt lgkmcnt(0)
	v_add_u32_e32 v18, v99, v18
.LBB2805_75:
	s_or_b64 exec, exec, s[22:23]
	v_add_u32_e32 v19, -1, v96
	v_and_b32_e32 v20, 64, v96
	v_cmp_lt_i32_e64 s[16:17], v19, v20
	v_cndmask_b32_e64 v19, v19, v96, s[16:17]
	v_lshlrev_b32_e32 v19, 2, v19
	ds_bpermute_b32 v100, v19, v18
	v_cmp_eq_u32_e64 s[16:17], 0, v96
	s_and_saveexec_b64 s[22:23], vcc
	s_cbranch_execz .LBB2805_94
; %bb.76:
	v_mov_b32_e32 v25, 0
	ds_read_b32 v18, v25 offset:12
	s_and_saveexec_b64 s[26:27], s[16:17]
	s_cbranch_execz .LBB2805_78
; %bb.77:
	s_add_i32 s28, s30, 64
	s_mov_b32 s29, 0
	s_lshl_b64 s[28:29], s[28:29], 3
	s_add_u32 s28, s24, s28
	v_mov_b32_e32 v19, 1
	s_addc_u32 s29, s25, s29
	s_waitcnt lgkmcnt(0)
	global_store_dwordx2 v25, v[18:19], s[28:29]
.LBB2805_78:
	s_or_b64 exec, exec, s[26:27]
	v_xad_u32 v20, v96, -1, s30
	v_add_u32_e32 v24, 64, v20
	v_lshlrev_b64 v[22:23], 3, v[24:25]
	v_mov_b32_e32 v19, s25
	v_add_co_u32_e32 v26, vcc, s24, v22
	v_addc_co_u32_e32 v27, vcc, v19, v23, vcc
	global_load_dwordx2 v[22:23], v[26:27], off glc
	s_waitcnt vmcnt(0)
	v_cmp_eq_u16_sdwa s[28:29], v23, v25 src0_sel:BYTE_0 src1_sel:DWORD
	s_and_saveexec_b64 s[26:27], s[28:29]
	s_cbranch_execz .LBB2805_82
; %bb.79:
	s_mov_b64 s[28:29], 0
	v_mov_b32_e32 v19, 0
.LBB2805_80:                            ; =>This Inner Loop Header: Depth=1
	global_load_dwordx2 v[22:23], v[26:27], off glc
	s_waitcnt vmcnt(0)
	v_cmp_ne_u16_sdwa s[34:35], v23, v19 src0_sel:BYTE_0 src1_sel:DWORD
	s_or_b64 s[28:29], s[34:35], s[28:29]
	s_andn2_b64 exec, exec, s[28:29]
	s_cbranch_execnz .LBB2805_80
; %bb.81:
	s_or_b64 exec, exec, s[28:29]
.LBB2805_82:
	s_or_b64 exec, exec, s[26:27]
	v_and_b32_e32 v102, 63, v96
	v_mov_b32_e32 v101, 2
	v_cmp_ne_u32_e32 vcc, 63, v102
	v_cmp_eq_u16_sdwa s[26:27], v23, v101 src0_sel:BYTE_0 src1_sel:DWORD
	v_lshlrev_b64 v[24:25], v96, -1
	v_addc_co_u32_e32 v26, vcc, 0, v96, vcc
	v_and_b32_e32 v19, s27, v25
	v_lshlrev_b32_e32 v103, 2, v26
	v_or_b32_e32 v19, 0x80000000, v19
	ds_bpermute_b32 v26, v103, v22
	v_and_b32_e32 v21, s26, v24
	v_ffbl_b32_e32 v19, v19
	v_add_u32_e32 v19, 32, v19
	v_ffbl_b32_e32 v21, v21
	v_min_u32_e32 v19, v21, v19
	v_cmp_lt_u32_e32 vcc, v102, v19
	s_waitcnt lgkmcnt(0)
	v_cndmask_b32_e32 v21, 0, v26, vcc
	v_cmp_gt_u32_e32 vcc, 62, v102
	v_add_u32_e32 v21, v21, v22
	v_cndmask_b32_e64 v22, 0, 1, vcc
	v_lshlrev_b32_e32 v22, 1, v22
	v_add_lshl_u32 v104, v22, v96, 2
	ds_bpermute_b32 v22, v104, v21
	v_add_u32_e32 v105, 2, v102
	v_cmp_le_u32_e32 vcc, v105, v19
	v_add_u32_e32 v107, 4, v102
	v_add_u32_e32 v109, 8, v102
	s_waitcnt lgkmcnt(0)
	v_cndmask_b32_e32 v22, 0, v22, vcc
	v_cmp_gt_u32_e32 vcc, 60, v102
	v_add_u32_e32 v21, v21, v22
	v_cndmask_b32_e64 v22, 0, 1, vcc
	v_lshlrev_b32_e32 v22, 2, v22
	v_add_lshl_u32 v106, v22, v96, 2
	ds_bpermute_b32 v22, v106, v21
	v_cmp_le_u32_e32 vcc, v107, v19
	v_add_u32_e32 v111, 16, v102
	v_add_u32_e32 v113, 32, v102
	s_waitcnt lgkmcnt(0)
	v_cndmask_b32_e32 v22, 0, v22, vcc
	v_cmp_gt_u32_e32 vcc, 56, v102
	v_add_u32_e32 v21, v21, v22
	v_cndmask_b32_e64 v22, 0, 1, vcc
	v_lshlrev_b32_e32 v22, 3, v22
	v_add_lshl_u32 v108, v22, v96, 2
	ds_bpermute_b32 v22, v108, v21
	v_cmp_le_u32_e32 vcc, v109, v19
	s_waitcnt lgkmcnt(0)
	v_cndmask_b32_e32 v22, 0, v22, vcc
	v_cmp_gt_u32_e32 vcc, 48, v102
	v_add_u32_e32 v21, v21, v22
	v_cndmask_b32_e64 v22, 0, 1, vcc
	v_lshlrev_b32_e32 v22, 4, v22
	v_add_lshl_u32 v110, v22, v96, 2
	ds_bpermute_b32 v22, v110, v21
	v_cmp_le_u32_e32 vcc, v111, v19
	;; [unrolled: 9-line block ×3, first 2 shown]
	s_waitcnt lgkmcnt(0)
	v_cndmask_b32_e32 v19, 0, v22, vcc
	v_add_u32_e32 v22, v21, v19
	v_mov_b32_e32 v21, 0
	s_branch .LBB2805_84
.LBB2805_83:                            ;   in Loop: Header=BB2805_84 Depth=1
	s_or_b64 exec, exec, s[26:27]
	v_cmp_eq_u16_sdwa s[26:27], v23, v101 src0_sel:BYTE_0 src1_sel:DWORD
	v_and_b32_e32 v26, s27, v25
	v_or_b32_e32 v26, 0x80000000, v26
	ds_bpermute_b32 v114, v103, v22
	v_and_b32_e32 v27, s26, v24
	v_ffbl_b32_e32 v26, v26
	v_add_u32_e32 v26, 32, v26
	v_ffbl_b32_e32 v27, v27
	v_min_u32_e32 v26, v27, v26
	v_cmp_lt_u32_e32 vcc, v102, v26
	s_waitcnt lgkmcnt(0)
	v_cndmask_b32_e32 v27, 0, v114, vcc
	v_add_u32_e32 v22, v27, v22
	ds_bpermute_b32 v27, v104, v22
	v_cmp_le_u32_e32 vcc, v105, v26
	v_subrev_u32_e32 v20, 64, v20
	s_waitcnt lgkmcnt(0)
	v_cndmask_b32_e32 v27, 0, v27, vcc
	v_add_u32_e32 v22, v22, v27
	ds_bpermute_b32 v27, v106, v22
	v_cmp_le_u32_e32 vcc, v107, v26
	s_waitcnt lgkmcnt(0)
	v_cndmask_b32_e32 v27, 0, v27, vcc
	v_add_u32_e32 v22, v22, v27
	ds_bpermute_b32 v27, v108, v22
	v_cmp_le_u32_e32 vcc, v109, v26
	;; [unrolled: 5-line block ×4, first 2 shown]
	s_waitcnt lgkmcnt(0)
	v_cndmask_b32_e32 v26, 0, v27, vcc
	v_add3_u32 v22, v26, v19, v22
.LBB2805_84:                            ; =>This Loop Header: Depth=1
                                        ;     Child Loop BB2805_87 Depth 2
	v_cmp_ne_u16_sdwa s[26:27], v23, v101 src0_sel:BYTE_0 src1_sel:DWORD
	v_cndmask_b32_e64 v19, 0, 1, s[26:27]
	;;#ASMSTART
	;;#ASMEND
	v_cmp_ne_u32_e32 vcc, 0, v19
	s_cmp_lg_u64 vcc, exec
	v_mov_b32_e32 v19, v22
	s_cbranch_scc1 .LBB2805_89
; %bb.85:                               ;   in Loop: Header=BB2805_84 Depth=1
	v_lshlrev_b64 v[22:23], 3, v[20:21]
	v_mov_b32_e32 v27, s25
	v_add_co_u32_e32 v26, vcc, s24, v22
	v_addc_co_u32_e32 v27, vcc, v27, v23, vcc
	global_load_dwordx2 v[22:23], v[26:27], off glc
	s_waitcnt vmcnt(0)
	v_cmp_eq_u16_sdwa s[28:29], v23, v21 src0_sel:BYTE_0 src1_sel:DWORD
	s_and_saveexec_b64 s[26:27], s[28:29]
	s_cbranch_execz .LBB2805_83
; %bb.86:                               ;   in Loop: Header=BB2805_84 Depth=1
	s_mov_b64 s[28:29], 0
.LBB2805_87:                            ;   Parent Loop BB2805_84 Depth=1
                                        ; =>  This Inner Loop Header: Depth=2
	global_load_dwordx2 v[22:23], v[26:27], off glc
	s_waitcnt vmcnt(0)
	v_cmp_ne_u16_sdwa s[34:35], v23, v21 src0_sel:BYTE_0 src1_sel:DWORD
	s_or_b64 s[28:29], s[34:35], s[28:29]
	s_andn2_b64 exec, exec, s[28:29]
	s_cbranch_execnz .LBB2805_87
; %bb.88:                               ;   in Loop: Header=BB2805_84 Depth=1
	s_or_b64 exec, exec, s[28:29]
	s_branch .LBB2805_83
.LBB2805_89:                            ;   in Loop: Header=BB2805_84 Depth=1
                                        ; implicit-def: $vgpr22
                                        ; implicit-def: $vgpr23
	s_cbranch_execz .LBB2805_84
; %bb.90:
	s_and_saveexec_b64 s[26:27], s[16:17]
	s_cbranch_execz .LBB2805_92
; %bb.91:
	s_add_i32 s28, s30, 64
	s_mov_b32 s29, 0
	s_lshl_b64 s[28:29], s[28:29], 3
	s_add_u32 s28, s24, s28
	v_add_u32_e32 v20, v19, v18
	v_mov_b32_e32 v21, 2
	s_addc_u32 s29, s25, s29
	v_mov_b32_e32 v22, 0
	global_store_dwordx2 v22, v[20:21], s[28:29]
	ds_write_b64 v22, v[18:19] offset:14336
.LBB2805_92:
	s_or_b64 exec, exec, s[26:27]
	s_and_b64 exec, exec, s[0:1]
	s_cbranch_execz .LBB2805_94
; %bb.93:
	v_mov_b32_e32 v18, 0
	ds_write_b32 v18, v19 offset:12
.LBB2805_94:
	s_or_b64 exec, exec, s[22:23]
	v_mov_b32_e32 v18, 0
	s_waitcnt lgkmcnt(0)
	s_barrier
	ds_read_b32 v20, v18 offset:12
	s_waitcnt lgkmcnt(0)
	s_barrier
	ds_read_b64 v[18:19], v18 offset:14336
	v_cndmask_b32_e64 v21, v100, v99, s[16:17]
	v_cndmask_b32_e64 v21, v21, 0, s[0:1]
	v_add_u32_e32 v20, v20, v21
	s_branch .LBB2805_105
.LBB2805_95:
                                        ; implicit-def: $vgpr19
                                        ; implicit-def: $vgpr20
	s_cbranch_execz .LBB2805_105
; %bb.96:
	s_waitcnt lgkmcnt(0)
	v_mov_b32_dpp v18, v98 row_shr:1 row_mask:0xf bank_mask:0xf
	v_cndmask_b32_e64 v18, v18, 0, s[14:15]
	v_add_u32_e32 v18, v18, v98
	s_nop 1
	v_mov_b32_dpp v19, v18 row_shr:2 row_mask:0xf bank_mask:0xf
	v_cndmask_b32_e64 v19, 0, v19, s[12:13]
	v_add_u32_e32 v18, v18, v19
	s_nop 1
	;; [unrolled: 4-line block ×4, first 2 shown]
	v_mov_b32_dpp v19, v18 row_bcast:15 row_mask:0xf bank_mask:0xf
	v_cndmask_b32_e64 v19, v19, 0, s[6:7]
	v_add_u32_e32 v18, v18, v19
	s_nop 1
	v_mov_b32_dpp v19, v18 row_bcast:31 row_mask:0xf bank_mask:0xf
	v_cndmask_b32_e64 v19, 0, v19, s[2:3]
	v_add_u32_e32 v18, v18, v19
	s_and_saveexec_b64 s[2:3], s[4:5]
	s_cbranch_execz .LBB2805_98
; %bb.97:
	v_lshlrev_b32_e32 v19, 2, v97
	ds_write_b32 v19, v18
.LBB2805_98:
	s_or_b64 exec, exec, s[2:3]
	v_cmp_gt_u32_e32 vcc, 4, v0
	s_waitcnt lgkmcnt(0)
	s_barrier
	s_and_saveexec_b64 s[2:3], vcc
	s_cbranch_execz .LBB2805_100
; %bb.99:
	v_lshlrev_b32_e32 v19, 2, v0
	ds_read_b32 v20, v19
	v_and_b32_e32 v21, 3, v96
	v_cmp_ne_u32_e32 vcc, 0, v21
	s_waitcnt lgkmcnt(0)
	v_mov_b32_dpp v22, v20 row_shr:1 row_mask:0xf bank_mask:0xf
	v_cndmask_b32_e32 v22, 0, v22, vcc
	v_add_u32_e32 v20, v22, v20
	v_cmp_lt_u32_e32 vcc, 1, v21
	s_nop 0
	v_mov_b32_dpp v22, v20 row_shr:2 row_mask:0xf bank_mask:0xf
	v_cndmask_b32_e32 v21, 0, v22, vcc
	v_add_u32_e32 v20, v20, v21
	ds_write_b32 v19, v20
.LBB2805_100:
	s_or_b64 exec, exec, s[2:3]
	v_cmp_lt_u32_e32 vcc, 63, v0
	v_mov_b32_e32 v19, 0
	v_mov_b32_e32 v0, 0
	s_waitcnt lgkmcnt(0)
	s_barrier
	s_and_saveexec_b64 s[2:3], vcc
	s_cbranch_execz .LBB2805_102
; %bb.101:
	v_lshl_add_u32 v0, v97, 2, -4
	ds_read_b32 v0, v0
.LBB2805_102:
	s_or_b64 exec, exec, s[2:3]
	v_add_u32_e32 v20, -1, v96
	v_and_b32_e32 v21, 64, v96
	v_cmp_lt_i32_e32 vcc, v20, v21
	v_cndmask_b32_e32 v20, v20, v96, vcc
	s_waitcnt lgkmcnt(0)
	v_add_u32_e32 v18, v0, v18
	v_lshlrev_b32_e32 v20, 2, v20
	ds_bpermute_b32 v20, v20, v18
	ds_read_b32 v18, v19 offset:12
	s_and_saveexec_b64 s[2:3], s[0:1]
	s_cbranch_execz .LBB2805_104
; %bb.103:
	v_mov_b32_e32 v21, 0
	v_mov_b32_e32 v19, 2
	s_waitcnt lgkmcnt(0)
	global_store_dwordx2 v21, v[18:19], s[24:25] offset:512
.LBB2805_104:
	s_or_b64 exec, exec, s[2:3]
	v_cmp_eq_u32_e32 vcc, 0, v96
	s_waitcnt lgkmcnt(1)
	v_cndmask_b32_e32 v0, v20, v0, vcc
	v_mov_b32_e32 v19, 0
	v_cndmask_b32_e64 v20, v0, 0, s[0:1]
	s_waitcnt lgkmcnt(0)
	s_barrier
.LBB2805_105:
	v_add_u32_e32 v0, v20, v70
	v_add_u32_e32 v21, v0, v71
	;; [unrolled: 1-line block ×18, first 2 shown]
	s_waitcnt lgkmcnt(0)
	v_add_u32_e32 v40, v18, v40
	v_sub_u32_e32 v20, v20, v19
	v_and_b32_e32 v69, 1, v69
	v_add_u32_e32 v80, v79, v88
	v_sub_u32_e32 v88, v40, v20
	v_cmp_eq_u32_e32 vcc, 1, v69
	v_cndmask_b32_e32 v20, v88, v20, vcc
	v_lshlrev_b32_e32 v20, 1, v20
	v_sub_u32_e32 v0, v0, v19
	ds_write_b16 v20, v10
	v_sub_u32_e32 v10, v40, v0
	v_and_b32_e32 v20, 1, v68
	v_add_u32_e32 v10, 1, v10
	v_cmp_eq_u32_e32 vcc, 1, v20
	v_cndmask_b32_e32 v0, v10, v0, vcc
	v_lshlrev_b32_e32 v0, 1, v0
	ds_write_b16 v0, v41
	v_sub_u32_e32 v0, v21, v19
	v_sub_u32_e32 v10, v40, v0
	v_and_b32_e32 v20, 1, v67
	v_add_u32_e32 v10, 2, v10
	v_cmp_eq_u32_e32 vcc, 1, v20
	v_cndmask_b32_e32 v0, v10, v0, vcc
	v_lshlrev_b32_e32 v0, 1, v0
	ds_write_b16 v0, v11
	v_sub_u32_e32 v0, v22, v19
	v_sub_u32_e32 v10, v40, v0
	v_and_b32_e32 v11, 1, v66
	v_add_u32_e32 v10, 3, v10
	v_cmp_eq_u32_e32 vcc, 1, v11
	v_cndmask_b32_e32 v0, v10, v0, vcc
	v_lshlrev_b32_e32 v0, 1, v0
	ds_write_b16 v0, v39
	v_sub_u32_e32 v0, v23, v19
	v_sub_u32_e32 v10, v40, v0
	v_and_b32_e32 v11, 1, v65
	v_add_u32_e32 v10, 4, v10
	v_cmp_eq_u32_e32 vcc, 1, v11
	v_cndmask_b32_e32 v0, v10, v0, vcc
	v_lshlrev_b32_e32 v0, 1, v0
	ds_write_b16 v0, v12
	v_sub_u32_e32 v0, v24, v19
	v_sub_u32_e32 v10, v40, v0
	v_and_b32_e32 v11, 1, v64
	v_add_u32_e32 v10, 5, v10
	v_cmp_eq_u32_e32 vcc, 1, v11
	v_cndmask_b32_e32 v0, v10, v0, vcc
	v_lshlrev_b32_e32 v0, 1, v0
	ds_write_b16 v0, v38
	v_sub_u32_e32 v0, v25, v19
	v_sub_u32_e32 v10, v40, v0
	v_and_b32_e32 v11, 1, v63
	v_add_u32_e32 v10, 6, v10
	v_cmp_eq_u32_e32 vcc, 1, v11
	v_cndmask_b32_e32 v0, v10, v0, vcc
	v_lshlrev_b32_e32 v0, 1, v0
	ds_write_b16 v0, v13
	v_sub_u32_e32 v0, v26, v19
	v_sub_u32_e32 v10, v40, v0
	v_and_b32_e32 v11, 1, v62
	v_add_u32_e32 v10, 7, v10
	v_cmp_eq_u32_e32 vcc, 1, v11
	v_cndmask_b32_e32 v0, v10, v0, vcc
	v_lshlrev_b32_e32 v0, 1, v0
	ds_write_b16 v0, v37
	v_sub_u32_e32 v0, v27, v19
	v_sub_u32_e32 v10, v40, v0
	v_and_b32_e32 v11, 1, v61
	v_add_u32_e32 v10, 8, v10
	v_cmp_eq_u32_e32 vcc, 1, v11
	v_cndmask_b32_e32 v0, v10, v0, vcc
	v_lshlrev_b32_e32 v0, 1, v0
	ds_write_b16 v0, v6
	v_sub_u32_e32 v0, v70, v19
	v_sub_u32_e32 v6, v40, v0
	v_and_b32_e32 v10, 1, v60
	v_add_u32_e32 v6, 9, v6
	v_cmp_eq_u32_e32 vcc, 1, v10
	v_cndmask_b32_e32 v0, v6, v0, vcc
	v_lshlrev_b32_e32 v0, 1, v0
	ds_write_b16 v0, v36
	v_sub_u32_e32 v0, v71, v19
	v_sub_u32_e32 v6, v40, v0
	v_and_b32_e32 v10, 1, v59
	v_add_u32_e32 v6, 10, v6
	v_cmp_eq_u32_e32 vcc, 1, v10
	v_cndmask_b32_e32 v0, v6, v0, vcc
	v_lshlrev_b32_e32 v0, 1, v0
	ds_write_b16 v0, v7
	v_sub_u32_e32 v0, v72, v19
	v_sub_u32_e32 v6, v40, v0
	v_and_b32_e32 v7, 1, v58
	v_add_u32_e32 v6, 11, v6
	v_cmp_eq_u32_e32 vcc, 1, v7
	v_cndmask_b32_e32 v0, v6, v0, vcc
	v_lshlrev_b32_e32 v0, 1, v0
	ds_write_b16 v0, v35
	v_sub_u32_e32 v0, v73, v19
	v_sub_u32_e32 v6, v40, v0
	v_and_b32_e32 v7, 1, v57
	v_add_u32_e32 v6, 12, v6
	v_cmp_eq_u32_e32 vcc, 1, v7
	v_cndmask_b32_e32 v0, v6, v0, vcc
	v_lshlrev_b32_e32 v0, 1, v0
	ds_write_b16 v0, v8
	v_sub_u32_e32 v0, v74, v19
	v_sub_u32_e32 v6, v40, v0
	v_and_b32_e32 v7, 1, v56
	v_add_u32_e32 v6, 13, v6
	v_cmp_eq_u32_e32 vcc, 1, v7
	v_cndmask_b32_e32 v0, v6, v0, vcc
	v_lshlrev_b32_e32 v0, 1, v0
	ds_write_b16 v0, v34
	v_sub_u32_e32 v0, v75, v19
	v_sub_u32_e32 v6, v40, v0
	v_and_b32_e32 v7, 1, v55
	v_add_u32_e32 v6, 14, v6
	v_cmp_eq_u32_e32 vcc, 1, v7
	v_cndmask_b32_e32 v0, v6, v0, vcc
	v_lshlrev_b32_e32 v0, 1, v0
	ds_write_b16 v0, v9
	v_sub_u32_e32 v0, v76, v19
	v_sub_u32_e32 v6, v40, v0
	v_and_b32_e32 v7, 1, v54
	v_add_u32_e32 v6, 15, v6
	v_cmp_eq_u32_e32 vcc, 1, v7
	v_cndmask_b32_e32 v0, v6, v0, vcc
	v_lshlrev_b32_e32 v0, 1, v0
	ds_write_b16 v0, v33
	v_sub_u32_e32 v0, v77, v19
	v_sub_u32_e32 v6, v40, v0
	v_and_b32_e32 v7, 1, v53
	v_add_u32_e32 v6, 16, v6
	v_cmp_eq_u32_e32 vcc, 1, v7
	v_cndmask_b32_e32 v0, v6, v0, vcc
	v_lshlrev_b32_e32 v0, 1, v0
	ds_write_b16 v0, v2
	v_sub_u32_e32 v0, v78, v19
	v_sub_u32_e32 v2, v40, v0
	v_and_b32_e32 v6, 1, v52
	v_add_u32_e32 v2, 17, v2
	v_cmp_eq_u32_e32 vcc, 1, v6
	v_cndmask_b32_e32 v0, v2, v0, vcc
	v_lshlrev_b32_e32 v0, 1, v0
	ds_write_b16 v0, v32
	v_sub_u32_e32 v0, v79, v19
	v_sub_u32_e32 v2, v40, v0
	v_and_b32_e32 v6, 1, v51
	v_add_u32_e32 v2, 18, v2
	v_cmp_eq_u32_e32 vcc, 1, v6
	v_cndmask_b32_e32 v0, v2, v0, vcc
	v_lshlrev_b32_e32 v0, 1, v0
	ds_write_b16 v0, v3
	v_sub_u32_e32 v0, v80, v19
	v_sub_u32_e32 v2, v40, v0
	v_and_b32_e32 v3, 1, v50
	v_add_u32_e32 v2, 19, v2
	v_cmp_eq_u32_e32 vcc, 1, v3
	v_cndmask_b32_e32 v0, v2, v0, vcc
	v_add_u32_e32 v81, v80, v89
	v_lshlrev_b32_e32 v0, 1, v0
	ds_write_b16 v0, v31
	v_sub_u32_e32 v0, v81, v19
	v_sub_u32_e32 v2, v40, v0
	v_and_b32_e32 v3, 1, v49
	v_add_u32_e32 v2, 20, v2
	v_cmp_eq_u32_e32 vcc, 1, v3
	v_cndmask_b32_e32 v0, v2, v0, vcc
	v_add_u32_e32 v82, v81, v90
	v_lshlrev_b32_e32 v0, 1, v0
	ds_write_b16 v0, v4
	v_sub_u32_e32 v0, v82, v19
	;; [unrolled: 9-line block ×7, first 2 shown]
	v_sub_u32_e32 v2, v40, v0
	v_and_b32_e32 v3, 1, v42
	v_add_u32_e32 v2, 26, v2
	v_cmp_eq_u32_e32 vcc, 1, v3
	v_cndmask_b32_e32 v0, v2, v0, vcc
	v_lshlrev_b32_e32 v0, 1, v0
	ds_write_b16 v0, v17
	v_sub_u32_sdwa v0, v42, v19 dst_sel:DWORD dst_unused:UNUSED_PAD src0_sel:BYTE_0 src1_sel:DWORD
	v_add_u32_e32 v0, v87, v0
	v_sub_u32_e32 v2, v40, v0
	v_and_b32_e32 v3, 1, v43
	v_add_u32_e32 v2, 27, v2
	v_cmp_eq_u32_e32 vcc, 1, v3
	v_cndmask_b32_e32 v0, v2, v0, vcc
	v_lshlrev_b32_e32 v0, 1, v0
	s_and_b64 s[0:1], s[0:1], s[18:19]
	ds_write_b16 v0, v1
	s_waitcnt lgkmcnt(0)
	s_barrier
	s_and_saveexec_b64 s[2:3], s[0:1]
	s_cbranch_execz .LBB2805_107
; %bb.106:
	s_waitcnt vmcnt(0)
	v_add_co_u32_e32 v0, vcc, v14, v18
	v_addc_co_u32_e32 v1, vcc, 0, v15, vcc
	v_add_co_u32_e32 v0, vcc, v0, v19
	v_mov_b32_e32 v2, 0
	v_addc_co_u32_e32 v1, vcc, 0, v1, vcc
	global_store_dwordx2 v2, v[0:1], s[20:21]
.LBB2805_107:
	s_endpgm
	.section	.rodata,"a",@progbits
	.p2align	6, 0x0
	.amdhsa_kernel _ZN7rocprim17ROCPRIM_400000_NS6detail17trampoline_kernelINS0_14default_configENS1_25partition_config_selectorILNS1_17partition_subalgoE0EsNS0_10empty_typeEbEEZZNS1_14partition_implILS5_0ELb0ES3_jN6thrust23THRUST_200600_302600_NS6detail15normal_iteratorINSA_10device_ptrIsEEEEPS6_SG_NS0_5tupleIJNSA_16discard_iteratorINSA_11use_defaultEEESK_EEENSH_IJSG_SG_EEES6_PlJ7is_evenIsEEEE10hipError_tPvRmT3_T4_T5_T6_T7_T9_mT8_P12ihipStream_tbDpT10_ENKUlT_T0_E_clISt17integral_constantIbLb0EES18_IbLb1EEEEDaS14_S15_EUlS14_E_NS1_11comp_targetILNS1_3genE4ELNS1_11target_archE910ELNS1_3gpuE8ELNS1_3repE0EEENS1_30default_config_static_selectorELNS0_4arch9wavefront6targetE1EEEvT1_
		.amdhsa_group_segment_fixed_size 14344
		.amdhsa_private_segment_fixed_size 0
		.amdhsa_kernarg_size 152
		.amdhsa_user_sgpr_count 6
		.amdhsa_user_sgpr_private_segment_buffer 1
		.amdhsa_user_sgpr_dispatch_ptr 0
		.amdhsa_user_sgpr_queue_ptr 0
		.amdhsa_user_sgpr_kernarg_segment_ptr 1
		.amdhsa_user_sgpr_dispatch_id 0
		.amdhsa_user_sgpr_flat_scratch_init 0
		.amdhsa_user_sgpr_kernarg_preload_length 0
		.amdhsa_user_sgpr_kernarg_preload_offset 0
		.amdhsa_user_sgpr_private_segment_size 0
		.amdhsa_uses_dynamic_stack 0
		.amdhsa_system_sgpr_private_segment_wavefront_offset 0
		.amdhsa_system_sgpr_workgroup_id_x 1
		.amdhsa_system_sgpr_workgroup_id_y 0
		.amdhsa_system_sgpr_workgroup_id_z 0
		.amdhsa_system_sgpr_workgroup_info 0
		.amdhsa_system_vgpr_workitem_id 0
		.amdhsa_next_free_vgpr 115
		.amdhsa_next_free_sgpr 36
		.amdhsa_accum_offset 116
		.amdhsa_reserve_vcc 1
		.amdhsa_reserve_flat_scratch 0
		.amdhsa_float_round_mode_32 0
		.amdhsa_float_round_mode_16_64 0
		.amdhsa_float_denorm_mode_32 3
		.amdhsa_float_denorm_mode_16_64 3
		.amdhsa_dx10_clamp 1
		.amdhsa_ieee_mode 1
		.amdhsa_fp16_overflow 0
		.amdhsa_tg_split 0
		.amdhsa_exception_fp_ieee_invalid_op 0
		.amdhsa_exception_fp_denorm_src 0
		.amdhsa_exception_fp_ieee_div_zero 0
		.amdhsa_exception_fp_ieee_overflow 0
		.amdhsa_exception_fp_ieee_underflow 0
		.amdhsa_exception_fp_ieee_inexact 0
		.amdhsa_exception_int_div_zero 0
	.end_amdhsa_kernel
	.section	.text._ZN7rocprim17ROCPRIM_400000_NS6detail17trampoline_kernelINS0_14default_configENS1_25partition_config_selectorILNS1_17partition_subalgoE0EsNS0_10empty_typeEbEEZZNS1_14partition_implILS5_0ELb0ES3_jN6thrust23THRUST_200600_302600_NS6detail15normal_iteratorINSA_10device_ptrIsEEEEPS6_SG_NS0_5tupleIJNSA_16discard_iteratorINSA_11use_defaultEEESK_EEENSH_IJSG_SG_EEES6_PlJ7is_evenIsEEEE10hipError_tPvRmT3_T4_T5_T6_T7_T9_mT8_P12ihipStream_tbDpT10_ENKUlT_T0_E_clISt17integral_constantIbLb0EES18_IbLb1EEEEDaS14_S15_EUlS14_E_NS1_11comp_targetILNS1_3genE4ELNS1_11target_archE910ELNS1_3gpuE8ELNS1_3repE0EEENS1_30default_config_static_selectorELNS0_4arch9wavefront6targetE1EEEvT1_,"axG",@progbits,_ZN7rocprim17ROCPRIM_400000_NS6detail17trampoline_kernelINS0_14default_configENS1_25partition_config_selectorILNS1_17partition_subalgoE0EsNS0_10empty_typeEbEEZZNS1_14partition_implILS5_0ELb0ES3_jN6thrust23THRUST_200600_302600_NS6detail15normal_iteratorINSA_10device_ptrIsEEEEPS6_SG_NS0_5tupleIJNSA_16discard_iteratorINSA_11use_defaultEEESK_EEENSH_IJSG_SG_EEES6_PlJ7is_evenIsEEEE10hipError_tPvRmT3_T4_T5_T6_T7_T9_mT8_P12ihipStream_tbDpT10_ENKUlT_T0_E_clISt17integral_constantIbLb0EES18_IbLb1EEEEDaS14_S15_EUlS14_E_NS1_11comp_targetILNS1_3genE4ELNS1_11target_archE910ELNS1_3gpuE8ELNS1_3repE0EEENS1_30default_config_static_selectorELNS0_4arch9wavefront6targetE1EEEvT1_,comdat
.Lfunc_end2805:
	.size	_ZN7rocprim17ROCPRIM_400000_NS6detail17trampoline_kernelINS0_14default_configENS1_25partition_config_selectorILNS1_17partition_subalgoE0EsNS0_10empty_typeEbEEZZNS1_14partition_implILS5_0ELb0ES3_jN6thrust23THRUST_200600_302600_NS6detail15normal_iteratorINSA_10device_ptrIsEEEEPS6_SG_NS0_5tupleIJNSA_16discard_iteratorINSA_11use_defaultEEESK_EEENSH_IJSG_SG_EEES6_PlJ7is_evenIsEEEE10hipError_tPvRmT3_T4_T5_T6_T7_T9_mT8_P12ihipStream_tbDpT10_ENKUlT_T0_E_clISt17integral_constantIbLb0EES18_IbLb1EEEEDaS14_S15_EUlS14_E_NS1_11comp_targetILNS1_3genE4ELNS1_11target_archE910ELNS1_3gpuE8ELNS1_3repE0EEENS1_30default_config_static_selectorELNS0_4arch9wavefront6targetE1EEEvT1_, .Lfunc_end2805-_ZN7rocprim17ROCPRIM_400000_NS6detail17trampoline_kernelINS0_14default_configENS1_25partition_config_selectorILNS1_17partition_subalgoE0EsNS0_10empty_typeEbEEZZNS1_14partition_implILS5_0ELb0ES3_jN6thrust23THRUST_200600_302600_NS6detail15normal_iteratorINSA_10device_ptrIsEEEEPS6_SG_NS0_5tupleIJNSA_16discard_iteratorINSA_11use_defaultEEESK_EEENSH_IJSG_SG_EEES6_PlJ7is_evenIsEEEE10hipError_tPvRmT3_T4_T5_T6_T7_T9_mT8_P12ihipStream_tbDpT10_ENKUlT_T0_E_clISt17integral_constantIbLb0EES18_IbLb1EEEEDaS14_S15_EUlS14_E_NS1_11comp_targetILNS1_3genE4ELNS1_11target_archE910ELNS1_3gpuE8ELNS1_3repE0EEENS1_30default_config_static_selectorELNS0_4arch9wavefront6targetE1EEEvT1_
                                        ; -- End function
	.section	.AMDGPU.csdata,"",@progbits
; Kernel info:
; codeLenInByte = 6564
; NumSgprs: 40
; NumVgprs: 115
; NumAgprs: 0
; TotalNumVgprs: 115
; ScratchSize: 0
; MemoryBound: 0
; FloatMode: 240
; IeeeMode: 1
; LDSByteSize: 14344 bytes/workgroup (compile time only)
; SGPRBlocks: 4
; VGPRBlocks: 14
; NumSGPRsForWavesPerEU: 40
; NumVGPRsForWavesPerEU: 115
; AccumOffset: 116
; Occupancy: 4
; WaveLimiterHint : 1
; COMPUTE_PGM_RSRC2:SCRATCH_EN: 0
; COMPUTE_PGM_RSRC2:USER_SGPR: 6
; COMPUTE_PGM_RSRC2:TRAP_HANDLER: 0
; COMPUTE_PGM_RSRC2:TGID_X_EN: 1
; COMPUTE_PGM_RSRC2:TGID_Y_EN: 0
; COMPUTE_PGM_RSRC2:TGID_Z_EN: 0
; COMPUTE_PGM_RSRC2:TIDIG_COMP_CNT: 0
; COMPUTE_PGM_RSRC3_GFX90A:ACCUM_OFFSET: 28
; COMPUTE_PGM_RSRC3_GFX90A:TG_SPLIT: 0
	.section	.text._ZN7rocprim17ROCPRIM_400000_NS6detail17trampoline_kernelINS0_14default_configENS1_25partition_config_selectorILNS1_17partition_subalgoE0EsNS0_10empty_typeEbEEZZNS1_14partition_implILS5_0ELb0ES3_jN6thrust23THRUST_200600_302600_NS6detail15normal_iteratorINSA_10device_ptrIsEEEEPS6_SG_NS0_5tupleIJNSA_16discard_iteratorINSA_11use_defaultEEESK_EEENSH_IJSG_SG_EEES6_PlJ7is_evenIsEEEE10hipError_tPvRmT3_T4_T5_T6_T7_T9_mT8_P12ihipStream_tbDpT10_ENKUlT_T0_E_clISt17integral_constantIbLb0EES18_IbLb1EEEEDaS14_S15_EUlS14_E_NS1_11comp_targetILNS1_3genE3ELNS1_11target_archE908ELNS1_3gpuE7ELNS1_3repE0EEENS1_30default_config_static_selectorELNS0_4arch9wavefront6targetE1EEEvT1_,"axG",@progbits,_ZN7rocprim17ROCPRIM_400000_NS6detail17trampoline_kernelINS0_14default_configENS1_25partition_config_selectorILNS1_17partition_subalgoE0EsNS0_10empty_typeEbEEZZNS1_14partition_implILS5_0ELb0ES3_jN6thrust23THRUST_200600_302600_NS6detail15normal_iteratorINSA_10device_ptrIsEEEEPS6_SG_NS0_5tupleIJNSA_16discard_iteratorINSA_11use_defaultEEESK_EEENSH_IJSG_SG_EEES6_PlJ7is_evenIsEEEE10hipError_tPvRmT3_T4_T5_T6_T7_T9_mT8_P12ihipStream_tbDpT10_ENKUlT_T0_E_clISt17integral_constantIbLb0EES18_IbLb1EEEEDaS14_S15_EUlS14_E_NS1_11comp_targetILNS1_3genE3ELNS1_11target_archE908ELNS1_3gpuE7ELNS1_3repE0EEENS1_30default_config_static_selectorELNS0_4arch9wavefront6targetE1EEEvT1_,comdat
	.protected	_ZN7rocprim17ROCPRIM_400000_NS6detail17trampoline_kernelINS0_14default_configENS1_25partition_config_selectorILNS1_17partition_subalgoE0EsNS0_10empty_typeEbEEZZNS1_14partition_implILS5_0ELb0ES3_jN6thrust23THRUST_200600_302600_NS6detail15normal_iteratorINSA_10device_ptrIsEEEEPS6_SG_NS0_5tupleIJNSA_16discard_iteratorINSA_11use_defaultEEESK_EEENSH_IJSG_SG_EEES6_PlJ7is_evenIsEEEE10hipError_tPvRmT3_T4_T5_T6_T7_T9_mT8_P12ihipStream_tbDpT10_ENKUlT_T0_E_clISt17integral_constantIbLb0EES18_IbLb1EEEEDaS14_S15_EUlS14_E_NS1_11comp_targetILNS1_3genE3ELNS1_11target_archE908ELNS1_3gpuE7ELNS1_3repE0EEENS1_30default_config_static_selectorELNS0_4arch9wavefront6targetE1EEEvT1_ ; -- Begin function _ZN7rocprim17ROCPRIM_400000_NS6detail17trampoline_kernelINS0_14default_configENS1_25partition_config_selectorILNS1_17partition_subalgoE0EsNS0_10empty_typeEbEEZZNS1_14partition_implILS5_0ELb0ES3_jN6thrust23THRUST_200600_302600_NS6detail15normal_iteratorINSA_10device_ptrIsEEEEPS6_SG_NS0_5tupleIJNSA_16discard_iteratorINSA_11use_defaultEEESK_EEENSH_IJSG_SG_EEES6_PlJ7is_evenIsEEEE10hipError_tPvRmT3_T4_T5_T6_T7_T9_mT8_P12ihipStream_tbDpT10_ENKUlT_T0_E_clISt17integral_constantIbLb0EES18_IbLb1EEEEDaS14_S15_EUlS14_E_NS1_11comp_targetILNS1_3genE3ELNS1_11target_archE908ELNS1_3gpuE7ELNS1_3repE0EEENS1_30default_config_static_selectorELNS0_4arch9wavefront6targetE1EEEvT1_
	.globl	_ZN7rocprim17ROCPRIM_400000_NS6detail17trampoline_kernelINS0_14default_configENS1_25partition_config_selectorILNS1_17partition_subalgoE0EsNS0_10empty_typeEbEEZZNS1_14partition_implILS5_0ELb0ES3_jN6thrust23THRUST_200600_302600_NS6detail15normal_iteratorINSA_10device_ptrIsEEEEPS6_SG_NS0_5tupleIJNSA_16discard_iteratorINSA_11use_defaultEEESK_EEENSH_IJSG_SG_EEES6_PlJ7is_evenIsEEEE10hipError_tPvRmT3_T4_T5_T6_T7_T9_mT8_P12ihipStream_tbDpT10_ENKUlT_T0_E_clISt17integral_constantIbLb0EES18_IbLb1EEEEDaS14_S15_EUlS14_E_NS1_11comp_targetILNS1_3genE3ELNS1_11target_archE908ELNS1_3gpuE7ELNS1_3repE0EEENS1_30default_config_static_selectorELNS0_4arch9wavefront6targetE1EEEvT1_
	.p2align	8
	.type	_ZN7rocprim17ROCPRIM_400000_NS6detail17trampoline_kernelINS0_14default_configENS1_25partition_config_selectorILNS1_17partition_subalgoE0EsNS0_10empty_typeEbEEZZNS1_14partition_implILS5_0ELb0ES3_jN6thrust23THRUST_200600_302600_NS6detail15normal_iteratorINSA_10device_ptrIsEEEEPS6_SG_NS0_5tupleIJNSA_16discard_iteratorINSA_11use_defaultEEESK_EEENSH_IJSG_SG_EEES6_PlJ7is_evenIsEEEE10hipError_tPvRmT3_T4_T5_T6_T7_T9_mT8_P12ihipStream_tbDpT10_ENKUlT_T0_E_clISt17integral_constantIbLb0EES18_IbLb1EEEEDaS14_S15_EUlS14_E_NS1_11comp_targetILNS1_3genE3ELNS1_11target_archE908ELNS1_3gpuE7ELNS1_3repE0EEENS1_30default_config_static_selectorELNS0_4arch9wavefront6targetE1EEEvT1_,@function
_ZN7rocprim17ROCPRIM_400000_NS6detail17trampoline_kernelINS0_14default_configENS1_25partition_config_selectorILNS1_17partition_subalgoE0EsNS0_10empty_typeEbEEZZNS1_14partition_implILS5_0ELb0ES3_jN6thrust23THRUST_200600_302600_NS6detail15normal_iteratorINSA_10device_ptrIsEEEEPS6_SG_NS0_5tupleIJNSA_16discard_iteratorINSA_11use_defaultEEESK_EEENSH_IJSG_SG_EEES6_PlJ7is_evenIsEEEE10hipError_tPvRmT3_T4_T5_T6_T7_T9_mT8_P12ihipStream_tbDpT10_ENKUlT_T0_E_clISt17integral_constantIbLb0EES18_IbLb1EEEEDaS14_S15_EUlS14_E_NS1_11comp_targetILNS1_3genE3ELNS1_11target_archE908ELNS1_3gpuE7ELNS1_3repE0EEENS1_30default_config_static_selectorELNS0_4arch9wavefront6targetE1EEEvT1_: ; @_ZN7rocprim17ROCPRIM_400000_NS6detail17trampoline_kernelINS0_14default_configENS1_25partition_config_selectorILNS1_17partition_subalgoE0EsNS0_10empty_typeEbEEZZNS1_14partition_implILS5_0ELb0ES3_jN6thrust23THRUST_200600_302600_NS6detail15normal_iteratorINSA_10device_ptrIsEEEEPS6_SG_NS0_5tupleIJNSA_16discard_iteratorINSA_11use_defaultEEESK_EEENSH_IJSG_SG_EEES6_PlJ7is_evenIsEEEE10hipError_tPvRmT3_T4_T5_T6_T7_T9_mT8_P12ihipStream_tbDpT10_ENKUlT_T0_E_clISt17integral_constantIbLb0EES18_IbLb1EEEEDaS14_S15_EUlS14_E_NS1_11comp_targetILNS1_3genE3ELNS1_11target_archE908ELNS1_3gpuE7ELNS1_3repE0EEENS1_30default_config_static_selectorELNS0_4arch9wavefront6targetE1EEEvT1_
; %bb.0:
	.section	.rodata,"a",@progbits
	.p2align	6, 0x0
	.amdhsa_kernel _ZN7rocprim17ROCPRIM_400000_NS6detail17trampoline_kernelINS0_14default_configENS1_25partition_config_selectorILNS1_17partition_subalgoE0EsNS0_10empty_typeEbEEZZNS1_14partition_implILS5_0ELb0ES3_jN6thrust23THRUST_200600_302600_NS6detail15normal_iteratorINSA_10device_ptrIsEEEEPS6_SG_NS0_5tupleIJNSA_16discard_iteratorINSA_11use_defaultEEESK_EEENSH_IJSG_SG_EEES6_PlJ7is_evenIsEEEE10hipError_tPvRmT3_T4_T5_T6_T7_T9_mT8_P12ihipStream_tbDpT10_ENKUlT_T0_E_clISt17integral_constantIbLb0EES18_IbLb1EEEEDaS14_S15_EUlS14_E_NS1_11comp_targetILNS1_3genE3ELNS1_11target_archE908ELNS1_3gpuE7ELNS1_3repE0EEENS1_30default_config_static_selectorELNS0_4arch9wavefront6targetE1EEEvT1_
		.amdhsa_group_segment_fixed_size 0
		.amdhsa_private_segment_fixed_size 0
		.amdhsa_kernarg_size 152
		.amdhsa_user_sgpr_count 6
		.amdhsa_user_sgpr_private_segment_buffer 1
		.amdhsa_user_sgpr_dispatch_ptr 0
		.amdhsa_user_sgpr_queue_ptr 0
		.amdhsa_user_sgpr_kernarg_segment_ptr 1
		.amdhsa_user_sgpr_dispatch_id 0
		.amdhsa_user_sgpr_flat_scratch_init 0
		.amdhsa_user_sgpr_kernarg_preload_length 0
		.amdhsa_user_sgpr_kernarg_preload_offset 0
		.amdhsa_user_sgpr_private_segment_size 0
		.amdhsa_uses_dynamic_stack 0
		.amdhsa_system_sgpr_private_segment_wavefront_offset 0
		.amdhsa_system_sgpr_workgroup_id_x 1
		.amdhsa_system_sgpr_workgroup_id_y 0
		.amdhsa_system_sgpr_workgroup_id_z 0
		.amdhsa_system_sgpr_workgroup_info 0
		.amdhsa_system_vgpr_workitem_id 0
		.amdhsa_next_free_vgpr 1
		.amdhsa_next_free_sgpr 0
		.amdhsa_accum_offset 4
		.amdhsa_reserve_vcc 0
		.amdhsa_reserve_flat_scratch 0
		.amdhsa_float_round_mode_32 0
		.amdhsa_float_round_mode_16_64 0
		.amdhsa_float_denorm_mode_32 3
		.amdhsa_float_denorm_mode_16_64 3
		.amdhsa_dx10_clamp 1
		.amdhsa_ieee_mode 1
		.amdhsa_fp16_overflow 0
		.amdhsa_tg_split 0
		.amdhsa_exception_fp_ieee_invalid_op 0
		.amdhsa_exception_fp_denorm_src 0
		.amdhsa_exception_fp_ieee_div_zero 0
		.amdhsa_exception_fp_ieee_overflow 0
		.amdhsa_exception_fp_ieee_underflow 0
		.amdhsa_exception_fp_ieee_inexact 0
		.amdhsa_exception_int_div_zero 0
	.end_amdhsa_kernel
	.section	.text._ZN7rocprim17ROCPRIM_400000_NS6detail17trampoline_kernelINS0_14default_configENS1_25partition_config_selectorILNS1_17partition_subalgoE0EsNS0_10empty_typeEbEEZZNS1_14partition_implILS5_0ELb0ES3_jN6thrust23THRUST_200600_302600_NS6detail15normal_iteratorINSA_10device_ptrIsEEEEPS6_SG_NS0_5tupleIJNSA_16discard_iteratorINSA_11use_defaultEEESK_EEENSH_IJSG_SG_EEES6_PlJ7is_evenIsEEEE10hipError_tPvRmT3_T4_T5_T6_T7_T9_mT8_P12ihipStream_tbDpT10_ENKUlT_T0_E_clISt17integral_constantIbLb0EES18_IbLb1EEEEDaS14_S15_EUlS14_E_NS1_11comp_targetILNS1_3genE3ELNS1_11target_archE908ELNS1_3gpuE7ELNS1_3repE0EEENS1_30default_config_static_selectorELNS0_4arch9wavefront6targetE1EEEvT1_,"axG",@progbits,_ZN7rocprim17ROCPRIM_400000_NS6detail17trampoline_kernelINS0_14default_configENS1_25partition_config_selectorILNS1_17partition_subalgoE0EsNS0_10empty_typeEbEEZZNS1_14partition_implILS5_0ELb0ES3_jN6thrust23THRUST_200600_302600_NS6detail15normal_iteratorINSA_10device_ptrIsEEEEPS6_SG_NS0_5tupleIJNSA_16discard_iteratorINSA_11use_defaultEEESK_EEENSH_IJSG_SG_EEES6_PlJ7is_evenIsEEEE10hipError_tPvRmT3_T4_T5_T6_T7_T9_mT8_P12ihipStream_tbDpT10_ENKUlT_T0_E_clISt17integral_constantIbLb0EES18_IbLb1EEEEDaS14_S15_EUlS14_E_NS1_11comp_targetILNS1_3genE3ELNS1_11target_archE908ELNS1_3gpuE7ELNS1_3repE0EEENS1_30default_config_static_selectorELNS0_4arch9wavefront6targetE1EEEvT1_,comdat
.Lfunc_end2806:
	.size	_ZN7rocprim17ROCPRIM_400000_NS6detail17trampoline_kernelINS0_14default_configENS1_25partition_config_selectorILNS1_17partition_subalgoE0EsNS0_10empty_typeEbEEZZNS1_14partition_implILS5_0ELb0ES3_jN6thrust23THRUST_200600_302600_NS6detail15normal_iteratorINSA_10device_ptrIsEEEEPS6_SG_NS0_5tupleIJNSA_16discard_iteratorINSA_11use_defaultEEESK_EEENSH_IJSG_SG_EEES6_PlJ7is_evenIsEEEE10hipError_tPvRmT3_T4_T5_T6_T7_T9_mT8_P12ihipStream_tbDpT10_ENKUlT_T0_E_clISt17integral_constantIbLb0EES18_IbLb1EEEEDaS14_S15_EUlS14_E_NS1_11comp_targetILNS1_3genE3ELNS1_11target_archE908ELNS1_3gpuE7ELNS1_3repE0EEENS1_30default_config_static_selectorELNS0_4arch9wavefront6targetE1EEEvT1_, .Lfunc_end2806-_ZN7rocprim17ROCPRIM_400000_NS6detail17trampoline_kernelINS0_14default_configENS1_25partition_config_selectorILNS1_17partition_subalgoE0EsNS0_10empty_typeEbEEZZNS1_14partition_implILS5_0ELb0ES3_jN6thrust23THRUST_200600_302600_NS6detail15normal_iteratorINSA_10device_ptrIsEEEEPS6_SG_NS0_5tupleIJNSA_16discard_iteratorINSA_11use_defaultEEESK_EEENSH_IJSG_SG_EEES6_PlJ7is_evenIsEEEE10hipError_tPvRmT3_T4_T5_T6_T7_T9_mT8_P12ihipStream_tbDpT10_ENKUlT_T0_E_clISt17integral_constantIbLb0EES18_IbLb1EEEEDaS14_S15_EUlS14_E_NS1_11comp_targetILNS1_3genE3ELNS1_11target_archE908ELNS1_3gpuE7ELNS1_3repE0EEENS1_30default_config_static_selectorELNS0_4arch9wavefront6targetE1EEEvT1_
                                        ; -- End function
	.section	.AMDGPU.csdata,"",@progbits
; Kernel info:
; codeLenInByte = 0
; NumSgprs: 4
; NumVgprs: 0
; NumAgprs: 0
; TotalNumVgprs: 0
; ScratchSize: 0
; MemoryBound: 0
; FloatMode: 240
; IeeeMode: 1
; LDSByteSize: 0 bytes/workgroup (compile time only)
; SGPRBlocks: 0
; VGPRBlocks: 0
; NumSGPRsForWavesPerEU: 4
; NumVGPRsForWavesPerEU: 1
; AccumOffset: 4
; Occupancy: 8
; WaveLimiterHint : 0
; COMPUTE_PGM_RSRC2:SCRATCH_EN: 0
; COMPUTE_PGM_RSRC2:USER_SGPR: 6
; COMPUTE_PGM_RSRC2:TRAP_HANDLER: 0
; COMPUTE_PGM_RSRC2:TGID_X_EN: 1
; COMPUTE_PGM_RSRC2:TGID_Y_EN: 0
; COMPUTE_PGM_RSRC2:TGID_Z_EN: 0
; COMPUTE_PGM_RSRC2:TIDIG_COMP_CNT: 0
; COMPUTE_PGM_RSRC3_GFX90A:ACCUM_OFFSET: 0
; COMPUTE_PGM_RSRC3_GFX90A:TG_SPLIT: 0
	.section	.text._ZN7rocprim17ROCPRIM_400000_NS6detail17trampoline_kernelINS0_14default_configENS1_25partition_config_selectorILNS1_17partition_subalgoE0EsNS0_10empty_typeEbEEZZNS1_14partition_implILS5_0ELb0ES3_jN6thrust23THRUST_200600_302600_NS6detail15normal_iteratorINSA_10device_ptrIsEEEEPS6_SG_NS0_5tupleIJNSA_16discard_iteratorINSA_11use_defaultEEESK_EEENSH_IJSG_SG_EEES6_PlJ7is_evenIsEEEE10hipError_tPvRmT3_T4_T5_T6_T7_T9_mT8_P12ihipStream_tbDpT10_ENKUlT_T0_E_clISt17integral_constantIbLb0EES18_IbLb1EEEEDaS14_S15_EUlS14_E_NS1_11comp_targetILNS1_3genE2ELNS1_11target_archE906ELNS1_3gpuE6ELNS1_3repE0EEENS1_30default_config_static_selectorELNS0_4arch9wavefront6targetE1EEEvT1_,"axG",@progbits,_ZN7rocprim17ROCPRIM_400000_NS6detail17trampoline_kernelINS0_14default_configENS1_25partition_config_selectorILNS1_17partition_subalgoE0EsNS0_10empty_typeEbEEZZNS1_14partition_implILS5_0ELb0ES3_jN6thrust23THRUST_200600_302600_NS6detail15normal_iteratorINSA_10device_ptrIsEEEEPS6_SG_NS0_5tupleIJNSA_16discard_iteratorINSA_11use_defaultEEESK_EEENSH_IJSG_SG_EEES6_PlJ7is_evenIsEEEE10hipError_tPvRmT3_T4_T5_T6_T7_T9_mT8_P12ihipStream_tbDpT10_ENKUlT_T0_E_clISt17integral_constantIbLb0EES18_IbLb1EEEEDaS14_S15_EUlS14_E_NS1_11comp_targetILNS1_3genE2ELNS1_11target_archE906ELNS1_3gpuE6ELNS1_3repE0EEENS1_30default_config_static_selectorELNS0_4arch9wavefront6targetE1EEEvT1_,comdat
	.protected	_ZN7rocprim17ROCPRIM_400000_NS6detail17trampoline_kernelINS0_14default_configENS1_25partition_config_selectorILNS1_17partition_subalgoE0EsNS0_10empty_typeEbEEZZNS1_14partition_implILS5_0ELb0ES3_jN6thrust23THRUST_200600_302600_NS6detail15normal_iteratorINSA_10device_ptrIsEEEEPS6_SG_NS0_5tupleIJNSA_16discard_iteratorINSA_11use_defaultEEESK_EEENSH_IJSG_SG_EEES6_PlJ7is_evenIsEEEE10hipError_tPvRmT3_T4_T5_T6_T7_T9_mT8_P12ihipStream_tbDpT10_ENKUlT_T0_E_clISt17integral_constantIbLb0EES18_IbLb1EEEEDaS14_S15_EUlS14_E_NS1_11comp_targetILNS1_3genE2ELNS1_11target_archE906ELNS1_3gpuE6ELNS1_3repE0EEENS1_30default_config_static_selectorELNS0_4arch9wavefront6targetE1EEEvT1_ ; -- Begin function _ZN7rocprim17ROCPRIM_400000_NS6detail17trampoline_kernelINS0_14default_configENS1_25partition_config_selectorILNS1_17partition_subalgoE0EsNS0_10empty_typeEbEEZZNS1_14partition_implILS5_0ELb0ES3_jN6thrust23THRUST_200600_302600_NS6detail15normal_iteratorINSA_10device_ptrIsEEEEPS6_SG_NS0_5tupleIJNSA_16discard_iteratorINSA_11use_defaultEEESK_EEENSH_IJSG_SG_EEES6_PlJ7is_evenIsEEEE10hipError_tPvRmT3_T4_T5_T6_T7_T9_mT8_P12ihipStream_tbDpT10_ENKUlT_T0_E_clISt17integral_constantIbLb0EES18_IbLb1EEEEDaS14_S15_EUlS14_E_NS1_11comp_targetILNS1_3genE2ELNS1_11target_archE906ELNS1_3gpuE6ELNS1_3repE0EEENS1_30default_config_static_selectorELNS0_4arch9wavefront6targetE1EEEvT1_
	.globl	_ZN7rocprim17ROCPRIM_400000_NS6detail17trampoline_kernelINS0_14default_configENS1_25partition_config_selectorILNS1_17partition_subalgoE0EsNS0_10empty_typeEbEEZZNS1_14partition_implILS5_0ELb0ES3_jN6thrust23THRUST_200600_302600_NS6detail15normal_iteratorINSA_10device_ptrIsEEEEPS6_SG_NS0_5tupleIJNSA_16discard_iteratorINSA_11use_defaultEEESK_EEENSH_IJSG_SG_EEES6_PlJ7is_evenIsEEEE10hipError_tPvRmT3_T4_T5_T6_T7_T9_mT8_P12ihipStream_tbDpT10_ENKUlT_T0_E_clISt17integral_constantIbLb0EES18_IbLb1EEEEDaS14_S15_EUlS14_E_NS1_11comp_targetILNS1_3genE2ELNS1_11target_archE906ELNS1_3gpuE6ELNS1_3repE0EEENS1_30default_config_static_selectorELNS0_4arch9wavefront6targetE1EEEvT1_
	.p2align	8
	.type	_ZN7rocprim17ROCPRIM_400000_NS6detail17trampoline_kernelINS0_14default_configENS1_25partition_config_selectorILNS1_17partition_subalgoE0EsNS0_10empty_typeEbEEZZNS1_14partition_implILS5_0ELb0ES3_jN6thrust23THRUST_200600_302600_NS6detail15normal_iteratorINSA_10device_ptrIsEEEEPS6_SG_NS0_5tupleIJNSA_16discard_iteratorINSA_11use_defaultEEESK_EEENSH_IJSG_SG_EEES6_PlJ7is_evenIsEEEE10hipError_tPvRmT3_T4_T5_T6_T7_T9_mT8_P12ihipStream_tbDpT10_ENKUlT_T0_E_clISt17integral_constantIbLb0EES18_IbLb1EEEEDaS14_S15_EUlS14_E_NS1_11comp_targetILNS1_3genE2ELNS1_11target_archE906ELNS1_3gpuE6ELNS1_3repE0EEENS1_30default_config_static_selectorELNS0_4arch9wavefront6targetE1EEEvT1_,@function
_ZN7rocprim17ROCPRIM_400000_NS6detail17trampoline_kernelINS0_14default_configENS1_25partition_config_selectorILNS1_17partition_subalgoE0EsNS0_10empty_typeEbEEZZNS1_14partition_implILS5_0ELb0ES3_jN6thrust23THRUST_200600_302600_NS6detail15normal_iteratorINSA_10device_ptrIsEEEEPS6_SG_NS0_5tupleIJNSA_16discard_iteratorINSA_11use_defaultEEESK_EEENSH_IJSG_SG_EEES6_PlJ7is_evenIsEEEE10hipError_tPvRmT3_T4_T5_T6_T7_T9_mT8_P12ihipStream_tbDpT10_ENKUlT_T0_E_clISt17integral_constantIbLb0EES18_IbLb1EEEEDaS14_S15_EUlS14_E_NS1_11comp_targetILNS1_3genE2ELNS1_11target_archE906ELNS1_3gpuE6ELNS1_3repE0EEENS1_30default_config_static_selectorELNS0_4arch9wavefront6targetE1EEEvT1_: ; @_ZN7rocprim17ROCPRIM_400000_NS6detail17trampoline_kernelINS0_14default_configENS1_25partition_config_selectorILNS1_17partition_subalgoE0EsNS0_10empty_typeEbEEZZNS1_14partition_implILS5_0ELb0ES3_jN6thrust23THRUST_200600_302600_NS6detail15normal_iteratorINSA_10device_ptrIsEEEEPS6_SG_NS0_5tupleIJNSA_16discard_iteratorINSA_11use_defaultEEESK_EEENSH_IJSG_SG_EEES6_PlJ7is_evenIsEEEE10hipError_tPvRmT3_T4_T5_T6_T7_T9_mT8_P12ihipStream_tbDpT10_ENKUlT_T0_E_clISt17integral_constantIbLb0EES18_IbLb1EEEEDaS14_S15_EUlS14_E_NS1_11comp_targetILNS1_3genE2ELNS1_11target_archE906ELNS1_3gpuE6ELNS1_3repE0EEENS1_30default_config_static_selectorELNS0_4arch9wavefront6targetE1EEEvT1_
; %bb.0:
	.section	.rodata,"a",@progbits
	.p2align	6, 0x0
	.amdhsa_kernel _ZN7rocprim17ROCPRIM_400000_NS6detail17trampoline_kernelINS0_14default_configENS1_25partition_config_selectorILNS1_17partition_subalgoE0EsNS0_10empty_typeEbEEZZNS1_14partition_implILS5_0ELb0ES3_jN6thrust23THRUST_200600_302600_NS6detail15normal_iteratorINSA_10device_ptrIsEEEEPS6_SG_NS0_5tupleIJNSA_16discard_iteratorINSA_11use_defaultEEESK_EEENSH_IJSG_SG_EEES6_PlJ7is_evenIsEEEE10hipError_tPvRmT3_T4_T5_T6_T7_T9_mT8_P12ihipStream_tbDpT10_ENKUlT_T0_E_clISt17integral_constantIbLb0EES18_IbLb1EEEEDaS14_S15_EUlS14_E_NS1_11comp_targetILNS1_3genE2ELNS1_11target_archE906ELNS1_3gpuE6ELNS1_3repE0EEENS1_30default_config_static_selectorELNS0_4arch9wavefront6targetE1EEEvT1_
		.amdhsa_group_segment_fixed_size 0
		.amdhsa_private_segment_fixed_size 0
		.amdhsa_kernarg_size 152
		.amdhsa_user_sgpr_count 6
		.amdhsa_user_sgpr_private_segment_buffer 1
		.amdhsa_user_sgpr_dispatch_ptr 0
		.amdhsa_user_sgpr_queue_ptr 0
		.amdhsa_user_sgpr_kernarg_segment_ptr 1
		.amdhsa_user_sgpr_dispatch_id 0
		.amdhsa_user_sgpr_flat_scratch_init 0
		.amdhsa_user_sgpr_kernarg_preload_length 0
		.amdhsa_user_sgpr_kernarg_preload_offset 0
		.amdhsa_user_sgpr_private_segment_size 0
		.amdhsa_uses_dynamic_stack 0
		.amdhsa_system_sgpr_private_segment_wavefront_offset 0
		.amdhsa_system_sgpr_workgroup_id_x 1
		.amdhsa_system_sgpr_workgroup_id_y 0
		.amdhsa_system_sgpr_workgroup_id_z 0
		.amdhsa_system_sgpr_workgroup_info 0
		.amdhsa_system_vgpr_workitem_id 0
		.amdhsa_next_free_vgpr 1
		.amdhsa_next_free_sgpr 0
		.amdhsa_accum_offset 4
		.amdhsa_reserve_vcc 0
		.amdhsa_reserve_flat_scratch 0
		.amdhsa_float_round_mode_32 0
		.amdhsa_float_round_mode_16_64 0
		.amdhsa_float_denorm_mode_32 3
		.amdhsa_float_denorm_mode_16_64 3
		.amdhsa_dx10_clamp 1
		.amdhsa_ieee_mode 1
		.amdhsa_fp16_overflow 0
		.amdhsa_tg_split 0
		.amdhsa_exception_fp_ieee_invalid_op 0
		.amdhsa_exception_fp_denorm_src 0
		.amdhsa_exception_fp_ieee_div_zero 0
		.amdhsa_exception_fp_ieee_overflow 0
		.amdhsa_exception_fp_ieee_underflow 0
		.amdhsa_exception_fp_ieee_inexact 0
		.amdhsa_exception_int_div_zero 0
	.end_amdhsa_kernel
	.section	.text._ZN7rocprim17ROCPRIM_400000_NS6detail17trampoline_kernelINS0_14default_configENS1_25partition_config_selectorILNS1_17partition_subalgoE0EsNS0_10empty_typeEbEEZZNS1_14partition_implILS5_0ELb0ES3_jN6thrust23THRUST_200600_302600_NS6detail15normal_iteratorINSA_10device_ptrIsEEEEPS6_SG_NS0_5tupleIJNSA_16discard_iteratorINSA_11use_defaultEEESK_EEENSH_IJSG_SG_EEES6_PlJ7is_evenIsEEEE10hipError_tPvRmT3_T4_T5_T6_T7_T9_mT8_P12ihipStream_tbDpT10_ENKUlT_T0_E_clISt17integral_constantIbLb0EES18_IbLb1EEEEDaS14_S15_EUlS14_E_NS1_11comp_targetILNS1_3genE2ELNS1_11target_archE906ELNS1_3gpuE6ELNS1_3repE0EEENS1_30default_config_static_selectorELNS0_4arch9wavefront6targetE1EEEvT1_,"axG",@progbits,_ZN7rocprim17ROCPRIM_400000_NS6detail17trampoline_kernelINS0_14default_configENS1_25partition_config_selectorILNS1_17partition_subalgoE0EsNS0_10empty_typeEbEEZZNS1_14partition_implILS5_0ELb0ES3_jN6thrust23THRUST_200600_302600_NS6detail15normal_iteratorINSA_10device_ptrIsEEEEPS6_SG_NS0_5tupleIJNSA_16discard_iteratorINSA_11use_defaultEEESK_EEENSH_IJSG_SG_EEES6_PlJ7is_evenIsEEEE10hipError_tPvRmT3_T4_T5_T6_T7_T9_mT8_P12ihipStream_tbDpT10_ENKUlT_T0_E_clISt17integral_constantIbLb0EES18_IbLb1EEEEDaS14_S15_EUlS14_E_NS1_11comp_targetILNS1_3genE2ELNS1_11target_archE906ELNS1_3gpuE6ELNS1_3repE0EEENS1_30default_config_static_selectorELNS0_4arch9wavefront6targetE1EEEvT1_,comdat
.Lfunc_end2807:
	.size	_ZN7rocprim17ROCPRIM_400000_NS6detail17trampoline_kernelINS0_14default_configENS1_25partition_config_selectorILNS1_17partition_subalgoE0EsNS0_10empty_typeEbEEZZNS1_14partition_implILS5_0ELb0ES3_jN6thrust23THRUST_200600_302600_NS6detail15normal_iteratorINSA_10device_ptrIsEEEEPS6_SG_NS0_5tupleIJNSA_16discard_iteratorINSA_11use_defaultEEESK_EEENSH_IJSG_SG_EEES6_PlJ7is_evenIsEEEE10hipError_tPvRmT3_T4_T5_T6_T7_T9_mT8_P12ihipStream_tbDpT10_ENKUlT_T0_E_clISt17integral_constantIbLb0EES18_IbLb1EEEEDaS14_S15_EUlS14_E_NS1_11comp_targetILNS1_3genE2ELNS1_11target_archE906ELNS1_3gpuE6ELNS1_3repE0EEENS1_30default_config_static_selectorELNS0_4arch9wavefront6targetE1EEEvT1_, .Lfunc_end2807-_ZN7rocprim17ROCPRIM_400000_NS6detail17trampoline_kernelINS0_14default_configENS1_25partition_config_selectorILNS1_17partition_subalgoE0EsNS0_10empty_typeEbEEZZNS1_14partition_implILS5_0ELb0ES3_jN6thrust23THRUST_200600_302600_NS6detail15normal_iteratorINSA_10device_ptrIsEEEEPS6_SG_NS0_5tupleIJNSA_16discard_iteratorINSA_11use_defaultEEESK_EEENSH_IJSG_SG_EEES6_PlJ7is_evenIsEEEE10hipError_tPvRmT3_T4_T5_T6_T7_T9_mT8_P12ihipStream_tbDpT10_ENKUlT_T0_E_clISt17integral_constantIbLb0EES18_IbLb1EEEEDaS14_S15_EUlS14_E_NS1_11comp_targetILNS1_3genE2ELNS1_11target_archE906ELNS1_3gpuE6ELNS1_3repE0EEENS1_30default_config_static_selectorELNS0_4arch9wavefront6targetE1EEEvT1_
                                        ; -- End function
	.section	.AMDGPU.csdata,"",@progbits
; Kernel info:
; codeLenInByte = 0
; NumSgprs: 4
; NumVgprs: 0
; NumAgprs: 0
; TotalNumVgprs: 0
; ScratchSize: 0
; MemoryBound: 0
; FloatMode: 240
; IeeeMode: 1
; LDSByteSize: 0 bytes/workgroup (compile time only)
; SGPRBlocks: 0
; VGPRBlocks: 0
; NumSGPRsForWavesPerEU: 4
; NumVGPRsForWavesPerEU: 1
; AccumOffset: 4
; Occupancy: 8
; WaveLimiterHint : 0
; COMPUTE_PGM_RSRC2:SCRATCH_EN: 0
; COMPUTE_PGM_RSRC2:USER_SGPR: 6
; COMPUTE_PGM_RSRC2:TRAP_HANDLER: 0
; COMPUTE_PGM_RSRC2:TGID_X_EN: 1
; COMPUTE_PGM_RSRC2:TGID_Y_EN: 0
; COMPUTE_PGM_RSRC2:TGID_Z_EN: 0
; COMPUTE_PGM_RSRC2:TIDIG_COMP_CNT: 0
; COMPUTE_PGM_RSRC3_GFX90A:ACCUM_OFFSET: 0
; COMPUTE_PGM_RSRC3_GFX90A:TG_SPLIT: 0
	.section	.text._ZN7rocprim17ROCPRIM_400000_NS6detail17trampoline_kernelINS0_14default_configENS1_25partition_config_selectorILNS1_17partition_subalgoE0EsNS0_10empty_typeEbEEZZNS1_14partition_implILS5_0ELb0ES3_jN6thrust23THRUST_200600_302600_NS6detail15normal_iteratorINSA_10device_ptrIsEEEEPS6_SG_NS0_5tupleIJNSA_16discard_iteratorINSA_11use_defaultEEESK_EEENSH_IJSG_SG_EEES6_PlJ7is_evenIsEEEE10hipError_tPvRmT3_T4_T5_T6_T7_T9_mT8_P12ihipStream_tbDpT10_ENKUlT_T0_E_clISt17integral_constantIbLb0EES18_IbLb1EEEEDaS14_S15_EUlS14_E_NS1_11comp_targetILNS1_3genE10ELNS1_11target_archE1200ELNS1_3gpuE4ELNS1_3repE0EEENS1_30default_config_static_selectorELNS0_4arch9wavefront6targetE1EEEvT1_,"axG",@progbits,_ZN7rocprim17ROCPRIM_400000_NS6detail17trampoline_kernelINS0_14default_configENS1_25partition_config_selectorILNS1_17partition_subalgoE0EsNS0_10empty_typeEbEEZZNS1_14partition_implILS5_0ELb0ES3_jN6thrust23THRUST_200600_302600_NS6detail15normal_iteratorINSA_10device_ptrIsEEEEPS6_SG_NS0_5tupleIJNSA_16discard_iteratorINSA_11use_defaultEEESK_EEENSH_IJSG_SG_EEES6_PlJ7is_evenIsEEEE10hipError_tPvRmT3_T4_T5_T6_T7_T9_mT8_P12ihipStream_tbDpT10_ENKUlT_T0_E_clISt17integral_constantIbLb0EES18_IbLb1EEEEDaS14_S15_EUlS14_E_NS1_11comp_targetILNS1_3genE10ELNS1_11target_archE1200ELNS1_3gpuE4ELNS1_3repE0EEENS1_30default_config_static_selectorELNS0_4arch9wavefront6targetE1EEEvT1_,comdat
	.protected	_ZN7rocprim17ROCPRIM_400000_NS6detail17trampoline_kernelINS0_14default_configENS1_25partition_config_selectorILNS1_17partition_subalgoE0EsNS0_10empty_typeEbEEZZNS1_14partition_implILS5_0ELb0ES3_jN6thrust23THRUST_200600_302600_NS6detail15normal_iteratorINSA_10device_ptrIsEEEEPS6_SG_NS0_5tupleIJNSA_16discard_iteratorINSA_11use_defaultEEESK_EEENSH_IJSG_SG_EEES6_PlJ7is_evenIsEEEE10hipError_tPvRmT3_T4_T5_T6_T7_T9_mT8_P12ihipStream_tbDpT10_ENKUlT_T0_E_clISt17integral_constantIbLb0EES18_IbLb1EEEEDaS14_S15_EUlS14_E_NS1_11comp_targetILNS1_3genE10ELNS1_11target_archE1200ELNS1_3gpuE4ELNS1_3repE0EEENS1_30default_config_static_selectorELNS0_4arch9wavefront6targetE1EEEvT1_ ; -- Begin function _ZN7rocprim17ROCPRIM_400000_NS6detail17trampoline_kernelINS0_14default_configENS1_25partition_config_selectorILNS1_17partition_subalgoE0EsNS0_10empty_typeEbEEZZNS1_14partition_implILS5_0ELb0ES3_jN6thrust23THRUST_200600_302600_NS6detail15normal_iteratorINSA_10device_ptrIsEEEEPS6_SG_NS0_5tupleIJNSA_16discard_iteratorINSA_11use_defaultEEESK_EEENSH_IJSG_SG_EEES6_PlJ7is_evenIsEEEE10hipError_tPvRmT3_T4_T5_T6_T7_T9_mT8_P12ihipStream_tbDpT10_ENKUlT_T0_E_clISt17integral_constantIbLb0EES18_IbLb1EEEEDaS14_S15_EUlS14_E_NS1_11comp_targetILNS1_3genE10ELNS1_11target_archE1200ELNS1_3gpuE4ELNS1_3repE0EEENS1_30default_config_static_selectorELNS0_4arch9wavefront6targetE1EEEvT1_
	.globl	_ZN7rocprim17ROCPRIM_400000_NS6detail17trampoline_kernelINS0_14default_configENS1_25partition_config_selectorILNS1_17partition_subalgoE0EsNS0_10empty_typeEbEEZZNS1_14partition_implILS5_0ELb0ES3_jN6thrust23THRUST_200600_302600_NS6detail15normal_iteratorINSA_10device_ptrIsEEEEPS6_SG_NS0_5tupleIJNSA_16discard_iteratorINSA_11use_defaultEEESK_EEENSH_IJSG_SG_EEES6_PlJ7is_evenIsEEEE10hipError_tPvRmT3_T4_T5_T6_T7_T9_mT8_P12ihipStream_tbDpT10_ENKUlT_T0_E_clISt17integral_constantIbLb0EES18_IbLb1EEEEDaS14_S15_EUlS14_E_NS1_11comp_targetILNS1_3genE10ELNS1_11target_archE1200ELNS1_3gpuE4ELNS1_3repE0EEENS1_30default_config_static_selectorELNS0_4arch9wavefront6targetE1EEEvT1_
	.p2align	8
	.type	_ZN7rocprim17ROCPRIM_400000_NS6detail17trampoline_kernelINS0_14default_configENS1_25partition_config_selectorILNS1_17partition_subalgoE0EsNS0_10empty_typeEbEEZZNS1_14partition_implILS5_0ELb0ES3_jN6thrust23THRUST_200600_302600_NS6detail15normal_iteratorINSA_10device_ptrIsEEEEPS6_SG_NS0_5tupleIJNSA_16discard_iteratorINSA_11use_defaultEEESK_EEENSH_IJSG_SG_EEES6_PlJ7is_evenIsEEEE10hipError_tPvRmT3_T4_T5_T6_T7_T9_mT8_P12ihipStream_tbDpT10_ENKUlT_T0_E_clISt17integral_constantIbLb0EES18_IbLb1EEEEDaS14_S15_EUlS14_E_NS1_11comp_targetILNS1_3genE10ELNS1_11target_archE1200ELNS1_3gpuE4ELNS1_3repE0EEENS1_30default_config_static_selectorELNS0_4arch9wavefront6targetE1EEEvT1_,@function
_ZN7rocprim17ROCPRIM_400000_NS6detail17trampoline_kernelINS0_14default_configENS1_25partition_config_selectorILNS1_17partition_subalgoE0EsNS0_10empty_typeEbEEZZNS1_14partition_implILS5_0ELb0ES3_jN6thrust23THRUST_200600_302600_NS6detail15normal_iteratorINSA_10device_ptrIsEEEEPS6_SG_NS0_5tupleIJNSA_16discard_iteratorINSA_11use_defaultEEESK_EEENSH_IJSG_SG_EEES6_PlJ7is_evenIsEEEE10hipError_tPvRmT3_T4_T5_T6_T7_T9_mT8_P12ihipStream_tbDpT10_ENKUlT_T0_E_clISt17integral_constantIbLb0EES18_IbLb1EEEEDaS14_S15_EUlS14_E_NS1_11comp_targetILNS1_3genE10ELNS1_11target_archE1200ELNS1_3gpuE4ELNS1_3repE0EEENS1_30default_config_static_selectorELNS0_4arch9wavefront6targetE1EEEvT1_: ; @_ZN7rocprim17ROCPRIM_400000_NS6detail17trampoline_kernelINS0_14default_configENS1_25partition_config_selectorILNS1_17partition_subalgoE0EsNS0_10empty_typeEbEEZZNS1_14partition_implILS5_0ELb0ES3_jN6thrust23THRUST_200600_302600_NS6detail15normal_iteratorINSA_10device_ptrIsEEEEPS6_SG_NS0_5tupleIJNSA_16discard_iteratorINSA_11use_defaultEEESK_EEENSH_IJSG_SG_EEES6_PlJ7is_evenIsEEEE10hipError_tPvRmT3_T4_T5_T6_T7_T9_mT8_P12ihipStream_tbDpT10_ENKUlT_T0_E_clISt17integral_constantIbLb0EES18_IbLb1EEEEDaS14_S15_EUlS14_E_NS1_11comp_targetILNS1_3genE10ELNS1_11target_archE1200ELNS1_3gpuE4ELNS1_3repE0EEENS1_30default_config_static_selectorELNS0_4arch9wavefront6targetE1EEEvT1_
; %bb.0:
	.section	.rodata,"a",@progbits
	.p2align	6, 0x0
	.amdhsa_kernel _ZN7rocprim17ROCPRIM_400000_NS6detail17trampoline_kernelINS0_14default_configENS1_25partition_config_selectorILNS1_17partition_subalgoE0EsNS0_10empty_typeEbEEZZNS1_14partition_implILS5_0ELb0ES3_jN6thrust23THRUST_200600_302600_NS6detail15normal_iteratorINSA_10device_ptrIsEEEEPS6_SG_NS0_5tupleIJNSA_16discard_iteratorINSA_11use_defaultEEESK_EEENSH_IJSG_SG_EEES6_PlJ7is_evenIsEEEE10hipError_tPvRmT3_T4_T5_T6_T7_T9_mT8_P12ihipStream_tbDpT10_ENKUlT_T0_E_clISt17integral_constantIbLb0EES18_IbLb1EEEEDaS14_S15_EUlS14_E_NS1_11comp_targetILNS1_3genE10ELNS1_11target_archE1200ELNS1_3gpuE4ELNS1_3repE0EEENS1_30default_config_static_selectorELNS0_4arch9wavefront6targetE1EEEvT1_
		.amdhsa_group_segment_fixed_size 0
		.amdhsa_private_segment_fixed_size 0
		.amdhsa_kernarg_size 152
		.amdhsa_user_sgpr_count 6
		.amdhsa_user_sgpr_private_segment_buffer 1
		.amdhsa_user_sgpr_dispatch_ptr 0
		.amdhsa_user_sgpr_queue_ptr 0
		.amdhsa_user_sgpr_kernarg_segment_ptr 1
		.amdhsa_user_sgpr_dispatch_id 0
		.amdhsa_user_sgpr_flat_scratch_init 0
		.amdhsa_user_sgpr_kernarg_preload_length 0
		.amdhsa_user_sgpr_kernarg_preload_offset 0
		.amdhsa_user_sgpr_private_segment_size 0
		.amdhsa_uses_dynamic_stack 0
		.amdhsa_system_sgpr_private_segment_wavefront_offset 0
		.amdhsa_system_sgpr_workgroup_id_x 1
		.amdhsa_system_sgpr_workgroup_id_y 0
		.amdhsa_system_sgpr_workgroup_id_z 0
		.amdhsa_system_sgpr_workgroup_info 0
		.amdhsa_system_vgpr_workitem_id 0
		.amdhsa_next_free_vgpr 1
		.amdhsa_next_free_sgpr 0
		.amdhsa_accum_offset 4
		.amdhsa_reserve_vcc 0
		.amdhsa_reserve_flat_scratch 0
		.amdhsa_float_round_mode_32 0
		.amdhsa_float_round_mode_16_64 0
		.amdhsa_float_denorm_mode_32 3
		.amdhsa_float_denorm_mode_16_64 3
		.amdhsa_dx10_clamp 1
		.amdhsa_ieee_mode 1
		.amdhsa_fp16_overflow 0
		.amdhsa_tg_split 0
		.amdhsa_exception_fp_ieee_invalid_op 0
		.amdhsa_exception_fp_denorm_src 0
		.amdhsa_exception_fp_ieee_div_zero 0
		.amdhsa_exception_fp_ieee_overflow 0
		.amdhsa_exception_fp_ieee_underflow 0
		.amdhsa_exception_fp_ieee_inexact 0
		.amdhsa_exception_int_div_zero 0
	.end_amdhsa_kernel
	.section	.text._ZN7rocprim17ROCPRIM_400000_NS6detail17trampoline_kernelINS0_14default_configENS1_25partition_config_selectorILNS1_17partition_subalgoE0EsNS0_10empty_typeEbEEZZNS1_14partition_implILS5_0ELb0ES3_jN6thrust23THRUST_200600_302600_NS6detail15normal_iteratorINSA_10device_ptrIsEEEEPS6_SG_NS0_5tupleIJNSA_16discard_iteratorINSA_11use_defaultEEESK_EEENSH_IJSG_SG_EEES6_PlJ7is_evenIsEEEE10hipError_tPvRmT3_T4_T5_T6_T7_T9_mT8_P12ihipStream_tbDpT10_ENKUlT_T0_E_clISt17integral_constantIbLb0EES18_IbLb1EEEEDaS14_S15_EUlS14_E_NS1_11comp_targetILNS1_3genE10ELNS1_11target_archE1200ELNS1_3gpuE4ELNS1_3repE0EEENS1_30default_config_static_selectorELNS0_4arch9wavefront6targetE1EEEvT1_,"axG",@progbits,_ZN7rocprim17ROCPRIM_400000_NS6detail17trampoline_kernelINS0_14default_configENS1_25partition_config_selectorILNS1_17partition_subalgoE0EsNS0_10empty_typeEbEEZZNS1_14partition_implILS5_0ELb0ES3_jN6thrust23THRUST_200600_302600_NS6detail15normal_iteratorINSA_10device_ptrIsEEEEPS6_SG_NS0_5tupleIJNSA_16discard_iteratorINSA_11use_defaultEEESK_EEENSH_IJSG_SG_EEES6_PlJ7is_evenIsEEEE10hipError_tPvRmT3_T4_T5_T6_T7_T9_mT8_P12ihipStream_tbDpT10_ENKUlT_T0_E_clISt17integral_constantIbLb0EES18_IbLb1EEEEDaS14_S15_EUlS14_E_NS1_11comp_targetILNS1_3genE10ELNS1_11target_archE1200ELNS1_3gpuE4ELNS1_3repE0EEENS1_30default_config_static_selectorELNS0_4arch9wavefront6targetE1EEEvT1_,comdat
.Lfunc_end2808:
	.size	_ZN7rocprim17ROCPRIM_400000_NS6detail17trampoline_kernelINS0_14default_configENS1_25partition_config_selectorILNS1_17partition_subalgoE0EsNS0_10empty_typeEbEEZZNS1_14partition_implILS5_0ELb0ES3_jN6thrust23THRUST_200600_302600_NS6detail15normal_iteratorINSA_10device_ptrIsEEEEPS6_SG_NS0_5tupleIJNSA_16discard_iteratorINSA_11use_defaultEEESK_EEENSH_IJSG_SG_EEES6_PlJ7is_evenIsEEEE10hipError_tPvRmT3_T4_T5_T6_T7_T9_mT8_P12ihipStream_tbDpT10_ENKUlT_T0_E_clISt17integral_constantIbLb0EES18_IbLb1EEEEDaS14_S15_EUlS14_E_NS1_11comp_targetILNS1_3genE10ELNS1_11target_archE1200ELNS1_3gpuE4ELNS1_3repE0EEENS1_30default_config_static_selectorELNS0_4arch9wavefront6targetE1EEEvT1_, .Lfunc_end2808-_ZN7rocprim17ROCPRIM_400000_NS6detail17trampoline_kernelINS0_14default_configENS1_25partition_config_selectorILNS1_17partition_subalgoE0EsNS0_10empty_typeEbEEZZNS1_14partition_implILS5_0ELb0ES3_jN6thrust23THRUST_200600_302600_NS6detail15normal_iteratorINSA_10device_ptrIsEEEEPS6_SG_NS0_5tupleIJNSA_16discard_iteratorINSA_11use_defaultEEESK_EEENSH_IJSG_SG_EEES6_PlJ7is_evenIsEEEE10hipError_tPvRmT3_T4_T5_T6_T7_T9_mT8_P12ihipStream_tbDpT10_ENKUlT_T0_E_clISt17integral_constantIbLb0EES18_IbLb1EEEEDaS14_S15_EUlS14_E_NS1_11comp_targetILNS1_3genE10ELNS1_11target_archE1200ELNS1_3gpuE4ELNS1_3repE0EEENS1_30default_config_static_selectorELNS0_4arch9wavefront6targetE1EEEvT1_
                                        ; -- End function
	.section	.AMDGPU.csdata,"",@progbits
; Kernel info:
; codeLenInByte = 0
; NumSgprs: 4
; NumVgprs: 0
; NumAgprs: 0
; TotalNumVgprs: 0
; ScratchSize: 0
; MemoryBound: 0
; FloatMode: 240
; IeeeMode: 1
; LDSByteSize: 0 bytes/workgroup (compile time only)
; SGPRBlocks: 0
; VGPRBlocks: 0
; NumSGPRsForWavesPerEU: 4
; NumVGPRsForWavesPerEU: 1
; AccumOffset: 4
; Occupancy: 8
; WaveLimiterHint : 0
; COMPUTE_PGM_RSRC2:SCRATCH_EN: 0
; COMPUTE_PGM_RSRC2:USER_SGPR: 6
; COMPUTE_PGM_RSRC2:TRAP_HANDLER: 0
; COMPUTE_PGM_RSRC2:TGID_X_EN: 1
; COMPUTE_PGM_RSRC2:TGID_Y_EN: 0
; COMPUTE_PGM_RSRC2:TGID_Z_EN: 0
; COMPUTE_PGM_RSRC2:TIDIG_COMP_CNT: 0
; COMPUTE_PGM_RSRC3_GFX90A:ACCUM_OFFSET: 0
; COMPUTE_PGM_RSRC3_GFX90A:TG_SPLIT: 0
	.section	.text._ZN7rocprim17ROCPRIM_400000_NS6detail17trampoline_kernelINS0_14default_configENS1_25partition_config_selectorILNS1_17partition_subalgoE0EsNS0_10empty_typeEbEEZZNS1_14partition_implILS5_0ELb0ES3_jN6thrust23THRUST_200600_302600_NS6detail15normal_iteratorINSA_10device_ptrIsEEEEPS6_SG_NS0_5tupleIJNSA_16discard_iteratorINSA_11use_defaultEEESK_EEENSH_IJSG_SG_EEES6_PlJ7is_evenIsEEEE10hipError_tPvRmT3_T4_T5_T6_T7_T9_mT8_P12ihipStream_tbDpT10_ENKUlT_T0_E_clISt17integral_constantIbLb0EES18_IbLb1EEEEDaS14_S15_EUlS14_E_NS1_11comp_targetILNS1_3genE9ELNS1_11target_archE1100ELNS1_3gpuE3ELNS1_3repE0EEENS1_30default_config_static_selectorELNS0_4arch9wavefront6targetE1EEEvT1_,"axG",@progbits,_ZN7rocprim17ROCPRIM_400000_NS6detail17trampoline_kernelINS0_14default_configENS1_25partition_config_selectorILNS1_17partition_subalgoE0EsNS0_10empty_typeEbEEZZNS1_14partition_implILS5_0ELb0ES3_jN6thrust23THRUST_200600_302600_NS6detail15normal_iteratorINSA_10device_ptrIsEEEEPS6_SG_NS0_5tupleIJNSA_16discard_iteratorINSA_11use_defaultEEESK_EEENSH_IJSG_SG_EEES6_PlJ7is_evenIsEEEE10hipError_tPvRmT3_T4_T5_T6_T7_T9_mT8_P12ihipStream_tbDpT10_ENKUlT_T0_E_clISt17integral_constantIbLb0EES18_IbLb1EEEEDaS14_S15_EUlS14_E_NS1_11comp_targetILNS1_3genE9ELNS1_11target_archE1100ELNS1_3gpuE3ELNS1_3repE0EEENS1_30default_config_static_selectorELNS0_4arch9wavefront6targetE1EEEvT1_,comdat
	.protected	_ZN7rocprim17ROCPRIM_400000_NS6detail17trampoline_kernelINS0_14default_configENS1_25partition_config_selectorILNS1_17partition_subalgoE0EsNS0_10empty_typeEbEEZZNS1_14partition_implILS5_0ELb0ES3_jN6thrust23THRUST_200600_302600_NS6detail15normal_iteratorINSA_10device_ptrIsEEEEPS6_SG_NS0_5tupleIJNSA_16discard_iteratorINSA_11use_defaultEEESK_EEENSH_IJSG_SG_EEES6_PlJ7is_evenIsEEEE10hipError_tPvRmT3_T4_T5_T6_T7_T9_mT8_P12ihipStream_tbDpT10_ENKUlT_T0_E_clISt17integral_constantIbLb0EES18_IbLb1EEEEDaS14_S15_EUlS14_E_NS1_11comp_targetILNS1_3genE9ELNS1_11target_archE1100ELNS1_3gpuE3ELNS1_3repE0EEENS1_30default_config_static_selectorELNS0_4arch9wavefront6targetE1EEEvT1_ ; -- Begin function _ZN7rocprim17ROCPRIM_400000_NS6detail17trampoline_kernelINS0_14default_configENS1_25partition_config_selectorILNS1_17partition_subalgoE0EsNS0_10empty_typeEbEEZZNS1_14partition_implILS5_0ELb0ES3_jN6thrust23THRUST_200600_302600_NS6detail15normal_iteratorINSA_10device_ptrIsEEEEPS6_SG_NS0_5tupleIJNSA_16discard_iteratorINSA_11use_defaultEEESK_EEENSH_IJSG_SG_EEES6_PlJ7is_evenIsEEEE10hipError_tPvRmT3_T4_T5_T6_T7_T9_mT8_P12ihipStream_tbDpT10_ENKUlT_T0_E_clISt17integral_constantIbLb0EES18_IbLb1EEEEDaS14_S15_EUlS14_E_NS1_11comp_targetILNS1_3genE9ELNS1_11target_archE1100ELNS1_3gpuE3ELNS1_3repE0EEENS1_30default_config_static_selectorELNS0_4arch9wavefront6targetE1EEEvT1_
	.globl	_ZN7rocprim17ROCPRIM_400000_NS6detail17trampoline_kernelINS0_14default_configENS1_25partition_config_selectorILNS1_17partition_subalgoE0EsNS0_10empty_typeEbEEZZNS1_14partition_implILS5_0ELb0ES3_jN6thrust23THRUST_200600_302600_NS6detail15normal_iteratorINSA_10device_ptrIsEEEEPS6_SG_NS0_5tupleIJNSA_16discard_iteratorINSA_11use_defaultEEESK_EEENSH_IJSG_SG_EEES6_PlJ7is_evenIsEEEE10hipError_tPvRmT3_T4_T5_T6_T7_T9_mT8_P12ihipStream_tbDpT10_ENKUlT_T0_E_clISt17integral_constantIbLb0EES18_IbLb1EEEEDaS14_S15_EUlS14_E_NS1_11comp_targetILNS1_3genE9ELNS1_11target_archE1100ELNS1_3gpuE3ELNS1_3repE0EEENS1_30default_config_static_selectorELNS0_4arch9wavefront6targetE1EEEvT1_
	.p2align	8
	.type	_ZN7rocprim17ROCPRIM_400000_NS6detail17trampoline_kernelINS0_14default_configENS1_25partition_config_selectorILNS1_17partition_subalgoE0EsNS0_10empty_typeEbEEZZNS1_14partition_implILS5_0ELb0ES3_jN6thrust23THRUST_200600_302600_NS6detail15normal_iteratorINSA_10device_ptrIsEEEEPS6_SG_NS0_5tupleIJNSA_16discard_iteratorINSA_11use_defaultEEESK_EEENSH_IJSG_SG_EEES6_PlJ7is_evenIsEEEE10hipError_tPvRmT3_T4_T5_T6_T7_T9_mT8_P12ihipStream_tbDpT10_ENKUlT_T0_E_clISt17integral_constantIbLb0EES18_IbLb1EEEEDaS14_S15_EUlS14_E_NS1_11comp_targetILNS1_3genE9ELNS1_11target_archE1100ELNS1_3gpuE3ELNS1_3repE0EEENS1_30default_config_static_selectorELNS0_4arch9wavefront6targetE1EEEvT1_,@function
_ZN7rocprim17ROCPRIM_400000_NS6detail17trampoline_kernelINS0_14default_configENS1_25partition_config_selectorILNS1_17partition_subalgoE0EsNS0_10empty_typeEbEEZZNS1_14partition_implILS5_0ELb0ES3_jN6thrust23THRUST_200600_302600_NS6detail15normal_iteratorINSA_10device_ptrIsEEEEPS6_SG_NS0_5tupleIJNSA_16discard_iteratorINSA_11use_defaultEEESK_EEENSH_IJSG_SG_EEES6_PlJ7is_evenIsEEEE10hipError_tPvRmT3_T4_T5_T6_T7_T9_mT8_P12ihipStream_tbDpT10_ENKUlT_T0_E_clISt17integral_constantIbLb0EES18_IbLb1EEEEDaS14_S15_EUlS14_E_NS1_11comp_targetILNS1_3genE9ELNS1_11target_archE1100ELNS1_3gpuE3ELNS1_3repE0EEENS1_30default_config_static_selectorELNS0_4arch9wavefront6targetE1EEEvT1_: ; @_ZN7rocprim17ROCPRIM_400000_NS6detail17trampoline_kernelINS0_14default_configENS1_25partition_config_selectorILNS1_17partition_subalgoE0EsNS0_10empty_typeEbEEZZNS1_14partition_implILS5_0ELb0ES3_jN6thrust23THRUST_200600_302600_NS6detail15normal_iteratorINSA_10device_ptrIsEEEEPS6_SG_NS0_5tupleIJNSA_16discard_iteratorINSA_11use_defaultEEESK_EEENSH_IJSG_SG_EEES6_PlJ7is_evenIsEEEE10hipError_tPvRmT3_T4_T5_T6_T7_T9_mT8_P12ihipStream_tbDpT10_ENKUlT_T0_E_clISt17integral_constantIbLb0EES18_IbLb1EEEEDaS14_S15_EUlS14_E_NS1_11comp_targetILNS1_3genE9ELNS1_11target_archE1100ELNS1_3gpuE3ELNS1_3repE0EEENS1_30default_config_static_selectorELNS0_4arch9wavefront6targetE1EEEvT1_
; %bb.0:
	.section	.rodata,"a",@progbits
	.p2align	6, 0x0
	.amdhsa_kernel _ZN7rocprim17ROCPRIM_400000_NS6detail17trampoline_kernelINS0_14default_configENS1_25partition_config_selectorILNS1_17partition_subalgoE0EsNS0_10empty_typeEbEEZZNS1_14partition_implILS5_0ELb0ES3_jN6thrust23THRUST_200600_302600_NS6detail15normal_iteratorINSA_10device_ptrIsEEEEPS6_SG_NS0_5tupleIJNSA_16discard_iteratorINSA_11use_defaultEEESK_EEENSH_IJSG_SG_EEES6_PlJ7is_evenIsEEEE10hipError_tPvRmT3_T4_T5_T6_T7_T9_mT8_P12ihipStream_tbDpT10_ENKUlT_T0_E_clISt17integral_constantIbLb0EES18_IbLb1EEEEDaS14_S15_EUlS14_E_NS1_11comp_targetILNS1_3genE9ELNS1_11target_archE1100ELNS1_3gpuE3ELNS1_3repE0EEENS1_30default_config_static_selectorELNS0_4arch9wavefront6targetE1EEEvT1_
		.amdhsa_group_segment_fixed_size 0
		.amdhsa_private_segment_fixed_size 0
		.amdhsa_kernarg_size 152
		.amdhsa_user_sgpr_count 6
		.amdhsa_user_sgpr_private_segment_buffer 1
		.amdhsa_user_sgpr_dispatch_ptr 0
		.amdhsa_user_sgpr_queue_ptr 0
		.amdhsa_user_sgpr_kernarg_segment_ptr 1
		.amdhsa_user_sgpr_dispatch_id 0
		.amdhsa_user_sgpr_flat_scratch_init 0
		.amdhsa_user_sgpr_kernarg_preload_length 0
		.amdhsa_user_sgpr_kernarg_preload_offset 0
		.amdhsa_user_sgpr_private_segment_size 0
		.amdhsa_uses_dynamic_stack 0
		.amdhsa_system_sgpr_private_segment_wavefront_offset 0
		.amdhsa_system_sgpr_workgroup_id_x 1
		.amdhsa_system_sgpr_workgroup_id_y 0
		.amdhsa_system_sgpr_workgroup_id_z 0
		.amdhsa_system_sgpr_workgroup_info 0
		.amdhsa_system_vgpr_workitem_id 0
		.amdhsa_next_free_vgpr 1
		.amdhsa_next_free_sgpr 0
		.amdhsa_accum_offset 4
		.amdhsa_reserve_vcc 0
		.amdhsa_reserve_flat_scratch 0
		.amdhsa_float_round_mode_32 0
		.amdhsa_float_round_mode_16_64 0
		.amdhsa_float_denorm_mode_32 3
		.amdhsa_float_denorm_mode_16_64 3
		.amdhsa_dx10_clamp 1
		.amdhsa_ieee_mode 1
		.amdhsa_fp16_overflow 0
		.amdhsa_tg_split 0
		.amdhsa_exception_fp_ieee_invalid_op 0
		.amdhsa_exception_fp_denorm_src 0
		.amdhsa_exception_fp_ieee_div_zero 0
		.amdhsa_exception_fp_ieee_overflow 0
		.amdhsa_exception_fp_ieee_underflow 0
		.amdhsa_exception_fp_ieee_inexact 0
		.amdhsa_exception_int_div_zero 0
	.end_amdhsa_kernel
	.section	.text._ZN7rocprim17ROCPRIM_400000_NS6detail17trampoline_kernelINS0_14default_configENS1_25partition_config_selectorILNS1_17partition_subalgoE0EsNS0_10empty_typeEbEEZZNS1_14partition_implILS5_0ELb0ES3_jN6thrust23THRUST_200600_302600_NS6detail15normal_iteratorINSA_10device_ptrIsEEEEPS6_SG_NS0_5tupleIJNSA_16discard_iteratorINSA_11use_defaultEEESK_EEENSH_IJSG_SG_EEES6_PlJ7is_evenIsEEEE10hipError_tPvRmT3_T4_T5_T6_T7_T9_mT8_P12ihipStream_tbDpT10_ENKUlT_T0_E_clISt17integral_constantIbLb0EES18_IbLb1EEEEDaS14_S15_EUlS14_E_NS1_11comp_targetILNS1_3genE9ELNS1_11target_archE1100ELNS1_3gpuE3ELNS1_3repE0EEENS1_30default_config_static_selectorELNS0_4arch9wavefront6targetE1EEEvT1_,"axG",@progbits,_ZN7rocprim17ROCPRIM_400000_NS6detail17trampoline_kernelINS0_14default_configENS1_25partition_config_selectorILNS1_17partition_subalgoE0EsNS0_10empty_typeEbEEZZNS1_14partition_implILS5_0ELb0ES3_jN6thrust23THRUST_200600_302600_NS6detail15normal_iteratorINSA_10device_ptrIsEEEEPS6_SG_NS0_5tupleIJNSA_16discard_iteratorINSA_11use_defaultEEESK_EEENSH_IJSG_SG_EEES6_PlJ7is_evenIsEEEE10hipError_tPvRmT3_T4_T5_T6_T7_T9_mT8_P12ihipStream_tbDpT10_ENKUlT_T0_E_clISt17integral_constantIbLb0EES18_IbLb1EEEEDaS14_S15_EUlS14_E_NS1_11comp_targetILNS1_3genE9ELNS1_11target_archE1100ELNS1_3gpuE3ELNS1_3repE0EEENS1_30default_config_static_selectorELNS0_4arch9wavefront6targetE1EEEvT1_,comdat
.Lfunc_end2809:
	.size	_ZN7rocprim17ROCPRIM_400000_NS6detail17trampoline_kernelINS0_14default_configENS1_25partition_config_selectorILNS1_17partition_subalgoE0EsNS0_10empty_typeEbEEZZNS1_14partition_implILS5_0ELb0ES3_jN6thrust23THRUST_200600_302600_NS6detail15normal_iteratorINSA_10device_ptrIsEEEEPS6_SG_NS0_5tupleIJNSA_16discard_iteratorINSA_11use_defaultEEESK_EEENSH_IJSG_SG_EEES6_PlJ7is_evenIsEEEE10hipError_tPvRmT3_T4_T5_T6_T7_T9_mT8_P12ihipStream_tbDpT10_ENKUlT_T0_E_clISt17integral_constantIbLb0EES18_IbLb1EEEEDaS14_S15_EUlS14_E_NS1_11comp_targetILNS1_3genE9ELNS1_11target_archE1100ELNS1_3gpuE3ELNS1_3repE0EEENS1_30default_config_static_selectorELNS0_4arch9wavefront6targetE1EEEvT1_, .Lfunc_end2809-_ZN7rocprim17ROCPRIM_400000_NS6detail17trampoline_kernelINS0_14default_configENS1_25partition_config_selectorILNS1_17partition_subalgoE0EsNS0_10empty_typeEbEEZZNS1_14partition_implILS5_0ELb0ES3_jN6thrust23THRUST_200600_302600_NS6detail15normal_iteratorINSA_10device_ptrIsEEEEPS6_SG_NS0_5tupleIJNSA_16discard_iteratorINSA_11use_defaultEEESK_EEENSH_IJSG_SG_EEES6_PlJ7is_evenIsEEEE10hipError_tPvRmT3_T4_T5_T6_T7_T9_mT8_P12ihipStream_tbDpT10_ENKUlT_T0_E_clISt17integral_constantIbLb0EES18_IbLb1EEEEDaS14_S15_EUlS14_E_NS1_11comp_targetILNS1_3genE9ELNS1_11target_archE1100ELNS1_3gpuE3ELNS1_3repE0EEENS1_30default_config_static_selectorELNS0_4arch9wavefront6targetE1EEEvT1_
                                        ; -- End function
	.section	.AMDGPU.csdata,"",@progbits
; Kernel info:
; codeLenInByte = 0
; NumSgprs: 4
; NumVgprs: 0
; NumAgprs: 0
; TotalNumVgprs: 0
; ScratchSize: 0
; MemoryBound: 0
; FloatMode: 240
; IeeeMode: 1
; LDSByteSize: 0 bytes/workgroup (compile time only)
; SGPRBlocks: 0
; VGPRBlocks: 0
; NumSGPRsForWavesPerEU: 4
; NumVGPRsForWavesPerEU: 1
; AccumOffset: 4
; Occupancy: 8
; WaveLimiterHint : 0
; COMPUTE_PGM_RSRC2:SCRATCH_EN: 0
; COMPUTE_PGM_RSRC2:USER_SGPR: 6
; COMPUTE_PGM_RSRC2:TRAP_HANDLER: 0
; COMPUTE_PGM_RSRC2:TGID_X_EN: 1
; COMPUTE_PGM_RSRC2:TGID_Y_EN: 0
; COMPUTE_PGM_RSRC2:TGID_Z_EN: 0
; COMPUTE_PGM_RSRC2:TIDIG_COMP_CNT: 0
; COMPUTE_PGM_RSRC3_GFX90A:ACCUM_OFFSET: 0
; COMPUTE_PGM_RSRC3_GFX90A:TG_SPLIT: 0
	.section	.text._ZN7rocprim17ROCPRIM_400000_NS6detail17trampoline_kernelINS0_14default_configENS1_25partition_config_selectorILNS1_17partition_subalgoE0EsNS0_10empty_typeEbEEZZNS1_14partition_implILS5_0ELb0ES3_jN6thrust23THRUST_200600_302600_NS6detail15normal_iteratorINSA_10device_ptrIsEEEEPS6_SG_NS0_5tupleIJNSA_16discard_iteratorINSA_11use_defaultEEESK_EEENSH_IJSG_SG_EEES6_PlJ7is_evenIsEEEE10hipError_tPvRmT3_T4_T5_T6_T7_T9_mT8_P12ihipStream_tbDpT10_ENKUlT_T0_E_clISt17integral_constantIbLb0EES18_IbLb1EEEEDaS14_S15_EUlS14_E_NS1_11comp_targetILNS1_3genE8ELNS1_11target_archE1030ELNS1_3gpuE2ELNS1_3repE0EEENS1_30default_config_static_selectorELNS0_4arch9wavefront6targetE1EEEvT1_,"axG",@progbits,_ZN7rocprim17ROCPRIM_400000_NS6detail17trampoline_kernelINS0_14default_configENS1_25partition_config_selectorILNS1_17partition_subalgoE0EsNS0_10empty_typeEbEEZZNS1_14partition_implILS5_0ELb0ES3_jN6thrust23THRUST_200600_302600_NS6detail15normal_iteratorINSA_10device_ptrIsEEEEPS6_SG_NS0_5tupleIJNSA_16discard_iteratorINSA_11use_defaultEEESK_EEENSH_IJSG_SG_EEES6_PlJ7is_evenIsEEEE10hipError_tPvRmT3_T4_T5_T6_T7_T9_mT8_P12ihipStream_tbDpT10_ENKUlT_T0_E_clISt17integral_constantIbLb0EES18_IbLb1EEEEDaS14_S15_EUlS14_E_NS1_11comp_targetILNS1_3genE8ELNS1_11target_archE1030ELNS1_3gpuE2ELNS1_3repE0EEENS1_30default_config_static_selectorELNS0_4arch9wavefront6targetE1EEEvT1_,comdat
	.protected	_ZN7rocprim17ROCPRIM_400000_NS6detail17trampoline_kernelINS0_14default_configENS1_25partition_config_selectorILNS1_17partition_subalgoE0EsNS0_10empty_typeEbEEZZNS1_14partition_implILS5_0ELb0ES3_jN6thrust23THRUST_200600_302600_NS6detail15normal_iteratorINSA_10device_ptrIsEEEEPS6_SG_NS0_5tupleIJNSA_16discard_iteratorINSA_11use_defaultEEESK_EEENSH_IJSG_SG_EEES6_PlJ7is_evenIsEEEE10hipError_tPvRmT3_T4_T5_T6_T7_T9_mT8_P12ihipStream_tbDpT10_ENKUlT_T0_E_clISt17integral_constantIbLb0EES18_IbLb1EEEEDaS14_S15_EUlS14_E_NS1_11comp_targetILNS1_3genE8ELNS1_11target_archE1030ELNS1_3gpuE2ELNS1_3repE0EEENS1_30default_config_static_selectorELNS0_4arch9wavefront6targetE1EEEvT1_ ; -- Begin function _ZN7rocprim17ROCPRIM_400000_NS6detail17trampoline_kernelINS0_14default_configENS1_25partition_config_selectorILNS1_17partition_subalgoE0EsNS0_10empty_typeEbEEZZNS1_14partition_implILS5_0ELb0ES3_jN6thrust23THRUST_200600_302600_NS6detail15normal_iteratorINSA_10device_ptrIsEEEEPS6_SG_NS0_5tupleIJNSA_16discard_iteratorINSA_11use_defaultEEESK_EEENSH_IJSG_SG_EEES6_PlJ7is_evenIsEEEE10hipError_tPvRmT3_T4_T5_T6_T7_T9_mT8_P12ihipStream_tbDpT10_ENKUlT_T0_E_clISt17integral_constantIbLb0EES18_IbLb1EEEEDaS14_S15_EUlS14_E_NS1_11comp_targetILNS1_3genE8ELNS1_11target_archE1030ELNS1_3gpuE2ELNS1_3repE0EEENS1_30default_config_static_selectorELNS0_4arch9wavefront6targetE1EEEvT1_
	.globl	_ZN7rocprim17ROCPRIM_400000_NS6detail17trampoline_kernelINS0_14default_configENS1_25partition_config_selectorILNS1_17partition_subalgoE0EsNS0_10empty_typeEbEEZZNS1_14partition_implILS5_0ELb0ES3_jN6thrust23THRUST_200600_302600_NS6detail15normal_iteratorINSA_10device_ptrIsEEEEPS6_SG_NS0_5tupleIJNSA_16discard_iteratorINSA_11use_defaultEEESK_EEENSH_IJSG_SG_EEES6_PlJ7is_evenIsEEEE10hipError_tPvRmT3_T4_T5_T6_T7_T9_mT8_P12ihipStream_tbDpT10_ENKUlT_T0_E_clISt17integral_constantIbLb0EES18_IbLb1EEEEDaS14_S15_EUlS14_E_NS1_11comp_targetILNS1_3genE8ELNS1_11target_archE1030ELNS1_3gpuE2ELNS1_3repE0EEENS1_30default_config_static_selectorELNS0_4arch9wavefront6targetE1EEEvT1_
	.p2align	8
	.type	_ZN7rocprim17ROCPRIM_400000_NS6detail17trampoline_kernelINS0_14default_configENS1_25partition_config_selectorILNS1_17partition_subalgoE0EsNS0_10empty_typeEbEEZZNS1_14partition_implILS5_0ELb0ES3_jN6thrust23THRUST_200600_302600_NS6detail15normal_iteratorINSA_10device_ptrIsEEEEPS6_SG_NS0_5tupleIJNSA_16discard_iteratorINSA_11use_defaultEEESK_EEENSH_IJSG_SG_EEES6_PlJ7is_evenIsEEEE10hipError_tPvRmT3_T4_T5_T6_T7_T9_mT8_P12ihipStream_tbDpT10_ENKUlT_T0_E_clISt17integral_constantIbLb0EES18_IbLb1EEEEDaS14_S15_EUlS14_E_NS1_11comp_targetILNS1_3genE8ELNS1_11target_archE1030ELNS1_3gpuE2ELNS1_3repE0EEENS1_30default_config_static_selectorELNS0_4arch9wavefront6targetE1EEEvT1_,@function
_ZN7rocprim17ROCPRIM_400000_NS6detail17trampoline_kernelINS0_14default_configENS1_25partition_config_selectorILNS1_17partition_subalgoE0EsNS0_10empty_typeEbEEZZNS1_14partition_implILS5_0ELb0ES3_jN6thrust23THRUST_200600_302600_NS6detail15normal_iteratorINSA_10device_ptrIsEEEEPS6_SG_NS0_5tupleIJNSA_16discard_iteratorINSA_11use_defaultEEESK_EEENSH_IJSG_SG_EEES6_PlJ7is_evenIsEEEE10hipError_tPvRmT3_T4_T5_T6_T7_T9_mT8_P12ihipStream_tbDpT10_ENKUlT_T0_E_clISt17integral_constantIbLb0EES18_IbLb1EEEEDaS14_S15_EUlS14_E_NS1_11comp_targetILNS1_3genE8ELNS1_11target_archE1030ELNS1_3gpuE2ELNS1_3repE0EEENS1_30default_config_static_selectorELNS0_4arch9wavefront6targetE1EEEvT1_: ; @_ZN7rocprim17ROCPRIM_400000_NS6detail17trampoline_kernelINS0_14default_configENS1_25partition_config_selectorILNS1_17partition_subalgoE0EsNS0_10empty_typeEbEEZZNS1_14partition_implILS5_0ELb0ES3_jN6thrust23THRUST_200600_302600_NS6detail15normal_iteratorINSA_10device_ptrIsEEEEPS6_SG_NS0_5tupleIJNSA_16discard_iteratorINSA_11use_defaultEEESK_EEENSH_IJSG_SG_EEES6_PlJ7is_evenIsEEEE10hipError_tPvRmT3_T4_T5_T6_T7_T9_mT8_P12ihipStream_tbDpT10_ENKUlT_T0_E_clISt17integral_constantIbLb0EES18_IbLb1EEEEDaS14_S15_EUlS14_E_NS1_11comp_targetILNS1_3genE8ELNS1_11target_archE1030ELNS1_3gpuE2ELNS1_3repE0EEENS1_30default_config_static_selectorELNS0_4arch9wavefront6targetE1EEEvT1_
; %bb.0:
	.section	.rodata,"a",@progbits
	.p2align	6, 0x0
	.amdhsa_kernel _ZN7rocprim17ROCPRIM_400000_NS6detail17trampoline_kernelINS0_14default_configENS1_25partition_config_selectorILNS1_17partition_subalgoE0EsNS0_10empty_typeEbEEZZNS1_14partition_implILS5_0ELb0ES3_jN6thrust23THRUST_200600_302600_NS6detail15normal_iteratorINSA_10device_ptrIsEEEEPS6_SG_NS0_5tupleIJNSA_16discard_iteratorINSA_11use_defaultEEESK_EEENSH_IJSG_SG_EEES6_PlJ7is_evenIsEEEE10hipError_tPvRmT3_T4_T5_T6_T7_T9_mT8_P12ihipStream_tbDpT10_ENKUlT_T0_E_clISt17integral_constantIbLb0EES18_IbLb1EEEEDaS14_S15_EUlS14_E_NS1_11comp_targetILNS1_3genE8ELNS1_11target_archE1030ELNS1_3gpuE2ELNS1_3repE0EEENS1_30default_config_static_selectorELNS0_4arch9wavefront6targetE1EEEvT1_
		.amdhsa_group_segment_fixed_size 0
		.amdhsa_private_segment_fixed_size 0
		.amdhsa_kernarg_size 152
		.amdhsa_user_sgpr_count 6
		.amdhsa_user_sgpr_private_segment_buffer 1
		.amdhsa_user_sgpr_dispatch_ptr 0
		.amdhsa_user_sgpr_queue_ptr 0
		.amdhsa_user_sgpr_kernarg_segment_ptr 1
		.amdhsa_user_sgpr_dispatch_id 0
		.amdhsa_user_sgpr_flat_scratch_init 0
		.amdhsa_user_sgpr_kernarg_preload_length 0
		.amdhsa_user_sgpr_kernarg_preload_offset 0
		.amdhsa_user_sgpr_private_segment_size 0
		.amdhsa_uses_dynamic_stack 0
		.amdhsa_system_sgpr_private_segment_wavefront_offset 0
		.amdhsa_system_sgpr_workgroup_id_x 1
		.amdhsa_system_sgpr_workgroup_id_y 0
		.amdhsa_system_sgpr_workgroup_id_z 0
		.amdhsa_system_sgpr_workgroup_info 0
		.amdhsa_system_vgpr_workitem_id 0
		.amdhsa_next_free_vgpr 1
		.amdhsa_next_free_sgpr 0
		.amdhsa_accum_offset 4
		.amdhsa_reserve_vcc 0
		.amdhsa_reserve_flat_scratch 0
		.amdhsa_float_round_mode_32 0
		.amdhsa_float_round_mode_16_64 0
		.amdhsa_float_denorm_mode_32 3
		.amdhsa_float_denorm_mode_16_64 3
		.amdhsa_dx10_clamp 1
		.amdhsa_ieee_mode 1
		.amdhsa_fp16_overflow 0
		.amdhsa_tg_split 0
		.amdhsa_exception_fp_ieee_invalid_op 0
		.amdhsa_exception_fp_denorm_src 0
		.amdhsa_exception_fp_ieee_div_zero 0
		.amdhsa_exception_fp_ieee_overflow 0
		.amdhsa_exception_fp_ieee_underflow 0
		.amdhsa_exception_fp_ieee_inexact 0
		.amdhsa_exception_int_div_zero 0
	.end_amdhsa_kernel
	.section	.text._ZN7rocprim17ROCPRIM_400000_NS6detail17trampoline_kernelINS0_14default_configENS1_25partition_config_selectorILNS1_17partition_subalgoE0EsNS0_10empty_typeEbEEZZNS1_14partition_implILS5_0ELb0ES3_jN6thrust23THRUST_200600_302600_NS6detail15normal_iteratorINSA_10device_ptrIsEEEEPS6_SG_NS0_5tupleIJNSA_16discard_iteratorINSA_11use_defaultEEESK_EEENSH_IJSG_SG_EEES6_PlJ7is_evenIsEEEE10hipError_tPvRmT3_T4_T5_T6_T7_T9_mT8_P12ihipStream_tbDpT10_ENKUlT_T0_E_clISt17integral_constantIbLb0EES18_IbLb1EEEEDaS14_S15_EUlS14_E_NS1_11comp_targetILNS1_3genE8ELNS1_11target_archE1030ELNS1_3gpuE2ELNS1_3repE0EEENS1_30default_config_static_selectorELNS0_4arch9wavefront6targetE1EEEvT1_,"axG",@progbits,_ZN7rocprim17ROCPRIM_400000_NS6detail17trampoline_kernelINS0_14default_configENS1_25partition_config_selectorILNS1_17partition_subalgoE0EsNS0_10empty_typeEbEEZZNS1_14partition_implILS5_0ELb0ES3_jN6thrust23THRUST_200600_302600_NS6detail15normal_iteratorINSA_10device_ptrIsEEEEPS6_SG_NS0_5tupleIJNSA_16discard_iteratorINSA_11use_defaultEEESK_EEENSH_IJSG_SG_EEES6_PlJ7is_evenIsEEEE10hipError_tPvRmT3_T4_T5_T6_T7_T9_mT8_P12ihipStream_tbDpT10_ENKUlT_T0_E_clISt17integral_constantIbLb0EES18_IbLb1EEEEDaS14_S15_EUlS14_E_NS1_11comp_targetILNS1_3genE8ELNS1_11target_archE1030ELNS1_3gpuE2ELNS1_3repE0EEENS1_30default_config_static_selectorELNS0_4arch9wavefront6targetE1EEEvT1_,comdat
.Lfunc_end2810:
	.size	_ZN7rocprim17ROCPRIM_400000_NS6detail17trampoline_kernelINS0_14default_configENS1_25partition_config_selectorILNS1_17partition_subalgoE0EsNS0_10empty_typeEbEEZZNS1_14partition_implILS5_0ELb0ES3_jN6thrust23THRUST_200600_302600_NS6detail15normal_iteratorINSA_10device_ptrIsEEEEPS6_SG_NS0_5tupleIJNSA_16discard_iteratorINSA_11use_defaultEEESK_EEENSH_IJSG_SG_EEES6_PlJ7is_evenIsEEEE10hipError_tPvRmT3_T4_T5_T6_T7_T9_mT8_P12ihipStream_tbDpT10_ENKUlT_T0_E_clISt17integral_constantIbLb0EES18_IbLb1EEEEDaS14_S15_EUlS14_E_NS1_11comp_targetILNS1_3genE8ELNS1_11target_archE1030ELNS1_3gpuE2ELNS1_3repE0EEENS1_30default_config_static_selectorELNS0_4arch9wavefront6targetE1EEEvT1_, .Lfunc_end2810-_ZN7rocprim17ROCPRIM_400000_NS6detail17trampoline_kernelINS0_14default_configENS1_25partition_config_selectorILNS1_17partition_subalgoE0EsNS0_10empty_typeEbEEZZNS1_14partition_implILS5_0ELb0ES3_jN6thrust23THRUST_200600_302600_NS6detail15normal_iteratorINSA_10device_ptrIsEEEEPS6_SG_NS0_5tupleIJNSA_16discard_iteratorINSA_11use_defaultEEESK_EEENSH_IJSG_SG_EEES6_PlJ7is_evenIsEEEE10hipError_tPvRmT3_T4_T5_T6_T7_T9_mT8_P12ihipStream_tbDpT10_ENKUlT_T0_E_clISt17integral_constantIbLb0EES18_IbLb1EEEEDaS14_S15_EUlS14_E_NS1_11comp_targetILNS1_3genE8ELNS1_11target_archE1030ELNS1_3gpuE2ELNS1_3repE0EEENS1_30default_config_static_selectorELNS0_4arch9wavefront6targetE1EEEvT1_
                                        ; -- End function
	.section	.AMDGPU.csdata,"",@progbits
; Kernel info:
; codeLenInByte = 0
; NumSgprs: 4
; NumVgprs: 0
; NumAgprs: 0
; TotalNumVgprs: 0
; ScratchSize: 0
; MemoryBound: 0
; FloatMode: 240
; IeeeMode: 1
; LDSByteSize: 0 bytes/workgroup (compile time only)
; SGPRBlocks: 0
; VGPRBlocks: 0
; NumSGPRsForWavesPerEU: 4
; NumVGPRsForWavesPerEU: 1
; AccumOffset: 4
; Occupancy: 8
; WaveLimiterHint : 0
; COMPUTE_PGM_RSRC2:SCRATCH_EN: 0
; COMPUTE_PGM_RSRC2:USER_SGPR: 6
; COMPUTE_PGM_RSRC2:TRAP_HANDLER: 0
; COMPUTE_PGM_RSRC2:TGID_X_EN: 1
; COMPUTE_PGM_RSRC2:TGID_Y_EN: 0
; COMPUTE_PGM_RSRC2:TGID_Z_EN: 0
; COMPUTE_PGM_RSRC2:TIDIG_COMP_CNT: 0
; COMPUTE_PGM_RSRC3_GFX90A:ACCUM_OFFSET: 0
; COMPUTE_PGM_RSRC3_GFX90A:TG_SPLIT: 0
	.section	.text._ZN7rocprim17ROCPRIM_400000_NS6detail17trampoline_kernelINS0_14default_configENS1_25partition_config_selectorILNS1_17partition_subalgoE0EsNS0_10empty_typeEbEEZZNS1_14partition_implILS5_0ELb0ES3_jN6thrust23THRUST_200600_302600_NS6detail15normal_iteratorINSA_10device_ptrIsEEEEPS6_SG_NS0_5tupleIJSF_NSA_16discard_iteratorINSA_11use_defaultEEEEEENSH_IJSG_SG_EEES6_PlJ7is_evenIsEEEE10hipError_tPvRmT3_T4_T5_T6_T7_T9_mT8_P12ihipStream_tbDpT10_ENKUlT_T0_E_clISt17integral_constantIbLb0EES19_EEDaS14_S15_EUlS14_E_NS1_11comp_targetILNS1_3genE0ELNS1_11target_archE4294967295ELNS1_3gpuE0ELNS1_3repE0EEENS1_30default_config_static_selectorELNS0_4arch9wavefront6targetE1EEEvT1_,"axG",@progbits,_ZN7rocprim17ROCPRIM_400000_NS6detail17trampoline_kernelINS0_14default_configENS1_25partition_config_selectorILNS1_17partition_subalgoE0EsNS0_10empty_typeEbEEZZNS1_14partition_implILS5_0ELb0ES3_jN6thrust23THRUST_200600_302600_NS6detail15normal_iteratorINSA_10device_ptrIsEEEEPS6_SG_NS0_5tupleIJSF_NSA_16discard_iteratorINSA_11use_defaultEEEEEENSH_IJSG_SG_EEES6_PlJ7is_evenIsEEEE10hipError_tPvRmT3_T4_T5_T6_T7_T9_mT8_P12ihipStream_tbDpT10_ENKUlT_T0_E_clISt17integral_constantIbLb0EES19_EEDaS14_S15_EUlS14_E_NS1_11comp_targetILNS1_3genE0ELNS1_11target_archE4294967295ELNS1_3gpuE0ELNS1_3repE0EEENS1_30default_config_static_selectorELNS0_4arch9wavefront6targetE1EEEvT1_,comdat
	.protected	_ZN7rocprim17ROCPRIM_400000_NS6detail17trampoline_kernelINS0_14default_configENS1_25partition_config_selectorILNS1_17partition_subalgoE0EsNS0_10empty_typeEbEEZZNS1_14partition_implILS5_0ELb0ES3_jN6thrust23THRUST_200600_302600_NS6detail15normal_iteratorINSA_10device_ptrIsEEEEPS6_SG_NS0_5tupleIJSF_NSA_16discard_iteratorINSA_11use_defaultEEEEEENSH_IJSG_SG_EEES6_PlJ7is_evenIsEEEE10hipError_tPvRmT3_T4_T5_T6_T7_T9_mT8_P12ihipStream_tbDpT10_ENKUlT_T0_E_clISt17integral_constantIbLb0EES19_EEDaS14_S15_EUlS14_E_NS1_11comp_targetILNS1_3genE0ELNS1_11target_archE4294967295ELNS1_3gpuE0ELNS1_3repE0EEENS1_30default_config_static_selectorELNS0_4arch9wavefront6targetE1EEEvT1_ ; -- Begin function _ZN7rocprim17ROCPRIM_400000_NS6detail17trampoline_kernelINS0_14default_configENS1_25partition_config_selectorILNS1_17partition_subalgoE0EsNS0_10empty_typeEbEEZZNS1_14partition_implILS5_0ELb0ES3_jN6thrust23THRUST_200600_302600_NS6detail15normal_iteratorINSA_10device_ptrIsEEEEPS6_SG_NS0_5tupleIJSF_NSA_16discard_iteratorINSA_11use_defaultEEEEEENSH_IJSG_SG_EEES6_PlJ7is_evenIsEEEE10hipError_tPvRmT3_T4_T5_T6_T7_T9_mT8_P12ihipStream_tbDpT10_ENKUlT_T0_E_clISt17integral_constantIbLb0EES19_EEDaS14_S15_EUlS14_E_NS1_11comp_targetILNS1_3genE0ELNS1_11target_archE4294967295ELNS1_3gpuE0ELNS1_3repE0EEENS1_30default_config_static_selectorELNS0_4arch9wavefront6targetE1EEEvT1_
	.globl	_ZN7rocprim17ROCPRIM_400000_NS6detail17trampoline_kernelINS0_14default_configENS1_25partition_config_selectorILNS1_17partition_subalgoE0EsNS0_10empty_typeEbEEZZNS1_14partition_implILS5_0ELb0ES3_jN6thrust23THRUST_200600_302600_NS6detail15normal_iteratorINSA_10device_ptrIsEEEEPS6_SG_NS0_5tupleIJSF_NSA_16discard_iteratorINSA_11use_defaultEEEEEENSH_IJSG_SG_EEES6_PlJ7is_evenIsEEEE10hipError_tPvRmT3_T4_T5_T6_T7_T9_mT8_P12ihipStream_tbDpT10_ENKUlT_T0_E_clISt17integral_constantIbLb0EES19_EEDaS14_S15_EUlS14_E_NS1_11comp_targetILNS1_3genE0ELNS1_11target_archE4294967295ELNS1_3gpuE0ELNS1_3repE0EEENS1_30default_config_static_selectorELNS0_4arch9wavefront6targetE1EEEvT1_
	.p2align	8
	.type	_ZN7rocprim17ROCPRIM_400000_NS6detail17trampoline_kernelINS0_14default_configENS1_25partition_config_selectorILNS1_17partition_subalgoE0EsNS0_10empty_typeEbEEZZNS1_14partition_implILS5_0ELb0ES3_jN6thrust23THRUST_200600_302600_NS6detail15normal_iteratorINSA_10device_ptrIsEEEEPS6_SG_NS0_5tupleIJSF_NSA_16discard_iteratorINSA_11use_defaultEEEEEENSH_IJSG_SG_EEES6_PlJ7is_evenIsEEEE10hipError_tPvRmT3_T4_T5_T6_T7_T9_mT8_P12ihipStream_tbDpT10_ENKUlT_T0_E_clISt17integral_constantIbLb0EES19_EEDaS14_S15_EUlS14_E_NS1_11comp_targetILNS1_3genE0ELNS1_11target_archE4294967295ELNS1_3gpuE0ELNS1_3repE0EEENS1_30default_config_static_selectorELNS0_4arch9wavefront6targetE1EEEvT1_,@function
_ZN7rocprim17ROCPRIM_400000_NS6detail17trampoline_kernelINS0_14default_configENS1_25partition_config_selectorILNS1_17partition_subalgoE0EsNS0_10empty_typeEbEEZZNS1_14partition_implILS5_0ELb0ES3_jN6thrust23THRUST_200600_302600_NS6detail15normal_iteratorINSA_10device_ptrIsEEEEPS6_SG_NS0_5tupleIJSF_NSA_16discard_iteratorINSA_11use_defaultEEEEEENSH_IJSG_SG_EEES6_PlJ7is_evenIsEEEE10hipError_tPvRmT3_T4_T5_T6_T7_T9_mT8_P12ihipStream_tbDpT10_ENKUlT_T0_E_clISt17integral_constantIbLb0EES19_EEDaS14_S15_EUlS14_E_NS1_11comp_targetILNS1_3genE0ELNS1_11target_archE4294967295ELNS1_3gpuE0ELNS1_3repE0EEENS1_30default_config_static_selectorELNS0_4arch9wavefront6targetE1EEEvT1_: ; @_ZN7rocprim17ROCPRIM_400000_NS6detail17trampoline_kernelINS0_14default_configENS1_25partition_config_selectorILNS1_17partition_subalgoE0EsNS0_10empty_typeEbEEZZNS1_14partition_implILS5_0ELb0ES3_jN6thrust23THRUST_200600_302600_NS6detail15normal_iteratorINSA_10device_ptrIsEEEEPS6_SG_NS0_5tupleIJSF_NSA_16discard_iteratorINSA_11use_defaultEEEEEENSH_IJSG_SG_EEES6_PlJ7is_evenIsEEEE10hipError_tPvRmT3_T4_T5_T6_T7_T9_mT8_P12ihipStream_tbDpT10_ENKUlT_T0_E_clISt17integral_constantIbLb0EES19_EEDaS14_S15_EUlS14_E_NS1_11comp_targetILNS1_3genE0ELNS1_11target_archE4294967295ELNS1_3gpuE0ELNS1_3repE0EEENS1_30default_config_static_selectorELNS0_4arch9wavefront6targetE1EEEvT1_
; %bb.0:
	.section	.rodata,"a",@progbits
	.p2align	6, 0x0
	.amdhsa_kernel _ZN7rocprim17ROCPRIM_400000_NS6detail17trampoline_kernelINS0_14default_configENS1_25partition_config_selectorILNS1_17partition_subalgoE0EsNS0_10empty_typeEbEEZZNS1_14partition_implILS5_0ELb0ES3_jN6thrust23THRUST_200600_302600_NS6detail15normal_iteratorINSA_10device_ptrIsEEEEPS6_SG_NS0_5tupleIJSF_NSA_16discard_iteratorINSA_11use_defaultEEEEEENSH_IJSG_SG_EEES6_PlJ7is_evenIsEEEE10hipError_tPvRmT3_T4_T5_T6_T7_T9_mT8_P12ihipStream_tbDpT10_ENKUlT_T0_E_clISt17integral_constantIbLb0EES19_EEDaS14_S15_EUlS14_E_NS1_11comp_targetILNS1_3genE0ELNS1_11target_archE4294967295ELNS1_3gpuE0ELNS1_3repE0EEENS1_30default_config_static_selectorELNS0_4arch9wavefront6targetE1EEEvT1_
		.amdhsa_group_segment_fixed_size 0
		.amdhsa_private_segment_fixed_size 0
		.amdhsa_kernarg_size 128
		.amdhsa_user_sgpr_count 6
		.amdhsa_user_sgpr_private_segment_buffer 1
		.amdhsa_user_sgpr_dispatch_ptr 0
		.amdhsa_user_sgpr_queue_ptr 0
		.amdhsa_user_sgpr_kernarg_segment_ptr 1
		.amdhsa_user_sgpr_dispatch_id 0
		.amdhsa_user_sgpr_flat_scratch_init 0
		.amdhsa_user_sgpr_kernarg_preload_length 0
		.amdhsa_user_sgpr_kernarg_preload_offset 0
		.amdhsa_user_sgpr_private_segment_size 0
		.amdhsa_uses_dynamic_stack 0
		.amdhsa_system_sgpr_private_segment_wavefront_offset 0
		.amdhsa_system_sgpr_workgroup_id_x 1
		.amdhsa_system_sgpr_workgroup_id_y 0
		.amdhsa_system_sgpr_workgroup_id_z 0
		.amdhsa_system_sgpr_workgroup_info 0
		.amdhsa_system_vgpr_workitem_id 0
		.amdhsa_next_free_vgpr 1
		.amdhsa_next_free_sgpr 0
		.amdhsa_accum_offset 4
		.amdhsa_reserve_vcc 0
		.amdhsa_reserve_flat_scratch 0
		.amdhsa_float_round_mode_32 0
		.amdhsa_float_round_mode_16_64 0
		.amdhsa_float_denorm_mode_32 3
		.amdhsa_float_denorm_mode_16_64 3
		.amdhsa_dx10_clamp 1
		.amdhsa_ieee_mode 1
		.amdhsa_fp16_overflow 0
		.amdhsa_tg_split 0
		.amdhsa_exception_fp_ieee_invalid_op 0
		.amdhsa_exception_fp_denorm_src 0
		.amdhsa_exception_fp_ieee_div_zero 0
		.amdhsa_exception_fp_ieee_overflow 0
		.amdhsa_exception_fp_ieee_underflow 0
		.amdhsa_exception_fp_ieee_inexact 0
		.amdhsa_exception_int_div_zero 0
	.end_amdhsa_kernel
	.section	.text._ZN7rocprim17ROCPRIM_400000_NS6detail17trampoline_kernelINS0_14default_configENS1_25partition_config_selectorILNS1_17partition_subalgoE0EsNS0_10empty_typeEbEEZZNS1_14partition_implILS5_0ELb0ES3_jN6thrust23THRUST_200600_302600_NS6detail15normal_iteratorINSA_10device_ptrIsEEEEPS6_SG_NS0_5tupleIJSF_NSA_16discard_iteratorINSA_11use_defaultEEEEEENSH_IJSG_SG_EEES6_PlJ7is_evenIsEEEE10hipError_tPvRmT3_T4_T5_T6_T7_T9_mT8_P12ihipStream_tbDpT10_ENKUlT_T0_E_clISt17integral_constantIbLb0EES19_EEDaS14_S15_EUlS14_E_NS1_11comp_targetILNS1_3genE0ELNS1_11target_archE4294967295ELNS1_3gpuE0ELNS1_3repE0EEENS1_30default_config_static_selectorELNS0_4arch9wavefront6targetE1EEEvT1_,"axG",@progbits,_ZN7rocprim17ROCPRIM_400000_NS6detail17trampoline_kernelINS0_14default_configENS1_25partition_config_selectorILNS1_17partition_subalgoE0EsNS0_10empty_typeEbEEZZNS1_14partition_implILS5_0ELb0ES3_jN6thrust23THRUST_200600_302600_NS6detail15normal_iteratorINSA_10device_ptrIsEEEEPS6_SG_NS0_5tupleIJSF_NSA_16discard_iteratorINSA_11use_defaultEEEEEENSH_IJSG_SG_EEES6_PlJ7is_evenIsEEEE10hipError_tPvRmT3_T4_T5_T6_T7_T9_mT8_P12ihipStream_tbDpT10_ENKUlT_T0_E_clISt17integral_constantIbLb0EES19_EEDaS14_S15_EUlS14_E_NS1_11comp_targetILNS1_3genE0ELNS1_11target_archE4294967295ELNS1_3gpuE0ELNS1_3repE0EEENS1_30default_config_static_selectorELNS0_4arch9wavefront6targetE1EEEvT1_,comdat
.Lfunc_end2811:
	.size	_ZN7rocprim17ROCPRIM_400000_NS6detail17trampoline_kernelINS0_14default_configENS1_25partition_config_selectorILNS1_17partition_subalgoE0EsNS0_10empty_typeEbEEZZNS1_14partition_implILS5_0ELb0ES3_jN6thrust23THRUST_200600_302600_NS6detail15normal_iteratorINSA_10device_ptrIsEEEEPS6_SG_NS0_5tupleIJSF_NSA_16discard_iteratorINSA_11use_defaultEEEEEENSH_IJSG_SG_EEES6_PlJ7is_evenIsEEEE10hipError_tPvRmT3_T4_T5_T6_T7_T9_mT8_P12ihipStream_tbDpT10_ENKUlT_T0_E_clISt17integral_constantIbLb0EES19_EEDaS14_S15_EUlS14_E_NS1_11comp_targetILNS1_3genE0ELNS1_11target_archE4294967295ELNS1_3gpuE0ELNS1_3repE0EEENS1_30default_config_static_selectorELNS0_4arch9wavefront6targetE1EEEvT1_, .Lfunc_end2811-_ZN7rocprim17ROCPRIM_400000_NS6detail17trampoline_kernelINS0_14default_configENS1_25partition_config_selectorILNS1_17partition_subalgoE0EsNS0_10empty_typeEbEEZZNS1_14partition_implILS5_0ELb0ES3_jN6thrust23THRUST_200600_302600_NS6detail15normal_iteratorINSA_10device_ptrIsEEEEPS6_SG_NS0_5tupleIJSF_NSA_16discard_iteratorINSA_11use_defaultEEEEEENSH_IJSG_SG_EEES6_PlJ7is_evenIsEEEE10hipError_tPvRmT3_T4_T5_T6_T7_T9_mT8_P12ihipStream_tbDpT10_ENKUlT_T0_E_clISt17integral_constantIbLb0EES19_EEDaS14_S15_EUlS14_E_NS1_11comp_targetILNS1_3genE0ELNS1_11target_archE4294967295ELNS1_3gpuE0ELNS1_3repE0EEENS1_30default_config_static_selectorELNS0_4arch9wavefront6targetE1EEEvT1_
                                        ; -- End function
	.section	.AMDGPU.csdata,"",@progbits
; Kernel info:
; codeLenInByte = 0
; NumSgprs: 4
; NumVgprs: 0
; NumAgprs: 0
; TotalNumVgprs: 0
; ScratchSize: 0
; MemoryBound: 0
; FloatMode: 240
; IeeeMode: 1
; LDSByteSize: 0 bytes/workgroup (compile time only)
; SGPRBlocks: 0
; VGPRBlocks: 0
; NumSGPRsForWavesPerEU: 4
; NumVGPRsForWavesPerEU: 1
; AccumOffset: 4
; Occupancy: 8
; WaveLimiterHint : 0
; COMPUTE_PGM_RSRC2:SCRATCH_EN: 0
; COMPUTE_PGM_RSRC2:USER_SGPR: 6
; COMPUTE_PGM_RSRC2:TRAP_HANDLER: 0
; COMPUTE_PGM_RSRC2:TGID_X_EN: 1
; COMPUTE_PGM_RSRC2:TGID_Y_EN: 0
; COMPUTE_PGM_RSRC2:TGID_Z_EN: 0
; COMPUTE_PGM_RSRC2:TIDIG_COMP_CNT: 0
; COMPUTE_PGM_RSRC3_GFX90A:ACCUM_OFFSET: 0
; COMPUTE_PGM_RSRC3_GFX90A:TG_SPLIT: 0
	.section	.text._ZN7rocprim17ROCPRIM_400000_NS6detail17trampoline_kernelINS0_14default_configENS1_25partition_config_selectorILNS1_17partition_subalgoE0EsNS0_10empty_typeEbEEZZNS1_14partition_implILS5_0ELb0ES3_jN6thrust23THRUST_200600_302600_NS6detail15normal_iteratorINSA_10device_ptrIsEEEEPS6_SG_NS0_5tupleIJSF_NSA_16discard_iteratorINSA_11use_defaultEEEEEENSH_IJSG_SG_EEES6_PlJ7is_evenIsEEEE10hipError_tPvRmT3_T4_T5_T6_T7_T9_mT8_P12ihipStream_tbDpT10_ENKUlT_T0_E_clISt17integral_constantIbLb0EES19_EEDaS14_S15_EUlS14_E_NS1_11comp_targetILNS1_3genE5ELNS1_11target_archE942ELNS1_3gpuE9ELNS1_3repE0EEENS1_30default_config_static_selectorELNS0_4arch9wavefront6targetE1EEEvT1_,"axG",@progbits,_ZN7rocprim17ROCPRIM_400000_NS6detail17trampoline_kernelINS0_14default_configENS1_25partition_config_selectorILNS1_17partition_subalgoE0EsNS0_10empty_typeEbEEZZNS1_14partition_implILS5_0ELb0ES3_jN6thrust23THRUST_200600_302600_NS6detail15normal_iteratorINSA_10device_ptrIsEEEEPS6_SG_NS0_5tupleIJSF_NSA_16discard_iteratorINSA_11use_defaultEEEEEENSH_IJSG_SG_EEES6_PlJ7is_evenIsEEEE10hipError_tPvRmT3_T4_T5_T6_T7_T9_mT8_P12ihipStream_tbDpT10_ENKUlT_T0_E_clISt17integral_constantIbLb0EES19_EEDaS14_S15_EUlS14_E_NS1_11comp_targetILNS1_3genE5ELNS1_11target_archE942ELNS1_3gpuE9ELNS1_3repE0EEENS1_30default_config_static_selectorELNS0_4arch9wavefront6targetE1EEEvT1_,comdat
	.protected	_ZN7rocprim17ROCPRIM_400000_NS6detail17trampoline_kernelINS0_14default_configENS1_25partition_config_selectorILNS1_17partition_subalgoE0EsNS0_10empty_typeEbEEZZNS1_14partition_implILS5_0ELb0ES3_jN6thrust23THRUST_200600_302600_NS6detail15normal_iteratorINSA_10device_ptrIsEEEEPS6_SG_NS0_5tupleIJSF_NSA_16discard_iteratorINSA_11use_defaultEEEEEENSH_IJSG_SG_EEES6_PlJ7is_evenIsEEEE10hipError_tPvRmT3_T4_T5_T6_T7_T9_mT8_P12ihipStream_tbDpT10_ENKUlT_T0_E_clISt17integral_constantIbLb0EES19_EEDaS14_S15_EUlS14_E_NS1_11comp_targetILNS1_3genE5ELNS1_11target_archE942ELNS1_3gpuE9ELNS1_3repE0EEENS1_30default_config_static_selectorELNS0_4arch9wavefront6targetE1EEEvT1_ ; -- Begin function _ZN7rocprim17ROCPRIM_400000_NS6detail17trampoline_kernelINS0_14default_configENS1_25partition_config_selectorILNS1_17partition_subalgoE0EsNS0_10empty_typeEbEEZZNS1_14partition_implILS5_0ELb0ES3_jN6thrust23THRUST_200600_302600_NS6detail15normal_iteratorINSA_10device_ptrIsEEEEPS6_SG_NS0_5tupleIJSF_NSA_16discard_iteratorINSA_11use_defaultEEEEEENSH_IJSG_SG_EEES6_PlJ7is_evenIsEEEE10hipError_tPvRmT3_T4_T5_T6_T7_T9_mT8_P12ihipStream_tbDpT10_ENKUlT_T0_E_clISt17integral_constantIbLb0EES19_EEDaS14_S15_EUlS14_E_NS1_11comp_targetILNS1_3genE5ELNS1_11target_archE942ELNS1_3gpuE9ELNS1_3repE0EEENS1_30default_config_static_selectorELNS0_4arch9wavefront6targetE1EEEvT1_
	.globl	_ZN7rocprim17ROCPRIM_400000_NS6detail17trampoline_kernelINS0_14default_configENS1_25partition_config_selectorILNS1_17partition_subalgoE0EsNS0_10empty_typeEbEEZZNS1_14partition_implILS5_0ELb0ES3_jN6thrust23THRUST_200600_302600_NS6detail15normal_iteratorINSA_10device_ptrIsEEEEPS6_SG_NS0_5tupleIJSF_NSA_16discard_iteratorINSA_11use_defaultEEEEEENSH_IJSG_SG_EEES6_PlJ7is_evenIsEEEE10hipError_tPvRmT3_T4_T5_T6_T7_T9_mT8_P12ihipStream_tbDpT10_ENKUlT_T0_E_clISt17integral_constantIbLb0EES19_EEDaS14_S15_EUlS14_E_NS1_11comp_targetILNS1_3genE5ELNS1_11target_archE942ELNS1_3gpuE9ELNS1_3repE0EEENS1_30default_config_static_selectorELNS0_4arch9wavefront6targetE1EEEvT1_
	.p2align	8
	.type	_ZN7rocprim17ROCPRIM_400000_NS6detail17trampoline_kernelINS0_14default_configENS1_25partition_config_selectorILNS1_17partition_subalgoE0EsNS0_10empty_typeEbEEZZNS1_14partition_implILS5_0ELb0ES3_jN6thrust23THRUST_200600_302600_NS6detail15normal_iteratorINSA_10device_ptrIsEEEEPS6_SG_NS0_5tupleIJSF_NSA_16discard_iteratorINSA_11use_defaultEEEEEENSH_IJSG_SG_EEES6_PlJ7is_evenIsEEEE10hipError_tPvRmT3_T4_T5_T6_T7_T9_mT8_P12ihipStream_tbDpT10_ENKUlT_T0_E_clISt17integral_constantIbLb0EES19_EEDaS14_S15_EUlS14_E_NS1_11comp_targetILNS1_3genE5ELNS1_11target_archE942ELNS1_3gpuE9ELNS1_3repE0EEENS1_30default_config_static_selectorELNS0_4arch9wavefront6targetE1EEEvT1_,@function
_ZN7rocprim17ROCPRIM_400000_NS6detail17trampoline_kernelINS0_14default_configENS1_25partition_config_selectorILNS1_17partition_subalgoE0EsNS0_10empty_typeEbEEZZNS1_14partition_implILS5_0ELb0ES3_jN6thrust23THRUST_200600_302600_NS6detail15normal_iteratorINSA_10device_ptrIsEEEEPS6_SG_NS0_5tupleIJSF_NSA_16discard_iteratorINSA_11use_defaultEEEEEENSH_IJSG_SG_EEES6_PlJ7is_evenIsEEEE10hipError_tPvRmT3_T4_T5_T6_T7_T9_mT8_P12ihipStream_tbDpT10_ENKUlT_T0_E_clISt17integral_constantIbLb0EES19_EEDaS14_S15_EUlS14_E_NS1_11comp_targetILNS1_3genE5ELNS1_11target_archE942ELNS1_3gpuE9ELNS1_3repE0EEENS1_30default_config_static_selectorELNS0_4arch9wavefront6targetE1EEEvT1_: ; @_ZN7rocprim17ROCPRIM_400000_NS6detail17trampoline_kernelINS0_14default_configENS1_25partition_config_selectorILNS1_17partition_subalgoE0EsNS0_10empty_typeEbEEZZNS1_14partition_implILS5_0ELb0ES3_jN6thrust23THRUST_200600_302600_NS6detail15normal_iteratorINSA_10device_ptrIsEEEEPS6_SG_NS0_5tupleIJSF_NSA_16discard_iteratorINSA_11use_defaultEEEEEENSH_IJSG_SG_EEES6_PlJ7is_evenIsEEEE10hipError_tPvRmT3_T4_T5_T6_T7_T9_mT8_P12ihipStream_tbDpT10_ENKUlT_T0_E_clISt17integral_constantIbLb0EES19_EEDaS14_S15_EUlS14_E_NS1_11comp_targetILNS1_3genE5ELNS1_11target_archE942ELNS1_3gpuE9ELNS1_3repE0EEENS1_30default_config_static_selectorELNS0_4arch9wavefront6targetE1EEEvT1_
; %bb.0:
	.section	.rodata,"a",@progbits
	.p2align	6, 0x0
	.amdhsa_kernel _ZN7rocprim17ROCPRIM_400000_NS6detail17trampoline_kernelINS0_14default_configENS1_25partition_config_selectorILNS1_17partition_subalgoE0EsNS0_10empty_typeEbEEZZNS1_14partition_implILS5_0ELb0ES3_jN6thrust23THRUST_200600_302600_NS6detail15normal_iteratorINSA_10device_ptrIsEEEEPS6_SG_NS0_5tupleIJSF_NSA_16discard_iteratorINSA_11use_defaultEEEEEENSH_IJSG_SG_EEES6_PlJ7is_evenIsEEEE10hipError_tPvRmT3_T4_T5_T6_T7_T9_mT8_P12ihipStream_tbDpT10_ENKUlT_T0_E_clISt17integral_constantIbLb0EES19_EEDaS14_S15_EUlS14_E_NS1_11comp_targetILNS1_3genE5ELNS1_11target_archE942ELNS1_3gpuE9ELNS1_3repE0EEENS1_30default_config_static_selectorELNS0_4arch9wavefront6targetE1EEEvT1_
		.amdhsa_group_segment_fixed_size 0
		.amdhsa_private_segment_fixed_size 0
		.amdhsa_kernarg_size 128
		.amdhsa_user_sgpr_count 6
		.amdhsa_user_sgpr_private_segment_buffer 1
		.amdhsa_user_sgpr_dispatch_ptr 0
		.amdhsa_user_sgpr_queue_ptr 0
		.amdhsa_user_sgpr_kernarg_segment_ptr 1
		.amdhsa_user_sgpr_dispatch_id 0
		.amdhsa_user_sgpr_flat_scratch_init 0
		.amdhsa_user_sgpr_kernarg_preload_length 0
		.amdhsa_user_sgpr_kernarg_preload_offset 0
		.amdhsa_user_sgpr_private_segment_size 0
		.amdhsa_uses_dynamic_stack 0
		.amdhsa_system_sgpr_private_segment_wavefront_offset 0
		.amdhsa_system_sgpr_workgroup_id_x 1
		.amdhsa_system_sgpr_workgroup_id_y 0
		.amdhsa_system_sgpr_workgroup_id_z 0
		.amdhsa_system_sgpr_workgroup_info 0
		.amdhsa_system_vgpr_workitem_id 0
		.amdhsa_next_free_vgpr 1
		.amdhsa_next_free_sgpr 0
		.amdhsa_accum_offset 4
		.amdhsa_reserve_vcc 0
		.amdhsa_reserve_flat_scratch 0
		.amdhsa_float_round_mode_32 0
		.amdhsa_float_round_mode_16_64 0
		.amdhsa_float_denorm_mode_32 3
		.amdhsa_float_denorm_mode_16_64 3
		.amdhsa_dx10_clamp 1
		.amdhsa_ieee_mode 1
		.amdhsa_fp16_overflow 0
		.amdhsa_tg_split 0
		.amdhsa_exception_fp_ieee_invalid_op 0
		.amdhsa_exception_fp_denorm_src 0
		.amdhsa_exception_fp_ieee_div_zero 0
		.amdhsa_exception_fp_ieee_overflow 0
		.amdhsa_exception_fp_ieee_underflow 0
		.amdhsa_exception_fp_ieee_inexact 0
		.amdhsa_exception_int_div_zero 0
	.end_amdhsa_kernel
	.section	.text._ZN7rocprim17ROCPRIM_400000_NS6detail17trampoline_kernelINS0_14default_configENS1_25partition_config_selectorILNS1_17partition_subalgoE0EsNS0_10empty_typeEbEEZZNS1_14partition_implILS5_0ELb0ES3_jN6thrust23THRUST_200600_302600_NS6detail15normal_iteratorINSA_10device_ptrIsEEEEPS6_SG_NS0_5tupleIJSF_NSA_16discard_iteratorINSA_11use_defaultEEEEEENSH_IJSG_SG_EEES6_PlJ7is_evenIsEEEE10hipError_tPvRmT3_T4_T5_T6_T7_T9_mT8_P12ihipStream_tbDpT10_ENKUlT_T0_E_clISt17integral_constantIbLb0EES19_EEDaS14_S15_EUlS14_E_NS1_11comp_targetILNS1_3genE5ELNS1_11target_archE942ELNS1_3gpuE9ELNS1_3repE0EEENS1_30default_config_static_selectorELNS0_4arch9wavefront6targetE1EEEvT1_,"axG",@progbits,_ZN7rocprim17ROCPRIM_400000_NS6detail17trampoline_kernelINS0_14default_configENS1_25partition_config_selectorILNS1_17partition_subalgoE0EsNS0_10empty_typeEbEEZZNS1_14partition_implILS5_0ELb0ES3_jN6thrust23THRUST_200600_302600_NS6detail15normal_iteratorINSA_10device_ptrIsEEEEPS6_SG_NS0_5tupleIJSF_NSA_16discard_iteratorINSA_11use_defaultEEEEEENSH_IJSG_SG_EEES6_PlJ7is_evenIsEEEE10hipError_tPvRmT3_T4_T5_T6_T7_T9_mT8_P12ihipStream_tbDpT10_ENKUlT_T0_E_clISt17integral_constantIbLb0EES19_EEDaS14_S15_EUlS14_E_NS1_11comp_targetILNS1_3genE5ELNS1_11target_archE942ELNS1_3gpuE9ELNS1_3repE0EEENS1_30default_config_static_selectorELNS0_4arch9wavefront6targetE1EEEvT1_,comdat
.Lfunc_end2812:
	.size	_ZN7rocprim17ROCPRIM_400000_NS6detail17trampoline_kernelINS0_14default_configENS1_25partition_config_selectorILNS1_17partition_subalgoE0EsNS0_10empty_typeEbEEZZNS1_14partition_implILS5_0ELb0ES3_jN6thrust23THRUST_200600_302600_NS6detail15normal_iteratorINSA_10device_ptrIsEEEEPS6_SG_NS0_5tupleIJSF_NSA_16discard_iteratorINSA_11use_defaultEEEEEENSH_IJSG_SG_EEES6_PlJ7is_evenIsEEEE10hipError_tPvRmT3_T4_T5_T6_T7_T9_mT8_P12ihipStream_tbDpT10_ENKUlT_T0_E_clISt17integral_constantIbLb0EES19_EEDaS14_S15_EUlS14_E_NS1_11comp_targetILNS1_3genE5ELNS1_11target_archE942ELNS1_3gpuE9ELNS1_3repE0EEENS1_30default_config_static_selectorELNS0_4arch9wavefront6targetE1EEEvT1_, .Lfunc_end2812-_ZN7rocprim17ROCPRIM_400000_NS6detail17trampoline_kernelINS0_14default_configENS1_25partition_config_selectorILNS1_17partition_subalgoE0EsNS0_10empty_typeEbEEZZNS1_14partition_implILS5_0ELb0ES3_jN6thrust23THRUST_200600_302600_NS6detail15normal_iteratorINSA_10device_ptrIsEEEEPS6_SG_NS0_5tupleIJSF_NSA_16discard_iteratorINSA_11use_defaultEEEEEENSH_IJSG_SG_EEES6_PlJ7is_evenIsEEEE10hipError_tPvRmT3_T4_T5_T6_T7_T9_mT8_P12ihipStream_tbDpT10_ENKUlT_T0_E_clISt17integral_constantIbLb0EES19_EEDaS14_S15_EUlS14_E_NS1_11comp_targetILNS1_3genE5ELNS1_11target_archE942ELNS1_3gpuE9ELNS1_3repE0EEENS1_30default_config_static_selectorELNS0_4arch9wavefront6targetE1EEEvT1_
                                        ; -- End function
	.section	.AMDGPU.csdata,"",@progbits
; Kernel info:
; codeLenInByte = 0
; NumSgprs: 4
; NumVgprs: 0
; NumAgprs: 0
; TotalNumVgprs: 0
; ScratchSize: 0
; MemoryBound: 0
; FloatMode: 240
; IeeeMode: 1
; LDSByteSize: 0 bytes/workgroup (compile time only)
; SGPRBlocks: 0
; VGPRBlocks: 0
; NumSGPRsForWavesPerEU: 4
; NumVGPRsForWavesPerEU: 1
; AccumOffset: 4
; Occupancy: 8
; WaveLimiterHint : 0
; COMPUTE_PGM_RSRC2:SCRATCH_EN: 0
; COMPUTE_PGM_RSRC2:USER_SGPR: 6
; COMPUTE_PGM_RSRC2:TRAP_HANDLER: 0
; COMPUTE_PGM_RSRC2:TGID_X_EN: 1
; COMPUTE_PGM_RSRC2:TGID_Y_EN: 0
; COMPUTE_PGM_RSRC2:TGID_Z_EN: 0
; COMPUTE_PGM_RSRC2:TIDIG_COMP_CNT: 0
; COMPUTE_PGM_RSRC3_GFX90A:ACCUM_OFFSET: 0
; COMPUTE_PGM_RSRC3_GFX90A:TG_SPLIT: 0
	.section	.text._ZN7rocprim17ROCPRIM_400000_NS6detail17trampoline_kernelINS0_14default_configENS1_25partition_config_selectorILNS1_17partition_subalgoE0EsNS0_10empty_typeEbEEZZNS1_14partition_implILS5_0ELb0ES3_jN6thrust23THRUST_200600_302600_NS6detail15normal_iteratorINSA_10device_ptrIsEEEEPS6_SG_NS0_5tupleIJSF_NSA_16discard_iteratorINSA_11use_defaultEEEEEENSH_IJSG_SG_EEES6_PlJ7is_evenIsEEEE10hipError_tPvRmT3_T4_T5_T6_T7_T9_mT8_P12ihipStream_tbDpT10_ENKUlT_T0_E_clISt17integral_constantIbLb0EES19_EEDaS14_S15_EUlS14_E_NS1_11comp_targetILNS1_3genE4ELNS1_11target_archE910ELNS1_3gpuE8ELNS1_3repE0EEENS1_30default_config_static_selectorELNS0_4arch9wavefront6targetE1EEEvT1_,"axG",@progbits,_ZN7rocprim17ROCPRIM_400000_NS6detail17trampoline_kernelINS0_14default_configENS1_25partition_config_selectorILNS1_17partition_subalgoE0EsNS0_10empty_typeEbEEZZNS1_14partition_implILS5_0ELb0ES3_jN6thrust23THRUST_200600_302600_NS6detail15normal_iteratorINSA_10device_ptrIsEEEEPS6_SG_NS0_5tupleIJSF_NSA_16discard_iteratorINSA_11use_defaultEEEEEENSH_IJSG_SG_EEES6_PlJ7is_evenIsEEEE10hipError_tPvRmT3_T4_T5_T6_T7_T9_mT8_P12ihipStream_tbDpT10_ENKUlT_T0_E_clISt17integral_constantIbLb0EES19_EEDaS14_S15_EUlS14_E_NS1_11comp_targetILNS1_3genE4ELNS1_11target_archE910ELNS1_3gpuE8ELNS1_3repE0EEENS1_30default_config_static_selectorELNS0_4arch9wavefront6targetE1EEEvT1_,comdat
	.protected	_ZN7rocprim17ROCPRIM_400000_NS6detail17trampoline_kernelINS0_14default_configENS1_25partition_config_selectorILNS1_17partition_subalgoE0EsNS0_10empty_typeEbEEZZNS1_14partition_implILS5_0ELb0ES3_jN6thrust23THRUST_200600_302600_NS6detail15normal_iteratorINSA_10device_ptrIsEEEEPS6_SG_NS0_5tupleIJSF_NSA_16discard_iteratorINSA_11use_defaultEEEEEENSH_IJSG_SG_EEES6_PlJ7is_evenIsEEEE10hipError_tPvRmT3_T4_T5_T6_T7_T9_mT8_P12ihipStream_tbDpT10_ENKUlT_T0_E_clISt17integral_constantIbLb0EES19_EEDaS14_S15_EUlS14_E_NS1_11comp_targetILNS1_3genE4ELNS1_11target_archE910ELNS1_3gpuE8ELNS1_3repE0EEENS1_30default_config_static_selectorELNS0_4arch9wavefront6targetE1EEEvT1_ ; -- Begin function _ZN7rocprim17ROCPRIM_400000_NS6detail17trampoline_kernelINS0_14default_configENS1_25partition_config_selectorILNS1_17partition_subalgoE0EsNS0_10empty_typeEbEEZZNS1_14partition_implILS5_0ELb0ES3_jN6thrust23THRUST_200600_302600_NS6detail15normal_iteratorINSA_10device_ptrIsEEEEPS6_SG_NS0_5tupleIJSF_NSA_16discard_iteratorINSA_11use_defaultEEEEEENSH_IJSG_SG_EEES6_PlJ7is_evenIsEEEE10hipError_tPvRmT3_T4_T5_T6_T7_T9_mT8_P12ihipStream_tbDpT10_ENKUlT_T0_E_clISt17integral_constantIbLb0EES19_EEDaS14_S15_EUlS14_E_NS1_11comp_targetILNS1_3genE4ELNS1_11target_archE910ELNS1_3gpuE8ELNS1_3repE0EEENS1_30default_config_static_selectorELNS0_4arch9wavefront6targetE1EEEvT1_
	.globl	_ZN7rocprim17ROCPRIM_400000_NS6detail17trampoline_kernelINS0_14default_configENS1_25partition_config_selectorILNS1_17partition_subalgoE0EsNS0_10empty_typeEbEEZZNS1_14partition_implILS5_0ELb0ES3_jN6thrust23THRUST_200600_302600_NS6detail15normal_iteratorINSA_10device_ptrIsEEEEPS6_SG_NS0_5tupleIJSF_NSA_16discard_iteratorINSA_11use_defaultEEEEEENSH_IJSG_SG_EEES6_PlJ7is_evenIsEEEE10hipError_tPvRmT3_T4_T5_T6_T7_T9_mT8_P12ihipStream_tbDpT10_ENKUlT_T0_E_clISt17integral_constantIbLb0EES19_EEDaS14_S15_EUlS14_E_NS1_11comp_targetILNS1_3genE4ELNS1_11target_archE910ELNS1_3gpuE8ELNS1_3repE0EEENS1_30default_config_static_selectorELNS0_4arch9wavefront6targetE1EEEvT1_
	.p2align	8
	.type	_ZN7rocprim17ROCPRIM_400000_NS6detail17trampoline_kernelINS0_14default_configENS1_25partition_config_selectorILNS1_17partition_subalgoE0EsNS0_10empty_typeEbEEZZNS1_14partition_implILS5_0ELb0ES3_jN6thrust23THRUST_200600_302600_NS6detail15normal_iteratorINSA_10device_ptrIsEEEEPS6_SG_NS0_5tupleIJSF_NSA_16discard_iteratorINSA_11use_defaultEEEEEENSH_IJSG_SG_EEES6_PlJ7is_evenIsEEEE10hipError_tPvRmT3_T4_T5_T6_T7_T9_mT8_P12ihipStream_tbDpT10_ENKUlT_T0_E_clISt17integral_constantIbLb0EES19_EEDaS14_S15_EUlS14_E_NS1_11comp_targetILNS1_3genE4ELNS1_11target_archE910ELNS1_3gpuE8ELNS1_3repE0EEENS1_30default_config_static_selectorELNS0_4arch9wavefront6targetE1EEEvT1_,@function
_ZN7rocprim17ROCPRIM_400000_NS6detail17trampoline_kernelINS0_14default_configENS1_25partition_config_selectorILNS1_17partition_subalgoE0EsNS0_10empty_typeEbEEZZNS1_14partition_implILS5_0ELb0ES3_jN6thrust23THRUST_200600_302600_NS6detail15normal_iteratorINSA_10device_ptrIsEEEEPS6_SG_NS0_5tupleIJSF_NSA_16discard_iteratorINSA_11use_defaultEEEEEENSH_IJSG_SG_EEES6_PlJ7is_evenIsEEEE10hipError_tPvRmT3_T4_T5_T6_T7_T9_mT8_P12ihipStream_tbDpT10_ENKUlT_T0_E_clISt17integral_constantIbLb0EES19_EEDaS14_S15_EUlS14_E_NS1_11comp_targetILNS1_3genE4ELNS1_11target_archE910ELNS1_3gpuE8ELNS1_3repE0EEENS1_30default_config_static_selectorELNS0_4arch9wavefront6targetE1EEEvT1_: ; @_ZN7rocprim17ROCPRIM_400000_NS6detail17trampoline_kernelINS0_14default_configENS1_25partition_config_selectorILNS1_17partition_subalgoE0EsNS0_10empty_typeEbEEZZNS1_14partition_implILS5_0ELb0ES3_jN6thrust23THRUST_200600_302600_NS6detail15normal_iteratorINSA_10device_ptrIsEEEEPS6_SG_NS0_5tupleIJSF_NSA_16discard_iteratorINSA_11use_defaultEEEEEENSH_IJSG_SG_EEES6_PlJ7is_evenIsEEEE10hipError_tPvRmT3_T4_T5_T6_T7_T9_mT8_P12ihipStream_tbDpT10_ENKUlT_T0_E_clISt17integral_constantIbLb0EES19_EEDaS14_S15_EUlS14_E_NS1_11comp_targetILNS1_3genE4ELNS1_11target_archE910ELNS1_3gpuE8ELNS1_3repE0EEENS1_30default_config_static_selectorELNS0_4arch9wavefront6targetE1EEEvT1_
; %bb.0:
	s_load_dwordx2 s[8:9], s[4:5], 0x60
	s_load_dwordx4 s[0:3], s[4:5], 0x8
	s_load_dwordx4 s[24:27], s[4:5], 0x50
	s_load_dword s7, s[4:5], 0x78
	v_lshlrev_b32_e32 v1, 1, v0
	s_waitcnt lgkmcnt(0)
	v_mov_b32_e32 v3, s9
	s_lshl_b64 s[10:11], s[2:3], 1
	s_add_u32 s9, s0, s10
	s_addc_u32 s10, s1, s11
	s_add_i32 s11, s7, -1
	s_mulk_i32 s7, 0x1c00
	s_add_i32 s1, s7, s2
	s_sub_i32 s33, s8, s1
	s_add_u32 s2, s2, s7
	s_addc_u32 s3, s3, 0
	s_cmp_eq_u32 s6, s11
	v_mov_b32_e32 v2, s8
	s_load_dwordx2 s[22:23], s[26:27], 0x0
	s_cselect_b64 s[26:27], -1, 0
	s_cmp_lg_u32 s6, s11
	s_mul_i32 s0, s6, 0x1c00
	s_mov_b32 s1, 0
	v_cmp_lt_u64_e32 vcc, s[2:3], v[2:3]
	s_cselect_b64 s[2:3], -1, 0
	s_or_b64 s[2:3], s[2:3], vcc
	s_lshl_b64 s[0:1], s[0:1], 1
	s_add_u32 s7, s9, s0
	s_addc_u32 s8, s10, s1
	s_mov_b64 s[0:1], -1
	s_and_b64 vcc, exec, s[2:3]
	s_cbranch_vccz .LBB2813_2
; %bb.1:
	v_mov_b32_e32 v3, s8
	v_add_co_u32_e32 v2, vcc, s7, v1
	v_addc_co_u32_e32 v3, vcc, 0, v3, vcc
	v_add_co_u32_e32 v4, vcc, 0x1000, v2
	v_addc_co_u32_e32 v5, vcc, 0, v3, vcc
	flat_load_ushort v6, v[2:3]
	flat_load_ushort v7, v[2:3] offset:512
	flat_load_ushort v8, v[2:3] offset:1024
	;; [unrolled: 1-line block ×7, first 2 shown]
	flat_load_ushort v14, v[4:5]
	flat_load_ushort v15, v[4:5] offset:512
	flat_load_ushort v16, v[4:5] offset:1024
	flat_load_ushort v17, v[4:5] offset:1536
	flat_load_ushort v18, v[4:5] offset:2048
	flat_load_ushort v19, v[4:5] offset:2560
	flat_load_ushort v20, v[4:5] offset:3072
	flat_load_ushort v21, v[4:5] offset:3584
	v_add_co_u32_e32 v4, vcc, 0x2000, v2
	v_addc_co_u32_e32 v5, vcc, 0, v3, vcc
	v_add_co_u32_e32 v2, vcc, 0x3000, v2
	v_addc_co_u32_e32 v3, vcc, 0, v3, vcc
	flat_load_ushort v22, v[4:5]
	flat_load_ushort v23, v[4:5] offset:512
	flat_load_ushort v24, v[4:5] offset:1024
	;; [unrolled: 1-line block ×7, first 2 shown]
	s_nop 0
	flat_load_ushort v4, v[2:3]
	flat_load_ushort v5, v[2:3] offset:512
	flat_load_ushort v30, v[2:3] offset:1024
	flat_load_ushort v31, v[2:3] offset:1536
	s_mov_b64 s[0:1], 0
	s_waitcnt vmcnt(0) lgkmcnt(0)
	ds_write_b16 v1, v6
	ds_write_b16 v1, v7 offset:512
	ds_write_b16 v1, v8 offset:1024
	;; [unrolled: 1-line block ×27, first 2 shown]
	s_waitcnt lgkmcnt(0)
	s_barrier
.LBB2813_2:
	s_andn2_b64 vcc, exec, s[0:1]
	s_addk_i32 s33, 0x1c00
	s_cbranch_vccnz .LBB2813_60
; %bb.3:
	v_cmp_gt_u32_e32 vcc, s33, v0
                                        ; implicit-def: $vgpr2
	s_and_saveexec_b64 s[0:1], vcc
	s_cbranch_execz .LBB2813_5
; %bb.4:
	v_mov_b32_e32 v3, s8
	v_add_co_u32_e32 v2, vcc, s7, v1
	v_addc_co_u32_e32 v3, vcc, 0, v3, vcc
	flat_load_ushort v2, v[2:3]
.LBB2813_5:
	s_or_b64 exec, exec, s[0:1]
	v_or_b32_e32 v3, 0x100, v0
	v_cmp_gt_u32_e32 vcc, s33, v3
                                        ; implicit-def: $vgpr3
	s_and_saveexec_b64 s[0:1], vcc
	s_cbranch_execz .LBB2813_7
; %bb.6:
	v_mov_b32_e32 v3, s8
	v_add_co_u32_e32 v4, vcc, s7, v1
	v_addc_co_u32_e32 v5, vcc, 0, v3, vcc
	flat_load_ushort v3, v[4:5] offset:512
.LBB2813_7:
	s_or_b64 exec, exec, s[0:1]
	v_or_b32_e32 v4, 0x200, v0
	v_cmp_gt_u32_e32 vcc, s33, v4
                                        ; implicit-def: $vgpr4
	s_and_saveexec_b64 s[0:1], vcc
	s_cbranch_execz .LBB2813_9
; %bb.8:
	v_mov_b32_e32 v5, s8
	v_add_co_u32_e32 v4, vcc, s7, v1
	v_addc_co_u32_e32 v5, vcc, 0, v5, vcc
	flat_load_ushort v4, v[4:5] offset:1024
.LBB2813_9:
	s_or_b64 exec, exec, s[0:1]
	v_or_b32_e32 v5, 0x300, v0
	v_cmp_gt_u32_e32 vcc, s33, v5
                                        ; implicit-def: $vgpr5
	s_and_saveexec_b64 s[0:1], vcc
	s_cbranch_execz .LBB2813_11
; %bb.10:
	v_mov_b32_e32 v5, s8
	v_add_co_u32_e32 v6, vcc, s7, v1
	v_addc_co_u32_e32 v7, vcc, 0, v5, vcc
	flat_load_ushort v5, v[6:7] offset:1536
.LBB2813_11:
	s_or_b64 exec, exec, s[0:1]
	v_or_b32_e32 v6, 0x400, v0
	v_cmp_gt_u32_e32 vcc, s33, v6
                                        ; implicit-def: $vgpr6
	s_and_saveexec_b64 s[0:1], vcc
	s_cbranch_execz .LBB2813_13
; %bb.12:
	v_mov_b32_e32 v7, s8
	v_add_co_u32_e32 v6, vcc, s7, v1
	v_addc_co_u32_e32 v7, vcc, 0, v7, vcc
	flat_load_ushort v6, v[6:7] offset:2048
.LBB2813_13:
	s_or_b64 exec, exec, s[0:1]
	v_or_b32_e32 v7, 0x500, v0
	v_cmp_gt_u32_e32 vcc, s33, v7
                                        ; implicit-def: $vgpr7
	s_and_saveexec_b64 s[0:1], vcc
	s_cbranch_execz .LBB2813_15
; %bb.14:
	v_mov_b32_e32 v7, s8
	v_add_co_u32_e32 v8, vcc, s7, v1
	v_addc_co_u32_e32 v9, vcc, 0, v7, vcc
	flat_load_ushort v7, v[8:9] offset:2560
.LBB2813_15:
	s_or_b64 exec, exec, s[0:1]
	v_or_b32_e32 v8, 0x600, v0
	v_cmp_gt_u32_e32 vcc, s33, v8
                                        ; implicit-def: $vgpr8
	s_and_saveexec_b64 s[0:1], vcc
	s_cbranch_execz .LBB2813_17
; %bb.16:
	v_mov_b32_e32 v9, s8
	v_add_co_u32_e32 v8, vcc, s7, v1
	v_addc_co_u32_e32 v9, vcc, 0, v9, vcc
	flat_load_ushort v8, v[8:9] offset:3072
.LBB2813_17:
	s_or_b64 exec, exec, s[0:1]
	v_or_b32_e32 v9, 0x700, v0
	v_cmp_gt_u32_e32 vcc, s33, v9
                                        ; implicit-def: $vgpr9
	s_and_saveexec_b64 s[0:1], vcc
	s_cbranch_execz .LBB2813_19
; %bb.18:
	v_mov_b32_e32 v9, s8
	v_add_co_u32_e32 v10, vcc, s7, v1
	v_addc_co_u32_e32 v11, vcc, 0, v9, vcc
	flat_load_ushort v9, v[10:11] offset:3584
.LBB2813_19:
	s_or_b64 exec, exec, s[0:1]
	v_or_b32_e32 v11, 0x800, v0
	v_cmp_gt_u32_e32 vcc, s33, v11
                                        ; implicit-def: $vgpr10
	s_and_saveexec_b64 s[0:1], vcc
	s_cbranch_execz .LBB2813_21
; %bb.20:
	v_lshlrev_b32_e32 v10, 1, v11
	v_mov_b32_e32 v11, s8
	v_add_co_u32_e32 v10, vcc, s7, v10
	v_addc_co_u32_e32 v11, vcc, 0, v11, vcc
	flat_load_ushort v10, v[10:11]
.LBB2813_21:
	s_or_b64 exec, exec, s[0:1]
	v_or_b32_e32 v12, 0x900, v0
	v_cmp_gt_u32_e32 vcc, s33, v12
                                        ; implicit-def: $vgpr11
	s_and_saveexec_b64 s[0:1], vcc
	s_cbranch_execz .LBB2813_23
; %bb.22:
	v_lshlrev_b32_e32 v11, 1, v12
	v_mov_b32_e32 v13, s8
	v_add_co_u32_e32 v12, vcc, s7, v11
	v_addc_co_u32_e32 v13, vcc, 0, v13, vcc
	flat_load_ushort v11, v[12:13]
.LBB2813_23:
	s_or_b64 exec, exec, s[0:1]
	v_or_b32_e32 v13, 0xa00, v0
	v_cmp_gt_u32_e32 vcc, s33, v13
                                        ; implicit-def: $vgpr12
	s_and_saveexec_b64 s[0:1], vcc
	s_cbranch_execz .LBB2813_25
; %bb.24:
	v_lshlrev_b32_e32 v12, 1, v13
	v_mov_b32_e32 v13, s8
	v_add_co_u32_e32 v12, vcc, s7, v12
	v_addc_co_u32_e32 v13, vcc, 0, v13, vcc
	flat_load_ushort v12, v[12:13]
.LBB2813_25:
	s_or_b64 exec, exec, s[0:1]
	v_or_b32_e32 v14, 0xb00, v0
	v_cmp_gt_u32_e32 vcc, s33, v14
                                        ; implicit-def: $vgpr13
	s_and_saveexec_b64 s[0:1], vcc
	s_cbranch_execz .LBB2813_27
; %bb.26:
	v_lshlrev_b32_e32 v13, 1, v14
	v_mov_b32_e32 v15, s8
	v_add_co_u32_e32 v14, vcc, s7, v13
	v_addc_co_u32_e32 v15, vcc, 0, v15, vcc
	flat_load_ushort v13, v[14:15]
.LBB2813_27:
	s_or_b64 exec, exec, s[0:1]
	v_or_b32_e32 v15, 0xc00, v0
	v_cmp_gt_u32_e32 vcc, s33, v15
                                        ; implicit-def: $vgpr14
	s_and_saveexec_b64 s[0:1], vcc
	s_cbranch_execz .LBB2813_29
; %bb.28:
	v_lshlrev_b32_e32 v14, 1, v15
	v_mov_b32_e32 v15, s8
	v_add_co_u32_e32 v14, vcc, s7, v14
	v_addc_co_u32_e32 v15, vcc, 0, v15, vcc
	flat_load_ushort v14, v[14:15]
.LBB2813_29:
	s_or_b64 exec, exec, s[0:1]
	v_or_b32_e32 v16, 0xd00, v0
	v_cmp_gt_u32_e32 vcc, s33, v16
                                        ; implicit-def: $vgpr15
	s_and_saveexec_b64 s[0:1], vcc
	s_cbranch_execz .LBB2813_31
; %bb.30:
	v_lshlrev_b32_e32 v15, 1, v16
	v_mov_b32_e32 v17, s8
	v_add_co_u32_e32 v16, vcc, s7, v15
	v_addc_co_u32_e32 v17, vcc, 0, v17, vcc
	flat_load_ushort v15, v[16:17]
.LBB2813_31:
	s_or_b64 exec, exec, s[0:1]
	v_or_b32_e32 v17, 0xe00, v0
	v_cmp_gt_u32_e32 vcc, s33, v17
                                        ; implicit-def: $vgpr16
	s_and_saveexec_b64 s[0:1], vcc
	s_cbranch_execz .LBB2813_33
; %bb.32:
	v_lshlrev_b32_e32 v16, 1, v17
	v_mov_b32_e32 v17, s8
	v_add_co_u32_e32 v16, vcc, s7, v16
	v_addc_co_u32_e32 v17, vcc, 0, v17, vcc
	flat_load_ushort v16, v[16:17]
.LBB2813_33:
	s_or_b64 exec, exec, s[0:1]
	v_or_b32_e32 v18, 0xf00, v0
	v_cmp_gt_u32_e32 vcc, s33, v18
                                        ; implicit-def: $vgpr17
	s_and_saveexec_b64 s[0:1], vcc
	s_cbranch_execz .LBB2813_35
; %bb.34:
	v_lshlrev_b32_e32 v17, 1, v18
	v_mov_b32_e32 v19, s8
	v_add_co_u32_e32 v18, vcc, s7, v17
	v_addc_co_u32_e32 v19, vcc, 0, v19, vcc
	flat_load_ushort v17, v[18:19]
.LBB2813_35:
	s_or_b64 exec, exec, s[0:1]
	v_or_b32_e32 v19, 0x1000, v0
	v_cmp_gt_u32_e32 vcc, s33, v19
                                        ; implicit-def: $vgpr18
	s_and_saveexec_b64 s[0:1], vcc
	s_cbranch_execz .LBB2813_37
; %bb.36:
	v_lshlrev_b32_e32 v18, 1, v19
	v_mov_b32_e32 v19, s8
	v_add_co_u32_e32 v18, vcc, s7, v18
	v_addc_co_u32_e32 v19, vcc, 0, v19, vcc
	flat_load_ushort v18, v[18:19]
.LBB2813_37:
	s_or_b64 exec, exec, s[0:1]
	v_or_b32_e32 v20, 0x1100, v0
	v_cmp_gt_u32_e32 vcc, s33, v20
                                        ; implicit-def: $vgpr19
	s_and_saveexec_b64 s[0:1], vcc
	s_cbranch_execz .LBB2813_39
; %bb.38:
	v_lshlrev_b32_e32 v19, 1, v20
	v_mov_b32_e32 v21, s8
	v_add_co_u32_e32 v20, vcc, s7, v19
	v_addc_co_u32_e32 v21, vcc, 0, v21, vcc
	flat_load_ushort v19, v[20:21]
.LBB2813_39:
	s_or_b64 exec, exec, s[0:1]
	v_or_b32_e32 v21, 0x1200, v0
	v_cmp_gt_u32_e32 vcc, s33, v21
                                        ; implicit-def: $vgpr20
	s_and_saveexec_b64 s[0:1], vcc
	s_cbranch_execz .LBB2813_41
; %bb.40:
	v_lshlrev_b32_e32 v20, 1, v21
	v_mov_b32_e32 v21, s8
	v_add_co_u32_e32 v20, vcc, s7, v20
	v_addc_co_u32_e32 v21, vcc, 0, v21, vcc
	flat_load_ushort v20, v[20:21]
.LBB2813_41:
	s_or_b64 exec, exec, s[0:1]
	v_or_b32_e32 v22, 0x1300, v0
	v_cmp_gt_u32_e32 vcc, s33, v22
                                        ; implicit-def: $vgpr21
	s_and_saveexec_b64 s[0:1], vcc
	s_cbranch_execz .LBB2813_43
; %bb.42:
	v_lshlrev_b32_e32 v21, 1, v22
	v_mov_b32_e32 v23, s8
	v_add_co_u32_e32 v22, vcc, s7, v21
	v_addc_co_u32_e32 v23, vcc, 0, v23, vcc
	flat_load_ushort v21, v[22:23]
.LBB2813_43:
	s_or_b64 exec, exec, s[0:1]
	v_or_b32_e32 v23, 0x1400, v0
	v_cmp_gt_u32_e32 vcc, s33, v23
                                        ; implicit-def: $vgpr22
	s_and_saveexec_b64 s[0:1], vcc
	s_cbranch_execz .LBB2813_45
; %bb.44:
	v_lshlrev_b32_e32 v22, 1, v23
	v_mov_b32_e32 v23, s8
	v_add_co_u32_e32 v22, vcc, s7, v22
	v_addc_co_u32_e32 v23, vcc, 0, v23, vcc
	flat_load_ushort v22, v[22:23]
.LBB2813_45:
	s_or_b64 exec, exec, s[0:1]
	v_or_b32_e32 v24, 0x1500, v0
	v_cmp_gt_u32_e32 vcc, s33, v24
                                        ; implicit-def: $vgpr23
	s_and_saveexec_b64 s[0:1], vcc
	s_cbranch_execz .LBB2813_47
; %bb.46:
	v_lshlrev_b32_e32 v23, 1, v24
	v_mov_b32_e32 v25, s8
	v_add_co_u32_e32 v24, vcc, s7, v23
	v_addc_co_u32_e32 v25, vcc, 0, v25, vcc
	flat_load_ushort v23, v[24:25]
.LBB2813_47:
	s_or_b64 exec, exec, s[0:1]
	v_or_b32_e32 v25, 0x1600, v0
	v_cmp_gt_u32_e32 vcc, s33, v25
                                        ; implicit-def: $vgpr24
	s_and_saveexec_b64 s[0:1], vcc
	s_cbranch_execz .LBB2813_49
; %bb.48:
	v_lshlrev_b32_e32 v24, 1, v25
	v_mov_b32_e32 v25, s8
	v_add_co_u32_e32 v24, vcc, s7, v24
	v_addc_co_u32_e32 v25, vcc, 0, v25, vcc
	flat_load_ushort v24, v[24:25]
.LBB2813_49:
	s_or_b64 exec, exec, s[0:1]
	v_or_b32_e32 v26, 0x1700, v0
	v_cmp_gt_u32_e32 vcc, s33, v26
                                        ; implicit-def: $vgpr25
	s_and_saveexec_b64 s[0:1], vcc
	s_cbranch_execz .LBB2813_51
; %bb.50:
	v_lshlrev_b32_e32 v25, 1, v26
	v_mov_b32_e32 v27, s8
	v_add_co_u32_e32 v26, vcc, s7, v25
	v_addc_co_u32_e32 v27, vcc, 0, v27, vcc
	flat_load_ushort v25, v[26:27]
.LBB2813_51:
	s_or_b64 exec, exec, s[0:1]
	v_or_b32_e32 v27, 0x1800, v0
	v_cmp_gt_u32_e32 vcc, s33, v27
                                        ; implicit-def: $vgpr26
	s_and_saveexec_b64 s[0:1], vcc
	s_cbranch_execz .LBB2813_53
; %bb.52:
	v_lshlrev_b32_e32 v26, 1, v27
	v_mov_b32_e32 v27, s8
	v_add_co_u32_e32 v26, vcc, s7, v26
	v_addc_co_u32_e32 v27, vcc, 0, v27, vcc
	flat_load_ushort v26, v[26:27]
.LBB2813_53:
	s_or_b64 exec, exec, s[0:1]
	v_or_b32_e32 v28, 0x1900, v0
	v_cmp_gt_u32_e32 vcc, s33, v28
                                        ; implicit-def: $vgpr27
	s_and_saveexec_b64 s[0:1], vcc
	s_cbranch_execz .LBB2813_55
; %bb.54:
	v_lshlrev_b32_e32 v27, 1, v28
	v_mov_b32_e32 v29, s8
	v_add_co_u32_e32 v28, vcc, s7, v27
	v_addc_co_u32_e32 v29, vcc, 0, v29, vcc
	flat_load_ushort v27, v[28:29]
.LBB2813_55:
	s_or_b64 exec, exec, s[0:1]
	v_or_b32_e32 v29, 0x1a00, v0
	v_cmp_gt_u32_e32 vcc, s33, v29
                                        ; implicit-def: $vgpr28
	s_and_saveexec_b64 s[0:1], vcc
	s_cbranch_execz .LBB2813_57
; %bb.56:
	v_lshlrev_b32_e32 v28, 1, v29
	v_mov_b32_e32 v29, s8
	v_add_co_u32_e32 v28, vcc, s7, v28
	v_addc_co_u32_e32 v29, vcc, 0, v29, vcc
	flat_load_ushort v28, v[28:29]
.LBB2813_57:
	s_or_b64 exec, exec, s[0:1]
	v_or_b32_e32 v30, 0x1b00, v0
	v_cmp_gt_u32_e32 vcc, s33, v30
                                        ; implicit-def: $vgpr29
	s_and_saveexec_b64 s[0:1], vcc
	s_cbranch_execz .LBB2813_59
; %bb.58:
	v_lshlrev_b32_e32 v29, 1, v30
	v_mov_b32_e32 v31, s8
	v_add_co_u32_e32 v30, vcc, s7, v29
	v_addc_co_u32_e32 v31, vcc, 0, v31, vcc
	flat_load_ushort v29, v[30:31]
.LBB2813_59:
	s_or_b64 exec, exec, s[0:1]
	s_waitcnt vmcnt(0) lgkmcnt(0)
	ds_write_b16 v1, v2
	ds_write_b16 v1, v3 offset:512
	ds_write_b16 v1, v4 offset:1024
	;; [unrolled: 1-line block ×27, first 2 shown]
	s_waitcnt lgkmcnt(0)
	s_barrier
.LBB2813_60:
	v_mul_u32_u24_e32 v39, 28, v0
	v_lshlrev_b32_e32 v6, 1, v39
	s_waitcnt lgkmcnt(0)
	ds_read_b64 v[18:19], v6 offset:48
	ds_read2_b64 v[2:5], v6 offset0:4 offset1:5
	ds_read2_b64 v[10:13], v6 offset1:1
	ds_read2_b64 v[6:9], v6 offset0:2 offset1:3
	v_cndmask_b32_e64 v14, 0, 1, s[2:3]
	s_waitcnt lgkmcnt(3)
	v_lshrrev_b32_e32 v27, 16, v18
	v_lshrrev_b32_e32 v26, 16, v19
	s_waitcnt lgkmcnt(2)
	v_lshrrev_b32_e32 v31, 16, v2
	v_lshrrev_b32_e32 v30, 16, v3
	v_lshrrev_b32_e32 v29, 16, v4
	v_lshrrev_b32_e32 v28, 16, v5
	s_waitcnt lgkmcnt(1)
	v_lshrrev_b32_e32 v40, 16, v10
	v_lshrrev_b32_e32 v38, 16, v11
	;; [unrolled: 5-line block ×3, first 2 shown]
	v_lshrrev_b32_e32 v33, 16, v8
	v_lshrrev_b32_e32 v32, 16, v9
	v_cmp_ne_u32_e64 s[0:1], 1, v14
	s_andn2_b64 vcc, exec, s[2:3]
	v_xor_b32_e32 v86, -1, v10
	v_xor_b32_e32 v85, -1, v40
	;; [unrolled: 1-line block ×28, first 2 shown]
	s_barrier
	s_cbranch_vccnz .LBB2813_62
; %bb.61:
	v_and_b32_e32 v68, 1, v86
	v_and_b32_e32 v67, 1, v85
	;; [unrolled: 1-line block ×28, first 2 shown]
	s_load_dwordx2 s[28:29], s[4:5], 0x70
	s_cbranch_execz .LBB2813_63
	s_branch .LBB2813_64
.LBB2813_62:
                                        ; implicit-def: $vgpr68
                                        ; implicit-def: $vgpr67
                                        ; implicit-def: $vgpr66
                                        ; implicit-def: $vgpr65
                                        ; implicit-def: $vgpr64
                                        ; implicit-def: $vgpr63
                                        ; implicit-def: $vgpr62
                                        ; implicit-def: $vgpr61
                                        ; implicit-def: $vgpr60
                                        ; implicit-def: $vgpr59
                                        ; implicit-def: $vgpr58
                                        ; implicit-def: $vgpr57
                                        ; implicit-def: $vgpr56
                                        ; implicit-def: $vgpr55
                                        ; implicit-def: $vgpr54
                                        ; implicit-def: $vgpr53
                                        ; implicit-def: $vgpr52
                                        ; implicit-def: $vgpr51
                                        ; implicit-def: $vgpr50
                                        ; implicit-def: $vgpr49
                                        ; implicit-def: $vgpr48
                                        ; implicit-def: $vgpr47
                                        ; implicit-def: $vgpr46
                                        ; implicit-def: $vgpr45
                                        ; implicit-def: $vgpr44
                                        ; implicit-def: $vgpr43
                                        ; implicit-def: $vgpr41
                                        ; implicit-def: $vgpr42
	s_load_dwordx2 s[28:29], s[4:5], 0x70
.LBB2813_63:
	v_or_b32_e32 v50, 1, v39
	v_cmp_gt_u32_e32 vcc, s33, v39
	v_or_b32_e32 v51, 2, v39
	v_cndmask_b32_e64 v59, 0, 1, vcc
	v_cmp_gt_u32_e32 vcc, s33, v50
	v_or_b32_e32 v52, 3, v39
	v_cndmask_b32_e64 v50, 0, 1, vcc
	v_cmp_gt_u32_e32 vcc, s33, v51
	v_add_u32_e32 v53, 4, v39
	v_and_b32_e32 v67, v50, v85
	v_cndmask_b32_e64 v50, 0, 1, vcc
	v_cmp_gt_u32_e32 vcc, s33, v52
	v_add_u32_e32 v54, 5, v39
	v_and_b32_e32 v66, v50, v84
	;; [unrolled: 4-line block ×9, first 2 shown]
	v_and_b32_e32 v59, v50, v77
	v_cndmask_b32_e64 v50, 0, 1, vcc
	v_cmp_gt_u32_e32 vcc, s33, v88
	v_add_u32_e32 v90, 13, v39
	v_and_b32_e32 v58, v50, v76
	v_cndmask_b32_e64 v50, 0, 1, vcc
	v_cmp_gt_u32_e32 vcc, s33, v89
	v_add_u32_e32 v91, 14, v39
	;; [unrolled: 4-line block ×15, first 2 shown]
	v_and_b32_e32 v44, v20, v17
	v_cndmask_b32_e64 v17, 0, 1, vcc
	v_cmp_gt_u32_e32 vcc, s33, v41
	v_and_b32_e32 v43, v17, v16
	v_cndmask_b32_e64 v16, 0, 1, vcc
	v_cmp_gt_u32_e32 vcc, s33, v42
	v_and_b32_e32 v41, v16, v15
	v_cndmask_b32_e64 v15, 0, 1, vcc
	v_and_b32_e32 v42, v15, v14
.LBB2813_64:
	v_and_b32_e32 v93, 0xff, v44
	v_and_b32_e32 v94, 0xff, v43
	v_add_u32_sdwa v14, v41, v42 dst_sel:DWORD dst_unused:UNUSED_PAD src0_sel:BYTE_0 src1_sel:BYTE_0
	v_and_b32_e32 v91, 0xff, v46
	v_and_b32_e32 v92, 0xff, v45
	v_add3_u32 v14, v14, v94, v93
	v_and_b32_e32 v89, 0xff, v48
	v_and_b32_e32 v90, 0xff, v47
	v_add3_u32 v14, v14, v92, v91
	;; [unrolled: 3-line block ×12, first 2 shown]
	v_add3_u32 v97, v14, v70, v69
	v_mbcnt_lo_u32_b32 v14, -1, 0
	v_mbcnt_hi_u32_b32 v95, -1, v14
	v_and_b32_e32 v14, 15, v95
	v_cmp_eq_u32_e64 s[16:17], 0, v14
	v_cmp_lt_u32_e64 s[14:15], 1, v14
	v_cmp_lt_u32_e64 s[12:13], 3, v14
	;; [unrolled: 1-line block ×3, first 2 shown]
	v_and_b32_e32 v14, 16, v95
	v_cmp_eq_u32_e64 s[8:9], 0, v14
	v_or_b32_e32 v14, 63, v0
	s_cmp_lg_u32 s6, 0
	v_cmp_lt_u32_e64 s[2:3], 31, v95
	v_lshrrev_b32_e32 v96, 6, v0
	v_cmp_eq_u32_e64 s[20:21], v14, v0
	s_cbranch_scc0 .LBB2813_91
; %bb.65:
	v_mov_b32_dpp v14, v97 row_shr:1 row_mask:0xf bank_mask:0xf
	v_cndmask_b32_e64 v14, v14, 0, s[16:17]
	v_add_u32_e32 v14, v14, v97
	s_nop 1
	v_mov_b32_dpp v15, v14 row_shr:2 row_mask:0xf bank_mask:0xf
	v_cndmask_b32_e64 v15, 0, v15, s[14:15]
	v_add_u32_e32 v14, v14, v15
	s_nop 1
	v_mov_b32_dpp v15, v14 row_shr:4 row_mask:0xf bank_mask:0xf
	v_cndmask_b32_e64 v15, 0, v15, s[12:13]
	v_add_u32_e32 v14, v14, v15
	s_nop 1
	v_mov_b32_dpp v15, v14 row_shr:8 row_mask:0xf bank_mask:0xf
	v_cndmask_b32_e64 v15, 0, v15, s[10:11]
	v_add_u32_e32 v14, v14, v15
	s_nop 1
	v_mov_b32_dpp v15, v14 row_bcast:15 row_mask:0xf bank_mask:0xf
	v_cndmask_b32_e64 v15, v15, 0, s[8:9]
	v_add_u32_e32 v14, v14, v15
	s_nop 1
	v_mov_b32_dpp v15, v14 row_bcast:31 row_mask:0xf bank_mask:0xf
	v_cndmask_b32_e64 v15, 0, v15, s[2:3]
	v_add_u32_e32 v14, v14, v15
	s_and_saveexec_b64 s[18:19], s[20:21]
	s_cbranch_execz .LBB2813_67
; %bb.66:
	v_lshlrev_b32_e32 v15, 2, v96
	ds_write_b32 v15, v14
.LBB2813_67:
	s_or_b64 exec, exec, s[18:19]
	v_cmp_gt_u32_e32 vcc, 4, v0
	s_waitcnt lgkmcnt(0)
	s_barrier
	s_and_saveexec_b64 s[18:19], vcc
	s_cbranch_execz .LBB2813_69
; %bb.68:
	v_lshlrev_b32_e32 v15, 2, v0
	ds_read_b32 v16, v15
	v_and_b32_e32 v17, 3, v95
	v_cmp_ne_u32_e32 vcc, 0, v17
	s_waitcnt lgkmcnt(0)
	v_mov_b32_dpp v20, v16 row_shr:1 row_mask:0xf bank_mask:0xf
	v_cndmask_b32_e32 v20, 0, v20, vcc
	v_add_u32_e32 v16, v20, v16
	v_cmp_lt_u32_e32 vcc, 1, v17
	s_nop 0
	v_mov_b32_dpp v20, v16 row_shr:2 row_mask:0xf bank_mask:0xf
	v_cndmask_b32_e32 v17, 0, v20, vcc
	v_add_u32_e32 v16, v16, v17
	ds_write_b32 v15, v16
.LBB2813_69:
	s_or_b64 exec, exec, s[18:19]
	v_cmp_gt_u32_e32 vcc, 64, v0
	v_cmp_lt_u32_e64 s[18:19], 63, v0
	s_waitcnt lgkmcnt(0)
	s_barrier
	s_waitcnt lgkmcnt(0)
                                        ; implicit-def: $vgpr98
	s_and_saveexec_b64 s[30:31], s[18:19]
	s_cbranch_execz .LBB2813_71
; %bb.70:
	v_lshl_add_u32 v15, v96, 2, -4
	ds_read_b32 v98, v15
	s_waitcnt lgkmcnt(0)
	v_add_u32_e32 v14, v98, v14
.LBB2813_71:
	s_or_b64 exec, exec, s[30:31]
	v_add_u32_e32 v15, -1, v95
	v_and_b32_e32 v16, 64, v95
	v_cmp_lt_i32_e64 s[18:19], v15, v16
	v_cndmask_b32_e64 v15, v15, v95, s[18:19]
	v_lshlrev_b32_e32 v15, 2, v15
	ds_bpermute_b32 v99, v15, v14
	v_cmp_eq_u32_e64 s[18:19], 0, v95
	s_and_saveexec_b64 s[30:31], vcc
	s_cbranch_execz .LBB2813_90
; %bb.72:
	v_mov_b32_e32 v23, 0
	ds_read_b32 v14, v23 offset:12
	s_and_saveexec_b64 s[34:35], s[18:19]
	s_cbranch_execz .LBB2813_74
; %bb.73:
	s_add_i32 s36, s6, 64
	s_mov_b32 s37, 0
	s_lshl_b64 s[36:37], s[36:37], 3
	s_add_u32 s36, s28, s36
	v_mov_b32_e32 v15, 1
	s_addc_u32 s37, s29, s37
	s_waitcnt lgkmcnt(0)
	global_store_dwordx2 v23, v[14:15], s[36:37]
.LBB2813_74:
	s_or_b64 exec, exec, s[34:35]
	v_xad_u32 v16, v95, -1, s6
	v_add_u32_e32 v22, 64, v16
	v_lshlrev_b64 v[20:21], 3, v[22:23]
	v_mov_b32_e32 v15, s29
	v_add_co_u32_e32 v24, vcc, s28, v20
	v_addc_co_u32_e32 v25, vcc, v15, v21, vcc
	global_load_dwordx2 v[20:21], v[24:25], off glc
	s_waitcnt vmcnt(0)
	v_cmp_eq_u16_sdwa s[36:37], v21, v23 src0_sel:BYTE_0 src1_sel:DWORD
	s_and_saveexec_b64 s[34:35], s[36:37]
	s_cbranch_execz .LBB2813_78
; %bb.75:
	s_mov_b64 s[36:37], 0
	v_mov_b32_e32 v15, 0
.LBB2813_76:                            ; =>This Inner Loop Header: Depth=1
	global_load_dwordx2 v[20:21], v[24:25], off glc
	s_waitcnt vmcnt(0)
	v_cmp_ne_u16_sdwa s[38:39], v21, v15 src0_sel:BYTE_0 src1_sel:DWORD
	s_or_b64 s[36:37], s[38:39], s[36:37]
	s_andn2_b64 exec, exec, s[36:37]
	s_cbranch_execnz .LBB2813_76
; %bb.77:
	s_or_b64 exec, exec, s[36:37]
.LBB2813_78:
	s_or_b64 exec, exec, s[34:35]
	v_and_b32_e32 v101, 63, v95
	v_mov_b32_e32 v100, 2
	v_cmp_ne_u32_e32 vcc, 63, v101
	v_cmp_eq_u16_sdwa s[34:35], v21, v100 src0_sel:BYTE_0 src1_sel:DWORD
	v_lshlrev_b64 v[22:23], v95, -1
	v_addc_co_u32_e32 v24, vcc, 0, v95, vcc
	v_and_b32_e32 v15, s35, v23
	v_lshlrev_b32_e32 v102, 2, v24
	v_or_b32_e32 v15, 0x80000000, v15
	ds_bpermute_b32 v24, v102, v20
	v_and_b32_e32 v17, s34, v22
	v_ffbl_b32_e32 v15, v15
	v_add_u32_e32 v15, 32, v15
	v_ffbl_b32_e32 v17, v17
	v_min_u32_e32 v15, v17, v15
	v_cmp_lt_u32_e32 vcc, v101, v15
	s_waitcnt lgkmcnt(0)
	v_cndmask_b32_e32 v17, 0, v24, vcc
	v_cmp_gt_u32_e32 vcc, 62, v101
	v_add_u32_e32 v17, v17, v20
	v_cndmask_b32_e64 v20, 0, 1, vcc
	v_lshlrev_b32_e32 v20, 1, v20
	v_add_lshl_u32 v103, v20, v95, 2
	ds_bpermute_b32 v20, v103, v17
	v_add_u32_e32 v104, 2, v101
	v_cmp_le_u32_e32 vcc, v104, v15
	v_add_u32_e32 v106, 4, v101
	v_add_u32_e32 v108, 8, v101
	s_waitcnt lgkmcnt(0)
	v_cndmask_b32_e32 v20, 0, v20, vcc
	v_cmp_gt_u32_e32 vcc, 60, v101
	v_add_u32_e32 v17, v17, v20
	v_cndmask_b32_e64 v20, 0, 1, vcc
	v_lshlrev_b32_e32 v20, 2, v20
	v_add_lshl_u32 v105, v20, v95, 2
	ds_bpermute_b32 v20, v105, v17
	v_cmp_le_u32_e32 vcc, v106, v15
	v_add_u32_e32 v110, 16, v101
	v_add_u32_e32 v112, 32, v101
	s_waitcnt lgkmcnt(0)
	v_cndmask_b32_e32 v20, 0, v20, vcc
	v_cmp_gt_u32_e32 vcc, 56, v101
	v_add_u32_e32 v17, v17, v20
	v_cndmask_b32_e64 v20, 0, 1, vcc
	v_lshlrev_b32_e32 v20, 3, v20
	v_add_lshl_u32 v107, v20, v95, 2
	ds_bpermute_b32 v20, v107, v17
	v_cmp_le_u32_e32 vcc, v108, v15
	s_waitcnt lgkmcnt(0)
	v_cndmask_b32_e32 v20, 0, v20, vcc
	v_cmp_gt_u32_e32 vcc, 48, v101
	v_add_u32_e32 v17, v17, v20
	v_cndmask_b32_e64 v20, 0, 1, vcc
	v_lshlrev_b32_e32 v20, 4, v20
	v_add_lshl_u32 v109, v20, v95, 2
	ds_bpermute_b32 v20, v109, v17
	v_cmp_le_u32_e32 vcc, v110, v15
	;; [unrolled: 9-line block ×3, first 2 shown]
	s_waitcnt lgkmcnt(0)
	v_cndmask_b32_e32 v15, 0, v20, vcc
	v_add_u32_e32 v20, v17, v15
	v_mov_b32_e32 v17, 0
	s_branch .LBB2813_80
.LBB2813_79:                            ;   in Loop: Header=BB2813_80 Depth=1
	s_or_b64 exec, exec, s[34:35]
	v_cmp_eq_u16_sdwa s[34:35], v21, v100 src0_sel:BYTE_0 src1_sel:DWORD
	v_and_b32_e32 v24, s35, v23
	v_or_b32_e32 v24, 0x80000000, v24
	ds_bpermute_b32 v113, v102, v20
	v_and_b32_e32 v25, s34, v22
	v_ffbl_b32_e32 v24, v24
	v_add_u32_e32 v24, 32, v24
	v_ffbl_b32_e32 v25, v25
	v_min_u32_e32 v24, v25, v24
	v_cmp_lt_u32_e32 vcc, v101, v24
	s_waitcnt lgkmcnt(0)
	v_cndmask_b32_e32 v25, 0, v113, vcc
	v_add_u32_e32 v20, v25, v20
	ds_bpermute_b32 v25, v103, v20
	v_cmp_le_u32_e32 vcc, v104, v24
	v_subrev_u32_e32 v16, 64, v16
	s_waitcnt lgkmcnt(0)
	v_cndmask_b32_e32 v25, 0, v25, vcc
	v_add_u32_e32 v20, v20, v25
	ds_bpermute_b32 v25, v105, v20
	v_cmp_le_u32_e32 vcc, v106, v24
	s_waitcnt lgkmcnt(0)
	v_cndmask_b32_e32 v25, 0, v25, vcc
	v_add_u32_e32 v20, v20, v25
	ds_bpermute_b32 v25, v107, v20
	v_cmp_le_u32_e32 vcc, v108, v24
	;; [unrolled: 5-line block ×4, first 2 shown]
	s_waitcnt lgkmcnt(0)
	v_cndmask_b32_e32 v24, 0, v25, vcc
	v_add3_u32 v20, v24, v15, v20
.LBB2813_80:                            ; =>This Loop Header: Depth=1
                                        ;     Child Loop BB2813_83 Depth 2
	v_cmp_ne_u16_sdwa s[34:35], v21, v100 src0_sel:BYTE_0 src1_sel:DWORD
	v_cndmask_b32_e64 v15, 0, 1, s[34:35]
	;;#ASMSTART
	;;#ASMEND
	v_cmp_ne_u32_e32 vcc, 0, v15
	s_cmp_lg_u64 vcc, exec
	v_mov_b32_e32 v15, v20
	s_cbranch_scc1 .LBB2813_85
; %bb.81:                               ;   in Loop: Header=BB2813_80 Depth=1
	v_lshlrev_b64 v[20:21], 3, v[16:17]
	v_mov_b32_e32 v25, s29
	v_add_co_u32_e32 v24, vcc, s28, v20
	v_addc_co_u32_e32 v25, vcc, v25, v21, vcc
	global_load_dwordx2 v[20:21], v[24:25], off glc
	s_waitcnt vmcnt(0)
	v_cmp_eq_u16_sdwa s[36:37], v21, v17 src0_sel:BYTE_0 src1_sel:DWORD
	s_and_saveexec_b64 s[34:35], s[36:37]
	s_cbranch_execz .LBB2813_79
; %bb.82:                               ;   in Loop: Header=BB2813_80 Depth=1
	s_mov_b64 s[36:37], 0
.LBB2813_83:                            ;   Parent Loop BB2813_80 Depth=1
                                        ; =>  This Inner Loop Header: Depth=2
	global_load_dwordx2 v[20:21], v[24:25], off glc
	s_waitcnt vmcnt(0)
	v_cmp_ne_u16_sdwa s[38:39], v21, v17 src0_sel:BYTE_0 src1_sel:DWORD
	s_or_b64 s[36:37], s[38:39], s[36:37]
	s_andn2_b64 exec, exec, s[36:37]
	s_cbranch_execnz .LBB2813_83
; %bb.84:                               ;   in Loop: Header=BB2813_80 Depth=1
	s_or_b64 exec, exec, s[36:37]
	s_branch .LBB2813_79
.LBB2813_85:                            ;   in Loop: Header=BB2813_80 Depth=1
                                        ; implicit-def: $vgpr20
                                        ; implicit-def: $vgpr21
	s_cbranch_execz .LBB2813_80
; %bb.86:
	s_and_saveexec_b64 s[34:35], s[18:19]
	s_cbranch_execz .LBB2813_88
; %bb.87:
	s_add_i32 s6, s6, 64
	s_mov_b32 s7, 0
	s_lshl_b64 s[6:7], s[6:7], 3
	s_add_u32 s6, s28, s6
	v_add_u32_e32 v16, v15, v14
	v_mov_b32_e32 v17, 2
	s_addc_u32 s7, s29, s7
	v_mov_b32_e32 v20, 0
	global_store_dwordx2 v20, v[16:17], s[6:7]
	ds_write_b64 v20, v[14:15] offset:14336
.LBB2813_88:
	s_or_b64 exec, exec, s[34:35]
	v_cmp_eq_u32_e32 vcc, 0, v0
	s_and_b64 exec, exec, vcc
	s_cbranch_execz .LBB2813_90
; %bb.89:
	v_mov_b32_e32 v14, 0
	ds_write_b32 v14, v15 offset:12
.LBB2813_90:
	s_or_b64 exec, exec, s[30:31]
	v_mov_b32_e32 v14, 0
	s_waitcnt lgkmcnt(0)
	s_barrier
	ds_read_b32 v17, v14 offset:12
	s_waitcnt lgkmcnt(0)
	s_barrier
	ds_read_b64 v[14:15], v14 offset:14336
	v_cndmask_b32_e64 v16, v99, v98, s[18:19]
	v_cmp_ne_u32_e32 vcc, 0, v0
	v_cndmask_b32_e32 v16, 0, v16, vcc
	v_add_u32_e32 v17, v17, v16
	s_waitcnt lgkmcnt(0)
	v_mov_b32_e32 v16, v15
	s_load_dwordx2 s[4:5], s[4:5], 0x28
	s_branch .LBB2813_101
.LBB2813_91:
                                        ; implicit-def: $vgpr16
                                        ; implicit-def: $vgpr14
                                        ; implicit-def: $vgpr17
	s_load_dwordx2 s[4:5], s[4:5], 0x28
	s_cbranch_execz .LBB2813_101
; %bb.92:
	v_mov_b32_dpp v14, v97 row_shr:1 row_mask:0xf bank_mask:0xf
	v_cndmask_b32_e64 v14, v14, 0, s[16:17]
	v_add_u32_e32 v14, v14, v97
	s_nop 1
	v_mov_b32_dpp v15, v14 row_shr:2 row_mask:0xf bank_mask:0xf
	v_cndmask_b32_e64 v15, 0, v15, s[14:15]
	v_add_u32_e32 v14, v14, v15
	s_nop 1
	;; [unrolled: 4-line block ×4, first 2 shown]
	v_mov_b32_dpp v15, v14 row_bcast:15 row_mask:0xf bank_mask:0xf
	v_cndmask_b32_e64 v15, v15, 0, s[8:9]
	v_add_u32_e32 v14, v14, v15
	s_nop 1
	v_mov_b32_dpp v15, v14 row_bcast:31 row_mask:0xf bank_mask:0xf
	v_cndmask_b32_e64 v15, 0, v15, s[2:3]
	v_add_u32_e32 v14, v14, v15
	s_and_saveexec_b64 s[2:3], s[20:21]
	s_cbranch_execz .LBB2813_94
; %bb.93:
	v_lshlrev_b32_e32 v15, 2, v96
	ds_write_b32 v15, v14
.LBB2813_94:
	s_or_b64 exec, exec, s[2:3]
	v_cmp_gt_u32_e32 vcc, 4, v0
	s_waitcnt lgkmcnt(0)
	s_barrier
	s_and_saveexec_b64 s[2:3], vcc
	s_cbranch_execz .LBB2813_96
; %bb.95:
	v_lshlrev_b32_e32 v15, 2, v0
	ds_read_b32 v16, v15
	v_and_b32_e32 v17, 3, v95
	v_cmp_ne_u32_e32 vcc, 0, v17
	s_waitcnt lgkmcnt(0)
	v_mov_b32_dpp v20, v16 row_shr:1 row_mask:0xf bank_mask:0xf
	v_cndmask_b32_e32 v20, 0, v20, vcc
	v_add_u32_e32 v16, v20, v16
	v_cmp_lt_u32_e32 vcc, 1, v17
	s_nop 0
	v_mov_b32_dpp v20, v16 row_shr:2 row_mask:0xf bank_mask:0xf
	v_cndmask_b32_e32 v17, 0, v20, vcc
	v_add_u32_e32 v16, v16, v17
	ds_write_b32 v15, v16
.LBB2813_96:
	s_or_b64 exec, exec, s[2:3]
	v_cmp_lt_u32_e32 vcc, 63, v0
	v_mov_b32_e32 v15, 0
	v_mov_b32_e32 v16, 0
	s_waitcnt lgkmcnt(0)
	s_barrier
	s_and_saveexec_b64 s[2:3], vcc
	s_cbranch_execz .LBB2813_98
; %bb.97:
	v_lshl_add_u32 v16, v96, 2, -4
	ds_read_b32 v16, v16
.LBB2813_98:
	s_or_b64 exec, exec, s[2:3]
	v_add_u32_e32 v17, -1, v95
	v_and_b32_e32 v20, 64, v95
	v_cmp_lt_i32_e32 vcc, v17, v20
	v_cndmask_b32_e32 v17, v17, v95, vcc
	s_waitcnt lgkmcnt(0)
	v_add_u32_e32 v14, v16, v14
	v_lshlrev_b32_e32 v17, 2, v17
	ds_bpermute_b32 v17, v17, v14
	ds_read_b32 v14, v15 offset:12
	v_cmp_eq_u32_e32 vcc, 0, v0
	s_and_saveexec_b64 s[2:3], vcc
	s_cbranch_execz .LBB2813_100
; %bb.99:
	v_mov_b32_e32 v20, 0
	v_mov_b32_e32 v15, 2
	s_waitcnt lgkmcnt(0)
	global_store_dwordx2 v20, v[14:15], s[28:29] offset:512
.LBB2813_100:
	s_or_b64 exec, exec, s[2:3]
	v_cmp_eq_u32_e64 s[2:3], 0, v95
	s_waitcnt lgkmcnt(1)
	v_cndmask_b32_e64 v15, v17, v16, s[2:3]
	v_mov_b32_e32 v16, 0
	v_cndmask_b32_e64 v17, v15, 0, vcc
	s_waitcnt lgkmcnt(0)
	s_barrier
.LBB2813_101:
	v_add_u32_e32 v15, v17, v69
	v_add_u32_e32 v20, v15, v70
	v_add_u32_e32 v21, v20, v71
	v_add_u32_e32 v22, v21, v72
	v_add_u32_e32 v23, v22, v73
	v_add_u32_e32 v24, v23, v74
	v_add_u32_e32 v25, v24, v75
	v_add_u32_e32 v69, v25, v76
	v_add_u32_e32 v70, v69, v77
	v_add_u32_e32 v71, v70, v78
	v_add_u32_e32 v72, v71, v79
	v_add_u32_e32 v73, v72, v80
	v_add_u32_e32 v74, v73, v81
	v_add_u32_e32 v75, v74, v82
	v_add_u32_e32 v76, v75, v83
	v_add_u32_e32 v77, v76, v84
	v_add_u32_e32 v78, v77, v85
	v_add_u32_e32 v79, v78, v86
	v_add_u32_e32 v80, v79, v87
	v_add_u32_e32 v39, v14, v39
	v_sub_u32_e32 v17, v17, v16
	v_and_b32_e32 v68, 1, v68
	v_add_u32_e32 v81, v80, v88
	v_sub_u32_e32 v88, v39, v17
	v_cmp_eq_u32_e32 vcc, 1, v68
	v_cndmask_b32_e32 v17, v88, v17, vcc
	v_lshlrev_b32_e32 v17, 1, v17
	ds_write_b16 v17, v10
	v_sub_u32_e32 v10, v15, v16
	v_sub_u32_e32 v15, v39, v10
	v_and_b32_e32 v17, 1, v67
	v_add_u32_e32 v15, 1, v15
	v_cmp_eq_u32_e32 vcc, 1, v17
	v_cndmask_b32_e32 v10, v15, v10, vcc
	v_lshlrev_b32_e32 v10, 1, v10
	ds_write_b16 v10, v40
	v_sub_u32_e32 v10, v20, v16
	v_sub_u32_e32 v15, v39, v10
	v_and_b32_e32 v17, 1, v66
	v_add_u32_e32 v15, 2, v15
	;; [unrolled: 8-line block ×20, first 2 shown]
	v_cmp_eq_u32_e32 vcc, 1, v6
	v_cndmask_b32_e32 v2, v3, v2, vcc
	v_add_u32_e32 v82, v81, v89
	v_lshlrev_b32_e32 v2, 1, v2
	ds_write_b16 v2, v4
	v_sub_u32_e32 v2, v82, v16
	v_sub_u32_e32 v3, v39, v2
	v_and_b32_e32 v4, 1, v47
	v_add_u32_e32 v3, 21, v3
	v_cmp_eq_u32_e32 vcc, 1, v4
	v_cndmask_b32_e32 v2, v3, v2, vcc
	v_add_u32_e32 v83, v82, v90
	v_lshlrev_b32_e32 v2, 1, v2
	ds_write_b16 v2, v29
	v_sub_u32_e32 v2, v83, v16
	v_sub_u32_e32 v3, v39, v2
	v_and_b32_e32 v4, 1, v46
	v_add_u32_e32 v3, 22, v3
	;; [unrolled: 9-line block ×6, first 2 shown]
	v_cmp_eq_u32_e32 vcc, 1, v4
	v_cndmask_b32_e32 v2, v3, v2, vcc
	v_lshlrev_b32_e32 v2, 1, v2
	ds_write_b16 v2, v19
	v_sub_u32_sdwa v2, v41, v16 dst_sel:DWORD dst_unused:UNUSED_PAD src0_sel:BYTE_0 src1_sel:DWORD
	v_add_u32_e32 v2, v87, v2
	v_sub_u32_e32 v3, v39, v2
	v_and_b32_e32 v4, 1, v42
	v_add_u32_e32 v3, 27, v3
	v_cmp_eq_u32_e32 vcc, 1, v4
	v_cndmask_b32_e32 v2, v3, v2, vcc
	v_lshlrev_b32_e32 v2, 1, v2
	ds_write_b16 v2, v26
	s_waitcnt lgkmcnt(0)
	s_barrier
	ds_read_u16 v61, v1
	ds_read_u16 v60, v1 offset:512
	ds_read_u16 v58, v1 offset:1024
	;; [unrolled: 1-line block ×27, first 2 shown]
	v_or_b32_e32 v59, 0x100, v0
	v_or_b32_e32 v57, 0x200, v0
	;; [unrolled: 1-line block ×26, first 2 shown]
	s_and_b64 vcc, exec, s[0:1]
	v_or_b32_e32 v5, 0x1b00, v0
	s_cbranch_vccnz .LBB2813_131
; %bb.102:
	s_lshl_b64 s[0:1], s[22:23], 1
	v_mov_b32_e32 v17, 0
	s_add_u32 s0, s4, s0
	s_addc_u32 s1, s5, s1
	v_lshlrev_b64 v[2:3], 1, v[16:17]
	v_mov_b32_e32 v17, s1
	v_add_co_u32_e32 v2, vcc, s0, v2
	v_addc_co_u32_e32 v3, vcc, v17, v3, vcc
	v_cmp_lt_u32_e32 vcc, v0, v14
	s_and_saveexec_b64 s[0:1], vcc
	s_cbranch_execnz .LBB2813_166
; %bb.103:
	s_or_b64 exec, exec, s[0:1]
	v_cmp_lt_u32_e32 vcc, v59, v14
	s_and_saveexec_b64 s[0:1], vcc
	s_cbranch_execnz .LBB2813_167
.LBB2813_104:
	s_or_b64 exec, exec, s[0:1]
	v_cmp_lt_u32_e32 vcc, v57, v14
	s_and_saveexec_b64 s[0:1], vcc
	s_cbranch_execnz .LBB2813_168
.LBB2813_105:
	s_or_b64 exec, exec, s[0:1]
	v_cmp_lt_u32_e32 vcc, v55, v14
	s_and_saveexec_b64 s[0:1], vcc
	s_cbranch_execnz .LBB2813_169
.LBB2813_106:
	s_or_b64 exec, exec, s[0:1]
	v_cmp_lt_u32_e32 vcc, v53, v14
	s_and_saveexec_b64 s[0:1], vcc
	s_cbranch_execnz .LBB2813_170
.LBB2813_107:
	s_or_b64 exec, exec, s[0:1]
	v_cmp_lt_u32_e32 vcc, v52, v14
	s_and_saveexec_b64 s[0:1], vcc
	s_cbranch_execnz .LBB2813_171
.LBB2813_108:
	s_or_b64 exec, exec, s[0:1]
	v_cmp_lt_u32_e32 vcc, v50, v14
	s_and_saveexec_b64 s[0:1], vcc
	s_cbranch_execnz .LBB2813_172
.LBB2813_109:
	s_or_b64 exec, exec, s[0:1]
	v_cmp_lt_u32_e32 vcc, v48, v14
	s_and_saveexec_b64 s[0:1], vcc
	s_cbranch_execnz .LBB2813_173
.LBB2813_110:
	s_or_b64 exec, exec, s[0:1]
	v_cmp_lt_u32_e32 vcc, v45, v14
	s_and_saveexec_b64 s[0:1], vcc
	s_cbranch_execnz .LBB2813_174
.LBB2813_111:
	s_or_b64 exec, exec, s[0:1]
	v_cmp_lt_u32_e32 vcc, v43, v14
	s_and_saveexec_b64 s[0:1], vcc
	s_cbranch_execnz .LBB2813_175
.LBB2813_112:
	s_or_b64 exec, exec, s[0:1]
	v_cmp_lt_u32_e32 vcc, v41, v14
	s_and_saveexec_b64 s[0:1], vcc
	s_cbranch_execnz .LBB2813_176
.LBB2813_113:
	s_or_b64 exec, exec, s[0:1]
	v_cmp_lt_u32_e32 vcc, v39, v14
	s_and_saveexec_b64 s[0:1], vcc
	s_cbranch_execnz .LBB2813_177
.LBB2813_114:
	s_or_b64 exec, exec, s[0:1]
	v_cmp_lt_u32_e32 vcc, v37, v14
	s_and_saveexec_b64 s[0:1], vcc
	s_cbranch_execnz .LBB2813_178
.LBB2813_115:
	s_or_b64 exec, exec, s[0:1]
	v_cmp_lt_u32_e32 vcc, v35, v14
	s_and_saveexec_b64 s[0:1], vcc
	s_cbranch_execnz .LBB2813_179
.LBB2813_116:
	s_or_b64 exec, exec, s[0:1]
	v_cmp_lt_u32_e32 vcc, v33, v14
	s_and_saveexec_b64 s[0:1], vcc
	s_cbranch_execnz .LBB2813_180
.LBB2813_117:
	s_or_b64 exec, exec, s[0:1]
	v_cmp_lt_u32_e32 vcc, v30, v14
	s_and_saveexec_b64 s[0:1], vcc
	s_cbranch_execnz .LBB2813_181
.LBB2813_118:
	s_or_b64 exec, exec, s[0:1]
	v_cmp_lt_u32_e32 vcc, v29, v14
	s_and_saveexec_b64 s[0:1], vcc
	s_cbranch_execnz .LBB2813_182
.LBB2813_119:
	s_or_b64 exec, exec, s[0:1]
	v_cmp_lt_u32_e32 vcc, v27, v14
	s_and_saveexec_b64 s[0:1], vcc
	s_cbranch_execnz .LBB2813_183
.LBB2813_120:
	s_or_b64 exec, exec, s[0:1]
	v_cmp_lt_u32_e32 vcc, v25, v14
	s_and_saveexec_b64 s[0:1], vcc
	s_cbranch_execnz .LBB2813_184
.LBB2813_121:
	s_or_b64 exec, exec, s[0:1]
	v_cmp_lt_u32_e32 vcc, v23, v14
	s_and_saveexec_b64 s[0:1], vcc
	s_cbranch_execnz .LBB2813_185
.LBB2813_122:
	s_or_b64 exec, exec, s[0:1]
	v_cmp_lt_u32_e32 vcc, v21, v14
	s_and_saveexec_b64 s[0:1], vcc
	s_cbranch_execnz .LBB2813_186
.LBB2813_123:
	s_or_b64 exec, exec, s[0:1]
	v_cmp_lt_u32_e32 vcc, v19, v14
	s_and_saveexec_b64 s[0:1], vcc
	s_cbranch_execnz .LBB2813_187
.LBB2813_124:
	s_or_b64 exec, exec, s[0:1]
	v_cmp_lt_u32_e32 vcc, v15, v14
	s_and_saveexec_b64 s[0:1], vcc
	s_cbranch_execnz .LBB2813_188
.LBB2813_125:
	s_or_b64 exec, exec, s[0:1]
	v_cmp_lt_u32_e32 vcc, v12, v14
	s_and_saveexec_b64 s[0:1], vcc
	s_cbranch_execnz .LBB2813_189
.LBB2813_126:
	s_or_b64 exec, exec, s[0:1]
	v_cmp_lt_u32_e32 vcc, v11, v14
	s_and_saveexec_b64 s[0:1], vcc
	s_cbranch_execnz .LBB2813_190
.LBB2813_127:
	s_or_b64 exec, exec, s[0:1]
	v_cmp_lt_u32_e32 vcc, v9, v14
	s_and_saveexec_b64 s[0:1], vcc
	s_cbranch_execnz .LBB2813_191
.LBB2813_128:
	s_or_b64 exec, exec, s[0:1]
	v_cmp_lt_u32_e32 vcc, v7, v14
	s_and_saveexec_b64 s[0:1], vcc
	s_cbranch_execz .LBB2813_130
.LBB2813_129:
	v_lshlrev_b32_e32 v17, 1, v7
	v_readfirstlane_b32 s2, v2
	v_readfirstlane_b32 s3, v3
	s_waitcnt lgkmcnt(1)
	s_nop 3
	global_store_short v17, v6, s[2:3]
.LBB2813_130:
	s_or_b64 exec, exec, s[0:1]
	v_cmp_lt_u32_e64 s[0:1], v5, v14
	s_branch .LBB2813_161
.LBB2813_131:
	s_mov_b64 s[0:1], 0
                                        ; implicit-def: $vgpr2_vgpr3
	s_cbranch_execz .LBB2813_161
; %bb.132:
	s_lshl_b64 s[0:1], s[22:23], 1
	v_mov_b32_e32 v17, 0
	s_add_u32 s0, s4, s0
	s_addc_u32 s1, s5, s1
	v_lshlrev_b64 v[2:3], 1, v[16:17]
	v_mov_b32_e32 v17, s1
	v_add_co_u32_e32 v2, vcc, s0, v2
	v_min_u32_e32 v62, s33, v14
	v_addc_co_u32_e32 v3, vcc, v17, v3, vcc
	v_cmp_gt_u32_e32 vcc, v62, v0
	s_and_saveexec_b64 s[0:1], vcc
	s_cbranch_execnz .LBB2813_192
; %bb.133:
	s_or_b64 exec, exec, s[0:1]
	v_cmp_lt_u32_e32 vcc, v59, v62
	s_and_saveexec_b64 s[0:1], vcc
	s_cbranch_execnz .LBB2813_193
.LBB2813_134:
	s_or_b64 exec, exec, s[0:1]
	v_cmp_lt_u32_e32 vcc, v57, v62
	s_and_saveexec_b64 s[0:1], vcc
	s_cbranch_execnz .LBB2813_194
.LBB2813_135:
	s_or_b64 exec, exec, s[0:1]
	v_cmp_lt_u32_e32 vcc, v55, v62
	s_and_saveexec_b64 s[0:1], vcc
	s_cbranch_execnz .LBB2813_195
.LBB2813_136:
	s_or_b64 exec, exec, s[0:1]
	v_cmp_lt_u32_e32 vcc, v53, v62
	s_and_saveexec_b64 s[0:1], vcc
	s_cbranch_execnz .LBB2813_196
.LBB2813_137:
	s_or_b64 exec, exec, s[0:1]
	v_cmp_lt_u32_e32 vcc, v52, v62
	s_and_saveexec_b64 s[0:1], vcc
	s_cbranch_execnz .LBB2813_197
.LBB2813_138:
	s_or_b64 exec, exec, s[0:1]
	v_cmp_lt_u32_e32 vcc, v50, v62
	s_and_saveexec_b64 s[0:1], vcc
	s_cbranch_execnz .LBB2813_198
.LBB2813_139:
	s_or_b64 exec, exec, s[0:1]
	v_cmp_lt_u32_e32 vcc, v48, v62
	s_and_saveexec_b64 s[0:1], vcc
	s_cbranch_execnz .LBB2813_199
.LBB2813_140:
	s_or_b64 exec, exec, s[0:1]
	v_cmp_lt_u32_e32 vcc, v45, v62
	s_and_saveexec_b64 s[0:1], vcc
	s_cbranch_execnz .LBB2813_200
.LBB2813_141:
	s_or_b64 exec, exec, s[0:1]
	v_cmp_lt_u32_e32 vcc, v43, v62
	s_and_saveexec_b64 s[0:1], vcc
	s_cbranch_execnz .LBB2813_201
.LBB2813_142:
	s_or_b64 exec, exec, s[0:1]
	v_cmp_lt_u32_e32 vcc, v41, v62
	s_and_saveexec_b64 s[0:1], vcc
	s_cbranch_execnz .LBB2813_202
.LBB2813_143:
	s_or_b64 exec, exec, s[0:1]
	v_cmp_lt_u32_e32 vcc, v39, v62
	s_and_saveexec_b64 s[0:1], vcc
	s_cbranch_execnz .LBB2813_203
.LBB2813_144:
	s_or_b64 exec, exec, s[0:1]
	v_cmp_lt_u32_e32 vcc, v37, v62
	s_and_saveexec_b64 s[0:1], vcc
	s_cbranch_execnz .LBB2813_204
.LBB2813_145:
	s_or_b64 exec, exec, s[0:1]
	v_cmp_lt_u32_e32 vcc, v35, v62
	s_and_saveexec_b64 s[0:1], vcc
	s_cbranch_execnz .LBB2813_205
.LBB2813_146:
	s_or_b64 exec, exec, s[0:1]
	v_cmp_lt_u32_e32 vcc, v33, v62
	s_and_saveexec_b64 s[0:1], vcc
	s_cbranch_execnz .LBB2813_206
.LBB2813_147:
	s_or_b64 exec, exec, s[0:1]
	v_cmp_lt_u32_e32 vcc, v30, v62
	s_and_saveexec_b64 s[0:1], vcc
	s_cbranch_execnz .LBB2813_207
.LBB2813_148:
	s_or_b64 exec, exec, s[0:1]
	v_cmp_lt_u32_e32 vcc, v29, v62
	s_and_saveexec_b64 s[0:1], vcc
	s_cbranch_execnz .LBB2813_208
.LBB2813_149:
	s_or_b64 exec, exec, s[0:1]
	v_cmp_lt_u32_e32 vcc, v27, v62
	s_and_saveexec_b64 s[0:1], vcc
	s_cbranch_execnz .LBB2813_209
.LBB2813_150:
	s_or_b64 exec, exec, s[0:1]
	v_cmp_lt_u32_e32 vcc, v25, v62
	s_and_saveexec_b64 s[0:1], vcc
	s_cbranch_execnz .LBB2813_210
.LBB2813_151:
	s_or_b64 exec, exec, s[0:1]
	v_cmp_lt_u32_e32 vcc, v23, v62
	s_and_saveexec_b64 s[0:1], vcc
	s_cbranch_execnz .LBB2813_211
.LBB2813_152:
	s_or_b64 exec, exec, s[0:1]
	v_cmp_lt_u32_e32 vcc, v21, v62
	s_and_saveexec_b64 s[0:1], vcc
	s_cbranch_execnz .LBB2813_212
.LBB2813_153:
	s_or_b64 exec, exec, s[0:1]
	v_cmp_lt_u32_e32 vcc, v19, v62
	s_and_saveexec_b64 s[0:1], vcc
	s_cbranch_execnz .LBB2813_213
.LBB2813_154:
	s_or_b64 exec, exec, s[0:1]
	v_cmp_lt_u32_e32 vcc, v15, v62
	s_and_saveexec_b64 s[0:1], vcc
	s_cbranch_execnz .LBB2813_214
.LBB2813_155:
	s_or_b64 exec, exec, s[0:1]
	v_cmp_lt_u32_e32 vcc, v12, v62
	s_and_saveexec_b64 s[0:1], vcc
	s_cbranch_execnz .LBB2813_215
.LBB2813_156:
	s_or_b64 exec, exec, s[0:1]
	v_cmp_lt_u32_e32 vcc, v11, v62
	s_and_saveexec_b64 s[0:1], vcc
	s_cbranch_execnz .LBB2813_216
.LBB2813_157:
	s_or_b64 exec, exec, s[0:1]
	v_cmp_lt_u32_e32 vcc, v9, v62
	s_and_saveexec_b64 s[0:1], vcc
	s_cbranch_execnz .LBB2813_217
.LBB2813_158:
	s_or_b64 exec, exec, s[0:1]
	v_cmp_lt_u32_e32 vcc, v7, v62
	s_and_saveexec_b64 s[0:1], vcc
	s_cbranch_execz .LBB2813_160
.LBB2813_159:
	v_lshlrev_b32_e32 v1, 1, v7
	v_readfirstlane_b32 s2, v2
	v_readfirstlane_b32 s3, v3
	s_waitcnt lgkmcnt(1)
	s_nop 3
	global_store_short v1, v6, s[2:3]
.LBB2813_160:
	s_or_b64 exec, exec, s[0:1]
	v_cmp_lt_u32_e64 s[0:1], v5, v62
.LBB2813_161:
	s_and_saveexec_b64 s[2:3], s[0:1]
	s_cbranch_execz .LBB2813_163
; %bb.162:
	v_lshlrev_b32_e32 v1, 1, v5
	v_readfirstlane_b32 s0, v2
	v_readfirstlane_b32 s1, v3
	s_waitcnt lgkmcnt(0)
	s_nop 3
	global_store_short v1, v4, s[0:1]
.LBB2813_163:
	s_or_b64 exec, exec, s[2:3]
	v_cmp_eq_u32_e32 vcc, 0, v0
	s_and_b64 s[0:1], vcc, s[26:27]
	s_and_saveexec_b64 s[2:3], s[0:1]
	s_cbranch_execz .LBB2813_165
; %bb.164:
	v_mov_b32_e32 v0, s23
	v_add_co_u32_e32 v1, vcc, s22, v14
	v_addc_co_u32_e32 v3, vcc, 0, v0, vcc
	v_add_co_u32_e32 v0, vcc, v1, v16
	v_mov_b32_e32 v2, 0
	v_addc_co_u32_e32 v1, vcc, 0, v3, vcc
	global_store_dwordx2 v2, v[0:1], s[24:25]
.LBB2813_165:
	s_endpgm
.LBB2813_166:
	v_readfirstlane_b32 s2, v2
	v_readfirstlane_b32 s3, v3
	s_waitcnt lgkmcnt(14)
	s_nop 3
	global_store_short v1, v61, s[2:3]
	s_or_b64 exec, exec, s[0:1]
	v_cmp_lt_u32_e32 vcc, v59, v14
	s_and_saveexec_b64 s[0:1], vcc
	s_cbranch_execz .LBB2813_104
.LBB2813_167:
	v_readfirstlane_b32 s2, v2
	v_readfirstlane_b32 s3, v3
	s_waitcnt lgkmcnt(14)
	s_nop 3
	global_store_short v1, v60, s[2:3] offset:512
	s_or_b64 exec, exec, s[0:1]
	v_cmp_lt_u32_e32 vcc, v57, v14
	s_and_saveexec_b64 s[0:1], vcc
	s_cbranch_execz .LBB2813_105
.LBB2813_168:
	v_readfirstlane_b32 s2, v2
	v_readfirstlane_b32 s3, v3
	s_waitcnt lgkmcnt(14)
	s_nop 3
	global_store_short v1, v58, s[2:3] offset:1024
	s_or_b64 exec, exec, s[0:1]
	v_cmp_lt_u32_e32 vcc, v55, v14
	s_and_saveexec_b64 s[0:1], vcc
	s_cbranch_execz .LBB2813_106
.LBB2813_169:
	v_readfirstlane_b32 s2, v2
	v_readfirstlane_b32 s3, v3
	s_waitcnt lgkmcnt(14)
	s_nop 3
	global_store_short v1, v56, s[2:3] offset:1536
	s_or_b64 exec, exec, s[0:1]
	v_cmp_lt_u32_e32 vcc, v53, v14
	s_and_saveexec_b64 s[0:1], vcc
	s_cbranch_execz .LBB2813_107
.LBB2813_170:
	v_readfirstlane_b32 s2, v2
	v_readfirstlane_b32 s3, v3
	s_waitcnt lgkmcnt(14)
	s_nop 3
	global_store_short v1, v54, s[2:3] offset:2048
	s_or_b64 exec, exec, s[0:1]
	v_cmp_lt_u32_e32 vcc, v52, v14
	s_and_saveexec_b64 s[0:1], vcc
	s_cbranch_execz .LBB2813_108
.LBB2813_171:
	v_readfirstlane_b32 s2, v2
	v_readfirstlane_b32 s3, v3
	s_waitcnt lgkmcnt(14)
	s_nop 3
	global_store_short v1, v51, s[2:3] offset:2560
	s_or_b64 exec, exec, s[0:1]
	v_cmp_lt_u32_e32 vcc, v50, v14
	s_and_saveexec_b64 s[0:1], vcc
	s_cbranch_execz .LBB2813_109
.LBB2813_172:
	v_readfirstlane_b32 s2, v2
	v_readfirstlane_b32 s3, v3
	s_waitcnt lgkmcnt(14)
	s_nop 3
	global_store_short v1, v49, s[2:3] offset:3072
	s_or_b64 exec, exec, s[0:1]
	v_cmp_lt_u32_e32 vcc, v48, v14
	s_and_saveexec_b64 s[0:1], vcc
	s_cbranch_execz .LBB2813_110
.LBB2813_173:
	v_readfirstlane_b32 s2, v2
	v_readfirstlane_b32 s3, v3
	s_waitcnt lgkmcnt(14)
	s_nop 3
	global_store_short v1, v46, s[2:3] offset:3584
	s_or_b64 exec, exec, s[0:1]
	v_cmp_lt_u32_e32 vcc, v45, v14
	s_and_saveexec_b64 s[0:1], vcc
	s_cbranch_execz .LBB2813_111
.LBB2813_174:
	v_lshlrev_b32_e32 v17, 1, v45
	v_readfirstlane_b32 s2, v2
	v_readfirstlane_b32 s3, v3
	s_waitcnt lgkmcnt(14)
	s_nop 3
	global_store_short v17, v47, s[2:3]
	s_or_b64 exec, exec, s[0:1]
	v_cmp_lt_u32_e32 vcc, v43, v14
	s_and_saveexec_b64 s[0:1], vcc
	s_cbranch_execz .LBB2813_112
.LBB2813_175:
	v_lshlrev_b32_e32 v17, 1, v43
	v_readfirstlane_b32 s2, v2
	v_readfirstlane_b32 s3, v3
	s_waitcnt lgkmcnt(14)
	s_nop 3
	global_store_short v17, v44, s[2:3]
	s_or_b64 exec, exec, s[0:1]
	v_cmp_lt_u32_e32 vcc, v41, v14
	s_and_saveexec_b64 s[0:1], vcc
	s_cbranch_execz .LBB2813_113
.LBB2813_176:
	v_lshlrev_b32_e32 v17, 1, v41
	v_readfirstlane_b32 s2, v2
	v_readfirstlane_b32 s3, v3
	s_waitcnt lgkmcnt(14)
	s_nop 3
	global_store_short v17, v42, s[2:3]
	s_or_b64 exec, exec, s[0:1]
	v_cmp_lt_u32_e32 vcc, v39, v14
	s_and_saveexec_b64 s[0:1], vcc
	s_cbranch_execz .LBB2813_114
.LBB2813_177:
	v_lshlrev_b32_e32 v17, 1, v39
	v_readfirstlane_b32 s2, v2
	v_readfirstlane_b32 s3, v3
	s_waitcnt lgkmcnt(14)
	s_nop 3
	global_store_short v17, v40, s[2:3]
	s_or_b64 exec, exec, s[0:1]
	v_cmp_lt_u32_e32 vcc, v37, v14
	s_and_saveexec_b64 s[0:1], vcc
	s_cbranch_execz .LBB2813_115
.LBB2813_178:
	v_lshlrev_b32_e32 v17, 1, v37
	v_readfirstlane_b32 s2, v2
	v_readfirstlane_b32 s3, v3
	s_waitcnt lgkmcnt(14)
	s_nop 3
	global_store_short v17, v38, s[2:3]
	s_or_b64 exec, exec, s[0:1]
	v_cmp_lt_u32_e32 vcc, v35, v14
	s_and_saveexec_b64 s[0:1], vcc
	s_cbranch_execz .LBB2813_116
.LBB2813_179:
	v_lshlrev_b32_e32 v17, 1, v35
	v_readfirstlane_b32 s2, v2
	v_readfirstlane_b32 s3, v3
	s_waitcnt lgkmcnt(14)
	s_nop 3
	global_store_short v17, v36, s[2:3]
	s_or_b64 exec, exec, s[0:1]
	v_cmp_lt_u32_e32 vcc, v33, v14
	s_and_saveexec_b64 s[0:1], vcc
	s_cbranch_execz .LBB2813_117
.LBB2813_180:
	v_lshlrev_b32_e32 v17, 1, v33
	v_readfirstlane_b32 s2, v2
	v_readfirstlane_b32 s3, v3
	s_waitcnt lgkmcnt(13)
	s_nop 3
	global_store_short v17, v34, s[2:3]
	s_or_b64 exec, exec, s[0:1]
	v_cmp_lt_u32_e32 vcc, v30, v14
	s_and_saveexec_b64 s[0:1], vcc
	s_cbranch_execz .LBB2813_118
.LBB2813_181:
	v_lshlrev_b32_e32 v17, 1, v30
	v_readfirstlane_b32 s2, v2
	v_readfirstlane_b32 s3, v3
	s_waitcnt lgkmcnt(12)
	s_nop 3
	global_store_short v17, v31, s[2:3]
	s_or_b64 exec, exec, s[0:1]
	v_cmp_lt_u32_e32 vcc, v29, v14
	s_and_saveexec_b64 s[0:1], vcc
	s_cbranch_execz .LBB2813_119
.LBB2813_182:
	v_lshlrev_b32_e32 v17, 1, v29
	v_readfirstlane_b32 s2, v2
	v_readfirstlane_b32 s3, v3
	s_waitcnt lgkmcnt(11)
	s_nop 3
	global_store_short v17, v32, s[2:3]
	s_or_b64 exec, exec, s[0:1]
	v_cmp_lt_u32_e32 vcc, v27, v14
	s_and_saveexec_b64 s[0:1], vcc
	s_cbranch_execz .LBB2813_120
.LBB2813_183:
	v_lshlrev_b32_e32 v17, 1, v27
	v_readfirstlane_b32 s2, v2
	v_readfirstlane_b32 s3, v3
	s_waitcnt lgkmcnt(10)
	s_nop 3
	global_store_short v17, v28, s[2:3]
	s_or_b64 exec, exec, s[0:1]
	v_cmp_lt_u32_e32 vcc, v25, v14
	s_and_saveexec_b64 s[0:1], vcc
	s_cbranch_execz .LBB2813_121
.LBB2813_184:
	v_lshlrev_b32_e32 v17, 1, v25
	v_readfirstlane_b32 s2, v2
	v_readfirstlane_b32 s3, v3
	s_waitcnt lgkmcnt(9)
	s_nop 3
	global_store_short v17, v26, s[2:3]
	s_or_b64 exec, exec, s[0:1]
	v_cmp_lt_u32_e32 vcc, v23, v14
	s_and_saveexec_b64 s[0:1], vcc
	s_cbranch_execz .LBB2813_122
.LBB2813_185:
	v_lshlrev_b32_e32 v17, 1, v23
	v_readfirstlane_b32 s2, v2
	v_readfirstlane_b32 s3, v3
	s_waitcnt lgkmcnt(8)
	s_nop 3
	global_store_short v17, v24, s[2:3]
	s_or_b64 exec, exec, s[0:1]
	v_cmp_lt_u32_e32 vcc, v21, v14
	s_and_saveexec_b64 s[0:1], vcc
	s_cbranch_execz .LBB2813_123
.LBB2813_186:
	v_lshlrev_b32_e32 v17, 1, v21
	v_readfirstlane_b32 s2, v2
	v_readfirstlane_b32 s3, v3
	s_waitcnt lgkmcnt(7)
	s_nop 3
	global_store_short v17, v22, s[2:3]
	s_or_b64 exec, exec, s[0:1]
	v_cmp_lt_u32_e32 vcc, v19, v14
	s_and_saveexec_b64 s[0:1], vcc
	s_cbranch_execz .LBB2813_124
.LBB2813_187:
	v_lshlrev_b32_e32 v17, 1, v19
	v_readfirstlane_b32 s2, v2
	v_readfirstlane_b32 s3, v3
	s_waitcnt lgkmcnt(6)
	s_nop 3
	global_store_short v17, v20, s[2:3]
	s_or_b64 exec, exec, s[0:1]
	v_cmp_lt_u32_e32 vcc, v15, v14
	s_and_saveexec_b64 s[0:1], vcc
	s_cbranch_execz .LBB2813_125
.LBB2813_188:
	v_lshlrev_b32_e32 v17, 1, v15
	v_readfirstlane_b32 s2, v2
	v_readfirstlane_b32 s3, v3
	s_waitcnt lgkmcnt(5)
	s_nop 3
	global_store_short v17, v18, s[2:3]
	s_or_b64 exec, exec, s[0:1]
	v_cmp_lt_u32_e32 vcc, v12, v14
	s_and_saveexec_b64 s[0:1], vcc
	s_cbranch_execz .LBB2813_126
.LBB2813_189:
	v_lshlrev_b32_e32 v17, 1, v12
	v_readfirstlane_b32 s2, v2
	v_readfirstlane_b32 s3, v3
	s_waitcnt lgkmcnt(4)
	s_nop 3
	global_store_short v17, v13, s[2:3]
	s_or_b64 exec, exec, s[0:1]
	v_cmp_lt_u32_e32 vcc, v11, v14
	s_and_saveexec_b64 s[0:1], vcc
	s_cbranch_execz .LBB2813_127
.LBB2813_190:
	v_lshlrev_b32_e32 v17, 1, v11
	v_readfirstlane_b32 s2, v2
	v_readfirstlane_b32 s3, v3
	s_waitcnt lgkmcnt(3)
	s_nop 3
	global_store_short v17, v10, s[2:3]
	s_or_b64 exec, exec, s[0:1]
	v_cmp_lt_u32_e32 vcc, v9, v14
	s_and_saveexec_b64 s[0:1], vcc
	s_cbranch_execz .LBB2813_128
.LBB2813_191:
	v_lshlrev_b32_e32 v17, 1, v9
	v_readfirstlane_b32 s2, v2
	v_readfirstlane_b32 s3, v3
	s_waitcnt lgkmcnt(2)
	s_nop 3
	global_store_short v17, v8, s[2:3]
	s_or_b64 exec, exec, s[0:1]
	v_cmp_lt_u32_e32 vcc, v7, v14
	s_and_saveexec_b64 s[0:1], vcc
	s_cbranch_execnz .LBB2813_129
	s_branch .LBB2813_130
.LBB2813_192:
	v_readfirstlane_b32 s2, v2
	v_readfirstlane_b32 s3, v3
	s_waitcnt lgkmcnt(14)
	s_nop 3
	global_store_short v1, v61, s[2:3]
	s_or_b64 exec, exec, s[0:1]
	v_cmp_lt_u32_e32 vcc, v59, v62
	s_and_saveexec_b64 s[0:1], vcc
	s_cbranch_execz .LBB2813_134
.LBB2813_193:
	v_readfirstlane_b32 s2, v2
	v_readfirstlane_b32 s3, v3
	s_waitcnt lgkmcnt(14)
	s_nop 3
	global_store_short v1, v60, s[2:3] offset:512
	s_or_b64 exec, exec, s[0:1]
	v_cmp_lt_u32_e32 vcc, v57, v62
	s_and_saveexec_b64 s[0:1], vcc
	s_cbranch_execz .LBB2813_135
.LBB2813_194:
	v_readfirstlane_b32 s2, v2
	v_readfirstlane_b32 s3, v3
	s_waitcnt lgkmcnt(14)
	s_nop 3
	global_store_short v1, v58, s[2:3] offset:1024
	s_or_b64 exec, exec, s[0:1]
	v_cmp_lt_u32_e32 vcc, v55, v62
	s_and_saveexec_b64 s[0:1], vcc
	s_cbranch_execz .LBB2813_136
.LBB2813_195:
	v_readfirstlane_b32 s2, v2
	v_readfirstlane_b32 s3, v3
	s_waitcnt lgkmcnt(14)
	s_nop 3
	global_store_short v1, v56, s[2:3] offset:1536
	s_or_b64 exec, exec, s[0:1]
	v_cmp_lt_u32_e32 vcc, v53, v62
	s_and_saveexec_b64 s[0:1], vcc
	s_cbranch_execz .LBB2813_137
.LBB2813_196:
	v_readfirstlane_b32 s2, v2
	v_readfirstlane_b32 s3, v3
	s_waitcnt lgkmcnt(14)
	s_nop 3
	global_store_short v1, v54, s[2:3] offset:2048
	s_or_b64 exec, exec, s[0:1]
	v_cmp_lt_u32_e32 vcc, v52, v62
	s_and_saveexec_b64 s[0:1], vcc
	s_cbranch_execz .LBB2813_138
.LBB2813_197:
	v_readfirstlane_b32 s2, v2
	v_readfirstlane_b32 s3, v3
	s_waitcnt lgkmcnt(14)
	s_nop 3
	global_store_short v1, v51, s[2:3] offset:2560
	s_or_b64 exec, exec, s[0:1]
	v_cmp_lt_u32_e32 vcc, v50, v62
	s_and_saveexec_b64 s[0:1], vcc
	s_cbranch_execz .LBB2813_139
.LBB2813_198:
	v_readfirstlane_b32 s2, v2
	v_readfirstlane_b32 s3, v3
	s_waitcnt lgkmcnt(14)
	s_nop 3
	global_store_short v1, v49, s[2:3] offset:3072
	s_or_b64 exec, exec, s[0:1]
	v_cmp_lt_u32_e32 vcc, v48, v62
	s_and_saveexec_b64 s[0:1], vcc
	s_cbranch_execz .LBB2813_140
.LBB2813_199:
	v_readfirstlane_b32 s2, v2
	v_readfirstlane_b32 s3, v3
	s_waitcnt lgkmcnt(14)
	s_nop 3
	global_store_short v1, v46, s[2:3] offset:3584
	s_or_b64 exec, exec, s[0:1]
	v_cmp_lt_u32_e32 vcc, v45, v62
	s_and_saveexec_b64 s[0:1], vcc
	s_cbranch_execz .LBB2813_141
.LBB2813_200:
	v_lshlrev_b32_e32 v1, 1, v45
	v_readfirstlane_b32 s2, v2
	v_readfirstlane_b32 s3, v3
	s_waitcnt lgkmcnt(14)
	s_nop 3
	global_store_short v1, v47, s[2:3]
	s_or_b64 exec, exec, s[0:1]
	v_cmp_lt_u32_e32 vcc, v43, v62
	s_and_saveexec_b64 s[0:1], vcc
	s_cbranch_execz .LBB2813_142
.LBB2813_201:
	v_lshlrev_b32_e32 v1, 1, v43
	v_readfirstlane_b32 s2, v2
	v_readfirstlane_b32 s3, v3
	s_waitcnt lgkmcnt(14)
	s_nop 3
	global_store_short v1, v44, s[2:3]
	s_or_b64 exec, exec, s[0:1]
	v_cmp_lt_u32_e32 vcc, v41, v62
	s_and_saveexec_b64 s[0:1], vcc
	s_cbranch_execz .LBB2813_143
.LBB2813_202:
	v_lshlrev_b32_e32 v1, 1, v41
	v_readfirstlane_b32 s2, v2
	v_readfirstlane_b32 s3, v3
	s_waitcnt lgkmcnt(14)
	s_nop 3
	global_store_short v1, v42, s[2:3]
	s_or_b64 exec, exec, s[0:1]
	v_cmp_lt_u32_e32 vcc, v39, v62
	s_and_saveexec_b64 s[0:1], vcc
	s_cbranch_execz .LBB2813_144
.LBB2813_203:
	v_lshlrev_b32_e32 v1, 1, v39
	v_readfirstlane_b32 s2, v2
	v_readfirstlane_b32 s3, v3
	s_waitcnt lgkmcnt(14)
	s_nop 3
	global_store_short v1, v40, s[2:3]
	s_or_b64 exec, exec, s[0:1]
	v_cmp_lt_u32_e32 vcc, v37, v62
	s_and_saveexec_b64 s[0:1], vcc
	s_cbranch_execz .LBB2813_145
.LBB2813_204:
	v_lshlrev_b32_e32 v1, 1, v37
	v_readfirstlane_b32 s2, v2
	v_readfirstlane_b32 s3, v3
	s_waitcnt lgkmcnt(14)
	s_nop 3
	global_store_short v1, v38, s[2:3]
	s_or_b64 exec, exec, s[0:1]
	v_cmp_lt_u32_e32 vcc, v35, v62
	s_and_saveexec_b64 s[0:1], vcc
	s_cbranch_execz .LBB2813_146
.LBB2813_205:
	v_lshlrev_b32_e32 v1, 1, v35
	v_readfirstlane_b32 s2, v2
	v_readfirstlane_b32 s3, v3
	s_waitcnt lgkmcnt(14)
	s_nop 3
	global_store_short v1, v36, s[2:3]
	s_or_b64 exec, exec, s[0:1]
	v_cmp_lt_u32_e32 vcc, v33, v62
	s_and_saveexec_b64 s[0:1], vcc
	s_cbranch_execz .LBB2813_147
.LBB2813_206:
	v_lshlrev_b32_e32 v1, 1, v33
	v_readfirstlane_b32 s2, v2
	v_readfirstlane_b32 s3, v3
	s_waitcnt lgkmcnt(13)
	s_nop 3
	global_store_short v1, v34, s[2:3]
	s_or_b64 exec, exec, s[0:1]
	v_cmp_lt_u32_e32 vcc, v30, v62
	s_and_saveexec_b64 s[0:1], vcc
	s_cbranch_execz .LBB2813_148
.LBB2813_207:
	v_lshlrev_b32_e32 v1, 1, v30
	v_readfirstlane_b32 s2, v2
	v_readfirstlane_b32 s3, v3
	s_waitcnt lgkmcnt(12)
	s_nop 3
	global_store_short v1, v31, s[2:3]
	s_or_b64 exec, exec, s[0:1]
	v_cmp_lt_u32_e32 vcc, v29, v62
	s_and_saveexec_b64 s[0:1], vcc
	s_cbranch_execz .LBB2813_149
.LBB2813_208:
	v_lshlrev_b32_e32 v1, 1, v29
	v_readfirstlane_b32 s2, v2
	v_readfirstlane_b32 s3, v3
	s_waitcnt lgkmcnt(11)
	s_nop 3
	global_store_short v1, v32, s[2:3]
	s_or_b64 exec, exec, s[0:1]
	v_cmp_lt_u32_e32 vcc, v27, v62
	s_and_saveexec_b64 s[0:1], vcc
	s_cbranch_execz .LBB2813_150
.LBB2813_209:
	v_lshlrev_b32_e32 v1, 1, v27
	v_readfirstlane_b32 s2, v2
	v_readfirstlane_b32 s3, v3
	s_waitcnt lgkmcnt(10)
	s_nop 3
	global_store_short v1, v28, s[2:3]
	s_or_b64 exec, exec, s[0:1]
	v_cmp_lt_u32_e32 vcc, v25, v62
	s_and_saveexec_b64 s[0:1], vcc
	s_cbranch_execz .LBB2813_151
.LBB2813_210:
	v_lshlrev_b32_e32 v1, 1, v25
	v_readfirstlane_b32 s2, v2
	v_readfirstlane_b32 s3, v3
	s_waitcnt lgkmcnt(9)
	s_nop 3
	global_store_short v1, v26, s[2:3]
	s_or_b64 exec, exec, s[0:1]
	v_cmp_lt_u32_e32 vcc, v23, v62
	s_and_saveexec_b64 s[0:1], vcc
	s_cbranch_execz .LBB2813_152
.LBB2813_211:
	v_lshlrev_b32_e32 v1, 1, v23
	v_readfirstlane_b32 s2, v2
	v_readfirstlane_b32 s3, v3
	s_waitcnt lgkmcnt(8)
	s_nop 3
	global_store_short v1, v24, s[2:3]
	s_or_b64 exec, exec, s[0:1]
	v_cmp_lt_u32_e32 vcc, v21, v62
	s_and_saveexec_b64 s[0:1], vcc
	s_cbranch_execz .LBB2813_153
.LBB2813_212:
	v_lshlrev_b32_e32 v1, 1, v21
	v_readfirstlane_b32 s2, v2
	v_readfirstlane_b32 s3, v3
	s_waitcnt lgkmcnt(7)
	s_nop 3
	global_store_short v1, v22, s[2:3]
	s_or_b64 exec, exec, s[0:1]
	v_cmp_lt_u32_e32 vcc, v19, v62
	s_and_saveexec_b64 s[0:1], vcc
	s_cbranch_execz .LBB2813_154
.LBB2813_213:
	v_lshlrev_b32_e32 v1, 1, v19
	v_readfirstlane_b32 s2, v2
	v_readfirstlane_b32 s3, v3
	s_waitcnt lgkmcnt(6)
	s_nop 3
	global_store_short v1, v20, s[2:3]
	s_or_b64 exec, exec, s[0:1]
	v_cmp_lt_u32_e32 vcc, v15, v62
	s_and_saveexec_b64 s[0:1], vcc
	s_cbranch_execz .LBB2813_155
.LBB2813_214:
	v_lshlrev_b32_e32 v1, 1, v15
	v_readfirstlane_b32 s2, v2
	v_readfirstlane_b32 s3, v3
	s_waitcnt lgkmcnt(5)
	s_nop 3
	global_store_short v1, v18, s[2:3]
	s_or_b64 exec, exec, s[0:1]
	v_cmp_lt_u32_e32 vcc, v12, v62
	s_and_saveexec_b64 s[0:1], vcc
	s_cbranch_execz .LBB2813_156
.LBB2813_215:
	v_lshlrev_b32_e32 v1, 1, v12
	v_readfirstlane_b32 s2, v2
	v_readfirstlane_b32 s3, v3
	s_waitcnt lgkmcnt(4)
	s_nop 3
	global_store_short v1, v13, s[2:3]
	s_or_b64 exec, exec, s[0:1]
	v_cmp_lt_u32_e32 vcc, v11, v62
	s_and_saveexec_b64 s[0:1], vcc
	s_cbranch_execz .LBB2813_157
.LBB2813_216:
	v_lshlrev_b32_e32 v1, 1, v11
	v_readfirstlane_b32 s2, v2
	v_readfirstlane_b32 s3, v3
	s_waitcnt lgkmcnt(3)
	s_nop 3
	global_store_short v1, v10, s[2:3]
	s_or_b64 exec, exec, s[0:1]
	v_cmp_lt_u32_e32 vcc, v9, v62
	s_and_saveexec_b64 s[0:1], vcc
	s_cbranch_execz .LBB2813_158
.LBB2813_217:
	v_lshlrev_b32_e32 v1, 1, v9
	v_readfirstlane_b32 s2, v2
	v_readfirstlane_b32 s3, v3
	s_waitcnt lgkmcnt(2)
	s_nop 3
	global_store_short v1, v8, s[2:3]
	s_or_b64 exec, exec, s[0:1]
	v_cmp_lt_u32_e32 vcc, v7, v62
	s_and_saveexec_b64 s[0:1], vcc
	s_cbranch_execnz .LBB2813_159
	s_branch .LBB2813_160
	.section	.rodata,"a",@progbits
	.p2align	6, 0x0
	.amdhsa_kernel _ZN7rocprim17ROCPRIM_400000_NS6detail17trampoline_kernelINS0_14default_configENS1_25partition_config_selectorILNS1_17partition_subalgoE0EsNS0_10empty_typeEbEEZZNS1_14partition_implILS5_0ELb0ES3_jN6thrust23THRUST_200600_302600_NS6detail15normal_iteratorINSA_10device_ptrIsEEEEPS6_SG_NS0_5tupleIJSF_NSA_16discard_iteratorINSA_11use_defaultEEEEEENSH_IJSG_SG_EEES6_PlJ7is_evenIsEEEE10hipError_tPvRmT3_T4_T5_T6_T7_T9_mT8_P12ihipStream_tbDpT10_ENKUlT_T0_E_clISt17integral_constantIbLb0EES19_EEDaS14_S15_EUlS14_E_NS1_11comp_targetILNS1_3genE4ELNS1_11target_archE910ELNS1_3gpuE8ELNS1_3repE0EEENS1_30default_config_static_selectorELNS0_4arch9wavefront6targetE1EEEvT1_
		.amdhsa_group_segment_fixed_size 14344
		.amdhsa_private_segment_fixed_size 0
		.amdhsa_kernarg_size 128
		.amdhsa_user_sgpr_count 6
		.amdhsa_user_sgpr_private_segment_buffer 1
		.amdhsa_user_sgpr_dispatch_ptr 0
		.amdhsa_user_sgpr_queue_ptr 0
		.amdhsa_user_sgpr_kernarg_segment_ptr 1
		.amdhsa_user_sgpr_dispatch_id 0
		.amdhsa_user_sgpr_flat_scratch_init 0
		.amdhsa_user_sgpr_kernarg_preload_length 0
		.amdhsa_user_sgpr_kernarg_preload_offset 0
		.amdhsa_user_sgpr_private_segment_size 0
		.amdhsa_uses_dynamic_stack 0
		.amdhsa_system_sgpr_private_segment_wavefront_offset 0
		.amdhsa_system_sgpr_workgroup_id_x 1
		.amdhsa_system_sgpr_workgroup_id_y 0
		.amdhsa_system_sgpr_workgroup_id_z 0
		.amdhsa_system_sgpr_workgroup_info 0
		.amdhsa_system_vgpr_workitem_id 0
		.amdhsa_next_free_vgpr 114
		.amdhsa_next_free_sgpr 40
		.amdhsa_accum_offset 116
		.amdhsa_reserve_vcc 1
		.amdhsa_reserve_flat_scratch 0
		.amdhsa_float_round_mode_32 0
		.amdhsa_float_round_mode_16_64 0
		.amdhsa_float_denorm_mode_32 3
		.amdhsa_float_denorm_mode_16_64 3
		.amdhsa_dx10_clamp 1
		.amdhsa_ieee_mode 1
		.amdhsa_fp16_overflow 0
		.amdhsa_tg_split 0
		.amdhsa_exception_fp_ieee_invalid_op 0
		.amdhsa_exception_fp_denorm_src 0
		.amdhsa_exception_fp_ieee_div_zero 0
		.amdhsa_exception_fp_ieee_overflow 0
		.amdhsa_exception_fp_ieee_underflow 0
		.amdhsa_exception_fp_ieee_inexact 0
		.amdhsa_exception_int_div_zero 0
	.end_amdhsa_kernel
	.section	.text._ZN7rocprim17ROCPRIM_400000_NS6detail17trampoline_kernelINS0_14default_configENS1_25partition_config_selectorILNS1_17partition_subalgoE0EsNS0_10empty_typeEbEEZZNS1_14partition_implILS5_0ELb0ES3_jN6thrust23THRUST_200600_302600_NS6detail15normal_iteratorINSA_10device_ptrIsEEEEPS6_SG_NS0_5tupleIJSF_NSA_16discard_iteratorINSA_11use_defaultEEEEEENSH_IJSG_SG_EEES6_PlJ7is_evenIsEEEE10hipError_tPvRmT3_T4_T5_T6_T7_T9_mT8_P12ihipStream_tbDpT10_ENKUlT_T0_E_clISt17integral_constantIbLb0EES19_EEDaS14_S15_EUlS14_E_NS1_11comp_targetILNS1_3genE4ELNS1_11target_archE910ELNS1_3gpuE8ELNS1_3repE0EEENS1_30default_config_static_selectorELNS0_4arch9wavefront6targetE1EEEvT1_,"axG",@progbits,_ZN7rocprim17ROCPRIM_400000_NS6detail17trampoline_kernelINS0_14default_configENS1_25partition_config_selectorILNS1_17partition_subalgoE0EsNS0_10empty_typeEbEEZZNS1_14partition_implILS5_0ELb0ES3_jN6thrust23THRUST_200600_302600_NS6detail15normal_iteratorINSA_10device_ptrIsEEEEPS6_SG_NS0_5tupleIJSF_NSA_16discard_iteratorINSA_11use_defaultEEEEEENSH_IJSG_SG_EEES6_PlJ7is_evenIsEEEE10hipError_tPvRmT3_T4_T5_T6_T7_T9_mT8_P12ihipStream_tbDpT10_ENKUlT_T0_E_clISt17integral_constantIbLb0EES19_EEDaS14_S15_EUlS14_E_NS1_11comp_targetILNS1_3genE4ELNS1_11target_archE910ELNS1_3gpuE8ELNS1_3repE0EEENS1_30default_config_static_selectorELNS0_4arch9wavefront6targetE1EEEvT1_,comdat
.Lfunc_end2813:
	.size	_ZN7rocprim17ROCPRIM_400000_NS6detail17trampoline_kernelINS0_14default_configENS1_25partition_config_selectorILNS1_17partition_subalgoE0EsNS0_10empty_typeEbEEZZNS1_14partition_implILS5_0ELb0ES3_jN6thrust23THRUST_200600_302600_NS6detail15normal_iteratorINSA_10device_ptrIsEEEEPS6_SG_NS0_5tupleIJSF_NSA_16discard_iteratorINSA_11use_defaultEEEEEENSH_IJSG_SG_EEES6_PlJ7is_evenIsEEEE10hipError_tPvRmT3_T4_T5_T6_T7_T9_mT8_P12ihipStream_tbDpT10_ENKUlT_T0_E_clISt17integral_constantIbLb0EES19_EEDaS14_S15_EUlS14_E_NS1_11comp_targetILNS1_3genE4ELNS1_11target_archE910ELNS1_3gpuE8ELNS1_3repE0EEENS1_30default_config_static_selectorELNS0_4arch9wavefront6targetE1EEEvT1_, .Lfunc_end2813-_ZN7rocprim17ROCPRIM_400000_NS6detail17trampoline_kernelINS0_14default_configENS1_25partition_config_selectorILNS1_17partition_subalgoE0EsNS0_10empty_typeEbEEZZNS1_14partition_implILS5_0ELb0ES3_jN6thrust23THRUST_200600_302600_NS6detail15normal_iteratorINSA_10device_ptrIsEEEEPS6_SG_NS0_5tupleIJSF_NSA_16discard_iteratorINSA_11use_defaultEEEEEENSH_IJSG_SG_EEES6_PlJ7is_evenIsEEEE10hipError_tPvRmT3_T4_T5_T6_T7_T9_mT8_P12ihipStream_tbDpT10_ENKUlT_T0_E_clISt17integral_constantIbLb0EES19_EEDaS14_S15_EUlS14_E_NS1_11comp_targetILNS1_3genE4ELNS1_11target_archE910ELNS1_3gpuE8ELNS1_3repE0EEENS1_30default_config_static_selectorELNS0_4arch9wavefront6targetE1EEEvT1_
                                        ; -- End function
	.section	.AMDGPU.csdata,"",@progbits
; Kernel info:
; codeLenInByte = 10336
; NumSgprs: 44
; NumVgprs: 114
; NumAgprs: 0
; TotalNumVgprs: 114
; ScratchSize: 0
; MemoryBound: 0
; FloatMode: 240
; IeeeMode: 1
; LDSByteSize: 14344 bytes/workgroup (compile time only)
; SGPRBlocks: 5
; VGPRBlocks: 14
; NumSGPRsForWavesPerEU: 44
; NumVGPRsForWavesPerEU: 114
; AccumOffset: 116
; Occupancy: 4
; WaveLimiterHint : 1
; COMPUTE_PGM_RSRC2:SCRATCH_EN: 0
; COMPUTE_PGM_RSRC2:USER_SGPR: 6
; COMPUTE_PGM_RSRC2:TRAP_HANDLER: 0
; COMPUTE_PGM_RSRC2:TGID_X_EN: 1
; COMPUTE_PGM_RSRC2:TGID_Y_EN: 0
; COMPUTE_PGM_RSRC2:TGID_Z_EN: 0
; COMPUTE_PGM_RSRC2:TIDIG_COMP_CNT: 0
; COMPUTE_PGM_RSRC3_GFX90A:ACCUM_OFFSET: 28
; COMPUTE_PGM_RSRC3_GFX90A:TG_SPLIT: 0
	.section	.text._ZN7rocprim17ROCPRIM_400000_NS6detail17trampoline_kernelINS0_14default_configENS1_25partition_config_selectorILNS1_17partition_subalgoE0EsNS0_10empty_typeEbEEZZNS1_14partition_implILS5_0ELb0ES3_jN6thrust23THRUST_200600_302600_NS6detail15normal_iteratorINSA_10device_ptrIsEEEEPS6_SG_NS0_5tupleIJSF_NSA_16discard_iteratorINSA_11use_defaultEEEEEENSH_IJSG_SG_EEES6_PlJ7is_evenIsEEEE10hipError_tPvRmT3_T4_T5_T6_T7_T9_mT8_P12ihipStream_tbDpT10_ENKUlT_T0_E_clISt17integral_constantIbLb0EES19_EEDaS14_S15_EUlS14_E_NS1_11comp_targetILNS1_3genE3ELNS1_11target_archE908ELNS1_3gpuE7ELNS1_3repE0EEENS1_30default_config_static_selectorELNS0_4arch9wavefront6targetE1EEEvT1_,"axG",@progbits,_ZN7rocprim17ROCPRIM_400000_NS6detail17trampoline_kernelINS0_14default_configENS1_25partition_config_selectorILNS1_17partition_subalgoE0EsNS0_10empty_typeEbEEZZNS1_14partition_implILS5_0ELb0ES3_jN6thrust23THRUST_200600_302600_NS6detail15normal_iteratorINSA_10device_ptrIsEEEEPS6_SG_NS0_5tupleIJSF_NSA_16discard_iteratorINSA_11use_defaultEEEEEENSH_IJSG_SG_EEES6_PlJ7is_evenIsEEEE10hipError_tPvRmT3_T4_T5_T6_T7_T9_mT8_P12ihipStream_tbDpT10_ENKUlT_T0_E_clISt17integral_constantIbLb0EES19_EEDaS14_S15_EUlS14_E_NS1_11comp_targetILNS1_3genE3ELNS1_11target_archE908ELNS1_3gpuE7ELNS1_3repE0EEENS1_30default_config_static_selectorELNS0_4arch9wavefront6targetE1EEEvT1_,comdat
	.protected	_ZN7rocprim17ROCPRIM_400000_NS6detail17trampoline_kernelINS0_14default_configENS1_25partition_config_selectorILNS1_17partition_subalgoE0EsNS0_10empty_typeEbEEZZNS1_14partition_implILS5_0ELb0ES3_jN6thrust23THRUST_200600_302600_NS6detail15normal_iteratorINSA_10device_ptrIsEEEEPS6_SG_NS0_5tupleIJSF_NSA_16discard_iteratorINSA_11use_defaultEEEEEENSH_IJSG_SG_EEES6_PlJ7is_evenIsEEEE10hipError_tPvRmT3_T4_T5_T6_T7_T9_mT8_P12ihipStream_tbDpT10_ENKUlT_T0_E_clISt17integral_constantIbLb0EES19_EEDaS14_S15_EUlS14_E_NS1_11comp_targetILNS1_3genE3ELNS1_11target_archE908ELNS1_3gpuE7ELNS1_3repE0EEENS1_30default_config_static_selectorELNS0_4arch9wavefront6targetE1EEEvT1_ ; -- Begin function _ZN7rocprim17ROCPRIM_400000_NS6detail17trampoline_kernelINS0_14default_configENS1_25partition_config_selectorILNS1_17partition_subalgoE0EsNS0_10empty_typeEbEEZZNS1_14partition_implILS5_0ELb0ES3_jN6thrust23THRUST_200600_302600_NS6detail15normal_iteratorINSA_10device_ptrIsEEEEPS6_SG_NS0_5tupleIJSF_NSA_16discard_iteratorINSA_11use_defaultEEEEEENSH_IJSG_SG_EEES6_PlJ7is_evenIsEEEE10hipError_tPvRmT3_T4_T5_T6_T7_T9_mT8_P12ihipStream_tbDpT10_ENKUlT_T0_E_clISt17integral_constantIbLb0EES19_EEDaS14_S15_EUlS14_E_NS1_11comp_targetILNS1_3genE3ELNS1_11target_archE908ELNS1_3gpuE7ELNS1_3repE0EEENS1_30default_config_static_selectorELNS0_4arch9wavefront6targetE1EEEvT1_
	.globl	_ZN7rocprim17ROCPRIM_400000_NS6detail17trampoline_kernelINS0_14default_configENS1_25partition_config_selectorILNS1_17partition_subalgoE0EsNS0_10empty_typeEbEEZZNS1_14partition_implILS5_0ELb0ES3_jN6thrust23THRUST_200600_302600_NS6detail15normal_iteratorINSA_10device_ptrIsEEEEPS6_SG_NS0_5tupleIJSF_NSA_16discard_iteratorINSA_11use_defaultEEEEEENSH_IJSG_SG_EEES6_PlJ7is_evenIsEEEE10hipError_tPvRmT3_T4_T5_T6_T7_T9_mT8_P12ihipStream_tbDpT10_ENKUlT_T0_E_clISt17integral_constantIbLb0EES19_EEDaS14_S15_EUlS14_E_NS1_11comp_targetILNS1_3genE3ELNS1_11target_archE908ELNS1_3gpuE7ELNS1_3repE0EEENS1_30default_config_static_selectorELNS0_4arch9wavefront6targetE1EEEvT1_
	.p2align	8
	.type	_ZN7rocprim17ROCPRIM_400000_NS6detail17trampoline_kernelINS0_14default_configENS1_25partition_config_selectorILNS1_17partition_subalgoE0EsNS0_10empty_typeEbEEZZNS1_14partition_implILS5_0ELb0ES3_jN6thrust23THRUST_200600_302600_NS6detail15normal_iteratorINSA_10device_ptrIsEEEEPS6_SG_NS0_5tupleIJSF_NSA_16discard_iteratorINSA_11use_defaultEEEEEENSH_IJSG_SG_EEES6_PlJ7is_evenIsEEEE10hipError_tPvRmT3_T4_T5_T6_T7_T9_mT8_P12ihipStream_tbDpT10_ENKUlT_T0_E_clISt17integral_constantIbLb0EES19_EEDaS14_S15_EUlS14_E_NS1_11comp_targetILNS1_3genE3ELNS1_11target_archE908ELNS1_3gpuE7ELNS1_3repE0EEENS1_30default_config_static_selectorELNS0_4arch9wavefront6targetE1EEEvT1_,@function
_ZN7rocprim17ROCPRIM_400000_NS6detail17trampoline_kernelINS0_14default_configENS1_25partition_config_selectorILNS1_17partition_subalgoE0EsNS0_10empty_typeEbEEZZNS1_14partition_implILS5_0ELb0ES3_jN6thrust23THRUST_200600_302600_NS6detail15normal_iteratorINSA_10device_ptrIsEEEEPS6_SG_NS0_5tupleIJSF_NSA_16discard_iteratorINSA_11use_defaultEEEEEENSH_IJSG_SG_EEES6_PlJ7is_evenIsEEEE10hipError_tPvRmT3_T4_T5_T6_T7_T9_mT8_P12ihipStream_tbDpT10_ENKUlT_T0_E_clISt17integral_constantIbLb0EES19_EEDaS14_S15_EUlS14_E_NS1_11comp_targetILNS1_3genE3ELNS1_11target_archE908ELNS1_3gpuE7ELNS1_3repE0EEENS1_30default_config_static_selectorELNS0_4arch9wavefront6targetE1EEEvT1_: ; @_ZN7rocprim17ROCPRIM_400000_NS6detail17trampoline_kernelINS0_14default_configENS1_25partition_config_selectorILNS1_17partition_subalgoE0EsNS0_10empty_typeEbEEZZNS1_14partition_implILS5_0ELb0ES3_jN6thrust23THRUST_200600_302600_NS6detail15normal_iteratorINSA_10device_ptrIsEEEEPS6_SG_NS0_5tupleIJSF_NSA_16discard_iteratorINSA_11use_defaultEEEEEENSH_IJSG_SG_EEES6_PlJ7is_evenIsEEEE10hipError_tPvRmT3_T4_T5_T6_T7_T9_mT8_P12ihipStream_tbDpT10_ENKUlT_T0_E_clISt17integral_constantIbLb0EES19_EEDaS14_S15_EUlS14_E_NS1_11comp_targetILNS1_3genE3ELNS1_11target_archE908ELNS1_3gpuE7ELNS1_3repE0EEENS1_30default_config_static_selectorELNS0_4arch9wavefront6targetE1EEEvT1_
; %bb.0:
	.section	.rodata,"a",@progbits
	.p2align	6, 0x0
	.amdhsa_kernel _ZN7rocprim17ROCPRIM_400000_NS6detail17trampoline_kernelINS0_14default_configENS1_25partition_config_selectorILNS1_17partition_subalgoE0EsNS0_10empty_typeEbEEZZNS1_14partition_implILS5_0ELb0ES3_jN6thrust23THRUST_200600_302600_NS6detail15normal_iteratorINSA_10device_ptrIsEEEEPS6_SG_NS0_5tupleIJSF_NSA_16discard_iteratorINSA_11use_defaultEEEEEENSH_IJSG_SG_EEES6_PlJ7is_evenIsEEEE10hipError_tPvRmT3_T4_T5_T6_T7_T9_mT8_P12ihipStream_tbDpT10_ENKUlT_T0_E_clISt17integral_constantIbLb0EES19_EEDaS14_S15_EUlS14_E_NS1_11comp_targetILNS1_3genE3ELNS1_11target_archE908ELNS1_3gpuE7ELNS1_3repE0EEENS1_30default_config_static_selectorELNS0_4arch9wavefront6targetE1EEEvT1_
		.amdhsa_group_segment_fixed_size 0
		.amdhsa_private_segment_fixed_size 0
		.amdhsa_kernarg_size 128
		.amdhsa_user_sgpr_count 6
		.amdhsa_user_sgpr_private_segment_buffer 1
		.amdhsa_user_sgpr_dispatch_ptr 0
		.amdhsa_user_sgpr_queue_ptr 0
		.amdhsa_user_sgpr_kernarg_segment_ptr 1
		.amdhsa_user_sgpr_dispatch_id 0
		.amdhsa_user_sgpr_flat_scratch_init 0
		.amdhsa_user_sgpr_kernarg_preload_length 0
		.amdhsa_user_sgpr_kernarg_preload_offset 0
		.amdhsa_user_sgpr_private_segment_size 0
		.amdhsa_uses_dynamic_stack 0
		.amdhsa_system_sgpr_private_segment_wavefront_offset 0
		.amdhsa_system_sgpr_workgroup_id_x 1
		.amdhsa_system_sgpr_workgroup_id_y 0
		.amdhsa_system_sgpr_workgroup_id_z 0
		.amdhsa_system_sgpr_workgroup_info 0
		.amdhsa_system_vgpr_workitem_id 0
		.amdhsa_next_free_vgpr 1
		.amdhsa_next_free_sgpr 0
		.amdhsa_accum_offset 4
		.amdhsa_reserve_vcc 0
		.amdhsa_reserve_flat_scratch 0
		.amdhsa_float_round_mode_32 0
		.amdhsa_float_round_mode_16_64 0
		.amdhsa_float_denorm_mode_32 3
		.amdhsa_float_denorm_mode_16_64 3
		.amdhsa_dx10_clamp 1
		.amdhsa_ieee_mode 1
		.amdhsa_fp16_overflow 0
		.amdhsa_tg_split 0
		.amdhsa_exception_fp_ieee_invalid_op 0
		.amdhsa_exception_fp_denorm_src 0
		.amdhsa_exception_fp_ieee_div_zero 0
		.amdhsa_exception_fp_ieee_overflow 0
		.amdhsa_exception_fp_ieee_underflow 0
		.amdhsa_exception_fp_ieee_inexact 0
		.amdhsa_exception_int_div_zero 0
	.end_amdhsa_kernel
	.section	.text._ZN7rocprim17ROCPRIM_400000_NS6detail17trampoline_kernelINS0_14default_configENS1_25partition_config_selectorILNS1_17partition_subalgoE0EsNS0_10empty_typeEbEEZZNS1_14partition_implILS5_0ELb0ES3_jN6thrust23THRUST_200600_302600_NS6detail15normal_iteratorINSA_10device_ptrIsEEEEPS6_SG_NS0_5tupleIJSF_NSA_16discard_iteratorINSA_11use_defaultEEEEEENSH_IJSG_SG_EEES6_PlJ7is_evenIsEEEE10hipError_tPvRmT3_T4_T5_T6_T7_T9_mT8_P12ihipStream_tbDpT10_ENKUlT_T0_E_clISt17integral_constantIbLb0EES19_EEDaS14_S15_EUlS14_E_NS1_11comp_targetILNS1_3genE3ELNS1_11target_archE908ELNS1_3gpuE7ELNS1_3repE0EEENS1_30default_config_static_selectorELNS0_4arch9wavefront6targetE1EEEvT1_,"axG",@progbits,_ZN7rocprim17ROCPRIM_400000_NS6detail17trampoline_kernelINS0_14default_configENS1_25partition_config_selectorILNS1_17partition_subalgoE0EsNS0_10empty_typeEbEEZZNS1_14partition_implILS5_0ELb0ES3_jN6thrust23THRUST_200600_302600_NS6detail15normal_iteratorINSA_10device_ptrIsEEEEPS6_SG_NS0_5tupleIJSF_NSA_16discard_iteratorINSA_11use_defaultEEEEEENSH_IJSG_SG_EEES6_PlJ7is_evenIsEEEE10hipError_tPvRmT3_T4_T5_T6_T7_T9_mT8_P12ihipStream_tbDpT10_ENKUlT_T0_E_clISt17integral_constantIbLb0EES19_EEDaS14_S15_EUlS14_E_NS1_11comp_targetILNS1_3genE3ELNS1_11target_archE908ELNS1_3gpuE7ELNS1_3repE0EEENS1_30default_config_static_selectorELNS0_4arch9wavefront6targetE1EEEvT1_,comdat
.Lfunc_end2814:
	.size	_ZN7rocprim17ROCPRIM_400000_NS6detail17trampoline_kernelINS0_14default_configENS1_25partition_config_selectorILNS1_17partition_subalgoE0EsNS0_10empty_typeEbEEZZNS1_14partition_implILS5_0ELb0ES3_jN6thrust23THRUST_200600_302600_NS6detail15normal_iteratorINSA_10device_ptrIsEEEEPS6_SG_NS0_5tupleIJSF_NSA_16discard_iteratorINSA_11use_defaultEEEEEENSH_IJSG_SG_EEES6_PlJ7is_evenIsEEEE10hipError_tPvRmT3_T4_T5_T6_T7_T9_mT8_P12ihipStream_tbDpT10_ENKUlT_T0_E_clISt17integral_constantIbLb0EES19_EEDaS14_S15_EUlS14_E_NS1_11comp_targetILNS1_3genE3ELNS1_11target_archE908ELNS1_3gpuE7ELNS1_3repE0EEENS1_30default_config_static_selectorELNS0_4arch9wavefront6targetE1EEEvT1_, .Lfunc_end2814-_ZN7rocprim17ROCPRIM_400000_NS6detail17trampoline_kernelINS0_14default_configENS1_25partition_config_selectorILNS1_17partition_subalgoE0EsNS0_10empty_typeEbEEZZNS1_14partition_implILS5_0ELb0ES3_jN6thrust23THRUST_200600_302600_NS6detail15normal_iteratorINSA_10device_ptrIsEEEEPS6_SG_NS0_5tupleIJSF_NSA_16discard_iteratorINSA_11use_defaultEEEEEENSH_IJSG_SG_EEES6_PlJ7is_evenIsEEEE10hipError_tPvRmT3_T4_T5_T6_T7_T9_mT8_P12ihipStream_tbDpT10_ENKUlT_T0_E_clISt17integral_constantIbLb0EES19_EEDaS14_S15_EUlS14_E_NS1_11comp_targetILNS1_3genE3ELNS1_11target_archE908ELNS1_3gpuE7ELNS1_3repE0EEENS1_30default_config_static_selectorELNS0_4arch9wavefront6targetE1EEEvT1_
                                        ; -- End function
	.section	.AMDGPU.csdata,"",@progbits
; Kernel info:
; codeLenInByte = 0
; NumSgprs: 4
; NumVgprs: 0
; NumAgprs: 0
; TotalNumVgprs: 0
; ScratchSize: 0
; MemoryBound: 0
; FloatMode: 240
; IeeeMode: 1
; LDSByteSize: 0 bytes/workgroup (compile time only)
; SGPRBlocks: 0
; VGPRBlocks: 0
; NumSGPRsForWavesPerEU: 4
; NumVGPRsForWavesPerEU: 1
; AccumOffset: 4
; Occupancy: 8
; WaveLimiterHint : 0
; COMPUTE_PGM_RSRC2:SCRATCH_EN: 0
; COMPUTE_PGM_RSRC2:USER_SGPR: 6
; COMPUTE_PGM_RSRC2:TRAP_HANDLER: 0
; COMPUTE_PGM_RSRC2:TGID_X_EN: 1
; COMPUTE_PGM_RSRC2:TGID_Y_EN: 0
; COMPUTE_PGM_RSRC2:TGID_Z_EN: 0
; COMPUTE_PGM_RSRC2:TIDIG_COMP_CNT: 0
; COMPUTE_PGM_RSRC3_GFX90A:ACCUM_OFFSET: 0
; COMPUTE_PGM_RSRC3_GFX90A:TG_SPLIT: 0
	.section	.text._ZN7rocprim17ROCPRIM_400000_NS6detail17trampoline_kernelINS0_14default_configENS1_25partition_config_selectorILNS1_17partition_subalgoE0EsNS0_10empty_typeEbEEZZNS1_14partition_implILS5_0ELb0ES3_jN6thrust23THRUST_200600_302600_NS6detail15normal_iteratorINSA_10device_ptrIsEEEEPS6_SG_NS0_5tupleIJSF_NSA_16discard_iteratorINSA_11use_defaultEEEEEENSH_IJSG_SG_EEES6_PlJ7is_evenIsEEEE10hipError_tPvRmT3_T4_T5_T6_T7_T9_mT8_P12ihipStream_tbDpT10_ENKUlT_T0_E_clISt17integral_constantIbLb0EES19_EEDaS14_S15_EUlS14_E_NS1_11comp_targetILNS1_3genE2ELNS1_11target_archE906ELNS1_3gpuE6ELNS1_3repE0EEENS1_30default_config_static_selectorELNS0_4arch9wavefront6targetE1EEEvT1_,"axG",@progbits,_ZN7rocprim17ROCPRIM_400000_NS6detail17trampoline_kernelINS0_14default_configENS1_25partition_config_selectorILNS1_17partition_subalgoE0EsNS0_10empty_typeEbEEZZNS1_14partition_implILS5_0ELb0ES3_jN6thrust23THRUST_200600_302600_NS6detail15normal_iteratorINSA_10device_ptrIsEEEEPS6_SG_NS0_5tupleIJSF_NSA_16discard_iteratorINSA_11use_defaultEEEEEENSH_IJSG_SG_EEES6_PlJ7is_evenIsEEEE10hipError_tPvRmT3_T4_T5_T6_T7_T9_mT8_P12ihipStream_tbDpT10_ENKUlT_T0_E_clISt17integral_constantIbLb0EES19_EEDaS14_S15_EUlS14_E_NS1_11comp_targetILNS1_3genE2ELNS1_11target_archE906ELNS1_3gpuE6ELNS1_3repE0EEENS1_30default_config_static_selectorELNS0_4arch9wavefront6targetE1EEEvT1_,comdat
	.protected	_ZN7rocprim17ROCPRIM_400000_NS6detail17trampoline_kernelINS0_14default_configENS1_25partition_config_selectorILNS1_17partition_subalgoE0EsNS0_10empty_typeEbEEZZNS1_14partition_implILS5_0ELb0ES3_jN6thrust23THRUST_200600_302600_NS6detail15normal_iteratorINSA_10device_ptrIsEEEEPS6_SG_NS0_5tupleIJSF_NSA_16discard_iteratorINSA_11use_defaultEEEEEENSH_IJSG_SG_EEES6_PlJ7is_evenIsEEEE10hipError_tPvRmT3_T4_T5_T6_T7_T9_mT8_P12ihipStream_tbDpT10_ENKUlT_T0_E_clISt17integral_constantIbLb0EES19_EEDaS14_S15_EUlS14_E_NS1_11comp_targetILNS1_3genE2ELNS1_11target_archE906ELNS1_3gpuE6ELNS1_3repE0EEENS1_30default_config_static_selectorELNS0_4arch9wavefront6targetE1EEEvT1_ ; -- Begin function _ZN7rocprim17ROCPRIM_400000_NS6detail17trampoline_kernelINS0_14default_configENS1_25partition_config_selectorILNS1_17partition_subalgoE0EsNS0_10empty_typeEbEEZZNS1_14partition_implILS5_0ELb0ES3_jN6thrust23THRUST_200600_302600_NS6detail15normal_iteratorINSA_10device_ptrIsEEEEPS6_SG_NS0_5tupleIJSF_NSA_16discard_iteratorINSA_11use_defaultEEEEEENSH_IJSG_SG_EEES6_PlJ7is_evenIsEEEE10hipError_tPvRmT3_T4_T5_T6_T7_T9_mT8_P12ihipStream_tbDpT10_ENKUlT_T0_E_clISt17integral_constantIbLb0EES19_EEDaS14_S15_EUlS14_E_NS1_11comp_targetILNS1_3genE2ELNS1_11target_archE906ELNS1_3gpuE6ELNS1_3repE0EEENS1_30default_config_static_selectorELNS0_4arch9wavefront6targetE1EEEvT1_
	.globl	_ZN7rocprim17ROCPRIM_400000_NS6detail17trampoline_kernelINS0_14default_configENS1_25partition_config_selectorILNS1_17partition_subalgoE0EsNS0_10empty_typeEbEEZZNS1_14partition_implILS5_0ELb0ES3_jN6thrust23THRUST_200600_302600_NS6detail15normal_iteratorINSA_10device_ptrIsEEEEPS6_SG_NS0_5tupleIJSF_NSA_16discard_iteratorINSA_11use_defaultEEEEEENSH_IJSG_SG_EEES6_PlJ7is_evenIsEEEE10hipError_tPvRmT3_T4_T5_T6_T7_T9_mT8_P12ihipStream_tbDpT10_ENKUlT_T0_E_clISt17integral_constantIbLb0EES19_EEDaS14_S15_EUlS14_E_NS1_11comp_targetILNS1_3genE2ELNS1_11target_archE906ELNS1_3gpuE6ELNS1_3repE0EEENS1_30default_config_static_selectorELNS0_4arch9wavefront6targetE1EEEvT1_
	.p2align	8
	.type	_ZN7rocprim17ROCPRIM_400000_NS6detail17trampoline_kernelINS0_14default_configENS1_25partition_config_selectorILNS1_17partition_subalgoE0EsNS0_10empty_typeEbEEZZNS1_14partition_implILS5_0ELb0ES3_jN6thrust23THRUST_200600_302600_NS6detail15normal_iteratorINSA_10device_ptrIsEEEEPS6_SG_NS0_5tupleIJSF_NSA_16discard_iteratorINSA_11use_defaultEEEEEENSH_IJSG_SG_EEES6_PlJ7is_evenIsEEEE10hipError_tPvRmT3_T4_T5_T6_T7_T9_mT8_P12ihipStream_tbDpT10_ENKUlT_T0_E_clISt17integral_constantIbLb0EES19_EEDaS14_S15_EUlS14_E_NS1_11comp_targetILNS1_3genE2ELNS1_11target_archE906ELNS1_3gpuE6ELNS1_3repE0EEENS1_30default_config_static_selectorELNS0_4arch9wavefront6targetE1EEEvT1_,@function
_ZN7rocprim17ROCPRIM_400000_NS6detail17trampoline_kernelINS0_14default_configENS1_25partition_config_selectorILNS1_17partition_subalgoE0EsNS0_10empty_typeEbEEZZNS1_14partition_implILS5_0ELb0ES3_jN6thrust23THRUST_200600_302600_NS6detail15normal_iteratorINSA_10device_ptrIsEEEEPS6_SG_NS0_5tupleIJSF_NSA_16discard_iteratorINSA_11use_defaultEEEEEENSH_IJSG_SG_EEES6_PlJ7is_evenIsEEEE10hipError_tPvRmT3_T4_T5_T6_T7_T9_mT8_P12ihipStream_tbDpT10_ENKUlT_T0_E_clISt17integral_constantIbLb0EES19_EEDaS14_S15_EUlS14_E_NS1_11comp_targetILNS1_3genE2ELNS1_11target_archE906ELNS1_3gpuE6ELNS1_3repE0EEENS1_30default_config_static_selectorELNS0_4arch9wavefront6targetE1EEEvT1_: ; @_ZN7rocprim17ROCPRIM_400000_NS6detail17trampoline_kernelINS0_14default_configENS1_25partition_config_selectorILNS1_17partition_subalgoE0EsNS0_10empty_typeEbEEZZNS1_14partition_implILS5_0ELb0ES3_jN6thrust23THRUST_200600_302600_NS6detail15normal_iteratorINSA_10device_ptrIsEEEEPS6_SG_NS0_5tupleIJSF_NSA_16discard_iteratorINSA_11use_defaultEEEEEENSH_IJSG_SG_EEES6_PlJ7is_evenIsEEEE10hipError_tPvRmT3_T4_T5_T6_T7_T9_mT8_P12ihipStream_tbDpT10_ENKUlT_T0_E_clISt17integral_constantIbLb0EES19_EEDaS14_S15_EUlS14_E_NS1_11comp_targetILNS1_3genE2ELNS1_11target_archE906ELNS1_3gpuE6ELNS1_3repE0EEENS1_30default_config_static_selectorELNS0_4arch9wavefront6targetE1EEEvT1_
; %bb.0:
	.section	.rodata,"a",@progbits
	.p2align	6, 0x0
	.amdhsa_kernel _ZN7rocprim17ROCPRIM_400000_NS6detail17trampoline_kernelINS0_14default_configENS1_25partition_config_selectorILNS1_17partition_subalgoE0EsNS0_10empty_typeEbEEZZNS1_14partition_implILS5_0ELb0ES3_jN6thrust23THRUST_200600_302600_NS6detail15normal_iteratorINSA_10device_ptrIsEEEEPS6_SG_NS0_5tupleIJSF_NSA_16discard_iteratorINSA_11use_defaultEEEEEENSH_IJSG_SG_EEES6_PlJ7is_evenIsEEEE10hipError_tPvRmT3_T4_T5_T6_T7_T9_mT8_P12ihipStream_tbDpT10_ENKUlT_T0_E_clISt17integral_constantIbLb0EES19_EEDaS14_S15_EUlS14_E_NS1_11comp_targetILNS1_3genE2ELNS1_11target_archE906ELNS1_3gpuE6ELNS1_3repE0EEENS1_30default_config_static_selectorELNS0_4arch9wavefront6targetE1EEEvT1_
		.amdhsa_group_segment_fixed_size 0
		.amdhsa_private_segment_fixed_size 0
		.amdhsa_kernarg_size 128
		.amdhsa_user_sgpr_count 6
		.amdhsa_user_sgpr_private_segment_buffer 1
		.amdhsa_user_sgpr_dispatch_ptr 0
		.amdhsa_user_sgpr_queue_ptr 0
		.amdhsa_user_sgpr_kernarg_segment_ptr 1
		.amdhsa_user_sgpr_dispatch_id 0
		.amdhsa_user_sgpr_flat_scratch_init 0
		.amdhsa_user_sgpr_kernarg_preload_length 0
		.amdhsa_user_sgpr_kernarg_preload_offset 0
		.amdhsa_user_sgpr_private_segment_size 0
		.amdhsa_uses_dynamic_stack 0
		.amdhsa_system_sgpr_private_segment_wavefront_offset 0
		.amdhsa_system_sgpr_workgroup_id_x 1
		.amdhsa_system_sgpr_workgroup_id_y 0
		.amdhsa_system_sgpr_workgroup_id_z 0
		.amdhsa_system_sgpr_workgroup_info 0
		.amdhsa_system_vgpr_workitem_id 0
		.amdhsa_next_free_vgpr 1
		.amdhsa_next_free_sgpr 0
		.amdhsa_accum_offset 4
		.amdhsa_reserve_vcc 0
		.amdhsa_reserve_flat_scratch 0
		.amdhsa_float_round_mode_32 0
		.amdhsa_float_round_mode_16_64 0
		.amdhsa_float_denorm_mode_32 3
		.amdhsa_float_denorm_mode_16_64 3
		.amdhsa_dx10_clamp 1
		.amdhsa_ieee_mode 1
		.amdhsa_fp16_overflow 0
		.amdhsa_tg_split 0
		.amdhsa_exception_fp_ieee_invalid_op 0
		.amdhsa_exception_fp_denorm_src 0
		.amdhsa_exception_fp_ieee_div_zero 0
		.amdhsa_exception_fp_ieee_overflow 0
		.amdhsa_exception_fp_ieee_underflow 0
		.amdhsa_exception_fp_ieee_inexact 0
		.amdhsa_exception_int_div_zero 0
	.end_amdhsa_kernel
	.section	.text._ZN7rocprim17ROCPRIM_400000_NS6detail17trampoline_kernelINS0_14default_configENS1_25partition_config_selectorILNS1_17partition_subalgoE0EsNS0_10empty_typeEbEEZZNS1_14partition_implILS5_0ELb0ES3_jN6thrust23THRUST_200600_302600_NS6detail15normal_iteratorINSA_10device_ptrIsEEEEPS6_SG_NS0_5tupleIJSF_NSA_16discard_iteratorINSA_11use_defaultEEEEEENSH_IJSG_SG_EEES6_PlJ7is_evenIsEEEE10hipError_tPvRmT3_T4_T5_T6_T7_T9_mT8_P12ihipStream_tbDpT10_ENKUlT_T0_E_clISt17integral_constantIbLb0EES19_EEDaS14_S15_EUlS14_E_NS1_11comp_targetILNS1_3genE2ELNS1_11target_archE906ELNS1_3gpuE6ELNS1_3repE0EEENS1_30default_config_static_selectorELNS0_4arch9wavefront6targetE1EEEvT1_,"axG",@progbits,_ZN7rocprim17ROCPRIM_400000_NS6detail17trampoline_kernelINS0_14default_configENS1_25partition_config_selectorILNS1_17partition_subalgoE0EsNS0_10empty_typeEbEEZZNS1_14partition_implILS5_0ELb0ES3_jN6thrust23THRUST_200600_302600_NS6detail15normal_iteratorINSA_10device_ptrIsEEEEPS6_SG_NS0_5tupleIJSF_NSA_16discard_iteratorINSA_11use_defaultEEEEEENSH_IJSG_SG_EEES6_PlJ7is_evenIsEEEE10hipError_tPvRmT3_T4_T5_T6_T7_T9_mT8_P12ihipStream_tbDpT10_ENKUlT_T0_E_clISt17integral_constantIbLb0EES19_EEDaS14_S15_EUlS14_E_NS1_11comp_targetILNS1_3genE2ELNS1_11target_archE906ELNS1_3gpuE6ELNS1_3repE0EEENS1_30default_config_static_selectorELNS0_4arch9wavefront6targetE1EEEvT1_,comdat
.Lfunc_end2815:
	.size	_ZN7rocprim17ROCPRIM_400000_NS6detail17trampoline_kernelINS0_14default_configENS1_25partition_config_selectorILNS1_17partition_subalgoE0EsNS0_10empty_typeEbEEZZNS1_14partition_implILS5_0ELb0ES3_jN6thrust23THRUST_200600_302600_NS6detail15normal_iteratorINSA_10device_ptrIsEEEEPS6_SG_NS0_5tupleIJSF_NSA_16discard_iteratorINSA_11use_defaultEEEEEENSH_IJSG_SG_EEES6_PlJ7is_evenIsEEEE10hipError_tPvRmT3_T4_T5_T6_T7_T9_mT8_P12ihipStream_tbDpT10_ENKUlT_T0_E_clISt17integral_constantIbLb0EES19_EEDaS14_S15_EUlS14_E_NS1_11comp_targetILNS1_3genE2ELNS1_11target_archE906ELNS1_3gpuE6ELNS1_3repE0EEENS1_30default_config_static_selectorELNS0_4arch9wavefront6targetE1EEEvT1_, .Lfunc_end2815-_ZN7rocprim17ROCPRIM_400000_NS6detail17trampoline_kernelINS0_14default_configENS1_25partition_config_selectorILNS1_17partition_subalgoE0EsNS0_10empty_typeEbEEZZNS1_14partition_implILS5_0ELb0ES3_jN6thrust23THRUST_200600_302600_NS6detail15normal_iteratorINSA_10device_ptrIsEEEEPS6_SG_NS0_5tupleIJSF_NSA_16discard_iteratorINSA_11use_defaultEEEEEENSH_IJSG_SG_EEES6_PlJ7is_evenIsEEEE10hipError_tPvRmT3_T4_T5_T6_T7_T9_mT8_P12ihipStream_tbDpT10_ENKUlT_T0_E_clISt17integral_constantIbLb0EES19_EEDaS14_S15_EUlS14_E_NS1_11comp_targetILNS1_3genE2ELNS1_11target_archE906ELNS1_3gpuE6ELNS1_3repE0EEENS1_30default_config_static_selectorELNS0_4arch9wavefront6targetE1EEEvT1_
                                        ; -- End function
	.section	.AMDGPU.csdata,"",@progbits
; Kernel info:
; codeLenInByte = 0
; NumSgprs: 4
; NumVgprs: 0
; NumAgprs: 0
; TotalNumVgprs: 0
; ScratchSize: 0
; MemoryBound: 0
; FloatMode: 240
; IeeeMode: 1
; LDSByteSize: 0 bytes/workgroup (compile time only)
; SGPRBlocks: 0
; VGPRBlocks: 0
; NumSGPRsForWavesPerEU: 4
; NumVGPRsForWavesPerEU: 1
; AccumOffset: 4
; Occupancy: 8
; WaveLimiterHint : 0
; COMPUTE_PGM_RSRC2:SCRATCH_EN: 0
; COMPUTE_PGM_RSRC2:USER_SGPR: 6
; COMPUTE_PGM_RSRC2:TRAP_HANDLER: 0
; COMPUTE_PGM_RSRC2:TGID_X_EN: 1
; COMPUTE_PGM_RSRC2:TGID_Y_EN: 0
; COMPUTE_PGM_RSRC2:TGID_Z_EN: 0
; COMPUTE_PGM_RSRC2:TIDIG_COMP_CNT: 0
; COMPUTE_PGM_RSRC3_GFX90A:ACCUM_OFFSET: 0
; COMPUTE_PGM_RSRC3_GFX90A:TG_SPLIT: 0
	.section	.text._ZN7rocprim17ROCPRIM_400000_NS6detail17trampoline_kernelINS0_14default_configENS1_25partition_config_selectorILNS1_17partition_subalgoE0EsNS0_10empty_typeEbEEZZNS1_14partition_implILS5_0ELb0ES3_jN6thrust23THRUST_200600_302600_NS6detail15normal_iteratorINSA_10device_ptrIsEEEEPS6_SG_NS0_5tupleIJSF_NSA_16discard_iteratorINSA_11use_defaultEEEEEENSH_IJSG_SG_EEES6_PlJ7is_evenIsEEEE10hipError_tPvRmT3_T4_T5_T6_T7_T9_mT8_P12ihipStream_tbDpT10_ENKUlT_T0_E_clISt17integral_constantIbLb0EES19_EEDaS14_S15_EUlS14_E_NS1_11comp_targetILNS1_3genE10ELNS1_11target_archE1200ELNS1_3gpuE4ELNS1_3repE0EEENS1_30default_config_static_selectorELNS0_4arch9wavefront6targetE1EEEvT1_,"axG",@progbits,_ZN7rocprim17ROCPRIM_400000_NS6detail17trampoline_kernelINS0_14default_configENS1_25partition_config_selectorILNS1_17partition_subalgoE0EsNS0_10empty_typeEbEEZZNS1_14partition_implILS5_0ELb0ES3_jN6thrust23THRUST_200600_302600_NS6detail15normal_iteratorINSA_10device_ptrIsEEEEPS6_SG_NS0_5tupleIJSF_NSA_16discard_iteratorINSA_11use_defaultEEEEEENSH_IJSG_SG_EEES6_PlJ7is_evenIsEEEE10hipError_tPvRmT3_T4_T5_T6_T7_T9_mT8_P12ihipStream_tbDpT10_ENKUlT_T0_E_clISt17integral_constantIbLb0EES19_EEDaS14_S15_EUlS14_E_NS1_11comp_targetILNS1_3genE10ELNS1_11target_archE1200ELNS1_3gpuE4ELNS1_3repE0EEENS1_30default_config_static_selectorELNS0_4arch9wavefront6targetE1EEEvT1_,comdat
	.protected	_ZN7rocprim17ROCPRIM_400000_NS6detail17trampoline_kernelINS0_14default_configENS1_25partition_config_selectorILNS1_17partition_subalgoE0EsNS0_10empty_typeEbEEZZNS1_14partition_implILS5_0ELb0ES3_jN6thrust23THRUST_200600_302600_NS6detail15normal_iteratorINSA_10device_ptrIsEEEEPS6_SG_NS0_5tupleIJSF_NSA_16discard_iteratorINSA_11use_defaultEEEEEENSH_IJSG_SG_EEES6_PlJ7is_evenIsEEEE10hipError_tPvRmT3_T4_T5_T6_T7_T9_mT8_P12ihipStream_tbDpT10_ENKUlT_T0_E_clISt17integral_constantIbLb0EES19_EEDaS14_S15_EUlS14_E_NS1_11comp_targetILNS1_3genE10ELNS1_11target_archE1200ELNS1_3gpuE4ELNS1_3repE0EEENS1_30default_config_static_selectorELNS0_4arch9wavefront6targetE1EEEvT1_ ; -- Begin function _ZN7rocprim17ROCPRIM_400000_NS6detail17trampoline_kernelINS0_14default_configENS1_25partition_config_selectorILNS1_17partition_subalgoE0EsNS0_10empty_typeEbEEZZNS1_14partition_implILS5_0ELb0ES3_jN6thrust23THRUST_200600_302600_NS6detail15normal_iteratorINSA_10device_ptrIsEEEEPS6_SG_NS0_5tupleIJSF_NSA_16discard_iteratorINSA_11use_defaultEEEEEENSH_IJSG_SG_EEES6_PlJ7is_evenIsEEEE10hipError_tPvRmT3_T4_T5_T6_T7_T9_mT8_P12ihipStream_tbDpT10_ENKUlT_T0_E_clISt17integral_constantIbLb0EES19_EEDaS14_S15_EUlS14_E_NS1_11comp_targetILNS1_3genE10ELNS1_11target_archE1200ELNS1_3gpuE4ELNS1_3repE0EEENS1_30default_config_static_selectorELNS0_4arch9wavefront6targetE1EEEvT1_
	.globl	_ZN7rocprim17ROCPRIM_400000_NS6detail17trampoline_kernelINS0_14default_configENS1_25partition_config_selectorILNS1_17partition_subalgoE0EsNS0_10empty_typeEbEEZZNS1_14partition_implILS5_0ELb0ES3_jN6thrust23THRUST_200600_302600_NS6detail15normal_iteratorINSA_10device_ptrIsEEEEPS6_SG_NS0_5tupleIJSF_NSA_16discard_iteratorINSA_11use_defaultEEEEEENSH_IJSG_SG_EEES6_PlJ7is_evenIsEEEE10hipError_tPvRmT3_T4_T5_T6_T7_T9_mT8_P12ihipStream_tbDpT10_ENKUlT_T0_E_clISt17integral_constantIbLb0EES19_EEDaS14_S15_EUlS14_E_NS1_11comp_targetILNS1_3genE10ELNS1_11target_archE1200ELNS1_3gpuE4ELNS1_3repE0EEENS1_30default_config_static_selectorELNS0_4arch9wavefront6targetE1EEEvT1_
	.p2align	8
	.type	_ZN7rocprim17ROCPRIM_400000_NS6detail17trampoline_kernelINS0_14default_configENS1_25partition_config_selectorILNS1_17partition_subalgoE0EsNS0_10empty_typeEbEEZZNS1_14partition_implILS5_0ELb0ES3_jN6thrust23THRUST_200600_302600_NS6detail15normal_iteratorINSA_10device_ptrIsEEEEPS6_SG_NS0_5tupleIJSF_NSA_16discard_iteratorINSA_11use_defaultEEEEEENSH_IJSG_SG_EEES6_PlJ7is_evenIsEEEE10hipError_tPvRmT3_T4_T5_T6_T7_T9_mT8_P12ihipStream_tbDpT10_ENKUlT_T0_E_clISt17integral_constantIbLb0EES19_EEDaS14_S15_EUlS14_E_NS1_11comp_targetILNS1_3genE10ELNS1_11target_archE1200ELNS1_3gpuE4ELNS1_3repE0EEENS1_30default_config_static_selectorELNS0_4arch9wavefront6targetE1EEEvT1_,@function
_ZN7rocprim17ROCPRIM_400000_NS6detail17trampoline_kernelINS0_14default_configENS1_25partition_config_selectorILNS1_17partition_subalgoE0EsNS0_10empty_typeEbEEZZNS1_14partition_implILS5_0ELb0ES3_jN6thrust23THRUST_200600_302600_NS6detail15normal_iteratorINSA_10device_ptrIsEEEEPS6_SG_NS0_5tupleIJSF_NSA_16discard_iteratorINSA_11use_defaultEEEEEENSH_IJSG_SG_EEES6_PlJ7is_evenIsEEEE10hipError_tPvRmT3_T4_T5_T6_T7_T9_mT8_P12ihipStream_tbDpT10_ENKUlT_T0_E_clISt17integral_constantIbLb0EES19_EEDaS14_S15_EUlS14_E_NS1_11comp_targetILNS1_3genE10ELNS1_11target_archE1200ELNS1_3gpuE4ELNS1_3repE0EEENS1_30default_config_static_selectorELNS0_4arch9wavefront6targetE1EEEvT1_: ; @_ZN7rocprim17ROCPRIM_400000_NS6detail17trampoline_kernelINS0_14default_configENS1_25partition_config_selectorILNS1_17partition_subalgoE0EsNS0_10empty_typeEbEEZZNS1_14partition_implILS5_0ELb0ES3_jN6thrust23THRUST_200600_302600_NS6detail15normal_iteratorINSA_10device_ptrIsEEEEPS6_SG_NS0_5tupleIJSF_NSA_16discard_iteratorINSA_11use_defaultEEEEEENSH_IJSG_SG_EEES6_PlJ7is_evenIsEEEE10hipError_tPvRmT3_T4_T5_T6_T7_T9_mT8_P12ihipStream_tbDpT10_ENKUlT_T0_E_clISt17integral_constantIbLb0EES19_EEDaS14_S15_EUlS14_E_NS1_11comp_targetILNS1_3genE10ELNS1_11target_archE1200ELNS1_3gpuE4ELNS1_3repE0EEENS1_30default_config_static_selectorELNS0_4arch9wavefront6targetE1EEEvT1_
; %bb.0:
	.section	.rodata,"a",@progbits
	.p2align	6, 0x0
	.amdhsa_kernel _ZN7rocprim17ROCPRIM_400000_NS6detail17trampoline_kernelINS0_14default_configENS1_25partition_config_selectorILNS1_17partition_subalgoE0EsNS0_10empty_typeEbEEZZNS1_14partition_implILS5_0ELb0ES3_jN6thrust23THRUST_200600_302600_NS6detail15normal_iteratorINSA_10device_ptrIsEEEEPS6_SG_NS0_5tupleIJSF_NSA_16discard_iteratorINSA_11use_defaultEEEEEENSH_IJSG_SG_EEES6_PlJ7is_evenIsEEEE10hipError_tPvRmT3_T4_T5_T6_T7_T9_mT8_P12ihipStream_tbDpT10_ENKUlT_T0_E_clISt17integral_constantIbLb0EES19_EEDaS14_S15_EUlS14_E_NS1_11comp_targetILNS1_3genE10ELNS1_11target_archE1200ELNS1_3gpuE4ELNS1_3repE0EEENS1_30default_config_static_selectorELNS0_4arch9wavefront6targetE1EEEvT1_
		.amdhsa_group_segment_fixed_size 0
		.amdhsa_private_segment_fixed_size 0
		.amdhsa_kernarg_size 128
		.amdhsa_user_sgpr_count 6
		.amdhsa_user_sgpr_private_segment_buffer 1
		.amdhsa_user_sgpr_dispatch_ptr 0
		.amdhsa_user_sgpr_queue_ptr 0
		.amdhsa_user_sgpr_kernarg_segment_ptr 1
		.amdhsa_user_sgpr_dispatch_id 0
		.amdhsa_user_sgpr_flat_scratch_init 0
		.amdhsa_user_sgpr_kernarg_preload_length 0
		.amdhsa_user_sgpr_kernarg_preload_offset 0
		.amdhsa_user_sgpr_private_segment_size 0
		.amdhsa_uses_dynamic_stack 0
		.amdhsa_system_sgpr_private_segment_wavefront_offset 0
		.amdhsa_system_sgpr_workgroup_id_x 1
		.amdhsa_system_sgpr_workgroup_id_y 0
		.amdhsa_system_sgpr_workgroup_id_z 0
		.amdhsa_system_sgpr_workgroup_info 0
		.amdhsa_system_vgpr_workitem_id 0
		.amdhsa_next_free_vgpr 1
		.amdhsa_next_free_sgpr 0
		.amdhsa_accum_offset 4
		.amdhsa_reserve_vcc 0
		.amdhsa_reserve_flat_scratch 0
		.amdhsa_float_round_mode_32 0
		.amdhsa_float_round_mode_16_64 0
		.amdhsa_float_denorm_mode_32 3
		.amdhsa_float_denorm_mode_16_64 3
		.amdhsa_dx10_clamp 1
		.amdhsa_ieee_mode 1
		.amdhsa_fp16_overflow 0
		.amdhsa_tg_split 0
		.amdhsa_exception_fp_ieee_invalid_op 0
		.amdhsa_exception_fp_denorm_src 0
		.amdhsa_exception_fp_ieee_div_zero 0
		.amdhsa_exception_fp_ieee_overflow 0
		.amdhsa_exception_fp_ieee_underflow 0
		.amdhsa_exception_fp_ieee_inexact 0
		.amdhsa_exception_int_div_zero 0
	.end_amdhsa_kernel
	.section	.text._ZN7rocprim17ROCPRIM_400000_NS6detail17trampoline_kernelINS0_14default_configENS1_25partition_config_selectorILNS1_17partition_subalgoE0EsNS0_10empty_typeEbEEZZNS1_14partition_implILS5_0ELb0ES3_jN6thrust23THRUST_200600_302600_NS6detail15normal_iteratorINSA_10device_ptrIsEEEEPS6_SG_NS0_5tupleIJSF_NSA_16discard_iteratorINSA_11use_defaultEEEEEENSH_IJSG_SG_EEES6_PlJ7is_evenIsEEEE10hipError_tPvRmT3_T4_T5_T6_T7_T9_mT8_P12ihipStream_tbDpT10_ENKUlT_T0_E_clISt17integral_constantIbLb0EES19_EEDaS14_S15_EUlS14_E_NS1_11comp_targetILNS1_3genE10ELNS1_11target_archE1200ELNS1_3gpuE4ELNS1_3repE0EEENS1_30default_config_static_selectorELNS0_4arch9wavefront6targetE1EEEvT1_,"axG",@progbits,_ZN7rocprim17ROCPRIM_400000_NS6detail17trampoline_kernelINS0_14default_configENS1_25partition_config_selectorILNS1_17partition_subalgoE0EsNS0_10empty_typeEbEEZZNS1_14partition_implILS5_0ELb0ES3_jN6thrust23THRUST_200600_302600_NS6detail15normal_iteratorINSA_10device_ptrIsEEEEPS6_SG_NS0_5tupleIJSF_NSA_16discard_iteratorINSA_11use_defaultEEEEEENSH_IJSG_SG_EEES6_PlJ7is_evenIsEEEE10hipError_tPvRmT3_T4_T5_T6_T7_T9_mT8_P12ihipStream_tbDpT10_ENKUlT_T0_E_clISt17integral_constantIbLb0EES19_EEDaS14_S15_EUlS14_E_NS1_11comp_targetILNS1_3genE10ELNS1_11target_archE1200ELNS1_3gpuE4ELNS1_3repE0EEENS1_30default_config_static_selectorELNS0_4arch9wavefront6targetE1EEEvT1_,comdat
.Lfunc_end2816:
	.size	_ZN7rocprim17ROCPRIM_400000_NS6detail17trampoline_kernelINS0_14default_configENS1_25partition_config_selectorILNS1_17partition_subalgoE0EsNS0_10empty_typeEbEEZZNS1_14partition_implILS5_0ELb0ES3_jN6thrust23THRUST_200600_302600_NS6detail15normal_iteratorINSA_10device_ptrIsEEEEPS6_SG_NS0_5tupleIJSF_NSA_16discard_iteratorINSA_11use_defaultEEEEEENSH_IJSG_SG_EEES6_PlJ7is_evenIsEEEE10hipError_tPvRmT3_T4_T5_T6_T7_T9_mT8_P12ihipStream_tbDpT10_ENKUlT_T0_E_clISt17integral_constantIbLb0EES19_EEDaS14_S15_EUlS14_E_NS1_11comp_targetILNS1_3genE10ELNS1_11target_archE1200ELNS1_3gpuE4ELNS1_3repE0EEENS1_30default_config_static_selectorELNS0_4arch9wavefront6targetE1EEEvT1_, .Lfunc_end2816-_ZN7rocprim17ROCPRIM_400000_NS6detail17trampoline_kernelINS0_14default_configENS1_25partition_config_selectorILNS1_17partition_subalgoE0EsNS0_10empty_typeEbEEZZNS1_14partition_implILS5_0ELb0ES3_jN6thrust23THRUST_200600_302600_NS6detail15normal_iteratorINSA_10device_ptrIsEEEEPS6_SG_NS0_5tupleIJSF_NSA_16discard_iteratorINSA_11use_defaultEEEEEENSH_IJSG_SG_EEES6_PlJ7is_evenIsEEEE10hipError_tPvRmT3_T4_T5_T6_T7_T9_mT8_P12ihipStream_tbDpT10_ENKUlT_T0_E_clISt17integral_constantIbLb0EES19_EEDaS14_S15_EUlS14_E_NS1_11comp_targetILNS1_3genE10ELNS1_11target_archE1200ELNS1_3gpuE4ELNS1_3repE0EEENS1_30default_config_static_selectorELNS0_4arch9wavefront6targetE1EEEvT1_
                                        ; -- End function
	.section	.AMDGPU.csdata,"",@progbits
; Kernel info:
; codeLenInByte = 0
; NumSgprs: 4
; NumVgprs: 0
; NumAgprs: 0
; TotalNumVgprs: 0
; ScratchSize: 0
; MemoryBound: 0
; FloatMode: 240
; IeeeMode: 1
; LDSByteSize: 0 bytes/workgroup (compile time only)
; SGPRBlocks: 0
; VGPRBlocks: 0
; NumSGPRsForWavesPerEU: 4
; NumVGPRsForWavesPerEU: 1
; AccumOffset: 4
; Occupancy: 8
; WaveLimiterHint : 0
; COMPUTE_PGM_RSRC2:SCRATCH_EN: 0
; COMPUTE_PGM_RSRC2:USER_SGPR: 6
; COMPUTE_PGM_RSRC2:TRAP_HANDLER: 0
; COMPUTE_PGM_RSRC2:TGID_X_EN: 1
; COMPUTE_PGM_RSRC2:TGID_Y_EN: 0
; COMPUTE_PGM_RSRC2:TGID_Z_EN: 0
; COMPUTE_PGM_RSRC2:TIDIG_COMP_CNT: 0
; COMPUTE_PGM_RSRC3_GFX90A:ACCUM_OFFSET: 0
; COMPUTE_PGM_RSRC3_GFX90A:TG_SPLIT: 0
	.section	.text._ZN7rocprim17ROCPRIM_400000_NS6detail17trampoline_kernelINS0_14default_configENS1_25partition_config_selectorILNS1_17partition_subalgoE0EsNS0_10empty_typeEbEEZZNS1_14partition_implILS5_0ELb0ES3_jN6thrust23THRUST_200600_302600_NS6detail15normal_iteratorINSA_10device_ptrIsEEEEPS6_SG_NS0_5tupleIJSF_NSA_16discard_iteratorINSA_11use_defaultEEEEEENSH_IJSG_SG_EEES6_PlJ7is_evenIsEEEE10hipError_tPvRmT3_T4_T5_T6_T7_T9_mT8_P12ihipStream_tbDpT10_ENKUlT_T0_E_clISt17integral_constantIbLb0EES19_EEDaS14_S15_EUlS14_E_NS1_11comp_targetILNS1_3genE9ELNS1_11target_archE1100ELNS1_3gpuE3ELNS1_3repE0EEENS1_30default_config_static_selectorELNS0_4arch9wavefront6targetE1EEEvT1_,"axG",@progbits,_ZN7rocprim17ROCPRIM_400000_NS6detail17trampoline_kernelINS0_14default_configENS1_25partition_config_selectorILNS1_17partition_subalgoE0EsNS0_10empty_typeEbEEZZNS1_14partition_implILS5_0ELb0ES3_jN6thrust23THRUST_200600_302600_NS6detail15normal_iteratorINSA_10device_ptrIsEEEEPS6_SG_NS0_5tupleIJSF_NSA_16discard_iteratorINSA_11use_defaultEEEEEENSH_IJSG_SG_EEES6_PlJ7is_evenIsEEEE10hipError_tPvRmT3_T4_T5_T6_T7_T9_mT8_P12ihipStream_tbDpT10_ENKUlT_T0_E_clISt17integral_constantIbLb0EES19_EEDaS14_S15_EUlS14_E_NS1_11comp_targetILNS1_3genE9ELNS1_11target_archE1100ELNS1_3gpuE3ELNS1_3repE0EEENS1_30default_config_static_selectorELNS0_4arch9wavefront6targetE1EEEvT1_,comdat
	.protected	_ZN7rocprim17ROCPRIM_400000_NS6detail17trampoline_kernelINS0_14default_configENS1_25partition_config_selectorILNS1_17partition_subalgoE0EsNS0_10empty_typeEbEEZZNS1_14partition_implILS5_0ELb0ES3_jN6thrust23THRUST_200600_302600_NS6detail15normal_iteratorINSA_10device_ptrIsEEEEPS6_SG_NS0_5tupleIJSF_NSA_16discard_iteratorINSA_11use_defaultEEEEEENSH_IJSG_SG_EEES6_PlJ7is_evenIsEEEE10hipError_tPvRmT3_T4_T5_T6_T7_T9_mT8_P12ihipStream_tbDpT10_ENKUlT_T0_E_clISt17integral_constantIbLb0EES19_EEDaS14_S15_EUlS14_E_NS1_11comp_targetILNS1_3genE9ELNS1_11target_archE1100ELNS1_3gpuE3ELNS1_3repE0EEENS1_30default_config_static_selectorELNS0_4arch9wavefront6targetE1EEEvT1_ ; -- Begin function _ZN7rocprim17ROCPRIM_400000_NS6detail17trampoline_kernelINS0_14default_configENS1_25partition_config_selectorILNS1_17partition_subalgoE0EsNS0_10empty_typeEbEEZZNS1_14partition_implILS5_0ELb0ES3_jN6thrust23THRUST_200600_302600_NS6detail15normal_iteratorINSA_10device_ptrIsEEEEPS6_SG_NS0_5tupleIJSF_NSA_16discard_iteratorINSA_11use_defaultEEEEEENSH_IJSG_SG_EEES6_PlJ7is_evenIsEEEE10hipError_tPvRmT3_T4_T5_T6_T7_T9_mT8_P12ihipStream_tbDpT10_ENKUlT_T0_E_clISt17integral_constantIbLb0EES19_EEDaS14_S15_EUlS14_E_NS1_11comp_targetILNS1_3genE9ELNS1_11target_archE1100ELNS1_3gpuE3ELNS1_3repE0EEENS1_30default_config_static_selectorELNS0_4arch9wavefront6targetE1EEEvT1_
	.globl	_ZN7rocprim17ROCPRIM_400000_NS6detail17trampoline_kernelINS0_14default_configENS1_25partition_config_selectorILNS1_17partition_subalgoE0EsNS0_10empty_typeEbEEZZNS1_14partition_implILS5_0ELb0ES3_jN6thrust23THRUST_200600_302600_NS6detail15normal_iteratorINSA_10device_ptrIsEEEEPS6_SG_NS0_5tupleIJSF_NSA_16discard_iteratorINSA_11use_defaultEEEEEENSH_IJSG_SG_EEES6_PlJ7is_evenIsEEEE10hipError_tPvRmT3_T4_T5_T6_T7_T9_mT8_P12ihipStream_tbDpT10_ENKUlT_T0_E_clISt17integral_constantIbLb0EES19_EEDaS14_S15_EUlS14_E_NS1_11comp_targetILNS1_3genE9ELNS1_11target_archE1100ELNS1_3gpuE3ELNS1_3repE0EEENS1_30default_config_static_selectorELNS0_4arch9wavefront6targetE1EEEvT1_
	.p2align	8
	.type	_ZN7rocprim17ROCPRIM_400000_NS6detail17trampoline_kernelINS0_14default_configENS1_25partition_config_selectorILNS1_17partition_subalgoE0EsNS0_10empty_typeEbEEZZNS1_14partition_implILS5_0ELb0ES3_jN6thrust23THRUST_200600_302600_NS6detail15normal_iteratorINSA_10device_ptrIsEEEEPS6_SG_NS0_5tupleIJSF_NSA_16discard_iteratorINSA_11use_defaultEEEEEENSH_IJSG_SG_EEES6_PlJ7is_evenIsEEEE10hipError_tPvRmT3_T4_T5_T6_T7_T9_mT8_P12ihipStream_tbDpT10_ENKUlT_T0_E_clISt17integral_constantIbLb0EES19_EEDaS14_S15_EUlS14_E_NS1_11comp_targetILNS1_3genE9ELNS1_11target_archE1100ELNS1_3gpuE3ELNS1_3repE0EEENS1_30default_config_static_selectorELNS0_4arch9wavefront6targetE1EEEvT1_,@function
_ZN7rocprim17ROCPRIM_400000_NS6detail17trampoline_kernelINS0_14default_configENS1_25partition_config_selectorILNS1_17partition_subalgoE0EsNS0_10empty_typeEbEEZZNS1_14partition_implILS5_0ELb0ES3_jN6thrust23THRUST_200600_302600_NS6detail15normal_iteratorINSA_10device_ptrIsEEEEPS6_SG_NS0_5tupleIJSF_NSA_16discard_iteratorINSA_11use_defaultEEEEEENSH_IJSG_SG_EEES6_PlJ7is_evenIsEEEE10hipError_tPvRmT3_T4_T5_T6_T7_T9_mT8_P12ihipStream_tbDpT10_ENKUlT_T0_E_clISt17integral_constantIbLb0EES19_EEDaS14_S15_EUlS14_E_NS1_11comp_targetILNS1_3genE9ELNS1_11target_archE1100ELNS1_3gpuE3ELNS1_3repE0EEENS1_30default_config_static_selectorELNS0_4arch9wavefront6targetE1EEEvT1_: ; @_ZN7rocprim17ROCPRIM_400000_NS6detail17trampoline_kernelINS0_14default_configENS1_25partition_config_selectorILNS1_17partition_subalgoE0EsNS0_10empty_typeEbEEZZNS1_14partition_implILS5_0ELb0ES3_jN6thrust23THRUST_200600_302600_NS6detail15normal_iteratorINSA_10device_ptrIsEEEEPS6_SG_NS0_5tupleIJSF_NSA_16discard_iteratorINSA_11use_defaultEEEEEENSH_IJSG_SG_EEES6_PlJ7is_evenIsEEEE10hipError_tPvRmT3_T4_T5_T6_T7_T9_mT8_P12ihipStream_tbDpT10_ENKUlT_T0_E_clISt17integral_constantIbLb0EES19_EEDaS14_S15_EUlS14_E_NS1_11comp_targetILNS1_3genE9ELNS1_11target_archE1100ELNS1_3gpuE3ELNS1_3repE0EEENS1_30default_config_static_selectorELNS0_4arch9wavefront6targetE1EEEvT1_
; %bb.0:
	.section	.rodata,"a",@progbits
	.p2align	6, 0x0
	.amdhsa_kernel _ZN7rocprim17ROCPRIM_400000_NS6detail17trampoline_kernelINS0_14default_configENS1_25partition_config_selectorILNS1_17partition_subalgoE0EsNS0_10empty_typeEbEEZZNS1_14partition_implILS5_0ELb0ES3_jN6thrust23THRUST_200600_302600_NS6detail15normal_iteratorINSA_10device_ptrIsEEEEPS6_SG_NS0_5tupleIJSF_NSA_16discard_iteratorINSA_11use_defaultEEEEEENSH_IJSG_SG_EEES6_PlJ7is_evenIsEEEE10hipError_tPvRmT3_T4_T5_T6_T7_T9_mT8_P12ihipStream_tbDpT10_ENKUlT_T0_E_clISt17integral_constantIbLb0EES19_EEDaS14_S15_EUlS14_E_NS1_11comp_targetILNS1_3genE9ELNS1_11target_archE1100ELNS1_3gpuE3ELNS1_3repE0EEENS1_30default_config_static_selectorELNS0_4arch9wavefront6targetE1EEEvT1_
		.amdhsa_group_segment_fixed_size 0
		.amdhsa_private_segment_fixed_size 0
		.amdhsa_kernarg_size 128
		.amdhsa_user_sgpr_count 6
		.amdhsa_user_sgpr_private_segment_buffer 1
		.amdhsa_user_sgpr_dispatch_ptr 0
		.amdhsa_user_sgpr_queue_ptr 0
		.amdhsa_user_sgpr_kernarg_segment_ptr 1
		.amdhsa_user_sgpr_dispatch_id 0
		.amdhsa_user_sgpr_flat_scratch_init 0
		.amdhsa_user_sgpr_kernarg_preload_length 0
		.amdhsa_user_sgpr_kernarg_preload_offset 0
		.amdhsa_user_sgpr_private_segment_size 0
		.amdhsa_uses_dynamic_stack 0
		.amdhsa_system_sgpr_private_segment_wavefront_offset 0
		.amdhsa_system_sgpr_workgroup_id_x 1
		.amdhsa_system_sgpr_workgroup_id_y 0
		.amdhsa_system_sgpr_workgroup_id_z 0
		.amdhsa_system_sgpr_workgroup_info 0
		.amdhsa_system_vgpr_workitem_id 0
		.amdhsa_next_free_vgpr 1
		.amdhsa_next_free_sgpr 0
		.amdhsa_accum_offset 4
		.amdhsa_reserve_vcc 0
		.amdhsa_reserve_flat_scratch 0
		.amdhsa_float_round_mode_32 0
		.amdhsa_float_round_mode_16_64 0
		.amdhsa_float_denorm_mode_32 3
		.amdhsa_float_denorm_mode_16_64 3
		.amdhsa_dx10_clamp 1
		.amdhsa_ieee_mode 1
		.amdhsa_fp16_overflow 0
		.amdhsa_tg_split 0
		.amdhsa_exception_fp_ieee_invalid_op 0
		.amdhsa_exception_fp_denorm_src 0
		.amdhsa_exception_fp_ieee_div_zero 0
		.amdhsa_exception_fp_ieee_overflow 0
		.amdhsa_exception_fp_ieee_underflow 0
		.amdhsa_exception_fp_ieee_inexact 0
		.amdhsa_exception_int_div_zero 0
	.end_amdhsa_kernel
	.section	.text._ZN7rocprim17ROCPRIM_400000_NS6detail17trampoline_kernelINS0_14default_configENS1_25partition_config_selectorILNS1_17partition_subalgoE0EsNS0_10empty_typeEbEEZZNS1_14partition_implILS5_0ELb0ES3_jN6thrust23THRUST_200600_302600_NS6detail15normal_iteratorINSA_10device_ptrIsEEEEPS6_SG_NS0_5tupleIJSF_NSA_16discard_iteratorINSA_11use_defaultEEEEEENSH_IJSG_SG_EEES6_PlJ7is_evenIsEEEE10hipError_tPvRmT3_T4_T5_T6_T7_T9_mT8_P12ihipStream_tbDpT10_ENKUlT_T0_E_clISt17integral_constantIbLb0EES19_EEDaS14_S15_EUlS14_E_NS1_11comp_targetILNS1_3genE9ELNS1_11target_archE1100ELNS1_3gpuE3ELNS1_3repE0EEENS1_30default_config_static_selectorELNS0_4arch9wavefront6targetE1EEEvT1_,"axG",@progbits,_ZN7rocprim17ROCPRIM_400000_NS6detail17trampoline_kernelINS0_14default_configENS1_25partition_config_selectorILNS1_17partition_subalgoE0EsNS0_10empty_typeEbEEZZNS1_14partition_implILS5_0ELb0ES3_jN6thrust23THRUST_200600_302600_NS6detail15normal_iteratorINSA_10device_ptrIsEEEEPS6_SG_NS0_5tupleIJSF_NSA_16discard_iteratorINSA_11use_defaultEEEEEENSH_IJSG_SG_EEES6_PlJ7is_evenIsEEEE10hipError_tPvRmT3_T4_T5_T6_T7_T9_mT8_P12ihipStream_tbDpT10_ENKUlT_T0_E_clISt17integral_constantIbLb0EES19_EEDaS14_S15_EUlS14_E_NS1_11comp_targetILNS1_3genE9ELNS1_11target_archE1100ELNS1_3gpuE3ELNS1_3repE0EEENS1_30default_config_static_selectorELNS0_4arch9wavefront6targetE1EEEvT1_,comdat
.Lfunc_end2817:
	.size	_ZN7rocprim17ROCPRIM_400000_NS6detail17trampoline_kernelINS0_14default_configENS1_25partition_config_selectorILNS1_17partition_subalgoE0EsNS0_10empty_typeEbEEZZNS1_14partition_implILS5_0ELb0ES3_jN6thrust23THRUST_200600_302600_NS6detail15normal_iteratorINSA_10device_ptrIsEEEEPS6_SG_NS0_5tupleIJSF_NSA_16discard_iteratorINSA_11use_defaultEEEEEENSH_IJSG_SG_EEES6_PlJ7is_evenIsEEEE10hipError_tPvRmT3_T4_T5_T6_T7_T9_mT8_P12ihipStream_tbDpT10_ENKUlT_T0_E_clISt17integral_constantIbLb0EES19_EEDaS14_S15_EUlS14_E_NS1_11comp_targetILNS1_3genE9ELNS1_11target_archE1100ELNS1_3gpuE3ELNS1_3repE0EEENS1_30default_config_static_selectorELNS0_4arch9wavefront6targetE1EEEvT1_, .Lfunc_end2817-_ZN7rocprim17ROCPRIM_400000_NS6detail17trampoline_kernelINS0_14default_configENS1_25partition_config_selectorILNS1_17partition_subalgoE0EsNS0_10empty_typeEbEEZZNS1_14partition_implILS5_0ELb0ES3_jN6thrust23THRUST_200600_302600_NS6detail15normal_iteratorINSA_10device_ptrIsEEEEPS6_SG_NS0_5tupleIJSF_NSA_16discard_iteratorINSA_11use_defaultEEEEEENSH_IJSG_SG_EEES6_PlJ7is_evenIsEEEE10hipError_tPvRmT3_T4_T5_T6_T7_T9_mT8_P12ihipStream_tbDpT10_ENKUlT_T0_E_clISt17integral_constantIbLb0EES19_EEDaS14_S15_EUlS14_E_NS1_11comp_targetILNS1_3genE9ELNS1_11target_archE1100ELNS1_3gpuE3ELNS1_3repE0EEENS1_30default_config_static_selectorELNS0_4arch9wavefront6targetE1EEEvT1_
                                        ; -- End function
	.section	.AMDGPU.csdata,"",@progbits
; Kernel info:
; codeLenInByte = 0
; NumSgprs: 4
; NumVgprs: 0
; NumAgprs: 0
; TotalNumVgprs: 0
; ScratchSize: 0
; MemoryBound: 0
; FloatMode: 240
; IeeeMode: 1
; LDSByteSize: 0 bytes/workgroup (compile time only)
; SGPRBlocks: 0
; VGPRBlocks: 0
; NumSGPRsForWavesPerEU: 4
; NumVGPRsForWavesPerEU: 1
; AccumOffset: 4
; Occupancy: 8
; WaveLimiterHint : 0
; COMPUTE_PGM_RSRC2:SCRATCH_EN: 0
; COMPUTE_PGM_RSRC2:USER_SGPR: 6
; COMPUTE_PGM_RSRC2:TRAP_HANDLER: 0
; COMPUTE_PGM_RSRC2:TGID_X_EN: 1
; COMPUTE_PGM_RSRC2:TGID_Y_EN: 0
; COMPUTE_PGM_RSRC2:TGID_Z_EN: 0
; COMPUTE_PGM_RSRC2:TIDIG_COMP_CNT: 0
; COMPUTE_PGM_RSRC3_GFX90A:ACCUM_OFFSET: 0
; COMPUTE_PGM_RSRC3_GFX90A:TG_SPLIT: 0
	.section	.text._ZN7rocprim17ROCPRIM_400000_NS6detail17trampoline_kernelINS0_14default_configENS1_25partition_config_selectorILNS1_17partition_subalgoE0EsNS0_10empty_typeEbEEZZNS1_14partition_implILS5_0ELb0ES3_jN6thrust23THRUST_200600_302600_NS6detail15normal_iteratorINSA_10device_ptrIsEEEEPS6_SG_NS0_5tupleIJSF_NSA_16discard_iteratorINSA_11use_defaultEEEEEENSH_IJSG_SG_EEES6_PlJ7is_evenIsEEEE10hipError_tPvRmT3_T4_T5_T6_T7_T9_mT8_P12ihipStream_tbDpT10_ENKUlT_T0_E_clISt17integral_constantIbLb0EES19_EEDaS14_S15_EUlS14_E_NS1_11comp_targetILNS1_3genE8ELNS1_11target_archE1030ELNS1_3gpuE2ELNS1_3repE0EEENS1_30default_config_static_selectorELNS0_4arch9wavefront6targetE1EEEvT1_,"axG",@progbits,_ZN7rocprim17ROCPRIM_400000_NS6detail17trampoline_kernelINS0_14default_configENS1_25partition_config_selectorILNS1_17partition_subalgoE0EsNS0_10empty_typeEbEEZZNS1_14partition_implILS5_0ELb0ES3_jN6thrust23THRUST_200600_302600_NS6detail15normal_iteratorINSA_10device_ptrIsEEEEPS6_SG_NS0_5tupleIJSF_NSA_16discard_iteratorINSA_11use_defaultEEEEEENSH_IJSG_SG_EEES6_PlJ7is_evenIsEEEE10hipError_tPvRmT3_T4_T5_T6_T7_T9_mT8_P12ihipStream_tbDpT10_ENKUlT_T0_E_clISt17integral_constantIbLb0EES19_EEDaS14_S15_EUlS14_E_NS1_11comp_targetILNS1_3genE8ELNS1_11target_archE1030ELNS1_3gpuE2ELNS1_3repE0EEENS1_30default_config_static_selectorELNS0_4arch9wavefront6targetE1EEEvT1_,comdat
	.protected	_ZN7rocprim17ROCPRIM_400000_NS6detail17trampoline_kernelINS0_14default_configENS1_25partition_config_selectorILNS1_17partition_subalgoE0EsNS0_10empty_typeEbEEZZNS1_14partition_implILS5_0ELb0ES3_jN6thrust23THRUST_200600_302600_NS6detail15normal_iteratorINSA_10device_ptrIsEEEEPS6_SG_NS0_5tupleIJSF_NSA_16discard_iteratorINSA_11use_defaultEEEEEENSH_IJSG_SG_EEES6_PlJ7is_evenIsEEEE10hipError_tPvRmT3_T4_T5_T6_T7_T9_mT8_P12ihipStream_tbDpT10_ENKUlT_T0_E_clISt17integral_constantIbLb0EES19_EEDaS14_S15_EUlS14_E_NS1_11comp_targetILNS1_3genE8ELNS1_11target_archE1030ELNS1_3gpuE2ELNS1_3repE0EEENS1_30default_config_static_selectorELNS0_4arch9wavefront6targetE1EEEvT1_ ; -- Begin function _ZN7rocprim17ROCPRIM_400000_NS6detail17trampoline_kernelINS0_14default_configENS1_25partition_config_selectorILNS1_17partition_subalgoE0EsNS0_10empty_typeEbEEZZNS1_14partition_implILS5_0ELb0ES3_jN6thrust23THRUST_200600_302600_NS6detail15normal_iteratorINSA_10device_ptrIsEEEEPS6_SG_NS0_5tupleIJSF_NSA_16discard_iteratorINSA_11use_defaultEEEEEENSH_IJSG_SG_EEES6_PlJ7is_evenIsEEEE10hipError_tPvRmT3_T4_T5_T6_T7_T9_mT8_P12ihipStream_tbDpT10_ENKUlT_T0_E_clISt17integral_constantIbLb0EES19_EEDaS14_S15_EUlS14_E_NS1_11comp_targetILNS1_3genE8ELNS1_11target_archE1030ELNS1_3gpuE2ELNS1_3repE0EEENS1_30default_config_static_selectorELNS0_4arch9wavefront6targetE1EEEvT1_
	.globl	_ZN7rocprim17ROCPRIM_400000_NS6detail17trampoline_kernelINS0_14default_configENS1_25partition_config_selectorILNS1_17partition_subalgoE0EsNS0_10empty_typeEbEEZZNS1_14partition_implILS5_0ELb0ES3_jN6thrust23THRUST_200600_302600_NS6detail15normal_iteratorINSA_10device_ptrIsEEEEPS6_SG_NS0_5tupleIJSF_NSA_16discard_iteratorINSA_11use_defaultEEEEEENSH_IJSG_SG_EEES6_PlJ7is_evenIsEEEE10hipError_tPvRmT3_T4_T5_T6_T7_T9_mT8_P12ihipStream_tbDpT10_ENKUlT_T0_E_clISt17integral_constantIbLb0EES19_EEDaS14_S15_EUlS14_E_NS1_11comp_targetILNS1_3genE8ELNS1_11target_archE1030ELNS1_3gpuE2ELNS1_3repE0EEENS1_30default_config_static_selectorELNS0_4arch9wavefront6targetE1EEEvT1_
	.p2align	8
	.type	_ZN7rocprim17ROCPRIM_400000_NS6detail17trampoline_kernelINS0_14default_configENS1_25partition_config_selectorILNS1_17partition_subalgoE0EsNS0_10empty_typeEbEEZZNS1_14partition_implILS5_0ELb0ES3_jN6thrust23THRUST_200600_302600_NS6detail15normal_iteratorINSA_10device_ptrIsEEEEPS6_SG_NS0_5tupleIJSF_NSA_16discard_iteratorINSA_11use_defaultEEEEEENSH_IJSG_SG_EEES6_PlJ7is_evenIsEEEE10hipError_tPvRmT3_T4_T5_T6_T7_T9_mT8_P12ihipStream_tbDpT10_ENKUlT_T0_E_clISt17integral_constantIbLb0EES19_EEDaS14_S15_EUlS14_E_NS1_11comp_targetILNS1_3genE8ELNS1_11target_archE1030ELNS1_3gpuE2ELNS1_3repE0EEENS1_30default_config_static_selectorELNS0_4arch9wavefront6targetE1EEEvT1_,@function
_ZN7rocprim17ROCPRIM_400000_NS6detail17trampoline_kernelINS0_14default_configENS1_25partition_config_selectorILNS1_17partition_subalgoE0EsNS0_10empty_typeEbEEZZNS1_14partition_implILS5_0ELb0ES3_jN6thrust23THRUST_200600_302600_NS6detail15normal_iteratorINSA_10device_ptrIsEEEEPS6_SG_NS0_5tupleIJSF_NSA_16discard_iteratorINSA_11use_defaultEEEEEENSH_IJSG_SG_EEES6_PlJ7is_evenIsEEEE10hipError_tPvRmT3_T4_T5_T6_T7_T9_mT8_P12ihipStream_tbDpT10_ENKUlT_T0_E_clISt17integral_constantIbLb0EES19_EEDaS14_S15_EUlS14_E_NS1_11comp_targetILNS1_3genE8ELNS1_11target_archE1030ELNS1_3gpuE2ELNS1_3repE0EEENS1_30default_config_static_selectorELNS0_4arch9wavefront6targetE1EEEvT1_: ; @_ZN7rocprim17ROCPRIM_400000_NS6detail17trampoline_kernelINS0_14default_configENS1_25partition_config_selectorILNS1_17partition_subalgoE0EsNS0_10empty_typeEbEEZZNS1_14partition_implILS5_0ELb0ES3_jN6thrust23THRUST_200600_302600_NS6detail15normal_iteratorINSA_10device_ptrIsEEEEPS6_SG_NS0_5tupleIJSF_NSA_16discard_iteratorINSA_11use_defaultEEEEEENSH_IJSG_SG_EEES6_PlJ7is_evenIsEEEE10hipError_tPvRmT3_T4_T5_T6_T7_T9_mT8_P12ihipStream_tbDpT10_ENKUlT_T0_E_clISt17integral_constantIbLb0EES19_EEDaS14_S15_EUlS14_E_NS1_11comp_targetILNS1_3genE8ELNS1_11target_archE1030ELNS1_3gpuE2ELNS1_3repE0EEENS1_30default_config_static_selectorELNS0_4arch9wavefront6targetE1EEEvT1_
; %bb.0:
	.section	.rodata,"a",@progbits
	.p2align	6, 0x0
	.amdhsa_kernel _ZN7rocprim17ROCPRIM_400000_NS6detail17trampoline_kernelINS0_14default_configENS1_25partition_config_selectorILNS1_17partition_subalgoE0EsNS0_10empty_typeEbEEZZNS1_14partition_implILS5_0ELb0ES3_jN6thrust23THRUST_200600_302600_NS6detail15normal_iteratorINSA_10device_ptrIsEEEEPS6_SG_NS0_5tupleIJSF_NSA_16discard_iteratorINSA_11use_defaultEEEEEENSH_IJSG_SG_EEES6_PlJ7is_evenIsEEEE10hipError_tPvRmT3_T4_T5_T6_T7_T9_mT8_P12ihipStream_tbDpT10_ENKUlT_T0_E_clISt17integral_constantIbLb0EES19_EEDaS14_S15_EUlS14_E_NS1_11comp_targetILNS1_3genE8ELNS1_11target_archE1030ELNS1_3gpuE2ELNS1_3repE0EEENS1_30default_config_static_selectorELNS0_4arch9wavefront6targetE1EEEvT1_
		.amdhsa_group_segment_fixed_size 0
		.amdhsa_private_segment_fixed_size 0
		.amdhsa_kernarg_size 128
		.amdhsa_user_sgpr_count 6
		.amdhsa_user_sgpr_private_segment_buffer 1
		.amdhsa_user_sgpr_dispatch_ptr 0
		.amdhsa_user_sgpr_queue_ptr 0
		.amdhsa_user_sgpr_kernarg_segment_ptr 1
		.amdhsa_user_sgpr_dispatch_id 0
		.amdhsa_user_sgpr_flat_scratch_init 0
		.amdhsa_user_sgpr_kernarg_preload_length 0
		.amdhsa_user_sgpr_kernarg_preload_offset 0
		.amdhsa_user_sgpr_private_segment_size 0
		.amdhsa_uses_dynamic_stack 0
		.amdhsa_system_sgpr_private_segment_wavefront_offset 0
		.amdhsa_system_sgpr_workgroup_id_x 1
		.amdhsa_system_sgpr_workgroup_id_y 0
		.amdhsa_system_sgpr_workgroup_id_z 0
		.amdhsa_system_sgpr_workgroup_info 0
		.amdhsa_system_vgpr_workitem_id 0
		.amdhsa_next_free_vgpr 1
		.amdhsa_next_free_sgpr 0
		.amdhsa_accum_offset 4
		.amdhsa_reserve_vcc 0
		.amdhsa_reserve_flat_scratch 0
		.amdhsa_float_round_mode_32 0
		.amdhsa_float_round_mode_16_64 0
		.amdhsa_float_denorm_mode_32 3
		.amdhsa_float_denorm_mode_16_64 3
		.amdhsa_dx10_clamp 1
		.amdhsa_ieee_mode 1
		.amdhsa_fp16_overflow 0
		.amdhsa_tg_split 0
		.amdhsa_exception_fp_ieee_invalid_op 0
		.amdhsa_exception_fp_denorm_src 0
		.amdhsa_exception_fp_ieee_div_zero 0
		.amdhsa_exception_fp_ieee_overflow 0
		.amdhsa_exception_fp_ieee_underflow 0
		.amdhsa_exception_fp_ieee_inexact 0
		.amdhsa_exception_int_div_zero 0
	.end_amdhsa_kernel
	.section	.text._ZN7rocprim17ROCPRIM_400000_NS6detail17trampoline_kernelINS0_14default_configENS1_25partition_config_selectorILNS1_17partition_subalgoE0EsNS0_10empty_typeEbEEZZNS1_14partition_implILS5_0ELb0ES3_jN6thrust23THRUST_200600_302600_NS6detail15normal_iteratorINSA_10device_ptrIsEEEEPS6_SG_NS0_5tupleIJSF_NSA_16discard_iteratorINSA_11use_defaultEEEEEENSH_IJSG_SG_EEES6_PlJ7is_evenIsEEEE10hipError_tPvRmT3_T4_T5_T6_T7_T9_mT8_P12ihipStream_tbDpT10_ENKUlT_T0_E_clISt17integral_constantIbLb0EES19_EEDaS14_S15_EUlS14_E_NS1_11comp_targetILNS1_3genE8ELNS1_11target_archE1030ELNS1_3gpuE2ELNS1_3repE0EEENS1_30default_config_static_selectorELNS0_4arch9wavefront6targetE1EEEvT1_,"axG",@progbits,_ZN7rocprim17ROCPRIM_400000_NS6detail17trampoline_kernelINS0_14default_configENS1_25partition_config_selectorILNS1_17partition_subalgoE0EsNS0_10empty_typeEbEEZZNS1_14partition_implILS5_0ELb0ES3_jN6thrust23THRUST_200600_302600_NS6detail15normal_iteratorINSA_10device_ptrIsEEEEPS6_SG_NS0_5tupleIJSF_NSA_16discard_iteratorINSA_11use_defaultEEEEEENSH_IJSG_SG_EEES6_PlJ7is_evenIsEEEE10hipError_tPvRmT3_T4_T5_T6_T7_T9_mT8_P12ihipStream_tbDpT10_ENKUlT_T0_E_clISt17integral_constantIbLb0EES19_EEDaS14_S15_EUlS14_E_NS1_11comp_targetILNS1_3genE8ELNS1_11target_archE1030ELNS1_3gpuE2ELNS1_3repE0EEENS1_30default_config_static_selectorELNS0_4arch9wavefront6targetE1EEEvT1_,comdat
.Lfunc_end2818:
	.size	_ZN7rocprim17ROCPRIM_400000_NS6detail17trampoline_kernelINS0_14default_configENS1_25partition_config_selectorILNS1_17partition_subalgoE0EsNS0_10empty_typeEbEEZZNS1_14partition_implILS5_0ELb0ES3_jN6thrust23THRUST_200600_302600_NS6detail15normal_iteratorINSA_10device_ptrIsEEEEPS6_SG_NS0_5tupleIJSF_NSA_16discard_iteratorINSA_11use_defaultEEEEEENSH_IJSG_SG_EEES6_PlJ7is_evenIsEEEE10hipError_tPvRmT3_T4_T5_T6_T7_T9_mT8_P12ihipStream_tbDpT10_ENKUlT_T0_E_clISt17integral_constantIbLb0EES19_EEDaS14_S15_EUlS14_E_NS1_11comp_targetILNS1_3genE8ELNS1_11target_archE1030ELNS1_3gpuE2ELNS1_3repE0EEENS1_30default_config_static_selectorELNS0_4arch9wavefront6targetE1EEEvT1_, .Lfunc_end2818-_ZN7rocprim17ROCPRIM_400000_NS6detail17trampoline_kernelINS0_14default_configENS1_25partition_config_selectorILNS1_17partition_subalgoE0EsNS0_10empty_typeEbEEZZNS1_14partition_implILS5_0ELb0ES3_jN6thrust23THRUST_200600_302600_NS6detail15normal_iteratorINSA_10device_ptrIsEEEEPS6_SG_NS0_5tupleIJSF_NSA_16discard_iteratorINSA_11use_defaultEEEEEENSH_IJSG_SG_EEES6_PlJ7is_evenIsEEEE10hipError_tPvRmT3_T4_T5_T6_T7_T9_mT8_P12ihipStream_tbDpT10_ENKUlT_T0_E_clISt17integral_constantIbLb0EES19_EEDaS14_S15_EUlS14_E_NS1_11comp_targetILNS1_3genE8ELNS1_11target_archE1030ELNS1_3gpuE2ELNS1_3repE0EEENS1_30default_config_static_selectorELNS0_4arch9wavefront6targetE1EEEvT1_
                                        ; -- End function
	.section	.AMDGPU.csdata,"",@progbits
; Kernel info:
; codeLenInByte = 0
; NumSgprs: 4
; NumVgprs: 0
; NumAgprs: 0
; TotalNumVgprs: 0
; ScratchSize: 0
; MemoryBound: 0
; FloatMode: 240
; IeeeMode: 1
; LDSByteSize: 0 bytes/workgroup (compile time only)
; SGPRBlocks: 0
; VGPRBlocks: 0
; NumSGPRsForWavesPerEU: 4
; NumVGPRsForWavesPerEU: 1
; AccumOffset: 4
; Occupancy: 8
; WaveLimiterHint : 0
; COMPUTE_PGM_RSRC2:SCRATCH_EN: 0
; COMPUTE_PGM_RSRC2:USER_SGPR: 6
; COMPUTE_PGM_RSRC2:TRAP_HANDLER: 0
; COMPUTE_PGM_RSRC2:TGID_X_EN: 1
; COMPUTE_PGM_RSRC2:TGID_Y_EN: 0
; COMPUTE_PGM_RSRC2:TGID_Z_EN: 0
; COMPUTE_PGM_RSRC2:TIDIG_COMP_CNT: 0
; COMPUTE_PGM_RSRC3_GFX90A:ACCUM_OFFSET: 0
; COMPUTE_PGM_RSRC3_GFX90A:TG_SPLIT: 0
	.section	.text._ZN7rocprim17ROCPRIM_400000_NS6detail17trampoline_kernelINS0_14default_configENS1_25partition_config_selectorILNS1_17partition_subalgoE0EsNS0_10empty_typeEbEEZZNS1_14partition_implILS5_0ELb0ES3_jN6thrust23THRUST_200600_302600_NS6detail15normal_iteratorINSA_10device_ptrIsEEEEPS6_SG_NS0_5tupleIJSF_NSA_16discard_iteratorINSA_11use_defaultEEEEEENSH_IJSG_SG_EEES6_PlJ7is_evenIsEEEE10hipError_tPvRmT3_T4_T5_T6_T7_T9_mT8_P12ihipStream_tbDpT10_ENKUlT_T0_E_clISt17integral_constantIbLb1EES19_EEDaS14_S15_EUlS14_E_NS1_11comp_targetILNS1_3genE0ELNS1_11target_archE4294967295ELNS1_3gpuE0ELNS1_3repE0EEENS1_30default_config_static_selectorELNS0_4arch9wavefront6targetE1EEEvT1_,"axG",@progbits,_ZN7rocprim17ROCPRIM_400000_NS6detail17trampoline_kernelINS0_14default_configENS1_25partition_config_selectorILNS1_17partition_subalgoE0EsNS0_10empty_typeEbEEZZNS1_14partition_implILS5_0ELb0ES3_jN6thrust23THRUST_200600_302600_NS6detail15normal_iteratorINSA_10device_ptrIsEEEEPS6_SG_NS0_5tupleIJSF_NSA_16discard_iteratorINSA_11use_defaultEEEEEENSH_IJSG_SG_EEES6_PlJ7is_evenIsEEEE10hipError_tPvRmT3_T4_T5_T6_T7_T9_mT8_P12ihipStream_tbDpT10_ENKUlT_T0_E_clISt17integral_constantIbLb1EES19_EEDaS14_S15_EUlS14_E_NS1_11comp_targetILNS1_3genE0ELNS1_11target_archE4294967295ELNS1_3gpuE0ELNS1_3repE0EEENS1_30default_config_static_selectorELNS0_4arch9wavefront6targetE1EEEvT1_,comdat
	.protected	_ZN7rocprim17ROCPRIM_400000_NS6detail17trampoline_kernelINS0_14default_configENS1_25partition_config_selectorILNS1_17partition_subalgoE0EsNS0_10empty_typeEbEEZZNS1_14partition_implILS5_0ELb0ES3_jN6thrust23THRUST_200600_302600_NS6detail15normal_iteratorINSA_10device_ptrIsEEEEPS6_SG_NS0_5tupleIJSF_NSA_16discard_iteratorINSA_11use_defaultEEEEEENSH_IJSG_SG_EEES6_PlJ7is_evenIsEEEE10hipError_tPvRmT3_T4_T5_T6_T7_T9_mT8_P12ihipStream_tbDpT10_ENKUlT_T0_E_clISt17integral_constantIbLb1EES19_EEDaS14_S15_EUlS14_E_NS1_11comp_targetILNS1_3genE0ELNS1_11target_archE4294967295ELNS1_3gpuE0ELNS1_3repE0EEENS1_30default_config_static_selectorELNS0_4arch9wavefront6targetE1EEEvT1_ ; -- Begin function _ZN7rocprim17ROCPRIM_400000_NS6detail17trampoline_kernelINS0_14default_configENS1_25partition_config_selectorILNS1_17partition_subalgoE0EsNS0_10empty_typeEbEEZZNS1_14partition_implILS5_0ELb0ES3_jN6thrust23THRUST_200600_302600_NS6detail15normal_iteratorINSA_10device_ptrIsEEEEPS6_SG_NS0_5tupleIJSF_NSA_16discard_iteratorINSA_11use_defaultEEEEEENSH_IJSG_SG_EEES6_PlJ7is_evenIsEEEE10hipError_tPvRmT3_T4_T5_T6_T7_T9_mT8_P12ihipStream_tbDpT10_ENKUlT_T0_E_clISt17integral_constantIbLb1EES19_EEDaS14_S15_EUlS14_E_NS1_11comp_targetILNS1_3genE0ELNS1_11target_archE4294967295ELNS1_3gpuE0ELNS1_3repE0EEENS1_30default_config_static_selectorELNS0_4arch9wavefront6targetE1EEEvT1_
	.globl	_ZN7rocprim17ROCPRIM_400000_NS6detail17trampoline_kernelINS0_14default_configENS1_25partition_config_selectorILNS1_17partition_subalgoE0EsNS0_10empty_typeEbEEZZNS1_14partition_implILS5_0ELb0ES3_jN6thrust23THRUST_200600_302600_NS6detail15normal_iteratorINSA_10device_ptrIsEEEEPS6_SG_NS0_5tupleIJSF_NSA_16discard_iteratorINSA_11use_defaultEEEEEENSH_IJSG_SG_EEES6_PlJ7is_evenIsEEEE10hipError_tPvRmT3_T4_T5_T6_T7_T9_mT8_P12ihipStream_tbDpT10_ENKUlT_T0_E_clISt17integral_constantIbLb1EES19_EEDaS14_S15_EUlS14_E_NS1_11comp_targetILNS1_3genE0ELNS1_11target_archE4294967295ELNS1_3gpuE0ELNS1_3repE0EEENS1_30default_config_static_selectorELNS0_4arch9wavefront6targetE1EEEvT1_
	.p2align	8
	.type	_ZN7rocprim17ROCPRIM_400000_NS6detail17trampoline_kernelINS0_14default_configENS1_25partition_config_selectorILNS1_17partition_subalgoE0EsNS0_10empty_typeEbEEZZNS1_14partition_implILS5_0ELb0ES3_jN6thrust23THRUST_200600_302600_NS6detail15normal_iteratorINSA_10device_ptrIsEEEEPS6_SG_NS0_5tupleIJSF_NSA_16discard_iteratorINSA_11use_defaultEEEEEENSH_IJSG_SG_EEES6_PlJ7is_evenIsEEEE10hipError_tPvRmT3_T4_T5_T6_T7_T9_mT8_P12ihipStream_tbDpT10_ENKUlT_T0_E_clISt17integral_constantIbLb1EES19_EEDaS14_S15_EUlS14_E_NS1_11comp_targetILNS1_3genE0ELNS1_11target_archE4294967295ELNS1_3gpuE0ELNS1_3repE0EEENS1_30default_config_static_selectorELNS0_4arch9wavefront6targetE1EEEvT1_,@function
_ZN7rocprim17ROCPRIM_400000_NS6detail17trampoline_kernelINS0_14default_configENS1_25partition_config_selectorILNS1_17partition_subalgoE0EsNS0_10empty_typeEbEEZZNS1_14partition_implILS5_0ELb0ES3_jN6thrust23THRUST_200600_302600_NS6detail15normal_iteratorINSA_10device_ptrIsEEEEPS6_SG_NS0_5tupleIJSF_NSA_16discard_iteratorINSA_11use_defaultEEEEEENSH_IJSG_SG_EEES6_PlJ7is_evenIsEEEE10hipError_tPvRmT3_T4_T5_T6_T7_T9_mT8_P12ihipStream_tbDpT10_ENKUlT_T0_E_clISt17integral_constantIbLb1EES19_EEDaS14_S15_EUlS14_E_NS1_11comp_targetILNS1_3genE0ELNS1_11target_archE4294967295ELNS1_3gpuE0ELNS1_3repE0EEENS1_30default_config_static_selectorELNS0_4arch9wavefront6targetE1EEEvT1_: ; @_ZN7rocprim17ROCPRIM_400000_NS6detail17trampoline_kernelINS0_14default_configENS1_25partition_config_selectorILNS1_17partition_subalgoE0EsNS0_10empty_typeEbEEZZNS1_14partition_implILS5_0ELb0ES3_jN6thrust23THRUST_200600_302600_NS6detail15normal_iteratorINSA_10device_ptrIsEEEEPS6_SG_NS0_5tupleIJSF_NSA_16discard_iteratorINSA_11use_defaultEEEEEENSH_IJSG_SG_EEES6_PlJ7is_evenIsEEEE10hipError_tPvRmT3_T4_T5_T6_T7_T9_mT8_P12ihipStream_tbDpT10_ENKUlT_T0_E_clISt17integral_constantIbLb1EES19_EEDaS14_S15_EUlS14_E_NS1_11comp_targetILNS1_3genE0ELNS1_11target_archE4294967295ELNS1_3gpuE0ELNS1_3repE0EEENS1_30default_config_static_selectorELNS0_4arch9wavefront6targetE1EEEvT1_
; %bb.0:
	.section	.rodata,"a",@progbits
	.p2align	6, 0x0
	.amdhsa_kernel _ZN7rocprim17ROCPRIM_400000_NS6detail17trampoline_kernelINS0_14default_configENS1_25partition_config_selectorILNS1_17partition_subalgoE0EsNS0_10empty_typeEbEEZZNS1_14partition_implILS5_0ELb0ES3_jN6thrust23THRUST_200600_302600_NS6detail15normal_iteratorINSA_10device_ptrIsEEEEPS6_SG_NS0_5tupleIJSF_NSA_16discard_iteratorINSA_11use_defaultEEEEEENSH_IJSG_SG_EEES6_PlJ7is_evenIsEEEE10hipError_tPvRmT3_T4_T5_T6_T7_T9_mT8_P12ihipStream_tbDpT10_ENKUlT_T0_E_clISt17integral_constantIbLb1EES19_EEDaS14_S15_EUlS14_E_NS1_11comp_targetILNS1_3genE0ELNS1_11target_archE4294967295ELNS1_3gpuE0ELNS1_3repE0EEENS1_30default_config_static_selectorELNS0_4arch9wavefront6targetE1EEEvT1_
		.amdhsa_group_segment_fixed_size 0
		.amdhsa_private_segment_fixed_size 0
		.amdhsa_kernarg_size 144
		.amdhsa_user_sgpr_count 6
		.amdhsa_user_sgpr_private_segment_buffer 1
		.amdhsa_user_sgpr_dispatch_ptr 0
		.amdhsa_user_sgpr_queue_ptr 0
		.amdhsa_user_sgpr_kernarg_segment_ptr 1
		.amdhsa_user_sgpr_dispatch_id 0
		.amdhsa_user_sgpr_flat_scratch_init 0
		.amdhsa_user_sgpr_kernarg_preload_length 0
		.amdhsa_user_sgpr_kernarg_preload_offset 0
		.amdhsa_user_sgpr_private_segment_size 0
		.amdhsa_uses_dynamic_stack 0
		.amdhsa_system_sgpr_private_segment_wavefront_offset 0
		.amdhsa_system_sgpr_workgroup_id_x 1
		.amdhsa_system_sgpr_workgroup_id_y 0
		.amdhsa_system_sgpr_workgroup_id_z 0
		.amdhsa_system_sgpr_workgroup_info 0
		.amdhsa_system_vgpr_workitem_id 0
		.amdhsa_next_free_vgpr 1
		.amdhsa_next_free_sgpr 0
		.amdhsa_accum_offset 4
		.amdhsa_reserve_vcc 0
		.amdhsa_reserve_flat_scratch 0
		.amdhsa_float_round_mode_32 0
		.amdhsa_float_round_mode_16_64 0
		.amdhsa_float_denorm_mode_32 3
		.amdhsa_float_denorm_mode_16_64 3
		.amdhsa_dx10_clamp 1
		.amdhsa_ieee_mode 1
		.amdhsa_fp16_overflow 0
		.amdhsa_tg_split 0
		.amdhsa_exception_fp_ieee_invalid_op 0
		.amdhsa_exception_fp_denorm_src 0
		.amdhsa_exception_fp_ieee_div_zero 0
		.amdhsa_exception_fp_ieee_overflow 0
		.amdhsa_exception_fp_ieee_underflow 0
		.amdhsa_exception_fp_ieee_inexact 0
		.amdhsa_exception_int_div_zero 0
	.end_amdhsa_kernel
	.section	.text._ZN7rocprim17ROCPRIM_400000_NS6detail17trampoline_kernelINS0_14default_configENS1_25partition_config_selectorILNS1_17partition_subalgoE0EsNS0_10empty_typeEbEEZZNS1_14partition_implILS5_0ELb0ES3_jN6thrust23THRUST_200600_302600_NS6detail15normal_iteratorINSA_10device_ptrIsEEEEPS6_SG_NS0_5tupleIJSF_NSA_16discard_iteratorINSA_11use_defaultEEEEEENSH_IJSG_SG_EEES6_PlJ7is_evenIsEEEE10hipError_tPvRmT3_T4_T5_T6_T7_T9_mT8_P12ihipStream_tbDpT10_ENKUlT_T0_E_clISt17integral_constantIbLb1EES19_EEDaS14_S15_EUlS14_E_NS1_11comp_targetILNS1_3genE0ELNS1_11target_archE4294967295ELNS1_3gpuE0ELNS1_3repE0EEENS1_30default_config_static_selectorELNS0_4arch9wavefront6targetE1EEEvT1_,"axG",@progbits,_ZN7rocprim17ROCPRIM_400000_NS6detail17trampoline_kernelINS0_14default_configENS1_25partition_config_selectorILNS1_17partition_subalgoE0EsNS0_10empty_typeEbEEZZNS1_14partition_implILS5_0ELb0ES3_jN6thrust23THRUST_200600_302600_NS6detail15normal_iteratorINSA_10device_ptrIsEEEEPS6_SG_NS0_5tupleIJSF_NSA_16discard_iteratorINSA_11use_defaultEEEEEENSH_IJSG_SG_EEES6_PlJ7is_evenIsEEEE10hipError_tPvRmT3_T4_T5_T6_T7_T9_mT8_P12ihipStream_tbDpT10_ENKUlT_T0_E_clISt17integral_constantIbLb1EES19_EEDaS14_S15_EUlS14_E_NS1_11comp_targetILNS1_3genE0ELNS1_11target_archE4294967295ELNS1_3gpuE0ELNS1_3repE0EEENS1_30default_config_static_selectorELNS0_4arch9wavefront6targetE1EEEvT1_,comdat
.Lfunc_end2819:
	.size	_ZN7rocprim17ROCPRIM_400000_NS6detail17trampoline_kernelINS0_14default_configENS1_25partition_config_selectorILNS1_17partition_subalgoE0EsNS0_10empty_typeEbEEZZNS1_14partition_implILS5_0ELb0ES3_jN6thrust23THRUST_200600_302600_NS6detail15normal_iteratorINSA_10device_ptrIsEEEEPS6_SG_NS0_5tupleIJSF_NSA_16discard_iteratorINSA_11use_defaultEEEEEENSH_IJSG_SG_EEES6_PlJ7is_evenIsEEEE10hipError_tPvRmT3_T4_T5_T6_T7_T9_mT8_P12ihipStream_tbDpT10_ENKUlT_T0_E_clISt17integral_constantIbLb1EES19_EEDaS14_S15_EUlS14_E_NS1_11comp_targetILNS1_3genE0ELNS1_11target_archE4294967295ELNS1_3gpuE0ELNS1_3repE0EEENS1_30default_config_static_selectorELNS0_4arch9wavefront6targetE1EEEvT1_, .Lfunc_end2819-_ZN7rocprim17ROCPRIM_400000_NS6detail17trampoline_kernelINS0_14default_configENS1_25partition_config_selectorILNS1_17partition_subalgoE0EsNS0_10empty_typeEbEEZZNS1_14partition_implILS5_0ELb0ES3_jN6thrust23THRUST_200600_302600_NS6detail15normal_iteratorINSA_10device_ptrIsEEEEPS6_SG_NS0_5tupleIJSF_NSA_16discard_iteratorINSA_11use_defaultEEEEEENSH_IJSG_SG_EEES6_PlJ7is_evenIsEEEE10hipError_tPvRmT3_T4_T5_T6_T7_T9_mT8_P12ihipStream_tbDpT10_ENKUlT_T0_E_clISt17integral_constantIbLb1EES19_EEDaS14_S15_EUlS14_E_NS1_11comp_targetILNS1_3genE0ELNS1_11target_archE4294967295ELNS1_3gpuE0ELNS1_3repE0EEENS1_30default_config_static_selectorELNS0_4arch9wavefront6targetE1EEEvT1_
                                        ; -- End function
	.section	.AMDGPU.csdata,"",@progbits
; Kernel info:
; codeLenInByte = 0
; NumSgprs: 4
; NumVgprs: 0
; NumAgprs: 0
; TotalNumVgprs: 0
; ScratchSize: 0
; MemoryBound: 0
; FloatMode: 240
; IeeeMode: 1
; LDSByteSize: 0 bytes/workgroup (compile time only)
; SGPRBlocks: 0
; VGPRBlocks: 0
; NumSGPRsForWavesPerEU: 4
; NumVGPRsForWavesPerEU: 1
; AccumOffset: 4
; Occupancy: 8
; WaveLimiterHint : 0
; COMPUTE_PGM_RSRC2:SCRATCH_EN: 0
; COMPUTE_PGM_RSRC2:USER_SGPR: 6
; COMPUTE_PGM_RSRC2:TRAP_HANDLER: 0
; COMPUTE_PGM_RSRC2:TGID_X_EN: 1
; COMPUTE_PGM_RSRC2:TGID_Y_EN: 0
; COMPUTE_PGM_RSRC2:TGID_Z_EN: 0
; COMPUTE_PGM_RSRC2:TIDIG_COMP_CNT: 0
; COMPUTE_PGM_RSRC3_GFX90A:ACCUM_OFFSET: 0
; COMPUTE_PGM_RSRC3_GFX90A:TG_SPLIT: 0
	.section	.text._ZN7rocprim17ROCPRIM_400000_NS6detail17trampoline_kernelINS0_14default_configENS1_25partition_config_selectorILNS1_17partition_subalgoE0EsNS0_10empty_typeEbEEZZNS1_14partition_implILS5_0ELb0ES3_jN6thrust23THRUST_200600_302600_NS6detail15normal_iteratorINSA_10device_ptrIsEEEEPS6_SG_NS0_5tupleIJSF_NSA_16discard_iteratorINSA_11use_defaultEEEEEENSH_IJSG_SG_EEES6_PlJ7is_evenIsEEEE10hipError_tPvRmT3_T4_T5_T6_T7_T9_mT8_P12ihipStream_tbDpT10_ENKUlT_T0_E_clISt17integral_constantIbLb1EES19_EEDaS14_S15_EUlS14_E_NS1_11comp_targetILNS1_3genE5ELNS1_11target_archE942ELNS1_3gpuE9ELNS1_3repE0EEENS1_30default_config_static_selectorELNS0_4arch9wavefront6targetE1EEEvT1_,"axG",@progbits,_ZN7rocprim17ROCPRIM_400000_NS6detail17trampoline_kernelINS0_14default_configENS1_25partition_config_selectorILNS1_17partition_subalgoE0EsNS0_10empty_typeEbEEZZNS1_14partition_implILS5_0ELb0ES3_jN6thrust23THRUST_200600_302600_NS6detail15normal_iteratorINSA_10device_ptrIsEEEEPS6_SG_NS0_5tupleIJSF_NSA_16discard_iteratorINSA_11use_defaultEEEEEENSH_IJSG_SG_EEES6_PlJ7is_evenIsEEEE10hipError_tPvRmT3_T4_T5_T6_T7_T9_mT8_P12ihipStream_tbDpT10_ENKUlT_T0_E_clISt17integral_constantIbLb1EES19_EEDaS14_S15_EUlS14_E_NS1_11comp_targetILNS1_3genE5ELNS1_11target_archE942ELNS1_3gpuE9ELNS1_3repE0EEENS1_30default_config_static_selectorELNS0_4arch9wavefront6targetE1EEEvT1_,comdat
	.protected	_ZN7rocprim17ROCPRIM_400000_NS6detail17trampoline_kernelINS0_14default_configENS1_25partition_config_selectorILNS1_17partition_subalgoE0EsNS0_10empty_typeEbEEZZNS1_14partition_implILS5_0ELb0ES3_jN6thrust23THRUST_200600_302600_NS6detail15normal_iteratorINSA_10device_ptrIsEEEEPS6_SG_NS0_5tupleIJSF_NSA_16discard_iteratorINSA_11use_defaultEEEEEENSH_IJSG_SG_EEES6_PlJ7is_evenIsEEEE10hipError_tPvRmT3_T4_T5_T6_T7_T9_mT8_P12ihipStream_tbDpT10_ENKUlT_T0_E_clISt17integral_constantIbLb1EES19_EEDaS14_S15_EUlS14_E_NS1_11comp_targetILNS1_3genE5ELNS1_11target_archE942ELNS1_3gpuE9ELNS1_3repE0EEENS1_30default_config_static_selectorELNS0_4arch9wavefront6targetE1EEEvT1_ ; -- Begin function _ZN7rocprim17ROCPRIM_400000_NS6detail17trampoline_kernelINS0_14default_configENS1_25partition_config_selectorILNS1_17partition_subalgoE0EsNS0_10empty_typeEbEEZZNS1_14partition_implILS5_0ELb0ES3_jN6thrust23THRUST_200600_302600_NS6detail15normal_iteratorINSA_10device_ptrIsEEEEPS6_SG_NS0_5tupleIJSF_NSA_16discard_iteratorINSA_11use_defaultEEEEEENSH_IJSG_SG_EEES6_PlJ7is_evenIsEEEE10hipError_tPvRmT3_T4_T5_T6_T7_T9_mT8_P12ihipStream_tbDpT10_ENKUlT_T0_E_clISt17integral_constantIbLb1EES19_EEDaS14_S15_EUlS14_E_NS1_11comp_targetILNS1_3genE5ELNS1_11target_archE942ELNS1_3gpuE9ELNS1_3repE0EEENS1_30default_config_static_selectorELNS0_4arch9wavefront6targetE1EEEvT1_
	.globl	_ZN7rocprim17ROCPRIM_400000_NS6detail17trampoline_kernelINS0_14default_configENS1_25partition_config_selectorILNS1_17partition_subalgoE0EsNS0_10empty_typeEbEEZZNS1_14partition_implILS5_0ELb0ES3_jN6thrust23THRUST_200600_302600_NS6detail15normal_iteratorINSA_10device_ptrIsEEEEPS6_SG_NS0_5tupleIJSF_NSA_16discard_iteratorINSA_11use_defaultEEEEEENSH_IJSG_SG_EEES6_PlJ7is_evenIsEEEE10hipError_tPvRmT3_T4_T5_T6_T7_T9_mT8_P12ihipStream_tbDpT10_ENKUlT_T0_E_clISt17integral_constantIbLb1EES19_EEDaS14_S15_EUlS14_E_NS1_11comp_targetILNS1_3genE5ELNS1_11target_archE942ELNS1_3gpuE9ELNS1_3repE0EEENS1_30default_config_static_selectorELNS0_4arch9wavefront6targetE1EEEvT1_
	.p2align	8
	.type	_ZN7rocprim17ROCPRIM_400000_NS6detail17trampoline_kernelINS0_14default_configENS1_25partition_config_selectorILNS1_17partition_subalgoE0EsNS0_10empty_typeEbEEZZNS1_14partition_implILS5_0ELb0ES3_jN6thrust23THRUST_200600_302600_NS6detail15normal_iteratorINSA_10device_ptrIsEEEEPS6_SG_NS0_5tupleIJSF_NSA_16discard_iteratorINSA_11use_defaultEEEEEENSH_IJSG_SG_EEES6_PlJ7is_evenIsEEEE10hipError_tPvRmT3_T4_T5_T6_T7_T9_mT8_P12ihipStream_tbDpT10_ENKUlT_T0_E_clISt17integral_constantIbLb1EES19_EEDaS14_S15_EUlS14_E_NS1_11comp_targetILNS1_3genE5ELNS1_11target_archE942ELNS1_3gpuE9ELNS1_3repE0EEENS1_30default_config_static_selectorELNS0_4arch9wavefront6targetE1EEEvT1_,@function
_ZN7rocprim17ROCPRIM_400000_NS6detail17trampoline_kernelINS0_14default_configENS1_25partition_config_selectorILNS1_17partition_subalgoE0EsNS0_10empty_typeEbEEZZNS1_14partition_implILS5_0ELb0ES3_jN6thrust23THRUST_200600_302600_NS6detail15normal_iteratorINSA_10device_ptrIsEEEEPS6_SG_NS0_5tupleIJSF_NSA_16discard_iteratorINSA_11use_defaultEEEEEENSH_IJSG_SG_EEES6_PlJ7is_evenIsEEEE10hipError_tPvRmT3_T4_T5_T6_T7_T9_mT8_P12ihipStream_tbDpT10_ENKUlT_T0_E_clISt17integral_constantIbLb1EES19_EEDaS14_S15_EUlS14_E_NS1_11comp_targetILNS1_3genE5ELNS1_11target_archE942ELNS1_3gpuE9ELNS1_3repE0EEENS1_30default_config_static_selectorELNS0_4arch9wavefront6targetE1EEEvT1_: ; @_ZN7rocprim17ROCPRIM_400000_NS6detail17trampoline_kernelINS0_14default_configENS1_25partition_config_selectorILNS1_17partition_subalgoE0EsNS0_10empty_typeEbEEZZNS1_14partition_implILS5_0ELb0ES3_jN6thrust23THRUST_200600_302600_NS6detail15normal_iteratorINSA_10device_ptrIsEEEEPS6_SG_NS0_5tupleIJSF_NSA_16discard_iteratorINSA_11use_defaultEEEEEENSH_IJSG_SG_EEES6_PlJ7is_evenIsEEEE10hipError_tPvRmT3_T4_T5_T6_T7_T9_mT8_P12ihipStream_tbDpT10_ENKUlT_T0_E_clISt17integral_constantIbLb1EES19_EEDaS14_S15_EUlS14_E_NS1_11comp_targetILNS1_3genE5ELNS1_11target_archE942ELNS1_3gpuE9ELNS1_3repE0EEENS1_30default_config_static_selectorELNS0_4arch9wavefront6targetE1EEEvT1_
; %bb.0:
	.section	.rodata,"a",@progbits
	.p2align	6, 0x0
	.amdhsa_kernel _ZN7rocprim17ROCPRIM_400000_NS6detail17trampoline_kernelINS0_14default_configENS1_25partition_config_selectorILNS1_17partition_subalgoE0EsNS0_10empty_typeEbEEZZNS1_14partition_implILS5_0ELb0ES3_jN6thrust23THRUST_200600_302600_NS6detail15normal_iteratorINSA_10device_ptrIsEEEEPS6_SG_NS0_5tupleIJSF_NSA_16discard_iteratorINSA_11use_defaultEEEEEENSH_IJSG_SG_EEES6_PlJ7is_evenIsEEEE10hipError_tPvRmT3_T4_T5_T6_T7_T9_mT8_P12ihipStream_tbDpT10_ENKUlT_T0_E_clISt17integral_constantIbLb1EES19_EEDaS14_S15_EUlS14_E_NS1_11comp_targetILNS1_3genE5ELNS1_11target_archE942ELNS1_3gpuE9ELNS1_3repE0EEENS1_30default_config_static_selectorELNS0_4arch9wavefront6targetE1EEEvT1_
		.amdhsa_group_segment_fixed_size 0
		.amdhsa_private_segment_fixed_size 0
		.amdhsa_kernarg_size 144
		.amdhsa_user_sgpr_count 6
		.amdhsa_user_sgpr_private_segment_buffer 1
		.amdhsa_user_sgpr_dispatch_ptr 0
		.amdhsa_user_sgpr_queue_ptr 0
		.amdhsa_user_sgpr_kernarg_segment_ptr 1
		.amdhsa_user_sgpr_dispatch_id 0
		.amdhsa_user_sgpr_flat_scratch_init 0
		.amdhsa_user_sgpr_kernarg_preload_length 0
		.amdhsa_user_sgpr_kernarg_preload_offset 0
		.amdhsa_user_sgpr_private_segment_size 0
		.amdhsa_uses_dynamic_stack 0
		.amdhsa_system_sgpr_private_segment_wavefront_offset 0
		.amdhsa_system_sgpr_workgroup_id_x 1
		.amdhsa_system_sgpr_workgroup_id_y 0
		.amdhsa_system_sgpr_workgroup_id_z 0
		.amdhsa_system_sgpr_workgroup_info 0
		.amdhsa_system_vgpr_workitem_id 0
		.amdhsa_next_free_vgpr 1
		.amdhsa_next_free_sgpr 0
		.amdhsa_accum_offset 4
		.amdhsa_reserve_vcc 0
		.amdhsa_reserve_flat_scratch 0
		.amdhsa_float_round_mode_32 0
		.amdhsa_float_round_mode_16_64 0
		.amdhsa_float_denorm_mode_32 3
		.amdhsa_float_denorm_mode_16_64 3
		.amdhsa_dx10_clamp 1
		.amdhsa_ieee_mode 1
		.amdhsa_fp16_overflow 0
		.amdhsa_tg_split 0
		.amdhsa_exception_fp_ieee_invalid_op 0
		.amdhsa_exception_fp_denorm_src 0
		.amdhsa_exception_fp_ieee_div_zero 0
		.amdhsa_exception_fp_ieee_overflow 0
		.amdhsa_exception_fp_ieee_underflow 0
		.amdhsa_exception_fp_ieee_inexact 0
		.amdhsa_exception_int_div_zero 0
	.end_amdhsa_kernel
	.section	.text._ZN7rocprim17ROCPRIM_400000_NS6detail17trampoline_kernelINS0_14default_configENS1_25partition_config_selectorILNS1_17partition_subalgoE0EsNS0_10empty_typeEbEEZZNS1_14partition_implILS5_0ELb0ES3_jN6thrust23THRUST_200600_302600_NS6detail15normal_iteratorINSA_10device_ptrIsEEEEPS6_SG_NS0_5tupleIJSF_NSA_16discard_iteratorINSA_11use_defaultEEEEEENSH_IJSG_SG_EEES6_PlJ7is_evenIsEEEE10hipError_tPvRmT3_T4_T5_T6_T7_T9_mT8_P12ihipStream_tbDpT10_ENKUlT_T0_E_clISt17integral_constantIbLb1EES19_EEDaS14_S15_EUlS14_E_NS1_11comp_targetILNS1_3genE5ELNS1_11target_archE942ELNS1_3gpuE9ELNS1_3repE0EEENS1_30default_config_static_selectorELNS0_4arch9wavefront6targetE1EEEvT1_,"axG",@progbits,_ZN7rocprim17ROCPRIM_400000_NS6detail17trampoline_kernelINS0_14default_configENS1_25partition_config_selectorILNS1_17partition_subalgoE0EsNS0_10empty_typeEbEEZZNS1_14partition_implILS5_0ELb0ES3_jN6thrust23THRUST_200600_302600_NS6detail15normal_iteratorINSA_10device_ptrIsEEEEPS6_SG_NS0_5tupleIJSF_NSA_16discard_iteratorINSA_11use_defaultEEEEEENSH_IJSG_SG_EEES6_PlJ7is_evenIsEEEE10hipError_tPvRmT3_T4_T5_T6_T7_T9_mT8_P12ihipStream_tbDpT10_ENKUlT_T0_E_clISt17integral_constantIbLb1EES19_EEDaS14_S15_EUlS14_E_NS1_11comp_targetILNS1_3genE5ELNS1_11target_archE942ELNS1_3gpuE9ELNS1_3repE0EEENS1_30default_config_static_selectorELNS0_4arch9wavefront6targetE1EEEvT1_,comdat
.Lfunc_end2820:
	.size	_ZN7rocprim17ROCPRIM_400000_NS6detail17trampoline_kernelINS0_14default_configENS1_25partition_config_selectorILNS1_17partition_subalgoE0EsNS0_10empty_typeEbEEZZNS1_14partition_implILS5_0ELb0ES3_jN6thrust23THRUST_200600_302600_NS6detail15normal_iteratorINSA_10device_ptrIsEEEEPS6_SG_NS0_5tupleIJSF_NSA_16discard_iteratorINSA_11use_defaultEEEEEENSH_IJSG_SG_EEES6_PlJ7is_evenIsEEEE10hipError_tPvRmT3_T4_T5_T6_T7_T9_mT8_P12ihipStream_tbDpT10_ENKUlT_T0_E_clISt17integral_constantIbLb1EES19_EEDaS14_S15_EUlS14_E_NS1_11comp_targetILNS1_3genE5ELNS1_11target_archE942ELNS1_3gpuE9ELNS1_3repE0EEENS1_30default_config_static_selectorELNS0_4arch9wavefront6targetE1EEEvT1_, .Lfunc_end2820-_ZN7rocprim17ROCPRIM_400000_NS6detail17trampoline_kernelINS0_14default_configENS1_25partition_config_selectorILNS1_17partition_subalgoE0EsNS0_10empty_typeEbEEZZNS1_14partition_implILS5_0ELb0ES3_jN6thrust23THRUST_200600_302600_NS6detail15normal_iteratorINSA_10device_ptrIsEEEEPS6_SG_NS0_5tupleIJSF_NSA_16discard_iteratorINSA_11use_defaultEEEEEENSH_IJSG_SG_EEES6_PlJ7is_evenIsEEEE10hipError_tPvRmT3_T4_T5_T6_T7_T9_mT8_P12ihipStream_tbDpT10_ENKUlT_T0_E_clISt17integral_constantIbLb1EES19_EEDaS14_S15_EUlS14_E_NS1_11comp_targetILNS1_3genE5ELNS1_11target_archE942ELNS1_3gpuE9ELNS1_3repE0EEENS1_30default_config_static_selectorELNS0_4arch9wavefront6targetE1EEEvT1_
                                        ; -- End function
	.section	.AMDGPU.csdata,"",@progbits
; Kernel info:
; codeLenInByte = 0
; NumSgprs: 4
; NumVgprs: 0
; NumAgprs: 0
; TotalNumVgprs: 0
; ScratchSize: 0
; MemoryBound: 0
; FloatMode: 240
; IeeeMode: 1
; LDSByteSize: 0 bytes/workgroup (compile time only)
; SGPRBlocks: 0
; VGPRBlocks: 0
; NumSGPRsForWavesPerEU: 4
; NumVGPRsForWavesPerEU: 1
; AccumOffset: 4
; Occupancy: 8
; WaveLimiterHint : 0
; COMPUTE_PGM_RSRC2:SCRATCH_EN: 0
; COMPUTE_PGM_RSRC2:USER_SGPR: 6
; COMPUTE_PGM_RSRC2:TRAP_HANDLER: 0
; COMPUTE_PGM_RSRC2:TGID_X_EN: 1
; COMPUTE_PGM_RSRC2:TGID_Y_EN: 0
; COMPUTE_PGM_RSRC2:TGID_Z_EN: 0
; COMPUTE_PGM_RSRC2:TIDIG_COMP_CNT: 0
; COMPUTE_PGM_RSRC3_GFX90A:ACCUM_OFFSET: 0
; COMPUTE_PGM_RSRC3_GFX90A:TG_SPLIT: 0
	.section	.text._ZN7rocprim17ROCPRIM_400000_NS6detail17trampoline_kernelINS0_14default_configENS1_25partition_config_selectorILNS1_17partition_subalgoE0EsNS0_10empty_typeEbEEZZNS1_14partition_implILS5_0ELb0ES3_jN6thrust23THRUST_200600_302600_NS6detail15normal_iteratorINSA_10device_ptrIsEEEEPS6_SG_NS0_5tupleIJSF_NSA_16discard_iteratorINSA_11use_defaultEEEEEENSH_IJSG_SG_EEES6_PlJ7is_evenIsEEEE10hipError_tPvRmT3_T4_T5_T6_T7_T9_mT8_P12ihipStream_tbDpT10_ENKUlT_T0_E_clISt17integral_constantIbLb1EES19_EEDaS14_S15_EUlS14_E_NS1_11comp_targetILNS1_3genE4ELNS1_11target_archE910ELNS1_3gpuE8ELNS1_3repE0EEENS1_30default_config_static_selectorELNS0_4arch9wavefront6targetE1EEEvT1_,"axG",@progbits,_ZN7rocprim17ROCPRIM_400000_NS6detail17trampoline_kernelINS0_14default_configENS1_25partition_config_selectorILNS1_17partition_subalgoE0EsNS0_10empty_typeEbEEZZNS1_14partition_implILS5_0ELb0ES3_jN6thrust23THRUST_200600_302600_NS6detail15normal_iteratorINSA_10device_ptrIsEEEEPS6_SG_NS0_5tupleIJSF_NSA_16discard_iteratorINSA_11use_defaultEEEEEENSH_IJSG_SG_EEES6_PlJ7is_evenIsEEEE10hipError_tPvRmT3_T4_T5_T6_T7_T9_mT8_P12ihipStream_tbDpT10_ENKUlT_T0_E_clISt17integral_constantIbLb1EES19_EEDaS14_S15_EUlS14_E_NS1_11comp_targetILNS1_3genE4ELNS1_11target_archE910ELNS1_3gpuE8ELNS1_3repE0EEENS1_30default_config_static_selectorELNS0_4arch9wavefront6targetE1EEEvT1_,comdat
	.protected	_ZN7rocprim17ROCPRIM_400000_NS6detail17trampoline_kernelINS0_14default_configENS1_25partition_config_selectorILNS1_17partition_subalgoE0EsNS0_10empty_typeEbEEZZNS1_14partition_implILS5_0ELb0ES3_jN6thrust23THRUST_200600_302600_NS6detail15normal_iteratorINSA_10device_ptrIsEEEEPS6_SG_NS0_5tupleIJSF_NSA_16discard_iteratorINSA_11use_defaultEEEEEENSH_IJSG_SG_EEES6_PlJ7is_evenIsEEEE10hipError_tPvRmT3_T4_T5_T6_T7_T9_mT8_P12ihipStream_tbDpT10_ENKUlT_T0_E_clISt17integral_constantIbLb1EES19_EEDaS14_S15_EUlS14_E_NS1_11comp_targetILNS1_3genE4ELNS1_11target_archE910ELNS1_3gpuE8ELNS1_3repE0EEENS1_30default_config_static_selectorELNS0_4arch9wavefront6targetE1EEEvT1_ ; -- Begin function _ZN7rocprim17ROCPRIM_400000_NS6detail17trampoline_kernelINS0_14default_configENS1_25partition_config_selectorILNS1_17partition_subalgoE0EsNS0_10empty_typeEbEEZZNS1_14partition_implILS5_0ELb0ES3_jN6thrust23THRUST_200600_302600_NS6detail15normal_iteratorINSA_10device_ptrIsEEEEPS6_SG_NS0_5tupleIJSF_NSA_16discard_iteratorINSA_11use_defaultEEEEEENSH_IJSG_SG_EEES6_PlJ7is_evenIsEEEE10hipError_tPvRmT3_T4_T5_T6_T7_T9_mT8_P12ihipStream_tbDpT10_ENKUlT_T0_E_clISt17integral_constantIbLb1EES19_EEDaS14_S15_EUlS14_E_NS1_11comp_targetILNS1_3genE4ELNS1_11target_archE910ELNS1_3gpuE8ELNS1_3repE0EEENS1_30default_config_static_selectorELNS0_4arch9wavefront6targetE1EEEvT1_
	.globl	_ZN7rocprim17ROCPRIM_400000_NS6detail17trampoline_kernelINS0_14default_configENS1_25partition_config_selectorILNS1_17partition_subalgoE0EsNS0_10empty_typeEbEEZZNS1_14partition_implILS5_0ELb0ES3_jN6thrust23THRUST_200600_302600_NS6detail15normal_iteratorINSA_10device_ptrIsEEEEPS6_SG_NS0_5tupleIJSF_NSA_16discard_iteratorINSA_11use_defaultEEEEEENSH_IJSG_SG_EEES6_PlJ7is_evenIsEEEE10hipError_tPvRmT3_T4_T5_T6_T7_T9_mT8_P12ihipStream_tbDpT10_ENKUlT_T0_E_clISt17integral_constantIbLb1EES19_EEDaS14_S15_EUlS14_E_NS1_11comp_targetILNS1_3genE4ELNS1_11target_archE910ELNS1_3gpuE8ELNS1_3repE0EEENS1_30default_config_static_selectorELNS0_4arch9wavefront6targetE1EEEvT1_
	.p2align	8
	.type	_ZN7rocprim17ROCPRIM_400000_NS6detail17trampoline_kernelINS0_14default_configENS1_25partition_config_selectorILNS1_17partition_subalgoE0EsNS0_10empty_typeEbEEZZNS1_14partition_implILS5_0ELb0ES3_jN6thrust23THRUST_200600_302600_NS6detail15normal_iteratorINSA_10device_ptrIsEEEEPS6_SG_NS0_5tupleIJSF_NSA_16discard_iteratorINSA_11use_defaultEEEEEENSH_IJSG_SG_EEES6_PlJ7is_evenIsEEEE10hipError_tPvRmT3_T4_T5_T6_T7_T9_mT8_P12ihipStream_tbDpT10_ENKUlT_T0_E_clISt17integral_constantIbLb1EES19_EEDaS14_S15_EUlS14_E_NS1_11comp_targetILNS1_3genE4ELNS1_11target_archE910ELNS1_3gpuE8ELNS1_3repE0EEENS1_30default_config_static_selectorELNS0_4arch9wavefront6targetE1EEEvT1_,@function
_ZN7rocprim17ROCPRIM_400000_NS6detail17trampoline_kernelINS0_14default_configENS1_25partition_config_selectorILNS1_17partition_subalgoE0EsNS0_10empty_typeEbEEZZNS1_14partition_implILS5_0ELb0ES3_jN6thrust23THRUST_200600_302600_NS6detail15normal_iteratorINSA_10device_ptrIsEEEEPS6_SG_NS0_5tupleIJSF_NSA_16discard_iteratorINSA_11use_defaultEEEEEENSH_IJSG_SG_EEES6_PlJ7is_evenIsEEEE10hipError_tPvRmT3_T4_T5_T6_T7_T9_mT8_P12ihipStream_tbDpT10_ENKUlT_T0_E_clISt17integral_constantIbLb1EES19_EEDaS14_S15_EUlS14_E_NS1_11comp_targetILNS1_3genE4ELNS1_11target_archE910ELNS1_3gpuE8ELNS1_3repE0EEENS1_30default_config_static_selectorELNS0_4arch9wavefront6targetE1EEEvT1_: ; @_ZN7rocprim17ROCPRIM_400000_NS6detail17trampoline_kernelINS0_14default_configENS1_25partition_config_selectorILNS1_17partition_subalgoE0EsNS0_10empty_typeEbEEZZNS1_14partition_implILS5_0ELb0ES3_jN6thrust23THRUST_200600_302600_NS6detail15normal_iteratorINSA_10device_ptrIsEEEEPS6_SG_NS0_5tupleIJSF_NSA_16discard_iteratorINSA_11use_defaultEEEEEENSH_IJSG_SG_EEES6_PlJ7is_evenIsEEEE10hipError_tPvRmT3_T4_T5_T6_T7_T9_mT8_P12ihipStream_tbDpT10_ENKUlT_T0_E_clISt17integral_constantIbLb1EES19_EEDaS14_S15_EUlS14_E_NS1_11comp_targetILNS1_3genE4ELNS1_11target_archE910ELNS1_3gpuE8ELNS1_3repE0EEENS1_30default_config_static_selectorELNS0_4arch9wavefront6targetE1EEEvT1_
; %bb.0:
	s_load_dwordx2 s[24:25], s[4:5], 0x28
	s_load_dwordx4 s[20:23], s[4:5], 0x50
	s_load_dwordx2 s[2:3], s[4:5], 0x60
	s_load_dwordx2 s[26:27], s[4:5], 0x70
	v_cmp_eq_u32_e64 s[0:1], 0, v0
	s_and_saveexec_b64 s[6:7], s[0:1]
	s_cbranch_execz .LBB2821_4
; %bb.1:
	s_mov_b64 s[10:11], exec
	v_mbcnt_lo_u32_b32 v1, s10, 0
	v_mbcnt_hi_u32_b32 v1, s11, v1
	v_cmp_eq_u32_e32 vcc, 0, v1
                                        ; implicit-def: $vgpr2
	s_and_saveexec_b64 s[8:9], vcc
	s_cbranch_execz .LBB2821_3
; %bb.2:
	s_load_dwordx2 s[12:13], s[4:5], 0x80
	s_bcnt1_i32_b64 s10, s[10:11]
	v_mov_b32_e32 v2, 0
	v_mov_b32_e32 v3, s10
	s_waitcnt lgkmcnt(0)
	global_atomic_add v2, v2, v3, s[12:13] glc
.LBB2821_3:
	s_or_b64 exec, exec, s[8:9]
	s_waitcnt vmcnt(0)
	v_readfirstlane_b32 s8, v2
	v_add_u32_e32 v1, s8, v1
	v_mov_b32_e32 v2, 0
	ds_write_b32 v2, v1
.LBB2821_4:
	s_or_b64 exec, exec, s[6:7]
	v_mov_b32_e32 v3, 0
	s_load_dwordx4 s[8:11], s[4:5], 0x8
	s_load_dword s6, s[4:5], 0x78
	s_waitcnt lgkmcnt(0)
	s_barrier
	ds_read_b32 v1, v3
	s_waitcnt lgkmcnt(0)
	s_barrier
	global_load_dwordx2 v[14:15], v3, s[22:23]
	v_mov_b32_e32 v5, s3
	s_lshl_b64 s[4:5], s[10:11], 1
	s_movk_i32 s3, 0x1c00
	s_add_u32 s7, s8, s4
	v_mul_lo_u32 v2, v1, s3
	s_mul_i32 s3, s6, 0x1c00
	s_addc_u32 s8, s9, s5
	s_add_i32 s5, s3, s10
	s_add_i32 s4, s6, -1
	s_sub_i32 s33, s2, s5
	v_mov_b32_e32 v4, s2
	s_add_u32 s2, s10, s3
	v_readfirstlane_b32 s36, v1
	s_addc_u32 s3, s11, 0
	s_cmp_eq_u32 s36, s4
	s_cselect_b64 s[22:23], -1, 0
	s_cmp_lg_u32 s36, s4
	v_cmp_lt_u64_e32 vcc, s[2:3], v[4:5]
	s_cselect_b64 s[2:3], -1, 0
	v_lshlrev_b64 v[2:3], 1, v[2:3]
	s_or_b64 s[4:5], vcc, s[2:3]
	v_mov_b32_e32 v1, s8
	v_add_co_u32_e32 v2, vcc, s7, v2
	v_addc_co_u32_e32 v3, vcc, v1, v3, vcc
	s_mov_b64 s[2:3], -1
	s_and_b64 vcc, exec, s[4:5]
	v_lshlrev_b32_e32 v1, 1, v0
	s_cbranch_vccz .LBB2821_6
; %bb.5:
	v_add_co_u32_e32 v4, vcc, v2, v1
	v_addc_co_u32_e32 v5, vcc, 0, v3, vcc
	v_add_co_u32_e32 v6, vcc, 0x1000, v4
	v_addc_co_u32_e32 v7, vcc, 0, v5, vcc
	flat_load_ushort v8, v[4:5]
	flat_load_ushort v9, v[4:5] offset:512
	flat_load_ushort v10, v[4:5] offset:1024
	;; [unrolled: 1-line block ×7, first 2 shown]
	flat_load_ushort v18, v[6:7]
	flat_load_ushort v19, v[6:7] offset:512
	flat_load_ushort v20, v[6:7] offset:1024
	;; [unrolled: 1-line block ×7, first 2 shown]
	v_add_co_u32_e32 v6, vcc, 0x2000, v4
	v_addc_co_u32_e32 v7, vcc, 0, v5, vcc
	v_add_co_u32_e32 v4, vcc, 0x3000, v4
	v_addc_co_u32_e32 v5, vcc, 0, v5, vcc
	flat_load_ushort v26, v[6:7]
	flat_load_ushort v27, v[6:7] offset:512
	flat_load_ushort v28, v[6:7] offset:1024
	;; [unrolled: 1-line block ×7, first 2 shown]
	s_nop 0
	flat_load_ushort v6, v[4:5]
	flat_load_ushort v7, v[4:5] offset:512
	flat_load_ushort v34, v[4:5] offset:1024
	;; [unrolled: 1-line block ×3, first 2 shown]
	s_mov_b64 s[2:3], 0
	s_waitcnt vmcnt(0) lgkmcnt(0)
	ds_write_b16 v1, v8
	ds_write_b16 v1, v9 offset:512
	ds_write_b16 v1, v10 offset:1024
	;; [unrolled: 1-line block ×27, first 2 shown]
	s_waitcnt lgkmcnt(0)
	s_barrier
.LBB2821_6:
	s_andn2_b64 vcc, exec, s[2:3]
	s_addk_i32 s33, 0x1c00
	s_cbranch_vccnz .LBB2821_64
; %bb.7:
	v_cmp_gt_u32_e32 vcc, s33, v0
                                        ; implicit-def: $vgpr4
	s_and_saveexec_b64 s[2:3], vcc
	s_cbranch_execz .LBB2821_9
; %bb.8:
	v_add_co_u32_e32 v4, vcc, v2, v1
	v_addc_co_u32_e32 v5, vcc, 0, v3, vcc
	flat_load_ushort v4, v[4:5]
.LBB2821_9:
	s_or_b64 exec, exec, s[2:3]
	v_or_b32_e32 v5, 0x100, v0
	v_cmp_gt_u32_e32 vcc, s33, v5
                                        ; implicit-def: $vgpr5
	s_and_saveexec_b64 s[2:3], vcc
	s_cbranch_execz .LBB2821_11
; %bb.10:
	v_add_co_u32_e32 v6, vcc, v2, v1
	v_addc_co_u32_e32 v7, vcc, 0, v3, vcc
	flat_load_ushort v5, v[6:7] offset:512
.LBB2821_11:
	s_or_b64 exec, exec, s[2:3]
	v_or_b32_e32 v6, 0x200, v0
	v_cmp_gt_u32_e32 vcc, s33, v6
                                        ; implicit-def: $vgpr6
	s_and_saveexec_b64 s[2:3], vcc
	s_cbranch_execz .LBB2821_13
; %bb.12:
	v_add_co_u32_e32 v6, vcc, v2, v1
	v_addc_co_u32_e32 v7, vcc, 0, v3, vcc
	flat_load_ushort v6, v[6:7] offset:1024
.LBB2821_13:
	s_or_b64 exec, exec, s[2:3]
	v_or_b32_e32 v7, 0x300, v0
	v_cmp_gt_u32_e32 vcc, s33, v7
                                        ; implicit-def: $vgpr7
	s_and_saveexec_b64 s[2:3], vcc
	s_cbranch_execz .LBB2821_15
; %bb.14:
	v_add_co_u32_e32 v8, vcc, v2, v1
	v_addc_co_u32_e32 v9, vcc, 0, v3, vcc
	flat_load_ushort v7, v[8:9] offset:1536
.LBB2821_15:
	s_or_b64 exec, exec, s[2:3]
	v_or_b32_e32 v8, 0x400, v0
	v_cmp_gt_u32_e32 vcc, s33, v8
                                        ; implicit-def: $vgpr8
	s_and_saveexec_b64 s[2:3], vcc
	s_cbranch_execz .LBB2821_17
; %bb.16:
	v_add_co_u32_e32 v8, vcc, v2, v1
	v_addc_co_u32_e32 v9, vcc, 0, v3, vcc
	flat_load_ushort v8, v[8:9] offset:2048
.LBB2821_17:
	s_or_b64 exec, exec, s[2:3]
	v_or_b32_e32 v9, 0x500, v0
	v_cmp_gt_u32_e32 vcc, s33, v9
                                        ; implicit-def: $vgpr9
	s_and_saveexec_b64 s[2:3], vcc
	s_cbranch_execz .LBB2821_19
; %bb.18:
	v_add_co_u32_e32 v10, vcc, v2, v1
	v_addc_co_u32_e32 v11, vcc, 0, v3, vcc
	flat_load_ushort v9, v[10:11] offset:2560
.LBB2821_19:
	s_or_b64 exec, exec, s[2:3]
	v_or_b32_e32 v10, 0x600, v0
	v_cmp_gt_u32_e32 vcc, s33, v10
                                        ; implicit-def: $vgpr10
	s_and_saveexec_b64 s[2:3], vcc
	s_cbranch_execz .LBB2821_21
; %bb.20:
	v_add_co_u32_e32 v10, vcc, v2, v1
	v_addc_co_u32_e32 v11, vcc, 0, v3, vcc
	flat_load_ushort v10, v[10:11] offset:3072
.LBB2821_21:
	s_or_b64 exec, exec, s[2:3]
	v_or_b32_e32 v11, 0x700, v0
	v_cmp_gt_u32_e32 vcc, s33, v11
                                        ; implicit-def: $vgpr11
	s_and_saveexec_b64 s[2:3], vcc
	s_cbranch_execz .LBB2821_23
; %bb.22:
	v_add_co_u32_e32 v12, vcc, v2, v1
	v_addc_co_u32_e32 v13, vcc, 0, v3, vcc
	flat_load_ushort v11, v[12:13] offset:3584
.LBB2821_23:
	s_or_b64 exec, exec, s[2:3]
	v_or_b32_e32 v13, 0x800, v0
	v_cmp_gt_u32_e32 vcc, s33, v13
                                        ; implicit-def: $vgpr12
	s_and_saveexec_b64 s[2:3], vcc
	s_cbranch_execz .LBB2821_25
; %bb.24:
	v_lshlrev_b32_e32 v12, 1, v13
	v_add_co_u32_e32 v12, vcc, v2, v12
	v_addc_co_u32_e32 v13, vcc, 0, v3, vcc
	flat_load_ushort v12, v[12:13]
.LBB2821_25:
	s_or_b64 exec, exec, s[2:3]
	v_or_b32_e32 v16, 0x900, v0
	v_cmp_gt_u32_e32 vcc, s33, v16
                                        ; implicit-def: $vgpr13
	s_and_saveexec_b64 s[2:3], vcc
	s_cbranch_execz .LBB2821_27
; %bb.26:
	v_lshlrev_b32_e32 v13, 1, v16
	v_add_co_u32_e32 v16, vcc, v2, v13
	v_addc_co_u32_e32 v17, vcc, 0, v3, vcc
	flat_load_ushort v13, v[16:17]
.LBB2821_27:
	s_or_b64 exec, exec, s[2:3]
	v_or_b32_e32 v17, 0xa00, v0
	v_cmp_gt_u32_e32 vcc, s33, v17
                                        ; implicit-def: $vgpr16
	s_and_saveexec_b64 s[2:3], vcc
	s_cbranch_execz .LBB2821_29
; %bb.28:
	v_lshlrev_b32_e32 v16, 1, v17
	v_add_co_u32_e32 v16, vcc, v2, v16
	v_addc_co_u32_e32 v17, vcc, 0, v3, vcc
	flat_load_ushort v16, v[16:17]
.LBB2821_29:
	s_or_b64 exec, exec, s[2:3]
	v_or_b32_e32 v18, 0xb00, v0
	v_cmp_gt_u32_e32 vcc, s33, v18
                                        ; implicit-def: $vgpr17
	s_and_saveexec_b64 s[2:3], vcc
	s_cbranch_execz .LBB2821_31
; %bb.30:
	v_lshlrev_b32_e32 v17, 1, v18
	v_add_co_u32_e32 v18, vcc, v2, v17
	v_addc_co_u32_e32 v19, vcc, 0, v3, vcc
	flat_load_ushort v17, v[18:19]
.LBB2821_31:
	s_or_b64 exec, exec, s[2:3]
	v_or_b32_e32 v19, 0xc00, v0
	v_cmp_gt_u32_e32 vcc, s33, v19
                                        ; implicit-def: $vgpr18
	s_and_saveexec_b64 s[2:3], vcc
	s_cbranch_execz .LBB2821_33
; %bb.32:
	v_lshlrev_b32_e32 v18, 1, v19
	v_add_co_u32_e32 v18, vcc, v2, v18
	v_addc_co_u32_e32 v19, vcc, 0, v3, vcc
	flat_load_ushort v18, v[18:19]
.LBB2821_33:
	s_or_b64 exec, exec, s[2:3]
	v_or_b32_e32 v20, 0xd00, v0
	v_cmp_gt_u32_e32 vcc, s33, v20
                                        ; implicit-def: $vgpr19
	s_and_saveexec_b64 s[2:3], vcc
	s_cbranch_execz .LBB2821_35
; %bb.34:
	v_lshlrev_b32_e32 v19, 1, v20
	v_add_co_u32_e32 v20, vcc, v2, v19
	v_addc_co_u32_e32 v21, vcc, 0, v3, vcc
	flat_load_ushort v19, v[20:21]
.LBB2821_35:
	s_or_b64 exec, exec, s[2:3]
	v_or_b32_e32 v21, 0xe00, v0
	v_cmp_gt_u32_e32 vcc, s33, v21
                                        ; implicit-def: $vgpr20
	s_and_saveexec_b64 s[2:3], vcc
	s_cbranch_execz .LBB2821_37
; %bb.36:
	v_lshlrev_b32_e32 v20, 1, v21
	v_add_co_u32_e32 v20, vcc, v2, v20
	v_addc_co_u32_e32 v21, vcc, 0, v3, vcc
	flat_load_ushort v20, v[20:21]
.LBB2821_37:
	s_or_b64 exec, exec, s[2:3]
	v_or_b32_e32 v22, 0xf00, v0
	v_cmp_gt_u32_e32 vcc, s33, v22
                                        ; implicit-def: $vgpr21
	s_and_saveexec_b64 s[2:3], vcc
	s_cbranch_execz .LBB2821_39
; %bb.38:
	v_lshlrev_b32_e32 v21, 1, v22
	v_add_co_u32_e32 v22, vcc, v2, v21
	v_addc_co_u32_e32 v23, vcc, 0, v3, vcc
	flat_load_ushort v21, v[22:23]
.LBB2821_39:
	s_or_b64 exec, exec, s[2:3]
	v_or_b32_e32 v23, 0x1000, v0
	v_cmp_gt_u32_e32 vcc, s33, v23
                                        ; implicit-def: $vgpr22
	s_and_saveexec_b64 s[2:3], vcc
	s_cbranch_execz .LBB2821_41
; %bb.40:
	v_lshlrev_b32_e32 v22, 1, v23
	v_add_co_u32_e32 v22, vcc, v2, v22
	v_addc_co_u32_e32 v23, vcc, 0, v3, vcc
	flat_load_ushort v22, v[22:23]
.LBB2821_41:
	s_or_b64 exec, exec, s[2:3]
	v_or_b32_e32 v24, 0x1100, v0
	v_cmp_gt_u32_e32 vcc, s33, v24
                                        ; implicit-def: $vgpr23
	s_and_saveexec_b64 s[2:3], vcc
	s_cbranch_execz .LBB2821_43
; %bb.42:
	v_lshlrev_b32_e32 v23, 1, v24
	v_add_co_u32_e32 v24, vcc, v2, v23
	v_addc_co_u32_e32 v25, vcc, 0, v3, vcc
	flat_load_ushort v23, v[24:25]
.LBB2821_43:
	s_or_b64 exec, exec, s[2:3]
	v_or_b32_e32 v25, 0x1200, v0
	v_cmp_gt_u32_e32 vcc, s33, v25
                                        ; implicit-def: $vgpr24
	s_and_saveexec_b64 s[2:3], vcc
	s_cbranch_execz .LBB2821_45
; %bb.44:
	v_lshlrev_b32_e32 v24, 1, v25
	v_add_co_u32_e32 v24, vcc, v2, v24
	v_addc_co_u32_e32 v25, vcc, 0, v3, vcc
	flat_load_ushort v24, v[24:25]
.LBB2821_45:
	s_or_b64 exec, exec, s[2:3]
	v_or_b32_e32 v26, 0x1300, v0
	v_cmp_gt_u32_e32 vcc, s33, v26
                                        ; implicit-def: $vgpr25
	s_and_saveexec_b64 s[2:3], vcc
	s_cbranch_execz .LBB2821_47
; %bb.46:
	v_lshlrev_b32_e32 v25, 1, v26
	v_add_co_u32_e32 v26, vcc, v2, v25
	v_addc_co_u32_e32 v27, vcc, 0, v3, vcc
	flat_load_ushort v25, v[26:27]
.LBB2821_47:
	s_or_b64 exec, exec, s[2:3]
	v_or_b32_e32 v27, 0x1400, v0
	v_cmp_gt_u32_e32 vcc, s33, v27
                                        ; implicit-def: $vgpr26
	s_and_saveexec_b64 s[2:3], vcc
	s_cbranch_execz .LBB2821_49
; %bb.48:
	v_lshlrev_b32_e32 v26, 1, v27
	v_add_co_u32_e32 v26, vcc, v2, v26
	v_addc_co_u32_e32 v27, vcc, 0, v3, vcc
	flat_load_ushort v26, v[26:27]
.LBB2821_49:
	s_or_b64 exec, exec, s[2:3]
	v_or_b32_e32 v28, 0x1500, v0
	v_cmp_gt_u32_e32 vcc, s33, v28
                                        ; implicit-def: $vgpr27
	s_and_saveexec_b64 s[2:3], vcc
	s_cbranch_execz .LBB2821_51
; %bb.50:
	v_lshlrev_b32_e32 v27, 1, v28
	v_add_co_u32_e32 v28, vcc, v2, v27
	v_addc_co_u32_e32 v29, vcc, 0, v3, vcc
	flat_load_ushort v27, v[28:29]
.LBB2821_51:
	s_or_b64 exec, exec, s[2:3]
	v_or_b32_e32 v29, 0x1600, v0
	v_cmp_gt_u32_e32 vcc, s33, v29
                                        ; implicit-def: $vgpr28
	s_and_saveexec_b64 s[2:3], vcc
	s_cbranch_execz .LBB2821_53
; %bb.52:
	v_lshlrev_b32_e32 v28, 1, v29
	v_add_co_u32_e32 v28, vcc, v2, v28
	v_addc_co_u32_e32 v29, vcc, 0, v3, vcc
	flat_load_ushort v28, v[28:29]
.LBB2821_53:
	s_or_b64 exec, exec, s[2:3]
	v_or_b32_e32 v30, 0x1700, v0
	v_cmp_gt_u32_e32 vcc, s33, v30
                                        ; implicit-def: $vgpr29
	s_and_saveexec_b64 s[2:3], vcc
	s_cbranch_execz .LBB2821_55
; %bb.54:
	v_lshlrev_b32_e32 v29, 1, v30
	v_add_co_u32_e32 v30, vcc, v2, v29
	v_addc_co_u32_e32 v31, vcc, 0, v3, vcc
	flat_load_ushort v29, v[30:31]
.LBB2821_55:
	s_or_b64 exec, exec, s[2:3]
	v_or_b32_e32 v31, 0x1800, v0
	v_cmp_gt_u32_e32 vcc, s33, v31
                                        ; implicit-def: $vgpr30
	s_and_saveexec_b64 s[2:3], vcc
	s_cbranch_execz .LBB2821_57
; %bb.56:
	v_lshlrev_b32_e32 v30, 1, v31
	v_add_co_u32_e32 v30, vcc, v2, v30
	v_addc_co_u32_e32 v31, vcc, 0, v3, vcc
	flat_load_ushort v30, v[30:31]
.LBB2821_57:
	s_or_b64 exec, exec, s[2:3]
	v_or_b32_e32 v32, 0x1900, v0
	v_cmp_gt_u32_e32 vcc, s33, v32
                                        ; implicit-def: $vgpr31
	s_and_saveexec_b64 s[2:3], vcc
	s_cbranch_execz .LBB2821_59
; %bb.58:
	v_lshlrev_b32_e32 v31, 1, v32
	v_add_co_u32_e32 v32, vcc, v2, v31
	v_addc_co_u32_e32 v33, vcc, 0, v3, vcc
	flat_load_ushort v31, v[32:33]
.LBB2821_59:
	s_or_b64 exec, exec, s[2:3]
	v_or_b32_e32 v33, 0x1a00, v0
	v_cmp_gt_u32_e32 vcc, s33, v33
                                        ; implicit-def: $vgpr32
	s_and_saveexec_b64 s[2:3], vcc
	s_cbranch_execz .LBB2821_61
; %bb.60:
	v_lshlrev_b32_e32 v32, 1, v33
	v_add_co_u32_e32 v32, vcc, v2, v32
	v_addc_co_u32_e32 v33, vcc, 0, v3, vcc
	flat_load_ushort v32, v[32:33]
.LBB2821_61:
	s_or_b64 exec, exec, s[2:3]
	v_or_b32_e32 v34, 0x1b00, v0
	v_cmp_gt_u32_e32 vcc, s33, v34
                                        ; implicit-def: $vgpr33
	s_and_saveexec_b64 s[2:3], vcc
	s_cbranch_execz .LBB2821_63
; %bb.62:
	v_lshlrev_b32_e32 v33, 1, v34
	v_add_co_u32_e32 v2, vcc, v2, v33
	v_addc_co_u32_e32 v3, vcc, 0, v3, vcc
	flat_load_ushort v33, v[2:3]
.LBB2821_63:
	s_or_b64 exec, exec, s[2:3]
	s_waitcnt vmcnt(0) lgkmcnt(0)
	ds_write_b16 v1, v4
	ds_write_b16 v1, v5 offset:512
	ds_write_b16 v1, v6 offset:1024
	;; [unrolled: 1-line block ×27, first 2 shown]
	s_waitcnt lgkmcnt(0)
	s_barrier
.LBB2821_64:
	v_mul_u32_u24_e32 v41, 28, v0
	v_lshlrev_b32_e32 v6, 1, v41
	ds_read_b64 v[16:17], v6 offset:48
	ds_read2_b64 v[2:5], v6 offset0:4 offset1:5
	ds_read2_b64 v[10:13], v6 offset1:1
	ds_read2_b64 v[6:9], v6 offset0:2 offset1:3
	v_cndmask_b32_e64 v18, 0, 1, s[4:5]
	s_waitcnt lgkmcnt(3)
	v_lshrrev_b32_e32 v29, 16, v16
	v_lshrrev_b32_e32 v28, 16, v17
	s_waitcnt lgkmcnt(2)
	v_lshrrev_b32_e32 v33, 16, v2
	v_lshrrev_b32_e32 v32, 16, v3
	v_lshrrev_b32_e32 v31, 16, v4
	v_lshrrev_b32_e32 v30, 16, v5
	s_waitcnt lgkmcnt(1)
	v_lshrrev_b32_e32 v42, 16, v10
	v_lshrrev_b32_e32 v40, 16, v11
	;; [unrolled: 5-line block ×3, first 2 shown]
	v_lshrrev_b32_e32 v35, 16, v8
	v_lshrrev_b32_e32 v34, 16, v9
	v_cmp_ne_u32_e64 s[2:3], 1, v18
	s_andn2_b64 vcc, exec, s[4:5]
	v_xor_b32_e32 v88, -1, v10
	v_xor_b32_e32 v87, -1, v42
	;; [unrolled: 1-line block ×28, first 2 shown]
	s_barrier
	s_cbranch_vccnz .LBB2821_66
; %bb.65:
	v_and_b32_e32 v70, 1, v88
	v_and_b32_e32 v69, 1, v87
	;; [unrolled: 1-line block ×28, first 2 shown]
	s_cbranch_execz .LBB2821_67
	s_branch .LBB2821_68
.LBB2821_66:
                                        ; implicit-def: $vgpr70
                                        ; implicit-def: $vgpr69
                                        ; implicit-def: $vgpr68
                                        ; implicit-def: $vgpr67
                                        ; implicit-def: $vgpr66
                                        ; implicit-def: $vgpr65
                                        ; implicit-def: $vgpr64
                                        ; implicit-def: $vgpr63
                                        ; implicit-def: $vgpr62
                                        ; implicit-def: $vgpr61
                                        ; implicit-def: $vgpr60
                                        ; implicit-def: $vgpr59
                                        ; implicit-def: $vgpr58
                                        ; implicit-def: $vgpr57
                                        ; implicit-def: $vgpr56
                                        ; implicit-def: $vgpr55
                                        ; implicit-def: $vgpr54
                                        ; implicit-def: $vgpr53
                                        ; implicit-def: $vgpr52
                                        ; implicit-def: $vgpr51
                                        ; implicit-def: $vgpr50
                                        ; implicit-def: $vgpr49
                                        ; implicit-def: $vgpr48
                                        ; implicit-def: $vgpr47
                                        ; implicit-def: $vgpr46
                                        ; implicit-def: $vgpr45
                                        ; implicit-def: $vgpr43
                                        ; implicit-def: $vgpr44
.LBB2821_67:
	v_or_b32_e32 v52, 1, v41
	v_cmp_gt_u32_e32 vcc, s33, v41
	v_or_b32_e32 v53, 2, v41
	v_cndmask_b32_e64 v61, 0, 1, vcc
	v_cmp_gt_u32_e32 vcc, s33, v52
	v_or_b32_e32 v54, 3, v41
	v_cndmask_b32_e64 v52, 0, 1, vcc
	v_cmp_gt_u32_e32 vcc, s33, v53
	v_add_u32_e32 v55, 4, v41
	v_and_b32_e32 v69, v52, v87
	v_cndmask_b32_e64 v52, 0, 1, vcc
	v_cmp_gt_u32_e32 vcc, s33, v54
	v_add_u32_e32 v56, 5, v41
	v_and_b32_e32 v68, v52, v86
	;; [unrolled: 4-line block ×9, first 2 shown]
	v_and_b32_e32 v61, v52, v79
	v_cndmask_b32_e64 v52, 0, 1, vcc
	v_cmp_gt_u32_e32 vcc, s33, v90
	v_add_u32_e32 v92, 13, v41
	v_and_b32_e32 v60, v52, v78
	v_cndmask_b32_e64 v52, 0, 1, vcc
	v_cmp_gt_u32_e32 vcc, s33, v91
	v_add_u32_e32 v93, 14, v41
	;; [unrolled: 4-line block ×15, first 2 shown]
	v_and_b32_e32 v46, v22, v21
	v_cndmask_b32_e64 v21, 0, 1, vcc
	v_cmp_gt_u32_e32 vcc, s33, v43
	v_and_b32_e32 v45, v21, v20
	v_cndmask_b32_e64 v20, 0, 1, vcc
	v_cmp_gt_u32_e32 vcc, s33, v44
	v_and_b32_e32 v43, v20, v19
	v_cndmask_b32_e64 v19, 0, 1, vcc
	v_and_b32_e32 v44, v19, v18
.LBB2821_68:
	v_and_b32_e32 v95, 0xff, v46
	v_and_b32_e32 v96, 0xff, v45
	v_add_u32_sdwa v18, v43, v44 dst_sel:DWORD dst_unused:UNUSED_PAD src0_sel:BYTE_0 src1_sel:BYTE_0
	v_and_b32_e32 v93, 0xff, v48
	v_and_b32_e32 v94, 0xff, v47
	v_add3_u32 v18, v18, v96, v95
	v_and_b32_e32 v91, 0xff, v50
	v_and_b32_e32 v92, 0xff, v49
	v_add3_u32 v18, v18, v94, v93
	;; [unrolled: 3-line block ×12, first 2 shown]
	v_add3_u32 v99, v18, v72, v71
	v_mbcnt_lo_u32_b32 v18, -1, 0
	v_mbcnt_hi_u32_b32 v97, -1, v18
	v_and_b32_e32 v18, 15, v97
	v_cmp_eq_u32_e64 s[16:17], 0, v18
	v_cmp_lt_u32_e64 s[14:15], 1, v18
	v_cmp_lt_u32_e64 s[12:13], 3, v18
	;; [unrolled: 1-line block ×3, first 2 shown]
	v_and_b32_e32 v18, 16, v97
	v_cmp_eq_u32_e64 s[8:9], 0, v18
	v_or_b32_e32 v18, 63, v0
	s_cmp_lg_u32 s36, 0
	v_cmp_lt_u32_e64 s[4:5], 31, v97
	v_lshrrev_b32_e32 v98, 6, v0
	v_cmp_eq_u32_e64 s[6:7], v18, v0
	s_cbranch_scc0 .LBB2821_99
; %bb.69:
	v_mov_b32_dpp v18, v99 row_shr:1 row_mask:0xf bank_mask:0xf
	v_cndmask_b32_e64 v18, v18, 0, s[16:17]
	v_add_u32_e32 v18, v18, v99
	s_nop 1
	v_mov_b32_dpp v19, v18 row_shr:2 row_mask:0xf bank_mask:0xf
	v_cndmask_b32_e64 v19, 0, v19, s[14:15]
	v_add_u32_e32 v18, v18, v19
	s_nop 1
	v_mov_b32_dpp v19, v18 row_shr:4 row_mask:0xf bank_mask:0xf
	v_cndmask_b32_e64 v19, 0, v19, s[12:13]
	v_add_u32_e32 v18, v18, v19
	s_nop 1
	v_mov_b32_dpp v19, v18 row_shr:8 row_mask:0xf bank_mask:0xf
	v_cndmask_b32_e64 v19, 0, v19, s[10:11]
	v_add_u32_e32 v18, v18, v19
	s_nop 1
	v_mov_b32_dpp v19, v18 row_bcast:15 row_mask:0xf bank_mask:0xf
	v_cndmask_b32_e64 v19, v19, 0, s[8:9]
	v_add_u32_e32 v18, v18, v19
	s_nop 1
	v_mov_b32_dpp v19, v18 row_bcast:31 row_mask:0xf bank_mask:0xf
	v_cndmask_b32_e64 v19, 0, v19, s[4:5]
	v_add_u32_e32 v18, v18, v19
	s_and_saveexec_b64 s[18:19], s[6:7]
	s_cbranch_execz .LBB2821_71
; %bb.70:
	v_lshlrev_b32_e32 v19, 2, v98
	ds_write_b32 v19, v18
.LBB2821_71:
	s_or_b64 exec, exec, s[18:19]
	v_cmp_gt_u32_e32 vcc, 4, v0
	s_waitcnt lgkmcnt(0)
	s_barrier
	s_and_saveexec_b64 s[18:19], vcc
	s_cbranch_execz .LBB2821_73
; %bb.72:
	v_lshlrev_b32_e32 v19, 2, v0
	ds_read_b32 v20, v19
	v_and_b32_e32 v21, 3, v97
	v_cmp_ne_u32_e32 vcc, 0, v21
	s_waitcnt lgkmcnt(0)
	v_mov_b32_dpp v22, v20 row_shr:1 row_mask:0xf bank_mask:0xf
	v_cndmask_b32_e32 v22, 0, v22, vcc
	v_add_u32_e32 v20, v22, v20
	v_cmp_lt_u32_e32 vcc, 1, v21
	s_nop 0
	v_mov_b32_dpp v22, v20 row_shr:2 row_mask:0xf bank_mask:0xf
	v_cndmask_b32_e32 v21, 0, v22, vcc
	v_add_u32_e32 v20, v20, v21
	ds_write_b32 v19, v20
.LBB2821_73:
	s_or_b64 exec, exec, s[18:19]
	v_cmp_gt_u32_e32 vcc, 64, v0
	v_cmp_lt_u32_e64 s[18:19], 63, v0
	s_waitcnt lgkmcnt(0)
	s_barrier
	s_waitcnt lgkmcnt(0)
                                        ; implicit-def: $vgpr100
	s_and_saveexec_b64 s[28:29], s[18:19]
	s_cbranch_execz .LBB2821_75
; %bb.74:
	v_lshl_add_u32 v19, v98, 2, -4
	ds_read_b32 v100, v19
	s_waitcnt lgkmcnt(0)
	v_add_u32_e32 v18, v100, v18
.LBB2821_75:
	s_or_b64 exec, exec, s[28:29]
	v_add_u32_e32 v19, -1, v97
	v_and_b32_e32 v20, 64, v97
	v_cmp_lt_i32_e64 s[18:19], v19, v20
	v_cndmask_b32_e64 v19, v19, v97, s[18:19]
	v_lshlrev_b32_e32 v19, 2, v19
	ds_bpermute_b32 v101, v19, v18
	v_cmp_eq_u32_e64 s[18:19], 0, v97
	s_and_saveexec_b64 s[28:29], vcc
	s_cbranch_execz .LBB2821_98
; %bb.76:
	v_mov_b32_e32 v27, 0
	ds_read_b32 v18, v27 offset:12
	s_and_saveexec_b64 s[30:31], s[18:19]
	s_cbranch_execz .LBB2821_78
; %bb.77:
	s_add_i32 s34, s36, 64
	s_mov_b32 s35, 0
	s_lshl_b64 s[34:35], s[34:35], 3
	s_add_u32 s34, s26, s34
	v_mov_b32_e32 v19, 1
	s_addc_u32 s35, s27, s35
	s_waitcnt lgkmcnt(0)
	global_store_dwordx2 v27, v[18:19], s[34:35]
.LBB2821_78:
	s_or_b64 exec, exec, s[30:31]
	v_xad_u32 v20, v97, -1, s36
	v_add_u32_e32 v26, 64, v20
	v_lshlrev_b64 v[22:23], 3, v[26:27]
	v_mov_b32_e32 v19, s27
	v_add_co_u32_e32 v22, vcc, s26, v22
	v_addc_co_u32_e32 v23, vcc, v19, v23, vcc
	global_load_dwordx2 v[24:25], v[22:23], off glc
	s_waitcnt vmcnt(0)
	v_cmp_eq_u16_sdwa s[34:35], v25, v27 src0_sel:BYTE_0 src1_sel:DWORD
	s_and_saveexec_b64 s[30:31], s[34:35]
	s_cbranch_execz .LBB2821_84
; %bb.79:
	s_mov_b32 s37, 1
	s_mov_b64 s[34:35], 0
	v_mov_b32_e32 v19, 0
.LBB2821_80:                            ; =>This Loop Header: Depth=1
                                        ;     Child Loop BB2821_81 Depth 2
	s_max_u32 s38, s37, 1
.LBB2821_81:                            ;   Parent Loop BB2821_80 Depth=1
                                        ; =>  This Inner Loop Header: Depth=2
	s_add_i32 s38, s38, -1
	s_cmp_eq_u32 s38, 0
	s_sleep 1
	s_cbranch_scc0 .LBB2821_81
; %bb.82:                               ;   in Loop: Header=BB2821_80 Depth=1
	global_load_dwordx2 v[24:25], v[22:23], off glc
	s_cmp_lt_u32 s37, 32
	s_cselect_b64 s[38:39], -1, 0
	s_cmp_lg_u64 s[38:39], 0
	s_addc_u32 s37, s37, 0
	s_waitcnt vmcnt(0)
	v_cmp_ne_u16_sdwa s[38:39], v25, v19 src0_sel:BYTE_0 src1_sel:DWORD
	s_or_b64 s[34:35], s[38:39], s[34:35]
	s_andn2_b64 exec, exec, s[34:35]
	s_cbranch_execnz .LBB2821_80
; %bb.83:
	s_or_b64 exec, exec, s[34:35]
.LBB2821_84:
	s_or_b64 exec, exec, s[30:31]
	v_and_b32_e32 v103, 63, v97
	v_mov_b32_e32 v102, 2
	v_cmp_ne_u32_e32 vcc, 63, v103
	v_cmp_eq_u16_sdwa s[30:31], v25, v102 src0_sel:BYTE_0 src1_sel:DWORD
	v_lshlrev_b64 v[22:23], v97, -1
	v_addc_co_u32_e32 v26, vcc, 0, v97, vcc
	v_and_b32_e32 v19, s31, v23
	v_lshlrev_b32_e32 v104, 2, v26
	v_or_b32_e32 v19, 0x80000000, v19
	ds_bpermute_b32 v26, v104, v24
	v_and_b32_e32 v21, s30, v22
	v_ffbl_b32_e32 v19, v19
	v_add_u32_e32 v19, 32, v19
	v_ffbl_b32_e32 v21, v21
	v_min_u32_e32 v19, v21, v19
	v_cmp_lt_u32_e32 vcc, v103, v19
	s_waitcnt lgkmcnt(0)
	v_cndmask_b32_e32 v21, 0, v26, vcc
	v_cmp_gt_u32_e32 vcc, 62, v103
	v_add_u32_e32 v21, v21, v24
	v_cndmask_b32_e64 v24, 0, 1, vcc
	v_lshlrev_b32_e32 v24, 1, v24
	v_add_lshl_u32 v105, v24, v97, 2
	ds_bpermute_b32 v24, v105, v21
	v_add_u32_e32 v106, 2, v103
	v_cmp_le_u32_e32 vcc, v106, v19
	v_add_u32_e32 v108, 4, v103
	v_add_u32_e32 v110, 8, v103
	s_waitcnt lgkmcnt(0)
	v_cndmask_b32_e32 v24, 0, v24, vcc
	v_cmp_gt_u32_e32 vcc, 60, v103
	v_add_u32_e32 v21, v21, v24
	v_cndmask_b32_e64 v24, 0, 1, vcc
	v_lshlrev_b32_e32 v24, 2, v24
	v_add_lshl_u32 v107, v24, v97, 2
	ds_bpermute_b32 v24, v107, v21
	v_cmp_le_u32_e32 vcc, v108, v19
	v_add_u32_e32 v112, 16, v103
	v_add_u32_e32 v114, 32, v103
	s_waitcnt lgkmcnt(0)
	v_cndmask_b32_e32 v24, 0, v24, vcc
	v_cmp_gt_u32_e32 vcc, 56, v103
	v_add_u32_e32 v21, v21, v24
	v_cndmask_b32_e64 v24, 0, 1, vcc
	v_lshlrev_b32_e32 v24, 3, v24
	v_add_lshl_u32 v109, v24, v97, 2
	ds_bpermute_b32 v24, v109, v21
	v_cmp_le_u32_e32 vcc, v110, v19
	s_waitcnt lgkmcnt(0)
	v_cndmask_b32_e32 v24, 0, v24, vcc
	v_cmp_gt_u32_e32 vcc, 48, v103
	v_add_u32_e32 v21, v21, v24
	v_cndmask_b32_e64 v24, 0, 1, vcc
	v_lshlrev_b32_e32 v24, 4, v24
	v_add_lshl_u32 v111, v24, v97, 2
	ds_bpermute_b32 v24, v111, v21
	v_cmp_le_u32_e32 vcc, v112, v19
	;; [unrolled: 9-line block ×3, first 2 shown]
	s_waitcnt lgkmcnt(0)
	v_cndmask_b32_e32 v19, 0, v24, vcc
	v_add_u32_e32 v24, v21, v19
	v_mov_b32_e32 v21, 0
	s_branch .LBB2821_86
.LBB2821_85:                            ;   in Loop: Header=BB2821_86 Depth=1
	s_or_b64 exec, exec, s[30:31]
	v_cmp_eq_u16_sdwa s[30:31], v25, v102 src0_sel:BYTE_0 src1_sel:DWORD
	v_and_b32_e32 v26, s31, v23
	v_or_b32_e32 v26, 0x80000000, v26
	ds_bpermute_b32 v115, v104, v24
	v_and_b32_e32 v27, s30, v22
	v_ffbl_b32_e32 v26, v26
	v_add_u32_e32 v26, 32, v26
	v_ffbl_b32_e32 v27, v27
	v_min_u32_e32 v26, v27, v26
	v_cmp_lt_u32_e32 vcc, v103, v26
	s_waitcnt lgkmcnt(0)
	v_cndmask_b32_e32 v27, 0, v115, vcc
	v_add_u32_e32 v24, v27, v24
	ds_bpermute_b32 v27, v105, v24
	v_cmp_le_u32_e32 vcc, v106, v26
	v_subrev_u32_e32 v20, 64, v20
	s_waitcnt lgkmcnt(0)
	v_cndmask_b32_e32 v27, 0, v27, vcc
	v_add_u32_e32 v24, v24, v27
	ds_bpermute_b32 v27, v107, v24
	v_cmp_le_u32_e32 vcc, v108, v26
	s_waitcnt lgkmcnt(0)
	v_cndmask_b32_e32 v27, 0, v27, vcc
	v_add_u32_e32 v24, v24, v27
	ds_bpermute_b32 v27, v109, v24
	v_cmp_le_u32_e32 vcc, v110, v26
	;; [unrolled: 5-line block ×4, first 2 shown]
	s_waitcnt lgkmcnt(0)
	v_cndmask_b32_e32 v26, 0, v27, vcc
	v_add3_u32 v24, v26, v19, v24
.LBB2821_86:                            ; =>This Loop Header: Depth=1
                                        ;     Child Loop BB2821_89 Depth 2
                                        ;       Child Loop BB2821_90 Depth 3
	v_cmp_ne_u16_sdwa s[30:31], v25, v102 src0_sel:BYTE_0 src1_sel:DWORD
	v_cndmask_b32_e64 v19, 0, 1, s[30:31]
	;;#ASMSTART
	;;#ASMEND
	v_cmp_ne_u32_e32 vcc, 0, v19
	s_cmp_lg_u64 vcc, exec
	v_mov_b32_e32 v19, v24
	s_cbranch_scc1 .LBB2821_93
; %bb.87:                               ;   in Loop: Header=BB2821_86 Depth=1
	v_lshlrev_b64 v[24:25], 3, v[20:21]
	v_mov_b32_e32 v27, s27
	v_add_co_u32_e32 v26, vcc, s26, v24
	v_addc_co_u32_e32 v27, vcc, v27, v25, vcc
	global_load_dwordx2 v[24:25], v[26:27], off glc
	s_waitcnt vmcnt(0)
	v_cmp_eq_u16_sdwa s[34:35], v25, v21 src0_sel:BYTE_0 src1_sel:DWORD
	s_and_saveexec_b64 s[30:31], s[34:35]
	s_cbranch_execz .LBB2821_85
; %bb.88:                               ;   in Loop: Header=BB2821_86 Depth=1
	s_mov_b32 s37, 1
	s_mov_b64 s[34:35], 0
.LBB2821_89:                            ;   Parent Loop BB2821_86 Depth=1
                                        ; =>  This Loop Header: Depth=2
                                        ;       Child Loop BB2821_90 Depth 3
	s_max_u32 s38, s37, 1
.LBB2821_90:                            ;   Parent Loop BB2821_86 Depth=1
                                        ;     Parent Loop BB2821_89 Depth=2
                                        ; =>    This Inner Loop Header: Depth=3
	s_add_i32 s38, s38, -1
	s_cmp_eq_u32 s38, 0
	s_sleep 1
	s_cbranch_scc0 .LBB2821_90
; %bb.91:                               ;   in Loop: Header=BB2821_89 Depth=2
	global_load_dwordx2 v[24:25], v[26:27], off glc
	s_cmp_lt_u32 s37, 32
	s_cselect_b64 s[38:39], -1, 0
	s_cmp_lg_u64 s[38:39], 0
	s_addc_u32 s37, s37, 0
	s_waitcnt vmcnt(0)
	v_cmp_ne_u16_sdwa s[38:39], v25, v21 src0_sel:BYTE_0 src1_sel:DWORD
	s_or_b64 s[34:35], s[38:39], s[34:35]
	s_andn2_b64 exec, exec, s[34:35]
	s_cbranch_execnz .LBB2821_89
; %bb.92:                               ;   in Loop: Header=BB2821_86 Depth=1
	s_or_b64 exec, exec, s[34:35]
	s_branch .LBB2821_85
.LBB2821_93:                            ;   in Loop: Header=BB2821_86 Depth=1
                                        ; implicit-def: $vgpr24
                                        ; implicit-def: $vgpr25
	s_cbranch_execz .LBB2821_86
; %bb.94:
	s_and_saveexec_b64 s[30:31], s[18:19]
	s_cbranch_execz .LBB2821_96
; %bb.95:
	s_add_i32 s34, s36, 64
	s_mov_b32 s35, 0
	s_lshl_b64 s[34:35], s[34:35], 3
	s_add_u32 s34, s26, s34
	v_add_u32_e32 v20, v19, v18
	v_mov_b32_e32 v21, 2
	s_addc_u32 s35, s27, s35
	v_mov_b32_e32 v22, 0
	global_store_dwordx2 v22, v[20:21], s[34:35]
	ds_write_b64 v22, v[18:19] offset:14336
.LBB2821_96:
	s_or_b64 exec, exec, s[30:31]
	s_and_b64 exec, exec, s[0:1]
	s_cbranch_execz .LBB2821_98
; %bb.97:
	v_mov_b32_e32 v18, 0
	ds_write_b32 v18, v19 offset:12
.LBB2821_98:
	s_or_b64 exec, exec, s[28:29]
	v_mov_b32_e32 v18, 0
	s_waitcnt lgkmcnt(0)
	s_barrier
	ds_read_b32 v20, v18 offset:12
	s_waitcnt lgkmcnt(0)
	s_barrier
	ds_read_b64 v[18:19], v18 offset:14336
	v_cndmask_b32_e64 v21, v101, v100, s[18:19]
	v_cndmask_b32_e64 v21, v21, 0, s[0:1]
	v_add_u32_e32 v21, v20, v21
	s_waitcnt lgkmcnt(0)
	v_mov_b32_e32 v20, v19
	s_branch .LBB2821_109
.LBB2821_99:
                                        ; implicit-def: $vgpr20
                                        ; implicit-def: $vgpr18
                                        ; implicit-def: $vgpr21
	s_cbranch_execz .LBB2821_109
; %bb.100:
	s_nop 0
	v_mov_b32_dpp v18, v99 row_shr:1 row_mask:0xf bank_mask:0xf
	v_cndmask_b32_e64 v18, v18, 0, s[16:17]
	v_add_u32_e32 v18, v18, v99
	s_nop 1
	v_mov_b32_dpp v19, v18 row_shr:2 row_mask:0xf bank_mask:0xf
	v_cndmask_b32_e64 v19, 0, v19, s[14:15]
	v_add_u32_e32 v18, v18, v19
	;; [unrolled: 4-line block ×4, first 2 shown]
	s_nop 1
	v_mov_b32_dpp v19, v18 row_bcast:15 row_mask:0xf bank_mask:0xf
	v_cndmask_b32_e64 v19, v19, 0, s[8:9]
	v_add_u32_e32 v18, v18, v19
	s_nop 1
	v_mov_b32_dpp v19, v18 row_bcast:31 row_mask:0xf bank_mask:0xf
	v_cndmask_b32_e64 v19, 0, v19, s[4:5]
	v_add_u32_e32 v18, v18, v19
	s_and_saveexec_b64 s[4:5], s[6:7]
	s_cbranch_execz .LBB2821_102
; %bb.101:
	v_lshlrev_b32_e32 v19, 2, v98
	ds_write_b32 v19, v18
.LBB2821_102:
	s_or_b64 exec, exec, s[4:5]
	v_cmp_gt_u32_e32 vcc, 4, v0
	s_waitcnt lgkmcnt(0)
	s_barrier
	s_and_saveexec_b64 s[4:5], vcc
	s_cbranch_execz .LBB2821_104
; %bb.103:
	v_lshlrev_b32_e32 v19, 2, v0
	ds_read_b32 v20, v19
	v_and_b32_e32 v21, 3, v97
	v_cmp_ne_u32_e32 vcc, 0, v21
	s_waitcnt lgkmcnt(0)
	v_mov_b32_dpp v22, v20 row_shr:1 row_mask:0xf bank_mask:0xf
	v_cndmask_b32_e32 v22, 0, v22, vcc
	v_add_u32_e32 v20, v22, v20
	v_cmp_lt_u32_e32 vcc, 1, v21
	s_nop 0
	v_mov_b32_dpp v22, v20 row_shr:2 row_mask:0xf bank_mask:0xf
	v_cndmask_b32_e32 v21, 0, v22, vcc
	v_add_u32_e32 v20, v20, v21
	ds_write_b32 v19, v20
.LBB2821_104:
	s_or_b64 exec, exec, s[4:5]
	v_cmp_lt_u32_e32 vcc, 63, v0
	v_mov_b32_e32 v19, 0
	v_mov_b32_e32 v20, 0
	s_waitcnt lgkmcnt(0)
	s_barrier
	s_and_saveexec_b64 s[4:5], vcc
	s_cbranch_execz .LBB2821_106
; %bb.105:
	v_lshl_add_u32 v20, v98, 2, -4
	ds_read_b32 v20, v20
.LBB2821_106:
	s_or_b64 exec, exec, s[4:5]
	v_add_u32_e32 v21, -1, v97
	v_and_b32_e32 v22, 64, v97
	v_cmp_lt_i32_e32 vcc, v21, v22
	v_cndmask_b32_e32 v21, v21, v97, vcc
	s_waitcnt lgkmcnt(0)
	v_add_u32_e32 v18, v20, v18
	v_lshlrev_b32_e32 v21, 2, v21
	ds_bpermute_b32 v21, v21, v18
	ds_read_b32 v18, v19 offset:12
	s_and_saveexec_b64 s[4:5], s[0:1]
	s_cbranch_execz .LBB2821_108
; %bb.107:
	v_mov_b32_e32 v22, 0
	v_mov_b32_e32 v19, 2
	s_waitcnt lgkmcnt(0)
	global_store_dwordx2 v22, v[18:19], s[26:27] offset:512
.LBB2821_108:
	s_or_b64 exec, exec, s[4:5]
	v_cmp_eq_u32_e32 vcc, 0, v97
	s_waitcnt lgkmcnt(1)
	v_cndmask_b32_e32 v19, v21, v20, vcc
	v_mov_b32_e32 v20, 0
	v_cndmask_b32_e64 v21, v19, 0, s[0:1]
	s_waitcnt lgkmcnt(0)
	s_barrier
.LBB2821_109:
	v_add_u32_e32 v19, v21, v71
	v_add_u32_e32 v22, v19, v72
	;; [unrolled: 1-line block ×20, first 2 shown]
	v_sub_u32_e32 v21, v21, v20
	v_and_b32_e32 v70, 1, v70
	v_add_u32_e32 v83, v82, v90
	v_sub_u32_e32 v90, v41, v21
	v_cmp_eq_u32_e32 vcc, 1, v70
	v_cndmask_b32_e32 v21, v90, v21, vcc
	v_lshlrev_b32_e32 v21, 1, v21
	ds_write_b16 v21, v10
	v_sub_u32_e32 v10, v19, v20
	v_sub_u32_e32 v19, v41, v10
	v_and_b32_e32 v21, 1, v69
	v_add_u32_e32 v19, 1, v19
	v_cmp_eq_u32_e32 vcc, 1, v21
	v_cndmask_b32_e32 v10, v19, v10, vcc
	v_lshlrev_b32_e32 v10, 1, v10
	ds_write_b16 v10, v42
	v_sub_u32_e32 v10, v22, v20
	v_sub_u32_e32 v19, v41, v10
	v_and_b32_e32 v21, 1, v68
	v_add_u32_e32 v19, 2, v19
	;; [unrolled: 8-line block ×20, first 2 shown]
	v_cmp_eq_u32_e32 vcc, 1, v6
	v_cndmask_b32_e32 v2, v3, v2, vcc
	v_add_u32_e32 v84, v83, v91
	v_lshlrev_b32_e32 v2, 1, v2
	ds_write_b16 v2, v4
	v_sub_u32_e32 v2, v84, v20
	v_sub_u32_e32 v3, v41, v2
	v_and_b32_e32 v4, 1, v49
	v_add_u32_e32 v3, 21, v3
	v_cmp_eq_u32_e32 vcc, 1, v4
	v_cndmask_b32_e32 v2, v3, v2, vcc
	v_add_u32_e32 v85, v84, v92
	v_lshlrev_b32_e32 v2, 1, v2
	ds_write_b16 v2, v31
	v_sub_u32_e32 v2, v85, v20
	v_sub_u32_e32 v3, v41, v2
	v_and_b32_e32 v4, 1, v48
	v_add_u32_e32 v3, 22, v3
	;; [unrolled: 9-line block ×6, first 2 shown]
	v_cmp_eq_u32_e32 vcc, 1, v4
	v_cndmask_b32_e32 v2, v3, v2, vcc
	v_lshlrev_b32_e32 v2, 1, v2
	ds_write_b16 v2, v17
	v_sub_u32_sdwa v2, v43, v20 dst_sel:DWORD dst_unused:UNUSED_PAD src0_sel:BYTE_0 src1_sel:DWORD
	v_add_u32_e32 v2, v89, v2
	v_sub_u32_e32 v3, v41, v2
	v_and_b32_e32 v4, 1, v44
	v_add_u32_e32 v3, 27, v3
	v_cmp_eq_u32_e32 vcc, 1, v4
	v_cndmask_b32_e32 v2, v3, v2, vcc
	v_lshlrev_b32_e32 v2, 1, v2
	ds_write_b16 v2, v28
	s_waitcnt lgkmcnt(0)
	s_barrier
	ds_read_u16 v65, v1
	ds_read_u16 v64, v1 offset:512
	ds_read_u16 v62, v1 offset:1024
	;; [unrolled: 1-line block ×27, first 2 shown]
	v_or_b32_e32 v63, 0x100, v0
	v_or_b32_e32 v61, 0x200, v0
	;; [unrolled: 1-line block ×27, first 2 shown]
	s_and_b64 vcc, exec, s[2:3]
	s_waitcnt vmcnt(0)
	v_lshlrev_b64 v[4:5], 1, v[14:15]
	s_cbranch_vccnz .LBB2821_139
; %bb.110:
	v_mov_b32_e32 v21, 0
	v_mov_b32_e32 v2, s25
	v_add_co_u32_e32 v66, vcc, s24, v4
	v_addc_co_u32_e32 v67, vcc, v2, v5, vcc
	v_lshlrev_b64 v[2:3], 1, v[20:21]
	v_add_co_u32_e32 v2, vcc, v66, v2
	v_addc_co_u32_e32 v3, vcc, v67, v3, vcc
	v_cmp_lt_u32_e32 vcc, v0, v18
	s_and_saveexec_b64 s[2:3], vcc
	s_cbranch_execnz .LBB2821_174
; %bb.111:
	s_or_b64 exec, exec, s[2:3]
	v_cmp_lt_u32_e32 vcc, v63, v18
	s_and_saveexec_b64 s[2:3], vcc
	s_cbranch_execnz .LBB2821_175
.LBB2821_112:
	s_or_b64 exec, exec, s[2:3]
	v_cmp_lt_u32_e32 vcc, v61, v18
	s_and_saveexec_b64 s[2:3], vcc
	s_cbranch_execnz .LBB2821_176
.LBB2821_113:
	s_or_b64 exec, exec, s[2:3]
	v_cmp_lt_u32_e32 vcc, v59, v18
	s_and_saveexec_b64 s[2:3], vcc
	s_cbranch_execnz .LBB2821_177
.LBB2821_114:
	s_or_b64 exec, exec, s[2:3]
	v_cmp_lt_u32_e32 vcc, v57, v18
	s_and_saveexec_b64 s[2:3], vcc
	s_cbranch_execnz .LBB2821_178
.LBB2821_115:
	s_or_b64 exec, exec, s[2:3]
	v_cmp_lt_u32_e32 vcc, v56, v18
	s_and_saveexec_b64 s[2:3], vcc
	s_cbranch_execnz .LBB2821_179
.LBB2821_116:
	s_or_b64 exec, exec, s[2:3]
	v_cmp_lt_u32_e32 vcc, v54, v18
	s_and_saveexec_b64 s[2:3], vcc
	s_cbranch_execnz .LBB2821_180
.LBB2821_117:
	s_or_b64 exec, exec, s[2:3]
	v_cmp_lt_u32_e32 vcc, v52, v18
	s_and_saveexec_b64 s[2:3], vcc
	s_cbranch_execnz .LBB2821_181
.LBB2821_118:
	s_or_b64 exec, exec, s[2:3]
	v_cmp_lt_u32_e32 vcc, v49, v18
	s_and_saveexec_b64 s[2:3], vcc
	s_cbranch_execnz .LBB2821_182
.LBB2821_119:
	s_or_b64 exec, exec, s[2:3]
	v_cmp_lt_u32_e32 vcc, v47, v18
	s_and_saveexec_b64 s[2:3], vcc
	s_cbranch_execnz .LBB2821_183
.LBB2821_120:
	s_or_b64 exec, exec, s[2:3]
	v_cmp_lt_u32_e32 vcc, v45, v18
	s_and_saveexec_b64 s[2:3], vcc
	s_cbranch_execnz .LBB2821_184
.LBB2821_121:
	s_or_b64 exec, exec, s[2:3]
	v_cmp_lt_u32_e32 vcc, v43, v18
	s_and_saveexec_b64 s[2:3], vcc
	s_cbranch_execnz .LBB2821_185
.LBB2821_122:
	s_or_b64 exec, exec, s[2:3]
	v_cmp_lt_u32_e32 vcc, v41, v18
	s_and_saveexec_b64 s[2:3], vcc
	s_cbranch_execnz .LBB2821_186
.LBB2821_123:
	s_or_b64 exec, exec, s[2:3]
	v_cmp_lt_u32_e32 vcc, v39, v18
	s_and_saveexec_b64 s[2:3], vcc
	s_cbranch_execnz .LBB2821_187
.LBB2821_124:
	s_or_b64 exec, exec, s[2:3]
	v_cmp_lt_u32_e32 vcc, v37, v18
	s_and_saveexec_b64 s[2:3], vcc
	s_cbranch_execnz .LBB2821_188
.LBB2821_125:
	s_or_b64 exec, exec, s[2:3]
	v_cmp_lt_u32_e32 vcc, v34, v18
	s_and_saveexec_b64 s[2:3], vcc
	s_cbranch_execnz .LBB2821_189
.LBB2821_126:
	s_or_b64 exec, exec, s[2:3]
	v_cmp_lt_u32_e32 vcc, v33, v18
	s_and_saveexec_b64 s[2:3], vcc
	s_cbranch_execnz .LBB2821_190
.LBB2821_127:
	s_or_b64 exec, exec, s[2:3]
	v_cmp_lt_u32_e32 vcc, v31, v18
	s_and_saveexec_b64 s[2:3], vcc
	s_cbranch_execnz .LBB2821_191
.LBB2821_128:
	s_or_b64 exec, exec, s[2:3]
	v_cmp_lt_u32_e32 vcc, v29, v18
	s_and_saveexec_b64 s[2:3], vcc
	s_cbranch_execnz .LBB2821_192
.LBB2821_129:
	s_or_b64 exec, exec, s[2:3]
	v_cmp_lt_u32_e32 vcc, v27, v18
	s_and_saveexec_b64 s[2:3], vcc
	s_cbranch_execnz .LBB2821_193
.LBB2821_130:
	s_or_b64 exec, exec, s[2:3]
	v_cmp_lt_u32_e32 vcc, v25, v18
	s_and_saveexec_b64 s[2:3], vcc
	s_cbranch_execnz .LBB2821_194
.LBB2821_131:
	s_or_b64 exec, exec, s[2:3]
	v_cmp_lt_u32_e32 vcc, v23, v18
	s_and_saveexec_b64 s[2:3], vcc
	s_cbranch_execnz .LBB2821_195
.LBB2821_132:
	s_or_b64 exec, exec, s[2:3]
	v_cmp_lt_u32_e32 vcc, v19, v18
	s_and_saveexec_b64 s[2:3], vcc
	s_cbranch_execnz .LBB2821_196
.LBB2821_133:
	s_or_b64 exec, exec, s[2:3]
	v_cmp_lt_u32_e32 vcc, v16, v18
	s_and_saveexec_b64 s[2:3], vcc
	s_cbranch_execnz .LBB2821_197
.LBB2821_134:
	s_or_b64 exec, exec, s[2:3]
	v_cmp_lt_u32_e32 vcc, v13, v18
	s_and_saveexec_b64 s[2:3], vcc
	s_cbranch_execnz .LBB2821_198
.LBB2821_135:
	s_or_b64 exec, exec, s[2:3]
	v_cmp_lt_u32_e32 vcc, v11, v18
	s_and_saveexec_b64 s[2:3], vcc
	s_cbranch_execnz .LBB2821_199
.LBB2821_136:
	s_or_b64 exec, exec, s[2:3]
	v_cmp_lt_u32_e32 vcc, v9, v18
	s_and_saveexec_b64 s[2:3], vcc
	s_cbranch_execz .LBB2821_138
.LBB2821_137:
	v_lshlrev_b32_e32 v21, 1, v9
	v_readfirstlane_b32 s4, v2
	v_readfirstlane_b32 s5, v3
	s_waitcnt lgkmcnt(1)
	s_nop 3
	global_store_short v21, v8, s[4:5]
.LBB2821_138:
	s_or_b64 exec, exec, s[2:3]
	v_cmp_lt_u32_e64 s[2:3], v7, v18
	s_branch .LBB2821_169
.LBB2821_139:
	s_mov_b64 s[2:3], 0
                                        ; implicit-def: $vgpr2_vgpr3
	s_cbranch_execz .LBB2821_169
; %bb.140:
	v_mov_b32_e32 v21, 0
	v_mov_b32_e32 v2, s25
	v_add_co_u32_e32 v4, vcc, s24, v4
	v_addc_co_u32_e32 v5, vcc, v2, v5, vcc
	v_lshlrev_b64 v[2:3], 1, v[20:21]
	v_add_co_u32_e32 v2, vcc, v4, v2
	v_min_u32_e32 v66, s33, v18
	v_addc_co_u32_e32 v3, vcc, v5, v3, vcc
	v_cmp_gt_u32_e32 vcc, v66, v0
	s_and_saveexec_b64 s[2:3], vcc
	s_cbranch_execnz .LBB2821_200
; %bb.141:
	s_or_b64 exec, exec, s[2:3]
	v_cmp_lt_u32_e32 vcc, v63, v66
	s_and_saveexec_b64 s[2:3], vcc
	s_cbranch_execnz .LBB2821_201
.LBB2821_142:
	s_or_b64 exec, exec, s[2:3]
	v_cmp_lt_u32_e32 vcc, v61, v66
	s_and_saveexec_b64 s[2:3], vcc
	s_cbranch_execnz .LBB2821_202
.LBB2821_143:
	s_or_b64 exec, exec, s[2:3]
	v_cmp_lt_u32_e32 vcc, v59, v66
	s_and_saveexec_b64 s[2:3], vcc
	s_cbranch_execnz .LBB2821_203
.LBB2821_144:
	s_or_b64 exec, exec, s[2:3]
	v_cmp_lt_u32_e32 vcc, v57, v66
	s_and_saveexec_b64 s[2:3], vcc
	s_cbranch_execnz .LBB2821_204
.LBB2821_145:
	s_or_b64 exec, exec, s[2:3]
	v_cmp_lt_u32_e32 vcc, v56, v66
	s_and_saveexec_b64 s[2:3], vcc
	s_cbranch_execnz .LBB2821_205
.LBB2821_146:
	s_or_b64 exec, exec, s[2:3]
	v_cmp_lt_u32_e32 vcc, v54, v66
	s_and_saveexec_b64 s[2:3], vcc
	s_cbranch_execnz .LBB2821_206
.LBB2821_147:
	s_or_b64 exec, exec, s[2:3]
	v_cmp_lt_u32_e32 vcc, v52, v66
	s_and_saveexec_b64 s[2:3], vcc
	s_cbranch_execnz .LBB2821_207
.LBB2821_148:
	s_or_b64 exec, exec, s[2:3]
	v_cmp_lt_u32_e32 vcc, v49, v66
	s_and_saveexec_b64 s[2:3], vcc
	s_cbranch_execnz .LBB2821_208
.LBB2821_149:
	s_or_b64 exec, exec, s[2:3]
	v_cmp_lt_u32_e32 vcc, v47, v66
	s_and_saveexec_b64 s[2:3], vcc
	s_cbranch_execnz .LBB2821_209
.LBB2821_150:
	s_or_b64 exec, exec, s[2:3]
	v_cmp_lt_u32_e32 vcc, v45, v66
	s_and_saveexec_b64 s[2:3], vcc
	s_cbranch_execnz .LBB2821_210
.LBB2821_151:
	s_or_b64 exec, exec, s[2:3]
	v_cmp_lt_u32_e32 vcc, v43, v66
	s_and_saveexec_b64 s[2:3], vcc
	s_cbranch_execnz .LBB2821_211
.LBB2821_152:
	s_or_b64 exec, exec, s[2:3]
	v_cmp_lt_u32_e32 vcc, v41, v66
	s_and_saveexec_b64 s[2:3], vcc
	s_cbranch_execnz .LBB2821_212
.LBB2821_153:
	s_or_b64 exec, exec, s[2:3]
	v_cmp_lt_u32_e32 vcc, v39, v66
	s_and_saveexec_b64 s[2:3], vcc
	s_cbranch_execnz .LBB2821_213
.LBB2821_154:
	s_or_b64 exec, exec, s[2:3]
	v_cmp_lt_u32_e32 vcc, v37, v66
	s_and_saveexec_b64 s[2:3], vcc
	s_cbranch_execnz .LBB2821_214
.LBB2821_155:
	s_or_b64 exec, exec, s[2:3]
	v_cmp_lt_u32_e32 vcc, v34, v66
	s_and_saveexec_b64 s[2:3], vcc
	s_cbranch_execnz .LBB2821_215
.LBB2821_156:
	s_or_b64 exec, exec, s[2:3]
	v_cmp_lt_u32_e32 vcc, v33, v66
	s_and_saveexec_b64 s[2:3], vcc
	s_cbranch_execnz .LBB2821_216
.LBB2821_157:
	s_or_b64 exec, exec, s[2:3]
	v_cmp_lt_u32_e32 vcc, v31, v66
	s_and_saveexec_b64 s[2:3], vcc
	s_cbranch_execnz .LBB2821_217
.LBB2821_158:
	s_or_b64 exec, exec, s[2:3]
	v_cmp_lt_u32_e32 vcc, v29, v66
	s_and_saveexec_b64 s[2:3], vcc
	s_cbranch_execnz .LBB2821_218
.LBB2821_159:
	s_or_b64 exec, exec, s[2:3]
	v_cmp_lt_u32_e32 vcc, v27, v66
	s_and_saveexec_b64 s[2:3], vcc
	s_cbranch_execnz .LBB2821_219
.LBB2821_160:
	s_or_b64 exec, exec, s[2:3]
	v_cmp_lt_u32_e32 vcc, v25, v66
	s_and_saveexec_b64 s[2:3], vcc
	s_cbranch_execnz .LBB2821_220
.LBB2821_161:
	s_or_b64 exec, exec, s[2:3]
	v_cmp_lt_u32_e32 vcc, v23, v66
	s_and_saveexec_b64 s[2:3], vcc
	s_cbranch_execnz .LBB2821_221
.LBB2821_162:
	s_or_b64 exec, exec, s[2:3]
	v_cmp_lt_u32_e32 vcc, v19, v66
	s_and_saveexec_b64 s[2:3], vcc
	s_cbranch_execnz .LBB2821_222
.LBB2821_163:
	s_or_b64 exec, exec, s[2:3]
	v_cmp_lt_u32_e32 vcc, v16, v66
	s_and_saveexec_b64 s[2:3], vcc
	s_cbranch_execnz .LBB2821_223
.LBB2821_164:
	s_or_b64 exec, exec, s[2:3]
	v_cmp_lt_u32_e32 vcc, v13, v66
	s_and_saveexec_b64 s[2:3], vcc
	s_cbranch_execnz .LBB2821_224
.LBB2821_165:
	s_or_b64 exec, exec, s[2:3]
	v_cmp_lt_u32_e32 vcc, v11, v66
	s_and_saveexec_b64 s[2:3], vcc
	s_cbranch_execnz .LBB2821_225
.LBB2821_166:
	s_or_b64 exec, exec, s[2:3]
	v_cmp_lt_u32_e32 vcc, v9, v66
	s_and_saveexec_b64 s[2:3], vcc
	s_cbranch_execz .LBB2821_168
.LBB2821_167:
	v_lshlrev_b32_e32 v0, 1, v9
	v_readfirstlane_b32 s4, v2
	v_readfirstlane_b32 s5, v3
	s_waitcnt lgkmcnt(1)
	s_nop 3
	global_store_short v0, v8, s[4:5]
.LBB2821_168:
	s_or_b64 exec, exec, s[2:3]
	v_cmp_lt_u32_e64 s[2:3], v7, v66
.LBB2821_169:
	s_and_saveexec_b64 s[4:5], s[2:3]
	s_cbranch_execnz .LBB2821_172
; %bb.170:
	s_or_b64 exec, exec, s[4:5]
	s_and_b64 s[0:1], s[0:1], s[22:23]
	s_and_saveexec_b64 s[2:3], s[0:1]
	s_cbranch_execnz .LBB2821_173
.LBB2821_171:
	s_endpgm
.LBB2821_172:
	v_lshlrev_b32_e32 v0, 1, v7
	v_readfirstlane_b32 s2, v2
	v_readfirstlane_b32 s3, v3
	s_waitcnt lgkmcnt(0)
	s_nop 3
	global_store_short v0, v6, s[2:3]
	s_or_b64 exec, exec, s[4:5]
	s_and_b64 s[0:1], s[0:1], s[22:23]
	s_and_saveexec_b64 s[2:3], s[0:1]
	s_cbranch_execz .LBB2821_171
.LBB2821_173:
	v_add_co_u32_e32 v0, vcc, v14, v18
	v_addc_co_u32_e32 v1, vcc, 0, v15, vcc
	v_add_co_u32_e32 v0, vcc, v0, v20
	v_mov_b32_e32 v2, 0
	v_addc_co_u32_e32 v1, vcc, 0, v1, vcc
	global_store_dwordx2 v2, v[0:1], s[20:21]
	s_endpgm
.LBB2821_174:
	v_readfirstlane_b32 s4, v2
	v_readfirstlane_b32 s5, v3
	s_waitcnt lgkmcnt(14)
	s_nop 3
	global_store_short v1, v65, s[4:5]
	s_or_b64 exec, exec, s[2:3]
	v_cmp_lt_u32_e32 vcc, v63, v18
	s_and_saveexec_b64 s[2:3], vcc
	s_cbranch_execz .LBB2821_112
.LBB2821_175:
	v_readfirstlane_b32 s4, v2
	v_readfirstlane_b32 s5, v3
	s_waitcnt lgkmcnt(14)
	s_nop 3
	global_store_short v1, v64, s[4:5] offset:512
	s_or_b64 exec, exec, s[2:3]
	v_cmp_lt_u32_e32 vcc, v61, v18
	s_and_saveexec_b64 s[2:3], vcc
	s_cbranch_execz .LBB2821_113
.LBB2821_176:
	v_readfirstlane_b32 s4, v2
	v_readfirstlane_b32 s5, v3
	s_waitcnt lgkmcnt(14)
	s_nop 3
	global_store_short v1, v62, s[4:5] offset:1024
	s_or_b64 exec, exec, s[2:3]
	v_cmp_lt_u32_e32 vcc, v59, v18
	s_and_saveexec_b64 s[2:3], vcc
	s_cbranch_execz .LBB2821_114
.LBB2821_177:
	v_readfirstlane_b32 s4, v2
	v_readfirstlane_b32 s5, v3
	s_waitcnt lgkmcnt(14)
	s_nop 3
	global_store_short v1, v60, s[4:5] offset:1536
	s_or_b64 exec, exec, s[2:3]
	v_cmp_lt_u32_e32 vcc, v57, v18
	s_and_saveexec_b64 s[2:3], vcc
	s_cbranch_execz .LBB2821_115
.LBB2821_178:
	v_readfirstlane_b32 s4, v2
	v_readfirstlane_b32 s5, v3
	s_waitcnt lgkmcnt(14)
	s_nop 3
	global_store_short v1, v58, s[4:5] offset:2048
	s_or_b64 exec, exec, s[2:3]
	v_cmp_lt_u32_e32 vcc, v56, v18
	s_and_saveexec_b64 s[2:3], vcc
	s_cbranch_execz .LBB2821_116
.LBB2821_179:
	v_readfirstlane_b32 s4, v2
	v_readfirstlane_b32 s5, v3
	s_waitcnt lgkmcnt(14)
	s_nop 3
	global_store_short v1, v55, s[4:5] offset:2560
	s_or_b64 exec, exec, s[2:3]
	v_cmp_lt_u32_e32 vcc, v54, v18
	s_and_saveexec_b64 s[2:3], vcc
	s_cbranch_execz .LBB2821_117
.LBB2821_180:
	v_readfirstlane_b32 s4, v2
	v_readfirstlane_b32 s5, v3
	s_waitcnt lgkmcnt(14)
	s_nop 3
	global_store_short v1, v53, s[4:5] offset:3072
	s_or_b64 exec, exec, s[2:3]
	v_cmp_lt_u32_e32 vcc, v52, v18
	s_and_saveexec_b64 s[2:3], vcc
	s_cbranch_execz .LBB2821_118
.LBB2821_181:
	v_readfirstlane_b32 s4, v2
	v_readfirstlane_b32 s5, v3
	s_waitcnt lgkmcnt(14)
	s_nop 3
	global_store_short v1, v50, s[4:5] offset:3584
	s_or_b64 exec, exec, s[2:3]
	v_cmp_lt_u32_e32 vcc, v49, v18
	s_and_saveexec_b64 s[2:3], vcc
	s_cbranch_execz .LBB2821_119
.LBB2821_182:
	v_lshlrev_b32_e32 v21, 1, v49
	v_readfirstlane_b32 s4, v2
	v_readfirstlane_b32 s5, v3
	s_waitcnt lgkmcnt(14)
	s_nop 3
	global_store_short v21, v51, s[4:5]
	s_or_b64 exec, exec, s[2:3]
	v_cmp_lt_u32_e32 vcc, v47, v18
	s_and_saveexec_b64 s[2:3], vcc
	s_cbranch_execz .LBB2821_120
.LBB2821_183:
	v_lshlrev_b32_e32 v21, 1, v47
	v_readfirstlane_b32 s4, v2
	v_readfirstlane_b32 s5, v3
	s_waitcnt lgkmcnt(14)
	s_nop 3
	global_store_short v21, v48, s[4:5]
	s_or_b64 exec, exec, s[2:3]
	v_cmp_lt_u32_e32 vcc, v45, v18
	s_and_saveexec_b64 s[2:3], vcc
	s_cbranch_execz .LBB2821_121
.LBB2821_184:
	v_lshlrev_b32_e32 v21, 1, v45
	v_readfirstlane_b32 s4, v2
	v_readfirstlane_b32 s5, v3
	s_waitcnt lgkmcnt(14)
	s_nop 3
	global_store_short v21, v46, s[4:5]
	s_or_b64 exec, exec, s[2:3]
	v_cmp_lt_u32_e32 vcc, v43, v18
	s_and_saveexec_b64 s[2:3], vcc
	s_cbranch_execz .LBB2821_122
.LBB2821_185:
	v_lshlrev_b32_e32 v21, 1, v43
	v_readfirstlane_b32 s4, v2
	v_readfirstlane_b32 s5, v3
	s_waitcnt lgkmcnt(14)
	s_nop 3
	global_store_short v21, v44, s[4:5]
	s_or_b64 exec, exec, s[2:3]
	v_cmp_lt_u32_e32 vcc, v41, v18
	s_and_saveexec_b64 s[2:3], vcc
	s_cbranch_execz .LBB2821_123
.LBB2821_186:
	v_lshlrev_b32_e32 v21, 1, v41
	v_readfirstlane_b32 s4, v2
	v_readfirstlane_b32 s5, v3
	s_waitcnt lgkmcnt(14)
	s_nop 3
	global_store_short v21, v42, s[4:5]
	s_or_b64 exec, exec, s[2:3]
	v_cmp_lt_u32_e32 vcc, v39, v18
	s_and_saveexec_b64 s[2:3], vcc
	s_cbranch_execz .LBB2821_124
.LBB2821_187:
	v_lshlrev_b32_e32 v21, 1, v39
	v_readfirstlane_b32 s4, v2
	v_readfirstlane_b32 s5, v3
	s_waitcnt lgkmcnt(14)
	s_nop 3
	global_store_short v21, v40, s[4:5]
	s_or_b64 exec, exec, s[2:3]
	v_cmp_lt_u32_e32 vcc, v37, v18
	s_and_saveexec_b64 s[2:3], vcc
	s_cbranch_execz .LBB2821_125
.LBB2821_188:
	v_lshlrev_b32_e32 v21, 1, v37
	v_readfirstlane_b32 s4, v2
	v_readfirstlane_b32 s5, v3
	s_waitcnt lgkmcnt(13)
	s_nop 3
	global_store_short v21, v38, s[4:5]
	s_or_b64 exec, exec, s[2:3]
	v_cmp_lt_u32_e32 vcc, v34, v18
	s_and_saveexec_b64 s[2:3], vcc
	s_cbranch_execz .LBB2821_126
.LBB2821_189:
	v_lshlrev_b32_e32 v21, 1, v34
	v_readfirstlane_b32 s4, v2
	v_readfirstlane_b32 s5, v3
	s_waitcnt lgkmcnt(12)
	s_nop 3
	global_store_short v21, v35, s[4:5]
	s_or_b64 exec, exec, s[2:3]
	v_cmp_lt_u32_e32 vcc, v33, v18
	s_and_saveexec_b64 s[2:3], vcc
	s_cbranch_execz .LBB2821_127
.LBB2821_190:
	v_lshlrev_b32_e32 v21, 1, v33
	v_readfirstlane_b32 s4, v2
	v_readfirstlane_b32 s5, v3
	s_waitcnt lgkmcnt(11)
	s_nop 3
	global_store_short v21, v36, s[4:5]
	s_or_b64 exec, exec, s[2:3]
	v_cmp_lt_u32_e32 vcc, v31, v18
	s_and_saveexec_b64 s[2:3], vcc
	s_cbranch_execz .LBB2821_128
.LBB2821_191:
	v_lshlrev_b32_e32 v21, 1, v31
	v_readfirstlane_b32 s4, v2
	v_readfirstlane_b32 s5, v3
	s_waitcnt lgkmcnt(10)
	s_nop 3
	global_store_short v21, v32, s[4:5]
	s_or_b64 exec, exec, s[2:3]
	v_cmp_lt_u32_e32 vcc, v29, v18
	s_and_saveexec_b64 s[2:3], vcc
	s_cbranch_execz .LBB2821_129
.LBB2821_192:
	v_lshlrev_b32_e32 v21, 1, v29
	v_readfirstlane_b32 s4, v2
	v_readfirstlane_b32 s5, v3
	s_waitcnt lgkmcnt(9)
	s_nop 3
	global_store_short v21, v30, s[4:5]
	s_or_b64 exec, exec, s[2:3]
	v_cmp_lt_u32_e32 vcc, v27, v18
	s_and_saveexec_b64 s[2:3], vcc
	s_cbranch_execz .LBB2821_130
.LBB2821_193:
	v_lshlrev_b32_e32 v21, 1, v27
	v_readfirstlane_b32 s4, v2
	v_readfirstlane_b32 s5, v3
	s_waitcnt lgkmcnt(8)
	s_nop 3
	global_store_short v21, v28, s[4:5]
	s_or_b64 exec, exec, s[2:3]
	v_cmp_lt_u32_e32 vcc, v25, v18
	s_and_saveexec_b64 s[2:3], vcc
	s_cbranch_execz .LBB2821_131
.LBB2821_194:
	v_lshlrev_b32_e32 v21, 1, v25
	v_readfirstlane_b32 s4, v2
	v_readfirstlane_b32 s5, v3
	s_waitcnt lgkmcnt(7)
	s_nop 3
	global_store_short v21, v26, s[4:5]
	s_or_b64 exec, exec, s[2:3]
	v_cmp_lt_u32_e32 vcc, v23, v18
	s_and_saveexec_b64 s[2:3], vcc
	s_cbranch_execz .LBB2821_132
.LBB2821_195:
	v_lshlrev_b32_e32 v21, 1, v23
	v_readfirstlane_b32 s4, v2
	v_readfirstlane_b32 s5, v3
	s_waitcnt lgkmcnt(6)
	s_nop 3
	global_store_short v21, v24, s[4:5]
	s_or_b64 exec, exec, s[2:3]
	v_cmp_lt_u32_e32 vcc, v19, v18
	s_and_saveexec_b64 s[2:3], vcc
	s_cbranch_execz .LBB2821_133
.LBB2821_196:
	v_lshlrev_b32_e32 v21, 1, v19
	v_readfirstlane_b32 s4, v2
	v_readfirstlane_b32 s5, v3
	s_waitcnt lgkmcnt(5)
	s_nop 3
	global_store_short v21, v22, s[4:5]
	s_or_b64 exec, exec, s[2:3]
	v_cmp_lt_u32_e32 vcc, v16, v18
	s_and_saveexec_b64 s[2:3], vcc
	s_cbranch_execz .LBB2821_134
.LBB2821_197:
	v_lshlrev_b32_e32 v21, 1, v16
	v_readfirstlane_b32 s4, v2
	v_readfirstlane_b32 s5, v3
	s_waitcnt lgkmcnt(4)
	s_nop 3
	global_store_short v21, v17, s[4:5]
	s_or_b64 exec, exec, s[2:3]
	v_cmp_lt_u32_e32 vcc, v13, v18
	s_and_saveexec_b64 s[2:3], vcc
	s_cbranch_execz .LBB2821_135
.LBB2821_198:
	v_lshlrev_b32_e32 v21, 1, v13
	v_readfirstlane_b32 s4, v2
	v_readfirstlane_b32 s5, v3
	s_waitcnt lgkmcnt(3)
	s_nop 3
	global_store_short v21, v12, s[4:5]
	s_or_b64 exec, exec, s[2:3]
	v_cmp_lt_u32_e32 vcc, v11, v18
	s_and_saveexec_b64 s[2:3], vcc
	s_cbranch_execz .LBB2821_136
.LBB2821_199:
	v_lshlrev_b32_e32 v21, 1, v11
	v_readfirstlane_b32 s4, v2
	v_readfirstlane_b32 s5, v3
	s_waitcnt lgkmcnt(2)
	s_nop 3
	global_store_short v21, v10, s[4:5]
	s_or_b64 exec, exec, s[2:3]
	v_cmp_lt_u32_e32 vcc, v9, v18
	s_and_saveexec_b64 s[2:3], vcc
	s_cbranch_execnz .LBB2821_137
	s_branch .LBB2821_138
.LBB2821_200:
	v_readfirstlane_b32 s4, v2
	v_readfirstlane_b32 s5, v3
	s_waitcnt lgkmcnt(14)
	s_nop 3
	global_store_short v1, v65, s[4:5]
	s_or_b64 exec, exec, s[2:3]
	v_cmp_lt_u32_e32 vcc, v63, v66
	s_and_saveexec_b64 s[2:3], vcc
	s_cbranch_execz .LBB2821_142
.LBB2821_201:
	v_readfirstlane_b32 s4, v2
	v_readfirstlane_b32 s5, v3
	s_waitcnt lgkmcnt(14)
	s_nop 3
	global_store_short v1, v64, s[4:5] offset:512
	s_or_b64 exec, exec, s[2:3]
	v_cmp_lt_u32_e32 vcc, v61, v66
	s_and_saveexec_b64 s[2:3], vcc
	s_cbranch_execz .LBB2821_143
.LBB2821_202:
	v_readfirstlane_b32 s4, v2
	v_readfirstlane_b32 s5, v3
	s_waitcnt lgkmcnt(14)
	s_nop 3
	global_store_short v1, v62, s[4:5] offset:1024
	s_or_b64 exec, exec, s[2:3]
	v_cmp_lt_u32_e32 vcc, v59, v66
	s_and_saveexec_b64 s[2:3], vcc
	s_cbranch_execz .LBB2821_144
.LBB2821_203:
	v_readfirstlane_b32 s4, v2
	v_readfirstlane_b32 s5, v3
	s_waitcnt lgkmcnt(14)
	s_nop 3
	global_store_short v1, v60, s[4:5] offset:1536
	s_or_b64 exec, exec, s[2:3]
	v_cmp_lt_u32_e32 vcc, v57, v66
	s_and_saveexec_b64 s[2:3], vcc
	s_cbranch_execz .LBB2821_145
.LBB2821_204:
	v_readfirstlane_b32 s4, v2
	v_readfirstlane_b32 s5, v3
	s_waitcnt lgkmcnt(14)
	s_nop 3
	global_store_short v1, v58, s[4:5] offset:2048
	s_or_b64 exec, exec, s[2:3]
	v_cmp_lt_u32_e32 vcc, v56, v66
	s_and_saveexec_b64 s[2:3], vcc
	s_cbranch_execz .LBB2821_146
.LBB2821_205:
	v_readfirstlane_b32 s4, v2
	v_readfirstlane_b32 s5, v3
	s_waitcnt lgkmcnt(14)
	s_nop 3
	global_store_short v1, v55, s[4:5] offset:2560
	s_or_b64 exec, exec, s[2:3]
	v_cmp_lt_u32_e32 vcc, v54, v66
	s_and_saveexec_b64 s[2:3], vcc
	s_cbranch_execz .LBB2821_147
.LBB2821_206:
	v_readfirstlane_b32 s4, v2
	v_readfirstlane_b32 s5, v3
	s_waitcnt lgkmcnt(14)
	s_nop 3
	global_store_short v1, v53, s[4:5] offset:3072
	s_or_b64 exec, exec, s[2:3]
	v_cmp_lt_u32_e32 vcc, v52, v66
	s_and_saveexec_b64 s[2:3], vcc
	s_cbranch_execz .LBB2821_148
.LBB2821_207:
	v_readfirstlane_b32 s4, v2
	v_readfirstlane_b32 s5, v3
	s_waitcnt lgkmcnt(14)
	s_nop 3
	global_store_short v1, v50, s[4:5] offset:3584
	s_or_b64 exec, exec, s[2:3]
	v_cmp_lt_u32_e32 vcc, v49, v66
	s_and_saveexec_b64 s[2:3], vcc
	s_cbranch_execz .LBB2821_149
.LBB2821_208:
	v_lshlrev_b32_e32 v0, 1, v49
	v_readfirstlane_b32 s4, v2
	v_readfirstlane_b32 s5, v3
	s_waitcnt lgkmcnt(14)
	s_nop 3
	global_store_short v0, v51, s[4:5]
	s_or_b64 exec, exec, s[2:3]
	v_cmp_lt_u32_e32 vcc, v47, v66
	s_and_saveexec_b64 s[2:3], vcc
	s_cbranch_execz .LBB2821_150
.LBB2821_209:
	v_lshlrev_b32_e32 v0, 1, v47
	v_readfirstlane_b32 s4, v2
	v_readfirstlane_b32 s5, v3
	s_waitcnt lgkmcnt(14)
	s_nop 3
	global_store_short v0, v48, s[4:5]
	s_or_b64 exec, exec, s[2:3]
	v_cmp_lt_u32_e32 vcc, v45, v66
	s_and_saveexec_b64 s[2:3], vcc
	s_cbranch_execz .LBB2821_151
.LBB2821_210:
	v_lshlrev_b32_e32 v0, 1, v45
	v_readfirstlane_b32 s4, v2
	v_readfirstlane_b32 s5, v3
	s_waitcnt lgkmcnt(14)
	s_nop 3
	global_store_short v0, v46, s[4:5]
	s_or_b64 exec, exec, s[2:3]
	v_cmp_lt_u32_e32 vcc, v43, v66
	s_and_saveexec_b64 s[2:3], vcc
	s_cbranch_execz .LBB2821_152
.LBB2821_211:
	v_lshlrev_b32_e32 v0, 1, v43
	v_readfirstlane_b32 s4, v2
	v_readfirstlane_b32 s5, v3
	s_waitcnt lgkmcnt(14)
	s_nop 3
	global_store_short v0, v44, s[4:5]
	s_or_b64 exec, exec, s[2:3]
	v_cmp_lt_u32_e32 vcc, v41, v66
	s_and_saveexec_b64 s[2:3], vcc
	s_cbranch_execz .LBB2821_153
.LBB2821_212:
	v_lshlrev_b32_e32 v0, 1, v41
	v_readfirstlane_b32 s4, v2
	v_readfirstlane_b32 s5, v3
	s_waitcnt lgkmcnt(14)
	s_nop 3
	global_store_short v0, v42, s[4:5]
	s_or_b64 exec, exec, s[2:3]
	v_cmp_lt_u32_e32 vcc, v39, v66
	s_and_saveexec_b64 s[2:3], vcc
	s_cbranch_execz .LBB2821_154
.LBB2821_213:
	v_lshlrev_b32_e32 v0, 1, v39
	v_readfirstlane_b32 s4, v2
	v_readfirstlane_b32 s5, v3
	s_waitcnt lgkmcnt(14)
	s_nop 3
	global_store_short v0, v40, s[4:5]
	s_or_b64 exec, exec, s[2:3]
	v_cmp_lt_u32_e32 vcc, v37, v66
	s_and_saveexec_b64 s[2:3], vcc
	s_cbranch_execz .LBB2821_155
.LBB2821_214:
	v_lshlrev_b32_e32 v0, 1, v37
	v_readfirstlane_b32 s4, v2
	v_readfirstlane_b32 s5, v3
	s_waitcnt lgkmcnt(13)
	s_nop 3
	global_store_short v0, v38, s[4:5]
	s_or_b64 exec, exec, s[2:3]
	v_cmp_lt_u32_e32 vcc, v34, v66
	s_and_saveexec_b64 s[2:3], vcc
	s_cbranch_execz .LBB2821_156
.LBB2821_215:
	v_lshlrev_b32_e32 v0, 1, v34
	v_readfirstlane_b32 s4, v2
	v_readfirstlane_b32 s5, v3
	s_waitcnt lgkmcnt(12)
	s_nop 3
	global_store_short v0, v35, s[4:5]
	s_or_b64 exec, exec, s[2:3]
	v_cmp_lt_u32_e32 vcc, v33, v66
	s_and_saveexec_b64 s[2:3], vcc
	s_cbranch_execz .LBB2821_157
.LBB2821_216:
	v_lshlrev_b32_e32 v0, 1, v33
	v_readfirstlane_b32 s4, v2
	v_readfirstlane_b32 s5, v3
	s_waitcnt lgkmcnt(11)
	s_nop 3
	global_store_short v0, v36, s[4:5]
	s_or_b64 exec, exec, s[2:3]
	v_cmp_lt_u32_e32 vcc, v31, v66
	s_and_saveexec_b64 s[2:3], vcc
	s_cbranch_execz .LBB2821_158
.LBB2821_217:
	v_lshlrev_b32_e32 v0, 1, v31
	v_readfirstlane_b32 s4, v2
	v_readfirstlane_b32 s5, v3
	s_waitcnt lgkmcnt(10)
	s_nop 3
	global_store_short v0, v32, s[4:5]
	s_or_b64 exec, exec, s[2:3]
	v_cmp_lt_u32_e32 vcc, v29, v66
	s_and_saveexec_b64 s[2:3], vcc
	s_cbranch_execz .LBB2821_159
.LBB2821_218:
	v_lshlrev_b32_e32 v0, 1, v29
	v_readfirstlane_b32 s4, v2
	v_readfirstlane_b32 s5, v3
	s_waitcnt lgkmcnt(9)
	s_nop 3
	global_store_short v0, v30, s[4:5]
	s_or_b64 exec, exec, s[2:3]
	v_cmp_lt_u32_e32 vcc, v27, v66
	s_and_saveexec_b64 s[2:3], vcc
	s_cbranch_execz .LBB2821_160
.LBB2821_219:
	v_lshlrev_b32_e32 v0, 1, v27
	v_readfirstlane_b32 s4, v2
	v_readfirstlane_b32 s5, v3
	s_waitcnt lgkmcnt(8)
	s_nop 3
	global_store_short v0, v28, s[4:5]
	s_or_b64 exec, exec, s[2:3]
	v_cmp_lt_u32_e32 vcc, v25, v66
	s_and_saveexec_b64 s[2:3], vcc
	s_cbranch_execz .LBB2821_161
.LBB2821_220:
	v_lshlrev_b32_e32 v0, 1, v25
	v_readfirstlane_b32 s4, v2
	v_readfirstlane_b32 s5, v3
	s_waitcnt lgkmcnt(7)
	s_nop 3
	global_store_short v0, v26, s[4:5]
	s_or_b64 exec, exec, s[2:3]
	v_cmp_lt_u32_e32 vcc, v23, v66
	s_and_saveexec_b64 s[2:3], vcc
	s_cbranch_execz .LBB2821_162
.LBB2821_221:
	v_lshlrev_b32_e32 v0, 1, v23
	v_readfirstlane_b32 s4, v2
	v_readfirstlane_b32 s5, v3
	s_waitcnt lgkmcnt(6)
	s_nop 3
	global_store_short v0, v24, s[4:5]
	s_or_b64 exec, exec, s[2:3]
	v_cmp_lt_u32_e32 vcc, v19, v66
	s_and_saveexec_b64 s[2:3], vcc
	s_cbranch_execz .LBB2821_163
.LBB2821_222:
	v_lshlrev_b32_e32 v0, 1, v19
	v_readfirstlane_b32 s4, v2
	v_readfirstlane_b32 s5, v3
	s_waitcnt lgkmcnt(5)
	s_nop 3
	global_store_short v0, v22, s[4:5]
	s_or_b64 exec, exec, s[2:3]
	v_cmp_lt_u32_e32 vcc, v16, v66
	s_and_saveexec_b64 s[2:3], vcc
	s_cbranch_execz .LBB2821_164
.LBB2821_223:
	v_lshlrev_b32_e32 v0, 1, v16
	v_readfirstlane_b32 s4, v2
	v_readfirstlane_b32 s5, v3
	s_waitcnt lgkmcnt(4)
	s_nop 3
	global_store_short v0, v17, s[4:5]
	s_or_b64 exec, exec, s[2:3]
	v_cmp_lt_u32_e32 vcc, v13, v66
	s_and_saveexec_b64 s[2:3], vcc
	s_cbranch_execz .LBB2821_165
.LBB2821_224:
	v_lshlrev_b32_e32 v0, 1, v13
	v_readfirstlane_b32 s4, v2
	v_readfirstlane_b32 s5, v3
	s_waitcnt lgkmcnt(3)
	s_nop 3
	global_store_short v0, v12, s[4:5]
	s_or_b64 exec, exec, s[2:3]
	v_cmp_lt_u32_e32 vcc, v11, v66
	s_and_saveexec_b64 s[2:3], vcc
	s_cbranch_execz .LBB2821_166
.LBB2821_225:
	v_lshlrev_b32_e32 v0, 1, v11
	v_readfirstlane_b32 s4, v2
	v_readfirstlane_b32 s5, v3
	s_waitcnt lgkmcnt(2)
	s_nop 3
	global_store_short v0, v10, s[4:5]
	s_or_b64 exec, exec, s[2:3]
	v_cmp_lt_u32_e32 vcc, v9, v66
	s_and_saveexec_b64 s[2:3], vcc
	s_cbranch_execnz .LBB2821_167
	s_branch .LBB2821_168
	.section	.rodata,"a",@progbits
	.p2align	6, 0x0
	.amdhsa_kernel _ZN7rocprim17ROCPRIM_400000_NS6detail17trampoline_kernelINS0_14default_configENS1_25partition_config_selectorILNS1_17partition_subalgoE0EsNS0_10empty_typeEbEEZZNS1_14partition_implILS5_0ELb0ES3_jN6thrust23THRUST_200600_302600_NS6detail15normal_iteratorINSA_10device_ptrIsEEEEPS6_SG_NS0_5tupleIJSF_NSA_16discard_iteratorINSA_11use_defaultEEEEEENSH_IJSG_SG_EEES6_PlJ7is_evenIsEEEE10hipError_tPvRmT3_T4_T5_T6_T7_T9_mT8_P12ihipStream_tbDpT10_ENKUlT_T0_E_clISt17integral_constantIbLb1EES19_EEDaS14_S15_EUlS14_E_NS1_11comp_targetILNS1_3genE4ELNS1_11target_archE910ELNS1_3gpuE8ELNS1_3repE0EEENS1_30default_config_static_selectorELNS0_4arch9wavefront6targetE1EEEvT1_
		.amdhsa_group_segment_fixed_size 14344
		.amdhsa_private_segment_fixed_size 0
		.amdhsa_kernarg_size 144
		.amdhsa_user_sgpr_count 6
		.amdhsa_user_sgpr_private_segment_buffer 1
		.amdhsa_user_sgpr_dispatch_ptr 0
		.amdhsa_user_sgpr_queue_ptr 0
		.amdhsa_user_sgpr_kernarg_segment_ptr 1
		.amdhsa_user_sgpr_dispatch_id 0
		.amdhsa_user_sgpr_flat_scratch_init 0
		.amdhsa_user_sgpr_kernarg_preload_length 0
		.amdhsa_user_sgpr_kernarg_preload_offset 0
		.amdhsa_user_sgpr_private_segment_size 0
		.amdhsa_uses_dynamic_stack 0
		.amdhsa_system_sgpr_private_segment_wavefront_offset 0
		.amdhsa_system_sgpr_workgroup_id_x 1
		.amdhsa_system_sgpr_workgroup_id_y 0
		.amdhsa_system_sgpr_workgroup_id_z 0
		.amdhsa_system_sgpr_workgroup_info 0
		.amdhsa_system_vgpr_workitem_id 0
		.amdhsa_next_free_vgpr 116
		.amdhsa_next_free_sgpr 40
		.amdhsa_accum_offset 116
		.amdhsa_reserve_vcc 1
		.amdhsa_reserve_flat_scratch 0
		.amdhsa_float_round_mode_32 0
		.amdhsa_float_round_mode_16_64 0
		.amdhsa_float_denorm_mode_32 3
		.amdhsa_float_denorm_mode_16_64 3
		.amdhsa_dx10_clamp 1
		.amdhsa_ieee_mode 1
		.amdhsa_fp16_overflow 0
		.amdhsa_tg_split 0
		.amdhsa_exception_fp_ieee_invalid_op 0
		.amdhsa_exception_fp_denorm_src 0
		.amdhsa_exception_fp_ieee_div_zero 0
		.amdhsa_exception_fp_ieee_overflow 0
		.amdhsa_exception_fp_ieee_underflow 0
		.amdhsa_exception_fp_ieee_inexact 0
		.amdhsa_exception_int_div_zero 0
	.end_amdhsa_kernel
	.section	.text._ZN7rocprim17ROCPRIM_400000_NS6detail17trampoline_kernelINS0_14default_configENS1_25partition_config_selectorILNS1_17partition_subalgoE0EsNS0_10empty_typeEbEEZZNS1_14partition_implILS5_0ELb0ES3_jN6thrust23THRUST_200600_302600_NS6detail15normal_iteratorINSA_10device_ptrIsEEEEPS6_SG_NS0_5tupleIJSF_NSA_16discard_iteratorINSA_11use_defaultEEEEEENSH_IJSG_SG_EEES6_PlJ7is_evenIsEEEE10hipError_tPvRmT3_T4_T5_T6_T7_T9_mT8_P12ihipStream_tbDpT10_ENKUlT_T0_E_clISt17integral_constantIbLb1EES19_EEDaS14_S15_EUlS14_E_NS1_11comp_targetILNS1_3genE4ELNS1_11target_archE910ELNS1_3gpuE8ELNS1_3repE0EEENS1_30default_config_static_selectorELNS0_4arch9wavefront6targetE1EEEvT1_,"axG",@progbits,_ZN7rocprim17ROCPRIM_400000_NS6detail17trampoline_kernelINS0_14default_configENS1_25partition_config_selectorILNS1_17partition_subalgoE0EsNS0_10empty_typeEbEEZZNS1_14partition_implILS5_0ELb0ES3_jN6thrust23THRUST_200600_302600_NS6detail15normal_iteratorINSA_10device_ptrIsEEEEPS6_SG_NS0_5tupleIJSF_NSA_16discard_iteratorINSA_11use_defaultEEEEEENSH_IJSG_SG_EEES6_PlJ7is_evenIsEEEE10hipError_tPvRmT3_T4_T5_T6_T7_T9_mT8_P12ihipStream_tbDpT10_ENKUlT_T0_E_clISt17integral_constantIbLb1EES19_EEDaS14_S15_EUlS14_E_NS1_11comp_targetILNS1_3genE4ELNS1_11target_archE910ELNS1_3gpuE8ELNS1_3repE0EEENS1_30default_config_static_selectorELNS0_4arch9wavefront6targetE1EEEvT1_,comdat
.Lfunc_end2821:
	.size	_ZN7rocprim17ROCPRIM_400000_NS6detail17trampoline_kernelINS0_14default_configENS1_25partition_config_selectorILNS1_17partition_subalgoE0EsNS0_10empty_typeEbEEZZNS1_14partition_implILS5_0ELb0ES3_jN6thrust23THRUST_200600_302600_NS6detail15normal_iteratorINSA_10device_ptrIsEEEEPS6_SG_NS0_5tupleIJSF_NSA_16discard_iteratorINSA_11use_defaultEEEEEENSH_IJSG_SG_EEES6_PlJ7is_evenIsEEEE10hipError_tPvRmT3_T4_T5_T6_T7_T9_mT8_P12ihipStream_tbDpT10_ENKUlT_T0_E_clISt17integral_constantIbLb1EES19_EEDaS14_S15_EUlS14_E_NS1_11comp_targetILNS1_3genE4ELNS1_11target_archE910ELNS1_3gpuE8ELNS1_3repE0EEENS1_30default_config_static_selectorELNS0_4arch9wavefront6targetE1EEEvT1_, .Lfunc_end2821-_ZN7rocprim17ROCPRIM_400000_NS6detail17trampoline_kernelINS0_14default_configENS1_25partition_config_selectorILNS1_17partition_subalgoE0EsNS0_10empty_typeEbEEZZNS1_14partition_implILS5_0ELb0ES3_jN6thrust23THRUST_200600_302600_NS6detail15normal_iteratorINSA_10device_ptrIsEEEEPS6_SG_NS0_5tupleIJSF_NSA_16discard_iteratorINSA_11use_defaultEEEEEENSH_IJSG_SG_EEES6_PlJ7is_evenIsEEEE10hipError_tPvRmT3_T4_T5_T6_T7_T9_mT8_P12ihipStream_tbDpT10_ENKUlT_T0_E_clISt17integral_constantIbLb1EES19_EEDaS14_S15_EUlS14_E_NS1_11comp_targetILNS1_3genE4ELNS1_11target_archE910ELNS1_3gpuE8ELNS1_3repE0EEENS1_30default_config_static_selectorELNS0_4arch9wavefront6targetE1EEEvT1_
                                        ; -- End function
	.section	.AMDGPU.csdata,"",@progbits
; Kernel info:
; codeLenInByte = 10436
; NumSgprs: 44
; NumVgprs: 116
; NumAgprs: 0
; TotalNumVgprs: 116
; ScratchSize: 0
; MemoryBound: 0
; FloatMode: 240
; IeeeMode: 1
; LDSByteSize: 14344 bytes/workgroup (compile time only)
; SGPRBlocks: 5
; VGPRBlocks: 14
; NumSGPRsForWavesPerEU: 44
; NumVGPRsForWavesPerEU: 116
; AccumOffset: 116
; Occupancy: 4
; WaveLimiterHint : 1
; COMPUTE_PGM_RSRC2:SCRATCH_EN: 0
; COMPUTE_PGM_RSRC2:USER_SGPR: 6
; COMPUTE_PGM_RSRC2:TRAP_HANDLER: 0
; COMPUTE_PGM_RSRC2:TGID_X_EN: 1
; COMPUTE_PGM_RSRC2:TGID_Y_EN: 0
; COMPUTE_PGM_RSRC2:TGID_Z_EN: 0
; COMPUTE_PGM_RSRC2:TIDIG_COMP_CNT: 0
; COMPUTE_PGM_RSRC3_GFX90A:ACCUM_OFFSET: 28
; COMPUTE_PGM_RSRC3_GFX90A:TG_SPLIT: 0
	.section	.text._ZN7rocprim17ROCPRIM_400000_NS6detail17trampoline_kernelINS0_14default_configENS1_25partition_config_selectorILNS1_17partition_subalgoE0EsNS0_10empty_typeEbEEZZNS1_14partition_implILS5_0ELb0ES3_jN6thrust23THRUST_200600_302600_NS6detail15normal_iteratorINSA_10device_ptrIsEEEEPS6_SG_NS0_5tupleIJSF_NSA_16discard_iteratorINSA_11use_defaultEEEEEENSH_IJSG_SG_EEES6_PlJ7is_evenIsEEEE10hipError_tPvRmT3_T4_T5_T6_T7_T9_mT8_P12ihipStream_tbDpT10_ENKUlT_T0_E_clISt17integral_constantIbLb1EES19_EEDaS14_S15_EUlS14_E_NS1_11comp_targetILNS1_3genE3ELNS1_11target_archE908ELNS1_3gpuE7ELNS1_3repE0EEENS1_30default_config_static_selectorELNS0_4arch9wavefront6targetE1EEEvT1_,"axG",@progbits,_ZN7rocprim17ROCPRIM_400000_NS6detail17trampoline_kernelINS0_14default_configENS1_25partition_config_selectorILNS1_17partition_subalgoE0EsNS0_10empty_typeEbEEZZNS1_14partition_implILS5_0ELb0ES3_jN6thrust23THRUST_200600_302600_NS6detail15normal_iteratorINSA_10device_ptrIsEEEEPS6_SG_NS0_5tupleIJSF_NSA_16discard_iteratorINSA_11use_defaultEEEEEENSH_IJSG_SG_EEES6_PlJ7is_evenIsEEEE10hipError_tPvRmT3_T4_T5_T6_T7_T9_mT8_P12ihipStream_tbDpT10_ENKUlT_T0_E_clISt17integral_constantIbLb1EES19_EEDaS14_S15_EUlS14_E_NS1_11comp_targetILNS1_3genE3ELNS1_11target_archE908ELNS1_3gpuE7ELNS1_3repE0EEENS1_30default_config_static_selectorELNS0_4arch9wavefront6targetE1EEEvT1_,comdat
	.protected	_ZN7rocprim17ROCPRIM_400000_NS6detail17trampoline_kernelINS0_14default_configENS1_25partition_config_selectorILNS1_17partition_subalgoE0EsNS0_10empty_typeEbEEZZNS1_14partition_implILS5_0ELb0ES3_jN6thrust23THRUST_200600_302600_NS6detail15normal_iteratorINSA_10device_ptrIsEEEEPS6_SG_NS0_5tupleIJSF_NSA_16discard_iteratorINSA_11use_defaultEEEEEENSH_IJSG_SG_EEES6_PlJ7is_evenIsEEEE10hipError_tPvRmT3_T4_T5_T6_T7_T9_mT8_P12ihipStream_tbDpT10_ENKUlT_T0_E_clISt17integral_constantIbLb1EES19_EEDaS14_S15_EUlS14_E_NS1_11comp_targetILNS1_3genE3ELNS1_11target_archE908ELNS1_3gpuE7ELNS1_3repE0EEENS1_30default_config_static_selectorELNS0_4arch9wavefront6targetE1EEEvT1_ ; -- Begin function _ZN7rocprim17ROCPRIM_400000_NS6detail17trampoline_kernelINS0_14default_configENS1_25partition_config_selectorILNS1_17partition_subalgoE0EsNS0_10empty_typeEbEEZZNS1_14partition_implILS5_0ELb0ES3_jN6thrust23THRUST_200600_302600_NS6detail15normal_iteratorINSA_10device_ptrIsEEEEPS6_SG_NS0_5tupleIJSF_NSA_16discard_iteratorINSA_11use_defaultEEEEEENSH_IJSG_SG_EEES6_PlJ7is_evenIsEEEE10hipError_tPvRmT3_T4_T5_T6_T7_T9_mT8_P12ihipStream_tbDpT10_ENKUlT_T0_E_clISt17integral_constantIbLb1EES19_EEDaS14_S15_EUlS14_E_NS1_11comp_targetILNS1_3genE3ELNS1_11target_archE908ELNS1_3gpuE7ELNS1_3repE0EEENS1_30default_config_static_selectorELNS0_4arch9wavefront6targetE1EEEvT1_
	.globl	_ZN7rocprim17ROCPRIM_400000_NS6detail17trampoline_kernelINS0_14default_configENS1_25partition_config_selectorILNS1_17partition_subalgoE0EsNS0_10empty_typeEbEEZZNS1_14partition_implILS5_0ELb0ES3_jN6thrust23THRUST_200600_302600_NS6detail15normal_iteratorINSA_10device_ptrIsEEEEPS6_SG_NS0_5tupleIJSF_NSA_16discard_iteratorINSA_11use_defaultEEEEEENSH_IJSG_SG_EEES6_PlJ7is_evenIsEEEE10hipError_tPvRmT3_T4_T5_T6_T7_T9_mT8_P12ihipStream_tbDpT10_ENKUlT_T0_E_clISt17integral_constantIbLb1EES19_EEDaS14_S15_EUlS14_E_NS1_11comp_targetILNS1_3genE3ELNS1_11target_archE908ELNS1_3gpuE7ELNS1_3repE0EEENS1_30default_config_static_selectorELNS0_4arch9wavefront6targetE1EEEvT1_
	.p2align	8
	.type	_ZN7rocprim17ROCPRIM_400000_NS6detail17trampoline_kernelINS0_14default_configENS1_25partition_config_selectorILNS1_17partition_subalgoE0EsNS0_10empty_typeEbEEZZNS1_14partition_implILS5_0ELb0ES3_jN6thrust23THRUST_200600_302600_NS6detail15normal_iteratorINSA_10device_ptrIsEEEEPS6_SG_NS0_5tupleIJSF_NSA_16discard_iteratorINSA_11use_defaultEEEEEENSH_IJSG_SG_EEES6_PlJ7is_evenIsEEEE10hipError_tPvRmT3_T4_T5_T6_T7_T9_mT8_P12ihipStream_tbDpT10_ENKUlT_T0_E_clISt17integral_constantIbLb1EES19_EEDaS14_S15_EUlS14_E_NS1_11comp_targetILNS1_3genE3ELNS1_11target_archE908ELNS1_3gpuE7ELNS1_3repE0EEENS1_30default_config_static_selectorELNS0_4arch9wavefront6targetE1EEEvT1_,@function
_ZN7rocprim17ROCPRIM_400000_NS6detail17trampoline_kernelINS0_14default_configENS1_25partition_config_selectorILNS1_17partition_subalgoE0EsNS0_10empty_typeEbEEZZNS1_14partition_implILS5_0ELb0ES3_jN6thrust23THRUST_200600_302600_NS6detail15normal_iteratorINSA_10device_ptrIsEEEEPS6_SG_NS0_5tupleIJSF_NSA_16discard_iteratorINSA_11use_defaultEEEEEENSH_IJSG_SG_EEES6_PlJ7is_evenIsEEEE10hipError_tPvRmT3_T4_T5_T6_T7_T9_mT8_P12ihipStream_tbDpT10_ENKUlT_T0_E_clISt17integral_constantIbLb1EES19_EEDaS14_S15_EUlS14_E_NS1_11comp_targetILNS1_3genE3ELNS1_11target_archE908ELNS1_3gpuE7ELNS1_3repE0EEENS1_30default_config_static_selectorELNS0_4arch9wavefront6targetE1EEEvT1_: ; @_ZN7rocprim17ROCPRIM_400000_NS6detail17trampoline_kernelINS0_14default_configENS1_25partition_config_selectorILNS1_17partition_subalgoE0EsNS0_10empty_typeEbEEZZNS1_14partition_implILS5_0ELb0ES3_jN6thrust23THRUST_200600_302600_NS6detail15normal_iteratorINSA_10device_ptrIsEEEEPS6_SG_NS0_5tupleIJSF_NSA_16discard_iteratorINSA_11use_defaultEEEEEENSH_IJSG_SG_EEES6_PlJ7is_evenIsEEEE10hipError_tPvRmT3_T4_T5_T6_T7_T9_mT8_P12ihipStream_tbDpT10_ENKUlT_T0_E_clISt17integral_constantIbLb1EES19_EEDaS14_S15_EUlS14_E_NS1_11comp_targetILNS1_3genE3ELNS1_11target_archE908ELNS1_3gpuE7ELNS1_3repE0EEENS1_30default_config_static_selectorELNS0_4arch9wavefront6targetE1EEEvT1_
; %bb.0:
	.section	.rodata,"a",@progbits
	.p2align	6, 0x0
	.amdhsa_kernel _ZN7rocprim17ROCPRIM_400000_NS6detail17trampoline_kernelINS0_14default_configENS1_25partition_config_selectorILNS1_17partition_subalgoE0EsNS0_10empty_typeEbEEZZNS1_14partition_implILS5_0ELb0ES3_jN6thrust23THRUST_200600_302600_NS6detail15normal_iteratorINSA_10device_ptrIsEEEEPS6_SG_NS0_5tupleIJSF_NSA_16discard_iteratorINSA_11use_defaultEEEEEENSH_IJSG_SG_EEES6_PlJ7is_evenIsEEEE10hipError_tPvRmT3_T4_T5_T6_T7_T9_mT8_P12ihipStream_tbDpT10_ENKUlT_T0_E_clISt17integral_constantIbLb1EES19_EEDaS14_S15_EUlS14_E_NS1_11comp_targetILNS1_3genE3ELNS1_11target_archE908ELNS1_3gpuE7ELNS1_3repE0EEENS1_30default_config_static_selectorELNS0_4arch9wavefront6targetE1EEEvT1_
		.amdhsa_group_segment_fixed_size 0
		.amdhsa_private_segment_fixed_size 0
		.amdhsa_kernarg_size 144
		.amdhsa_user_sgpr_count 6
		.amdhsa_user_sgpr_private_segment_buffer 1
		.amdhsa_user_sgpr_dispatch_ptr 0
		.amdhsa_user_sgpr_queue_ptr 0
		.amdhsa_user_sgpr_kernarg_segment_ptr 1
		.amdhsa_user_sgpr_dispatch_id 0
		.amdhsa_user_sgpr_flat_scratch_init 0
		.amdhsa_user_sgpr_kernarg_preload_length 0
		.amdhsa_user_sgpr_kernarg_preload_offset 0
		.amdhsa_user_sgpr_private_segment_size 0
		.amdhsa_uses_dynamic_stack 0
		.amdhsa_system_sgpr_private_segment_wavefront_offset 0
		.amdhsa_system_sgpr_workgroup_id_x 1
		.amdhsa_system_sgpr_workgroup_id_y 0
		.amdhsa_system_sgpr_workgroup_id_z 0
		.amdhsa_system_sgpr_workgroup_info 0
		.amdhsa_system_vgpr_workitem_id 0
		.amdhsa_next_free_vgpr 1
		.amdhsa_next_free_sgpr 0
		.amdhsa_accum_offset 4
		.amdhsa_reserve_vcc 0
		.amdhsa_reserve_flat_scratch 0
		.amdhsa_float_round_mode_32 0
		.amdhsa_float_round_mode_16_64 0
		.amdhsa_float_denorm_mode_32 3
		.amdhsa_float_denorm_mode_16_64 3
		.amdhsa_dx10_clamp 1
		.amdhsa_ieee_mode 1
		.amdhsa_fp16_overflow 0
		.amdhsa_tg_split 0
		.amdhsa_exception_fp_ieee_invalid_op 0
		.amdhsa_exception_fp_denorm_src 0
		.amdhsa_exception_fp_ieee_div_zero 0
		.amdhsa_exception_fp_ieee_overflow 0
		.amdhsa_exception_fp_ieee_underflow 0
		.amdhsa_exception_fp_ieee_inexact 0
		.amdhsa_exception_int_div_zero 0
	.end_amdhsa_kernel
	.section	.text._ZN7rocprim17ROCPRIM_400000_NS6detail17trampoline_kernelINS0_14default_configENS1_25partition_config_selectorILNS1_17partition_subalgoE0EsNS0_10empty_typeEbEEZZNS1_14partition_implILS5_0ELb0ES3_jN6thrust23THRUST_200600_302600_NS6detail15normal_iteratorINSA_10device_ptrIsEEEEPS6_SG_NS0_5tupleIJSF_NSA_16discard_iteratorINSA_11use_defaultEEEEEENSH_IJSG_SG_EEES6_PlJ7is_evenIsEEEE10hipError_tPvRmT3_T4_T5_T6_T7_T9_mT8_P12ihipStream_tbDpT10_ENKUlT_T0_E_clISt17integral_constantIbLb1EES19_EEDaS14_S15_EUlS14_E_NS1_11comp_targetILNS1_3genE3ELNS1_11target_archE908ELNS1_3gpuE7ELNS1_3repE0EEENS1_30default_config_static_selectorELNS0_4arch9wavefront6targetE1EEEvT1_,"axG",@progbits,_ZN7rocprim17ROCPRIM_400000_NS6detail17trampoline_kernelINS0_14default_configENS1_25partition_config_selectorILNS1_17partition_subalgoE0EsNS0_10empty_typeEbEEZZNS1_14partition_implILS5_0ELb0ES3_jN6thrust23THRUST_200600_302600_NS6detail15normal_iteratorINSA_10device_ptrIsEEEEPS6_SG_NS0_5tupleIJSF_NSA_16discard_iteratorINSA_11use_defaultEEEEEENSH_IJSG_SG_EEES6_PlJ7is_evenIsEEEE10hipError_tPvRmT3_T4_T5_T6_T7_T9_mT8_P12ihipStream_tbDpT10_ENKUlT_T0_E_clISt17integral_constantIbLb1EES19_EEDaS14_S15_EUlS14_E_NS1_11comp_targetILNS1_3genE3ELNS1_11target_archE908ELNS1_3gpuE7ELNS1_3repE0EEENS1_30default_config_static_selectorELNS0_4arch9wavefront6targetE1EEEvT1_,comdat
.Lfunc_end2822:
	.size	_ZN7rocprim17ROCPRIM_400000_NS6detail17trampoline_kernelINS0_14default_configENS1_25partition_config_selectorILNS1_17partition_subalgoE0EsNS0_10empty_typeEbEEZZNS1_14partition_implILS5_0ELb0ES3_jN6thrust23THRUST_200600_302600_NS6detail15normal_iteratorINSA_10device_ptrIsEEEEPS6_SG_NS0_5tupleIJSF_NSA_16discard_iteratorINSA_11use_defaultEEEEEENSH_IJSG_SG_EEES6_PlJ7is_evenIsEEEE10hipError_tPvRmT3_T4_T5_T6_T7_T9_mT8_P12ihipStream_tbDpT10_ENKUlT_T0_E_clISt17integral_constantIbLb1EES19_EEDaS14_S15_EUlS14_E_NS1_11comp_targetILNS1_3genE3ELNS1_11target_archE908ELNS1_3gpuE7ELNS1_3repE0EEENS1_30default_config_static_selectorELNS0_4arch9wavefront6targetE1EEEvT1_, .Lfunc_end2822-_ZN7rocprim17ROCPRIM_400000_NS6detail17trampoline_kernelINS0_14default_configENS1_25partition_config_selectorILNS1_17partition_subalgoE0EsNS0_10empty_typeEbEEZZNS1_14partition_implILS5_0ELb0ES3_jN6thrust23THRUST_200600_302600_NS6detail15normal_iteratorINSA_10device_ptrIsEEEEPS6_SG_NS0_5tupleIJSF_NSA_16discard_iteratorINSA_11use_defaultEEEEEENSH_IJSG_SG_EEES6_PlJ7is_evenIsEEEE10hipError_tPvRmT3_T4_T5_T6_T7_T9_mT8_P12ihipStream_tbDpT10_ENKUlT_T0_E_clISt17integral_constantIbLb1EES19_EEDaS14_S15_EUlS14_E_NS1_11comp_targetILNS1_3genE3ELNS1_11target_archE908ELNS1_3gpuE7ELNS1_3repE0EEENS1_30default_config_static_selectorELNS0_4arch9wavefront6targetE1EEEvT1_
                                        ; -- End function
	.section	.AMDGPU.csdata,"",@progbits
; Kernel info:
; codeLenInByte = 0
; NumSgprs: 4
; NumVgprs: 0
; NumAgprs: 0
; TotalNumVgprs: 0
; ScratchSize: 0
; MemoryBound: 0
; FloatMode: 240
; IeeeMode: 1
; LDSByteSize: 0 bytes/workgroup (compile time only)
; SGPRBlocks: 0
; VGPRBlocks: 0
; NumSGPRsForWavesPerEU: 4
; NumVGPRsForWavesPerEU: 1
; AccumOffset: 4
; Occupancy: 8
; WaveLimiterHint : 0
; COMPUTE_PGM_RSRC2:SCRATCH_EN: 0
; COMPUTE_PGM_RSRC2:USER_SGPR: 6
; COMPUTE_PGM_RSRC2:TRAP_HANDLER: 0
; COMPUTE_PGM_RSRC2:TGID_X_EN: 1
; COMPUTE_PGM_RSRC2:TGID_Y_EN: 0
; COMPUTE_PGM_RSRC2:TGID_Z_EN: 0
; COMPUTE_PGM_RSRC2:TIDIG_COMP_CNT: 0
; COMPUTE_PGM_RSRC3_GFX90A:ACCUM_OFFSET: 0
; COMPUTE_PGM_RSRC3_GFX90A:TG_SPLIT: 0
	.section	.text._ZN7rocprim17ROCPRIM_400000_NS6detail17trampoline_kernelINS0_14default_configENS1_25partition_config_selectorILNS1_17partition_subalgoE0EsNS0_10empty_typeEbEEZZNS1_14partition_implILS5_0ELb0ES3_jN6thrust23THRUST_200600_302600_NS6detail15normal_iteratorINSA_10device_ptrIsEEEEPS6_SG_NS0_5tupleIJSF_NSA_16discard_iteratorINSA_11use_defaultEEEEEENSH_IJSG_SG_EEES6_PlJ7is_evenIsEEEE10hipError_tPvRmT3_T4_T5_T6_T7_T9_mT8_P12ihipStream_tbDpT10_ENKUlT_T0_E_clISt17integral_constantIbLb1EES19_EEDaS14_S15_EUlS14_E_NS1_11comp_targetILNS1_3genE2ELNS1_11target_archE906ELNS1_3gpuE6ELNS1_3repE0EEENS1_30default_config_static_selectorELNS0_4arch9wavefront6targetE1EEEvT1_,"axG",@progbits,_ZN7rocprim17ROCPRIM_400000_NS6detail17trampoline_kernelINS0_14default_configENS1_25partition_config_selectorILNS1_17partition_subalgoE0EsNS0_10empty_typeEbEEZZNS1_14partition_implILS5_0ELb0ES3_jN6thrust23THRUST_200600_302600_NS6detail15normal_iteratorINSA_10device_ptrIsEEEEPS6_SG_NS0_5tupleIJSF_NSA_16discard_iteratorINSA_11use_defaultEEEEEENSH_IJSG_SG_EEES6_PlJ7is_evenIsEEEE10hipError_tPvRmT3_T4_T5_T6_T7_T9_mT8_P12ihipStream_tbDpT10_ENKUlT_T0_E_clISt17integral_constantIbLb1EES19_EEDaS14_S15_EUlS14_E_NS1_11comp_targetILNS1_3genE2ELNS1_11target_archE906ELNS1_3gpuE6ELNS1_3repE0EEENS1_30default_config_static_selectorELNS0_4arch9wavefront6targetE1EEEvT1_,comdat
	.protected	_ZN7rocprim17ROCPRIM_400000_NS6detail17trampoline_kernelINS0_14default_configENS1_25partition_config_selectorILNS1_17partition_subalgoE0EsNS0_10empty_typeEbEEZZNS1_14partition_implILS5_0ELb0ES3_jN6thrust23THRUST_200600_302600_NS6detail15normal_iteratorINSA_10device_ptrIsEEEEPS6_SG_NS0_5tupleIJSF_NSA_16discard_iteratorINSA_11use_defaultEEEEEENSH_IJSG_SG_EEES6_PlJ7is_evenIsEEEE10hipError_tPvRmT3_T4_T5_T6_T7_T9_mT8_P12ihipStream_tbDpT10_ENKUlT_T0_E_clISt17integral_constantIbLb1EES19_EEDaS14_S15_EUlS14_E_NS1_11comp_targetILNS1_3genE2ELNS1_11target_archE906ELNS1_3gpuE6ELNS1_3repE0EEENS1_30default_config_static_selectorELNS0_4arch9wavefront6targetE1EEEvT1_ ; -- Begin function _ZN7rocprim17ROCPRIM_400000_NS6detail17trampoline_kernelINS0_14default_configENS1_25partition_config_selectorILNS1_17partition_subalgoE0EsNS0_10empty_typeEbEEZZNS1_14partition_implILS5_0ELb0ES3_jN6thrust23THRUST_200600_302600_NS6detail15normal_iteratorINSA_10device_ptrIsEEEEPS6_SG_NS0_5tupleIJSF_NSA_16discard_iteratorINSA_11use_defaultEEEEEENSH_IJSG_SG_EEES6_PlJ7is_evenIsEEEE10hipError_tPvRmT3_T4_T5_T6_T7_T9_mT8_P12ihipStream_tbDpT10_ENKUlT_T0_E_clISt17integral_constantIbLb1EES19_EEDaS14_S15_EUlS14_E_NS1_11comp_targetILNS1_3genE2ELNS1_11target_archE906ELNS1_3gpuE6ELNS1_3repE0EEENS1_30default_config_static_selectorELNS0_4arch9wavefront6targetE1EEEvT1_
	.globl	_ZN7rocprim17ROCPRIM_400000_NS6detail17trampoline_kernelINS0_14default_configENS1_25partition_config_selectorILNS1_17partition_subalgoE0EsNS0_10empty_typeEbEEZZNS1_14partition_implILS5_0ELb0ES3_jN6thrust23THRUST_200600_302600_NS6detail15normal_iteratorINSA_10device_ptrIsEEEEPS6_SG_NS0_5tupleIJSF_NSA_16discard_iteratorINSA_11use_defaultEEEEEENSH_IJSG_SG_EEES6_PlJ7is_evenIsEEEE10hipError_tPvRmT3_T4_T5_T6_T7_T9_mT8_P12ihipStream_tbDpT10_ENKUlT_T0_E_clISt17integral_constantIbLb1EES19_EEDaS14_S15_EUlS14_E_NS1_11comp_targetILNS1_3genE2ELNS1_11target_archE906ELNS1_3gpuE6ELNS1_3repE0EEENS1_30default_config_static_selectorELNS0_4arch9wavefront6targetE1EEEvT1_
	.p2align	8
	.type	_ZN7rocprim17ROCPRIM_400000_NS6detail17trampoline_kernelINS0_14default_configENS1_25partition_config_selectorILNS1_17partition_subalgoE0EsNS0_10empty_typeEbEEZZNS1_14partition_implILS5_0ELb0ES3_jN6thrust23THRUST_200600_302600_NS6detail15normal_iteratorINSA_10device_ptrIsEEEEPS6_SG_NS0_5tupleIJSF_NSA_16discard_iteratorINSA_11use_defaultEEEEEENSH_IJSG_SG_EEES6_PlJ7is_evenIsEEEE10hipError_tPvRmT3_T4_T5_T6_T7_T9_mT8_P12ihipStream_tbDpT10_ENKUlT_T0_E_clISt17integral_constantIbLb1EES19_EEDaS14_S15_EUlS14_E_NS1_11comp_targetILNS1_3genE2ELNS1_11target_archE906ELNS1_3gpuE6ELNS1_3repE0EEENS1_30default_config_static_selectorELNS0_4arch9wavefront6targetE1EEEvT1_,@function
_ZN7rocprim17ROCPRIM_400000_NS6detail17trampoline_kernelINS0_14default_configENS1_25partition_config_selectorILNS1_17partition_subalgoE0EsNS0_10empty_typeEbEEZZNS1_14partition_implILS5_0ELb0ES3_jN6thrust23THRUST_200600_302600_NS6detail15normal_iteratorINSA_10device_ptrIsEEEEPS6_SG_NS0_5tupleIJSF_NSA_16discard_iteratorINSA_11use_defaultEEEEEENSH_IJSG_SG_EEES6_PlJ7is_evenIsEEEE10hipError_tPvRmT3_T4_T5_T6_T7_T9_mT8_P12ihipStream_tbDpT10_ENKUlT_T0_E_clISt17integral_constantIbLb1EES19_EEDaS14_S15_EUlS14_E_NS1_11comp_targetILNS1_3genE2ELNS1_11target_archE906ELNS1_3gpuE6ELNS1_3repE0EEENS1_30default_config_static_selectorELNS0_4arch9wavefront6targetE1EEEvT1_: ; @_ZN7rocprim17ROCPRIM_400000_NS6detail17trampoline_kernelINS0_14default_configENS1_25partition_config_selectorILNS1_17partition_subalgoE0EsNS0_10empty_typeEbEEZZNS1_14partition_implILS5_0ELb0ES3_jN6thrust23THRUST_200600_302600_NS6detail15normal_iteratorINSA_10device_ptrIsEEEEPS6_SG_NS0_5tupleIJSF_NSA_16discard_iteratorINSA_11use_defaultEEEEEENSH_IJSG_SG_EEES6_PlJ7is_evenIsEEEE10hipError_tPvRmT3_T4_T5_T6_T7_T9_mT8_P12ihipStream_tbDpT10_ENKUlT_T0_E_clISt17integral_constantIbLb1EES19_EEDaS14_S15_EUlS14_E_NS1_11comp_targetILNS1_3genE2ELNS1_11target_archE906ELNS1_3gpuE6ELNS1_3repE0EEENS1_30default_config_static_selectorELNS0_4arch9wavefront6targetE1EEEvT1_
; %bb.0:
	.section	.rodata,"a",@progbits
	.p2align	6, 0x0
	.amdhsa_kernel _ZN7rocprim17ROCPRIM_400000_NS6detail17trampoline_kernelINS0_14default_configENS1_25partition_config_selectorILNS1_17partition_subalgoE0EsNS0_10empty_typeEbEEZZNS1_14partition_implILS5_0ELb0ES3_jN6thrust23THRUST_200600_302600_NS6detail15normal_iteratorINSA_10device_ptrIsEEEEPS6_SG_NS0_5tupleIJSF_NSA_16discard_iteratorINSA_11use_defaultEEEEEENSH_IJSG_SG_EEES6_PlJ7is_evenIsEEEE10hipError_tPvRmT3_T4_T5_T6_T7_T9_mT8_P12ihipStream_tbDpT10_ENKUlT_T0_E_clISt17integral_constantIbLb1EES19_EEDaS14_S15_EUlS14_E_NS1_11comp_targetILNS1_3genE2ELNS1_11target_archE906ELNS1_3gpuE6ELNS1_3repE0EEENS1_30default_config_static_selectorELNS0_4arch9wavefront6targetE1EEEvT1_
		.amdhsa_group_segment_fixed_size 0
		.amdhsa_private_segment_fixed_size 0
		.amdhsa_kernarg_size 144
		.amdhsa_user_sgpr_count 6
		.amdhsa_user_sgpr_private_segment_buffer 1
		.amdhsa_user_sgpr_dispatch_ptr 0
		.amdhsa_user_sgpr_queue_ptr 0
		.amdhsa_user_sgpr_kernarg_segment_ptr 1
		.amdhsa_user_sgpr_dispatch_id 0
		.amdhsa_user_sgpr_flat_scratch_init 0
		.amdhsa_user_sgpr_kernarg_preload_length 0
		.amdhsa_user_sgpr_kernarg_preload_offset 0
		.amdhsa_user_sgpr_private_segment_size 0
		.amdhsa_uses_dynamic_stack 0
		.amdhsa_system_sgpr_private_segment_wavefront_offset 0
		.amdhsa_system_sgpr_workgroup_id_x 1
		.amdhsa_system_sgpr_workgroup_id_y 0
		.amdhsa_system_sgpr_workgroup_id_z 0
		.amdhsa_system_sgpr_workgroup_info 0
		.amdhsa_system_vgpr_workitem_id 0
		.amdhsa_next_free_vgpr 1
		.amdhsa_next_free_sgpr 0
		.amdhsa_accum_offset 4
		.amdhsa_reserve_vcc 0
		.amdhsa_reserve_flat_scratch 0
		.amdhsa_float_round_mode_32 0
		.amdhsa_float_round_mode_16_64 0
		.amdhsa_float_denorm_mode_32 3
		.amdhsa_float_denorm_mode_16_64 3
		.amdhsa_dx10_clamp 1
		.amdhsa_ieee_mode 1
		.amdhsa_fp16_overflow 0
		.amdhsa_tg_split 0
		.amdhsa_exception_fp_ieee_invalid_op 0
		.amdhsa_exception_fp_denorm_src 0
		.amdhsa_exception_fp_ieee_div_zero 0
		.amdhsa_exception_fp_ieee_overflow 0
		.amdhsa_exception_fp_ieee_underflow 0
		.amdhsa_exception_fp_ieee_inexact 0
		.amdhsa_exception_int_div_zero 0
	.end_amdhsa_kernel
	.section	.text._ZN7rocprim17ROCPRIM_400000_NS6detail17trampoline_kernelINS0_14default_configENS1_25partition_config_selectorILNS1_17partition_subalgoE0EsNS0_10empty_typeEbEEZZNS1_14partition_implILS5_0ELb0ES3_jN6thrust23THRUST_200600_302600_NS6detail15normal_iteratorINSA_10device_ptrIsEEEEPS6_SG_NS0_5tupleIJSF_NSA_16discard_iteratorINSA_11use_defaultEEEEEENSH_IJSG_SG_EEES6_PlJ7is_evenIsEEEE10hipError_tPvRmT3_T4_T5_T6_T7_T9_mT8_P12ihipStream_tbDpT10_ENKUlT_T0_E_clISt17integral_constantIbLb1EES19_EEDaS14_S15_EUlS14_E_NS1_11comp_targetILNS1_3genE2ELNS1_11target_archE906ELNS1_3gpuE6ELNS1_3repE0EEENS1_30default_config_static_selectorELNS0_4arch9wavefront6targetE1EEEvT1_,"axG",@progbits,_ZN7rocprim17ROCPRIM_400000_NS6detail17trampoline_kernelINS0_14default_configENS1_25partition_config_selectorILNS1_17partition_subalgoE0EsNS0_10empty_typeEbEEZZNS1_14partition_implILS5_0ELb0ES3_jN6thrust23THRUST_200600_302600_NS6detail15normal_iteratorINSA_10device_ptrIsEEEEPS6_SG_NS0_5tupleIJSF_NSA_16discard_iteratorINSA_11use_defaultEEEEEENSH_IJSG_SG_EEES6_PlJ7is_evenIsEEEE10hipError_tPvRmT3_T4_T5_T6_T7_T9_mT8_P12ihipStream_tbDpT10_ENKUlT_T0_E_clISt17integral_constantIbLb1EES19_EEDaS14_S15_EUlS14_E_NS1_11comp_targetILNS1_3genE2ELNS1_11target_archE906ELNS1_3gpuE6ELNS1_3repE0EEENS1_30default_config_static_selectorELNS0_4arch9wavefront6targetE1EEEvT1_,comdat
.Lfunc_end2823:
	.size	_ZN7rocprim17ROCPRIM_400000_NS6detail17trampoline_kernelINS0_14default_configENS1_25partition_config_selectorILNS1_17partition_subalgoE0EsNS0_10empty_typeEbEEZZNS1_14partition_implILS5_0ELb0ES3_jN6thrust23THRUST_200600_302600_NS6detail15normal_iteratorINSA_10device_ptrIsEEEEPS6_SG_NS0_5tupleIJSF_NSA_16discard_iteratorINSA_11use_defaultEEEEEENSH_IJSG_SG_EEES6_PlJ7is_evenIsEEEE10hipError_tPvRmT3_T4_T5_T6_T7_T9_mT8_P12ihipStream_tbDpT10_ENKUlT_T0_E_clISt17integral_constantIbLb1EES19_EEDaS14_S15_EUlS14_E_NS1_11comp_targetILNS1_3genE2ELNS1_11target_archE906ELNS1_3gpuE6ELNS1_3repE0EEENS1_30default_config_static_selectorELNS0_4arch9wavefront6targetE1EEEvT1_, .Lfunc_end2823-_ZN7rocprim17ROCPRIM_400000_NS6detail17trampoline_kernelINS0_14default_configENS1_25partition_config_selectorILNS1_17partition_subalgoE0EsNS0_10empty_typeEbEEZZNS1_14partition_implILS5_0ELb0ES3_jN6thrust23THRUST_200600_302600_NS6detail15normal_iteratorINSA_10device_ptrIsEEEEPS6_SG_NS0_5tupleIJSF_NSA_16discard_iteratorINSA_11use_defaultEEEEEENSH_IJSG_SG_EEES6_PlJ7is_evenIsEEEE10hipError_tPvRmT3_T4_T5_T6_T7_T9_mT8_P12ihipStream_tbDpT10_ENKUlT_T0_E_clISt17integral_constantIbLb1EES19_EEDaS14_S15_EUlS14_E_NS1_11comp_targetILNS1_3genE2ELNS1_11target_archE906ELNS1_3gpuE6ELNS1_3repE0EEENS1_30default_config_static_selectorELNS0_4arch9wavefront6targetE1EEEvT1_
                                        ; -- End function
	.section	.AMDGPU.csdata,"",@progbits
; Kernel info:
; codeLenInByte = 0
; NumSgprs: 4
; NumVgprs: 0
; NumAgprs: 0
; TotalNumVgprs: 0
; ScratchSize: 0
; MemoryBound: 0
; FloatMode: 240
; IeeeMode: 1
; LDSByteSize: 0 bytes/workgroup (compile time only)
; SGPRBlocks: 0
; VGPRBlocks: 0
; NumSGPRsForWavesPerEU: 4
; NumVGPRsForWavesPerEU: 1
; AccumOffset: 4
; Occupancy: 8
; WaveLimiterHint : 0
; COMPUTE_PGM_RSRC2:SCRATCH_EN: 0
; COMPUTE_PGM_RSRC2:USER_SGPR: 6
; COMPUTE_PGM_RSRC2:TRAP_HANDLER: 0
; COMPUTE_PGM_RSRC2:TGID_X_EN: 1
; COMPUTE_PGM_RSRC2:TGID_Y_EN: 0
; COMPUTE_PGM_RSRC2:TGID_Z_EN: 0
; COMPUTE_PGM_RSRC2:TIDIG_COMP_CNT: 0
; COMPUTE_PGM_RSRC3_GFX90A:ACCUM_OFFSET: 0
; COMPUTE_PGM_RSRC3_GFX90A:TG_SPLIT: 0
	.section	.text._ZN7rocprim17ROCPRIM_400000_NS6detail17trampoline_kernelINS0_14default_configENS1_25partition_config_selectorILNS1_17partition_subalgoE0EsNS0_10empty_typeEbEEZZNS1_14partition_implILS5_0ELb0ES3_jN6thrust23THRUST_200600_302600_NS6detail15normal_iteratorINSA_10device_ptrIsEEEEPS6_SG_NS0_5tupleIJSF_NSA_16discard_iteratorINSA_11use_defaultEEEEEENSH_IJSG_SG_EEES6_PlJ7is_evenIsEEEE10hipError_tPvRmT3_T4_T5_T6_T7_T9_mT8_P12ihipStream_tbDpT10_ENKUlT_T0_E_clISt17integral_constantIbLb1EES19_EEDaS14_S15_EUlS14_E_NS1_11comp_targetILNS1_3genE10ELNS1_11target_archE1200ELNS1_3gpuE4ELNS1_3repE0EEENS1_30default_config_static_selectorELNS0_4arch9wavefront6targetE1EEEvT1_,"axG",@progbits,_ZN7rocprim17ROCPRIM_400000_NS6detail17trampoline_kernelINS0_14default_configENS1_25partition_config_selectorILNS1_17partition_subalgoE0EsNS0_10empty_typeEbEEZZNS1_14partition_implILS5_0ELb0ES3_jN6thrust23THRUST_200600_302600_NS6detail15normal_iteratorINSA_10device_ptrIsEEEEPS6_SG_NS0_5tupleIJSF_NSA_16discard_iteratorINSA_11use_defaultEEEEEENSH_IJSG_SG_EEES6_PlJ7is_evenIsEEEE10hipError_tPvRmT3_T4_T5_T6_T7_T9_mT8_P12ihipStream_tbDpT10_ENKUlT_T0_E_clISt17integral_constantIbLb1EES19_EEDaS14_S15_EUlS14_E_NS1_11comp_targetILNS1_3genE10ELNS1_11target_archE1200ELNS1_3gpuE4ELNS1_3repE0EEENS1_30default_config_static_selectorELNS0_4arch9wavefront6targetE1EEEvT1_,comdat
	.protected	_ZN7rocprim17ROCPRIM_400000_NS6detail17trampoline_kernelINS0_14default_configENS1_25partition_config_selectorILNS1_17partition_subalgoE0EsNS0_10empty_typeEbEEZZNS1_14partition_implILS5_0ELb0ES3_jN6thrust23THRUST_200600_302600_NS6detail15normal_iteratorINSA_10device_ptrIsEEEEPS6_SG_NS0_5tupleIJSF_NSA_16discard_iteratorINSA_11use_defaultEEEEEENSH_IJSG_SG_EEES6_PlJ7is_evenIsEEEE10hipError_tPvRmT3_T4_T5_T6_T7_T9_mT8_P12ihipStream_tbDpT10_ENKUlT_T0_E_clISt17integral_constantIbLb1EES19_EEDaS14_S15_EUlS14_E_NS1_11comp_targetILNS1_3genE10ELNS1_11target_archE1200ELNS1_3gpuE4ELNS1_3repE0EEENS1_30default_config_static_selectorELNS0_4arch9wavefront6targetE1EEEvT1_ ; -- Begin function _ZN7rocprim17ROCPRIM_400000_NS6detail17trampoline_kernelINS0_14default_configENS1_25partition_config_selectorILNS1_17partition_subalgoE0EsNS0_10empty_typeEbEEZZNS1_14partition_implILS5_0ELb0ES3_jN6thrust23THRUST_200600_302600_NS6detail15normal_iteratorINSA_10device_ptrIsEEEEPS6_SG_NS0_5tupleIJSF_NSA_16discard_iteratorINSA_11use_defaultEEEEEENSH_IJSG_SG_EEES6_PlJ7is_evenIsEEEE10hipError_tPvRmT3_T4_T5_T6_T7_T9_mT8_P12ihipStream_tbDpT10_ENKUlT_T0_E_clISt17integral_constantIbLb1EES19_EEDaS14_S15_EUlS14_E_NS1_11comp_targetILNS1_3genE10ELNS1_11target_archE1200ELNS1_3gpuE4ELNS1_3repE0EEENS1_30default_config_static_selectorELNS0_4arch9wavefront6targetE1EEEvT1_
	.globl	_ZN7rocprim17ROCPRIM_400000_NS6detail17trampoline_kernelINS0_14default_configENS1_25partition_config_selectorILNS1_17partition_subalgoE0EsNS0_10empty_typeEbEEZZNS1_14partition_implILS5_0ELb0ES3_jN6thrust23THRUST_200600_302600_NS6detail15normal_iteratorINSA_10device_ptrIsEEEEPS6_SG_NS0_5tupleIJSF_NSA_16discard_iteratorINSA_11use_defaultEEEEEENSH_IJSG_SG_EEES6_PlJ7is_evenIsEEEE10hipError_tPvRmT3_T4_T5_T6_T7_T9_mT8_P12ihipStream_tbDpT10_ENKUlT_T0_E_clISt17integral_constantIbLb1EES19_EEDaS14_S15_EUlS14_E_NS1_11comp_targetILNS1_3genE10ELNS1_11target_archE1200ELNS1_3gpuE4ELNS1_3repE0EEENS1_30default_config_static_selectorELNS0_4arch9wavefront6targetE1EEEvT1_
	.p2align	8
	.type	_ZN7rocprim17ROCPRIM_400000_NS6detail17trampoline_kernelINS0_14default_configENS1_25partition_config_selectorILNS1_17partition_subalgoE0EsNS0_10empty_typeEbEEZZNS1_14partition_implILS5_0ELb0ES3_jN6thrust23THRUST_200600_302600_NS6detail15normal_iteratorINSA_10device_ptrIsEEEEPS6_SG_NS0_5tupleIJSF_NSA_16discard_iteratorINSA_11use_defaultEEEEEENSH_IJSG_SG_EEES6_PlJ7is_evenIsEEEE10hipError_tPvRmT3_T4_T5_T6_T7_T9_mT8_P12ihipStream_tbDpT10_ENKUlT_T0_E_clISt17integral_constantIbLb1EES19_EEDaS14_S15_EUlS14_E_NS1_11comp_targetILNS1_3genE10ELNS1_11target_archE1200ELNS1_3gpuE4ELNS1_3repE0EEENS1_30default_config_static_selectorELNS0_4arch9wavefront6targetE1EEEvT1_,@function
_ZN7rocprim17ROCPRIM_400000_NS6detail17trampoline_kernelINS0_14default_configENS1_25partition_config_selectorILNS1_17partition_subalgoE0EsNS0_10empty_typeEbEEZZNS1_14partition_implILS5_0ELb0ES3_jN6thrust23THRUST_200600_302600_NS6detail15normal_iteratorINSA_10device_ptrIsEEEEPS6_SG_NS0_5tupleIJSF_NSA_16discard_iteratorINSA_11use_defaultEEEEEENSH_IJSG_SG_EEES6_PlJ7is_evenIsEEEE10hipError_tPvRmT3_T4_T5_T6_T7_T9_mT8_P12ihipStream_tbDpT10_ENKUlT_T0_E_clISt17integral_constantIbLb1EES19_EEDaS14_S15_EUlS14_E_NS1_11comp_targetILNS1_3genE10ELNS1_11target_archE1200ELNS1_3gpuE4ELNS1_3repE0EEENS1_30default_config_static_selectorELNS0_4arch9wavefront6targetE1EEEvT1_: ; @_ZN7rocprim17ROCPRIM_400000_NS6detail17trampoline_kernelINS0_14default_configENS1_25partition_config_selectorILNS1_17partition_subalgoE0EsNS0_10empty_typeEbEEZZNS1_14partition_implILS5_0ELb0ES3_jN6thrust23THRUST_200600_302600_NS6detail15normal_iteratorINSA_10device_ptrIsEEEEPS6_SG_NS0_5tupleIJSF_NSA_16discard_iteratorINSA_11use_defaultEEEEEENSH_IJSG_SG_EEES6_PlJ7is_evenIsEEEE10hipError_tPvRmT3_T4_T5_T6_T7_T9_mT8_P12ihipStream_tbDpT10_ENKUlT_T0_E_clISt17integral_constantIbLb1EES19_EEDaS14_S15_EUlS14_E_NS1_11comp_targetILNS1_3genE10ELNS1_11target_archE1200ELNS1_3gpuE4ELNS1_3repE0EEENS1_30default_config_static_selectorELNS0_4arch9wavefront6targetE1EEEvT1_
; %bb.0:
	.section	.rodata,"a",@progbits
	.p2align	6, 0x0
	.amdhsa_kernel _ZN7rocprim17ROCPRIM_400000_NS6detail17trampoline_kernelINS0_14default_configENS1_25partition_config_selectorILNS1_17partition_subalgoE0EsNS0_10empty_typeEbEEZZNS1_14partition_implILS5_0ELb0ES3_jN6thrust23THRUST_200600_302600_NS6detail15normal_iteratorINSA_10device_ptrIsEEEEPS6_SG_NS0_5tupleIJSF_NSA_16discard_iteratorINSA_11use_defaultEEEEEENSH_IJSG_SG_EEES6_PlJ7is_evenIsEEEE10hipError_tPvRmT3_T4_T5_T6_T7_T9_mT8_P12ihipStream_tbDpT10_ENKUlT_T0_E_clISt17integral_constantIbLb1EES19_EEDaS14_S15_EUlS14_E_NS1_11comp_targetILNS1_3genE10ELNS1_11target_archE1200ELNS1_3gpuE4ELNS1_3repE0EEENS1_30default_config_static_selectorELNS0_4arch9wavefront6targetE1EEEvT1_
		.amdhsa_group_segment_fixed_size 0
		.amdhsa_private_segment_fixed_size 0
		.amdhsa_kernarg_size 144
		.amdhsa_user_sgpr_count 6
		.amdhsa_user_sgpr_private_segment_buffer 1
		.amdhsa_user_sgpr_dispatch_ptr 0
		.amdhsa_user_sgpr_queue_ptr 0
		.amdhsa_user_sgpr_kernarg_segment_ptr 1
		.amdhsa_user_sgpr_dispatch_id 0
		.amdhsa_user_sgpr_flat_scratch_init 0
		.amdhsa_user_sgpr_kernarg_preload_length 0
		.amdhsa_user_sgpr_kernarg_preload_offset 0
		.amdhsa_user_sgpr_private_segment_size 0
		.amdhsa_uses_dynamic_stack 0
		.amdhsa_system_sgpr_private_segment_wavefront_offset 0
		.amdhsa_system_sgpr_workgroup_id_x 1
		.amdhsa_system_sgpr_workgroup_id_y 0
		.amdhsa_system_sgpr_workgroup_id_z 0
		.amdhsa_system_sgpr_workgroup_info 0
		.amdhsa_system_vgpr_workitem_id 0
		.amdhsa_next_free_vgpr 1
		.amdhsa_next_free_sgpr 0
		.amdhsa_accum_offset 4
		.amdhsa_reserve_vcc 0
		.amdhsa_reserve_flat_scratch 0
		.amdhsa_float_round_mode_32 0
		.amdhsa_float_round_mode_16_64 0
		.amdhsa_float_denorm_mode_32 3
		.amdhsa_float_denorm_mode_16_64 3
		.amdhsa_dx10_clamp 1
		.amdhsa_ieee_mode 1
		.amdhsa_fp16_overflow 0
		.amdhsa_tg_split 0
		.amdhsa_exception_fp_ieee_invalid_op 0
		.amdhsa_exception_fp_denorm_src 0
		.amdhsa_exception_fp_ieee_div_zero 0
		.amdhsa_exception_fp_ieee_overflow 0
		.amdhsa_exception_fp_ieee_underflow 0
		.amdhsa_exception_fp_ieee_inexact 0
		.amdhsa_exception_int_div_zero 0
	.end_amdhsa_kernel
	.section	.text._ZN7rocprim17ROCPRIM_400000_NS6detail17trampoline_kernelINS0_14default_configENS1_25partition_config_selectorILNS1_17partition_subalgoE0EsNS0_10empty_typeEbEEZZNS1_14partition_implILS5_0ELb0ES3_jN6thrust23THRUST_200600_302600_NS6detail15normal_iteratorINSA_10device_ptrIsEEEEPS6_SG_NS0_5tupleIJSF_NSA_16discard_iteratorINSA_11use_defaultEEEEEENSH_IJSG_SG_EEES6_PlJ7is_evenIsEEEE10hipError_tPvRmT3_T4_T5_T6_T7_T9_mT8_P12ihipStream_tbDpT10_ENKUlT_T0_E_clISt17integral_constantIbLb1EES19_EEDaS14_S15_EUlS14_E_NS1_11comp_targetILNS1_3genE10ELNS1_11target_archE1200ELNS1_3gpuE4ELNS1_3repE0EEENS1_30default_config_static_selectorELNS0_4arch9wavefront6targetE1EEEvT1_,"axG",@progbits,_ZN7rocprim17ROCPRIM_400000_NS6detail17trampoline_kernelINS0_14default_configENS1_25partition_config_selectorILNS1_17partition_subalgoE0EsNS0_10empty_typeEbEEZZNS1_14partition_implILS5_0ELb0ES3_jN6thrust23THRUST_200600_302600_NS6detail15normal_iteratorINSA_10device_ptrIsEEEEPS6_SG_NS0_5tupleIJSF_NSA_16discard_iteratorINSA_11use_defaultEEEEEENSH_IJSG_SG_EEES6_PlJ7is_evenIsEEEE10hipError_tPvRmT3_T4_T5_T6_T7_T9_mT8_P12ihipStream_tbDpT10_ENKUlT_T0_E_clISt17integral_constantIbLb1EES19_EEDaS14_S15_EUlS14_E_NS1_11comp_targetILNS1_3genE10ELNS1_11target_archE1200ELNS1_3gpuE4ELNS1_3repE0EEENS1_30default_config_static_selectorELNS0_4arch9wavefront6targetE1EEEvT1_,comdat
.Lfunc_end2824:
	.size	_ZN7rocprim17ROCPRIM_400000_NS6detail17trampoline_kernelINS0_14default_configENS1_25partition_config_selectorILNS1_17partition_subalgoE0EsNS0_10empty_typeEbEEZZNS1_14partition_implILS5_0ELb0ES3_jN6thrust23THRUST_200600_302600_NS6detail15normal_iteratorINSA_10device_ptrIsEEEEPS6_SG_NS0_5tupleIJSF_NSA_16discard_iteratorINSA_11use_defaultEEEEEENSH_IJSG_SG_EEES6_PlJ7is_evenIsEEEE10hipError_tPvRmT3_T4_T5_T6_T7_T9_mT8_P12ihipStream_tbDpT10_ENKUlT_T0_E_clISt17integral_constantIbLb1EES19_EEDaS14_S15_EUlS14_E_NS1_11comp_targetILNS1_3genE10ELNS1_11target_archE1200ELNS1_3gpuE4ELNS1_3repE0EEENS1_30default_config_static_selectorELNS0_4arch9wavefront6targetE1EEEvT1_, .Lfunc_end2824-_ZN7rocprim17ROCPRIM_400000_NS6detail17trampoline_kernelINS0_14default_configENS1_25partition_config_selectorILNS1_17partition_subalgoE0EsNS0_10empty_typeEbEEZZNS1_14partition_implILS5_0ELb0ES3_jN6thrust23THRUST_200600_302600_NS6detail15normal_iteratorINSA_10device_ptrIsEEEEPS6_SG_NS0_5tupleIJSF_NSA_16discard_iteratorINSA_11use_defaultEEEEEENSH_IJSG_SG_EEES6_PlJ7is_evenIsEEEE10hipError_tPvRmT3_T4_T5_T6_T7_T9_mT8_P12ihipStream_tbDpT10_ENKUlT_T0_E_clISt17integral_constantIbLb1EES19_EEDaS14_S15_EUlS14_E_NS1_11comp_targetILNS1_3genE10ELNS1_11target_archE1200ELNS1_3gpuE4ELNS1_3repE0EEENS1_30default_config_static_selectorELNS0_4arch9wavefront6targetE1EEEvT1_
                                        ; -- End function
	.section	.AMDGPU.csdata,"",@progbits
; Kernel info:
; codeLenInByte = 0
; NumSgprs: 4
; NumVgprs: 0
; NumAgprs: 0
; TotalNumVgprs: 0
; ScratchSize: 0
; MemoryBound: 0
; FloatMode: 240
; IeeeMode: 1
; LDSByteSize: 0 bytes/workgroup (compile time only)
; SGPRBlocks: 0
; VGPRBlocks: 0
; NumSGPRsForWavesPerEU: 4
; NumVGPRsForWavesPerEU: 1
; AccumOffset: 4
; Occupancy: 8
; WaveLimiterHint : 0
; COMPUTE_PGM_RSRC2:SCRATCH_EN: 0
; COMPUTE_PGM_RSRC2:USER_SGPR: 6
; COMPUTE_PGM_RSRC2:TRAP_HANDLER: 0
; COMPUTE_PGM_RSRC2:TGID_X_EN: 1
; COMPUTE_PGM_RSRC2:TGID_Y_EN: 0
; COMPUTE_PGM_RSRC2:TGID_Z_EN: 0
; COMPUTE_PGM_RSRC2:TIDIG_COMP_CNT: 0
; COMPUTE_PGM_RSRC3_GFX90A:ACCUM_OFFSET: 0
; COMPUTE_PGM_RSRC3_GFX90A:TG_SPLIT: 0
	.section	.text._ZN7rocprim17ROCPRIM_400000_NS6detail17trampoline_kernelINS0_14default_configENS1_25partition_config_selectorILNS1_17partition_subalgoE0EsNS0_10empty_typeEbEEZZNS1_14partition_implILS5_0ELb0ES3_jN6thrust23THRUST_200600_302600_NS6detail15normal_iteratorINSA_10device_ptrIsEEEEPS6_SG_NS0_5tupleIJSF_NSA_16discard_iteratorINSA_11use_defaultEEEEEENSH_IJSG_SG_EEES6_PlJ7is_evenIsEEEE10hipError_tPvRmT3_T4_T5_T6_T7_T9_mT8_P12ihipStream_tbDpT10_ENKUlT_T0_E_clISt17integral_constantIbLb1EES19_EEDaS14_S15_EUlS14_E_NS1_11comp_targetILNS1_3genE9ELNS1_11target_archE1100ELNS1_3gpuE3ELNS1_3repE0EEENS1_30default_config_static_selectorELNS0_4arch9wavefront6targetE1EEEvT1_,"axG",@progbits,_ZN7rocprim17ROCPRIM_400000_NS6detail17trampoline_kernelINS0_14default_configENS1_25partition_config_selectorILNS1_17partition_subalgoE0EsNS0_10empty_typeEbEEZZNS1_14partition_implILS5_0ELb0ES3_jN6thrust23THRUST_200600_302600_NS6detail15normal_iteratorINSA_10device_ptrIsEEEEPS6_SG_NS0_5tupleIJSF_NSA_16discard_iteratorINSA_11use_defaultEEEEEENSH_IJSG_SG_EEES6_PlJ7is_evenIsEEEE10hipError_tPvRmT3_T4_T5_T6_T7_T9_mT8_P12ihipStream_tbDpT10_ENKUlT_T0_E_clISt17integral_constantIbLb1EES19_EEDaS14_S15_EUlS14_E_NS1_11comp_targetILNS1_3genE9ELNS1_11target_archE1100ELNS1_3gpuE3ELNS1_3repE0EEENS1_30default_config_static_selectorELNS0_4arch9wavefront6targetE1EEEvT1_,comdat
	.protected	_ZN7rocprim17ROCPRIM_400000_NS6detail17trampoline_kernelINS0_14default_configENS1_25partition_config_selectorILNS1_17partition_subalgoE0EsNS0_10empty_typeEbEEZZNS1_14partition_implILS5_0ELb0ES3_jN6thrust23THRUST_200600_302600_NS6detail15normal_iteratorINSA_10device_ptrIsEEEEPS6_SG_NS0_5tupleIJSF_NSA_16discard_iteratorINSA_11use_defaultEEEEEENSH_IJSG_SG_EEES6_PlJ7is_evenIsEEEE10hipError_tPvRmT3_T4_T5_T6_T7_T9_mT8_P12ihipStream_tbDpT10_ENKUlT_T0_E_clISt17integral_constantIbLb1EES19_EEDaS14_S15_EUlS14_E_NS1_11comp_targetILNS1_3genE9ELNS1_11target_archE1100ELNS1_3gpuE3ELNS1_3repE0EEENS1_30default_config_static_selectorELNS0_4arch9wavefront6targetE1EEEvT1_ ; -- Begin function _ZN7rocprim17ROCPRIM_400000_NS6detail17trampoline_kernelINS0_14default_configENS1_25partition_config_selectorILNS1_17partition_subalgoE0EsNS0_10empty_typeEbEEZZNS1_14partition_implILS5_0ELb0ES3_jN6thrust23THRUST_200600_302600_NS6detail15normal_iteratorINSA_10device_ptrIsEEEEPS6_SG_NS0_5tupleIJSF_NSA_16discard_iteratorINSA_11use_defaultEEEEEENSH_IJSG_SG_EEES6_PlJ7is_evenIsEEEE10hipError_tPvRmT3_T4_T5_T6_T7_T9_mT8_P12ihipStream_tbDpT10_ENKUlT_T0_E_clISt17integral_constantIbLb1EES19_EEDaS14_S15_EUlS14_E_NS1_11comp_targetILNS1_3genE9ELNS1_11target_archE1100ELNS1_3gpuE3ELNS1_3repE0EEENS1_30default_config_static_selectorELNS0_4arch9wavefront6targetE1EEEvT1_
	.globl	_ZN7rocprim17ROCPRIM_400000_NS6detail17trampoline_kernelINS0_14default_configENS1_25partition_config_selectorILNS1_17partition_subalgoE0EsNS0_10empty_typeEbEEZZNS1_14partition_implILS5_0ELb0ES3_jN6thrust23THRUST_200600_302600_NS6detail15normal_iteratorINSA_10device_ptrIsEEEEPS6_SG_NS0_5tupleIJSF_NSA_16discard_iteratorINSA_11use_defaultEEEEEENSH_IJSG_SG_EEES6_PlJ7is_evenIsEEEE10hipError_tPvRmT3_T4_T5_T6_T7_T9_mT8_P12ihipStream_tbDpT10_ENKUlT_T0_E_clISt17integral_constantIbLb1EES19_EEDaS14_S15_EUlS14_E_NS1_11comp_targetILNS1_3genE9ELNS1_11target_archE1100ELNS1_3gpuE3ELNS1_3repE0EEENS1_30default_config_static_selectorELNS0_4arch9wavefront6targetE1EEEvT1_
	.p2align	8
	.type	_ZN7rocprim17ROCPRIM_400000_NS6detail17trampoline_kernelINS0_14default_configENS1_25partition_config_selectorILNS1_17partition_subalgoE0EsNS0_10empty_typeEbEEZZNS1_14partition_implILS5_0ELb0ES3_jN6thrust23THRUST_200600_302600_NS6detail15normal_iteratorINSA_10device_ptrIsEEEEPS6_SG_NS0_5tupleIJSF_NSA_16discard_iteratorINSA_11use_defaultEEEEEENSH_IJSG_SG_EEES6_PlJ7is_evenIsEEEE10hipError_tPvRmT3_T4_T5_T6_T7_T9_mT8_P12ihipStream_tbDpT10_ENKUlT_T0_E_clISt17integral_constantIbLb1EES19_EEDaS14_S15_EUlS14_E_NS1_11comp_targetILNS1_3genE9ELNS1_11target_archE1100ELNS1_3gpuE3ELNS1_3repE0EEENS1_30default_config_static_selectorELNS0_4arch9wavefront6targetE1EEEvT1_,@function
_ZN7rocprim17ROCPRIM_400000_NS6detail17trampoline_kernelINS0_14default_configENS1_25partition_config_selectorILNS1_17partition_subalgoE0EsNS0_10empty_typeEbEEZZNS1_14partition_implILS5_0ELb0ES3_jN6thrust23THRUST_200600_302600_NS6detail15normal_iteratorINSA_10device_ptrIsEEEEPS6_SG_NS0_5tupleIJSF_NSA_16discard_iteratorINSA_11use_defaultEEEEEENSH_IJSG_SG_EEES6_PlJ7is_evenIsEEEE10hipError_tPvRmT3_T4_T5_T6_T7_T9_mT8_P12ihipStream_tbDpT10_ENKUlT_T0_E_clISt17integral_constantIbLb1EES19_EEDaS14_S15_EUlS14_E_NS1_11comp_targetILNS1_3genE9ELNS1_11target_archE1100ELNS1_3gpuE3ELNS1_3repE0EEENS1_30default_config_static_selectorELNS0_4arch9wavefront6targetE1EEEvT1_: ; @_ZN7rocprim17ROCPRIM_400000_NS6detail17trampoline_kernelINS0_14default_configENS1_25partition_config_selectorILNS1_17partition_subalgoE0EsNS0_10empty_typeEbEEZZNS1_14partition_implILS5_0ELb0ES3_jN6thrust23THRUST_200600_302600_NS6detail15normal_iteratorINSA_10device_ptrIsEEEEPS6_SG_NS0_5tupleIJSF_NSA_16discard_iteratorINSA_11use_defaultEEEEEENSH_IJSG_SG_EEES6_PlJ7is_evenIsEEEE10hipError_tPvRmT3_T4_T5_T6_T7_T9_mT8_P12ihipStream_tbDpT10_ENKUlT_T0_E_clISt17integral_constantIbLb1EES19_EEDaS14_S15_EUlS14_E_NS1_11comp_targetILNS1_3genE9ELNS1_11target_archE1100ELNS1_3gpuE3ELNS1_3repE0EEENS1_30default_config_static_selectorELNS0_4arch9wavefront6targetE1EEEvT1_
; %bb.0:
	.section	.rodata,"a",@progbits
	.p2align	6, 0x0
	.amdhsa_kernel _ZN7rocprim17ROCPRIM_400000_NS6detail17trampoline_kernelINS0_14default_configENS1_25partition_config_selectorILNS1_17partition_subalgoE0EsNS0_10empty_typeEbEEZZNS1_14partition_implILS5_0ELb0ES3_jN6thrust23THRUST_200600_302600_NS6detail15normal_iteratorINSA_10device_ptrIsEEEEPS6_SG_NS0_5tupleIJSF_NSA_16discard_iteratorINSA_11use_defaultEEEEEENSH_IJSG_SG_EEES6_PlJ7is_evenIsEEEE10hipError_tPvRmT3_T4_T5_T6_T7_T9_mT8_P12ihipStream_tbDpT10_ENKUlT_T0_E_clISt17integral_constantIbLb1EES19_EEDaS14_S15_EUlS14_E_NS1_11comp_targetILNS1_3genE9ELNS1_11target_archE1100ELNS1_3gpuE3ELNS1_3repE0EEENS1_30default_config_static_selectorELNS0_4arch9wavefront6targetE1EEEvT1_
		.amdhsa_group_segment_fixed_size 0
		.amdhsa_private_segment_fixed_size 0
		.amdhsa_kernarg_size 144
		.amdhsa_user_sgpr_count 6
		.amdhsa_user_sgpr_private_segment_buffer 1
		.amdhsa_user_sgpr_dispatch_ptr 0
		.amdhsa_user_sgpr_queue_ptr 0
		.amdhsa_user_sgpr_kernarg_segment_ptr 1
		.amdhsa_user_sgpr_dispatch_id 0
		.amdhsa_user_sgpr_flat_scratch_init 0
		.amdhsa_user_sgpr_kernarg_preload_length 0
		.amdhsa_user_sgpr_kernarg_preload_offset 0
		.amdhsa_user_sgpr_private_segment_size 0
		.amdhsa_uses_dynamic_stack 0
		.amdhsa_system_sgpr_private_segment_wavefront_offset 0
		.amdhsa_system_sgpr_workgroup_id_x 1
		.amdhsa_system_sgpr_workgroup_id_y 0
		.amdhsa_system_sgpr_workgroup_id_z 0
		.amdhsa_system_sgpr_workgroup_info 0
		.amdhsa_system_vgpr_workitem_id 0
		.amdhsa_next_free_vgpr 1
		.amdhsa_next_free_sgpr 0
		.amdhsa_accum_offset 4
		.amdhsa_reserve_vcc 0
		.amdhsa_reserve_flat_scratch 0
		.amdhsa_float_round_mode_32 0
		.amdhsa_float_round_mode_16_64 0
		.amdhsa_float_denorm_mode_32 3
		.amdhsa_float_denorm_mode_16_64 3
		.amdhsa_dx10_clamp 1
		.amdhsa_ieee_mode 1
		.amdhsa_fp16_overflow 0
		.amdhsa_tg_split 0
		.amdhsa_exception_fp_ieee_invalid_op 0
		.amdhsa_exception_fp_denorm_src 0
		.amdhsa_exception_fp_ieee_div_zero 0
		.amdhsa_exception_fp_ieee_overflow 0
		.amdhsa_exception_fp_ieee_underflow 0
		.amdhsa_exception_fp_ieee_inexact 0
		.amdhsa_exception_int_div_zero 0
	.end_amdhsa_kernel
	.section	.text._ZN7rocprim17ROCPRIM_400000_NS6detail17trampoline_kernelINS0_14default_configENS1_25partition_config_selectorILNS1_17partition_subalgoE0EsNS0_10empty_typeEbEEZZNS1_14partition_implILS5_0ELb0ES3_jN6thrust23THRUST_200600_302600_NS6detail15normal_iteratorINSA_10device_ptrIsEEEEPS6_SG_NS0_5tupleIJSF_NSA_16discard_iteratorINSA_11use_defaultEEEEEENSH_IJSG_SG_EEES6_PlJ7is_evenIsEEEE10hipError_tPvRmT3_T4_T5_T6_T7_T9_mT8_P12ihipStream_tbDpT10_ENKUlT_T0_E_clISt17integral_constantIbLb1EES19_EEDaS14_S15_EUlS14_E_NS1_11comp_targetILNS1_3genE9ELNS1_11target_archE1100ELNS1_3gpuE3ELNS1_3repE0EEENS1_30default_config_static_selectorELNS0_4arch9wavefront6targetE1EEEvT1_,"axG",@progbits,_ZN7rocprim17ROCPRIM_400000_NS6detail17trampoline_kernelINS0_14default_configENS1_25partition_config_selectorILNS1_17partition_subalgoE0EsNS0_10empty_typeEbEEZZNS1_14partition_implILS5_0ELb0ES3_jN6thrust23THRUST_200600_302600_NS6detail15normal_iteratorINSA_10device_ptrIsEEEEPS6_SG_NS0_5tupleIJSF_NSA_16discard_iteratorINSA_11use_defaultEEEEEENSH_IJSG_SG_EEES6_PlJ7is_evenIsEEEE10hipError_tPvRmT3_T4_T5_T6_T7_T9_mT8_P12ihipStream_tbDpT10_ENKUlT_T0_E_clISt17integral_constantIbLb1EES19_EEDaS14_S15_EUlS14_E_NS1_11comp_targetILNS1_3genE9ELNS1_11target_archE1100ELNS1_3gpuE3ELNS1_3repE0EEENS1_30default_config_static_selectorELNS0_4arch9wavefront6targetE1EEEvT1_,comdat
.Lfunc_end2825:
	.size	_ZN7rocprim17ROCPRIM_400000_NS6detail17trampoline_kernelINS0_14default_configENS1_25partition_config_selectorILNS1_17partition_subalgoE0EsNS0_10empty_typeEbEEZZNS1_14partition_implILS5_0ELb0ES3_jN6thrust23THRUST_200600_302600_NS6detail15normal_iteratorINSA_10device_ptrIsEEEEPS6_SG_NS0_5tupleIJSF_NSA_16discard_iteratorINSA_11use_defaultEEEEEENSH_IJSG_SG_EEES6_PlJ7is_evenIsEEEE10hipError_tPvRmT3_T4_T5_T6_T7_T9_mT8_P12ihipStream_tbDpT10_ENKUlT_T0_E_clISt17integral_constantIbLb1EES19_EEDaS14_S15_EUlS14_E_NS1_11comp_targetILNS1_3genE9ELNS1_11target_archE1100ELNS1_3gpuE3ELNS1_3repE0EEENS1_30default_config_static_selectorELNS0_4arch9wavefront6targetE1EEEvT1_, .Lfunc_end2825-_ZN7rocprim17ROCPRIM_400000_NS6detail17trampoline_kernelINS0_14default_configENS1_25partition_config_selectorILNS1_17partition_subalgoE0EsNS0_10empty_typeEbEEZZNS1_14partition_implILS5_0ELb0ES3_jN6thrust23THRUST_200600_302600_NS6detail15normal_iteratorINSA_10device_ptrIsEEEEPS6_SG_NS0_5tupleIJSF_NSA_16discard_iteratorINSA_11use_defaultEEEEEENSH_IJSG_SG_EEES6_PlJ7is_evenIsEEEE10hipError_tPvRmT3_T4_T5_T6_T7_T9_mT8_P12ihipStream_tbDpT10_ENKUlT_T0_E_clISt17integral_constantIbLb1EES19_EEDaS14_S15_EUlS14_E_NS1_11comp_targetILNS1_3genE9ELNS1_11target_archE1100ELNS1_3gpuE3ELNS1_3repE0EEENS1_30default_config_static_selectorELNS0_4arch9wavefront6targetE1EEEvT1_
                                        ; -- End function
	.section	.AMDGPU.csdata,"",@progbits
; Kernel info:
; codeLenInByte = 0
; NumSgprs: 4
; NumVgprs: 0
; NumAgprs: 0
; TotalNumVgprs: 0
; ScratchSize: 0
; MemoryBound: 0
; FloatMode: 240
; IeeeMode: 1
; LDSByteSize: 0 bytes/workgroup (compile time only)
; SGPRBlocks: 0
; VGPRBlocks: 0
; NumSGPRsForWavesPerEU: 4
; NumVGPRsForWavesPerEU: 1
; AccumOffset: 4
; Occupancy: 8
; WaveLimiterHint : 0
; COMPUTE_PGM_RSRC2:SCRATCH_EN: 0
; COMPUTE_PGM_RSRC2:USER_SGPR: 6
; COMPUTE_PGM_RSRC2:TRAP_HANDLER: 0
; COMPUTE_PGM_RSRC2:TGID_X_EN: 1
; COMPUTE_PGM_RSRC2:TGID_Y_EN: 0
; COMPUTE_PGM_RSRC2:TGID_Z_EN: 0
; COMPUTE_PGM_RSRC2:TIDIG_COMP_CNT: 0
; COMPUTE_PGM_RSRC3_GFX90A:ACCUM_OFFSET: 0
; COMPUTE_PGM_RSRC3_GFX90A:TG_SPLIT: 0
	.section	.text._ZN7rocprim17ROCPRIM_400000_NS6detail17trampoline_kernelINS0_14default_configENS1_25partition_config_selectorILNS1_17partition_subalgoE0EsNS0_10empty_typeEbEEZZNS1_14partition_implILS5_0ELb0ES3_jN6thrust23THRUST_200600_302600_NS6detail15normal_iteratorINSA_10device_ptrIsEEEEPS6_SG_NS0_5tupleIJSF_NSA_16discard_iteratorINSA_11use_defaultEEEEEENSH_IJSG_SG_EEES6_PlJ7is_evenIsEEEE10hipError_tPvRmT3_T4_T5_T6_T7_T9_mT8_P12ihipStream_tbDpT10_ENKUlT_T0_E_clISt17integral_constantIbLb1EES19_EEDaS14_S15_EUlS14_E_NS1_11comp_targetILNS1_3genE8ELNS1_11target_archE1030ELNS1_3gpuE2ELNS1_3repE0EEENS1_30default_config_static_selectorELNS0_4arch9wavefront6targetE1EEEvT1_,"axG",@progbits,_ZN7rocprim17ROCPRIM_400000_NS6detail17trampoline_kernelINS0_14default_configENS1_25partition_config_selectorILNS1_17partition_subalgoE0EsNS0_10empty_typeEbEEZZNS1_14partition_implILS5_0ELb0ES3_jN6thrust23THRUST_200600_302600_NS6detail15normal_iteratorINSA_10device_ptrIsEEEEPS6_SG_NS0_5tupleIJSF_NSA_16discard_iteratorINSA_11use_defaultEEEEEENSH_IJSG_SG_EEES6_PlJ7is_evenIsEEEE10hipError_tPvRmT3_T4_T5_T6_T7_T9_mT8_P12ihipStream_tbDpT10_ENKUlT_T0_E_clISt17integral_constantIbLb1EES19_EEDaS14_S15_EUlS14_E_NS1_11comp_targetILNS1_3genE8ELNS1_11target_archE1030ELNS1_3gpuE2ELNS1_3repE0EEENS1_30default_config_static_selectorELNS0_4arch9wavefront6targetE1EEEvT1_,comdat
	.protected	_ZN7rocprim17ROCPRIM_400000_NS6detail17trampoline_kernelINS0_14default_configENS1_25partition_config_selectorILNS1_17partition_subalgoE0EsNS0_10empty_typeEbEEZZNS1_14partition_implILS5_0ELb0ES3_jN6thrust23THRUST_200600_302600_NS6detail15normal_iteratorINSA_10device_ptrIsEEEEPS6_SG_NS0_5tupleIJSF_NSA_16discard_iteratorINSA_11use_defaultEEEEEENSH_IJSG_SG_EEES6_PlJ7is_evenIsEEEE10hipError_tPvRmT3_T4_T5_T6_T7_T9_mT8_P12ihipStream_tbDpT10_ENKUlT_T0_E_clISt17integral_constantIbLb1EES19_EEDaS14_S15_EUlS14_E_NS1_11comp_targetILNS1_3genE8ELNS1_11target_archE1030ELNS1_3gpuE2ELNS1_3repE0EEENS1_30default_config_static_selectorELNS0_4arch9wavefront6targetE1EEEvT1_ ; -- Begin function _ZN7rocprim17ROCPRIM_400000_NS6detail17trampoline_kernelINS0_14default_configENS1_25partition_config_selectorILNS1_17partition_subalgoE0EsNS0_10empty_typeEbEEZZNS1_14partition_implILS5_0ELb0ES3_jN6thrust23THRUST_200600_302600_NS6detail15normal_iteratorINSA_10device_ptrIsEEEEPS6_SG_NS0_5tupleIJSF_NSA_16discard_iteratorINSA_11use_defaultEEEEEENSH_IJSG_SG_EEES6_PlJ7is_evenIsEEEE10hipError_tPvRmT3_T4_T5_T6_T7_T9_mT8_P12ihipStream_tbDpT10_ENKUlT_T0_E_clISt17integral_constantIbLb1EES19_EEDaS14_S15_EUlS14_E_NS1_11comp_targetILNS1_3genE8ELNS1_11target_archE1030ELNS1_3gpuE2ELNS1_3repE0EEENS1_30default_config_static_selectorELNS0_4arch9wavefront6targetE1EEEvT1_
	.globl	_ZN7rocprim17ROCPRIM_400000_NS6detail17trampoline_kernelINS0_14default_configENS1_25partition_config_selectorILNS1_17partition_subalgoE0EsNS0_10empty_typeEbEEZZNS1_14partition_implILS5_0ELb0ES3_jN6thrust23THRUST_200600_302600_NS6detail15normal_iteratorINSA_10device_ptrIsEEEEPS6_SG_NS0_5tupleIJSF_NSA_16discard_iteratorINSA_11use_defaultEEEEEENSH_IJSG_SG_EEES6_PlJ7is_evenIsEEEE10hipError_tPvRmT3_T4_T5_T6_T7_T9_mT8_P12ihipStream_tbDpT10_ENKUlT_T0_E_clISt17integral_constantIbLb1EES19_EEDaS14_S15_EUlS14_E_NS1_11comp_targetILNS1_3genE8ELNS1_11target_archE1030ELNS1_3gpuE2ELNS1_3repE0EEENS1_30default_config_static_selectorELNS0_4arch9wavefront6targetE1EEEvT1_
	.p2align	8
	.type	_ZN7rocprim17ROCPRIM_400000_NS6detail17trampoline_kernelINS0_14default_configENS1_25partition_config_selectorILNS1_17partition_subalgoE0EsNS0_10empty_typeEbEEZZNS1_14partition_implILS5_0ELb0ES3_jN6thrust23THRUST_200600_302600_NS6detail15normal_iteratorINSA_10device_ptrIsEEEEPS6_SG_NS0_5tupleIJSF_NSA_16discard_iteratorINSA_11use_defaultEEEEEENSH_IJSG_SG_EEES6_PlJ7is_evenIsEEEE10hipError_tPvRmT3_T4_T5_T6_T7_T9_mT8_P12ihipStream_tbDpT10_ENKUlT_T0_E_clISt17integral_constantIbLb1EES19_EEDaS14_S15_EUlS14_E_NS1_11comp_targetILNS1_3genE8ELNS1_11target_archE1030ELNS1_3gpuE2ELNS1_3repE0EEENS1_30default_config_static_selectorELNS0_4arch9wavefront6targetE1EEEvT1_,@function
_ZN7rocprim17ROCPRIM_400000_NS6detail17trampoline_kernelINS0_14default_configENS1_25partition_config_selectorILNS1_17partition_subalgoE0EsNS0_10empty_typeEbEEZZNS1_14partition_implILS5_0ELb0ES3_jN6thrust23THRUST_200600_302600_NS6detail15normal_iteratorINSA_10device_ptrIsEEEEPS6_SG_NS0_5tupleIJSF_NSA_16discard_iteratorINSA_11use_defaultEEEEEENSH_IJSG_SG_EEES6_PlJ7is_evenIsEEEE10hipError_tPvRmT3_T4_T5_T6_T7_T9_mT8_P12ihipStream_tbDpT10_ENKUlT_T0_E_clISt17integral_constantIbLb1EES19_EEDaS14_S15_EUlS14_E_NS1_11comp_targetILNS1_3genE8ELNS1_11target_archE1030ELNS1_3gpuE2ELNS1_3repE0EEENS1_30default_config_static_selectorELNS0_4arch9wavefront6targetE1EEEvT1_: ; @_ZN7rocprim17ROCPRIM_400000_NS6detail17trampoline_kernelINS0_14default_configENS1_25partition_config_selectorILNS1_17partition_subalgoE0EsNS0_10empty_typeEbEEZZNS1_14partition_implILS5_0ELb0ES3_jN6thrust23THRUST_200600_302600_NS6detail15normal_iteratorINSA_10device_ptrIsEEEEPS6_SG_NS0_5tupleIJSF_NSA_16discard_iteratorINSA_11use_defaultEEEEEENSH_IJSG_SG_EEES6_PlJ7is_evenIsEEEE10hipError_tPvRmT3_T4_T5_T6_T7_T9_mT8_P12ihipStream_tbDpT10_ENKUlT_T0_E_clISt17integral_constantIbLb1EES19_EEDaS14_S15_EUlS14_E_NS1_11comp_targetILNS1_3genE8ELNS1_11target_archE1030ELNS1_3gpuE2ELNS1_3repE0EEENS1_30default_config_static_selectorELNS0_4arch9wavefront6targetE1EEEvT1_
; %bb.0:
	.section	.rodata,"a",@progbits
	.p2align	6, 0x0
	.amdhsa_kernel _ZN7rocprim17ROCPRIM_400000_NS6detail17trampoline_kernelINS0_14default_configENS1_25partition_config_selectorILNS1_17partition_subalgoE0EsNS0_10empty_typeEbEEZZNS1_14partition_implILS5_0ELb0ES3_jN6thrust23THRUST_200600_302600_NS6detail15normal_iteratorINSA_10device_ptrIsEEEEPS6_SG_NS0_5tupleIJSF_NSA_16discard_iteratorINSA_11use_defaultEEEEEENSH_IJSG_SG_EEES6_PlJ7is_evenIsEEEE10hipError_tPvRmT3_T4_T5_T6_T7_T9_mT8_P12ihipStream_tbDpT10_ENKUlT_T0_E_clISt17integral_constantIbLb1EES19_EEDaS14_S15_EUlS14_E_NS1_11comp_targetILNS1_3genE8ELNS1_11target_archE1030ELNS1_3gpuE2ELNS1_3repE0EEENS1_30default_config_static_selectorELNS0_4arch9wavefront6targetE1EEEvT1_
		.amdhsa_group_segment_fixed_size 0
		.amdhsa_private_segment_fixed_size 0
		.amdhsa_kernarg_size 144
		.amdhsa_user_sgpr_count 6
		.amdhsa_user_sgpr_private_segment_buffer 1
		.amdhsa_user_sgpr_dispatch_ptr 0
		.amdhsa_user_sgpr_queue_ptr 0
		.amdhsa_user_sgpr_kernarg_segment_ptr 1
		.amdhsa_user_sgpr_dispatch_id 0
		.amdhsa_user_sgpr_flat_scratch_init 0
		.amdhsa_user_sgpr_kernarg_preload_length 0
		.amdhsa_user_sgpr_kernarg_preload_offset 0
		.amdhsa_user_sgpr_private_segment_size 0
		.amdhsa_uses_dynamic_stack 0
		.amdhsa_system_sgpr_private_segment_wavefront_offset 0
		.amdhsa_system_sgpr_workgroup_id_x 1
		.amdhsa_system_sgpr_workgroup_id_y 0
		.amdhsa_system_sgpr_workgroup_id_z 0
		.amdhsa_system_sgpr_workgroup_info 0
		.amdhsa_system_vgpr_workitem_id 0
		.amdhsa_next_free_vgpr 1
		.amdhsa_next_free_sgpr 0
		.amdhsa_accum_offset 4
		.amdhsa_reserve_vcc 0
		.amdhsa_reserve_flat_scratch 0
		.amdhsa_float_round_mode_32 0
		.amdhsa_float_round_mode_16_64 0
		.amdhsa_float_denorm_mode_32 3
		.amdhsa_float_denorm_mode_16_64 3
		.amdhsa_dx10_clamp 1
		.amdhsa_ieee_mode 1
		.amdhsa_fp16_overflow 0
		.amdhsa_tg_split 0
		.amdhsa_exception_fp_ieee_invalid_op 0
		.amdhsa_exception_fp_denorm_src 0
		.amdhsa_exception_fp_ieee_div_zero 0
		.amdhsa_exception_fp_ieee_overflow 0
		.amdhsa_exception_fp_ieee_underflow 0
		.amdhsa_exception_fp_ieee_inexact 0
		.amdhsa_exception_int_div_zero 0
	.end_amdhsa_kernel
	.section	.text._ZN7rocprim17ROCPRIM_400000_NS6detail17trampoline_kernelINS0_14default_configENS1_25partition_config_selectorILNS1_17partition_subalgoE0EsNS0_10empty_typeEbEEZZNS1_14partition_implILS5_0ELb0ES3_jN6thrust23THRUST_200600_302600_NS6detail15normal_iteratorINSA_10device_ptrIsEEEEPS6_SG_NS0_5tupleIJSF_NSA_16discard_iteratorINSA_11use_defaultEEEEEENSH_IJSG_SG_EEES6_PlJ7is_evenIsEEEE10hipError_tPvRmT3_T4_T5_T6_T7_T9_mT8_P12ihipStream_tbDpT10_ENKUlT_T0_E_clISt17integral_constantIbLb1EES19_EEDaS14_S15_EUlS14_E_NS1_11comp_targetILNS1_3genE8ELNS1_11target_archE1030ELNS1_3gpuE2ELNS1_3repE0EEENS1_30default_config_static_selectorELNS0_4arch9wavefront6targetE1EEEvT1_,"axG",@progbits,_ZN7rocprim17ROCPRIM_400000_NS6detail17trampoline_kernelINS0_14default_configENS1_25partition_config_selectorILNS1_17partition_subalgoE0EsNS0_10empty_typeEbEEZZNS1_14partition_implILS5_0ELb0ES3_jN6thrust23THRUST_200600_302600_NS6detail15normal_iteratorINSA_10device_ptrIsEEEEPS6_SG_NS0_5tupleIJSF_NSA_16discard_iteratorINSA_11use_defaultEEEEEENSH_IJSG_SG_EEES6_PlJ7is_evenIsEEEE10hipError_tPvRmT3_T4_T5_T6_T7_T9_mT8_P12ihipStream_tbDpT10_ENKUlT_T0_E_clISt17integral_constantIbLb1EES19_EEDaS14_S15_EUlS14_E_NS1_11comp_targetILNS1_3genE8ELNS1_11target_archE1030ELNS1_3gpuE2ELNS1_3repE0EEENS1_30default_config_static_selectorELNS0_4arch9wavefront6targetE1EEEvT1_,comdat
.Lfunc_end2826:
	.size	_ZN7rocprim17ROCPRIM_400000_NS6detail17trampoline_kernelINS0_14default_configENS1_25partition_config_selectorILNS1_17partition_subalgoE0EsNS0_10empty_typeEbEEZZNS1_14partition_implILS5_0ELb0ES3_jN6thrust23THRUST_200600_302600_NS6detail15normal_iteratorINSA_10device_ptrIsEEEEPS6_SG_NS0_5tupleIJSF_NSA_16discard_iteratorINSA_11use_defaultEEEEEENSH_IJSG_SG_EEES6_PlJ7is_evenIsEEEE10hipError_tPvRmT3_T4_T5_T6_T7_T9_mT8_P12ihipStream_tbDpT10_ENKUlT_T0_E_clISt17integral_constantIbLb1EES19_EEDaS14_S15_EUlS14_E_NS1_11comp_targetILNS1_3genE8ELNS1_11target_archE1030ELNS1_3gpuE2ELNS1_3repE0EEENS1_30default_config_static_selectorELNS0_4arch9wavefront6targetE1EEEvT1_, .Lfunc_end2826-_ZN7rocprim17ROCPRIM_400000_NS6detail17trampoline_kernelINS0_14default_configENS1_25partition_config_selectorILNS1_17partition_subalgoE0EsNS0_10empty_typeEbEEZZNS1_14partition_implILS5_0ELb0ES3_jN6thrust23THRUST_200600_302600_NS6detail15normal_iteratorINSA_10device_ptrIsEEEEPS6_SG_NS0_5tupleIJSF_NSA_16discard_iteratorINSA_11use_defaultEEEEEENSH_IJSG_SG_EEES6_PlJ7is_evenIsEEEE10hipError_tPvRmT3_T4_T5_T6_T7_T9_mT8_P12ihipStream_tbDpT10_ENKUlT_T0_E_clISt17integral_constantIbLb1EES19_EEDaS14_S15_EUlS14_E_NS1_11comp_targetILNS1_3genE8ELNS1_11target_archE1030ELNS1_3gpuE2ELNS1_3repE0EEENS1_30default_config_static_selectorELNS0_4arch9wavefront6targetE1EEEvT1_
                                        ; -- End function
	.section	.AMDGPU.csdata,"",@progbits
; Kernel info:
; codeLenInByte = 0
; NumSgprs: 4
; NumVgprs: 0
; NumAgprs: 0
; TotalNumVgprs: 0
; ScratchSize: 0
; MemoryBound: 0
; FloatMode: 240
; IeeeMode: 1
; LDSByteSize: 0 bytes/workgroup (compile time only)
; SGPRBlocks: 0
; VGPRBlocks: 0
; NumSGPRsForWavesPerEU: 4
; NumVGPRsForWavesPerEU: 1
; AccumOffset: 4
; Occupancy: 8
; WaveLimiterHint : 0
; COMPUTE_PGM_RSRC2:SCRATCH_EN: 0
; COMPUTE_PGM_RSRC2:USER_SGPR: 6
; COMPUTE_PGM_RSRC2:TRAP_HANDLER: 0
; COMPUTE_PGM_RSRC2:TGID_X_EN: 1
; COMPUTE_PGM_RSRC2:TGID_Y_EN: 0
; COMPUTE_PGM_RSRC2:TGID_Z_EN: 0
; COMPUTE_PGM_RSRC2:TIDIG_COMP_CNT: 0
; COMPUTE_PGM_RSRC3_GFX90A:ACCUM_OFFSET: 0
; COMPUTE_PGM_RSRC3_GFX90A:TG_SPLIT: 0
	.section	.text._ZN7rocprim17ROCPRIM_400000_NS6detail17trampoline_kernelINS0_14default_configENS1_25partition_config_selectorILNS1_17partition_subalgoE0EsNS0_10empty_typeEbEEZZNS1_14partition_implILS5_0ELb0ES3_jN6thrust23THRUST_200600_302600_NS6detail15normal_iteratorINSA_10device_ptrIsEEEEPS6_SG_NS0_5tupleIJSF_NSA_16discard_iteratorINSA_11use_defaultEEEEEENSH_IJSG_SG_EEES6_PlJ7is_evenIsEEEE10hipError_tPvRmT3_T4_T5_T6_T7_T9_mT8_P12ihipStream_tbDpT10_ENKUlT_T0_E_clISt17integral_constantIbLb1EES18_IbLb0EEEEDaS14_S15_EUlS14_E_NS1_11comp_targetILNS1_3genE0ELNS1_11target_archE4294967295ELNS1_3gpuE0ELNS1_3repE0EEENS1_30default_config_static_selectorELNS0_4arch9wavefront6targetE1EEEvT1_,"axG",@progbits,_ZN7rocprim17ROCPRIM_400000_NS6detail17trampoline_kernelINS0_14default_configENS1_25partition_config_selectorILNS1_17partition_subalgoE0EsNS0_10empty_typeEbEEZZNS1_14partition_implILS5_0ELb0ES3_jN6thrust23THRUST_200600_302600_NS6detail15normal_iteratorINSA_10device_ptrIsEEEEPS6_SG_NS0_5tupleIJSF_NSA_16discard_iteratorINSA_11use_defaultEEEEEENSH_IJSG_SG_EEES6_PlJ7is_evenIsEEEE10hipError_tPvRmT3_T4_T5_T6_T7_T9_mT8_P12ihipStream_tbDpT10_ENKUlT_T0_E_clISt17integral_constantIbLb1EES18_IbLb0EEEEDaS14_S15_EUlS14_E_NS1_11comp_targetILNS1_3genE0ELNS1_11target_archE4294967295ELNS1_3gpuE0ELNS1_3repE0EEENS1_30default_config_static_selectorELNS0_4arch9wavefront6targetE1EEEvT1_,comdat
	.protected	_ZN7rocprim17ROCPRIM_400000_NS6detail17trampoline_kernelINS0_14default_configENS1_25partition_config_selectorILNS1_17partition_subalgoE0EsNS0_10empty_typeEbEEZZNS1_14partition_implILS5_0ELb0ES3_jN6thrust23THRUST_200600_302600_NS6detail15normal_iteratorINSA_10device_ptrIsEEEEPS6_SG_NS0_5tupleIJSF_NSA_16discard_iteratorINSA_11use_defaultEEEEEENSH_IJSG_SG_EEES6_PlJ7is_evenIsEEEE10hipError_tPvRmT3_T4_T5_T6_T7_T9_mT8_P12ihipStream_tbDpT10_ENKUlT_T0_E_clISt17integral_constantIbLb1EES18_IbLb0EEEEDaS14_S15_EUlS14_E_NS1_11comp_targetILNS1_3genE0ELNS1_11target_archE4294967295ELNS1_3gpuE0ELNS1_3repE0EEENS1_30default_config_static_selectorELNS0_4arch9wavefront6targetE1EEEvT1_ ; -- Begin function _ZN7rocprim17ROCPRIM_400000_NS6detail17trampoline_kernelINS0_14default_configENS1_25partition_config_selectorILNS1_17partition_subalgoE0EsNS0_10empty_typeEbEEZZNS1_14partition_implILS5_0ELb0ES3_jN6thrust23THRUST_200600_302600_NS6detail15normal_iteratorINSA_10device_ptrIsEEEEPS6_SG_NS0_5tupleIJSF_NSA_16discard_iteratorINSA_11use_defaultEEEEEENSH_IJSG_SG_EEES6_PlJ7is_evenIsEEEE10hipError_tPvRmT3_T4_T5_T6_T7_T9_mT8_P12ihipStream_tbDpT10_ENKUlT_T0_E_clISt17integral_constantIbLb1EES18_IbLb0EEEEDaS14_S15_EUlS14_E_NS1_11comp_targetILNS1_3genE0ELNS1_11target_archE4294967295ELNS1_3gpuE0ELNS1_3repE0EEENS1_30default_config_static_selectorELNS0_4arch9wavefront6targetE1EEEvT1_
	.globl	_ZN7rocprim17ROCPRIM_400000_NS6detail17trampoline_kernelINS0_14default_configENS1_25partition_config_selectorILNS1_17partition_subalgoE0EsNS0_10empty_typeEbEEZZNS1_14partition_implILS5_0ELb0ES3_jN6thrust23THRUST_200600_302600_NS6detail15normal_iteratorINSA_10device_ptrIsEEEEPS6_SG_NS0_5tupleIJSF_NSA_16discard_iteratorINSA_11use_defaultEEEEEENSH_IJSG_SG_EEES6_PlJ7is_evenIsEEEE10hipError_tPvRmT3_T4_T5_T6_T7_T9_mT8_P12ihipStream_tbDpT10_ENKUlT_T0_E_clISt17integral_constantIbLb1EES18_IbLb0EEEEDaS14_S15_EUlS14_E_NS1_11comp_targetILNS1_3genE0ELNS1_11target_archE4294967295ELNS1_3gpuE0ELNS1_3repE0EEENS1_30default_config_static_selectorELNS0_4arch9wavefront6targetE1EEEvT1_
	.p2align	8
	.type	_ZN7rocprim17ROCPRIM_400000_NS6detail17trampoline_kernelINS0_14default_configENS1_25partition_config_selectorILNS1_17partition_subalgoE0EsNS0_10empty_typeEbEEZZNS1_14partition_implILS5_0ELb0ES3_jN6thrust23THRUST_200600_302600_NS6detail15normal_iteratorINSA_10device_ptrIsEEEEPS6_SG_NS0_5tupleIJSF_NSA_16discard_iteratorINSA_11use_defaultEEEEEENSH_IJSG_SG_EEES6_PlJ7is_evenIsEEEE10hipError_tPvRmT3_T4_T5_T6_T7_T9_mT8_P12ihipStream_tbDpT10_ENKUlT_T0_E_clISt17integral_constantIbLb1EES18_IbLb0EEEEDaS14_S15_EUlS14_E_NS1_11comp_targetILNS1_3genE0ELNS1_11target_archE4294967295ELNS1_3gpuE0ELNS1_3repE0EEENS1_30default_config_static_selectorELNS0_4arch9wavefront6targetE1EEEvT1_,@function
_ZN7rocprim17ROCPRIM_400000_NS6detail17trampoline_kernelINS0_14default_configENS1_25partition_config_selectorILNS1_17partition_subalgoE0EsNS0_10empty_typeEbEEZZNS1_14partition_implILS5_0ELb0ES3_jN6thrust23THRUST_200600_302600_NS6detail15normal_iteratorINSA_10device_ptrIsEEEEPS6_SG_NS0_5tupleIJSF_NSA_16discard_iteratorINSA_11use_defaultEEEEEENSH_IJSG_SG_EEES6_PlJ7is_evenIsEEEE10hipError_tPvRmT3_T4_T5_T6_T7_T9_mT8_P12ihipStream_tbDpT10_ENKUlT_T0_E_clISt17integral_constantIbLb1EES18_IbLb0EEEEDaS14_S15_EUlS14_E_NS1_11comp_targetILNS1_3genE0ELNS1_11target_archE4294967295ELNS1_3gpuE0ELNS1_3repE0EEENS1_30default_config_static_selectorELNS0_4arch9wavefront6targetE1EEEvT1_: ; @_ZN7rocprim17ROCPRIM_400000_NS6detail17trampoline_kernelINS0_14default_configENS1_25partition_config_selectorILNS1_17partition_subalgoE0EsNS0_10empty_typeEbEEZZNS1_14partition_implILS5_0ELb0ES3_jN6thrust23THRUST_200600_302600_NS6detail15normal_iteratorINSA_10device_ptrIsEEEEPS6_SG_NS0_5tupleIJSF_NSA_16discard_iteratorINSA_11use_defaultEEEEEENSH_IJSG_SG_EEES6_PlJ7is_evenIsEEEE10hipError_tPvRmT3_T4_T5_T6_T7_T9_mT8_P12ihipStream_tbDpT10_ENKUlT_T0_E_clISt17integral_constantIbLb1EES18_IbLb0EEEEDaS14_S15_EUlS14_E_NS1_11comp_targetILNS1_3genE0ELNS1_11target_archE4294967295ELNS1_3gpuE0ELNS1_3repE0EEENS1_30default_config_static_selectorELNS0_4arch9wavefront6targetE1EEEvT1_
; %bb.0:
	.section	.rodata,"a",@progbits
	.p2align	6, 0x0
	.amdhsa_kernel _ZN7rocprim17ROCPRIM_400000_NS6detail17trampoline_kernelINS0_14default_configENS1_25partition_config_selectorILNS1_17partition_subalgoE0EsNS0_10empty_typeEbEEZZNS1_14partition_implILS5_0ELb0ES3_jN6thrust23THRUST_200600_302600_NS6detail15normal_iteratorINSA_10device_ptrIsEEEEPS6_SG_NS0_5tupleIJSF_NSA_16discard_iteratorINSA_11use_defaultEEEEEENSH_IJSG_SG_EEES6_PlJ7is_evenIsEEEE10hipError_tPvRmT3_T4_T5_T6_T7_T9_mT8_P12ihipStream_tbDpT10_ENKUlT_T0_E_clISt17integral_constantIbLb1EES18_IbLb0EEEEDaS14_S15_EUlS14_E_NS1_11comp_targetILNS1_3genE0ELNS1_11target_archE4294967295ELNS1_3gpuE0ELNS1_3repE0EEENS1_30default_config_static_selectorELNS0_4arch9wavefront6targetE1EEEvT1_
		.amdhsa_group_segment_fixed_size 0
		.amdhsa_private_segment_fixed_size 0
		.amdhsa_kernarg_size 128
		.amdhsa_user_sgpr_count 6
		.amdhsa_user_sgpr_private_segment_buffer 1
		.amdhsa_user_sgpr_dispatch_ptr 0
		.amdhsa_user_sgpr_queue_ptr 0
		.amdhsa_user_sgpr_kernarg_segment_ptr 1
		.amdhsa_user_sgpr_dispatch_id 0
		.amdhsa_user_sgpr_flat_scratch_init 0
		.amdhsa_user_sgpr_kernarg_preload_length 0
		.amdhsa_user_sgpr_kernarg_preload_offset 0
		.amdhsa_user_sgpr_private_segment_size 0
		.amdhsa_uses_dynamic_stack 0
		.amdhsa_system_sgpr_private_segment_wavefront_offset 0
		.amdhsa_system_sgpr_workgroup_id_x 1
		.amdhsa_system_sgpr_workgroup_id_y 0
		.amdhsa_system_sgpr_workgroup_id_z 0
		.amdhsa_system_sgpr_workgroup_info 0
		.amdhsa_system_vgpr_workitem_id 0
		.amdhsa_next_free_vgpr 1
		.amdhsa_next_free_sgpr 0
		.amdhsa_accum_offset 4
		.amdhsa_reserve_vcc 0
		.amdhsa_reserve_flat_scratch 0
		.amdhsa_float_round_mode_32 0
		.amdhsa_float_round_mode_16_64 0
		.amdhsa_float_denorm_mode_32 3
		.amdhsa_float_denorm_mode_16_64 3
		.amdhsa_dx10_clamp 1
		.amdhsa_ieee_mode 1
		.amdhsa_fp16_overflow 0
		.amdhsa_tg_split 0
		.amdhsa_exception_fp_ieee_invalid_op 0
		.amdhsa_exception_fp_denorm_src 0
		.amdhsa_exception_fp_ieee_div_zero 0
		.amdhsa_exception_fp_ieee_overflow 0
		.amdhsa_exception_fp_ieee_underflow 0
		.amdhsa_exception_fp_ieee_inexact 0
		.amdhsa_exception_int_div_zero 0
	.end_amdhsa_kernel
	.section	.text._ZN7rocprim17ROCPRIM_400000_NS6detail17trampoline_kernelINS0_14default_configENS1_25partition_config_selectorILNS1_17partition_subalgoE0EsNS0_10empty_typeEbEEZZNS1_14partition_implILS5_0ELb0ES3_jN6thrust23THRUST_200600_302600_NS6detail15normal_iteratorINSA_10device_ptrIsEEEEPS6_SG_NS0_5tupleIJSF_NSA_16discard_iteratorINSA_11use_defaultEEEEEENSH_IJSG_SG_EEES6_PlJ7is_evenIsEEEE10hipError_tPvRmT3_T4_T5_T6_T7_T9_mT8_P12ihipStream_tbDpT10_ENKUlT_T0_E_clISt17integral_constantIbLb1EES18_IbLb0EEEEDaS14_S15_EUlS14_E_NS1_11comp_targetILNS1_3genE0ELNS1_11target_archE4294967295ELNS1_3gpuE0ELNS1_3repE0EEENS1_30default_config_static_selectorELNS0_4arch9wavefront6targetE1EEEvT1_,"axG",@progbits,_ZN7rocprim17ROCPRIM_400000_NS6detail17trampoline_kernelINS0_14default_configENS1_25partition_config_selectorILNS1_17partition_subalgoE0EsNS0_10empty_typeEbEEZZNS1_14partition_implILS5_0ELb0ES3_jN6thrust23THRUST_200600_302600_NS6detail15normal_iteratorINSA_10device_ptrIsEEEEPS6_SG_NS0_5tupleIJSF_NSA_16discard_iteratorINSA_11use_defaultEEEEEENSH_IJSG_SG_EEES6_PlJ7is_evenIsEEEE10hipError_tPvRmT3_T4_T5_T6_T7_T9_mT8_P12ihipStream_tbDpT10_ENKUlT_T0_E_clISt17integral_constantIbLb1EES18_IbLb0EEEEDaS14_S15_EUlS14_E_NS1_11comp_targetILNS1_3genE0ELNS1_11target_archE4294967295ELNS1_3gpuE0ELNS1_3repE0EEENS1_30default_config_static_selectorELNS0_4arch9wavefront6targetE1EEEvT1_,comdat
.Lfunc_end2827:
	.size	_ZN7rocprim17ROCPRIM_400000_NS6detail17trampoline_kernelINS0_14default_configENS1_25partition_config_selectorILNS1_17partition_subalgoE0EsNS0_10empty_typeEbEEZZNS1_14partition_implILS5_0ELb0ES3_jN6thrust23THRUST_200600_302600_NS6detail15normal_iteratorINSA_10device_ptrIsEEEEPS6_SG_NS0_5tupleIJSF_NSA_16discard_iteratorINSA_11use_defaultEEEEEENSH_IJSG_SG_EEES6_PlJ7is_evenIsEEEE10hipError_tPvRmT3_T4_T5_T6_T7_T9_mT8_P12ihipStream_tbDpT10_ENKUlT_T0_E_clISt17integral_constantIbLb1EES18_IbLb0EEEEDaS14_S15_EUlS14_E_NS1_11comp_targetILNS1_3genE0ELNS1_11target_archE4294967295ELNS1_3gpuE0ELNS1_3repE0EEENS1_30default_config_static_selectorELNS0_4arch9wavefront6targetE1EEEvT1_, .Lfunc_end2827-_ZN7rocprim17ROCPRIM_400000_NS6detail17trampoline_kernelINS0_14default_configENS1_25partition_config_selectorILNS1_17partition_subalgoE0EsNS0_10empty_typeEbEEZZNS1_14partition_implILS5_0ELb0ES3_jN6thrust23THRUST_200600_302600_NS6detail15normal_iteratorINSA_10device_ptrIsEEEEPS6_SG_NS0_5tupleIJSF_NSA_16discard_iteratorINSA_11use_defaultEEEEEENSH_IJSG_SG_EEES6_PlJ7is_evenIsEEEE10hipError_tPvRmT3_T4_T5_T6_T7_T9_mT8_P12ihipStream_tbDpT10_ENKUlT_T0_E_clISt17integral_constantIbLb1EES18_IbLb0EEEEDaS14_S15_EUlS14_E_NS1_11comp_targetILNS1_3genE0ELNS1_11target_archE4294967295ELNS1_3gpuE0ELNS1_3repE0EEENS1_30default_config_static_selectorELNS0_4arch9wavefront6targetE1EEEvT1_
                                        ; -- End function
	.section	.AMDGPU.csdata,"",@progbits
; Kernel info:
; codeLenInByte = 0
; NumSgprs: 4
; NumVgprs: 0
; NumAgprs: 0
; TotalNumVgprs: 0
; ScratchSize: 0
; MemoryBound: 0
; FloatMode: 240
; IeeeMode: 1
; LDSByteSize: 0 bytes/workgroup (compile time only)
; SGPRBlocks: 0
; VGPRBlocks: 0
; NumSGPRsForWavesPerEU: 4
; NumVGPRsForWavesPerEU: 1
; AccumOffset: 4
; Occupancy: 8
; WaveLimiterHint : 0
; COMPUTE_PGM_RSRC2:SCRATCH_EN: 0
; COMPUTE_PGM_RSRC2:USER_SGPR: 6
; COMPUTE_PGM_RSRC2:TRAP_HANDLER: 0
; COMPUTE_PGM_RSRC2:TGID_X_EN: 1
; COMPUTE_PGM_RSRC2:TGID_Y_EN: 0
; COMPUTE_PGM_RSRC2:TGID_Z_EN: 0
; COMPUTE_PGM_RSRC2:TIDIG_COMP_CNT: 0
; COMPUTE_PGM_RSRC3_GFX90A:ACCUM_OFFSET: 0
; COMPUTE_PGM_RSRC3_GFX90A:TG_SPLIT: 0
	.section	.text._ZN7rocprim17ROCPRIM_400000_NS6detail17trampoline_kernelINS0_14default_configENS1_25partition_config_selectorILNS1_17partition_subalgoE0EsNS0_10empty_typeEbEEZZNS1_14partition_implILS5_0ELb0ES3_jN6thrust23THRUST_200600_302600_NS6detail15normal_iteratorINSA_10device_ptrIsEEEEPS6_SG_NS0_5tupleIJSF_NSA_16discard_iteratorINSA_11use_defaultEEEEEENSH_IJSG_SG_EEES6_PlJ7is_evenIsEEEE10hipError_tPvRmT3_T4_T5_T6_T7_T9_mT8_P12ihipStream_tbDpT10_ENKUlT_T0_E_clISt17integral_constantIbLb1EES18_IbLb0EEEEDaS14_S15_EUlS14_E_NS1_11comp_targetILNS1_3genE5ELNS1_11target_archE942ELNS1_3gpuE9ELNS1_3repE0EEENS1_30default_config_static_selectorELNS0_4arch9wavefront6targetE1EEEvT1_,"axG",@progbits,_ZN7rocprim17ROCPRIM_400000_NS6detail17trampoline_kernelINS0_14default_configENS1_25partition_config_selectorILNS1_17partition_subalgoE0EsNS0_10empty_typeEbEEZZNS1_14partition_implILS5_0ELb0ES3_jN6thrust23THRUST_200600_302600_NS6detail15normal_iteratorINSA_10device_ptrIsEEEEPS6_SG_NS0_5tupleIJSF_NSA_16discard_iteratorINSA_11use_defaultEEEEEENSH_IJSG_SG_EEES6_PlJ7is_evenIsEEEE10hipError_tPvRmT3_T4_T5_T6_T7_T9_mT8_P12ihipStream_tbDpT10_ENKUlT_T0_E_clISt17integral_constantIbLb1EES18_IbLb0EEEEDaS14_S15_EUlS14_E_NS1_11comp_targetILNS1_3genE5ELNS1_11target_archE942ELNS1_3gpuE9ELNS1_3repE0EEENS1_30default_config_static_selectorELNS0_4arch9wavefront6targetE1EEEvT1_,comdat
	.protected	_ZN7rocprim17ROCPRIM_400000_NS6detail17trampoline_kernelINS0_14default_configENS1_25partition_config_selectorILNS1_17partition_subalgoE0EsNS0_10empty_typeEbEEZZNS1_14partition_implILS5_0ELb0ES3_jN6thrust23THRUST_200600_302600_NS6detail15normal_iteratorINSA_10device_ptrIsEEEEPS6_SG_NS0_5tupleIJSF_NSA_16discard_iteratorINSA_11use_defaultEEEEEENSH_IJSG_SG_EEES6_PlJ7is_evenIsEEEE10hipError_tPvRmT3_T4_T5_T6_T7_T9_mT8_P12ihipStream_tbDpT10_ENKUlT_T0_E_clISt17integral_constantIbLb1EES18_IbLb0EEEEDaS14_S15_EUlS14_E_NS1_11comp_targetILNS1_3genE5ELNS1_11target_archE942ELNS1_3gpuE9ELNS1_3repE0EEENS1_30default_config_static_selectorELNS0_4arch9wavefront6targetE1EEEvT1_ ; -- Begin function _ZN7rocprim17ROCPRIM_400000_NS6detail17trampoline_kernelINS0_14default_configENS1_25partition_config_selectorILNS1_17partition_subalgoE0EsNS0_10empty_typeEbEEZZNS1_14partition_implILS5_0ELb0ES3_jN6thrust23THRUST_200600_302600_NS6detail15normal_iteratorINSA_10device_ptrIsEEEEPS6_SG_NS0_5tupleIJSF_NSA_16discard_iteratorINSA_11use_defaultEEEEEENSH_IJSG_SG_EEES6_PlJ7is_evenIsEEEE10hipError_tPvRmT3_T4_T5_T6_T7_T9_mT8_P12ihipStream_tbDpT10_ENKUlT_T0_E_clISt17integral_constantIbLb1EES18_IbLb0EEEEDaS14_S15_EUlS14_E_NS1_11comp_targetILNS1_3genE5ELNS1_11target_archE942ELNS1_3gpuE9ELNS1_3repE0EEENS1_30default_config_static_selectorELNS0_4arch9wavefront6targetE1EEEvT1_
	.globl	_ZN7rocprim17ROCPRIM_400000_NS6detail17trampoline_kernelINS0_14default_configENS1_25partition_config_selectorILNS1_17partition_subalgoE0EsNS0_10empty_typeEbEEZZNS1_14partition_implILS5_0ELb0ES3_jN6thrust23THRUST_200600_302600_NS6detail15normal_iteratorINSA_10device_ptrIsEEEEPS6_SG_NS0_5tupleIJSF_NSA_16discard_iteratorINSA_11use_defaultEEEEEENSH_IJSG_SG_EEES6_PlJ7is_evenIsEEEE10hipError_tPvRmT3_T4_T5_T6_T7_T9_mT8_P12ihipStream_tbDpT10_ENKUlT_T0_E_clISt17integral_constantIbLb1EES18_IbLb0EEEEDaS14_S15_EUlS14_E_NS1_11comp_targetILNS1_3genE5ELNS1_11target_archE942ELNS1_3gpuE9ELNS1_3repE0EEENS1_30default_config_static_selectorELNS0_4arch9wavefront6targetE1EEEvT1_
	.p2align	8
	.type	_ZN7rocprim17ROCPRIM_400000_NS6detail17trampoline_kernelINS0_14default_configENS1_25partition_config_selectorILNS1_17partition_subalgoE0EsNS0_10empty_typeEbEEZZNS1_14partition_implILS5_0ELb0ES3_jN6thrust23THRUST_200600_302600_NS6detail15normal_iteratorINSA_10device_ptrIsEEEEPS6_SG_NS0_5tupleIJSF_NSA_16discard_iteratorINSA_11use_defaultEEEEEENSH_IJSG_SG_EEES6_PlJ7is_evenIsEEEE10hipError_tPvRmT3_T4_T5_T6_T7_T9_mT8_P12ihipStream_tbDpT10_ENKUlT_T0_E_clISt17integral_constantIbLb1EES18_IbLb0EEEEDaS14_S15_EUlS14_E_NS1_11comp_targetILNS1_3genE5ELNS1_11target_archE942ELNS1_3gpuE9ELNS1_3repE0EEENS1_30default_config_static_selectorELNS0_4arch9wavefront6targetE1EEEvT1_,@function
_ZN7rocprim17ROCPRIM_400000_NS6detail17trampoline_kernelINS0_14default_configENS1_25partition_config_selectorILNS1_17partition_subalgoE0EsNS0_10empty_typeEbEEZZNS1_14partition_implILS5_0ELb0ES3_jN6thrust23THRUST_200600_302600_NS6detail15normal_iteratorINSA_10device_ptrIsEEEEPS6_SG_NS0_5tupleIJSF_NSA_16discard_iteratorINSA_11use_defaultEEEEEENSH_IJSG_SG_EEES6_PlJ7is_evenIsEEEE10hipError_tPvRmT3_T4_T5_T6_T7_T9_mT8_P12ihipStream_tbDpT10_ENKUlT_T0_E_clISt17integral_constantIbLb1EES18_IbLb0EEEEDaS14_S15_EUlS14_E_NS1_11comp_targetILNS1_3genE5ELNS1_11target_archE942ELNS1_3gpuE9ELNS1_3repE0EEENS1_30default_config_static_selectorELNS0_4arch9wavefront6targetE1EEEvT1_: ; @_ZN7rocprim17ROCPRIM_400000_NS6detail17trampoline_kernelINS0_14default_configENS1_25partition_config_selectorILNS1_17partition_subalgoE0EsNS0_10empty_typeEbEEZZNS1_14partition_implILS5_0ELb0ES3_jN6thrust23THRUST_200600_302600_NS6detail15normal_iteratorINSA_10device_ptrIsEEEEPS6_SG_NS0_5tupleIJSF_NSA_16discard_iteratorINSA_11use_defaultEEEEEENSH_IJSG_SG_EEES6_PlJ7is_evenIsEEEE10hipError_tPvRmT3_T4_T5_T6_T7_T9_mT8_P12ihipStream_tbDpT10_ENKUlT_T0_E_clISt17integral_constantIbLb1EES18_IbLb0EEEEDaS14_S15_EUlS14_E_NS1_11comp_targetILNS1_3genE5ELNS1_11target_archE942ELNS1_3gpuE9ELNS1_3repE0EEENS1_30default_config_static_selectorELNS0_4arch9wavefront6targetE1EEEvT1_
; %bb.0:
	.section	.rodata,"a",@progbits
	.p2align	6, 0x0
	.amdhsa_kernel _ZN7rocprim17ROCPRIM_400000_NS6detail17trampoline_kernelINS0_14default_configENS1_25partition_config_selectorILNS1_17partition_subalgoE0EsNS0_10empty_typeEbEEZZNS1_14partition_implILS5_0ELb0ES3_jN6thrust23THRUST_200600_302600_NS6detail15normal_iteratorINSA_10device_ptrIsEEEEPS6_SG_NS0_5tupleIJSF_NSA_16discard_iteratorINSA_11use_defaultEEEEEENSH_IJSG_SG_EEES6_PlJ7is_evenIsEEEE10hipError_tPvRmT3_T4_T5_T6_T7_T9_mT8_P12ihipStream_tbDpT10_ENKUlT_T0_E_clISt17integral_constantIbLb1EES18_IbLb0EEEEDaS14_S15_EUlS14_E_NS1_11comp_targetILNS1_3genE5ELNS1_11target_archE942ELNS1_3gpuE9ELNS1_3repE0EEENS1_30default_config_static_selectorELNS0_4arch9wavefront6targetE1EEEvT1_
		.amdhsa_group_segment_fixed_size 0
		.amdhsa_private_segment_fixed_size 0
		.amdhsa_kernarg_size 128
		.amdhsa_user_sgpr_count 6
		.amdhsa_user_sgpr_private_segment_buffer 1
		.amdhsa_user_sgpr_dispatch_ptr 0
		.amdhsa_user_sgpr_queue_ptr 0
		.amdhsa_user_sgpr_kernarg_segment_ptr 1
		.amdhsa_user_sgpr_dispatch_id 0
		.amdhsa_user_sgpr_flat_scratch_init 0
		.amdhsa_user_sgpr_kernarg_preload_length 0
		.amdhsa_user_sgpr_kernarg_preload_offset 0
		.amdhsa_user_sgpr_private_segment_size 0
		.amdhsa_uses_dynamic_stack 0
		.amdhsa_system_sgpr_private_segment_wavefront_offset 0
		.amdhsa_system_sgpr_workgroup_id_x 1
		.amdhsa_system_sgpr_workgroup_id_y 0
		.amdhsa_system_sgpr_workgroup_id_z 0
		.amdhsa_system_sgpr_workgroup_info 0
		.amdhsa_system_vgpr_workitem_id 0
		.amdhsa_next_free_vgpr 1
		.amdhsa_next_free_sgpr 0
		.amdhsa_accum_offset 4
		.amdhsa_reserve_vcc 0
		.amdhsa_reserve_flat_scratch 0
		.amdhsa_float_round_mode_32 0
		.amdhsa_float_round_mode_16_64 0
		.amdhsa_float_denorm_mode_32 3
		.amdhsa_float_denorm_mode_16_64 3
		.amdhsa_dx10_clamp 1
		.amdhsa_ieee_mode 1
		.amdhsa_fp16_overflow 0
		.amdhsa_tg_split 0
		.amdhsa_exception_fp_ieee_invalid_op 0
		.amdhsa_exception_fp_denorm_src 0
		.amdhsa_exception_fp_ieee_div_zero 0
		.amdhsa_exception_fp_ieee_overflow 0
		.amdhsa_exception_fp_ieee_underflow 0
		.amdhsa_exception_fp_ieee_inexact 0
		.amdhsa_exception_int_div_zero 0
	.end_amdhsa_kernel
	.section	.text._ZN7rocprim17ROCPRIM_400000_NS6detail17trampoline_kernelINS0_14default_configENS1_25partition_config_selectorILNS1_17partition_subalgoE0EsNS0_10empty_typeEbEEZZNS1_14partition_implILS5_0ELb0ES3_jN6thrust23THRUST_200600_302600_NS6detail15normal_iteratorINSA_10device_ptrIsEEEEPS6_SG_NS0_5tupleIJSF_NSA_16discard_iteratorINSA_11use_defaultEEEEEENSH_IJSG_SG_EEES6_PlJ7is_evenIsEEEE10hipError_tPvRmT3_T4_T5_T6_T7_T9_mT8_P12ihipStream_tbDpT10_ENKUlT_T0_E_clISt17integral_constantIbLb1EES18_IbLb0EEEEDaS14_S15_EUlS14_E_NS1_11comp_targetILNS1_3genE5ELNS1_11target_archE942ELNS1_3gpuE9ELNS1_3repE0EEENS1_30default_config_static_selectorELNS0_4arch9wavefront6targetE1EEEvT1_,"axG",@progbits,_ZN7rocprim17ROCPRIM_400000_NS6detail17trampoline_kernelINS0_14default_configENS1_25partition_config_selectorILNS1_17partition_subalgoE0EsNS0_10empty_typeEbEEZZNS1_14partition_implILS5_0ELb0ES3_jN6thrust23THRUST_200600_302600_NS6detail15normal_iteratorINSA_10device_ptrIsEEEEPS6_SG_NS0_5tupleIJSF_NSA_16discard_iteratorINSA_11use_defaultEEEEEENSH_IJSG_SG_EEES6_PlJ7is_evenIsEEEE10hipError_tPvRmT3_T4_T5_T6_T7_T9_mT8_P12ihipStream_tbDpT10_ENKUlT_T0_E_clISt17integral_constantIbLb1EES18_IbLb0EEEEDaS14_S15_EUlS14_E_NS1_11comp_targetILNS1_3genE5ELNS1_11target_archE942ELNS1_3gpuE9ELNS1_3repE0EEENS1_30default_config_static_selectorELNS0_4arch9wavefront6targetE1EEEvT1_,comdat
.Lfunc_end2828:
	.size	_ZN7rocprim17ROCPRIM_400000_NS6detail17trampoline_kernelINS0_14default_configENS1_25partition_config_selectorILNS1_17partition_subalgoE0EsNS0_10empty_typeEbEEZZNS1_14partition_implILS5_0ELb0ES3_jN6thrust23THRUST_200600_302600_NS6detail15normal_iteratorINSA_10device_ptrIsEEEEPS6_SG_NS0_5tupleIJSF_NSA_16discard_iteratorINSA_11use_defaultEEEEEENSH_IJSG_SG_EEES6_PlJ7is_evenIsEEEE10hipError_tPvRmT3_T4_T5_T6_T7_T9_mT8_P12ihipStream_tbDpT10_ENKUlT_T0_E_clISt17integral_constantIbLb1EES18_IbLb0EEEEDaS14_S15_EUlS14_E_NS1_11comp_targetILNS1_3genE5ELNS1_11target_archE942ELNS1_3gpuE9ELNS1_3repE0EEENS1_30default_config_static_selectorELNS0_4arch9wavefront6targetE1EEEvT1_, .Lfunc_end2828-_ZN7rocprim17ROCPRIM_400000_NS6detail17trampoline_kernelINS0_14default_configENS1_25partition_config_selectorILNS1_17partition_subalgoE0EsNS0_10empty_typeEbEEZZNS1_14partition_implILS5_0ELb0ES3_jN6thrust23THRUST_200600_302600_NS6detail15normal_iteratorINSA_10device_ptrIsEEEEPS6_SG_NS0_5tupleIJSF_NSA_16discard_iteratorINSA_11use_defaultEEEEEENSH_IJSG_SG_EEES6_PlJ7is_evenIsEEEE10hipError_tPvRmT3_T4_T5_T6_T7_T9_mT8_P12ihipStream_tbDpT10_ENKUlT_T0_E_clISt17integral_constantIbLb1EES18_IbLb0EEEEDaS14_S15_EUlS14_E_NS1_11comp_targetILNS1_3genE5ELNS1_11target_archE942ELNS1_3gpuE9ELNS1_3repE0EEENS1_30default_config_static_selectorELNS0_4arch9wavefront6targetE1EEEvT1_
                                        ; -- End function
	.section	.AMDGPU.csdata,"",@progbits
; Kernel info:
; codeLenInByte = 0
; NumSgprs: 4
; NumVgprs: 0
; NumAgprs: 0
; TotalNumVgprs: 0
; ScratchSize: 0
; MemoryBound: 0
; FloatMode: 240
; IeeeMode: 1
; LDSByteSize: 0 bytes/workgroup (compile time only)
; SGPRBlocks: 0
; VGPRBlocks: 0
; NumSGPRsForWavesPerEU: 4
; NumVGPRsForWavesPerEU: 1
; AccumOffset: 4
; Occupancy: 8
; WaveLimiterHint : 0
; COMPUTE_PGM_RSRC2:SCRATCH_EN: 0
; COMPUTE_PGM_RSRC2:USER_SGPR: 6
; COMPUTE_PGM_RSRC2:TRAP_HANDLER: 0
; COMPUTE_PGM_RSRC2:TGID_X_EN: 1
; COMPUTE_PGM_RSRC2:TGID_Y_EN: 0
; COMPUTE_PGM_RSRC2:TGID_Z_EN: 0
; COMPUTE_PGM_RSRC2:TIDIG_COMP_CNT: 0
; COMPUTE_PGM_RSRC3_GFX90A:ACCUM_OFFSET: 0
; COMPUTE_PGM_RSRC3_GFX90A:TG_SPLIT: 0
	.section	.text._ZN7rocprim17ROCPRIM_400000_NS6detail17trampoline_kernelINS0_14default_configENS1_25partition_config_selectorILNS1_17partition_subalgoE0EsNS0_10empty_typeEbEEZZNS1_14partition_implILS5_0ELb0ES3_jN6thrust23THRUST_200600_302600_NS6detail15normal_iteratorINSA_10device_ptrIsEEEEPS6_SG_NS0_5tupleIJSF_NSA_16discard_iteratorINSA_11use_defaultEEEEEENSH_IJSG_SG_EEES6_PlJ7is_evenIsEEEE10hipError_tPvRmT3_T4_T5_T6_T7_T9_mT8_P12ihipStream_tbDpT10_ENKUlT_T0_E_clISt17integral_constantIbLb1EES18_IbLb0EEEEDaS14_S15_EUlS14_E_NS1_11comp_targetILNS1_3genE4ELNS1_11target_archE910ELNS1_3gpuE8ELNS1_3repE0EEENS1_30default_config_static_selectorELNS0_4arch9wavefront6targetE1EEEvT1_,"axG",@progbits,_ZN7rocprim17ROCPRIM_400000_NS6detail17trampoline_kernelINS0_14default_configENS1_25partition_config_selectorILNS1_17partition_subalgoE0EsNS0_10empty_typeEbEEZZNS1_14partition_implILS5_0ELb0ES3_jN6thrust23THRUST_200600_302600_NS6detail15normal_iteratorINSA_10device_ptrIsEEEEPS6_SG_NS0_5tupleIJSF_NSA_16discard_iteratorINSA_11use_defaultEEEEEENSH_IJSG_SG_EEES6_PlJ7is_evenIsEEEE10hipError_tPvRmT3_T4_T5_T6_T7_T9_mT8_P12ihipStream_tbDpT10_ENKUlT_T0_E_clISt17integral_constantIbLb1EES18_IbLb0EEEEDaS14_S15_EUlS14_E_NS1_11comp_targetILNS1_3genE4ELNS1_11target_archE910ELNS1_3gpuE8ELNS1_3repE0EEENS1_30default_config_static_selectorELNS0_4arch9wavefront6targetE1EEEvT1_,comdat
	.protected	_ZN7rocprim17ROCPRIM_400000_NS6detail17trampoline_kernelINS0_14default_configENS1_25partition_config_selectorILNS1_17partition_subalgoE0EsNS0_10empty_typeEbEEZZNS1_14partition_implILS5_0ELb0ES3_jN6thrust23THRUST_200600_302600_NS6detail15normal_iteratorINSA_10device_ptrIsEEEEPS6_SG_NS0_5tupleIJSF_NSA_16discard_iteratorINSA_11use_defaultEEEEEENSH_IJSG_SG_EEES6_PlJ7is_evenIsEEEE10hipError_tPvRmT3_T4_T5_T6_T7_T9_mT8_P12ihipStream_tbDpT10_ENKUlT_T0_E_clISt17integral_constantIbLb1EES18_IbLb0EEEEDaS14_S15_EUlS14_E_NS1_11comp_targetILNS1_3genE4ELNS1_11target_archE910ELNS1_3gpuE8ELNS1_3repE0EEENS1_30default_config_static_selectorELNS0_4arch9wavefront6targetE1EEEvT1_ ; -- Begin function _ZN7rocprim17ROCPRIM_400000_NS6detail17trampoline_kernelINS0_14default_configENS1_25partition_config_selectorILNS1_17partition_subalgoE0EsNS0_10empty_typeEbEEZZNS1_14partition_implILS5_0ELb0ES3_jN6thrust23THRUST_200600_302600_NS6detail15normal_iteratorINSA_10device_ptrIsEEEEPS6_SG_NS0_5tupleIJSF_NSA_16discard_iteratorINSA_11use_defaultEEEEEENSH_IJSG_SG_EEES6_PlJ7is_evenIsEEEE10hipError_tPvRmT3_T4_T5_T6_T7_T9_mT8_P12ihipStream_tbDpT10_ENKUlT_T0_E_clISt17integral_constantIbLb1EES18_IbLb0EEEEDaS14_S15_EUlS14_E_NS1_11comp_targetILNS1_3genE4ELNS1_11target_archE910ELNS1_3gpuE8ELNS1_3repE0EEENS1_30default_config_static_selectorELNS0_4arch9wavefront6targetE1EEEvT1_
	.globl	_ZN7rocprim17ROCPRIM_400000_NS6detail17trampoline_kernelINS0_14default_configENS1_25partition_config_selectorILNS1_17partition_subalgoE0EsNS0_10empty_typeEbEEZZNS1_14partition_implILS5_0ELb0ES3_jN6thrust23THRUST_200600_302600_NS6detail15normal_iteratorINSA_10device_ptrIsEEEEPS6_SG_NS0_5tupleIJSF_NSA_16discard_iteratorINSA_11use_defaultEEEEEENSH_IJSG_SG_EEES6_PlJ7is_evenIsEEEE10hipError_tPvRmT3_T4_T5_T6_T7_T9_mT8_P12ihipStream_tbDpT10_ENKUlT_T0_E_clISt17integral_constantIbLb1EES18_IbLb0EEEEDaS14_S15_EUlS14_E_NS1_11comp_targetILNS1_3genE4ELNS1_11target_archE910ELNS1_3gpuE8ELNS1_3repE0EEENS1_30default_config_static_selectorELNS0_4arch9wavefront6targetE1EEEvT1_
	.p2align	8
	.type	_ZN7rocprim17ROCPRIM_400000_NS6detail17trampoline_kernelINS0_14default_configENS1_25partition_config_selectorILNS1_17partition_subalgoE0EsNS0_10empty_typeEbEEZZNS1_14partition_implILS5_0ELb0ES3_jN6thrust23THRUST_200600_302600_NS6detail15normal_iteratorINSA_10device_ptrIsEEEEPS6_SG_NS0_5tupleIJSF_NSA_16discard_iteratorINSA_11use_defaultEEEEEENSH_IJSG_SG_EEES6_PlJ7is_evenIsEEEE10hipError_tPvRmT3_T4_T5_T6_T7_T9_mT8_P12ihipStream_tbDpT10_ENKUlT_T0_E_clISt17integral_constantIbLb1EES18_IbLb0EEEEDaS14_S15_EUlS14_E_NS1_11comp_targetILNS1_3genE4ELNS1_11target_archE910ELNS1_3gpuE8ELNS1_3repE0EEENS1_30default_config_static_selectorELNS0_4arch9wavefront6targetE1EEEvT1_,@function
_ZN7rocprim17ROCPRIM_400000_NS6detail17trampoline_kernelINS0_14default_configENS1_25partition_config_selectorILNS1_17partition_subalgoE0EsNS0_10empty_typeEbEEZZNS1_14partition_implILS5_0ELb0ES3_jN6thrust23THRUST_200600_302600_NS6detail15normal_iteratorINSA_10device_ptrIsEEEEPS6_SG_NS0_5tupleIJSF_NSA_16discard_iteratorINSA_11use_defaultEEEEEENSH_IJSG_SG_EEES6_PlJ7is_evenIsEEEE10hipError_tPvRmT3_T4_T5_T6_T7_T9_mT8_P12ihipStream_tbDpT10_ENKUlT_T0_E_clISt17integral_constantIbLb1EES18_IbLb0EEEEDaS14_S15_EUlS14_E_NS1_11comp_targetILNS1_3genE4ELNS1_11target_archE910ELNS1_3gpuE8ELNS1_3repE0EEENS1_30default_config_static_selectorELNS0_4arch9wavefront6targetE1EEEvT1_: ; @_ZN7rocprim17ROCPRIM_400000_NS6detail17trampoline_kernelINS0_14default_configENS1_25partition_config_selectorILNS1_17partition_subalgoE0EsNS0_10empty_typeEbEEZZNS1_14partition_implILS5_0ELb0ES3_jN6thrust23THRUST_200600_302600_NS6detail15normal_iteratorINSA_10device_ptrIsEEEEPS6_SG_NS0_5tupleIJSF_NSA_16discard_iteratorINSA_11use_defaultEEEEEENSH_IJSG_SG_EEES6_PlJ7is_evenIsEEEE10hipError_tPvRmT3_T4_T5_T6_T7_T9_mT8_P12ihipStream_tbDpT10_ENKUlT_T0_E_clISt17integral_constantIbLb1EES18_IbLb0EEEEDaS14_S15_EUlS14_E_NS1_11comp_targetILNS1_3genE4ELNS1_11target_archE910ELNS1_3gpuE8ELNS1_3repE0EEENS1_30default_config_static_selectorELNS0_4arch9wavefront6targetE1EEEvT1_
; %bb.0:
	s_load_dwordx2 s[8:9], s[4:5], 0x60
	s_load_dwordx4 s[0:3], s[4:5], 0x8
	s_load_dwordx4 s[24:27], s[4:5], 0x50
	s_load_dword s7, s[4:5], 0x78
	v_lshlrev_b32_e32 v1, 1, v0
	s_waitcnt lgkmcnt(0)
	v_mov_b32_e32 v3, s9
	s_lshl_b64 s[10:11], s[2:3], 1
	s_add_u32 s9, s0, s10
	s_addc_u32 s10, s1, s11
	s_add_i32 s11, s7, -1
	s_mulk_i32 s7, 0x1c00
	s_add_i32 s1, s7, s2
	s_sub_i32 s33, s8, s1
	s_add_u32 s2, s2, s7
	s_addc_u32 s3, s3, 0
	s_cmp_eq_u32 s6, s11
	v_mov_b32_e32 v2, s8
	s_load_dwordx2 s[22:23], s[26:27], 0x0
	s_cselect_b64 s[26:27], -1, 0
	s_cmp_lg_u32 s6, s11
	s_mul_i32 s0, s6, 0x1c00
	s_mov_b32 s1, 0
	v_cmp_lt_u64_e32 vcc, s[2:3], v[2:3]
	s_cselect_b64 s[2:3], -1, 0
	s_or_b64 s[2:3], s[2:3], vcc
	s_lshl_b64 s[0:1], s[0:1], 1
	s_add_u32 s7, s9, s0
	s_addc_u32 s8, s10, s1
	s_mov_b64 s[0:1], -1
	s_and_b64 vcc, exec, s[2:3]
	s_cbranch_vccz .LBB2829_2
; %bb.1:
	v_mov_b32_e32 v3, s8
	v_add_co_u32_e32 v2, vcc, s7, v1
	v_addc_co_u32_e32 v3, vcc, 0, v3, vcc
	v_add_co_u32_e32 v4, vcc, 0x1000, v2
	v_addc_co_u32_e32 v5, vcc, 0, v3, vcc
	flat_load_ushort v6, v[2:3]
	flat_load_ushort v7, v[2:3] offset:512
	flat_load_ushort v8, v[2:3] offset:1024
	;; [unrolled: 1-line block ×7, first 2 shown]
	flat_load_ushort v14, v[4:5]
	flat_load_ushort v15, v[4:5] offset:512
	flat_load_ushort v16, v[4:5] offset:1024
	;; [unrolled: 1-line block ×7, first 2 shown]
	v_add_co_u32_e32 v4, vcc, 0x2000, v2
	v_addc_co_u32_e32 v5, vcc, 0, v3, vcc
	v_add_co_u32_e32 v2, vcc, 0x3000, v2
	v_addc_co_u32_e32 v3, vcc, 0, v3, vcc
	flat_load_ushort v22, v[4:5]
	flat_load_ushort v23, v[4:5] offset:512
	flat_load_ushort v24, v[4:5] offset:1024
	;; [unrolled: 1-line block ×7, first 2 shown]
	s_nop 0
	flat_load_ushort v4, v[2:3]
	flat_load_ushort v5, v[2:3] offset:512
	flat_load_ushort v30, v[2:3] offset:1024
	;; [unrolled: 1-line block ×3, first 2 shown]
	s_mov_b64 s[0:1], 0
	s_waitcnt vmcnt(0) lgkmcnt(0)
	ds_write_b16 v1, v6
	ds_write_b16 v1, v7 offset:512
	ds_write_b16 v1, v8 offset:1024
	;; [unrolled: 1-line block ×27, first 2 shown]
	s_waitcnt lgkmcnt(0)
	s_barrier
.LBB2829_2:
	s_andn2_b64 vcc, exec, s[0:1]
	s_addk_i32 s33, 0x1c00
	s_cbranch_vccnz .LBB2829_60
; %bb.3:
	v_cmp_gt_u32_e32 vcc, s33, v0
                                        ; implicit-def: $vgpr2
	s_and_saveexec_b64 s[0:1], vcc
	s_cbranch_execz .LBB2829_5
; %bb.4:
	v_mov_b32_e32 v3, s8
	v_add_co_u32_e32 v2, vcc, s7, v1
	v_addc_co_u32_e32 v3, vcc, 0, v3, vcc
	flat_load_ushort v2, v[2:3]
.LBB2829_5:
	s_or_b64 exec, exec, s[0:1]
	v_or_b32_e32 v3, 0x100, v0
	v_cmp_gt_u32_e32 vcc, s33, v3
                                        ; implicit-def: $vgpr3
	s_and_saveexec_b64 s[0:1], vcc
	s_cbranch_execz .LBB2829_7
; %bb.6:
	v_mov_b32_e32 v3, s8
	v_add_co_u32_e32 v4, vcc, s7, v1
	v_addc_co_u32_e32 v5, vcc, 0, v3, vcc
	flat_load_ushort v3, v[4:5] offset:512
.LBB2829_7:
	s_or_b64 exec, exec, s[0:1]
	v_or_b32_e32 v4, 0x200, v0
	v_cmp_gt_u32_e32 vcc, s33, v4
                                        ; implicit-def: $vgpr4
	s_and_saveexec_b64 s[0:1], vcc
	s_cbranch_execz .LBB2829_9
; %bb.8:
	v_mov_b32_e32 v5, s8
	v_add_co_u32_e32 v4, vcc, s7, v1
	v_addc_co_u32_e32 v5, vcc, 0, v5, vcc
	flat_load_ushort v4, v[4:5] offset:1024
.LBB2829_9:
	s_or_b64 exec, exec, s[0:1]
	v_or_b32_e32 v5, 0x300, v0
	v_cmp_gt_u32_e32 vcc, s33, v5
                                        ; implicit-def: $vgpr5
	s_and_saveexec_b64 s[0:1], vcc
	s_cbranch_execz .LBB2829_11
; %bb.10:
	v_mov_b32_e32 v5, s8
	v_add_co_u32_e32 v6, vcc, s7, v1
	v_addc_co_u32_e32 v7, vcc, 0, v5, vcc
	flat_load_ushort v5, v[6:7] offset:1536
.LBB2829_11:
	s_or_b64 exec, exec, s[0:1]
	v_or_b32_e32 v6, 0x400, v0
	v_cmp_gt_u32_e32 vcc, s33, v6
                                        ; implicit-def: $vgpr6
	s_and_saveexec_b64 s[0:1], vcc
	s_cbranch_execz .LBB2829_13
; %bb.12:
	v_mov_b32_e32 v7, s8
	v_add_co_u32_e32 v6, vcc, s7, v1
	v_addc_co_u32_e32 v7, vcc, 0, v7, vcc
	flat_load_ushort v6, v[6:7] offset:2048
.LBB2829_13:
	s_or_b64 exec, exec, s[0:1]
	v_or_b32_e32 v7, 0x500, v0
	v_cmp_gt_u32_e32 vcc, s33, v7
                                        ; implicit-def: $vgpr7
	s_and_saveexec_b64 s[0:1], vcc
	s_cbranch_execz .LBB2829_15
; %bb.14:
	v_mov_b32_e32 v7, s8
	v_add_co_u32_e32 v8, vcc, s7, v1
	v_addc_co_u32_e32 v9, vcc, 0, v7, vcc
	flat_load_ushort v7, v[8:9] offset:2560
.LBB2829_15:
	s_or_b64 exec, exec, s[0:1]
	v_or_b32_e32 v8, 0x600, v0
	v_cmp_gt_u32_e32 vcc, s33, v8
                                        ; implicit-def: $vgpr8
	s_and_saveexec_b64 s[0:1], vcc
	s_cbranch_execz .LBB2829_17
; %bb.16:
	v_mov_b32_e32 v9, s8
	v_add_co_u32_e32 v8, vcc, s7, v1
	v_addc_co_u32_e32 v9, vcc, 0, v9, vcc
	flat_load_ushort v8, v[8:9] offset:3072
.LBB2829_17:
	s_or_b64 exec, exec, s[0:1]
	v_or_b32_e32 v9, 0x700, v0
	v_cmp_gt_u32_e32 vcc, s33, v9
                                        ; implicit-def: $vgpr9
	s_and_saveexec_b64 s[0:1], vcc
	s_cbranch_execz .LBB2829_19
; %bb.18:
	v_mov_b32_e32 v9, s8
	v_add_co_u32_e32 v10, vcc, s7, v1
	v_addc_co_u32_e32 v11, vcc, 0, v9, vcc
	flat_load_ushort v9, v[10:11] offset:3584
.LBB2829_19:
	s_or_b64 exec, exec, s[0:1]
	v_or_b32_e32 v11, 0x800, v0
	v_cmp_gt_u32_e32 vcc, s33, v11
                                        ; implicit-def: $vgpr10
	s_and_saveexec_b64 s[0:1], vcc
	s_cbranch_execz .LBB2829_21
; %bb.20:
	v_lshlrev_b32_e32 v10, 1, v11
	v_mov_b32_e32 v11, s8
	v_add_co_u32_e32 v10, vcc, s7, v10
	v_addc_co_u32_e32 v11, vcc, 0, v11, vcc
	flat_load_ushort v10, v[10:11]
.LBB2829_21:
	s_or_b64 exec, exec, s[0:1]
	v_or_b32_e32 v12, 0x900, v0
	v_cmp_gt_u32_e32 vcc, s33, v12
                                        ; implicit-def: $vgpr11
	s_and_saveexec_b64 s[0:1], vcc
	s_cbranch_execz .LBB2829_23
; %bb.22:
	v_lshlrev_b32_e32 v11, 1, v12
	v_mov_b32_e32 v13, s8
	v_add_co_u32_e32 v12, vcc, s7, v11
	v_addc_co_u32_e32 v13, vcc, 0, v13, vcc
	flat_load_ushort v11, v[12:13]
.LBB2829_23:
	s_or_b64 exec, exec, s[0:1]
	v_or_b32_e32 v13, 0xa00, v0
	v_cmp_gt_u32_e32 vcc, s33, v13
                                        ; implicit-def: $vgpr12
	s_and_saveexec_b64 s[0:1], vcc
	s_cbranch_execz .LBB2829_25
; %bb.24:
	v_lshlrev_b32_e32 v12, 1, v13
	v_mov_b32_e32 v13, s8
	v_add_co_u32_e32 v12, vcc, s7, v12
	v_addc_co_u32_e32 v13, vcc, 0, v13, vcc
	flat_load_ushort v12, v[12:13]
.LBB2829_25:
	s_or_b64 exec, exec, s[0:1]
	v_or_b32_e32 v14, 0xb00, v0
	v_cmp_gt_u32_e32 vcc, s33, v14
                                        ; implicit-def: $vgpr13
	s_and_saveexec_b64 s[0:1], vcc
	s_cbranch_execz .LBB2829_27
; %bb.26:
	v_lshlrev_b32_e32 v13, 1, v14
	v_mov_b32_e32 v15, s8
	v_add_co_u32_e32 v14, vcc, s7, v13
	v_addc_co_u32_e32 v15, vcc, 0, v15, vcc
	flat_load_ushort v13, v[14:15]
.LBB2829_27:
	s_or_b64 exec, exec, s[0:1]
	v_or_b32_e32 v15, 0xc00, v0
	v_cmp_gt_u32_e32 vcc, s33, v15
                                        ; implicit-def: $vgpr14
	s_and_saveexec_b64 s[0:1], vcc
	s_cbranch_execz .LBB2829_29
; %bb.28:
	v_lshlrev_b32_e32 v14, 1, v15
	v_mov_b32_e32 v15, s8
	v_add_co_u32_e32 v14, vcc, s7, v14
	v_addc_co_u32_e32 v15, vcc, 0, v15, vcc
	flat_load_ushort v14, v[14:15]
.LBB2829_29:
	s_or_b64 exec, exec, s[0:1]
	v_or_b32_e32 v16, 0xd00, v0
	v_cmp_gt_u32_e32 vcc, s33, v16
                                        ; implicit-def: $vgpr15
	s_and_saveexec_b64 s[0:1], vcc
	s_cbranch_execz .LBB2829_31
; %bb.30:
	v_lshlrev_b32_e32 v15, 1, v16
	v_mov_b32_e32 v17, s8
	v_add_co_u32_e32 v16, vcc, s7, v15
	v_addc_co_u32_e32 v17, vcc, 0, v17, vcc
	flat_load_ushort v15, v[16:17]
.LBB2829_31:
	s_or_b64 exec, exec, s[0:1]
	v_or_b32_e32 v17, 0xe00, v0
	v_cmp_gt_u32_e32 vcc, s33, v17
                                        ; implicit-def: $vgpr16
	s_and_saveexec_b64 s[0:1], vcc
	s_cbranch_execz .LBB2829_33
; %bb.32:
	v_lshlrev_b32_e32 v16, 1, v17
	v_mov_b32_e32 v17, s8
	v_add_co_u32_e32 v16, vcc, s7, v16
	v_addc_co_u32_e32 v17, vcc, 0, v17, vcc
	flat_load_ushort v16, v[16:17]
.LBB2829_33:
	s_or_b64 exec, exec, s[0:1]
	v_or_b32_e32 v18, 0xf00, v0
	v_cmp_gt_u32_e32 vcc, s33, v18
                                        ; implicit-def: $vgpr17
	s_and_saveexec_b64 s[0:1], vcc
	s_cbranch_execz .LBB2829_35
; %bb.34:
	v_lshlrev_b32_e32 v17, 1, v18
	v_mov_b32_e32 v19, s8
	v_add_co_u32_e32 v18, vcc, s7, v17
	v_addc_co_u32_e32 v19, vcc, 0, v19, vcc
	flat_load_ushort v17, v[18:19]
.LBB2829_35:
	s_or_b64 exec, exec, s[0:1]
	v_or_b32_e32 v19, 0x1000, v0
	v_cmp_gt_u32_e32 vcc, s33, v19
                                        ; implicit-def: $vgpr18
	s_and_saveexec_b64 s[0:1], vcc
	s_cbranch_execz .LBB2829_37
; %bb.36:
	v_lshlrev_b32_e32 v18, 1, v19
	v_mov_b32_e32 v19, s8
	v_add_co_u32_e32 v18, vcc, s7, v18
	v_addc_co_u32_e32 v19, vcc, 0, v19, vcc
	flat_load_ushort v18, v[18:19]
.LBB2829_37:
	s_or_b64 exec, exec, s[0:1]
	v_or_b32_e32 v20, 0x1100, v0
	v_cmp_gt_u32_e32 vcc, s33, v20
                                        ; implicit-def: $vgpr19
	s_and_saveexec_b64 s[0:1], vcc
	s_cbranch_execz .LBB2829_39
; %bb.38:
	v_lshlrev_b32_e32 v19, 1, v20
	v_mov_b32_e32 v21, s8
	v_add_co_u32_e32 v20, vcc, s7, v19
	v_addc_co_u32_e32 v21, vcc, 0, v21, vcc
	flat_load_ushort v19, v[20:21]
.LBB2829_39:
	s_or_b64 exec, exec, s[0:1]
	v_or_b32_e32 v21, 0x1200, v0
	v_cmp_gt_u32_e32 vcc, s33, v21
                                        ; implicit-def: $vgpr20
	s_and_saveexec_b64 s[0:1], vcc
	s_cbranch_execz .LBB2829_41
; %bb.40:
	v_lshlrev_b32_e32 v20, 1, v21
	v_mov_b32_e32 v21, s8
	v_add_co_u32_e32 v20, vcc, s7, v20
	v_addc_co_u32_e32 v21, vcc, 0, v21, vcc
	flat_load_ushort v20, v[20:21]
.LBB2829_41:
	s_or_b64 exec, exec, s[0:1]
	v_or_b32_e32 v22, 0x1300, v0
	v_cmp_gt_u32_e32 vcc, s33, v22
                                        ; implicit-def: $vgpr21
	s_and_saveexec_b64 s[0:1], vcc
	s_cbranch_execz .LBB2829_43
; %bb.42:
	v_lshlrev_b32_e32 v21, 1, v22
	v_mov_b32_e32 v23, s8
	v_add_co_u32_e32 v22, vcc, s7, v21
	v_addc_co_u32_e32 v23, vcc, 0, v23, vcc
	flat_load_ushort v21, v[22:23]
.LBB2829_43:
	s_or_b64 exec, exec, s[0:1]
	v_or_b32_e32 v23, 0x1400, v0
	v_cmp_gt_u32_e32 vcc, s33, v23
                                        ; implicit-def: $vgpr22
	s_and_saveexec_b64 s[0:1], vcc
	s_cbranch_execz .LBB2829_45
; %bb.44:
	v_lshlrev_b32_e32 v22, 1, v23
	v_mov_b32_e32 v23, s8
	v_add_co_u32_e32 v22, vcc, s7, v22
	v_addc_co_u32_e32 v23, vcc, 0, v23, vcc
	flat_load_ushort v22, v[22:23]
.LBB2829_45:
	s_or_b64 exec, exec, s[0:1]
	v_or_b32_e32 v24, 0x1500, v0
	v_cmp_gt_u32_e32 vcc, s33, v24
                                        ; implicit-def: $vgpr23
	s_and_saveexec_b64 s[0:1], vcc
	s_cbranch_execz .LBB2829_47
; %bb.46:
	v_lshlrev_b32_e32 v23, 1, v24
	v_mov_b32_e32 v25, s8
	v_add_co_u32_e32 v24, vcc, s7, v23
	v_addc_co_u32_e32 v25, vcc, 0, v25, vcc
	flat_load_ushort v23, v[24:25]
.LBB2829_47:
	s_or_b64 exec, exec, s[0:1]
	v_or_b32_e32 v25, 0x1600, v0
	v_cmp_gt_u32_e32 vcc, s33, v25
                                        ; implicit-def: $vgpr24
	s_and_saveexec_b64 s[0:1], vcc
	s_cbranch_execz .LBB2829_49
; %bb.48:
	v_lshlrev_b32_e32 v24, 1, v25
	v_mov_b32_e32 v25, s8
	v_add_co_u32_e32 v24, vcc, s7, v24
	v_addc_co_u32_e32 v25, vcc, 0, v25, vcc
	flat_load_ushort v24, v[24:25]
.LBB2829_49:
	s_or_b64 exec, exec, s[0:1]
	v_or_b32_e32 v26, 0x1700, v0
	v_cmp_gt_u32_e32 vcc, s33, v26
                                        ; implicit-def: $vgpr25
	s_and_saveexec_b64 s[0:1], vcc
	s_cbranch_execz .LBB2829_51
; %bb.50:
	v_lshlrev_b32_e32 v25, 1, v26
	v_mov_b32_e32 v27, s8
	v_add_co_u32_e32 v26, vcc, s7, v25
	v_addc_co_u32_e32 v27, vcc, 0, v27, vcc
	flat_load_ushort v25, v[26:27]
.LBB2829_51:
	s_or_b64 exec, exec, s[0:1]
	v_or_b32_e32 v27, 0x1800, v0
	v_cmp_gt_u32_e32 vcc, s33, v27
                                        ; implicit-def: $vgpr26
	s_and_saveexec_b64 s[0:1], vcc
	s_cbranch_execz .LBB2829_53
; %bb.52:
	v_lshlrev_b32_e32 v26, 1, v27
	v_mov_b32_e32 v27, s8
	v_add_co_u32_e32 v26, vcc, s7, v26
	v_addc_co_u32_e32 v27, vcc, 0, v27, vcc
	flat_load_ushort v26, v[26:27]
.LBB2829_53:
	s_or_b64 exec, exec, s[0:1]
	v_or_b32_e32 v28, 0x1900, v0
	v_cmp_gt_u32_e32 vcc, s33, v28
                                        ; implicit-def: $vgpr27
	s_and_saveexec_b64 s[0:1], vcc
	s_cbranch_execz .LBB2829_55
; %bb.54:
	v_lshlrev_b32_e32 v27, 1, v28
	v_mov_b32_e32 v29, s8
	v_add_co_u32_e32 v28, vcc, s7, v27
	v_addc_co_u32_e32 v29, vcc, 0, v29, vcc
	flat_load_ushort v27, v[28:29]
.LBB2829_55:
	s_or_b64 exec, exec, s[0:1]
	v_or_b32_e32 v29, 0x1a00, v0
	v_cmp_gt_u32_e32 vcc, s33, v29
                                        ; implicit-def: $vgpr28
	s_and_saveexec_b64 s[0:1], vcc
	s_cbranch_execz .LBB2829_57
; %bb.56:
	v_lshlrev_b32_e32 v28, 1, v29
	v_mov_b32_e32 v29, s8
	v_add_co_u32_e32 v28, vcc, s7, v28
	v_addc_co_u32_e32 v29, vcc, 0, v29, vcc
	flat_load_ushort v28, v[28:29]
.LBB2829_57:
	s_or_b64 exec, exec, s[0:1]
	v_or_b32_e32 v30, 0x1b00, v0
	v_cmp_gt_u32_e32 vcc, s33, v30
                                        ; implicit-def: $vgpr29
	s_and_saveexec_b64 s[0:1], vcc
	s_cbranch_execz .LBB2829_59
; %bb.58:
	v_lshlrev_b32_e32 v29, 1, v30
	v_mov_b32_e32 v31, s8
	v_add_co_u32_e32 v30, vcc, s7, v29
	v_addc_co_u32_e32 v31, vcc, 0, v31, vcc
	flat_load_ushort v29, v[30:31]
.LBB2829_59:
	s_or_b64 exec, exec, s[0:1]
	s_waitcnt vmcnt(0) lgkmcnt(0)
	ds_write_b16 v1, v2
	ds_write_b16 v1, v3 offset:512
	ds_write_b16 v1, v4 offset:1024
	;; [unrolled: 1-line block ×27, first 2 shown]
	s_waitcnt lgkmcnt(0)
	s_barrier
.LBB2829_60:
	v_mul_u32_u24_e32 v39, 28, v0
	v_lshlrev_b32_e32 v6, 1, v39
	s_waitcnt lgkmcnt(0)
	ds_read_b64 v[14:15], v6 offset:48
	ds_read2_b64 v[2:5], v6 offset0:4 offset1:5
	ds_read2_b64 v[10:13], v6 offset1:1
	ds_read2_b64 v[6:9], v6 offset0:2 offset1:3
	v_cndmask_b32_e64 v16, 0, 1, s[2:3]
	s_waitcnt lgkmcnt(3)
	v_lshrrev_b32_e32 v27, 16, v14
	v_lshrrev_b32_e32 v26, 16, v15
	s_waitcnt lgkmcnt(2)
	v_lshrrev_b32_e32 v31, 16, v2
	v_lshrrev_b32_e32 v30, 16, v3
	v_lshrrev_b32_e32 v29, 16, v4
	v_lshrrev_b32_e32 v28, 16, v5
	s_waitcnt lgkmcnt(1)
	v_lshrrev_b32_e32 v40, 16, v10
	v_lshrrev_b32_e32 v38, 16, v11
	;; [unrolled: 5-line block ×3, first 2 shown]
	v_lshrrev_b32_e32 v33, 16, v8
	v_lshrrev_b32_e32 v32, 16, v9
	v_cmp_ne_u32_e64 s[0:1], 1, v16
	s_andn2_b64 vcc, exec, s[2:3]
	v_xor_b32_e32 v86, -1, v10
	v_xor_b32_e32 v85, -1, v40
	;; [unrolled: 1-line block ×28, first 2 shown]
	s_barrier
	s_cbranch_vccnz .LBB2829_62
; %bb.61:
	v_and_b32_e32 v68, 1, v86
	v_and_b32_e32 v67, 1, v85
	;; [unrolled: 1-line block ×28, first 2 shown]
	s_load_dwordx2 s[28:29], s[4:5], 0x70
	s_cbranch_execz .LBB2829_63
	s_branch .LBB2829_64
.LBB2829_62:
                                        ; implicit-def: $vgpr68
                                        ; implicit-def: $vgpr67
                                        ; implicit-def: $vgpr66
                                        ; implicit-def: $vgpr65
                                        ; implicit-def: $vgpr64
                                        ; implicit-def: $vgpr63
                                        ; implicit-def: $vgpr62
                                        ; implicit-def: $vgpr61
                                        ; implicit-def: $vgpr60
                                        ; implicit-def: $vgpr59
                                        ; implicit-def: $vgpr58
                                        ; implicit-def: $vgpr57
                                        ; implicit-def: $vgpr56
                                        ; implicit-def: $vgpr55
                                        ; implicit-def: $vgpr54
                                        ; implicit-def: $vgpr53
                                        ; implicit-def: $vgpr52
                                        ; implicit-def: $vgpr51
                                        ; implicit-def: $vgpr50
                                        ; implicit-def: $vgpr49
                                        ; implicit-def: $vgpr48
                                        ; implicit-def: $vgpr47
                                        ; implicit-def: $vgpr46
                                        ; implicit-def: $vgpr45
                                        ; implicit-def: $vgpr44
                                        ; implicit-def: $vgpr43
                                        ; implicit-def: $vgpr41
                                        ; implicit-def: $vgpr42
	s_load_dwordx2 s[28:29], s[4:5], 0x70
.LBB2829_63:
	v_or_b32_e32 v50, 1, v39
	v_cmp_gt_u32_e32 vcc, s33, v39
	v_or_b32_e32 v51, 2, v39
	v_cndmask_b32_e64 v59, 0, 1, vcc
	v_cmp_gt_u32_e32 vcc, s33, v50
	v_or_b32_e32 v52, 3, v39
	v_cndmask_b32_e64 v50, 0, 1, vcc
	v_cmp_gt_u32_e32 vcc, s33, v51
	v_add_u32_e32 v53, 4, v39
	v_and_b32_e32 v67, v50, v85
	v_cndmask_b32_e64 v50, 0, 1, vcc
	v_cmp_gt_u32_e32 vcc, s33, v52
	v_add_u32_e32 v54, 5, v39
	v_and_b32_e32 v66, v50, v84
	v_cndmask_b32_e64 v50, 0, 1, vcc
	v_cmp_gt_u32_e32 vcc, s33, v53
	v_add_u32_e32 v55, 6, v39
	v_and_b32_e32 v65, v50, v83
	v_cndmask_b32_e64 v50, 0, 1, vcc
	v_cmp_gt_u32_e32 vcc, s33, v54
	v_add_u32_e32 v56, 7, v39
	v_and_b32_e32 v64, v50, v82
	v_cndmask_b32_e64 v50, 0, 1, vcc
	v_cmp_gt_u32_e32 vcc, s33, v55
	v_add_u32_e32 v57, 8, v39
	v_and_b32_e32 v63, v50, v81
	v_cndmask_b32_e64 v50, 0, 1, vcc
	v_cmp_gt_u32_e32 vcc, s33, v56
	v_add_u32_e32 v58, 9, v39
	v_and_b32_e32 v62, v50, v80
	v_cndmask_b32_e64 v50, 0, 1, vcc
	v_cmp_gt_u32_e32 vcc, s33, v57
	v_add_u32_e32 v87, 10, v39
	v_and_b32_e32 v61, v50, v79
	v_cndmask_b32_e64 v50, 0, 1, vcc
	v_cmp_gt_u32_e32 vcc, s33, v58
	v_add_u32_e32 v88, 11, v39
	v_and_b32_e32 v60, v50, v78
	v_cndmask_b32_e64 v50, 0, 1, vcc
	v_cmp_gt_u32_e32 vcc, s33, v87
	v_add_u32_e32 v89, 12, v39
	v_and_b32_e32 v68, v59, v86
	v_and_b32_e32 v59, v50, v77
	v_cndmask_b32_e64 v50, 0, 1, vcc
	v_cmp_gt_u32_e32 vcc, s33, v88
	v_add_u32_e32 v90, 13, v39
	v_and_b32_e32 v58, v50, v76
	v_cndmask_b32_e64 v50, 0, 1, vcc
	v_cmp_gt_u32_e32 vcc, s33, v89
	v_add_u32_e32 v91, 14, v39
	;; [unrolled: 4-line block ×15, first 2 shown]
	v_and_b32_e32 v44, v20, v19
	v_cndmask_b32_e64 v19, 0, 1, vcc
	v_cmp_gt_u32_e32 vcc, s33, v41
	v_and_b32_e32 v43, v19, v18
	v_cndmask_b32_e64 v18, 0, 1, vcc
	v_cmp_gt_u32_e32 vcc, s33, v42
	v_and_b32_e32 v41, v18, v17
	v_cndmask_b32_e64 v17, 0, 1, vcc
	v_and_b32_e32 v42, v17, v16
.LBB2829_64:
	v_and_b32_e32 v93, 0xff, v44
	v_and_b32_e32 v94, 0xff, v43
	v_add_u32_sdwa v16, v41, v42 dst_sel:DWORD dst_unused:UNUSED_PAD src0_sel:BYTE_0 src1_sel:BYTE_0
	v_and_b32_e32 v91, 0xff, v46
	v_and_b32_e32 v92, 0xff, v45
	v_add3_u32 v16, v16, v94, v93
	v_and_b32_e32 v89, 0xff, v48
	v_and_b32_e32 v90, 0xff, v47
	v_add3_u32 v16, v16, v92, v91
	;; [unrolled: 3-line block ×12, first 2 shown]
	v_add3_u32 v97, v16, v70, v69
	v_mbcnt_lo_u32_b32 v16, -1, 0
	v_mbcnt_hi_u32_b32 v95, -1, v16
	v_and_b32_e32 v16, 15, v95
	v_cmp_eq_u32_e64 s[16:17], 0, v16
	v_cmp_lt_u32_e64 s[14:15], 1, v16
	v_cmp_lt_u32_e64 s[12:13], 3, v16
	;; [unrolled: 1-line block ×3, first 2 shown]
	v_and_b32_e32 v16, 16, v95
	v_cmp_eq_u32_e64 s[8:9], 0, v16
	v_or_b32_e32 v16, 63, v0
	s_cmp_lg_u32 s6, 0
	v_cmp_lt_u32_e64 s[2:3], 31, v95
	v_lshrrev_b32_e32 v96, 6, v0
	v_cmp_eq_u32_e64 s[20:21], v16, v0
	s_cbranch_scc0 .LBB2829_95
; %bb.65:
	v_mov_b32_dpp v16, v97 row_shr:1 row_mask:0xf bank_mask:0xf
	v_cndmask_b32_e64 v16, v16, 0, s[16:17]
	v_add_u32_e32 v16, v16, v97
	s_nop 1
	v_mov_b32_dpp v17, v16 row_shr:2 row_mask:0xf bank_mask:0xf
	v_cndmask_b32_e64 v17, 0, v17, s[14:15]
	v_add_u32_e32 v16, v16, v17
	s_nop 1
	v_mov_b32_dpp v17, v16 row_shr:4 row_mask:0xf bank_mask:0xf
	v_cndmask_b32_e64 v17, 0, v17, s[12:13]
	v_add_u32_e32 v16, v16, v17
	s_nop 1
	v_mov_b32_dpp v17, v16 row_shr:8 row_mask:0xf bank_mask:0xf
	v_cndmask_b32_e64 v17, 0, v17, s[10:11]
	v_add_u32_e32 v16, v16, v17
	s_nop 1
	v_mov_b32_dpp v17, v16 row_bcast:15 row_mask:0xf bank_mask:0xf
	v_cndmask_b32_e64 v17, v17, 0, s[8:9]
	v_add_u32_e32 v16, v16, v17
	s_nop 1
	v_mov_b32_dpp v17, v16 row_bcast:31 row_mask:0xf bank_mask:0xf
	v_cndmask_b32_e64 v17, 0, v17, s[2:3]
	v_add_u32_e32 v16, v16, v17
	s_and_saveexec_b64 s[18:19], s[20:21]
	s_cbranch_execz .LBB2829_67
; %bb.66:
	v_lshlrev_b32_e32 v17, 2, v96
	ds_write_b32 v17, v16
.LBB2829_67:
	s_or_b64 exec, exec, s[18:19]
	v_cmp_gt_u32_e32 vcc, 4, v0
	s_waitcnt lgkmcnt(0)
	s_barrier
	s_and_saveexec_b64 s[18:19], vcc
	s_cbranch_execz .LBB2829_69
; %bb.68:
	v_lshlrev_b32_e32 v17, 2, v0
	ds_read_b32 v18, v17
	v_and_b32_e32 v19, 3, v95
	v_cmp_ne_u32_e32 vcc, 0, v19
	s_waitcnt lgkmcnt(0)
	v_mov_b32_dpp v20, v18 row_shr:1 row_mask:0xf bank_mask:0xf
	v_cndmask_b32_e32 v20, 0, v20, vcc
	v_add_u32_e32 v18, v20, v18
	v_cmp_lt_u32_e32 vcc, 1, v19
	s_nop 0
	v_mov_b32_dpp v20, v18 row_shr:2 row_mask:0xf bank_mask:0xf
	v_cndmask_b32_e32 v19, 0, v20, vcc
	v_add_u32_e32 v18, v18, v19
	ds_write_b32 v17, v18
.LBB2829_69:
	s_or_b64 exec, exec, s[18:19]
	v_cmp_gt_u32_e32 vcc, 64, v0
	v_cmp_lt_u32_e64 s[18:19], 63, v0
	s_waitcnt lgkmcnt(0)
	s_barrier
	s_waitcnt lgkmcnt(0)
                                        ; implicit-def: $vgpr98
	s_and_saveexec_b64 s[30:31], s[18:19]
	s_cbranch_execz .LBB2829_71
; %bb.70:
	v_lshl_add_u32 v17, v96, 2, -4
	ds_read_b32 v98, v17
	s_waitcnt lgkmcnt(0)
	v_add_u32_e32 v16, v98, v16
.LBB2829_71:
	s_or_b64 exec, exec, s[30:31]
	v_add_u32_e32 v17, -1, v95
	v_and_b32_e32 v18, 64, v95
	v_cmp_lt_i32_e64 s[18:19], v17, v18
	v_cndmask_b32_e64 v17, v17, v95, s[18:19]
	v_lshlrev_b32_e32 v17, 2, v17
	ds_bpermute_b32 v99, v17, v16
	v_cmp_eq_u32_e64 s[18:19], 0, v95
	s_and_saveexec_b64 s[30:31], vcc
	s_cbranch_execz .LBB2829_94
; %bb.72:
	v_mov_b32_e32 v25, 0
	ds_read_b32 v16, v25 offset:12
	s_and_saveexec_b64 s[34:35], s[18:19]
	s_cbranch_execz .LBB2829_74
; %bb.73:
	s_add_i32 s36, s6, 64
	s_mov_b32 s37, 0
	s_lshl_b64 s[36:37], s[36:37], 3
	s_add_u32 s36, s28, s36
	v_mov_b32_e32 v17, 1
	s_addc_u32 s37, s29, s37
	s_waitcnt lgkmcnt(0)
	global_store_dwordx2 v25, v[16:17], s[36:37]
.LBB2829_74:
	s_or_b64 exec, exec, s[34:35]
	v_xad_u32 v18, v95, -1, s6
	v_add_u32_e32 v24, 64, v18
	v_lshlrev_b64 v[20:21], 3, v[24:25]
	v_mov_b32_e32 v17, s29
	v_add_co_u32_e32 v20, vcc, s28, v20
	v_addc_co_u32_e32 v21, vcc, v17, v21, vcc
	global_load_dwordx2 v[22:23], v[20:21], off glc
	s_waitcnt vmcnt(0)
	v_cmp_eq_u16_sdwa s[36:37], v23, v25 src0_sel:BYTE_0 src1_sel:DWORD
	s_and_saveexec_b64 s[34:35], s[36:37]
	s_cbranch_execz .LBB2829_80
; %bb.75:
	s_mov_b32 s7, 1
	s_mov_b64 s[36:37], 0
	v_mov_b32_e32 v17, 0
.LBB2829_76:                            ; =>This Loop Header: Depth=1
                                        ;     Child Loop BB2829_77 Depth 2
	s_max_u32 s38, s7, 1
.LBB2829_77:                            ;   Parent Loop BB2829_76 Depth=1
                                        ; =>  This Inner Loop Header: Depth=2
	s_add_i32 s38, s38, -1
	s_cmp_eq_u32 s38, 0
	s_sleep 1
	s_cbranch_scc0 .LBB2829_77
; %bb.78:                               ;   in Loop: Header=BB2829_76 Depth=1
	global_load_dwordx2 v[22:23], v[20:21], off glc
	s_cmp_lt_u32 s7, 32
	s_cselect_b64 s[38:39], -1, 0
	s_cmp_lg_u64 s[38:39], 0
	s_addc_u32 s7, s7, 0
	s_waitcnt vmcnt(0)
	v_cmp_ne_u16_sdwa s[38:39], v23, v17 src0_sel:BYTE_0 src1_sel:DWORD
	s_or_b64 s[36:37], s[38:39], s[36:37]
	s_andn2_b64 exec, exec, s[36:37]
	s_cbranch_execnz .LBB2829_76
; %bb.79:
	s_or_b64 exec, exec, s[36:37]
.LBB2829_80:
	s_or_b64 exec, exec, s[34:35]
	v_and_b32_e32 v101, 63, v95
	v_mov_b32_e32 v100, 2
	v_cmp_ne_u32_e32 vcc, 63, v101
	v_cmp_eq_u16_sdwa s[34:35], v23, v100 src0_sel:BYTE_0 src1_sel:DWORD
	v_lshlrev_b64 v[20:21], v95, -1
	v_addc_co_u32_e32 v24, vcc, 0, v95, vcc
	v_and_b32_e32 v17, s35, v21
	v_lshlrev_b32_e32 v102, 2, v24
	v_or_b32_e32 v17, 0x80000000, v17
	ds_bpermute_b32 v24, v102, v22
	v_and_b32_e32 v19, s34, v20
	v_ffbl_b32_e32 v17, v17
	v_add_u32_e32 v17, 32, v17
	v_ffbl_b32_e32 v19, v19
	v_min_u32_e32 v17, v19, v17
	v_cmp_lt_u32_e32 vcc, v101, v17
	s_waitcnt lgkmcnt(0)
	v_cndmask_b32_e32 v19, 0, v24, vcc
	v_cmp_gt_u32_e32 vcc, 62, v101
	v_add_u32_e32 v19, v19, v22
	v_cndmask_b32_e64 v22, 0, 1, vcc
	v_lshlrev_b32_e32 v22, 1, v22
	v_add_lshl_u32 v103, v22, v95, 2
	ds_bpermute_b32 v22, v103, v19
	v_add_u32_e32 v104, 2, v101
	v_cmp_le_u32_e32 vcc, v104, v17
	v_add_u32_e32 v106, 4, v101
	v_add_u32_e32 v108, 8, v101
	s_waitcnt lgkmcnt(0)
	v_cndmask_b32_e32 v22, 0, v22, vcc
	v_cmp_gt_u32_e32 vcc, 60, v101
	v_add_u32_e32 v19, v19, v22
	v_cndmask_b32_e64 v22, 0, 1, vcc
	v_lshlrev_b32_e32 v22, 2, v22
	v_add_lshl_u32 v105, v22, v95, 2
	ds_bpermute_b32 v22, v105, v19
	v_cmp_le_u32_e32 vcc, v106, v17
	v_add_u32_e32 v110, 16, v101
	v_add_u32_e32 v112, 32, v101
	s_waitcnt lgkmcnt(0)
	v_cndmask_b32_e32 v22, 0, v22, vcc
	v_cmp_gt_u32_e32 vcc, 56, v101
	v_add_u32_e32 v19, v19, v22
	v_cndmask_b32_e64 v22, 0, 1, vcc
	v_lshlrev_b32_e32 v22, 3, v22
	v_add_lshl_u32 v107, v22, v95, 2
	ds_bpermute_b32 v22, v107, v19
	v_cmp_le_u32_e32 vcc, v108, v17
	s_waitcnt lgkmcnt(0)
	v_cndmask_b32_e32 v22, 0, v22, vcc
	v_cmp_gt_u32_e32 vcc, 48, v101
	v_add_u32_e32 v19, v19, v22
	v_cndmask_b32_e64 v22, 0, 1, vcc
	v_lshlrev_b32_e32 v22, 4, v22
	v_add_lshl_u32 v109, v22, v95, 2
	ds_bpermute_b32 v22, v109, v19
	v_cmp_le_u32_e32 vcc, v110, v17
	;; [unrolled: 9-line block ×3, first 2 shown]
	s_waitcnt lgkmcnt(0)
	v_cndmask_b32_e32 v17, 0, v22, vcc
	v_add_u32_e32 v22, v19, v17
	v_mov_b32_e32 v19, 0
	s_branch .LBB2829_82
.LBB2829_81:                            ;   in Loop: Header=BB2829_82 Depth=1
	s_or_b64 exec, exec, s[34:35]
	v_cmp_eq_u16_sdwa s[34:35], v23, v100 src0_sel:BYTE_0 src1_sel:DWORD
	v_and_b32_e32 v24, s35, v21
	v_or_b32_e32 v24, 0x80000000, v24
	ds_bpermute_b32 v113, v102, v22
	v_and_b32_e32 v25, s34, v20
	v_ffbl_b32_e32 v24, v24
	v_add_u32_e32 v24, 32, v24
	v_ffbl_b32_e32 v25, v25
	v_min_u32_e32 v24, v25, v24
	v_cmp_lt_u32_e32 vcc, v101, v24
	s_waitcnt lgkmcnt(0)
	v_cndmask_b32_e32 v25, 0, v113, vcc
	v_add_u32_e32 v22, v25, v22
	ds_bpermute_b32 v25, v103, v22
	v_cmp_le_u32_e32 vcc, v104, v24
	v_subrev_u32_e32 v18, 64, v18
	s_waitcnt lgkmcnt(0)
	v_cndmask_b32_e32 v25, 0, v25, vcc
	v_add_u32_e32 v22, v22, v25
	ds_bpermute_b32 v25, v105, v22
	v_cmp_le_u32_e32 vcc, v106, v24
	s_waitcnt lgkmcnt(0)
	v_cndmask_b32_e32 v25, 0, v25, vcc
	v_add_u32_e32 v22, v22, v25
	ds_bpermute_b32 v25, v107, v22
	v_cmp_le_u32_e32 vcc, v108, v24
	;; [unrolled: 5-line block ×4, first 2 shown]
	s_waitcnt lgkmcnt(0)
	v_cndmask_b32_e32 v24, 0, v25, vcc
	v_add3_u32 v22, v24, v17, v22
.LBB2829_82:                            ; =>This Loop Header: Depth=1
                                        ;     Child Loop BB2829_85 Depth 2
                                        ;       Child Loop BB2829_86 Depth 3
	v_cmp_ne_u16_sdwa s[34:35], v23, v100 src0_sel:BYTE_0 src1_sel:DWORD
	v_cndmask_b32_e64 v17, 0, 1, s[34:35]
	;;#ASMSTART
	;;#ASMEND
	v_cmp_ne_u32_e32 vcc, 0, v17
	s_cmp_lg_u64 vcc, exec
	v_mov_b32_e32 v17, v22
	s_cbranch_scc1 .LBB2829_89
; %bb.83:                               ;   in Loop: Header=BB2829_82 Depth=1
	v_lshlrev_b64 v[22:23], 3, v[18:19]
	v_mov_b32_e32 v25, s29
	v_add_co_u32_e32 v24, vcc, s28, v22
	v_addc_co_u32_e32 v25, vcc, v25, v23, vcc
	global_load_dwordx2 v[22:23], v[24:25], off glc
	s_waitcnt vmcnt(0)
	v_cmp_eq_u16_sdwa s[36:37], v23, v19 src0_sel:BYTE_0 src1_sel:DWORD
	s_and_saveexec_b64 s[34:35], s[36:37]
	s_cbranch_execz .LBB2829_81
; %bb.84:                               ;   in Loop: Header=BB2829_82 Depth=1
	s_mov_b32 s7, 1
	s_mov_b64 s[36:37], 0
.LBB2829_85:                            ;   Parent Loop BB2829_82 Depth=1
                                        ; =>  This Loop Header: Depth=2
                                        ;       Child Loop BB2829_86 Depth 3
	s_max_u32 s38, s7, 1
.LBB2829_86:                            ;   Parent Loop BB2829_82 Depth=1
                                        ;     Parent Loop BB2829_85 Depth=2
                                        ; =>    This Inner Loop Header: Depth=3
	s_add_i32 s38, s38, -1
	s_cmp_eq_u32 s38, 0
	s_sleep 1
	s_cbranch_scc0 .LBB2829_86
; %bb.87:                               ;   in Loop: Header=BB2829_85 Depth=2
	global_load_dwordx2 v[22:23], v[24:25], off glc
	s_cmp_lt_u32 s7, 32
	s_cselect_b64 s[38:39], -1, 0
	s_cmp_lg_u64 s[38:39], 0
	s_addc_u32 s7, s7, 0
	s_waitcnt vmcnt(0)
	v_cmp_ne_u16_sdwa s[38:39], v23, v19 src0_sel:BYTE_0 src1_sel:DWORD
	s_or_b64 s[36:37], s[38:39], s[36:37]
	s_andn2_b64 exec, exec, s[36:37]
	s_cbranch_execnz .LBB2829_85
; %bb.88:                               ;   in Loop: Header=BB2829_82 Depth=1
	s_or_b64 exec, exec, s[36:37]
	s_branch .LBB2829_81
.LBB2829_89:                            ;   in Loop: Header=BB2829_82 Depth=1
                                        ; implicit-def: $vgpr22
                                        ; implicit-def: $vgpr23
	s_cbranch_execz .LBB2829_82
; %bb.90:
	s_and_saveexec_b64 s[34:35], s[18:19]
	s_cbranch_execz .LBB2829_92
; %bb.91:
	s_add_i32 s6, s6, 64
	s_mov_b32 s7, 0
	s_lshl_b64 s[6:7], s[6:7], 3
	s_add_u32 s6, s28, s6
	v_add_u32_e32 v18, v17, v16
	v_mov_b32_e32 v19, 2
	s_addc_u32 s7, s29, s7
	v_mov_b32_e32 v20, 0
	global_store_dwordx2 v20, v[18:19], s[6:7]
	ds_write_b64 v20, v[16:17] offset:14336
.LBB2829_92:
	s_or_b64 exec, exec, s[34:35]
	v_cmp_eq_u32_e32 vcc, 0, v0
	s_and_b64 exec, exec, vcc
	s_cbranch_execz .LBB2829_94
; %bb.93:
	v_mov_b32_e32 v16, 0
	ds_write_b32 v16, v17 offset:12
.LBB2829_94:
	s_or_b64 exec, exec, s[30:31]
	v_mov_b32_e32 v16, 0
	s_waitcnt lgkmcnt(0)
	s_barrier
	ds_read_b32 v19, v16 offset:12
	s_waitcnt lgkmcnt(0)
	s_barrier
	ds_read_b64 v[16:17], v16 offset:14336
	v_cndmask_b32_e64 v18, v99, v98, s[18:19]
	v_cmp_ne_u32_e32 vcc, 0, v0
	v_cndmask_b32_e32 v18, 0, v18, vcc
	v_add_u32_e32 v19, v19, v18
	s_waitcnt lgkmcnt(0)
	v_mov_b32_e32 v18, v17
	s_load_dwordx2 s[4:5], s[4:5], 0x28
	s_branch .LBB2829_105
.LBB2829_95:
                                        ; implicit-def: $vgpr18
                                        ; implicit-def: $vgpr16
                                        ; implicit-def: $vgpr19
	s_load_dwordx2 s[4:5], s[4:5], 0x28
	s_cbranch_execz .LBB2829_105
; %bb.96:
	v_mov_b32_dpp v16, v97 row_shr:1 row_mask:0xf bank_mask:0xf
	v_cndmask_b32_e64 v16, v16, 0, s[16:17]
	v_add_u32_e32 v16, v16, v97
	s_nop 1
	v_mov_b32_dpp v17, v16 row_shr:2 row_mask:0xf bank_mask:0xf
	v_cndmask_b32_e64 v17, 0, v17, s[14:15]
	v_add_u32_e32 v16, v16, v17
	s_nop 1
	v_mov_b32_dpp v17, v16 row_shr:4 row_mask:0xf bank_mask:0xf
	v_cndmask_b32_e64 v17, 0, v17, s[12:13]
	v_add_u32_e32 v16, v16, v17
	s_nop 1
	v_mov_b32_dpp v17, v16 row_shr:8 row_mask:0xf bank_mask:0xf
	v_cndmask_b32_e64 v17, 0, v17, s[10:11]
	v_add_u32_e32 v16, v16, v17
	s_nop 1
	v_mov_b32_dpp v17, v16 row_bcast:15 row_mask:0xf bank_mask:0xf
	v_cndmask_b32_e64 v17, v17, 0, s[8:9]
	v_add_u32_e32 v16, v16, v17
	s_nop 1
	v_mov_b32_dpp v17, v16 row_bcast:31 row_mask:0xf bank_mask:0xf
	v_cndmask_b32_e64 v17, 0, v17, s[2:3]
	v_add_u32_e32 v16, v16, v17
	s_and_saveexec_b64 s[2:3], s[20:21]
	s_cbranch_execz .LBB2829_98
; %bb.97:
	v_lshlrev_b32_e32 v17, 2, v96
	ds_write_b32 v17, v16
.LBB2829_98:
	s_or_b64 exec, exec, s[2:3]
	v_cmp_gt_u32_e32 vcc, 4, v0
	s_waitcnt lgkmcnt(0)
	s_barrier
	s_and_saveexec_b64 s[2:3], vcc
	s_cbranch_execz .LBB2829_100
; %bb.99:
	v_lshlrev_b32_e32 v17, 2, v0
	ds_read_b32 v18, v17
	v_and_b32_e32 v19, 3, v95
	v_cmp_ne_u32_e32 vcc, 0, v19
	s_waitcnt lgkmcnt(0)
	v_mov_b32_dpp v20, v18 row_shr:1 row_mask:0xf bank_mask:0xf
	v_cndmask_b32_e32 v20, 0, v20, vcc
	v_add_u32_e32 v18, v20, v18
	v_cmp_lt_u32_e32 vcc, 1, v19
	s_nop 0
	v_mov_b32_dpp v20, v18 row_shr:2 row_mask:0xf bank_mask:0xf
	v_cndmask_b32_e32 v19, 0, v20, vcc
	v_add_u32_e32 v18, v18, v19
	ds_write_b32 v17, v18
.LBB2829_100:
	s_or_b64 exec, exec, s[2:3]
	v_cmp_lt_u32_e32 vcc, 63, v0
	v_mov_b32_e32 v17, 0
	v_mov_b32_e32 v18, 0
	s_waitcnt lgkmcnt(0)
	s_barrier
	s_and_saveexec_b64 s[2:3], vcc
	s_cbranch_execz .LBB2829_102
; %bb.101:
	v_lshl_add_u32 v18, v96, 2, -4
	ds_read_b32 v18, v18
.LBB2829_102:
	s_or_b64 exec, exec, s[2:3]
	v_add_u32_e32 v19, -1, v95
	v_and_b32_e32 v20, 64, v95
	v_cmp_lt_i32_e32 vcc, v19, v20
	v_cndmask_b32_e32 v19, v19, v95, vcc
	s_waitcnt lgkmcnt(0)
	v_add_u32_e32 v16, v18, v16
	v_lshlrev_b32_e32 v19, 2, v19
	ds_bpermute_b32 v19, v19, v16
	ds_read_b32 v16, v17 offset:12
	v_cmp_eq_u32_e32 vcc, 0, v0
	s_and_saveexec_b64 s[2:3], vcc
	s_cbranch_execz .LBB2829_104
; %bb.103:
	v_mov_b32_e32 v20, 0
	v_mov_b32_e32 v17, 2
	s_waitcnt lgkmcnt(0)
	global_store_dwordx2 v20, v[16:17], s[28:29] offset:512
.LBB2829_104:
	s_or_b64 exec, exec, s[2:3]
	v_cmp_eq_u32_e64 s[2:3], 0, v95
	s_waitcnt lgkmcnt(1)
	v_cndmask_b32_e64 v17, v19, v18, s[2:3]
	v_mov_b32_e32 v18, 0
	v_cndmask_b32_e64 v19, v17, 0, vcc
	s_waitcnt lgkmcnt(0)
	s_barrier
.LBB2829_105:
	v_add_u32_e32 v17, v19, v69
	v_add_u32_e32 v20, v17, v70
	;; [unrolled: 1-line block ×20, first 2 shown]
	v_sub_u32_e32 v19, v19, v18
	v_and_b32_e32 v68, 1, v68
	v_add_u32_e32 v81, v80, v88
	v_sub_u32_e32 v88, v39, v19
	v_cmp_eq_u32_e32 vcc, 1, v68
	v_cndmask_b32_e32 v19, v88, v19, vcc
	v_lshlrev_b32_e32 v19, 1, v19
	ds_write_b16 v19, v10
	v_sub_u32_e32 v10, v17, v18
	v_sub_u32_e32 v17, v39, v10
	v_and_b32_e32 v19, 1, v67
	v_add_u32_e32 v17, 1, v17
	v_cmp_eq_u32_e32 vcc, 1, v19
	v_cndmask_b32_e32 v10, v17, v10, vcc
	v_lshlrev_b32_e32 v10, 1, v10
	ds_write_b16 v10, v40
	v_sub_u32_e32 v10, v20, v18
	v_sub_u32_e32 v17, v39, v10
	v_and_b32_e32 v19, 1, v66
	v_add_u32_e32 v17, 2, v17
	;; [unrolled: 8-line block ×20, first 2 shown]
	v_cmp_eq_u32_e32 vcc, 1, v6
	v_cndmask_b32_e32 v2, v3, v2, vcc
	v_add_u32_e32 v82, v81, v89
	v_lshlrev_b32_e32 v2, 1, v2
	ds_write_b16 v2, v4
	v_sub_u32_e32 v2, v82, v18
	v_sub_u32_e32 v3, v39, v2
	v_and_b32_e32 v4, 1, v47
	v_add_u32_e32 v3, 21, v3
	v_cmp_eq_u32_e32 vcc, 1, v4
	v_cndmask_b32_e32 v2, v3, v2, vcc
	v_add_u32_e32 v83, v82, v90
	v_lshlrev_b32_e32 v2, 1, v2
	ds_write_b16 v2, v29
	v_sub_u32_e32 v2, v83, v18
	v_sub_u32_e32 v3, v39, v2
	v_and_b32_e32 v4, 1, v46
	v_add_u32_e32 v3, 22, v3
	;; [unrolled: 9-line block ×6, first 2 shown]
	v_cmp_eq_u32_e32 vcc, 1, v4
	v_cndmask_b32_e32 v2, v3, v2, vcc
	v_lshlrev_b32_e32 v2, 1, v2
	ds_write_b16 v2, v15
	v_sub_u32_sdwa v2, v41, v18 dst_sel:DWORD dst_unused:UNUSED_PAD src0_sel:BYTE_0 src1_sel:DWORD
	v_add_u32_e32 v2, v87, v2
	v_sub_u32_e32 v3, v39, v2
	v_and_b32_e32 v4, 1, v42
	v_add_u32_e32 v3, 27, v3
	v_cmp_eq_u32_e32 vcc, 1, v4
	v_cndmask_b32_e32 v2, v3, v2, vcc
	v_lshlrev_b32_e32 v2, 1, v2
	ds_write_b16 v2, v26
	s_waitcnt lgkmcnt(0)
	s_barrier
	ds_read_u16 v61, v1
	ds_read_u16 v60, v1 offset:512
	ds_read_u16 v58, v1 offset:1024
	;; [unrolled: 1-line block ×27, first 2 shown]
	v_or_b32_e32 v59, 0x100, v0
	v_or_b32_e32 v57, 0x200, v0
	;; [unrolled: 1-line block ×26, first 2 shown]
	s_and_b64 vcc, exec, s[0:1]
	v_or_b32_e32 v5, 0x1b00, v0
	s_cbranch_vccnz .LBB2829_135
; %bb.106:
	s_lshl_b64 s[0:1], s[22:23], 1
	v_mov_b32_e32 v19, 0
	s_add_u32 s0, s4, s0
	s_addc_u32 s1, s5, s1
	v_lshlrev_b64 v[2:3], 1, v[18:19]
	v_mov_b32_e32 v19, s1
	v_add_co_u32_e32 v2, vcc, s0, v2
	v_addc_co_u32_e32 v3, vcc, v19, v3, vcc
	v_cmp_lt_u32_e32 vcc, v0, v16
	s_and_saveexec_b64 s[0:1], vcc
	s_cbranch_execnz .LBB2829_170
; %bb.107:
	s_or_b64 exec, exec, s[0:1]
	v_cmp_lt_u32_e32 vcc, v59, v16
	s_and_saveexec_b64 s[0:1], vcc
	s_cbranch_execnz .LBB2829_171
.LBB2829_108:
	s_or_b64 exec, exec, s[0:1]
	v_cmp_lt_u32_e32 vcc, v57, v16
	s_and_saveexec_b64 s[0:1], vcc
	s_cbranch_execnz .LBB2829_172
.LBB2829_109:
	s_or_b64 exec, exec, s[0:1]
	v_cmp_lt_u32_e32 vcc, v55, v16
	s_and_saveexec_b64 s[0:1], vcc
	s_cbranch_execnz .LBB2829_173
.LBB2829_110:
	s_or_b64 exec, exec, s[0:1]
	v_cmp_lt_u32_e32 vcc, v53, v16
	s_and_saveexec_b64 s[0:1], vcc
	s_cbranch_execnz .LBB2829_174
.LBB2829_111:
	s_or_b64 exec, exec, s[0:1]
	v_cmp_lt_u32_e32 vcc, v52, v16
	s_and_saveexec_b64 s[0:1], vcc
	s_cbranch_execnz .LBB2829_175
.LBB2829_112:
	s_or_b64 exec, exec, s[0:1]
	v_cmp_lt_u32_e32 vcc, v50, v16
	s_and_saveexec_b64 s[0:1], vcc
	s_cbranch_execnz .LBB2829_176
.LBB2829_113:
	s_or_b64 exec, exec, s[0:1]
	v_cmp_lt_u32_e32 vcc, v48, v16
	s_and_saveexec_b64 s[0:1], vcc
	s_cbranch_execnz .LBB2829_177
.LBB2829_114:
	s_or_b64 exec, exec, s[0:1]
	v_cmp_lt_u32_e32 vcc, v45, v16
	s_and_saveexec_b64 s[0:1], vcc
	s_cbranch_execnz .LBB2829_178
.LBB2829_115:
	s_or_b64 exec, exec, s[0:1]
	v_cmp_lt_u32_e32 vcc, v43, v16
	s_and_saveexec_b64 s[0:1], vcc
	s_cbranch_execnz .LBB2829_179
.LBB2829_116:
	s_or_b64 exec, exec, s[0:1]
	v_cmp_lt_u32_e32 vcc, v41, v16
	s_and_saveexec_b64 s[0:1], vcc
	s_cbranch_execnz .LBB2829_180
.LBB2829_117:
	s_or_b64 exec, exec, s[0:1]
	v_cmp_lt_u32_e32 vcc, v39, v16
	s_and_saveexec_b64 s[0:1], vcc
	s_cbranch_execnz .LBB2829_181
.LBB2829_118:
	s_or_b64 exec, exec, s[0:1]
	v_cmp_lt_u32_e32 vcc, v37, v16
	s_and_saveexec_b64 s[0:1], vcc
	s_cbranch_execnz .LBB2829_182
.LBB2829_119:
	s_or_b64 exec, exec, s[0:1]
	v_cmp_lt_u32_e32 vcc, v35, v16
	s_and_saveexec_b64 s[0:1], vcc
	s_cbranch_execnz .LBB2829_183
.LBB2829_120:
	s_or_b64 exec, exec, s[0:1]
	v_cmp_lt_u32_e32 vcc, v33, v16
	s_and_saveexec_b64 s[0:1], vcc
	s_cbranch_execnz .LBB2829_184
.LBB2829_121:
	s_or_b64 exec, exec, s[0:1]
	v_cmp_lt_u32_e32 vcc, v30, v16
	s_and_saveexec_b64 s[0:1], vcc
	s_cbranch_execnz .LBB2829_185
.LBB2829_122:
	s_or_b64 exec, exec, s[0:1]
	v_cmp_lt_u32_e32 vcc, v29, v16
	s_and_saveexec_b64 s[0:1], vcc
	s_cbranch_execnz .LBB2829_186
.LBB2829_123:
	s_or_b64 exec, exec, s[0:1]
	v_cmp_lt_u32_e32 vcc, v27, v16
	s_and_saveexec_b64 s[0:1], vcc
	s_cbranch_execnz .LBB2829_187
.LBB2829_124:
	s_or_b64 exec, exec, s[0:1]
	v_cmp_lt_u32_e32 vcc, v25, v16
	s_and_saveexec_b64 s[0:1], vcc
	s_cbranch_execnz .LBB2829_188
.LBB2829_125:
	s_or_b64 exec, exec, s[0:1]
	v_cmp_lt_u32_e32 vcc, v23, v16
	s_and_saveexec_b64 s[0:1], vcc
	s_cbranch_execnz .LBB2829_189
.LBB2829_126:
	s_or_b64 exec, exec, s[0:1]
	v_cmp_lt_u32_e32 vcc, v21, v16
	s_and_saveexec_b64 s[0:1], vcc
	s_cbranch_execnz .LBB2829_190
.LBB2829_127:
	s_or_b64 exec, exec, s[0:1]
	v_cmp_lt_u32_e32 vcc, v17, v16
	s_and_saveexec_b64 s[0:1], vcc
	s_cbranch_execnz .LBB2829_191
.LBB2829_128:
	s_or_b64 exec, exec, s[0:1]
	v_cmp_lt_u32_e32 vcc, v14, v16
	s_and_saveexec_b64 s[0:1], vcc
	s_cbranch_execnz .LBB2829_192
.LBB2829_129:
	s_or_b64 exec, exec, s[0:1]
	v_cmp_lt_u32_e32 vcc, v12, v16
	s_and_saveexec_b64 s[0:1], vcc
	s_cbranch_execnz .LBB2829_193
.LBB2829_130:
	s_or_b64 exec, exec, s[0:1]
	v_cmp_lt_u32_e32 vcc, v11, v16
	s_and_saveexec_b64 s[0:1], vcc
	s_cbranch_execnz .LBB2829_194
.LBB2829_131:
	s_or_b64 exec, exec, s[0:1]
	v_cmp_lt_u32_e32 vcc, v9, v16
	s_and_saveexec_b64 s[0:1], vcc
	s_cbranch_execnz .LBB2829_195
.LBB2829_132:
	s_or_b64 exec, exec, s[0:1]
	v_cmp_lt_u32_e32 vcc, v7, v16
	s_and_saveexec_b64 s[0:1], vcc
	s_cbranch_execz .LBB2829_134
.LBB2829_133:
	v_lshlrev_b32_e32 v19, 1, v7
	v_readfirstlane_b32 s2, v2
	v_readfirstlane_b32 s3, v3
	s_waitcnt lgkmcnt(1)
	s_nop 3
	global_store_short v19, v6, s[2:3]
.LBB2829_134:
	s_or_b64 exec, exec, s[0:1]
	v_cmp_lt_u32_e64 s[0:1], v5, v16
	s_branch .LBB2829_165
.LBB2829_135:
	s_mov_b64 s[0:1], 0
                                        ; implicit-def: $vgpr2_vgpr3
	s_cbranch_execz .LBB2829_165
; %bb.136:
	s_lshl_b64 s[0:1], s[22:23], 1
	v_mov_b32_e32 v19, 0
	s_add_u32 s0, s4, s0
	s_addc_u32 s1, s5, s1
	v_lshlrev_b64 v[2:3], 1, v[18:19]
	v_mov_b32_e32 v19, s1
	v_add_co_u32_e32 v2, vcc, s0, v2
	v_min_u32_e32 v62, s33, v16
	v_addc_co_u32_e32 v3, vcc, v19, v3, vcc
	v_cmp_gt_u32_e32 vcc, v62, v0
	s_and_saveexec_b64 s[0:1], vcc
	s_cbranch_execnz .LBB2829_196
; %bb.137:
	s_or_b64 exec, exec, s[0:1]
	v_cmp_lt_u32_e32 vcc, v59, v62
	s_and_saveexec_b64 s[0:1], vcc
	s_cbranch_execnz .LBB2829_197
.LBB2829_138:
	s_or_b64 exec, exec, s[0:1]
	v_cmp_lt_u32_e32 vcc, v57, v62
	s_and_saveexec_b64 s[0:1], vcc
	s_cbranch_execnz .LBB2829_198
.LBB2829_139:
	s_or_b64 exec, exec, s[0:1]
	v_cmp_lt_u32_e32 vcc, v55, v62
	s_and_saveexec_b64 s[0:1], vcc
	s_cbranch_execnz .LBB2829_199
.LBB2829_140:
	s_or_b64 exec, exec, s[0:1]
	v_cmp_lt_u32_e32 vcc, v53, v62
	s_and_saveexec_b64 s[0:1], vcc
	s_cbranch_execnz .LBB2829_200
.LBB2829_141:
	s_or_b64 exec, exec, s[0:1]
	v_cmp_lt_u32_e32 vcc, v52, v62
	s_and_saveexec_b64 s[0:1], vcc
	s_cbranch_execnz .LBB2829_201
.LBB2829_142:
	s_or_b64 exec, exec, s[0:1]
	v_cmp_lt_u32_e32 vcc, v50, v62
	s_and_saveexec_b64 s[0:1], vcc
	s_cbranch_execnz .LBB2829_202
.LBB2829_143:
	s_or_b64 exec, exec, s[0:1]
	v_cmp_lt_u32_e32 vcc, v48, v62
	s_and_saveexec_b64 s[0:1], vcc
	s_cbranch_execnz .LBB2829_203
.LBB2829_144:
	s_or_b64 exec, exec, s[0:1]
	v_cmp_lt_u32_e32 vcc, v45, v62
	s_and_saveexec_b64 s[0:1], vcc
	s_cbranch_execnz .LBB2829_204
.LBB2829_145:
	s_or_b64 exec, exec, s[0:1]
	v_cmp_lt_u32_e32 vcc, v43, v62
	s_and_saveexec_b64 s[0:1], vcc
	s_cbranch_execnz .LBB2829_205
.LBB2829_146:
	s_or_b64 exec, exec, s[0:1]
	v_cmp_lt_u32_e32 vcc, v41, v62
	s_and_saveexec_b64 s[0:1], vcc
	s_cbranch_execnz .LBB2829_206
.LBB2829_147:
	s_or_b64 exec, exec, s[0:1]
	v_cmp_lt_u32_e32 vcc, v39, v62
	s_and_saveexec_b64 s[0:1], vcc
	s_cbranch_execnz .LBB2829_207
.LBB2829_148:
	s_or_b64 exec, exec, s[0:1]
	v_cmp_lt_u32_e32 vcc, v37, v62
	s_and_saveexec_b64 s[0:1], vcc
	s_cbranch_execnz .LBB2829_208
.LBB2829_149:
	s_or_b64 exec, exec, s[0:1]
	v_cmp_lt_u32_e32 vcc, v35, v62
	s_and_saveexec_b64 s[0:1], vcc
	s_cbranch_execnz .LBB2829_209
.LBB2829_150:
	s_or_b64 exec, exec, s[0:1]
	v_cmp_lt_u32_e32 vcc, v33, v62
	s_and_saveexec_b64 s[0:1], vcc
	s_cbranch_execnz .LBB2829_210
.LBB2829_151:
	s_or_b64 exec, exec, s[0:1]
	v_cmp_lt_u32_e32 vcc, v30, v62
	s_and_saveexec_b64 s[0:1], vcc
	s_cbranch_execnz .LBB2829_211
.LBB2829_152:
	s_or_b64 exec, exec, s[0:1]
	v_cmp_lt_u32_e32 vcc, v29, v62
	s_and_saveexec_b64 s[0:1], vcc
	s_cbranch_execnz .LBB2829_212
.LBB2829_153:
	s_or_b64 exec, exec, s[0:1]
	v_cmp_lt_u32_e32 vcc, v27, v62
	s_and_saveexec_b64 s[0:1], vcc
	s_cbranch_execnz .LBB2829_213
.LBB2829_154:
	s_or_b64 exec, exec, s[0:1]
	v_cmp_lt_u32_e32 vcc, v25, v62
	s_and_saveexec_b64 s[0:1], vcc
	s_cbranch_execnz .LBB2829_214
.LBB2829_155:
	s_or_b64 exec, exec, s[0:1]
	v_cmp_lt_u32_e32 vcc, v23, v62
	s_and_saveexec_b64 s[0:1], vcc
	s_cbranch_execnz .LBB2829_215
.LBB2829_156:
	s_or_b64 exec, exec, s[0:1]
	v_cmp_lt_u32_e32 vcc, v21, v62
	s_and_saveexec_b64 s[0:1], vcc
	s_cbranch_execnz .LBB2829_216
.LBB2829_157:
	s_or_b64 exec, exec, s[0:1]
	v_cmp_lt_u32_e32 vcc, v17, v62
	s_and_saveexec_b64 s[0:1], vcc
	s_cbranch_execnz .LBB2829_217
.LBB2829_158:
	s_or_b64 exec, exec, s[0:1]
	v_cmp_lt_u32_e32 vcc, v14, v62
	s_and_saveexec_b64 s[0:1], vcc
	s_cbranch_execnz .LBB2829_218
.LBB2829_159:
	s_or_b64 exec, exec, s[0:1]
	v_cmp_lt_u32_e32 vcc, v12, v62
	s_and_saveexec_b64 s[0:1], vcc
	s_cbranch_execnz .LBB2829_219
.LBB2829_160:
	s_or_b64 exec, exec, s[0:1]
	v_cmp_lt_u32_e32 vcc, v11, v62
	s_and_saveexec_b64 s[0:1], vcc
	s_cbranch_execnz .LBB2829_220
.LBB2829_161:
	s_or_b64 exec, exec, s[0:1]
	v_cmp_lt_u32_e32 vcc, v9, v62
	s_and_saveexec_b64 s[0:1], vcc
	s_cbranch_execnz .LBB2829_221
.LBB2829_162:
	s_or_b64 exec, exec, s[0:1]
	v_cmp_lt_u32_e32 vcc, v7, v62
	s_and_saveexec_b64 s[0:1], vcc
	s_cbranch_execz .LBB2829_164
.LBB2829_163:
	v_lshlrev_b32_e32 v1, 1, v7
	v_readfirstlane_b32 s2, v2
	v_readfirstlane_b32 s3, v3
	s_waitcnt lgkmcnt(1)
	s_nop 3
	global_store_short v1, v6, s[2:3]
.LBB2829_164:
	s_or_b64 exec, exec, s[0:1]
	v_cmp_lt_u32_e64 s[0:1], v5, v62
.LBB2829_165:
	s_and_saveexec_b64 s[2:3], s[0:1]
	s_cbranch_execz .LBB2829_167
; %bb.166:
	v_lshlrev_b32_e32 v1, 1, v5
	v_readfirstlane_b32 s0, v2
	v_readfirstlane_b32 s1, v3
	s_waitcnt lgkmcnt(0)
	s_nop 3
	global_store_short v1, v4, s[0:1]
.LBB2829_167:
	s_or_b64 exec, exec, s[2:3]
	v_cmp_eq_u32_e32 vcc, 0, v0
	s_and_b64 s[0:1], vcc, s[26:27]
	s_and_saveexec_b64 s[2:3], s[0:1]
	s_cbranch_execz .LBB2829_169
; %bb.168:
	v_mov_b32_e32 v0, s23
	v_add_co_u32_e32 v1, vcc, s22, v16
	v_addc_co_u32_e32 v3, vcc, 0, v0, vcc
	v_add_co_u32_e32 v0, vcc, v1, v18
	v_mov_b32_e32 v2, 0
	v_addc_co_u32_e32 v1, vcc, 0, v3, vcc
	global_store_dwordx2 v2, v[0:1], s[24:25]
.LBB2829_169:
	s_endpgm
.LBB2829_170:
	v_readfirstlane_b32 s2, v2
	v_readfirstlane_b32 s3, v3
	s_waitcnt lgkmcnt(14)
	s_nop 3
	global_store_short v1, v61, s[2:3]
	s_or_b64 exec, exec, s[0:1]
	v_cmp_lt_u32_e32 vcc, v59, v16
	s_and_saveexec_b64 s[0:1], vcc
	s_cbranch_execz .LBB2829_108
.LBB2829_171:
	v_readfirstlane_b32 s2, v2
	v_readfirstlane_b32 s3, v3
	s_waitcnt lgkmcnt(14)
	s_nop 3
	global_store_short v1, v60, s[2:3] offset:512
	s_or_b64 exec, exec, s[0:1]
	v_cmp_lt_u32_e32 vcc, v57, v16
	s_and_saveexec_b64 s[0:1], vcc
	s_cbranch_execz .LBB2829_109
.LBB2829_172:
	v_readfirstlane_b32 s2, v2
	v_readfirstlane_b32 s3, v3
	s_waitcnt lgkmcnt(14)
	s_nop 3
	global_store_short v1, v58, s[2:3] offset:1024
	s_or_b64 exec, exec, s[0:1]
	v_cmp_lt_u32_e32 vcc, v55, v16
	s_and_saveexec_b64 s[0:1], vcc
	s_cbranch_execz .LBB2829_110
.LBB2829_173:
	v_readfirstlane_b32 s2, v2
	v_readfirstlane_b32 s3, v3
	s_waitcnt lgkmcnt(14)
	s_nop 3
	global_store_short v1, v56, s[2:3] offset:1536
	s_or_b64 exec, exec, s[0:1]
	v_cmp_lt_u32_e32 vcc, v53, v16
	s_and_saveexec_b64 s[0:1], vcc
	s_cbranch_execz .LBB2829_111
.LBB2829_174:
	v_readfirstlane_b32 s2, v2
	v_readfirstlane_b32 s3, v3
	s_waitcnt lgkmcnt(14)
	s_nop 3
	global_store_short v1, v54, s[2:3] offset:2048
	s_or_b64 exec, exec, s[0:1]
	v_cmp_lt_u32_e32 vcc, v52, v16
	s_and_saveexec_b64 s[0:1], vcc
	s_cbranch_execz .LBB2829_112
.LBB2829_175:
	v_readfirstlane_b32 s2, v2
	v_readfirstlane_b32 s3, v3
	s_waitcnt lgkmcnt(14)
	s_nop 3
	global_store_short v1, v51, s[2:3] offset:2560
	s_or_b64 exec, exec, s[0:1]
	v_cmp_lt_u32_e32 vcc, v50, v16
	s_and_saveexec_b64 s[0:1], vcc
	s_cbranch_execz .LBB2829_113
.LBB2829_176:
	v_readfirstlane_b32 s2, v2
	v_readfirstlane_b32 s3, v3
	s_waitcnt lgkmcnt(14)
	s_nop 3
	global_store_short v1, v49, s[2:3] offset:3072
	s_or_b64 exec, exec, s[0:1]
	v_cmp_lt_u32_e32 vcc, v48, v16
	s_and_saveexec_b64 s[0:1], vcc
	s_cbranch_execz .LBB2829_114
.LBB2829_177:
	v_readfirstlane_b32 s2, v2
	v_readfirstlane_b32 s3, v3
	s_waitcnt lgkmcnt(14)
	s_nop 3
	global_store_short v1, v46, s[2:3] offset:3584
	s_or_b64 exec, exec, s[0:1]
	v_cmp_lt_u32_e32 vcc, v45, v16
	s_and_saveexec_b64 s[0:1], vcc
	s_cbranch_execz .LBB2829_115
.LBB2829_178:
	v_lshlrev_b32_e32 v19, 1, v45
	v_readfirstlane_b32 s2, v2
	v_readfirstlane_b32 s3, v3
	s_waitcnt lgkmcnt(14)
	s_nop 3
	global_store_short v19, v47, s[2:3]
	s_or_b64 exec, exec, s[0:1]
	v_cmp_lt_u32_e32 vcc, v43, v16
	s_and_saveexec_b64 s[0:1], vcc
	s_cbranch_execz .LBB2829_116
.LBB2829_179:
	v_lshlrev_b32_e32 v19, 1, v43
	v_readfirstlane_b32 s2, v2
	v_readfirstlane_b32 s3, v3
	s_waitcnt lgkmcnt(14)
	s_nop 3
	global_store_short v19, v44, s[2:3]
	s_or_b64 exec, exec, s[0:1]
	v_cmp_lt_u32_e32 vcc, v41, v16
	s_and_saveexec_b64 s[0:1], vcc
	s_cbranch_execz .LBB2829_117
.LBB2829_180:
	v_lshlrev_b32_e32 v19, 1, v41
	v_readfirstlane_b32 s2, v2
	v_readfirstlane_b32 s3, v3
	s_waitcnt lgkmcnt(14)
	s_nop 3
	global_store_short v19, v42, s[2:3]
	s_or_b64 exec, exec, s[0:1]
	v_cmp_lt_u32_e32 vcc, v39, v16
	s_and_saveexec_b64 s[0:1], vcc
	s_cbranch_execz .LBB2829_118
.LBB2829_181:
	v_lshlrev_b32_e32 v19, 1, v39
	v_readfirstlane_b32 s2, v2
	v_readfirstlane_b32 s3, v3
	s_waitcnt lgkmcnt(14)
	s_nop 3
	global_store_short v19, v40, s[2:3]
	s_or_b64 exec, exec, s[0:1]
	v_cmp_lt_u32_e32 vcc, v37, v16
	s_and_saveexec_b64 s[0:1], vcc
	s_cbranch_execz .LBB2829_119
.LBB2829_182:
	v_lshlrev_b32_e32 v19, 1, v37
	v_readfirstlane_b32 s2, v2
	v_readfirstlane_b32 s3, v3
	s_waitcnt lgkmcnt(14)
	s_nop 3
	global_store_short v19, v38, s[2:3]
	s_or_b64 exec, exec, s[0:1]
	v_cmp_lt_u32_e32 vcc, v35, v16
	s_and_saveexec_b64 s[0:1], vcc
	s_cbranch_execz .LBB2829_120
.LBB2829_183:
	v_lshlrev_b32_e32 v19, 1, v35
	v_readfirstlane_b32 s2, v2
	v_readfirstlane_b32 s3, v3
	s_waitcnt lgkmcnt(14)
	s_nop 3
	global_store_short v19, v36, s[2:3]
	s_or_b64 exec, exec, s[0:1]
	v_cmp_lt_u32_e32 vcc, v33, v16
	s_and_saveexec_b64 s[0:1], vcc
	s_cbranch_execz .LBB2829_121
.LBB2829_184:
	v_lshlrev_b32_e32 v19, 1, v33
	v_readfirstlane_b32 s2, v2
	v_readfirstlane_b32 s3, v3
	s_waitcnt lgkmcnt(13)
	s_nop 3
	global_store_short v19, v34, s[2:3]
	s_or_b64 exec, exec, s[0:1]
	v_cmp_lt_u32_e32 vcc, v30, v16
	s_and_saveexec_b64 s[0:1], vcc
	s_cbranch_execz .LBB2829_122
.LBB2829_185:
	v_lshlrev_b32_e32 v19, 1, v30
	v_readfirstlane_b32 s2, v2
	v_readfirstlane_b32 s3, v3
	s_waitcnt lgkmcnt(12)
	s_nop 3
	global_store_short v19, v31, s[2:3]
	s_or_b64 exec, exec, s[0:1]
	v_cmp_lt_u32_e32 vcc, v29, v16
	s_and_saveexec_b64 s[0:1], vcc
	s_cbranch_execz .LBB2829_123
.LBB2829_186:
	v_lshlrev_b32_e32 v19, 1, v29
	v_readfirstlane_b32 s2, v2
	v_readfirstlane_b32 s3, v3
	s_waitcnt lgkmcnt(11)
	s_nop 3
	global_store_short v19, v32, s[2:3]
	s_or_b64 exec, exec, s[0:1]
	v_cmp_lt_u32_e32 vcc, v27, v16
	s_and_saveexec_b64 s[0:1], vcc
	s_cbranch_execz .LBB2829_124
.LBB2829_187:
	v_lshlrev_b32_e32 v19, 1, v27
	v_readfirstlane_b32 s2, v2
	v_readfirstlane_b32 s3, v3
	s_waitcnt lgkmcnt(10)
	s_nop 3
	global_store_short v19, v28, s[2:3]
	s_or_b64 exec, exec, s[0:1]
	v_cmp_lt_u32_e32 vcc, v25, v16
	s_and_saveexec_b64 s[0:1], vcc
	s_cbranch_execz .LBB2829_125
.LBB2829_188:
	v_lshlrev_b32_e32 v19, 1, v25
	v_readfirstlane_b32 s2, v2
	v_readfirstlane_b32 s3, v3
	s_waitcnt lgkmcnt(9)
	s_nop 3
	global_store_short v19, v26, s[2:3]
	s_or_b64 exec, exec, s[0:1]
	v_cmp_lt_u32_e32 vcc, v23, v16
	s_and_saveexec_b64 s[0:1], vcc
	s_cbranch_execz .LBB2829_126
.LBB2829_189:
	v_lshlrev_b32_e32 v19, 1, v23
	v_readfirstlane_b32 s2, v2
	v_readfirstlane_b32 s3, v3
	s_waitcnt lgkmcnt(8)
	s_nop 3
	global_store_short v19, v24, s[2:3]
	s_or_b64 exec, exec, s[0:1]
	v_cmp_lt_u32_e32 vcc, v21, v16
	s_and_saveexec_b64 s[0:1], vcc
	s_cbranch_execz .LBB2829_127
.LBB2829_190:
	v_lshlrev_b32_e32 v19, 1, v21
	v_readfirstlane_b32 s2, v2
	v_readfirstlane_b32 s3, v3
	s_waitcnt lgkmcnt(7)
	s_nop 3
	global_store_short v19, v22, s[2:3]
	s_or_b64 exec, exec, s[0:1]
	v_cmp_lt_u32_e32 vcc, v17, v16
	s_and_saveexec_b64 s[0:1], vcc
	s_cbranch_execz .LBB2829_128
.LBB2829_191:
	v_lshlrev_b32_e32 v19, 1, v17
	v_readfirstlane_b32 s2, v2
	v_readfirstlane_b32 s3, v3
	s_waitcnt lgkmcnt(6)
	s_nop 3
	global_store_short v19, v20, s[2:3]
	s_or_b64 exec, exec, s[0:1]
	v_cmp_lt_u32_e32 vcc, v14, v16
	s_and_saveexec_b64 s[0:1], vcc
	s_cbranch_execz .LBB2829_129
.LBB2829_192:
	v_lshlrev_b32_e32 v19, 1, v14
	v_readfirstlane_b32 s2, v2
	v_readfirstlane_b32 s3, v3
	s_waitcnt lgkmcnt(5)
	s_nop 3
	global_store_short v19, v15, s[2:3]
	s_or_b64 exec, exec, s[0:1]
	v_cmp_lt_u32_e32 vcc, v12, v16
	s_and_saveexec_b64 s[0:1], vcc
	s_cbranch_execz .LBB2829_130
.LBB2829_193:
	v_lshlrev_b32_e32 v19, 1, v12
	v_readfirstlane_b32 s2, v2
	v_readfirstlane_b32 s3, v3
	s_waitcnt lgkmcnt(4)
	s_nop 3
	global_store_short v19, v13, s[2:3]
	s_or_b64 exec, exec, s[0:1]
	v_cmp_lt_u32_e32 vcc, v11, v16
	s_and_saveexec_b64 s[0:1], vcc
	s_cbranch_execz .LBB2829_131
.LBB2829_194:
	v_lshlrev_b32_e32 v19, 1, v11
	v_readfirstlane_b32 s2, v2
	v_readfirstlane_b32 s3, v3
	s_waitcnt lgkmcnt(3)
	s_nop 3
	global_store_short v19, v10, s[2:3]
	s_or_b64 exec, exec, s[0:1]
	v_cmp_lt_u32_e32 vcc, v9, v16
	s_and_saveexec_b64 s[0:1], vcc
	s_cbranch_execz .LBB2829_132
.LBB2829_195:
	v_lshlrev_b32_e32 v19, 1, v9
	v_readfirstlane_b32 s2, v2
	v_readfirstlane_b32 s3, v3
	s_waitcnt lgkmcnt(2)
	s_nop 3
	global_store_short v19, v8, s[2:3]
	s_or_b64 exec, exec, s[0:1]
	v_cmp_lt_u32_e32 vcc, v7, v16
	s_and_saveexec_b64 s[0:1], vcc
	s_cbranch_execnz .LBB2829_133
	s_branch .LBB2829_134
.LBB2829_196:
	v_readfirstlane_b32 s2, v2
	v_readfirstlane_b32 s3, v3
	s_waitcnt lgkmcnt(14)
	s_nop 3
	global_store_short v1, v61, s[2:3]
	s_or_b64 exec, exec, s[0:1]
	v_cmp_lt_u32_e32 vcc, v59, v62
	s_and_saveexec_b64 s[0:1], vcc
	s_cbranch_execz .LBB2829_138
.LBB2829_197:
	v_readfirstlane_b32 s2, v2
	v_readfirstlane_b32 s3, v3
	s_waitcnt lgkmcnt(14)
	s_nop 3
	global_store_short v1, v60, s[2:3] offset:512
	s_or_b64 exec, exec, s[0:1]
	v_cmp_lt_u32_e32 vcc, v57, v62
	s_and_saveexec_b64 s[0:1], vcc
	s_cbranch_execz .LBB2829_139
.LBB2829_198:
	v_readfirstlane_b32 s2, v2
	v_readfirstlane_b32 s3, v3
	s_waitcnt lgkmcnt(14)
	s_nop 3
	global_store_short v1, v58, s[2:3] offset:1024
	s_or_b64 exec, exec, s[0:1]
	v_cmp_lt_u32_e32 vcc, v55, v62
	s_and_saveexec_b64 s[0:1], vcc
	s_cbranch_execz .LBB2829_140
.LBB2829_199:
	v_readfirstlane_b32 s2, v2
	v_readfirstlane_b32 s3, v3
	s_waitcnt lgkmcnt(14)
	s_nop 3
	global_store_short v1, v56, s[2:3] offset:1536
	s_or_b64 exec, exec, s[0:1]
	v_cmp_lt_u32_e32 vcc, v53, v62
	s_and_saveexec_b64 s[0:1], vcc
	s_cbranch_execz .LBB2829_141
.LBB2829_200:
	v_readfirstlane_b32 s2, v2
	v_readfirstlane_b32 s3, v3
	s_waitcnt lgkmcnt(14)
	s_nop 3
	global_store_short v1, v54, s[2:3] offset:2048
	s_or_b64 exec, exec, s[0:1]
	v_cmp_lt_u32_e32 vcc, v52, v62
	s_and_saveexec_b64 s[0:1], vcc
	s_cbranch_execz .LBB2829_142
.LBB2829_201:
	v_readfirstlane_b32 s2, v2
	v_readfirstlane_b32 s3, v3
	s_waitcnt lgkmcnt(14)
	s_nop 3
	global_store_short v1, v51, s[2:3] offset:2560
	s_or_b64 exec, exec, s[0:1]
	v_cmp_lt_u32_e32 vcc, v50, v62
	s_and_saveexec_b64 s[0:1], vcc
	s_cbranch_execz .LBB2829_143
.LBB2829_202:
	v_readfirstlane_b32 s2, v2
	v_readfirstlane_b32 s3, v3
	s_waitcnt lgkmcnt(14)
	s_nop 3
	global_store_short v1, v49, s[2:3] offset:3072
	s_or_b64 exec, exec, s[0:1]
	v_cmp_lt_u32_e32 vcc, v48, v62
	s_and_saveexec_b64 s[0:1], vcc
	s_cbranch_execz .LBB2829_144
.LBB2829_203:
	v_readfirstlane_b32 s2, v2
	v_readfirstlane_b32 s3, v3
	s_waitcnt lgkmcnt(14)
	s_nop 3
	global_store_short v1, v46, s[2:3] offset:3584
	s_or_b64 exec, exec, s[0:1]
	v_cmp_lt_u32_e32 vcc, v45, v62
	s_and_saveexec_b64 s[0:1], vcc
	s_cbranch_execz .LBB2829_145
.LBB2829_204:
	v_lshlrev_b32_e32 v1, 1, v45
	v_readfirstlane_b32 s2, v2
	v_readfirstlane_b32 s3, v3
	s_waitcnt lgkmcnt(14)
	s_nop 3
	global_store_short v1, v47, s[2:3]
	s_or_b64 exec, exec, s[0:1]
	v_cmp_lt_u32_e32 vcc, v43, v62
	s_and_saveexec_b64 s[0:1], vcc
	s_cbranch_execz .LBB2829_146
.LBB2829_205:
	v_lshlrev_b32_e32 v1, 1, v43
	v_readfirstlane_b32 s2, v2
	v_readfirstlane_b32 s3, v3
	s_waitcnt lgkmcnt(14)
	s_nop 3
	global_store_short v1, v44, s[2:3]
	s_or_b64 exec, exec, s[0:1]
	v_cmp_lt_u32_e32 vcc, v41, v62
	s_and_saveexec_b64 s[0:1], vcc
	s_cbranch_execz .LBB2829_147
.LBB2829_206:
	v_lshlrev_b32_e32 v1, 1, v41
	v_readfirstlane_b32 s2, v2
	v_readfirstlane_b32 s3, v3
	s_waitcnt lgkmcnt(14)
	s_nop 3
	global_store_short v1, v42, s[2:3]
	s_or_b64 exec, exec, s[0:1]
	v_cmp_lt_u32_e32 vcc, v39, v62
	s_and_saveexec_b64 s[0:1], vcc
	s_cbranch_execz .LBB2829_148
.LBB2829_207:
	v_lshlrev_b32_e32 v1, 1, v39
	v_readfirstlane_b32 s2, v2
	v_readfirstlane_b32 s3, v3
	s_waitcnt lgkmcnt(14)
	s_nop 3
	global_store_short v1, v40, s[2:3]
	s_or_b64 exec, exec, s[0:1]
	v_cmp_lt_u32_e32 vcc, v37, v62
	s_and_saveexec_b64 s[0:1], vcc
	s_cbranch_execz .LBB2829_149
.LBB2829_208:
	v_lshlrev_b32_e32 v1, 1, v37
	v_readfirstlane_b32 s2, v2
	v_readfirstlane_b32 s3, v3
	s_waitcnt lgkmcnt(14)
	s_nop 3
	global_store_short v1, v38, s[2:3]
	s_or_b64 exec, exec, s[0:1]
	v_cmp_lt_u32_e32 vcc, v35, v62
	s_and_saveexec_b64 s[0:1], vcc
	s_cbranch_execz .LBB2829_150
.LBB2829_209:
	v_lshlrev_b32_e32 v1, 1, v35
	v_readfirstlane_b32 s2, v2
	v_readfirstlane_b32 s3, v3
	s_waitcnt lgkmcnt(14)
	s_nop 3
	global_store_short v1, v36, s[2:3]
	s_or_b64 exec, exec, s[0:1]
	v_cmp_lt_u32_e32 vcc, v33, v62
	s_and_saveexec_b64 s[0:1], vcc
	s_cbranch_execz .LBB2829_151
.LBB2829_210:
	v_lshlrev_b32_e32 v1, 1, v33
	v_readfirstlane_b32 s2, v2
	v_readfirstlane_b32 s3, v3
	s_waitcnt lgkmcnt(13)
	s_nop 3
	global_store_short v1, v34, s[2:3]
	s_or_b64 exec, exec, s[0:1]
	v_cmp_lt_u32_e32 vcc, v30, v62
	s_and_saveexec_b64 s[0:1], vcc
	s_cbranch_execz .LBB2829_152
.LBB2829_211:
	v_lshlrev_b32_e32 v1, 1, v30
	v_readfirstlane_b32 s2, v2
	v_readfirstlane_b32 s3, v3
	s_waitcnt lgkmcnt(12)
	s_nop 3
	global_store_short v1, v31, s[2:3]
	s_or_b64 exec, exec, s[0:1]
	v_cmp_lt_u32_e32 vcc, v29, v62
	s_and_saveexec_b64 s[0:1], vcc
	s_cbranch_execz .LBB2829_153
.LBB2829_212:
	v_lshlrev_b32_e32 v1, 1, v29
	v_readfirstlane_b32 s2, v2
	v_readfirstlane_b32 s3, v3
	s_waitcnt lgkmcnt(11)
	s_nop 3
	global_store_short v1, v32, s[2:3]
	s_or_b64 exec, exec, s[0:1]
	v_cmp_lt_u32_e32 vcc, v27, v62
	s_and_saveexec_b64 s[0:1], vcc
	s_cbranch_execz .LBB2829_154
.LBB2829_213:
	v_lshlrev_b32_e32 v1, 1, v27
	v_readfirstlane_b32 s2, v2
	v_readfirstlane_b32 s3, v3
	s_waitcnt lgkmcnt(10)
	s_nop 3
	global_store_short v1, v28, s[2:3]
	s_or_b64 exec, exec, s[0:1]
	v_cmp_lt_u32_e32 vcc, v25, v62
	s_and_saveexec_b64 s[0:1], vcc
	s_cbranch_execz .LBB2829_155
.LBB2829_214:
	v_lshlrev_b32_e32 v1, 1, v25
	v_readfirstlane_b32 s2, v2
	v_readfirstlane_b32 s3, v3
	s_waitcnt lgkmcnt(9)
	s_nop 3
	global_store_short v1, v26, s[2:3]
	s_or_b64 exec, exec, s[0:1]
	v_cmp_lt_u32_e32 vcc, v23, v62
	s_and_saveexec_b64 s[0:1], vcc
	s_cbranch_execz .LBB2829_156
.LBB2829_215:
	v_lshlrev_b32_e32 v1, 1, v23
	v_readfirstlane_b32 s2, v2
	v_readfirstlane_b32 s3, v3
	s_waitcnt lgkmcnt(8)
	s_nop 3
	global_store_short v1, v24, s[2:3]
	s_or_b64 exec, exec, s[0:1]
	v_cmp_lt_u32_e32 vcc, v21, v62
	s_and_saveexec_b64 s[0:1], vcc
	s_cbranch_execz .LBB2829_157
.LBB2829_216:
	v_lshlrev_b32_e32 v1, 1, v21
	v_readfirstlane_b32 s2, v2
	v_readfirstlane_b32 s3, v3
	s_waitcnt lgkmcnt(7)
	s_nop 3
	global_store_short v1, v22, s[2:3]
	s_or_b64 exec, exec, s[0:1]
	v_cmp_lt_u32_e32 vcc, v17, v62
	s_and_saveexec_b64 s[0:1], vcc
	s_cbranch_execz .LBB2829_158
.LBB2829_217:
	v_lshlrev_b32_e32 v1, 1, v17
	v_readfirstlane_b32 s2, v2
	v_readfirstlane_b32 s3, v3
	s_waitcnt lgkmcnt(6)
	s_nop 3
	global_store_short v1, v20, s[2:3]
	s_or_b64 exec, exec, s[0:1]
	v_cmp_lt_u32_e32 vcc, v14, v62
	s_and_saveexec_b64 s[0:1], vcc
	s_cbranch_execz .LBB2829_159
.LBB2829_218:
	v_lshlrev_b32_e32 v1, 1, v14
	v_readfirstlane_b32 s2, v2
	v_readfirstlane_b32 s3, v3
	s_waitcnt lgkmcnt(5)
	s_nop 3
	global_store_short v1, v15, s[2:3]
	s_or_b64 exec, exec, s[0:1]
	v_cmp_lt_u32_e32 vcc, v12, v62
	s_and_saveexec_b64 s[0:1], vcc
	s_cbranch_execz .LBB2829_160
.LBB2829_219:
	v_lshlrev_b32_e32 v1, 1, v12
	v_readfirstlane_b32 s2, v2
	v_readfirstlane_b32 s3, v3
	s_waitcnt lgkmcnt(4)
	s_nop 3
	global_store_short v1, v13, s[2:3]
	s_or_b64 exec, exec, s[0:1]
	v_cmp_lt_u32_e32 vcc, v11, v62
	s_and_saveexec_b64 s[0:1], vcc
	s_cbranch_execz .LBB2829_161
.LBB2829_220:
	v_lshlrev_b32_e32 v1, 1, v11
	v_readfirstlane_b32 s2, v2
	v_readfirstlane_b32 s3, v3
	s_waitcnt lgkmcnt(3)
	s_nop 3
	global_store_short v1, v10, s[2:3]
	s_or_b64 exec, exec, s[0:1]
	v_cmp_lt_u32_e32 vcc, v9, v62
	s_and_saveexec_b64 s[0:1], vcc
	s_cbranch_execz .LBB2829_162
.LBB2829_221:
	v_lshlrev_b32_e32 v1, 1, v9
	v_readfirstlane_b32 s2, v2
	v_readfirstlane_b32 s3, v3
	s_waitcnt lgkmcnt(2)
	s_nop 3
	global_store_short v1, v8, s[2:3]
	s_or_b64 exec, exec, s[0:1]
	v_cmp_lt_u32_e32 vcc, v7, v62
	s_and_saveexec_b64 s[0:1], vcc
	s_cbranch_execnz .LBB2829_163
	s_branch .LBB2829_164
	.section	.rodata,"a",@progbits
	.p2align	6, 0x0
	.amdhsa_kernel _ZN7rocprim17ROCPRIM_400000_NS6detail17trampoline_kernelINS0_14default_configENS1_25partition_config_selectorILNS1_17partition_subalgoE0EsNS0_10empty_typeEbEEZZNS1_14partition_implILS5_0ELb0ES3_jN6thrust23THRUST_200600_302600_NS6detail15normal_iteratorINSA_10device_ptrIsEEEEPS6_SG_NS0_5tupleIJSF_NSA_16discard_iteratorINSA_11use_defaultEEEEEENSH_IJSG_SG_EEES6_PlJ7is_evenIsEEEE10hipError_tPvRmT3_T4_T5_T6_T7_T9_mT8_P12ihipStream_tbDpT10_ENKUlT_T0_E_clISt17integral_constantIbLb1EES18_IbLb0EEEEDaS14_S15_EUlS14_E_NS1_11comp_targetILNS1_3genE4ELNS1_11target_archE910ELNS1_3gpuE8ELNS1_3repE0EEENS1_30default_config_static_selectorELNS0_4arch9wavefront6targetE1EEEvT1_
		.amdhsa_group_segment_fixed_size 14344
		.amdhsa_private_segment_fixed_size 0
		.amdhsa_kernarg_size 128
		.amdhsa_user_sgpr_count 6
		.amdhsa_user_sgpr_private_segment_buffer 1
		.amdhsa_user_sgpr_dispatch_ptr 0
		.amdhsa_user_sgpr_queue_ptr 0
		.amdhsa_user_sgpr_kernarg_segment_ptr 1
		.amdhsa_user_sgpr_dispatch_id 0
		.amdhsa_user_sgpr_flat_scratch_init 0
		.amdhsa_user_sgpr_kernarg_preload_length 0
		.amdhsa_user_sgpr_kernarg_preload_offset 0
		.amdhsa_user_sgpr_private_segment_size 0
		.amdhsa_uses_dynamic_stack 0
		.amdhsa_system_sgpr_private_segment_wavefront_offset 0
		.amdhsa_system_sgpr_workgroup_id_x 1
		.amdhsa_system_sgpr_workgroup_id_y 0
		.amdhsa_system_sgpr_workgroup_id_z 0
		.amdhsa_system_sgpr_workgroup_info 0
		.amdhsa_system_vgpr_workitem_id 0
		.amdhsa_next_free_vgpr 114
		.amdhsa_next_free_sgpr 40
		.amdhsa_accum_offset 116
		.amdhsa_reserve_vcc 1
		.amdhsa_reserve_flat_scratch 0
		.amdhsa_float_round_mode_32 0
		.amdhsa_float_round_mode_16_64 0
		.amdhsa_float_denorm_mode_32 3
		.amdhsa_float_denorm_mode_16_64 3
		.amdhsa_dx10_clamp 1
		.amdhsa_ieee_mode 1
		.amdhsa_fp16_overflow 0
		.amdhsa_tg_split 0
		.amdhsa_exception_fp_ieee_invalid_op 0
		.amdhsa_exception_fp_denorm_src 0
		.amdhsa_exception_fp_ieee_div_zero 0
		.amdhsa_exception_fp_ieee_overflow 0
		.amdhsa_exception_fp_ieee_underflow 0
		.amdhsa_exception_fp_ieee_inexact 0
		.amdhsa_exception_int_div_zero 0
	.end_amdhsa_kernel
	.section	.text._ZN7rocprim17ROCPRIM_400000_NS6detail17trampoline_kernelINS0_14default_configENS1_25partition_config_selectorILNS1_17partition_subalgoE0EsNS0_10empty_typeEbEEZZNS1_14partition_implILS5_0ELb0ES3_jN6thrust23THRUST_200600_302600_NS6detail15normal_iteratorINSA_10device_ptrIsEEEEPS6_SG_NS0_5tupleIJSF_NSA_16discard_iteratorINSA_11use_defaultEEEEEENSH_IJSG_SG_EEES6_PlJ7is_evenIsEEEE10hipError_tPvRmT3_T4_T5_T6_T7_T9_mT8_P12ihipStream_tbDpT10_ENKUlT_T0_E_clISt17integral_constantIbLb1EES18_IbLb0EEEEDaS14_S15_EUlS14_E_NS1_11comp_targetILNS1_3genE4ELNS1_11target_archE910ELNS1_3gpuE8ELNS1_3repE0EEENS1_30default_config_static_selectorELNS0_4arch9wavefront6targetE1EEEvT1_,"axG",@progbits,_ZN7rocprim17ROCPRIM_400000_NS6detail17trampoline_kernelINS0_14default_configENS1_25partition_config_selectorILNS1_17partition_subalgoE0EsNS0_10empty_typeEbEEZZNS1_14partition_implILS5_0ELb0ES3_jN6thrust23THRUST_200600_302600_NS6detail15normal_iteratorINSA_10device_ptrIsEEEEPS6_SG_NS0_5tupleIJSF_NSA_16discard_iteratorINSA_11use_defaultEEEEEENSH_IJSG_SG_EEES6_PlJ7is_evenIsEEEE10hipError_tPvRmT3_T4_T5_T6_T7_T9_mT8_P12ihipStream_tbDpT10_ENKUlT_T0_E_clISt17integral_constantIbLb1EES18_IbLb0EEEEDaS14_S15_EUlS14_E_NS1_11comp_targetILNS1_3genE4ELNS1_11target_archE910ELNS1_3gpuE8ELNS1_3repE0EEENS1_30default_config_static_selectorELNS0_4arch9wavefront6targetE1EEEvT1_,comdat
.Lfunc_end2829:
	.size	_ZN7rocprim17ROCPRIM_400000_NS6detail17trampoline_kernelINS0_14default_configENS1_25partition_config_selectorILNS1_17partition_subalgoE0EsNS0_10empty_typeEbEEZZNS1_14partition_implILS5_0ELb0ES3_jN6thrust23THRUST_200600_302600_NS6detail15normal_iteratorINSA_10device_ptrIsEEEEPS6_SG_NS0_5tupleIJSF_NSA_16discard_iteratorINSA_11use_defaultEEEEEENSH_IJSG_SG_EEES6_PlJ7is_evenIsEEEE10hipError_tPvRmT3_T4_T5_T6_T7_T9_mT8_P12ihipStream_tbDpT10_ENKUlT_T0_E_clISt17integral_constantIbLb1EES18_IbLb0EEEEDaS14_S15_EUlS14_E_NS1_11comp_targetILNS1_3genE4ELNS1_11target_archE910ELNS1_3gpuE8ELNS1_3repE0EEENS1_30default_config_static_selectorELNS0_4arch9wavefront6targetE1EEEvT1_, .Lfunc_end2829-_ZN7rocprim17ROCPRIM_400000_NS6detail17trampoline_kernelINS0_14default_configENS1_25partition_config_selectorILNS1_17partition_subalgoE0EsNS0_10empty_typeEbEEZZNS1_14partition_implILS5_0ELb0ES3_jN6thrust23THRUST_200600_302600_NS6detail15normal_iteratorINSA_10device_ptrIsEEEEPS6_SG_NS0_5tupleIJSF_NSA_16discard_iteratorINSA_11use_defaultEEEEEENSH_IJSG_SG_EEES6_PlJ7is_evenIsEEEE10hipError_tPvRmT3_T4_T5_T6_T7_T9_mT8_P12ihipStream_tbDpT10_ENKUlT_T0_E_clISt17integral_constantIbLb1EES18_IbLb0EEEEDaS14_S15_EUlS14_E_NS1_11comp_targetILNS1_3genE4ELNS1_11target_archE910ELNS1_3gpuE8ELNS1_3repE0EEENS1_30default_config_static_selectorELNS0_4arch9wavefront6targetE1EEEvT1_
                                        ; -- End function
	.section	.AMDGPU.csdata,"",@progbits
; Kernel info:
; codeLenInByte = 10416
; NumSgprs: 44
; NumVgprs: 114
; NumAgprs: 0
; TotalNumVgprs: 114
; ScratchSize: 0
; MemoryBound: 0
; FloatMode: 240
; IeeeMode: 1
; LDSByteSize: 14344 bytes/workgroup (compile time only)
; SGPRBlocks: 5
; VGPRBlocks: 14
; NumSGPRsForWavesPerEU: 44
; NumVGPRsForWavesPerEU: 114
; AccumOffset: 116
; Occupancy: 4
; WaveLimiterHint : 1
; COMPUTE_PGM_RSRC2:SCRATCH_EN: 0
; COMPUTE_PGM_RSRC2:USER_SGPR: 6
; COMPUTE_PGM_RSRC2:TRAP_HANDLER: 0
; COMPUTE_PGM_RSRC2:TGID_X_EN: 1
; COMPUTE_PGM_RSRC2:TGID_Y_EN: 0
; COMPUTE_PGM_RSRC2:TGID_Z_EN: 0
; COMPUTE_PGM_RSRC2:TIDIG_COMP_CNT: 0
; COMPUTE_PGM_RSRC3_GFX90A:ACCUM_OFFSET: 28
; COMPUTE_PGM_RSRC3_GFX90A:TG_SPLIT: 0
	.section	.text._ZN7rocprim17ROCPRIM_400000_NS6detail17trampoline_kernelINS0_14default_configENS1_25partition_config_selectorILNS1_17partition_subalgoE0EsNS0_10empty_typeEbEEZZNS1_14partition_implILS5_0ELb0ES3_jN6thrust23THRUST_200600_302600_NS6detail15normal_iteratorINSA_10device_ptrIsEEEEPS6_SG_NS0_5tupleIJSF_NSA_16discard_iteratorINSA_11use_defaultEEEEEENSH_IJSG_SG_EEES6_PlJ7is_evenIsEEEE10hipError_tPvRmT3_T4_T5_T6_T7_T9_mT8_P12ihipStream_tbDpT10_ENKUlT_T0_E_clISt17integral_constantIbLb1EES18_IbLb0EEEEDaS14_S15_EUlS14_E_NS1_11comp_targetILNS1_3genE3ELNS1_11target_archE908ELNS1_3gpuE7ELNS1_3repE0EEENS1_30default_config_static_selectorELNS0_4arch9wavefront6targetE1EEEvT1_,"axG",@progbits,_ZN7rocprim17ROCPRIM_400000_NS6detail17trampoline_kernelINS0_14default_configENS1_25partition_config_selectorILNS1_17partition_subalgoE0EsNS0_10empty_typeEbEEZZNS1_14partition_implILS5_0ELb0ES3_jN6thrust23THRUST_200600_302600_NS6detail15normal_iteratorINSA_10device_ptrIsEEEEPS6_SG_NS0_5tupleIJSF_NSA_16discard_iteratorINSA_11use_defaultEEEEEENSH_IJSG_SG_EEES6_PlJ7is_evenIsEEEE10hipError_tPvRmT3_T4_T5_T6_T7_T9_mT8_P12ihipStream_tbDpT10_ENKUlT_T0_E_clISt17integral_constantIbLb1EES18_IbLb0EEEEDaS14_S15_EUlS14_E_NS1_11comp_targetILNS1_3genE3ELNS1_11target_archE908ELNS1_3gpuE7ELNS1_3repE0EEENS1_30default_config_static_selectorELNS0_4arch9wavefront6targetE1EEEvT1_,comdat
	.protected	_ZN7rocprim17ROCPRIM_400000_NS6detail17trampoline_kernelINS0_14default_configENS1_25partition_config_selectorILNS1_17partition_subalgoE0EsNS0_10empty_typeEbEEZZNS1_14partition_implILS5_0ELb0ES3_jN6thrust23THRUST_200600_302600_NS6detail15normal_iteratorINSA_10device_ptrIsEEEEPS6_SG_NS0_5tupleIJSF_NSA_16discard_iteratorINSA_11use_defaultEEEEEENSH_IJSG_SG_EEES6_PlJ7is_evenIsEEEE10hipError_tPvRmT3_T4_T5_T6_T7_T9_mT8_P12ihipStream_tbDpT10_ENKUlT_T0_E_clISt17integral_constantIbLb1EES18_IbLb0EEEEDaS14_S15_EUlS14_E_NS1_11comp_targetILNS1_3genE3ELNS1_11target_archE908ELNS1_3gpuE7ELNS1_3repE0EEENS1_30default_config_static_selectorELNS0_4arch9wavefront6targetE1EEEvT1_ ; -- Begin function _ZN7rocprim17ROCPRIM_400000_NS6detail17trampoline_kernelINS0_14default_configENS1_25partition_config_selectorILNS1_17partition_subalgoE0EsNS0_10empty_typeEbEEZZNS1_14partition_implILS5_0ELb0ES3_jN6thrust23THRUST_200600_302600_NS6detail15normal_iteratorINSA_10device_ptrIsEEEEPS6_SG_NS0_5tupleIJSF_NSA_16discard_iteratorINSA_11use_defaultEEEEEENSH_IJSG_SG_EEES6_PlJ7is_evenIsEEEE10hipError_tPvRmT3_T4_T5_T6_T7_T9_mT8_P12ihipStream_tbDpT10_ENKUlT_T0_E_clISt17integral_constantIbLb1EES18_IbLb0EEEEDaS14_S15_EUlS14_E_NS1_11comp_targetILNS1_3genE3ELNS1_11target_archE908ELNS1_3gpuE7ELNS1_3repE0EEENS1_30default_config_static_selectorELNS0_4arch9wavefront6targetE1EEEvT1_
	.globl	_ZN7rocprim17ROCPRIM_400000_NS6detail17trampoline_kernelINS0_14default_configENS1_25partition_config_selectorILNS1_17partition_subalgoE0EsNS0_10empty_typeEbEEZZNS1_14partition_implILS5_0ELb0ES3_jN6thrust23THRUST_200600_302600_NS6detail15normal_iteratorINSA_10device_ptrIsEEEEPS6_SG_NS0_5tupleIJSF_NSA_16discard_iteratorINSA_11use_defaultEEEEEENSH_IJSG_SG_EEES6_PlJ7is_evenIsEEEE10hipError_tPvRmT3_T4_T5_T6_T7_T9_mT8_P12ihipStream_tbDpT10_ENKUlT_T0_E_clISt17integral_constantIbLb1EES18_IbLb0EEEEDaS14_S15_EUlS14_E_NS1_11comp_targetILNS1_3genE3ELNS1_11target_archE908ELNS1_3gpuE7ELNS1_3repE0EEENS1_30default_config_static_selectorELNS0_4arch9wavefront6targetE1EEEvT1_
	.p2align	8
	.type	_ZN7rocprim17ROCPRIM_400000_NS6detail17trampoline_kernelINS0_14default_configENS1_25partition_config_selectorILNS1_17partition_subalgoE0EsNS0_10empty_typeEbEEZZNS1_14partition_implILS5_0ELb0ES3_jN6thrust23THRUST_200600_302600_NS6detail15normal_iteratorINSA_10device_ptrIsEEEEPS6_SG_NS0_5tupleIJSF_NSA_16discard_iteratorINSA_11use_defaultEEEEEENSH_IJSG_SG_EEES6_PlJ7is_evenIsEEEE10hipError_tPvRmT3_T4_T5_T6_T7_T9_mT8_P12ihipStream_tbDpT10_ENKUlT_T0_E_clISt17integral_constantIbLb1EES18_IbLb0EEEEDaS14_S15_EUlS14_E_NS1_11comp_targetILNS1_3genE3ELNS1_11target_archE908ELNS1_3gpuE7ELNS1_3repE0EEENS1_30default_config_static_selectorELNS0_4arch9wavefront6targetE1EEEvT1_,@function
_ZN7rocprim17ROCPRIM_400000_NS6detail17trampoline_kernelINS0_14default_configENS1_25partition_config_selectorILNS1_17partition_subalgoE0EsNS0_10empty_typeEbEEZZNS1_14partition_implILS5_0ELb0ES3_jN6thrust23THRUST_200600_302600_NS6detail15normal_iteratorINSA_10device_ptrIsEEEEPS6_SG_NS0_5tupleIJSF_NSA_16discard_iteratorINSA_11use_defaultEEEEEENSH_IJSG_SG_EEES6_PlJ7is_evenIsEEEE10hipError_tPvRmT3_T4_T5_T6_T7_T9_mT8_P12ihipStream_tbDpT10_ENKUlT_T0_E_clISt17integral_constantIbLb1EES18_IbLb0EEEEDaS14_S15_EUlS14_E_NS1_11comp_targetILNS1_3genE3ELNS1_11target_archE908ELNS1_3gpuE7ELNS1_3repE0EEENS1_30default_config_static_selectorELNS0_4arch9wavefront6targetE1EEEvT1_: ; @_ZN7rocprim17ROCPRIM_400000_NS6detail17trampoline_kernelINS0_14default_configENS1_25partition_config_selectorILNS1_17partition_subalgoE0EsNS0_10empty_typeEbEEZZNS1_14partition_implILS5_0ELb0ES3_jN6thrust23THRUST_200600_302600_NS6detail15normal_iteratorINSA_10device_ptrIsEEEEPS6_SG_NS0_5tupleIJSF_NSA_16discard_iteratorINSA_11use_defaultEEEEEENSH_IJSG_SG_EEES6_PlJ7is_evenIsEEEE10hipError_tPvRmT3_T4_T5_T6_T7_T9_mT8_P12ihipStream_tbDpT10_ENKUlT_T0_E_clISt17integral_constantIbLb1EES18_IbLb0EEEEDaS14_S15_EUlS14_E_NS1_11comp_targetILNS1_3genE3ELNS1_11target_archE908ELNS1_3gpuE7ELNS1_3repE0EEENS1_30default_config_static_selectorELNS0_4arch9wavefront6targetE1EEEvT1_
; %bb.0:
	.section	.rodata,"a",@progbits
	.p2align	6, 0x0
	.amdhsa_kernel _ZN7rocprim17ROCPRIM_400000_NS6detail17trampoline_kernelINS0_14default_configENS1_25partition_config_selectorILNS1_17partition_subalgoE0EsNS0_10empty_typeEbEEZZNS1_14partition_implILS5_0ELb0ES3_jN6thrust23THRUST_200600_302600_NS6detail15normal_iteratorINSA_10device_ptrIsEEEEPS6_SG_NS0_5tupleIJSF_NSA_16discard_iteratorINSA_11use_defaultEEEEEENSH_IJSG_SG_EEES6_PlJ7is_evenIsEEEE10hipError_tPvRmT3_T4_T5_T6_T7_T9_mT8_P12ihipStream_tbDpT10_ENKUlT_T0_E_clISt17integral_constantIbLb1EES18_IbLb0EEEEDaS14_S15_EUlS14_E_NS1_11comp_targetILNS1_3genE3ELNS1_11target_archE908ELNS1_3gpuE7ELNS1_3repE0EEENS1_30default_config_static_selectorELNS0_4arch9wavefront6targetE1EEEvT1_
		.amdhsa_group_segment_fixed_size 0
		.amdhsa_private_segment_fixed_size 0
		.amdhsa_kernarg_size 128
		.amdhsa_user_sgpr_count 6
		.amdhsa_user_sgpr_private_segment_buffer 1
		.amdhsa_user_sgpr_dispatch_ptr 0
		.amdhsa_user_sgpr_queue_ptr 0
		.amdhsa_user_sgpr_kernarg_segment_ptr 1
		.amdhsa_user_sgpr_dispatch_id 0
		.amdhsa_user_sgpr_flat_scratch_init 0
		.amdhsa_user_sgpr_kernarg_preload_length 0
		.amdhsa_user_sgpr_kernarg_preload_offset 0
		.amdhsa_user_sgpr_private_segment_size 0
		.amdhsa_uses_dynamic_stack 0
		.amdhsa_system_sgpr_private_segment_wavefront_offset 0
		.amdhsa_system_sgpr_workgroup_id_x 1
		.amdhsa_system_sgpr_workgroup_id_y 0
		.amdhsa_system_sgpr_workgroup_id_z 0
		.amdhsa_system_sgpr_workgroup_info 0
		.amdhsa_system_vgpr_workitem_id 0
		.amdhsa_next_free_vgpr 1
		.amdhsa_next_free_sgpr 0
		.amdhsa_accum_offset 4
		.amdhsa_reserve_vcc 0
		.amdhsa_reserve_flat_scratch 0
		.amdhsa_float_round_mode_32 0
		.amdhsa_float_round_mode_16_64 0
		.amdhsa_float_denorm_mode_32 3
		.amdhsa_float_denorm_mode_16_64 3
		.amdhsa_dx10_clamp 1
		.amdhsa_ieee_mode 1
		.amdhsa_fp16_overflow 0
		.amdhsa_tg_split 0
		.amdhsa_exception_fp_ieee_invalid_op 0
		.amdhsa_exception_fp_denorm_src 0
		.amdhsa_exception_fp_ieee_div_zero 0
		.amdhsa_exception_fp_ieee_overflow 0
		.amdhsa_exception_fp_ieee_underflow 0
		.amdhsa_exception_fp_ieee_inexact 0
		.amdhsa_exception_int_div_zero 0
	.end_amdhsa_kernel
	.section	.text._ZN7rocprim17ROCPRIM_400000_NS6detail17trampoline_kernelINS0_14default_configENS1_25partition_config_selectorILNS1_17partition_subalgoE0EsNS0_10empty_typeEbEEZZNS1_14partition_implILS5_0ELb0ES3_jN6thrust23THRUST_200600_302600_NS6detail15normal_iteratorINSA_10device_ptrIsEEEEPS6_SG_NS0_5tupleIJSF_NSA_16discard_iteratorINSA_11use_defaultEEEEEENSH_IJSG_SG_EEES6_PlJ7is_evenIsEEEE10hipError_tPvRmT3_T4_T5_T6_T7_T9_mT8_P12ihipStream_tbDpT10_ENKUlT_T0_E_clISt17integral_constantIbLb1EES18_IbLb0EEEEDaS14_S15_EUlS14_E_NS1_11comp_targetILNS1_3genE3ELNS1_11target_archE908ELNS1_3gpuE7ELNS1_3repE0EEENS1_30default_config_static_selectorELNS0_4arch9wavefront6targetE1EEEvT1_,"axG",@progbits,_ZN7rocprim17ROCPRIM_400000_NS6detail17trampoline_kernelINS0_14default_configENS1_25partition_config_selectorILNS1_17partition_subalgoE0EsNS0_10empty_typeEbEEZZNS1_14partition_implILS5_0ELb0ES3_jN6thrust23THRUST_200600_302600_NS6detail15normal_iteratorINSA_10device_ptrIsEEEEPS6_SG_NS0_5tupleIJSF_NSA_16discard_iteratorINSA_11use_defaultEEEEEENSH_IJSG_SG_EEES6_PlJ7is_evenIsEEEE10hipError_tPvRmT3_T4_T5_T6_T7_T9_mT8_P12ihipStream_tbDpT10_ENKUlT_T0_E_clISt17integral_constantIbLb1EES18_IbLb0EEEEDaS14_S15_EUlS14_E_NS1_11comp_targetILNS1_3genE3ELNS1_11target_archE908ELNS1_3gpuE7ELNS1_3repE0EEENS1_30default_config_static_selectorELNS0_4arch9wavefront6targetE1EEEvT1_,comdat
.Lfunc_end2830:
	.size	_ZN7rocprim17ROCPRIM_400000_NS6detail17trampoline_kernelINS0_14default_configENS1_25partition_config_selectorILNS1_17partition_subalgoE0EsNS0_10empty_typeEbEEZZNS1_14partition_implILS5_0ELb0ES3_jN6thrust23THRUST_200600_302600_NS6detail15normal_iteratorINSA_10device_ptrIsEEEEPS6_SG_NS0_5tupleIJSF_NSA_16discard_iteratorINSA_11use_defaultEEEEEENSH_IJSG_SG_EEES6_PlJ7is_evenIsEEEE10hipError_tPvRmT3_T4_T5_T6_T7_T9_mT8_P12ihipStream_tbDpT10_ENKUlT_T0_E_clISt17integral_constantIbLb1EES18_IbLb0EEEEDaS14_S15_EUlS14_E_NS1_11comp_targetILNS1_3genE3ELNS1_11target_archE908ELNS1_3gpuE7ELNS1_3repE0EEENS1_30default_config_static_selectorELNS0_4arch9wavefront6targetE1EEEvT1_, .Lfunc_end2830-_ZN7rocprim17ROCPRIM_400000_NS6detail17trampoline_kernelINS0_14default_configENS1_25partition_config_selectorILNS1_17partition_subalgoE0EsNS0_10empty_typeEbEEZZNS1_14partition_implILS5_0ELb0ES3_jN6thrust23THRUST_200600_302600_NS6detail15normal_iteratorINSA_10device_ptrIsEEEEPS6_SG_NS0_5tupleIJSF_NSA_16discard_iteratorINSA_11use_defaultEEEEEENSH_IJSG_SG_EEES6_PlJ7is_evenIsEEEE10hipError_tPvRmT3_T4_T5_T6_T7_T9_mT8_P12ihipStream_tbDpT10_ENKUlT_T0_E_clISt17integral_constantIbLb1EES18_IbLb0EEEEDaS14_S15_EUlS14_E_NS1_11comp_targetILNS1_3genE3ELNS1_11target_archE908ELNS1_3gpuE7ELNS1_3repE0EEENS1_30default_config_static_selectorELNS0_4arch9wavefront6targetE1EEEvT1_
                                        ; -- End function
	.section	.AMDGPU.csdata,"",@progbits
; Kernel info:
; codeLenInByte = 0
; NumSgprs: 4
; NumVgprs: 0
; NumAgprs: 0
; TotalNumVgprs: 0
; ScratchSize: 0
; MemoryBound: 0
; FloatMode: 240
; IeeeMode: 1
; LDSByteSize: 0 bytes/workgroup (compile time only)
; SGPRBlocks: 0
; VGPRBlocks: 0
; NumSGPRsForWavesPerEU: 4
; NumVGPRsForWavesPerEU: 1
; AccumOffset: 4
; Occupancy: 8
; WaveLimiterHint : 0
; COMPUTE_PGM_RSRC2:SCRATCH_EN: 0
; COMPUTE_PGM_RSRC2:USER_SGPR: 6
; COMPUTE_PGM_RSRC2:TRAP_HANDLER: 0
; COMPUTE_PGM_RSRC2:TGID_X_EN: 1
; COMPUTE_PGM_RSRC2:TGID_Y_EN: 0
; COMPUTE_PGM_RSRC2:TGID_Z_EN: 0
; COMPUTE_PGM_RSRC2:TIDIG_COMP_CNT: 0
; COMPUTE_PGM_RSRC3_GFX90A:ACCUM_OFFSET: 0
; COMPUTE_PGM_RSRC3_GFX90A:TG_SPLIT: 0
	.section	.text._ZN7rocprim17ROCPRIM_400000_NS6detail17trampoline_kernelINS0_14default_configENS1_25partition_config_selectorILNS1_17partition_subalgoE0EsNS0_10empty_typeEbEEZZNS1_14partition_implILS5_0ELb0ES3_jN6thrust23THRUST_200600_302600_NS6detail15normal_iteratorINSA_10device_ptrIsEEEEPS6_SG_NS0_5tupleIJSF_NSA_16discard_iteratorINSA_11use_defaultEEEEEENSH_IJSG_SG_EEES6_PlJ7is_evenIsEEEE10hipError_tPvRmT3_T4_T5_T6_T7_T9_mT8_P12ihipStream_tbDpT10_ENKUlT_T0_E_clISt17integral_constantIbLb1EES18_IbLb0EEEEDaS14_S15_EUlS14_E_NS1_11comp_targetILNS1_3genE2ELNS1_11target_archE906ELNS1_3gpuE6ELNS1_3repE0EEENS1_30default_config_static_selectorELNS0_4arch9wavefront6targetE1EEEvT1_,"axG",@progbits,_ZN7rocprim17ROCPRIM_400000_NS6detail17trampoline_kernelINS0_14default_configENS1_25partition_config_selectorILNS1_17partition_subalgoE0EsNS0_10empty_typeEbEEZZNS1_14partition_implILS5_0ELb0ES3_jN6thrust23THRUST_200600_302600_NS6detail15normal_iteratorINSA_10device_ptrIsEEEEPS6_SG_NS0_5tupleIJSF_NSA_16discard_iteratorINSA_11use_defaultEEEEEENSH_IJSG_SG_EEES6_PlJ7is_evenIsEEEE10hipError_tPvRmT3_T4_T5_T6_T7_T9_mT8_P12ihipStream_tbDpT10_ENKUlT_T0_E_clISt17integral_constantIbLb1EES18_IbLb0EEEEDaS14_S15_EUlS14_E_NS1_11comp_targetILNS1_3genE2ELNS1_11target_archE906ELNS1_3gpuE6ELNS1_3repE0EEENS1_30default_config_static_selectorELNS0_4arch9wavefront6targetE1EEEvT1_,comdat
	.protected	_ZN7rocprim17ROCPRIM_400000_NS6detail17trampoline_kernelINS0_14default_configENS1_25partition_config_selectorILNS1_17partition_subalgoE0EsNS0_10empty_typeEbEEZZNS1_14partition_implILS5_0ELb0ES3_jN6thrust23THRUST_200600_302600_NS6detail15normal_iteratorINSA_10device_ptrIsEEEEPS6_SG_NS0_5tupleIJSF_NSA_16discard_iteratorINSA_11use_defaultEEEEEENSH_IJSG_SG_EEES6_PlJ7is_evenIsEEEE10hipError_tPvRmT3_T4_T5_T6_T7_T9_mT8_P12ihipStream_tbDpT10_ENKUlT_T0_E_clISt17integral_constantIbLb1EES18_IbLb0EEEEDaS14_S15_EUlS14_E_NS1_11comp_targetILNS1_3genE2ELNS1_11target_archE906ELNS1_3gpuE6ELNS1_3repE0EEENS1_30default_config_static_selectorELNS0_4arch9wavefront6targetE1EEEvT1_ ; -- Begin function _ZN7rocprim17ROCPRIM_400000_NS6detail17trampoline_kernelINS0_14default_configENS1_25partition_config_selectorILNS1_17partition_subalgoE0EsNS0_10empty_typeEbEEZZNS1_14partition_implILS5_0ELb0ES3_jN6thrust23THRUST_200600_302600_NS6detail15normal_iteratorINSA_10device_ptrIsEEEEPS6_SG_NS0_5tupleIJSF_NSA_16discard_iteratorINSA_11use_defaultEEEEEENSH_IJSG_SG_EEES6_PlJ7is_evenIsEEEE10hipError_tPvRmT3_T4_T5_T6_T7_T9_mT8_P12ihipStream_tbDpT10_ENKUlT_T0_E_clISt17integral_constantIbLb1EES18_IbLb0EEEEDaS14_S15_EUlS14_E_NS1_11comp_targetILNS1_3genE2ELNS1_11target_archE906ELNS1_3gpuE6ELNS1_3repE0EEENS1_30default_config_static_selectorELNS0_4arch9wavefront6targetE1EEEvT1_
	.globl	_ZN7rocprim17ROCPRIM_400000_NS6detail17trampoline_kernelINS0_14default_configENS1_25partition_config_selectorILNS1_17partition_subalgoE0EsNS0_10empty_typeEbEEZZNS1_14partition_implILS5_0ELb0ES3_jN6thrust23THRUST_200600_302600_NS6detail15normal_iteratorINSA_10device_ptrIsEEEEPS6_SG_NS0_5tupleIJSF_NSA_16discard_iteratorINSA_11use_defaultEEEEEENSH_IJSG_SG_EEES6_PlJ7is_evenIsEEEE10hipError_tPvRmT3_T4_T5_T6_T7_T9_mT8_P12ihipStream_tbDpT10_ENKUlT_T0_E_clISt17integral_constantIbLb1EES18_IbLb0EEEEDaS14_S15_EUlS14_E_NS1_11comp_targetILNS1_3genE2ELNS1_11target_archE906ELNS1_3gpuE6ELNS1_3repE0EEENS1_30default_config_static_selectorELNS0_4arch9wavefront6targetE1EEEvT1_
	.p2align	8
	.type	_ZN7rocprim17ROCPRIM_400000_NS6detail17trampoline_kernelINS0_14default_configENS1_25partition_config_selectorILNS1_17partition_subalgoE0EsNS0_10empty_typeEbEEZZNS1_14partition_implILS5_0ELb0ES3_jN6thrust23THRUST_200600_302600_NS6detail15normal_iteratorINSA_10device_ptrIsEEEEPS6_SG_NS0_5tupleIJSF_NSA_16discard_iteratorINSA_11use_defaultEEEEEENSH_IJSG_SG_EEES6_PlJ7is_evenIsEEEE10hipError_tPvRmT3_T4_T5_T6_T7_T9_mT8_P12ihipStream_tbDpT10_ENKUlT_T0_E_clISt17integral_constantIbLb1EES18_IbLb0EEEEDaS14_S15_EUlS14_E_NS1_11comp_targetILNS1_3genE2ELNS1_11target_archE906ELNS1_3gpuE6ELNS1_3repE0EEENS1_30default_config_static_selectorELNS0_4arch9wavefront6targetE1EEEvT1_,@function
_ZN7rocprim17ROCPRIM_400000_NS6detail17trampoline_kernelINS0_14default_configENS1_25partition_config_selectorILNS1_17partition_subalgoE0EsNS0_10empty_typeEbEEZZNS1_14partition_implILS5_0ELb0ES3_jN6thrust23THRUST_200600_302600_NS6detail15normal_iteratorINSA_10device_ptrIsEEEEPS6_SG_NS0_5tupleIJSF_NSA_16discard_iteratorINSA_11use_defaultEEEEEENSH_IJSG_SG_EEES6_PlJ7is_evenIsEEEE10hipError_tPvRmT3_T4_T5_T6_T7_T9_mT8_P12ihipStream_tbDpT10_ENKUlT_T0_E_clISt17integral_constantIbLb1EES18_IbLb0EEEEDaS14_S15_EUlS14_E_NS1_11comp_targetILNS1_3genE2ELNS1_11target_archE906ELNS1_3gpuE6ELNS1_3repE0EEENS1_30default_config_static_selectorELNS0_4arch9wavefront6targetE1EEEvT1_: ; @_ZN7rocprim17ROCPRIM_400000_NS6detail17trampoline_kernelINS0_14default_configENS1_25partition_config_selectorILNS1_17partition_subalgoE0EsNS0_10empty_typeEbEEZZNS1_14partition_implILS5_0ELb0ES3_jN6thrust23THRUST_200600_302600_NS6detail15normal_iteratorINSA_10device_ptrIsEEEEPS6_SG_NS0_5tupleIJSF_NSA_16discard_iteratorINSA_11use_defaultEEEEEENSH_IJSG_SG_EEES6_PlJ7is_evenIsEEEE10hipError_tPvRmT3_T4_T5_T6_T7_T9_mT8_P12ihipStream_tbDpT10_ENKUlT_T0_E_clISt17integral_constantIbLb1EES18_IbLb0EEEEDaS14_S15_EUlS14_E_NS1_11comp_targetILNS1_3genE2ELNS1_11target_archE906ELNS1_3gpuE6ELNS1_3repE0EEENS1_30default_config_static_selectorELNS0_4arch9wavefront6targetE1EEEvT1_
; %bb.0:
	.section	.rodata,"a",@progbits
	.p2align	6, 0x0
	.amdhsa_kernel _ZN7rocprim17ROCPRIM_400000_NS6detail17trampoline_kernelINS0_14default_configENS1_25partition_config_selectorILNS1_17partition_subalgoE0EsNS0_10empty_typeEbEEZZNS1_14partition_implILS5_0ELb0ES3_jN6thrust23THRUST_200600_302600_NS6detail15normal_iteratorINSA_10device_ptrIsEEEEPS6_SG_NS0_5tupleIJSF_NSA_16discard_iteratorINSA_11use_defaultEEEEEENSH_IJSG_SG_EEES6_PlJ7is_evenIsEEEE10hipError_tPvRmT3_T4_T5_T6_T7_T9_mT8_P12ihipStream_tbDpT10_ENKUlT_T0_E_clISt17integral_constantIbLb1EES18_IbLb0EEEEDaS14_S15_EUlS14_E_NS1_11comp_targetILNS1_3genE2ELNS1_11target_archE906ELNS1_3gpuE6ELNS1_3repE0EEENS1_30default_config_static_selectorELNS0_4arch9wavefront6targetE1EEEvT1_
		.amdhsa_group_segment_fixed_size 0
		.amdhsa_private_segment_fixed_size 0
		.amdhsa_kernarg_size 128
		.amdhsa_user_sgpr_count 6
		.amdhsa_user_sgpr_private_segment_buffer 1
		.amdhsa_user_sgpr_dispatch_ptr 0
		.amdhsa_user_sgpr_queue_ptr 0
		.amdhsa_user_sgpr_kernarg_segment_ptr 1
		.amdhsa_user_sgpr_dispatch_id 0
		.amdhsa_user_sgpr_flat_scratch_init 0
		.amdhsa_user_sgpr_kernarg_preload_length 0
		.amdhsa_user_sgpr_kernarg_preload_offset 0
		.amdhsa_user_sgpr_private_segment_size 0
		.amdhsa_uses_dynamic_stack 0
		.amdhsa_system_sgpr_private_segment_wavefront_offset 0
		.amdhsa_system_sgpr_workgroup_id_x 1
		.amdhsa_system_sgpr_workgroup_id_y 0
		.amdhsa_system_sgpr_workgroup_id_z 0
		.amdhsa_system_sgpr_workgroup_info 0
		.amdhsa_system_vgpr_workitem_id 0
		.amdhsa_next_free_vgpr 1
		.amdhsa_next_free_sgpr 0
		.amdhsa_accum_offset 4
		.amdhsa_reserve_vcc 0
		.amdhsa_reserve_flat_scratch 0
		.amdhsa_float_round_mode_32 0
		.amdhsa_float_round_mode_16_64 0
		.amdhsa_float_denorm_mode_32 3
		.amdhsa_float_denorm_mode_16_64 3
		.amdhsa_dx10_clamp 1
		.amdhsa_ieee_mode 1
		.amdhsa_fp16_overflow 0
		.amdhsa_tg_split 0
		.amdhsa_exception_fp_ieee_invalid_op 0
		.amdhsa_exception_fp_denorm_src 0
		.amdhsa_exception_fp_ieee_div_zero 0
		.amdhsa_exception_fp_ieee_overflow 0
		.amdhsa_exception_fp_ieee_underflow 0
		.amdhsa_exception_fp_ieee_inexact 0
		.amdhsa_exception_int_div_zero 0
	.end_amdhsa_kernel
	.section	.text._ZN7rocprim17ROCPRIM_400000_NS6detail17trampoline_kernelINS0_14default_configENS1_25partition_config_selectorILNS1_17partition_subalgoE0EsNS0_10empty_typeEbEEZZNS1_14partition_implILS5_0ELb0ES3_jN6thrust23THRUST_200600_302600_NS6detail15normal_iteratorINSA_10device_ptrIsEEEEPS6_SG_NS0_5tupleIJSF_NSA_16discard_iteratorINSA_11use_defaultEEEEEENSH_IJSG_SG_EEES6_PlJ7is_evenIsEEEE10hipError_tPvRmT3_T4_T5_T6_T7_T9_mT8_P12ihipStream_tbDpT10_ENKUlT_T0_E_clISt17integral_constantIbLb1EES18_IbLb0EEEEDaS14_S15_EUlS14_E_NS1_11comp_targetILNS1_3genE2ELNS1_11target_archE906ELNS1_3gpuE6ELNS1_3repE0EEENS1_30default_config_static_selectorELNS0_4arch9wavefront6targetE1EEEvT1_,"axG",@progbits,_ZN7rocprim17ROCPRIM_400000_NS6detail17trampoline_kernelINS0_14default_configENS1_25partition_config_selectorILNS1_17partition_subalgoE0EsNS0_10empty_typeEbEEZZNS1_14partition_implILS5_0ELb0ES3_jN6thrust23THRUST_200600_302600_NS6detail15normal_iteratorINSA_10device_ptrIsEEEEPS6_SG_NS0_5tupleIJSF_NSA_16discard_iteratorINSA_11use_defaultEEEEEENSH_IJSG_SG_EEES6_PlJ7is_evenIsEEEE10hipError_tPvRmT3_T4_T5_T6_T7_T9_mT8_P12ihipStream_tbDpT10_ENKUlT_T0_E_clISt17integral_constantIbLb1EES18_IbLb0EEEEDaS14_S15_EUlS14_E_NS1_11comp_targetILNS1_3genE2ELNS1_11target_archE906ELNS1_3gpuE6ELNS1_3repE0EEENS1_30default_config_static_selectorELNS0_4arch9wavefront6targetE1EEEvT1_,comdat
.Lfunc_end2831:
	.size	_ZN7rocprim17ROCPRIM_400000_NS6detail17trampoline_kernelINS0_14default_configENS1_25partition_config_selectorILNS1_17partition_subalgoE0EsNS0_10empty_typeEbEEZZNS1_14partition_implILS5_0ELb0ES3_jN6thrust23THRUST_200600_302600_NS6detail15normal_iteratorINSA_10device_ptrIsEEEEPS6_SG_NS0_5tupleIJSF_NSA_16discard_iteratorINSA_11use_defaultEEEEEENSH_IJSG_SG_EEES6_PlJ7is_evenIsEEEE10hipError_tPvRmT3_T4_T5_T6_T7_T9_mT8_P12ihipStream_tbDpT10_ENKUlT_T0_E_clISt17integral_constantIbLb1EES18_IbLb0EEEEDaS14_S15_EUlS14_E_NS1_11comp_targetILNS1_3genE2ELNS1_11target_archE906ELNS1_3gpuE6ELNS1_3repE0EEENS1_30default_config_static_selectorELNS0_4arch9wavefront6targetE1EEEvT1_, .Lfunc_end2831-_ZN7rocprim17ROCPRIM_400000_NS6detail17trampoline_kernelINS0_14default_configENS1_25partition_config_selectorILNS1_17partition_subalgoE0EsNS0_10empty_typeEbEEZZNS1_14partition_implILS5_0ELb0ES3_jN6thrust23THRUST_200600_302600_NS6detail15normal_iteratorINSA_10device_ptrIsEEEEPS6_SG_NS0_5tupleIJSF_NSA_16discard_iteratorINSA_11use_defaultEEEEEENSH_IJSG_SG_EEES6_PlJ7is_evenIsEEEE10hipError_tPvRmT3_T4_T5_T6_T7_T9_mT8_P12ihipStream_tbDpT10_ENKUlT_T0_E_clISt17integral_constantIbLb1EES18_IbLb0EEEEDaS14_S15_EUlS14_E_NS1_11comp_targetILNS1_3genE2ELNS1_11target_archE906ELNS1_3gpuE6ELNS1_3repE0EEENS1_30default_config_static_selectorELNS0_4arch9wavefront6targetE1EEEvT1_
                                        ; -- End function
	.section	.AMDGPU.csdata,"",@progbits
; Kernel info:
; codeLenInByte = 0
; NumSgprs: 4
; NumVgprs: 0
; NumAgprs: 0
; TotalNumVgprs: 0
; ScratchSize: 0
; MemoryBound: 0
; FloatMode: 240
; IeeeMode: 1
; LDSByteSize: 0 bytes/workgroup (compile time only)
; SGPRBlocks: 0
; VGPRBlocks: 0
; NumSGPRsForWavesPerEU: 4
; NumVGPRsForWavesPerEU: 1
; AccumOffset: 4
; Occupancy: 8
; WaveLimiterHint : 0
; COMPUTE_PGM_RSRC2:SCRATCH_EN: 0
; COMPUTE_PGM_RSRC2:USER_SGPR: 6
; COMPUTE_PGM_RSRC2:TRAP_HANDLER: 0
; COMPUTE_PGM_RSRC2:TGID_X_EN: 1
; COMPUTE_PGM_RSRC2:TGID_Y_EN: 0
; COMPUTE_PGM_RSRC2:TGID_Z_EN: 0
; COMPUTE_PGM_RSRC2:TIDIG_COMP_CNT: 0
; COMPUTE_PGM_RSRC3_GFX90A:ACCUM_OFFSET: 0
; COMPUTE_PGM_RSRC3_GFX90A:TG_SPLIT: 0
	.section	.text._ZN7rocprim17ROCPRIM_400000_NS6detail17trampoline_kernelINS0_14default_configENS1_25partition_config_selectorILNS1_17partition_subalgoE0EsNS0_10empty_typeEbEEZZNS1_14partition_implILS5_0ELb0ES3_jN6thrust23THRUST_200600_302600_NS6detail15normal_iteratorINSA_10device_ptrIsEEEEPS6_SG_NS0_5tupleIJSF_NSA_16discard_iteratorINSA_11use_defaultEEEEEENSH_IJSG_SG_EEES6_PlJ7is_evenIsEEEE10hipError_tPvRmT3_T4_T5_T6_T7_T9_mT8_P12ihipStream_tbDpT10_ENKUlT_T0_E_clISt17integral_constantIbLb1EES18_IbLb0EEEEDaS14_S15_EUlS14_E_NS1_11comp_targetILNS1_3genE10ELNS1_11target_archE1200ELNS1_3gpuE4ELNS1_3repE0EEENS1_30default_config_static_selectorELNS0_4arch9wavefront6targetE1EEEvT1_,"axG",@progbits,_ZN7rocprim17ROCPRIM_400000_NS6detail17trampoline_kernelINS0_14default_configENS1_25partition_config_selectorILNS1_17partition_subalgoE0EsNS0_10empty_typeEbEEZZNS1_14partition_implILS5_0ELb0ES3_jN6thrust23THRUST_200600_302600_NS6detail15normal_iteratorINSA_10device_ptrIsEEEEPS6_SG_NS0_5tupleIJSF_NSA_16discard_iteratorINSA_11use_defaultEEEEEENSH_IJSG_SG_EEES6_PlJ7is_evenIsEEEE10hipError_tPvRmT3_T4_T5_T6_T7_T9_mT8_P12ihipStream_tbDpT10_ENKUlT_T0_E_clISt17integral_constantIbLb1EES18_IbLb0EEEEDaS14_S15_EUlS14_E_NS1_11comp_targetILNS1_3genE10ELNS1_11target_archE1200ELNS1_3gpuE4ELNS1_3repE0EEENS1_30default_config_static_selectorELNS0_4arch9wavefront6targetE1EEEvT1_,comdat
	.protected	_ZN7rocprim17ROCPRIM_400000_NS6detail17trampoline_kernelINS0_14default_configENS1_25partition_config_selectorILNS1_17partition_subalgoE0EsNS0_10empty_typeEbEEZZNS1_14partition_implILS5_0ELb0ES3_jN6thrust23THRUST_200600_302600_NS6detail15normal_iteratorINSA_10device_ptrIsEEEEPS6_SG_NS0_5tupleIJSF_NSA_16discard_iteratorINSA_11use_defaultEEEEEENSH_IJSG_SG_EEES6_PlJ7is_evenIsEEEE10hipError_tPvRmT3_T4_T5_T6_T7_T9_mT8_P12ihipStream_tbDpT10_ENKUlT_T0_E_clISt17integral_constantIbLb1EES18_IbLb0EEEEDaS14_S15_EUlS14_E_NS1_11comp_targetILNS1_3genE10ELNS1_11target_archE1200ELNS1_3gpuE4ELNS1_3repE0EEENS1_30default_config_static_selectorELNS0_4arch9wavefront6targetE1EEEvT1_ ; -- Begin function _ZN7rocprim17ROCPRIM_400000_NS6detail17trampoline_kernelINS0_14default_configENS1_25partition_config_selectorILNS1_17partition_subalgoE0EsNS0_10empty_typeEbEEZZNS1_14partition_implILS5_0ELb0ES3_jN6thrust23THRUST_200600_302600_NS6detail15normal_iteratorINSA_10device_ptrIsEEEEPS6_SG_NS0_5tupleIJSF_NSA_16discard_iteratorINSA_11use_defaultEEEEEENSH_IJSG_SG_EEES6_PlJ7is_evenIsEEEE10hipError_tPvRmT3_T4_T5_T6_T7_T9_mT8_P12ihipStream_tbDpT10_ENKUlT_T0_E_clISt17integral_constantIbLb1EES18_IbLb0EEEEDaS14_S15_EUlS14_E_NS1_11comp_targetILNS1_3genE10ELNS1_11target_archE1200ELNS1_3gpuE4ELNS1_3repE0EEENS1_30default_config_static_selectorELNS0_4arch9wavefront6targetE1EEEvT1_
	.globl	_ZN7rocprim17ROCPRIM_400000_NS6detail17trampoline_kernelINS0_14default_configENS1_25partition_config_selectorILNS1_17partition_subalgoE0EsNS0_10empty_typeEbEEZZNS1_14partition_implILS5_0ELb0ES3_jN6thrust23THRUST_200600_302600_NS6detail15normal_iteratorINSA_10device_ptrIsEEEEPS6_SG_NS0_5tupleIJSF_NSA_16discard_iteratorINSA_11use_defaultEEEEEENSH_IJSG_SG_EEES6_PlJ7is_evenIsEEEE10hipError_tPvRmT3_T4_T5_T6_T7_T9_mT8_P12ihipStream_tbDpT10_ENKUlT_T0_E_clISt17integral_constantIbLb1EES18_IbLb0EEEEDaS14_S15_EUlS14_E_NS1_11comp_targetILNS1_3genE10ELNS1_11target_archE1200ELNS1_3gpuE4ELNS1_3repE0EEENS1_30default_config_static_selectorELNS0_4arch9wavefront6targetE1EEEvT1_
	.p2align	8
	.type	_ZN7rocprim17ROCPRIM_400000_NS6detail17trampoline_kernelINS0_14default_configENS1_25partition_config_selectorILNS1_17partition_subalgoE0EsNS0_10empty_typeEbEEZZNS1_14partition_implILS5_0ELb0ES3_jN6thrust23THRUST_200600_302600_NS6detail15normal_iteratorINSA_10device_ptrIsEEEEPS6_SG_NS0_5tupleIJSF_NSA_16discard_iteratorINSA_11use_defaultEEEEEENSH_IJSG_SG_EEES6_PlJ7is_evenIsEEEE10hipError_tPvRmT3_T4_T5_T6_T7_T9_mT8_P12ihipStream_tbDpT10_ENKUlT_T0_E_clISt17integral_constantIbLb1EES18_IbLb0EEEEDaS14_S15_EUlS14_E_NS1_11comp_targetILNS1_3genE10ELNS1_11target_archE1200ELNS1_3gpuE4ELNS1_3repE0EEENS1_30default_config_static_selectorELNS0_4arch9wavefront6targetE1EEEvT1_,@function
_ZN7rocprim17ROCPRIM_400000_NS6detail17trampoline_kernelINS0_14default_configENS1_25partition_config_selectorILNS1_17partition_subalgoE0EsNS0_10empty_typeEbEEZZNS1_14partition_implILS5_0ELb0ES3_jN6thrust23THRUST_200600_302600_NS6detail15normal_iteratorINSA_10device_ptrIsEEEEPS6_SG_NS0_5tupleIJSF_NSA_16discard_iteratorINSA_11use_defaultEEEEEENSH_IJSG_SG_EEES6_PlJ7is_evenIsEEEE10hipError_tPvRmT3_T4_T5_T6_T7_T9_mT8_P12ihipStream_tbDpT10_ENKUlT_T0_E_clISt17integral_constantIbLb1EES18_IbLb0EEEEDaS14_S15_EUlS14_E_NS1_11comp_targetILNS1_3genE10ELNS1_11target_archE1200ELNS1_3gpuE4ELNS1_3repE0EEENS1_30default_config_static_selectorELNS0_4arch9wavefront6targetE1EEEvT1_: ; @_ZN7rocprim17ROCPRIM_400000_NS6detail17trampoline_kernelINS0_14default_configENS1_25partition_config_selectorILNS1_17partition_subalgoE0EsNS0_10empty_typeEbEEZZNS1_14partition_implILS5_0ELb0ES3_jN6thrust23THRUST_200600_302600_NS6detail15normal_iteratorINSA_10device_ptrIsEEEEPS6_SG_NS0_5tupleIJSF_NSA_16discard_iteratorINSA_11use_defaultEEEEEENSH_IJSG_SG_EEES6_PlJ7is_evenIsEEEE10hipError_tPvRmT3_T4_T5_T6_T7_T9_mT8_P12ihipStream_tbDpT10_ENKUlT_T0_E_clISt17integral_constantIbLb1EES18_IbLb0EEEEDaS14_S15_EUlS14_E_NS1_11comp_targetILNS1_3genE10ELNS1_11target_archE1200ELNS1_3gpuE4ELNS1_3repE0EEENS1_30default_config_static_selectorELNS0_4arch9wavefront6targetE1EEEvT1_
; %bb.0:
	.section	.rodata,"a",@progbits
	.p2align	6, 0x0
	.amdhsa_kernel _ZN7rocprim17ROCPRIM_400000_NS6detail17trampoline_kernelINS0_14default_configENS1_25partition_config_selectorILNS1_17partition_subalgoE0EsNS0_10empty_typeEbEEZZNS1_14partition_implILS5_0ELb0ES3_jN6thrust23THRUST_200600_302600_NS6detail15normal_iteratorINSA_10device_ptrIsEEEEPS6_SG_NS0_5tupleIJSF_NSA_16discard_iteratorINSA_11use_defaultEEEEEENSH_IJSG_SG_EEES6_PlJ7is_evenIsEEEE10hipError_tPvRmT3_T4_T5_T6_T7_T9_mT8_P12ihipStream_tbDpT10_ENKUlT_T0_E_clISt17integral_constantIbLb1EES18_IbLb0EEEEDaS14_S15_EUlS14_E_NS1_11comp_targetILNS1_3genE10ELNS1_11target_archE1200ELNS1_3gpuE4ELNS1_3repE0EEENS1_30default_config_static_selectorELNS0_4arch9wavefront6targetE1EEEvT1_
		.amdhsa_group_segment_fixed_size 0
		.amdhsa_private_segment_fixed_size 0
		.amdhsa_kernarg_size 128
		.amdhsa_user_sgpr_count 6
		.amdhsa_user_sgpr_private_segment_buffer 1
		.amdhsa_user_sgpr_dispatch_ptr 0
		.amdhsa_user_sgpr_queue_ptr 0
		.amdhsa_user_sgpr_kernarg_segment_ptr 1
		.amdhsa_user_sgpr_dispatch_id 0
		.amdhsa_user_sgpr_flat_scratch_init 0
		.amdhsa_user_sgpr_kernarg_preload_length 0
		.amdhsa_user_sgpr_kernarg_preload_offset 0
		.amdhsa_user_sgpr_private_segment_size 0
		.amdhsa_uses_dynamic_stack 0
		.amdhsa_system_sgpr_private_segment_wavefront_offset 0
		.amdhsa_system_sgpr_workgroup_id_x 1
		.amdhsa_system_sgpr_workgroup_id_y 0
		.amdhsa_system_sgpr_workgroup_id_z 0
		.amdhsa_system_sgpr_workgroup_info 0
		.amdhsa_system_vgpr_workitem_id 0
		.amdhsa_next_free_vgpr 1
		.amdhsa_next_free_sgpr 0
		.amdhsa_accum_offset 4
		.amdhsa_reserve_vcc 0
		.amdhsa_reserve_flat_scratch 0
		.amdhsa_float_round_mode_32 0
		.amdhsa_float_round_mode_16_64 0
		.amdhsa_float_denorm_mode_32 3
		.amdhsa_float_denorm_mode_16_64 3
		.amdhsa_dx10_clamp 1
		.amdhsa_ieee_mode 1
		.amdhsa_fp16_overflow 0
		.amdhsa_tg_split 0
		.amdhsa_exception_fp_ieee_invalid_op 0
		.amdhsa_exception_fp_denorm_src 0
		.amdhsa_exception_fp_ieee_div_zero 0
		.amdhsa_exception_fp_ieee_overflow 0
		.amdhsa_exception_fp_ieee_underflow 0
		.amdhsa_exception_fp_ieee_inexact 0
		.amdhsa_exception_int_div_zero 0
	.end_amdhsa_kernel
	.section	.text._ZN7rocprim17ROCPRIM_400000_NS6detail17trampoline_kernelINS0_14default_configENS1_25partition_config_selectorILNS1_17partition_subalgoE0EsNS0_10empty_typeEbEEZZNS1_14partition_implILS5_0ELb0ES3_jN6thrust23THRUST_200600_302600_NS6detail15normal_iteratorINSA_10device_ptrIsEEEEPS6_SG_NS0_5tupleIJSF_NSA_16discard_iteratorINSA_11use_defaultEEEEEENSH_IJSG_SG_EEES6_PlJ7is_evenIsEEEE10hipError_tPvRmT3_T4_T5_T6_T7_T9_mT8_P12ihipStream_tbDpT10_ENKUlT_T0_E_clISt17integral_constantIbLb1EES18_IbLb0EEEEDaS14_S15_EUlS14_E_NS1_11comp_targetILNS1_3genE10ELNS1_11target_archE1200ELNS1_3gpuE4ELNS1_3repE0EEENS1_30default_config_static_selectorELNS0_4arch9wavefront6targetE1EEEvT1_,"axG",@progbits,_ZN7rocprim17ROCPRIM_400000_NS6detail17trampoline_kernelINS0_14default_configENS1_25partition_config_selectorILNS1_17partition_subalgoE0EsNS0_10empty_typeEbEEZZNS1_14partition_implILS5_0ELb0ES3_jN6thrust23THRUST_200600_302600_NS6detail15normal_iteratorINSA_10device_ptrIsEEEEPS6_SG_NS0_5tupleIJSF_NSA_16discard_iteratorINSA_11use_defaultEEEEEENSH_IJSG_SG_EEES6_PlJ7is_evenIsEEEE10hipError_tPvRmT3_T4_T5_T6_T7_T9_mT8_P12ihipStream_tbDpT10_ENKUlT_T0_E_clISt17integral_constantIbLb1EES18_IbLb0EEEEDaS14_S15_EUlS14_E_NS1_11comp_targetILNS1_3genE10ELNS1_11target_archE1200ELNS1_3gpuE4ELNS1_3repE0EEENS1_30default_config_static_selectorELNS0_4arch9wavefront6targetE1EEEvT1_,comdat
.Lfunc_end2832:
	.size	_ZN7rocprim17ROCPRIM_400000_NS6detail17trampoline_kernelINS0_14default_configENS1_25partition_config_selectorILNS1_17partition_subalgoE0EsNS0_10empty_typeEbEEZZNS1_14partition_implILS5_0ELb0ES3_jN6thrust23THRUST_200600_302600_NS6detail15normal_iteratorINSA_10device_ptrIsEEEEPS6_SG_NS0_5tupleIJSF_NSA_16discard_iteratorINSA_11use_defaultEEEEEENSH_IJSG_SG_EEES6_PlJ7is_evenIsEEEE10hipError_tPvRmT3_T4_T5_T6_T7_T9_mT8_P12ihipStream_tbDpT10_ENKUlT_T0_E_clISt17integral_constantIbLb1EES18_IbLb0EEEEDaS14_S15_EUlS14_E_NS1_11comp_targetILNS1_3genE10ELNS1_11target_archE1200ELNS1_3gpuE4ELNS1_3repE0EEENS1_30default_config_static_selectorELNS0_4arch9wavefront6targetE1EEEvT1_, .Lfunc_end2832-_ZN7rocprim17ROCPRIM_400000_NS6detail17trampoline_kernelINS0_14default_configENS1_25partition_config_selectorILNS1_17partition_subalgoE0EsNS0_10empty_typeEbEEZZNS1_14partition_implILS5_0ELb0ES3_jN6thrust23THRUST_200600_302600_NS6detail15normal_iteratorINSA_10device_ptrIsEEEEPS6_SG_NS0_5tupleIJSF_NSA_16discard_iteratorINSA_11use_defaultEEEEEENSH_IJSG_SG_EEES6_PlJ7is_evenIsEEEE10hipError_tPvRmT3_T4_T5_T6_T7_T9_mT8_P12ihipStream_tbDpT10_ENKUlT_T0_E_clISt17integral_constantIbLb1EES18_IbLb0EEEEDaS14_S15_EUlS14_E_NS1_11comp_targetILNS1_3genE10ELNS1_11target_archE1200ELNS1_3gpuE4ELNS1_3repE0EEENS1_30default_config_static_selectorELNS0_4arch9wavefront6targetE1EEEvT1_
                                        ; -- End function
	.section	.AMDGPU.csdata,"",@progbits
; Kernel info:
; codeLenInByte = 0
; NumSgprs: 4
; NumVgprs: 0
; NumAgprs: 0
; TotalNumVgprs: 0
; ScratchSize: 0
; MemoryBound: 0
; FloatMode: 240
; IeeeMode: 1
; LDSByteSize: 0 bytes/workgroup (compile time only)
; SGPRBlocks: 0
; VGPRBlocks: 0
; NumSGPRsForWavesPerEU: 4
; NumVGPRsForWavesPerEU: 1
; AccumOffset: 4
; Occupancy: 8
; WaveLimiterHint : 0
; COMPUTE_PGM_RSRC2:SCRATCH_EN: 0
; COMPUTE_PGM_RSRC2:USER_SGPR: 6
; COMPUTE_PGM_RSRC2:TRAP_HANDLER: 0
; COMPUTE_PGM_RSRC2:TGID_X_EN: 1
; COMPUTE_PGM_RSRC2:TGID_Y_EN: 0
; COMPUTE_PGM_RSRC2:TGID_Z_EN: 0
; COMPUTE_PGM_RSRC2:TIDIG_COMP_CNT: 0
; COMPUTE_PGM_RSRC3_GFX90A:ACCUM_OFFSET: 0
; COMPUTE_PGM_RSRC3_GFX90A:TG_SPLIT: 0
	.section	.text._ZN7rocprim17ROCPRIM_400000_NS6detail17trampoline_kernelINS0_14default_configENS1_25partition_config_selectorILNS1_17partition_subalgoE0EsNS0_10empty_typeEbEEZZNS1_14partition_implILS5_0ELb0ES3_jN6thrust23THRUST_200600_302600_NS6detail15normal_iteratorINSA_10device_ptrIsEEEEPS6_SG_NS0_5tupleIJSF_NSA_16discard_iteratorINSA_11use_defaultEEEEEENSH_IJSG_SG_EEES6_PlJ7is_evenIsEEEE10hipError_tPvRmT3_T4_T5_T6_T7_T9_mT8_P12ihipStream_tbDpT10_ENKUlT_T0_E_clISt17integral_constantIbLb1EES18_IbLb0EEEEDaS14_S15_EUlS14_E_NS1_11comp_targetILNS1_3genE9ELNS1_11target_archE1100ELNS1_3gpuE3ELNS1_3repE0EEENS1_30default_config_static_selectorELNS0_4arch9wavefront6targetE1EEEvT1_,"axG",@progbits,_ZN7rocprim17ROCPRIM_400000_NS6detail17trampoline_kernelINS0_14default_configENS1_25partition_config_selectorILNS1_17partition_subalgoE0EsNS0_10empty_typeEbEEZZNS1_14partition_implILS5_0ELb0ES3_jN6thrust23THRUST_200600_302600_NS6detail15normal_iteratorINSA_10device_ptrIsEEEEPS6_SG_NS0_5tupleIJSF_NSA_16discard_iteratorINSA_11use_defaultEEEEEENSH_IJSG_SG_EEES6_PlJ7is_evenIsEEEE10hipError_tPvRmT3_T4_T5_T6_T7_T9_mT8_P12ihipStream_tbDpT10_ENKUlT_T0_E_clISt17integral_constantIbLb1EES18_IbLb0EEEEDaS14_S15_EUlS14_E_NS1_11comp_targetILNS1_3genE9ELNS1_11target_archE1100ELNS1_3gpuE3ELNS1_3repE0EEENS1_30default_config_static_selectorELNS0_4arch9wavefront6targetE1EEEvT1_,comdat
	.protected	_ZN7rocprim17ROCPRIM_400000_NS6detail17trampoline_kernelINS0_14default_configENS1_25partition_config_selectorILNS1_17partition_subalgoE0EsNS0_10empty_typeEbEEZZNS1_14partition_implILS5_0ELb0ES3_jN6thrust23THRUST_200600_302600_NS6detail15normal_iteratorINSA_10device_ptrIsEEEEPS6_SG_NS0_5tupleIJSF_NSA_16discard_iteratorINSA_11use_defaultEEEEEENSH_IJSG_SG_EEES6_PlJ7is_evenIsEEEE10hipError_tPvRmT3_T4_T5_T6_T7_T9_mT8_P12ihipStream_tbDpT10_ENKUlT_T0_E_clISt17integral_constantIbLb1EES18_IbLb0EEEEDaS14_S15_EUlS14_E_NS1_11comp_targetILNS1_3genE9ELNS1_11target_archE1100ELNS1_3gpuE3ELNS1_3repE0EEENS1_30default_config_static_selectorELNS0_4arch9wavefront6targetE1EEEvT1_ ; -- Begin function _ZN7rocprim17ROCPRIM_400000_NS6detail17trampoline_kernelINS0_14default_configENS1_25partition_config_selectorILNS1_17partition_subalgoE0EsNS0_10empty_typeEbEEZZNS1_14partition_implILS5_0ELb0ES3_jN6thrust23THRUST_200600_302600_NS6detail15normal_iteratorINSA_10device_ptrIsEEEEPS6_SG_NS0_5tupleIJSF_NSA_16discard_iteratorINSA_11use_defaultEEEEEENSH_IJSG_SG_EEES6_PlJ7is_evenIsEEEE10hipError_tPvRmT3_T4_T5_T6_T7_T9_mT8_P12ihipStream_tbDpT10_ENKUlT_T0_E_clISt17integral_constantIbLb1EES18_IbLb0EEEEDaS14_S15_EUlS14_E_NS1_11comp_targetILNS1_3genE9ELNS1_11target_archE1100ELNS1_3gpuE3ELNS1_3repE0EEENS1_30default_config_static_selectorELNS0_4arch9wavefront6targetE1EEEvT1_
	.globl	_ZN7rocprim17ROCPRIM_400000_NS6detail17trampoline_kernelINS0_14default_configENS1_25partition_config_selectorILNS1_17partition_subalgoE0EsNS0_10empty_typeEbEEZZNS1_14partition_implILS5_0ELb0ES3_jN6thrust23THRUST_200600_302600_NS6detail15normal_iteratorINSA_10device_ptrIsEEEEPS6_SG_NS0_5tupleIJSF_NSA_16discard_iteratorINSA_11use_defaultEEEEEENSH_IJSG_SG_EEES6_PlJ7is_evenIsEEEE10hipError_tPvRmT3_T4_T5_T6_T7_T9_mT8_P12ihipStream_tbDpT10_ENKUlT_T0_E_clISt17integral_constantIbLb1EES18_IbLb0EEEEDaS14_S15_EUlS14_E_NS1_11comp_targetILNS1_3genE9ELNS1_11target_archE1100ELNS1_3gpuE3ELNS1_3repE0EEENS1_30default_config_static_selectorELNS0_4arch9wavefront6targetE1EEEvT1_
	.p2align	8
	.type	_ZN7rocprim17ROCPRIM_400000_NS6detail17trampoline_kernelINS0_14default_configENS1_25partition_config_selectorILNS1_17partition_subalgoE0EsNS0_10empty_typeEbEEZZNS1_14partition_implILS5_0ELb0ES3_jN6thrust23THRUST_200600_302600_NS6detail15normal_iteratorINSA_10device_ptrIsEEEEPS6_SG_NS0_5tupleIJSF_NSA_16discard_iteratorINSA_11use_defaultEEEEEENSH_IJSG_SG_EEES6_PlJ7is_evenIsEEEE10hipError_tPvRmT3_T4_T5_T6_T7_T9_mT8_P12ihipStream_tbDpT10_ENKUlT_T0_E_clISt17integral_constantIbLb1EES18_IbLb0EEEEDaS14_S15_EUlS14_E_NS1_11comp_targetILNS1_3genE9ELNS1_11target_archE1100ELNS1_3gpuE3ELNS1_3repE0EEENS1_30default_config_static_selectorELNS0_4arch9wavefront6targetE1EEEvT1_,@function
_ZN7rocprim17ROCPRIM_400000_NS6detail17trampoline_kernelINS0_14default_configENS1_25partition_config_selectorILNS1_17partition_subalgoE0EsNS0_10empty_typeEbEEZZNS1_14partition_implILS5_0ELb0ES3_jN6thrust23THRUST_200600_302600_NS6detail15normal_iteratorINSA_10device_ptrIsEEEEPS6_SG_NS0_5tupleIJSF_NSA_16discard_iteratorINSA_11use_defaultEEEEEENSH_IJSG_SG_EEES6_PlJ7is_evenIsEEEE10hipError_tPvRmT3_T4_T5_T6_T7_T9_mT8_P12ihipStream_tbDpT10_ENKUlT_T0_E_clISt17integral_constantIbLb1EES18_IbLb0EEEEDaS14_S15_EUlS14_E_NS1_11comp_targetILNS1_3genE9ELNS1_11target_archE1100ELNS1_3gpuE3ELNS1_3repE0EEENS1_30default_config_static_selectorELNS0_4arch9wavefront6targetE1EEEvT1_: ; @_ZN7rocprim17ROCPRIM_400000_NS6detail17trampoline_kernelINS0_14default_configENS1_25partition_config_selectorILNS1_17partition_subalgoE0EsNS0_10empty_typeEbEEZZNS1_14partition_implILS5_0ELb0ES3_jN6thrust23THRUST_200600_302600_NS6detail15normal_iteratorINSA_10device_ptrIsEEEEPS6_SG_NS0_5tupleIJSF_NSA_16discard_iteratorINSA_11use_defaultEEEEEENSH_IJSG_SG_EEES6_PlJ7is_evenIsEEEE10hipError_tPvRmT3_T4_T5_T6_T7_T9_mT8_P12ihipStream_tbDpT10_ENKUlT_T0_E_clISt17integral_constantIbLb1EES18_IbLb0EEEEDaS14_S15_EUlS14_E_NS1_11comp_targetILNS1_3genE9ELNS1_11target_archE1100ELNS1_3gpuE3ELNS1_3repE0EEENS1_30default_config_static_selectorELNS0_4arch9wavefront6targetE1EEEvT1_
; %bb.0:
	.section	.rodata,"a",@progbits
	.p2align	6, 0x0
	.amdhsa_kernel _ZN7rocprim17ROCPRIM_400000_NS6detail17trampoline_kernelINS0_14default_configENS1_25partition_config_selectorILNS1_17partition_subalgoE0EsNS0_10empty_typeEbEEZZNS1_14partition_implILS5_0ELb0ES3_jN6thrust23THRUST_200600_302600_NS6detail15normal_iteratorINSA_10device_ptrIsEEEEPS6_SG_NS0_5tupleIJSF_NSA_16discard_iteratorINSA_11use_defaultEEEEEENSH_IJSG_SG_EEES6_PlJ7is_evenIsEEEE10hipError_tPvRmT3_T4_T5_T6_T7_T9_mT8_P12ihipStream_tbDpT10_ENKUlT_T0_E_clISt17integral_constantIbLb1EES18_IbLb0EEEEDaS14_S15_EUlS14_E_NS1_11comp_targetILNS1_3genE9ELNS1_11target_archE1100ELNS1_3gpuE3ELNS1_3repE0EEENS1_30default_config_static_selectorELNS0_4arch9wavefront6targetE1EEEvT1_
		.amdhsa_group_segment_fixed_size 0
		.amdhsa_private_segment_fixed_size 0
		.amdhsa_kernarg_size 128
		.amdhsa_user_sgpr_count 6
		.amdhsa_user_sgpr_private_segment_buffer 1
		.amdhsa_user_sgpr_dispatch_ptr 0
		.amdhsa_user_sgpr_queue_ptr 0
		.amdhsa_user_sgpr_kernarg_segment_ptr 1
		.amdhsa_user_sgpr_dispatch_id 0
		.amdhsa_user_sgpr_flat_scratch_init 0
		.amdhsa_user_sgpr_kernarg_preload_length 0
		.amdhsa_user_sgpr_kernarg_preload_offset 0
		.amdhsa_user_sgpr_private_segment_size 0
		.amdhsa_uses_dynamic_stack 0
		.amdhsa_system_sgpr_private_segment_wavefront_offset 0
		.amdhsa_system_sgpr_workgroup_id_x 1
		.amdhsa_system_sgpr_workgroup_id_y 0
		.amdhsa_system_sgpr_workgroup_id_z 0
		.amdhsa_system_sgpr_workgroup_info 0
		.amdhsa_system_vgpr_workitem_id 0
		.amdhsa_next_free_vgpr 1
		.amdhsa_next_free_sgpr 0
		.amdhsa_accum_offset 4
		.amdhsa_reserve_vcc 0
		.amdhsa_reserve_flat_scratch 0
		.amdhsa_float_round_mode_32 0
		.amdhsa_float_round_mode_16_64 0
		.amdhsa_float_denorm_mode_32 3
		.amdhsa_float_denorm_mode_16_64 3
		.amdhsa_dx10_clamp 1
		.amdhsa_ieee_mode 1
		.amdhsa_fp16_overflow 0
		.amdhsa_tg_split 0
		.amdhsa_exception_fp_ieee_invalid_op 0
		.amdhsa_exception_fp_denorm_src 0
		.amdhsa_exception_fp_ieee_div_zero 0
		.amdhsa_exception_fp_ieee_overflow 0
		.amdhsa_exception_fp_ieee_underflow 0
		.amdhsa_exception_fp_ieee_inexact 0
		.amdhsa_exception_int_div_zero 0
	.end_amdhsa_kernel
	.section	.text._ZN7rocprim17ROCPRIM_400000_NS6detail17trampoline_kernelINS0_14default_configENS1_25partition_config_selectorILNS1_17partition_subalgoE0EsNS0_10empty_typeEbEEZZNS1_14partition_implILS5_0ELb0ES3_jN6thrust23THRUST_200600_302600_NS6detail15normal_iteratorINSA_10device_ptrIsEEEEPS6_SG_NS0_5tupleIJSF_NSA_16discard_iteratorINSA_11use_defaultEEEEEENSH_IJSG_SG_EEES6_PlJ7is_evenIsEEEE10hipError_tPvRmT3_T4_T5_T6_T7_T9_mT8_P12ihipStream_tbDpT10_ENKUlT_T0_E_clISt17integral_constantIbLb1EES18_IbLb0EEEEDaS14_S15_EUlS14_E_NS1_11comp_targetILNS1_3genE9ELNS1_11target_archE1100ELNS1_3gpuE3ELNS1_3repE0EEENS1_30default_config_static_selectorELNS0_4arch9wavefront6targetE1EEEvT1_,"axG",@progbits,_ZN7rocprim17ROCPRIM_400000_NS6detail17trampoline_kernelINS0_14default_configENS1_25partition_config_selectorILNS1_17partition_subalgoE0EsNS0_10empty_typeEbEEZZNS1_14partition_implILS5_0ELb0ES3_jN6thrust23THRUST_200600_302600_NS6detail15normal_iteratorINSA_10device_ptrIsEEEEPS6_SG_NS0_5tupleIJSF_NSA_16discard_iteratorINSA_11use_defaultEEEEEENSH_IJSG_SG_EEES6_PlJ7is_evenIsEEEE10hipError_tPvRmT3_T4_T5_T6_T7_T9_mT8_P12ihipStream_tbDpT10_ENKUlT_T0_E_clISt17integral_constantIbLb1EES18_IbLb0EEEEDaS14_S15_EUlS14_E_NS1_11comp_targetILNS1_3genE9ELNS1_11target_archE1100ELNS1_3gpuE3ELNS1_3repE0EEENS1_30default_config_static_selectorELNS0_4arch9wavefront6targetE1EEEvT1_,comdat
.Lfunc_end2833:
	.size	_ZN7rocprim17ROCPRIM_400000_NS6detail17trampoline_kernelINS0_14default_configENS1_25partition_config_selectorILNS1_17partition_subalgoE0EsNS0_10empty_typeEbEEZZNS1_14partition_implILS5_0ELb0ES3_jN6thrust23THRUST_200600_302600_NS6detail15normal_iteratorINSA_10device_ptrIsEEEEPS6_SG_NS0_5tupleIJSF_NSA_16discard_iteratorINSA_11use_defaultEEEEEENSH_IJSG_SG_EEES6_PlJ7is_evenIsEEEE10hipError_tPvRmT3_T4_T5_T6_T7_T9_mT8_P12ihipStream_tbDpT10_ENKUlT_T0_E_clISt17integral_constantIbLb1EES18_IbLb0EEEEDaS14_S15_EUlS14_E_NS1_11comp_targetILNS1_3genE9ELNS1_11target_archE1100ELNS1_3gpuE3ELNS1_3repE0EEENS1_30default_config_static_selectorELNS0_4arch9wavefront6targetE1EEEvT1_, .Lfunc_end2833-_ZN7rocprim17ROCPRIM_400000_NS6detail17trampoline_kernelINS0_14default_configENS1_25partition_config_selectorILNS1_17partition_subalgoE0EsNS0_10empty_typeEbEEZZNS1_14partition_implILS5_0ELb0ES3_jN6thrust23THRUST_200600_302600_NS6detail15normal_iteratorINSA_10device_ptrIsEEEEPS6_SG_NS0_5tupleIJSF_NSA_16discard_iteratorINSA_11use_defaultEEEEEENSH_IJSG_SG_EEES6_PlJ7is_evenIsEEEE10hipError_tPvRmT3_T4_T5_T6_T7_T9_mT8_P12ihipStream_tbDpT10_ENKUlT_T0_E_clISt17integral_constantIbLb1EES18_IbLb0EEEEDaS14_S15_EUlS14_E_NS1_11comp_targetILNS1_3genE9ELNS1_11target_archE1100ELNS1_3gpuE3ELNS1_3repE0EEENS1_30default_config_static_selectorELNS0_4arch9wavefront6targetE1EEEvT1_
                                        ; -- End function
	.section	.AMDGPU.csdata,"",@progbits
; Kernel info:
; codeLenInByte = 0
; NumSgprs: 4
; NumVgprs: 0
; NumAgprs: 0
; TotalNumVgprs: 0
; ScratchSize: 0
; MemoryBound: 0
; FloatMode: 240
; IeeeMode: 1
; LDSByteSize: 0 bytes/workgroup (compile time only)
; SGPRBlocks: 0
; VGPRBlocks: 0
; NumSGPRsForWavesPerEU: 4
; NumVGPRsForWavesPerEU: 1
; AccumOffset: 4
; Occupancy: 8
; WaveLimiterHint : 0
; COMPUTE_PGM_RSRC2:SCRATCH_EN: 0
; COMPUTE_PGM_RSRC2:USER_SGPR: 6
; COMPUTE_PGM_RSRC2:TRAP_HANDLER: 0
; COMPUTE_PGM_RSRC2:TGID_X_EN: 1
; COMPUTE_PGM_RSRC2:TGID_Y_EN: 0
; COMPUTE_PGM_RSRC2:TGID_Z_EN: 0
; COMPUTE_PGM_RSRC2:TIDIG_COMP_CNT: 0
; COMPUTE_PGM_RSRC3_GFX90A:ACCUM_OFFSET: 0
; COMPUTE_PGM_RSRC3_GFX90A:TG_SPLIT: 0
	.section	.text._ZN7rocprim17ROCPRIM_400000_NS6detail17trampoline_kernelINS0_14default_configENS1_25partition_config_selectorILNS1_17partition_subalgoE0EsNS0_10empty_typeEbEEZZNS1_14partition_implILS5_0ELb0ES3_jN6thrust23THRUST_200600_302600_NS6detail15normal_iteratorINSA_10device_ptrIsEEEEPS6_SG_NS0_5tupleIJSF_NSA_16discard_iteratorINSA_11use_defaultEEEEEENSH_IJSG_SG_EEES6_PlJ7is_evenIsEEEE10hipError_tPvRmT3_T4_T5_T6_T7_T9_mT8_P12ihipStream_tbDpT10_ENKUlT_T0_E_clISt17integral_constantIbLb1EES18_IbLb0EEEEDaS14_S15_EUlS14_E_NS1_11comp_targetILNS1_3genE8ELNS1_11target_archE1030ELNS1_3gpuE2ELNS1_3repE0EEENS1_30default_config_static_selectorELNS0_4arch9wavefront6targetE1EEEvT1_,"axG",@progbits,_ZN7rocprim17ROCPRIM_400000_NS6detail17trampoline_kernelINS0_14default_configENS1_25partition_config_selectorILNS1_17partition_subalgoE0EsNS0_10empty_typeEbEEZZNS1_14partition_implILS5_0ELb0ES3_jN6thrust23THRUST_200600_302600_NS6detail15normal_iteratorINSA_10device_ptrIsEEEEPS6_SG_NS0_5tupleIJSF_NSA_16discard_iteratorINSA_11use_defaultEEEEEENSH_IJSG_SG_EEES6_PlJ7is_evenIsEEEE10hipError_tPvRmT3_T4_T5_T6_T7_T9_mT8_P12ihipStream_tbDpT10_ENKUlT_T0_E_clISt17integral_constantIbLb1EES18_IbLb0EEEEDaS14_S15_EUlS14_E_NS1_11comp_targetILNS1_3genE8ELNS1_11target_archE1030ELNS1_3gpuE2ELNS1_3repE0EEENS1_30default_config_static_selectorELNS0_4arch9wavefront6targetE1EEEvT1_,comdat
	.protected	_ZN7rocprim17ROCPRIM_400000_NS6detail17trampoline_kernelINS0_14default_configENS1_25partition_config_selectorILNS1_17partition_subalgoE0EsNS0_10empty_typeEbEEZZNS1_14partition_implILS5_0ELb0ES3_jN6thrust23THRUST_200600_302600_NS6detail15normal_iteratorINSA_10device_ptrIsEEEEPS6_SG_NS0_5tupleIJSF_NSA_16discard_iteratorINSA_11use_defaultEEEEEENSH_IJSG_SG_EEES6_PlJ7is_evenIsEEEE10hipError_tPvRmT3_T4_T5_T6_T7_T9_mT8_P12ihipStream_tbDpT10_ENKUlT_T0_E_clISt17integral_constantIbLb1EES18_IbLb0EEEEDaS14_S15_EUlS14_E_NS1_11comp_targetILNS1_3genE8ELNS1_11target_archE1030ELNS1_3gpuE2ELNS1_3repE0EEENS1_30default_config_static_selectorELNS0_4arch9wavefront6targetE1EEEvT1_ ; -- Begin function _ZN7rocprim17ROCPRIM_400000_NS6detail17trampoline_kernelINS0_14default_configENS1_25partition_config_selectorILNS1_17partition_subalgoE0EsNS0_10empty_typeEbEEZZNS1_14partition_implILS5_0ELb0ES3_jN6thrust23THRUST_200600_302600_NS6detail15normal_iteratorINSA_10device_ptrIsEEEEPS6_SG_NS0_5tupleIJSF_NSA_16discard_iteratorINSA_11use_defaultEEEEEENSH_IJSG_SG_EEES6_PlJ7is_evenIsEEEE10hipError_tPvRmT3_T4_T5_T6_T7_T9_mT8_P12ihipStream_tbDpT10_ENKUlT_T0_E_clISt17integral_constantIbLb1EES18_IbLb0EEEEDaS14_S15_EUlS14_E_NS1_11comp_targetILNS1_3genE8ELNS1_11target_archE1030ELNS1_3gpuE2ELNS1_3repE0EEENS1_30default_config_static_selectorELNS0_4arch9wavefront6targetE1EEEvT1_
	.globl	_ZN7rocprim17ROCPRIM_400000_NS6detail17trampoline_kernelINS0_14default_configENS1_25partition_config_selectorILNS1_17partition_subalgoE0EsNS0_10empty_typeEbEEZZNS1_14partition_implILS5_0ELb0ES3_jN6thrust23THRUST_200600_302600_NS6detail15normal_iteratorINSA_10device_ptrIsEEEEPS6_SG_NS0_5tupleIJSF_NSA_16discard_iteratorINSA_11use_defaultEEEEEENSH_IJSG_SG_EEES6_PlJ7is_evenIsEEEE10hipError_tPvRmT3_T4_T5_T6_T7_T9_mT8_P12ihipStream_tbDpT10_ENKUlT_T0_E_clISt17integral_constantIbLb1EES18_IbLb0EEEEDaS14_S15_EUlS14_E_NS1_11comp_targetILNS1_3genE8ELNS1_11target_archE1030ELNS1_3gpuE2ELNS1_3repE0EEENS1_30default_config_static_selectorELNS0_4arch9wavefront6targetE1EEEvT1_
	.p2align	8
	.type	_ZN7rocprim17ROCPRIM_400000_NS6detail17trampoline_kernelINS0_14default_configENS1_25partition_config_selectorILNS1_17partition_subalgoE0EsNS0_10empty_typeEbEEZZNS1_14partition_implILS5_0ELb0ES3_jN6thrust23THRUST_200600_302600_NS6detail15normal_iteratorINSA_10device_ptrIsEEEEPS6_SG_NS0_5tupleIJSF_NSA_16discard_iteratorINSA_11use_defaultEEEEEENSH_IJSG_SG_EEES6_PlJ7is_evenIsEEEE10hipError_tPvRmT3_T4_T5_T6_T7_T9_mT8_P12ihipStream_tbDpT10_ENKUlT_T0_E_clISt17integral_constantIbLb1EES18_IbLb0EEEEDaS14_S15_EUlS14_E_NS1_11comp_targetILNS1_3genE8ELNS1_11target_archE1030ELNS1_3gpuE2ELNS1_3repE0EEENS1_30default_config_static_selectorELNS0_4arch9wavefront6targetE1EEEvT1_,@function
_ZN7rocprim17ROCPRIM_400000_NS6detail17trampoline_kernelINS0_14default_configENS1_25partition_config_selectorILNS1_17partition_subalgoE0EsNS0_10empty_typeEbEEZZNS1_14partition_implILS5_0ELb0ES3_jN6thrust23THRUST_200600_302600_NS6detail15normal_iteratorINSA_10device_ptrIsEEEEPS6_SG_NS0_5tupleIJSF_NSA_16discard_iteratorINSA_11use_defaultEEEEEENSH_IJSG_SG_EEES6_PlJ7is_evenIsEEEE10hipError_tPvRmT3_T4_T5_T6_T7_T9_mT8_P12ihipStream_tbDpT10_ENKUlT_T0_E_clISt17integral_constantIbLb1EES18_IbLb0EEEEDaS14_S15_EUlS14_E_NS1_11comp_targetILNS1_3genE8ELNS1_11target_archE1030ELNS1_3gpuE2ELNS1_3repE0EEENS1_30default_config_static_selectorELNS0_4arch9wavefront6targetE1EEEvT1_: ; @_ZN7rocprim17ROCPRIM_400000_NS6detail17trampoline_kernelINS0_14default_configENS1_25partition_config_selectorILNS1_17partition_subalgoE0EsNS0_10empty_typeEbEEZZNS1_14partition_implILS5_0ELb0ES3_jN6thrust23THRUST_200600_302600_NS6detail15normal_iteratorINSA_10device_ptrIsEEEEPS6_SG_NS0_5tupleIJSF_NSA_16discard_iteratorINSA_11use_defaultEEEEEENSH_IJSG_SG_EEES6_PlJ7is_evenIsEEEE10hipError_tPvRmT3_T4_T5_T6_T7_T9_mT8_P12ihipStream_tbDpT10_ENKUlT_T0_E_clISt17integral_constantIbLb1EES18_IbLb0EEEEDaS14_S15_EUlS14_E_NS1_11comp_targetILNS1_3genE8ELNS1_11target_archE1030ELNS1_3gpuE2ELNS1_3repE0EEENS1_30default_config_static_selectorELNS0_4arch9wavefront6targetE1EEEvT1_
; %bb.0:
	.section	.rodata,"a",@progbits
	.p2align	6, 0x0
	.amdhsa_kernel _ZN7rocprim17ROCPRIM_400000_NS6detail17trampoline_kernelINS0_14default_configENS1_25partition_config_selectorILNS1_17partition_subalgoE0EsNS0_10empty_typeEbEEZZNS1_14partition_implILS5_0ELb0ES3_jN6thrust23THRUST_200600_302600_NS6detail15normal_iteratorINSA_10device_ptrIsEEEEPS6_SG_NS0_5tupleIJSF_NSA_16discard_iteratorINSA_11use_defaultEEEEEENSH_IJSG_SG_EEES6_PlJ7is_evenIsEEEE10hipError_tPvRmT3_T4_T5_T6_T7_T9_mT8_P12ihipStream_tbDpT10_ENKUlT_T0_E_clISt17integral_constantIbLb1EES18_IbLb0EEEEDaS14_S15_EUlS14_E_NS1_11comp_targetILNS1_3genE8ELNS1_11target_archE1030ELNS1_3gpuE2ELNS1_3repE0EEENS1_30default_config_static_selectorELNS0_4arch9wavefront6targetE1EEEvT1_
		.amdhsa_group_segment_fixed_size 0
		.amdhsa_private_segment_fixed_size 0
		.amdhsa_kernarg_size 128
		.amdhsa_user_sgpr_count 6
		.amdhsa_user_sgpr_private_segment_buffer 1
		.amdhsa_user_sgpr_dispatch_ptr 0
		.amdhsa_user_sgpr_queue_ptr 0
		.amdhsa_user_sgpr_kernarg_segment_ptr 1
		.amdhsa_user_sgpr_dispatch_id 0
		.amdhsa_user_sgpr_flat_scratch_init 0
		.amdhsa_user_sgpr_kernarg_preload_length 0
		.amdhsa_user_sgpr_kernarg_preload_offset 0
		.amdhsa_user_sgpr_private_segment_size 0
		.amdhsa_uses_dynamic_stack 0
		.amdhsa_system_sgpr_private_segment_wavefront_offset 0
		.amdhsa_system_sgpr_workgroup_id_x 1
		.amdhsa_system_sgpr_workgroup_id_y 0
		.amdhsa_system_sgpr_workgroup_id_z 0
		.amdhsa_system_sgpr_workgroup_info 0
		.amdhsa_system_vgpr_workitem_id 0
		.amdhsa_next_free_vgpr 1
		.amdhsa_next_free_sgpr 0
		.amdhsa_accum_offset 4
		.amdhsa_reserve_vcc 0
		.amdhsa_reserve_flat_scratch 0
		.amdhsa_float_round_mode_32 0
		.amdhsa_float_round_mode_16_64 0
		.amdhsa_float_denorm_mode_32 3
		.amdhsa_float_denorm_mode_16_64 3
		.amdhsa_dx10_clamp 1
		.amdhsa_ieee_mode 1
		.amdhsa_fp16_overflow 0
		.amdhsa_tg_split 0
		.amdhsa_exception_fp_ieee_invalid_op 0
		.amdhsa_exception_fp_denorm_src 0
		.amdhsa_exception_fp_ieee_div_zero 0
		.amdhsa_exception_fp_ieee_overflow 0
		.amdhsa_exception_fp_ieee_underflow 0
		.amdhsa_exception_fp_ieee_inexact 0
		.amdhsa_exception_int_div_zero 0
	.end_amdhsa_kernel
	.section	.text._ZN7rocprim17ROCPRIM_400000_NS6detail17trampoline_kernelINS0_14default_configENS1_25partition_config_selectorILNS1_17partition_subalgoE0EsNS0_10empty_typeEbEEZZNS1_14partition_implILS5_0ELb0ES3_jN6thrust23THRUST_200600_302600_NS6detail15normal_iteratorINSA_10device_ptrIsEEEEPS6_SG_NS0_5tupleIJSF_NSA_16discard_iteratorINSA_11use_defaultEEEEEENSH_IJSG_SG_EEES6_PlJ7is_evenIsEEEE10hipError_tPvRmT3_T4_T5_T6_T7_T9_mT8_P12ihipStream_tbDpT10_ENKUlT_T0_E_clISt17integral_constantIbLb1EES18_IbLb0EEEEDaS14_S15_EUlS14_E_NS1_11comp_targetILNS1_3genE8ELNS1_11target_archE1030ELNS1_3gpuE2ELNS1_3repE0EEENS1_30default_config_static_selectorELNS0_4arch9wavefront6targetE1EEEvT1_,"axG",@progbits,_ZN7rocprim17ROCPRIM_400000_NS6detail17trampoline_kernelINS0_14default_configENS1_25partition_config_selectorILNS1_17partition_subalgoE0EsNS0_10empty_typeEbEEZZNS1_14partition_implILS5_0ELb0ES3_jN6thrust23THRUST_200600_302600_NS6detail15normal_iteratorINSA_10device_ptrIsEEEEPS6_SG_NS0_5tupleIJSF_NSA_16discard_iteratorINSA_11use_defaultEEEEEENSH_IJSG_SG_EEES6_PlJ7is_evenIsEEEE10hipError_tPvRmT3_T4_T5_T6_T7_T9_mT8_P12ihipStream_tbDpT10_ENKUlT_T0_E_clISt17integral_constantIbLb1EES18_IbLb0EEEEDaS14_S15_EUlS14_E_NS1_11comp_targetILNS1_3genE8ELNS1_11target_archE1030ELNS1_3gpuE2ELNS1_3repE0EEENS1_30default_config_static_selectorELNS0_4arch9wavefront6targetE1EEEvT1_,comdat
.Lfunc_end2834:
	.size	_ZN7rocprim17ROCPRIM_400000_NS6detail17trampoline_kernelINS0_14default_configENS1_25partition_config_selectorILNS1_17partition_subalgoE0EsNS0_10empty_typeEbEEZZNS1_14partition_implILS5_0ELb0ES3_jN6thrust23THRUST_200600_302600_NS6detail15normal_iteratorINSA_10device_ptrIsEEEEPS6_SG_NS0_5tupleIJSF_NSA_16discard_iteratorINSA_11use_defaultEEEEEENSH_IJSG_SG_EEES6_PlJ7is_evenIsEEEE10hipError_tPvRmT3_T4_T5_T6_T7_T9_mT8_P12ihipStream_tbDpT10_ENKUlT_T0_E_clISt17integral_constantIbLb1EES18_IbLb0EEEEDaS14_S15_EUlS14_E_NS1_11comp_targetILNS1_3genE8ELNS1_11target_archE1030ELNS1_3gpuE2ELNS1_3repE0EEENS1_30default_config_static_selectorELNS0_4arch9wavefront6targetE1EEEvT1_, .Lfunc_end2834-_ZN7rocprim17ROCPRIM_400000_NS6detail17trampoline_kernelINS0_14default_configENS1_25partition_config_selectorILNS1_17partition_subalgoE0EsNS0_10empty_typeEbEEZZNS1_14partition_implILS5_0ELb0ES3_jN6thrust23THRUST_200600_302600_NS6detail15normal_iteratorINSA_10device_ptrIsEEEEPS6_SG_NS0_5tupleIJSF_NSA_16discard_iteratorINSA_11use_defaultEEEEEENSH_IJSG_SG_EEES6_PlJ7is_evenIsEEEE10hipError_tPvRmT3_T4_T5_T6_T7_T9_mT8_P12ihipStream_tbDpT10_ENKUlT_T0_E_clISt17integral_constantIbLb1EES18_IbLb0EEEEDaS14_S15_EUlS14_E_NS1_11comp_targetILNS1_3genE8ELNS1_11target_archE1030ELNS1_3gpuE2ELNS1_3repE0EEENS1_30default_config_static_selectorELNS0_4arch9wavefront6targetE1EEEvT1_
                                        ; -- End function
	.section	.AMDGPU.csdata,"",@progbits
; Kernel info:
; codeLenInByte = 0
; NumSgprs: 4
; NumVgprs: 0
; NumAgprs: 0
; TotalNumVgprs: 0
; ScratchSize: 0
; MemoryBound: 0
; FloatMode: 240
; IeeeMode: 1
; LDSByteSize: 0 bytes/workgroup (compile time only)
; SGPRBlocks: 0
; VGPRBlocks: 0
; NumSGPRsForWavesPerEU: 4
; NumVGPRsForWavesPerEU: 1
; AccumOffset: 4
; Occupancy: 8
; WaveLimiterHint : 0
; COMPUTE_PGM_RSRC2:SCRATCH_EN: 0
; COMPUTE_PGM_RSRC2:USER_SGPR: 6
; COMPUTE_PGM_RSRC2:TRAP_HANDLER: 0
; COMPUTE_PGM_RSRC2:TGID_X_EN: 1
; COMPUTE_PGM_RSRC2:TGID_Y_EN: 0
; COMPUTE_PGM_RSRC2:TGID_Z_EN: 0
; COMPUTE_PGM_RSRC2:TIDIG_COMP_CNT: 0
; COMPUTE_PGM_RSRC3_GFX90A:ACCUM_OFFSET: 0
; COMPUTE_PGM_RSRC3_GFX90A:TG_SPLIT: 0
	.section	.text._ZN7rocprim17ROCPRIM_400000_NS6detail17trampoline_kernelINS0_14default_configENS1_25partition_config_selectorILNS1_17partition_subalgoE0EsNS0_10empty_typeEbEEZZNS1_14partition_implILS5_0ELb0ES3_jN6thrust23THRUST_200600_302600_NS6detail15normal_iteratorINSA_10device_ptrIsEEEEPS6_SG_NS0_5tupleIJSF_NSA_16discard_iteratorINSA_11use_defaultEEEEEENSH_IJSG_SG_EEES6_PlJ7is_evenIsEEEE10hipError_tPvRmT3_T4_T5_T6_T7_T9_mT8_P12ihipStream_tbDpT10_ENKUlT_T0_E_clISt17integral_constantIbLb0EES18_IbLb1EEEEDaS14_S15_EUlS14_E_NS1_11comp_targetILNS1_3genE0ELNS1_11target_archE4294967295ELNS1_3gpuE0ELNS1_3repE0EEENS1_30default_config_static_selectorELNS0_4arch9wavefront6targetE1EEEvT1_,"axG",@progbits,_ZN7rocprim17ROCPRIM_400000_NS6detail17trampoline_kernelINS0_14default_configENS1_25partition_config_selectorILNS1_17partition_subalgoE0EsNS0_10empty_typeEbEEZZNS1_14partition_implILS5_0ELb0ES3_jN6thrust23THRUST_200600_302600_NS6detail15normal_iteratorINSA_10device_ptrIsEEEEPS6_SG_NS0_5tupleIJSF_NSA_16discard_iteratorINSA_11use_defaultEEEEEENSH_IJSG_SG_EEES6_PlJ7is_evenIsEEEE10hipError_tPvRmT3_T4_T5_T6_T7_T9_mT8_P12ihipStream_tbDpT10_ENKUlT_T0_E_clISt17integral_constantIbLb0EES18_IbLb1EEEEDaS14_S15_EUlS14_E_NS1_11comp_targetILNS1_3genE0ELNS1_11target_archE4294967295ELNS1_3gpuE0ELNS1_3repE0EEENS1_30default_config_static_selectorELNS0_4arch9wavefront6targetE1EEEvT1_,comdat
	.protected	_ZN7rocprim17ROCPRIM_400000_NS6detail17trampoline_kernelINS0_14default_configENS1_25partition_config_selectorILNS1_17partition_subalgoE0EsNS0_10empty_typeEbEEZZNS1_14partition_implILS5_0ELb0ES3_jN6thrust23THRUST_200600_302600_NS6detail15normal_iteratorINSA_10device_ptrIsEEEEPS6_SG_NS0_5tupleIJSF_NSA_16discard_iteratorINSA_11use_defaultEEEEEENSH_IJSG_SG_EEES6_PlJ7is_evenIsEEEE10hipError_tPvRmT3_T4_T5_T6_T7_T9_mT8_P12ihipStream_tbDpT10_ENKUlT_T0_E_clISt17integral_constantIbLb0EES18_IbLb1EEEEDaS14_S15_EUlS14_E_NS1_11comp_targetILNS1_3genE0ELNS1_11target_archE4294967295ELNS1_3gpuE0ELNS1_3repE0EEENS1_30default_config_static_selectorELNS0_4arch9wavefront6targetE1EEEvT1_ ; -- Begin function _ZN7rocprim17ROCPRIM_400000_NS6detail17trampoline_kernelINS0_14default_configENS1_25partition_config_selectorILNS1_17partition_subalgoE0EsNS0_10empty_typeEbEEZZNS1_14partition_implILS5_0ELb0ES3_jN6thrust23THRUST_200600_302600_NS6detail15normal_iteratorINSA_10device_ptrIsEEEEPS6_SG_NS0_5tupleIJSF_NSA_16discard_iteratorINSA_11use_defaultEEEEEENSH_IJSG_SG_EEES6_PlJ7is_evenIsEEEE10hipError_tPvRmT3_T4_T5_T6_T7_T9_mT8_P12ihipStream_tbDpT10_ENKUlT_T0_E_clISt17integral_constantIbLb0EES18_IbLb1EEEEDaS14_S15_EUlS14_E_NS1_11comp_targetILNS1_3genE0ELNS1_11target_archE4294967295ELNS1_3gpuE0ELNS1_3repE0EEENS1_30default_config_static_selectorELNS0_4arch9wavefront6targetE1EEEvT1_
	.globl	_ZN7rocprim17ROCPRIM_400000_NS6detail17trampoline_kernelINS0_14default_configENS1_25partition_config_selectorILNS1_17partition_subalgoE0EsNS0_10empty_typeEbEEZZNS1_14partition_implILS5_0ELb0ES3_jN6thrust23THRUST_200600_302600_NS6detail15normal_iteratorINSA_10device_ptrIsEEEEPS6_SG_NS0_5tupleIJSF_NSA_16discard_iteratorINSA_11use_defaultEEEEEENSH_IJSG_SG_EEES6_PlJ7is_evenIsEEEE10hipError_tPvRmT3_T4_T5_T6_T7_T9_mT8_P12ihipStream_tbDpT10_ENKUlT_T0_E_clISt17integral_constantIbLb0EES18_IbLb1EEEEDaS14_S15_EUlS14_E_NS1_11comp_targetILNS1_3genE0ELNS1_11target_archE4294967295ELNS1_3gpuE0ELNS1_3repE0EEENS1_30default_config_static_selectorELNS0_4arch9wavefront6targetE1EEEvT1_
	.p2align	8
	.type	_ZN7rocprim17ROCPRIM_400000_NS6detail17trampoline_kernelINS0_14default_configENS1_25partition_config_selectorILNS1_17partition_subalgoE0EsNS0_10empty_typeEbEEZZNS1_14partition_implILS5_0ELb0ES3_jN6thrust23THRUST_200600_302600_NS6detail15normal_iteratorINSA_10device_ptrIsEEEEPS6_SG_NS0_5tupleIJSF_NSA_16discard_iteratorINSA_11use_defaultEEEEEENSH_IJSG_SG_EEES6_PlJ7is_evenIsEEEE10hipError_tPvRmT3_T4_T5_T6_T7_T9_mT8_P12ihipStream_tbDpT10_ENKUlT_T0_E_clISt17integral_constantIbLb0EES18_IbLb1EEEEDaS14_S15_EUlS14_E_NS1_11comp_targetILNS1_3genE0ELNS1_11target_archE4294967295ELNS1_3gpuE0ELNS1_3repE0EEENS1_30default_config_static_selectorELNS0_4arch9wavefront6targetE1EEEvT1_,@function
_ZN7rocprim17ROCPRIM_400000_NS6detail17trampoline_kernelINS0_14default_configENS1_25partition_config_selectorILNS1_17partition_subalgoE0EsNS0_10empty_typeEbEEZZNS1_14partition_implILS5_0ELb0ES3_jN6thrust23THRUST_200600_302600_NS6detail15normal_iteratorINSA_10device_ptrIsEEEEPS6_SG_NS0_5tupleIJSF_NSA_16discard_iteratorINSA_11use_defaultEEEEEENSH_IJSG_SG_EEES6_PlJ7is_evenIsEEEE10hipError_tPvRmT3_T4_T5_T6_T7_T9_mT8_P12ihipStream_tbDpT10_ENKUlT_T0_E_clISt17integral_constantIbLb0EES18_IbLb1EEEEDaS14_S15_EUlS14_E_NS1_11comp_targetILNS1_3genE0ELNS1_11target_archE4294967295ELNS1_3gpuE0ELNS1_3repE0EEENS1_30default_config_static_selectorELNS0_4arch9wavefront6targetE1EEEvT1_: ; @_ZN7rocprim17ROCPRIM_400000_NS6detail17trampoline_kernelINS0_14default_configENS1_25partition_config_selectorILNS1_17partition_subalgoE0EsNS0_10empty_typeEbEEZZNS1_14partition_implILS5_0ELb0ES3_jN6thrust23THRUST_200600_302600_NS6detail15normal_iteratorINSA_10device_ptrIsEEEEPS6_SG_NS0_5tupleIJSF_NSA_16discard_iteratorINSA_11use_defaultEEEEEENSH_IJSG_SG_EEES6_PlJ7is_evenIsEEEE10hipError_tPvRmT3_T4_T5_T6_T7_T9_mT8_P12ihipStream_tbDpT10_ENKUlT_T0_E_clISt17integral_constantIbLb0EES18_IbLb1EEEEDaS14_S15_EUlS14_E_NS1_11comp_targetILNS1_3genE0ELNS1_11target_archE4294967295ELNS1_3gpuE0ELNS1_3repE0EEENS1_30default_config_static_selectorELNS0_4arch9wavefront6targetE1EEEvT1_
; %bb.0:
	.section	.rodata,"a",@progbits
	.p2align	6, 0x0
	.amdhsa_kernel _ZN7rocprim17ROCPRIM_400000_NS6detail17trampoline_kernelINS0_14default_configENS1_25partition_config_selectorILNS1_17partition_subalgoE0EsNS0_10empty_typeEbEEZZNS1_14partition_implILS5_0ELb0ES3_jN6thrust23THRUST_200600_302600_NS6detail15normal_iteratorINSA_10device_ptrIsEEEEPS6_SG_NS0_5tupleIJSF_NSA_16discard_iteratorINSA_11use_defaultEEEEEENSH_IJSG_SG_EEES6_PlJ7is_evenIsEEEE10hipError_tPvRmT3_T4_T5_T6_T7_T9_mT8_P12ihipStream_tbDpT10_ENKUlT_T0_E_clISt17integral_constantIbLb0EES18_IbLb1EEEEDaS14_S15_EUlS14_E_NS1_11comp_targetILNS1_3genE0ELNS1_11target_archE4294967295ELNS1_3gpuE0ELNS1_3repE0EEENS1_30default_config_static_selectorELNS0_4arch9wavefront6targetE1EEEvT1_
		.amdhsa_group_segment_fixed_size 0
		.amdhsa_private_segment_fixed_size 0
		.amdhsa_kernarg_size 144
		.amdhsa_user_sgpr_count 6
		.amdhsa_user_sgpr_private_segment_buffer 1
		.amdhsa_user_sgpr_dispatch_ptr 0
		.amdhsa_user_sgpr_queue_ptr 0
		.amdhsa_user_sgpr_kernarg_segment_ptr 1
		.amdhsa_user_sgpr_dispatch_id 0
		.amdhsa_user_sgpr_flat_scratch_init 0
		.amdhsa_user_sgpr_kernarg_preload_length 0
		.amdhsa_user_sgpr_kernarg_preload_offset 0
		.amdhsa_user_sgpr_private_segment_size 0
		.amdhsa_uses_dynamic_stack 0
		.amdhsa_system_sgpr_private_segment_wavefront_offset 0
		.amdhsa_system_sgpr_workgroup_id_x 1
		.amdhsa_system_sgpr_workgroup_id_y 0
		.amdhsa_system_sgpr_workgroup_id_z 0
		.amdhsa_system_sgpr_workgroup_info 0
		.amdhsa_system_vgpr_workitem_id 0
		.amdhsa_next_free_vgpr 1
		.amdhsa_next_free_sgpr 0
		.amdhsa_accum_offset 4
		.amdhsa_reserve_vcc 0
		.amdhsa_reserve_flat_scratch 0
		.amdhsa_float_round_mode_32 0
		.amdhsa_float_round_mode_16_64 0
		.amdhsa_float_denorm_mode_32 3
		.amdhsa_float_denorm_mode_16_64 3
		.amdhsa_dx10_clamp 1
		.amdhsa_ieee_mode 1
		.amdhsa_fp16_overflow 0
		.amdhsa_tg_split 0
		.amdhsa_exception_fp_ieee_invalid_op 0
		.amdhsa_exception_fp_denorm_src 0
		.amdhsa_exception_fp_ieee_div_zero 0
		.amdhsa_exception_fp_ieee_overflow 0
		.amdhsa_exception_fp_ieee_underflow 0
		.amdhsa_exception_fp_ieee_inexact 0
		.amdhsa_exception_int_div_zero 0
	.end_amdhsa_kernel
	.section	.text._ZN7rocprim17ROCPRIM_400000_NS6detail17trampoline_kernelINS0_14default_configENS1_25partition_config_selectorILNS1_17partition_subalgoE0EsNS0_10empty_typeEbEEZZNS1_14partition_implILS5_0ELb0ES3_jN6thrust23THRUST_200600_302600_NS6detail15normal_iteratorINSA_10device_ptrIsEEEEPS6_SG_NS0_5tupleIJSF_NSA_16discard_iteratorINSA_11use_defaultEEEEEENSH_IJSG_SG_EEES6_PlJ7is_evenIsEEEE10hipError_tPvRmT3_T4_T5_T6_T7_T9_mT8_P12ihipStream_tbDpT10_ENKUlT_T0_E_clISt17integral_constantIbLb0EES18_IbLb1EEEEDaS14_S15_EUlS14_E_NS1_11comp_targetILNS1_3genE0ELNS1_11target_archE4294967295ELNS1_3gpuE0ELNS1_3repE0EEENS1_30default_config_static_selectorELNS0_4arch9wavefront6targetE1EEEvT1_,"axG",@progbits,_ZN7rocprim17ROCPRIM_400000_NS6detail17trampoline_kernelINS0_14default_configENS1_25partition_config_selectorILNS1_17partition_subalgoE0EsNS0_10empty_typeEbEEZZNS1_14partition_implILS5_0ELb0ES3_jN6thrust23THRUST_200600_302600_NS6detail15normal_iteratorINSA_10device_ptrIsEEEEPS6_SG_NS0_5tupleIJSF_NSA_16discard_iteratorINSA_11use_defaultEEEEEENSH_IJSG_SG_EEES6_PlJ7is_evenIsEEEE10hipError_tPvRmT3_T4_T5_T6_T7_T9_mT8_P12ihipStream_tbDpT10_ENKUlT_T0_E_clISt17integral_constantIbLb0EES18_IbLb1EEEEDaS14_S15_EUlS14_E_NS1_11comp_targetILNS1_3genE0ELNS1_11target_archE4294967295ELNS1_3gpuE0ELNS1_3repE0EEENS1_30default_config_static_selectorELNS0_4arch9wavefront6targetE1EEEvT1_,comdat
.Lfunc_end2835:
	.size	_ZN7rocprim17ROCPRIM_400000_NS6detail17trampoline_kernelINS0_14default_configENS1_25partition_config_selectorILNS1_17partition_subalgoE0EsNS0_10empty_typeEbEEZZNS1_14partition_implILS5_0ELb0ES3_jN6thrust23THRUST_200600_302600_NS6detail15normal_iteratorINSA_10device_ptrIsEEEEPS6_SG_NS0_5tupleIJSF_NSA_16discard_iteratorINSA_11use_defaultEEEEEENSH_IJSG_SG_EEES6_PlJ7is_evenIsEEEE10hipError_tPvRmT3_T4_T5_T6_T7_T9_mT8_P12ihipStream_tbDpT10_ENKUlT_T0_E_clISt17integral_constantIbLb0EES18_IbLb1EEEEDaS14_S15_EUlS14_E_NS1_11comp_targetILNS1_3genE0ELNS1_11target_archE4294967295ELNS1_3gpuE0ELNS1_3repE0EEENS1_30default_config_static_selectorELNS0_4arch9wavefront6targetE1EEEvT1_, .Lfunc_end2835-_ZN7rocprim17ROCPRIM_400000_NS6detail17trampoline_kernelINS0_14default_configENS1_25partition_config_selectorILNS1_17partition_subalgoE0EsNS0_10empty_typeEbEEZZNS1_14partition_implILS5_0ELb0ES3_jN6thrust23THRUST_200600_302600_NS6detail15normal_iteratorINSA_10device_ptrIsEEEEPS6_SG_NS0_5tupleIJSF_NSA_16discard_iteratorINSA_11use_defaultEEEEEENSH_IJSG_SG_EEES6_PlJ7is_evenIsEEEE10hipError_tPvRmT3_T4_T5_T6_T7_T9_mT8_P12ihipStream_tbDpT10_ENKUlT_T0_E_clISt17integral_constantIbLb0EES18_IbLb1EEEEDaS14_S15_EUlS14_E_NS1_11comp_targetILNS1_3genE0ELNS1_11target_archE4294967295ELNS1_3gpuE0ELNS1_3repE0EEENS1_30default_config_static_selectorELNS0_4arch9wavefront6targetE1EEEvT1_
                                        ; -- End function
	.section	.AMDGPU.csdata,"",@progbits
; Kernel info:
; codeLenInByte = 0
; NumSgprs: 4
; NumVgprs: 0
; NumAgprs: 0
; TotalNumVgprs: 0
; ScratchSize: 0
; MemoryBound: 0
; FloatMode: 240
; IeeeMode: 1
; LDSByteSize: 0 bytes/workgroup (compile time only)
; SGPRBlocks: 0
; VGPRBlocks: 0
; NumSGPRsForWavesPerEU: 4
; NumVGPRsForWavesPerEU: 1
; AccumOffset: 4
; Occupancy: 8
; WaveLimiterHint : 0
; COMPUTE_PGM_RSRC2:SCRATCH_EN: 0
; COMPUTE_PGM_RSRC2:USER_SGPR: 6
; COMPUTE_PGM_RSRC2:TRAP_HANDLER: 0
; COMPUTE_PGM_RSRC2:TGID_X_EN: 1
; COMPUTE_PGM_RSRC2:TGID_Y_EN: 0
; COMPUTE_PGM_RSRC2:TGID_Z_EN: 0
; COMPUTE_PGM_RSRC2:TIDIG_COMP_CNT: 0
; COMPUTE_PGM_RSRC3_GFX90A:ACCUM_OFFSET: 0
; COMPUTE_PGM_RSRC3_GFX90A:TG_SPLIT: 0
	.section	.text._ZN7rocprim17ROCPRIM_400000_NS6detail17trampoline_kernelINS0_14default_configENS1_25partition_config_selectorILNS1_17partition_subalgoE0EsNS0_10empty_typeEbEEZZNS1_14partition_implILS5_0ELb0ES3_jN6thrust23THRUST_200600_302600_NS6detail15normal_iteratorINSA_10device_ptrIsEEEEPS6_SG_NS0_5tupleIJSF_NSA_16discard_iteratorINSA_11use_defaultEEEEEENSH_IJSG_SG_EEES6_PlJ7is_evenIsEEEE10hipError_tPvRmT3_T4_T5_T6_T7_T9_mT8_P12ihipStream_tbDpT10_ENKUlT_T0_E_clISt17integral_constantIbLb0EES18_IbLb1EEEEDaS14_S15_EUlS14_E_NS1_11comp_targetILNS1_3genE5ELNS1_11target_archE942ELNS1_3gpuE9ELNS1_3repE0EEENS1_30default_config_static_selectorELNS0_4arch9wavefront6targetE1EEEvT1_,"axG",@progbits,_ZN7rocprim17ROCPRIM_400000_NS6detail17trampoline_kernelINS0_14default_configENS1_25partition_config_selectorILNS1_17partition_subalgoE0EsNS0_10empty_typeEbEEZZNS1_14partition_implILS5_0ELb0ES3_jN6thrust23THRUST_200600_302600_NS6detail15normal_iteratorINSA_10device_ptrIsEEEEPS6_SG_NS0_5tupleIJSF_NSA_16discard_iteratorINSA_11use_defaultEEEEEENSH_IJSG_SG_EEES6_PlJ7is_evenIsEEEE10hipError_tPvRmT3_T4_T5_T6_T7_T9_mT8_P12ihipStream_tbDpT10_ENKUlT_T0_E_clISt17integral_constantIbLb0EES18_IbLb1EEEEDaS14_S15_EUlS14_E_NS1_11comp_targetILNS1_3genE5ELNS1_11target_archE942ELNS1_3gpuE9ELNS1_3repE0EEENS1_30default_config_static_selectorELNS0_4arch9wavefront6targetE1EEEvT1_,comdat
	.protected	_ZN7rocprim17ROCPRIM_400000_NS6detail17trampoline_kernelINS0_14default_configENS1_25partition_config_selectorILNS1_17partition_subalgoE0EsNS0_10empty_typeEbEEZZNS1_14partition_implILS5_0ELb0ES3_jN6thrust23THRUST_200600_302600_NS6detail15normal_iteratorINSA_10device_ptrIsEEEEPS6_SG_NS0_5tupleIJSF_NSA_16discard_iteratorINSA_11use_defaultEEEEEENSH_IJSG_SG_EEES6_PlJ7is_evenIsEEEE10hipError_tPvRmT3_T4_T5_T6_T7_T9_mT8_P12ihipStream_tbDpT10_ENKUlT_T0_E_clISt17integral_constantIbLb0EES18_IbLb1EEEEDaS14_S15_EUlS14_E_NS1_11comp_targetILNS1_3genE5ELNS1_11target_archE942ELNS1_3gpuE9ELNS1_3repE0EEENS1_30default_config_static_selectorELNS0_4arch9wavefront6targetE1EEEvT1_ ; -- Begin function _ZN7rocprim17ROCPRIM_400000_NS6detail17trampoline_kernelINS0_14default_configENS1_25partition_config_selectorILNS1_17partition_subalgoE0EsNS0_10empty_typeEbEEZZNS1_14partition_implILS5_0ELb0ES3_jN6thrust23THRUST_200600_302600_NS6detail15normal_iteratorINSA_10device_ptrIsEEEEPS6_SG_NS0_5tupleIJSF_NSA_16discard_iteratorINSA_11use_defaultEEEEEENSH_IJSG_SG_EEES6_PlJ7is_evenIsEEEE10hipError_tPvRmT3_T4_T5_T6_T7_T9_mT8_P12ihipStream_tbDpT10_ENKUlT_T0_E_clISt17integral_constantIbLb0EES18_IbLb1EEEEDaS14_S15_EUlS14_E_NS1_11comp_targetILNS1_3genE5ELNS1_11target_archE942ELNS1_3gpuE9ELNS1_3repE0EEENS1_30default_config_static_selectorELNS0_4arch9wavefront6targetE1EEEvT1_
	.globl	_ZN7rocprim17ROCPRIM_400000_NS6detail17trampoline_kernelINS0_14default_configENS1_25partition_config_selectorILNS1_17partition_subalgoE0EsNS0_10empty_typeEbEEZZNS1_14partition_implILS5_0ELb0ES3_jN6thrust23THRUST_200600_302600_NS6detail15normal_iteratorINSA_10device_ptrIsEEEEPS6_SG_NS0_5tupleIJSF_NSA_16discard_iteratorINSA_11use_defaultEEEEEENSH_IJSG_SG_EEES6_PlJ7is_evenIsEEEE10hipError_tPvRmT3_T4_T5_T6_T7_T9_mT8_P12ihipStream_tbDpT10_ENKUlT_T0_E_clISt17integral_constantIbLb0EES18_IbLb1EEEEDaS14_S15_EUlS14_E_NS1_11comp_targetILNS1_3genE5ELNS1_11target_archE942ELNS1_3gpuE9ELNS1_3repE0EEENS1_30default_config_static_selectorELNS0_4arch9wavefront6targetE1EEEvT1_
	.p2align	8
	.type	_ZN7rocprim17ROCPRIM_400000_NS6detail17trampoline_kernelINS0_14default_configENS1_25partition_config_selectorILNS1_17partition_subalgoE0EsNS0_10empty_typeEbEEZZNS1_14partition_implILS5_0ELb0ES3_jN6thrust23THRUST_200600_302600_NS6detail15normal_iteratorINSA_10device_ptrIsEEEEPS6_SG_NS0_5tupleIJSF_NSA_16discard_iteratorINSA_11use_defaultEEEEEENSH_IJSG_SG_EEES6_PlJ7is_evenIsEEEE10hipError_tPvRmT3_T4_T5_T6_T7_T9_mT8_P12ihipStream_tbDpT10_ENKUlT_T0_E_clISt17integral_constantIbLb0EES18_IbLb1EEEEDaS14_S15_EUlS14_E_NS1_11comp_targetILNS1_3genE5ELNS1_11target_archE942ELNS1_3gpuE9ELNS1_3repE0EEENS1_30default_config_static_selectorELNS0_4arch9wavefront6targetE1EEEvT1_,@function
_ZN7rocprim17ROCPRIM_400000_NS6detail17trampoline_kernelINS0_14default_configENS1_25partition_config_selectorILNS1_17partition_subalgoE0EsNS0_10empty_typeEbEEZZNS1_14partition_implILS5_0ELb0ES3_jN6thrust23THRUST_200600_302600_NS6detail15normal_iteratorINSA_10device_ptrIsEEEEPS6_SG_NS0_5tupleIJSF_NSA_16discard_iteratorINSA_11use_defaultEEEEEENSH_IJSG_SG_EEES6_PlJ7is_evenIsEEEE10hipError_tPvRmT3_T4_T5_T6_T7_T9_mT8_P12ihipStream_tbDpT10_ENKUlT_T0_E_clISt17integral_constantIbLb0EES18_IbLb1EEEEDaS14_S15_EUlS14_E_NS1_11comp_targetILNS1_3genE5ELNS1_11target_archE942ELNS1_3gpuE9ELNS1_3repE0EEENS1_30default_config_static_selectorELNS0_4arch9wavefront6targetE1EEEvT1_: ; @_ZN7rocprim17ROCPRIM_400000_NS6detail17trampoline_kernelINS0_14default_configENS1_25partition_config_selectorILNS1_17partition_subalgoE0EsNS0_10empty_typeEbEEZZNS1_14partition_implILS5_0ELb0ES3_jN6thrust23THRUST_200600_302600_NS6detail15normal_iteratorINSA_10device_ptrIsEEEEPS6_SG_NS0_5tupleIJSF_NSA_16discard_iteratorINSA_11use_defaultEEEEEENSH_IJSG_SG_EEES6_PlJ7is_evenIsEEEE10hipError_tPvRmT3_T4_T5_T6_T7_T9_mT8_P12ihipStream_tbDpT10_ENKUlT_T0_E_clISt17integral_constantIbLb0EES18_IbLb1EEEEDaS14_S15_EUlS14_E_NS1_11comp_targetILNS1_3genE5ELNS1_11target_archE942ELNS1_3gpuE9ELNS1_3repE0EEENS1_30default_config_static_selectorELNS0_4arch9wavefront6targetE1EEEvT1_
; %bb.0:
	.section	.rodata,"a",@progbits
	.p2align	6, 0x0
	.amdhsa_kernel _ZN7rocprim17ROCPRIM_400000_NS6detail17trampoline_kernelINS0_14default_configENS1_25partition_config_selectorILNS1_17partition_subalgoE0EsNS0_10empty_typeEbEEZZNS1_14partition_implILS5_0ELb0ES3_jN6thrust23THRUST_200600_302600_NS6detail15normal_iteratorINSA_10device_ptrIsEEEEPS6_SG_NS0_5tupleIJSF_NSA_16discard_iteratorINSA_11use_defaultEEEEEENSH_IJSG_SG_EEES6_PlJ7is_evenIsEEEE10hipError_tPvRmT3_T4_T5_T6_T7_T9_mT8_P12ihipStream_tbDpT10_ENKUlT_T0_E_clISt17integral_constantIbLb0EES18_IbLb1EEEEDaS14_S15_EUlS14_E_NS1_11comp_targetILNS1_3genE5ELNS1_11target_archE942ELNS1_3gpuE9ELNS1_3repE0EEENS1_30default_config_static_selectorELNS0_4arch9wavefront6targetE1EEEvT1_
		.amdhsa_group_segment_fixed_size 0
		.amdhsa_private_segment_fixed_size 0
		.amdhsa_kernarg_size 144
		.amdhsa_user_sgpr_count 6
		.amdhsa_user_sgpr_private_segment_buffer 1
		.amdhsa_user_sgpr_dispatch_ptr 0
		.amdhsa_user_sgpr_queue_ptr 0
		.amdhsa_user_sgpr_kernarg_segment_ptr 1
		.amdhsa_user_sgpr_dispatch_id 0
		.amdhsa_user_sgpr_flat_scratch_init 0
		.amdhsa_user_sgpr_kernarg_preload_length 0
		.amdhsa_user_sgpr_kernarg_preload_offset 0
		.amdhsa_user_sgpr_private_segment_size 0
		.amdhsa_uses_dynamic_stack 0
		.amdhsa_system_sgpr_private_segment_wavefront_offset 0
		.amdhsa_system_sgpr_workgroup_id_x 1
		.amdhsa_system_sgpr_workgroup_id_y 0
		.amdhsa_system_sgpr_workgroup_id_z 0
		.amdhsa_system_sgpr_workgroup_info 0
		.amdhsa_system_vgpr_workitem_id 0
		.amdhsa_next_free_vgpr 1
		.amdhsa_next_free_sgpr 0
		.amdhsa_accum_offset 4
		.amdhsa_reserve_vcc 0
		.amdhsa_reserve_flat_scratch 0
		.amdhsa_float_round_mode_32 0
		.amdhsa_float_round_mode_16_64 0
		.amdhsa_float_denorm_mode_32 3
		.amdhsa_float_denorm_mode_16_64 3
		.amdhsa_dx10_clamp 1
		.amdhsa_ieee_mode 1
		.amdhsa_fp16_overflow 0
		.amdhsa_tg_split 0
		.amdhsa_exception_fp_ieee_invalid_op 0
		.amdhsa_exception_fp_denorm_src 0
		.amdhsa_exception_fp_ieee_div_zero 0
		.amdhsa_exception_fp_ieee_overflow 0
		.amdhsa_exception_fp_ieee_underflow 0
		.amdhsa_exception_fp_ieee_inexact 0
		.amdhsa_exception_int_div_zero 0
	.end_amdhsa_kernel
	.section	.text._ZN7rocprim17ROCPRIM_400000_NS6detail17trampoline_kernelINS0_14default_configENS1_25partition_config_selectorILNS1_17partition_subalgoE0EsNS0_10empty_typeEbEEZZNS1_14partition_implILS5_0ELb0ES3_jN6thrust23THRUST_200600_302600_NS6detail15normal_iteratorINSA_10device_ptrIsEEEEPS6_SG_NS0_5tupleIJSF_NSA_16discard_iteratorINSA_11use_defaultEEEEEENSH_IJSG_SG_EEES6_PlJ7is_evenIsEEEE10hipError_tPvRmT3_T4_T5_T6_T7_T9_mT8_P12ihipStream_tbDpT10_ENKUlT_T0_E_clISt17integral_constantIbLb0EES18_IbLb1EEEEDaS14_S15_EUlS14_E_NS1_11comp_targetILNS1_3genE5ELNS1_11target_archE942ELNS1_3gpuE9ELNS1_3repE0EEENS1_30default_config_static_selectorELNS0_4arch9wavefront6targetE1EEEvT1_,"axG",@progbits,_ZN7rocprim17ROCPRIM_400000_NS6detail17trampoline_kernelINS0_14default_configENS1_25partition_config_selectorILNS1_17partition_subalgoE0EsNS0_10empty_typeEbEEZZNS1_14partition_implILS5_0ELb0ES3_jN6thrust23THRUST_200600_302600_NS6detail15normal_iteratorINSA_10device_ptrIsEEEEPS6_SG_NS0_5tupleIJSF_NSA_16discard_iteratorINSA_11use_defaultEEEEEENSH_IJSG_SG_EEES6_PlJ7is_evenIsEEEE10hipError_tPvRmT3_T4_T5_T6_T7_T9_mT8_P12ihipStream_tbDpT10_ENKUlT_T0_E_clISt17integral_constantIbLb0EES18_IbLb1EEEEDaS14_S15_EUlS14_E_NS1_11comp_targetILNS1_3genE5ELNS1_11target_archE942ELNS1_3gpuE9ELNS1_3repE0EEENS1_30default_config_static_selectorELNS0_4arch9wavefront6targetE1EEEvT1_,comdat
.Lfunc_end2836:
	.size	_ZN7rocprim17ROCPRIM_400000_NS6detail17trampoline_kernelINS0_14default_configENS1_25partition_config_selectorILNS1_17partition_subalgoE0EsNS0_10empty_typeEbEEZZNS1_14partition_implILS5_0ELb0ES3_jN6thrust23THRUST_200600_302600_NS6detail15normal_iteratorINSA_10device_ptrIsEEEEPS6_SG_NS0_5tupleIJSF_NSA_16discard_iteratorINSA_11use_defaultEEEEEENSH_IJSG_SG_EEES6_PlJ7is_evenIsEEEE10hipError_tPvRmT3_T4_T5_T6_T7_T9_mT8_P12ihipStream_tbDpT10_ENKUlT_T0_E_clISt17integral_constantIbLb0EES18_IbLb1EEEEDaS14_S15_EUlS14_E_NS1_11comp_targetILNS1_3genE5ELNS1_11target_archE942ELNS1_3gpuE9ELNS1_3repE0EEENS1_30default_config_static_selectorELNS0_4arch9wavefront6targetE1EEEvT1_, .Lfunc_end2836-_ZN7rocprim17ROCPRIM_400000_NS6detail17trampoline_kernelINS0_14default_configENS1_25partition_config_selectorILNS1_17partition_subalgoE0EsNS0_10empty_typeEbEEZZNS1_14partition_implILS5_0ELb0ES3_jN6thrust23THRUST_200600_302600_NS6detail15normal_iteratorINSA_10device_ptrIsEEEEPS6_SG_NS0_5tupleIJSF_NSA_16discard_iteratorINSA_11use_defaultEEEEEENSH_IJSG_SG_EEES6_PlJ7is_evenIsEEEE10hipError_tPvRmT3_T4_T5_T6_T7_T9_mT8_P12ihipStream_tbDpT10_ENKUlT_T0_E_clISt17integral_constantIbLb0EES18_IbLb1EEEEDaS14_S15_EUlS14_E_NS1_11comp_targetILNS1_3genE5ELNS1_11target_archE942ELNS1_3gpuE9ELNS1_3repE0EEENS1_30default_config_static_selectorELNS0_4arch9wavefront6targetE1EEEvT1_
                                        ; -- End function
	.section	.AMDGPU.csdata,"",@progbits
; Kernel info:
; codeLenInByte = 0
; NumSgprs: 4
; NumVgprs: 0
; NumAgprs: 0
; TotalNumVgprs: 0
; ScratchSize: 0
; MemoryBound: 0
; FloatMode: 240
; IeeeMode: 1
; LDSByteSize: 0 bytes/workgroup (compile time only)
; SGPRBlocks: 0
; VGPRBlocks: 0
; NumSGPRsForWavesPerEU: 4
; NumVGPRsForWavesPerEU: 1
; AccumOffset: 4
; Occupancy: 8
; WaveLimiterHint : 0
; COMPUTE_PGM_RSRC2:SCRATCH_EN: 0
; COMPUTE_PGM_RSRC2:USER_SGPR: 6
; COMPUTE_PGM_RSRC2:TRAP_HANDLER: 0
; COMPUTE_PGM_RSRC2:TGID_X_EN: 1
; COMPUTE_PGM_RSRC2:TGID_Y_EN: 0
; COMPUTE_PGM_RSRC2:TGID_Z_EN: 0
; COMPUTE_PGM_RSRC2:TIDIG_COMP_CNT: 0
; COMPUTE_PGM_RSRC3_GFX90A:ACCUM_OFFSET: 0
; COMPUTE_PGM_RSRC3_GFX90A:TG_SPLIT: 0
	.section	.text._ZN7rocprim17ROCPRIM_400000_NS6detail17trampoline_kernelINS0_14default_configENS1_25partition_config_selectorILNS1_17partition_subalgoE0EsNS0_10empty_typeEbEEZZNS1_14partition_implILS5_0ELb0ES3_jN6thrust23THRUST_200600_302600_NS6detail15normal_iteratorINSA_10device_ptrIsEEEEPS6_SG_NS0_5tupleIJSF_NSA_16discard_iteratorINSA_11use_defaultEEEEEENSH_IJSG_SG_EEES6_PlJ7is_evenIsEEEE10hipError_tPvRmT3_T4_T5_T6_T7_T9_mT8_P12ihipStream_tbDpT10_ENKUlT_T0_E_clISt17integral_constantIbLb0EES18_IbLb1EEEEDaS14_S15_EUlS14_E_NS1_11comp_targetILNS1_3genE4ELNS1_11target_archE910ELNS1_3gpuE8ELNS1_3repE0EEENS1_30default_config_static_selectorELNS0_4arch9wavefront6targetE1EEEvT1_,"axG",@progbits,_ZN7rocprim17ROCPRIM_400000_NS6detail17trampoline_kernelINS0_14default_configENS1_25partition_config_selectorILNS1_17partition_subalgoE0EsNS0_10empty_typeEbEEZZNS1_14partition_implILS5_0ELb0ES3_jN6thrust23THRUST_200600_302600_NS6detail15normal_iteratorINSA_10device_ptrIsEEEEPS6_SG_NS0_5tupleIJSF_NSA_16discard_iteratorINSA_11use_defaultEEEEEENSH_IJSG_SG_EEES6_PlJ7is_evenIsEEEE10hipError_tPvRmT3_T4_T5_T6_T7_T9_mT8_P12ihipStream_tbDpT10_ENKUlT_T0_E_clISt17integral_constantIbLb0EES18_IbLb1EEEEDaS14_S15_EUlS14_E_NS1_11comp_targetILNS1_3genE4ELNS1_11target_archE910ELNS1_3gpuE8ELNS1_3repE0EEENS1_30default_config_static_selectorELNS0_4arch9wavefront6targetE1EEEvT1_,comdat
	.protected	_ZN7rocprim17ROCPRIM_400000_NS6detail17trampoline_kernelINS0_14default_configENS1_25partition_config_selectorILNS1_17partition_subalgoE0EsNS0_10empty_typeEbEEZZNS1_14partition_implILS5_0ELb0ES3_jN6thrust23THRUST_200600_302600_NS6detail15normal_iteratorINSA_10device_ptrIsEEEEPS6_SG_NS0_5tupleIJSF_NSA_16discard_iteratorINSA_11use_defaultEEEEEENSH_IJSG_SG_EEES6_PlJ7is_evenIsEEEE10hipError_tPvRmT3_T4_T5_T6_T7_T9_mT8_P12ihipStream_tbDpT10_ENKUlT_T0_E_clISt17integral_constantIbLb0EES18_IbLb1EEEEDaS14_S15_EUlS14_E_NS1_11comp_targetILNS1_3genE4ELNS1_11target_archE910ELNS1_3gpuE8ELNS1_3repE0EEENS1_30default_config_static_selectorELNS0_4arch9wavefront6targetE1EEEvT1_ ; -- Begin function _ZN7rocprim17ROCPRIM_400000_NS6detail17trampoline_kernelINS0_14default_configENS1_25partition_config_selectorILNS1_17partition_subalgoE0EsNS0_10empty_typeEbEEZZNS1_14partition_implILS5_0ELb0ES3_jN6thrust23THRUST_200600_302600_NS6detail15normal_iteratorINSA_10device_ptrIsEEEEPS6_SG_NS0_5tupleIJSF_NSA_16discard_iteratorINSA_11use_defaultEEEEEENSH_IJSG_SG_EEES6_PlJ7is_evenIsEEEE10hipError_tPvRmT3_T4_T5_T6_T7_T9_mT8_P12ihipStream_tbDpT10_ENKUlT_T0_E_clISt17integral_constantIbLb0EES18_IbLb1EEEEDaS14_S15_EUlS14_E_NS1_11comp_targetILNS1_3genE4ELNS1_11target_archE910ELNS1_3gpuE8ELNS1_3repE0EEENS1_30default_config_static_selectorELNS0_4arch9wavefront6targetE1EEEvT1_
	.globl	_ZN7rocprim17ROCPRIM_400000_NS6detail17trampoline_kernelINS0_14default_configENS1_25partition_config_selectorILNS1_17partition_subalgoE0EsNS0_10empty_typeEbEEZZNS1_14partition_implILS5_0ELb0ES3_jN6thrust23THRUST_200600_302600_NS6detail15normal_iteratorINSA_10device_ptrIsEEEEPS6_SG_NS0_5tupleIJSF_NSA_16discard_iteratorINSA_11use_defaultEEEEEENSH_IJSG_SG_EEES6_PlJ7is_evenIsEEEE10hipError_tPvRmT3_T4_T5_T6_T7_T9_mT8_P12ihipStream_tbDpT10_ENKUlT_T0_E_clISt17integral_constantIbLb0EES18_IbLb1EEEEDaS14_S15_EUlS14_E_NS1_11comp_targetILNS1_3genE4ELNS1_11target_archE910ELNS1_3gpuE8ELNS1_3repE0EEENS1_30default_config_static_selectorELNS0_4arch9wavefront6targetE1EEEvT1_
	.p2align	8
	.type	_ZN7rocprim17ROCPRIM_400000_NS6detail17trampoline_kernelINS0_14default_configENS1_25partition_config_selectorILNS1_17partition_subalgoE0EsNS0_10empty_typeEbEEZZNS1_14partition_implILS5_0ELb0ES3_jN6thrust23THRUST_200600_302600_NS6detail15normal_iteratorINSA_10device_ptrIsEEEEPS6_SG_NS0_5tupleIJSF_NSA_16discard_iteratorINSA_11use_defaultEEEEEENSH_IJSG_SG_EEES6_PlJ7is_evenIsEEEE10hipError_tPvRmT3_T4_T5_T6_T7_T9_mT8_P12ihipStream_tbDpT10_ENKUlT_T0_E_clISt17integral_constantIbLb0EES18_IbLb1EEEEDaS14_S15_EUlS14_E_NS1_11comp_targetILNS1_3genE4ELNS1_11target_archE910ELNS1_3gpuE8ELNS1_3repE0EEENS1_30default_config_static_selectorELNS0_4arch9wavefront6targetE1EEEvT1_,@function
_ZN7rocprim17ROCPRIM_400000_NS6detail17trampoline_kernelINS0_14default_configENS1_25partition_config_selectorILNS1_17partition_subalgoE0EsNS0_10empty_typeEbEEZZNS1_14partition_implILS5_0ELb0ES3_jN6thrust23THRUST_200600_302600_NS6detail15normal_iteratorINSA_10device_ptrIsEEEEPS6_SG_NS0_5tupleIJSF_NSA_16discard_iteratorINSA_11use_defaultEEEEEENSH_IJSG_SG_EEES6_PlJ7is_evenIsEEEE10hipError_tPvRmT3_T4_T5_T6_T7_T9_mT8_P12ihipStream_tbDpT10_ENKUlT_T0_E_clISt17integral_constantIbLb0EES18_IbLb1EEEEDaS14_S15_EUlS14_E_NS1_11comp_targetILNS1_3genE4ELNS1_11target_archE910ELNS1_3gpuE8ELNS1_3repE0EEENS1_30default_config_static_selectorELNS0_4arch9wavefront6targetE1EEEvT1_: ; @_ZN7rocprim17ROCPRIM_400000_NS6detail17trampoline_kernelINS0_14default_configENS1_25partition_config_selectorILNS1_17partition_subalgoE0EsNS0_10empty_typeEbEEZZNS1_14partition_implILS5_0ELb0ES3_jN6thrust23THRUST_200600_302600_NS6detail15normal_iteratorINSA_10device_ptrIsEEEEPS6_SG_NS0_5tupleIJSF_NSA_16discard_iteratorINSA_11use_defaultEEEEEENSH_IJSG_SG_EEES6_PlJ7is_evenIsEEEE10hipError_tPvRmT3_T4_T5_T6_T7_T9_mT8_P12ihipStream_tbDpT10_ENKUlT_T0_E_clISt17integral_constantIbLb0EES18_IbLb1EEEEDaS14_S15_EUlS14_E_NS1_11comp_targetILNS1_3genE4ELNS1_11target_archE910ELNS1_3gpuE8ELNS1_3repE0EEENS1_30default_config_static_selectorELNS0_4arch9wavefront6targetE1EEEvT1_
; %bb.0:
	s_load_dwordx2 s[24:25], s[4:5], 0x28
	s_load_dwordx4 s[20:23], s[4:5], 0x50
	s_load_dwordx2 s[2:3], s[4:5], 0x60
	s_load_dwordx2 s[26:27], s[4:5], 0x70
	v_cmp_eq_u32_e64 s[0:1], 0, v0
	s_and_saveexec_b64 s[6:7], s[0:1]
	s_cbranch_execz .LBB2837_4
; %bb.1:
	s_mov_b64 s[10:11], exec
	v_mbcnt_lo_u32_b32 v1, s10, 0
	v_mbcnt_hi_u32_b32 v1, s11, v1
	v_cmp_eq_u32_e32 vcc, 0, v1
                                        ; implicit-def: $vgpr2
	s_and_saveexec_b64 s[8:9], vcc
	s_cbranch_execz .LBB2837_3
; %bb.2:
	s_load_dwordx2 s[12:13], s[4:5], 0x80
	s_bcnt1_i32_b64 s10, s[10:11]
	v_mov_b32_e32 v2, 0
	v_mov_b32_e32 v3, s10
	s_waitcnt lgkmcnt(0)
	global_atomic_add v2, v2, v3, s[12:13] glc
.LBB2837_3:
	s_or_b64 exec, exec, s[8:9]
	s_waitcnt vmcnt(0)
	v_readfirstlane_b32 s8, v2
	v_add_u32_e32 v1, s8, v1
	v_mov_b32_e32 v2, 0
	ds_write_b32 v2, v1
.LBB2837_4:
	s_or_b64 exec, exec, s[6:7]
	v_mov_b32_e32 v3, 0
	s_load_dwordx4 s[8:11], s[4:5], 0x8
	s_load_dword s6, s[4:5], 0x78
	s_waitcnt lgkmcnt(0)
	s_barrier
	ds_read_b32 v1, v3
	s_waitcnt lgkmcnt(0)
	s_barrier
	global_load_dwordx2 v[14:15], v3, s[22:23]
	v_mov_b32_e32 v5, s3
	s_lshl_b64 s[4:5], s[10:11], 1
	s_movk_i32 s3, 0x1c00
	s_add_u32 s7, s8, s4
	v_mul_lo_u32 v2, v1, s3
	s_mul_i32 s3, s6, 0x1c00
	s_addc_u32 s8, s9, s5
	s_add_i32 s5, s3, s10
	s_add_i32 s4, s6, -1
	s_sub_i32 s33, s2, s5
	v_mov_b32_e32 v4, s2
	s_add_u32 s2, s10, s3
	v_readfirstlane_b32 s36, v1
	s_addc_u32 s3, s11, 0
	s_cmp_eq_u32 s36, s4
	s_cselect_b64 s[22:23], -1, 0
	s_cmp_lg_u32 s36, s4
	v_cmp_lt_u64_e32 vcc, s[2:3], v[4:5]
	s_cselect_b64 s[2:3], -1, 0
	v_lshlrev_b64 v[2:3], 1, v[2:3]
	s_or_b64 s[4:5], vcc, s[2:3]
	v_mov_b32_e32 v1, s8
	v_add_co_u32_e32 v2, vcc, s7, v2
	v_addc_co_u32_e32 v3, vcc, v1, v3, vcc
	s_mov_b64 s[2:3], -1
	s_and_b64 vcc, exec, s[4:5]
	v_lshlrev_b32_e32 v1, 1, v0
	s_cbranch_vccz .LBB2837_6
; %bb.5:
	v_add_co_u32_e32 v4, vcc, v2, v1
	v_addc_co_u32_e32 v5, vcc, 0, v3, vcc
	v_add_co_u32_e32 v6, vcc, 0x1000, v4
	v_addc_co_u32_e32 v7, vcc, 0, v5, vcc
	flat_load_ushort v8, v[4:5]
	flat_load_ushort v9, v[4:5] offset:512
	flat_load_ushort v10, v[4:5] offset:1024
	;; [unrolled: 1-line block ×7, first 2 shown]
	flat_load_ushort v18, v[6:7]
	flat_load_ushort v19, v[6:7] offset:512
	flat_load_ushort v20, v[6:7] offset:1024
	;; [unrolled: 1-line block ×7, first 2 shown]
	v_add_co_u32_e32 v6, vcc, 0x2000, v4
	v_addc_co_u32_e32 v7, vcc, 0, v5, vcc
	v_add_co_u32_e32 v4, vcc, 0x3000, v4
	v_addc_co_u32_e32 v5, vcc, 0, v5, vcc
	flat_load_ushort v26, v[6:7]
	flat_load_ushort v27, v[6:7] offset:512
	flat_load_ushort v28, v[6:7] offset:1024
	;; [unrolled: 1-line block ×7, first 2 shown]
	s_nop 0
	flat_load_ushort v6, v[4:5]
	flat_load_ushort v7, v[4:5] offset:512
	flat_load_ushort v34, v[4:5] offset:1024
	;; [unrolled: 1-line block ×3, first 2 shown]
	s_mov_b64 s[2:3], 0
	s_waitcnt vmcnt(0) lgkmcnt(0)
	ds_write_b16 v1, v8
	ds_write_b16 v1, v9 offset:512
	ds_write_b16 v1, v10 offset:1024
	;; [unrolled: 1-line block ×27, first 2 shown]
	s_waitcnt lgkmcnt(0)
	s_barrier
.LBB2837_6:
	s_andn2_b64 vcc, exec, s[2:3]
	s_addk_i32 s33, 0x1c00
	s_cbranch_vccnz .LBB2837_64
; %bb.7:
	v_cmp_gt_u32_e32 vcc, s33, v0
                                        ; implicit-def: $vgpr4
	s_and_saveexec_b64 s[2:3], vcc
	s_cbranch_execz .LBB2837_9
; %bb.8:
	v_add_co_u32_e32 v4, vcc, v2, v1
	v_addc_co_u32_e32 v5, vcc, 0, v3, vcc
	flat_load_ushort v4, v[4:5]
.LBB2837_9:
	s_or_b64 exec, exec, s[2:3]
	v_or_b32_e32 v5, 0x100, v0
	v_cmp_gt_u32_e32 vcc, s33, v5
                                        ; implicit-def: $vgpr5
	s_and_saveexec_b64 s[2:3], vcc
	s_cbranch_execz .LBB2837_11
; %bb.10:
	v_add_co_u32_e32 v6, vcc, v2, v1
	v_addc_co_u32_e32 v7, vcc, 0, v3, vcc
	flat_load_ushort v5, v[6:7] offset:512
.LBB2837_11:
	s_or_b64 exec, exec, s[2:3]
	v_or_b32_e32 v6, 0x200, v0
	v_cmp_gt_u32_e32 vcc, s33, v6
                                        ; implicit-def: $vgpr6
	s_and_saveexec_b64 s[2:3], vcc
	s_cbranch_execz .LBB2837_13
; %bb.12:
	v_add_co_u32_e32 v6, vcc, v2, v1
	v_addc_co_u32_e32 v7, vcc, 0, v3, vcc
	flat_load_ushort v6, v[6:7] offset:1024
.LBB2837_13:
	s_or_b64 exec, exec, s[2:3]
	v_or_b32_e32 v7, 0x300, v0
	v_cmp_gt_u32_e32 vcc, s33, v7
                                        ; implicit-def: $vgpr7
	s_and_saveexec_b64 s[2:3], vcc
	s_cbranch_execz .LBB2837_15
; %bb.14:
	v_add_co_u32_e32 v8, vcc, v2, v1
	v_addc_co_u32_e32 v9, vcc, 0, v3, vcc
	flat_load_ushort v7, v[8:9] offset:1536
.LBB2837_15:
	s_or_b64 exec, exec, s[2:3]
	v_or_b32_e32 v8, 0x400, v0
	v_cmp_gt_u32_e32 vcc, s33, v8
                                        ; implicit-def: $vgpr8
	s_and_saveexec_b64 s[2:3], vcc
	s_cbranch_execz .LBB2837_17
; %bb.16:
	v_add_co_u32_e32 v8, vcc, v2, v1
	v_addc_co_u32_e32 v9, vcc, 0, v3, vcc
	flat_load_ushort v8, v[8:9] offset:2048
.LBB2837_17:
	s_or_b64 exec, exec, s[2:3]
	v_or_b32_e32 v9, 0x500, v0
	v_cmp_gt_u32_e32 vcc, s33, v9
                                        ; implicit-def: $vgpr9
	s_and_saveexec_b64 s[2:3], vcc
	s_cbranch_execz .LBB2837_19
; %bb.18:
	v_add_co_u32_e32 v10, vcc, v2, v1
	v_addc_co_u32_e32 v11, vcc, 0, v3, vcc
	flat_load_ushort v9, v[10:11] offset:2560
.LBB2837_19:
	s_or_b64 exec, exec, s[2:3]
	v_or_b32_e32 v10, 0x600, v0
	v_cmp_gt_u32_e32 vcc, s33, v10
                                        ; implicit-def: $vgpr10
	s_and_saveexec_b64 s[2:3], vcc
	s_cbranch_execz .LBB2837_21
; %bb.20:
	v_add_co_u32_e32 v10, vcc, v2, v1
	v_addc_co_u32_e32 v11, vcc, 0, v3, vcc
	flat_load_ushort v10, v[10:11] offset:3072
.LBB2837_21:
	s_or_b64 exec, exec, s[2:3]
	v_or_b32_e32 v11, 0x700, v0
	v_cmp_gt_u32_e32 vcc, s33, v11
                                        ; implicit-def: $vgpr11
	s_and_saveexec_b64 s[2:3], vcc
	s_cbranch_execz .LBB2837_23
; %bb.22:
	v_add_co_u32_e32 v12, vcc, v2, v1
	v_addc_co_u32_e32 v13, vcc, 0, v3, vcc
	flat_load_ushort v11, v[12:13] offset:3584
.LBB2837_23:
	s_or_b64 exec, exec, s[2:3]
	v_or_b32_e32 v13, 0x800, v0
	v_cmp_gt_u32_e32 vcc, s33, v13
                                        ; implicit-def: $vgpr12
	s_and_saveexec_b64 s[2:3], vcc
	s_cbranch_execz .LBB2837_25
; %bb.24:
	v_lshlrev_b32_e32 v12, 1, v13
	v_add_co_u32_e32 v12, vcc, v2, v12
	v_addc_co_u32_e32 v13, vcc, 0, v3, vcc
	flat_load_ushort v12, v[12:13]
.LBB2837_25:
	s_or_b64 exec, exec, s[2:3]
	v_or_b32_e32 v16, 0x900, v0
	v_cmp_gt_u32_e32 vcc, s33, v16
                                        ; implicit-def: $vgpr13
	s_and_saveexec_b64 s[2:3], vcc
	s_cbranch_execz .LBB2837_27
; %bb.26:
	v_lshlrev_b32_e32 v13, 1, v16
	v_add_co_u32_e32 v16, vcc, v2, v13
	v_addc_co_u32_e32 v17, vcc, 0, v3, vcc
	flat_load_ushort v13, v[16:17]
.LBB2837_27:
	s_or_b64 exec, exec, s[2:3]
	v_or_b32_e32 v17, 0xa00, v0
	v_cmp_gt_u32_e32 vcc, s33, v17
                                        ; implicit-def: $vgpr16
	s_and_saveexec_b64 s[2:3], vcc
	s_cbranch_execz .LBB2837_29
; %bb.28:
	v_lshlrev_b32_e32 v16, 1, v17
	v_add_co_u32_e32 v16, vcc, v2, v16
	v_addc_co_u32_e32 v17, vcc, 0, v3, vcc
	flat_load_ushort v16, v[16:17]
.LBB2837_29:
	s_or_b64 exec, exec, s[2:3]
	v_or_b32_e32 v18, 0xb00, v0
	v_cmp_gt_u32_e32 vcc, s33, v18
                                        ; implicit-def: $vgpr17
	s_and_saveexec_b64 s[2:3], vcc
	s_cbranch_execz .LBB2837_31
; %bb.30:
	v_lshlrev_b32_e32 v17, 1, v18
	v_add_co_u32_e32 v18, vcc, v2, v17
	v_addc_co_u32_e32 v19, vcc, 0, v3, vcc
	flat_load_ushort v17, v[18:19]
.LBB2837_31:
	s_or_b64 exec, exec, s[2:3]
	v_or_b32_e32 v19, 0xc00, v0
	v_cmp_gt_u32_e32 vcc, s33, v19
                                        ; implicit-def: $vgpr18
	s_and_saveexec_b64 s[2:3], vcc
	s_cbranch_execz .LBB2837_33
; %bb.32:
	v_lshlrev_b32_e32 v18, 1, v19
	v_add_co_u32_e32 v18, vcc, v2, v18
	v_addc_co_u32_e32 v19, vcc, 0, v3, vcc
	flat_load_ushort v18, v[18:19]
.LBB2837_33:
	s_or_b64 exec, exec, s[2:3]
	v_or_b32_e32 v20, 0xd00, v0
	v_cmp_gt_u32_e32 vcc, s33, v20
                                        ; implicit-def: $vgpr19
	s_and_saveexec_b64 s[2:3], vcc
	s_cbranch_execz .LBB2837_35
; %bb.34:
	v_lshlrev_b32_e32 v19, 1, v20
	v_add_co_u32_e32 v20, vcc, v2, v19
	v_addc_co_u32_e32 v21, vcc, 0, v3, vcc
	flat_load_ushort v19, v[20:21]
.LBB2837_35:
	s_or_b64 exec, exec, s[2:3]
	v_or_b32_e32 v21, 0xe00, v0
	v_cmp_gt_u32_e32 vcc, s33, v21
                                        ; implicit-def: $vgpr20
	s_and_saveexec_b64 s[2:3], vcc
	s_cbranch_execz .LBB2837_37
; %bb.36:
	v_lshlrev_b32_e32 v20, 1, v21
	v_add_co_u32_e32 v20, vcc, v2, v20
	v_addc_co_u32_e32 v21, vcc, 0, v3, vcc
	flat_load_ushort v20, v[20:21]
.LBB2837_37:
	s_or_b64 exec, exec, s[2:3]
	v_or_b32_e32 v22, 0xf00, v0
	v_cmp_gt_u32_e32 vcc, s33, v22
                                        ; implicit-def: $vgpr21
	s_and_saveexec_b64 s[2:3], vcc
	s_cbranch_execz .LBB2837_39
; %bb.38:
	v_lshlrev_b32_e32 v21, 1, v22
	v_add_co_u32_e32 v22, vcc, v2, v21
	v_addc_co_u32_e32 v23, vcc, 0, v3, vcc
	flat_load_ushort v21, v[22:23]
.LBB2837_39:
	s_or_b64 exec, exec, s[2:3]
	v_or_b32_e32 v23, 0x1000, v0
	v_cmp_gt_u32_e32 vcc, s33, v23
                                        ; implicit-def: $vgpr22
	s_and_saveexec_b64 s[2:3], vcc
	s_cbranch_execz .LBB2837_41
; %bb.40:
	v_lshlrev_b32_e32 v22, 1, v23
	v_add_co_u32_e32 v22, vcc, v2, v22
	v_addc_co_u32_e32 v23, vcc, 0, v3, vcc
	flat_load_ushort v22, v[22:23]
.LBB2837_41:
	s_or_b64 exec, exec, s[2:3]
	v_or_b32_e32 v24, 0x1100, v0
	v_cmp_gt_u32_e32 vcc, s33, v24
                                        ; implicit-def: $vgpr23
	s_and_saveexec_b64 s[2:3], vcc
	s_cbranch_execz .LBB2837_43
; %bb.42:
	v_lshlrev_b32_e32 v23, 1, v24
	v_add_co_u32_e32 v24, vcc, v2, v23
	v_addc_co_u32_e32 v25, vcc, 0, v3, vcc
	flat_load_ushort v23, v[24:25]
.LBB2837_43:
	s_or_b64 exec, exec, s[2:3]
	v_or_b32_e32 v25, 0x1200, v0
	v_cmp_gt_u32_e32 vcc, s33, v25
                                        ; implicit-def: $vgpr24
	s_and_saveexec_b64 s[2:3], vcc
	s_cbranch_execz .LBB2837_45
; %bb.44:
	v_lshlrev_b32_e32 v24, 1, v25
	v_add_co_u32_e32 v24, vcc, v2, v24
	v_addc_co_u32_e32 v25, vcc, 0, v3, vcc
	flat_load_ushort v24, v[24:25]
.LBB2837_45:
	s_or_b64 exec, exec, s[2:3]
	v_or_b32_e32 v26, 0x1300, v0
	v_cmp_gt_u32_e32 vcc, s33, v26
                                        ; implicit-def: $vgpr25
	s_and_saveexec_b64 s[2:3], vcc
	s_cbranch_execz .LBB2837_47
; %bb.46:
	v_lshlrev_b32_e32 v25, 1, v26
	v_add_co_u32_e32 v26, vcc, v2, v25
	v_addc_co_u32_e32 v27, vcc, 0, v3, vcc
	flat_load_ushort v25, v[26:27]
.LBB2837_47:
	s_or_b64 exec, exec, s[2:3]
	v_or_b32_e32 v27, 0x1400, v0
	v_cmp_gt_u32_e32 vcc, s33, v27
                                        ; implicit-def: $vgpr26
	s_and_saveexec_b64 s[2:3], vcc
	s_cbranch_execz .LBB2837_49
; %bb.48:
	v_lshlrev_b32_e32 v26, 1, v27
	v_add_co_u32_e32 v26, vcc, v2, v26
	v_addc_co_u32_e32 v27, vcc, 0, v3, vcc
	flat_load_ushort v26, v[26:27]
.LBB2837_49:
	s_or_b64 exec, exec, s[2:3]
	v_or_b32_e32 v28, 0x1500, v0
	v_cmp_gt_u32_e32 vcc, s33, v28
                                        ; implicit-def: $vgpr27
	s_and_saveexec_b64 s[2:3], vcc
	s_cbranch_execz .LBB2837_51
; %bb.50:
	v_lshlrev_b32_e32 v27, 1, v28
	v_add_co_u32_e32 v28, vcc, v2, v27
	v_addc_co_u32_e32 v29, vcc, 0, v3, vcc
	flat_load_ushort v27, v[28:29]
.LBB2837_51:
	s_or_b64 exec, exec, s[2:3]
	v_or_b32_e32 v29, 0x1600, v0
	v_cmp_gt_u32_e32 vcc, s33, v29
                                        ; implicit-def: $vgpr28
	s_and_saveexec_b64 s[2:3], vcc
	s_cbranch_execz .LBB2837_53
; %bb.52:
	v_lshlrev_b32_e32 v28, 1, v29
	v_add_co_u32_e32 v28, vcc, v2, v28
	v_addc_co_u32_e32 v29, vcc, 0, v3, vcc
	flat_load_ushort v28, v[28:29]
.LBB2837_53:
	s_or_b64 exec, exec, s[2:3]
	v_or_b32_e32 v30, 0x1700, v0
	v_cmp_gt_u32_e32 vcc, s33, v30
                                        ; implicit-def: $vgpr29
	s_and_saveexec_b64 s[2:3], vcc
	s_cbranch_execz .LBB2837_55
; %bb.54:
	v_lshlrev_b32_e32 v29, 1, v30
	v_add_co_u32_e32 v30, vcc, v2, v29
	v_addc_co_u32_e32 v31, vcc, 0, v3, vcc
	flat_load_ushort v29, v[30:31]
.LBB2837_55:
	s_or_b64 exec, exec, s[2:3]
	v_or_b32_e32 v31, 0x1800, v0
	v_cmp_gt_u32_e32 vcc, s33, v31
                                        ; implicit-def: $vgpr30
	s_and_saveexec_b64 s[2:3], vcc
	s_cbranch_execz .LBB2837_57
; %bb.56:
	v_lshlrev_b32_e32 v30, 1, v31
	v_add_co_u32_e32 v30, vcc, v2, v30
	v_addc_co_u32_e32 v31, vcc, 0, v3, vcc
	flat_load_ushort v30, v[30:31]
.LBB2837_57:
	s_or_b64 exec, exec, s[2:3]
	v_or_b32_e32 v32, 0x1900, v0
	v_cmp_gt_u32_e32 vcc, s33, v32
                                        ; implicit-def: $vgpr31
	s_and_saveexec_b64 s[2:3], vcc
	s_cbranch_execz .LBB2837_59
; %bb.58:
	v_lshlrev_b32_e32 v31, 1, v32
	v_add_co_u32_e32 v32, vcc, v2, v31
	v_addc_co_u32_e32 v33, vcc, 0, v3, vcc
	flat_load_ushort v31, v[32:33]
.LBB2837_59:
	s_or_b64 exec, exec, s[2:3]
	v_or_b32_e32 v33, 0x1a00, v0
	v_cmp_gt_u32_e32 vcc, s33, v33
                                        ; implicit-def: $vgpr32
	s_and_saveexec_b64 s[2:3], vcc
	s_cbranch_execz .LBB2837_61
; %bb.60:
	v_lshlrev_b32_e32 v32, 1, v33
	v_add_co_u32_e32 v32, vcc, v2, v32
	v_addc_co_u32_e32 v33, vcc, 0, v3, vcc
	flat_load_ushort v32, v[32:33]
.LBB2837_61:
	s_or_b64 exec, exec, s[2:3]
	v_or_b32_e32 v34, 0x1b00, v0
	v_cmp_gt_u32_e32 vcc, s33, v34
                                        ; implicit-def: $vgpr33
	s_and_saveexec_b64 s[2:3], vcc
	s_cbranch_execz .LBB2837_63
; %bb.62:
	v_lshlrev_b32_e32 v33, 1, v34
	v_add_co_u32_e32 v2, vcc, v2, v33
	v_addc_co_u32_e32 v3, vcc, 0, v3, vcc
	flat_load_ushort v33, v[2:3]
.LBB2837_63:
	s_or_b64 exec, exec, s[2:3]
	s_waitcnt vmcnt(0) lgkmcnt(0)
	ds_write_b16 v1, v4
	ds_write_b16 v1, v5 offset:512
	ds_write_b16 v1, v6 offset:1024
	;; [unrolled: 1-line block ×27, first 2 shown]
	s_waitcnt lgkmcnt(0)
	s_barrier
.LBB2837_64:
	v_mul_u32_u24_e32 v41, 28, v0
	v_lshlrev_b32_e32 v6, 1, v41
	ds_read_b64 v[20:21], v6 offset:48
	ds_read2_b64 v[2:5], v6 offset0:4 offset1:5
	ds_read2_b64 v[10:13], v6 offset1:1
	ds_read2_b64 v[6:9], v6 offset0:2 offset1:3
	v_cndmask_b32_e64 v16, 0, 1, s[4:5]
	s_waitcnt lgkmcnt(3)
	v_lshrrev_b32_e32 v29, 16, v20
	v_lshrrev_b32_e32 v28, 16, v21
	s_waitcnt lgkmcnt(2)
	v_lshrrev_b32_e32 v33, 16, v2
	v_lshrrev_b32_e32 v32, 16, v3
	v_lshrrev_b32_e32 v31, 16, v4
	v_lshrrev_b32_e32 v30, 16, v5
	s_waitcnt lgkmcnt(1)
	v_lshrrev_b32_e32 v42, 16, v10
	v_lshrrev_b32_e32 v40, 16, v11
	v_lshrrev_b32_e32 v39, 16, v12
	v_lshrrev_b32_e32 v38, 16, v13
	s_waitcnt lgkmcnt(0)
	v_lshrrev_b32_e32 v37, 16, v6
	v_lshrrev_b32_e32 v36, 16, v7
	v_lshrrev_b32_e32 v35, 16, v8
	v_lshrrev_b32_e32 v34, 16, v9
	v_cmp_ne_u32_e64 s[2:3], 1, v16
	s_andn2_b64 vcc, exec, s[4:5]
	v_xor_b32_e32 v88, -1, v10
	v_xor_b32_e32 v87, -1, v42
	;; [unrolled: 1-line block ×28, first 2 shown]
	s_barrier
	s_cbranch_vccnz .LBB2837_66
; %bb.65:
	v_and_b32_e32 v70, 1, v88
	v_and_b32_e32 v69, 1, v87
	;; [unrolled: 1-line block ×28, first 2 shown]
	s_cbranch_execz .LBB2837_67
	s_branch .LBB2837_68
.LBB2837_66:
                                        ; implicit-def: $vgpr70
                                        ; implicit-def: $vgpr69
                                        ; implicit-def: $vgpr68
                                        ; implicit-def: $vgpr67
                                        ; implicit-def: $vgpr66
                                        ; implicit-def: $vgpr65
                                        ; implicit-def: $vgpr64
                                        ; implicit-def: $vgpr63
                                        ; implicit-def: $vgpr62
                                        ; implicit-def: $vgpr61
                                        ; implicit-def: $vgpr60
                                        ; implicit-def: $vgpr59
                                        ; implicit-def: $vgpr58
                                        ; implicit-def: $vgpr57
                                        ; implicit-def: $vgpr56
                                        ; implicit-def: $vgpr55
                                        ; implicit-def: $vgpr54
                                        ; implicit-def: $vgpr53
                                        ; implicit-def: $vgpr52
                                        ; implicit-def: $vgpr51
                                        ; implicit-def: $vgpr50
                                        ; implicit-def: $vgpr49
                                        ; implicit-def: $vgpr48
                                        ; implicit-def: $vgpr47
                                        ; implicit-def: $vgpr46
                                        ; implicit-def: $vgpr45
                                        ; implicit-def: $vgpr43
                                        ; implicit-def: $vgpr44
.LBB2837_67:
	v_or_b32_e32 v52, 1, v41
	v_cmp_gt_u32_e32 vcc, s33, v41
	v_or_b32_e32 v53, 2, v41
	v_cndmask_b32_e64 v61, 0, 1, vcc
	v_cmp_gt_u32_e32 vcc, s33, v52
	v_or_b32_e32 v54, 3, v41
	v_cndmask_b32_e64 v52, 0, 1, vcc
	v_cmp_gt_u32_e32 vcc, s33, v53
	v_add_u32_e32 v55, 4, v41
	v_and_b32_e32 v69, v52, v87
	v_cndmask_b32_e64 v52, 0, 1, vcc
	v_cmp_gt_u32_e32 vcc, s33, v54
	v_add_u32_e32 v56, 5, v41
	v_and_b32_e32 v68, v52, v86
	;; [unrolled: 4-line block ×9, first 2 shown]
	v_and_b32_e32 v61, v52, v79
	v_cndmask_b32_e64 v52, 0, 1, vcc
	v_cmp_gt_u32_e32 vcc, s33, v90
	v_add_u32_e32 v92, 13, v41
	v_and_b32_e32 v60, v52, v78
	v_cndmask_b32_e64 v52, 0, 1, vcc
	v_cmp_gt_u32_e32 vcc, s33, v91
	v_add_u32_e32 v93, 14, v41
	;; [unrolled: 4-line block ×15, first 2 shown]
	v_and_b32_e32 v46, v22, v19
	v_cndmask_b32_e64 v19, 0, 1, vcc
	v_cmp_gt_u32_e32 vcc, s33, v43
	v_and_b32_e32 v45, v19, v18
	v_cndmask_b32_e64 v18, 0, 1, vcc
	v_cmp_gt_u32_e32 vcc, s33, v44
	v_and_b32_e32 v43, v18, v17
	v_cndmask_b32_e64 v17, 0, 1, vcc
	v_and_b32_e32 v44, v17, v16
.LBB2837_68:
	v_and_b32_e32 v95, 0xff, v46
	v_and_b32_e32 v96, 0xff, v45
	v_add_u32_sdwa v16, v43, v44 dst_sel:DWORD dst_unused:UNUSED_PAD src0_sel:BYTE_0 src1_sel:BYTE_0
	v_and_b32_e32 v93, 0xff, v48
	v_and_b32_e32 v94, 0xff, v47
	v_add3_u32 v16, v16, v96, v95
	v_and_b32_e32 v91, 0xff, v50
	v_and_b32_e32 v92, 0xff, v49
	v_add3_u32 v16, v16, v94, v93
	;; [unrolled: 3-line block ×12, first 2 shown]
	v_add3_u32 v99, v16, v72, v71
	v_mbcnt_lo_u32_b32 v16, -1, 0
	v_mbcnt_hi_u32_b32 v97, -1, v16
	v_and_b32_e32 v16, 15, v97
	v_cmp_eq_u32_e64 s[16:17], 0, v16
	v_cmp_lt_u32_e64 s[14:15], 1, v16
	v_cmp_lt_u32_e64 s[12:13], 3, v16
	;; [unrolled: 1-line block ×3, first 2 shown]
	v_and_b32_e32 v16, 16, v97
	v_cmp_eq_u32_e64 s[8:9], 0, v16
	v_or_b32_e32 v16, 63, v0
	s_cmp_lg_u32 s36, 0
	v_cmp_lt_u32_e64 s[4:5], 31, v97
	v_lshrrev_b32_e32 v98, 6, v0
	v_cmp_eq_u32_e64 s[6:7], v16, v0
	s_cbranch_scc0 .LBB2837_95
; %bb.69:
	v_mov_b32_dpp v16, v99 row_shr:1 row_mask:0xf bank_mask:0xf
	v_cndmask_b32_e64 v16, v16, 0, s[16:17]
	v_add_u32_e32 v16, v16, v99
	s_nop 1
	v_mov_b32_dpp v17, v16 row_shr:2 row_mask:0xf bank_mask:0xf
	v_cndmask_b32_e64 v17, 0, v17, s[14:15]
	v_add_u32_e32 v16, v16, v17
	s_nop 1
	;; [unrolled: 4-line block ×4, first 2 shown]
	v_mov_b32_dpp v17, v16 row_bcast:15 row_mask:0xf bank_mask:0xf
	v_cndmask_b32_e64 v17, v17, 0, s[8:9]
	v_add_u32_e32 v16, v16, v17
	s_nop 1
	v_mov_b32_dpp v17, v16 row_bcast:31 row_mask:0xf bank_mask:0xf
	v_cndmask_b32_e64 v17, 0, v17, s[4:5]
	v_add_u32_e32 v16, v16, v17
	s_and_saveexec_b64 s[18:19], s[6:7]
	s_cbranch_execz .LBB2837_71
; %bb.70:
	v_lshlrev_b32_e32 v17, 2, v98
	ds_write_b32 v17, v16
.LBB2837_71:
	s_or_b64 exec, exec, s[18:19]
	v_cmp_gt_u32_e32 vcc, 4, v0
	s_waitcnt lgkmcnt(0)
	s_barrier
	s_and_saveexec_b64 s[18:19], vcc
	s_cbranch_execz .LBB2837_73
; %bb.72:
	v_lshlrev_b32_e32 v17, 2, v0
	ds_read_b32 v18, v17
	v_and_b32_e32 v19, 3, v97
	v_cmp_ne_u32_e32 vcc, 0, v19
	s_waitcnt lgkmcnt(0)
	v_mov_b32_dpp v22, v18 row_shr:1 row_mask:0xf bank_mask:0xf
	v_cndmask_b32_e32 v22, 0, v22, vcc
	v_add_u32_e32 v18, v22, v18
	v_cmp_lt_u32_e32 vcc, 1, v19
	s_nop 0
	v_mov_b32_dpp v22, v18 row_shr:2 row_mask:0xf bank_mask:0xf
	v_cndmask_b32_e32 v19, 0, v22, vcc
	v_add_u32_e32 v18, v18, v19
	ds_write_b32 v17, v18
.LBB2837_73:
	s_or_b64 exec, exec, s[18:19]
	v_cmp_gt_u32_e32 vcc, 64, v0
	v_cmp_lt_u32_e64 s[18:19], 63, v0
	s_waitcnt lgkmcnt(0)
	s_barrier
	s_waitcnt lgkmcnt(0)
                                        ; implicit-def: $vgpr100
	s_and_saveexec_b64 s[28:29], s[18:19]
	s_cbranch_execz .LBB2837_75
; %bb.74:
	v_lshl_add_u32 v17, v98, 2, -4
	ds_read_b32 v100, v17
	s_waitcnt lgkmcnt(0)
	v_add_u32_e32 v16, v100, v16
.LBB2837_75:
	s_or_b64 exec, exec, s[28:29]
	v_add_u32_e32 v17, -1, v97
	v_and_b32_e32 v18, 64, v97
	v_cmp_lt_i32_e64 s[18:19], v17, v18
	v_cndmask_b32_e64 v17, v17, v97, s[18:19]
	v_lshlrev_b32_e32 v17, 2, v17
	ds_bpermute_b32 v101, v17, v16
	v_cmp_eq_u32_e64 s[18:19], 0, v97
	s_and_saveexec_b64 s[28:29], vcc
	s_cbranch_execz .LBB2837_94
; %bb.76:
	v_mov_b32_e32 v25, 0
	ds_read_b32 v16, v25 offset:12
	s_and_saveexec_b64 s[30:31], s[18:19]
	s_cbranch_execz .LBB2837_78
; %bb.77:
	s_add_i32 s34, s36, 64
	s_mov_b32 s35, 0
	s_lshl_b64 s[34:35], s[34:35], 3
	s_add_u32 s34, s26, s34
	v_mov_b32_e32 v17, 1
	s_addc_u32 s35, s27, s35
	s_waitcnt lgkmcnt(0)
	global_store_dwordx2 v25, v[16:17], s[34:35]
.LBB2837_78:
	s_or_b64 exec, exec, s[30:31]
	v_xad_u32 v18, v97, -1, s36
	v_add_u32_e32 v24, 64, v18
	v_lshlrev_b64 v[22:23], 3, v[24:25]
	v_mov_b32_e32 v17, s27
	v_add_co_u32_e32 v26, vcc, s26, v22
	v_addc_co_u32_e32 v27, vcc, v17, v23, vcc
	global_load_dwordx2 v[22:23], v[26:27], off glc
	s_waitcnt vmcnt(0)
	v_cmp_eq_u16_sdwa s[34:35], v23, v25 src0_sel:BYTE_0 src1_sel:DWORD
	s_and_saveexec_b64 s[30:31], s[34:35]
	s_cbranch_execz .LBB2837_82
; %bb.79:
	s_mov_b64 s[34:35], 0
	v_mov_b32_e32 v17, 0
.LBB2837_80:                            ; =>This Inner Loop Header: Depth=1
	global_load_dwordx2 v[22:23], v[26:27], off glc
	s_waitcnt vmcnt(0)
	v_cmp_ne_u16_sdwa s[38:39], v23, v17 src0_sel:BYTE_0 src1_sel:DWORD
	s_or_b64 s[34:35], s[38:39], s[34:35]
	s_andn2_b64 exec, exec, s[34:35]
	s_cbranch_execnz .LBB2837_80
; %bb.81:
	s_or_b64 exec, exec, s[34:35]
.LBB2837_82:
	s_or_b64 exec, exec, s[30:31]
	v_and_b32_e32 v103, 63, v97
	v_mov_b32_e32 v102, 2
	v_cmp_ne_u32_e32 vcc, 63, v103
	v_cmp_eq_u16_sdwa s[30:31], v23, v102 src0_sel:BYTE_0 src1_sel:DWORD
	v_lshlrev_b64 v[24:25], v97, -1
	v_addc_co_u32_e32 v26, vcc, 0, v97, vcc
	v_and_b32_e32 v17, s31, v25
	v_lshlrev_b32_e32 v104, 2, v26
	v_or_b32_e32 v17, 0x80000000, v17
	ds_bpermute_b32 v26, v104, v22
	v_and_b32_e32 v19, s30, v24
	v_ffbl_b32_e32 v17, v17
	v_add_u32_e32 v17, 32, v17
	v_ffbl_b32_e32 v19, v19
	v_min_u32_e32 v17, v19, v17
	v_cmp_lt_u32_e32 vcc, v103, v17
	s_waitcnt lgkmcnt(0)
	v_cndmask_b32_e32 v19, 0, v26, vcc
	v_cmp_gt_u32_e32 vcc, 62, v103
	v_add_u32_e32 v19, v19, v22
	v_cndmask_b32_e64 v22, 0, 1, vcc
	v_lshlrev_b32_e32 v22, 1, v22
	v_add_lshl_u32 v105, v22, v97, 2
	ds_bpermute_b32 v22, v105, v19
	v_add_u32_e32 v106, 2, v103
	v_cmp_le_u32_e32 vcc, v106, v17
	v_add_u32_e32 v108, 4, v103
	v_add_u32_e32 v110, 8, v103
	s_waitcnt lgkmcnt(0)
	v_cndmask_b32_e32 v22, 0, v22, vcc
	v_cmp_gt_u32_e32 vcc, 60, v103
	v_add_u32_e32 v19, v19, v22
	v_cndmask_b32_e64 v22, 0, 1, vcc
	v_lshlrev_b32_e32 v22, 2, v22
	v_add_lshl_u32 v107, v22, v97, 2
	ds_bpermute_b32 v22, v107, v19
	v_cmp_le_u32_e32 vcc, v108, v17
	v_add_u32_e32 v112, 16, v103
	v_add_u32_e32 v114, 32, v103
	s_waitcnt lgkmcnt(0)
	v_cndmask_b32_e32 v22, 0, v22, vcc
	v_cmp_gt_u32_e32 vcc, 56, v103
	v_add_u32_e32 v19, v19, v22
	v_cndmask_b32_e64 v22, 0, 1, vcc
	v_lshlrev_b32_e32 v22, 3, v22
	v_add_lshl_u32 v109, v22, v97, 2
	ds_bpermute_b32 v22, v109, v19
	v_cmp_le_u32_e32 vcc, v110, v17
	s_waitcnt lgkmcnt(0)
	v_cndmask_b32_e32 v22, 0, v22, vcc
	v_cmp_gt_u32_e32 vcc, 48, v103
	v_add_u32_e32 v19, v19, v22
	v_cndmask_b32_e64 v22, 0, 1, vcc
	v_lshlrev_b32_e32 v22, 4, v22
	v_add_lshl_u32 v111, v22, v97, 2
	ds_bpermute_b32 v22, v111, v19
	v_cmp_le_u32_e32 vcc, v112, v17
	;; [unrolled: 9-line block ×3, first 2 shown]
	s_waitcnt lgkmcnt(0)
	v_cndmask_b32_e32 v17, 0, v22, vcc
	v_add_u32_e32 v22, v19, v17
	v_mov_b32_e32 v19, 0
	s_branch .LBB2837_84
.LBB2837_83:                            ;   in Loop: Header=BB2837_84 Depth=1
	s_or_b64 exec, exec, s[30:31]
	v_cmp_eq_u16_sdwa s[30:31], v23, v102 src0_sel:BYTE_0 src1_sel:DWORD
	v_and_b32_e32 v26, s31, v25
	v_or_b32_e32 v26, 0x80000000, v26
	ds_bpermute_b32 v115, v104, v22
	v_and_b32_e32 v27, s30, v24
	v_ffbl_b32_e32 v26, v26
	v_add_u32_e32 v26, 32, v26
	v_ffbl_b32_e32 v27, v27
	v_min_u32_e32 v26, v27, v26
	v_cmp_lt_u32_e32 vcc, v103, v26
	s_waitcnt lgkmcnt(0)
	v_cndmask_b32_e32 v27, 0, v115, vcc
	v_add_u32_e32 v22, v27, v22
	ds_bpermute_b32 v27, v105, v22
	v_cmp_le_u32_e32 vcc, v106, v26
	v_subrev_u32_e32 v18, 64, v18
	s_waitcnt lgkmcnt(0)
	v_cndmask_b32_e32 v27, 0, v27, vcc
	v_add_u32_e32 v22, v22, v27
	ds_bpermute_b32 v27, v107, v22
	v_cmp_le_u32_e32 vcc, v108, v26
	s_waitcnt lgkmcnt(0)
	v_cndmask_b32_e32 v27, 0, v27, vcc
	v_add_u32_e32 v22, v22, v27
	ds_bpermute_b32 v27, v109, v22
	v_cmp_le_u32_e32 vcc, v110, v26
	;; [unrolled: 5-line block ×4, first 2 shown]
	s_waitcnt lgkmcnt(0)
	v_cndmask_b32_e32 v26, 0, v27, vcc
	v_add3_u32 v22, v26, v17, v22
.LBB2837_84:                            ; =>This Loop Header: Depth=1
                                        ;     Child Loop BB2837_87 Depth 2
	v_cmp_ne_u16_sdwa s[30:31], v23, v102 src0_sel:BYTE_0 src1_sel:DWORD
	v_cndmask_b32_e64 v17, 0, 1, s[30:31]
	;;#ASMSTART
	;;#ASMEND
	v_cmp_ne_u32_e32 vcc, 0, v17
	s_cmp_lg_u64 vcc, exec
	v_mov_b32_e32 v17, v22
	s_cbranch_scc1 .LBB2837_89
; %bb.85:                               ;   in Loop: Header=BB2837_84 Depth=1
	v_lshlrev_b64 v[22:23], 3, v[18:19]
	v_mov_b32_e32 v27, s27
	v_add_co_u32_e32 v26, vcc, s26, v22
	v_addc_co_u32_e32 v27, vcc, v27, v23, vcc
	global_load_dwordx2 v[22:23], v[26:27], off glc
	s_waitcnt vmcnt(0)
	v_cmp_eq_u16_sdwa s[34:35], v23, v19 src0_sel:BYTE_0 src1_sel:DWORD
	s_and_saveexec_b64 s[30:31], s[34:35]
	s_cbranch_execz .LBB2837_83
; %bb.86:                               ;   in Loop: Header=BB2837_84 Depth=1
	s_mov_b64 s[34:35], 0
.LBB2837_87:                            ;   Parent Loop BB2837_84 Depth=1
                                        ; =>  This Inner Loop Header: Depth=2
	global_load_dwordx2 v[22:23], v[26:27], off glc
	s_waitcnt vmcnt(0)
	v_cmp_ne_u16_sdwa s[38:39], v23, v19 src0_sel:BYTE_0 src1_sel:DWORD
	s_or_b64 s[34:35], s[38:39], s[34:35]
	s_andn2_b64 exec, exec, s[34:35]
	s_cbranch_execnz .LBB2837_87
; %bb.88:                               ;   in Loop: Header=BB2837_84 Depth=1
	s_or_b64 exec, exec, s[34:35]
	s_branch .LBB2837_83
.LBB2837_89:                            ;   in Loop: Header=BB2837_84 Depth=1
                                        ; implicit-def: $vgpr22
                                        ; implicit-def: $vgpr23
	s_cbranch_execz .LBB2837_84
; %bb.90:
	s_and_saveexec_b64 s[30:31], s[18:19]
	s_cbranch_execz .LBB2837_92
; %bb.91:
	s_add_i32 s34, s36, 64
	s_mov_b32 s35, 0
	s_lshl_b64 s[34:35], s[34:35], 3
	s_add_u32 s34, s26, s34
	v_add_u32_e32 v18, v17, v16
	v_mov_b32_e32 v19, 2
	s_addc_u32 s35, s27, s35
	v_mov_b32_e32 v22, 0
	global_store_dwordx2 v22, v[18:19], s[34:35]
	ds_write_b64 v22, v[16:17] offset:14336
.LBB2837_92:
	s_or_b64 exec, exec, s[30:31]
	s_and_b64 exec, exec, s[0:1]
	s_cbranch_execz .LBB2837_94
; %bb.93:
	v_mov_b32_e32 v16, 0
	ds_write_b32 v16, v17 offset:12
.LBB2837_94:
	s_or_b64 exec, exec, s[28:29]
	v_mov_b32_e32 v16, 0
	s_waitcnt lgkmcnt(0)
	s_barrier
	ds_read_b32 v18, v16 offset:12
	s_waitcnt lgkmcnt(0)
	s_barrier
	ds_read_b64 v[16:17], v16 offset:14336
	v_cndmask_b32_e64 v19, v101, v100, s[18:19]
	v_cndmask_b32_e64 v19, v19, 0, s[0:1]
	v_add_u32_e32 v19, v18, v19
	s_waitcnt lgkmcnt(0)
	v_mov_b32_e32 v18, v17
	s_branch .LBB2837_105
.LBB2837_95:
                                        ; implicit-def: $vgpr18
                                        ; implicit-def: $vgpr16
                                        ; implicit-def: $vgpr19
	s_cbranch_execz .LBB2837_105
; %bb.96:
	s_nop 0
	v_mov_b32_dpp v16, v99 row_shr:1 row_mask:0xf bank_mask:0xf
	v_cndmask_b32_e64 v16, v16, 0, s[16:17]
	v_add_u32_e32 v16, v16, v99
	s_nop 1
	v_mov_b32_dpp v17, v16 row_shr:2 row_mask:0xf bank_mask:0xf
	v_cndmask_b32_e64 v17, 0, v17, s[14:15]
	v_add_u32_e32 v16, v16, v17
	;; [unrolled: 4-line block ×4, first 2 shown]
	s_nop 1
	v_mov_b32_dpp v17, v16 row_bcast:15 row_mask:0xf bank_mask:0xf
	v_cndmask_b32_e64 v17, v17, 0, s[8:9]
	v_add_u32_e32 v16, v16, v17
	s_nop 1
	v_mov_b32_dpp v17, v16 row_bcast:31 row_mask:0xf bank_mask:0xf
	v_cndmask_b32_e64 v17, 0, v17, s[4:5]
	v_add_u32_e32 v16, v16, v17
	s_and_saveexec_b64 s[4:5], s[6:7]
	s_cbranch_execz .LBB2837_98
; %bb.97:
	v_lshlrev_b32_e32 v17, 2, v98
	ds_write_b32 v17, v16
.LBB2837_98:
	s_or_b64 exec, exec, s[4:5]
	v_cmp_gt_u32_e32 vcc, 4, v0
	s_waitcnt lgkmcnt(0)
	s_barrier
	s_and_saveexec_b64 s[4:5], vcc
	s_cbranch_execz .LBB2837_100
; %bb.99:
	v_lshlrev_b32_e32 v17, 2, v0
	ds_read_b32 v18, v17
	v_and_b32_e32 v19, 3, v97
	v_cmp_ne_u32_e32 vcc, 0, v19
	s_waitcnt lgkmcnt(0)
	v_mov_b32_dpp v22, v18 row_shr:1 row_mask:0xf bank_mask:0xf
	v_cndmask_b32_e32 v22, 0, v22, vcc
	v_add_u32_e32 v18, v22, v18
	v_cmp_lt_u32_e32 vcc, 1, v19
	s_nop 0
	v_mov_b32_dpp v22, v18 row_shr:2 row_mask:0xf bank_mask:0xf
	v_cndmask_b32_e32 v19, 0, v22, vcc
	v_add_u32_e32 v18, v18, v19
	ds_write_b32 v17, v18
.LBB2837_100:
	s_or_b64 exec, exec, s[4:5]
	v_cmp_lt_u32_e32 vcc, 63, v0
	v_mov_b32_e32 v17, 0
	v_mov_b32_e32 v18, 0
	s_waitcnt lgkmcnt(0)
	s_barrier
	s_and_saveexec_b64 s[4:5], vcc
	s_cbranch_execz .LBB2837_102
; %bb.101:
	v_lshl_add_u32 v18, v98, 2, -4
	ds_read_b32 v18, v18
.LBB2837_102:
	s_or_b64 exec, exec, s[4:5]
	v_add_u32_e32 v19, -1, v97
	v_and_b32_e32 v22, 64, v97
	v_cmp_lt_i32_e32 vcc, v19, v22
	v_cndmask_b32_e32 v19, v19, v97, vcc
	s_waitcnt lgkmcnt(0)
	v_add_u32_e32 v16, v18, v16
	v_lshlrev_b32_e32 v19, 2, v19
	ds_bpermute_b32 v19, v19, v16
	ds_read_b32 v16, v17 offset:12
	s_and_saveexec_b64 s[4:5], s[0:1]
	s_cbranch_execz .LBB2837_104
; %bb.103:
	v_mov_b32_e32 v22, 0
	v_mov_b32_e32 v17, 2
	s_waitcnt lgkmcnt(0)
	global_store_dwordx2 v22, v[16:17], s[26:27] offset:512
.LBB2837_104:
	s_or_b64 exec, exec, s[4:5]
	v_cmp_eq_u32_e32 vcc, 0, v97
	s_waitcnt lgkmcnt(1)
	v_cndmask_b32_e32 v17, v19, v18, vcc
	v_mov_b32_e32 v18, 0
	v_cndmask_b32_e64 v19, v17, 0, s[0:1]
	s_waitcnt lgkmcnt(0)
	s_barrier
.LBB2837_105:
	v_add_u32_e32 v17, v19, v71
	v_add_u32_e32 v22, v17, v72
	;; [unrolled: 1-line block ×20, first 2 shown]
	v_sub_u32_e32 v19, v19, v18
	v_and_b32_e32 v70, 1, v70
	v_add_u32_e32 v83, v82, v90
	v_sub_u32_e32 v90, v41, v19
	v_cmp_eq_u32_e32 vcc, 1, v70
	v_cndmask_b32_e32 v19, v90, v19, vcc
	v_lshlrev_b32_e32 v19, 1, v19
	ds_write_b16 v19, v10
	v_sub_u32_e32 v10, v17, v18
	v_sub_u32_e32 v17, v41, v10
	v_and_b32_e32 v19, 1, v69
	v_add_u32_e32 v17, 1, v17
	v_cmp_eq_u32_e32 vcc, 1, v19
	v_cndmask_b32_e32 v10, v17, v10, vcc
	v_lshlrev_b32_e32 v10, 1, v10
	ds_write_b16 v10, v42
	v_sub_u32_e32 v10, v22, v18
	v_sub_u32_e32 v17, v41, v10
	v_and_b32_e32 v19, 1, v68
	v_add_u32_e32 v17, 2, v17
	;; [unrolled: 8-line block ×20, first 2 shown]
	v_cmp_eq_u32_e32 vcc, 1, v6
	v_cndmask_b32_e32 v2, v3, v2, vcc
	v_add_u32_e32 v84, v83, v91
	v_lshlrev_b32_e32 v2, 1, v2
	ds_write_b16 v2, v4
	v_sub_u32_e32 v2, v84, v18
	v_sub_u32_e32 v3, v41, v2
	v_and_b32_e32 v4, 1, v49
	v_add_u32_e32 v3, 21, v3
	v_cmp_eq_u32_e32 vcc, 1, v4
	v_cndmask_b32_e32 v2, v3, v2, vcc
	v_add_u32_e32 v85, v84, v92
	v_lshlrev_b32_e32 v2, 1, v2
	ds_write_b16 v2, v31
	v_sub_u32_e32 v2, v85, v18
	v_sub_u32_e32 v3, v41, v2
	v_and_b32_e32 v4, 1, v48
	v_add_u32_e32 v3, 22, v3
	;; [unrolled: 9-line block ×6, first 2 shown]
	v_cmp_eq_u32_e32 vcc, 1, v4
	v_cndmask_b32_e32 v2, v3, v2, vcc
	v_lshlrev_b32_e32 v2, 1, v2
	ds_write_b16 v2, v21
	v_sub_u32_sdwa v2, v43, v18 dst_sel:DWORD dst_unused:UNUSED_PAD src0_sel:BYTE_0 src1_sel:DWORD
	v_add_u32_e32 v2, v89, v2
	v_sub_u32_e32 v3, v41, v2
	v_and_b32_e32 v4, 1, v44
	v_add_u32_e32 v3, 27, v3
	v_cmp_eq_u32_e32 vcc, 1, v4
	v_cndmask_b32_e32 v2, v3, v2, vcc
	v_lshlrev_b32_e32 v2, 1, v2
	ds_write_b16 v2, v28
	s_waitcnt lgkmcnt(0)
	s_barrier
	ds_read_u16 v65, v1
	ds_read_u16 v64, v1 offset:512
	ds_read_u16 v62, v1 offset:1024
	ds_read_u16 v60, v1 offset:1536
	ds_read_u16 v58, v1 offset:2048
	ds_read_u16 v55, v1 offset:2560
	ds_read_u16 v53, v1 offset:3072
	ds_read_u16 v50, v1 offset:3584
	ds_read_u16 v51, v1 offset:4096
	ds_read_u16 v48, v1 offset:4608
	ds_read_u16 v46, v1 offset:5120
	ds_read_u16 v44, v1 offset:5632
	ds_read_u16 v42, v1 offset:6144
	ds_read_u16 v40, v1 offset:6656
	ds_read_u16 v38, v1 offset:7168
	ds_read_u16 v35, v1 offset:7680
	ds_read_u16 v36, v1 offset:8192
	ds_read_u16 v32, v1 offset:8704
	ds_read_u16 v30, v1 offset:9216
	ds_read_u16 v28, v1 offset:9728
	ds_read_u16 v26, v1 offset:10240
	ds_read_u16 v24, v1 offset:10752
	ds_read_u16 v22, v1 offset:11264
	ds_read_u16 v20, v1 offset:11776
	ds_read_u16 v12, v1 offset:12288
	ds_read_u16 v10, v1 offset:12800
	ds_read_u16 v8, v1 offset:13312
	ds_read_u16 v6, v1 offset:13824
	v_or_b32_e32 v63, 0x100, v0
	v_or_b32_e32 v61, 0x200, v0
	;; [unrolled: 1-line block ×27, first 2 shown]
	s_and_b64 vcc, exec, s[2:3]
	s_waitcnt vmcnt(0)
	v_lshlrev_b64 v[4:5], 1, v[14:15]
	s_cbranch_vccnz .LBB2837_135
; %bb.106:
	v_mov_b32_e32 v19, 0
	v_mov_b32_e32 v2, s25
	v_add_co_u32_e32 v66, vcc, s24, v4
	v_addc_co_u32_e32 v67, vcc, v2, v5, vcc
	v_lshlrev_b64 v[2:3], 1, v[18:19]
	v_add_co_u32_e32 v2, vcc, v66, v2
	v_addc_co_u32_e32 v3, vcc, v67, v3, vcc
	v_cmp_lt_u32_e32 vcc, v0, v16
	s_and_saveexec_b64 s[2:3], vcc
	s_cbranch_execnz .LBB2837_170
; %bb.107:
	s_or_b64 exec, exec, s[2:3]
	v_cmp_lt_u32_e32 vcc, v63, v16
	s_and_saveexec_b64 s[2:3], vcc
	s_cbranch_execnz .LBB2837_171
.LBB2837_108:
	s_or_b64 exec, exec, s[2:3]
	v_cmp_lt_u32_e32 vcc, v61, v16
	s_and_saveexec_b64 s[2:3], vcc
	s_cbranch_execnz .LBB2837_172
.LBB2837_109:
	s_or_b64 exec, exec, s[2:3]
	v_cmp_lt_u32_e32 vcc, v59, v16
	s_and_saveexec_b64 s[2:3], vcc
	s_cbranch_execnz .LBB2837_173
.LBB2837_110:
	s_or_b64 exec, exec, s[2:3]
	v_cmp_lt_u32_e32 vcc, v57, v16
	s_and_saveexec_b64 s[2:3], vcc
	s_cbranch_execnz .LBB2837_174
.LBB2837_111:
	s_or_b64 exec, exec, s[2:3]
	v_cmp_lt_u32_e32 vcc, v56, v16
	s_and_saveexec_b64 s[2:3], vcc
	s_cbranch_execnz .LBB2837_175
.LBB2837_112:
	s_or_b64 exec, exec, s[2:3]
	v_cmp_lt_u32_e32 vcc, v54, v16
	s_and_saveexec_b64 s[2:3], vcc
	s_cbranch_execnz .LBB2837_176
.LBB2837_113:
	s_or_b64 exec, exec, s[2:3]
	v_cmp_lt_u32_e32 vcc, v52, v16
	s_and_saveexec_b64 s[2:3], vcc
	s_cbranch_execnz .LBB2837_177
.LBB2837_114:
	s_or_b64 exec, exec, s[2:3]
	v_cmp_lt_u32_e32 vcc, v49, v16
	s_and_saveexec_b64 s[2:3], vcc
	s_cbranch_execnz .LBB2837_178
.LBB2837_115:
	s_or_b64 exec, exec, s[2:3]
	v_cmp_lt_u32_e32 vcc, v47, v16
	s_and_saveexec_b64 s[2:3], vcc
	s_cbranch_execnz .LBB2837_179
.LBB2837_116:
	s_or_b64 exec, exec, s[2:3]
	v_cmp_lt_u32_e32 vcc, v45, v16
	s_and_saveexec_b64 s[2:3], vcc
	s_cbranch_execnz .LBB2837_180
.LBB2837_117:
	s_or_b64 exec, exec, s[2:3]
	v_cmp_lt_u32_e32 vcc, v43, v16
	s_and_saveexec_b64 s[2:3], vcc
	s_cbranch_execnz .LBB2837_181
.LBB2837_118:
	s_or_b64 exec, exec, s[2:3]
	v_cmp_lt_u32_e32 vcc, v41, v16
	s_and_saveexec_b64 s[2:3], vcc
	s_cbranch_execnz .LBB2837_182
.LBB2837_119:
	s_or_b64 exec, exec, s[2:3]
	v_cmp_lt_u32_e32 vcc, v39, v16
	s_and_saveexec_b64 s[2:3], vcc
	s_cbranch_execnz .LBB2837_183
.LBB2837_120:
	s_or_b64 exec, exec, s[2:3]
	v_cmp_lt_u32_e32 vcc, v37, v16
	s_and_saveexec_b64 s[2:3], vcc
	s_cbranch_execnz .LBB2837_184
.LBB2837_121:
	s_or_b64 exec, exec, s[2:3]
	v_cmp_lt_u32_e32 vcc, v34, v16
	s_and_saveexec_b64 s[2:3], vcc
	s_cbranch_execnz .LBB2837_185
.LBB2837_122:
	s_or_b64 exec, exec, s[2:3]
	v_cmp_lt_u32_e32 vcc, v33, v16
	s_and_saveexec_b64 s[2:3], vcc
	s_cbranch_execnz .LBB2837_186
.LBB2837_123:
	s_or_b64 exec, exec, s[2:3]
	v_cmp_lt_u32_e32 vcc, v31, v16
	s_and_saveexec_b64 s[2:3], vcc
	s_cbranch_execnz .LBB2837_187
.LBB2837_124:
	s_or_b64 exec, exec, s[2:3]
	v_cmp_lt_u32_e32 vcc, v29, v16
	s_and_saveexec_b64 s[2:3], vcc
	s_cbranch_execnz .LBB2837_188
.LBB2837_125:
	s_or_b64 exec, exec, s[2:3]
	v_cmp_lt_u32_e32 vcc, v27, v16
	s_and_saveexec_b64 s[2:3], vcc
	s_cbranch_execnz .LBB2837_189
.LBB2837_126:
	s_or_b64 exec, exec, s[2:3]
	v_cmp_lt_u32_e32 vcc, v25, v16
	s_and_saveexec_b64 s[2:3], vcc
	s_cbranch_execnz .LBB2837_190
.LBB2837_127:
	s_or_b64 exec, exec, s[2:3]
	v_cmp_lt_u32_e32 vcc, v23, v16
	s_and_saveexec_b64 s[2:3], vcc
	s_cbranch_execnz .LBB2837_191
.LBB2837_128:
	s_or_b64 exec, exec, s[2:3]
	v_cmp_lt_u32_e32 vcc, v21, v16
	s_and_saveexec_b64 s[2:3], vcc
	s_cbranch_execnz .LBB2837_192
.LBB2837_129:
	s_or_b64 exec, exec, s[2:3]
	v_cmp_lt_u32_e32 vcc, v17, v16
	s_and_saveexec_b64 s[2:3], vcc
	s_cbranch_execnz .LBB2837_193
.LBB2837_130:
	s_or_b64 exec, exec, s[2:3]
	v_cmp_lt_u32_e32 vcc, v13, v16
	s_and_saveexec_b64 s[2:3], vcc
	s_cbranch_execnz .LBB2837_194
.LBB2837_131:
	s_or_b64 exec, exec, s[2:3]
	v_cmp_lt_u32_e32 vcc, v11, v16
	s_and_saveexec_b64 s[2:3], vcc
	s_cbranch_execnz .LBB2837_195
.LBB2837_132:
	s_or_b64 exec, exec, s[2:3]
	v_cmp_lt_u32_e32 vcc, v9, v16
	s_and_saveexec_b64 s[2:3], vcc
	s_cbranch_execz .LBB2837_134
.LBB2837_133:
	v_lshlrev_b32_e32 v19, 1, v9
	v_readfirstlane_b32 s4, v2
	v_readfirstlane_b32 s5, v3
	s_waitcnt lgkmcnt(1)
	s_nop 3
	global_store_short v19, v8, s[4:5]
.LBB2837_134:
	s_or_b64 exec, exec, s[2:3]
	v_cmp_lt_u32_e64 s[2:3], v7, v16
	s_branch .LBB2837_165
.LBB2837_135:
	s_mov_b64 s[2:3], 0
                                        ; implicit-def: $vgpr2_vgpr3
	s_cbranch_execz .LBB2837_165
; %bb.136:
	v_mov_b32_e32 v19, 0
	v_mov_b32_e32 v2, s25
	v_add_co_u32_e32 v4, vcc, s24, v4
	v_addc_co_u32_e32 v5, vcc, v2, v5, vcc
	v_lshlrev_b64 v[2:3], 1, v[18:19]
	v_add_co_u32_e32 v2, vcc, v4, v2
	v_min_u32_e32 v66, s33, v16
	v_addc_co_u32_e32 v3, vcc, v5, v3, vcc
	v_cmp_gt_u32_e32 vcc, v66, v0
	s_and_saveexec_b64 s[2:3], vcc
	s_cbranch_execnz .LBB2837_196
; %bb.137:
	s_or_b64 exec, exec, s[2:3]
	v_cmp_lt_u32_e32 vcc, v63, v66
	s_and_saveexec_b64 s[2:3], vcc
	s_cbranch_execnz .LBB2837_197
.LBB2837_138:
	s_or_b64 exec, exec, s[2:3]
	v_cmp_lt_u32_e32 vcc, v61, v66
	s_and_saveexec_b64 s[2:3], vcc
	s_cbranch_execnz .LBB2837_198
.LBB2837_139:
	s_or_b64 exec, exec, s[2:3]
	v_cmp_lt_u32_e32 vcc, v59, v66
	s_and_saveexec_b64 s[2:3], vcc
	s_cbranch_execnz .LBB2837_199
.LBB2837_140:
	s_or_b64 exec, exec, s[2:3]
	v_cmp_lt_u32_e32 vcc, v57, v66
	s_and_saveexec_b64 s[2:3], vcc
	s_cbranch_execnz .LBB2837_200
.LBB2837_141:
	s_or_b64 exec, exec, s[2:3]
	v_cmp_lt_u32_e32 vcc, v56, v66
	s_and_saveexec_b64 s[2:3], vcc
	s_cbranch_execnz .LBB2837_201
.LBB2837_142:
	s_or_b64 exec, exec, s[2:3]
	v_cmp_lt_u32_e32 vcc, v54, v66
	s_and_saveexec_b64 s[2:3], vcc
	s_cbranch_execnz .LBB2837_202
.LBB2837_143:
	s_or_b64 exec, exec, s[2:3]
	v_cmp_lt_u32_e32 vcc, v52, v66
	s_and_saveexec_b64 s[2:3], vcc
	s_cbranch_execnz .LBB2837_203
.LBB2837_144:
	s_or_b64 exec, exec, s[2:3]
	v_cmp_lt_u32_e32 vcc, v49, v66
	s_and_saveexec_b64 s[2:3], vcc
	s_cbranch_execnz .LBB2837_204
.LBB2837_145:
	s_or_b64 exec, exec, s[2:3]
	v_cmp_lt_u32_e32 vcc, v47, v66
	s_and_saveexec_b64 s[2:3], vcc
	s_cbranch_execnz .LBB2837_205
.LBB2837_146:
	s_or_b64 exec, exec, s[2:3]
	v_cmp_lt_u32_e32 vcc, v45, v66
	s_and_saveexec_b64 s[2:3], vcc
	s_cbranch_execnz .LBB2837_206
.LBB2837_147:
	s_or_b64 exec, exec, s[2:3]
	v_cmp_lt_u32_e32 vcc, v43, v66
	s_and_saveexec_b64 s[2:3], vcc
	s_cbranch_execnz .LBB2837_207
.LBB2837_148:
	s_or_b64 exec, exec, s[2:3]
	v_cmp_lt_u32_e32 vcc, v41, v66
	s_and_saveexec_b64 s[2:3], vcc
	s_cbranch_execnz .LBB2837_208
.LBB2837_149:
	s_or_b64 exec, exec, s[2:3]
	v_cmp_lt_u32_e32 vcc, v39, v66
	s_and_saveexec_b64 s[2:3], vcc
	s_cbranch_execnz .LBB2837_209
.LBB2837_150:
	s_or_b64 exec, exec, s[2:3]
	v_cmp_lt_u32_e32 vcc, v37, v66
	s_and_saveexec_b64 s[2:3], vcc
	s_cbranch_execnz .LBB2837_210
.LBB2837_151:
	s_or_b64 exec, exec, s[2:3]
	v_cmp_lt_u32_e32 vcc, v34, v66
	s_and_saveexec_b64 s[2:3], vcc
	s_cbranch_execnz .LBB2837_211
.LBB2837_152:
	s_or_b64 exec, exec, s[2:3]
	v_cmp_lt_u32_e32 vcc, v33, v66
	s_and_saveexec_b64 s[2:3], vcc
	s_cbranch_execnz .LBB2837_212
.LBB2837_153:
	s_or_b64 exec, exec, s[2:3]
	v_cmp_lt_u32_e32 vcc, v31, v66
	s_and_saveexec_b64 s[2:3], vcc
	s_cbranch_execnz .LBB2837_213
.LBB2837_154:
	s_or_b64 exec, exec, s[2:3]
	v_cmp_lt_u32_e32 vcc, v29, v66
	s_and_saveexec_b64 s[2:3], vcc
	s_cbranch_execnz .LBB2837_214
.LBB2837_155:
	s_or_b64 exec, exec, s[2:3]
	v_cmp_lt_u32_e32 vcc, v27, v66
	s_and_saveexec_b64 s[2:3], vcc
	s_cbranch_execnz .LBB2837_215
.LBB2837_156:
	s_or_b64 exec, exec, s[2:3]
	v_cmp_lt_u32_e32 vcc, v25, v66
	s_and_saveexec_b64 s[2:3], vcc
	s_cbranch_execnz .LBB2837_216
.LBB2837_157:
	s_or_b64 exec, exec, s[2:3]
	v_cmp_lt_u32_e32 vcc, v23, v66
	s_and_saveexec_b64 s[2:3], vcc
	s_cbranch_execnz .LBB2837_217
.LBB2837_158:
	s_or_b64 exec, exec, s[2:3]
	v_cmp_lt_u32_e32 vcc, v21, v66
	s_and_saveexec_b64 s[2:3], vcc
	s_cbranch_execnz .LBB2837_218
.LBB2837_159:
	s_or_b64 exec, exec, s[2:3]
	v_cmp_lt_u32_e32 vcc, v17, v66
	s_and_saveexec_b64 s[2:3], vcc
	s_cbranch_execnz .LBB2837_219
.LBB2837_160:
	s_or_b64 exec, exec, s[2:3]
	v_cmp_lt_u32_e32 vcc, v13, v66
	s_and_saveexec_b64 s[2:3], vcc
	s_cbranch_execnz .LBB2837_220
.LBB2837_161:
	s_or_b64 exec, exec, s[2:3]
	v_cmp_lt_u32_e32 vcc, v11, v66
	s_and_saveexec_b64 s[2:3], vcc
	s_cbranch_execnz .LBB2837_221
.LBB2837_162:
	s_or_b64 exec, exec, s[2:3]
	v_cmp_lt_u32_e32 vcc, v9, v66
	s_and_saveexec_b64 s[2:3], vcc
	s_cbranch_execz .LBB2837_164
.LBB2837_163:
	v_lshlrev_b32_e32 v0, 1, v9
	v_readfirstlane_b32 s4, v2
	v_readfirstlane_b32 s5, v3
	s_waitcnt lgkmcnt(1)
	s_nop 3
	global_store_short v0, v8, s[4:5]
.LBB2837_164:
	s_or_b64 exec, exec, s[2:3]
	v_cmp_lt_u32_e64 s[2:3], v7, v66
.LBB2837_165:
	s_and_saveexec_b64 s[4:5], s[2:3]
	s_cbranch_execnz .LBB2837_168
; %bb.166:
	s_or_b64 exec, exec, s[4:5]
	s_and_b64 s[0:1], s[0:1], s[22:23]
	s_and_saveexec_b64 s[2:3], s[0:1]
	s_cbranch_execnz .LBB2837_169
.LBB2837_167:
	s_endpgm
.LBB2837_168:
	v_lshlrev_b32_e32 v0, 1, v7
	v_readfirstlane_b32 s2, v2
	v_readfirstlane_b32 s3, v3
	s_waitcnt lgkmcnt(0)
	s_nop 3
	global_store_short v0, v6, s[2:3]
	s_or_b64 exec, exec, s[4:5]
	s_and_b64 s[0:1], s[0:1], s[22:23]
	s_and_saveexec_b64 s[2:3], s[0:1]
	s_cbranch_execz .LBB2837_167
.LBB2837_169:
	v_add_co_u32_e32 v0, vcc, v14, v16
	v_addc_co_u32_e32 v1, vcc, 0, v15, vcc
	v_add_co_u32_e32 v0, vcc, v0, v18
	v_mov_b32_e32 v2, 0
	v_addc_co_u32_e32 v1, vcc, 0, v1, vcc
	global_store_dwordx2 v2, v[0:1], s[20:21]
	s_endpgm
.LBB2837_170:
	v_readfirstlane_b32 s4, v2
	v_readfirstlane_b32 s5, v3
	s_waitcnt lgkmcnt(14)
	s_nop 3
	global_store_short v1, v65, s[4:5]
	s_or_b64 exec, exec, s[2:3]
	v_cmp_lt_u32_e32 vcc, v63, v16
	s_and_saveexec_b64 s[2:3], vcc
	s_cbranch_execz .LBB2837_108
.LBB2837_171:
	v_readfirstlane_b32 s4, v2
	v_readfirstlane_b32 s5, v3
	s_waitcnt lgkmcnt(14)
	s_nop 3
	global_store_short v1, v64, s[4:5] offset:512
	s_or_b64 exec, exec, s[2:3]
	v_cmp_lt_u32_e32 vcc, v61, v16
	s_and_saveexec_b64 s[2:3], vcc
	s_cbranch_execz .LBB2837_109
.LBB2837_172:
	v_readfirstlane_b32 s4, v2
	v_readfirstlane_b32 s5, v3
	s_waitcnt lgkmcnt(14)
	s_nop 3
	global_store_short v1, v62, s[4:5] offset:1024
	s_or_b64 exec, exec, s[2:3]
	v_cmp_lt_u32_e32 vcc, v59, v16
	s_and_saveexec_b64 s[2:3], vcc
	s_cbranch_execz .LBB2837_110
.LBB2837_173:
	v_readfirstlane_b32 s4, v2
	v_readfirstlane_b32 s5, v3
	s_waitcnt lgkmcnt(14)
	s_nop 3
	global_store_short v1, v60, s[4:5] offset:1536
	s_or_b64 exec, exec, s[2:3]
	v_cmp_lt_u32_e32 vcc, v57, v16
	s_and_saveexec_b64 s[2:3], vcc
	s_cbranch_execz .LBB2837_111
.LBB2837_174:
	v_readfirstlane_b32 s4, v2
	v_readfirstlane_b32 s5, v3
	s_waitcnt lgkmcnt(14)
	s_nop 3
	global_store_short v1, v58, s[4:5] offset:2048
	s_or_b64 exec, exec, s[2:3]
	v_cmp_lt_u32_e32 vcc, v56, v16
	s_and_saveexec_b64 s[2:3], vcc
	s_cbranch_execz .LBB2837_112
.LBB2837_175:
	v_readfirstlane_b32 s4, v2
	v_readfirstlane_b32 s5, v3
	s_waitcnt lgkmcnt(14)
	s_nop 3
	global_store_short v1, v55, s[4:5] offset:2560
	s_or_b64 exec, exec, s[2:3]
	v_cmp_lt_u32_e32 vcc, v54, v16
	s_and_saveexec_b64 s[2:3], vcc
	s_cbranch_execz .LBB2837_113
.LBB2837_176:
	v_readfirstlane_b32 s4, v2
	v_readfirstlane_b32 s5, v3
	s_waitcnt lgkmcnt(14)
	s_nop 3
	global_store_short v1, v53, s[4:5] offset:3072
	s_or_b64 exec, exec, s[2:3]
	v_cmp_lt_u32_e32 vcc, v52, v16
	s_and_saveexec_b64 s[2:3], vcc
	s_cbranch_execz .LBB2837_114
.LBB2837_177:
	v_readfirstlane_b32 s4, v2
	v_readfirstlane_b32 s5, v3
	s_waitcnt lgkmcnt(14)
	s_nop 3
	global_store_short v1, v50, s[4:5] offset:3584
	s_or_b64 exec, exec, s[2:3]
	v_cmp_lt_u32_e32 vcc, v49, v16
	s_and_saveexec_b64 s[2:3], vcc
	s_cbranch_execz .LBB2837_115
.LBB2837_178:
	v_lshlrev_b32_e32 v19, 1, v49
	v_readfirstlane_b32 s4, v2
	v_readfirstlane_b32 s5, v3
	s_waitcnt lgkmcnt(14)
	s_nop 3
	global_store_short v19, v51, s[4:5]
	s_or_b64 exec, exec, s[2:3]
	v_cmp_lt_u32_e32 vcc, v47, v16
	s_and_saveexec_b64 s[2:3], vcc
	s_cbranch_execz .LBB2837_116
.LBB2837_179:
	v_lshlrev_b32_e32 v19, 1, v47
	v_readfirstlane_b32 s4, v2
	v_readfirstlane_b32 s5, v3
	s_waitcnt lgkmcnt(14)
	s_nop 3
	global_store_short v19, v48, s[4:5]
	s_or_b64 exec, exec, s[2:3]
	v_cmp_lt_u32_e32 vcc, v45, v16
	s_and_saveexec_b64 s[2:3], vcc
	s_cbranch_execz .LBB2837_117
.LBB2837_180:
	v_lshlrev_b32_e32 v19, 1, v45
	v_readfirstlane_b32 s4, v2
	v_readfirstlane_b32 s5, v3
	s_waitcnt lgkmcnt(14)
	s_nop 3
	global_store_short v19, v46, s[4:5]
	s_or_b64 exec, exec, s[2:3]
	v_cmp_lt_u32_e32 vcc, v43, v16
	s_and_saveexec_b64 s[2:3], vcc
	s_cbranch_execz .LBB2837_118
.LBB2837_181:
	v_lshlrev_b32_e32 v19, 1, v43
	v_readfirstlane_b32 s4, v2
	v_readfirstlane_b32 s5, v3
	s_waitcnt lgkmcnt(14)
	s_nop 3
	global_store_short v19, v44, s[4:5]
	s_or_b64 exec, exec, s[2:3]
	v_cmp_lt_u32_e32 vcc, v41, v16
	s_and_saveexec_b64 s[2:3], vcc
	s_cbranch_execz .LBB2837_119
.LBB2837_182:
	v_lshlrev_b32_e32 v19, 1, v41
	v_readfirstlane_b32 s4, v2
	v_readfirstlane_b32 s5, v3
	s_waitcnt lgkmcnt(14)
	s_nop 3
	global_store_short v19, v42, s[4:5]
	s_or_b64 exec, exec, s[2:3]
	v_cmp_lt_u32_e32 vcc, v39, v16
	s_and_saveexec_b64 s[2:3], vcc
	s_cbranch_execz .LBB2837_120
.LBB2837_183:
	v_lshlrev_b32_e32 v19, 1, v39
	v_readfirstlane_b32 s4, v2
	v_readfirstlane_b32 s5, v3
	s_waitcnt lgkmcnt(14)
	s_nop 3
	global_store_short v19, v40, s[4:5]
	s_or_b64 exec, exec, s[2:3]
	v_cmp_lt_u32_e32 vcc, v37, v16
	s_and_saveexec_b64 s[2:3], vcc
	s_cbranch_execz .LBB2837_121
.LBB2837_184:
	v_lshlrev_b32_e32 v19, 1, v37
	v_readfirstlane_b32 s4, v2
	v_readfirstlane_b32 s5, v3
	s_waitcnt lgkmcnt(13)
	s_nop 3
	global_store_short v19, v38, s[4:5]
	s_or_b64 exec, exec, s[2:3]
	v_cmp_lt_u32_e32 vcc, v34, v16
	s_and_saveexec_b64 s[2:3], vcc
	s_cbranch_execz .LBB2837_122
.LBB2837_185:
	v_lshlrev_b32_e32 v19, 1, v34
	v_readfirstlane_b32 s4, v2
	v_readfirstlane_b32 s5, v3
	s_waitcnt lgkmcnt(12)
	s_nop 3
	global_store_short v19, v35, s[4:5]
	s_or_b64 exec, exec, s[2:3]
	v_cmp_lt_u32_e32 vcc, v33, v16
	s_and_saveexec_b64 s[2:3], vcc
	s_cbranch_execz .LBB2837_123
.LBB2837_186:
	v_lshlrev_b32_e32 v19, 1, v33
	v_readfirstlane_b32 s4, v2
	v_readfirstlane_b32 s5, v3
	s_waitcnt lgkmcnt(11)
	s_nop 3
	global_store_short v19, v36, s[4:5]
	s_or_b64 exec, exec, s[2:3]
	v_cmp_lt_u32_e32 vcc, v31, v16
	s_and_saveexec_b64 s[2:3], vcc
	s_cbranch_execz .LBB2837_124
.LBB2837_187:
	v_lshlrev_b32_e32 v19, 1, v31
	v_readfirstlane_b32 s4, v2
	v_readfirstlane_b32 s5, v3
	s_waitcnt lgkmcnt(10)
	s_nop 3
	global_store_short v19, v32, s[4:5]
	s_or_b64 exec, exec, s[2:3]
	v_cmp_lt_u32_e32 vcc, v29, v16
	s_and_saveexec_b64 s[2:3], vcc
	s_cbranch_execz .LBB2837_125
.LBB2837_188:
	v_lshlrev_b32_e32 v19, 1, v29
	v_readfirstlane_b32 s4, v2
	v_readfirstlane_b32 s5, v3
	s_waitcnt lgkmcnt(9)
	s_nop 3
	global_store_short v19, v30, s[4:5]
	s_or_b64 exec, exec, s[2:3]
	v_cmp_lt_u32_e32 vcc, v27, v16
	s_and_saveexec_b64 s[2:3], vcc
	s_cbranch_execz .LBB2837_126
.LBB2837_189:
	v_lshlrev_b32_e32 v19, 1, v27
	v_readfirstlane_b32 s4, v2
	v_readfirstlane_b32 s5, v3
	s_waitcnt lgkmcnt(8)
	s_nop 3
	global_store_short v19, v28, s[4:5]
	s_or_b64 exec, exec, s[2:3]
	v_cmp_lt_u32_e32 vcc, v25, v16
	s_and_saveexec_b64 s[2:3], vcc
	s_cbranch_execz .LBB2837_127
.LBB2837_190:
	v_lshlrev_b32_e32 v19, 1, v25
	v_readfirstlane_b32 s4, v2
	v_readfirstlane_b32 s5, v3
	s_waitcnt lgkmcnt(7)
	s_nop 3
	global_store_short v19, v26, s[4:5]
	s_or_b64 exec, exec, s[2:3]
	v_cmp_lt_u32_e32 vcc, v23, v16
	s_and_saveexec_b64 s[2:3], vcc
	s_cbranch_execz .LBB2837_128
.LBB2837_191:
	v_lshlrev_b32_e32 v19, 1, v23
	v_readfirstlane_b32 s4, v2
	v_readfirstlane_b32 s5, v3
	s_waitcnt lgkmcnt(6)
	s_nop 3
	global_store_short v19, v24, s[4:5]
	s_or_b64 exec, exec, s[2:3]
	v_cmp_lt_u32_e32 vcc, v21, v16
	s_and_saveexec_b64 s[2:3], vcc
	s_cbranch_execz .LBB2837_129
.LBB2837_192:
	v_lshlrev_b32_e32 v19, 1, v21
	v_readfirstlane_b32 s4, v2
	v_readfirstlane_b32 s5, v3
	s_waitcnt lgkmcnt(5)
	s_nop 3
	global_store_short v19, v22, s[4:5]
	s_or_b64 exec, exec, s[2:3]
	v_cmp_lt_u32_e32 vcc, v17, v16
	s_and_saveexec_b64 s[2:3], vcc
	s_cbranch_execz .LBB2837_130
.LBB2837_193:
	v_lshlrev_b32_e32 v19, 1, v17
	v_readfirstlane_b32 s4, v2
	v_readfirstlane_b32 s5, v3
	s_waitcnt lgkmcnt(4)
	s_nop 3
	global_store_short v19, v20, s[4:5]
	s_or_b64 exec, exec, s[2:3]
	v_cmp_lt_u32_e32 vcc, v13, v16
	s_and_saveexec_b64 s[2:3], vcc
	s_cbranch_execz .LBB2837_131
.LBB2837_194:
	v_lshlrev_b32_e32 v19, 1, v13
	v_readfirstlane_b32 s4, v2
	v_readfirstlane_b32 s5, v3
	s_waitcnt lgkmcnt(3)
	s_nop 3
	global_store_short v19, v12, s[4:5]
	s_or_b64 exec, exec, s[2:3]
	v_cmp_lt_u32_e32 vcc, v11, v16
	s_and_saveexec_b64 s[2:3], vcc
	s_cbranch_execz .LBB2837_132
.LBB2837_195:
	v_lshlrev_b32_e32 v19, 1, v11
	v_readfirstlane_b32 s4, v2
	v_readfirstlane_b32 s5, v3
	s_waitcnt lgkmcnt(2)
	s_nop 3
	global_store_short v19, v10, s[4:5]
	s_or_b64 exec, exec, s[2:3]
	v_cmp_lt_u32_e32 vcc, v9, v16
	s_and_saveexec_b64 s[2:3], vcc
	s_cbranch_execnz .LBB2837_133
	s_branch .LBB2837_134
.LBB2837_196:
	v_readfirstlane_b32 s4, v2
	v_readfirstlane_b32 s5, v3
	s_waitcnt lgkmcnt(14)
	s_nop 3
	global_store_short v1, v65, s[4:5]
	s_or_b64 exec, exec, s[2:3]
	v_cmp_lt_u32_e32 vcc, v63, v66
	s_and_saveexec_b64 s[2:3], vcc
	s_cbranch_execz .LBB2837_138
.LBB2837_197:
	v_readfirstlane_b32 s4, v2
	v_readfirstlane_b32 s5, v3
	s_waitcnt lgkmcnt(14)
	s_nop 3
	global_store_short v1, v64, s[4:5] offset:512
	s_or_b64 exec, exec, s[2:3]
	v_cmp_lt_u32_e32 vcc, v61, v66
	s_and_saveexec_b64 s[2:3], vcc
	s_cbranch_execz .LBB2837_139
.LBB2837_198:
	v_readfirstlane_b32 s4, v2
	v_readfirstlane_b32 s5, v3
	s_waitcnt lgkmcnt(14)
	s_nop 3
	global_store_short v1, v62, s[4:5] offset:1024
	s_or_b64 exec, exec, s[2:3]
	v_cmp_lt_u32_e32 vcc, v59, v66
	s_and_saveexec_b64 s[2:3], vcc
	s_cbranch_execz .LBB2837_140
.LBB2837_199:
	v_readfirstlane_b32 s4, v2
	v_readfirstlane_b32 s5, v3
	s_waitcnt lgkmcnt(14)
	s_nop 3
	global_store_short v1, v60, s[4:5] offset:1536
	s_or_b64 exec, exec, s[2:3]
	v_cmp_lt_u32_e32 vcc, v57, v66
	s_and_saveexec_b64 s[2:3], vcc
	s_cbranch_execz .LBB2837_141
.LBB2837_200:
	v_readfirstlane_b32 s4, v2
	v_readfirstlane_b32 s5, v3
	s_waitcnt lgkmcnt(14)
	s_nop 3
	global_store_short v1, v58, s[4:5] offset:2048
	s_or_b64 exec, exec, s[2:3]
	v_cmp_lt_u32_e32 vcc, v56, v66
	s_and_saveexec_b64 s[2:3], vcc
	s_cbranch_execz .LBB2837_142
.LBB2837_201:
	v_readfirstlane_b32 s4, v2
	v_readfirstlane_b32 s5, v3
	s_waitcnt lgkmcnt(14)
	s_nop 3
	global_store_short v1, v55, s[4:5] offset:2560
	s_or_b64 exec, exec, s[2:3]
	v_cmp_lt_u32_e32 vcc, v54, v66
	s_and_saveexec_b64 s[2:3], vcc
	s_cbranch_execz .LBB2837_143
.LBB2837_202:
	v_readfirstlane_b32 s4, v2
	v_readfirstlane_b32 s5, v3
	s_waitcnt lgkmcnt(14)
	s_nop 3
	global_store_short v1, v53, s[4:5] offset:3072
	s_or_b64 exec, exec, s[2:3]
	v_cmp_lt_u32_e32 vcc, v52, v66
	s_and_saveexec_b64 s[2:3], vcc
	s_cbranch_execz .LBB2837_144
.LBB2837_203:
	v_readfirstlane_b32 s4, v2
	v_readfirstlane_b32 s5, v3
	s_waitcnt lgkmcnt(14)
	s_nop 3
	global_store_short v1, v50, s[4:5] offset:3584
	s_or_b64 exec, exec, s[2:3]
	v_cmp_lt_u32_e32 vcc, v49, v66
	s_and_saveexec_b64 s[2:3], vcc
	s_cbranch_execz .LBB2837_145
.LBB2837_204:
	v_lshlrev_b32_e32 v0, 1, v49
	v_readfirstlane_b32 s4, v2
	v_readfirstlane_b32 s5, v3
	s_waitcnt lgkmcnt(14)
	s_nop 3
	global_store_short v0, v51, s[4:5]
	s_or_b64 exec, exec, s[2:3]
	v_cmp_lt_u32_e32 vcc, v47, v66
	s_and_saveexec_b64 s[2:3], vcc
	s_cbranch_execz .LBB2837_146
.LBB2837_205:
	v_lshlrev_b32_e32 v0, 1, v47
	v_readfirstlane_b32 s4, v2
	v_readfirstlane_b32 s5, v3
	s_waitcnt lgkmcnt(14)
	s_nop 3
	global_store_short v0, v48, s[4:5]
	s_or_b64 exec, exec, s[2:3]
	v_cmp_lt_u32_e32 vcc, v45, v66
	s_and_saveexec_b64 s[2:3], vcc
	s_cbranch_execz .LBB2837_147
.LBB2837_206:
	v_lshlrev_b32_e32 v0, 1, v45
	v_readfirstlane_b32 s4, v2
	v_readfirstlane_b32 s5, v3
	s_waitcnt lgkmcnt(14)
	s_nop 3
	global_store_short v0, v46, s[4:5]
	s_or_b64 exec, exec, s[2:3]
	v_cmp_lt_u32_e32 vcc, v43, v66
	s_and_saveexec_b64 s[2:3], vcc
	s_cbranch_execz .LBB2837_148
.LBB2837_207:
	v_lshlrev_b32_e32 v0, 1, v43
	v_readfirstlane_b32 s4, v2
	v_readfirstlane_b32 s5, v3
	s_waitcnt lgkmcnt(14)
	s_nop 3
	global_store_short v0, v44, s[4:5]
	s_or_b64 exec, exec, s[2:3]
	v_cmp_lt_u32_e32 vcc, v41, v66
	s_and_saveexec_b64 s[2:3], vcc
	s_cbranch_execz .LBB2837_149
.LBB2837_208:
	v_lshlrev_b32_e32 v0, 1, v41
	v_readfirstlane_b32 s4, v2
	v_readfirstlane_b32 s5, v3
	s_waitcnt lgkmcnt(14)
	s_nop 3
	global_store_short v0, v42, s[4:5]
	s_or_b64 exec, exec, s[2:3]
	v_cmp_lt_u32_e32 vcc, v39, v66
	s_and_saveexec_b64 s[2:3], vcc
	s_cbranch_execz .LBB2837_150
.LBB2837_209:
	v_lshlrev_b32_e32 v0, 1, v39
	v_readfirstlane_b32 s4, v2
	v_readfirstlane_b32 s5, v3
	s_waitcnt lgkmcnt(14)
	s_nop 3
	global_store_short v0, v40, s[4:5]
	s_or_b64 exec, exec, s[2:3]
	v_cmp_lt_u32_e32 vcc, v37, v66
	s_and_saveexec_b64 s[2:3], vcc
	s_cbranch_execz .LBB2837_151
.LBB2837_210:
	v_lshlrev_b32_e32 v0, 1, v37
	v_readfirstlane_b32 s4, v2
	v_readfirstlane_b32 s5, v3
	s_waitcnt lgkmcnt(13)
	s_nop 3
	global_store_short v0, v38, s[4:5]
	s_or_b64 exec, exec, s[2:3]
	v_cmp_lt_u32_e32 vcc, v34, v66
	s_and_saveexec_b64 s[2:3], vcc
	s_cbranch_execz .LBB2837_152
.LBB2837_211:
	v_lshlrev_b32_e32 v0, 1, v34
	v_readfirstlane_b32 s4, v2
	v_readfirstlane_b32 s5, v3
	s_waitcnt lgkmcnt(12)
	s_nop 3
	global_store_short v0, v35, s[4:5]
	s_or_b64 exec, exec, s[2:3]
	v_cmp_lt_u32_e32 vcc, v33, v66
	s_and_saveexec_b64 s[2:3], vcc
	s_cbranch_execz .LBB2837_153
.LBB2837_212:
	v_lshlrev_b32_e32 v0, 1, v33
	v_readfirstlane_b32 s4, v2
	v_readfirstlane_b32 s5, v3
	s_waitcnt lgkmcnt(11)
	s_nop 3
	global_store_short v0, v36, s[4:5]
	s_or_b64 exec, exec, s[2:3]
	v_cmp_lt_u32_e32 vcc, v31, v66
	s_and_saveexec_b64 s[2:3], vcc
	s_cbranch_execz .LBB2837_154
.LBB2837_213:
	v_lshlrev_b32_e32 v0, 1, v31
	v_readfirstlane_b32 s4, v2
	v_readfirstlane_b32 s5, v3
	s_waitcnt lgkmcnt(10)
	s_nop 3
	global_store_short v0, v32, s[4:5]
	s_or_b64 exec, exec, s[2:3]
	v_cmp_lt_u32_e32 vcc, v29, v66
	s_and_saveexec_b64 s[2:3], vcc
	s_cbranch_execz .LBB2837_155
.LBB2837_214:
	v_lshlrev_b32_e32 v0, 1, v29
	v_readfirstlane_b32 s4, v2
	v_readfirstlane_b32 s5, v3
	s_waitcnt lgkmcnt(9)
	s_nop 3
	global_store_short v0, v30, s[4:5]
	s_or_b64 exec, exec, s[2:3]
	v_cmp_lt_u32_e32 vcc, v27, v66
	s_and_saveexec_b64 s[2:3], vcc
	s_cbranch_execz .LBB2837_156
.LBB2837_215:
	v_lshlrev_b32_e32 v0, 1, v27
	v_readfirstlane_b32 s4, v2
	v_readfirstlane_b32 s5, v3
	s_waitcnt lgkmcnt(8)
	s_nop 3
	global_store_short v0, v28, s[4:5]
	s_or_b64 exec, exec, s[2:3]
	v_cmp_lt_u32_e32 vcc, v25, v66
	s_and_saveexec_b64 s[2:3], vcc
	s_cbranch_execz .LBB2837_157
.LBB2837_216:
	v_lshlrev_b32_e32 v0, 1, v25
	v_readfirstlane_b32 s4, v2
	v_readfirstlane_b32 s5, v3
	s_waitcnt lgkmcnt(7)
	s_nop 3
	global_store_short v0, v26, s[4:5]
	s_or_b64 exec, exec, s[2:3]
	v_cmp_lt_u32_e32 vcc, v23, v66
	s_and_saveexec_b64 s[2:3], vcc
	s_cbranch_execz .LBB2837_158
.LBB2837_217:
	v_lshlrev_b32_e32 v0, 1, v23
	v_readfirstlane_b32 s4, v2
	v_readfirstlane_b32 s5, v3
	s_waitcnt lgkmcnt(6)
	s_nop 3
	global_store_short v0, v24, s[4:5]
	s_or_b64 exec, exec, s[2:3]
	v_cmp_lt_u32_e32 vcc, v21, v66
	s_and_saveexec_b64 s[2:3], vcc
	s_cbranch_execz .LBB2837_159
.LBB2837_218:
	v_lshlrev_b32_e32 v0, 1, v21
	v_readfirstlane_b32 s4, v2
	v_readfirstlane_b32 s5, v3
	s_waitcnt lgkmcnt(5)
	s_nop 3
	global_store_short v0, v22, s[4:5]
	s_or_b64 exec, exec, s[2:3]
	v_cmp_lt_u32_e32 vcc, v17, v66
	s_and_saveexec_b64 s[2:3], vcc
	s_cbranch_execz .LBB2837_160
.LBB2837_219:
	v_lshlrev_b32_e32 v0, 1, v17
	v_readfirstlane_b32 s4, v2
	v_readfirstlane_b32 s5, v3
	s_waitcnt lgkmcnt(4)
	s_nop 3
	global_store_short v0, v20, s[4:5]
	s_or_b64 exec, exec, s[2:3]
	v_cmp_lt_u32_e32 vcc, v13, v66
	s_and_saveexec_b64 s[2:3], vcc
	s_cbranch_execz .LBB2837_161
.LBB2837_220:
	v_lshlrev_b32_e32 v0, 1, v13
	v_readfirstlane_b32 s4, v2
	v_readfirstlane_b32 s5, v3
	s_waitcnt lgkmcnt(3)
	s_nop 3
	global_store_short v0, v12, s[4:5]
	s_or_b64 exec, exec, s[2:3]
	v_cmp_lt_u32_e32 vcc, v11, v66
	s_and_saveexec_b64 s[2:3], vcc
	s_cbranch_execz .LBB2837_162
.LBB2837_221:
	v_lshlrev_b32_e32 v0, 1, v11
	v_readfirstlane_b32 s4, v2
	v_readfirstlane_b32 s5, v3
	s_waitcnt lgkmcnt(2)
	s_nop 3
	global_store_short v0, v10, s[4:5]
	s_or_b64 exec, exec, s[2:3]
	v_cmp_lt_u32_e32 vcc, v9, v66
	s_and_saveexec_b64 s[2:3], vcc
	s_cbranch_execnz .LBB2837_163
	s_branch .LBB2837_164
	.section	.rodata,"a",@progbits
	.p2align	6, 0x0
	.amdhsa_kernel _ZN7rocprim17ROCPRIM_400000_NS6detail17trampoline_kernelINS0_14default_configENS1_25partition_config_selectorILNS1_17partition_subalgoE0EsNS0_10empty_typeEbEEZZNS1_14partition_implILS5_0ELb0ES3_jN6thrust23THRUST_200600_302600_NS6detail15normal_iteratorINSA_10device_ptrIsEEEEPS6_SG_NS0_5tupleIJSF_NSA_16discard_iteratorINSA_11use_defaultEEEEEENSH_IJSG_SG_EEES6_PlJ7is_evenIsEEEE10hipError_tPvRmT3_T4_T5_T6_T7_T9_mT8_P12ihipStream_tbDpT10_ENKUlT_T0_E_clISt17integral_constantIbLb0EES18_IbLb1EEEEDaS14_S15_EUlS14_E_NS1_11comp_targetILNS1_3genE4ELNS1_11target_archE910ELNS1_3gpuE8ELNS1_3repE0EEENS1_30default_config_static_selectorELNS0_4arch9wavefront6targetE1EEEvT1_
		.amdhsa_group_segment_fixed_size 14344
		.amdhsa_private_segment_fixed_size 0
		.amdhsa_kernarg_size 144
		.amdhsa_user_sgpr_count 6
		.amdhsa_user_sgpr_private_segment_buffer 1
		.amdhsa_user_sgpr_dispatch_ptr 0
		.amdhsa_user_sgpr_queue_ptr 0
		.amdhsa_user_sgpr_kernarg_segment_ptr 1
		.amdhsa_user_sgpr_dispatch_id 0
		.amdhsa_user_sgpr_flat_scratch_init 0
		.amdhsa_user_sgpr_kernarg_preload_length 0
		.amdhsa_user_sgpr_kernarg_preload_offset 0
		.amdhsa_user_sgpr_private_segment_size 0
		.amdhsa_uses_dynamic_stack 0
		.amdhsa_system_sgpr_private_segment_wavefront_offset 0
		.amdhsa_system_sgpr_workgroup_id_x 1
		.amdhsa_system_sgpr_workgroup_id_y 0
		.amdhsa_system_sgpr_workgroup_id_z 0
		.amdhsa_system_sgpr_workgroup_info 0
		.amdhsa_system_vgpr_workitem_id 0
		.amdhsa_next_free_vgpr 116
		.amdhsa_next_free_sgpr 40
		.amdhsa_accum_offset 116
		.amdhsa_reserve_vcc 1
		.amdhsa_reserve_flat_scratch 0
		.amdhsa_float_round_mode_32 0
		.amdhsa_float_round_mode_16_64 0
		.amdhsa_float_denorm_mode_32 3
		.amdhsa_float_denorm_mode_16_64 3
		.amdhsa_dx10_clamp 1
		.amdhsa_ieee_mode 1
		.amdhsa_fp16_overflow 0
		.amdhsa_tg_split 0
		.amdhsa_exception_fp_ieee_invalid_op 0
		.amdhsa_exception_fp_denorm_src 0
		.amdhsa_exception_fp_ieee_div_zero 0
		.amdhsa_exception_fp_ieee_overflow 0
		.amdhsa_exception_fp_ieee_underflow 0
		.amdhsa_exception_fp_ieee_inexact 0
		.amdhsa_exception_int_div_zero 0
	.end_amdhsa_kernel
	.section	.text._ZN7rocprim17ROCPRIM_400000_NS6detail17trampoline_kernelINS0_14default_configENS1_25partition_config_selectorILNS1_17partition_subalgoE0EsNS0_10empty_typeEbEEZZNS1_14partition_implILS5_0ELb0ES3_jN6thrust23THRUST_200600_302600_NS6detail15normal_iteratorINSA_10device_ptrIsEEEEPS6_SG_NS0_5tupleIJSF_NSA_16discard_iteratorINSA_11use_defaultEEEEEENSH_IJSG_SG_EEES6_PlJ7is_evenIsEEEE10hipError_tPvRmT3_T4_T5_T6_T7_T9_mT8_P12ihipStream_tbDpT10_ENKUlT_T0_E_clISt17integral_constantIbLb0EES18_IbLb1EEEEDaS14_S15_EUlS14_E_NS1_11comp_targetILNS1_3genE4ELNS1_11target_archE910ELNS1_3gpuE8ELNS1_3repE0EEENS1_30default_config_static_selectorELNS0_4arch9wavefront6targetE1EEEvT1_,"axG",@progbits,_ZN7rocprim17ROCPRIM_400000_NS6detail17trampoline_kernelINS0_14default_configENS1_25partition_config_selectorILNS1_17partition_subalgoE0EsNS0_10empty_typeEbEEZZNS1_14partition_implILS5_0ELb0ES3_jN6thrust23THRUST_200600_302600_NS6detail15normal_iteratorINSA_10device_ptrIsEEEEPS6_SG_NS0_5tupleIJSF_NSA_16discard_iteratorINSA_11use_defaultEEEEEENSH_IJSG_SG_EEES6_PlJ7is_evenIsEEEE10hipError_tPvRmT3_T4_T5_T6_T7_T9_mT8_P12ihipStream_tbDpT10_ENKUlT_T0_E_clISt17integral_constantIbLb0EES18_IbLb1EEEEDaS14_S15_EUlS14_E_NS1_11comp_targetILNS1_3genE4ELNS1_11target_archE910ELNS1_3gpuE8ELNS1_3repE0EEENS1_30default_config_static_selectorELNS0_4arch9wavefront6targetE1EEEvT1_,comdat
.Lfunc_end2837:
	.size	_ZN7rocprim17ROCPRIM_400000_NS6detail17trampoline_kernelINS0_14default_configENS1_25partition_config_selectorILNS1_17partition_subalgoE0EsNS0_10empty_typeEbEEZZNS1_14partition_implILS5_0ELb0ES3_jN6thrust23THRUST_200600_302600_NS6detail15normal_iteratorINSA_10device_ptrIsEEEEPS6_SG_NS0_5tupleIJSF_NSA_16discard_iteratorINSA_11use_defaultEEEEEENSH_IJSG_SG_EEES6_PlJ7is_evenIsEEEE10hipError_tPvRmT3_T4_T5_T6_T7_T9_mT8_P12ihipStream_tbDpT10_ENKUlT_T0_E_clISt17integral_constantIbLb0EES18_IbLb1EEEEDaS14_S15_EUlS14_E_NS1_11comp_targetILNS1_3genE4ELNS1_11target_archE910ELNS1_3gpuE8ELNS1_3repE0EEENS1_30default_config_static_selectorELNS0_4arch9wavefront6targetE1EEEvT1_, .Lfunc_end2837-_ZN7rocprim17ROCPRIM_400000_NS6detail17trampoline_kernelINS0_14default_configENS1_25partition_config_selectorILNS1_17partition_subalgoE0EsNS0_10empty_typeEbEEZZNS1_14partition_implILS5_0ELb0ES3_jN6thrust23THRUST_200600_302600_NS6detail15normal_iteratorINSA_10device_ptrIsEEEEPS6_SG_NS0_5tupleIJSF_NSA_16discard_iteratorINSA_11use_defaultEEEEEENSH_IJSG_SG_EEES6_PlJ7is_evenIsEEEE10hipError_tPvRmT3_T4_T5_T6_T7_T9_mT8_P12ihipStream_tbDpT10_ENKUlT_T0_E_clISt17integral_constantIbLb0EES18_IbLb1EEEEDaS14_S15_EUlS14_E_NS1_11comp_targetILNS1_3genE4ELNS1_11target_archE910ELNS1_3gpuE8ELNS1_3repE0EEENS1_30default_config_static_selectorELNS0_4arch9wavefront6targetE1EEEvT1_
                                        ; -- End function
	.section	.AMDGPU.csdata,"",@progbits
; Kernel info:
; codeLenInByte = 10356
; NumSgprs: 44
; NumVgprs: 116
; NumAgprs: 0
; TotalNumVgprs: 116
; ScratchSize: 0
; MemoryBound: 0
; FloatMode: 240
; IeeeMode: 1
; LDSByteSize: 14344 bytes/workgroup (compile time only)
; SGPRBlocks: 5
; VGPRBlocks: 14
; NumSGPRsForWavesPerEU: 44
; NumVGPRsForWavesPerEU: 116
; AccumOffset: 116
; Occupancy: 4
; WaveLimiterHint : 1
; COMPUTE_PGM_RSRC2:SCRATCH_EN: 0
; COMPUTE_PGM_RSRC2:USER_SGPR: 6
; COMPUTE_PGM_RSRC2:TRAP_HANDLER: 0
; COMPUTE_PGM_RSRC2:TGID_X_EN: 1
; COMPUTE_PGM_RSRC2:TGID_Y_EN: 0
; COMPUTE_PGM_RSRC2:TGID_Z_EN: 0
; COMPUTE_PGM_RSRC2:TIDIG_COMP_CNT: 0
; COMPUTE_PGM_RSRC3_GFX90A:ACCUM_OFFSET: 28
; COMPUTE_PGM_RSRC3_GFX90A:TG_SPLIT: 0
	.section	.text._ZN7rocprim17ROCPRIM_400000_NS6detail17trampoline_kernelINS0_14default_configENS1_25partition_config_selectorILNS1_17partition_subalgoE0EsNS0_10empty_typeEbEEZZNS1_14partition_implILS5_0ELb0ES3_jN6thrust23THRUST_200600_302600_NS6detail15normal_iteratorINSA_10device_ptrIsEEEEPS6_SG_NS0_5tupleIJSF_NSA_16discard_iteratorINSA_11use_defaultEEEEEENSH_IJSG_SG_EEES6_PlJ7is_evenIsEEEE10hipError_tPvRmT3_T4_T5_T6_T7_T9_mT8_P12ihipStream_tbDpT10_ENKUlT_T0_E_clISt17integral_constantIbLb0EES18_IbLb1EEEEDaS14_S15_EUlS14_E_NS1_11comp_targetILNS1_3genE3ELNS1_11target_archE908ELNS1_3gpuE7ELNS1_3repE0EEENS1_30default_config_static_selectorELNS0_4arch9wavefront6targetE1EEEvT1_,"axG",@progbits,_ZN7rocprim17ROCPRIM_400000_NS6detail17trampoline_kernelINS0_14default_configENS1_25partition_config_selectorILNS1_17partition_subalgoE0EsNS0_10empty_typeEbEEZZNS1_14partition_implILS5_0ELb0ES3_jN6thrust23THRUST_200600_302600_NS6detail15normal_iteratorINSA_10device_ptrIsEEEEPS6_SG_NS0_5tupleIJSF_NSA_16discard_iteratorINSA_11use_defaultEEEEEENSH_IJSG_SG_EEES6_PlJ7is_evenIsEEEE10hipError_tPvRmT3_T4_T5_T6_T7_T9_mT8_P12ihipStream_tbDpT10_ENKUlT_T0_E_clISt17integral_constantIbLb0EES18_IbLb1EEEEDaS14_S15_EUlS14_E_NS1_11comp_targetILNS1_3genE3ELNS1_11target_archE908ELNS1_3gpuE7ELNS1_3repE0EEENS1_30default_config_static_selectorELNS0_4arch9wavefront6targetE1EEEvT1_,comdat
	.protected	_ZN7rocprim17ROCPRIM_400000_NS6detail17trampoline_kernelINS0_14default_configENS1_25partition_config_selectorILNS1_17partition_subalgoE0EsNS0_10empty_typeEbEEZZNS1_14partition_implILS5_0ELb0ES3_jN6thrust23THRUST_200600_302600_NS6detail15normal_iteratorINSA_10device_ptrIsEEEEPS6_SG_NS0_5tupleIJSF_NSA_16discard_iteratorINSA_11use_defaultEEEEEENSH_IJSG_SG_EEES6_PlJ7is_evenIsEEEE10hipError_tPvRmT3_T4_T5_T6_T7_T9_mT8_P12ihipStream_tbDpT10_ENKUlT_T0_E_clISt17integral_constantIbLb0EES18_IbLb1EEEEDaS14_S15_EUlS14_E_NS1_11comp_targetILNS1_3genE3ELNS1_11target_archE908ELNS1_3gpuE7ELNS1_3repE0EEENS1_30default_config_static_selectorELNS0_4arch9wavefront6targetE1EEEvT1_ ; -- Begin function _ZN7rocprim17ROCPRIM_400000_NS6detail17trampoline_kernelINS0_14default_configENS1_25partition_config_selectorILNS1_17partition_subalgoE0EsNS0_10empty_typeEbEEZZNS1_14partition_implILS5_0ELb0ES3_jN6thrust23THRUST_200600_302600_NS6detail15normal_iteratorINSA_10device_ptrIsEEEEPS6_SG_NS0_5tupleIJSF_NSA_16discard_iteratorINSA_11use_defaultEEEEEENSH_IJSG_SG_EEES6_PlJ7is_evenIsEEEE10hipError_tPvRmT3_T4_T5_T6_T7_T9_mT8_P12ihipStream_tbDpT10_ENKUlT_T0_E_clISt17integral_constantIbLb0EES18_IbLb1EEEEDaS14_S15_EUlS14_E_NS1_11comp_targetILNS1_3genE3ELNS1_11target_archE908ELNS1_3gpuE7ELNS1_3repE0EEENS1_30default_config_static_selectorELNS0_4arch9wavefront6targetE1EEEvT1_
	.globl	_ZN7rocprim17ROCPRIM_400000_NS6detail17trampoline_kernelINS0_14default_configENS1_25partition_config_selectorILNS1_17partition_subalgoE0EsNS0_10empty_typeEbEEZZNS1_14partition_implILS5_0ELb0ES3_jN6thrust23THRUST_200600_302600_NS6detail15normal_iteratorINSA_10device_ptrIsEEEEPS6_SG_NS0_5tupleIJSF_NSA_16discard_iteratorINSA_11use_defaultEEEEEENSH_IJSG_SG_EEES6_PlJ7is_evenIsEEEE10hipError_tPvRmT3_T4_T5_T6_T7_T9_mT8_P12ihipStream_tbDpT10_ENKUlT_T0_E_clISt17integral_constantIbLb0EES18_IbLb1EEEEDaS14_S15_EUlS14_E_NS1_11comp_targetILNS1_3genE3ELNS1_11target_archE908ELNS1_3gpuE7ELNS1_3repE0EEENS1_30default_config_static_selectorELNS0_4arch9wavefront6targetE1EEEvT1_
	.p2align	8
	.type	_ZN7rocprim17ROCPRIM_400000_NS6detail17trampoline_kernelINS0_14default_configENS1_25partition_config_selectorILNS1_17partition_subalgoE0EsNS0_10empty_typeEbEEZZNS1_14partition_implILS5_0ELb0ES3_jN6thrust23THRUST_200600_302600_NS6detail15normal_iteratorINSA_10device_ptrIsEEEEPS6_SG_NS0_5tupleIJSF_NSA_16discard_iteratorINSA_11use_defaultEEEEEENSH_IJSG_SG_EEES6_PlJ7is_evenIsEEEE10hipError_tPvRmT3_T4_T5_T6_T7_T9_mT8_P12ihipStream_tbDpT10_ENKUlT_T0_E_clISt17integral_constantIbLb0EES18_IbLb1EEEEDaS14_S15_EUlS14_E_NS1_11comp_targetILNS1_3genE3ELNS1_11target_archE908ELNS1_3gpuE7ELNS1_3repE0EEENS1_30default_config_static_selectorELNS0_4arch9wavefront6targetE1EEEvT1_,@function
_ZN7rocprim17ROCPRIM_400000_NS6detail17trampoline_kernelINS0_14default_configENS1_25partition_config_selectorILNS1_17partition_subalgoE0EsNS0_10empty_typeEbEEZZNS1_14partition_implILS5_0ELb0ES3_jN6thrust23THRUST_200600_302600_NS6detail15normal_iteratorINSA_10device_ptrIsEEEEPS6_SG_NS0_5tupleIJSF_NSA_16discard_iteratorINSA_11use_defaultEEEEEENSH_IJSG_SG_EEES6_PlJ7is_evenIsEEEE10hipError_tPvRmT3_T4_T5_T6_T7_T9_mT8_P12ihipStream_tbDpT10_ENKUlT_T0_E_clISt17integral_constantIbLb0EES18_IbLb1EEEEDaS14_S15_EUlS14_E_NS1_11comp_targetILNS1_3genE3ELNS1_11target_archE908ELNS1_3gpuE7ELNS1_3repE0EEENS1_30default_config_static_selectorELNS0_4arch9wavefront6targetE1EEEvT1_: ; @_ZN7rocprim17ROCPRIM_400000_NS6detail17trampoline_kernelINS0_14default_configENS1_25partition_config_selectorILNS1_17partition_subalgoE0EsNS0_10empty_typeEbEEZZNS1_14partition_implILS5_0ELb0ES3_jN6thrust23THRUST_200600_302600_NS6detail15normal_iteratorINSA_10device_ptrIsEEEEPS6_SG_NS0_5tupleIJSF_NSA_16discard_iteratorINSA_11use_defaultEEEEEENSH_IJSG_SG_EEES6_PlJ7is_evenIsEEEE10hipError_tPvRmT3_T4_T5_T6_T7_T9_mT8_P12ihipStream_tbDpT10_ENKUlT_T0_E_clISt17integral_constantIbLb0EES18_IbLb1EEEEDaS14_S15_EUlS14_E_NS1_11comp_targetILNS1_3genE3ELNS1_11target_archE908ELNS1_3gpuE7ELNS1_3repE0EEENS1_30default_config_static_selectorELNS0_4arch9wavefront6targetE1EEEvT1_
; %bb.0:
	.section	.rodata,"a",@progbits
	.p2align	6, 0x0
	.amdhsa_kernel _ZN7rocprim17ROCPRIM_400000_NS6detail17trampoline_kernelINS0_14default_configENS1_25partition_config_selectorILNS1_17partition_subalgoE0EsNS0_10empty_typeEbEEZZNS1_14partition_implILS5_0ELb0ES3_jN6thrust23THRUST_200600_302600_NS6detail15normal_iteratorINSA_10device_ptrIsEEEEPS6_SG_NS0_5tupleIJSF_NSA_16discard_iteratorINSA_11use_defaultEEEEEENSH_IJSG_SG_EEES6_PlJ7is_evenIsEEEE10hipError_tPvRmT3_T4_T5_T6_T7_T9_mT8_P12ihipStream_tbDpT10_ENKUlT_T0_E_clISt17integral_constantIbLb0EES18_IbLb1EEEEDaS14_S15_EUlS14_E_NS1_11comp_targetILNS1_3genE3ELNS1_11target_archE908ELNS1_3gpuE7ELNS1_3repE0EEENS1_30default_config_static_selectorELNS0_4arch9wavefront6targetE1EEEvT1_
		.amdhsa_group_segment_fixed_size 0
		.amdhsa_private_segment_fixed_size 0
		.amdhsa_kernarg_size 144
		.amdhsa_user_sgpr_count 6
		.amdhsa_user_sgpr_private_segment_buffer 1
		.amdhsa_user_sgpr_dispatch_ptr 0
		.amdhsa_user_sgpr_queue_ptr 0
		.amdhsa_user_sgpr_kernarg_segment_ptr 1
		.amdhsa_user_sgpr_dispatch_id 0
		.amdhsa_user_sgpr_flat_scratch_init 0
		.amdhsa_user_sgpr_kernarg_preload_length 0
		.amdhsa_user_sgpr_kernarg_preload_offset 0
		.amdhsa_user_sgpr_private_segment_size 0
		.amdhsa_uses_dynamic_stack 0
		.amdhsa_system_sgpr_private_segment_wavefront_offset 0
		.amdhsa_system_sgpr_workgroup_id_x 1
		.amdhsa_system_sgpr_workgroup_id_y 0
		.amdhsa_system_sgpr_workgroup_id_z 0
		.amdhsa_system_sgpr_workgroup_info 0
		.amdhsa_system_vgpr_workitem_id 0
		.amdhsa_next_free_vgpr 1
		.amdhsa_next_free_sgpr 0
		.amdhsa_accum_offset 4
		.amdhsa_reserve_vcc 0
		.amdhsa_reserve_flat_scratch 0
		.amdhsa_float_round_mode_32 0
		.amdhsa_float_round_mode_16_64 0
		.amdhsa_float_denorm_mode_32 3
		.amdhsa_float_denorm_mode_16_64 3
		.amdhsa_dx10_clamp 1
		.amdhsa_ieee_mode 1
		.amdhsa_fp16_overflow 0
		.amdhsa_tg_split 0
		.amdhsa_exception_fp_ieee_invalid_op 0
		.amdhsa_exception_fp_denorm_src 0
		.amdhsa_exception_fp_ieee_div_zero 0
		.amdhsa_exception_fp_ieee_overflow 0
		.amdhsa_exception_fp_ieee_underflow 0
		.amdhsa_exception_fp_ieee_inexact 0
		.amdhsa_exception_int_div_zero 0
	.end_amdhsa_kernel
	.section	.text._ZN7rocprim17ROCPRIM_400000_NS6detail17trampoline_kernelINS0_14default_configENS1_25partition_config_selectorILNS1_17partition_subalgoE0EsNS0_10empty_typeEbEEZZNS1_14partition_implILS5_0ELb0ES3_jN6thrust23THRUST_200600_302600_NS6detail15normal_iteratorINSA_10device_ptrIsEEEEPS6_SG_NS0_5tupleIJSF_NSA_16discard_iteratorINSA_11use_defaultEEEEEENSH_IJSG_SG_EEES6_PlJ7is_evenIsEEEE10hipError_tPvRmT3_T4_T5_T6_T7_T9_mT8_P12ihipStream_tbDpT10_ENKUlT_T0_E_clISt17integral_constantIbLb0EES18_IbLb1EEEEDaS14_S15_EUlS14_E_NS1_11comp_targetILNS1_3genE3ELNS1_11target_archE908ELNS1_3gpuE7ELNS1_3repE0EEENS1_30default_config_static_selectorELNS0_4arch9wavefront6targetE1EEEvT1_,"axG",@progbits,_ZN7rocprim17ROCPRIM_400000_NS6detail17trampoline_kernelINS0_14default_configENS1_25partition_config_selectorILNS1_17partition_subalgoE0EsNS0_10empty_typeEbEEZZNS1_14partition_implILS5_0ELb0ES3_jN6thrust23THRUST_200600_302600_NS6detail15normal_iteratorINSA_10device_ptrIsEEEEPS6_SG_NS0_5tupleIJSF_NSA_16discard_iteratorINSA_11use_defaultEEEEEENSH_IJSG_SG_EEES6_PlJ7is_evenIsEEEE10hipError_tPvRmT3_T4_T5_T6_T7_T9_mT8_P12ihipStream_tbDpT10_ENKUlT_T0_E_clISt17integral_constantIbLb0EES18_IbLb1EEEEDaS14_S15_EUlS14_E_NS1_11comp_targetILNS1_3genE3ELNS1_11target_archE908ELNS1_3gpuE7ELNS1_3repE0EEENS1_30default_config_static_selectorELNS0_4arch9wavefront6targetE1EEEvT1_,comdat
.Lfunc_end2838:
	.size	_ZN7rocprim17ROCPRIM_400000_NS6detail17trampoline_kernelINS0_14default_configENS1_25partition_config_selectorILNS1_17partition_subalgoE0EsNS0_10empty_typeEbEEZZNS1_14partition_implILS5_0ELb0ES3_jN6thrust23THRUST_200600_302600_NS6detail15normal_iteratorINSA_10device_ptrIsEEEEPS6_SG_NS0_5tupleIJSF_NSA_16discard_iteratorINSA_11use_defaultEEEEEENSH_IJSG_SG_EEES6_PlJ7is_evenIsEEEE10hipError_tPvRmT3_T4_T5_T6_T7_T9_mT8_P12ihipStream_tbDpT10_ENKUlT_T0_E_clISt17integral_constantIbLb0EES18_IbLb1EEEEDaS14_S15_EUlS14_E_NS1_11comp_targetILNS1_3genE3ELNS1_11target_archE908ELNS1_3gpuE7ELNS1_3repE0EEENS1_30default_config_static_selectorELNS0_4arch9wavefront6targetE1EEEvT1_, .Lfunc_end2838-_ZN7rocprim17ROCPRIM_400000_NS6detail17trampoline_kernelINS0_14default_configENS1_25partition_config_selectorILNS1_17partition_subalgoE0EsNS0_10empty_typeEbEEZZNS1_14partition_implILS5_0ELb0ES3_jN6thrust23THRUST_200600_302600_NS6detail15normal_iteratorINSA_10device_ptrIsEEEEPS6_SG_NS0_5tupleIJSF_NSA_16discard_iteratorINSA_11use_defaultEEEEEENSH_IJSG_SG_EEES6_PlJ7is_evenIsEEEE10hipError_tPvRmT3_T4_T5_T6_T7_T9_mT8_P12ihipStream_tbDpT10_ENKUlT_T0_E_clISt17integral_constantIbLb0EES18_IbLb1EEEEDaS14_S15_EUlS14_E_NS1_11comp_targetILNS1_3genE3ELNS1_11target_archE908ELNS1_3gpuE7ELNS1_3repE0EEENS1_30default_config_static_selectorELNS0_4arch9wavefront6targetE1EEEvT1_
                                        ; -- End function
	.section	.AMDGPU.csdata,"",@progbits
; Kernel info:
; codeLenInByte = 0
; NumSgprs: 4
; NumVgprs: 0
; NumAgprs: 0
; TotalNumVgprs: 0
; ScratchSize: 0
; MemoryBound: 0
; FloatMode: 240
; IeeeMode: 1
; LDSByteSize: 0 bytes/workgroup (compile time only)
; SGPRBlocks: 0
; VGPRBlocks: 0
; NumSGPRsForWavesPerEU: 4
; NumVGPRsForWavesPerEU: 1
; AccumOffset: 4
; Occupancy: 8
; WaveLimiterHint : 0
; COMPUTE_PGM_RSRC2:SCRATCH_EN: 0
; COMPUTE_PGM_RSRC2:USER_SGPR: 6
; COMPUTE_PGM_RSRC2:TRAP_HANDLER: 0
; COMPUTE_PGM_RSRC2:TGID_X_EN: 1
; COMPUTE_PGM_RSRC2:TGID_Y_EN: 0
; COMPUTE_PGM_RSRC2:TGID_Z_EN: 0
; COMPUTE_PGM_RSRC2:TIDIG_COMP_CNT: 0
; COMPUTE_PGM_RSRC3_GFX90A:ACCUM_OFFSET: 0
; COMPUTE_PGM_RSRC3_GFX90A:TG_SPLIT: 0
	.section	.text._ZN7rocprim17ROCPRIM_400000_NS6detail17trampoline_kernelINS0_14default_configENS1_25partition_config_selectorILNS1_17partition_subalgoE0EsNS0_10empty_typeEbEEZZNS1_14partition_implILS5_0ELb0ES3_jN6thrust23THRUST_200600_302600_NS6detail15normal_iteratorINSA_10device_ptrIsEEEEPS6_SG_NS0_5tupleIJSF_NSA_16discard_iteratorINSA_11use_defaultEEEEEENSH_IJSG_SG_EEES6_PlJ7is_evenIsEEEE10hipError_tPvRmT3_T4_T5_T6_T7_T9_mT8_P12ihipStream_tbDpT10_ENKUlT_T0_E_clISt17integral_constantIbLb0EES18_IbLb1EEEEDaS14_S15_EUlS14_E_NS1_11comp_targetILNS1_3genE2ELNS1_11target_archE906ELNS1_3gpuE6ELNS1_3repE0EEENS1_30default_config_static_selectorELNS0_4arch9wavefront6targetE1EEEvT1_,"axG",@progbits,_ZN7rocprim17ROCPRIM_400000_NS6detail17trampoline_kernelINS0_14default_configENS1_25partition_config_selectorILNS1_17partition_subalgoE0EsNS0_10empty_typeEbEEZZNS1_14partition_implILS5_0ELb0ES3_jN6thrust23THRUST_200600_302600_NS6detail15normal_iteratorINSA_10device_ptrIsEEEEPS6_SG_NS0_5tupleIJSF_NSA_16discard_iteratorINSA_11use_defaultEEEEEENSH_IJSG_SG_EEES6_PlJ7is_evenIsEEEE10hipError_tPvRmT3_T4_T5_T6_T7_T9_mT8_P12ihipStream_tbDpT10_ENKUlT_T0_E_clISt17integral_constantIbLb0EES18_IbLb1EEEEDaS14_S15_EUlS14_E_NS1_11comp_targetILNS1_3genE2ELNS1_11target_archE906ELNS1_3gpuE6ELNS1_3repE0EEENS1_30default_config_static_selectorELNS0_4arch9wavefront6targetE1EEEvT1_,comdat
	.protected	_ZN7rocprim17ROCPRIM_400000_NS6detail17trampoline_kernelINS0_14default_configENS1_25partition_config_selectorILNS1_17partition_subalgoE0EsNS0_10empty_typeEbEEZZNS1_14partition_implILS5_0ELb0ES3_jN6thrust23THRUST_200600_302600_NS6detail15normal_iteratorINSA_10device_ptrIsEEEEPS6_SG_NS0_5tupleIJSF_NSA_16discard_iteratorINSA_11use_defaultEEEEEENSH_IJSG_SG_EEES6_PlJ7is_evenIsEEEE10hipError_tPvRmT3_T4_T5_T6_T7_T9_mT8_P12ihipStream_tbDpT10_ENKUlT_T0_E_clISt17integral_constantIbLb0EES18_IbLb1EEEEDaS14_S15_EUlS14_E_NS1_11comp_targetILNS1_3genE2ELNS1_11target_archE906ELNS1_3gpuE6ELNS1_3repE0EEENS1_30default_config_static_selectorELNS0_4arch9wavefront6targetE1EEEvT1_ ; -- Begin function _ZN7rocprim17ROCPRIM_400000_NS6detail17trampoline_kernelINS0_14default_configENS1_25partition_config_selectorILNS1_17partition_subalgoE0EsNS0_10empty_typeEbEEZZNS1_14partition_implILS5_0ELb0ES3_jN6thrust23THRUST_200600_302600_NS6detail15normal_iteratorINSA_10device_ptrIsEEEEPS6_SG_NS0_5tupleIJSF_NSA_16discard_iteratorINSA_11use_defaultEEEEEENSH_IJSG_SG_EEES6_PlJ7is_evenIsEEEE10hipError_tPvRmT3_T4_T5_T6_T7_T9_mT8_P12ihipStream_tbDpT10_ENKUlT_T0_E_clISt17integral_constantIbLb0EES18_IbLb1EEEEDaS14_S15_EUlS14_E_NS1_11comp_targetILNS1_3genE2ELNS1_11target_archE906ELNS1_3gpuE6ELNS1_3repE0EEENS1_30default_config_static_selectorELNS0_4arch9wavefront6targetE1EEEvT1_
	.globl	_ZN7rocprim17ROCPRIM_400000_NS6detail17trampoline_kernelINS0_14default_configENS1_25partition_config_selectorILNS1_17partition_subalgoE0EsNS0_10empty_typeEbEEZZNS1_14partition_implILS5_0ELb0ES3_jN6thrust23THRUST_200600_302600_NS6detail15normal_iteratorINSA_10device_ptrIsEEEEPS6_SG_NS0_5tupleIJSF_NSA_16discard_iteratorINSA_11use_defaultEEEEEENSH_IJSG_SG_EEES6_PlJ7is_evenIsEEEE10hipError_tPvRmT3_T4_T5_T6_T7_T9_mT8_P12ihipStream_tbDpT10_ENKUlT_T0_E_clISt17integral_constantIbLb0EES18_IbLb1EEEEDaS14_S15_EUlS14_E_NS1_11comp_targetILNS1_3genE2ELNS1_11target_archE906ELNS1_3gpuE6ELNS1_3repE0EEENS1_30default_config_static_selectorELNS0_4arch9wavefront6targetE1EEEvT1_
	.p2align	8
	.type	_ZN7rocprim17ROCPRIM_400000_NS6detail17trampoline_kernelINS0_14default_configENS1_25partition_config_selectorILNS1_17partition_subalgoE0EsNS0_10empty_typeEbEEZZNS1_14partition_implILS5_0ELb0ES3_jN6thrust23THRUST_200600_302600_NS6detail15normal_iteratorINSA_10device_ptrIsEEEEPS6_SG_NS0_5tupleIJSF_NSA_16discard_iteratorINSA_11use_defaultEEEEEENSH_IJSG_SG_EEES6_PlJ7is_evenIsEEEE10hipError_tPvRmT3_T4_T5_T6_T7_T9_mT8_P12ihipStream_tbDpT10_ENKUlT_T0_E_clISt17integral_constantIbLb0EES18_IbLb1EEEEDaS14_S15_EUlS14_E_NS1_11comp_targetILNS1_3genE2ELNS1_11target_archE906ELNS1_3gpuE6ELNS1_3repE0EEENS1_30default_config_static_selectorELNS0_4arch9wavefront6targetE1EEEvT1_,@function
_ZN7rocprim17ROCPRIM_400000_NS6detail17trampoline_kernelINS0_14default_configENS1_25partition_config_selectorILNS1_17partition_subalgoE0EsNS0_10empty_typeEbEEZZNS1_14partition_implILS5_0ELb0ES3_jN6thrust23THRUST_200600_302600_NS6detail15normal_iteratorINSA_10device_ptrIsEEEEPS6_SG_NS0_5tupleIJSF_NSA_16discard_iteratorINSA_11use_defaultEEEEEENSH_IJSG_SG_EEES6_PlJ7is_evenIsEEEE10hipError_tPvRmT3_T4_T5_T6_T7_T9_mT8_P12ihipStream_tbDpT10_ENKUlT_T0_E_clISt17integral_constantIbLb0EES18_IbLb1EEEEDaS14_S15_EUlS14_E_NS1_11comp_targetILNS1_3genE2ELNS1_11target_archE906ELNS1_3gpuE6ELNS1_3repE0EEENS1_30default_config_static_selectorELNS0_4arch9wavefront6targetE1EEEvT1_: ; @_ZN7rocprim17ROCPRIM_400000_NS6detail17trampoline_kernelINS0_14default_configENS1_25partition_config_selectorILNS1_17partition_subalgoE0EsNS0_10empty_typeEbEEZZNS1_14partition_implILS5_0ELb0ES3_jN6thrust23THRUST_200600_302600_NS6detail15normal_iteratorINSA_10device_ptrIsEEEEPS6_SG_NS0_5tupleIJSF_NSA_16discard_iteratorINSA_11use_defaultEEEEEENSH_IJSG_SG_EEES6_PlJ7is_evenIsEEEE10hipError_tPvRmT3_T4_T5_T6_T7_T9_mT8_P12ihipStream_tbDpT10_ENKUlT_T0_E_clISt17integral_constantIbLb0EES18_IbLb1EEEEDaS14_S15_EUlS14_E_NS1_11comp_targetILNS1_3genE2ELNS1_11target_archE906ELNS1_3gpuE6ELNS1_3repE0EEENS1_30default_config_static_selectorELNS0_4arch9wavefront6targetE1EEEvT1_
; %bb.0:
	.section	.rodata,"a",@progbits
	.p2align	6, 0x0
	.amdhsa_kernel _ZN7rocprim17ROCPRIM_400000_NS6detail17trampoline_kernelINS0_14default_configENS1_25partition_config_selectorILNS1_17partition_subalgoE0EsNS0_10empty_typeEbEEZZNS1_14partition_implILS5_0ELb0ES3_jN6thrust23THRUST_200600_302600_NS6detail15normal_iteratorINSA_10device_ptrIsEEEEPS6_SG_NS0_5tupleIJSF_NSA_16discard_iteratorINSA_11use_defaultEEEEEENSH_IJSG_SG_EEES6_PlJ7is_evenIsEEEE10hipError_tPvRmT3_T4_T5_T6_T7_T9_mT8_P12ihipStream_tbDpT10_ENKUlT_T0_E_clISt17integral_constantIbLb0EES18_IbLb1EEEEDaS14_S15_EUlS14_E_NS1_11comp_targetILNS1_3genE2ELNS1_11target_archE906ELNS1_3gpuE6ELNS1_3repE0EEENS1_30default_config_static_selectorELNS0_4arch9wavefront6targetE1EEEvT1_
		.amdhsa_group_segment_fixed_size 0
		.amdhsa_private_segment_fixed_size 0
		.amdhsa_kernarg_size 144
		.amdhsa_user_sgpr_count 6
		.amdhsa_user_sgpr_private_segment_buffer 1
		.amdhsa_user_sgpr_dispatch_ptr 0
		.amdhsa_user_sgpr_queue_ptr 0
		.amdhsa_user_sgpr_kernarg_segment_ptr 1
		.amdhsa_user_sgpr_dispatch_id 0
		.amdhsa_user_sgpr_flat_scratch_init 0
		.amdhsa_user_sgpr_kernarg_preload_length 0
		.amdhsa_user_sgpr_kernarg_preload_offset 0
		.amdhsa_user_sgpr_private_segment_size 0
		.amdhsa_uses_dynamic_stack 0
		.amdhsa_system_sgpr_private_segment_wavefront_offset 0
		.amdhsa_system_sgpr_workgroup_id_x 1
		.amdhsa_system_sgpr_workgroup_id_y 0
		.amdhsa_system_sgpr_workgroup_id_z 0
		.amdhsa_system_sgpr_workgroup_info 0
		.amdhsa_system_vgpr_workitem_id 0
		.amdhsa_next_free_vgpr 1
		.amdhsa_next_free_sgpr 0
		.amdhsa_accum_offset 4
		.amdhsa_reserve_vcc 0
		.amdhsa_reserve_flat_scratch 0
		.amdhsa_float_round_mode_32 0
		.amdhsa_float_round_mode_16_64 0
		.amdhsa_float_denorm_mode_32 3
		.amdhsa_float_denorm_mode_16_64 3
		.amdhsa_dx10_clamp 1
		.amdhsa_ieee_mode 1
		.amdhsa_fp16_overflow 0
		.amdhsa_tg_split 0
		.amdhsa_exception_fp_ieee_invalid_op 0
		.amdhsa_exception_fp_denorm_src 0
		.amdhsa_exception_fp_ieee_div_zero 0
		.amdhsa_exception_fp_ieee_overflow 0
		.amdhsa_exception_fp_ieee_underflow 0
		.amdhsa_exception_fp_ieee_inexact 0
		.amdhsa_exception_int_div_zero 0
	.end_amdhsa_kernel
	.section	.text._ZN7rocprim17ROCPRIM_400000_NS6detail17trampoline_kernelINS0_14default_configENS1_25partition_config_selectorILNS1_17partition_subalgoE0EsNS0_10empty_typeEbEEZZNS1_14partition_implILS5_0ELb0ES3_jN6thrust23THRUST_200600_302600_NS6detail15normal_iteratorINSA_10device_ptrIsEEEEPS6_SG_NS0_5tupleIJSF_NSA_16discard_iteratorINSA_11use_defaultEEEEEENSH_IJSG_SG_EEES6_PlJ7is_evenIsEEEE10hipError_tPvRmT3_T4_T5_T6_T7_T9_mT8_P12ihipStream_tbDpT10_ENKUlT_T0_E_clISt17integral_constantIbLb0EES18_IbLb1EEEEDaS14_S15_EUlS14_E_NS1_11comp_targetILNS1_3genE2ELNS1_11target_archE906ELNS1_3gpuE6ELNS1_3repE0EEENS1_30default_config_static_selectorELNS0_4arch9wavefront6targetE1EEEvT1_,"axG",@progbits,_ZN7rocprim17ROCPRIM_400000_NS6detail17trampoline_kernelINS0_14default_configENS1_25partition_config_selectorILNS1_17partition_subalgoE0EsNS0_10empty_typeEbEEZZNS1_14partition_implILS5_0ELb0ES3_jN6thrust23THRUST_200600_302600_NS6detail15normal_iteratorINSA_10device_ptrIsEEEEPS6_SG_NS0_5tupleIJSF_NSA_16discard_iteratorINSA_11use_defaultEEEEEENSH_IJSG_SG_EEES6_PlJ7is_evenIsEEEE10hipError_tPvRmT3_T4_T5_T6_T7_T9_mT8_P12ihipStream_tbDpT10_ENKUlT_T0_E_clISt17integral_constantIbLb0EES18_IbLb1EEEEDaS14_S15_EUlS14_E_NS1_11comp_targetILNS1_3genE2ELNS1_11target_archE906ELNS1_3gpuE6ELNS1_3repE0EEENS1_30default_config_static_selectorELNS0_4arch9wavefront6targetE1EEEvT1_,comdat
.Lfunc_end2839:
	.size	_ZN7rocprim17ROCPRIM_400000_NS6detail17trampoline_kernelINS0_14default_configENS1_25partition_config_selectorILNS1_17partition_subalgoE0EsNS0_10empty_typeEbEEZZNS1_14partition_implILS5_0ELb0ES3_jN6thrust23THRUST_200600_302600_NS6detail15normal_iteratorINSA_10device_ptrIsEEEEPS6_SG_NS0_5tupleIJSF_NSA_16discard_iteratorINSA_11use_defaultEEEEEENSH_IJSG_SG_EEES6_PlJ7is_evenIsEEEE10hipError_tPvRmT3_T4_T5_T6_T7_T9_mT8_P12ihipStream_tbDpT10_ENKUlT_T0_E_clISt17integral_constantIbLb0EES18_IbLb1EEEEDaS14_S15_EUlS14_E_NS1_11comp_targetILNS1_3genE2ELNS1_11target_archE906ELNS1_3gpuE6ELNS1_3repE0EEENS1_30default_config_static_selectorELNS0_4arch9wavefront6targetE1EEEvT1_, .Lfunc_end2839-_ZN7rocprim17ROCPRIM_400000_NS6detail17trampoline_kernelINS0_14default_configENS1_25partition_config_selectorILNS1_17partition_subalgoE0EsNS0_10empty_typeEbEEZZNS1_14partition_implILS5_0ELb0ES3_jN6thrust23THRUST_200600_302600_NS6detail15normal_iteratorINSA_10device_ptrIsEEEEPS6_SG_NS0_5tupleIJSF_NSA_16discard_iteratorINSA_11use_defaultEEEEEENSH_IJSG_SG_EEES6_PlJ7is_evenIsEEEE10hipError_tPvRmT3_T4_T5_T6_T7_T9_mT8_P12ihipStream_tbDpT10_ENKUlT_T0_E_clISt17integral_constantIbLb0EES18_IbLb1EEEEDaS14_S15_EUlS14_E_NS1_11comp_targetILNS1_3genE2ELNS1_11target_archE906ELNS1_3gpuE6ELNS1_3repE0EEENS1_30default_config_static_selectorELNS0_4arch9wavefront6targetE1EEEvT1_
                                        ; -- End function
	.section	.AMDGPU.csdata,"",@progbits
; Kernel info:
; codeLenInByte = 0
; NumSgprs: 4
; NumVgprs: 0
; NumAgprs: 0
; TotalNumVgprs: 0
; ScratchSize: 0
; MemoryBound: 0
; FloatMode: 240
; IeeeMode: 1
; LDSByteSize: 0 bytes/workgroup (compile time only)
; SGPRBlocks: 0
; VGPRBlocks: 0
; NumSGPRsForWavesPerEU: 4
; NumVGPRsForWavesPerEU: 1
; AccumOffset: 4
; Occupancy: 8
; WaveLimiterHint : 0
; COMPUTE_PGM_RSRC2:SCRATCH_EN: 0
; COMPUTE_PGM_RSRC2:USER_SGPR: 6
; COMPUTE_PGM_RSRC2:TRAP_HANDLER: 0
; COMPUTE_PGM_RSRC2:TGID_X_EN: 1
; COMPUTE_PGM_RSRC2:TGID_Y_EN: 0
; COMPUTE_PGM_RSRC2:TGID_Z_EN: 0
; COMPUTE_PGM_RSRC2:TIDIG_COMP_CNT: 0
; COMPUTE_PGM_RSRC3_GFX90A:ACCUM_OFFSET: 0
; COMPUTE_PGM_RSRC3_GFX90A:TG_SPLIT: 0
	.section	.text._ZN7rocprim17ROCPRIM_400000_NS6detail17trampoline_kernelINS0_14default_configENS1_25partition_config_selectorILNS1_17partition_subalgoE0EsNS0_10empty_typeEbEEZZNS1_14partition_implILS5_0ELb0ES3_jN6thrust23THRUST_200600_302600_NS6detail15normal_iteratorINSA_10device_ptrIsEEEEPS6_SG_NS0_5tupleIJSF_NSA_16discard_iteratorINSA_11use_defaultEEEEEENSH_IJSG_SG_EEES6_PlJ7is_evenIsEEEE10hipError_tPvRmT3_T4_T5_T6_T7_T9_mT8_P12ihipStream_tbDpT10_ENKUlT_T0_E_clISt17integral_constantIbLb0EES18_IbLb1EEEEDaS14_S15_EUlS14_E_NS1_11comp_targetILNS1_3genE10ELNS1_11target_archE1200ELNS1_3gpuE4ELNS1_3repE0EEENS1_30default_config_static_selectorELNS0_4arch9wavefront6targetE1EEEvT1_,"axG",@progbits,_ZN7rocprim17ROCPRIM_400000_NS6detail17trampoline_kernelINS0_14default_configENS1_25partition_config_selectorILNS1_17partition_subalgoE0EsNS0_10empty_typeEbEEZZNS1_14partition_implILS5_0ELb0ES3_jN6thrust23THRUST_200600_302600_NS6detail15normal_iteratorINSA_10device_ptrIsEEEEPS6_SG_NS0_5tupleIJSF_NSA_16discard_iteratorINSA_11use_defaultEEEEEENSH_IJSG_SG_EEES6_PlJ7is_evenIsEEEE10hipError_tPvRmT3_T4_T5_T6_T7_T9_mT8_P12ihipStream_tbDpT10_ENKUlT_T0_E_clISt17integral_constantIbLb0EES18_IbLb1EEEEDaS14_S15_EUlS14_E_NS1_11comp_targetILNS1_3genE10ELNS1_11target_archE1200ELNS1_3gpuE4ELNS1_3repE0EEENS1_30default_config_static_selectorELNS0_4arch9wavefront6targetE1EEEvT1_,comdat
	.protected	_ZN7rocprim17ROCPRIM_400000_NS6detail17trampoline_kernelINS0_14default_configENS1_25partition_config_selectorILNS1_17partition_subalgoE0EsNS0_10empty_typeEbEEZZNS1_14partition_implILS5_0ELb0ES3_jN6thrust23THRUST_200600_302600_NS6detail15normal_iteratorINSA_10device_ptrIsEEEEPS6_SG_NS0_5tupleIJSF_NSA_16discard_iteratorINSA_11use_defaultEEEEEENSH_IJSG_SG_EEES6_PlJ7is_evenIsEEEE10hipError_tPvRmT3_T4_T5_T6_T7_T9_mT8_P12ihipStream_tbDpT10_ENKUlT_T0_E_clISt17integral_constantIbLb0EES18_IbLb1EEEEDaS14_S15_EUlS14_E_NS1_11comp_targetILNS1_3genE10ELNS1_11target_archE1200ELNS1_3gpuE4ELNS1_3repE0EEENS1_30default_config_static_selectorELNS0_4arch9wavefront6targetE1EEEvT1_ ; -- Begin function _ZN7rocprim17ROCPRIM_400000_NS6detail17trampoline_kernelINS0_14default_configENS1_25partition_config_selectorILNS1_17partition_subalgoE0EsNS0_10empty_typeEbEEZZNS1_14partition_implILS5_0ELb0ES3_jN6thrust23THRUST_200600_302600_NS6detail15normal_iteratorINSA_10device_ptrIsEEEEPS6_SG_NS0_5tupleIJSF_NSA_16discard_iteratorINSA_11use_defaultEEEEEENSH_IJSG_SG_EEES6_PlJ7is_evenIsEEEE10hipError_tPvRmT3_T4_T5_T6_T7_T9_mT8_P12ihipStream_tbDpT10_ENKUlT_T0_E_clISt17integral_constantIbLb0EES18_IbLb1EEEEDaS14_S15_EUlS14_E_NS1_11comp_targetILNS1_3genE10ELNS1_11target_archE1200ELNS1_3gpuE4ELNS1_3repE0EEENS1_30default_config_static_selectorELNS0_4arch9wavefront6targetE1EEEvT1_
	.globl	_ZN7rocprim17ROCPRIM_400000_NS6detail17trampoline_kernelINS0_14default_configENS1_25partition_config_selectorILNS1_17partition_subalgoE0EsNS0_10empty_typeEbEEZZNS1_14partition_implILS5_0ELb0ES3_jN6thrust23THRUST_200600_302600_NS6detail15normal_iteratorINSA_10device_ptrIsEEEEPS6_SG_NS0_5tupleIJSF_NSA_16discard_iteratorINSA_11use_defaultEEEEEENSH_IJSG_SG_EEES6_PlJ7is_evenIsEEEE10hipError_tPvRmT3_T4_T5_T6_T7_T9_mT8_P12ihipStream_tbDpT10_ENKUlT_T0_E_clISt17integral_constantIbLb0EES18_IbLb1EEEEDaS14_S15_EUlS14_E_NS1_11comp_targetILNS1_3genE10ELNS1_11target_archE1200ELNS1_3gpuE4ELNS1_3repE0EEENS1_30default_config_static_selectorELNS0_4arch9wavefront6targetE1EEEvT1_
	.p2align	8
	.type	_ZN7rocprim17ROCPRIM_400000_NS6detail17trampoline_kernelINS0_14default_configENS1_25partition_config_selectorILNS1_17partition_subalgoE0EsNS0_10empty_typeEbEEZZNS1_14partition_implILS5_0ELb0ES3_jN6thrust23THRUST_200600_302600_NS6detail15normal_iteratorINSA_10device_ptrIsEEEEPS6_SG_NS0_5tupleIJSF_NSA_16discard_iteratorINSA_11use_defaultEEEEEENSH_IJSG_SG_EEES6_PlJ7is_evenIsEEEE10hipError_tPvRmT3_T4_T5_T6_T7_T9_mT8_P12ihipStream_tbDpT10_ENKUlT_T0_E_clISt17integral_constantIbLb0EES18_IbLb1EEEEDaS14_S15_EUlS14_E_NS1_11comp_targetILNS1_3genE10ELNS1_11target_archE1200ELNS1_3gpuE4ELNS1_3repE0EEENS1_30default_config_static_selectorELNS0_4arch9wavefront6targetE1EEEvT1_,@function
_ZN7rocprim17ROCPRIM_400000_NS6detail17trampoline_kernelINS0_14default_configENS1_25partition_config_selectorILNS1_17partition_subalgoE0EsNS0_10empty_typeEbEEZZNS1_14partition_implILS5_0ELb0ES3_jN6thrust23THRUST_200600_302600_NS6detail15normal_iteratorINSA_10device_ptrIsEEEEPS6_SG_NS0_5tupleIJSF_NSA_16discard_iteratorINSA_11use_defaultEEEEEENSH_IJSG_SG_EEES6_PlJ7is_evenIsEEEE10hipError_tPvRmT3_T4_T5_T6_T7_T9_mT8_P12ihipStream_tbDpT10_ENKUlT_T0_E_clISt17integral_constantIbLb0EES18_IbLb1EEEEDaS14_S15_EUlS14_E_NS1_11comp_targetILNS1_3genE10ELNS1_11target_archE1200ELNS1_3gpuE4ELNS1_3repE0EEENS1_30default_config_static_selectorELNS0_4arch9wavefront6targetE1EEEvT1_: ; @_ZN7rocprim17ROCPRIM_400000_NS6detail17trampoline_kernelINS0_14default_configENS1_25partition_config_selectorILNS1_17partition_subalgoE0EsNS0_10empty_typeEbEEZZNS1_14partition_implILS5_0ELb0ES3_jN6thrust23THRUST_200600_302600_NS6detail15normal_iteratorINSA_10device_ptrIsEEEEPS6_SG_NS0_5tupleIJSF_NSA_16discard_iteratorINSA_11use_defaultEEEEEENSH_IJSG_SG_EEES6_PlJ7is_evenIsEEEE10hipError_tPvRmT3_T4_T5_T6_T7_T9_mT8_P12ihipStream_tbDpT10_ENKUlT_T0_E_clISt17integral_constantIbLb0EES18_IbLb1EEEEDaS14_S15_EUlS14_E_NS1_11comp_targetILNS1_3genE10ELNS1_11target_archE1200ELNS1_3gpuE4ELNS1_3repE0EEENS1_30default_config_static_selectorELNS0_4arch9wavefront6targetE1EEEvT1_
; %bb.0:
	.section	.rodata,"a",@progbits
	.p2align	6, 0x0
	.amdhsa_kernel _ZN7rocprim17ROCPRIM_400000_NS6detail17trampoline_kernelINS0_14default_configENS1_25partition_config_selectorILNS1_17partition_subalgoE0EsNS0_10empty_typeEbEEZZNS1_14partition_implILS5_0ELb0ES3_jN6thrust23THRUST_200600_302600_NS6detail15normal_iteratorINSA_10device_ptrIsEEEEPS6_SG_NS0_5tupleIJSF_NSA_16discard_iteratorINSA_11use_defaultEEEEEENSH_IJSG_SG_EEES6_PlJ7is_evenIsEEEE10hipError_tPvRmT3_T4_T5_T6_T7_T9_mT8_P12ihipStream_tbDpT10_ENKUlT_T0_E_clISt17integral_constantIbLb0EES18_IbLb1EEEEDaS14_S15_EUlS14_E_NS1_11comp_targetILNS1_3genE10ELNS1_11target_archE1200ELNS1_3gpuE4ELNS1_3repE0EEENS1_30default_config_static_selectorELNS0_4arch9wavefront6targetE1EEEvT1_
		.amdhsa_group_segment_fixed_size 0
		.amdhsa_private_segment_fixed_size 0
		.amdhsa_kernarg_size 144
		.amdhsa_user_sgpr_count 6
		.amdhsa_user_sgpr_private_segment_buffer 1
		.amdhsa_user_sgpr_dispatch_ptr 0
		.amdhsa_user_sgpr_queue_ptr 0
		.amdhsa_user_sgpr_kernarg_segment_ptr 1
		.amdhsa_user_sgpr_dispatch_id 0
		.amdhsa_user_sgpr_flat_scratch_init 0
		.amdhsa_user_sgpr_kernarg_preload_length 0
		.amdhsa_user_sgpr_kernarg_preload_offset 0
		.amdhsa_user_sgpr_private_segment_size 0
		.amdhsa_uses_dynamic_stack 0
		.amdhsa_system_sgpr_private_segment_wavefront_offset 0
		.amdhsa_system_sgpr_workgroup_id_x 1
		.amdhsa_system_sgpr_workgroup_id_y 0
		.amdhsa_system_sgpr_workgroup_id_z 0
		.amdhsa_system_sgpr_workgroup_info 0
		.amdhsa_system_vgpr_workitem_id 0
		.amdhsa_next_free_vgpr 1
		.amdhsa_next_free_sgpr 0
		.amdhsa_accum_offset 4
		.amdhsa_reserve_vcc 0
		.amdhsa_reserve_flat_scratch 0
		.amdhsa_float_round_mode_32 0
		.amdhsa_float_round_mode_16_64 0
		.amdhsa_float_denorm_mode_32 3
		.amdhsa_float_denorm_mode_16_64 3
		.amdhsa_dx10_clamp 1
		.amdhsa_ieee_mode 1
		.amdhsa_fp16_overflow 0
		.amdhsa_tg_split 0
		.amdhsa_exception_fp_ieee_invalid_op 0
		.amdhsa_exception_fp_denorm_src 0
		.amdhsa_exception_fp_ieee_div_zero 0
		.amdhsa_exception_fp_ieee_overflow 0
		.amdhsa_exception_fp_ieee_underflow 0
		.amdhsa_exception_fp_ieee_inexact 0
		.amdhsa_exception_int_div_zero 0
	.end_amdhsa_kernel
	.section	.text._ZN7rocprim17ROCPRIM_400000_NS6detail17trampoline_kernelINS0_14default_configENS1_25partition_config_selectorILNS1_17partition_subalgoE0EsNS0_10empty_typeEbEEZZNS1_14partition_implILS5_0ELb0ES3_jN6thrust23THRUST_200600_302600_NS6detail15normal_iteratorINSA_10device_ptrIsEEEEPS6_SG_NS0_5tupleIJSF_NSA_16discard_iteratorINSA_11use_defaultEEEEEENSH_IJSG_SG_EEES6_PlJ7is_evenIsEEEE10hipError_tPvRmT3_T4_T5_T6_T7_T9_mT8_P12ihipStream_tbDpT10_ENKUlT_T0_E_clISt17integral_constantIbLb0EES18_IbLb1EEEEDaS14_S15_EUlS14_E_NS1_11comp_targetILNS1_3genE10ELNS1_11target_archE1200ELNS1_3gpuE4ELNS1_3repE0EEENS1_30default_config_static_selectorELNS0_4arch9wavefront6targetE1EEEvT1_,"axG",@progbits,_ZN7rocprim17ROCPRIM_400000_NS6detail17trampoline_kernelINS0_14default_configENS1_25partition_config_selectorILNS1_17partition_subalgoE0EsNS0_10empty_typeEbEEZZNS1_14partition_implILS5_0ELb0ES3_jN6thrust23THRUST_200600_302600_NS6detail15normal_iteratorINSA_10device_ptrIsEEEEPS6_SG_NS0_5tupleIJSF_NSA_16discard_iteratorINSA_11use_defaultEEEEEENSH_IJSG_SG_EEES6_PlJ7is_evenIsEEEE10hipError_tPvRmT3_T4_T5_T6_T7_T9_mT8_P12ihipStream_tbDpT10_ENKUlT_T0_E_clISt17integral_constantIbLb0EES18_IbLb1EEEEDaS14_S15_EUlS14_E_NS1_11comp_targetILNS1_3genE10ELNS1_11target_archE1200ELNS1_3gpuE4ELNS1_3repE0EEENS1_30default_config_static_selectorELNS0_4arch9wavefront6targetE1EEEvT1_,comdat
.Lfunc_end2840:
	.size	_ZN7rocprim17ROCPRIM_400000_NS6detail17trampoline_kernelINS0_14default_configENS1_25partition_config_selectorILNS1_17partition_subalgoE0EsNS0_10empty_typeEbEEZZNS1_14partition_implILS5_0ELb0ES3_jN6thrust23THRUST_200600_302600_NS6detail15normal_iteratorINSA_10device_ptrIsEEEEPS6_SG_NS0_5tupleIJSF_NSA_16discard_iteratorINSA_11use_defaultEEEEEENSH_IJSG_SG_EEES6_PlJ7is_evenIsEEEE10hipError_tPvRmT3_T4_T5_T6_T7_T9_mT8_P12ihipStream_tbDpT10_ENKUlT_T0_E_clISt17integral_constantIbLb0EES18_IbLb1EEEEDaS14_S15_EUlS14_E_NS1_11comp_targetILNS1_3genE10ELNS1_11target_archE1200ELNS1_3gpuE4ELNS1_3repE0EEENS1_30default_config_static_selectorELNS0_4arch9wavefront6targetE1EEEvT1_, .Lfunc_end2840-_ZN7rocprim17ROCPRIM_400000_NS6detail17trampoline_kernelINS0_14default_configENS1_25partition_config_selectorILNS1_17partition_subalgoE0EsNS0_10empty_typeEbEEZZNS1_14partition_implILS5_0ELb0ES3_jN6thrust23THRUST_200600_302600_NS6detail15normal_iteratorINSA_10device_ptrIsEEEEPS6_SG_NS0_5tupleIJSF_NSA_16discard_iteratorINSA_11use_defaultEEEEEENSH_IJSG_SG_EEES6_PlJ7is_evenIsEEEE10hipError_tPvRmT3_T4_T5_T6_T7_T9_mT8_P12ihipStream_tbDpT10_ENKUlT_T0_E_clISt17integral_constantIbLb0EES18_IbLb1EEEEDaS14_S15_EUlS14_E_NS1_11comp_targetILNS1_3genE10ELNS1_11target_archE1200ELNS1_3gpuE4ELNS1_3repE0EEENS1_30default_config_static_selectorELNS0_4arch9wavefront6targetE1EEEvT1_
                                        ; -- End function
	.section	.AMDGPU.csdata,"",@progbits
; Kernel info:
; codeLenInByte = 0
; NumSgprs: 4
; NumVgprs: 0
; NumAgprs: 0
; TotalNumVgprs: 0
; ScratchSize: 0
; MemoryBound: 0
; FloatMode: 240
; IeeeMode: 1
; LDSByteSize: 0 bytes/workgroup (compile time only)
; SGPRBlocks: 0
; VGPRBlocks: 0
; NumSGPRsForWavesPerEU: 4
; NumVGPRsForWavesPerEU: 1
; AccumOffset: 4
; Occupancy: 8
; WaveLimiterHint : 0
; COMPUTE_PGM_RSRC2:SCRATCH_EN: 0
; COMPUTE_PGM_RSRC2:USER_SGPR: 6
; COMPUTE_PGM_RSRC2:TRAP_HANDLER: 0
; COMPUTE_PGM_RSRC2:TGID_X_EN: 1
; COMPUTE_PGM_RSRC2:TGID_Y_EN: 0
; COMPUTE_PGM_RSRC2:TGID_Z_EN: 0
; COMPUTE_PGM_RSRC2:TIDIG_COMP_CNT: 0
; COMPUTE_PGM_RSRC3_GFX90A:ACCUM_OFFSET: 0
; COMPUTE_PGM_RSRC3_GFX90A:TG_SPLIT: 0
	.section	.text._ZN7rocprim17ROCPRIM_400000_NS6detail17trampoline_kernelINS0_14default_configENS1_25partition_config_selectorILNS1_17partition_subalgoE0EsNS0_10empty_typeEbEEZZNS1_14partition_implILS5_0ELb0ES3_jN6thrust23THRUST_200600_302600_NS6detail15normal_iteratorINSA_10device_ptrIsEEEEPS6_SG_NS0_5tupleIJSF_NSA_16discard_iteratorINSA_11use_defaultEEEEEENSH_IJSG_SG_EEES6_PlJ7is_evenIsEEEE10hipError_tPvRmT3_T4_T5_T6_T7_T9_mT8_P12ihipStream_tbDpT10_ENKUlT_T0_E_clISt17integral_constantIbLb0EES18_IbLb1EEEEDaS14_S15_EUlS14_E_NS1_11comp_targetILNS1_3genE9ELNS1_11target_archE1100ELNS1_3gpuE3ELNS1_3repE0EEENS1_30default_config_static_selectorELNS0_4arch9wavefront6targetE1EEEvT1_,"axG",@progbits,_ZN7rocprim17ROCPRIM_400000_NS6detail17trampoline_kernelINS0_14default_configENS1_25partition_config_selectorILNS1_17partition_subalgoE0EsNS0_10empty_typeEbEEZZNS1_14partition_implILS5_0ELb0ES3_jN6thrust23THRUST_200600_302600_NS6detail15normal_iteratorINSA_10device_ptrIsEEEEPS6_SG_NS0_5tupleIJSF_NSA_16discard_iteratorINSA_11use_defaultEEEEEENSH_IJSG_SG_EEES6_PlJ7is_evenIsEEEE10hipError_tPvRmT3_T4_T5_T6_T7_T9_mT8_P12ihipStream_tbDpT10_ENKUlT_T0_E_clISt17integral_constantIbLb0EES18_IbLb1EEEEDaS14_S15_EUlS14_E_NS1_11comp_targetILNS1_3genE9ELNS1_11target_archE1100ELNS1_3gpuE3ELNS1_3repE0EEENS1_30default_config_static_selectorELNS0_4arch9wavefront6targetE1EEEvT1_,comdat
	.protected	_ZN7rocprim17ROCPRIM_400000_NS6detail17trampoline_kernelINS0_14default_configENS1_25partition_config_selectorILNS1_17partition_subalgoE0EsNS0_10empty_typeEbEEZZNS1_14partition_implILS5_0ELb0ES3_jN6thrust23THRUST_200600_302600_NS6detail15normal_iteratorINSA_10device_ptrIsEEEEPS6_SG_NS0_5tupleIJSF_NSA_16discard_iteratorINSA_11use_defaultEEEEEENSH_IJSG_SG_EEES6_PlJ7is_evenIsEEEE10hipError_tPvRmT3_T4_T5_T6_T7_T9_mT8_P12ihipStream_tbDpT10_ENKUlT_T0_E_clISt17integral_constantIbLb0EES18_IbLb1EEEEDaS14_S15_EUlS14_E_NS1_11comp_targetILNS1_3genE9ELNS1_11target_archE1100ELNS1_3gpuE3ELNS1_3repE0EEENS1_30default_config_static_selectorELNS0_4arch9wavefront6targetE1EEEvT1_ ; -- Begin function _ZN7rocprim17ROCPRIM_400000_NS6detail17trampoline_kernelINS0_14default_configENS1_25partition_config_selectorILNS1_17partition_subalgoE0EsNS0_10empty_typeEbEEZZNS1_14partition_implILS5_0ELb0ES3_jN6thrust23THRUST_200600_302600_NS6detail15normal_iteratorINSA_10device_ptrIsEEEEPS6_SG_NS0_5tupleIJSF_NSA_16discard_iteratorINSA_11use_defaultEEEEEENSH_IJSG_SG_EEES6_PlJ7is_evenIsEEEE10hipError_tPvRmT3_T4_T5_T6_T7_T9_mT8_P12ihipStream_tbDpT10_ENKUlT_T0_E_clISt17integral_constantIbLb0EES18_IbLb1EEEEDaS14_S15_EUlS14_E_NS1_11comp_targetILNS1_3genE9ELNS1_11target_archE1100ELNS1_3gpuE3ELNS1_3repE0EEENS1_30default_config_static_selectorELNS0_4arch9wavefront6targetE1EEEvT1_
	.globl	_ZN7rocprim17ROCPRIM_400000_NS6detail17trampoline_kernelINS0_14default_configENS1_25partition_config_selectorILNS1_17partition_subalgoE0EsNS0_10empty_typeEbEEZZNS1_14partition_implILS5_0ELb0ES3_jN6thrust23THRUST_200600_302600_NS6detail15normal_iteratorINSA_10device_ptrIsEEEEPS6_SG_NS0_5tupleIJSF_NSA_16discard_iteratorINSA_11use_defaultEEEEEENSH_IJSG_SG_EEES6_PlJ7is_evenIsEEEE10hipError_tPvRmT3_T4_T5_T6_T7_T9_mT8_P12ihipStream_tbDpT10_ENKUlT_T0_E_clISt17integral_constantIbLb0EES18_IbLb1EEEEDaS14_S15_EUlS14_E_NS1_11comp_targetILNS1_3genE9ELNS1_11target_archE1100ELNS1_3gpuE3ELNS1_3repE0EEENS1_30default_config_static_selectorELNS0_4arch9wavefront6targetE1EEEvT1_
	.p2align	8
	.type	_ZN7rocprim17ROCPRIM_400000_NS6detail17trampoline_kernelINS0_14default_configENS1_25partition_config_selectorILNS1_17partition_subalgoE0EsNS0_10empty_typeEbEEZZNS1_14partition_implILS5_0ELb0ES3_jN6thrust23THRUST_200600_302600_NS6detail15normal_iteratorINSA_10device_ptrIsEEEEPS6_SG_NS0_5tupleIJSF_NSA_16discard_iteratorINSA_11use_defaultEEEEEENSH_IJSG_SG_EEES6_PlJ7is_evenIsEEEE10hipError_tPvRmT3_T4_T5_T6_T7_T9_mT8_P12ihipStream_tbDpT10_ENKUlT_T0_E_clISt17integral_constantIbLb0EES18_IbLb1EEEEDaS14_S15_EUlS14_E_NS1_11comp_targetILNS1_3genE9ELNS1_11target_archE1100ELNS1_3gpuE3ELNS1_3repE0EEENS1_30default_config_static_selectorELNS0_4arch9wavefront6targetE1EEEvT1_,@function
_ZN7rocprim17ROCPRIM_400000_NS6detail17trampoline_kernelINS0_14default_configENS1_25partition_config_selectorILNS1_17partition_subalgoE0EsNS0_10empty_typeEbEEZZNS1_14partition_implILS5_0ELb0ES3_jN6thrust23THRUST_200600_302600_NS6detail15normal_iteratorINSA_10device_ptrIsEEEEPS6_SG_NS0_5tupleIJSF_NSA_16discard_iteratorINSA_11use_defaultEEEEEENSH_IJSG_SG_EEES6_PlJ7is_evenIsEEEE10hipError_tPvRmT3_T4_T5_T6_T7_T9_mT8_P12ihipStream_tbDpT10_ENKUlT_T0_E_clISt17integral_constantIbLb0EES18_IbLb1EEEEDaS14_S15_EUlS14_E_NS1_11comp_targetILNS1_3genE9ELNS1_11target_archE1100ELNS1_3gpuE3ELNS1_3repE0EEENS1_30default_config_static_selectorELNS0_4arch9wavefront6targetE1EEEvT1_: ; @_ZN7rocprim17ROCPRIM_400000_NS6detail17trampoline_kernelINS0_14default_configENS1_25partition_config_selectorILNS1_17partition_subalgoE0EsNS0_10empty_typeEbEEZZNS1_14partition_implILS5_0ELb0ES3_jN6thrust23THRUST_200600_302600_NS6detail15normal_iteratorINSA_10device_ptrIsEEEEPS6_SG_NS0_5tupleIJSF_NSA_16discard_iteratorINSA_11use_defaultEEEEEENSH_IJSG_SG_EEES6_PlJ7is_evenIsEEEE10hipError_tPvRmT3_T4_T5_T6_T7_T9_mT8_P12ihipStream_tbDpT10_ENKUlT_T0_E_clISt17integral_constantIbLb0EES18_IbLb1EEEEDaS14_S15_EUlS14_E_NS1_11comp_targetILNS1_3genE9ELNS1_11target_archE1100ELNS1_3gpuE3ELNS1_3repE0EEENS1_30default_config_static_selectorELNS0_4arch9wavefront6targetE1EEEvT1_
; %bb.0:
	.section	.rodata,"a",@progbits
	.p2align	6, 0x0
	.amdhsa_kernel _ZN7rocprim17ROCPRIM_400000_NS6detail17trampoline_kernelINS0_14default_configENS1_25partition_config_selectorILNS1_17partition_subalgoE0EsNS0_10empty_typeEbEEZZNS1_14partition_implILS5_0ELb0ES3_jN6thrust23THRUST_200600_302600_NS6detail15normal_iteratorINSA_10device_ptrIsEEEEPS6_SG_NS0_5tupleIJSF_NSA_16discard_iteratorINSA_11use_defaultEEEEEENSH_IJSG_SG_EEES6_PlJ7is_evenIsEEEE10hipError_tPvRmT3_T4_T5_T6_T7_T9_mT8_P12ihipStream_tbDpT10_ENKUlT_T0_E_clISt17integral_constantIbLb0EES18_IbLb1EEEEDaS14_S15_EUlS14_E_NS1_11comp_targetILNS1_3genE9ELNS1_11target_archE1100ELNS1_3gpuE3ELNS1_3repE0EEENS1_30default_config_static_selectorELNS0_4arch9wavefront6targetE1EEEvT1_
		.amdhsa_group_segment_fixed_size 0
		.amdhsa_private_segment_fixed_size 0
		.amdhsa_kernarg_size 144
		.amdhsa_user_sgpr_count 6
		.amdhsa_user_sgpr_private_segment_buffer 1
		.amdhsa_user_sgpr_dispatch_ptr 0
		.amdhsa_user_sgpr_queue_ptr 0
		.amdhsa_user_sgpr_kernarg_segment_ptr 1
		.amdhsa_user_sgpr_dispatch_id 0
		.amdhsa_user_sgpr_flat_scratch_init 0
		.amdhsa_user_sgpr_kernarg_preload_length 0
		.amdhsa_user_sgpr_kernarg_preload_offset 0
		.amdhsa_user_sgpr_private_segment_size 0
		.amdhsa_uses_dynamic_stack 0
		.amdhsa_system_sgpr_private_segment_wavefront_offset 0
		.amdhsa_system_sgpr_workgroup_id_x 1
		.amdhsa_system_sgpr_workgroup_id_y 0
		.amdhsa_system_sgpr_workgroup_id_z 0
		.amdhsa_system_sgpr_workgroup_info 0
		.amdhsa_system_vgpr_workitem_id 0
		.amdhsa_next_free_vgpr 1
		.amdhsa_next_free_sgpr 0
		.amdhsa_accum_offset 4
		.amdhsa_reserve_vcc 0
		.amdhsa_reserve_flat_scratch 0
		.amdhsa_float_round_mode_32 0
		.amdhsa_float_round_mode_16_64 0
		.amdhsa_float_denorm_mode_32 3
		.amdhsa_float_denorm_mode_16_64 3
		.amdhsa_dx10_clamp 1
		.amdhsa_ieee_mode 1
		.amdhsa_fp16_overflow 0
		.amdhsa_tg_split 0
		.amdhsa_exception_fp_ieee_invalid_op 0
		.amdhsa_exception_fp_denorm_src 0
		.amdhsa_exception_fp_ieee_div_zero 0
		.amdhsa_exception_fp_ieee_overflow 0
		.amdhsa_exception_fp_ieee_underflow 0
		.amdhsa_exception_fp_ieee_inexact 0
		.amdhsa_exception_int_div_zero 0
	.end_amdhsa_kernel
	.section	.text._ZN7rocprim17ROCPRIM_400000_NS6detail17trampoline_kernelINS0_14default_configENS1_25partition_config_selectorILNS1_17partition_subalgoE0EsNS0_10empty_typeEbEEZZNS1_14partition_implILS5_0ELb0ES3_jN6thrust23THRUST_200600_302600_NS6detail15normal_iteratorINSA_10device_ptrIsEEEEPS6_SG_NS0_5tupleIJSF_NSA_16discard_iteratorINSA_11use_defaultEEEEEENSH_IJSG_SG_EEES6_PlJ7is_evenIsEEEE10hipError_tPvRmT3_T4_T5_T6_T7_T9_mT8_P12ihipStream_tbDpT10_ENKUlT_T0_E_clISt17integral_constantIbLb0EES18_IbLb1EEEEDaS14_S15_EUlS14_E_NS1_11comp_targetILNS1_3genE9ELNS1_11target_archE1100ELNS1_3gpuE3ELNS1_3repE0EEENS1_30default_config_static_selectorELNS0_4arch9wavefront6targetE1EEEvT1_,"axG",@progbits,_ZN7rocprim17ROCPRIM_400000_NS6detail17trampoline_kernelINS0_14default_configENS1_25partition_config_selectorILNS1_17partition_subalgoE0EsNS0_10empty_typeEbEEZZNS1_14partition_implILS5_0ELb0ES3_jN6thrust23THRUST_200600_302600_NS6detail15normal_iteratorINSA_10device_ptrIsEEEEPS6_SG_NS0_5tupleIJSF_NSA_16discard_iteratorINSA_11use_defaultEEEEEENSH_IJSG_SG_EEES6_PlJ7is_evenIsEEEE10hipError_tPvRmT3_T4_T5_T6_T7_T9_mT8_P12ihipStream_tbDpT10_ENKUlT_T0_E_clISt17integral_constantIbLb0EES18_IbLb1EEEEDaS14_S15_EUlS14_E_NS1_11comp_targetILNS1_3genE9ELNS1_11target_archE1100ELNS1_3gpuE3ELNS1_3repE0EEENS1_30default_config_static_selectorELNS0_4arch9wavefront6targetE1EEEvT1_,comdat
.Lfunc_end2841:
	.size	_ZN7rocprim17ROCPRIM_400000_NS6detail17trampoline_kernelINS0_14default_configENS1_25partition_config_selectorILNS1_17partition_subalgoE0EsNS0_10empty_typeEbEEZZNS1_14partition_implILS5_0ELb0ES3_jN6thrust23THRUST_200600_302600_NS6detail15normal_iteratorINSA_10device_ptrIsEEEEPS6_SG_NS0_5tupleIJSF_NSA_16discard_iteratorINSA_11use_defaultEEEEEENSH_IJSG_SG_EEES6_PlJ7is_evenIsEEEE10hipError_tPvRmT3_T4_T5_T6_T7_T9_mT8_P12ihipStream_tbDpT10_ENKUlT_T0_E_clISt17integral_constantIbLb0EES18_IbLb1EEEEDaS14_S15_EUlS14_E_NS1_11comp_targetILNS1_3genE9ELNS1_11target_archE1100ELNS1_3gpuE3ELNS1_3repE0EEENS1_30default_config_static_selectorELNS0_4arch9wavefront6targetE1EEEvT1_, .Lfunc_end2841-_ZN7rocprim17ROCPRIM_400000_NS6detail17trampoline_kernelINS0_14default_configENS1_25partition_config_selectorILNS1_17partition_subalgoE0EsNS0_10empty_typeEbEEZZNS1_14partition_implILS5_0ELb0ES3_jN6thrust23THRUST_200600_302600_NS6detail15normal_iteratorINSA_10device_ptrIsEEEEPS6_SG_NS0_5tupleIJSF_NSA_16discard_iteratorINSA_11use_defaultEEEEEENSH_IJSG_SG_EEES6_PlJ7is_evenIsEEEE10hipError_tPvRmT3_T4_T5_T6_T7_T9_mT8_P12ihipStream_tbDpT10_ENKUlT_T0_E_clISt17integral_constantIbLb0EES18_IbLb1EEEEDaS14_S15_EUlS14_E_NS1_11comp_targetILNS1_3genE9ELNS1_11target_archE1100ELNS1_3gpuE3ELNS1_3repE0EEENS1_30default_config_static_selectorELNS0_4arch9wavefront6targetE1EEEvT1_
                                        ; -- End function
	.section	.AMDGPU.csdata,"",@progbits
; Kernel info:
; codeLenInByte = 0
; NumSgprs: 4
; NumVgprs: 0
; NumAgprs: 0
; TotalNumVgprs: 0
; ScratchSize: 0
; MemoryBound: 0
; FloatMode: 240
; IeeeMode: 1
; LDSByteSize: 0 bytes/workgroup (compile time only)
; SGPRBlocks: 0
; VGPRBlocks: 0
; NumSGPRsForWavesPerEU: 4
; NumVGPRsForWavesPerEU: 1
; AccumOffset: 4
; Occupancy: 8
; WaveLimiterHint : 0
; COMPUTE_PGM_RSRC2:SCRATCH_EN: 0
; COMPUTE_PGM_RSRC2:USER_SGPR: 6
; COMPUTE_PGM_RSRC2:TRAP_HANDLER: 0
; COMPUTE_PGM_RSRC2:TGID_X_EN: 1
; COMPUTE_PGM_RSRC2:TGID_Y_EN: 0
; COMPUTE_PGM_RSRC2:TGID_Z_EN: 0
; COMPUTE_PGM_RSRC2:TIDIG_COMP_CNT: 0
; COMPUTE_PGM_RSRC3_GFX90A:ACCUM_OFFSET: 0
; COMPUTE_PGM_RSRC3_GFX90A:TG_SPLIT: 0
	.section	.text._ZN7rocprim17ROCPRIM_400000_NS6detail17trampoline_kernelINS0_14default_configENS1_25partition_config_selectorILNS1_17partition_subalgoE0EsNS0_10empty_typeEbEEZZNS1_14partition_implILS5_0ELb0ES3_jN6thrust23THRUST_200600_302600_NS6detail15normal_iteratorINSA_10device_ptrIsEEEEPS6_SG_NS0_5tupleIJSF_NSA_16discard_iteratorINSA_11use_defaultEEEEEENSH_IJSG_SG_EEES6_PlJ7is_evenIsEEEE10hipError_tPvRmT3_T4_T5_T6_T7_T9_mT8_P12ihipStream_tbDpT10_ENKUlT_T0_E_clISt17integral_constantIbLb0EES18_IbLb1EEEEDaS14_S15_EUlS14_E_NS1_11comp_targetILNS1_3genE8ELNS1_11target_archE1030ELNS1_3gpuE2ELNS1_3repE0EEENS1_30default_config_static_selectorELNS0_4arch9wavefront6targetE1EEEvT1_,"axG",@progbits,_ZN7rocprim17ROCPRIM_400000_NS6detail17trampoline_kernelINS0_14default_configENS1_25partition_config_selectorILNS1_17partition_subalgoE0EsNS0_10empty_typeEbEEZZNS1_14partition_implILS5_0ELb0ES3_jN6thrust23THRUST_200600_302600_NS6detail15normal_iteratorINSA_10device_ptrIsEEEEPS6_SG_NS0_5tupleIJSF_NSA_16discard_iteratorINSA_11use_defaultEEEEEENSH_IJSG_SG_EEES6_PlJ7is_evenIsEEEE10hipError_tPvRmT3_T4_T5_T6_T7_T9_mT8_P12ihipStream_tbDpT10_ENKUlT_T0_E_clISt17integral_constantIbLb0EES18_IbLb1EEEEDaS14_S15_EUlS14_E_NS1_11comp_targetILNS1_3genE8ELNS1_11target_archE1030ELNS1_3gpuE2ELNS1_3repE0EEENS1_30default_config_static_selectorELNS0_4arch9wavefront6targetE1EEEvT1_,comdat
	.protected	_ZN7rocprim17ROCPRIM_400000_NS6detail17trampoline_kernelINS0_14default_configENS1_25partition_config_selectorILNS1_17partition_subalgoE0EsNS0_10empty_typeEbEEZZNS1_14partition_implILS5_0ELb0ES3_jN6thrust23THRUST_200600_302600_NS6detail15normal_iteratorINSA_10device_ptrIsEEEEPS6_SG_NS0_5tupleIJSF_NSA_16discard_iteratorINSA_11use_defaultEEEEEENSH_IJSG_SG_EEES6_PlJ7is_evenIsEEEE10hipError_tPvRmT3_T4_T5_T6_T7_T9_mT8_P12ihipStream_tbDpT10_ENKUlT_T0_E_clISt17integral_constantIbLb0EES18_IbLb1EEEEDaS14_S15_EUlS14_E_NS1_11comp_targetILNS1_3genE8ELNS1_11target_archE1030ELNS1_3gpuE2ELNS1_3repE0EEENS1_30default_config_static_selectorELNS0_4arch9wavefront6targetE1EEEvT1_ ; -- Begin function _ZN7rocprim17ROCPRIM_400000_NS6detail17trampoline_kernelINS0_14default_configENS1_25partition_config_selectorILNS1_17partition_subalgoE0EsNS0_10empty_typeEbEEZZNS1_14partition_implILS5_0ELb0ES3_jN6thrust23THRUST_200600_302600_NS6detail15normal_iteratorINSA_10device_ptrIsEEEEPS6_SG_NS0_5tupleIJSF_NSA_16discard_iteratorINSA_11use_defaultEEEEEENSH_IJSG_SG_EEES6_PlJ7is_evenIsEEEE10hipError_tPvRmT3_T4_T5_T6_T7_T9_mT8_P12ihipStream_tbDpT10_ENKUlT_T0_E_clISt17integral_constantIbLb0EES18_IbLb1EEEEDaS14_S15_EUlS14_E_NS1_11comp_targetILNS1_3genE8ELNS1_11target_archE1030ELNS1_3gpuE2ELNS1_3repE0EEENS1_30default_config_static_selectorELNS0_4arch9wavefront6targetE1EEEvT1_
	.globl	_ZN7rocprim17ROCPRIM_400000_NS6detail17trampoline_kernelINS0_14default_configENS1_25partition_config_selectorILNS1_17partition_subalgoE0EsNS0_10empty_typeEbEEZZNS1_14partition_implILS5_0ELb0ES3_jN6thrust23THRUST_200600_302600_NS6detail15normal_iteratorINSA_10device_ptrIsEEEEPS6_SG_NS0_5tupleIJSF_NSA_16discard_iteratorINSA_11use_defaultEEEEEENSH_IJSG_SG_EEES6_PlJ7is_evenIsEEEE10hipError_tPvRmT3_T4_T5_T6_T7_T9_mT8_P12ihipStream_tbDpT10_ENKUlT_T0_E_clISt17integral_constantIbLb0EES18_IbLb1EEEEDaS14_S15_EUlS14_E_NS1_11comp_targetILNS1_3genE8ELNS1_11target_archE1030ELNS1_3gpuE2ELNS1_3repE0EEENS1_30default_config_static_selectorELNS0_4arch9wavefront6targetE1EEEvT1_
	.p2align	8
	.type	_ZN7rocprim17ROCPRIM_400000_NS6detail17trampoline_kernelINS0_14default_configENS1_25partition_config_selectorILNS1_17partition_subalgoE0EsNS0_10empty_typeEbEEZZNS1_14partition_implILS5_0ELb0ES3_jN6thrust23THRUST_200600_302600_NS6detail15normal_iteratorINSA_10device_ptrIsEEEEPS6_SG_NS0_5tupleIJSF_NSA_16discard_iteratorINSA_11use_defaultEEEEEENSH_IJSG_SG_EEES6_PlJ7is_evenIsEEEE10hipError_tPvRmT3_T4_T5_T6_T7_T9_mT8_P12ihipStream_tbDpT10_ENKUlT_T0_E_clISt17integral_constantIbLb0EES18_IbLb1EEEEDaS14_S15_EUlS14_E_NS1_11comp_targetILNS1_3genE8ELNS1_11target_archE1030ELNS1_3gpuE2ELNS1_3repE0EEENS1_30default_config_static_selectorELNS0_4arch9wavefront6targetE1EEEvT1_,@function
_ZN7rocprim17ROCPRIM_400000_NS6detail17trampoline_kernelINS0_14default_configENS1_25partition_config_selectorILNS1_17partition_subalgoE0EsNS0_10empty_typeEbEEZZNS1_14partition_implILS5_0ELb0ES3_jN6thrust23THRUST_200600_302600_NS6detail15normal_iteratorINSA_10device_ptrIsEEEEPS6_SG_NS0_5tupleIJSF_NSA_16discard_iteratorINSA_11use_defaultEEEEEENSH_IJSG_SG_EEES6_PlJ7is_evenIsEEEE10hipError_tPvRmT3_T4_T5_T6_T7_T9_mT8_P12ihipStream_tbDpT10_ENKUlT_T0_E_clISt17integral_constantIbLb0EES18_IbLb1EEEEDaS14_S15_EUlS14_E_NS1_11comp_targetILNS1_3genE8ELNS1_11target_archE1030ELNS1_3gpuE2ELNS1_3repE0EEENS1_30default_config_static_selectorELNS0_4arch9wavefront6targetE1EEEvT1_: ; @_ZN7rocprim17ROCPRIM_400000_NS6detail17trampoline_kernelINS0_14default_configENS1_25partition_config_selectorILNS1_17partition_subalgoE0EsNS0_10empty_typeEbEEZZNS1_14partition_implILS5_0ELb0ES3_jN6thrust23THRUST_200600_302600_NS6detail15normal_iteratorINSA_10device_ptrIsEEEEPS6_SG_NS0_5tupleIJSF_NSA_16discard_iteratorINSA_11use_defaultEEEEEENSH_IJSG_SG_EEES6_PlJ7is_evenIsEEEE10hipError_tPvRmT3_T4_T5_T6_T7_T9_mT8_P12ihipStream_tbDpT10_ENKUlT_T0_E_clISt17integral_constantIbLb0EES18_IbLb1EEEEDaS14_S15_EUlS14_E_NS1_11comp_targetILNS1_3genE8ELNS1_11target_archE1030ELNS1_3gpuE2ELNS1_3repE0EEENS1_30default_config_static_selectorELNS0_4arch9wavefront6targetE1EEEvT1_
; %bb.0:
	.section	.rodata,"a",@progbits
	.p2align	6, 0x0
	.amdhsa_kernel _ZN7rocprim17ROCPRIM_400000_NS6detail17trampoline_kernelINS0_14default_configENS1_25partition_config_selectorILNS1_17partition_subalgoE0EsNS0_10empty_typeEbEEZZNS1_14partition_implILS5_0ELb0ES3_jN6thrust23THRUST_200600_302600_NS6detail15normal_iteratorINSA_10device_ptrIsEEEEPS6_SG_NS0_5tupleIJSF_NSA_16discard_iteratorINSA_11use_defaultEEEEEENSH_IJSG_SG_EEES6_PlJ7is_evenIsEEEE10hipError_tPvRmT3_T4_T5_T6_T7_T9_mT8_P12ihipStream_tbDpT10_ENKUlT_T0_E_clISt17integral_constantIbLb0EES18_IbLb1EEEEDaS14_S15_EUlS14_E_NS1_11comp_targetILNS1_3genE8ELNS1_11target_archE1030ELNS1_3gpuE2ELNS1_3repE0EEENS1_30default_config_static_selectorELNS0_4arch9wavefront6targetE1EEEvT1_
		.amdhsa_group_segment_fixed_size 0
		.amdhsa_private_segment_fixed_size 0
		.amdhsa_kernarg_size 144
		.amdhsa_user_sgpr_count 6
		.amdhsa_user_sgpr_private_segment_buffer 1
		.amdhsa_user_sgpr_dispatch_ptr 0
		.amdhsa_user_sgpr_queue_ptr 0
		.amdhsa_user_sgpr_kernarg_segment_ptr 1
		.amdhsa_user_sgpr_dispatch_id 0
		.amdhsa_user_sgpr_flat_scratch_init 0
		.amdhsa_user_sgpr_kernarg_preload_length 0
		.amdhsa_user_sgpr_kernarg_preload_offset 0
		.amdhsa_user_sgpr_private_segment_size 0
		.amdhsa_uses_dynamic_stack 0
		.amdhsa_system_sgpr_private_segment_wavefront_offset 0
		.amdhsa_system_sgpr_workgroup_id_x 1
		.amdhsa_system_sgpr_workgroup_id_y 0
		.amdhsa_system_sgpr_workgroup_id_z 0
		.amdhsa_system_sgpr_workgroup_info 0
		.amdhsa_system_vgpr_workitem_id 0
		.amdhsa_next_free_vgpr 1
		.amdhsa_next_free_sgpr 0
		.amdhsa_accum_offset 4
		.amdhsa_reserve_vcc 0
		.amdhsa_reserve_flat_scratch 0
		.amdhsa_float_round_mode_32 0
		.amdhsa_float_round_mode_16_64 0
		.amdhsa_float_denorm_mode_32 3
		.amdhsa_float_denorm_mode_16_64 3
		.amdhsa_dx10_clamp 1
		.amdhsa_ieee_mode 1
		.amdhsa_fp16_overflow 0
		.amdhsa_tg_split 0
		.amdhsa_exception_fp_ieee_invalid_op 0
		.amdhsa_exception_fp_denorm_src 0
		.amdhsa_exception_fp_ieee_div_zero 0
		.amdhsa_exception_fp_ieee_overflow 0
		.amdhsa_exception_fp_ieee_underflow 0
		.amdhsa_exception_fp_ieee_inexact 0
		.amdhsa_exception_int_div_zero 0
	.end_amdhsa_kernel
	.section	.text._ZN7rocprim17ROCPRIM_400000_NS6detail17trampoline_kernelINS0_14default_configENS1_25partition_config_selectorILNS1_17partition_subalgoE0EsNS0_10empty_typeEbEEZZNS1_14partition_implILS5_0ELb0ES3_jN6thrust23THRUST_200600_302600_NS6detail15normal_iteratorINSA_10device_ptrIsEEEEPS6_SG_NS0_5tupleIJSF_NSA_16discard_iteratorINSA_11use_defaultEEEEEENSH_IJSG_SG_EEES6_PlJ7is_evenIsEEEE10hipError_tPvRmT3_T4_T5_T6_T7_T9_mT8_P12ihipStream_tbDpT10_ENKUlT_T0_E_clISt17integral_constantIbLb0EES18_IbLb1EEEEDaS14_S15_EUlS14_E_NS1_11comp_targetILNS1_3genE8ELNS1_11target_archE1030ELNS1_3gpuE2ELNS1_3repE0EEENS1_30default_config_static_selectorELNS0_4arch9wavefront6targetE1EEEvT1_,"axG",@progbits,_ZN7rocprim17ROCPRIM_400000_NS6detail17trampoline_kernelINS0_14default_configENS1_25partition_config_selectorILNS1_17partition_subalgoE0EsNS0_10empty_typeEbEEZZNS1_14partition_implILS5_0ELb0ES3_jN6thrust23THRUST_200600_302600_NS6detail15normal_iteratorINSA_10device_ptrIsEEEEPS6_SG_NS0_5tupleIJSF_NSA_16discard_iteratorINSA_11use_defaultEEEEEENSH_IJSG_SG_EEES6_PlJ7is_evenIsEEEE10hipError_tPvRmT3_T4_T5_T6_T7_T9_mT8_P12ihipStream_tbDpT10_ENKUlT_T0_E_clISt17integral_constantIbLb0EES18_IbLb1EEEEDaS14_S15_EUlS14_E_NS1_11comp_targetILNS1_3genE8ELNS1_11target_archE1030ELNS1_3gpuE2ELNS1_3repE0EEENS1_30default_config_static_selectorELNS0_4arch9wavefront6targetE1EEEvT1_,comdat
.Lfunc_end2842:
	.size	_ZN7rocprim17ROCPRIM_400000_NS6detail17trampoline_kernelINS0_14default_configENS1_25partition_config_selectorILNS1_17partition_subalgoE0EsNS0_10empty_typeEbEEZZNS1_14partition_implILS5_0ELb0ES3_jN6thrust23THRUST_200600_302600_NS6detail15normal_iteratorINSA_10device_ptrIsEEEEPS6_SG_NS0_5tupleIJSF_NSA_16discard_iteratorINSA_11use_defaultEEEEEENSH_IJSG_SG_EEES6_PlJ7is_evenIsEEEE10hipError_tPvRmT3_T4_T5_T6_T7_T9_mT8_P12ihipStream_tbDpT10_ENKUlT_T0_E_clISt17integral_constantIbLb0EES18_IbLb1EEEEDaS14_S15_EUlS14_E_NS1_11comp_targetILNS1_3genE8ELNS1_11target_archE1030ELNS1_3gpuE2ELNS1_3repE0EEENS1_30default_config_static_selectorELNS0_4arch9wavefront6targetE1EEEvT1_, .Lfunc_end2842-_ZN7rocprim17ROCPRIM_400000_NS6detail17trampoline_kernelINS0_14default_configENS1_25partition_config_selectorILNS1_17partition_subalgoE0EsNS0_10empty_typeEbEEZZNS1_14partition_implILS5_0ELb0ES3_jN6thrust23THRUST_200600_302600_NS6detail15normal_iteratorINSA_10device_ptrIsEEEEPS6_SG_NS0_5tupleIJSF_NSA_16discard_iteratorINSA_11use_defaultEEEEEENSH_IJSG_SG_EEES6_PlJ7is_evenIsEEEE10hipError_tPvRmT3_T4_T5_T6_T7_T9_mT8_P12ihipStream_tbDpT10_ENKUlT_T0_E_clISt17integral_constantIbLb0EES18_IbLb1EEEEDaS14_S15_EUlS14_E_NS1_11comp_targetILNS1_3genE8ELNS1_11target_archE1030ELNS1_3gpuE2ELNS1_3repE0EEENS1_30default_config_static_selectorELNS0_4arch9wavefront6targetE1EEEvT1_
                                        ; -- End function
	.section	.AMDGPU.csdata,"",@progbits
; Kernel info:
; codeLenInByte = 0
; NumSgprs: 4
; NumVgprs: 0
; NumAgprs: 0
; TotalNumVgprs: 0
; ScratchSize: 0
; MemoryBound: 0
; FloatMode: 240
; IeeeMode: 1
; LDSByteSize: 0 bytes/workgroup (compile time only)
; SGPRBlocks: 0
; VGPRBlocks: 0
; NumSGPRsForWavesPerEU: 4
; NumVGPRsForWavesPerEU: 1
; AccumOffset: 4
; Occupancy: 8
; WaveLimiterHint : 0
; COMPUTE_PGM_RSRC2:SCRATCH_EN: 0
; COMPUTE_PGM_RSRC2:USER_SGPR: 6
; COMPUTE_PGM_RSRC2:TRAP_HANDLER: 0
; COMPUTE_PGM_RSRC2:TGID_X_EN: 1
; COMPUTE_PGM_RSRC2:TGID_Y_EN: 0
; COMPUTE_PGM_RSRC2:TGID_Z_EN: 0
; COMPUTE_PGM_RSRC2:TIDIG_COMP_CNT: 0
; COMPUTE_PGM_RSRC3_GFX90A:ACCUM_OFFSET: 0
; COMPUTE_PGM_RSRC3_GFX90A:TG_SPLIT: 0
	.section	.text._ZN7rocprim17ROCPRIM_400000_NS6detail17trampoline_kernelINS0_14default_configENS1_25partition_config_selectorILNS1_17partition_subalgoE0EsNS0_10empty_typeEbEEZZNS1_14partition_implILS5_0ELb0ES3_jN6thrust23THRUST_200600_302600_NS6detail15normal_iteratorINSA_10device_ptrIsEEEEPS6_SG_NS0_5tupleIJNSA_16discard_iteratorINSA_11use_defaultEEESF_EEENSH_IJSG_SG_EEES6_PlJ7is_evenIsEEEE10hipError_tPvRmT3_T4_T5_T6_T7_T9_mT8_P12ihipStream_tbDpT10_ENKUlT_T0_E_clISt17integral_constantIbLb0EES19_EEDaS14_S15_EUlS14_E_NS1_11comp_targetILNS1_3genE0ELNS1_11target_archE4294967295ELNS1_3gpuE0ELNS1_3repE0EEENS1_30default_config_static_selectorELNS0_4arch9wavefront6targetE1EEEvT1_,"axG",@progbits,_ZN7rocprim17ROCPRIM_400000_NS6detail17trampoline_kernelINS0_14default_configENS1_25partition_config_selectorILNS1_17partition_subalgoE0EsNS0_10empty_typeEbEEZZNS1_14partition_implILS5_0ELb0ES3_jN6thrust23THRUST_200600_302600_NS6detail15normal_iteratorINSA_10device_ptrIsEEEEPS6_SG_NS0_5tupleIJNSA_16discard_iteratorINSA_11use_defaultEEESF_EEENSH_IJSG_SG_EEES6_PlJ7is_evenIsEEEE10hipError_tPvRmT3_T4_T5_T6_T7_T9_mT8_P12ihipStream_tbDpT10_ENKUlT_T0_E_clISt17integral_constantIbLb0EES19_EEDaS14_S15_EUlS14_E_NS1_11comp_targetILNS1_3genE0ELNS1_11target_archE4294967295ELNS1_3gpuE0ELNS1_3repE0EEENS1_30default_config_static_selectorELNS0_4arch9wavefront6targetE1EEEvT1_,comdat
	.protected	_ZN7rocprim17ROCPRIM_400000_NS6detail17trampoline_kernelINS0_14default_configENS1_25partition_config_selectorILNS1_17partition_subalgoE0EsNS0_10empty_typeEbEEZZNS1_14partition_implILS5_0ELb0ES3_jN6thrust23THRUST_200600_302600_NS6detail15normal_iteratorINSA_10device_ptrIsEEEEPS6_SG_NS0_5tupleIJNSA_16discard_iteratorINSA_11use_defaultEEESF_EEENSH_IJSG_SG_EEES6_PlJ7is_evenIsEEEE10hipError_tPvRmT3_T4_T5_T6_T7_T9_mT8_P12ihipStream_tbDpT10_ENKUlT_T0_E_clISt17integral_constantIbLb0EES19_EEDaS14_S15_EUlS14_E_NS1_11comp_targetILNS1_3genE0ELNS1_11target_archE4294967295ELNS1_3gpuE0ELNS1_3repE0EEENS1_30default_config_static_selectorELNS0_4arch9wavefront6targetE1EEEvT1_ ; -- Begin function _ZN7rocprim17ROCPRIM_400000_NS6detail17trampoline_kernelINS0_14default_configENS1_25partition_config_selectorILNS1_17partition_subalgoE0EsNS0_10empty_typeEbEEZZNS1_14partition_implILS5_0ELb0ES3_jN6thrust23THRUST_200600_302600_NS6detail15normal_iteratorINSA_10device_ptrIsEEEEPS6_SG_NS0_5tupleIJNSA_16discard_iteratorINSA_11use_defaultEEESF_EEENSH_IJSG_SG_EEES6_PlJ7is_evenIsEEEE10hipError_tPvRmT3_T4_T5_T6_T7_T9_mT8_P12ihipStream_tbDpT10_ENKUlT_T0_E_clISt17integral_constantIbLb0EES19_EEDaS14_S15_EUlS14_E_NS1_11comp_targetILNS1_3genE0ELNS1_11target_archE4294967295ELNS1_3gpuE0ELNS1_3repE0EEENS1_30default_config_static_selectorELNS0_4arch9wavefront6targetE1EEEvT1_
	.globl	_ZN7rocprim17ROCPRIM_400000_NS6detail17trampoline_kernelINS0_14default_configENS1_25partition_config_selectorILNS1_17partition_subalgoE0EsNS0_10empty_typeEbEEZZNS1_14partition_implILS5_0ELb0ES3_jN6thrust23THRUST_200600_302600_NS6detail15normal_iteratorINSA_10device_ptrIsEEEEPS6_SG_NS0_5tupleIJNSA_16discard_iteratorINSA_11use_defaultEEESF_EEENSH_IJSG_SG_EEES6_PlJ7is_evenIsEEEE10hipError_tPvRmT3_T4_T5_T6_T7_T9_mT8_P12ihipStream_tbDpT10_ENKUlT_T0_E_clISt17integral_constantIbLb0EES19_EEDaS14_S15_EUlS14_E_NS1_11comp_targetILNS1_3genE0ELNS1_11target_archE4294967295ELNS1_3gpuE0ELNS1_3repE0EEENS1_30default_config_static_selectorELNS0_4arch9wavefront6targetE1EEEvT1_
	.p2align	8
	.type	_ZN7rocprim17ROCPRIM_400000_NS6detail17trampoline_kernelINS0_14default_configENS1_25partition_config_selectorILNS1_17partition_subalgoE0EsNS0_10empty_typeEbEEZZNS1_14partition_implILS5_0ELb0ES3_jN6thrust23THRUST_200600_302600_NS6detail15normal_iteratorINSA_10device_ptrIsEEEEPS6_SG_NS0_5tupleIJNSA_16discard_iteratorINSA_11use_defaultEEESF_EEENSH_IJSG_SG_EEES6_PlJ7is_evenIsEEEE10hipError_tPvRmT3_T4_T5_T6_T7_T9_mT8_P12ihipStream_tbDpT10_ENKUlT_T0_E_clISt17integral_constantIbLb0EES19_EEDaS14_S15_EUlS14_E_NS1_11comp_targetILNS1_3genE0ELNS1_11target_archE4294967295ELNS1_3gpuE0ELNS1_3repE0EEENS1_30default_config_static_selectorELNS0_4arch9wavefront6targetE1EEEvT1_,@function
_ZN7rocprim17ROCPRIM_400000_NS6detail17trampoline_kernelINS0_14default_configENS1_25partition_config_selectorILNS1_17partition_subalgoE0EsNS0_10empty_typeEbEEZZNS1_14partition_implILS5_0ELb0ES3_jN6thrust23THRUST_200600_302600_NS6detail15normal_iteratorINSA_10device_ptrIsEEEEPS6_SG_NS0_5tupleIJNSA_16discard_iteratorINSA_11use_defaultEEESF_EEENSH_IJSG_SG_EEES6_PlJ7is_evenIsEEEE10hipError_tPvRmT3_T4_T5_T6_T7_T9_mT8_P12ihipStream_tbDpT10_ENKUlT_T0_E_clISt17integral_constantIbLb0EES19_EEDaS14_S15_EUlS14_E_NS1_11comp_targetILNS1_3genE0ELNS1_11target_archE4294967295ELNS1_3gpuE0ELNS1_3repE0EEENS1_30default_config_static_selectorELNS0_4arch9wavefront6targetE1EEEvT1_: ; @_ZN7rocprim17ROCPRIM_400000_NS6detail17trampoline_kernelINS0_14default_configENS1_25partition_config_selectorILNS1_17partition_subalgoE0EsNS0_10empty_typeEbEEZZNS1_14partition_implILS5_0ELb0ES3_jN6thrust23THRUST_200600_302600_NS6detail15normal_iteratorINSA_10device_ptrIsEEEEPS6_SG_NS0_5tupleIJNSA_16discard_iteratorINSA_11use_defaultEEESF_EEENSH_IJSG_SG_EEES6_PlJ7is_evenIsEEEE10hipError_tPvRmT3_T4_T5_T6_T7_T9_mT8_P12ihipStream_tbDpT10_ENKUlT_T0_E_clISt17integral_constantIbLb0EES19_EEDaS14_S15_EUlS14_E_NS1_11comp_targetILNS1_3genE0ELNS1_11target_archE4294967295ELNS1_3gpuE0ELNS1_3repE0EEENS1_30default_config_static_selectorELNS0_4arch9wavefront6targetE1EEEvT1_
; %bb.0:
	.section	.rodata,"a",@progbits
	.p2align	6, 0x0
	.amdhsa_kernel _ZN7rocprim17ROCPRIM_400000_NS6detail17trampoline_kernelINS0_14default_configENS1_25partition_config_selectorILNS1_17partition_subalgoE0EsNS0_10empty_typeEbEEZZNS1_14partition_implILS5_0ELb0ES3_jN6thrust23THRUST_200600_302600_NS6detail15normal_iteratorINSA_10device_ptrIsEEEEPS6_SG_NS0_5tupleIJNSA_16discard_iteratorINSA_11use_defaultEEESF_EEENSH_IJSG_SG_EEES6_PlJ7is_evenIsEEEE10hipError_tPvRmT3_T4_T5_T6_T7_T9_mT8_P12ihipStream_tbDpT10_ENKUlT_T0_E_clISt17integral_constantIbLb0EES19_EEDaS14_S15_EUlS14_E_NS1_11comp_targetILNS1_3genE0ELNS1_11target_archE4294967295ELNS1_3gpuE0ELNS1_3repE0EEENS1_30default_config_static_selectorELNS0_4arch9wavefront6targetE1EEEvT1_
		.amdhsa_group_segment_fixed_size 0
		.amdhsa_private_segment_fixed_size 0
		.amdhsa_kernarg_size 128
		.amdhsa_user_sgpr_count 6
		.amdhsa_user_sgpr_private_segment_buffer 1
		.amdhsa_user_sgpr_dispatch_ptr 0
		.amdhsa_user_sgpr_queue_ptr 0
		.amdhsa_user_sgpr_kernarg_segment_ptr 1
		.amdhsa_user_sgpr_dispatch_id 0
		.amdhsa_user_sgpr_flat_scratch_init 0
		.amdhsa_user_sgpr_kernarg_preload_length 0
		.amdhsa_user_sgpr_kernarg_preload_offset 0
		.amdhsa_user_sgpr_private_segment_size 0
		.amdhsa_uses_dynamic_stack 0
		.amdhsa_system_sgpr_private_segment_wavefront_offset 0
		.amdhsa_system_sgpr_workgroup_id_x 1
		.amdhsa_system_sgpr_workgroup_id_y 0
		.amdhsa_system_sgpr_workgroup_id_z 0
		.amdhsa_system_sgpr_workgroup_info 0
		.amdhsa_system_vgpr_workitem_id 0
		.amdhsa_next_free_vgpr 1
		.amdhsa_next_free_sgpr 0
		.amdhsa_accum_offset 4
		.amdhsa_reserve_vcc 0
		.amdhsa_reserve_flat_scratch 0
		.amdhsa_float_round_mode_32 0
		.amdhsa_float_round_mode_16_64 0
		.amdhsa_float_denorm_mode_32 3
		.amdhsa_float_denorm_mode_16_64 3
		.amdhsa_dx10_clamp 1
		.amdhsa_ieee_mode 1
		.amdhsa_fp16_overflow 0
		.amdhsa_tg_split 0
		.amdhsa_exception_fp_ieee_invalid_op 0
		.amdhsa_exception_fp_denorm_src 0
		.amdhsa_exception_fp_ieee_div_zero 0
		.amdhsa_exception_fp_ieee_overflow 0
		.amdhsa_exception_fp_ieee_underflow 0
		.amdhsa_exception_fp_ieee_inexact 0
		.amdhsa_exception_int_div_zero 0
	.end_amdhsa_kernel
	.section	.text._ZN7rocprim17ROCPRIM_400000_NS6detail17trampoline_kernelINS0_14default_configENS1_25partition_config_selectorILNS1_17partition_subalgoE0EsNS0_10empty_typeEbEEZZNS1_14partition_implILS5_0ELb0ES3_jN6thrust23THRUST_200600_302600_NS6detail15normal_iteratorINSA_10device_ptrIsEEEEPS6_SG_NS0_5tupleIJNSA_16discard_iteratorINSA_11use_defaultEEESF_EEENSH_IJSG_SG_EEES6_PlJ7is_evenIsEEEE10hipError_tPvRmT3_T4_T5_T6_T7_T9_mT8_P12ihipStream_tbDpT10_ENKUlT_T0_E_clISt17integral_constantIbLb0EES19_EEDaS14_S15_EUlS14_E_NS1_11comp_targetILNS1_3genE0ELNS1_11target_archE4294967295ELNS1_3gpuE0ELNS1_3repE0EEENS1_30default_config_static_selectorELNS0_4arch9wavefront6targetE1EEEvT1_,"axG",@progbits,_ZN7rocprim17ROCPRIM_400000_NS6detail17trampoline_kernelINS0_14default_configENS1_25partition_config_selectorILNS1_17partition_subalgoE0EsNS0_10empty_typeEbEEZZNS1_14partition_implILS5_0ELb0ES3_jN6thrust23THRUST_200600_302600_NS6detail15normal_iteratorINSA_10device_ptrIsEEEEPS6_SG_NS0_5tupleIJNSA_16discard_iteratorINSA_11use_defaultEEESF_EEENSH_IJSG_SG_EEES6_PlJ7is_evenIsEEEE10hipError_tPvRmT3_T4_T5_T6_T7_T9_mT8_P12ihipStream_tbDpT10_ENKUlT_T0_E_clISt17integral_constantIbLb0EES19_EEDaS14_S15_EUlS14_E_NS1_11comp_targetILNS1_3genE0ELNS1_11target_archE4294967295ELNS1_3gpuE0ELNS1_3repE0EEENS1_30default_config_static_selectorELNS0_4arch9wavefront6targetE1EEEvT1_,comdat
.Lfunc_end2843:
	.size	_ZN7rocprim17ROCPRIM_400000_NS6detail17trampoline_kernelINS0_14default_configENS1_25partition_config_selectorILNS1_17partition_subalgoE0EsNS0_10empty_typeEbEEZZNS1_14partition_implILS5_0ELb0ES3_jN6thrust23THRUST_200600_302600_NS6detail15normal_iteratorINSA_10device_ptrIsEEEEPS6_SG_NS0_5tupleIJNSA_16discard_iteratorINSA_11use_defaultEEESF_EEENSH_IJSG_SG_EEES6_PlJ7is_evenIsEEEE10hipError_tPvRmT3_T4_T5_T6_T7_T9_mT8_P12ihipStream_tbDpT10_ENKUlT_T0_E_clISt17integral_constantIbLb0EES19_EEDaS14_S15_EUlS14_E_NS1_11comp_targetILNS1_3genE0ELNS1_11target_archE4294967295ELNS1_3gpuE0ELNS1_3repE0EEENS1_30default_config_static_selectorELNS0_4arch9wavefront6targetE1EEEvT1_, .Lfunc_end2843-_ZN7rocprim17ROCPRIM_400000_NS6detail17trampoline_kernelINS0_14default_configENS1_25partition_config_selectorILNS1_17partition_subalgoE0EsNS0_10empty_typeEbEEZZNS1_14partition_implILS5_0ELb0ES3_jN6thrust23THRUST_200600_302600_NS6detail15normal_iteratorINSA_10device_ptrIsEEEEPS6_SG_NS0_5tupleIJNSA_16discard_iteratorINSA_11use_defaultEEESF_EEENSH_IJSG_SG_EEES6_PlJ7is_evenIsEEEE10hipError_tPvRmT3_T4_T5_T6_T7_T9_mT8_P12ihipStream_tbDpT10_ENKUlT_T0_E_clISt17integral_constantIbLb0EES19_EEDaS14_S15_EUlS14_E_NS1_11comp_targetILNS1_3genE0ELNS1_11target_archE4294967295ELNS1_3gpuE0ELNS1_3repE0EEENS1_30default_config_static_selectorELNS0_4arch9wavefront6targetE1EEEvT1_
                                        ; -- End function
	.section	.AMDGPU.csdata,"",@progbits
; Kernel info:
; codeLenInByte = 0
; NumSgprs: 4
; NumVgprs: 0
; NumAgprs: 0
; TotalNumVgprs: 0
; ScratchSize: 0
; MemoryBound: 0
; FloatMode: 240
; IeeeMode: 1
; LDSByteSize: 0 bytes/workgroup (compile time only)
; SGPRBlocks: 0
; VGPRBlocks: 0
; NumSGPRsForWavesPerEU: 4
; NumVGPRsForWavesPerEU: 1
; AccumOffset: 4
; Occupancy: 8
; WaveLimiterHint : 0
; COMPUTE_PGM_RSRC2:SCRATCH_EN: 0
; COMPUTE_PGM_RSRC2:USER_SGPR: 6
; COMPUTE_PGM_RSRC2:TRAP_HANDLER: 0
; COMPUTE_PGM_RSRC2:TGID_X_EN: 1
; COMPUTE_PGM_RSRC2:TGID_Y_EN: 0
; COMPUTE_PGM_RSRC2:TGID_Z_EN: 0
; COMPUTE_PGM_RSRC2:TIDIG_COMP_CNT: 0
; COMPUTE_PGM_RSRC3_GFX90A:ACCUM_OFFSET: 0
; COMPUTE_PGM_RSRC3_GFX90A:TG_SPLIT: 0
	.section	.text._ZN7rocprim17ROCPRIM_400000_NS6detail17trampoline_kernelINS0_14default_configENS1_25partition_config_selectorILNS1_17partition_subalgoE0EsNS0_10empty_typeEbEEZZNS1_14partition_implILS5_0ELb0ES3_jN6thrust23THRUST_200600_302600_NS6detail15normal_iteratorINSA_10device_ptrIsEEEEPS6_SG_NS0_5tupleIJNSA_16discard_iteratorINSA_11use_defaultEEESF_EEENSH_IJSG_SG_EEES6_PlJ7is_evenIsEEEE10hipError_tPvRmT3_T4_T5_T6_T7_T9_mT8_P12ihipStream_tbDpT10_ENKUlT_T0_E_clISt17integral_constantIbLb0EES19_EEDaS14_S15_EUlS14_E_NS1_11comp_targetILNS1_3genE5ELNS1_11target_archE942ELNS1_3gpuE9ELNS1_3repE0EEENS1_30default_config_static_selectorELNS0_4arch9wavefront6targetE1EEEvT1_,"axG",@progbits,_ZN7rocprim17ROCPRIM_400000_NS6detail17trampoline_kernelINS0_14default_configENS1_25partition_config_selectorILNS1_17partition_subalgoE0EsNS0_10empty_typeEbEEZZNS1_14partition_implILS5_0ELb0ES3_jN6thrust23THRUST_200600_302600_NS6detail15normal_iteratorINSA_10device_ptrIsEEEEPS6_SG_NS0_5tupleIJNSA_16discard_iteratorINSA_11use_defaultEEESF_EEENSH_IJSG_SG_EEES6_PlJ7is_evenIsEEEE10hipError_tPvRmT3_T4_T5_T6_T7_T9_mT8_P12ihipStream_tbDpT10_ENKUlT_T0_E_clISt17integral_constantIbLb0EES19_EEDaS14_S15_EUlS14_E_NS1_11comp_targetILNS1_3genE5ELNS1_11target_archE942ELNS1_3gpuE9ELNS1_3repE0EEENS1_30default_config_static_selectorELNS0_4arch9wavefront6targetE1EEEvT1_,comdat
	.protected	_ZN7rocprim17ROCPRIM_400000_NS6detail17trampoline_kernelINS0_14default_configENS1_25partition_config_selectorILNS1_17partition_subalgoE0EsNS0_10empty_typeEbEEZZNS1_14partition_implILS5_0ELb0ES3_jN6thrust23THRUST_200600_302600_NS6detail15normal_iteratorINSA_10device_ptrIsEEEEPS6_SG_NS0_5tupleIJNSA_16discard_iteratorINSA_11use_defaultEEESF_EEENSH_IJSG_SG_EEES6_PlJ7is_evenIsEEEE10hipError_tPvRmT3_T4_T5_T6_T7_T9_mT8_P12ihipStream_tbDpT10_ENKUlT_T0_E_clISt17integral_constantIbLb0EES19_EEDaS14_S15_EUlS14_E_NS1_11comp_targetILNS1_3genE5ELNS1_11target_archE942ELNS1_3gpuE9ELNS1_3repE0EEENS1_30default_config_static_selectorELNS0_4arch9wavefront6targetE1EEEvT1_ ; -- Begin function _ZN7rocprim17ROCPRIM_400000_NS6detail17trampoline_kernelINS0_14default_configENS1_25partition_config_selectorILNS1_17partition_subalgoE0EsNS0_10empty_typeEbEEZZNS1_14partition_implILS5_0ELb0ES3_jN6thrust23THRUST_200600_302600_NS6detail15normal_iteratorINSA_10device_ptrIsEEEEPS6_SG_NS0_5tupleIJNSA_16discard_iteratorINSA_11use_defaultEEESF_EEENSH_IJSG_SG_EEES6_PlJ7is_evenIsEEEE10hipError_tPvRmT3_T4_T5_T6_T7_T9_mT8_P12ihipStream_tbDpT10_ENKUlT_T0_E_clISt17integral_constantIbLb0EES19_EEDaS14_S15_EUlS14_E_NS1_11comp_targetILNS1_3genE5ELNS1_11target_archE942ELNS1_3gpuE9ELNS1_3repE0EEENS1_30default_config_static_selectorELNS0_4arch9wavefront6targetE1EEEvT1_
	.globl	_ZN7rocprim17ROCPRIM_400000_NS6detail17trampoline_kernelINS0_14default_configENS1_25partition_config_selectorILNS1_17partition_subalgoE0EsNS0_10empty_typeEbEEZZNS1_14partition_implILS5_0ELb0ES3_jN6thrust23THRUST_200600_302600_NS6detail15normal_iteratorINSA_10device_ptrIsEEEEPS6_SG_NS0_5tupleIJNSA_16discard_iteratorINSA_11use_defaultEEESF_EEENSH_IJSG_SG_EEES6_PlJ7is_evenIsEEEE10hipError_tPvRmT3_T4_T5_T6_T7_T9_mT8_P12ihipStream_tbDpT10_ENKUlT_T0_E_clISt17integral_constantIbLb0EES19_EEDaS14_S15_EUlS14_E_NS1_11comp_targetILNS1_3genE5ELNS1_11target_archE942ELNS1_3gpuE9ELNS1_3repE0EEENS1_30default_config_static_selectorELNS0_4arch9wavefront6targetE1EEEvT1_
	.p2align	8
	.type	_ZN7rocprim17ROCPRIM_400000_NS6detail17trampoline_kernelINS0_14default_configENS1_25partition_config_selectorILNS1_17partition_subalgoE0EsNS0_10empty_typeEbEEZZNS1_14partition_implILS5_0ELb0ES3_jN6thrust23THRUST_200600_302600_NS6detail15normal_iteratorINSA_10device_ptrIsEEEEPS6_SG_NS0_5tupleIJNSA_16discard_iteratorINSA_11use_defaultEEESF_EEENSH_IJSG_SG_EEES6_PlJ7is_evenIsEEEE10hipError_tPvRmT3_T4_T5_T6_T7_T9_mT8_P12ihipStream_tbDpT10_ENKUlT_T0_E_clISt17integral_constantIbLb0EES19_EEDaS14_S15_EUlS14_E_NS1_11comp_targetILNS1_3genE5ELNS1_11target_archE942ELNS1_3gpuE9ELNS1_3repE0EEENS1_30default_config_static_selectorELNS0_4arch9wavefront6targetE1EEEvT1_,@function
_ZN7rocprim17ROCPRIM_400000_NS6detail17trampoline_kernelINS0_14default_configENS1_25partition_config_selectorILNS1_17partition_subalgoE0EsNS0_10empty_typeEbEEZZNS1_14partition_implILS5_0ELb0ES3_jN6thrust23THRUST_200600_302600_NS6detail15normal_iteratorINSA_10device_ptrIsEEEEPS6_SG_NS0_5tupleIJNSA_16discard_iteratorINSA_11use_defaultEEESF_EEENSH_IJSG_SG_EEES6_PlJ7is_evenIsEEEE10hipError_tPvRmT3_T4_T5_T6_T7_T9_mT8_P12ihipStream_tbDpT10_ENKUlT_T0_E_clISt17integral_constantIbLb0EES19_EEDaS14_S15_EUlS14_E_NS1_11comp_targetILNS1_3genE5ELNS1_11target_archE942ELNS1_3gpuE9ELNS1_3repE0EEENS1_30default_config_static_selectorELNS0_4arch9wavefront6targetE1EEEvT1_: ; @_ZN7rocprim17ROCPRIM_400000_NS6detail17trampoline_kernelINS0_14default_configENS1_25partition_config_selectorILNS1_17partition_subalgoE0EsNS0_10empty_typeEbEEZZNS1_14partition_implILS5_0ELb0ES3_jN6thrust23THRUST_200600_302600_NS6detail15normal_iteratorINSA_10device_ptrIsEEEEPS6_SG_NS0_5tupleIJNSA_16discard_iteratorINSA_11use_defaultEEESF_EEENSH_IJSG_SG_EEES6_PlJ7is_evenIsEEEE10hipError_tPvRmT3_T4_T5_T6_T7_T9_mT8_P12ihipStream_tbDpT10_ENKUlT_T0_E_clISt17integral_constantIbLb0EES19_EEDaS14_S15_EUlS14_E_NS1_11comp_targetILNS1_3genE5ELNS1_11target_archE942ELNS1_3gpuE9ELNS1_3repE0EEENS1_30default_config_static_selectorELNS0_4arch9wavefront6targetE1EEEvT1_
; %bb.0:
	.section	.rodata,"a",@progbits
	.p2align	6, 0x0
	.amdhsa_kernel _ZN7rocprim17ROCPRIM_400000_NS6detail17trampoline_kernelINS0_14default_configENS1_25partition_config_selectorILNS1_17partition_subalgoE0EsNS0_10empty_typeEbEEZZNS1_14partition_implILS5_0ELb0ES3_jN6thrust23THRUST_200600_302600_NS6detail15normal_iteratorINSA_10device_ptrIsEEEEPS6_SG_NS0_5tupleIJNSA_16discard_iteratorINSA_11use_defaultEEESF_EEENSH_IJSG_SG_EEES6_PlJ7is_evenIsEEEE10hipError_tPvRmT3_T4_T5_T6_T7_T9_mT8_P12ihipStream_tbDpT10_ENKUlT_T0_E_clISt17integral_constantIbLb0EES19_EEDaS14_S15_EUlS14_E_NS1_11comp_targetILNS1_3genE5ELNS1_11target_archE942ELNS1_3gpuE9ELNS1_3repE0EEENS1_30default_config_static_selectorELNS0_4arch9wavefront6targetE1EEEvT1_
		.amdhsa_group_segment_fixed_size 0
		.amdhsa_private_segment_fixed_size 0
		.amdhsa_kernarg_size 128
		.amdhsa_user_sgpr_count 6
		.amdhsa_user_sgpr_private_segment_buffer 1
		.amdhsa_user_sgpr_dispatch_ptr 0
		.amdhsa_user_sgpr_queue_ptr 0
		.amdhsa_user_sgpr_kernarg_segment_ptr 1
		.amdhsa_user_sgpr_dispatch_id 0
		.amdhsa_user_sgpr_flat_scratch_init 0
		.amdhsa_user_sgpr_kernarg_preload_length 0
		.amdhsa_user_sgpr_kernarg_preload_offset 0
		.amdhsa_user_sgpr_private_segment_size 0
		.amdhsa_uses_dynamic_stack 0
		.amdhsa_system_sgpr_private_segment_wavefront_offset 0
		.amdhsa_system_sgpr_workgroup_id_x 1
		.amdhsa_system_sgpr_workgroup_id_y 0
		.amdhsa_system_sgpr_workgroup_id_z 0
		.amdhsa_system_sgpr_workgroup_info 0
		.amdhsa_system_vgpr_workitem_id 0
		.amdhsa_next_free_vgpr 1
		.amdhsa_next_free_sgpr 0
		.amdhsa_accum_offset 4
		.amdhsa_reserve_vcc 0
		.amdhsa_reserve_flat_scratch 0
		.amdhsa_float_round_mode_32 0
		.amdhsa_float_round_mode_16_64 0
		.amdhsa_float_denorm_mode_32 3
		.amdhsa_float_denorm_mode_16_64 3
		.amdhsa_dx10_clamp 1
		.amdhsa_ieee_mode 1
		.amdhsa_fp16_overflow 0
		.amdhsa_tg_split 0
		.amdhsa_exception_fp_ieee_invalid_op 0
		.amdhsa_exception_fp_denorm_src 0
		.amdhsa_exception_fp_ieee_div_zero 0
		.amdhsa_exception_fp_ieee_overflow 0
		.amdhsa_exception_fp_ieee_underflow 0
		.amdhsa_exception_fp_ieee_inexact 0
		.amdhsa_exception_int_div_zero 0
	.end_amdhsa_kernel
	.section	.text._ZN7rocprim17ROCPRIM_400000_NS6detail17trampoline_kernelINS0_14default_configENS1_25partition_config_selectorILNS1_17partition_subalgoE0EsNS0_10empty_typeEbEEZZNS1_14partition_implILS5_0ELb0ES3_jN6thrust23THRUST_200600_302600_NS6detail15normal_iteratorINSA_10device_ptrIsEEEEPS6_SG_NS0_5tupleIJNSA_16discard_iteratorINSA_11use_defaultEEESF_EEENSH_IJSG_SG_EEES6_PlJ7is_evenIsEEEE10hipError_tPvRmT3_T4_T5_T6_T7_T9_mT8_P12ihipStream_tbDpT10_ENKUlT_T0_E_clISt17integral_constantIbLb0EES19_EEDaS14_S15_EUlS14_E_NS1_11comp_targetILNS1_3genE5ELNS1_11target_archE942ELNS1_3gpuE9ELNS1_3repE0EEENS1_30default_config_static_selectorELNS0_4arch9wavefront6targetE1EEEvT1_,"axG",@progbits,_ZN7rocprim17ROCPRIM_400000_NS6detail17trampoline_kernelINS0_14default_configENS1_25partition_config_selectorILNS1_17partition_subalgoE0EsNS0_10empty_typeEbEEZZNS1_14partition_implILS5_0ELb0ES3_jN6thrust23THRUST_200600_302600_NS6detail15normal_iteratorINSA_10device_ptrIsEEEEPS6_SG_NS0_5tupleIJNSA_16discard_iteratorINSA_11use_defaultEEESF_EEENSH_IJSG_SG_EEES6_PlJ7is_evenIsEEEE10hipError_tPvRmT3_T4_T5_T6_T7_T9_mT8_P12ihipStream_tbDpT10_ENKUlT_T0_E_clISt17integral_constantIbLb0EES19_EEDaS14_S15_EUlS14_E_NS1_11comp_targetILNS1_3genE5ELNS1_11target_archE942ELNS1_3gpuE9ELNS1_3repE0EEENS1_30default_config_static_selectorELNS0_4arch9wavefront6targetE1EEEvT1_,comdat
.Lfunc_end2844:
	.size	_ZN7rocprim17ROCPRIM_400000_NS6detail17trampoline_kernelINS0_14default_configENS1_25partition_config_selectorILNS1_17partition_subalgoE0EsNS0_10empty_typeEbEEZZNS1_14partition_implILS5_0ELb0ES3_jN6thrust23THRUST_200600_302600_NS6detail15normal_iteratorINSA_10device_ptrIsEEEEPS6_SG_NS0_5tupleIJNSA_16discard_iteratorINSA_11use_defaultEEESF_EEENSH_IJSG_SG_EEES6_PlJ7is_evenIsEEEE10hipError_tPvRmT3_T4_T5_T6_T7_T9_mT8_P12ihipStream_tbDpT10_ENKUlT_T0_E_clISt17integral_constantIbLb0EES19_EEDaS14_S15_EUlS14_E_NS1_11comp_targetILNS1_3genE5ELNS1_11target_archE942ELNS1_3gpuE9ELNS1_3repE0EEENS1_30default_config_static_selectorELNS0_4arch9wavefront6targetE1EEEvT1_, .Lfunc_end2844-_ZN7rocprim17ROCPRIM_400000_NS6detail17trampoline_kernelINS0_14default_configENS1_25partition_config_selectorILNS1_17partition_subalgoE0EsNS0_10empty_typeEbEEZZNS1_14partition_implILS5_0ELb0ES3_jN6thrust23THRUST_200600_302600_NS6detail15normal_iteratorINSA_10device_ptrIsEEEEPS6_SG_NS0_5tupleIJNSA_16discard_iteratorINSA_11use_defaultEEESF_EEENSH_IJSG_SG_EEES6_PlJ7is_evenIsEEEE10hipError_tPvRmT3_T4_T5_T6_T7_T9_mT8_P12ihipStream_tbDpT10_ENKUlT_T0_E_clISt17integral_constantIbLb0EES19_EEDaS14_S15_EUlS14_E_NS1_11comp_targetILNS1_3genE5ELNS1_11target_archE942ELNS1_3gpuE9ELNS1_3repE0EEENS1_30default_config_static_selectorELNS0_4arch9wavefront6targetE1EEEvT1_
                                        ; -- End function
	.section	.AMDGPU.csdata,"",@progbits
; Kernel info:
; codeLenInByte = 0
; NumSgprs: 4
; NumVgprs: 0
; NumAgprs: 0
; TotalNumVgprs: 0
; ScratchSize: 0
; MemoryBound: 0
; FloatMode: 240
; IeeeMode: 1
; LDSByteSize: 0 bytes/workgroup (compile time only)
; SGPRBlocks: 0
; VGPRBlocks: 0
; NumSGPRsForWavesPerEU: 4
; NumVGPRsForWavesPerEU: 1
; AccumOffset: 4
; Occupancy: 8
; WaveLimiterHint : 0
; COMPUTE_PGM_RSRC2:SCRATCH_EN: 0
; COMPUTE_PGM_RSRC2:USER_SGPR: 6
; COMPUTE_PGM_RSRC2:TRAP_HANDLER: 0
; COMPUTE_PGM_RSRC2:TGID_X_EN: 1
; COMPUTE_PGM_RSRC2:TGID_Y_EN: 0
; COMPUTE_PGM_RSRC2:TGID_Z_EN: 0
; COMPUTE_PGM_RSRC2:TIDIG_COMP_CNT: 0
; COMPUTE_PGM_RSRC3_GFX90A:ACCUM_OFFSET: 0
; COMPUTE_PGM_RSRC3_GFX90A:TG_SPLIT: 0
	.section	.text._ZN7rocprim17ROCPRIM_400000_NS6detail17trampoline_kernelINS0_14default_configENS1_25partition_config_selectorILNS1_17partition_subalgoE0EsNS0_10empty_typeEbEEZZNS1_14partition_implILS5_0ELb0ES3_jN6thrust23THRUST_200600_302600_NS6detail15normal_iteratorINSA_10device_ptrIsEEEEPS6_SG_NS0_5tupleIJNSA_16discard_iteratorINSA_11use_defaultEEESF_EEENSH_IJSG_SG_EEES6_PlJ7is_evenIsEEEE10hipError_tPvRmT3_T4_T5_T6_T7_T9_mT8_P12ihipStream_tbDpT10_ENKUlT_T0_E_clISt17integral_constantIbLb0EES19_EEDaS14_S15_EUlS14_E_NS1_11comp_targetILNS1_3genE4ELNS1_11target_archE910ELNS1_3gpuE8ELNS1_3repE0EEENS1_30default_config_static_selectorELNS0_4arch9wavefront6targetE1EEEvT1_,"axG",@progbits,_ZN7rocprim17ROCPRIM_400000_NS6detail17trampoline_kernelINS0_14default_configENS1_25partition_config_selectorILNS1_17partition_subalgoE0EsNS0_10empty_typeEbEEZZNS1_14partition_implILS5_0ELb0ES3_jN6thrust23THRUST_200600_302600_NS6detail15normal_iteratorINSA_10device_ptrIsEEEEPS6_SG_NS0_5tupleIJNSA_16discard_iteratorINSA_11use_defaultEEESF_EEENSH_IJSG_SG_EEES6_PlJ7is_evenIsEEEE10hipError_tPvRmT3_T4_T5_T6_T7_T9_mT8_P12ihipStream_tbDpT10_ENKUlT_T0_E_clISt17integral_constantIbLb0EES19_EEDaS14_S15_EUlS14_E_NS1_11comp_targetILNS1_3genE4ELNS1_11target_archE910ELNS1_3gpuE8ELNS1_3repE0EEENS1_30default_config_static_selectorELNS0_4arch9wavefront6targetE1EEEvT1_,comdat
	.protected	_ZN7rocprim17ROCPRIM_400000_NS6detail17trampoline_kernelINS0_14default_configENS1_25partition_config_selectorILNS1_17partition_subalgoE0EsNS0_10empty_typeEbEEZZNS1_14partition_implILS5_0ELb0ES3_jN6thrust23THRUST_200600_302600_NS6detail15normal_iteratorINSA_10device_ptrIsEEEEPS6_SG_NS0_5tupleIJNSA_16discard_iteratorINSA_11use_defaultEEESF_EEENSH_IJSG_SG_EEES6_PlJ7is_evenIsEEEE10hipError_tPvRmT3_T4_T5_T6_T7_T9_mT8_P12ihipStream_tbDpT10_ENKUlT_T0_E_clISt17integral_constantIbLb0EES19_EEDaS14_S15_EUlS14_E_NS1_11comp_targetILNS1_3genE4ELNS1_11target_archE910ELNS1_3gpuE8ELNS1_3repE0EEENS1_30default_config_static_selectorELNS0_4arch9wavefront6targetE1EEEvT1_ ; -- Begin function _ZN7rocprim17ROCPRIM_400000_NS6detail17trampoline_kernelINS0_14default_configENS1_25partition_config_selectorILNS1_17partition_subalgoE0EsNS0_10empty_typeEbEEZZNS1_14partition_implILS5_0ELb0ES3_jN6thrust23THRUST_200600_302600_NS6detail15normal_iteratorINSA_10device_ptrIsEEEEPS6_SG_NS0_5tupleIJNSA_16discard_iteratorINSA_11use_defaultEEESF_EEENSH_IJSG_SG_EEES6_PlJ7is_evenIsEEEE10hipError_tPvRmT3_T4_T5_T6_T7_T9_mT8_P12ihipStream_tbDpT10_ENKUlT_T0_E_clISt17integral_constantIbLb0EES19_EEDaS14_S15_EUlS14_E_NS1_11comp_targetILNS1_3genE4ELNS1_11target_archE910ELNS1_3gpuE8ELNS1_3repE0EEENS1_30default_config_static_selectorELNS0_4arch9wavefront6targetE1EEEvT1_
	.globl	_ZN7rocprim17ROCPRIM_400000_NS6detail17trampoline_kernelINS0_14default_configENS1_25partition_config_selectorILNS1_17partition_subalgoE0EsNS0_10empty_typeEbEEZZNS1_14partition_implILS5_0ELb0ES3_jN6thrust23THRUST_200600_302600_NS6detail15normal_iteratorINSA_10device_ptrIsEEEEPS6_SG_NS0_5tupleIJNSA_16discard_iteratorINSA_11use_defaultEEESF_EEENSH_IJSG_SG_EEES6_PlJ7is_evenIsEEEE10hipError_tPvRmT3_T4_T5_T6_T7_T9_mT8_P12ihipStream_tbDpT10_ENKUlT_T0_E_clISt17integral_constantIbLb0EES19_EEDaS14_S15_EUlS14_E_NS1_11comp_targetILNS1_3genE4ELNS1_11target_archE910ELNS1_3gpuE8ELNS1_3repE0EEENS1_30default_config_static_selectorELNS0_4arch9wavefront6targetE1EEEvT1_
	.p2align	8
	.type	_ZN7rocprim17ROCPRIM_400000_NS6detail17trampoline_kernelINS0_14default_configENS1_25partition_config_selectorILNS1_17partition_subalgoE0EsNS0_10empty_typeEbEEZZNS1_14partition_implILS5_0ELb0ES3_jN6thrust23THRUST_200600_302600_NS6detail15normal_iteratorINSA_10device_ptrIsEEEEPS6_SG_NS0_5tupleIJNSA_16discard_iteratorINSA_11use_defaultEEESF_EEENSH_IJSG_SG_EEES6_PlJ7is_evenIsEEEE10hipError_tPvRmT3_T4_T5_T6_T7_T9_mT8_P12ihipStream_tbDpT10_ENKUlT_T0_E_clISt17integral_constantIbLb0EES19_EEDaS14_S15_EUlS14_E_NS1_11comp_targetILNS1_3genE4ELNS1_11target_archE910ELNS1_3gpuE8ELNS1_3repE0EEENS1_30default_config_static_selectorELNS0_4arch9wavefront6targetE1EEEvT1_,@function
_ZN7rocprim17ROCPRIM_400000_NS6detail17trampoline_kernelINS0_14default_configENS1_25partition_config_selectorILNS1_17partition_subalgoE0EsNS0_10empty_typeEbEEZZNS1_14partition_implILS5_0ELb0ES3_jN6thrust23THRUST_200600_302600_NS6detail15normal_iteratorINSA_10device_ptrIsEEEEPS6_SG_NS0_5tupleIJNSA_16discard_iteratorINSA_11use_defaultEEESF_EEENSH_IJSG_SG_EEES6_PlJ7is_evenIsEEEE10hipError_tPvRmT3_T4_T5_T6_T7_T9_mT8_P12ihipStream_tbDpT10_ENKUlT_T0_E_clISt17integral_constantIbLb0EES19_EEDaS14_S15_EUlS14_E_NS1_11comp_targetILNS1_3genE4ELNS1_11target_archE910ELNS1_3gpuE8ELNS1_3repE0EEENS1_30default_config_static_selectorELNS0_4arch9wavefront6targetE1EEEvT1_: ; @_ZN7rocprim17ROCPRIM_400000_NS6detail17trampoline_kernelINS0_14default_configENS1_25partition_config_selectorILNS1_17partition_subalgoE0EsNS0_10empty_typeEbEEZZNS1_14partition_implILS5_0ELb0ES3_jN6thrust23THRUST_200600_302600_NS6detail15normal_iteratorINSA_10device_ptrIsEEEEPS6_SG_NS0_5tupleIJNSA_16discard_iteratorINSA_11use_defaultEEESF_EEENSH_IJSG_SG_EEES6_PlJ7is_evenIsEEEE10hipError_tPvRmT3_T4_T5_T6_T7_T9_mT8_P12ihipStream_tbDpT10_ENKUlT_T0_E_clISt17integral_constantIbLb0EES19_EEDaS14_S15_EUlS14_E_NS1_11comp_targetILNS1_3genE4ELNS1_11target_archE910ELNS1_3gpuE8ELNS1_3repE0EEENS1_30default_config_static_selectorELNS0_4arch9wavefront6targetE1EEEvT1_
; %bb.0:
	s_load_dwordx2 s[0:1], s[4:5], 0x60
	s_load_dwordx4 s[20:23], s[4:5], 0x8
	s_load_dwordx4 s[24:27], s[4:5], 0x50
	s_load_dword s7, s[4:5], 0x78
	s_mul_i32 s8, s6, 0x1c00
	s_waitcnt lgkmcnt(0)
	v_mov_b32_e32 v3, s1
	s_lshl_b64 s[2:3], s[22:23], 1
	s_add_u32 s10, s20, s2
	s_mul_i32 s1, s7, 0x1c00
	s_addc_u32 s11, s21, s3
	s_add_i32 s3, s1, s22
	s_sub_i32 s33, s0, s3
	s_add_i32 s2, s7, -1
	s_addk_i32 s33, 0x1c00
	v_mov_b32_e32 v2, s0
	s_add_u32 s0, s22, s1
	s_addc_u32 s1, s23, 0
	s_cmp_eq_u32 s6, s2
	s_load_dwordx2 s[28:29], s[26:27], 0x0
	s_cselect_b64 s[26:27], -1, 0
	s_cmp_lg_u32 s6, s2
	s_mov_b32 s9, 0
	v_cmp_lt_u64_e32 vcc, s[0:1], v[2:3]
	s_cselect_b64 s[0:1], -1, 0
	s_or_b64 s[2:3], s[0:1], vcc
	s_lshl_b64 s[30:31], s[8:9], 1
	s_add_u32 s7, s10, s30
	s_addc_u32 s10, s11, s31
	s_mov_b64 s[0:1], -1
	s_and_b64 vcc, exec, s[2:3]
	v_lshlrev_b32_e32 v26, 1, v0
	s_cbranch_vccz .LBB2845_2
; %bb.1:
	v_mov_b32_e32 v1, s10
	v_add_co_u32_e32 v2, vcc, s7, v26
	v_addc_co_u32_e32 v3, vcc, 0, v1, vcc
	v_add_co_u32_e32 v4, vcc, 0x1000, v2
	v_addc_co_u32_e32 v5, vcc, 0, v3, vcc
	flat_load_ushort v1, v[2:3]
	flat_load_ushort v6, v[2:3] offset:512
	flat_load_ushort v7, v[2:3] offset:1024
	flat_load_ushort v8, v[2:3] offset:1536
	flat_load_ushort v9, v[2:3] offset:2048
	flat_load_ushort v10, v[2:3] offset:2560
	flat_load_ushort v11, v[2:3] offset:3072
	flat_load_ushort v12, v[2:3] offset:3584
	flat_load_ushort v13, v[4:5]
	flat_load_ushort v14, v[4:5] offset:512
	flat_load_ushort v15, v[4:5] offset:1024
	;; [unrolled: 1-line block ×7, first 2 shown]
	v_add_co_u32_e32 v4, vcc, 0x2000, v2
	v_addc_co_u32_e32 v5, vcc, 0, v3, vcc
	v_add_co_u32_e32 v2, vcc, 0x3000, v2
	v_addc_co_u32_e32 v3, vcc, 0, v3, vcc
	flat_load_ushort v21, v[4:5]
	flat_load_ushort v22, v[4:5] offset:512
	flat_load_ushort v23, v[4:5] offset:1024
	;; [unrolled: 1-line block ×7, first 2 shown]
	s_nop 0
	flat_load_ushort v4, v[2:3]
	flat_load_ushort v5, v[2:3] offset:512
	flat_load_ushort v30, v[2:3] offset:1024
	;; [unrolled: 1-line block ×3, first 2 shown]
	s_mov_b64 s[0:1], 0
	s_waitcnt vmcnt(0) lgkmcnt(0)
	ds_write_b16 v26, v1
	ds_write_b16 v26, v6 offset:512
	ds_write_b16 v26, v7 offset:1024
	;; [unrolled: 1-line block ×27, first 2 shown]
	s_waitcnt lgkmcnt(0)
	s_barrier
.LBB2845_2:
	s_andn2_b64 vcc, exec, s[0:1]
	v_cmp_gt_u32_e64 s[0:1], s33, v0
	s_cbranch_vccnz .LBB2845_60
; %bb.3:
                                        ; implicit-def: $vgpr1
	s_and_saveexec_b64 s[8:9], s[0:1]
	s_cbranch_execz .LBB2845_5
; %bb.4:
	v_mov_b32_e32 v1, s10
	v_add_co_u32_e32 v2, vcc, s7, v26
	v_addc_co_u32_e32 v3, vcc, 0, v1, vcc
	flat_load_ushort v1, v[2:3]
.LBB2845_5:
	s_or_b64 exec, exec, s[8:9]
	v_or_b32_e32 v2, 0x100, v0
	v_cmp_gt_u32_e32 vcc, s33, v2
                                        ; implicit-def: $vgpr2
	s_and_saveexec_b64 s[0:1], vcc
	s_cbranch_execz .LBB2845_7
; %bb.6:
	v_mov_b32_e32 v3, s10
	v_add_co_u32_e32 v2, vcc, s7, v26
	v_addc_co_u32_e32 v3, vcc, 0, v3, vcc
	flat_load_ushort v2, v[2:3] offset:512
.LBB2845_7:
	s_or_b64 exec, exec, s[0:1]
	v_or_b32_e32 v3, 0x200, v0
	v_cmp_gt_u32_e32 vcc, s33, v3
                                        ; implicit-def: $vgpr3
	s_and_saveexec_b64 s[0:1], vcc
	s_cbranch_execz .LBB2845_9
; %bb.8:
	v_mov_b32_e32 v3, s10
	v_add_co_u32_e32 v4, vcc, s7, v26
	v_addc_co_u32_e32 v5, vcc, 0, v3, vcc
	flat_load_ushort v3, v[4:5] offset:1024
.LBB2845_9:
	s_or_b64 exec, exec, s[0:1]
	v_or_b32_e32 v4, 0x300, v0
	v_cmp_gt_u32_e32 vcc, s33, v4
                                        ; implicit-def: $vgpr4
	s_and_saveexec_b64 s[0:1], vcc
	s_cbranch_execz .LBB2845_11
; %bb.10:
	v_mov_b32_e32 v5, s10
	v_add_co_u32_e32 v4, vcc, s7, v26
	v_addc_co_u32_e32 v5, vcc, 0, v5, vcc
	flat_load_ushort v4, v[4:5] offset:1536
.LBB2845_11:
	s_or_b64 exec, exec, s[0:1]
	v_or_b32_e32 v5, 0x400, v0
	v_cmp_gt_u32_e32 vcc, s33, v5
                                        ; implicit-def: $vgpr5
	s_and_saveexec_b64 s[0:1], vcc
	s_cbranch_execz .LBB2845_13
; %bb.12:
	v_mov_b32_e32 v5, s10
	v_add_co_u32_e32 v6, vcc, s7, v26
	v_addc_co_u32_e32 v7, vcc, 0, v5, vcc
	flat_load_ushort v5, v[6:7] offset:2048
.LBB2845_13:
	s_or_b64 exec, exec, s[0:1]
	v_or_b32_e32 v6, 0x500, v0
	v_cmp_gt_u32_e32 vcc, s33, v6
                                        ; implicit-def: $vgpr6
	s_and_saveexec_b64 s[0:1], vcc
	s_cbranch_execz .LBB2845_15
; %bb.14:
	v_mov_b32_e32 v7, s10
	v_add_co_u32_e32 v6, vcc, s7, v26
	v_addc_co_u32_e32 v7, vcc, 0, v7, vcc
	flat_load_ushort v6, v[6:7] offset:2560
.LBB2845_15:
	s_or_b64 exec, exec, s[0:1]
	v_or_b32_e32 v7, 0x600, v0
	v_cmp_gt_u32_e32 vcc, s33, v7
                                        ; implicit-def: $vgpr7
	s_and_saveexec_b64 s[0:1], vcc
	s_cbranch_execz .LBB2845_17
; %bb.16:
	v_mov_b32_e32 v7, s10
	v_add_co_u32_e32 v8, vcc, s7, v26
	v_addc_co_u32_e32 v9, vcc, 0, v7, vcc
	flat_load_ushort v7, v[8:9] offset:3072
.LBB2845_17:
	s_or_b64 exec, exec, s[0:1]
	v_or_b32_e32 v8, 0x700, v0
	v_cmp_gt_u32_e32 vcc, s33, v8
                                        ; implicit-def: $vgpr8
	s_and_saveexec_b64 s[0:1], vcc
	s_cbranch_execz .LBB2845_19
; %bb.18:
	v_mov_b32_e32 v9, s10
	v_add_co_u32_e32 v8, vcc, s7, v26
	v_addc_co_u32_e32 v9, vcc, 0, v9, vcc
	flat_load_ushort v8, v[8:9] offset:3584
.LBB2845_19:
	s_or_b64 exec, exec, s[0:1]
	v_or_b32_e32 v10, 0x800, v0
	v_cmp_gt_u32_e32 vcc, s33, v10
                                        ; implicit-def: $vgpr9
	s_and_saveexec_b64 s[0:1], vcc
	s_cbranch_execz .LBB2845_21
; %bb.20:
	v_lshlrev_b32_e32 v9, 1, v10
	v_mov_b32_e32 v11, s10
	v_add_co_u32_e32 v10, vcc, s7, v9
	v_addc_co_u32_e32 v11, vcc, 0, v11, vcc
	flat_load_ushort v9, v[10:11]
.LBB2845_21:
	s_or_b64 exec, exec, s[0:1]
	v_or_b32_e32 v11, 0x900, v0
	v_cmp_gt_u32_e32 vcc, s33, v11
                                        ; implicit-def: $vgpr10
	s_and_saveexec_b64 s[0:1], vcc
	s_cbranch_execz .LBB2845_23
; %bb.22:
	v_lshlrev_b32_e32 v10, 1, v11
	v_mov_b32_e32 v11, s10
	v_add_co_u32_e32 v10, vcc, s7, v10
	v_addc_co_u32_e32 v11, vcc, 0, v11, vcc
	flat_load_ushort v10, v[10:11]
.LBB2845_23:
	s_or_b64 exec, exec, s[0:1]
	v_or_b32_e32 v12, 0xa00, v0
	v_cmp_gt_u32_e32 vcc, s33, v12
                                        ; implicit-def: $vgpr11
	s_and_saveexec_b64 s[0:1], vcc
	s_cbranch_execz .LBB2845_25
; %bb.24:
	v_lshlrev_b32_e32 v11, 1, v12
	v_mov_b32_e32 v13, s10
	v_add_co_u32_e32 v12, vcc, s7, v11
	v_addc_co_u32_e32 v13, vcc, 0, v13, vcc
	flat_load_ushort v11, v[12:13]
.LBB2845_25:
	s_or_b64 exec, exec, s[0:1]
	v_or_b32_e32 v13, 0xb00, v0
	v_cmp_gt_u32_e32 vcc, s33, v13
                                        ; implicit-def: $vgpr12
	s_and_saveexec_b64 s[0:1], vcc
	s_cbranch_execz .LBB2845_27
; %bb.26:
	v_lshlrev_b32_e32 v12, 1, v13
	v_mov_b32_e32 v13, s10
	v_add_co_u32_e32 v12, vcc, s7, v12
	v_addc_co_u32_e32 v13, vcc, 0, v13, vcc
	flat_load_ushort v12, v[12:13]
.LBB2845_27:
	s_or_b64 exec, exec, s[0:1]
	v_or_b32_e32 v14, 0xc00, v0
	v_cmp_gt_u32_e32 vcc, s33, v14
                                        ; implicit-def: $vgpr13
	s_and_saveexec_b64 s[0:1], vcc
	s_cbranch_execz .LBB2845_29
; %bb.28:
	v_lshlrev_b32_e32 v13, 1, v14
	v_mov_b32_e32 v15, s10
	v_add_co_u32_e32 v14, vcc, s7, v13
	v_addc_co_u32_e32 v15, vcc, 0, v15, vcc
	flat_load_ushort v13, v[14:15]
.LBB2845_29:
	s_or_b64 exec, exec, s[0:1]
	v_or_b32_e32 v15, 0xd00, v0
	v_cmp_gt_u32_e32 vcc, s33, v15
                                        ; implicit-def: $vgpr14
	s_and_saveexec_b64 s[0:1], vcc
	s_cbranch_execz .LBB2845_31
; %bb.30:
	v_lshlrev_b32_e32 v14, 1, v15
	v_mov_b32_e32 v15, s10
	v_add_co_u32_e32 v14, vcc, s7, v14
	v_addc_co_u32_e32 v15, vcc, 0, v15, vcc
	flat_load_ushort v14, v[14:15]
.LBB2845_31:
	s_or_b64 exec, exec, s[0:1]
	v_or_b32_e32 v16, 0xe00, v0
	v_cmp_gt_u32_e32 vcc, s33, v16
                                        ; implicit-def: $vgpr15
	s_and_saveexec_b64 s[0:1], vcc
	s_cbranch_execz .LBB2845_33
; %bb.32:
	v_lshlrev_b32_e32 v15, 1, v16
	v_mov_b32_e32 v17, s10
	v_add_co_u32_e32 v16, vcc, s7, v15
	v_addc_co_u32_e32 v17, vcc, 0, v17, vcc
	flat_load_ushort v15, v[16:17]
.LBB2845_33:
	s_or_b64 exec, exec, s[0:1]
	v_or_b32_e32 v17, 0xf00, v0
	v_cmp_gt_u32_e32 vcc, s33, v17
                                        ; implicit-def: $vgpr16
	s_and_saveexec_b64 s[0:1], vcc
	s_cbranch_execz .LBB2845_35
; %bb.34:
	v_lshlrev_b32_e32 v16, 1, v17
	v_mov_b32_e32 v17, s10
	v_add_co_u32_e32 v16, vcc, s7, v16
	v_addc_co_u32_e32 v17, vcc, 0, v17, vcc
	flat_load_ushort v16, v[16:17]
.LBB2845_35:
	s_or_b64 exec, exec, s[0:1]
	v_or_b32_e32 v18, 0x1000, v0
	v_cmp_gt_u32_e32 vcc, s33, v18
                                        ; implicit-def: $vgpr17
	s_and_saveexec_b64 s[0:1], vcc
	s_cbranch_execz .LBB2845_37
; %bb.36:
	v_lshlrev_b32_e32 v17, 1, v18
	v_mov_b32_e32 v19, s10
	v_add_co_u32_e32 v18, vcc, s7, v17
	v_addc_co_u32_e32 v19, vcc, 0, v19, vcc
	flat_load_ushort v17, v[18:19]
.LBB2845_37:
	s_or_b64 exec, exec, s[0:1]
	v_or_b32_e32 v19, 0x1100, v0
	v_cmp_gt_u32_e32 vcc, s33, v19
                                        ; implicit-def: $vgpr18
	s_and_saveexec_b64 s[0:1], vcc
	s_cbranch_execz .LBB2845_39
; %bb.38:
	v_lshlrev_b32_e32 v18, 1, v19
	v_mov_b32_e32 v19, s10
	v_add_co_u32_e32 v18, vcc, s7, v18
	v_addc_co_u32_e32 v19, vcc, 0, v19, vcc
	flat_load_ushort v18, v[18:19]
.LBB2845_39:
	s_or_b64 exec, exec, s[0:1]
	v_or_b32_e32 v20, 0x1200, v0
	v_cmp_gt_u32_e32 vcc, s33, v20
                                        ; implicit-def: $vgpr19
	s_and_saveexec_b64 s[0:1], vcc
	s_cbranch_execz .LBB2845_41
; %bb.40:
	v_lshlrev_b32_e32 v19, 1, v20
	v_mov_b32_e32 v21, s10
	v_add_co_u32_e32 v20, vcc, s7, v19
	v_addc_co_u32_e32 v21, vcc, 0, v21, vcc
	flat_load_ushort v19, v[20:21]
.LBB2845_41:
	s_or_b64 exec, exec, s[0:1]
	v_or_b32_e32 v21, 0x1300, v0
	v_cmp_gt_u32_e32 vcc, s33, v21
                                        ; implicit-def: $vgpr20
	s_and_saveexec_b64 s[0:1], vcc
	s_cbranch_execz .LBB2845_43
; %bb.42:
	v_lshlrev_b32_e32 v20, 1, v21
	v_mov_b32_e32 v21, s10
	v_add_co_u32_e32 v20, vcc, s7, v20
	v_addc_co_u32_e32 v21, vcc, 0, v21, vcc
	flat_load_ushort v20, v[20:21]
.LBB2845_43:
	s_or_b64 exec, exec, s[0:1]
	v_or_b32_e32 v22, 0x1400, v0
	v_cmp_gt_u32_e32 vcc, s33, v22
                                        ; implicit-def: $vgpr21
	s_and_saveexec_b64 s[0:1], vcc
	s_cbranch_execz .LBB2845_45
; %bb.44:
	v_lshlrev_b32_e32 v21, 1, v22
	v_mov_b32_e32 v23, s10
	v_add_co_u32_e32 v22, vcc, s7, v21
	v_addc_co_u32_e32 v23, vcc, 0, v23, vcc
	flat_load_ushort v21, v[22:23]
.LBB2845_45:
	s_or_b64 exec, exec, s[0:1]
	v_or_b32_e32 v23, 0x1500, v0
	v_cmp_gt_u32_e32 vcc, s33, v23
                                        ; implicit-def: $vgpr22
	s_and_saveexec_b64 s[0:1], vcc
	s_cbranch_execz .LBB2845_47
; %bb.46:
	v_lshlrev_b32_e32 v22, 1, v23
	v_mov_b32_e32 v23, s10
	v_add_co_u32_e32 v22, vcc, s7, v22
	v_addc_co_u32_e32 v23, vcc, 0, v23, vcc
	flat_load_ushort v22, v[22:23]
.LBB2845_47:
	s_or_b64 exec, exec, s[0:1]
	v_or_b32_e32 v24, 0x1600, v0
	v_cmp_gt_u32_e32 vcc, s33, v24
                                        ; implicit-def: $vgpr23
	s_and_saveexec_b64 s[0:1], vcc
	s_cbranch_execz .LBB2845_49
; %bb.48:
	v_lshlrev_b32_e32 v23, 1, v24
	v_mov_b32_e32 v25, s10
	v_add_co_u32_e32 v24, vcc, s7, v23
	v_addc_co_u32_e32 v25, vcc, 0, v25, vcc
	flat_load_ushort v23, v[24:25]
.LBB2845_49:
	s_or_b64 exec, exec, s[0:1]
	v_or_b32_e32 v25, 0x1700, v0
	v_cmp_gt_u32_e32 vcc, s33, v25
                                        ; implicit-def: $vgpr24
	s_and_saveexec_b64 s[0:1], vcc
	s_cbranch_execz .LBB2845_51
; %bb.50:
	v_lshlrev_b32_e32 v24, 1, v25
	v_mov_b32_e32 v25, s10
	v_add_co_u32_e32 v24, vcc, s7, v24
	v_addc_co_u32_e32 v25, vcc, 0, v25, vcc
	flat_load_ushort v24, v[24:25]
.LBB2845_51:
	s_or_b64 exec, exec, s[0:1]
	v_or_b32_e32 v27, 0x1800, v0
	v_cmp_gt_u32_e32 vcc, s33, v27
                                        ; implicit-def: $vgpr25
	s_and_saveexec_b64 s[0:1], vcc
	s_cbranch_execz .LBB2845_53
; %bb.52:
	v_lshlrev_b32_e32 v25, 1, v27
	v_mov_b32_e32 v27, s10
	v_add_co_u32_e32 v28, vcc, s7, v25
	v_addc_co_u32_e32 v29, vcc, 0, v27, vcc
	flat_load_ushort v25, v[28:29]
.LBB2845_53:
	s_or_b64 exec, exec, s[0:1]
	v_or_b32_e32 v28, 0x1900, v0
	v_cmp_gt_u32_e32 vcc, s33, v28
                                        ; implicit-def: $vgpr27
	s_and_saveexec_b64 s[0:1], vcc
	s_cbranch_execz .LBB2845_55
; %bb.54:
	v_lshlrev_b32_e32 v27, 1, v28
	v_mov_b32_e32 v29, s10
	v_add_co_u32_e32 v28, vcc, s7, v27
	v_addc_co_u32_e32 v29, vcc, 0, v29, vcc
	flat_load_ushort v27, v[28:29]
.LBB2845_55:
	s_or_b64 exec, exec, s[0:1]
	v_or_b32_e32 v29, 0x1a00, v0
	v_cmp_gt_u32_e32 vcc, s33, v29
                                        ; implicit-def: $vgpr28
	s_and_saveexec_b64 s[0:1], vcc
	s_cbranch_execz .LBB2845_57
; %bb.56:
	v_lshlrev_b32_e32 v28, 1, v29
	v_mov_b32_e32 v29, s10
	v_add_co_u32_e32 v28, vcc, s7, v28
	v_addc_co_u32_e32 v29, vcc, 0, v29, vcc
	flat_load_ushort v28, v[28:29]
.LBB2845_57:
	s_or_b64 exec, exec, s[0:1]
	v_or_b32_e32 v30, 0x1b00, v0
	v_cmp_gt_u32_e32 vcc, s33, v30
                                        ; implicit-def: $vgpr29
	s_and_saveexec_b64 s[0:1], vcc
	s_cbranch_execz .LBB2845_59
; %bb.58:
	v_lshlrev_b32_e32 v29, 1, v30
	v_mov_b32_e32 v31, s10
	v_add_co_u32_e32 v30, vcc, s7, v29
	v_addc_co_u32_e32 v31, vcc, 0, v31, vcc
	flat_load_ushort v29, v[30:31]
.LBB2845_59:
	s_or_b64 exec, exec, s[0:1]
	s_waitcnt vmcnt(0) lgkmcnt(0)
	ds_write_b16 v26, v1
	ds_write_b16 v26, v2 offset:512
	ds_write_b16 v26, v3 offset:1024
	;; [unrolled: 1-line block ×27, first 2 shown]
	s_waitcnt lgkmcnt(0)
	s_barrier
.LBB2845_60:
	v_mul_u32_u24_e32 v39, 28, v0
	v_lshlrev_b32_e32 v6, 1, v39
	s_waitcnt lgkmcnt(0)
	ds_read_b64 v[16:17], v6 offset:48
	ds_read2_b64 v[2:5], v6 offset0:4 offset1:5
	ds_read2_b64 v[10:13], v6 offset1:1
	ds_read2_b64 v[6:9], v6 offset0:2 offset1:3
	v_cndmask_b32_e64 v14, 0, 1, s[2:3]
	s_waitcnt lgkmcnt(3)
	v_lshrrev_b32_e32 v27, 16, v16
	v_lshrrev_b32_e32 v1, 16, v17
	s_waitcnt lgkmcnt(2)
	v_lshrrev_b32_e32 v31, 16, v2
	v_lshrrev_b32_e32 v30, 16, v3
	v_lshrrev_b32_e32 v29, 16, v4
	v_lshrrev_b32_e32 v28, 16, v5
	s_waitcnt lgkmcnt(1)
	v_lshrrev_b32_e32 v40, 16, v10
	v_lshrrev_b32_e32 v38, 16, v11
	;; [unrolled: 5-line block ×3, first 2 shown]
	v_lshrrev_b32_e32 v33, 16, v8
	v_lshrrev_b32_e32 v32, 16, v9
	v_cmp_ne_u32_e64 s[0:1], 1, v14
	s_andn2_b64 vcc, exec, s[2:3]
	v_xor_b32_e32 v86, -1, v10
	v_xor_b32_e32 v85, -1, v40
	;; [unrolled: 1-line block ×28, first 2 shown]
	s_barrier
	s_cbranch_vccnz .LBB2845_62
; %bb.61:
	v_and_b32_e32 v68, 1, v86
	v_and_b32_e32 v67, 1, v85
	v_and_b32_e32 v66, 1, v84
	v_and_b32_e32 v65, 1, v83
	v_and_b32_e32 v64, 1, v82
	v_and_b32_e32 v63, 1, v81
	v_and_b32_e32 v62, 1, v80
	v_and_b32_e32 v61, 1, v79
	v_and_b32_e32 v60, 1, v78
	v_and_b32_e32 v59, 1, v77
	v_and_b32_e32 v58, 1, v76
	v_and_b32_e32 v57, 1, v75
	v_and_b32_e32 v56, 1, v74
	v_and_b32_e32 v55, 1, v73
	v_and_b32_e32 v54, 1, v72
	v_and_b32_e32 v53, 1, v71
	v_and_b32_e32 v52, 1, v70
	v_and_b32_e32 v51, 1, v69
	v_and_b32_e32 v50, 1, v25
	v_and_b32_e32 v49, 1, v24
	v_and_b32_e32 v48, 1, v23
	v_and_b32_e32 v47, 1, v22
	v_and_b32_e32 v46, 1, v21
	v_and_b32_e32 v45, 1, v20
	v_and_b32_e32 v44, 1, v19
	v_and_b32_e32 v43, 1, v18
	v_and_b32_e32 v41, 1, v15
	v_and_b32_e32 v42, 1, v14
	s_load_dwordx2 s[34:35], s[4:5], 0x70
	s_cbranch_execz .LBB2845_63
	s_branch .LBB2845_64
.LBB2845_62:
                                        ; implicit-def: $vgpr68
                                        ; implicit-def: $vgpr67
                                        ; implicit-def: $vgpr66
                                        ; implicit-def: $vgpr65
                                        ; implicit-def: $vgpr64
                                        ; implicit-def: $vgpr63
                                        ; implicit-def: $vgpr62
                                        ; implicit-def: $vgpr61
                                        ; implicit-def: $vgpr60
                                        ; implicit-def: $vgpr59
                                        ; implicit-def: $vgpr58
                                        ; implicit-def: $vgpr57
                                        ; implicit-def: $vgpr56
                                        ; implicit-def: $vgpr55
                                        ; implicit-def: $vgpr54
                                        ; implicit-def: $vgpr53
                                        ; implicit-def: $vgpr52
                                        ; implicit-def: $vgpr51
                                        ; implicit-def: $vgpr50
                                        ; implicit-def: $vgpr49
                                        ; implicit-def: $vgpr48
                                        ; implicit-def: $vgpr47
                                        ; implicit-def: $vgpr46
                                        ; implicit-def: $vgpr45
                                        ; implicit-def: $vgpr44
                                        ; implicit-def: $vgpr43
                                        ; implicit-def: $vgpr41
                                        ; implicit-def: $vgpr42
	s_load_dwordx2 s[34:35], s[4:5], 0x70
.LBB2845_63:
	v_or_b32_e32 v50, 1, v39
	v_cmp_gt_u32_e32 vcc, s33, v39
	v_or_b32_e32 v51, 2, v39
	v_cndmask_b32_e64 v59, 0, 1, vcc
	v_cmp_gt_u32_e32 vcc, s33, v50
	v_or_b32_e32 v52, 3, v39
	v_cndmask_b32_e64 v50, 0, 1, vcc
	v_cmp_gt_u32_e32 vcc, s33, v51
	v_add_u32_e32 v53, 4, v39
	v_and_b32_e32 v67, v50, v85
	v_cndmask_b32_e64 v50, 0, 1, vcc
	v_cmp_gt_u32_e32 vcc, s33, v52
	v_add_u32_e32 v54, 5, v39
	v_and_b32_e32 v66, v50, v84
	;; [unrolled: 4-line block ×9, first 2 shown]
	v_and_b32_e32 v59, v50, v77
	v_cndmask_b32_e64 v50, 0, 1, vcc
	v_cmp_gt_u32_e32 vcc, s33, v88
	v_add_u32_e32 v90, 13, v39
	v_and_b32_e32 v58, v50, v76
	v_cndmask_b32_e64 v50, 0, 1, vcc
	v_cmp_gt_u32_e32 vcc, s33, v89
	v_add_u32_e32 v91, 14, v39
	;; [unrolled: 4-line block ×15, first 2 shown]
	v_and_b32_e32 v44, v20, v19
	v_cndmask_b32_e64 v19, 0, 1, vcc
	v_cmp_gt_u32_e32 vcc, s33, v41
	v_and_b32_e32 v43, v19, v18
	v_cndmask_b32_e64 v18, 0, 1, vcc
	v_cmp_gt_u32_e32 vcc, s33, v42
	v_and_b32_e32 v41, v18, v15
	v_cndmask_b32_e64 v15, 0, 1, vcc
	v_and_b32_e32 v42, v15, v14
.LBB2845_64:
	v_and_b32_e32 v93, 0xff, v44
	v_and_b32_e32 v94, 0xff, v43
	v_add_u32_sdwa v14, v41, v42 dst_sel:DWORD dst_unused:UNUSED_PAD src0_sel:BYTE_0 src1_sel:BYTE_0
	v_and_b32_e32 v91, 0xff, v46
	v_and_b32_e32 v92, 0xff, v45
	v_add3_u32 v14, v14, v94, v93
	v_and_b32_e32 v89, 0xff, v48
	v_and_b32_e32 v90, 0xff, v47
	v_add3_u32 v14, v14, v92, v91
	v_and_b32_e32 v87, 0xff, v50
	v_and_b32_e32 v88, 0xff, v49
	v_add3_u32 v14, v14, v90, v89
	v_and_b32_e32 v85, 0xff, v52
	v_and_b32_e32 v86, 0xff, v51
	v_add3_u32 v14, v14, v88, v87
	v_and_b32_e32 v83, 0xff, v54
	v_and_b32_e32 v84, 0xff, v53
	v_add3_u32 v14, v14, v86, v85
	v_and_b32_e32 v81, 0xff, v56
	v_and_b32_e32 v82, 0xff, v55
	v_add3_u32 v14, v14, v84, v83
	v_and_b32_e32 v79, 0xff, v58
	v_and_b32_e32 v80, 0xff, v57
	v_add3_u32 v14, v14, v82, v81
	v_and_b32_e32 v77, 0xff, v60
	v_and_b32_e32 v78, 0xff, v59
	v_add3_u32 v14, v14, v80, v79
	v_and_b32_e32 v75, 0xff, v62
	v_and_b32_e32 v76, 0xff, v61
	v_add3_u32 v14, v14, v78, v77
	v_and_b32_e32 v73, 0xff, v64
	v_and_b32_e32 v74, 0xff, v63
	v_add3_u32 v14, v14, v76, v75
	v_and_b32_e32 v71, 0xff, v66
	v_and_b32_e32 v72, 0xff, v65
	v_add3_u32 v14, v14, v74, v73
	v_and_b32_e32 v69, 0xff, v68
	v_and_b32_e32 v70, 0xff, v67
	v_add3_u32 v14, v14, v72, v71
	v_add3_u32 v97, v14, v70, v69
	v_mbcnt_lo_u32_b32 v14, -1, 0
	v_mbcnt_hi_u32_b32 v95, -1, v14
	v_and_b32_e32 v14, 15, v95
	v_cmp_eq_u32_e64 s[16:17], 0, v14
	v_cmp_lt_u32_e64 s[14:15], 1, v14
	v_cmp_lt_u32_e64 s[12:13], 3, v14
	;; [unrolled: 1-line block ×3, first 2 shown]
	v_and_b32_e32 v14, 16, v95
	v_cmp_eq_u32_e64 s[8:9], 0, v14
	v_or_b32_e32 v14, 63, v0
	s_cmp_lg_u32 s6, 0
	v_cmp_lt_u32_e64 s[2:3], 31, v95
	v_lshrrev_b32_e32 v96, 6, v0
	v_cmp_eq_u32_e64 s[20:21], v14, v0
	s_cbranch_scc0 .LBB2845_91
; %bb.65:
	v_mov_b32_dpp v14, v97 row_shr:1 row_mask:0xf bank_mask:0xf
	v_cndmask_b32_e64 v14, v14, 0, s[16:17]
	v_add_u32_e32 v14, v14, v97
	s_nop 1
	v_mov_b32_dpp v15, v14 row_shr:2 row_mask:0xf bank_mask:0xf
	v_cndmask_b32_e64 v15, 0, v15, s[14:15]
	v_add_u32_e32 v14, v14, v15
	s_nop 1
	v_mov_b32_dpp v15, v14 row_shr:4 row_mask:0xf bank_mask:0xf
	v_cndmask_b32_e64 v15, 0, v15, s[12:13]
	v_add_u32_e32 v14, v14, v15
	s_nop 1
	v_mov_b32_dpp v15, v14 row_shr:8 row_mask:0xf bank_mask:0xf
	v_cndmask_b32_e64 v15, 0, v15, s[10:11]
	v_add_u32_e32 v14, v14, v15
	s_nop 1
	v_mov_b32_dpp v15, v14 row_bcast:15 row_mask:0xf bank_mask:0xf
	v_cndmask_b32_e64 v15, v15, 0, s[8:9]
	v_add_u32_e32 v14, v14, v15
	s_nop 1
	v_mov_b32_dpp v15, v14 row_bcast:31 row_mask:0xf bank_mask:0xf
	v_cndmask_b32_e64 v15, 0, v15, s[2:3]
	v_add_u32_e32 v14, v14, v15
	s_and_saveexec_b64 s[18:19], s[20:21]
	s_cbranch_execz .LBB2845_67
; %bb.66:
	v_lshlrev_b32_e32 v15, 2, v96
	ds_write_b32 v15, v14
.LBB2845_67:
	s_or_b64 exec, exec, s[18:19]
	v_cmp_gt_u32_e32 vcc, 4, v0
	s_waitcnt lgkmcnt(0)
	s_barrier
	s_and_saveexec_b64 s[18:19], vcc
	s_cbranch_execz .LBB2845_69
; %bb.68:
	v_lshlrev_b32_e32 v15, 2, v0
	ds_read_b32 v18, v15
	v_and_b32_e32 v19, 3, v95
	v_cmp_ne_u32_e32 vcc, 0, v19
	s_waitcnt lgkmcnt(0)
	v_mov_b32_dpp v20, v18 row_shr:1 row_mask:0xf bank_mask:0xf
	v_cndmask_b32_e32 v20, 0, v20, vcc
	v_add_u32_e32 v18, v20, v18
	v_cmp_lt_u32_e32 vcc, 1, v19
	s_nop 0
	v_mov_b32_dpp v20, v18 row_shr:2 row_mask:0xf bank_mask:0xf
	v_cndmask_b32_e32 v19, 0, v20, vcc
	v_add_u32_e32 v18, v18, v19
	ds_write_b32 v15, v18
.LBB2845_69:
	s_or_b64 exec, exec, s[18:19]
	v_cmp_gt_u32_e32 vcc, 64, v0
	v_cmp_lt_u32_e64 s[18:19], 63, v0
	s_waitcnt lgkmcnt(0)
	s_barrier
	s_waitcnt lgkmcnt(0)
                                        ; implicit-def: $vgpr98
	s_and_saveexec_b64 s[36:37], s[18:19]
	s_cbranch_execz .LBB2845_71
; %bb.70:
	v_lshl_add_u32 v15, v96, 2, -4
	ds_read_b32 v98, v15
	s_waitcnt lgkmcnt(0)
	v_add_u32_e32 v14, v98, v14
.LBB2845_71:
	s_or_b64 exec, exec, s[36:37]
	v_add_u32_e32 v15, -1, v95
	v_and_b32_e32 v18, 64, v95
	v_cmp_lt_i32_e64 s[18:19], v15, v18
	v_cndmask_b32_e64 v15, v15, v95, s[18:19]
	v_lshlrev_b32_e32 v15, 2, v15
	ds_bpermute_b32 v99, v15, v14
	v_cmp_eq_u32_e64 s[18:19], 0, v95
	s_and_saveexec_b64 s[36:37], vcc
	s_cbranch_execz .LBB2845_90
; %bb.72:
	v_mov_b32_e32 v23, 0
	ds_read_b32 v14, v23 offset:12
	s_and_saveexec_b64 s[38:39], s[18:19]
	s_cbranch_execz .LBB2845_74
; %bb.73:
	s_add_i32 s40, s6, 64
	s_mov_b32 s41, 0
	s_lshl_b64 s[40:41], s[40:41], 3
	s_add_u32 s40, s34, s40
	v_mov_b32_e32 v15, 1
	s_addc_u32 s41, s35, s41
	s_waitcnt lgkmcnt(0)
	global_store_dwordx2 v23, v[14:15], s[40:41]
.LBB2845_74:
	s_or_b64 exec, exec, s[38:39]
	v_xad_u32 v18, v95, -1, s6
	v_add_u32_e32 v22, 64, v18
	v_lshlrev_b64 v[20:21], 3, v[22:23]
	v_mov_b32_e32 v15, s35
	v_add_co_u32_e32 v24, vcc, s34, v20
	v_addc_co_u32_e32 v25, vcc, v15, v21, vcc
	global_load_dwordx2 v[20:21], v[24:25], off glc
	s_waitcnt vmcnt(0)
	v_cmp_eq_u16_sdwa s[40:41], v21, v23 src0_sel:BYTE_0 src1_sel:DWORD
	s_and_saveexec_b64 s[38:39], s[40:41]
	s_cbranch_execz .LBB2845_78
; %bb.75:
	s_mov_b64 s[40:41], 0
	v_mov_b32_e32 v15, 0
.LBB2845_76:                            ; =>This Inner Loop Header: Depth=1
	global_load_dwordx2 v[20:21], v[24:25], off glc
	s_waitcnt vmcnt(0)
	v_cmp_ne_u16_sdwa s[42:43], v21, v15 src0_sel:BYTE_0 src1_sel:DWORD
	s_or_b64 s[40:41], s[42:43], s[40:41]
	s_andn2_b64 exec, exec, s[40:41]
	s_cbranch_execnz .LBB2845_76
; %bb.77:
	s_or_b64 exec, exec, s[40:41]
.LBB2845_78:
	s_or_b64 exec, exec, s[38:39]
	v_and_b32_e32 v101, 63, v95
	v_mov_b32_e32 v100, 2
	v_cmp_ne_u32_e32 vcc, 63, v101
	v_cmp_eq_u16_sdwa s[38:39], v21, v100 src0_sel:BYTE_0 src1_sel:DWORD
	v_lshlrev_b64 v[22:23], v95, -1
	v_addc_co_u32_e32 v24, vcc, 0, v95, vcc
	v_and_b32_e32 v15, s39, v23
	v_lshlrev_b32_e32 v102, 2, v24
	v_or_b32_e32 v15, 0x80000000, v15
	ds_bpermute_b32 v24, v102, v20
	v_and_b32_e32 v19, s38, v22
	v_ffbl_b32_e32 v15, v15
	v_add_u32_e32 v15, 32, v15
	v_ffbl_b32_e32 v19, v19
	v_min_u32_e32 v15, v19, v15
	v_cmp_lt_u32_e32 vcc, v101, v15
	s_waitcnt lgkmcnt(0)
	v_cndmask_b32_e32 v19, 0, v24, vcc
	v_cmp_gt_u32_e32 vcc, 62, v101
	v_add_u32_e32 v19, v19, v20
	v_cndmask_b32_e64 v20, 0, 1, vcc
	v_lshlrev_b32_e32 v20, 1, v20
	v_add_lshl_u32 v103, v20, v95, 2
	ds_bpermute_b32 v20, v103, v19
	v_add_u32_e32 v104, 2, v101
	v_cmp_le_u32_e32 vcc, v104, v15
	v_add_u32_e32 v106, 4, v101
	v_add_u32_e32 v108, 8, v101
	s_waitcnt lgkmcnt(0)
	v_cndmask_b32_e32 v20, 0, v20, vcc
	v_cmp_gt_u32_e32 vcc, 60, v101
	v_add_u32_e32 v19, v19, v20
	v_cndmask_b32_e64 v20, 0, 1, vcc
	v_lshlrev_b32_e32 v20, 2, v20
	v_add_lshl_u32 v105, v20, v95, 2
	ds_bpermute_b32 v20, v105, v19
	v_cmp_le_u32_e32 vcc, v106, v15
	v_add_u32_e32 v110, 16, v101
	v_add_u32_e32 v112, 32, v101
	s_waitcnt lgkmcnt(0)
	v_cndmask_b32_e32 v20, 0, v20, vcc
	v_cmp_gt_u32_e32 vcc, 56, v101
	v_add_u32_e32 v19, v19, v20
	v_cndmask_b32_e64 v20, 0, 1, vcc
	v_lshlrev_b32_e32 v20, 3, v20
	v_add_lshl_u32 v107, v20, v95, 2
	ds_bpermute_b32 v20, v107, v19
	v_cmp_le_u32_e32 vcc, v108, v15
	s_waitcnt lgkmcnt(0)
	v_cndmask_b32_e32 v20, 0, v20, vcc
	v_cmp_gt_u32_e32 vcc, 48, v101
	v_add_u32_e32 v19, v19, v20
	v_cndmask_b32_e64 v20, 0, 1, vcc
	v_lshlrev_b32_e32 v20, 4, v20
	v_add_lshl_u32 v109, v20, v95, 2
	ds_bpermute_b32 v20, v109, v19
	v_cmp_le_u32_e32 vcc, v110, v15
	;; [unrolled: 9-line block ×3, first 2 shown]
	s_waitcnt lgkmcnt(0)
	v_cndmask_b32_e32 v15, 0, v20, vcc
	v_add_u32_e32 v20, v19, v15
	v_mov_b32_e32 v19, 0
	s_branch .LBB2845_80
.LBB2845_79:                            ;   in Loop: Header=BB2845_80 Depth=1
	s_or_b64 exec, exec, s[38:39]
	v_cmp_eq_u16_sdwa s[38:39], v21, v100 src0_sel:BYTE_0 src1_sel:DWORD
	v_and_b32_e32 v24, s39, v23
	v_or_b32_e32 v24, 0x80000000, v24
	ds_bpermute_b32 v113, v102, v20
	v_and_b32_e32 v25, s38, v22
	v_ffbl_b32_e32 v24, v24
	v_add_u32_e32 v24, 32, v24
	v_ffbl_b32_e32 v25, v25
	v_min_u32_e32 v24, v25, v24
	v_cmp_lt_u32_e32 vcc, v101, v24
	s_waitcnt lgkmcnt(0)
	v_cndmask_b32_e32 v25, 0, v113, vcc
	v_add_u32_e32 v20, v25, v20
	ds_bpermute_b32 v25, v103, v20
	v_cmp_le_u32_e32 vcc, v104, v24
	v_subrev_u32_e32 v18, 64, v18
	s_waitcnt lgkmcnt(0)
	v_cndmask_b32_e32 v25, 0, v25, vcc
	v_add_u32_e32 v20, v20, v25
	ds_bpermute_b32 v25, v105, v20
	v_cmp_le_u32_e32 vcc, v106, v24
	s_waitcnt lgkmcnt(0)
	v_cndmask_b32_e32 v25, 0, v25, vcc
	v_add_u32_e32 v20, v20, v25
	ds_bpermute_b32 v25, v107, v20
	v_cmp_le_u32_e32 vcc, v108, v24
	s_waitcnt lgkmcnt(0)
	v_cndmask_b32_e32 v25, 0, v25, vcc
	v_add_u32_e32 v20, v20, v25
	ds_bpermute_b32 v25, v109, v20
	v_cmp_le_u32_e32 vcc, v110, v24
	s_waitcnt lgkmcnt(0)
	v_cndmask_b32_e32 v25, 0, v25, vcc
	v_add_u32_e32 v20, v20, v25
	ds_bpermute_b32 v25, v111, v20
	v_cmp_le_u32_e32 vcc, v112, v24
	s_waitcnt lgkmcnt(0)
	v_cndmask_b32_e32 v24, 0, v25, vcc
	v_add3_u32 v20, v24, v15, v20
.LBB2845_80:                            ; =>This Loop Header: Depth=1
                                        ;     Child Loop BB2845_83 Depth 2
	v_cmp_ne_u16_sdwa s[38:39], v21, v100 src0_sel:BYTE_0 src1_sel:DWORD
	v_cndmask_b32_e64 v15, 0, 1, s[38:39]
	;;#ASMSTART
	;;#ASMEND
	v_cmp_ne_u32_e32 vcc, 0, v15
	s_cmp_lg_u64 vcc, exec
	v_mov_b32_e32 v15, v20
	s_cbranch_scc1 .LBB2845_85
; %bb.81:                               ;   in Loop: Header=BB2845_80 Depth=1
	v_lshlrev_b64 v[20:21], 3, v[18:19]
	v_mov_b32_e32 v25, s35
	v_add_co_u32_e32 v24, vcc, s34, v20
	v_addc_co_u32_e32 v25, vcc, v25, v21, vcc
	global_load_dwordx2 v[20:21], v[24:25], off glc
	s_waitcnt vmcnt(0)
	v_cmp_eq_u16_sdwa s[40:41], v21, v19 src0_sel:BYTE_0 src1_sel:DWORD
	s_and_saveexec_b64 s[38:39], s[40:41]
	s_cbranch_execz .LBB2845_79
; %bb.82:                               ;   in Loop: Header=BB2845_80 Depth=1
	s_mov_b64 s[40:41], 0
.LBB2845_83:                            ;   Parent Loop BB2845_80 Depth=1
                                        ; =>  This Inner Loop Header: Depth=2
	global_load_dwordx2 v[20:21], v[24:25], off glc
	s_waitcnt vmcnt(0)
	v_cmp_ne_u16_sdwa s[42:43], v21, v19 src0_sel:BYTE_0 src1_sel:DWORD
	s_or_b64 s[40:41], s[42:43], s[40:41]
	s_andn2_b64 exec, exec, s[40:41]
	s_cbranch_execnz .LBB2845_83
; %bb.84:                               ;   in Loop: Header=BB2845_80 Depth=1
	s_or_b64 exec, exec, s[40:41]
	s_branch .LBB2845_79
.LBB2845_85:                            ;   in Loop: Header=BB2845_80 Depth=1
                                        ; implicit-def: $vgpr20
                                        ; implicit-def: $vgpr21
	s_cbranch_execz .LBB2845_80
; %bb.86:
	s_and_saveexec_b64 s[38:39], s[18:19]
	s_cbranch_execz .LBB2845_88
; %bb.87:
	s_add_i32 s6, s6, 64
	s_mov_b32 s7, 0
	s_lshl_b64 s[6:7], s[6:7], 3
	s_add_u32 s6, s34, s6
	v_add_u32_e32 v18, v15, v14
	v_mov_b32_e32 v19, 2
	s_addc_u32 s7, s35, s7
	v_mov_b32_e32 v20, 0
	global_store_dwordx2 v20, v[18:19], s[6:7]
	ds_write_b64 v20, v[14:15] offset:14336
.LBB2845_88:
	s_or_b64 exec, exec, s[38:39]
	v_cmp_eq_u32_e32 vcc, 0, v0
	s_and_b64 exec, exec, vcc
	s_cbranch_execz .LBB2845_90
; %bb.89:
	v_mov_b32_e32 v14, 0
	ds_write_b32 v14, v15 offset:12
.LBB2845_90:
	s_or_b64 exec, exec, s[36:37]
	v_mov_b32_e32 v14, 0
	s_waitcnt lgkmcnt(0)
	s_barrier
	ds_read_b32 v19, v14 offset:12
	s_waitcnt lgkmcnt(0)
	s_barrier
	ds_read_b64 v[14:15], v14 offset:14336
	v_cndmask_b32_e64 v18, v99, v98, s[18:19]
	v_cmp_ne_u32_e32 vcc, 0, v0
	v_cndmask_b32_e32 v18, 0, v18, vcc
	v_add_u32_e32 v18, v19, v18
	s_load_dwordx2 s[4:5], s[4:5], 0x38
	s_branch .LBB2845_101
.LBB2845_91:
                                        ; implicit-def: $vgpr15
                                        ; implicit-def: $vgpr18
	s_load_dwordx2 s[4:5], s[4:5], 0x38
	s_cbranch_execz .LBB2845_101
; %bb.92:
	s_waitcnt lgkmcnt(0)
	v_mov_b32_dpp v14, v97 row_shr:1 row_mask:0xf bank_mask:0xf
	v_cndmask_b32_e64 v14, v14, 0, s[16:17]
	v_add_u32_e32 v14, v14, v97
	s_nop 1
	v_mov_b32_dpp v15, v14 row_shr:2 row_mask:0xf bank_mask:0xf
	v_cndmask_b32_e64 v15, 0, v15, s[14:15]
	v_add_u32_e32 v14, v14, v15
	s_nop 1
	;; [unrolled: 4-line block ×4, first 2 shown]
	v_mov_b32_dpp v15, v14 row_bcast:15 row_mask:0xf bank_mask:0xf
	v_cndmask_b32_e64 v15, v15, 0, s[8:9]
	v_add_u32_e32 v14, v14, v15
	s_nop 1
	v_mov_b32_dpp v15, v14 row_bcast:31 row_mask:0xf bank_mask:0xf
	v_cndmask_b32_e64 v15, 0, v15, s[2:3]
	v_add_u32_e32 v14, v14, v15
	s_and_saveexec_b64 s[2:3], s[20:21]
	s_cbranch_execz .LBB2845_94
; %bb.93:
	v_lshlrev_b32_e32 v15, 2, v96
	ds_write_b32 v15, v14
.LBB2845_94:
	s_or_b64 exec, exec, s[2:3]
	v_cmp_gt_u32_e32 vcc, 4, v0
	s_waitcnt lgkmcnt(0)
	s_barrier
	s_and_saveexec_b64 s[2:3], vcc
	s_cbranch_execz .LBB2845_96
; %bb.95:
	v_lshlrev_b32_e32 v15, 2, v0
	ds_read_b32 v18, v15
	v_and_b32_e32 v19, 3, v95
	v_cmp_ne_u32_e32 vcc, 0, v19
	s_waitcnt lgkmcnt(0)
	v_mov_b32_dpp v20, v18 row_shr:1 row_mask:0xf bank_mask:0xf
	v_cndmask_b32_e32 v20, 0, v20, vcc
	v_add_u32_e32 v18, v20, v18
	v_cmp_lt_u32_e32 vcc, 1, v19
	s_nop 0
	v_mov_b32_dpp v20, v18 row_shr:2 row_mask:0xf bank_mask:0xf
	v_cndmask_b32_e32 v19, 0, v20, vcc
	v_add_u32_e32 v18, v18, v19
	ds_write_b32 v15, v18
.LBB2845_96:
	s_or_b64 exec, exec, s[2:3]
	v_cmp_lt_u32_e32 vcc, 63, v0
	v_mov_b32_e32 v15, 0
	v_mov_b32_e32 v18, 0
	s_waitcnt lgkmcnt(0)
	s_barrier
	s_and_saveexec_b64 s[2:3], vcc
	s_cbranch_execz .LBB2845_98
; %bb.97:
	v_lshl_add_u32 v18, v96, 2, -4
	ds_read_b32 v18, v18
.LBB2845_98:
	s_or_b64 exec, exec, s[2:3]
	v_add_u32_e32 v19, -1, v95
	v_and_b32_e32 v20, 64, v95
	v_cmp_lt_i32_e32 vcc, v19, v20
	v_cndmask_b32_e32 v19, v19, v95, vcc
	s_waitcnt lgkmcnt(0)
	v_add_u32_e32 v14, v18, v14
	v_lshlrev_b32_e32 v19, 2, v19
	ds_bpermute_b32 v19, v19, v14
	ds_read_b32 v14, v15 offset:12
	v_cmp_eq_u32_e32 vcc, 0, v0
	s_and_saveexec_b64 s[2:3], vcc
	s_cbranch_execz .LBB2845_100
; %bb.99:
	v_mov_b32_e32 v20, 0
	v_mov_b32_e32 v15, 2
	s_waitcnt lgkmcnt(0)
	global_store_dwordx2 v20, v[14:15], s[34:35] offset:512
.LBB2845_100:
	s_or_b64 exec, exec, s[2:3]
	v_cmp_eq_u32_e64 s[2:3], 0, v95
	s_waitcnt lgkmcnt(1)
	v_cndmask_b32_e64 v18, v19, v18, s[2:3]
	v_mov_b32_e32 v15, 0
	v_cndmask_b32_e64 v18, v18, 0, vcc
	s_waitcnt lgkmcnt(0)
	s_barrier
.LBB2845_101:
	v_add_u32_e32 v19, v18, v69
	v_add_u32_e32 v20, v19, v70
	;; [unrolled: 1-line block ×19, first 2 shown]
	s_waitcnt lgkmcnt(0)
	v_add_u32_e32 v39, v14, v39
	v_sub_u32_e32 v18, v18, v15
	v_and_b32_e32 v68, 1, v68
	v_add_u32_e32 v81, v80, v88
	v_sub_u32_e32 v88, v39, v18
	v_cmp_eq_u32_e32 vcc, 1, v68
	v_cndmask_b32_e32 v18, v88, v18, vcc
	v_lshlrev_b32_e32 v18, 1, v18
	ds_write_b16 v18, v10
	v_sub_u32_e32 v10, v19, v15
	v_sub_u32_e32 v18, v39, v10
	v_and_b32_e32 v19, 1, v67
	v_add_u32_e32 v18, 1, v18
	v_cmp_eq_u32_e32 vcc, 1, v19
	v_cndmask_b32_e32 v10, v18, v10, vcc
	v_lshlrev_b32_e32 v10, 1, v10
	ds_write_b16 v10, v40
	v_sub_u32_e32 v10, v20, v15
	v_sub_u32_e32 v18, v39, v10
	v_and_b32_e32 v19, 1, v66
	v_add_u32_e32 v18, 2, v18
	v_cmp_eq_u32_e32 vcc, 1, v19
	v_cndmask_b32_e32 v10, v18, v10, vcc
	v_lshlrev_b32_e32 v10, 1, v10
	ds_write_b16 v10, v11
	v_sub_u32_e32 v10, v21, v15
	v_sub_u32_e32 v11, v39, v10
	v_and_b32_e32 v18, 1, v65
	v_add_u32_e32 v11, 3, v11
	v_cmp_eq_u32_e32 vcc, 1, v18
	v_cndmask_b32_e32 v10, v11, v10, vcc
	v_lshlrev_b32_e32 v10, 1, v10
	ds_write_b16 v10, v38
	v_sub_u32_e32 v10, v22, v15
	v_sub_u32_e32 v11, v39, v10
	v_and_b32_e32 v18, 1, v64
	v_add_u32_e32 v11, 4, v11
	v_cmp_eq_u32_e32 vcc, 1, v18
	v_cndmask_b32_e32 v10, v11, v10, vcc
	v_lshlrev_b32_e32 v10, 1, v10
	ds_write_b16 v10, v12
	v_sub_u32_e32 v10, v23, v15
	v_sub_u32_e32 v11, v39, v10
	v_and_b32_e32 v12, 1, v63
	v_add_u32_e32 v11, 5, v11
	v_cmp_eq_u32_e32 vcc, 1, v12
	v_cndmask_b32_e32 v10, v11, v10, vcc
	v_lshlrev_b32_e32 v10, 1, v10
	ds_write_b16 v10, v37
	v_sub_u32_e32 v10, v24, v15
	v_sub_u32_e32 v11, v39, v10
	v_and_b32_e32 v12, 1, v62
	v_add_u32_e32 v11, 6, v11
	v_cmp_eq_u32_e32 vcc, 1, v12
	v_cndmask_b32_e32 v10, v11, v10, vcc
	v_lshlrev_b32_e32 v10, 1, v10
	ds_write_b16 v10, v13
	v_sub_u32_e32 v10, v25, v15
	v_sub_u32_e32 v11, v39, v10
	v_and_b32_e32 v12, 1, v61
	v_add_u32_e32 v11, 7, v11
	v_cmp_eq_u32_e32 vcc, 1, v12
	v_cndmask_b32_e32 v10, v11, v10, vcc
	v_lshlrev_b32_e32 v10, 1, v10
	ds_write_b16 v10, v36
	v_sub_u32_e32 v10, v69, v15
	v_sub_u32_e32 v11, v39, v10
	v_and_b32_e32 v12, 1, v60
	v_add_u32_e32 v11, 8, v11
	v_cmp_eq_u32_e32 vcc, 1, v12
	v_cndmask_b32_e32 v10, v11, v10, vcc
	v_lshlrev_b32_e32 v10, 1, v10
	ds_write_b16 v10, v6
	v_sub_u32_e32 v6, v70, v15
	v_sub_u32_e32 v10, v39, v6
	v_and_b32_e32 v11, 1, v59
	v_add_u32_e32 v10, 9, v10
	v_cmp_eq_u32_e32 vcc, 1, v11
	v_cndmask_b32_e32 v6, v10, v6, vcc
	v_lshlrev_b32_e32 v6, 1, v6
	ds_write_b16 v6, v35
	v_sub_u32_e32 v6, v71, v15
	v_sub_u32_e32 v10, v39, v6
	v_and_b32_e32 v11, 1, v58
	v_add_u32_e32 v10, 10, v10
	v_cmp_eq_u32_e32 vcc, 1, v11
	v_cndmask_b32_e32 v6, v10, v6, vcc
	v_lshlrev_b32_e32 v6, 1, v6
	ds_write_b16 v6, v7
	v_sub_u32_e32 v6, v72, v15
	v_sub_u32_e32 v7, v39, v6
	v_and_b32_e32 v10, 1, v57
	v_add_u32_e32 v7, 11, v7
	v_cmp_eq_u32_e32 vcc, 1, v10
	v_cndmask_b32_e32 v6, v7, v6, vcc
	v_lshlrev_b32_e32 v6, 1, v6
	ds_write_b16 v6, v34
	v_sub_u32_e32 v6, v73, v15
	v_sub_u32_e32 v7, v39, v6
	v_and_b32_e32 v10, 1, v56
	v_add_u32_e32 v7, 12, v7
	v_cmp_eq_u32_e32 vcc, 1, v10
	v_cndmask_b32_e32 v6, v7, v6, vcc
	v_lshlrev_b32_e32 v6, 1, v6
	ds_write_b16 v6, v8
	v_sub_u32_e32 v6, v74, v15
	v_sub_u32_e32 v7, v39, v6
	v_and_b32_e32 v8, 1, v55
	v_add_u32_e32 v7, 13, v7
	v_cmp_eq_u32_e32 vcc, 1, v8
	v_cndmask_b32_e32 v6, v7, v6, vcc
	v_lshlrev_b32_e32 v6, 1, v6
	ds_write_b16 v6, v33
	v_sub_u32_e32 v6, v75, v15
	v_sub_u32_e32 v7, v39, v6
	v_and_b32_e32 v8, 1, v54
	v_add_u32_e32 v7, 14, v7
	v_cmp_eq_u32_e32 vcc, 1, v8
	v_cndmask_b32_e32 v6, v7, v6, vcc
	v_lshlrev_b32_e32 v6, 1, v6
	ds_write_b16 v6, v9
	v_sub_u32_e32 v6, v76, v15
	v_sub_u32_e32 v7, v39, v6
	v_and_b32_e32 v8, 1, v53
	v_add_u32_e32 v7, 15, v7
	v_cmp_eq_u32_e32 vcc, 1, v8
	v_cndmask_b32_e32 v6, v7, v6, vcc
	v_lshlrev_b32_e32 v6, 1, v6
	ds_write_b16 v6, v32
	v_sub_u32_e32 v6, v77, v15
	v_sub_u32_e32 v7, v39, v6
	v_and_b32_e32 v8, 1, v52
	v_add_u32_e32 v7, 16, v7
	v_cmp_eq_u32_e32 vcc, 1, v8
	v_cndmask_b32_e32 v6, v7, v6, vcc
	v_lshlrev_b32_e32 v6, 1, v6
	ds_write_b16 v6, v2
	v_sub_u32_e32 v2, v78, v15
	v_sub_u32_e32 v6, v39, v2
	v_and_b32_e32 v7, 1, v51
	v_add_u32_e32 v6, 17, v6
	v_cmp_eq_u32_e32 vcc, 1, v7
	v_cndmask_b32_e32 v2, v6, v2, vcc
	v_lshlrev_b32_e32 v2, 1, v2
	ds_write_b16 v2, v31
	v_sub_u32_e32 v2, v79, v15
	v_sub_u32_e32 v6, v39, v2
	v_and_b32_e32 v7, 1, v50
	v_add_u32_e32 v6, 18, v6
	v_cmp_eq_u32_e32 vcc, 1, v7
	v_cndmask_b32_e32 v2, v6, v2, vcc
	v_lshlrev_b32_e32 v2, 1, v2
	ds_write_b16 v2, v3
	v_sub_u32_e32 v2, v80, v15
	v_sub_u32_e32 v3, v39, v2
	v_and_b32_e32 v6, 1, v49
	v_add_u32_e32 v3, 19, v3
	v_cmp_eq_u32_e32 vcc, 1, v6
	v_cndmask_b32_e32 v2, v3, v2, vcc
	v_lshlrev_b32_e32 v2, 1, v2
	ds_write_b16 v2, v30
	v_sub_u32_e32 v2, v81, v15
	v_sub_u32_e32 v3, v39, v2
	v_and_b32_e32 v6, 1, v48
	v_add_u32_e32 v3, 20, v3
	v_cmp_eq_u32_e32 vcc, 1, v6
	v_cndmask_b32_e32 v2, v3, v2, vcc
	v_add_u32_e32 v82, v81, v89
	v_lshlrev_b32_e32 v2, 1, v2
	ds_write_b16 v2, v4
	v_sub_u32_e32 v2, v82, v15
	v_sub_u32_e32 v3, v39, v2
	v_and_b32_e32 v4, 1, v47
	v_add_u32_e32 v3, 21, v3
	v_cmp_eq_u32_e32 vcc, 1, v4
	v_cndmask_b32_e32 v2, v3, v2, vcc
	v_add_u32_e32 v83, v82, v90
	v_lshlrev_b32_e32 v2, 1, v2
	ds_write_b16 v2, v29
	v_sub_u32_e32 v2, v83, v15
	v_sub_u32_e32 v3, v39, v2
	v_and_b32_e32 v4, 1, v46
	v_add_u32_e32 v3, 22, v3
	;; [unrolled: 9-line block ×6, first 2 shown]
	v_cmp_eq_u32_e32 vcc, 1, v4
	v_cndmask_b32_e32 v2, v3, v2, vcc
	v_lshlrev_b32_e32 v2, 1, v2
	ds_write_b16 v2, v17
	v_sub_u32_sdwa v2, v41, v15 dst_sel:DWORD dst_unused:UNUSED_PAD src0_sel:BYTE_0 src1_sel:DWORD
	v_add_u32_e32 v2, v87, v2
	v_sub_u32_e32 v3, v39, v2
	v_and_b32_e32 v4, 1, v42
	v_add_u32_e32 v3, 27, v3
	v_cmp_eq_u32_e32 vcc, 1, v4
	v_cndmask_b32_e32 v2, v3, v2, vcc
	v_lshlrev_b32_e32 v2, 1, v2
	ds_write_b16 v2, v1
	v_mov_b32_e32 v1, s29
	v_add_co_u32_e32 v2, vcc, s28, v14
	s_waitcnt lgkmcnt(0)
	s_barrier
	ds_read_u16 v62, v26
	ds_read_u16 v61, v26 offset:512
	ds_read_u16 v59, v26 offset:1024
	;; [unrolled: 1-line block ×23, first 2 shown]
	v_addc_co_u32_e32 v1, vcc, 0, v1, vcc
	v_add_co_u32_e32 v2, vcc, v2, v15
	v_addc_co_u32_e32 v3, vcc, 0, v1, vcc
	v_mov_b32_e32 v1, s23
	v_sub_co_u32_e32 v64, vcc, s22, v2
	ds_read_u16 v12, v26 offset:12288
	ds_read_u16 v10, v26 offset:12800
	;; [unrolled: 1-line block ×4, first 2 shown]
	v_subb_co_u32_e32 v65, vcc, v1, v3, vcc
	v_lshlrev_b64 v[64:65], 1, v[64:65]
	v_mov_b32_e32 v1, s5
	v_add_co_u32_e32 v4, vcc, s4, v64
	v_addc_co_u32_e32 v1, vcc, v1, v65, vcc
	v_mov_b32_e32 v15, s31
	v_add_co_u32_e32 v4, vcc, s30, v4
	v_addc_co_u32_e32 v1, vcc, v1, v15, vcc
	v_or_b32_e32 v60, 0x100, v0
	v_or_b32_e32 v58, 0x200, v0
	;; [unrolled: 1-line block ×27, first 2 shown]
	s_and_b64 vcc, exec, s[0:1]
	v_cmp_ge_u32_e64 s[0:1], v0, v14
	s_cbranch_vccnz .LBB2845_131
; %bb.102:
	s_and_saveexec_b64 s[2:3], s[0:1]
	s_cbranch_execnz .LBB2845_192
; %bb.103:
	s_or_b64 exec, exec, s[2:3]
	v_cmp_ge_u32_e32 vcc, v60, v14
	s_and_saveexec_b64 s[0:1], vcc
	s_cbranch_execnz .LBB2845_193
.LBB2845_104:
	s_or_b64 exec, exec, s[0:1]
	v_cmp_ge_u32_e32 vcc, v58, v14
	s_and_saveexec_b64 s[0:1], vcc
	s_cbranch_execnz .LBB2845_194
.LBB2845_105:
	s_or_b64 exec, exec, s[0:1]
	v_cmp_ge_u32_e32 vcc, v56, v14
	s_and_saveexec_b64 s[0:1], vcc
	s_cbranch_execnz .LBB2845_195
.LBB2845_106:
	s_or_b64 exec, exec, s[0:1]
	v_cmp_ge_u32_e32 vcc, v55, v14
	s_and_saveexec_b64 s[0:1], vcc
	s_cbranch_execnz .LBB2845_196
.LBB2845_107:
	s_or_b64 exec, exec, s[0:1]
	v_cmp_ge_u32_e32 vcc, v53, v14
	s_and_saveexec_b64 s[0:1], vcc
	s_cbranch_execnz .LBB2845_197
.LBB2845_108:
	s_or_b64 exec, exec, s[0:1]
	v_cmp_ge_u32_e32 vcc, v51, v14
	s_and_saveexec_b64 s[0:1], vcc
	s_cbranch_execnz .LBB2845_198
.LBB2845_109:
	s_or_b64 exec, exec, s[0:1]
	v_cmp_ge_u32_e32 vcc, v49, v14
	s_and_saveexec_b64 s[0:1], vcc
	s_cbranch_execnz .LBB2845_199
.LBB2845_110:
	s_or_b64 exec, exec, s[0:1]
	v_cmp_ge_u32_e32 vcc, v46, v14
	s_and_saveexec_b64 s[0:1], vcc
	s_cbranch_execnz .LBB2845_200
.LBB2845_111:
	s_or_b64 exec, exec, s[0:1]
	v_cmp_ge_u32_e32 vcc, v44, v14
	s_and_saveexec_b64 s[0:1], vcc
	s_cbranch_execnz .LBB2845_201
.LBB2845_112:
	s_or_b64 exec, exec, s[0:1]
	v_cmp_ge_u32_e32 vcc, v42, v14
	s_and_saveexec_b64 s[0:1], vcc
	s_cbranch_execnz .LBB2845_202
.LBB2845_113:
	s_or_b64 exec, exec, s[0:1]
	v_cmp_ge_u32_e32 vcc, v40, v14
	s_and_saveexec_b64 s[0:1], vcc
	s_cbranch_execnz .LBB2845_203
.LBB2845_114:
	s_or_b64 exec, exec, s[0:1]
	v_cmp_ge_u32_e32 vcc, v38, v14
	s_and_saveexec_b64 s[0:1], vcc
	s_cbranch_execnz .LBB2845_204
.LBB2845_115:
	s_or_b64 exec, exec, s[0:1]
	v_cmp_ge_u32_e32 vcc, v36, v14
	s_and_saveexec_b64 s[0:1], vcc
	s_cbranch_execnz .LBB2845_205
.LBB2845_116:
	s_or_b64 exec, exec, s[0:1]
	v_cmp_ge_u32_e32 vcc, v34, v14
	s_and_saveexec_b64 s[0:1], vcc
	s_cbranch_execnz .LBB2845_206
.LBB2845_117:
	s_or_b64 exec, exec, s[0:1]
	v_cmp_ge_u32_e32 vcc, v31, v14
	s_and_saveexec_b64 s[0:1], vcc
	s_cbranch_execnz .LBB2845_207
.LBB2845_118:
	s_or_b64 exec, exec, s[0:1]
	v_cmp_ge_u32_e32 vcc, v30, v14
	s_and_saveexec_b64 s[0:1], vcc
	s_cbranch_execnz .LBB2845_208
.LBB2845_119:
	s_or_b64 exec, exec, s[0:1]
	v_cmp_ge_u32_e32 vcc, v28, v14
	s_and_saveexec_b64 s[0:1], vcc
	s_cbranch_execnz .LBB2845_209
.LBB2845_120:
	s_or_b64 exec, exec, s[0:1]
	v_cmp_ge_u32_e32 vcc, v25, v14
	s_and_saveexec_b64 s[0:1], vcc
	s_cbranch_execnz .LBB2845_210
.LBB2845_121:
	s_or_b64 exec, exec, s[0:1]
	v_cmp_ge_u32_e32 vcc, v23, v14
	s_and_saveexec_b64 s[0:1], vcc
	s_cbranch_execnz .LBB2845_211
.LBB2845_122:
	s_or_b64 exec, exec, s[0:1]
	v_cmp_ge_u32_e32 vcc, v21, v14
	s_and_saveexec_b64 s[0:1], vcc
	s_cbranch_execnz .LBB2845_212
.LBB2845_123:
	s_or_b64 exec, exec, s[0:1]
	v_cmp_ge_u32_e32 vcc, v19, v14
	s_and_saveexec_b64 s[0:1], vcc
	s_cbranch_execnz .LBB2845_213
.LBB2845_124:
	s_or_b64 exec, exec, s[0:1]
	v_cmp_ge_u32_e32 vcc, v17, v14
	s_and_saveexec_b64 s[0:1], vcc
	s_cbranch_execnz .LBB2845_214
.LBB2845_125:
	s_or_b64 exec, exec, s[0:1]
	v_cmp_ge_u32_e32 vcc, v13, v14
	s_and_saveexec_b64 s[0:1], vcc
	s_cbranch_execnz .LBB2845_215
.LBB2845_126:
	s_or_b64 exec, exec, s[0:1]
	v_cmp_ge_u32_e32 vcc, v11, v14
	s_and_saveexec_b64 s[0:1], vcc
	s_cbranch_execnz .LBB2845_216
.LBB2845_127:
	s_or_b64 exec, exec, s[0:1]
	v_cmp_ge_u32_e32 vcc, v9, v14
	s_and_saveexec_b64 s[0:1], vcc
	s_cbranch_execnz .LBB2845_217
.LBB2845_128:
	s_or_b64 exec, exec, s[0:1]
	v_cmp_ge_u32_e32 vcc, v8, v14
	s_and_saveexec_b64 s[0:1], vcc
	s_cbranch_execz .LBB2845_130
.LBB2845_129:
	v_lshlrev_b32_e32 v15, 1, v8
	v_readfirstlane_b32 s2, v4
	v_readfirstlane_b32 s3, v1
	s_waitcnt lgkmcnt(1)
	s_nop 3
	global_store_short v15, v7, s[2:3]
.LBB2845_130:
	s_or_b64 exec, exec, s[0:1]
	v_cmp_ge_u32_e64 s[0:1], v6, v14
	s_branch .LBB2845_187
.LBB2845_131:
	s_mov_b64 s[0:1], 0
	s_cbranch_execz .LBB2845_187
; %bb.132:
	v_cmp_gt_u32_e32 vcc, s33, v0
	v_cmp_ge_u32_e64 s[0:1], v0, v14
	s_and_b64 s[2:3], vcc, s[0:1]
	s_and_saveexec_b64 s[0:1], s[2:3]
	s_cbranch_execz .LBB2845_134
; %bb.133:
	v_readfirstlane_b32 s2, v4
	v_readfirstlane_b32 s3, v1
	s_waitcnt lgkmcnt(14)
	s_nop 3
	global_store_short v26, v62, s[2:3]
.LBB2845_134:
	s_or_b64 exec, exec, s[0:1]
	v_cmp_gt_u32_e32 vcc, s33, v60
	v_cmp_ge_u32_e64 s[0:1], v60, v14
	s_and_b64 s[2:3], vcc, s[0:1]
	s_and_saveexec_b64 s[0:1], s[2:3]
	s_cbranch_execz .LBB2845_136
; %bb.135:
	v_readfirstlane_b32 s2, v4
	v_readfirstlane_b32 s3, v1
	s_waitcnt lgkmcnt(14)
	s_nop 3
	global_store_short v26, v61, s[2:3] offset:512
.LBB2845_136:
	s_or_b64 exec, exec, s[0:1]
	v_cmp_gt_u32_e32 vcc, s33, v58
	v_cmp_ge_u32_e64 s[0:1], v58, v14
	s_and_b64 s[2:3], vcc, s[0:1]
	s_and_saveexec_b64 s[0:1], s[2:3]
	s_cbranch_execz .LBB2845_138
; %bb.137:
	v_readfirstlane_b32 s2, v4
	v_readfirstlane_b32 s3, v1
	s_waitcnt lgkmcnt(14)
	s_nop 3
	global_store_short v26, v59, s[2:3] offset:1024
.LBB2845_138:
	;; [unrolled: 13-line block ×7, first 2 shown]
	s_or_b64 exec, exec, s[0:1]
	v_cmp_gt_u32_e32 vcc, s33, v46
	v_cmp_ge_u32_e64 s[0:1], v46, v14
	s_and_b64 s[2:3], vcc, s[0:1]
	s_and_saveexec_b64 s[0:1], s[2:3]
	s_cbranch_execz .LBB2845_150
; %bb.149:
	v_lshlrev_b32_e32 v15, 1, v46
	v_readfirstlane_b32 s2, v4
	v_readfirstlane_b32 s3, v1
	s_waitcnt lgkmcnt(14)
	s_nop 3
	global_store_short v15, v47, s[2:3]
.LBB2845_150:
	s_or_b64 exec, exec, s[0:1]
	v_cmp_gt_u32_e32 vcc, s33, v44
	v_cmp_ge_u32_e64 s[0:1], v44, v14
	s_and_b64 s[2:3], vcc, s[0:1]
	s_and_saveexec_b64 s[0:1], s[2:3]
	s_cbranch_execz .LBB2845_152
; %bb.151:
	v_lshlrev_b32_e32 v15, 1, v44
	v_readfirstlane_b32 s2, v4
	v_readfirstlane_b32 s3, v1
	s_waitcnt lgkmcnt(14)
	s_nop 3
	global_store_short v15, v45, s[2:3]
.LBB2845_152:
	;; [unrolled: 14-line block ×19, first 2 shown]
	s_or_b64 exec, exec, s[0:1]
	v_cmp_gt_u32_e32 vcc, s33, v6
	v_cmp_ge_u32_e64 s[0:1], v6, v14
	s_and_b64 s[0:1], vcc, s[0:1]
.LBB2845_187:
	s_and_saveexec_b64 s[2:3], s[0:1]
	s_cbranch_execz .LBB2845_189
; %bb.188:
	v_lshlrev_b32_e32 v6, 1, v6
	v_readfirstlane_b32 s0, v4
	v_readfirstlane_b32 s1, v1
	s_waitcnt lgkmcnt(0)
	s_nop 3
	global_store_short v6, v5, s[0:1]
.LBB2845_189:
	s_or_b64 exec, exec, s[2:3]
	v_cmp_eq_u32_e32 vcc, 0, v0
	s_and_b64 s[0:1], vcc, s[26:27]
	s_and_saveexec_b64 s[2:3], s[0:1]
	s_cbranch_execz .LBB2845_191
; %bb.190:
	v_mov_b32_e32 v0, 0
	global_store_dwordx2 v0, v[2:3], s[24:25]
.LBB2845_191:
	s_endpgm
.LBB2845_192:
	v_readfirstlane_b32 s0, v4
	v_readfirstlane_b32 s1, v1
	s_waitcnt lgkmcnt(14)
	s_nop 3
	global_store_short v26, v62, s[0:1]
	s_or_b64 exec, exec, s[2:3]
	v_cmp_ge_u32_e32 vcc, v60, v14
	s_and_saveexec_b64 s[0:1], vcc
	s_cbranch_execz .LBB2845_104
.LBB2845_193:
	v_readfirstlane_b32 s2, v4
	v_readfirstlane_b32 s3, v1
	s_waitcnt lgkmcnt(14)
	s_nop 3
	global_store_short v26, v61, s[2:3] offset:512
	s_or_b64 exec, exec, s[0:1]
	v_cmp_ge_u32_e32 vcc, v58, v14
	s_and_saveexec_b64 s[0:1], vcc
	s_cbranch_execz .LBB2845_105
.LBB2845_194:
	v_readfirstlane_b32 s2, v4
	v_readfirstlane_b32 s3, v1
	s_waitcnt lgkmcnt(14)
	s_nop 3
	global_store_short v26, v59, s[2:3] offset:1024
	s_or_b64 exec, exec, s[0:1]
	v_cmp_ge_u32_e32 vcc, v56, v14
	s_and_saveexec_b64 s[0:1], vcc
	s_cbranch_execz .LBB2845_106
.LBB2845_195:
	v_readfirstlane_b32 s2, v4
	v_readfirstlane_b32 s3, v1
	s_waitcnt lgkmcnt(14)
	s_nop 3
	global_store_short v26, v57, s[2:3] offset:1536
	s_or_b64 exec, exec, s[0:1]
	v_cmp_ge_u32_e32 vcc, v55, v14
	s_and_saveexec_b64 s[0:1], vcc
	s_cbranch_execz .LBB2845_107
.LBB2845_196:
	v_readfirstlane_b32 s2, v4
	v_readfirstlane_b32 s3, v1
	s_waitcnt lgkmcnt(14)
	s_nop 3
	global_store_short v26, v54, s[2:3] offset:2048
	s_or_b64 exec, exec, s[0:1]
	v_cmp_ge_u32_e32 vcc, v53, v14
	s_and_saveexec_b64 s[0:1], vcc
	s_cbranch_execz .LBB2845_108
.LBB2845_197:
	v_readfirstlane_b32 s2, v4
	v_readfirstlane_b32 s3, v1
	s_waitcnt lgkmcnt(14)
	s_nop 3
	global_store_short v26, v52, s[2:3] offset:2560
	s_or_b64 exec, exec, s[0:1]
	v_cmp_ge_u32_e32 vcc, v51, v14
	s_and_saveexec_b64 s[0:1], vcc
	s_cbranch_execz .LBB2845_109
.LBB2845_198:
	v_readfirstlane_b32 s2, v4
	v_readfirstlane_b32 s3, v1
	s_waitcnt lgkmcnt(14)
	s_nop 3
	global_store_short v26, v50, s[2:3] offset:3072
	s_or_b64 exec, exec, s[0:1]
	v_cmp_ge_u32_e32 vcc, v49, v14
	s_and_saveexec_b64 s[0:1], vcc
	s_cbranch_execz .LBB2845_110
.LBB2845_199:
	v_readfirstlane_b32 s2, v4
	v_readfirstlane_b32 s3, v1
	s_waitcnt lgkmcnt(14)
	s_nop 3
	global_store_short v26, v48, s[2:3] offset:3584
	s_or_b64 exec, exec, s[0:1]
	v_cmp_ge_u32_e32 vcc, v46, v14
	s_and_saveexec_b64 s[0:1], vcc
	s_cbranch_execz .LBB2845_111
.LBB2845_200:
	v_lshlrev_b32_e32 v15, 1, v46
	v_readfirstlane_b32 s2, v4
	v_readfirstlane_b32 s3, v1
	s_waitcnt lgkmcnt(14)
	s_nop 3
	global_store_short v15, v47, s[2:3]
	s_or_b64 exec, exec, s[0:1]
	v_cmp_ge_u32_e32 vcc, v44, v14
	s_and_saveexec_b64 s[0:1], vcc
	s_cbranch_execz .LBB2845_112
.LBB2845_201:
	v_lshlrev_b32_e32 v15, 1, v44
	v_readfirstlane_b32 s2, v4
	v_readfirstlane_b32 s3, v1
	s_waitcnt lgkmcnt(14)
	s_nop 3
	global_store_short v15, v45, s[2:3]
	s_or_b64 exec, exec, s[0:1]
	v_cmp_ge_u32_e32 vcc, v42, v14
	s_and_saveexec_b64 s[0:1], vcc
	s_cbranch_execz .LBB2845_113
.LBB2845_202:
	v_lshlrev_b32_e32 v15, 1, v42
	v_readfirstlane_b32 s2, v4
	v_readfirstlane_b32 s3, v1
	s_waitcnt lgkmcnt(14)
	s_nop 3
	global_store_short v15, v43, s[2:3]
	s_or_b64 exec, exec, s[0:1]
	v_cmp_ge_u32_e32 vcc, v40, v14
	s_and_saveexec_b64 s[0:1], vcc
	s_cbranch_execz .LBB2845_114
.LBB2845_203:
	v_lshlrev_b32_e32 v15, 1, v40
	v_readfirstlane_b32 s2, v4
	v_readfirstlane_b32 s3, v1
	s_waitcnt lgkmcnt(14)
	s_nop 3
	global_store_short v15, v41, s[2:3]
	s_or_b64 exec, exec, s[0:1]
	v_cmp_ge_u32_e32 vcc, v38, v14
	s_and_saveexec_b64 s[0:1], vcc
	s_cbranch_execz .LBB2845_115
.LBB2845_204:
	v_lshlrev_b32_e32 v15, 1, v38
	v_readfirstlane_b32 s2, v4
	v_readfirstlane_b32 s3, v1
	s_waitcnt lgkmcnt(14)
	s_nop 3
	global_store_short v15, v39, s[2:3]
	s_or_b64 exec, exec, s[0:1]
	v_cmp_ge_u32_e32 vcc, v36, v14
	s_and_saveexec_b64 s[0:1], vcc
	s_cbranch_execz .LBB2845_116
.LBB2845_205:
	v_lshlrev_b32_e32 v15, 1, v36
	v_readfirstlane_b32 s2, v4
	v_readfirstlane_b32 s3, v1
	s_waitcnt lgkmcnt(14)
	s_nop 3
	global_store_short v15, v37, s[2:3]
	s_or_b64 exec, exec, s[0:1]
	v_cmp_ge_u32_e32 vcc, v34, v14
	s_and_saveexec_b64 s[0:1], vcc
	s_cbranch_execz .LBB2845_117
.LBB2845_206:
	v_lshlrev_b32_e32 v15, 1, v34
	v_readfirstlane_b32 s2, v4
	v_readfirstlane_b32 s3, v1
	s_waitcnt lgkmcnt(13)
	s_nop 3
	global_store_short v15, v35, s[2:3]
	s_or_b64 exec, exec, s[0:1]
	v_cmp_ge_u32_e32 vcc, v31, v14
	s_and_saveexec_b64 s[0:1], vcc
	s_cbranch_execz .LBB2845_118
.LBB2845_207:
	v_lshlrev_b32_e32 v15, 1, v31
	v_readfirstlane_b32 s2, v4
	v_readfirstlane_b32 s3, v1
	s_waitcnt lgkmcnt(12)
	s_nop 3
	global_store_short v15, v33, s[2:3]
	s_or_b64 exec, exec, s[0:1]
	v_cmp_ge_u32_e32 vcc, v30, v14
	s_and_saveexec_b64 s[0:1], vcc
	s_cbranch_execz .LBB2845_119
.LBB2845_208:
	v_lshlrev_b32_e32 v15, 1, v30
	v_readfirstlane_b32 s2, v4
	v_readfirstlane_b32 s3, v1
	s_waitcnt lgkmcnt(11)
	s_nop 3
	global_store_short v15, v32, s[2:3]
	s_or_b64 exec, exec, s[0:1]
	v_cmp_ge_u32_e32 vcc, v28, v14
	s_and_saveexec_b64 s[0:1], vcc
	s_cbranch_execz .LBB2845_120
.LBB2845_209:
	v_lshlrev_b32_e32 v15, 1, v28
	v_readfirstlane_b32 s2, v4
	v_readfirstlane_b32 s3, v1
	s_waitcnt lgkmcnt(10)
	s_nop 3
	global_store_short v15, v29, s[2:3]
	s_or_b64 exec, exec, s[0:1]
	v_cmp_ge_u32_e32 vcc, v25, v14
	s_and_saveexec_b64 s[0:1], vcc
	s_cbranch_execz .LBB2845_121
.LBB2845_210:
	v_lshlrev_b32_e32 v15, 1, v25
	v_readfirstlane_b32 s2, v4
	v_readfirstlane_b32 s3, v1
	s_waitcnt lgkmcnt(9)
	s_nop 3
	global_store_short v15, v27, s[2:3]
	s_or_b64 exec, exec, s[0:1]
	v_cmp_ge_u32_e32 vcc, v23, v14
	s_and_saveexec_b64 s[0:1], vcc
	s_cbranch_execz .LBB2845_122
.LBB2845_211:
	v_lshlrev_b32_e32 v15, 1, v23
	v_readfirstlane_b32 s2, v4
	v_readfirstlane_b32 s3, v1
	s_waitcnt lgkmcnt(8)
	s_nop 3
	global_store_short v15, v24, s[2:3]
	s_or_b64 exec, exec, s[0:1]
	v_cmp_ge_u32_e32 vcc, v21, v14
	s_and_saveexec_b64 s[0:1], vcc
	s_cbranch_execz .LBB2845_123
.LBB2845_212:
	v_lshlrev_b32_e32 v15, 1, v21
	v_readfirstlane_b32 s2, v4
	v_readfirstlane_b32 s3, v1
	s_waitcnt lgkmcnt(7)
	s_nop 3
	global_store_short v15, v22, s[2:3]
	s_or_b64 exec, exec, s[0:1]
	v_cmp_ge_u32_e32 vcc, v19, v14
	s_and_saveexec_b64 s[0:1], vcc
	s_cbranch_execz .LBB2845_124
.LBB2845_213:
	v_lshlrev_b32_e32 v15, 1, v19
	v_readfirstlane_b32 s2, v4
	v_readfirstlane_b32 s3, v1
	s_waitcnt lgkmcnt(6)
	s_nop 3
	global_store_short v15, v20, s[2:3]
	s_or_b64 exec, exec, s[0:1]
	v_cmp_ge_u32_e32 vcc, v17, v14
	s_and_saveexec_b64 s[0:1], vcc
	s_cbranch_execz .LBB2845_125
.LBB2845_214:
	v_lshlrev_b32_e32 v15, 1, v17
	v_readfirstlane_b32 s2, v4
	v_readfirstlane_b32 s3, v1
	s_waitcnt lgkmcnt(5)
	s_nop 3
	global_store_short v15, v18, s[2:3]
	s_or_b64 exec, exec, s[0:1]
	v_cmp_ge_u32_e32 vcc, v13, v14
	s_and_saveexec_b64 s[0:1], vcc
	s_cbranch_execz .LBB2845_126
.LBB2845_215:
	v_lshlrev_b32_e32 v15, 1, v13
	v_readfirstlane_b32 s2, v4
	v_readfirstlane_b32 s3, v1
	s_waitcnt lgkmcnt(4)
	s_nop 3
	global_store_short v15, v16, s[2:3]
	s_or_b64 exec, exec, s[0:1]
	v_cmp_ge_u32_e32 vcc, v11, v14
	s_and_saveexec_b64 s[0:1], vcc
	s_cbranch_execz .LBB2845_127
.LBB2845_216:
	v_lshlrev_b32_e32 v15, 1, v11
	v_readfirstlane_b32 s2, v4
	v_readfirstlane_b32 s3, v1
	s_waitcnt lgkmcnt(3)
	s_nop 3
	global_store_short v15, v12, s[2:3]
	s_or_b64 exec, exec, s[0:1]
	v_cmp_ge_u32_e32 vcc, v9, v14
	s_and_saveexec_b64 s[0:1], vcc
	s_cbranch_execz .LBB2845_128
.LBB2845_217:
	v_lshlrev_b32_e32 v15, 1, v9
	v_readfirstlane_b32 s2, v4
	v_readfirstlane_b32 s3, v1
	s_waitcnt lgkmcnt(2)
	s_nop 3
	global_store_short v15, v10, s[2:3]
	s_or_b64 exec, exec, s[0:1]
	v_cmp_ge_u32_e32 vcc, v8, v14
	s_and_saveexec_b64 s[0:1], vcc
	s_cbranch_execnz .LBB2845_129
	s_branch .LBB2845_130
	.section	.rodata,"a",@progbits
	.p2align	6, 0x0
	.amdhsa_kernel _ZN7rocprim17ROCPRIM_400000_NS6detail17trampoline_kernelINS0_14default_configENS1_25partition_config_selectorILNS1_17partition_subalgoE0EsNS0_10empty_typeEbEEZZNS1_14partition_implILS5_0ELb0ES3_jN6thrust23THRUST_200600_302600_NS6detail15normal_iteratorINSA_10device_ptrIsEEEEPS6_SG_NS0_5tupleIJNSA_16discard_iteratorINSA_11use_defaultEEESF_EEENSH_IJSG_SG_EEES6_PlJ7is_evenIsEEEE10hipError_tPvRmT3_T4_T5_T6_T7_T9_mT8_P12ihipStream_tbDpT10_ENKUlT_T0_E_clISt17integral_constantIbLb0EES19_EEDaS14_S15_EUlS14_E_NS1_11comp_targetILNS1_3genE4ELNS1_11target_archE910ELNS1_3gpuE8ELNS1_3repE0EEENS1_30default_config_static_selectorELNS0_4arch9wavefront6targetE1EEEvT1_
		.amdhsa_group_segment_fixed_size 14344
		.amdhsa_private_segment_fixed_size 0
		.amdhsa_kernarg_size 128
		.amdhsa_user_sgpr_count 6
		.amdhsa_user_sgpr_private_segment_buffer 1
		.amdhsa_user_sgpr_dispatch_ptr 0
		.amdhsa_user_sgpr_queue_ptr 0
		.amdhsa_user_sgpr_kernarg_segment_ptr 1
		.amdhsa_user_sgpr_dispatch_id 0
		.amdhsa_user_sgpr_flat_scratch_init 0
		.amdhsa_user_sgpr_kernarg_preload_length 0
		.amdhsa_user_sgpr_kernarg_preload_offset 0
		.amdhsa_user_sgpr_private_segment_size 0
		.amdhsa_uses_dynamic_stack 0
		.amdhsa_system_sgpr_private_segment_wavefront_offset 0
		.amdhsa_system_sgpr_workgroup_id_x 1
		.amdhsa_system_sgpr_workgroup_id_y 0
		.amdhsa_system_sgpr_workgroup_id_z 0
		.amdhsa_system_sgpr_workgroup_info 0
		.amdhsa_system_vgpr_workitem_id 0
		.amdhsa_next_free_vgpr 114
		.amdhsa_next_free_sgpr 44
		.amdhsa_accum_offset 116
		.amdhsa_reserve_vcc 1
		.amdhsa_reserve_flat_scratch 0
		.amdhsa_float_round_mode_32 0
		.amdhsa_float_round_mode_16_64 0
		.amdhsa_float_denorm_mode_32 3
		.amdhsa_float_denorm_mode_16_64 3
		.amdhsa_dx10_clamp 1
		.amdhsa_ieee_mode 1
		.amdhsa_fp16_overflow 0
		.amdhsa_tg_split 0
		.amdhsa_exception_fp_ieee_invalid_op 0
		.amdhsa_exception_fp_denorm_src 0
		.amdhsa_exception_fp_ieee_div_zero 0
		.amdhsa_exception_fp_ieee_overflow 0
		.amdhsa_exception_fp_ieee_underflow 0
		.amdhsa_exception_fp_ieee_inexact 0
		.amdhsa_exception_int_div_zero 0
	.end_amdhsa_kernel
	.section	.text._ZN7rocprim17ROCPRIM_400000_NS6detail17trampoline_kernelINS0_14default_configENS1_25partition_config_selectorILNS1_17partition_subalgoE0EsNS0_10empty_typeEbEEZZNS1_14partition_implILS5_0ELb0ES3_jN6thrust23THRUST_200600_302600_NS6detail15normal_iteratorINSA_10device_ptrIsEEEEPS6_SG_NS0_5tupleIJNSA_16discard_iteratorINSA_11use_defaultEEESF_EEENSH_IJSG_SG_EEES6_PlJ7is_evenIsEEEE10hipError_tPvRmT3_T4_T5_T6_T7_T9_mT8_P12ihipStream_tbDpT10_ENKUlT_T0_E_clISt17integral_constantIbLb0EES19_EEDaS14_S15_EUlS14_E_NS1_11comp_targetILNS1_3genE4ELNS1_11target_archE910ELNS1_3gpuE8ELNS1_3repE0EEENS1_30default_config_static_selectorELNS0_4arch9wavefront6targetE1EEEvT1_,"axG",@progbits,_ZN7rocprim17ROCPRIM_400000_NS6detail17trampoline_kernelINS0_14default_configENS1_25partition_config_selectorILNS1_17partition_subalgoE0EsNS0_10empty_typeEbEEZZNS1_14partition_implILS5_0ELb0ES3_jN6thrust23THRUST_200600_302600_NS6detail15normal_iteratorINSA_10device_ptrIsEEEEPS6_SG_NS0_5tupleIJNSA_16discard_iteratorINSA_11use_defaultEEESF_EEENSH_IJSG_SG_EEES6_PlJ7is_evenIsEEEE10hipError_tPvRmT3_T4_T5_T6_T7_T9_mT8_P12ihipStream_tbDpT10_ENKUlT_T0_E_clISt17integral_constantIbLb0EES19_EEDaS14_S15_EUlS14_E_NS1_11comp_targetILNS1_3genE4ELNS1_11target_archE910ELNS1_3gpuE8ELNS1_3repE0EEENS1_30default_config_static_selectorELNS0_4arch9wavefront6targetE1EEEvT1_,comdat
.Lfunc_end2845:
	.size	_ZN7rocprim17ROCPRIM_400000_NS6detail17trampoline_kernelINS0_14default_configENS1_25partition_config_selectorILNS1_17partition_subalgoE0EsNS0_10empty_typeEbEEZZNS1_14partition_implILS5_0ELb0ES3_jN6thrust23THRUST_200600_302600_NS6detail15normal_iteratorINSA_10device_ptrIsEEEEPS6_SG_NS0_5tupleIJNSA_16discard_iteratorINSA_11use_defaultEEESF_EEENSH_IJSG_SG_EEES6_PlJ7is_evenIsEEEE10hipError_tPvRmT3_T4_T5_T6_T7_T9_mT8_P12ihipStream_tbDpT10_ENKUlT_T0_E_clISt17integral_constantIbLb0EES19_EEDaS14_S15_EUlS14_E_NS1_11comp_targetILNS1_3genE4ELNS1_11target_archE910ELNS1_3gpuE8ELNS1_3repE0EEENS1_30default_config_static_selectorELNS0_4arch9wavefront6targetE1EEEvT1_, .Lfunc_end2845-_ZN7rocprim17ROCPRIM_400000_NS6detail17trampoline_kernelINS0_14default_configENS1_25partition_config_selectorILNS1_17partition_subalgoE0EsNS0_10empty_typeEbEEZZNS1_14partition_implILS5_0ELb0ES3_jN6thrust23THRUST_200600_302600_NS6detail15normal_iteratorINSA_10device_ptrIsEEEEPS6_SG_NS0_5tupleIJNSA_16discard_iteratorINSA_11use_defaultEEESF_EEENSH_IJSG_SG_EEES6_PlJ7is_evenIsEEEE10hipError_tPvRmT3_T4_T5_T6_T7_T9_mT8_P12ihipStream_tbDpT10_ENKUlT_T0_E_clISt17integral_constantIbLb0EES19_EEDaS14_S15_EUlS14_E_NS1_11comp_targetILNS1_3genE4ELNS1_11target_archE910ELNS1_3gpuE8ELNS1_3repE0EEENS1_30default_config_static_selectorELNS0_4arch9wavefront6targetE1EEEvT1_
                                        ; -- End function
	.section	.AMDGPU.csdata,"",@progbits
; Kernel info:
; codeLenInByte = 10228
; NumSgprs: 48
; NumVgprs: 114
; NumAgprs: 0
; TotalNumVgprs: 114
; ScratchSize: 0
; MemoryBound: 0
; FloatMode: 240
; IeeeMode: 1
; LDSByteSize: 14344 bytes/workgroup (compile time only)
; SGPRBlocks: 5
; VGPRBlocks: 14
; NumSGPRsForWavesPerEU: 48
; NumVGPRsForWavesPerEU: 114
; AccumOffset: 116
; Occupancy: 4
; WaveLimiterHint : 1
; COMPUTE_PGM_RSRC2:SCRATCH_EN: 0
; COMPUTE_PGM_RSRC2:USER_SGPR: 6
; COMPUTE_PGM_RSRC2:TRAP_HANDLER: 0
; COMPUTE_PGM_RSRC2:TGID_X_EN: 1
; COMPUTE_PGM_RSRC2:TGID_Y_EN: 0
; COMPUTE_PGM_RSRC2:TGID_Z_EN: 0
; COMPUTE_PGM_RSRC2:TIDIG_COMP_CNT: 0
; COMPUTE_PGM_RSRC3_GFX90A:ACCUM_OFFSET: 28
; COMPUTE_PGM_RSRC3_GFX90A:TG_SPLIT: 0
	.section	.text._ZN7rocprim17ROCPRIM_400000_NS6detail17trampoline_kernelINS0_14default_configENS1_25partition_config_selectorILNS1_17partition_subalgoE0EsNS0_10empty_typeEbEEZZNS1_14partition_implILS5_0ELb0ES3_jN6thrust23THRUST_200600_302600_NS6detail15normal_iteratorINSA_10device_ptrIsEEEEPS6_SG_NS0_5tupleIJNSA_16discard_iteratorINSA_11use_defaultEEESF_EEENSH_IJSG_SG_EEES6_PlJ7is_evenIsEEEE10hipError_tPvRmT3_T4_T5_T6_T7_T9_mT8_P12ihipStream_tbDpT10_ENKUlT_T0_E_clISt17integral_constantIbLb0EES19_EEDaS14_S15_EUlS14_E_NS1_11comp_targetILNS1_3genE3ELNS1_11target_archE908ELNS1_3gpuE7ELNS1_3repE0EEENS1_30default_config_static_selectorELNS0_4arch9wavefront6targetE1EEEvT1_,"axG",@progbits,_ZN7rocprim17ROCPRIM_400000_NS6detail17trampoline_kernelINS0_14default_configENS1_25partition_config_selectorILNS1_17partition_subalgoE0EsNS0_10empty_typeEbEEZZNS1_14partition_implILS5_0ELb0ES3_jN6thrust23THRUST_200600_302600_NS6detail15normal_iteratorINSA_10device_ptrIsEEEEPS6_SG_NS0_5tupleIJNSA_16discard_iteratorINSA_11use_defaultEEESF_EEENSH_IJSG_SG_EEES6_PlJ7is_evenIsEEEE10hipError_tPvRmT3_T4_T5_T6_T7_T9_mT8_P12ihipStream_tbDpT10_ENKUlT_T0_E_clISt17integral_constantIbLb0EES19_EEDaS14_S15_EUlS14_E_NS1_11comp_targetILNS1_3genE3ELNS1_11target_archE908ELNS1_3gpuE7ELNS1_3repE0EEENS1_30default_config_static_selectorELNS0_4arch9wavefront6targetE1EEEvT1_,comdat
	.protected	_ZN7rocprim17ROCPRIM_400000_NS6detail17trampoline_kernelINS0_14default_configENS1_25partition_config_selectorILNS1_17partition_subalgoE0EsNS0_10empty_typeEbEEZZNS1_14partition_implILS5_0ELb0ES3_jN6thrust23THRUST_200600_302600_NS6detail15normal_iteratorINSA_10device_ptrIsEEEEPS6_SG_NS0_5tupleIJNSA_16discard_iteratorINSA_11use_defaultEEESF_EEENSH_IJSG_SG_EEES6_PlJ7is_evenIsEEEE10hipError_tPvRmT3_T4_T5_T6_T7_T9_mT8_P12ihipStream_tbDpT10_ENKUlT_T0_E_clISt17integral_constantIbLb0EES19_EEDaS14_S15_EUlS14_E_NS1_11comp_targetILNS1_3genE3ELNS1_11target_archE908ELNS1_3gpuE7ELNS1_3repE0EEENS1_30default_config_static_selectorELNS0_4arch9wavefront6targetE1EEEvT1_ ; -- Begin function _ZN7rocprim17ROCPRIM_400000_NS6detail17trampoline_kernelINS0_14default_configENS1_25partition_config_selectorILNS1_17partition_subalgoE0EsNS0_10empty_typeEbEEZZNS1_14partition_implILS5_0ELb0ES3_jN6thrust23THRUST_200600_302600_NS6detail15normal_iteratorINSA_10device_ptrIsEEEEPS6_SG_NS0_5tupleIJNSA_16discard_iteratorINSA_11use_defaultEEESF_EEENSH_IJSG_SG_EEES6_PlJ7is_evenIsEEEE10hipError_tPvRmT3_T4_T5_T6_T7_T9_mT8_P12ihipStream_tbDpT10_ENKUlT_T0_E_clISt17integral_constantIbLb0EES19_EEDaS14_S15_EUlS14_E_NS1_11comp_targetILNS1_3genE3ELNS1_11target_archE908ELNS1_3gpuE7ELNS1_3repE0EEENS1_30default_config_static_selectorELNS0_4arch9wavefront6targetE1EEEvT1_
	.globl	_ZN7rocprim17ROCPRIM_400000_NS6detail17trampoline_kernelINS0_14default_configENS1_25partition_config_selectorILNS1_17partition_subalgoE0EsNS0_10empty_typeEbEEZZNS1_14partition_implILS5_0ELb0ES3_jN6thrust23THRUST_200600_302600_NS6detail15normal_iteratorINSA_10device_ptrIsEEEEPS6_SG_NS0_5tupleIJNSA_16discard_iteratorINSA_11use_defaultEEESF_EEENSH_IJSG_SG_EEES6_PlJ7is_evenIsEEEE10hipError_tPvRmT3_T4_T5_T6_T7_T9_mT8_P12ihipStream_tbDpT10_ENKUlT_T0_E_clISt17integral_constantIbLb0EES19_EEDaS14_S15_EUlS14_E_NS1_11comp_targetILNS1_3genE3ELNS1_11target_archE908ELNS1_3gpuE7ELNS1_3repE0EEENS1_30default_config_static_selectorELNS0_4arch9wavefront6targetE1EEEvT1_
	.p2align	8
	.type	_ZN7rocprim17ROCPRIM_400000_NS6detail17trampoline_kernelINS0_14default_configENS1_25partition_config_selectorILNS1_17partition_subalgoE0EsNS0_10empty_typeEbEEZZNS1_14partition_implILS5_0ELb0ES3_jN6thrust23THRUST_200600_302600_NS6detail15normal_iteratorINSA_10device_ptrIsEEEEPS6_SG_NS0_5tupleIJNSA_16discard_iteratorINSA_11use_defaultEEESF_EEENSH_IJSG_SG_EEES6_PlJ7is_evenIsEEEE10hipError_tPvRmT3_T4_T5_T6_T7_T9_mT8_P12ihipStream_tbDpT10_ENKUlT_T0_E_clISt17integral_constantIbLb0EES19_EEDaS14_S15_EUlS14_E_NS1_11comp_targetILNS1_3genE3ELNS1_11target_archE908ELNS1_3gpuE7ELNS1_3repE0EEENS1_30default_config_static_selectorELNS0_4arch9wavefront6targetE1EEEvT1_,@function
_ZN7rocprim17ROCPRIM_400000_NS6detail17trampoline_kernelINS0_14default_configENS1_25partition_config_selectorILNS1_17partition_subalgoE0EsNS0_10empty_typeEbEEZZNS1_14partition_implILS5_0ELb0ES3_jN6thrust23THRUST_200600_302600_NS6detail15normal_iteratorINSA_10device_ptrIsEEEEPS6_SG_NS0_5tupleIJNSA_16discard_iteratorINSA_11use_defaultEEESF_EEENSH_IJSG_SG_EEES6_PlJ7is_evenIsEEEE10hipError_tPvRmT3_T4_T5_T6_T7_T9_mT8_P12ihipStream_tbDpT10_ENKUlT_T0_E_clISt17integral_constantIbLb0EES19_EEDaS14_S15_EUlS14_E_NS1_11comp_targetILNS1_3genE3ELNS1_11target_archE908ELNS1_3gpuE7ELNS1_3repE0EEENS1_30default_config_static_selectorELNS0_4arch9wavefront6targetE1EEEvT1_: ; @_ZN7rocprim17ROCPRIM_400000_NS6detail17trampoline_kernelINS0_14default_configENS1_25partition_config_selectorILNS1_17partition_subalgoE0EsNS0_10empty_typeEbEEZZNS1_14partition_implILS5_0ELb0ES3_jN6thrust23THRUST_200600_302600_NS6detail15normal_iteratorINSA_10device_ptrIsEEEEPS6_SG_NS0_5tupleIJNSA_16discard_iteratorINSA_11use_defaultEEESF_EEENSH_IJSG_SG_EEES6_PlJ7is_evenIsEEEE10hipError_tPvRmT3_T4_T5_T6_T7_T9_mT8_P12ihipStream_tbDpT10_ENKUlT_T0_E_clISt17integral_constantIbLb0EES19_EEDaS14_S15_EUlS14_E_NS1_11comp_targetILNS1_3genE3ELNS1_11target_archE908ELNS1_3gpuE7ELNS1_3repE0EEENS1_30default_config_static_selectorELNS0_4arch9wavefront6targetE1EEEvT1_
; %bb.0:
	.section	.rodata,"a",@progbits
	.p2align	6, 0x0
	.amdhsa_kernel _ZN7rocprim17ROCPRIM_400000_NS6detail17trampoline_kernelINS0_14default_configENS1_25partition_config_selectorILNS1_17partition_subalgoE0EsNS0_10empty_typeEbEEZZNS1_14partition_implILS5_0ELb0ES3_jN6thrust23THRUST_200600_302600_NS6detail15normal_iteratorINSA_10device_ptrIsEEEEPS6_SG_NS0_5tupleIJNSA_16discard_iteratorINSA_11use_defaultEEESF_EEENSH_IJSG_SG_EEES6_PlJ7is_evenIsEEEE10hipError_tPvRmT3_T4_T5_T6_T7_T9_mT8_P12ihipStream_tbDpT10_ENKUlT_T0_E_clISt17integral_constantIbLb0EES19_EEDaS14_S15_EUlS14_E_NS1_11comp_targetILNS1_3genE3ELNS1_11target_archE908ELNS1_3gpuE7ELNS1_3repE0EEENS1_30default_config_static_selectorELNS0_4arch9wavefront6targetE1EEEvT1_
		.amdhsa_group_segment_fixed_size 0
		.amdhsa_private_segment_fixed_size 0
		.amdhsa_kernarg_size 128
		.amdhsa_user_sgpr_count 6
		.amdhsa_user_sgpr_private_segment_buffer 1
		.amdhsa_user_sgpr_dispatch_ptr 0
		.amdhsa_user_sgpr_queue_ptr 0
		.amdhsa_user_sgpr_kernarg_segment_ptr 1
		.amdhsa_user_sgpr_dispatch_id 0
		.amdhsa_user_sgpr_flat_scratch_init 0
		.amdhsa_user_sgpr_kernarg_preload_length 0
		.amdhsa_user_sgpr_kernarg_preload_offset 0
		.amdhsa_user_sgpr_private_segment_size 0
		.amdhsa_uses_dynamic_stack 0
		.amdhsa_system_sgpr_private_segment_wavefront_offset 0
		.amdhsa_system_sgpr_workgroup_id_x 1
		.amdhsa_system_sgpr_workgroup_id_y 0
		.amdhsa_system_sgpr_workgroup_id_z 0
		.amdhsa_system_sgpr_workgroup_info 0
		.amdhsa_system_vgpr_workitem_id 0
		.amdhsa_next_free_vgpr 1
		.amdhsa_next_free_sgpr 0
		.amdhsa_accum_offset 4
		.amdhsa_reserve_vcc 0
		.amdhsa_reserve_flat_scratch 0
		.amdhsa_float_round_mode_32 0
		.amdhsa_float_round_mode_16_64 0
		.amdhsa_float_denorm_mode_32 3
		.amdhsa_float_denorm_mode_16_64 3
		.amdhsa_dx10_clamp 1
		.amdhsa_ieee_mode 1
		.amdhsa_fp16_overflow 0
		.amdhsa_tg_split 0
		.amdhsa_exception_fp_ieee_invalid_op 0
		.amdhsa_exception_fp_denorm_src 0
		.amdhsa_exception_fp_ieee_div_zero 0
		.amdhsa_exception_fp_ieee_overflow 0
		.amdhsa_exception_fp_ieee_underflow 0
		.amdhsa_exception_fp_ieee_inexact 0
		.amdhsa_exception_int_div_zero 0
	.end_amdhsa_kernel
	.section	.text._ZN7rocprim17ROCPRIM_400000_NS6detail17trampoline_kernelINS0_14default_configENS1_25partition_config_selectorILNS1_17partition_subalgoE0EsNS0_10empty_typeEbEEZZNS1_14partition_implILS5_0ELb0ES3_jN6thrust23THRUST_200600_302600_NS6detail15normal_iteratorINSA_10device_ptrIsEEEEPS6_SG_NS0_5tupleIJNSA_16discard_iteratorINSA_11use_defaultEEESF_EEENSH_IJSG_SG_EEES6_PlJ7is_evenIsEEEE10hipError_tPvRmT3_T4_T5_T6_T7_T9_mT8_P12ihipStream_tbDpT10_ENKUlT_T0_E_clISt17integral_constantIbLb0EES19_EEDaS14_S15_EUlS14_E_NS1_11comp_targetILNS1_3genE3ELNS1_11target_archE908ELNS1_3gpuE7ELNS1_3repE0EEENS1_30default_config_static_selectorELNS0_4arch9wavefront6targetE1EEEvT1_,"axG",@progbits,_ZN7rocprim17ROCPRIM_400000_NS6detail17trampoline_kernelINS0_14default_configENS1_25partition_config_selectorILNS1_17partition_subalgoE0EsNS0_10empty_typeEbEEZZNS1_14partition_implILS5_0ELb0ES3_jN6thrust23THRUST_200600_302600_NS6detail15normal_iteratorINSA_10device_ptrIsEEEEPS6_SG_NS0_5tupleIJNSA_16discard_iteratorINSA_11use_defaultEEESF_EEENSH_IJSG_SG_EEES6_PlJ7is_evenIsEEEE10hipError_tPvRmT3_T4_T5_T6_T7_T9_mT8_P12ihipStream_tbDpT10_ENKUlT_T0_E_clISt17integral_constantIbLb0EES19_EEDaS14_S15_EUlS14_E_NS1_11comp_targetILNS1_3genE3ELNS1_11target_archE908ELNS1_3gpuE7ELNS1_3repE0EEENS1_30default_config_static_selectorELNS0_4arch9wavefront6targetE1EEEvT1_,comdat
.Lfunc_end2846:
	.size	_ZN7rocprim17ROCPRIM_400000_NS6detail17trampoline_kernelINS0_14default_configENS1_25partition_config_selectorILNS1_17partition_subalgoE0EsNS0_10empty_typeEbEEZZNS1_14partition_implILS5_0ELb0ES3_jN6thrust23THRUST_200600_302600_NS6detail15normal_iteratorINSA_10device_ptrIsEEEEPS6_SG_NS0_5tupleIJNSA_16discard_iteratorINSA_11use_defaultEEESF_EEENSH_IJSG_SG_EEES6_PlJ7is_evenIsEEEE10hipError_tPvRmT3_T4_T5_T6_T7_T9_mT8_P12ihipStream_tbDpT10_ENKUlT_T0_E_clISt17integral_constantIbLb0EES19_EEDaS14_S15_EUlS14_E_NS1_11comp_targetILNS1_3genE3ELNS1_11target_archE908ELNS1_3gpuE7ELNS1_3repE0EEENS1_30default_config_static_selectorELNS0_4arch9wavefront6targetE1EEEvT1_, .Lfunc_end2846-_ZN7rocprim17ROCPRIM_400000_NS6detail17trampoline_kernelINS0_14default_configENS1_25partition_config_selectorILNS1_17partition_subalgoE0EsNS0_10empty_typeEbEEZZNS1_14partition_implILS5_0ELb0ES3_jN6thrust23THRUST_200600_302600_NS6detail15normal_iteratorINSA_10device_ptrIsEEEEPS6_SG_NS0_5tupleIJNSA_16discard_iteratorINSA_11use_defaultEEESF_EEENSH_IJSG_SG_EEES6_PlJ7is_evenIsEEEE10hipError_tPvRmT3_T4_T5_T6_T7_T9_mT8_P12ihipStream_tbDpT10_ENKUlT_T0_E_clISt17integral_constantIbLb0EES19_EEDaS14_S15_EUlS14_E_NS1_11comp_targetILNS1_3genE3ELNS1_11target_archE908ELNS1_3gpuE7ELNS1_3repE0EEENS1_30default_config_static_selectorELNS0_4arch9wavefront6targetE1EEEvT1_
                                        ; -- End function
	.section	.AMDGPU.csdata,"",@progbits
; Kernel info:
; codeLenInByte = 0
; NumSgprs: 4
; NumVgprs: 0
; NumAgprs: 0
; TotalNumVgprs: 0
; ScratchSize: 0
; MemoryBound: 0
; FloatMode: 240
; IeeeMode: 1
; LDSByteSize: 0 bytes/workgroup (compile time only)
; SGPRBlocks: 0
; VGPRBlocks: 0
; NumSGPRsForWavesPerEU: 4
; NumVGPRsForWavesPerEU: 1
; AccumOffset: 4
; Occupancy: 8
; WaveLimiterHint : 0
; COMPUTE_PGM_RSRC2:SCRATCH_EN: 0
; COMPUTE_PGM_RSRC2:USER_SGPR: 6
; COMPUTE_PGM_RSRC2:TRAP_HANDLER: 0
; COMPUTE_PGM_RSRC2:TGID_X_EN: 1
; COMPUTE_PGM_RSRC2:TGID_Y_EN: 0
; COMPUTE_PGM_RSRC2:TGID_Z_EN: 0
; COMPUTE_PGM_RSRC2:TIDIG_COMP_CNT: 0
; COMPUTE_PGM_RSRC3_GFX90A:ACCUM_OFFSET: 0
; COMPUTE_PGM_RSRC3_GFX90A:TG_SPLIT: 0
	.section	.text._ZN7rocprim17ROCPRIM_400000_NS6detail17trampoline_kernelINS0_14default_configENS1_25partition_config_selectorILNS1_17partition_subalgoE0EsNS0_10empty_typeEbEEZZNS1_14partition_implILS5_0ELb0ES3_jN6thrust23THRUST_200600_302600_NS6detail15normal_iteratorINSA_10device_ptrIsEEEEPS6_SG_NS0_5tupleIJNSA_16discard_iteratorINSA_11use_defaultEEESF_EEENSH_IJSG_SG_EEES6_PlJ7is_evenIsEEEE10hipError_tPvRmT3_T4_T5_T6_T7_T9_mT8_P12ihipStream_tbDpT10_ENKUlT_T0_E_clISt17integral_constantIbLb0EES19_EEDaS14_S15_EUlS14_E_NS1_11comp_targetILNS1_3genE2ELNS1_11target_archE906ELNS1_3gpuE6ELNS1_3repE0EEENS1_30default_config_static_selectorELNS0_4arch9wavefront6targetE1EEEvT1_,"axG",@progbits,_ZN7rocprim17ROCPRIM_400000_NS6detail17trampoline_kernelINS0_14default_configENS1_25partition_config_selectorILNS1_17partition_subalgoE0EsNS0_10empty_typeEbEEZZNS1_14partition_implILS5_0ELb0ES3_jN6thrust23THRUST_200600_302600_NS6detail15normal_iteratorINSA_10device_ptrIsEEEEPS6_SG_NS0_5tupleIJNSA_16discard_iteratorINSA_11use_defaultEEESF_EEENSH_IJSG_SG_EEES6_PlJ7is_evenIsEEEE10hipError_tPvRmT3_T4_T5_T6_T7_T9_mT8_P12ihipStream_tbDpT10_ENKUlT_T0_E_clISt17integral_constantIbLb0EES19_EEDaS14_S15_EUlS14_E_NS1_11comp_targetILNS1_3genE2ELNS1_11target_archE906ELNS1_3gpuE6ELNS1_3repE0EEENS1_30default_config_static_selectorELNS0_4arch9wavefront6targetE1EEEvT1_,comdat
	.protected	_ZN7rocprim17ROCPRIM_400000_NS6detail17trampoline_kernelINS0_14default_configENS1_25partition_config_selectorILNS1_17partition_subalgoE0EsNS0_10empty_typeEbEEZZNS1_14partition_implILS5_0ELb0ES3_jN6thrust23THRUST_200600_302600_NS6detail15normal_iteratorINSA_10device_ptrIsEEEEPS6_SG_NS0_5tupleIJNSA_16discard_iteratorINSA_11use_defaultEEESF_EEENSH_IJSG_SG_EEES6_PlJ7is_evenIsEEEE10hipError_tPvRmT3_T4_T5_T6_T7_T9_mT8_P12ihipStream_tbDpT10_ENKUlT_T0_E_clISt17integral_constantIbLb0EES19_EEDaS14_S15_EUlS14_E_NS1_11comp_targetILNS1_3genE2ELNS1_11target_archE906ELNS1_3gpuE6ELNS1_3repE0EEENS1_30default_config_static_selectorELNS0_4arch9wavefront6targetE1EEEvT1_ ; -- Begin function _ZN7rocprim17ROCPRIM_400000_NS6detail17trampoline_kernelINS0_14default_configENS1_25partition_config_selectorILNS1_17partition_subalgoE0EsNS0_10empty_typeEbEEZZNS1_14partition_implILS5_0ELb0ES3_jN6thrust23THRUST_200600_302600_NS6detail15normal_iteratorINSA_10device_ptrIsEEEEPS6_SG_NS0_5tupleIJNSA_16discard_iteratorINSA_11use_defaultEEESF_EEENSH_IJSG_SG_EEES6_PlJ7is_evenIsEEEE10hipError_tPvRmT3_T4_T5_T6_T7_T9_mT8_P12ihipStream_tbDpT10_ENKUlT_T0_E_clISt17integral_constantIbLb0EES19_EEDaS14_S15_EUlS14_E_NS1_11comp_targetILNS1_3genE2ELNS1_11target_archE906ELNS1_3gpuE6ELNS1_3repE0EEENS1_30default_config_static_selectorELNS0_4arch9wavefront6targetE1EEEvT1_
	.globl	_ZN7rocprim17ROCPRIM_400000_NS6detail17trampoline_kernelINS0_14default_configENS1_25partition_config_selectorILNS1_17partition_subalgoE0EsNS0_10empty_typeEbEEZZNS1_14partition_implILS5_0ELb0ES3_jN6thrust23THRUST_200600_302600_NS6detail15normal_iteratorINSA_10device_ptrIsEEEEPS6_SG_NS0_5tupleIJNSA_16discard_iteratorINSA_11use_defaultEEESF_EEENSH_IJSG_SG_EEES6_PlJ7is_evenIsEEEE10hipError_tPvRmT3_T4_T5_T6_T7_T9_mT8_P12ihipStream_tbDpT10_ENKUlT_T0_E_clISt17integral_constantIbLb0EES19_EEDaS14_S15_EUlS14_E_NS1_11comp_targetILNS1_3genE2ELNS1_11target_archE906ELNS1_3gpuE6ELNS1_3repE0EEENS1_30default_config_static_selectorELNS0_4arch9wavefront6targetE1EEEvT1_
	.p2align	8
	.type	_ZN7rocprim17ROCPRIM_400000_NS6detail17trampoline_kernelINS0_14default_configENS1_25partition_config_selectorILNS1_17partition_subalgoE0EsNS0_10empty_typeEbEEZZNS1_14partition_implILS5_0ELb0ES3_jN6thrust23THRUST_200600_302600_NS6detail15normal_iteratorINSA_10device_ptrIsEEEEPS6_SG_NS0_5tupleIJNSA_16discard_iteratorINSA_11use_defaultEEESF_EEENSH_IJSG_SG_EEES6_PlJ7is_evenIsEEEE10hipError_tPvRmT3_T4_T5_T6_T7_T9_mT8_P12ihipStream_tbDpT10_ENKUlT_T0_E_clISt17integral_constantIbLb0EES19_EEDaS14_S15_EUlS14_E_NS1_11comp_targetILNS1_3genE2ELNS1_11target_archE906ELNS1_3gpuE6ELNS1_3repE0EEENS1_30default_config_static_selectorELNS0_4arch9wavefront6targetE1EEEvT1_,@function
_ZN7rocprim17ROCPRIM_400000_NS6detail17trampoline_kernelINS0_14default_configENS1_25partition_config_selectorILNS1_17partition_subalgoE0EsNS0_10empty_typeEbEEZZNS1_14partition_implILS5_0ELb0ES3_jN6thrust23THRUST_200600_302600_NS6detail15normal_iteratorINSA_10device_ptrIsEEEEPS6_SG_NS0_5tupleIJNSA_16discard_iteratorINSA_11use_defaultEEESF_EEENSH_IJSG_SG_EEES6_PlJ7is_evenIsEEEE10hipError_tPvRmT3_T4_T5_T6_T7_T9_mT8_P12ihipStream_tbDpT10_ENKUlT_T0_E_clISt17integral_constantIbLb0EES19_EEDaS14_S15_EUlS14_E_NS1_11comp_targetILNS1_3genE2ELNS1_11target_archE906ELNS1_3gpuE6ELNS1_3repE0EEENS1_30default_config_static_selectorELNS0_4arch9wavefront6targetE1EEEvT1_: ; @_ZN7rocprim17ROCPRIM_400000_NS6detail17trampoline_kernelINS0_14default_configENS1_25partition_config_selectorILNS1_17partition_subalgoE0EsNS0_10empty_typeEbEEZZNS1_14partition_implILS5_0ELb0ES3_jN6thrust23THRUST_200600_302600_NS6detail15normal_iteratorINSA_10device_ptrIsEEEEPS6_SG_NS0_5tupleIJNSA_16discard_iteratorINSA_11use_defaultEEESF_EEENSH_IJSG_SG_EEES6_PlJ7is_evenIsEEEE10hipError_tPvRmT3_T4_T5_T6_T7_T9_mT8_P12ihipStream_tbDpT10_ENKUlT_T0_E_clISt17integral_constantIbLb0EES19_EEDaS14_S15_EUlS14_E_NS1_11comp_targetILNS1_3genE2ELNS1_11target_archE906ELNS1_3gpuE6ELNS1_3repE0EEENS1_30default_config_static_selectorELNS0_4arch9wavefront6targetE1EEEvT1_
; %bb.0:
	.section	.rodata,"a",@progbits
	.p2align	6, 0x0
	.amdhsa_kernel _ZN7rocprim17ROCPRIM_400000_NS6detail17trampoline_kernelINS0_14default_configENS1_25partition_config_selectorILNS1_17partition_subalgoE0EsNS0_10empty_typeEbEEZZNS1_14partition_implILS5_0ELb0ES3_jN6thrust23THRUST_200600_302600_NS6detail15normal_iteratorINSA_10device_ptrIsEEEEPS6_SG_NS0_5tupleIJNSA_16discard_iteratorINSA_11use_defaultEEESF_EEENSH_IJSG_SG_EEES6_PlJ7is_evenIsEEEE10hipError_tPvRmT3_T4_T5_T6_T7_T9_mT8_P12ihipStream_tbDpT10_ENKUlT_T0_E_clISt17integral_constantIbLb0EES19_EEDaS14_S15_EUlS14_E_NS1_11comp_targetILNS1_3genE2ELNS1_11target_archE906ELNS1_3gpuE6ELNS1_3repE0EEENS1_30default_config_static_selectorELNS0_4arch9wavefront6targetE1EEEvT1_
		.amdhsa_group_segment_fixed_size 0
		.amdhsa_private_segment_fixed_size 0
		.amdhsa_kernarg_size 128
		.amdhsa_user_sgpr_count 6
		.amdhsa_user_sgpr_private_segment_buffer 1
		.amdhsa_user_sgpr_dispatch_ptr 0
		.amdhsa_user_sgpr_queue_ptr 0
		.amdhsa_user_sgpr_kernarg_segment_ptr 1
		.amdhsa_user_sgpr_dispatch_id 0
		.amdhsa_user_sgpr_flat_scratch_init 0
		.amdhsa_user_sgpr_kernarg_preload_length 0
		.amdhsa_user_sgpr_kernarg_preload_offset 0
		.amdhsa_user_sgpr_private_segment_size 0
		.amdhsa_uses_dynamic_stack 0
		.amdhsa_system_sgpr_private_segment_wavefront_offset 0
		.amdhsa_system_sgpr_workgroup_id_x 1
		.amdhsa_system_sgpr_workgroup_id_y 0
		.amdhsa_system_sgpr_workgroup_id_z 0
		.amdhsa_system_sgpr_workgroup_info 0
		.amdhsa_system_vgpr_workitem_id 0
		.amdhsa_next_free_vgpr 1
		.amdhsa_next_free_sgpr 0
		.amdhsa_accum_offset 4
		.amdhsa_reserve_vcc 0
		.amdhsa_reserve_flat_scratch 0
		.amdhsa_float_round_mode_32 0
		.amdhsa_float_round_mode_16_64 0
		.amdhsa_float_denorm_mode_32 3
		.amdhsa_float_denorm_mode_16_64 3
		.amdhsa_dx10_clamp 1
		.amdhsa_ieee_mode 1
		.amdhsa_fp16_overflow 0
		.amdhsa_tg_split 0
		.amdhsa_exception_fp_ieee_invalid_op 0
		.amdhsa_exception_fp_denorm_src 0
		.amdhsa_exception_fp_ieee_div_zero 0
		.amdhsa_exception_fp_ieee_overflow 0
		.amdhsa_exception_fp_ieee_underflow 0
		.amdhsa_exception_fp_ieee_inexact 0
		.amdhsa_exception_int_div_zero 0
	.end_amdhsa_kernel
	.section	.text._ZN7rocprim17ROCPRIM_400000_NS6detail17trampoline_kernelINS0_14default_configENS1_25partition_config_selectorILNS1_17partition_subalgoE0EsNS0_10empty_typeEbEEZZNS1_14partition_implILS5_0ELb0ES3_jN6thrust23THRUST_200600_302600_NS6detail15normal_iteratorINSA_10device_ptrIsEEEEPS6_SG_NS0_5tupleIJNSA_16discard_iteratorINSA_11use_defaultEEESF_EEENSH_IJSG_SG_EEES6_PlJ7is_evenIsEEEE10hipError_tPvRmT3_T4_T5_T6_T7_T9_mT8_P12ihipStream_tbDpT10_ENKUlT_T0_E_clISt17integral_constantIbLb0EES19_EEDaS14_S15_EUlS14_E_NS1_11comp_targetILNS1_3genE2ELNS1_11target_archE906ELNS1_3gpuE6ELNS1_3repE0EEENS1_30default_config_static_selectorELNS0_4arch9wavefront6targetE1EEEvT1_,"axG",@progbits,_ZN7rocprim17ROCPRIM_400000_NS6detail17trampoline_kernelINS0_14default_configENS1_25partition_config_selectorILNS1_17partition_subalgoE0EsNS0_10empty_typeEbEEZZNS1_14partition_implILS5_0ELb0ES3_jN6thrust23THRUST_200600_302600_NS6detail15normal_iteratorINSA_10device_ptrIsEEEEPS6_SG_NS0_5tupleIJNSA_16discard_iteratorINSA_11use_defaultEEESF_EEENSH_IJSG_SG_EEES6_PlJ7is_evenIsEEEE10hipError_tPvRmT3_T4_T5_T6_T7_T9_mT8_P12ihipStream_tbDpT10_ENKUlT_T0_E_clISt17integral_constantIbLb0EES19_EEDaS14_S15_EUlS14_E_NS1_11comp_targetILNS1_3genE2ELNS1_11target_archE906ELNS1_3gpuE6ELNS1_3repE0EEENS1_30default_config_static_selectorELNS0_4arch9wavefront6targetE1EEEvT1_,comdat
.Lfunc_end2847:
	.size	_ZN7rocprim17ROCPRIM_400000_NS6detail17trampoline_kernelINS0_14default_configENS1_25partition_config_selectorILNS1_17partition_subalgoE0EsNS0_10empty_typeEbEEZZNS1_14partition_implILS5_0ELb0ES3_jN6thrust23THRUST_200600_302600_NS6detail15normal_iteratorINSA_10device_ptrIsEEEEPS6_SG_NS0_5tupleIJNSA_16discard_iteratorINSA_11use_defaultEEESF_EEENSH_IJSG_SG_EEES6_PlJ7is_evenIsEEEE10hipError_tPvRmT3_T4_T5_T6_T7_T9_mT8_P12ihipStream_tbDpT10_ENKUlT_T0_E_clISt17integral_constantIbLb0EES19_EEDaS14_S15_EUlS14_E_NS1_11comp_targetILNS1_3genE2ELNS1_11target_archE906ELNS1_3gpuE6ELNS1_3repE0EEENS1_30default_config_static_selectorELNS0_4arch9wavefront6targetE1EEEvT1_, .Lfunc_end2847-_ZN7rocprim17ROCPRIM_400000_NS6detail17trampoline_kernelINS0_14default_configENS1_25partition_config_selectorILNS1_17partition_subalgoE0EsNS0_10empty_typeEbEEZZNS1_14partition_implILS5_0ELb0ES3_jN6thrust23THRUST_200600_302600_NS6detail15normal_iteratorINSA_10device_ptrIsEEEEPS6_SG_NS0_5tupleIJNSA_16discard_iteratorINSA_11use_defaultEEESF_EEENSH_IJSG_SG_EEES6_PlJ7is_evenIsEEEE10hipError_tPvRmT3_T4_T5_T6_T7_T9_mT8_P12ihipStream_tbDpT10_ENKUlT_T0_E_clISt17integral_constantIbLb0EES19_EEDaS14_S15_EUlS14_E_NS1_11comp_targetILNS1_3genE2ELNS1_11target_archE906ELNS1_3gpuE6ELNS1_3repE0EEENS1_30default_config_static_selectorELNS0_4arch9wavefront6targetE1EEEvT1_
                                        ; -- End function
	.section	.AMDGPU.csdata,"",@progbits
; Kernel info:
; codeLenInByte = 0
; NumSgprs: 4
; NumVgprs: 0
; NumAgprs: 0
; TotalNumVgprs: 0
; ScratchSize: 0
; MemoryBound: 0
; FloatMode: 240
; IeeeMode: 1
; LDSByteSize: 0 bytes/workgroup (compile time only)
; SGPRBlocks: 0
; VGPRBlocks: 0
; NumSGPRsForWavesPerEU: 4
; NumVGPRsForWavesPerEU: 1
; AccumOffset: 4
; Occupancy: 8
; WaveLimiterHint : 0
; COMPUTE_PGM_RSRC2:SCRATCH_EN: 0
; COMPUTE_PGM_RSRC2:USER_SGPR: 6
; COMPUTE_PGM_RSRC2:TRAP_HANDLER: 0
; COMPUTE_PGM_RSRC2:TGID_X_EN: 1
; COMPUTE_PGM_RSRC2:TGID_Y_EN: 0
; COMPUTE_PGM_RSRC2:TGID_Z_EN: 0
; COMPUTE_PGM_RSRC2:TIDIG_COMP_CNT: 0
; COMPUTE_PGM_RSRC3_GFX90A:ACCUM_OFFSET: 0
; COMPUTE_PGM_RSRC3_GFX90A:TG_SPLIT: 0
	.section	.text._ZN7rocprim17ROCPRIM_400000_NS6detail17trampoline_kernelINS0_14default_configENS1_25partition_config_selectorILNS1_17partition_subalgoE0EsNS0_10empty_typeEbEEZZNS1_14partition_implILS5_0ELb0ES3_jN6thrust23THRUST_200600_302600_NS6detail15normal_iteratorINSA_10device_ptrIsEEEEPS6_SG_NS0_5tupleIJNSA_16discard_iteratorINSA_11use_defaultEEESF_EEENSH_IJSG_SG_EEES6_PlJ7is_evenIsEEEE10hipError_tPvRmT3_T4_T5_T6_T7_T9_mT8_P12ihipStream_tbDpT10_ENKUlT_T0_E_clISt17integral_constantIbLb0EES19_EEDaS14_S15_EUlS14_E_NS1_11comp_targetILNS1_3genE10ELNS1_11target_archE1200ELNS1_3gpuE4ELNS1_3repE0EEENS1_30default_config_static_selectorELNS0_4arch9wavefront6targetE1EEEvT1_,"axG",@progbits,_ZN7rocprim17ROCPRIM_400000_NS6detail17trampoline_kernelINS0_14default_configENS1_25partition_config_selectorILNS1_17partition_subalgoE0EsNS0_10empty_typeEbEEZZNS1_14partition_implILS5_0ELb0ES3_jN6thrust23THRUST_200600_302600_NS6detail15normal_iteratorINSA_10device_ptrIsEEEEPS6_SG_NS0_5tupleIJNSA_16discard_iteratorINSA_11use_defaultEEESF_EEENSH_IJSG_SG_EEES6_PlJ7is_evenIsEEEE10hipError_tPvRmT3_T4_T5_T6_T7_T9_mT8_P12ihipStream_tbDpT10_ENKUlT_T0_E_clISt17integral_constantIbLb0EES19_EEDaS14_S15_EUlS14_E_NS1_11comp_targetILNS1_3genE10ELNS1_11target_archE1200ELNS1_3gpuE4ELNS1_3repE0EEENS1_30default_config_static_selectorELNS0_4arch9wavefront6targetE1EEEvT1_,comdat
	.protected	_ZN7rocprim17ROCPRIM_400000_NS6detail17trampoline_kernelINS0_14default_configENS1_25partition_config_selectorILNS1_17partition_subalgoE0EsNS0_10empty_typeEbEEZZNS1_14partition_implILS5_0ELb0ES3_jN6thrust23THRUST_200600_302600_NS6detail15normal_iteratorINSA_10device_ptrIsEEEEPS6_SG_NS0_5tupleIJNSA_16discard_iteratorINSA_11use_defaultEEESF_EEENSH_IJSG_SG_EEES6_PlJ7is_evenIsEEEE10hipError_tPvRmT3_T4_T5_T6_T7_T9_mT8_P12ihipStream_tbDpT10_ENKUlT_T0_E_clISt17integral_constantIbLb0EES19_EEDaS14_S15_EUlS14_E_NS1_11comp_targetILNS1_3genE10ELNS1_11target_archE1200ELNS1_3gpuE4ELNS1_3repE0EEENS1_30default_config_static_selectorELNS0_4arch9wavefront6targetE1EEEvT1_ ; -- Begin function _ZN7rocprim17ROCPRIM_400000_NS6detail17trampoline_kernelINS0_14default_configENS1_25partition_config_selectorILNS1_17partition_subalgoE0EsNS0_10empty_typeEbEEZZNS1_14partition_implILS5_0ELb0ES3_jN6thrust23THRUST_200600_302600_NS6detail15normal_iteratorINSA_10device_ptrIsEEEEPS6_SG_NS0_5tupleIJNSA_16discard_iteratorINSA_11use_defaultEEESF_EEENSH_IJSG_SG_EEES6_PlJ7is_evenIsEEEE10hipError_tPvRmT3_T4_T5_T6_T7_T9_mT8_P12ihipStream_tbDpT10_ENKUlT_T0_E_clISt17integral_constantIbLb0EES19_EEDaS14_S15_EUlS14_E_NS1_11comp_targetILNS1_3genE10ELNS1_11target_archE1200ELNS1_3gpuE4ELNS1_3repE0EEENS1_30default_config_static_selectorELNS0_4arch9wavefront6targetE1EEEvT1_
	.globl	_ZN7rocprim17ROCPRIM_400000_NS6detail17trampoline_kernelINS0_14default_configENS1_25partition_config_selectorILNS1_17partition_subalgoE0EsNS0_10empty_typeEbEEZZNS1_14partition_implILS5_0ELb0ES3_jN6thrust23THRUST_200600_302600_NS6detail15normal_iteratorINSA_10device_ptrIsEEEEPS6_SG_NS0_5tupleIJNSA_16discard_iteratorINSA_11use_defaultEEESF_EEENSH_IJSG_SG_EEES6_PlJ7is_evenIsEEEE10hipError_tPvRmT3_T4_T5_T6_T7_T9_mT8_P12ihipStream_tbDpT10_ENKUlT_T0_E_clISt17integral_constantIbLb0EES19_EEDaS14_S15_EUlS14_E_NS1_11comp_targetILNS1_3genE10ELNS1_11target_archE1200ELNS1_3gpuE4ELNS1_3repE0EEENS1_30default_config_static_selectorELNS0_4arch9wavefront6targetE1EEEvT1_
	.p2align	8
	.type	_ZN7rocprim17ROCPRIM_400000_NS6detail17trampoline_kernelINS0_14default_configENS1_25partition_config_selectorILNS1_17partition_subalgoE0EsNS0_10empty_typeEbEEZZNS1_14partition_implILS5_0ELb0ES3_jN6thrust23THRUST_200600_302600_NS6detail15normal_iteratorINSA_10device_ptrIsEEEEPS6_SG_NS0_5tupleIJNSA_16discard_iteratorINSA_11use_defaultEEESF_EEENSH_IJSG_SG_EEES6_PlJ7is_evenIsEEEE10hipError_tPvRmT3_T4_T5_T6_T7_T9_mT8_P12ihipStream_tbDpT10_ENKUlT_T0_E_clISt17integral_constantIbLb0EES19_EEDaS14_S15_EUlS14_E_NS1_11comp_targetILNS1_3genE10ELNS1_11target_archE1200ELNS1_3gpuE4ELNS1_3repE0EEENS1_30default_config_static_selectorELNS0_4arch9wavefront6targetE1EEEvT1_,@function
_ZN7rocprim17ROCPRIM_400000_NS6detail17trampoline_kernelINS0_14default_configENS1_25partition_config_selectorILNS1_17partition_subalgoE0EsNS0_10empty_typeEbEEZZNS1_14partition_implILS5_0ELb0ES3_jN6thrust23THRUST_200600_302600_NS6detail15normal_iteratorINSA_10device_ptrIsEEEEPS6_SG_NS0_5tupleIJNSA_16discard_iteratorINSA_11use_defaultEEESF_EEENSH_IJSG_SG_EEES6_PlJ7is_evenIsEEEE10hipError_tPvRmT3_T4_T5_T6_T7_T9_mT8_P12ihipStream_tbDpT10_ENKUlT_T0_E_clISt17integral_constantIbLb0EES19_EEDaS14_S15_EUlS14_E_NS1_11comp_targetILNS1_3genE10ELNS1_11target_archE1200ELNS1_3gpuE4ELNS1_3repE0EEENS1_30default_config_static_selectorELNS0_4arch9wavefront6targetE1EEEvT1_: ; @_ZN7rocprim17ROCPRIM_400000_NS6detail17trampoline_kernelINS0_14default_configENS1_25partition_config_selectorILNS1_17partition_subalgoE0EsNS0_10empty_typeEbEEZZNS1_14partition_implILS5_0ELb0ES3_jN6thrust23THRUST_200600_302600_NS6detail15normal_iteratorINSA_10device_ptrIsEEEEPS6_SG_NS0_5tupleIJNSA_16discard_iteratorINSA_11use_defaultEEESF_EEENSH_IJSG_SG_EEES6_PlJ7is_evenIsEEEE10hipError_tPvRmT3_T4_T5_T6_T7_T9_mT8_P12ihipStream_tbDpT10_ENKUlT_T0_E_clISt17integral_constantIbLb0EES19_EEDaS14_S15_EUlS14_E_NS1_11comp_targetILNS1_3genE10ELNS1_11target_archE1200ELNS1_3gpuE4ELNS1_3repE0EEENS1_30default_config_static_selectorELNS0_4arch9wavefront6targetE1EEEvT1_
; %bb.0:
	.section	.rodata,"a",@progbits
	.p2align	6, 0x0
	.amdhsa_kernel _ZN7rocprim17ROCPRIM_400000_NS6detail17trampoline_kernelINS0_14default_configENS1_25partition_config_selectorILNS1_17partition_subalgoE0EsNS0_10empty_typeEbEEZZNS1_14partition_implILS5_0ELb0ES3_jN6thrust23THRUST_200600_302600_NS6detail15normal_iteratorINSA_10device_ptrIsEEEEPS6_SG_NS0_5tupleIJNSA_16discard_iteratorINSA_11use_defaultEEESF_EEENSH_IJSG_SG_EEES6_PlJ7is_evenIsEEEE10hipError_tPvRmT3_T4_T5_T6_T7_T9_mT8_P12ihipStream_tbDpT10_ENKUlT_T0_E_clISt17integral_constantIbLb0EES19_EEDaS14_S15_EUlS14_E_NS1_11comp_targetILNS1_3genE10ELNS1_11target_archE1200ELNS1_3gpuE4ELNS1_3repE0EEENS1_30default_config_static_selectorELNS0_4arch9wavefront6targetE1EEEvT1_
		.amdhsa_group_segment_fixed_size 0
		.amdhsa_private_segment_fixed_size 0
		.amdhsa_kernarg_size 128
		.amdhsa_user_sgpr_count 6
		.amdhsa_user_sgpr_private_segment_buffer 1
		.amdhsa_user_sgpr_dispatch_ptr 0
		.amdhsa_user_sgpr_queue_ptr 0
		.amdhsa_user_sgpr_kernarg_segment_ptr 1
		.amdhsa_user_sgpr_dispatch_id 0
		.amdhsa_user_sgpr_flat_scratch_init 0
		.amdhsa_user_sgpr_kernarg_preload_length 0
		.amdhsa_user_sgpr_kernarg_preload_offset 0
		.amdhsa_user_sgpr_private_segment_size 0
		.amdhsa_uses_dynamic_stack 0
		.amdhsa_system_sgpr_private_segment_wavefront_offset 0
		.amdhsa_system_sgpr_workgroup_id_x 1
		.amdhsa_system_sgpr_workgroup_id_y 0
		.amdhsa_system_sgpr_workgroup_id_z 0
		.amdhsa_system_sgpr_workgroup_info 0
		.amdhsa_system_vgpr_workitem_id 0
		.amdhsa_next_free_vgpr 1
		.amdhsa_next_free_sgpr 0
		.amdhsa_accum_offset 4
		.amdhsa_reserve_vcc 0
		.amdhsa_reserve_flat_scratch 0
		.amdhsa_float_round_mode_32 0
		.amdhsa_float_round_mode_16_64 0
		.amdhsa_float_denorm_mode_32 3
		.amdhsa_float_denorm_mode_16_64 3
		.amdhsa_dx10_clamp 1
		.amdhsa_ieee_mode 1
		.amdhsa_fp16_overflow 0
		.amdhsa_tg_split 0
		.amdhsa_exception_fp_ieee_invalid_op 0
		.amdhsa_exception_fp_denorm_src 0
		.amdhsa_exception_fp_ieee_div_zero 0
		.amdhsa_exception_fp_ieee_overflow 0
		.amdhsa_exception_fp_ieee_underflow 0
		.amdhsa_exception_fp_ieee_inexact 0
		.amdhsa_exception_int_div_zero 0
	.end_amdhsa_kernel
	.section	.text._ZN7rocprim17ROCPRIM_400000_NS6detail17trampoline_kernelINS0_14default_configENS1_25partition_config_selectorILNS1_17partition_subalgoE0EsNS0_10empty_typeEbEEZZNS1_14partition_implILS5_0ELb0ES3_jN6thrust23THRUST_200600_302600_NS6detail15normal_iteratorINSA_10device_ptrIsEEEEPS6_SG_NS0_5tupleIJNSA_16discard_iteratorINSA_11use_defaultEEESF_EEENSH_IJSG_SG_EEES6_PlJ7is_evenIsEEEE10hipError_tPvRmT3_T4_T5_T6_T7_T9_mT8_P12ihipStream_tbDpT10_ENKUlT_T0_E_clISt17integral_constantIbLb0EES19_EEDaS14_S15_EUlS14_E_NS1_11comp_targetILNS1_3genE10ELNS1_11target_archE1200ELNS1_3gpuE4ELNS1_3repE0EEENS1_30default_config_static_selectorELNS0_4arch9wavefront6targetE1EEEvT1_,"axG",@progbits,_ZN7rocprim17ROCPRIM_400000_NS6detail17trampoline_kernelINS0_14default_configENS1_25partition_config_selectorILNS1_17partition_subalgoE0EsNS0_10empty_typeEbEEZZNS1_14partition_implILS5_0ELb0ES3_jN6thrust23THRUST_200600_302600_NS6detail15normal_iteratorINSA_10device_ptrIsEEEEPS6_SG_NS0_5tupleIJNSA_16discard_iteratorINSA_11use_defaultEEESF_EEENSH_IJSG_SG_EEES6_PlJ7is_evenIsEEEE10hipError_tPvRmT3_T4_T5_T6_T7_T9_mT8_P12ihipStream_tbDpT10_ENKUlT_T0_E_clISt17integral_constantIbLb0EES19_EEDaS14_S15_EUlS14_E_NS1_11comp_targetILNS1_3genE10ELNS1_11target_archE1200ELNS1_3gpuE4ELNS1_3repE0EEENS1_30default_config_static_selectorELNS0_4arch9wavefront6targetE1EEEvT1_,comdat
.Lfunc_end2848:
	.size	_ZN7rocprim17ROCPRIM_400000_NS6detail17trampoline_kernelINS0_14default_configENS1_25partition_config_selectorILNS1_17partition_subalgoE0EsNS0_10empty_typeEbEEZZNS1_14partition_implILS5_0ELb0ES3_jN6thrust23THRUST_200600_302600_NS6detail15normal_iteratorINSA_10device_ptrIsEEEEPS6_SG_NS0_5tupleIJNSA_16discard_iteratorINSA_11use_defaultEEESF_EEENSH_IJSG_SG_EEES6_PlJ7is_evenIsEEEE10hipError_tPvRmT3_T4_T5_T6_T7_T9_mT8_P12ihipStream_tbDpT10_ENKUlT_T0_E_clISt17integral_constantIbLb0EES19_EEDaS14_S15_EUlS14_E_NS1_11comp_targetILNS1_3genE10ELNS1_11target_archE1200ELNS1_3gpuE4ELNS1_3repE0EEENS1_30default_config_static_selectorELNS0_4arch9wavefront6targetE1EEEvT1_, .Lfunc_end2848-_ZN7rocprim17ROCPRIM_400000_NS6detail17trampoline_kernelINS0_14default_configENS1_25partition_config_selectorILNS1_17partition_subalgoE0EsNS0_10empty_typeEbEEZZNS1_14partition_implILS5_0ELb0ES3_jN6thrust23THRUST_200600_302600_NS6detail15normal_iteratorINSA_10device_ptrIsEEEEPS6_SG_NS0_5tupleIJNSA_16discard_iteratorINSA_11use_defaultEEESF_EEENSH_IJSG_SG_EEES6_PlJ7is_evenIsEEEE10hipError_tPvRmT3_T4_T5_T6_T7_T9_mT8_P12ihipStream_tbDpT10_ENKUlT_T0_E_clISt17integral_constantIbLb0EES19_EEDaS14_S15_EUlS14_E_NS1_11comp_targetILNS1_3genE10ELNS1_11target_archE1200ELNS1_3gpuE4ELNS1_3repE0EEENS1_30default_config_static_selectorELNS0_4arch9wavefront6targetE1EEEvT1_
                                        ; -- End function
	.section	.AMDGPU.csdata,"",@progbits
; Kernel info:
; codeLenInByte = 0
; NumSgprs: 4
; NumVgprs: 0
; NumAgprs: 0
; TotalNumVgprs: 0
; ScratchSize: 0
; MemoryBound: 0
; FloatMode: 240
; IeeeMode: 1
; LDSByteSize: 0 bytes/workgroup (compile time only)
; SGPRBlocks: 0
; VGPRBlocks: 0
; NumSGPRsForWavesPerEU: 4
; NumVGPRsForWavesPerEU: 1
; AccumOffset: 4
; Occupancy: 8
; WaveLimiterHint : 0
; COMPUTE_PGM_RSRC2:SCRATCH_EN: 0
; COMPUTE_PGM_RSRC2:USER_SGPR: 6
; COMPUTE_PGM_RSRC2:TRAP_HANDLER: 0
; COMPUTE_PGM_RSRC2:TGID_X_EN: 1
; COMPUTE_PGM_RSRC2:TGID_Y_EN: 0
; COMPUTE_PGM_RSRC2:TGID_Z_EN: 0
; COMPUTE_PGM_RSRC2:TIDIG_COMP_CNT: 0
; COMPUTE_PGM_RSRC3_GFX90A:ACCUM_OFFSET: 0
; COMPUTE_PGM_RSRC3_GFX90A:TG_SPLIT: 0
	.section	.text._ZN7rocprim17ROCPRIM_400000_NS6detail17trampoline_kernelINS0_14default_configENS1_25partition_config_selectorILNS1_17partition_subalgoE0EsNS0_10empty_typeEbEEZZNS1_14partition_implILS5_0ELb0ES3_jN6thrust23THRUST_200600_302600_NS6detail15normal_iteratorINSA_10device_ptrIsEEEEPS6_SG_NS0_5tupleIJNSA_16discard_iteratorINSA_11use_defaultEEESF_EEENSH_IJSG_SG_EEES6_PlJ7is_evenIsEEEE10hipError_tPvRmT3_T4_T5_T6_T7_T9_mT8_P12ihipStream_tbDpT10_ENKUlT_T0_E_clISt17integral_constantIbLb0EES19_EEDaS14_S15_EUlS14_E_NS1_11comp_targetILNS1_3genE9ELNS1_11target_archE1100ELNS1_3gpuE3ELNS1_3repE0EEENS1_30default_config_static_selectorELNS0_4arch9wavefront6targetE1EEEvT1_,"axG",@progbits,_ZN7rocprim17ROCPRIM_400000_NS6detail17trampoline_kernelINS0_14default_configENS1_25partition_config_selectorILNS1_17partition_subalgoE0EsNS0_10empty_typeEbEEZZNS1_14partition_implILS5_0ELb0ES3_jN6thrust23THRUST_200600_302600_NS6detail15normal_iteratorINSA_10device_ptrIsEEEEPS6_SG_NS0_5tupleIJNSA_16discard_iteratorINSA_11use_defaultEEESF_EEENSH_IJSG_SG_EEES6_PlJ7is_evenIsEEEE10hipError_tPvRmT3_T4_T5_T6_T7_T9_mT8_P12ihipStream_tbDpT10_ENKUlT_T0_E_clISt17integral_constantIbLb0EES19_EEDaS14_S15_EUlS14_E_NS1_11comp_targetILNS1_3genE9ELNS1_11target_archE1100ELNS1_3gpuE3ELNS1_3repE0EEENS1_30default_config_static_selectorELNS0_4arch9wavefront6targetE1EEEvT1_,comdat
	.protected	_ZN7rocprim17ROCPRIM_400000_NS6detail17trampoline_kernelINS0_14default_configENS1_25partition_config_selectorILNS1_17partition_subalgoE0EsNS0_10empty_typeEbEEZZNS1_14partition_implILS5_0ELb0ES3_jN6thrust23THRUST_200600_302600_NS6detail15normal_iteratorINSA_10device_ptrIsEEEEPS6_SG_NS0_5tupleIJNSA_16discard_iteratorINSA_11use_defaultEEESF_EEENSH_IJSG_SG_EEES6_PlJ7is_evenIsEEEE10hipError_tPvRmT3_T4_T5_T6_T7_T9_mT8_P12ihipStream_tbDpT10_ENKUlT_T0_E_clISt17integral_constantIbLb0EES19_EEDaS14_S15_EUlS14_E_NS1_11comp_targetILNS1_3genE9ELNS1_11target_archE1100ELNS1_3gpuE3ELNS1_3repE0EEENS1_30default_config_static_selectorELNS0_4arch9wavefront6targetE1EEEvT1_ ; -- Begin function _ZN7rocprim17ROCPRIM_400000_NS6detail17trampoline_kernelINS0_14default_configENS1_25partition_config_selectorILNS1_17partition_subalgoE0EsNS0_10empty_typeEbEEZZNS1_14partition_implILS5_0ELb0ES3_jN6thrust23THRUST_200600_302600_NS6detail15normal_iteratorINSA_10device_ptrIsEEEEPS6_SG_NS0_5tupleIJNSA_16discard_iteratorINSA_11use_defaultEEESF_EEENSH_IJSG_SG_EEES6_PlJ7is_evenIsEEEE10hipError_tPvRmT3_T4_T5_T6_T7_T9_mT8_P12ihipStream_tbDpT10_ENKUlT_T0_E_clISt17integral_constantIbLb0EES19_EEDaS14_S15_EUlS14_E_NS1_11comp_targetILNS1_3genE9ELNS1_11target_archE1100ELNS1_3gpuE3ELNS1_3repE0EEENS1_30default_config_static_selectorELNS0_4arch9wavefront6targetE1EEEvT1_
	.globl	_ZN7rocprim17ROCPRIM_400000_NS6detail17trampoline_kernelINS0_14default_configENS1_25partition_config_selectorILNS1_17partition_subalgoE0EsNS0_10empty_typeEbEEZZNS1_14partition_implILS5_0ELb0ES3_jN6thrust23THRUST_200600_302600_NS6detail15normal_iteratorINSA_10device_ptrIsEEEEPS6_SG_NS0_5tupleIJNSA_16discard_iteratorINSA_11use_defaultEEESF_EEENSH_IJSG_SG_EEES6_PlJ7is_evenIsEEEE10hipError_tPvRmT3_T4_T5_T6_T7_T9_mT8_P12ihipStream_tbDpT10_ENKUlT_T0_E_clISt17integral_constantIbLb0EES19_EEDaS14_S15_EUlS14_E_NS1_11comp_targetILNS1_3genE9ELNS1_11target_archE1100ELNS1_3gpuE3ELNS1_3repE0EEENS1_30default_config_static_selectorELNS0_4arch9wavefront6targetE1EEEvT1_
	.p2align	8
	.type	_ZN7rocprim17ROCPRIM_400000_NS6detail17trampoline_kernelINS0_14default_configENS1_25partition_config_selectorILNS1_17partition_subalgoE0EsNS0_10empty_typeEbEEZZNS1_14partition_implILS5_0ELb0ES3_jN6thrust23THRUST_200600_302600_NS6detail15normal_iteratorINSA_10device_ptrIsEEEEPS6_SG_NS0_5tupleIJNSA_16discard_iteratorINSA_11use_defaultEEESF_EEENSH_IJSG_SG_EEES6_PlJ7is_evenIsEEEE10hipError_tPvRmT3_T4_T5_T6_T7_T9_mT8_P12ihipStream_tbDpT10_ENKUlT_T0_E_clISt17integral_constantIbLb0EES19_EEDaS14_S15_EUlS14_E_NS1_11comp_targetILNS1_3genE9ELNS1_11target_archE1100ELNS1_3gpuE3ELNS1_3repE0EEENS1_30default_config_static_selectorELNS0_4arch9wavefront6targetE1EEEvT1_,@function
_ZN7rocprim17ROCPRIM_400000_NS6detail17trampoline_kernelINS0_14default_configENS1_25partition_config_selectorILNS1_17partition_subalgoE0EsNS0_10empty_typeEbEEZZNS1_14partition_implILS5_0ELb0ES3_jN6thrust23THRUST_200600_302600_NS6detail15normal_iteratorINSA_10device_ptrIsEEEEPS6_SG_NS0_5tupleIJNSA_16discard_iteratorINSA_11use_defaultEEESF_EEENSH_IJSG_SG_EEES6_PlJ7is_evenIsEEEE10hipError_tPvRmT3_T4_T5_T6_T7_T9_mT8_P12ihipStream_tbDpT10_ENKUlT_T0_E_clISt17integral_constantIbLb0EES19_EEDaS14_S15_EUlS14_E_NS1_11comp_targetILNS1_3genE9ELNS1_11target_archE1100ELNS1_3gpuE3ELNS1_3repE0EEENS1_30default_config_static_selectorELNS0_4arch9wavefront6targetE1EEEvT1_: ; @_ZN7rocprim17ROCPRIM_400000_NS6detail17trampoline_kernelINS0_14default_configENS1_25partition_config_selectorILNS1_17partition_subalgoE0EsNS0_10empty_typeEbEEZZNS1_14partition_implILS5_0ELb0ES3_jN6thrust23THRUST_200600_302600_NS6detail15normal_iteratorINSA_10device_ptrIsEEEEPS6_SG_NS0_5tupleIJNSA_16discard_iteratorINSA_11use_defaultEEESF_EEENSH_IJSG_SG_EEES6_PlJ7is_evenIsEEEE10hipError_tPvRmT3_T4_T5_T6_T7_T9_mT8_P12ihipStream_tbDpT10_ENKUlT_T0_E_clISt17integral_constantIbLb0EES19_EEDaS14_S15_EUlS14_E_NS1_11comp_targetILNS1_3genE9ELNS1_11target_archE1100ELNS1_3gpuE3ELNS1_3repE0EEENS1_30default_config_static_selectorELNS0_4arch9wavefront6targetE1EEEvT1_
; %bb.0:
	.section	.rodata,"a",@progbits
	.p2align	6, 0x0
	.amdhsa_kernel _ZN7rocprim17ROCPRIM_400000_NS6detail17trampoline_kernelINS0_14default_configENS1_25partition_config_selectorILNS1_17partition_subalgoE0EsNS0_10empty_typeEbEEZZNS1_14partition_implILS5_0ELb0ES3_jN6thrust23THRUST_200600_302600_NS6detail15normal_iteratorINSA_10device_ptrIsEEEEPS6_SG_NS0_5tupleIJNSA_16discard_iteratorINSA_11use_defaultEEESF_EEENSH_IJSG_SG_EEES6_PlJ7is_evenIsEEEE10hipError_tPvRmT3_T4_T5_T6_T7_T9_mT8_P12ihipStream_tbDpT10_ENKUlT_T0_E_clISt17integral_constantIbLb0EES19_EEDaS14_S15_EUlS14_E_NS1_11comp_targetILNS1_3genE9ELNS1_11target_archE1100ELNS1_3gpuE3ELNS1_3repE0EEENS1_30default_config_static_selectorELNS0_4arch9wavefront6targetE1EEEvT1_
		.amdhsa_group_segment_fixed_size 0
		.amdhsa_private_segment_fixed_size 0
		.amdhsa_kernarg_size 128
		.amdhsa_user_sgpr_count 6
		.amdhsa_user_sgpr_private_segment_buffer 1
		.amdhsa_user_sgpr_dispatch_ptr 0
		.amdhsa_user_sgpr_queue_ptr 0
		.amdhsa_user_sgpr_kernarg_segment_ptr 1
		.amdhsa_user_sgpr_dispatch_id 0
		.amdhsa_user_sgpr_flat_scratch_init 0
		.amdhsa_user_sgpr_kernarg_preload_length 0
		.amdhsa_user_sgpr_kernarg_preload_offset 0
		.amdhsa_user_sgpr_private_segment_size 0
		.amdhsa_uses_dynamic_stack 0
		.amdhsa_system_sgpr_private_segment_wavefront_offset 0
		.amdhsa_system_sgpr_workgroup_id_x 1
		.amdhsa_system_sgpr_workgroup_id_y 0
		.amdhsa_system_sgpr_workgroup_id_z 0
		.amdhsa_system_sgpr_workgroup_info 0
		.amdhsa_system_vgpr_workitem_id 0
		.amdhsa_next_free_vgpr 1
		.amdhsa_next_free_sgpr 0
		.amdhsa_accum_offset 4
		.amdhsa_reserve_vcc 0
		.amdhsa_reserve_flat_scratch 0
		.amdhsa_float_round_mode_32 0
		.amdhsa_float_round_mode_16_64 0
		.amdhsa_float_denorm_mode_32 3
		.amdhsa_float_denorm_mode_16_64 3
		.amdhsa_dx10_clamp 1
		.amdhsa_ieee_mode 1
		.amdhsa_fp16_overflow 0
		.amdhsa_tg_split 0
		.amdhsa_exception_fp_ieee_invalid_op 0
		.amdhsa_exception_fp_denorm_src 0
		.amdhsa_exception_fp_ieee_div_zero 0
		.amdhsa_exception_fp_ieee_overflow 0
		.amdhsa_exception_fp_ieee_underflow 0
		.amdhsa_exception_fp_ieee_inexact 0
		.amdhsa_exception_int_div_zero 0
	.end_amdhsa_kernel
	.section	.text._ZN7rocprim17ROCPRIM_400000_NS6detail17trampoline_kernelINS0_14default_configENS1_25partition_config_selectorILNS1_17partition_subalgoE0EsNS0_10empty_typeEbEEZZNS1_14partition_implILS5_0ELb0ES3_jN6thrust23THRUST_200600_302600_NS6detail15normal_iteratorINSA_10device_ptrIsEEEEPS6_SG_NS0_5tupleIJNSA_16discard_iteratorINSA_11use_defaultEEESF_EEENSH_IJSG_SG_EEES6_PlJ7is_evenIsEEEE10hipError_tPvRmT3_T4_T5_T6_T7_T9_mT8_P12ihipStream_tbDpT10_ENKUlT_T0_E_clISt17integral_constantIbLb0EES19_EEDaS14_S15_EUlS14_E_NS1_11comp_targetILNS1_3genE9ELNS1_11target_archE1100ELNS1_3gpuE3ELNS1_3repE0EEENS1_30default_config_static_selectorELNS0_4arch9wavefront6targetE1EEEvT1_,"axG",@progbits,_ZN7rocprim17ROCPRIM_400000_NS6detail17trampoline_kernelINS0_14default_configENS1_25partition_config_selectorILNS1_17partition_subalgoE0EsNS0_10empty_typeEbEEZZNS1_14partition_implILS5_0ELb0ES3_jN6thrust23THRUST_200600_302600_NS6detail15normal_iteratorINSA_10device_ptrIsEEEEPS6_SG_NS0_5tupleIJNSA_16discard_iteratorINSA_11use_defaultEEESF_EEENSH_IJSG_SG_EEES6_PlJ7is_evenIsEEEE10hipError_tPvRmT3_T4_T5_T6_T7_T9_mT8_P12ihipStream_tbDpT10_ENKUlT_T0_E_clISt17integral_constantIbLb0EES19_EEDaS14_S15_EUlS14_E_NS1_11comp_targetILNS1_3genE9ELNS1_11target_archE1100ELNS1_3gpuE3ELNS1_3repE0EEENS1_30default_config_static_selectorELNS0_4arch9wavefront6targetE1EEEvT1_,comdat
.Lfunc_end2849:
	.size	_ZN7rocprim17ROCPRIM_400000_NS6detail17trampoline_kernelINS0_14default_configENS1_25partition_config_selectorILNS1_17partition_subalgoE0EsNS0_10empty_typeEbEEZZNS1_14partition_implILS5_0ELb0ES3_jN6thrust23THRUST_200600_302600_NS6detail15normal_iteratorINSA_10device_ptrIsEEEEPS6_SG_NS0_5tupleIJNSA_16discard_iteratorINSA_11use_defaultEEESF_EEENSH_IJSG_SG_EEES6_PlJ7is_evenIsEEEE10hipError_tPvRmT3_T4_T5_T6_T7_T9_mT8_P12ihipStream_tbDpT10_ENKUlT_T0_E_clISt17integral_constantIbLb0EES19_EEDaS14_S15_EUlS14_E_NS1_11comp_targetILNS1_3genE9ELNS1_11target_archE1100ELNS1_3gpuE3ELNS1_3repE0EEENS1_30default_config_static_selectorELNS0_4arch9wavefront6targetE1EEEvT1_, .Lfunc_end2849-_ZN7rocprim17ROCPRIM_400000_NS6detail17trampoline_kernelINS0_14default_configENS1_25partition_config_selectorILNS1_17partition_subalgoE0EsNS0_10empty_typeEbEEZZNS1_14partition_implILS5_0ELb0ES3_jN6thrust23THRUST_200600_302600_NS6detail15normal_iteratorINSA_10device_ptrIsEEEEPS6_SG_NS0_5tupleIJNSA_16discard_iteratorINSA_11use_defaultEEESF_EEENSH_IJSG_SG_EEES6_PlJ7is_evenIsEEEE10hipError_tPvRmT3_T4_T5_T6_T7_T9_mT8_P12ihipStream_tbDpT10_ENKUlT_T0_E_clISt17integral_constantIbLb0EES19_EEDaS14_S15_EUlS14_E_NS1_11comp_targetILNS1_3genE9ELNS1_11target_archE1100ELNS1_3gpuE3ELNS1_3repE0EEENS1_30default_config_static_selectorELNS0_4arch9wavefront6targetE1EEEvT1_
                                        ; -- End function
	.section	.AMDGPU.csdata,"",@progbits
; Kernel info:
; codeLenInByte = 0
; NumSgprs: 4
; NumVgprs: 0
; NumAgprs: 0
; TotalNumVgprs: 0
; ScratchSize: 0
; MemoryBound: 0
; FloatMode: 240
; IeeeMode: 1
; LDSByteSize: 0 bytes/workgroup (compile time only)
; SGPRBlocks: 0
; VGPRBlocks: 0
; NumSGPRsForWavesPerEU: 4
; NumVGPRsForWavesPerEU: 1
; AccumOffset: 4
; Occupancy: 8
; WaveLimiterHint : 0
; COMPUTE_PGM_RSRC2:SCRATCH_EN: 0
; COMPUTE_PGM_RSRC2:USER_SGPR: 6
; COMPUTE_PGM_RSRC2:TRAP_HANDLER: 0
; COMPUTE_PGM_RSRC2:TGID_X_EN: 1
; COMPUTE_PGM_RSRC2:TGID_Y_EN: 0
; COMPUTE_PGM_RSRC2:TGID_Z_EN: 0
; COMPUTE_PGM_RSRC2:TIDIG_COMP_CNT: 0
; COMPUTE_PGM_RSRC3_GFX90A:ACCUM_OFFSET: 0
; COMPUTE_PGM_RSRC3_GFX90A:TG_SPLIT: 0
	.section	.text._ZN7rocprim17ROCPRIM_400000_NS6detail17trampoline_kernelINS0_14default_configENS1_25partition_config_selectorILNS1_17partition_subalgoE0EsNS0_10empty_typeEbEEZZNS1_14partition_implILS5_0ELb0ES3_jN6thrust23THRUST_200600_302600_NS6detail15normal_iteratorINSA_10device_ptrIsEEEEPS6_SG_NS0_5tupleIJNSA_16discard_iteratorINSA_11use_defaultEEESF_EEENSH_IJSG_SG_EEES6_PlJ7is_evenIsEEEE10hipError_tPvRmT3_T4_T5_T6_T7_T9_mT8_P12ihipStream_tbDpT10_ENKUlT_T0_E_clISt17integral_constantIbLb0EES19_EEDaS14_S15_EUlS14_E_NS1_11comp_targetILNS1_3genE8ELNS1_11target_archE1030ELNS1_3gpuE2ELNS1_3repE0EEENS1_30default_config_static_selectorELNS0_4arch9wavefront6targetE1EEEvT1_,"axG",@progbits,_ZN7rocprim17ROCPRIM_400000_NS6detail17trampoline_kernelINS0_14default_configENS1_25partition_config_selectorILNS1_17partition_subalgoE0EsNS0_10empty_typeEbEEZZNS1_14partition_implILS5_0ELb0ES3_jN6thrust23THRUST_200600_302600_NS6detail15normal_iteratorINSA_10device_ptrIsEEEEPS6_SG_NS0_5tupleIJNSA_16discard_iteratorINSA_11use_defaultEEESF_EEENSH_IJSG_SG_EEES6_PlJ7is_evenIsEEEE10hipError_tPvRmT3_T4_T5_T6_T7_T9_mT8_P12ihipStream_tbDpT10_ENKUlT_T0_E_clISt17integral_constantIbLb0EES19_EEDaS14_S15_EUlS14_E_NS1_11comp_targetILNS1_3genE8ELNS1_11target_archE1030ELNS1_3gpuE2ELNS1_3repE0EEENS1_30default_config_static_selectorELNS0_4arch9wavefront6targetE1EEEvT1_,comdat
	.protected	_ZN7rocprim17ROCPRIM_400000_NS6detail17trampoline_kernelINS0_14default_configENS1_25partition_config_selectorILNS1_17partition_subalgoE0EsNS0_10empty_typeEbEEZZNS1_14partition_implILS5_0ELb0ES3_jN6thrust23THRUST_200600_302600_NS6detail15normal_iteratorINSA_10device_ptrIsEEEEPS6_SG_NS0_5tupleIJNSA_16discard_iteratorINSA_11use_defaultEEESF_EEENSH_IJSG_SG_EEES6_PlJ7is_evenIsEEEE10hipError_tPvRmT3_T4_T5_T6_T7_T9_mT8_P12ihipStream_tbDpT10_ENKUlT_T0_E_clISt17integral_constantIbLb0EES19_EEDaS14_S15_EUlS14_E_NS1_11comp_targetILNS1_3genE8ELNS1_11target_archE1030ELNS1_3gpuE2ELNS1_3repE0EEENS1_30default_config_static_selectorELNS0_4arch9wavefront6targetE1EEEvT1_ ; -- Begin function _ZN7rocprim17ROCPRIM_400000_NS6detail17trampoline_kernelINS0_14default_configENS1_25partition_config_selectorILNS1_17partition_subalgoE0EsNS0_10empty_typeEbEEZZNS1_14partition_implILS5_0ELb0ES3_jN6thrust23THRUST_200600_302600_NS6detail15normal_iteratorINSA_10device_ptrIsEEEEPS6_SG_NS0_5tupleIJNSA_16discard_iteratorINSA_11use_defaultEEESF_EEENSH_IJSG_SG_EEES6_PlJ7is_evenIsEEEE10hipError_tPvRmT3_T4_T5_T6_T7_T9_mT8_P12ihipStream_tbDpT10_ENKUlT_T0_E_clISt17integral_constantIbLb0EES19_EEDaS14_S15_EUlS14_E_NS1_11comp_targetILNS1_3genE8ELNS1_11target_archE1030ELNS1_3gpuE2ELNS1_3repE0EEENS1_30default_config_static_selectorELNS0_4arch9wavefront6targetE1EEEvT1_
	.globl	_ZN7rocprim17ROCPRIM_400000_NS6detail17trampoline_kernelINS0_14default_configENS1_25partition_config_selectorILNS1_17partition_subalgoE0EsNS0_10empty_typeEbEEZZNS1_14partition_implILS5_0ELb0ES3_jN6thrust23THRUST_200600_302600_NS6detail15normal_iteratorINSA_10device_ptrIsEEEEPS6_SG_NS0_5tupleIJNSA_16discard_iteratorINSA_11use_defaultEEESF_EEENSH_IJSG_SG_EEES6_PlJ7is_evenIsEEEE10hipError_tPvRmT3_T4_T5_T6_T7_T9_mT8_P12ihipStream_tbDpT10_ENKUlT_T0_E_clISt17integral_constantIbLb0EES19_EEDaS14_S15_EUlS14_E_NS1_11comp_targetILNS1_3genE8ELNS1_11target_archE1030ELNS1_3gpuE2ELNS1_3repE0EEENS1_30default_config_static_selectorELNS0_4arch9wavefront6targetE1EEEvT1_
	.p2align	8
	.type	_ZN7rocprim17ROCPRIM_400000_NS6detail17trampoline_kernelINS0_14default_configENS1_25partition_config_selectorILNS1_17partition_subalgoE0EsNS0_10empty_typeEbEEZZNS1_14partition_implILS5_0ELb0ES3_jN6thrust23THRUST_200600_302600_NS6detail15normal_iteratorINSA_10device_ptrIsEEEEPS6_SG_NS0_5tupleIJNSA_16discard_iteratorINSA_11use_defaultEEESF_EEENSH_IJSG_SG_EEES6_PlJ7is_evenIsEEEE10hipError_tPvRmT3_T4_T5_T6_T7_T9_mT8_P12ihipStream_tbDpT10_ENKUlT_T0_E_clISt17integral_constantIbLb0EES19_EEDaS14_S15_EUlS14_E_NS1_11comp_targetILNS1_3genE8ELNS1_11target_archE1030ELNS1_3gpuE2ELNS1_3repE0EEENS1_30default_config_static_selectorELNS0_4arch9wavefront6targetE1EEEvT1_,@function
_ZN7rocprim17ROCPRIM_400000_NS6detail17trampoline_kernelINS0_14default_configENS1_25partition_config_selectorILNS1_17partition_subalgoE0EsNS0_10empty_typeEbEEZZNS1_14partition_implILS5_0ELb0ES3_jN6thrust23THRUST_200600_302600_NS6detail15normal_iteratorINSA_10device_ptrIsEEEEPS6_SG_NS0_5tupleIJNSA_16discard_iteratorINSA_11use_defaultEEESF_EEENSH_IJSG_SG_EEES6_PlJ7is_evenIsEEEE10hipError_tPvRmT3_T4_T5_T6_T7_T9_mT8_P12ihipStream_tbDpT10_ENKUlT_T0_E_clISt17integral_constantIbLb0EES19_EEDaS14_S15_EUlS14_E_NS1_11comp_targetILNS1_3genE8ELNS1_11target_archE1030ELNS1_3gpuE2ELNS1_3repE0EEENS1_30default_config_static_selectorELNS0_4arch9wavefront6targetE1EEEvT1_: ; @_ZN7rocprim17ROCPRIM_400000_NS6detail17trampoline_kernelINS0_14default_configENS1_25partition_config_selectorILNS1_17partition_subalgoE0EsNS0_10empty_typeEbEEZZNS1_14partition_implILS5_0ELb0ES3_jN6thrust23THRUST_200600_302600_NS6detail15normal_iteratorINSA_10device_ptrIsEEEEPS6_SG_NS0_5tupleIJNSA_16discard_iteratorINSA_11use_defaultEEESF_EEENSH_IJSG_SG_EEES6_PlJ7is_evenIsEEEE10hipError_tPvRmT3_T4_T5_T6_T7_T9_mT8_P12ihipStream_tbDpT10_ENKUlT_T0_E_clISt17integral_constantIbLb0EES19_EEDaS14_S15_EUlS14_E_NS1_11comp_targetILNS1_3genE8ELNS1_11target_archE1030ELNS1_3gpuE2ELNS1_3repE0EEENS1_30default_config_static_selectorELNS0_4arch9wavefront6targetE1EEEvT1_
; %bb.0:
	.section	.rodata,"a",@progbits
	.p2align	6, 0x0
	.amdhsa_kernel _ZN7rocprim17ROCPRIM_400000_NS6detail17trampoline_kernelINS0_14default_configENS1_25partition_config_selectorILNS1_17partition_subalgoE0EsNS0_10empty_typeEbEEZZNS1_14partition_implILS5_0ELb0ES3_jN6thrust23THRUST_200600_302600_NS6detail15normal_iteratorINSA_10device_ptrIsEEEEPS6_SG_NS0_5tupleIJNSA_16discard_iteratorINSA_11use_defaultEEESF_EEENSH_IJSG_SG_EEES6_PlJ7is_evenIsEEEE10hipError_tPvRmT3_T4_T5_T6_T7_T9_mT8_P12ihipStream_tbDpT10_ENKUlT_T0_E_clISt17integral_constantIbLb0EES19_EEDaS14_S15_EUlS14_E_NS1_11comp_targetILNS1_3genE8ELNS1_11target_archE1030ELNS1_3gpuE2ELNS1_3repE0EEENS1_30default_config_static_selectorELNS0_4arch9wavefront6targetE1EEEvT1_
		.amdhsa_group_segment_fixed_size 0
		.amdhsa_private_segment_fixed_size 0
		.amdhsa_kernarg_size 128
		.amdhsa_user_sgpr_count 6
		.amdhsa_user_sgpr_private_segment_buffer 1
		.amdhsa_user_sgpr_dispatch_ptr 0
		.amdhsa_user_sgpr_queue_ptr 0
		.amdhsa_user_sgpr_kernarg_segment_ptr 1
		.amdhsa_user_sgpr_dispatch_id 0
		.amdhsa_user_sgpr_flat_scratch_init 0
		.amdhsa_user_sgpr_kernarg_preload_length 0
		.amdhsa_user_sgpr_kernarg_preload_offset 0
		.amdhsa_user_sgpr_private_segment_size 0
		.amdhsa_uses_dynamic_stack 0
		.amdhsa_system_sgpr_private_segment_wavefront_offset 0
		.amdhsa_system_sgpr_workgroup_id_x 1
		.amdhsa_system_sgpr_workgroup_id_y 0
		.amdhsa_system_sgpr_workgroup_id_z 0
		.amdhsa_system_sgpr_workgroup_info 0
		.amdhsa_system_vgpr_workitem_id 0
		.amdhsa_next_free_vgpr 1
		.amdhsa_next_free_sgpr 0
		.amdhsa_accum_offset 4
		.amdhsa_reserve_vcc 0
		.amdhsa_reserve_flat_scratch 0
		.amdhsa_float_round_mode_32 0
		.amdhsa_float_round_mode_16_64 0
		.amdhsa_float_denorm_mode_32 3
		.amdhsa_float_denorm_mode_16_64 3
		.amdhsa_dx10_clamp 1
		.amdhsa_ieee_mode 1
		.amdhsa_fp16_overflow 0
		.amdhsa_tg_split 0
		.amdhsa_exception_fp_ieee_invalid_op 0
		.amdhsa_exception_fp_denorm_src 0
		.amdhsa_exception_fp_ieee_div_zero 0
		.amdhsa_exception_fp_ieee_overflow 0
		.amdhsa_exception_fp_ieee_underflow 0
		.amdhsa_exception_fp_ieee_inexact 0
		.amdhsa_exception_int_div_zero 0
	.end_amdhsa_kernel
	.section	.text._ZN7rocprim17ROCPRIM_400000_NS6detail17trampoline_kernelINS0_14default_configENS1_25partition_config_selectorILNS1_17partition_subalgoE0EsNS0_10empty_typeEbEEZZNS1_14partition_implILS5_0ELb0ES3_jN6thrust23THRUST_200600_302600_NS6detail15normal_iteratorINSA_10device_ptrIsEEEEPS6_SG_NS0_5tupleIJNSA_16discard_iteratorINSA_11use_defaultEEESF_EEENSH_IJSG_SG_EEES6_PlJ7is_evenIsEEEE10hipError_tPvRmT3_T4_T5_T6_T7_T9_mT8_P12ihipStream_tbDpT10_ENKUlT_T0_E_clISt17integral_constantIbLb0EES19_EEDaS14_S15_EUlS14_E_NS1_11comp_targetILNS1_3genE8ELNS1_11target_archE1030ELNS1_3gpuE2ELNS1_3repE0EEENS1_30default_config_static_selectorELNS0_4arch9wavefront6targetE1EEEvT1_,"axG",@progbits,_ZN7rocprim17ROCPRIM_400000_NS6detail17trampoline_kernelINS0_14default_configENS1_25partition_config_selectorILNS1_17partition_subalgoE0EsNS0_10empty_typeEbEEZZNS1_14partition_implILS5_0ELb0ES3_jN6thrust23THRUST_200600_302600_NS6detail15normal_iteratorINSA_10device_ptrIsEEEEPS6_SG_NS0_5tupleIJNSA_16discard_iteratorINSA_11use_defaultEEESF_EEENSH_IJSG_SG_EEES6_PlJ7is_evenIsEEEE10hipError_tPvRmT3_T4_T5_T6_T7_T9_mT8_P12ihipStream_tbDpT10_ENKUlT_T0_E_clISt17integral_constantIbLb0EES19_EEDaS14_S15_EUlS14_E_NS1_11comp_targetILNS1_3genE8ELNS1_11target_archE1030ELNS1_3gpuE2ELNS1_3repE0EEENS1_30default_config_static_selectorELNS0_4arch9wavefront6targetE1EEEvT1_,comdat
.Lfunc_end2850:
	.size	_ZN7rocprim17ROCPRIM_400000_NS6detail17trampoline_kernelINS0_14default_configENS1_25partition_config_selectorILNS1_17partition_subalgoE0EsNS0_10empty_typeEbEEZZNS1_14partition_implILS5_0ELb0ES3_jN6thrust23THRUST_200600_302600_NS6detail15normal_iteratorINSA_10device_ptrIsEEEEPS6_SG_NS0_5tupleIJNSA_16discard_iteratorINSA_11use_defaultEEESF_EEENSH_IJSG_SG_EEES6_PlJ7is_evenIsEEEE10hipError_tPvRmT3_T4_T5_T6_T7_T9_mT8_P12ihipStream_tbDpT10_ENKUlT_T0_E_clISt17integral_constantIbLb0EES19_EEDaS14_S15_EUlS14_E_NS1_11comp_targetILNS1_3genE8ELNS1_11target_archE1030ELNS1_3gpuE2ELNS1_3repE0EEENS1_30default_config_static_selectorELNS0_4arch9wavefront6targetE1EEEvT1_, .Lfunc_end2850-_ZN7rocprim17ROCPRIM_400000_NS6detail17trampoline_kernelINS0_14default_configENS1_25partition_config_selectorILNS1_17partition_subalgoE0EsNS0_10empty_typeEbEEZZNS1_14partition_implILS5_0ELb0ES3_jN6thrust23THRUST_200600_302600_NS6detail15normal_iteratorINSA_10device_ptrIsEEEEPS6_SG_NS0_5tupleIJNSA_16discard_iteratorINSA_11use_defaultEEESF_EEENSH_IJSG_SG_EEES6_PlJ7is_evenIsEEEE10hipError_tPvRmT3_T4_T5_T6_T7_T9_mT8_P12ihipStream_tbDpT10_ENKUlT_T0_E_clISt17integral_constantIbLb0EES19_EEDaS14_S15_EUlS14_E_NS1_11comp_targetILNS1_3genE8ELNS1_11target_archE1030ELNS1_3gpuE2ELNS1_3repE0EEENS1_30default_config_static_selectorELNS0_4arch9wavefront6targetE1EEEvT1_
                                        ; -- End function
	.section	.AMDGPU.csdata,"",@progbits
; Kernel info:
; codeLenInByte = 0
; NumSgprs: 4
; NumVgprs: 0
; NumAgprs: 0
; TotalNumVgprs: 0
; ScratchSize: 0
; MemoryBound: 0
; FloatMode: 240
; IeeeMode: 1
; LDSByteSize: 0 bytes/workgroup (compile time only)
; SGPRBlocks: 0
; VGPRBlocks: 0
; NumSGPRsForWavesPerEU: 4
; NumVGPRsForWavesPerEU: 1
; AccumOffset: 4
; Occupancy: 8
; WaveLimiterHint : 0
; COMPUTE_PGM_RSRC2:SCRATCH_EN: 0
; COMPUTE_PGM_RSRC2:USER_SGPR: 6
; COMPUTE_PGM_RSRC2:TRAP_HANDLER: 0
; COMPUTE_PGM_RSRC2:TGID_X_EN: 1
; COMPUTE_PGM_RSRC2:TGID_Y_EN: 0
; COMPUTE_PGM_RSRC2:TGID_Z_EN: 0
; COMPUTE_PGM_RSRC2:TIDIG_COMP_CNT: 0
; COMPUTE_PGM_RSRC3_GFX90A:ACCUM_OFFSET: 0
; COMPUTE_PGM_RSRC3_GFX90A:TG_SPLIT: 0
	.section	.text._ZN7rocprim17ROCPRIM_400000_NS6detail17trampoline_kernelINS0_14default_configENS1_25partition_config_selectorILNS1_17partition_subalgoE0EsNS0_10empty_typeEbEEZZNS1_14partition_implILS5_0ELb0ES3_jN6thrust23THRUST_200600_302600_NS6detail15normal_iteratorINSA_10device_ptrIsEEEEPS6_SG_NS0_5tupleIJNSA_16discard_iteratorINSA_11use_defaultEEESF_EEENSH_IJSG_SG_EEES6_PlJ7is_evenIsEEEE10hipError_tPvRmT3_T4_T5_T6_T7_T9_mT8_P12ihipStream_tbDpT10_ENKUlT_T0_E_clISt17integral_constantIbLb1EES19_EEDaS14_S15_EUlS14_E_NS1_11comp_targetILNS1_3genE0ELNS1_11target_archE4294967295ELNS1_3gpuE0ELNS1_3repE0EEENS1_30default_config_static_selectorELNS0_4arch9wavefront6targetE1EEEvT1_,"axG",@progbits,_ZN7rocprim17ROCPRIM_400000_NS6detail17trampoline_kernelINS0_14default_configENS1_25partition_config_selectorILNS1_17partition_subalgoE0EsNS0_10empty_typeEbEEZZNS1_14partition_implILS5_0ELb0ES3_jN6thrust23THRUST_200600_302600_NS6detail15normal_iteratorINSA_10device_ptrIsEEEEPS6_SG_NS0_5tupleIJNSA_16discard_iteratorINSA_11use_defaultEEESF_EEENSH_IJSG_SG_EEES6_PlJ7is_evenIsEEEE10hipError_tPvRmT3_T4_T5_T6_T7_T9_mT8_P12ihipStream_tbDpT10_ENKUlT_T0_E_clISt17integral_constantIbLb1EES19_EEDaS14_S15_EUlS14_E_NS1_11comp_targetILNS1_3genE0ELNS1_11target_archE4294967295ELNS1_3gpuE0ELNS1_3repE0EEENS1_30default_config_static_selectorELNS0_4arch9wavefront6targetE1EEEvT1_,comdat
	.protected	_ZN7rocprim17ROCPRIM_400000_NS6detail17trampoline_kernelINS0_14default_configENS1_25partition_config_selectorILNS1_17partition_subalgoE0EsNS0_10empty_typeEbEEZZNS1_14partition_implILS5_0ELb0ES3_jN6thrust23THRUST_200600_302600_NS6detail15normal_iteratorINSA_10device_ptrIsEEEEPS6_SG_NS0_5tupleIJNSA_16discard_iteratorINSA_11use_defaultEEESF_EEENSH_IJSG_SG_EEES6_PlJ7is_evenIsEEEE10hipError_tPvRmT3_T4_T5_T6_T7_T9_mT8_P12ihipStream_tbDpT10_ENKUlT_T0_E_clISt17integral_constantIbLb1EES19_EEDaS14_S15_EUlS14_E_NS1_11comp_targetILNS1_3genE0ELNS1_11target_archE4294967295ELNS1_3gpuE0ELNS1_3repE0EEENS1_30default_config_static_selectorELNS0_4arch9wavefront6targetE1EEEvT1_ ; -- Begin function _ZN7rocprim17ROCPRIM_400000_NS6detail17trampoline_kernelINS0_14default_configENS1_25partition_config_selectorILNS1_17partition_subalgoE0EsNS0_10empty_typeEbEEZZNS1_14partition_implILS5_0ELb0ES3_jN6thrust23THRUST_200600_302600_NS6detail15normal_iteratorINSA_10device_ptrIsEEEEPS6_SG_NS0_5tupleIJNSA_16discard_iteratorINSA_11use_defaultEEESF_EEENSH_IJSG_SG_EEES6_PlJ7is_evenIsEEEE10hipError_tPvRmT3_T4_T5_T6_T7_T9_mT8_P12ihipStream_tbDpT10_ENKUlT_T0_E_clISt17integral_constantIbLb1EES19_EEDaS14_S15_EUlS14_E_NS1_11comp_targetILNS1_3genE0ELNS1_11target_archE4294967295ELNS1_3gpuE0ELNS1_3repE0EEENS1_30default_config_static_selectorELNS0_4arch9wavefront6targetE1EEEvT1_
	.globl	_ZN7rocprim17ROCPRIM_400000_NS6detail17trampoline_kernelINS0_14default_configENS1_25partition_config_selectorILNS1_17partition_subalgoE0EsNS0_10empty_typeEbEEZZNS1_14partition_implILS5_0ELb0ES3_jN6thrust23THRUST_200600_302600_NS6detail15normal_iteratorINSA_10device_ptrIsEEEEPS6_SG_NS0_5tupleIJNSA_16discard_iteratorINSA_11use_defaultEEESF_EEENSH_IJSG_SG_EEES6_PlJ7is_evenIsEEEE10hipError_tPvRmT3_T4_T5_T6_T7_T9_mT8_P12ihipStream_tbDpT10_ENKUlT_T0_E_clISt17integral_constantIbLb1EES19_EEDaS14_S15_EUlS14_E_NS1_11comp_targetILNS1_3genE0ELNS1_11target_archE4294967295ELNS1_3gpuE0ELNS1_3repE0EEENS1_30default_config_static_selectorELNS0_4arch9wavefront6targetE1EEEvT1_
	.p2align	8
	.type	_ZN7rocprim17ROCPRIM_400000_NS6detail17trampoline_kernelINS0_14default_configENS1_25partition_config_selectorILNS1_17partition_subalgoE0EsNS0_10empty_typeEbEEZZNS1_14partition_implILS5_0ELb0ES3_jN6thrust23THRUST_200600_302600_NS6detail15normal_iteratorINSA_10device_ptrIsEEEEPS6_SG_NS0_5tupleIJNSA_16discard_iteratorINSA_11use_defaultEEESF_EEENSH_IJSG_SG_EEES6_PlJ7is_evenIsEEEE10hipError_tPvRmT3_T4_T5_T6_T7_T9_mT8_P12ihipStream_tbDpT10_ENKUlT_T0_E_clISt17integral_constantIbLb1EES19_EEDaS14_S15_EUlS14_E_NS1_11comp_targetILNS1_3genE0ELNS1_11target_archE4294967295ELNS1_3gpuE0ELNS1_3repE0EEENS1_30default_config_static_selectorELNS0_4arch9wavefront6targetE1EEEvT1_,@function
_ZN7rocprim17ROCPRIM_400000_NS6detail17trampoline_kernelINS0_14default_configENS1_25partition_config_selectorILNS1_17partition_subalgoE0EsNS0_10empty_typeEbEEZZNS1_14partition_implILS5_0ELb0ES3_jN6thrust23THRUST_200600_302600_NS6detail15normal_iteratorINSA_10device_ptrIsEEEEPS6_SG_NS0_5tupleIJNSA_16discard_iteratorINSA_11use_defaultEEESF_EEENSH_IJSG_SG_EEES6_PlJ7is_evenIsEEEE10hipError_tPvRmT3_T4_T5_T6_T7_T9_mT8_P12ihipStream_tbDpT10_ENKUlT_T0_E_clISt17integral_constantIbLb1EES19_EEDaS14_S15_EUlS14_E_NS1_11comp_targetILNS1_3genE0ELNS1_11target_archE4294967295ELNS1_3gpuE0ELNS1_3repE0EEENS1_30default_config_static_selectorELNS0_4arch9wavefront6targetE1EEEvT1_: ; @_ZN7rocprim17ROCPRIM_400000_NS6detail17trampoline_kernelINS0_14default_configENS1_25partition_config_selectorILNS1_17partition_subalgoE0EsNS0_10empty_typeEbEEZZNS1_14partition_implILS5_0ELb0ES3_jN6thrust23THRUST_200600_302600_NS6detail15normal_iteratorINSA_10device_ptrIsEEEEPS6_SG_NS0_5tupleIJNSA_16discard_iteratorINSA_11use_defaultEEESF_EEENSH_IJSG_SG_EEES6_PlJ7is_evenIsEEEE10hipError_tPvRmT3_T4_T5_T6_T7_T9_mT8_P12ihipStream_tbDpT10_ENKUlT_T0_E_clISt17integral_constantIbLb1EES19_EEDaS14_S15_EUlS14_E_NS1_11comp_targetILNS1_3genE0ELNS1_11target_archE4294967295ELNS1_3gpuE0ELNS1_3repE0EEENS1_30default_config_static_selectorELNS0_4arch9wavefront6targetE1EEEvT1_
; %bb.0:
	.section	.rodata,"a",@progbits
	.p2align	6, 0x0
	.amdhsa_kernel _ZN7rocprim17ROCPRIM_400000_NS6detail17trampoline_kernelINS0_14default_configENS1_25partition_config_selectorILNS1_17partition_subalgoE0EsNS0_10empty_typeEbEEZZNS1_14partition_implILS5_0ELb0ES3_jN6thrust23THRUST_200600_302600_NS6detail15normal_iteratorINSA_10device_ptrIsEEEEPS6_SG_NS0_5tupleIJNSA_16discard_iteratorINSA_11use_defaultEEESF_EEENSH_IJSG_SG_EEES6_PlJ7is_evenIsEEEE10hipError_tPvRmT3_T4_T5_T6_T7_T9_mT8_P12ihipStream_tbDpT10_ENKUlT_T0_E_clISt17integral_constantIbLb1EES19_EEDaS14_S15_EUlS14_E_NS1_11comp_targetILNS1_3genE0ELNS1_11target_archE4294967295ELNS1_3gpuE0ELNS1_3repE0EEENS1_30default_config_static_selectorELNS0_4arch9wavefront6targetE1EEEvT1_
		.amdhsa_group_segment_fixed_size 0
		.amdhsa_private_segment_fixed_size 0
		.amdhsa_kernarg_size 144
		.amdhsa_user_sgpr_count 6
		.amdhsa_user_sgpr_private_segment_buffer 1
		.amdhsa_user_sgpr_dispatch_ptr 0
		.amdhsa_user_sgpr_queue_ptr 0
		.amdhsa_user_sgpr_kernarg_segment_ptr 1
		.amdhsa_user_sgpr_dispatch_id 0
		.amdhsa_user_sgpr_flat_scratch_init 0
		.amdhsa_user_sgpr_kernarg_preload_length 0
		.amdhsa_user_sgpr_kernarg_preload_offset 0
		.amdhsa_user_sgpr_private_segment_size 0
		.amdhsa_uses_dynamic_stack 0
		.amdhsa_system_sgpr_private_segment_wavefront_offset 0
		.amdhsa_system_sgpr_workgroup_id_x 1
		.amdhsa_system_sgpr_workgroup_id_y 0
		.amdhsa_system_sgpr_workgroup_id_z 0
		.amdhsa_system_sgpr_workgroup_info 0
		.amdhsa_system_vgpr_workitem_id 0
		.amdhsa_next_free_vgpr 1
		.amdhsa_next_free_sgpr 0
		.amdhsa_accum_offset 4
		.amdhsa_reserve_vcc 0
		.amdhsa_reserve_flat_scratch 0
		.amdhsa_float_round_mode_32 0
		.amdhsa_float_round_mode_16_64 0
		.amdhsa_float_denorm_mode_32 3
		.amdhsa_float_denorm_mode_16_64 3
		.amdhsa_dx10_clamp 1
		.amdhsa_ieee_mode 1
		.amdhsa_fp16_overflow 0
		.amdhsa_tg_split 0
		.amdhsa_exception_fp_ieee_invalid_op 0
		.amdhsa_exception_fp_denorm_src 0
		.amdhsa_exception_fp_ieee_div_zero 0
		.amdhsa_exception_fp_ieee_overflow 0
		.amdhsa_exception_fp_ieee_underflow 0
		.amdhsa_exception_fp_ieee_inexact 0
		.amdhsa_exception_int_div_zero 0
	.end_amdhsa_kernel
	.section	.text._ZN7rocprim17ROCPRIM_400000_NS6detail17trampoline_kernelINS0_14default_configENS1_25partition_config_selectorILNS1_17partition_subalgoE0EsNS0_10empty_typeEbEEZZNS1_14partition_implILS5_0ELb0ES3_jN6thrust23THRUST_200600_302600_NS6detail15normal_iteratorINSA_10device_ptrIsEEEEPS6_SG_NS0_5tupleIJNSA_16discard_iteratorINSA_11use_defaultEEESF_EEENSH_IJSG_SG_EEES6_PlJ7is_evenIsEEEE10hipError_tPvRmT3_T4_T5_T6_T7_T9_mT8_P12ihipStream_tbDpT10_ENKUlT_T0_E_clISt17integral_constantIbLb1EES19_EEDaS14_S15_EUlS14_E_NS1_11comp_targetILNS1_3genE0ELNS1_11target_archE4294967295ELNS1_3gpuE0ELNS1_3repE0EEENS1_30default_config_static_selectorELNS0_4arch9wavefront6targetE1EEEvT1_,"axG",@progbits,_ZN7rocprim17ROCPRIM_400000_NS6detail17trampoline_kernelINS0_14default_configENS1_25partition_config_selectorILNS1_17partition_subalgoE0EsNS0_10empty_typeEbEEZZNS1_14partition_implILS5_0ELb0ES3_jN6thrust23THRUST_200600_302600_NS6detail15normal_iteratorINSA_10device_ptrIsEEEEPS6_SG_NS0_5tupleIJNSA_16discard_iteratorINSA_11use_defaultEEESF_EEENSH_IJSG_SG_EEES6_PlJ7is_evenIsEEEE10hipError_tPvRmT3_T4_T5_T6_T7_T9_mT8_P12ihipStream_tbDpT10_ENKUlT_T0_E_clISt17integral_constantIbLb1EES19_EEDaS14_S15_EUlS14_E_NS1_11comp_targetILNS1_3genE0ELNS1_11target_archE4294967295ELNS1_3gpuE0ELNS1_3repE0EEENS1_30default_config_static_selectorELNS0_4arch9wavefront6targetE1EEEvT1_,comdat
.Lfunc_end2851:
	.size	_ZN7rocprim17ROCPRIM_400000_NS6detail17trampoline_kernelINS0_14default_configENS1_25partition_config_selectorILNS1_17partition_subalgoE0EsNS0_10empty_typeEbEEZZNS1_14partition_implILS5_0ELb0ES3_jN6thrust23THRUST_200600_302600_NS6detail15normal_iteratorINSA_10device_ptrIsEEEEPS6_SG_NS0_5tupleIJNSA_16discard_iteratorINSA_11use_defaultEEESF_EEENSH_IJSG_SG_EEES6_PlJ7is_evenIsEEEE10hipError_tPvRmT3_T4_T5_T6_T7_T9_mT8_P12ihipStream_tbDpT10_ENKUlT_T0_E_clISt17integral_constantIbLb1EES19_EEDaS14_S15_EUlS14_E_NS1_11comp_targetILNS1_3genE0ELNS1_11target_archE4294967295ELNS1_3gpuE0ELNS1_3repE0EEENS1_30default_config_static_selectorELNS0_4arch9wavefront6targetE1EEEvT1_, .Lfunc_end2851-_ZN7rocprim17ROCPRIM_400000_NS6detail17trampoline_kernelINS0_14default_configENS1_25partition_config_selectorILNS1_17partition_subalgoE0EsNS0_10empty_typeEbEEZZNS1_14partition_implILS5_0ELb0ES3_jN6thrust23THRUST_200600_302600_NS6detail15normal_iteratorINSA_10device_ptrIsEEEEPS6_SG_NS0_5tupleIJNSA_16discard_iteratorINSA_11use_defaultEEESF_EEENSH_IJSG_SG_EEES6_PlJ7is_evenIsEEEE10hipError_tPvRmT3_T4_T5_T6_T7_T9_mT8_P12ihipStream_tbDpT10_ENKUlT_T0_E_clISt17integral_constantIbLb1EES19_EEDaS14_S15_EUlS14_E_NS1_11comp_targetILNS1_3genE0ELNS1_11target_archE4294967295ELNS1_3gpuE0ELNS1_3repE0EEENS1_30default_config_static_selectorELNS0_4arch9wavefront6targetE1EEEvT1_
                                        ; -- End function
	.section	.AMDGPU.csdata,"",@progbits
; Kernel info:
; codeLenInByte = 0
; NumSgprs: 4
; NumVgprs: 0
; NumAgprs: 0
; TotalNumVgprs: 0
; ScratchSize: 0
; MemoryBound: 0
; FloatMode: 240
; IeeeMode: 1
; LDSByteSize: 0 bytes/workgroup (compile time only)
; SGPRBlocks: 0
; VGPRBlocks: 0
; NumSGPRsForWavesPerEU: 4
; NumVGPRsForWavesPerEU: 1
; AccumOffset: 4
; Occupancy: 8
; WaveLimiterHint : 0
; COMPUTE_PGM_RSRC2:SCRATCH_EN: 0
; COMPUTE_PGM_RSRC2:USER_SGPR: 6
; COMPUTE_PGM_RSRC2:TRAP_HANDLER: 0
; COMPUTE_PGM_RSRC2:TGID_X_EN: 1
; COMPUTE_PGM_RSRC2:TGID_Y_EN: 0
; COMPUTE_PGM_RSRC2:TGID_Z_EN: 0
; COMPUTE_PGM_RSRC2:TIDIG_COMP_CNT: 0
; COMPUTE_PGM_RSRC3_GFX90A:ACCUM_OFFSET: 0
; COMPUTE_PGM_RSRC3_GFX90A:TG_SPLIT: 0
	.section	.text._ZN7rocprim17ROCPRIM_400000_NS6detail17trampoline_kernelINS0_14default_configENS1_25partition_config_selectorILNS1_17partition_subalgoE0EsNS0_10empty_typeEbEEZZNS1_14partition_implILS5_0ELb0ES3_jN6thrust23THRUST_200600_302600_NS6detail15normal_iteratorINSA_10device_ptrIsEEEEPS6_SG_NS0_5tupleIJNSA_16discard_iteratorINSA_11use_defaultEEESF_EEENSH_IJSG_SG_EEES6_PlJ7is_evenIsEEEE10hipError_tPvRmT3_T4_T5_T6_T7_T9_mT8_P12ihipStream_tbDpT10_ENKUlT_T0_E_clISt17integral_constantIbLb1EES19_EEDaS14_S15_EUlS14_E_NS1_11comp_targetILNS1_3genE5ELNS1_11target_archE942ELNS1_3gpuE9ELNS1_3repE0EEENS1_30default_config_static_selectorELNS0_4arch9wavefront6targetE1EEEvT1_,"axG",@progbits,_ZN7rocprim17ROCPRIM_400000_NS6detail17trampoline_kernelINS0_14default_configENS1_25partition_config_selectorILNS1_17partition_subalgoE0EsNS0_10empty_typeEbEEZZNS1_14partition_implILS5_0ELb0ES3_jN6thrust23THRUST_200600_302600_NS6detail15normal_iteratorINSA_10device_ptrIsEEEEPS6_SG_NS0_5tupleIJNSA_16discard_iteratorINSA_11use_defaultEEESF_EEENSH_IJSG_SG_EEES6_PlJ7is_evenIsEEEE10hipError_tPvRmT3_T4_T5_T6_T7_T9_mT8_P12ihipStream_tbDpT10_ENKUlT_T0_E_clISt17integral_constantIbLb1EES19_EEDaS14_S15_EUlS14_E_NS1_11comp_targetILNS1_3genE5ELNS1_11target_archE942ELNS1_3gpuE9ELNS1_3repE0EEENS1_30default_config_static_selectorELNS0_4arch9wavefront6targetE1EEEvT1_,comdat
	.protected	_ZN7rocprim17ROCPRIM_400000_NS6detail17trampoline_kernelINS0_14default_configENS1_25partition_config_selectorILNS1_17partition_subalgoE0EsNS0_10empty_typeEbEEZZNS1_14partition_implILS5_0ELb0ES3_jN6thrust23THRUST_200600_302600_NS6detail15normal_iteratorINSA_10device_ptrIsEEEEPS6_SG_NS0_5tupleIJNSA_16discard_iteratorINSA_11use_defaultEEESF_EEENSH_IJSG_SG_EEES6_PlJ7is_evenIsEEEE10hipError_tPvRmT3_T4_T5_T6_T7_T9_mT8_P12ihipStream_tbDpT10_ENKUlT_T0_E_clISt17integral_constantIbLb1EES19_EEDaS14_S15_EUlS14_E_NS1_11comp_targetILNS1_3genE5ELNS1_11target_archE942ELNS1_3gpuE9ELNS1_3repE0EEENS1_30default_config_static_selectorELNS0_4arch9wavefront6targetE1EEEvT1_ ; -- Begin function _ZN7rocprim17ROCPRIM_400000_NS6detail17trampoline_kernelINS0_14default_configENS1_25partition_config_selectorILNS1_17partition_subalgoE0EsNS0_10empty_typeEbEEZZNS1_14partition_implILS5_0ELb0ES3_jN6thrust23THRUST_200600_302600_NS6detail15normal_iteratorINSA_10device_ptrIsEEEEPS6_SG_NS0_5tupleIJNSA_16discard_iteratorINSA_11use_defaultEEESF_EEENSH_IJSG_SG_EEES6_PlJ7is_evenIsEEEE10hipError_tPvRmT3_T4_T5_T6_T7_T9_mT8_P12ihipStream_tbDpT10_ENKUlT_T0_E_clISt17integral_constantIbLb1EES19_EEDaS14_S15_EUlS14_E_NS1_11comp_targetILNS1_3genE5ELNS1_11target_archE942ELNS1_3gpuE9ELNS1_3repE0EEENS1_30default_config_static_selectorELNS0_4arch9wavefront6targetE1EEEvT1_
	.globl	_ZN7rocprim17ROCPRIM_400000_NS6detail17trampoline_kernelINS0_14default_configENS1_25partition_config_selectorILNS1_17partition_subalgoE0EsNS0_10empty_typeEbEEZZNS1_14partition_implILS5_0ELb0ES3_jN6thrust23THRUST_200600_302600_NS6detail15normal_iteratorINSA_10device_ptrIsEEEEPS6_SG_NS0_5tupleIJNSA_16discard_iteratorINSA_11use_defaultEEESF_EEENSH_IJSG_SG_EEES6_PlJ7is_evenIsEEEE10hipError_tPvRmT3_T4_T5_T6_T7_T9_mT8_P12ihipStream_tbDpT10_ENKUlT_T0_E_clISt17integral_constantIbLb1EES19_EEDaS14_S15_EUlS14_E_NS1_11comp_targetILNS1_3genE5ELNS1_11target_archE942ELNS1_3gpuE9ELNS1_3repE0EEENS1_30default_config_static_selectorELNS0_4arch9wavefront6targetE1EEEvT1_
	.p2align	8
	.type	_ZN7rocprim17ROCPRIM_400000_NS6detail17trampoline_kernelINS0_14default_configENS1_25partition_config_selectorILNS1_17partition_subalgoE0EsNS0_10empty_typeEbEEZZNS1_14partition_implILS5_0ELb0ES3_jN6thrust23THRUST_200600_302600_NS6detail15normal_iteratorINSA_10device_ptrIsEEEEPS6_SG_NS0_5tupleIJNSA_16discard_iteratorINSA_11use_defaultEEESF_EEENSH_IJSG_SG_EEES6_PlJ7is_evenIsEEEE10hipError_tPvRmT3_T4_T5_T6_T7_T9_mT8_P12ihipStream_tbDpT10_ENKUlT_T0_E_clISt17integral_constantIbLb1EES19_EEDaS14_S15_EUlS14_E_NS1_11comp_targetILNS1_3genE5ELNS1_11target_archE942ELNS1_3gpuE9ELNS1_3repE0EEENS1_30default_config_static_selectorELNS0_4arch9wavefront6targetE1EEEvT1_,@function
_ZN7rocprim17ROCPRIM_400000_NS6detail17trampoline_kernelINS0_14default_configENS1_25partition_config_selectorILNS1_17partition_subalgoE0EsNS0_10empty_typeEbEEZZNS1_14partition_implILS5_0ELb0ES3_jN6thrust23THRUST_200600_302600_NS6detail15normal_iteratorINSA_10device_ptrIsEEEEPS6_SG_NS0_5tupleIJNSA_16discard_iteratorINSA_11use_defaultEEESF_EEENSH_IJSG_SG_EEES6_PlJ7is_evenIsEEEE10hipError_tPvRmT3_T4_T5_T6_T7_T9_mT8_P12ihipStream_tbDpT10_ENKUlT_T0_E_clISt17integral_constantIbLb1EES19_EEDaS14_S15_EUlS14_E_NS1_11comp_targetILNS1_3genE5ELNS1_11target_archE942ELNS1_3gpuE9ELNS1_3repE0EEENS1_30default_config_static_selectorELNS0_4arch9wavefront6targetE1EEEvT1_: ; @_ZN7rocprim17ROCPRIM_400000_NS6detail17trampoline_kernelINS0_14default_configENS1_25partition_config_selectorILNS1_17partition_subalgoE0EsNS0_10empty_typeEbEEZZNS1_14partition_implILS5_0ELb0ES3_jN6thrust23THRUST_200600_302600_NS6detail15normal_iteratorINSA_10device_ptrIsEEEEPS6_SG_NS0_5tupleIJNSA_16discard_iteratorINSA_11use_defaultEEESF_EEENSH_IJSG_SG_EEES6_PlJ7is_evenIsEEEE10hipError_tPvRmT3_T4_T5_T6_T7_T9_mT8_P12ihipStream_tbDpT10_ENKUlT_T0_E_clISt17integral_constantIbLb1EES19_EEDaS14_S15_EUlS14_E_NS1_11comp_targetILNS1_3genE5ELNS1_11target_archE942ELNS1_3gpuE9ELNS1_3repE0EEENS1_30default_config_static_selectorELNS0_4arch9wavefront6targetE1EEEvT1_
; %bb.0:
	.section	.rodata,"a",@progbits
	.p2align	6, 0x0
	.amdhsa_kernel _ZN7rocprim17ROCPRIM_400000_NS6detail17trampoline_kernelINS0_14default_configENS1_25partition_config_selectorILNS1_17partition_subalgoE0EsNS0_10empty_typeEbEEZZNS1_14partition_implILS5_0ELb0ES3_jN6thrust23THRUST_200600_302600_NS6detail15normal_iteratorINSA_10device_ptrIsEEEEPS6_SG_NS0_5tupleIJNSA_16discard_iteratorINSA_11use_defaultEEESF_EEENSH_IJSG_SG_EEES6_PlJ7is_evenIsEEEE10hipError_tPvRmT3_T4_T5_T6_T7_T9_mT8_P12ihipStream_tbDpT10_ENKUlT_T0_E_clISt17integral_constantIbLb1EES19_EEDaS14_S15_EUlS14_E_NS1_11comp_targetILNS1_3genE5ELNS1_11target_archE942ELNS1_3gpuE9ELNS1_3repE0EEENS1_30default_config_static_selectorELNS0_4arch9wavefront6targetE1EEEvT1_
		.amdhsa_group_segment_fixed_size 0
		.amdhsa_private_segment_fixed_size 0
		.amdhsa_kernarg_size 144
		.amdhsa_user_sgpr_count 6
		.amdhsa_user_sgpr_private_segment_buffer 1
		.amdhsa_user_sgpr_dispatch_ptr 0
		.amdhsa_user_sgpr_queue_ptr 0
		.amdhsa_user_sgpr_kernarg_segment_ptr 1
		.amdhsa_user_sgpr_dispatch_id 0
		.amdhsa_user_sgpr_flat_scratch_init 0
		.amdhsa_user_sgpr_kernarg_preload_length 0
		.amdhsa_user_sgpr_kernarg_preload_offset 0
		.amdhsa_user_sgpr_private_segment_size 0
		.amdhsa_uses_dynamic_stack 0
		.amdhsa_system_sgpr_private_segment_wavefront_offset 0
		.amdhsa_system_sgpr_workgroup_id_x 1
		.amdhsa_system_sgpr_workgroup_id_y 0
		.amdhsa_system_sgpr_workgroup_id_z 0
		.amdhsa_system_sgpr_workgroup_info 0
		.amdhsa_system_vgpr_workitem_id 0
		.amdhsa_next_free_vgpr 1
		.amdhsa_next_free_sgpr 0
		.amdhsa_accum_offset 4
		.amdhsa_reserve_vcc 0
		.amdhsa_reserve_flat_scratch 0
		.amdhsa_float_round_mode_32 0
		.amdhsa_float_round_mode_16_64 0
		.amdhsa_float_denorm_mode_32 3
		.amdhsa_float_denorm_mode_16_64 3
		.amdhsa_dx10_clamp 1
		.amdhsa_ieee_mode 1
		.amdhsa_fp16_overflow 0
		.amdhsa_tg_split 0
		.amdhsa_exception_fp_ieee_invalid_op 0
		.amdhsa_exception_fp_denorm_src 0
		.amdhsa_exception_fp_ieee_div_zero 0
		.amdhsa_exception_fp_ieee_overflow 0
		.amdhsa_exception_fp_ieee_underflow 0
		.amdhsa_exception_fp_ieee_inexact 0
		.amdhsa_exception_int_div_zero 0
	.end_amdhsa_kernel
	.section	.text._ZN7rocprim17ROCPRIM_400000_NS6detail17trampoline_kernelINS0_14default_configENS1_25partition_config_selectorILNS1_17partition_subalgoE0EsNS0_10empty_typeEbEEZZNS1_14partition_implILS5_0ELb0ES3_jN6thrust23THRUST_200600_302600_NS6detail15normal_iteratorINSA_10device_ptrIsEEEEPS6_SG_NS0_5tupleIJNSA_16discard_iteratorINSA_11use_defaultEEESF_EEENSH_IJSG_SG_EEES6_PlJ7is_evenIsEEEE10hipError_tPvRmT3_T4_T5_T6_T7_T9_mT8_P12ihipStream_tbDpT10_ENKUlT_T0_E_clISt17integral_constantIbLb1EES19_EEDaS14_S15_EUlS14_E_NS1_11comp_targetILNS1_3genE5ELNS1_11target_archE942ELNS1_3gpuE9ELNS1_3repE0EEENS1_30default_config_static_selectorELNS0_4arch9wavefront6targetE1EEEvT1_,"axG",@progbits,_ZN7rocprim17ROCPRIM_400000_NS6detail17trampoline_kernelINS0_14default_configENS1_25partition_config_selectorILNS1_17partition_subalgoE0EsNS0_10empty_typeEbEEZZNS1_14partition_implILS5_0ELb0ES3_jN6thrust23THRUST_200600_302600_NS6detail15normal_iteratorINSA_10device_ptrIsEEEEPS6_SG_NS0_5tupleIJNSA_16discard_iteratorINSA_11use_defaultEEESF_EEENSH_IJSG_SG_EEES6_PlJ7is_evenIsEEEE10hipError_tPvRmT3_T4_T5_T6_T7_T9_mT8_P12ihipStream_tbDpT10_ENKUlT_T0_E_clISt17integral_constantIbLb1EES19_EEDaS14_S15_EUlS14_E_NS1_11comp_targetILNS1_3genE5ELNS1_11target_archE942ELNS1_3gpuE9ELNS1_3repE0EEENS1_30default_config_static_selectorELNS0_4arch9wavefront6targetE1EEEvT1_,comdat
.Lfunc_end2852:
	.size	_ZN7rocprim17ROCPRIM_400000_NS6detail17trampoline_kernelINS0_14default_configENS1_25partition_config_selectorILNS1_17partition_subalgoE0EsNS0_10empty_typeEbEEZZNS1_14partition_implILS5_0ELb0ES3_jN6thrust23THRUST_200600_302600_NS6detail15normal_iteratorINSA_10device_ptrIsEEEEPS6_SG_NS0_5tupleIJNSA_16discard_iteratorINSA_11use_defaultEEESF_EEENSH_IJSG_SG_EEES6_PlJ7is_evenIsEEEE10hipError_tPvRmT3_T4_T5_T6_T7_T9_mT8_P12ihipStream_tbDpT10_ENKUlT_T0_E_clISt17integral_constantIbLb1EES19_EEDaS14_S15_EUlS14_E_NS1_11comp_targetILNS1_3genE5ELNS1_11target_archE942ELNS1_3gpuE9ELNS1_3repE0EEENS1_30default_config_static_selectorELNS0_4arch9wavefront6targetE1EEEvT1_, .Lfunc_end2852-_ZN7rocprim17ROCPRIM_400000_NS6detail17trampoline_kernelINS0_14default_configENS1_25partition_config_selectorILNS1_17partition_subalgoE0EsNS0_10empty_typeEbEEZZNS1_14partition_implILS5_0ELb0ES3_jN6thrust23THRUST_200600_302600_NS6detail15normal_iteratorINSA_10device_ptrIsEEEEPS6_SG_NS0_5tupleIJNSA_16discard_iteratorINSA_11use_defaultEEESF_EEENSH_IJSG_SG_EEES6_PlJ7is_evenIsEEEE10hipError_tPvRmT3_T4_T5_T6_T7_T9_mT8_P12ihipStream_tbDpT10_ENKUlT_T0_E_clISt17integral_constantIbLb1EES19_EEDaS14_S15_EUlS14_E_NS1_11comp_targetILNS1_3genE5ELNS1_11target_archE942ELNS1_3gpuE9ELNS1_3repE0EEENS1_30default_config_static_selectorELNS0_4arch9wavefront6targetE1EEEvT1_
                                        ; -- End function
	.section	.AMDGPU.csdata,"",@progbits
; Kernel info:
; codeLenInByte = 0
; NumSgprs: 4
; NumVgprs: 0
; NumAgprs: 0
; TotalNumVgprs: 0
; ScratchSize: 0
; MemoryBound: 0
; FloatMode: 240
; IeeeMode: 1
; LDSByteSize: 0 bytes/workgroup (compile time only)
; SGPRBlocks: 0
; VGPRBlocks: 0
; NumSGPRsForWavesPerEU: 4
; NumVGPRsForWavesPerEU: 1
; AccumOffset: 4
; Occupancy: 8
; WaveLimiterHint : 0
; COMPUTE_PGM_RSRC2:SCRATCH_EN: 0
; COMPUTE_PGM_RSRC2:USER_SGPR: 6
; COMPUTE_PGM_RSRC2:TRAP_HANDLER: 0
; COMPUTE_PGM_RSRC2:TGID_X_EN: 1
; COMPUTE_PGM_RSRC2:TGID_Y_EN: 0
; COMPUTE_PGM_RSRC2:TGID_Z_EN: 0
; COMPUTE_PGM_RSRC2:TIDIG_COMP_CNT: 0
; COMPUTE_PGM_RSRC3_GFX90A:ACCUM_OFFSET: 0
; COMPUTE_PGM_RSRC3_GFX90A:TG_SPLIT: 0
	.section	.text._ZN7rocprim17ROCPRIM_400000_NS6detail17trampoline_kernelINS0_14default_configENS1_25partition_config_selectorILNS1_17partition_subalgoE0EsNS0_10empty_typeEbEEZZNS1_14partition_implILS5_0ELb0ES3_jN6thrust23THRUST_200600_302600_NS6detail15normal_iteratorINSA_10device_ptrIsEEEEPS6_SG_NS0_5tupleIJNSA_16discard_iteratorINSA_11use_defaultEEESF_EEENSH_IJSG_SG_EEES6_PlJ7is_evenIsEEEE10hipError_tPvRmT3_T4_T5_T6_T7_T9_mT8_P12ihipStream_tbDpT10_ENKUlT_T0_E_clISt17integral_constantIbLb1EES19_EEDaS14_S15_EUlS14_E_NS1_11comp_targetILNS1_3genE4ELNS1_11target_archE910ELNS1_3gpuE8ELNS1_3repE0EEENS1_30default_config_static_selectorELNS0_4arch9wavefront6targetE1EEEvT1_,"axG",@progbits,_ZN7rocprim17ROCPRIM_400000_NS6detail17trampoline_kernelINS0_14default_configENS1_25partition_config_selectorILNS1_17partition_subalgoE0EsNS0_10empty_typeEbEEZZNS1_14partition_implILS5_0ELb0ES3_jN6thrust23THRUST_200600_302600_NS6detail15normal_iteratorINSA_10device_ptrIsEEEEPS6_SG_NS0_5tupleIJNSA_16discard_iteratorINSA_11use_defaultEEESF_EEENSH_IJSG_SG_EEES6_PlJ7is_evenIsEEEE10hipError_tPvRmT3_T4_T5_T6_T7_T9_mT8_P12ihipStream_tbDpT10_ENKUlT_T0_E_clISt17integral_constantIbLb1EES19_EEDaS14_S15_EUlS14_E_NS1_11comp_targetILNS1_3genE4ELNS1_11target_archE910ELNS1_3gpuE8ELNS1_3repE0EEENS1_30default_config_static_selectorELNS0_4arch9wavefront6targetE1EEEvT1_,comdat
	.protected	_ZN7rocprim17ROCPRIM_400000_NS6detail17trampoline_kernelINS0_14default_configENS1_25partition_config_selectorILNS1_17partition_subalgoE0EsNS0_10empty_typeEbEEZZNS1_14partition_implILS5_0ELb0ES3_jN6thrust23THRUST_200600_302600_NS6detail15normal_iteratorINSA_10device_ptrIsEEEEPS6_SG_NS0_5tupleIJNSA_16discard_iteratorINSA_11use_defaultEEESF_EEENSH_IJSG_SG_EEES6_PlJ7is_evenIsEEEE10hipError_tPvRmT3_T4_T5_T6_T7_T9_mT8_P12ihipStream_tbDpT10_ENKUlT_T0_E_clISt17integral_constantIbLb1EES19_EEDaS14_S15_EUlS14_E_NS1_11comp_targetILNS1_3genE4ELNS1_11target_archE910ELNS1_3gpuE8ELNS1_3repE0EEENS1_30default_config_static_selectorELNS0_4arch9wavefront6targetE1EEEvT1_ ; -- Begin function _ZN7rocprim17ROCPRIM_400000_NS6detail17trampoline_kernelINS0_14default_configENS1_25partition_config_selectorILNS1_17partition_subalgoE0EsNS0_10empty_typeEbEEZZNS1_14partition_implILS5_0ELb0ES3_jN6thrust23THRUST_200600_302600_NS6detail15normal_iteratorINSA_10device_ptrIsEEEEPS6_SG_NS0_5tupleIJNSA_16discard_iteratorINSA_11use_defaultEEESF_EEENSH_IJSG_SG_EEES6_PlJ7is_evenIsEEEE10hipError_tPvRmT3_T4_T5_T6_T7_T9_mT8_P12ihipStream_tbDpT10_ENKUlT_T0_E_clISt17integral_constantIbLb1EES19_EEDaS14_S15_EUlS14_E_NS1_11comp_targetILNS1_3genE4ELNS1_11target_archE910ELNS1_3gpuE8ELNS1_3repE0EEENS1_30default_config_static_selectorELNS0_4arch9wavefront6targetE1EEEvT1_
	.globl	_ZN7rocprim17ROCPRIM_400000_NS6detail17trampoline_kernelINS0_14default_configENS1_25partition_config_selectorILNS1_17partition_subalgoE0EsNS0_10empty_typeEbEEZZNS1_14partition_implILS5_0ELb0ES3_jN6thrust23THRUST_200600_302600_NS6detail15normal_iteratorINSA_10device_ptrIsEEEEPS6_SG_NS0_5tupleIJNSA_16discard_iteratorINSA_11use_defaultEEESF_EEENSH_IJSG_SG_EEES6_PlJ7is_evenIsEEEE10hipError_tPvRmT3_T4_T5_T6_T7_T9_mT8_P12ihipStream_tbDpT10_ENKUlT_T0_E_clISt17integral_constantIbLb1EES19_EEDaS14_S15_EUlS14_E_NS1_11comp_targetILNS1_3genE4ELNS1_11target_archE910ELNS1_3gpuE8ELNS1_3repE0EEENS1_30default_config_static_selectorELNS0_4arch9wavefront6targetE1EEEvT1_
	.p2align	8
	.type	_ZN7rocprim17ROCPRIM_400000_NS6detail17trampoline_kernelINS0_14default_configENS1_25partition_config_selectorILNS1_17partition_subalgoE0EsNS0_10empty_typeEbEEZZNS1_14partition_implILS5_0ELb0ES3_jN6thrust23THRUST_200600_302600_NS6detail15normal_iteratorINSA_10device_ptrIsEEEEPS6_SG_NS0_5tupleIJNSA_16discard_iteratorINSA_11use_defaultEEESF_EEENSH_IJSG_SG_EEES6_PlJ7is_evenIsEEEE10hipError_tPvRmT3_T4_T5_T6_T7_T9_mT8_P12ihipStream_tbDpT10_ENKUlT_T0_E_clISt17integral_constantIbLb1EES19_EEDaS14_S15_EUlS14_E_NS1_11comp_targetILNS1_3genE4ELNS1_11target_archE910ELNS1_3gpuE8ELNS1_3repE0EEENS1_30default_config_static_selectorELNS0_4arch9wavefront6targetE1EEEvT1_,@function
_ZN7rocprim17ROCPRIM_400000_NS6detail17trampoline_kernelINS0_14default_configENS1_25partition_config_selectorILNS1_17partition_subalgoE0EsNS0_10empty_typeEbEEZZNS1_14partition_implILS5_0ELb0ES3_jN6thrust23THRUST_200600_302600_NS6detail15normal_iteratorINSA_10device_ptrIsEEEEPS6_SG_NS0_5tupleIJNSA_16discard_iteratorINSA_11use_defaultEEESF_EEENSH_IJSG_SG_EEES6_PlJ7is_evenIsEEEE10hipError_tPvRmT3_T4_T5_T6_T7_T9_mT8_P12ihipStream_tbDpT10_ENKUlT_T0_E_clISt17integral_constantIbLb1EES19_EEDaS14_S15_EUlS14_E_NS1_11comp_targetILNS1_3genE4ELNS1_11target_archE910ELNS1_3gpuE8ELNS1_3repE0EEENS1_30default_config_static_selectorELNS0_4arch9wavefront6targetE1EEEvT1_: ; @_ZN7rocprim17ROCPRIM_400000_NS6detail17trampoline_kernelINS0_14default_configENS1_25partition_config_selectorILNS1_17partition_subalgoE0EsNS0_10empty_typeEbEEZZNS1_14partition_implILS5_0ELb0ES3_jN6thrust23THRUST_200600_302600_NS6detail15normal_iteratorINSA_10device_ptrIsEEEEPS6_SG_NS0_5tupleIJNSA_16discard_iteratorINSA_11use_defaultEEESF_EEENSH_IJSG_SG_EEES6_PlJ7is_evenIsEEEE10hipError_tPvRmT3_T4_T5_T6_T7_T9_mT8_P12ihipStream_tbDpT10_ENKUlT_T0_E_clISt17integral_constantIbLb1EES19_EEDaS14_S15_EUlS14_E_NS1_11comp_targetILNS1_3genE4ELNS1_11target_archE910ELNS1_3gpuE8ELNS1_3repE0EEENS1_30default_config_static_selectorELNS0_4arch9wavefront6targetE1EEEvT1_
; %bb.0:
	s_load_dwordx2 s[28:29], s[4:5], 0x38
	s_load_dwordx4 s[20:23], s[4:5], 0x50
	s_load_dwordx2 s[2:3], s[4:5], 0x60
	s_load_dwordx2 s[30:31], s[4:5], 0x70
	v_cmp_eq_u32_e64 s[0:1], 0, v0
	s_and_saveexec_b64 s[6:7], s[0:1]
	s_cbranch_execz .LBB2853_4
; %bb.1:
	s_mov_b64 s[10:11], exec
	v_mbcnt_lo_u32_b32 v1, s10, 0
	v_mbcnt_hi_u32_b32 v1, s11, v1
	v_cmp_eq_u32_e32 vcc, 0, v1
                                        ; implicit-def: $vgpr2
	s_and_saveexec_b64 s[8:9], vcc
	s_cbranch_execz .LBB2853_3
; %bb.2:
	s_load_dwordx2 s[12:13], s[4:5], 0x80
	s_bcnt1_i32_b64 s10, s[10:11]
	v_mov_b32_e32 v2, 0
	v_mov_b32_e32 v3, s10
	s_waitcnt lgkmcnt(0)
	global_atomic_add v2, v2, v3, s[12:13] glc
.LBB2853_3:
	s_or_b64 exec, exec, s[8:9]
	s_waitcnt vmcnt(0)
	v_readfirstlane_b32 s8, v2
	v_add_u32_e32 v1, s8, v1
	v_mov_b32_e32 v2, 0
	ds_write_b32 v2, v1
.LBB2853_4:
	s_or_b64 exec, exec, s[6:7]
	v_mov_b32_e32 v3, 0
	s_load_dwordx4 s[24:27], s[4:5], 0x8
	s_load_dword s6, s[4:5], 0x78
	s_waitcnt lgkmcnt(0)
	s_barrier
	ds_read_b32 v1, v3
	s_waitcnt lgkmcnt(0)
	s_barrier
	global_load_dwordx2 v[14:15], v3, s[22:23]
	v_mov_b32_e32 v5, s3
	s_lshl_b64 s[4:5], s[26:27], 1
	s_movk_i32 s3, 0x1c00
	s_add_u32 s7, s24, s4
	v_mul_lo_u32 v2, v1, s3
	s_mul_i32 s3, s6, 0x1c00
	s_addc_u32 s8, s25, s5
	s_add_i32 s5, s3, s26
	s_sub_i32 s33, s2, s5
	s_add_i32 s4, s6, -1
	s_addk_i32 s33, 0x1c00
	v_mov_b32_e32 v4, s2
	s_add_u32 s2, s26, s3
	v_readfirstlane_b32 s38, v1
	s_addc_u32 s3, s27, 0
	s_cmp_eq_u32 s38, s4
	s_cselect_b64 s[22:23], -1, 0
	s_cmp_lg_u32 s38, s4
	v_cmp_lt_u64_e32 vcc, s[2:3], v[4:5]
	s_cselect_b64 s[2:3], -1, 0
	v_lshlrev_b64 v[16:17], 1, v[2:3]
	s_or_b64 s[4:5], vcc, s[2:3]
	v_mov_b32_e32 v2, s8
	v_add_co_u32_e32 v1, vcc, s7, v16
	v_addc_co_u32_e32 v2, vcc, v2, v17, vcc
	s_mov_b64 s[2:3], -1
	s_and_b64 vcc, exec, s[4:5]
	v_lshlrev_b32_e32 v30, 1, v0
	s_cbranch_vccz .LBB2853_6
; %bb.5:
	v_add_co_u32_e32 v4, vcc, v1, v30
	v_addc_co_u32_e32 v5, vcc, 0, v2, vcc
	v_add_co_u32_e32 v6, vcc, 0x1000, v4
	v_addc_co_u32_e32 v7, vcc, 0, v5, vcc
	flat_load_ushort v3, v[4:5]
	flat_load_ushort v8, v[4:5] offset:512
	flat_load_ushort v9, v[4:5] offset:1024
	;; [unrolled: 1-line block ×7, first 2 shown]
	flat_load_ushort v19, v[6:7]
	flat_load_ushort v20, v[6:7] offset:512
	flat_load_ushort v21, v[6:7] offset:1024
	;; [unrolled: 1-line block ×7, first 2 shown]
	v_add_co_u32_e32 v6, vcc, 0x2000, v4
	v_addc_co_u32_e32 v7, vcc, 0, v5, vcc
	v_add_co_u32_e32 v4, vcc, 0x3000, v4
	v_addc_co_u32_e32 v5, vcc, 0, v5, vcc
	flat_load_ushort v27, v[6:7]
	flat_load_ushort v28, v[6:7] offset:512
	flat_load_ushort v29, v[6:7] offset:1024
	;; [unrolled: 1-line block ×7, first 2 shown]
	s_nop 0
	flat_load_ushort v6, v[4:5]
	flat_load_ushort v7, v[4:5] offset:512
	flat_load_ushort v36, v[4:5] offset:1024
	;; [unrolled: 1-line block ×3, first 2 shown]
	s_mov_b64 s[2:3], 0
	s_waitcnt vmcnt(0) lgkmcnt(0)
	ds_write_b16 v30, v3
	ds_write_b16 v30, v8 offset:512
	ds_write_b16 v30, v9 offset:1024
	;; [unrolled: 1-line block ×27, first 2 shown]
	s_waitcnt lgkmcnt(0)
	s_barrier
.LBB2853_6:
	s_andn2_b64 vcc, exec, s[2:3]
	v_cmp_gt_u32_e64 s[2:3], s33, v0
	s_cbranch_vccnz .LBB2853_64
; %bb.7:
                                        ; implicit-def: $vgpr3
	s_and_saveexec_b64 s[6:7], s[2:3]
	s_cbranch_execz .LBB2853_9
; %bb.8:
	v_add_co_u32_e32 v4, vcc, v1, v30
	v_addc_co_u32_e32 v5, vcc, 0, v2, vcc
	flat_load_ushort v3, v[4:5]
.LBB2853_9:
	s_or_b64 exec, exec, s[6:7]
	v_or_b32_e32 v4, 0x100, v0
	v_cmp_gt_u32_e32 vcc, s33, v4
                                        ; implicit-def: $vgpr4
	s_and_saveexec_b64 s[2:3], vcc
	s_cbranch_execz .LBB2853_11
; %bb.10:
	v_add_co_u32_e32 v4, vcc, v1, v30
	v_addc_co_u32_e32 v5, vcc, 0, v2, vcc
	flat_load_ushort v4, v[4:5] offset:512
.LBB2853_11:
	s_or_b64 exec, exec, s[2:3]
	v_or_b32_e32 v5, 0x200, v0
	v_cmp_gt_u32_e32 vcc, s33, v5
                                        ; implicit-def: $vgpr5
	s_and_saveexec_b64 s[2:3], vcc
	s_cbranch_execz .LBB2853_13
; %bb.12:
	v_add_co_u32_e32 v6, vcc, v1, v30
	v_addc_co_u32_e32 v7, vcc, 0, v2, vcc
	flat_load_ushort v5, v[6:7] offset:1024
.LBB2853_13:
	s_or_b64 exec, exec, s[2:3]
	v_or_b32_e32 v6, 0x300, v0
	v_cmp_gt_u32_e32 vcc, s33, v6
                                        ; implicit-def: $vgpr6
	s_and_saveexec_b64 s[2:3], vcc
	s_cbranch_execz .LBB2853_15
; %bb.14:
	v_add_co_u32_e32 v6, vcc, v1, v30
	v_addc_co_u32_e32 v7, vcc, 0, v2, vcc
	flat_load_ushort v6, v[6:7] offset:1536
.LBB2853_15:
	s_or_b64 exec, exec, s[2:3]
	v_or_b32_e32 v7, 0x400, v0
	v_cmp_gt_u32_e32 vcc, s33, v7
                                        ; implicit-def: $vgpr7
	s_and_saveexec_b64 s[2:3], vcc
	s_cbranch_execz .LBB2853_17
; %bb.16:
	v_add_co_u32_e32 v8, vcc, v1, v30
	v_addc_co_u32_e32 v9, vcc, 0, v2, vcc
	flat_load_ushort v7, v[8:9] offset:2048
.LBB2853_17:
	s_or_b64 exec, exec, s[2:3]
	v_or_b32_e32 v8, 0x500, v0
	v_cmp_gt_u32_e32 vcc, s33, v8
                                        ; implicit-def: $vgpr8
	s_and_saveexec_b64 s[2:3], vcc
	s_cbranch_execz .LBB2853_19
; %bb.18:
	v_add_co_u32_e32 v8, vcc, v1, v30
	v_addc_co_u32_e32 v9, vcc, 0, v2, vcc
	flat_load_ushort v8, v[8:9] offset:2560
.LBB2853_19:
	s_or_b64 exec, exec, s[2:3]
	v_or_b32_e32 v9, 0x600, v0
	v_cmp_gt_u32_e32 vcc, s33, v9
                                        ; implicit-def: $vgpr9
	s_and_saveexec_b64 s[2:3], vcc
	s_cbranch_execz .LBB2853_21
; %bb.20:
	v_add_co_u32_e32 v10, vcc, v1, v30
	v_addc_co_u32_e32 v11, vcc, 0, v2, vcc
	flat_load_ushort v9, v[10:11] offset:3072
.LBB2853_21:
	s_or_b64 exec, exec, s[2:3]
	v_or_b32_e32 v10, 0x700, v0
	v_cmp_gt_u32_e32 vcc, s33, v10
                                        ; implicit-def: $vgpr10
	s_and_saveexec_b64 s[2:3], vcc
	s_cbranch_execz .LBB2853_23
; %bb.22:
	v_add_co_u32_e32 v10, vcc, v1, v30
	v_addc_co_u32_e32 v11, vcc, 0, v2, vcc
	flat_load_ushort v10, v[10:11] offset:3584
.LBB2853_23:
	s_or_b64 exec, exec, s[2:3]
	v_or_b32_e32 v12, 0x800, v0
	v_cmp_gt_u32_e32 vcc, s33, v12
                                        ; implicit-def: $vgpr11
	s_and_saveexec_b64 s[2:3], vcc
	s_cbranch_execz .LBB2853_25
; %bb.24:
	v_lshlrev_b32_e32 v11, 1, v12
	v_add_co_u32_e32 v12, vcc, v1, v11
	v_addc_co_u32_e32 v13, vcc, 0, v2, vcc
	flat_load_ushort v11, v[12:13]
.LBB2853_25:
	s_or_b64 exec, exec, s[2:3]
	v_or_b32_e32 v13, 0x900, v0
	v_cmp_gt_u32_e32 vcc, s33, v13
                                        ; implicit-def: $vgpr12
	s_and_saveexec_b64 s[2:3], vcc
	s_cbranch_execz .LBB2853_27
; %bb.26:
	v_lshlrev_b32_e32 v12, 1, v13
	v_add_co_u32_e32 v12, vcc, v1, v12
	v_addc_co_u32_e32 v13, vcc, 0, v2, vcc
	flat_load_ushort v12, v[12:13]
.LBB2853_27:
	s_or_b64 exec, exec, s[2:3]
	v_or_b32_e32 v18, 0xa00, v0
	v_cmp_gt_u32_e32 vcc, s33, v18
                                        ; implicit-def: $vgpr13
	s_and_saveexec_b64 s[2:3], vcc
	s_cbranch_execz .LBB2853_29
; %bb.28:
	v_lshlrev_b32_e32 v13, 1, v18
	v_add_co_u32_e32 v18, vcc, v1, v13
	v_addc_co_u32_e32 v19, vcc, 0, v2, vcc
	flat_load_ushort v13, v[18:19]
.LBB2853_29:
	s_or_b64 exec, exec, s[2:3]
	v_or_b32_e32 v19, 0xb00, v0
	v_cmp_gt_u32_e32 vcc, s33, v19
                                        ; implicit-def: $vgpr18
	s_and_saveexec_b64 s[2:3], vcc
	s_cbranch_execz .LBB2853_31
; %bb.30:
	v_lshlrev_b32_e32 v18, 1, v19
	v_add_co_u32_e32 v18, vcc, v1, v18
	v_addc_co_u32_e32 v19, vcc, 0, v2, vcc
	flat_load_ushort v18, v[18:19]
.LBB2853_31:
	s_or_b64 exec, exec, s[2:3]
	v_or_b32_e32 v20, 0xc00, v0
	v_cmp_gt_u32_e32 vcc, s33, v20
                                        ; implicit-def: $vgpr19
	s_and_saveexec_b64 s[2:3], vcc
	s_cbranch_execz .LBB2853_33
; %bb.32:
	v_lshlrev_b32_e32 v19, 1, v20
	v_add_co_u32_e32 v20, vcc, v1, v19
	v_addc_co_u32_e32 v21, vcc, 0, v2, vcc
	flat_load_ushort v19, v[20:21]
.LBB2853_33:
	s_or_b64 exec, exec, s[2:3]
	v_or_b32_e32 v21, 0xd00, v0
	v_cmp_gt_u32_e32 vcc, s33, v21
                                        ; implicit-def: $vgpr20
	s_and_saveexec_b64 s[2:3], vcc
	s_cbranch_execz .LBB2853_35
; %bb.34:
	v_lshlrev_b32_e32 v20, 1, v21
	v_add_co_u32_e32 v20, vcc, v1, v20
	v_addc_co_u32_e32 v21, vcc, 0, v2, vcc
	flat_load_ushort v20, v[20:21]
.LBB2853_35:
	s_or_b64 exec, exec, s[2:3]
	v_or_b32_e32 v22, 0xe00, v0
	v_cmp_gt_u32_e32 vcc, s33, v22
                                        ; implicit-def: $vgpr21
	s_and_saveexec_b64 s[2:3], vcc
	s_cbranch_execz .LBB2853_37
; %bb.36:
	v_lshlrev_b32_e32 v21, 1, v22
	v_add_co_u32_e32 v22, vcc, v1, v21
	v_addc_co_u32_e32 v23, vcc, 0, v2, vcc
	flat_load_ushort v21, v[22:23]
.LBB2853_37:
	s_or_b64 exec, exec, s[2:3]
	v_or_b32_e32 v23, 0xf00, v0
	v_cmp_gt_u32_e32 vcc, s33, v23
                                        ; implicit-def: $vgpr22
	s_and_saveexec_b64 s[2:3], vcc
	s_cbranch_execz .LBB2853_39
; %bb.38:
	v_lshlrev_b32_e32 v22, 1, v23
	v_add_co_u32_e32 v22, vcc, v1, v22
	v_addc_co_u32_e32 v23, vcc, 0, v2, vcc
	flat_load_ushort v22, v[22:23]
.LBB2853_39:
	s_or_b64 exec, exec, s[2:3]
	v_or_b32_e32 v24, 0x1000, v0
	v_cmp_gt_u32_e32 vcc, s33, v24
                                        ; implicit-def: $vgpr23
	s_and_saveexec_b64 s[2:3], vcc
	s_cbranch_execz .LBB2853_41
; %bb.40:
	v_lshlrev_b32_e32 v23, 1, v24
	v_add_co_u32_e32 v24, vcc, v1, v23
	v_addc_co_u32_e32 v25, vcc, 0, v2, vcc
	flat_load_ushort v23, v[24:25]
.LBB2853_41:
	s_or_b64 exec, exec, s[2:3]
	v_or_b32_e32 v25, 0x1100, v0
	v_cmp_gt_u32_e32 vcc, s33, v25
                                        ; implicit-def: $vgpr24
	s_and_saveexec_b64 s[2:3], vcc
	s_cbranch_execz .LBB2853_43
; %bb.42:
	v_lshlrev_b32_e32 v24, 1, v25
	v_add_co_u32_e32 v24, vcc, v1, v24
	v_addc_co_u32_e32 v25, vcc, 0, v2, vcc
	flat_load_ushort v24, v[24:25]
.LBB2853_43:
	s_or_b64 exec, exec, s[2:3]
	v_or_b32_e32 v26, 0x1200, v0
	v_cmp_gt_u32_e32 vcc, s33, v26
                                        ; implicit-def: $vgpr25
	s_and_saveexec_b64 s[2:3], vcc
	s_cbranch_execz .LBB2853_45
; %bb.44:
	v_lshlrev_b32_e32 v25, 1, v26
	v_add_co_u32_e32 v26, vcc, v1, v25
	v_addc_co_u32_e32 v27, vcc, 0, v2, vcc
	flat_load_ushort v25, v[26:27]
.LBB2853_45:
	s_or_b64 exec, exec, s[2:3]
	v_or_b32_e32 v27, 0x1300, v0
	v_cmp_gt_u32_e32 vcc, s33, v27
                                        ; implicit-def: $vgpr26
	s_and_saveexec_b64 s[2:3], vcc
	s_cbranch_execz .LBB2853_47
; %bb.46:
	v_lshlrev_b32_e32 v26, 1, v27
	v_add_co_u32_e32 v26, vcc, v1, v26
	v_addc_co_u32_e32 v27, vcc, 0, v2, vcc
	flat_load_ushort v26, v[26:27]
.LBB2853_47:
	s_or_b64 exec, exec, s[2:3]
	v_or_b32_e32 v28, 0x1400, v0
	v_cmp_gt_u32_e32 vcc, s33, v28
                                        ; implicit-def: $vgpr27
	s_and_saveexec_b64 s[2:3], vcc
	s_cbranch_execz .LBB2853_49
; %bb.48:
	v_lshlrev_b32_e32 v27, 1, v28
	v_add_co_u32_e32 v28, vcc, v1, v27
	v_addc_co_u32_e32 v29, vcc, 0, v2, vcc
	flat_load_ushort v27, v[28:29]
.LBB2853_49:
	s_or_b64 exec, exec, s[2:3]
	v_or_b32_e32 v29, 0x1500, v0
	v_cmp_gt_u32_e32 vcc, s33, v29
                                        ; implicit-def: $vgpr28
	s_and_saveexec_b64 s[2:3], vcc
	s_cbranch_execz .LBB2853_51
; %bb.50:
	v_lshlrev_b32_e32 v28, 1, v29
	v_add_co_u32_e32 v28, vcc, v1, v28
	v_addc_co_u32_e32 v29, vcc, 0, v2, vcc
	flat_load_ushort v28, v[28:29]
.LBB2853_51:
	s_or_b64 exec, exec, s[2:3]
	v_or_b32_e32 v31, 0x1600, v0
	v_cmp_gt_u32_e32 vcc, s33, v31
                                        ; implicit-def: $vgpr29
	s_and_saveexec_b64 s[2:3], vcc
	s_cbranch_execz .LBB2853_53
; %bb.52:
	v_lshlrev_b32_e32 v29, 1, v31
	v_add_co_u32_e32 v32, vcc, v1, v29
	v_addc_co_u32_e32 v33, vcc, 0, v2, vcc
	flat_load_ushort v29, v[32:33]
.LBB2853_53:
	s_or_b64 exec, exec, s[2:3]
	v_or_b32_e32 v32, 0x1700, v0
	v_cmp_gt_u32_e32 vcc, s33, v32
                                        ; implicit-def: $vgpr31
	s_and_saveexec_b64 s[2:3], vcc
	s_cbranch_execz .LBB2853_55
; %bb.54:
	v_lshlrev_b32_e32 v31, 1, v32
	v_add_co_u32_e32 v32, vcc, v1, v31
	v_addc_co_u32_e32 v33, vcc, 0, v2, vcc
	flat_load_ushort v31, v[32:33]
.LBB2853_55:
	s_or_b64 exec, exec, s[2:3]
	v_or_b32_e32 v33, 0x1800, v0
	v_cmp_gt_u32_e32 vcc, s33, v33
                                        ; implicit-def: $vgpr32
	s_and_saveexec_b64 s[2:3], vcc
	s_cbranch_execz .LBB2853_57
; %bb.56:
	v_lshlrev_b32_e32 v32, 1, v33
	v_add_co_u32_e32 v32, vcc, v1, v32
	v_addc_co_u32_e32 v33, vcc, 0, v2, vcc
	flat_load_ushort v32, v[32:33]
.LBB2853_57:
	s_or_b64 exec, exec, s[2:3]
	v_or_b32_e32 v34, 0x1900, v0
	v_cmp_gt_u32_e32 vcc, s33, v34
                                        ; implicit-def: $vgpr33
	s_and_saveexec_b64 s[2:3], vcc
	s_cbranch_execz .LBB2853_59
; %bb.58:
	v_lshlrev_b32_e32 v33, 1, v34
	v_add_co_u32_e32 v34, vcc, v1, v33
	v_addc_co_u32_e32 v35, vcc, 0, v2, vcc
	flat_load_ushort v33, v[34:35]
.LBB2853_59:
	s_or_b64 exec, exec, s[2:3]
	v_or_b32_e32 v35, 0x1a00, v0
	v_cmp_gt_u32_e32 vcc, s33, v35
                                        ; implicit-def: $vgpr34
	s_and_saveexec_b64 s[2:3], vcc
	s_cbranch_execz .LBB2853_61
; %bb.60:
	v_lshlrev_b32_e32 v34, 1, v35
	v_add_co_u32_e32 v34, vcc, v1, v34
	v_addc_co_u32_e32 v35, vcc, 0, v2, vcc
	flat_load_ushort v34, v[34:35]
.LBB2853_61:
	s_or_b64 exec, exec, s[2:3]
	v_or_b32_e32 v36, 0x1b00, v0
	v_cmp_gt_u32_e32 vcc, s33, v36
                                        ; implicit-def: $vgpr35
	s_and_saveexec_b64 s[2:3], vcc
	s_cbranch_execz .LBB2853_63
; %bb.62:
	v_lshlrev_b32_e32 v35, 1, v36
	v_add_co_u32_e32 v36, vcc, v1, v35
	v_addc_co_u32_e32 v37, vcc, 0, v2, vcc
	flat_load_ushort v35, v[36:37]
.LBB2853_63:
	s_or_b64 exec, exec, s[2:3]
	s_waitcnt vmcnt(0) lgkmcnt(0)
	ds_write_b16 v30, v3
	ds_write_b16 v30, v4 offset:512
	ds_write_b16 v30, v5 offset:1024
	;; [unrolled: 1-line block ×27, first 2 shown]
	s_waitcnt lgkmcnt(0)
	s_barrier
.LBB2853_64:
	v_mul_u32_u24_e32 v43, 28, v0
	v_lshlrev_b32_e32 v6, 1, v43
	ds_read_b64 v[20:21], v6 offset:48
	ds_read2_b64 v[2:5], v6 offset0:4 offset1:5
	ds_read2_b64 v[10:13], v6 offset1:1
	ds_read2_b64 v[6:9], v6 offset0:2 offset1:3
	v_cndmask_b32_e64 v18, 0, 1, s[4:5]
	s_waitcnt lgkmcnt(3)
	v_lshrrev_b32_e32 v31, 16, v20
	v_lshrrev_b32_e32 v1, 16, v21
	s_waitcnt lgkmcnt(2)
	v_lshrrev_b32_e32 v35, 16, v2
	v_lshrrev_b32_e32 v34, 16, v3
	v_lshrrev_b32_e32 v33, 16, v4
	v_lshrrev_b32_e32 v32, 16, v5
	s_waitcnt lgkmcnt(1)
	v_lshrrev_b32_e32 v44, 16, v10
	v_lshrrev_b32_e32 v42, 16, v11
	;; [unrolled: 5-line block ×3, first 2 shown]
	v_lshrrev_b32_e32 v37, 16, v8
	v_lshrrev_b32_e32 v36, 16, v9
	v_cmp_ne_u32_e64 s[2:3], 1, v18
	s_andn2_b64 vcc, exec, s[4:5]
	v_xor_b32_e32 v90, -1, v10
	v_xor_b32_e32 v89, -1, v44
	;; [unrolled: 1-line block ×28, first 2 shown]
	s_barrier
	s_cbranch_vccnz .LBB2853_66
; %bb.65:
	v_and_b32_e32 v72, 1, v90
	v_and_b32_e32 v71, 1, v89
	;; [unrolled: 1-line block ×28, first 2 shown]
	s_cbranch_execz .LBB2853_67
	s_branch .LBB2853_68
.LBB2853_66:
                                        ; implicit-def: $vgpr72
                                        ; implicit-def: $vgpr71
                                        ; implicit-def: $vgpr70
                                        ; implicit-def: $vgpr69
                                        ; implicit-def: $vgpr68
                                        ; implicit-def: $vgpr67
                                        ; implicit-def: $vgpr66
                                        ; implicit-def: $vgpr65
                                        ; implicit-def: $vgpr64
                                        ; implicit-def: $vgpr63
                                        ; implicit-def: $vgpr62
                                        ; implicit-def: $vgpr61
                                        ; implicit-def: $vgpr60
                                        ; implicit-def: $vgpr59
                                        ; implicit-def: $vgpr58
                                        ; implicit-def: $vgpr57
                                        ; implicit-def: $vgpr56
                                        ; implicit-def: $vgpr55
                                        ; implicit-def: $vgpr54
                                        ; implicit-def: $vgpr53
                                        ; implicit-def: $vgpr52
                                        ; implicit-def: $vgpr51
                                        ; implicit-def: $vgpr50
                                        ; implicit-def: $vgpr49
                                        ; implicit-def: $vgpr48
                                        ; implicit-def: $vgpr47
                                        ; implicit-def: $vgpr45
                                        ; implicit-def: $vgpr46
.LBB2853_67:
	v_or_b32_e32 v54, 1, v43
	v_cmp_gt_u32_e32 vcc, s33, v43
	v_or_b32_e32 v55, 2, v43
	v_cndmask_b32_e64 v63, 0, 1, vcc
	v_cmp_gt_u32_e32 vcc, s33, v54
	v_or_b32_e32 v56, 3, v43
	v_cndmask_b32_e64 v54, 0, 1, vcc
	v_cmp_gt_u32_e32 vcc, s33, v55
	v_add_u32_e32 v57, 4, v43
	v_and_b32_e32 v71, v54, v89
	v_cndmask_b32_e64 v54, 0, 1, vcc
	v_cmp_gt_u32_e32 vcc, s33, v56
	v_add_u32_e32 v58, 5, v43
	v_and_b32_e32 v70, v54, v88
	;; [unrolled: 4-line block ×9, first 2 shown]
	v_and_b32_e32 v63, v54, v81
	v_cndmask_b32_e64 v54, 0, 1, vcc
	v_cmp_gt_u32_e32 vcc, s33, v92
	v_add_u32_e32 v94, 13, v43
	v_and_b32_e32 v62, v54, v80
	v_cndmask_b32_e64 v54, 0, 1, vcc
	v_cmp_gt_u32_e32 vcc, s33, v93
	v_add_u32_e32 v95, 14, v43
	;; [unrolled: 4-line block ×15, first 2 shown]
	v_and_b32_e32 v48, v24, v23
	v_cndmask_b32_e64 v23, 0, 1, vcc
	v_cmp_gt_u32_e32 vcc, s33, v45
	v_and_b32_e32 v47, v23, v22
	v_cndmask_b32_e64 v22, 0, 1, vcc
	v_cmp_gt_u32_e32 vcc, s33, v46
	v_and_b32_e32 v45, v22, v19
	v_cndmask_b32_e64 v19, 0, 1, vcc
	v_and_b32_e32 v46, v19, v18
.LBB2853_68:
	v_and_b32_e32 v97, 0xff, v48
	v_and_b32_e32 v98, 0xff, v47
	v_add_u32_sdwa v18, v45, v46 dst_sel:DWORD dst_unused:UNUSED_PAD src0_sel:BYTE_0 src1_sel:BYTE_0
	v_and_b32_e32 v95, 0xff, v50
	v_and_b32_e32 v96, 0xff, v49
	v_add3_u32 v18, v18, v98, v97
	v_and_b32_e32 v93, 0xff, v52
	v_and_b32_e32 v94, 0xff, v51
	v_add3_u32 v18, v18, v96, v95
	;; [unrolled: 3-line block ×12, first 2 shown]
	v_add3_u32 v101, v18, v74, v73
	v_mbcnt_lo_u32_b32 v18, -1, 0
	v_mbcnt_hi_u32_b32 v99, -1, v18
	v_and_b32_e32 v18, 15, v99
	v_cmp_eq_u32_e64 s[16:17], 0, v18
	v_cmp_lt_u32_e64 s[14:15], 1, v18
	v_cmp_lt_u32_e64 s[12:13], 3, v18
	;; [unrolled: 1-line block ×3, first 2 shown]
	v_and_b32_e32 v18, 16, v99
	v_cmp_eq_u32_e64 s[8:9], 0, v18
	v_or_b32_e32 v18, 63, v0
	s_cmp_lg_u32 s38, 0
	v_cmp_lt_u32_e64 s[4:5], 31, v99
	v_lshrrev_b32_e32 v100, 6, v0
	v_cmp_eq_u32_e64 s[6:7], v18, v0
	s_cbranch_scc0 .LBB2853_99
; %bb.69:
	v_mov_b32_dpp v18, v101 row_shr:1 row_mask:0xf bank_mask:0xf
	v_cndmask_b32_e64 v18, v18, 0, s[16:17]
	v_add_u32_e32 v18, v18, v101
	s_nop 1
	v_mov_b32_dpp v19, v18 row_shr:2 row_mask:0xf bank_mask:0xf
	v_cndmask_b32_e64 v19, 0, v19, s[14:15]
	v_add_u32_e32 v18, v18, v19
	s_nop 1
	;; [unrolled: 4-line block ×4, first 2 shown]
	v_mov_b32_dpp v19, v18 row_bcast:15 row_mask:0xf bank_mask:0xf
	v_cndmask_b32_e64 v19, v19, 0, s[8:9]
	v_add_u32_e32 v18, v18, v19
	s_nop 1
	v_mov_b32_dpp v19, v18 row_bcast:31 row_mask:0xf bank_mask:0xf
	v_cndmask_b32_e64 v19, 0, v19, s[4:5]
	v_add_u32_e32 v18, v18, v19
	s_and_saveexec_b64 s[18:19], s[6:7]
	s_cbranch_execz .LBB2853_71
; %bb.70:
	v_lshlrev_b32_e32 v19, 2, v100
	ds_write_b32 v19, v18
.LBB2853_71:
	s_or_b64 exec, exec, s[18:19]
	v_cmp_gt_u32_e32 vcc, 4, v0
	s_waitcnt lgkmcnt(0)
	s_barrier
	s_and_saveexec_b64 s[18:19], vcc
	s_cbranch_execz .LBB2853_73
; %bb.72:
	v_lshlrev_b32_e32 v19, 2, v0
	ds_read_b32 v22, v19
	v_and_b32_e32 v23, 3, v99
	v_cmp_ne_u32_e32 vcc, 0, v23
	s_waitcnt lgkmcnt(0)
	v_mov_b32_dpp v24, v22 row_shr:1 row_mask:0xf bank_mask:0xf
	v_cndmask_b32_e32 v24, 0, v24, vcc
	v_add_u32_e32 v22, v24, v22
	v_cmp_lt_u32_e32 vcc, 1, v23
	s_nop 0
	v_mov_b32_dpp v24, v22 row_shr:2 row_mask:0xf bank_mask:0xf
	v_cndmask_b32_e32 v23, 0, v24, vcc
	v_add_u32_e32 v22, v22, v23
	ds_write_b32 v19, v22
.LBB2853_73:
	s_or_b64 exec, exec, s[18:19]
	v_cmp_gt_u32_e32 vcc, 64, v0
	v_cmp_lt_u32_e64 s[18:19], 63, v0
	s_waitcnt lgkmcnt(0)
	s_barrier
	s_waitcnt lgkmcnt(0)
                                        ; implicit-def: $vgpr102
	s_and_saveexec_b64 s[24:25], s[18:19]
	s_cbranch_execz .LBB2853_75
; %bb.74:
	v_lshl_add_u32 v19, v100, 2, -4
	ds_read_b32 v102, v19
	s_waitcnt lgkmcnt(0)
	v_add_u32_e32 v18, v102, v18
.LBB2853_75:
	s_or_b64 exec, exec, s[24:25]
	v_add_u32_e32 v19, -1, v99
	v_and_b32_e32 v22, 64, v99
	v_cmp_lt_i32_e64 s[18:19], v19, v22
	v_cndmask_b32_e64 v19, v19, v99, s[18:19]
	v_lshlrev_b32_e32 v19, 2, v19
	ds_bpermute_b32 v103, v19, v18
	v_cmp_eq_u32_e64 s[18:19], 0, v99
	s_and_saveexec_b64 s[24:25], vcc
	s_cbranch_execz .LBB2853_98
; %bb.76:
	v_mov_b32_e32 v29, 0
	ds_read_b32 v18, v29 offset:12
	s_and_saveexec_b64 s[34:35], s[18:19]
	s_cbranch_execz .LBB2853_78
; %bb.77:
	s_add_i32 s36, s38, 64
	s_mov_b32 s37, 0
	s_lshl_b64 s[36:37], s[36:37], 3
	s_add_u32 s36, s30, s36
	v_mov_b32_e32 v19, 1
	s_addc_u32 s37, s31, s37
	s_waitcnt lgkmcnt(0)
	global_store_dwordx2 v29, v[18:19], s[36:37]
.LBB2853_78:
	s_or_b64 exec, exec, s[34:35]
	v_xad_u32 v22, v99, -1, s38
	v_add_u32_e32 v28, 64, v22
	v_lshlrev_b64 v[24:25], 3, v[28:29]
	v_mov_b32_e32 v19, s31
	v_add_co_u32_e32 v24, vcc, s30, v24
	v_addc_co_u32_e32 v25, vcc, v19, v25, vcc
	global_load_dwordx2 v[26:27], v[24:25], off glc
	s_waitcnt vmcnt(0)
	v_cmp_eq_u16_sdwa s[36:37], v27, v29 src0_sel:BYTE_0 src1_sel:DWORD
	s_and_saveexec_b64 s[34:35], s[36:37]
	s_cbranch_execz .LBB2853_84
; %bb.79:
	s_mov_b32 s39, 1
	s_mov_b64 s[36:37], 0
	v_mov_b32_e32 v19, 0
.LBB2853_80:                            ; =>This Loop Header: Depth=1
                                        ;     Child Loop BB2853_81 Depth 2
	s_max_u32 s40, s39, 1
.LBB2853_81:                            ;   Parent Loop BB2853_80 Depth=1
                                        ; =>  This Inner Loop Header: Depth=2
	s_add_i32 s40, s40, -1
	s_cmp_eq_u32 s40, 0
	s_sleep 1
	s_cbranch_scc0 .LBB2853_81
; %bb.82:                               ;   in Loop: Header=BB2853_80 Depth=1
	global_load_dwordx2 v[26:27], v[24:25], off glc
	s_cmp_lt_u32 s39, 32
	s_cselect_b64 s[40:41], -1, 0
	s_cmp_lg_u64 s[40:41], 0
	s_addc_u32 s39, s39, 0
	s_waitcnt vmcnt(0)
	v_cmp_ne_u16_sdwa s[40:41], v27, v19 src0_sel:BYTE_0 src1_sel:DWORD
	s_or_b64 s[36:37], s[40:41], s[36:37]
	s_andn2_b64 exec, exec, s[36:37]
	s_cbranch_execnz .LBB2853_80
; %bb.83:
	s_or_b64 exec, exec, s[36:37]
.LBB2853_84:
	s_or_b64 exec, exec, s[34:35]
	v_and_b32_e32 v105, 63, v99
	v_mov_b32_e32 v104, 2
	v_cmp_ne_u32_e32 vcc, 63, v105
	v_cmp_eq_u16_sdwa s[34:35], v27, v104 src0_sel:BYTE_0 src1_sel:DWORD
	v_lshlrev_b64 v[24:25], v99, -1
	v_addc_co_u32_e32 v28, vcc, 0, v99, vcc
	v_and_b32_e32 v19, s35, v25
	v_lshlrev_b32_e32 v106, 2, v28
	v_or_b32_e32 v19, 0x80000000, v19
	ds_bpermute_b32 v28, v106, v26
	v_and_b32_e32 v23, s34, v24
	v_ffbl_b32_e32 v19, v19
	v_add_u32_e32 v19, 32, v19
	v_ffbl_b32_e32 v23, v23
	v_min_u32_e32 v19, v23, v19
	v_cmp_lt_u32_e32 vcc, v105, v19
	s_waitcnt lgkmcnt(0)
	v_cndmask_b32_e32 v23, 0, v28, vcc
	v_cmp_gt_u32_e32 vcc, 62, v105
	v_add_u32_e32 v23, v23, v26
	v_cndmask_b32_e64 v26, 0, 1, vcc
	v_lshlrev_b32_e32 v26, 1, v26
	v_add_lshl_u32 v107, v26, v99, 2
	ds_bpermute_b32 v26, v107, v23
	v_add_u32_e32 v108, 2, v105
	v_cmp_le_u32_e32 vcc, v108, v19
	v_add_u32_e32 v110, 4, v105
	v_add_u32_e32 v112, 8, v105
	s_waitcnt lgkmcnt(0)
	v_cndmask_b32_e32 v26, 0, v26, vcc
	v_cmp_gt_u32_e32 vcc, 60, v105
	v_add_u32_e32 v23, v23, v26
	v_cndmask_b32_e64 v26, 0, 1, vcc
	v_lshlrev_b32_e32 v26, 2, v26
	v_add_lshl_u32 v109, v26, v99, 2
	ds_bpermute_b32 v26, v109, v23
	v_cmp_le_u32_e32 vcc, v110, v19
	v_add_u32_e32 v114, 16, v105
	v_add_u32_e32 v116, 32, v105
	s_waitcnt lgkmcnt(0)
	v_cndmask_b32_e32 v26, 0, v26, vcc
	v_cmp_gt_u32_e32 vcc, 56, v105
	v_add_u32_e32 v23, v23, v26
	v_cndmask_b32_e64 v26, 0, 1, vcc
	v_lshlrev_b32_e32 v26, 3, v26
	v_add_lshl_u32 v111, v26, v99, 2
	ds_bpermute_b32 v26, v111, v23
	v_cmp_le_u32_e32 vcc, v112, v19
	s_waitcnt lgkmcnt(0)
	v_cndmask_b32_e32 v26, 0, v26, vcc
	v_cmp_gt_u32_e32 vcc, 48, v105
	v_add_u32_e32 v23, v23, v26
	v_cndmask_b32_e64 v26, 0, 1, vcc
	v_lshlrev_b32_e32 v26, 4, v26
	v_add_lshl_u32 v113, v26, v99, 2
	ds_bpermute_b32 v26, v113, v23
	v_cmp_le_u32_e32 vcc, v114, v19
	;; [unrolled: 9-line block ×3, first 2 shown]
	s_waitcnt lgkmcnt(0)
	v_cndmask_b32_e32 v19, 0, v26, vcc
	v_add_u32_e32 v26, v23, v19
	v_mov_b32_e32 v23, 0
	s_branch .LBB2853_86
.LBB2853_85:                            ;   in Loop: Header=BB2853_86 Depth=1
	s_or_b64 exec, exec, s[34:35]
	v_cmp_eq_u16_sdwa s[34:35], v27, v104 src0_sel:BYTE_0 src1_sel:DWORD
	v_and_b32_e32 v28, s35, v25
	v_or_b32_e32 v28, 0x80000000, v28
	ds_bpermute_b32 v117, v106, v26
	v_and_b32_e32 v29, s34, v24
	v_ffbl_b32_e32 v28, v28
	v_add_u32_e32 v28, 32, v28
	v_ffbl_b32_e32 v29, v29
	v_min_u32_e32 v28, v29, v28
	v_cmp_lt_u32_e32 vcc, v105, v28
	s_waitcnt lgkmcnt(0)
	v_cndmask_b32_e32 v29, 0, v117, vcc
	v_add_u32_e32 v26, v29, v26
	ds_bpermute_b32 v29, v107, v26
	v_cmp_le_u32_e32 vcc, v108, v28
	v_subrev_u32_e32 v22, 64, v22
	s_waitcnt lgkmcnt(0)
	v_cndmask_b32_e32 v29, 0, v29, vcc
	v_add_u32_e32 v26, v26, v29
	ds_bpermute_b32 v29, v109, v26
	v_cmp_le_u32_e32 vcc, v110, v28
	s_waitcnt lgkmcnt(0)
	v_cndmask_b32_e32 v29, 0, v29, vcc
	v_add_u32_e32 v26, v26, v29
	ds_bpermute_b32 v29, v111, v26
	v_cmp_le_u32_e32 vcc, v112, v28
	;; [unrolled: 5-line block ×4, first 2 shown]
	s_waitcnt lgkmcnt(0)
	v_cndmask_b32_e32 v28, 0, v29, vcc
	v_add3_u32 v26, v28, v19, v26
.LBB2853_86:                            ; =>This Loop Header: Depth=1
                                        ;     Child Loop BB2853_89 Depth 2
                                        ;       Child Loop BB2853_90 Depth 3
	v_cmp_ne_u16_sdwa s[34:35], v27, v104 src0_sel:BYTE_0 src1_sel:DWORD
	v_cndmask_b32_e64 v19, 0, 1, s[34:35]
	;;#ASMSTART
	;;#ASMEND
	v_cmp_ne_u32_e32 vcc, 0, v19
	s_cmp_lg_u64 vcc, exec
	v_mov_b32_e32 v19, v26
	s_cbranch_scc1 .LBB2853_93
; %bb.87:                               ;   in Loop: Header=BB2853_86 Depth=1
	v_lshlrev_b64 v[26:27], 3, v[22:23]
	v_mov_b32_e32 v29, s31
	v_add_co_u32_e32 v28, vcc, s30, v26
	v_addc_co_u32_e32 v29, vcc, v29, v27, vcc
	global_load_dwordx2 v[26:27], v[28:29], off glc
	s_waitcnt vmcnt(0)
	v_cmp_eq_u16_sdwa s[36:37], v27, v23 src0_sel:BYTE_0 src1_sel:DWORD
	s_and_saveexec_b64 s[34:35], s[36:37]
	s_cbranch_execz .LBB2853_85
; %bb.88:                               ;   in Loop: Header=BB2853_86 Depth=1
	s_mov_b32 s39, 1
	s_mov_b64 s[36:37], 0
.LBB2853_89:                            ;   Parent Loop BB2853_86 Depth=1
                                        ; =>  This Loop Header: Depth=2
                                        ;       Child Loop BB2853_90 Depth 3
	s_max_u32 s40, s39, 1
.LBB2853_90:                            ;   Parent Loop BB2853_86 Depth=1
                                        ;     Parent Loop BB2853_89 Depth=2
                                        ; =>    This Inner Loop Header: Depth=3
	s_add_i32 s40, s40, -1
	s_cmp_eq_u32 s40, 0
	s_sleep 1
	s_cbranch_scc0 .LBB2853_90
; %bb.91:                               ;   in Loop: Header=BB2853_89 Depth=2
	global_load_dwordx2 v[26:27], v[28:29], off glc
	s_cmp_lt_u32 s39, 32
	s_cselect_b64 s[40:41], -1, 0
	s_cmp_lg_u64 s[40:41], 0
	s_addc_u32 s39, s39, 0
	s_waitcnt vmcnt(0)
	v_cmp_ne_u16_sdwa s[40:41], v27, v23 src0_sel:BYTE_0 src1_sel:DWORD
	s_or_b64 s[36:37], s[40:41], s[36:37]
	s_andn2_b64 exec, exec, s[36:37]
	s_cbranch_execnz .LBB2853_89
; %bb.92:                               ;   in Loop: Header=BB2853_86 Depth=1
	s_or_b64 exec, exec, s[36:37]
	s_branch .LBB2853_85
.LBB2853_93:                            ;   in Loop: Header=BB2853_86 Depth=1
                                        ; implicit-def: $vgpr26
                                        ; implicit-def: $vgpr27
	s_cbranch_execz .LBB2853_86
; %bb.94:
	s_and_saveexec_b64 s[34:35], s[18:19]
	s_cbranch_execz .LBB2853_96
; %bb.95:
	s_add_i32 s36, s38, 64
	s_mov_b32 s37, 0
	s_lshl_b64 s[36:37], s[36:37], 3
	s_add_u32 s36, s30, s36
	v_add_u32_e32 v22, v19, v18
	v_mov_b32_e32 v23, 2
	s_addc_u32 s37, s31, s37
	v_mov_b32_e32 v24, 0
	global_store_dwordx2 v24, v[22:23], s[36:37]
	ds_write_b64 v24, v[18:19] offset:14336
.LBB2853_96:
	s_or_b64 exec, exec, s[34:35]
	s_and_b64 exec, exec, s[0:1]
	s_cbranch_execz .LBB2853_98
; %bb.97:
	v_mov_b32_e32 v18, 0
	ds_write_b32 v18, v19 offset:12
.LBB2853_98:
	s_or_b64 exec, exec, s[24:25]
	v_mov_b32_e32 v18, 0
	s_waitcnt lgkmcnt(0)
	s_barrier
	ds_read_b32 v22, v18 offset:12
	s_waitcnt lgkmcnt(0)
	s_barrier
	ds_read_b64 v[18:19], v18 offset:14336
	v_cndmask_b32_e64 v23, v103, v102, s[18:19]
	v_cndmask_b32_e64 v23, v23, 0, s[0:1]
	v_add_u32_e32 v22, v22, v23
	s_branch .LBB2853_109
.LBB2853_99:
                                        ; implicit-def: $vgpr19
                                        ; implicit-def: $vgpr22
	s_cbranch_execz .LBB2853_109
; %bb.100:
	s_waitcnt lgkmcnt(0)
	v_mov_b32_dpp v18, v101 row_shr:1 row_mask:0xf bank_mask:0xf
	v_cndmask_b32_e64 v18, v18, 0, s[16:17]
	v_add_u32_e32 v18, v18, v101
	s_nop 1
	v_mov_b32_dpp v19, v18 row_shr:2 row_mask:0xf bank_mask:0xf
	v_cndmask_b32_e64 v19, 0, v19, s[14:15]
	v_add_u32_e32 v18, v18, v19
	s_nop 1
	;; [unrolled: 4-line block ×4, first 2 shown]
	v_mov_b32_dpp v19, v18 row_bcast:15 row_mask:0xf bank_mask:0xf
	v_cndmask_b32_e64 v19, v19, 0, s[8:9]
	v_add_u32_e32 v18, v18, v19
	s_nop 1
	v_mov_b32_dpp v19, v18 row_bcast:31 row_mask:0xf bank_mask:0xf
	v_cndmask_b32_e64 v19, 0, v19, s[4:5]
	v_add_u32_e32 v18, v18, v19
	s_and_saveexec_b64 s[4:5], s[6:7]
	s_cbranch_execz .LBB2853_102
; %bb.101:
	v_lshlrev_b32_e32 v19, 2, v100
	ds_write_b32 v19, v18
.LBB2853_102:
	s_or_b64 exec, exec, s[4:5]
	v_cmp_gt_u32_e32 vcc, 4, v0
	s_waitcnt lgkmcnt(0)
	s_barrier
	s_and_saveexec_b64 s[4:5], vcc
	s_cbranch_execz .LBB2853_104
; %bb.103:
	v_lshlrev_b32_e32 v19, 2, v0
	ds_read_b32 v22, v19
	v_and_b32_e32 v23, 3, v99
	v_cmp_ne_u32_e32 vcc, 0, v23
	s_waitcnt lgkmcnt(0)
	v_mov_b32_dpp v24, v22 row_shr:1 row_mask:0xf bank_mask:0xf
	v_cndmask_b32_e32 v24, 0, v24, vcc
	v_add_u32_e32 v22, v24, v22
	v_cmp_lt_u32_e32 vcc, 1, v23
	s_nop 0
	v_mov_b32_dpp v24, v22 row_shr:2 row_mask:0xf bank_mask:0xf
	v_cndmask_b32_e32 v23, 0, v24, vcc
	v_add_u32_e32 v22, v22, v23
	ds_write_b32 v19, v22
.LBB2853_104:
	s_or_b64 exec, exec, s[4:5]
	v_cmp_lt_u32_e32 vcc, 63, v0
	v_mov_b32_e32 v19, 0
	v_mov_b32_e32 v22, 0
	s_waitcnt lgkmcnt(0)
	s_barrier
	s_and_saveexec_b64 s[4:5], vcc
	s_cbranch_execz .LBB2853_106
; %bb.105:
	v_lshl_add_u32 v22, v100, 2, -4
	ds_read_b32 v22, v22
.LBB2853_106:
	s_or_b64 exec, exec, s[4:5]
	v_add_u32_e32 v23, -1, v99
	v_and_b32_e32 v24, 64, v99
	v_cmp_lt_i32_e32 vcc, v23, v24
	v_cndmask_b32_e32 v23, v23, v99, vcc
	s_waitcnt lgkmcnt(0)
	v_add_u32_e32 v18, v22, v18
	v_lshlrev_b32_e32 v23, 2, v23
	ds_bpermute_b32 v23, v23, v18
	ds_read_b32 v18, v19 offset:12
	s_and_saveexec_b64 s[4:5], s[0:1]
	s_cbranch_execz .LBB2853_108
; %bb.107:
	v_mov_b32_e32 v24, 0
	v_mov_b32_e32 v19, 2
	s_waitcnt lgkmcnt(0)
	global_store_dwordx2 v24, v[18:19], s[30:31] offset:512
.LBB2853_108:
	s_or_b64 exec, exec, s[4:5]
	v_cmp_eq_u32_e32 vcc, 0, v99
	s_waitcnt lgkmcnt(1)
	v_cndmask_b32_e32 v22, v23, v22, vcc
	v_mov_b32_e32 v19, 0
	v_cndmask_b32_e64 v22, v22, 0, s[0:1]
	s_waitcnt lgkmcnt(0)
	s_barrier
.LBB2853_109:
	v_add_u32_e32 v23, v22, v73
	v_add_u32_e32 v24, v23, v74
	;; [unrolled: 1-line block ×19, first 2 shown]
	s_waitcnt lgkmcnt(0)
	v_add_u32_e32 v43, v18, v43
	v_sub_u32_e32 v22, v22, v19
	v_and_b32_e32 v72, 1, v72
	v_add_u32_e32 v85, v84, v92
	v_sub_u32_e32 v92, v43, v22
	v_cmp_eq_u32_e32 vcc, 1, v72
	v_cndmask_b32_e32 v22, v92, v22, vcc
	v_lshlrev_b32_e32 v22, 1, v22
	ds_write_b16 v22, v10
	v_sub_u32_e32 v10, v23, v19
	v_sub_u32_e32 v22, v43, v10
	v_and_b32_e32 v23, 1, v71
	v_add_u32_e32 v22, 1, v22
	v_cmp_eq_u32_e32 vcc, 1, v23
	v_cndmask_b32_e32 v10, v22, v10, vcc
	v_lshlrev_b32_e32 v10, 1, v10
	ds_write_b16 v10, v44
	v_sub_u32_e32 v10, v24, v19
	v_sub_u32_e32 v22, v43, v10
	v_and_b32_e32 v23, 1, v70
	v_add_u32_e32 v22, 2, v22
	;; [unrolled: 8-line block ×20, first 2 shown]
	v_cmp_eq_u32_e32 vcc, 1, v6
	v_cndmask_b32_e32 v2, v3, v2, vcc
	v_add_u32_e32 v86, v85, v93
	v_lshlrev_b32_e32 v2, 1, v2
	ds_write_b16 v2, v4
	v_sub_u32_e32 v2, v86, v19
	v_sub_u32_e32 v3, v43, v2
	v_and_b32_e32 v4, 1, v51
	v_add_u32_e32 v3, 21, v3
	v_cmp_eq_u32_e32 vcc, 1, v4
	v_cndmask_b32_e32 v2, v3, v2, vcc
	v_add_u32_e32 v87, v86, v94
	v_lshlrev_b32_e32 v2, 1, v2
	ds_write_b16 v2, v33
	v_sub_u32_e32 v2, v87, v19
	v_sub_u32_e32 v3, v43, v2
	v_and_b32_e32 v4, 1, v50
	v_add_u32_e32 v3, 22, v3
	;; [unrolled: 9-line block ×6, first 2 shown]
	v_cmp_eq_u32_e32 vcc, 1, v4
	v_cndmask_b32_e32 v2, v3, v2, vcc
	v_lshlrev_b32_e32 v2, 1, v2
	ds_write_b16 v2, v21
	v_sub_u32_sdwa v2, v45, v19 dst_sel:DWORD dst_unused:UNUSED_PAD src0_sel:BYTE_0 src1_sel:DWORD
	v_add_u32_e32 v2, v91, v2
	v_sub_u32_e32 v3, v43, v2
	v_and_b32_e32 v4, 1, v46
	v_add_u32_e32 v3, 27, v3
	v_cmp_eq_u32_e32 vcc, 1, v4
	v_cndmask_b32_e32 v2, v3, v2, vcc
	v_lshlrev_b32_e32 v2, 1, v2
	ds_write_b16 v2, v1
	s_waitcnt vmcnt(0)
	v_add_co_u32_e32 v1, vcc, v14, v18
	s_waitcnt lgkmcnt(0)
	s_barrier
	ds_read_u16 v66, v30
	ds_read_u16 v65, v30 offset:512
	ds_read_u16 v63, v30 offset:1024
	;; [unrolled: 1-line block ×23, first 2 shown]
	v_addc_co_u32_e32 v3, vcc, 0, v15, vcc
	v_add_co_u32_e32 v2, vcc, v1, v19
	v_addc_co_u32_e32 v3, vcc, 0, v3, vcc
	v_mov_b32_e32 v1, s27
	v_sub_co_u32_e32 v14, vcc, s26, v2
	ds_read_u16 v12, v30 offset:12288
	ds_read_u16 v10, v30 offset:12800
	;; [unrolled: 1-line block ×4, first 2 shown]
	v_subb_co_u32_e32 v15, vcc, v1, v3, vcc
	v_lshlrev_b64 v[14:15], 1, v[14:15]
	v_mov_b32_e32 v1, s29
	v_add_co_u32_e32 v4, vcc, s28, v14
	v_addc_co_u32_e32 v1, vcc, v1, v15, vcc
	v_add_co_u32_e32 v4, vcc, v4, v16
	v_addc_co_u32_e32 v1, vcc, v1, v17, vcc
	v_or_b32_e32 v64, 0x100, v0
	v_or_b32_e32 v62, 0x200, v0
	;; [unrolled: 1-line block ×27, first 2 shown]
	s_and_b64 vcc, exec, s[2:3]
	v_cmp_ge_u32_e64 s[2:3], v0, v18
	s_cbranch_vccnz .LBB2853_139
; %bb.110:
	s_and_saveexec_b64 s[4:5], s[2:3]
	s_cbranch_execnz .LBB2853_200
; %bb.111:
	s_or_b64 exec, exec, s[4:5]
	v_cmp_ge_u32_e32 vcc, v64, v18
	s_and_saveexec_b64 s[2:3], vcc
	s_cbranch_execnz .LBB2853_201
.LBB2853_112:
	s_or_b64 exec, exec, s[2:3]
	v_cmp_ge_u32_e32 vcc, v62, v18
	s_and_saveexec_b64 s[2:3], vcc
	s_cbranch_execnz .LBB2853_202
.LBB2853_113:
	s_or_b64 exec, exec, s[2:3]
	v_cmp_ge_u32_e32 vcc, v60, v18
	s_and_saveexec_b64 s[2:3], vcc
	s_cbranch_execnz .LBB2853_203
.LBB2853_114:
	s_or_b64 exec, exec, s[2:3]
	v_cmp_ge_u32_e32 vcc, v59, v18
	s_and_saveexec_b64 s[2:3], vcc
	s_cbranch_execnz .LBB2853_204
.LBB2853_115:
	s_or_b64 exec, exec, s[2:3]
	v_cmp_ge_u32_e32 vcc, v57, v18
	s_and_saveexec_b64 s[2:3], vcc
	s_cbranch_execnz .LBB2853_205
.LBB2853_116:
	s_or_b64 exec, exec, s[2:3]
	v_cmp_ge_u32_e32 vcc, v55, v18
	s_and_saveexec_b64 s[2:3], vcc
	s_cbranch_execnz .LBB2853_206
.LBB2853_117:
	s_or_b64 exec, exec, s[2:3]
	v_cmp_ge_u32_e32 vcc, v53, v18
	s_and_saveexec_b64 s[2:3], vcc
	s_cbranch_execnz .LBB2853_207
.LBB2853_118:
	s_or_b64 exec, exec, s[2:3]
	v_cmp_ge_u32_e32 vcc, v50, v18
	s_and_saveexec_b64 s[2:3], vcc
	s_cbranch_execnz .LBB2853_208
.LBB2853_119:
	s_or_b64 exec, exec, s[2:3]
	v_cmp_ge_u32_e32 vcc, v48, v18
	s_and_saveexec_b64 s[2:3], vcc
	s_cbranch_execnz .LBB2853_209
.LBB2853_120:
	s_or_b64 exec, exec, s[2:3]
	v_cmp_ge_u32_e32 vcc, v46, v18
	s_and_saveexec_b64 s[2:3], vcc
	s_cbranch_execnz .LBB2853_210
.LBB2853_121:
	s_or_b64 exec, exec, s[2:3]
	v_cmp_ge_u32_e32 vcc, v44, v18
	s_and_saveexec_b64 s[2:3], vcc
	s_cbranch_execnz .LBB2853_211
.LBB2853_122:
	s_or_b64 exec, exec, s[2:3]
	v_cmp_ge_u32_e32 vcc, v42, v18
	s_and_saveexec_b64 s[2:3], vcc
	s_cbranch_execnz .LBB2853_212
.LBB2853_123:
	s_or_b64 exec, exec, s[2:3]
	v_cmp_ge_u32_e32 vcc, v40, v18
	s_and_saveexec_b64 s[2:3], vcc
	s_cbranch_execnz .LBB2853_213
.LBB2853_124:
	s_or_b64 exec, exec, s[2:3]
	v_cmp_ge_u32_e32 vcc, v38, v18
	s_and_saveexec_b64 s[2:3], vcc
	s_cbranch_execnz .LBB2853_214
.LBB2853_125:
	s_or_b64 exec, exec, s[2:3]
	v_cmp_ge_u32_e32 vcc, v35, v18
	s_and_saveexec_b64 s[2:3], vcc
	s_cbranch_execnz .LBB2853_215
.LBB2853_126:
	s_or_b64 exec, exec, s[2:3]
	v_cmp_ge_u32_e32 vcc, v34, v18
	s_and_saveexec_b64 s[2:3], vcc
	s_cbranch_execnz .LBB2853_216
.LBB2853_127:
	s_or_b64 exec, exec, s[2:3]
	v_cmp_ge_u32_e32 vcc, v32, v18
	s_and_saveexec_b64 s[2:3], vcc
	s_cbranch_execnz .LBB2853_217
.LBB2853_128:
	s_or_b64 exec, exec, s[2:3]
	v_cmp_ge_u32_e32 vcc, v29, v18
	s_and_saveexec_b64 s[2:3], vcc
	s_cbranch_execnz .LBB2853_218
.LBB2853_129:
	s_or_b64 exec, exec, s[2:3]
	v_cmp_ge_u32_e32 vcc, v27, v18
	s_and_saveexec_b64 s[2:3], vcc
	s_cbranch_execnz .LBB2853_219
.LBB2853_130:
	s_or_b64 exec, exec, s[2:3]
	v_cmp_ge_u32_e32 vcc, v25, v18
	s_and_saveexec_b64 s[2:3], vcc
	s_cbranch_execnz .LBB2853_220
.LBB2853_131:
	s_or_b64 exec, exec, s[2:3]
	v_cmp_ge_u32_e32 vcc, v23, v18
	s_and_saveexec_b64 s[2:3], vcc
	s_cbranch_execnz .LBB2853_221
.LBB2853_132:
	s_or_b64 exec, exec, s[2:3]
	v_cmp_ge_u32_e32 vcc, v21, v18
	s_and_saveexec_b64 s[2:3], vcc
	s_cbranch_execnz .LBB2853_222
.LBB2853_133:
	s_or_b64 exec, exec, s[2:3]
	v_cmp_ge_u32_e32 vcc, v13, v18
	s_and_saveexec_b64 s[2:3], vcc
	s_cbranch_execnz .LBB2853_223
.LBB2853_134:
	s_or_b64 exec, exec, s[2:3]
	v_cmp_ge_u32_e32 vcc, v11, v18
	s_and_saveexec_b64 s[2:3], vcc
	s_cbranch_execnz .LBB2853_224
.LBB2853_135:
	s_or_b64 exec, exec, s[2:3]
	v_cmp_ge_u32_e32 vcc, v9, v18
	s_and_saveexec_b64 s[2:3], vcc
	s_cbranch_execnz .LBB2853_225
.LBB2853_136:
	s_or_b64 exec, exec, s[2:3]
	v_cmp_ge_u32_e32 vcc, v8, v18
	s_and_saveexec_b64 s[2:3], vcc
	s_cbranch_execz .LBB2853_138
.LBB2853_137:
	v_lshlrev_b32_e32 v14, 1, v8
	v_readfirstlane_b32 s4, v4
	v_readfirstlane_b32 s5, v1
	s_waitcnt lgkmcnt(1)
	s_nop 3
	global_store_short v14, v7, s[4:5]
.LBB2853_138:
	s_or_b64 exec, exec, s[2:3]
	v_cmp_ge_u32_e64 s[2:3], v6, v18
	s_branch .LBB2853_195
.LBB2853_139:
	s_mov_b64 s[2:3], 0
	s_cbranch_execz .LBB2853_195
; %bb.140:
	v_cmp_gt_u32_e32 vcc, s33, v0
	v_cmp_ge_u32_e64 s[2:3], v0, v18
	s_and_b64 s[4:5], vcc, s[2:3]
	s_and_saveexec_b64 s[2:3], s[4:5]
	s_cbranch_execz .LBB2853_142
; %bb.141:
	v_readfirstlane_b32 s4, v4
	v_readfirstlane_b32 s5, v1
	s_waitcnt lgkmcnt(14)
	s_nop 3
	global_store_short v30, v66, s[4:5]
.LBB2853_142:
	s_or_b64 exec, exec, s[2:3]
	v_cmp_gt_u32_e32 vcc, s33, v64
	v_cmp_ge_u32_e64 s[2:3], v64, v18
	s_and_b64 s[4:5], vcc, s[2:3]
	s_and_saveexec_b64 s[2:3], s[4:5]
	s_cbranch_execz .LBB2853_144
; %bb.143:
	v_readfirstlane_b32 s4, v4
	v_readfirstlane_b32 s5, v1
	s_waitcnt lgkmcnt(14)
	s_nop 3
	global_store_short v30, v65, s[4:5] offset:512
.LBB2853_144:
	s_or_b64 exec, exec, s[2:3]
	v_cmp_gt_u32_e32 vcc, s33, v62
	v_cmp_ge_u32_e64 s[2:3], v62, v18
	s_and_b64 s[4:5], vcc, s[2:3]
	s_and_saveexec_b64 s[2:3], s[4:5]
	s_cbranch_execz .LBB2853_146
; %bb.145:
	v_readfirstlane_b32 s4, v4
	v_readfirstlane_b32 s5, v1
	s_waitcnt lgkmcnt(14)
	s_nop 3
	global_store_short v30, v63, s[4:5] offset:1024
.LBB2853_146:
	;; [unrolled: 13-line block ×7, first 2 shown]
	s_or_b64 exec, exec, s[2:3]
	v_cmp_gt_u32_e32 vcc, s33, v50
	v_cmp_ge_u32_e64 s[2:3], v50, v18
	s_and_b64 s[4:5], vcc, s[2:3]
	s_and_saveexec_b64 s[2:3], s[4:5]
	s_cbranch_execz .LBB2853_158
; %bb.157:
	v_lshlrev_b32_e32 v0, 1, v50
	v_readfirstlane_b32 s4, v4
	v_readfirstlane_b32 s5, v1
	s_waitcnt lgkmcnt(14)
	s_nop 3
	global_store_short v0, v51, s[4:5]
.LBB2853_158:
	s_or_b64 exec, exec, s[2:3]
	v_cmp_gt_u32_e32 vcc, s33, v48
	v_cmp_ge_u32_e64 s[2:3], v48, v18
	s_and_b64 s[4:5], vcc, s[2:3]
	s_and_saveexec_b64 s[2:3], s[4:5]
	s_cbranch_execz .LBB2853_160
; %bb.159:
	v_lshlrev_b32_e32 v0, 1, v48
	v_readfirstlane_b32 s4, v4
	v_readfirstlane_b32 s5, v1
	s_waitcnt lgkmcnt(14)
	s_nop 3
	global_store_short v0, v49, s[4:5]
.LBB2853_160:
	;; [unrolled: 14-line block ×19, first 2 shown]
	s_or_b64 exec, exec, s[2:3]
	v_cmp_gt_u32_e32 vcc, s33, v6
	v_cmp_ge_u32_e64 s[2:3], v6, v18
	s_and_b64 s[2:3], vcc, s[2:3]
.LBB2853_195:
	s_and_saveexec_b64 s[4:5], s[2:3]
	s_cbranch_execnz .LBB2853_198
; %bb.196:
	s_or_b64 exec, exec, s[4:5]
	s_and_b64 s[0:1], s[0:1], s[22:23]
	s_and_saveexec_b64 s[2:3], s[0:1]
	s_cbranch_execnz .LBB2853_199
.LBB2853_197:
	s_endpgm
.LBB2853_198:
	v_lshlrev_b32_e32 v0, 1, v6
	v_readfirstlane_b32 s2, v4
	v_readfirstlane_b32 s3, v1
	s_waitcnt lgkmcnt(0)
	s_nop 3
	global_store_short v0, v5, s[2:3]
	s_or_b64 exec, exec, s[4:5]
	s_and_b64 s[0:1], s[0:1], s[22:23]
	s_and_saveexec_b64 s[2:3], s[0:1]
	s_cbranch_execz .LBB2853_197
.LBB2853_199:
	v_mov_b32_e32 v0, 0
	global_store_dwordx2 v0, v[2:3], s[20:21]
	s_endpgm
.LBB2853_200:
	v_readfirstlane_b32 s2, v4
	v_readfirstlane_b32 s3, v1
	s_waitcnt lgkmcnt(14)
	s_nop 3
	global_store_short v30, v66, s[2:3]
	s_or_b64 exec, exec, s[4:5]
	v_cmp_ge_u32_e32 vcc, v64, v18
	s_and_saveexec_b64 s[2:3], vcc
	s_cbranch_execz .LBB2853_112
.LBB2853_201:
	v_readfirstlane_b32 s4, v4
	v_readfirstlane_b32 s5, v1
	s_waitcnt lgkmcnt(14)
	s_nop 3
	global_store_short v30, v65, s[4:5] offset:512
	s_or_b64 exec, exec, s[2:3]
	v_cmp_ge_u32_e32 vcc, v62, v18
	s_and_saveexec_b64 s[2:3], vcc
	s_cbranch_execz .LBB2853_113
.LBB2853_202:
	v_readfirstlane_b32 s4, v4
	v_readfirstlane_b32 s5, v1
	s_waitcnt lgkmcnt(14)
	s_nop 3
	global_store_short v30, v63, s[4:5] offset:1024
	s_or_b64 exec, exec, s[2:3]
	v_cmp_ge_u32_e32 vcc, v60, v18
	s_and_saveexec_b64 s[2:3], vcc
	s_cbranch_execz .LBB2853_114
.LBB2853_203:
	v_readfirstlane_b32 s4, v4
	v_readfirstlane_b32 s5, v1
	s_waitcnt lgkmcnt(14)
	s_nop 3
	global_store_short v30, v61, s[4:5] offset:1536
	s_or_b64 exec, exec, s[2:3]
	v_cmp_ge_u32_e32 vcc, v59, v18
	s_and_saveexec_b64 s[2:3], vcc
	s_cbranch_execz .LBB2853_115
.LBB2853_204:
	v_readfirstlane_b32 s4, v4
	v_readfirstlane_b32 s5, v1
	s_waitcnt lgkmcnt(14)
	s_nop 3
	global_store_short v30, v58, s[4:5] offset:2048
	s_or_b64 exec, exec, s[2:3]
	v_cmp_ge_u32_e32 vcc, v57, v18
	s_and_saveexec_b64 s[2:3], vcc
	s_cbranch_execz .LBB2853_116
.LBB2853_205:
	v_readfirstlane_b32 s4, v4
	v_readfirstlane_b32 s5, v1
	s_waitcnt lgkmcnt(14)
	s_nop 3
	global_store_short v30, v56, s[4:5] offset:2560
	s_or_b64 exec, exec, s[2:3]
	v_cmp_ge_u32_e32 vcc, v55, v18
	s_and_saveexec_b64 s[2:3], vcc
	s_cbranch_execz .LBB2853_117
.LBB2853_206:
	v_readfirstlane_b32 s4, v4
	v_readfirstlane_b32 s5, v1
	s_waitcnt lgkmcnt(14)
	s_nop 3
	global_store_short v30, v54, s[4:5] offset:3072
	s_or_b64 exec, exec, s[2:3]
	v_cmp_ge_u32_e32 vcc, v53, v18
	s_and_saveexec_b64 s[2:3], vcc
	s_cbranch_execz .LBB2853_118
.LBB2853_207:
	v_readfirstlane_b32 s4, v4
	v_readfirstlane_b32 s5, v1
	s_waitcnt lgkmcnt(14)
	s_nop 3
	global_store_short v30, v52, s[4:5] offset:3584
	s_or_b64 exec, exec, s[2:3]
	v_cmp_ge_u32_e32 vcc, v50, v18
	s_and_saveexec_b64 s[2:3], vcc
	s_cbranch_execz .LBB2853_119
.LBB2853_208:
	v_lshlrev_b32_e32 v14, 1, v50
	v_readfirstlane_b32 s4, v4
	v_readfirstlane_b32 s5, v1
	s_waitcnt lgkmcnt(14)
	s_nop 3
	global_store_short v14, v51, s[4:5]
	s_or_b64 exec, exec, s[2:3]
	v_cmp_ge_u32_e32 vcc, v48, v18
	s_and_saveexec_b64 s[2:3], vcc
	s_cbranch_execz .LBB2853_120
.LBB2853_209:
	v_lshlrev_b32_e32 v14, 1, v48
	v_readfirstlane_b32 s4, v4
	v_readfirstlane_b32 s5, v1
	s_waitcnt lgkmcnt(14)
	s_nop 3
	global_store_short v14, v49, s[4:5]
	s_or_b64 exec, exec, s[2:3]
	v_cmp_ge_u32_e32 vcc, v46, v18
	s_and_saveexec_b64 s[2:3], vcc
	s_cbranch_execz .LBB2853_121
.LBB2853_210:
	v_lshlrev_b32_e32 v14, 1, v46
	v_readfirstlane_b32 s4, v4
	v_readfirstlane_b32 s5, v1
	s_waitcnt lgkmcnt(14)
	s_nop 3
	global_store_short v14, v47, s[4:5]
	s_or_b64 exec, exec, s[2:3]
	v_cmp_ge_u32_e32 vcc, v44, v18
	s_and_saveexec_b64 s[2:3], vcc
	s_cbranch_execz .LBB2853_122
.LBB2853_211:
	v_lshlrev_b32_e32 v14, 1, v44
	v_readfirstlane_b32 s4, v4
	v_readfirstlane_b32 s5, v1
	s_waitcnt lgkmcnt(14)
	s_nop 3
	global_store_short v14, v45, s[4:5]
	s_or_b64 exec, exec, s[2:3]
	v_cmp_ge_u32_e32 vcc, v42, v18
	s_and_saveexec_b64 s[2:3], vcc
	s_cbranch_execz .LBB2853_123
.LBB2853_212:
	v_lshlrev_b32_e32 v14, 1, v42
	v_readfirstlane_b32 s4, v4
	v_readfirstlane_b32 s5, v1
	s_waitcnt lgkmcnt(14)
	s_nop 3
	global_store_short v14, v43, s[4:5]
	s_or_b64 exec, exec, s[2:3]
	v_cmp_ge_u32_e32 vcc, v40, v18
	s_and_saveexec_b64 s[2:3], vcc
	s_cbranch_execz .LBB2853_124
.LBB2853_213:
	v_lshlrev_b32_e32 v14, 1, v40
	v_readfirstlane_b32 s4, v4
	v_readfirstlane_b32 s5, v1
	s_waitcnt lgkmcnt(14)
	s_nop 3
	global_store_short v14, v41, s[4:5]
	s_or_b64 exec, exec, s[2:3]
	v_cmp_ge_u32_e32 vcc, v38, v18
	s_and_saveexec_b64 s[2:3], vcc
	s_cbranch_execz .LBB2853_125
.LBB2853_214:
	v_lshlrev_b32_e32 v14, 1, v38
	v_readfirstlane_b32 s4, v4
	v_readfirstlane_b32 s5, v1
	s_waitcnt lgkmcnt(13)
	s_nop 3
	global_store_short v14, v39, s[4:5]
	s_or_b64 exec, exec, s[2:3]
	v_cmp_ge_u32_e32 vcc, v35, v18
	s_and_saveexec_b64 s[2:3], vcc
	s_cbranch_execz .LBB2853_126
.LBB2853_215:
	v_lshlrev_b32_e32 v14, 1, v35
	v_readfirstlane_b32 s4, v4
	v_readfirstlane_b32 s5, v1
	s_waitcnt lgkmcnt(12)
	s_nop 3
	global_store_short v14, v37, s[4:5]
	s_or_b64 exec, exec, s[2:3]
	v_cmp_ge_u32_e32 vcc, v34, v18
	s_and_saveexec_b64 s[2:3], vcc
	s_cbranch_execz .LBB2853_127
.LBB2853_216:
	v_lshlrev_b32_e32 v14, 1, v34
	v_readfirstlane_b32 s4, v4
	v_readfirstlane_b32 s5, v1
	s_waitcnt lgkmcnt(11)
	s_nop 3
	global_store_short v14, v36, s[4:5]
	s_or_b64 exec, exec, s[2:3]
	v_cmp_ge_u32_e32 vcc, v32, v18
	s_and_saveexec_b64 s[2:3], vcc
	s_cbranch_execz .LBB2853_128
.LBB2853_217:
	v_lshlrev_b32_e32 v14, 1, v32
	v_readfirstlane_b32 s4, v4
	v_readfirstlane_b32 s5, v1
	s_waitcnt lgkmcnt(10)
	s_nop 3
	global_store_short v14, v33, s[4:5]
	s_or_b64 exec, exec, s[2:3]
	v_cmp_ge_u32_e32 vcc, v29, v18
	s_and_saveexec_b64 s[2:3], vcc
	s_cbranch_execz .LBB2853_129
.LBB2853_218:
	v_lshlrev_b32_e32 v14, 1, v29
	v_readfirstlane_b32 s4, v4
	v_readfirstlane_b32 s5, v1
	s_waitcnt lgkmcnt(9)
	s_nop 3
	global_store_short v14, v31, s[4:5]
	s_or_b64 exec, exec, s[2:3]
	v_cmp_ge_u32_e32 vcc, v27, v18
	s_and_saveexec_b64 s[2:3], vcc
	s_cbranch_execz .LBB2853_130
.LBB2853_219:
	v_lshlrev_b32_e32 v14, 1, v27
	v_readfirstlane_b32 s4, v4
	v_readfirstlane_b32 s5, v1
	s_waitcnt lgkmcnt(8)
	s_nop 3
	global_store_short v14, v28, s[4:5]
	s_or_b64 exec, exec, s[2:3]
	v_cmp_ge_u32_e32 vcc, v25, v18
	s_and_saveexec_b64 s[2:3], vcc
	s_cbranch_execz .LBB2853_131
.LBB2853_220:
	v_lshlrev_b32_e32 v14, 1, v25
	v_readfirstlane_b32 s4, v4
	v_readfirstlane_b32 s5, v1
	s_waitcnt lgkmcnt(7)
	s_nop 3
	global_store_short v14, v26, s[4:5]
	s_or_b64 exec, exec, s[2:3]
	v_cmp_ge_u32_e32 vcc, v23, v18
	s_and_saveexec_b64 s[2:3], vcc
	s_cbranch_execz .LBB2853_132
.LBB2853_221:
	v_lshlrev_b32_e32 v14, 1, v23
	v_readfirstlane_b32 s4, v4
	v_readfirstlane_b32 s5, v1
	s_waitcnt lgkmcnt(6)
	s_nop 3
	global_store_short v14, v24, s[4:5]
	s_or_b64 exec, exec, s[2:3]
	v_cmp_ge_u32_e32 vcc, v21, v18
	s_and_saveexec_b64 s[2:3], vcc
	s_cbranch_execz .LBB2853_133
.LBB2853_222:
	v_lshlrev_b32_e32 v14, 1, v21
	v_readfirstlane_b32 s4, v4
	v_readfirstlane_b32 s5, v1
	s_waitcnt lgkmcnt(5)
	s_nop 3
	global_store_short v14, v22, s[4:5]
	s_or_b64 exec, exec, s[2:3]
	v_cmp_ge_u32_e32 vcc, v13, v18
	s_and_saveexec_b64 s[2:3], vcc
	s_cbranch_execz .LBB2853_134
.LBB2853_223:
	v_lshlrev_b32_e32 v14, 1, v13
	v_readfirstlane_b32 s4, v4
	v_readfirstlane_b32 s5, v1
	s_waitcnt lgkmcnt(4)
	s_nop 3
	global_store_short v14, v20, s[4:5]
	s_or_b64 exec, exec, s[2:3]
	v_cmp_ge_u32_e32 vcc, v11, v18
	s_and_saveexec_b64 s[2:3], vcc
	s_cbranch_execz .LBB2853_135
.LBB2853_224:
	v_lshlrev_b32_e32 v14, 1, v11
	v_readfirstlane_b32 s4, v4
	v_readfirstlane_b32 s5, v1
	s_waitcnt lgkmcnt(3)
	s_nop 3
	global_store_short v14, v12, s[4:5]
	s_or_b64 exec, exec, s[2:3]
	v_cmp_ge_u32_e32 vcc, v9, v18
	s_and_saveexec_b64 s[2:3], vcc
	s_cbranch_execz .LBB2853_136
.LBB2853_225:
	v_lshlrev_b32_e32 v14, 1, v9
	v_readfirstlane_b32 s4, v4
	v_readfirstlane_b32 s5, v1
	s_waitcnt lgkmcnt(2)
	s_nop 3
	global_store_short v14, v10, s[4:5]
	s_or_b64 exec, exec, s[2:3]
	v_cmp_ge_u32_e32 vcc, v8, v18
	s_and_saveexec_b64 s[2:3], vcc
	s_cbranch_execnz .LBB2853_137
	s_branch .LBB2853_138
	.section	.rodata,"a",@progbits
	.p2align	6, 0x0
	.amdhsa_kernel _ZN7rocprim17ROCPRIM_400000_NS6detail17trampoline_kernelINS0_14default_configENS1_25partition_config_selectorILNS1_17partition_subalgoE0EsNS0_10empty_typeEbEEZZNS1_14partition_implILS5_0ELb0ES3_jN6thrust23THRUST_200600_302600_NS6detail15normal_iteratorINSA_10device_ptrIsEEEEPS6_SG_NS0_5tupleIJNSA_16discard_iteratorINSA_11use_defaultEEESF_EEENSH_IJSG_SG_EEES6_PlJ7is_evenIsEEEE10hipError_tPvRmT3_T4_T5_T6_T7_T9_mT8_P12ihipStream_tbDpT10_ENKUlT_T0_E_clISt17integral_constantIbLb1EES19_EEDaS14_S15_EUlS14_E_NS1_11comp_targetILNS1_3genE4ELNS1_11target_archE910ELNS1_3gpuE8ELNS1_3repE0EEENS1_30default_config_static_selectorELNS0_4arch9wavefront6targetE1EEEvT1_
		.amdhsa_group_segment_fixed_size 14344
		.amdhsa_private_segment_fixed_size 0
		.amdhsa_kernarg_size 144
		.amdhsa_user_sgpr_count 6
		.amdhsa_user_sgpr_private_segment_buffer 1
		.amdhsa_user_sgpr_dispatch_ptr 0
		.amdhsa_user_sgpr_queue_ptr 0
		.amdhsa_user_sgpr_kernarg_segment_ptr 1
		.amdhsa_user_sgpr_dispatch_id 0
		.amdhsa_user_sgpr_flat_scratch_init 0
		.amdhsa_user_sgpr_kernarg_preload_length 0
		.amdhsa_user_sgpr_kernarg_preload_offset 0
		.amdhsa_user_sgpr_private_segment_size 0
		.amdhsa_uses_dynamic_stack 0
		.amdhsa_system_sgpr_private_segment_wavefront_offset 0
		.amdhsa_system_sgpr_workgroup_id_x 1
		.amdhsa_system_sgpr_workgroup_id_y 0
		.amdhsa_system_sgpr_workgroup_id_z 0
		.amdhsa_system_sgpr_workgroup_info 0
		.amdhsa_system_vgpr_workitem_id 0
		.amdhsa_next_free_vgpr 118
		.amdhsa_next_free_sgpr 42
		.amdhsa_accum_offset 120
		.amdhsa_reserve_vcc 1
		.amdhsa_reserve_flat_scratch 0
		.amdhsa_float_round_mode_32 0
		.amdhsa_float_round_mode_16_64 0
		.amdhsa_float_denorm_mode_32 3
		.amdhsa_float_denorm_mode_16_64 3
		.amdhsa_dx10_clamp 1
		.amdhsa_ieee_mode 1
		.amdhsa_fp16_overflow 0
		.amdhsa_tg_split 0
		.amdhsa_exception_fp_ieee_invalid_op 0
		.amdhsa_exception_fp_denorm_src 0
		.amdhsa_exception_fp_ieee_div_zero 0
		.amdhsa_exception_fp_ieee_overflow 0
		.amdhsa_exception_fp_ieee_underflow 0
		.amdhsa_exception_fp_ieee_inexact 0
		.amdhsa_exception_int_div_zero 0
	.end_amdhsa_kernel
	.section	.text._ZN7rocprim17ROCPRIM_400000_NS6detail17trampoline_kernelINS0_14default_configENS1_25partition_config_selectorILNS1_17partition_subalgoE0EsNS0_10empty_typeEbEEZZNS1_14partition_implILS5_0ELb0ES3_jN6thrust23THRUST_200600_302600_NS6detail15normal_iteratorINSA_10device_ptrIsEEEEPS6_SG_NS0_5tupleIJNSA_16discard_iteratorINSA_11use_defaultEEESF_EEENSH_IJSG_SG_EEES6_PlJ7is_evenIsEEEE10hipError_tPvRmT3_T4_T5_T6_T7_T9_mT8_P12ihipStream_tbDpT10_ENKUlT_T0_E_clISt17integral_constantIbLb1EES19_EEDaS14_S15_EUlS14_E_NS1_11comp_targetILNS1_3genE4ELNS1_11target_archE910ELNS1_3gpuE8ELNS1_3repE0EEENS1_30default_config_static_selectorELNS0_4arch9wavefront6targetE1EEEvT1_,"axG",@progbits,_ZN7rocprim17ROCPRIM_400000_NS6detail17trampoline_kernelINS0_14default_configENS1_25partition_config_selectorILNS1_17partition_subalgoE0EsNS0_10empty_typeEbEEZZNS1_14partition_implILS5_0ELb0ES3_jN6thrust23THRUST_200600_302600_NS6detail15normal_iteratorINSA_10device_ptrIsEEEEPS6_SG_NS0_5tupleIJNSA_16discard_iteratorINSA_11use_defaultEEESF_EEENSH_IJSG_SG_EEES6_PlJ7is_evenIsEEEE10hipError_tPvRmT3_T4_T5_T6_T7_T9_mT8_P12ihipStream_tbDpT10_ENKUlT_T0_E_clISt17integral_constantIbLb1EES19_EEDaS14_S15_EUlS14_E_NS1_11comp_targetILNS1_3genE4ELNS1_11target_archE910ELNS1_3gpuE8ELNS1_3repE0EEENS1_30default_config_static_selectorELNS0_4arch9wavefront6targetE1EEEvT1_,comdat
.Lfunc_end2853:
	.size	_ZN7rocprim17ROCPRIM_400000_NS6detail17trampoline_kernelINS0_14default_configENS1_25partition_config_selectorILNS1_17partition_subalgoE0EsNS0_10empty_typeEbEEZZNS1_14partition_implILS5_0ELb0ES3_jN6thrust23THRUST_200600_302600_NS6detail15normal_iteratorINSA_10device_ptrIsEEEEPS6_SG_NS0_5tupleIJNSA_16discard_iteratorINSA_11use_defaultEEESF_EEENSH_IJSG_SG_EEES6_PlJ7is_evenIsEEEE10hipError_tPvRmT3_T4_T5_T6_T7_T9_mT8_P12ihipStream_tbDpT10_ENKUlT_T0_E_clISt17integral_constantIbLb1EES19_EEDaS14_S15_EUlS14_E_NS1_11comp_targetILNS1_3genE4ELNS1_11target_archE910ELNS1_3gpuE8ELNS1_3repE0EEENS1_30default_config_static_selectorELNS0_4arch9wavefront6targetE1EEEvT1_, .Lfunc_end2853-_ZN7rocprim17ROCPRIM_400000_NS6detail17trampoline_kernelINS0_14default_configENS1_25partition_config_selectorILNS1_17partition_subalgoE0EsNS0_10empty_typeEbEEZZNS1_14partition_implILS5_0ELb0ES3_jN6thrust23THRUST_200600_302600_NS6detail15normal_iteratorINSA_10device_ptrIsEEEEPS6_SG_NS0_5tupleIJNSA_16discard_iteratorINSA_11use_defaultEEESF_EEENSH_IJSG_SG_EEES6_PlJ7is_evenIsEEEE10hipError_tPvRmT3_T4_T5_T6_T7_T9_mT8_P12ihipStream_tbDpT10_ENKUlT_T0_E_clISt17integral_constantIbLb1EES19_EEDaS14_S15_EUlS14_E_NS1_11comp_targetILNS1_3genE4ELNS1_11target_archE910ELNS1_3gpuE8ELNS1_3repE0EEENS1_30default_config_static_selectorELNS0_4arch9wavefront6targetE1EEEvT1_
                                        ; -- End function
	.section	.AMDGPU.csdata,"",@progbits
; Kernel info:
; codeLenInByte = 10316
; NumSgprs: 46
; NumVgprs: 118
; NumAgprs: 0
; TotalNumVgprs: 118
; ScratchSize: 0
; MemoryBound: 0
; FloatMode: 240
; IeeeMode: 1
; LDSByteSize: 14344 bytes/workgroup (compile time only)
; SGPRBlocks: 5
; VGPRBlocks: 14
; NumSGPRsForWavesPerEU: 46
; NumVGPRsForWavesPerEU: 118
; AccumOffset: 120
; Occupancy: 4
; WaveLimiterHint : 1
; COMPUTE_PGM_RSRC2:SCRATCH_EN: 0
; COMPUTE_PGM_RSRC2:USER_SGPR: 6
; COMPUTE_PGM_RSRC2:TRAP_HANDLER: 0
; COMPUTE_PGM_RSRC2:TGID_X_EN: 1
; COMPUTE_PGM_RSRC2:TGID_Y_EN: 0
; COMPUTE_PGM_RSRC2:TGID_Z_EN: 0
; COMPUTE_PGM_RSRC2:TIDIG_COMP_CNT: 0
; COMPUTE_PGM_RSRC3_GFX90A:ACCUM_OFFSET: 29
; COMPUTE_PGM_RSRC3_GFX90A:TG_SPLIT: 0
	.section	.text._ZN7rocprim17ROCPRIM_400000_NS6detail17trampoline_kernelINS0_14default_configENS1_25partition_config_selectorILNS1_17partition_subalgoE0EsNS0_10empty_typeEbEEZZNS1_14partition_implILS5_0ELb0ES3_jN6thrust23THRUST_200600_302600_NS6detail15normal_iteratorINSA_10device_ptrIsEEEEPS6_SG_NS0_5tupleIJNSA_16discard_iteratorINSA_11use_defaultEEESF_EEENSH_IJSG_SG_EEES6_PlJ7is_evenIsEEEE10hipError_tPvRmT3_T4_T5_T6_T7_T9_mT8_P12ihipStream_tbDpT10_ENKUlT_T0_E_clISt17integral_constantIbLb1EES19_EEDaS14_S15_EUlS14_E_NS1_11comp_targetILNS1_3genE3ELNS1_11target_archE908ELNS1_3gpuE7ELNS1_3repE0EEENS1_30default_config_static_selectorELNS0_4arch9wavefront6targetE1EEEvT1_,"axG",@progbits,_ZN7rocprim17ROCPRIM_400000_NS6detail17trampoline_kernelINS0_14default_configENS1_25partition_config_selectorILNS1_17partition_subalgoE0EsNS0_10empty_typeEbEEZZNS1_14partition_implILS5_0ELb0ES3_jN6thrust23THRUST_200600_302600_NS6detail15normal_iteratorINSA_10device_ptrIsEEEEPS6_SG_NS0_5tupleIJNSA_16discard_iteratorINSA_11use_defaultEEESF_EEENSH_IJSG_SG_EEES6_PlJ7is_evenIsEEEE10hipError_tPvRmT3_T4_T5_T6_T7_T9_mT8_P12ihipStream_tbDpT10_ENKUlT_T0_E_clISt17integral_constantIbLb1EES19_EEDaS14_S15_EUlS14_E_NS1_11comp_targetILNS1_3genE3ELNS1_11target_archE908ELNS1_3gpuE7ELNS1_3repE0EEENS1_30default_config_static_selectorELNS0_4arch9wavefront6targetE1EEEvT1_,comdat
	.protected	_ZN7rocprim17ROCPRIM_400000_NS6detail17trampoline_kernelINS0_14default_configENS1_25partition_config_selectorILNS1_17partition_subalgoE0EsNS0_10empty_typeEbEEZZNS1_14partition_implILS5_0ELb0ES3_jN6thrust23THRUST_200600_302600_NS6detail15normal_iteratorINSA_10device_ptrIsEEEEPS6_SG_NS0_5tupleIJNSA_16discard_iteratorINSA_11use_defaultEEESF_EEENSH_IJSG_SG_EEES6_PlJ7is_evenIsEEEE10hipError_tPvRmT3_T4_T5_T6_T7_T9_mT8_P12ihipStream_tbDpT10_ENKUlT_T0_E_clISt17integral_constantIbLb1EES19_EEDaS14_S15_EUlS14_E_NS1_11comp_targetILNS1_3genE3ELNS1_11target_archE908ELNS1_3gpuE7ELNS1_3repE0EEENS1_30default_config_static_selectorELNS0_4arch9wavefront6targetE1EEEvT1_ ; -- Begin function _ZN7rocprim17ROCPRIM_400000_NS6detail17trampoline_kernelINS0_14default_configENS1_25partition_config_selectorILNS1_17partition_subalgoE0EsNS0_10empty_typeEbEEZZNS1_14partition_implILS5_0ELb0ES3_jN6thrust23THRUST_200600_302600_NS6detail15normal_iteratorINSA_10device_ptrIsEEEEPS6_SG_NS0_5tupleIJNSA_16discard_iteratorINSA_11use_defaultEEESF_EEENSH_IJSG_SG_EEES6_PlJ7is_evenIsEEEE10hipError_tPvRmT3_T4_T5_T6_T7_T9_mT8_P12ihipStream_tbDpT10_ENKUlT_T0_E_clISt17integral_constantIbLb1EES19_EEDaS14_S15_EUlS14_E_NS1_11comp_targetILNS1_3genE3ELNS1_11target_archE908ELNS1_3gpuE7ELNS1_3repE0EEENS1_30default_config_static_selectorELNS0_4arch9wavefront6targetE1EEEvT1_
	.globl	_ZN7rocprim17ROCPRIM_400000_NS6detail17trampoline_kernelINS0_14default_configENS1_25partition_config_selectorILNS1_17partition_subalgoE0EsNS0_10empty_typeEbEEZZNS1_14partition_implILS5_0ELb0ES3_jN6thrust23THRUST_200600_302600_NS6detail15normal_iteratorINSA_10device_ptrIsEEEEPS6_SG_NS0_5tupleIJNSA_16discard_iteratorINSA_11use_defaultEEESF_EEENSH_IJSG_SG_EEES6_PlJ7is_evenIsEEEE10hipError_tPvRmT3_T4_T5_T6_T7_T9_mT8_P12ihipStream_tbDpT10_ENKUlT_T0_E_clISt17integral_constantIbLb1EES19_EEDaS14_S15_EUlS14_E_NS1_11comp_targetILNS1_3genE3ELNS1_11target_archE908ELNS1_3gpuE7ELNS1_3repE0EEENS1_30default_config_static_selectorELNS0_4arch9wavefront6targetE1EEEvT1_
	.p2align	8
	.type	_ZN7rocprim17ROCPRIM_400000_NS6detail17trampoline_kernelINS0_14default_configENS1_25partition_config_selectorILNS1_17partition_subalgoE0EsNS0_10empty_typeEbEEZZNS1_14partition_implILS5_0ELb0ES3_jN6thrust23THRUST_200600_302600_NS6detail15normal_iteratorINSA_10device_ptrIsEEEEPS6_SG_NS0_5tupleIJNSA_16discard_iteratorINSA_11use_defaultEEESF_EEENSH_IJSG_SG_EEES6_PlJ7is_evenIsEEEE10hipError_tPvRmT3_T4_T5_T6_T7_T9_mT8_P12ihipStream_tbDpT10_ENKUlT_T0_E_clISt17integral_constantIbLb1EES19_EEDaS14_S15_EUlS14_E_NS1_11comp_targetILNS1_3genE3ELNS1_11target_archE908ELNS1_3gpuE7ELNS1_3repE0EEENS1_30default_config_static_selectorELNS0_4arch9wavefront6targetE1EEEvT1_,@function
_ZN7rocprim17ROCPRIM_400000_NS6detail17trampoline_kernelINS0_14default_configENS1_25partition_config_selectorILNS1_17partition_subalgoE0EsNS0_10empty_typeEbEEZZNS1_14partition_implILS5_0ELb0ES3_jN6thrust23THRUST_200600_302600_NS6detail15normal_iteratorINSA_10device_ptrIsEEEEPS6_SG_NS0_5tupleIJNSA_16discard_iteratorINSA_11use_defaultEEESF_EEENSH_IJSG_SG_EEES6_PlJ7is_evenIsEEEE10hipError_tPvRmT3_T4_T5_T6_T7_T9_mT8_P12ihipStream_tbDpT10_ENKUlT_T0_E_clISt17integral_constantIbLb1EES19_EEDaS14_S15_EUlS14_E_NS1_11comp_targetILNS1_3genE3ELNS1_11target_archE908ELNS1_3gpuE7ELNS1_3repE0EEENS1_30default_config_static_selectorELNS0_4arch9wavefront6targetE1EEEvT1_: ; @_ZN7rocprim17ROCPRIM_400000_NS6detail17trampoline_kernelINS0_14default_configENS1_25partition_config_selectorILNS1_17partition_subalgoE0EsNS0_10empty_typeEbEEZZNS1_14partition_implILS5_0ELb0ES3_jN6thrust23THRUST_200600_302600_NS6detail15normal_iteratorINSA_10device_ptrIsEEEEPS6_SG_NS0_5tupleIJNSA_16discard_iteratorINSA_11use_defaultEEESF_EEENSH_IJSG_SG_EEES6_PlJ7is_evenIsEEEE10hipError_tPvRmT3_T4_T5_T6_T7_T9_mT8_P12ihipStream_tbDpT10_ENKUlT_T0_E_clISt17integral_constantIbLb1EES19_EEDaS14_S15_EUlS14_E_NS1_11comp_targetILNS1_3genE3ELNS1_11target_archE908ELNS1_3gpuE7ELNS1_3repE0EEENS1_30default_config_static_selectorELNS0_4arch9wavefront6targetE1EEEvT1_
; %bb.0:
	.section	.rodata,"a",@progbits
	.p2align	6, 0x0
	.amdhsa_kernel _ZN7rocprim17ROCPRIM_400000_NS6detail17trampoline_kernelINS0_14default_configENS1_25partition_config_selectorILNS1_17partition_subalgoE0EsNS0_10empty_typeEbEEZZNS1_14partition_implILS5_0ELb0ES3_jN6thrust23THRUST_200600_302600_NS6detail15normal_iteratorINSA_10device_ptrIsEEEEPS6_SG_NS0_5tupleIJNSA_16discard_iteratorINSA_11use_defaultEEESF_EEENSH_IJSG_SG_EEES6_PlJ7is_evenIsEEEE10hipError_tPvRmT3_T4_T5_T6_T7_T9_mT8_P12ihipStream_tbDpT10_ENKUlT_T0_E_clISt17integral_constantIbLb1EES19_EEDaS14_S15_EUlS14_E_NS1_11comp_targetILNS1_3genE3ELNS1_11target_archE908ELNS1_3gpuE7ELNS1_3repE0EEENS1_30default_config_static_selectorELNS0_4arch9wavefront6targetE1EEEvT1_
		.amdhsa_group_segment_fixed_size 0
		.amdhsa_private_segment_fixed_size 0
		.amdhsa_kernarg_size 144
		.amdhsa_user_sgpr_count 6
		.amdhsa_user_sgpr_private_segment_buffer 1
		.amdhsa_user_sgpr_dispatch_ptr 0
		.amdhsa_user_sgpr_queue_ptr 0
		.amdhsa_user_sgpr_kernarg_segment_ptr 1
		.amdhsa_user_sgpr_dispatch_id 0
		.amdhsa_user_sgpr_flat_scratch_init 0
		.amdhsa_user_sgpr_kernarg_preload_length 0
		.amdhsa_user_sgpr_kernarg_preload_offset 0
		.amdhsa_user_sgpr_private_segment_size 0
		.amdhsa_uses_dynamic_stack 0
		.amdhsa_system_sgpr_private_segment_wavefront_offset 0
		.amdhsa_system_sgpr_workgroup_id_x 1
		.amdhsa_system_sgpr_workgroup_id_y 0
		.amdhsa_system_sgpr_workgroup_id_z 0
		.amdhsa_system_sgpr_workgroup_info 0
		.amdhsa_system_vgpr_workitem_id 0
		.amdhsa_next_free_vgpr 1
		.amdhsa_next_free_sgpr 0
		.amdhsa_accum_offset 4
		.amdhsa_reserve_vcc 0
		.amdhsa_reserve_flat_scratch 0
		.amdhsa_float_round_mode_32 0
		.amdhsa_float_round_mode_16_64 0
		.amdhsa_float_denorm_mode_32 3
		.amdhsa_float_denorm_mode_16_64 3
		.amdhsa_dx10_clamp 1
		.amdhsa_ieee_mode 1
		.amdhsa_fp16_overflow 0
		.amdhsa_tg_split 0
		.amdhsa_exception_fp_ieee_invalid_op 0
		.amdhsa_exception_fp_denorm_src 0
		.amdhsa_exception_fp_ieee_div_zero 0
		.amdhsa_exception_fp_ieee_overflow 0
		.amdhsa_exception_fp_ieee_underflow 0
		.amdhsa_exception_fp_ieee_inexact 0
		.amdhsa_exception_int_div_zero 0
	.end_amdhsa_kernel
	.section	.text._ZN7rocprim17ROCPRIM_400000_NS6detail17trampoline_kernelINS0_14default_configENS1_25partition_config_selectorILNS1_17partition_subalgoE0EsNS0_10empty_typeEbEEZZNS1_14partition_implILS5_0ELb0ES3_jN6thrust23THRUST_200600_302600_NS6detail15normal_iteratorINSA_10device_ptrIsEEEEPS6_SG_NS0_5tupleIJNSA_16discard_iteratorINSA_11use_defaultEEESF_EEENSH_IJSG_SG_EEES6_PlJ7is_evenIsEEEE10hipError_tPvRmT3_T4_T5_T6_T7_T9_mT8_P12ihipStream_tbDpT10_ENKUlT_T0_E_clISt17integral_constantIbLb1EES19_EEDaS14_S15_EUlS14_E_NS1_11comp_targetILNS1_3genE3ELNS1_11target_archE908ELNS1_3gpuE7ELNS1_3repE0EEENS1_30default_config_static_selectorELNS0_4arch9wavefront6targetE1EEEvT1_,"axG",@progbits,_ZN7rocprim17ROCPRIM_400000_NS6detail17trampoline_kernelINS0_14default_configENS1_25partition_config_selectorILNS1_17partition_subalgoE0EsNS0_10empty_typeEbEEZZNS1_14partition_implILS5_0ELb0ES3_jN6thrust23THRUST_200600_302600_NS6detail15normal_iteratorINSA_10device_ptrIsEEEEPS6_SG_NS0_5tupleIJNSA_16discard_iteratorINSA_11use_defaultEEESF_EEENSH_IJSG_SG_EEES6_PlJ7is_evenIsEEEE10hipError_tPvRmT3_T4_T5_T6_T7_T9_mT8_P12ihipStream_tbDpT10_ENKUlT_T0_E_clISt17integral_constantIbLb1EES19_EEDaS14_S15_EUlS14_E_NS1_11comp_targetILNS1_3genE3ELNS1_11target_archE908ELNS1_3gpuE7ELNS1_3repE0EEENS1_30default_config_static_selectorELNS0_4arch9wavefront6targetE1EEEvT1_,comdat
.Lfunc_end2854:
	.size	_ZN7rocprim17ROCPRIM_400000_NS6detail17trampoline_kernelINS0_14default_configENS1_25partition_config_selectorILNS1_17partition_subalgoE0EsNS0_10empty_typeEbEEZZNS1_14partition_implILS5_0ELb0ES3_jN6thrust23THRUST_200600_302600_NS6detail15normal_iteratorINSA_10device_ptrIsEEEEPS6_SG_NS0_5tupleIJNSA_16discard_iteratorINSA_11use_defaultEEESF_EEENSH_IJSG_SG_EEES6_PlJ7is_evenIsEEEE10hipError_tPvRmT3_T4_T5_T6_T7_T9_mT8_P12ihipStream_tbDpT10_ENKUlT_T0_E_clISt17integral_constantIbLb1EES19_EEDaS14_S15_EUlS14_E_NS1_11comp_targetILNS1_3genE3ELNS1_11target_archE908ELNS1_3gpuE7ELNS1_3repE0EEENS1_30default_config_static_selectorELNS0_4arch9wavefront6targetE1EEEvT1_, .Lfunc_end2854-_ZN7rocprim17ROCPRIM_400000_NS6detail17trampoline_kernelINS0_14default_configENS1_25partition_config_selectorILNS1_17partition_subalgoE0EsNS0_10empty_typeEbEEZZNS1_14partition_implILS5_0ELb0ES3_jN6thrust23THRUST_200600_302600_NS6detail15normal_iteratorINSA_10device_ptrIsEEEEPS6_SG_NS0_5tupleIJNSA_16discard_iteratorINSA_11use_defaultEEESF_EEENSH_IJSG_SG_EEES6_PlJ7is_evenIsEEEE10hipError_tPvRmT3_T4_T5_T6_T7_T9_mT8_P12ihipStream_tbDpT10_ENKUlT_T0_E_clISt17integral_constantIbLb1EES19_EEDaS14_S15_EUlS14_E_NS1_11comp_targetILNS1_3genE3ELNS1_11target_archE908ELNS1_3gpuE7ELNS1_3repE0EEENS1_30default_config_static_selectorELNS0_4arch9wavefront6targetE1EEEvT1_
                                        ; -- End function
	.section	.AMDGPU.csdata,"",@progbits
; Kernel info:
; codeLenInByte = 0
; NumSgprs: 4
; NumVgprs: 0
; NumAgprs: 0
; TotalNumVgprs: 0
; ScratchSize: 0
; MemoryBound: 0
; FloatMode: 240
; IeeeMode: 1
; LDSByteSize: 0 bytes/workgroup (compile time only)
; SGPRBlocks: 0
; VGPRBlocks: 0
; NumSGPRsForWavesPerEU: 4
; NumVGPRsForWavesPerEU: 1
; AccumOffset: 4
; Occupancy: 8
; WaveLimiterHint : 0
; COMPUTE_PGM_RSRC2:SCRATCH_EN: 0
; COMPUTE_PGM_RSRC2:USER_SGPR: 6
; COMPUTE_PGM_RSRC2:TRAP_HANDLER: 0
; COMPUTE_PGM_RSRC2:TGID_X_EN: 1
; COMPUTE_PGM_RSRC2:TGID_Y_EN: 0
; COMPUTE_PGM_RSRC2:TGID_Z_EN: 0
; COMPUTE_PGM_RSRC2:TIDIG_COMP_CNT: 0
; COMPUTE_PGM_RSRC3_GFX90A:ACCUM_OFFSET: 0
; COMPUTE_PGM_RSRC3_GFX90A:TG_SPLIT: 0
	.section	.text._ZN7rocprim17ROCPRIM_400000_NS6detail17trampoline_kernelINS0_14default_configENS1_25partition_config_selectorILNS1_17partition_subalgoE0EsNS0_10empty_typeEbEEZZNS1_14partition_implILS5_0ELb0ES3_jN6thrust23THRUST_200600_302600_NS6detail15normal_iteratorINSA_10device_ptrIsEEEEPS6_SG_NS0_5tupleIJNSA_16discard_iteratorINSA_11use_defaultEEESF_EEENSH_IJSG_SG_EEES6_PlJ7is_evenIsEEEE10hipError_tPvRmT3_T4_T5_T6_T7_T9_mT8_P12ihipStream_tbDpT10_ENKUlT_T0_E_clISt17integral_constantIbLb1EES19_EEDaS14_S15_EUlS14_E_NS1_11comp_targetILNS1_3genE2ELNS1_11target_archE906ELNS1_3gpuE6ELNS1_3repE0EEENS1_30default_config_static_selectorELNS0_4arch9wavefront6targetE1EEEvT1_,"axG",@progbits,_ZN7rocprim17ROCPRIM_400000_NS6detail17trampoline_kernelINS0_14default_configENS1_25partition_config_selectorILNS1_17partition_subalgoE0EsNS0_10empty_typeEbEEZZNS1_14partition_implILS5_0ELb0ES3_jN6thrust23THRUST_200600_302600_NS6detail15normal_iteratorINSA_10device_ptrIsEEEEPS6_SG_NS0_5tupleIJNSA_16discard_iteratorINSA_11use_defaultEEESF_EEENSH_IJSG_SG_EEES6_PlJ7is_evenIsEEEE10hipError_tPvRmT3_T4_T5_T6_T7_T9_mT8_P12ihipStream_tbDpT10_ENKUlT_T0_E_clISt17integral_constantIbLb1EES19_EEDaS14_S15_EUlS14_E_NS1_11comp_targetILNS1_3genE2ELNS1_11target_archE906ELNS1_3gpuE6ELNS1_3repE0EEENS1_30default_config_static_selectorELNS0_4arch9wavefront6targetE1EEEvT1_,comdat
	.protected	_ZN7rocprim17ROCPRIM_400000_NS6detail17trampoline_kernelINS0_14default_configENS1_25partition_config_selectorILNS1_17partition_subalgoE0EsNS0_10empty_typeEbEEZZNS1_14partition_implILS5_0ELb0ES3_jN6thrust23THRUST_200600_302600_NS6detail15normal_iteratorINSA_10device_ptrIsEEEEPS6_SG_NS0_5tupleIJNSA_16discard_iteratorINSA_11use_defaultEEESF_EEENSH_IJSG_SG_EEES6_PlJ7is_evenIsEEEE10hipError_tPvRmT3_T4_T5_T6_T7_T9_mT8_P12ihipStream_tbDpT10_ENKUlT_T0_E_clISt17integral_constantIbLb1EES19_EEDaS14_S15_EUlS14_E_NS1_11comp_targetILNS1_3genE2ELNS1_11target_archE906ELNS1_3gpuE6ELNS1_3repE0EEENS1_30default_config_static_selectorELNS0_4arch9wavefront6targetE1EEEvT1_ ; -- Begin function _ZN7rocprim17ROCPRIM_400000_NS6detail17trampoline_kernelINS0_14default_configENS1_25partition_config_selectorILNS1_17partition_subalgoE0EsNS0_10empty_typeEbEEZZNS1_14partition_implILS5_0ELb0ES3_jN6thrust23THRUST_200600_302600_NS6detail15normal_iteratorINSA_10device_ptrIsEEEEPS6_SG_NS0_5tupleIJNSA_16discard_iteratorINSA_11use_defaultEEESF_EEENSH_IJSG_SG_EEES6_PlJ7is_evenIsEEEE10hipError_tPvRmT3_T4_T5_T6_T7_T9_mT8_P12ihipStream_tbDpT10_ENKUlT_T0_E_clISt17integral_constantIbLb1EES19_EEDaS14_S15_EUlS14_E_NS1_11comp_targetILNS1_3genE2ELNS1_11target_archE906ELNS1_3gpuE6ELNS1_3repE0EEENS1_30default_config_static_selectorELNS0_4arch9wavefront6targetE1EEEvT1_
	.globl	_ZN7rocprim17ROCPRIM_400000_NS6detail17trampoline_kernelINS0_14default_configENS1_25partition_config_selectorILNS1_17partition_subalgoE0EsNS0_10empty_typeEbEEZZNS1_14partition_implILS5_0ELb0ES3_jN6thrust23THRUST_200600_302600_NS6detail15normal_iteratorINSA_10device_ptrIsEEEEPS6_SG_NS0_5tupleIJNSA_16discard_iteratorINSA_11use_defaultEEESF_EEENSH_IJSG_SG_EEES6_PlJ7is_evenIsEEEE10hipError_tPvRmT3_T4_T5_T6_T7_T9_mT8_P12ihipStream_tbDpT10_ENKUlT_T0_E_clISt17integral_constantIbLb1EES19_EEDaS14_S15_EUlS14_E_NS1_11comp_targetILNS1_3genE2ELNS1_11target_archE906ELNS1_3gpuE6ELNS1_3repE0EEENS1_30default_config_static_selectorELNS0_4arch9wavefront6targetE1EEEvT1_
	.p2align	8
	.type	_ZN7rocprim17ROCPRIM_400000_NS6detail17trampoline_kernelINS0_14default_configENS1_25partition_config_selectorILNS1_17partition_subalgoE0EsNS0_10empty_typeEbEEZZNS1_14partition_implILS5_0ELb0ES3_jN6thrust23THRUST_200600_302600_NS6detail15normal_iteratorINSA_10device_ptrIsEEEEPS6_SG_NS0_5tupleIJNSA_16discard_iteratorINSA_11use_defaultEEESF_EEENSH_IJSG_SG_EEES6_PlJ7is_evenIsEEEE10hipError_tPvRmT3_T4_T5_T6_T7_T9_mT8_P12ihipStream_tbDpT10_ENKUlT_T0_E_clISt17integral_constantIbLb1EES19_EEDaS14_S15_EUlS14_E_NS1_11comp_targetILNS1_3genE2ELNS1_11target_archE906ELNS1_3gpuE6ELNS1_3repE0EEENS1_30default_config_static_selectorELNS0_4arch9wavefront6targetE1EEEvT1_,@function
_ZN7rocprim17ROCPRIM_400000_NS6detail17trampoline_kernelINS0_14default_configENS1_25partition_config_selectorILNS1_17partition_subalgoE0EsNS0_10empty_typeEbEEZZNS1_14partition_implILS5_0ELb0ES3_jN6thrust23THRUST_200600_302600_NS6detail15normal_iteratorINSA_10device_ptrIsEEEEPS6_SG_NS0_5tupleIJNSA_16discard_iteratorINSA_11use_defaultEEESF_EEENSH_IJSG_SG_EEES6_PlJ7is_evenIsEEEE10hipError_tPvRmT3_T4_T5_T6_T7_T9_mT8_P12ihipStream_tbDpT10_ENKUlT_T0_E_clISt17integral_constantIbLb1EES19_EEDaS14_S15_EUlS14_E_NS1_11comp_targetILNS1_3genE2ELNS1_11target_archE906ELNS1_3gpuE6ELNS1_3repE0EEENS1_30default_config_static_selectorELNS0_4arch9wavefront6targetE1EEEvT1_: ; @_ZN7rocprim17ROCPRIM_400000_NS6detail17trampoline_kernelINS0_14default_configENS1_25partition_config_selectorILNS1_17partition_subalgoE0EsNS0_10empty_typeEbEEZZNS1_14partition_implILS5_0ELb0ES3_jN6thrust23THRUST_200600_302600_NS6detail15normal_iteratorINSA_10device_ptrIsEEEEPS6_SG_NS0_5tupleIJNSA_16discard_iteratorINSA_11use_defaultEEESF_EEENSH_IJSG_SG_EEES6_PlJ7is_evenIsEEEE10hipError_tPvRmT3_T4_T5_T6_T7_T9_mT8_P12ihipStream_tbDpT10_ENKUlT_T0_E_clISt17integral_constantIbLb1EES19_EEDaS14_S15_EUlS14_E_NS1_11comp_targetILNS1_3genE2ELNS1_11target_archE906ELNS1_3gpuE6ELNS1_3repE0EEENS1_30default_config_static_selectorELNS0_4arch9wavefront6targetE1EEEvT1_
; %bb.0:
	.section	.rodata,"a",@progbits
	.p2align	6, 0x0
	.amdhsa_kernel _ZN7rocprim17ROCPRIM_400000_NS6detail17trampoline_kernelINS0_14default_configENS1_25partition_config_selectorILNS1_17partition_subalgoE0EsNS0_10empty_typeEbEEZZNS1_14partition_implILS5_0ELb0ES3_jN6thrust23THRUST_200600_302600_NS6detail15normal_iteratorINSA_10device_ptrIsEEEEPS6_SG_NS0_5tupleIJNSA_16discard_iteratorINSA_11use_defaultEEESF_EEENSH_IJSG_SG_EEES6_PlJ7is_evenIsEEEE10hipError_tPvRmT3_T4_T5_T6_T7_T9_mT8_P12ihipStream_tbDpT10_ENKUlT_T0_E_clISt17integral_constantIbLb1EES19_EEDaS14_S15_EUlS14_E_NS1_11comp_targetILNS1_3genE2ELNS1_11target_archE906ELNS1_3gpuE6ELNS1_3repE0EEENS1_30default_config_static_selectorELNS0_4arch9wavefront6targetE1EEEvT1_
		.amdhsa_group_segment_fixed_size 0
		.amdhsa_private_segment_fixed_size 0
		.amdhsa_kernarg_size 144
		.amdhsa_user_sgpr_count 6
		.amdhsa_user_sgpr_private_segment_buffer 1
		.amdhsa_user_sgpr_dispatch_ptr 0
		.amdhsa_user_sgpr_queue_ptr 0
		.amdhsa_user_sgpr_kernarg_segment_ptr 1
		.amdhsa_user_sgpr_dispatch_id 0
		.amdhsa_user_sgpr_flat_scratch_init 0
		.amdhsa_user_sgpr_kernarg_preload_length 0
		.amdhsa_user_sgpr_kernarg_preload_offset 0
		.amdhsa_user_sgpr_private_segment_size 0
		.amdhsa_uses_dynamic_stack 0
		.amdhsa_system_sgpr_private_segment_wavefront_offset 0
		.amdhsa_system_sgpr_workgroup_id_x 1
		.amdhsa_system_sgpr_workgroup_id_y 0
		.amdhsa_system_sgpr_workgroup_id_z 0
		.amdhsa_system_sgpr_workgroup_info 0
		.amdhsa_system_vgpr_workitem_id 0
		.amdhsa_next_free_vgpr 1
		.amdhsa_next_free_sgpr 0
		.amdhsa_accum_offset 4
		.amdhsa_reserve_vcc 0
		.amdhsa_reserve_flat_scratch 0
		.amdhsa_float_round_mode_32 0
		.amdhsa_float_round_mode_16_64 0
		.amdhsa_float_denorm_mode_32 3
		.amdhsa_float_denorm_mode_16_64 3
		.amdhsa_dx10_clamp 1
		.amdhsa_ieee_mode 1
		.amdhsa_fp16_overflow 0
		.amdhsa_tg_split 0
		.amdhsa_exception_fp_ieee_invalid_op 0
		.amdhsa_exception_fp_denorm_src 0
		.amdhsa_exception_fp_ieee_div_zero 0
		.amdhsa_exception_fp_ieee_overflow 0
		.amdhsa_exception_fp_ieee_underflow 0
		.amdhsa_exception_fp_ieee_inexact 0
		.amdhsa_exception_int_div_zero 0
	.end_amdhsa_kernel
	.section	.text._ZN7rocprim17ROCPRIM_400000_NS6detail17trampoline_kernelINS0_14default_configENS1_25partition_config_selectorILNS1_17partition_subalgoE0EsNS0_10empty_typeEbEEZZNS1_14partition_implILS5_0ELb0ES3_jN6thrust23THRUST_200600_302600_NS6detail15normal_iteratorINSA_10device_ptrIsEEEEPS6_SG_NS0_5tupleIJNSA_16discard_iteratorINSA_11use_defaultEEESF_EEENSH_IJSG_SG_EEES6_PlJ7is_evenIsEEEE10hipError_tPvRmT3_T4_T5_T6_T7_T9_mT8_P12ihipStream_tbDpT10_ENKUlT_T0_E_clISt17integral_constantIbLb1EES19_EEDaS14_S15_EUlS14_E_NS1_11comp_targetILNS1_3genE2ELNS1_11target_archE906ELNS1_3gpuE6ELNS1_3repE0EEENS1_30default_config_static_selectorELNS0_4arch9wavefront6targetE1EEEvT1_,"axG",@progbits,_ZN7rocprim17ROCPRIM_400000_NS6detail17trampoline_kernelINS0_14default_configENS1_25partition_config_selectorILNS1_17partition_subalgoE0EsNS0_10empty_typeEbEEZZNS1_14partition_implILS5_0ELb0ES3_jN6thrust23THRUST_200600_302600_NS6detail15normal_iteratorINSA_10device_ptrIsEEEEPS6_SG_NS0_5tupleIJNSA_16discard_iteratorINSA_11use_defaultEEESF_EEENSH_IJSG_SG_EEES6_PlJ7is_evenIsEEEE10hipError_tPvRmT3_T4_T5_T6_T7_T9_mT8_P12ihipStream_tbDpT10_ENKUlT_T0_E_clISt17integral_constantIbLb1EES19_EEDaS14_S15_EUlS14_E_NS1_11comp_targetILNS1_3genE2ELNS1_11target_archE906ELNS1_3gpuE6ELNS1_3repE0EEENS1_30default_config_static_selectorELNS0_4arch9wavefront6targetE1EEEvT1_,comdat
.Lfunc_end2855:
	.size	_ZN7rocprim17ROCPRIM_400000_NS6detail17trampoline_kernelINS0_14default_configENS1_25partition_config_selectorILNS1_17partition_subalgoE0EsNS0_10empty_typeEbEEZZNS1_14partition_implILS5_0ELb0ES3_jN6thrust23THRUST_200600_302600_NS6detail15normal_iteratorINSA_10device_ptrIsEEEEPS6_SG_NS0_5tupleIJNSA_16discard_iteratorINSA_11use_defaultEEESF_EEENSH_IJSG_SG_EEES6_PlJ7is_evenIsEEEE10hipError_tPvRmT3_T4_T5_T6_T7_T9_mT8_P12ihipStream_tbDpT10_ENKUlT_T0_E_clISt17integral_constantIbLb1EES19_EEDaS14_S15_EUlS14_E_NS1_11comp_targetILNS1_3genE2ELNS1_11target_archE906ELNS1_3gpuE6ELNS1_3repE0EEENS1_30default_config_static_selectorELNS0_4arch9wavefront6targetE1EEEvT1_, .Lfunc_end2855-_ZN7rocprim17ROCPRIM_400000_NS6detail17trampoline_kernelINS0_14default_configENS1_25partition_config_selectorILNS1_17partition_subalgoE0EsNS0_10empty_typeEbEEZZNS1_14partition_implILS5_0ELb0ES3_jN6thrust23THRUST_200600_302600_NS6detail15normal_iteratorINSA_10device_ptrIsEEEEPS6_SG_NS0_5tupleIJNSA_16discard_iteratorINSA_11use_defaultEEESF_EEENSH_IJSG_SG_EEES6_PlJ7is_evenIsEEEE10hipError_tPvRmT3_T4_T5_T6_T7_T9_mT8_P12ihipStream_tbDpT10_ENKUlT_T0_E_clISt17integral_constantIbLb1EES19_EEDaS14_S15_EUlS14_E_NS1_11comp_targetILNS1_3genE2ELNS1_11target_archE906ELNS1_3gpuE6ELNS1_3repE0EEENS1_30default_config_static_selectorELNS0_4arch9wavefront6targetE1EEEvT1_
                                        ; -- End function
	.section	.AMDGPU.csdata,"",@progbits
; Kernel info:
; codeLenInByte = 0
; NumSgprs: 4
; NumVgprs: 0
; NumAgprs: 0
; TotalNumVgprs: 0
; ScratchSize: 0
; MemoryBound: 0
; FloatMode: 240
; IeeeMode: 1
; LDSByteSize: 0 bytes/workgroup (compile time only)
; SGPRBlocks: 0
; VGPRBlocks: 0
; NumSGPRsForWavesPerEU: 4
; NumVGPRsForWavesPerEU: 1
; AccumOffset: 4
; Occupancy: 8
; WaveLimiterHint : 0
; COMPUTE_PGM_RSRC2:SCRATCH_EN: 0
; COMPUTE_PGM_RSRC2:USER_SGPR: 6
; COMPUTE_PGM_RSRC2:TRAP_HANDLER: 0
; COMPUTE_PGM_RSRC2:TGID_X_EN: 1
; COMPUTE_PGM_RSRC2:TGID_Y_EN: 0
; COMPUTE_PGM_RSRC2:TGID_Z_EN: 0
; COMPUTE_PGM_RSRC2:TIDIG_COMP_CNT: 0
; COMPUTE_PGM_RSRC3_GFX90A:ACCUM_OFFSET: 0
; COMPUTE_PGM_RSRC3_GFX90A:TG_SPLIT: 0
	.section	.text._ZN7rocprim17ROCPRIM_400000_NS6detail17trampoline_kernelINS0_14default_configENS1_25partition_config_selectorILNS1_17partition_subalgoE0EsNS0_10empty_typeEbEEZZNS1_14partition_implILS5_0ELb0ES3_jN6thrust23THRUST_200600_302600_NS6detail15normal_iteratorINSA_10device_ptrIsEEEEPS6_SG_NS0_5tupleIJNSA_16discard_iteratorINSA_11use_defaultEEESF_EEENSH_IJSG_SG_EEES6_PlJ7is_evenIsEEEE10hipError_tPvRmT3_T4_T5_T6_T7_T9_mT8_P12ihipStream_tbDpT10_ENKUlT_T0_E_clISt17integral_constantIbLb1EES19_EEDaS14_S15_EUlS14_E_NS1_11comp_targetILNS1_3genE10ELNS1_11target_archE1200ELNS1_3gpuE4ELNS1_3repE0EEENS1_30default_config_static_selectorELNS0_4arch9wavefront6targetE1EEEvT1_,"axG",@progbits,_ZN7rocprim17ROCPRIM_400000_NS6detail17trampoline_kernelINS0_14default_configENS1_25partition_config_selectorILNS1_17partition_subalgoE0EsNS0_10empty_typeEbEEZZNS1_14partition_implILS5_0ELb0ES3_jN6thrust23THRUST_200600_302600_NS6detail15normal_iteratorINSA_10device_ptrIsEEEEPS6_SG_NS0_5tupleIJNSA_16discard_iteratorINSA_11use_defaultEEESF_EEENSH_IJSG_SG_EEES6_PlJ7is_evenIsEEEE10hipError_tPvRmT3_T4_T5_T6_T7_T9_mT8_P12ihipStream_tbDpT10_ENKUlT_T0_E_clISt17integral_constantIbLb1EES19_EEDaS14_S15_EUlS14_E_NS1_11comp_targetILNS1_3genE10ELNS1_11target_archE1200ELNS1_3gpuE4ELNS1_3repE0EEENS1_30default_config_static_selectorELNS0_4arch9wavefront6targetE1EEEvT1_,comdat
	.protected	_ZN7rocprim17ROCPRIM_400000_NS6detail17trampoline_kernelINS0_14default_configENS1_25partition_config_selectorILNS1_17partition_subalgoE0EsNS0_10empty_typeEbEEZZNS1_14partition_implILS5_0ELb0ES3_jN6thrust23THRUST_200600_302600_NS6detail15normal_iteratorINSA_10device_ptrIsEEEEPS6_SG_NS0_5tupleIJNSA_16discard_iteratorINSA_11use_defaultEEESF_EEENSH_IJSG_SG_EEES6_PlJ7is_evenIsEEEE10hipError_tPvRmT3_T4_T5_T6_T7_T9_mT8_P12ihipStream_tbDpT10_ENKUlT_T0_E_clISt17integral_constantIbLb1EES19_EEDaS14_S15_EUlS14_E_NS1_11comp_targetILNS1_3genE10ELNS1_11target_archE1200ELNS1_3gpuE4ELNS1_3repE0EEENS1_30default_config_static_selectorELNS0_4arch9wavefront6targetE1EEEvT1_ ; -- Begin function _ZN7rocprim17ROCPRIM_400000_NS6detail17trampoline_kernelINS0_14default_configENS1_25partition_config_selectorILNS1_17partition_subalgoE0EsNS0_10empty_typeEbEEZZNS1_14partition_implILS5_0ELb0ES3_jN6thrust23THRUST_200600_302600_NS6detail15normal_iteratorINSA_10device_ptrIsEEEEPS6_SG_NS0_5tupleIJNSA_16discard_iteratorINSA_11use_defaultEEESF_EEENSH_IJSG_SG_EEES6_PlJ7is_evenIsEEEE10hipError_tPvRmT3_T4_T5_T6_T7_T9_mT8_P12ihipStream_tbDpT10_ENKUlT_T0_E_clISt17integral_constantIbLb1EES19_EEDaS14_S15_EUlS14_E_NS1_11comp_targetILNS1_3genE10ELNS1_11target_archE1200ELNS1_3gpuE4ELNS1_3repE0EEENS1_30default_config_static_selectorELNS0_4arch9wavefront6targetE1EEEvT1_
	.globl	_ZN7rocprim17ROCPRIM_400000_NS6detail17trampoline_kernelINS0_14default_configENS1_25partition_config_selectorILNS1_17partition_subalgoE0EsNS0_10empty_typeEbEEZZNS1_14partition_implILS5_0ELb0ES3_jN6thrust23THRUST_200600_302600_NS6detail15normal_iteratorINSA_10device_ptrIsEEEEPS6_SG_NS0_5tupleIJNSA_16discard_iteratorINSA_11use_defaultEEESF_EEENSH_IJSG_SG_EEES6_PlJ7is_evenIsEEEE10hipError_tPvRmT3_T4_T5_T6_T7_T9_mT8_P12ihipStream_tbDpT10_ENKUlT_T0_E_clISt17integral_constantIbLb1EES19_EEDaS14_S15_EUlS14_E_NS1_11comp_targetILNS1_3genE10ELNS1_11target_archE1200ELNS1_3gpuE4ELNS1_3repE0EEENS1_30default_config_static_selectorELNS0_4arch9wavefront6targetE1EEEvT1_
	.p2align	8
	.type	_ZN7rocprim17ROCPRIM_400000_NS6detail17trampoline_kernelINS0_14default_configENS1_25partition_config_selectorILNS1_17partition_subalgoE0EsNS0_10empty_typeEbEEZZNS1_14partition_implILS5_0ELb0ES3_jN6thrust23THRUST_200600_302600_NS6detail15normal_iteratorINSA_10device_ptrIsEEEEPS6_SG_NS0_5tupleIJNSA_16discard_iteratorINSA_11use_defaultEEESF_EEENSH_IJSG_SG_EEES6_PlJ7is_evenIsEEEE10hipError_tPvRmT3_T4_T5_T6_T7_T9_mT8_P12ihipStream_tbDpT10_ENKUlT_T0_E_clISt17integral_constantIbLb1EES19_EEDaS14_S15_EUlS14_E_NS1_11comp_targetILNS1_3genE10ELNS1_11target_archE1200ELNS1_3gpuE4ELNS1_3repE0EEENS1_30default_config_static_selectorELNS0_4arch9wavefront6targetE1EEEvT1_,@function
_ZN7rocprim17ROCPRIM_400000_NS6detail17trampoline_kernelINS0_14default_configENS1_25partition_config_selectorILNS1_17partition_subalgoE0EsNS0_10empty_typeEbEEZZNS1_14partition_implILS5_0ELb0ES3_jN6thrust23THRUST_200600_302600_NS6detail15normal_iteratorINSA_10device_ptrIsEEEEPS6_SG_NS0_5tupleIJNSA_16discard_iteratorINSA_11use_defaultEEESF_EEENSH_IJSG_SG_EEES6_PlJ7is_evenIsEEEE10hipError_tPvRmT3_T4_T5_T6_T7_T9_mT8_P12ihipStream_tbDpT10_ENKUlT_T0_E_clISt17integral_constantIbLb1EES19_EEDaS14_S15_EUlS14_E_NS1_11comp_targetILNS1_3genE10ELNS1_11target_archE1200ELNS1_3gpuE4ELNS1_3repE0EEENS1_30default_config_static_selectorELNS0_4arch9wavefront6targetE1EEEvT1_: ; @_ZN7rocprim17ROCPRIM_400000_NS6detail17trampoline_kernelINS0_14default_configENS1_25partition_config_selectorILNS1_17partition_subalgoE0EsNS0_10empty_typeEbEEZZNS1_14partition_implILS5_0ELb0ES3_jN6thrust23THRUST_200600_302600_NS6detail15normal_iteratorINSA_10device_ptrIsEEEEPS6_SG_NS0_5tupleIJNSA_16discard_iteratorINSA_11use_defaultEEESF_EEENSH_IJSG_SG_EEES6_PlJ7is_evenIsEEEE10hipError_tPvRmT3_T4_T5_T6_T7_T9_mT8_P12ihipStream_tbDpT10_ENKUlT_T0_E_clISt17integral_constantIbLb1EES19_EEDaS14_S15_EUlS14_E_NS1_11comp_targetILNS1_3genE10ELNS1_11target_archE1200ELNS1_3gpuE4ELNS1_3repE0EEENS1_30default_config_static_selectorELNS0_4arch9wavefront6targetE1EEEvT1_
; %bb.0:
	.section	.rodata,"a",@progbits
	.p2align	6, 0x0
	.amdhsa_kernel _ZN7rocprim17ROCPRIM_400000_NS6detail17trampoline_kernelINS0_14default_configENS1_25partition_config_selectorILNS1_17partition_subalgoE0EsNS0_10empty_typeEbEEZZNS1_14partition_implILS5_0ELb0ES3_jN6thrust23THRUST_200600_302600_NS6detail15normal_iteratorINSA_10device_ptrIsEEEEPS6_SG_NS0_5tupleIJNSA_16discard_iteratorINSA_11use_defaultEEESF_EEENSH_IJSG_SG_EEES6_PlJ7is_evenIsEEEE10hipError_tPvRmT3_T4_T5_T6_T7_T9_mT8_P12ihipStream_tbDpT10_ENKUlT_T0_E_clISt17integral_constantIbLb1EES19_EEDaS14_S15_EUlS14_E_NS1_11comp_targetILNS1_3genE10ELNS1_11target_archE1200ELNS1_3gpuE4ELNS1_3repE0EEENS1_30default_config_static_selectorELNS0_4arch9wavefront6targetE1EEEvT1_
		.amdhsa_group_segment_fixed_size 0
		.amdhsa_private_segment_fixed_size 0
		.amdhsa_kernarg_size 144
		.amdhsa_user_sgpr_count 6
		.amdhsa_user_sgpr_private_segment_buffer 1
		.amdhsa_user_sgpr_dispatch_ptr 0
		.amdhsa_user_sgpr_queue_ptr 0
		.amdhsa_user_sgpr_kernarg_segment_ptr 1
		.amdhsa_user_sgpr_dispatch_id 0
		.amdhsa_user_sgpr_flat_scratch_init 0
		.amdhsa_user_sgpr_kernarg_preload_length 0
		.amdhsa_user_sgpr_kernarg_preload_offset 0
		.amdhsa_user_sgpr_private_segment_size 0
		.amdhsa_uses_dynamic_stack 0
		.amdhsa_system_sgpr_private_segment_wavefront_offset 0
		.amdhsa_system_sgpr_workgroup_id_x 1
		.amdhsa_system_sgpr_workgroup_id_y 0
		.amdhsa_system_sgpr_workgroup_id_z 0
		.amdhsa_system_sgpr_workgroup_info 0
		.amdhsa_system_vgpr_workitem_id 0
		.amdhsa_next_free_vgpr 1
		.amdhsa_next_free_sgpr 0
		.amdhsa_accum_offset 4
		.amdhsa_reserve_vcc 0
		.amdhsa_reserve_flat_scratch 0
		.amdhsa_float_round_mode_32 0
		.amdhsa_float_round_mode_16_64 0
		.amdhsa_float_denorm_mode_32 3
		.amdhsa_float_denorm_mode_16_64 3
		.amdhsa_dx10_clamp 1
		.amdhsa_ieee_mode 1
		.amdhsa_fp16_overflow 0
		.amdhsa_tg_split 0
		.amdhsa_exception_fp_ieee_invalid_op 0
		.amdhsa_exception_fp_denorm_src 0
		.amdhsa_exception_fp_ieee_div_zero 0
		.amdhsa_exception_fp_ieee_overflow 0
		.amdhsa_exception_fp_ieee_underflow 0
		.amdhsa_exception_fp_ieee_inexact 0
		.amdhsa_exception_int_div_zero 0
	.end_amdhsa_kernel
	.section	.text._ZN7rocprim17ROCPRIM_400000_NS6detail17trampoline_kernelINS0_14default_configENS1_25partition_config_selectorILNS1_17partition_subalgoE0EsNS0_10empty_typeEbEEZZNS1_14partition_implILS5_0ELb0ES3_jN6thrust23THRUST_200600_302600_NS6detail15normal_iteratorINSA_10device_ptrIsEEEEPS6_SG_NS0_5tupleIJNSA_16discard_iteratorINSA_11use_defaultEEESF_EEENSH_IJSG_SG_EEES6_PlJ7is_evenIsEEEE10hipError_tPvRmT3_T4_T5_T6_T7_T9_mT8_P12ihipStream_tbDpT10_ENKUlT_T0_E_clISt17integral_constantIbLb1EES19_EEDaS14_S15_EUlS14_E_NS1_11comp_targetILNS1_3genE10ELNS1_11target_archE1200ELNS1_3gpuE4ELNS1_3repE0EEENS1_30default_config_static_selectorELNS0_4arch9wavefront6targetE1EEEvT1_,"axG",@progbits,_ZN7rocprim17ROCPRIM_400000_NS6detail17trampoline_kernelINS0_14default_configENS1_25partition_config_selectorILNS1_17partition_subalgoE0EsNS0_10empty_typeEbEEZZNS1_14partition_implILS5_0ELb0ES3_jN6thrust23THRUST_200600_302600_NS6detail15normal_iteratorINSA_10device_ptrIsEEEEPS6_SG_NS0_5tupleIJNSA_16discard_iteratorINSA_11use_defaultEEESF_EEENSH_IJSG_SG_EEES6_PlJ7is_evenIsEEEE10hipError_tPvRmT3_T4_T5_T6_T7_T9_mT8_P12ihipStream_tbDpT10_ENKUlT_T0_E_clISt17integral_constantIbLb1EES19_EEDaS14_S15_EUlS14_E_NS1_11comp_targetILNS1_3genE10ELNS1_11target_archE1200ELNS1_3gpuE4ELNS1_3repE0EEENS1_30default_config_static_selectorELNS0_4arch9wavefront6targetE1EEEvT1_,comdat
.Lfunc_end2856:
	.size	_ZN7rocprim17ROCPRIM_400000_NS6detail17trampoline_kernelINS0_14default_configENS1_25partition_config_selectorILNS1_17partition_subalgoE0EsNS0_10empty_typeEbEEZZNS1_14partition_implILS5_0ELb0ES3_jN6thrust23THRUST_200600_302600_NS6detail15normal_iteratorINSA_10device_ptrIsEEEEPS6_SG_NS0_5tupleIJNSA_16discard_iteratorINSA_11use_defaultEEESF_EEENSH_IJSG_SG_EEES6_PlJ7is_evenIsEEEE10hipError_tPvRmT3_T4_T5_T6_T7_T9_mT8_P12ihipStream_tbDpT10_ENKUlT_T0_E_clISt17integral_constantIbLb1EES19_EEDaS14_S15_EUlS14_E_NS1_11comp_targetILNS1_3genE10ELNS1_11target_archE1200ELNS1_3gpuE4ELNS1_3repE0EEENS1_30default_config_static_selectorELNS0_4arch9wavefront6targetE1EEEvT1_, .Lfunc_end2856-_ZN7rocprim17ROCPRIM_400000_NS6detail17trampoline_kernelINS0_14default_configENS1_25partition_config_selectorILNS1_17partition_subalgoE0EsNS0_10empty_typeEbEEZZNS1_14partition_implILS5_0ELb0ES3_jN6thrust23THRUST_200600_302600_NS6detail15normal_iteratorINSA_10device_ptrIsEEEEPS6_SG_NS0_5tupleIJNSA_16discard_iteratorINSA_11use_defaultEEESF_EEENSH_IJSG_SG_EEES6_PlJ7is_evenIsEEEE10hipError_tPvRmT3_T4_T5_T6_T7_T9_mT8_P12ihipStream_tbDpT10_ENKUlT_T0_E_clISt17integral_constantIbLb1EES19_EEDaS14_S15_EUlS14_E_NS1_11comp_targetILNS1_3genE10ELNS1_11target_archE1200ELNS1_3gpuE4ELNS1_3repE0EEENS1_30default_config_static_selectorELNS0_4arch9wavefront6targetE1EEEvT1_
                                        ; -- End function
	.section	.AMDGPU.csdata,"",@progbits
; Kernel info:
; codeLenInByte = 0
; NumSgprs: 4
; NumVgprs: 0
; NumAgprs: 0
; TotalNumVgprs: 0
; ScratchSize: 0
; MemoryBound: 0
; FloatMode: 240
; IeeeMode: 1
; LDSByteSize: 0 bytes/workgroup (compile time only)
; SGPRBlocks: 0
; VGPRBlocks: 0
; NumSGPRsForWavesPerEU: 4
; NumVGPRsForWavesPerEU: 1
; AccumOffset: 4
; Occupancy: 8
; WaveLimiterHint : 0
; COMPUTE_PGM_RSRC2:SCRATCH_EN: 0
; COMPUTE_PGM_RSRC2:USER_SGPR: 6
; COMPUTE_PGM_RSRC2:TRAP_HANDLER: 0
; COMPUTE_PGM_RSRC2:TGID_X_EN: 1
; COMPUTE_PGM_RSRC2:TGID_Y_EN: 0
; COMPUTE_PGM_RSRC2:TGID_Z_EN: 0
; COMPUTE_PGM_RSRC2:TIDIG_COMP_CNT: 0
; COMPUTE_PGM_RSRC3_GFX90A:ACCUM_OFFSET: 0
; COMPUTE_PGM_RSRC3_GFX90A:TG_SPLIT: 0
	.section	.text._ZN7rocprim17ROCPRIM_400000_NS6detail17trampoline_kernelINS0_14default_configENS1_25partition_config_selectorILNS1_17partition_subalgoE0EsNS0_10empty_typeEbEEZZNS1_14partition_implILS5_0ELb0ES3_jN6thrust23THRUST_200600_302600_NS6detail15normal_iteratorINSA_10device_ptrIsEEEEPS6_SG_NS0_5tupleIJNSA_16discard_iteratorINSA_11use_defaultEEESF_EEENSH_IJSG_SG_EEES6_PlJ7is_evenIsEEEE10hipError_tPvRmT3_T4_T5_T6_T7_T9_mT8_P12ihipStream_tbDpT10_ENKUlT_T0_E_clISt17integral_constantIbLb1EES19_EEDaS14_S15_EUlS14_E_NS1_11comp_targetILNS1_3genE9ELNS1_11target_archE1100ELNS1_3gpuE3ELNS1_3repE0EEENS1_30default_config_static_selectorELNS0_4arch9wavefront6targetE1EEEvT1_,"axG",@progbits,_ZN7rocprim17ROCPRIM_400000_NS6detail17trampoline_kernelINS0_14default_configENS1_25partition_config_selectorILNS1_17partition_subalgoE0EsNS0_10empty_typeEbEEZZNS1_14partition_implILS5_0ELb0ES3_jN6thrust23THRUST_200600_302600_NS6detail15normal_iteratorINSA_10device_ptrIsEEEEPS6_SG_NS0_5tupleIJNSA_16discard_iteratorINSA_11use_defaultEEESF_EEENSH_IJSG_SG_EEES6_PlJ7is_evenIsEEEE10hipError_tPvRmT3_T4_T5_T6_T7_T9_mT8_P12ihipStream_tbDpT10_ENKUlT_T0_E_clISt17integral_constantIbLb1EES19_EEDaS14_S15_EUlS14_E_NS1_11comp_targetILNS1_3genE9ELNS1_11target_archE1100ELNS1_3gpuE3ELNS1_3repE0EEENS1_30default_config_static_selectorELNS0_4arch9wavefront6targetE1EEEvT1_,comdat
	.protected	_ZN7rocprim17ROCPRIM_400000_NS6detail17trampoline_kernelINS0_14default_configENS1_25partition_config_selectorILNS1_17partition_subalgoE0EsNS0_10empty_typeEbEEZZNS1_14partition_implILS5_0ELb0ES3_jN6thrust23THRUST_200600_302600_NS6detail15normal_iteratorINSA_10device_ptrIsEEEEPS6_SG_NS0_5tupleIJNSA_16discard_iteratorINSA_11use_defaultEEESF_EEENSH_IJSG_SG_EEES6_PlJ7is_evenIsEEEE10hipError_tPvRmT3_T4_T5_T6_T7_T9_mT8_P12ihipStream_tbDpT10_ENKUlT_T0_E_clISt17integral_constantIbLb1EES19_EEDaS14_S15_EUlS14_E_NS1_11comp_targetILNS1_3genE9ELNS1_11target_archE1100ELNS1_3gpuE3ELNS1_3repE0EEENS1_30default_config_static_selectorELNS0_4arch9wavefront6targetE1EEEvT1_ ; -- Begin function _ZN7rocprim17ROCPRIM_400000_NS6detail17trampoline_kernelINS0_14default_configENS1_25partition_config_selectorILNS1_17partition_subalgoE0EsNS0_10empty_typeEbEEZZNS1_14partition_implILS5_0ELb0ES3_jN6thrust23THRUST_200600_302600_NS6detail15normal_iteratorINSA_10device_ptrIsEEEEPS6_SG_NS0_5tupleIJNSA_16discard_iteratorINSA_11use_defaultEEESF_EEENSH_IJSG_SG_EEES6_PlJ7is_evenIsEEEE10hipError_tPvRmT3_T4_T5_T6_T7_T9_mT8_P12ihipStream_tbDpT10_ENKUlT_T0_E_clISt17integral_constantIbLb1EES19_EEDaS14_S15_EUlS14_E_NS1_11comp_targetILNS1_3genE9ELNS1_11target_archE1100ELNS1_3gpuE3ELNS1_3repE0EEENS1_30default_config_static_selectorELNS0_4arch9wavefront6targetE1EEEvT1_
	.globl	_ZN7rocprim17ROCPRIM_400000_NS6detail17trampoline_kernelINS0_14default_configENS1_25partition_config_selectorILNS1_17partition_subalgoE0EsNS0_10empty_typeEbEEZZNS1_14partition_implILS5_0ELb0ES3_jN6thrust23THRUST_200600_302600_NS6detail15normal_iteratorINSA_10device_ptrIsEEEEPS6_SG_NS0_5tupleIJNSA_16discard_iteratorINSA_11use_defaultEEESF_EEENSH_IJSG_SG_EEES6_PlJ7is_evenIsEEEE10hipError_tPvRmT3_T4_T5_T6_T7_T9_mT8_P12ihipStream_tbDpT10_ENKUlT_T0_E_clISt17integral_constantIbLb1EES19_EEDaS14_S15_EUlS14_E_NS1_11comp_targetILNS1_3genE9ELNS1_11target_archE1100ELNS1_3gpuE3ELNS1_3repE0EEENS1_30default_config_static_selectorELNS0_4arch9wavefront6targetE1EEEvT1_
	.p2align	8
	.type	_ZN7rocprim17ROCPRIM_400000_NS6detail17trampoline_kernelINS0_14default_configENS1_25partition_config_selectorILNS1_17partition_subalgoE0EsNS0_10empty_typeEbEEZZNS1_14partition_implILS5_0ELb0ES3_jN6thrust23THRUST_200600_302600_NS6detail15normal_iteratorINSA_10device_ptrIsEEEEPS6_SG_NS0_5tupleIJNSA_16discard_iteratorINSA_11use_defaultEEESF_EEENSH_IJSG_SG_EEES6_PlJ7is_evenIsEEEE10hipError_tPvRmT3_T4_T5_T6_T7_T9_mT8_P12ihipStream_tbDpT10_ENKUlT_T0_E_clISt17integral_constantIbLb1EES19_EEDaS14_S15_EUlS14_E_NS1_11comp_targetILNS1_3genE9ELNS1_11target_archE1100ELNS1_3gpuE3ELNS1_3repE0EEENS1_30default_config_static_selectorELNS0_4arch9wavefront6targetE1EEEvT1_,@function
_ZN7rocprim17ROCPRIM_400000_NS6detail17trampoline_kernelINS0_14default_configENS1_25partition_config_selectorILNS1_17partition_subalgoE0EsNS0_10empty_typeEbEEZZNS1_14partition_implILS5_0ELb0ES3_jN6thrust23THRUST_200600_302600_NS6detail15normal_iteratorINSA_10device_ptrIsEEEEPS6_SG_NS0_5tupleIJNSA_16discard_iteratorINSA_11use_defaultEEESF_EEENSH_IJSG_SG_EEES6_PlJ7is_evenIsEEEE10hipError_tPvRmT3_T4_T5_T6_T7_T9_mT8_P12ihipStream_tbDpT10_ENKUlT_T0_E_clISt17integral_constantIbLb1EES19_EEDaS14_S15_EUlS14_E_NS1_11comp_targetILNS1_3genE9ELNS1_11target_archE1100ELNS1_3gpuE3ELNS1_3repE0EEENS1_30default_config_static_selectorELNS0_4arch9wavefront6targetE1EEEvT1_: ; @_ZN7rocprim17ROCPRIM_400000_NS6detail17trampoline_kernelINS0_14default_configENS1_25partition_config_selectorILNS1_17partition_subalgoE0EsNS0_10empty_typeEbEEZZNS1_14partition_implILS5_0ELb0ES3_jN6thrust23THRUST_200600_302600_NS6detail15normal_iteratorINSA_10device_ptrIsEEEEPS6_SG_NS0_5tupleIJNSA_16discard_iteratorINSA_11use_defaultEEESF_EEENSH_IJSG_SG_EEES6_PlJ7is_evenIsEEEE10hipError_tPvRmT3_T4_T5_T6_T7_T9_mT8_P12ihipStream_tbDpT10_ENKUlT_T0_E_clISt17integral_constantIbLb1EES19_EEDaS14_S15_EUlS14_E_NS1_11comp_targetILNS1_3genE9ELNS1_11target_archE1100ELNS1_3gpuE3ELNS1_3repE0EEENS1_30default_config_static_selectorELNS0_4arch9wavefront6targetE1EEEvT1_
; %bb.0:
	.section	.rodata,"a",@progbits
	.p2align	6, 0x0
	.amdhsa_kernel _ZN7rocprim17ROCPRIM_400000_NS6detail17trampoline_kernelINS0_14default_configENS1_25partition_config_selectorILNS1_17partition_subalgoE0EsNS0_10empty_typeEbEEZZNS1_14partition_implILS5_0ELb0ES3_jN6thrust23THRUST_200600_302600_NS6detail15normal_iteratorINSA_10device_ptrIsEEEEPS6_SG_NS0_5tupleIJNSA_16discard_iteratorINSA_11use_defaultEEESF_EEENSH_IJSG_SG_EEES6_PlJ7is_evenIsEEEE10hipError_tPvRmT3_T4_T5_T6_T7_T9_mT8_P12ihipStream_tbDpT10_ENKUlT_T0_E_clISt17integral_constantIbLb1EES19_EEDaS14_S15_EUlS14_E_NS1_11comp_targetILNS1_3genE9ELNS1_11target_archE1100ELNS1_3gpuE3ELNS1_3repE0EEENS1_30default_config_static_selectorELNS0_4arch9wavefront6targetE1EEEvT1_
		.amdhsa_group_segment_fixed_size 0
		.amdhsa_private_segment_fixed_size 0
		.amdhsa_kernarg_size 144
		.amdhsa_user_sgpr_count 6
		.amdhsa_user_sgpr_private_segment_buffer 1
		.amdhsa_user_sgpr_dispatch_ptr 0
		.amdhsa_user_sgpr_queue_ptr 0
		.amdhsa_user_sgpr_kernarg_segment_ptr 1
		.amdhsa_user_sgpr_dispatch_id 0
		.amdhsa_user_sgpr_flat_scratch_init 0
		.amdhsa_user_sgpr_kernarg_preload_length 0
		.amdhsa_user_sgpr_kernarg_preload_offset 0
		.amdhsa_user_sgpr_private_segment_size 0
		.amdhsa_uses_dynamic_stack 0
		.amdhsa_system_sgpr_private_segment_wavefront_offset 0
		.amdhsa_system_sgpr_workgroup_id_x 1
		.amdhsa_system_sgpr_workgroup_id_y 0
		.amdhsa_system_sgpr_workgroup_id_z 0
		.amdhsa_system_sgpr_workgroup_info 0
		.amdhsa_system_vgpr_workitem_id 0
		.amdhsa_next_free_vgpr 1
		.amdhsa_next_free_sgpr 0
		.amdhsa_accum_offset 4
		.amdhsa_reserve_vcc 0
		.amdhsa_reserve_flat_scratch 0
		.amdhsa_float_round_mode_32 0
		.amdhsa_float_round_mode_16_64 0
		.amdhsa_float_denorm_mode_32 3
		.amdhsa_float_denorm_mode_16_64 3
		.amdhsa_dx10_clamp 1
		.amdhsa_ieee_mode 1
		.amdhsa_fp16_overflow 0
		.amdhsa_tg_split 0
		.amdhsa_exception_fp_ieee_invalid_op 0
		.amdhsa_exception_fp_denorm_src 0
		.amdhsa_exception_fp_ieee_div_zero 0
		.amdhsa_exception_fp_ieee_overflow 0
		.amdhsa_exception_fp_ieee_underflow 0
		.amdhsa_exception_fp_ieee_inexact 0
		.amdhsa_exception_int_div_zero 0
	.end_amdhsa_kernel
	.section	.text._ZN7rocprim17ROCPRIM_400000_NS6detail17trampoline_kernelINS0_14default_configENS1_25partition_config_selectorILNS1_17partition_subalgoE0EsNS0_10empty_typeEbEEZZNS1_14partition_implILS5_0ELb0ES3_jN6thrust23THRUST_200600_302600_NS6detail15normal_iteratorINSA_10device_ptrIsEEEEPS6_SG_NS0_5tupleIJNSA_16discard_iteratorINSA_11use_defaultEEESF_EEENSH_IJSG_SG_EEES6_PlJ7is_evenIsEEEE10hipError_tPvRmT3_T4_T5_T6_T7_T9_mT8_P12ihipStream_tbDpT10_ENKUlT_T0_E_clISt17integral_constantIbLb1EES19_EEDaS14_S15_EUlS14_E_NS1_11comp_targetILNS1_3genE9ELNS1_11target_archE1100ELNS1_3gpuE3ELNS1_3repE0EEENS1_30default_config_static_selectorELNS0_4arch9wavefront6targetE1EEEvT1_,"axG",@progbits,_ZN7rocprim17ROCPRIM_400000_NS6detail17trampoline_kernelINS0_14default_configENS1_25partition_config_selectorILNS1_17partition_subalgoE0EsNS0_10empty_typeEbEEZZNS1_14partition_implILS5_0ELb0ES3_jN6thrust23THRUST_200600_302600_NS6detail15normal_iteratorINSA_10device_ptrIsEEEEPS6_SG_NS0_5tupleIJNSA_16discard_iteratorINSA_11use_defaultEEESF_EEENSH_IJSG_SG_EEES6_PlJ7is_evenIsEEEE10hipError_tPvRmT3_T4_T5_T6_T7_T9_mT8_P12ihipStream_tbDpT10_ENKUlT_T0_E_clISt17integral_constantIbLb1EES19_EEDaS14_S15_EUlS14_E_NS1_11comp_targetILNS1_3genE9ELNS1_11target_archE1100ELNS1_3gpuE3ELNS1_3repE0EEENS1_30default_config_static_selectorELNS0_4arch9wavefront6targetE1EEEvT1_,comdat
.Lfunc_end2857:
	.size	_ZN7rocprim17ROCPRIM_400000_NS6detail17trampoline_kernelINS0_14default_configENS1_25partition_config_selectorILNS1_17partition_subalgoE0EsNS0_10empty_typeEbEEZZNS1_14partition_implILS5_0ELb0ES3_jN6thrust23THRUST_200600_302600_NS6detail15normal_iteratorINSA_10device_ptrIsEEEEPS6_SG_NS0_5tupleIJNSA_16discard_iteratorINSA_11use_defaultEEESF_EEENSH_IJSG_SG_EEES6_PlJ7is_evenIsEEEE10hipError_tPvRmT3_T4_T5_T6_T7_T9_mT8_P12ihipStream_tbDpT10_ENKUlT_T0_E_clISt17integral_constantIbLb1EES19_EEDaS14_S15_EUlS14_E_NS1_11comp_targetILNS1_3genE9ELNS1_11target_archE1100ELNS1_3gpuE3ELNS1_3repE0EEENS1_30default_config_static_selectorELNS0_4arch9wavefront6targetE1EEEvT1_, .Lfunc_end2857-_ZN7rocprim17ROCPRIM_400000_NS6detail17trampoline_kernelINS0_14default_configENS1_25partition_config_selectorILNS1_17partition_subalgoE0EsNS0_10empty_typeEbEEZZNS1_14partition_implILS5_0ELb0ES3_jN6thrust23THRUST_200600_302600_NS6detail15normal_iteratorINSA_10device_ptrIsEEEEPS6_SG_NS0_5tupleIJNSA_16discard_iteratorINSA_11use_defaultEEESF_EEENSH_IJSG_SG_EEES6_PlJ7is_evenIsEEEE10hipError_tPvRmT3_T4_T5_T6_T7_T9_mT8_P12ihipStream_tbDpT10_ENKUlT_T0_E_clISt17integral_constantIbLb1EES19_EEDaS14_S15_EUlS14_E_NS1_11comp_targetILNS1_3genE9ELNS1_11target_archE1100ELNS1_3gpuE3ELNS1_3repE0EEENS1_30default_config_static_selectorELNS0_4arch9wavefront6targetE1EEEvT1_
                                        ; -- End function
	.section	.AMDGPU.csdata,"",@progbits
; Kernel info:
; codeLenInByte = 0
; NumSgprs: 4
; NumVgprs: 0
; NumAgprs: 0
; TotalNumVgprs: 0
; ScratchSize: 0
; MemoryBound: 0
; FloatMode: 240
; IeeeMode: 1
; LDSByteSize: 0 bytes/workgroup (compile time only)
; SGPRBlocks: 0
; VGPRBlocks: 0
; NumSGPRsForWavesPerEU: 4
; NumVGPRsForWavesPerEU: 1
; AccumOffset: 4
; Occupancy: 8
; WaveLimiterHint : 0
; COMPUTE_PGM_RSRC2:SCRATCH_EN: 0
; COMPUTE_PGM_RSRC2:USER_SGPR: 6
; COMPUTE_PGM_RSRC2:TRAP_HANDLER: 0
; COMPUTE_PGM_RSRC2:TGID_X_EN: 1
; COMPUTE_PGM_RSRC2:TGID_Y_EN: 0
; COMPUTE_PGM_RSRC2:TGID_Z_EN: 0
; COMPUTE_PGM_RSRC2:TIDIG_COMP_CNT: 0
; COMPUTE_PGM_RSRC3_GFX90A:ACCUM_OFFSET: 0
; COMPUTE_PGM_RSRC3_GFX90A:TG_SPLIT: 0
	.section	.text._ZN7rocprim17ROCPRIM_400000_NS6detail17trampoline_kernelINS0_14default_configENS1_25partition_config_selectorILNS1_17partition_subalgoE0EsNS0_10empty_typeEbEEZZNS1_14partition_implILS5_0ELb0ES3_jN6thrust23THRUST_200600_302600_NS6detail15normal_iteratorINSA_10device_ptrIsEEEEPS6_SG_NS0_5tupleIJNSA_16discard_iteratorINSA_11use_defaultEEESF_EEENSH_IJSG_SG_EEES6_PlJ7is_evenIsEEEE10hipError_tPvRmT3_T4_T5_T6_T7_T9_mT8_P12ihipStream_tbDpT10_ENKUlT_T0_E_clISt17integral_constantIbLb1EES19_EEDaS14_S15_EUlS14_E_NS1_11comp_targetILNS1_3genE8ELNS1_11target_archE1030ELNS1_3gpuE2ELNS1_3repE0EEENS1_30default_config_static_selectorELNS0_4arch9wavefront6targetE1EEEvT1_,"axG",@progbits,_ZN7rocprim17ROCPRIM_400000_NS6detail17trampoline_kernelINS0_14default_configENS1_25partition_config_selectorILNS1_17partition_subalgoE0EsNS0_10empty_typeEbEEZZNS1_14partition_implILS5_0ELb0ES3_jN6thrust23THRUST_200600_302600_NS6detail15normal_iteratorINSA_10device_ptrIsEEEEPS6_SG_NS0_5tupleIJNSA_16discard_iteratorINSA_11use_defaultEEESF_EEENSH_IJSG_SG_EEES6_PlJ7is_evenIsEEEE10hipError_tPvRmT3_T4_T5_T6_T7_T9_mT8_P12ihipStream_tbDpT10_ENKUlT_T0_E_clISt17integral_constantIbLb1EES19_EEDaS14_S15_EUlS14_E_NS1_11comp_targetILNS1_3genE8ELNS1_11target_archE1030ELNS1_3gpuE2ELNS1_3repE0EEENS1_30default_config_static_selectorELNS0_4arch9wavefront6targetE1EEEvT1_,comdat
	.protected	_ZN7rocprim17ROCPRIM_400000_NS6detail17trampoline_kernelINS0_14default_configENS1_25partition_config_selectorILNS1_17partition_subalgoE0EsNS0_10empty_typeEbEEZZNS1_14partition_implILS5_0ELb0ES3_jN6thrust23THRUST_200600_302600_NS6detail15normal_iteratorINSA_10device_ptrIsEEEEPS6_SG_NS0_5tupleIJNSA_16discard_iteratorINSA_11use_defaultEEESF_EEENSH_IJSG_SG_EEES6_PlJ7is_evenIsEEEE10hipError_tPvRmT3_T4_T5_T6_T7_T9_mT8_P12ihipStream_tbDpT10_ENKUlT_T0_E_clISt17integral_constantIbLb1EES19_EEDaS14_S15_EUlS14_E_NS1_11comp_targetILNS1_3genE8ELNS1_11target_archE1030ELNS1_3gpuE2ELNS1_3repE0EEENS1_30default_config_static_selectorELNS0_4arch9wavefront6targetE1EEEvT1_ ; -- Begin function _ZN7rocprim17ROCPRIM_400000_NS6detail17trampoline_kernelINS0_14default_configENS1_25partition_config_selectorILNS1_17partition_subalgoE0EsNS0_10empty_typeEbEEZZNS1_14partition_implILS5_0ELb0ES3_jN6thrust23THRUST_200600_302600_NS6detail15normal_iteratorINSA_10device_ptrIsEEEEPS6_SG_NS0_5tupleIJNSA_16discard_iteratorINSA_11use_defaultEEESF_EEENSH_IJSG_SG_EEES6_PlJ7is_evenIsEEEE10hipError_tPvRmT3_T4_T5_T6_T7_T9_mT8_P12ihipStream_tbDpT10_ENKUlT_T0_E_clISt17integral_constantIbLb1EES19_EEDaS14_S15_EUlS14_E_NS1_11comp_targetILNS1_3genE8ELNS1_11target_archE1030ELNS1_3gpuE2ELNS1_3repE0EEENS1_30default_config_static_selectorELNS0_4arch9wavefront6targetE1EEEvT1_
	.globl	_ZN7rocprim17ROCPRIM_400000_NS6detail17trampoline_kernelINS0_14default_configENS1_25partition_config_selectorILNS1_17partition_subalgoE0EsNS0_10empty_typeEbEEZZNS1_14partition_implILS5_0ELb0ES3_jN6thrust23THRUST_200600_302600_NS6detail15normal_iteratorINSA_10device_ptrIsEEEEPS6_SG_NS0_5tupleIJNSA_16discard_iteratorINSA_11use_defaultEEESF_EEENSH_IJSG_SG_EEES6_PlJ7is_evenIsEEEE10hipError_tPvRmT3_T4_T5_T6_T7_T9_mT8_P12ihipStream_tbDpT10_ENKUlT_T0_E_clISt17integral_constantIbLb1EES19_EEDaS14_S15_EUlS14_E_NS1_11comp_targetILNS1_3genE8ELNS1_11target_archE1030ELNS1_3gpuE2ELNS1_3repE0EEENS1_30default_config_static_selectorELNS0_4arch9wavefront6targetE1EEEvT1_
	.p2align	8
	.type	_ZN7rocprim17ROCPRIM_400000_NS6detail17trampoline_kernelINS0_14default_configENS1_25partition_config_selectorILNS1_17partition_subalgoE0EsNS0_10empty_typeEbEEZZNS1_14partition_implILS5_0ELb0ES3_jN6thrust23THRUST_200600_302600_NS6detail15normal_iteratorINSA_10device_ptrIsEEEEPS6_SG_NS0_5tupleIJNSA_16discard_iteratorINSA_11use_defaultEEESF_EEENSH_IJSG_SG_EEES6_PlJ7is_evenIsEEEE10hipError_tPvRmT3_T4_T5_T6_T7_T9_mT8_P12ihipStream_tbDpT10_ENKUlT_T0_E_clISt17integral_constantIbLb1EES19_EEDaS14_S15_EUlS14_E_NS1_11comp_targetILNS1_3genE8ELNS1_11target_archE1030ELNS1_3gpuE2ELNS1_3repE0EEENS1_30default_config_static_selectorELNS0_4arch9wavefront6targetE1EEEvT1_,@function
_ZN7rocprim17ROCPRIM_400000_NS6detail17trampoline_kernelINS0_14default_configENS1_25partition_config_selectorILNS1_17partition_subalgoE0EsNS0_10empty_typeEbEEZZNS1_14partition_implILS5_0ELb0ES3_jN6thrust23THRUST_200600_302600_NS6detail15normal_iteratorINSA_10device_ptrIsEEEEPS6_SG_NS0_5tupleIJNSA_16discard_iteratorINSA_11use_defaultEEESF_EEENSH_IJSG_SG_EEES6_PlJ7is_evenIsEEEE10hipError_tPvRmT3_T4_T5_T6_T7_T9_mT8_P12ihipStream_tbDpT10_ENKUlT_T0_E_clISt17integral_constantIbLb1EES19_EEDaS14_S15_EUlS14_E_NS1_11comp_targetILNS1_3genE8ELNS1_11target_archE1030ELNS1_3gpuE2ELNS1_3repE0EEENS1_30default_config_static_selectorELNS0_4arch9wavefront6targetE1EEEvT1_: ; @_ZN7rocprim17ROCPRIM_400000_NS6detail17trampoline_kernelINS0_14default_configENS1_25partition_config_selectorILNS1_17partition_subalgoE0EsNS0_10empty_typeEbEEZZNS1_14partition_implILS5_0ELb0ES3_jN6thrust23THRUST_200600_302600_NS6detail15normal_iteratorINSA_10device_ptrIsEEEEPS6_SG_NS0_5tupleIJNSA_16discard_iteratorINSA_11use_defaultEEESF_EEENSH_IJSG_SG_EEES6_PlJ7is_evenIsEEEE10hipError_tPvRmT3_T4_T5_T6_T7_T9_mT8_P12ihipStream_tbDpT10_ENKUlT_T0_E_clISt17integral_constantIbLb1EES19_EEDaS14_S15_EUlS14_E_NS1_11comp_targetILNS1_3genE8ELNS1_11target_archE1030ELNS1_3gpuE2ELNS1_3repE0EEENS1_30default_config_static_selectorELNS0_4arch9wavefront6targetE1EEEvT1_
; %bb.0:
	.section	.rodata,"a",@progbits
	.p2align	6, 0x0
	.amdhsa_kernel _ZN7rocprim17ROCPRIM_400000_NS6detail17trampoline_kernelINS0_14default_configENS1_25partition_config_selectorILNS1_17partition_subalgoE0EsNS0_10empty_typeEbEEZZNS1_14partition_implILS5_0ELb0ES3_jN6thrust23THRUST_200600_302600_NS6detail15normal_iteratorINSA_10device_ptrIsEEEEPS6_SG_NS0_5tupleIJNSA_16discard_iteratorINSA_11use_defaultEEESF_EEENSH_IJSG_SG_EEES6_PlJ7is_evenIsEEEE10hipError_tPvRmT3_T4_T5_T6_T7_T9_mT8_P12ihipStream_tbDpT10_ENKUlT_T0_E_clISt17integral_constantIbLb1EES19_EEDaS14_S15_EUlS14_E_NS1_11comp_targetILNS1_3genE8ELNS1_11target_archE1030ELNS1_3gpuE2ELNS1_3repE0EEENS1_30default_config_static_selectorELNS0_4arch9wavefront6targetE1EEEvT1_
		.amdhsa_group_segment_fixed_size 0
		.amdhsa_private_segment_fixed_size 0
		.amdhsa_kernarg_size 144
		.amdhsa_user_sgpr_count 6
		.amdhsa_user_sgpr_private_segment_buffer 1
		.amdhsa_user_sgpr_dispatch_ptr 0
		.amdhsa_user_sgpr_queue_ptr 0
		.amdhsa_user_sgpr_kernarg_segment_ptr 1
		.amdhsa_user_sgpr_dispatch_id 0
		.amdhsa_user_sgpr_flat_scratch_init 0
		.amdhsa_user_sgpr_kernarg_preload_length 0
		.amdhsa_user_sgpr_kernarg_preload_offset 0
		.amdhsa_user_sgpr_private_segment_size 0
		.amdhsa_uses_dynamic_stack 0
		.amdhsa_system_sgpr_private_segment_wavefront_offset 0
		.amdhsa_system_sgpr_workgroup_id_x 1
		.amdhsa_system_sgpr_workgroup_id_y 0
		.amdhsa_system_sgpr_workgroup_id_z 0
		.amdhsa_system_sgpr_workgroup_info 0
		.amdhsa_system_vgpr_workitem_id 0
		.amdhsa_next_free_vgpr 1
		.amdhsa_next_free_sgpr 0
		.amdhsa_accum_offset 4
		.amdhsa_reserve_vcc 0
		.amdhsa_reserve_flat_scratch 0
		.amdhsa_float_round_mode_32 0
		.amdhsa_float_round_mode_16_64 0
		.amdhsa_float_denorm_mode_32 3
		.amdhsa_float_denorm_mode_16_64 3
		.amdhsa_dx10_clamp 1
		.amdhsa_ieee_mode 1
		.amdhsa_fp16_overflow 0
		.amdhsa_tg_split 0
		.amdhsa_exception_fp_ieee_invalid_op 0
		.amdhsa_exception_fp_denorm_src 0
		.amdhsa_exception_fp_ieee_div_zero 0
		.amdhsa_exception_fp_ieee_overflow 0
		.amdhsa_exception_fp_ieee_underflow 0
		.amdhsa_exception_fp_ieee_inexact 0
		.amdhsa_exception_int_div_zero 0
	.end_amdhsa_kernel
	.section	.text._ZN7rocprim17ROCPRIM_400000_NS6detail17trampoline_kernelINS0_14default_configENS1_25partition_config_selectorILNS1_17partition_subalgoE0EsNS0_10empty_typeEbEEZZNS1_14partition_implILS5_0ELb0ES3_jN6thrust23THRUST_200600_302600_NS6detail15normal_iteratorINSA_10device_ptrIsEEEEPS6_SG_NS0_5tupleIJNSA_16discard_iteratorINSA_11use_defaultEEESF_EEENSH_IJSG_SG_EEES6_PlJ7is_evenIsEEEE10hipError_tPvRmT3_T4_T5_T6_T7_T9_mT8_P12ihipStream_tbDpT10_ENKUlT_T0_E_clISt17integral_constantIbLb1EES19_EEDaS14_S15_EUlS14_E_NS1_11comp_targetILNS1_3genE8ELNS1_11target_archE1030ELNS1_3gpuE2ELNS1_3repE0EEENS1_30default_config_static_selectorELNS0_4arch9wavefront6targetE1EEEvT1_,"axG",@progbits,_ZN7rocprim17ROCPRIM_400000_NS6detail17trampoline_kernelINS0_14default_configENS1_25partition_config_selectorILNS1_17partition_subalgoE0EsNS0_10empty_typeEbEEZZNS1_14partition_implILS5_0ELb0ES3_jN6thrust23THRUST_200600_302600_NS6detail15normal_iteratorINSA_10device_ptrIsEEEEPS6_SG_NS0_5tupleIJNSA_16discard_iteratorINSA_11use_defaultEEESF_EEENSH_IJSG_SG_EEES6_PlJ7is_evenIsEEEE10hipError_tPvRmT3_T4_T5_T6_T7_T9_mT8_P12ihipStream_tbDpT10_ENKUlT_T0_E_clISt17integral_constantIbLb1EES19_EEDaS14_S15_EUlS14_E_NS1_11comp_targetILNS1_3genE8ELNS1_11target_archE1030ELNS1_3gpuE2ELNS1_3repE0EEENS1_30default_config_static_selectorELNS0_4arch9wavefront6targetE1EEEvT1_,comdat
.Lfunc_end2858:
	.size	_ZN7rocprim17ROCPRIM_400000_NS6detail17trampoline_kernelINS0_14default_configENS1_25partition_config_selectorILNS1_17partition_subalgoE0EsNS0_10empty_typeEbEEZZNS1_14partition_implILS5_0ELb0ES3_jN6thrust23THRUST_200600_302600_NS6detail15normal_iteratorINSA_10device_ptrIsEEEEPS6_SG_NS0_5tupleIJNSA_16discard_iteratorINSA_11use_defaultEEESF_EEENSH_IJSG_SG_EEES6_PlJ7is_evenIsEEEE10hipError_tPvRmT3_T4_T5_T6_T7_T9_mT8_P12ihipStream_tbDpT10_ENKUlT_T0_E_clISt17integral_constantIbLb1EES19_EEDaS14_S15_EUlS14_E_NS1_11comp_targetILNS1_3genE8ELNS1_11target_archE1030ELNS1_3gpuE2ELNS1_3repE0EEENS1_30default_config_static_selectorELNS0_4arch9wavefront6targetE1EEEvT1_, .Lfunc_end2858-_ZN7rocprim17ROCPRIM_400000_NS6detail17trampoline_kernelINS0_14default_configENS1_25partition_config_selectorILNS1_17partition_subalgoE0EsNS0_10empty_typeEbEEZZNS1_14partition_implILS5_0ELb0ES3_jN6thrust23THRUST_200600_302600_NS6detail15normal_iteratorINSA_10device_ptrIsEEEEPS6_SG_NS0_5tupleIJNSA_16discard_iteratorINSA_11use_defaultEEESF_EEENSH_IJSG_SG_EEES6_PlJ7is_evenIsEEEE10hipError_tPvRmT3_T4_T5_T6_T7_T9_mT8_P12ihipStream_tbDpT10_ENKUlT_T0_E_clISt17integral_constantIbLb1EES19_EEDaS14_S15_EUlS14_E_NS1_11comp_targetILNS1_3genE8ELNS1_11target_archE1030ELNS1_3gpuE2ELNS1_3repE0EEENS1_30default_config_static_selectorELNS0_4arch9wavefront6targetE1EEEvT1_
                                        ; -- End function
	.section	.AMDGPU.csdata,"",@progbits
; Kernel info:
; codeLenInByte = 0
; NumSgprs: 4
; NumVgprs: 0
; NumAgprs: 0
; TotalNumVgprs: 0
; ScratchSize: 0
; MemoryBound: 0
; FloatMode: 240
; IeeeMode: 1
; LDSByteSize: 0 bytes/workgroup (compile time only)
; SGPRBlocks: 0
; VGPRBlocks: 0
; NumSGPRsForWavesPerEU: 4
; NumVGPRsForWavesPerEU: 1
; AccumOffset: 4
; Occupancy: 8
; WaveLimiterHint : 0
; COMPUTE_PGM_RSRC2:SCRATCH_EN: 0
; COMPUTE_PGM_RSRC2:USER_SGPR: 6
; COMPUTE_PGM_RSRC2:TRAP_HANDLER: 0
; COMPUTE_PGM_RSRC2:TGID_X_EN: 1
; COMPUTE_PGM_RSRC2:TGID_Y_EN: 0
; COMPUTE_PGM_RSRC2:TGID_Z_EN: 0
; COMPUTE_PGM_RSRC2:TIDIG_COMP_CNT: 0
; COMPUTE_PGM_RSRC3_GFX90A:ACCUM_OFFSET: 0
; COMPUTE_PGM_RSRC3_GFX90A:TG_SPLIT: 0
	.section	.text._ZN7rocprim17ROCPRIM_400000_NS6detail17trampoline_kernelINS0_14default_configENS1_25partition_config_selectorILNS1_17partition_subalgoE0EsNS0_10empty_typeEbEEZZNS1_14partition_implILS5_0ELb0ES3_jN6thrust23THRUST_200600_302600_NS6detail15normal_iteratorINSA_10device_ptrIsEEEEPS6_SG_NS0_5tupleIJNSA_16discard_iteratorINSA_11use_defaultEEESF_EEENSH_IJSG_SG_EEES6_PlJ7is_evenIsEEEE10hipError_tPvRmT3_T4_T5_T6_T7_T9_mT8_P12ihipStream_tbDpT10_ENKUlT_T0_E_clISt17integral_constantIbLb1EES18_IbLb0EEEEDaS14_S15_EUlS14_E_NS1_11comp_targetILNS1_3genE0ELNS1_11target_archE4294967295ELNS1_3gpuE0ELNS1_3repE0EEENS1_30default_config_static_selectorELNS0_4arch9wavefront6targetE1EEEvT1_,"axG",@progbits,_ZN7rocprim17ROCPRIM_400000_NS6detail17trampoline_kernelINS0_14default_configENS1_25partition_config_selectorILNS1_17partition_subalgoE0EsNS0_10empty_typeEbEEZZNS1_14partition_implILS5_0ELb0ES3_jN6thrust23THRUST_200600_302600_NS6detail15normal_iteratorINSA_10device_ptrIsEEEEPS6_SG_NS0_5tupleIJNSA_16discard_iteratorINSA_11use_defaultEEESF_EEENSH_IJSG_SG_EEES6_PlJ7is_evenIsEEEE10hipError_tPvRmT3_T4_T5_T6_T7_T9_mT8_P12ihipStream_tbDpT10_ENKUlT_T0_E_clISt17integral_constantIbLb1EES18_IbLb0EEEEDaS14_S15_EUlS14_E_NS1_11comp_targetILNS1_3genE0ELNS1_11target_archE4294967295ELNS1_3gpuE0ELNS1_3repE0EEENS1_30default_config_static_selectorELNS0_4arch9wavefront6targetE1EEEvT1_,comdat
	.protected	_ZN7rocprim17ROCPRIM_400000_NS6detail17trampoline_kernelINS0_14default_configENS1_25partition_config_selectorILNS1_17partition_subalgoE0EsNS0_10empty_typeEbEEZZNS1_14partition_implILS5_0ELb0ES3_jN6thrust23THRUST_200600_302600_NS6detail15normal_iteratorINSA_10device_ptrIsEEEEPS6_SG_NS0_5tupleIJNSA_16discard_iteratorINSA_11use_defaultEEESF_EEENSH_IJSG_SG_EEES6_PlJ7is_evenIsEEEE10hipError_tPvRmT3_T4_T5_T6_T7_T9_mT8_P12ihipStream_tbDpT10_ENKUlT_T0_E_clISt17integral_constantIbLb1EES18_IbLb0EEEEDaS14_S15_EUlS14_E_NS1_11comp_targetILNS1_3genE0ELNS1_11target_archE4294967295ELNS1_3gpuE0ELNS1_3repE0EEENS1_30default_config_static_selectorELNS0_4arch9wavefront6targetE1EEEvT1_ ; -- Begin function _ZN7rocprim17ROCPRIM_400000_NS6detail17trampoline_kernelINS0_14default_configENS1_25partition_config_selectorILNS1_17partition_subalgoE0EsNS0_10empty_typeEbEEZZNS1_14partition_implILS5_0ELb0ES3_jN6thrust23THRUST_200600_302600_NS6detail15normal_iteratorINSA_10device_ptrIsEEEEPS6_SG_NS0_5tupleIJNSA_16discard_iteratorINSA_11use_defaultEEESF_EEENSH_IJSG_SG_EEES6_PlJ7is_evenIsEEEE10hipError_tPvRmT3_T4_T5_T6_T7_T9_mT8_P12ihipStream_tbDpT10_ENKUlT_T0_E_clISt17integral_constantIbLb1EES18_IbLb0EEEEDaS14_S15_EUlS14_E_NS1_11comp_targetILNS1_3genE0ELNS1_11target_archE4294967295ELNS1_3gpuE0ELNS1_3repE0EEENS1_30default_config_static_selectorELNS0_4arch9wavefront6targetE1EEEvT1_
	.globl	_ZN7rocprim17ROCPRIM_400000_NS6detail17trampoline_kernelINS0_14default_configENS1_25partition_config_selectorILNS1_17partition_subalgoE0EsNS0_10empty_typeEbEEZZNS1_14partition_implILS5_0ELb0ES3_jN6thrust23THRUST_200600_302600_NS6detail15normal_iteratorINSA_10device_ptrIsEEEEPS6_SG_NS0_5tupleIJNSA_16discard_iteratorINSA_11use_defaultEEESF_EEENSH_IJSG_SG_EEES6_PlJ7is_evenIsEEEE10hipError_tPvRmT3_T4_T5_T6_T7_T9_mT8_P12ihipStream_tbDpT10_ENKUlT_T0_E_clISt17integral_constantIbLb1EES18_IbLb0EEEEDaS14_S15_EUlS14_E_NS1_11comp_targetILNS1_3genE0ELNS1_11target_archE4294967295ELNS1_3gpuE0ELNS1_3repE0EEENS1_30default_config_static_selectorELNS0_4arch9wavefront6targetE1EEEvT1_
	.p2align	8
	.type	_ZN7rocprim17ROCPRIM_400000_NS6detail17trampoline_kernelINS0_14default_configENS1_25partition_config_selectorILNS1_17partition_subalgoE0EsNS0_10empty_typeEbEEZZNS1_14partition_implILS5_0ELb0ES3_jN6thrust23THRUST_200600_302600_NS6detail15normal_iteratorINSA_10device_ptrIsEEEEPS6_SG_NS0_5tupleIJNSA_16discard_iteratorINSA_11use_defaultEEESF_EEENSH_IJSG_SG_EEES6_PlJ7is_evenIsEEEE10hipError_tPvRmT3_T4_T5_T6_T7_T9_mT8_P12ihipStream_tbDpT10_ENKUlT_T0_E_clISt17integral_constantIbLb1EES18_IbLb0EEEEDaS14_S15_EUlS14_E_NS1_11comp_targetILNS1_3genE0ELNS1_11target_archE4294967295ELNS1_3gpuE0ELNS1_3repE0EEENS1_30default_config_static_selectorELNS0_4arch9wavefront6targetE1EEEvT1_,@function
_ZN7rocprim17ROCPRIM_400000_NS6detail17trampoline_kernelINS0_14default_configENS1_25partition_config_selectorILNS1_17partition_subalgoE0EsNS0_10empty_typeEbEEZZNS1_14partition_implILS5_0ELb0ES3_jN6thrust23THRUST_200600_302600_NS6detail15normal_iteratorINSA_10device_ptrIsEEEEPS6_SG_NS0_5tupleIJNSA_16discard_iteratorINSA_11use_defaultEEESF_EEENSH_IJSG_SG_EEES6_PlJ7is_evenIsEEEE10hipError_tPvRmT3_T4_T5_T6_T7_T9_mT8_P12ihipStream_tbDpT10_ENKUlT_T0_E_clISt17integral_constantIbLb1EES18_IbLb0EEEEDaS14_S15_EUlS14_E_NS1_11comp_targetILNS1_3genE0ELNS1_11target_archE4294967295ELNS1_3gpuE0ELNS1_3repE0EEENS1_30default_config_static_selectorELNS0_4arch9wavefront6targetE1EEEvT1_: ; @_ZN7rocprim17ROCPRIM_400000_NS6detail17trampoline_kernelINS0_14default_configENS1_25partition_config_selectorILNS1_17partition_subalgoE0EsNS0_10empty_typeEbEEZZNS1_14partition_implILS5_0ELb0ES3_jN6thrust23THRUST_200600_302600_NS6detail15normal_iteratorINSA_10device_ptrIsEEEEPS6_SG_NS0_5tupleIJNSA_16discard_iteratorINSA_11use_defaultEEESF_EEENSH_IJSG_SG_EEES6_PlJ7is_evenIsEEEE10hipError_tPvRmT3_T4_T5_T6_T7_T9_mT8_P12ihipStream_tbDpT10_ENKUlT_T0_E_clISt17integral_constantIbLb1EES18_IbLb0EEEEDaS14_S15_EUlS14_E_NS1_11comp_targetILNS1_3genE0ELNS1_11target_archE4294967295ELNS1_3gpuE0ELNS1_3repE0EEENS1_30default_config_static_selectorELNS0_4arch9wavefront6targetE1EEEvT1_
; %bb.0:
	.section	.rodata,"a",@progbits
	.p2align	6, 0x0
	.amdhsa_kernel _ZN7rocprim17ROCPRIM_400000_NS6detail17trampoline_kernelINS0_14default_configENS1_25partition_config_selectorILNS1_17partition_subalgoE0EsNS0_10empty_typeEbEEZZNS1_14partition_implILS5_0ELb0ES3_jN6thrust23THRUST_200600_302600_NS6detail15normal_iteratorINSA_10device_ptrIsEEEEPS6_SG_NS0_5tupleIJNSA_16discard_iteratorINSA_11use_defaultEEESF_EEENSH_IJSG_SG_EEES6_PlJ7is_evenIsEEEE10hipError_tPvRmT3_T4_T5_T6_T7_T9_mT8_P12ihipStream_tbDpT10_ENKUlT_T0_E_clISt17integral_constantIbLb1EES18_IbLb0EEEEDaS14_S15_EUlS14_E_NS1_11comp_targetILNS1_3genE0ELNS1_11target_archE4294967295ELNS1_3gpuE0ELNS1_3repE0EEENS1_30default_config_static_selectorELNS0_4arch9wavefront6targetE1EEEvT1_
		.amdhsa_group_segment_fixed_size 0
		.amdhsa_private_segment_fixed_size 0
		.amdhsa_kernarg_size 128
		.amdhsa_user_sgpr_count 6
		.amdhsa_user_sgpr_private_segment_buffer 1
		.amdhsa_user_sgpr_dispatch_ptr 0
		.amdhsa_user_sgpr_queue_ptr 0
		.amdhsa_user_sgpr_kernarg_segment_ptr 1
		.amdhsa_user_sgpr_dispatch_id 0
		.amdhsa_user_sgpr_flat_scratch_init 0
		.amdhsa_user_sgpr_kernarg_preload_length 0
		.amdhsa_user_sgpr_kernarg_preload_offset 0
		.amdhsa_user_sgpr_private_segment_size 0
		.amdhsa_uses_dynamic_stack 0
		.amdhsa_system_sgpr_private_segment_wavefront_offset 0
		.amdhsa_system_sgpr_workgroup_id_x 1
		.amdhsa_system_sgpr_workgroup_id_y 0
		.amdhsa_system_sgpr_workgroup_id_z 0
		.amdhsa_system_sgpr_workgroup_info 0
		.amdhsa_system_vgpr_workitem_id 0
		.amdhsa_next_free_vgpr 1
		.amdhsa_next_free_sgpr 0
		.amdhsa_accum_offset 4
		.amdhsa_reserve_vcc 0
		.amdhsa_reserve_flat_scratch 0
		.amdhsa_float_round_mode_32 0
		.amdhsa_float_round_mode_16_64 0
		.amdhsa_float_denorm_mode_32 3
		.amdhsa_float_denorm_mode_16_64 3
		.amdhsa_dx10_clamp 1
		.amdhsa_ieee_mode 1
		.amdhsa_fp16_overflow 0
		.amdhsa_tg_split 0
		.amdhsa_exception_fp_ieee_invalid_op 0
		.amdhsa_exception_fp_denorm_src 0
		.amdhsa_exception_fp_ieee_div_zero 0
		.amdhsa_exception_fp_ieee_overflow 0
		.amdhsa_exception_fp_ieee_underflow 0
		.amdhsa_exception_fp_ieee_inexact 0
		.amdhsa_exception_int_div_zero 0
	.end_amdhsa_kernel
	.section	.text._ZN7rocprim17ROCPRIM_400000_NS6detail17trampoline_kernelINS0_14default_configENS1_25partition_config_selectorILNS1_17partition_subalgoE0EsNS0_10empty_typeEbEEZZNS1_14partition_implILS5_0ELb0ES3_jN6thrust23THRUST_200600_302600_NS6detail15normal_iteratorINSA_10device_ptrIsEEEEPS6_SG_NS0_5tupleIJNSA_16discard_iteratorINSA_11use_defaultEEESF_EEENSH_IJSG_SG_EEES6_PlJ7is_evenIsEEEE10hipError_tPvRmT3_T4_T5_T6_T7_T9_mT8_P12ihipStream_tbDpT10_ENKUlT_T0_E_clISt17integral_constantIbLb1EES18_IbLb0EEEEDaS14_S15_EUlS14_E_NS1_11comp_targetILNS1_3genE0ELNS1_11target_archE4294967295ELNS1_3gpuE0ELNS1_3repE0EEENS1_30default_config_static_selectorELNS0_4arch9wavefront6targetE1EEEvT1_,"axG",@progbits,_ZN7rocprim17ROCPRIM_400000_NS6detail17trampoline_kernelINS0_14default_configENS1_25partition_config_selectorILNS1_17partition_subalgoE0EsNS0_10empty_typeEbEEZZNS1_14partition_implILS5_0ELb0ES3_jN6thrust23THRUST_200600_302600_NS6detail15normal_iteratorINSA_10device_ptrIsEEEEPS6_SG_NS0_5tupleIJNSA_16discard_iteratorINSA_11use_defaultEEESF_EEENSH_IJSG_SG_EEES6_PlJ7is_evenIsEEEE10hipError_tPvRmT3_T4_T5_T6_T7_T9_mT8_P12ihipStream_tbDpT10_ENKUlT_T0_E_clISt17integral_constantIbLb1EES18_IbLb0EEEEDaS14_S15_EUlS14_E_NS1_11comp_targetILNS1_3genE0ELNS1_11target_archE4294967295ELNS1_3gpuE0ELNS1_3repE0EEENS1_30default_config_static_selectorELNS0_4arch9wavefront6targetE1EEEvT1_,comdat
.Lfunc_end2859:
	.size	_ZN7rocprim17ROCPRIM_400000_NS6detail17trampoline_kernelINS0_14default_configENS1_25partition_config_selectorILNS1_17partition_subalgoE0EsNS0_10empty_typeEbEEZZNS1_14partition_implILS5_0ELb0ES3_jN6thrust23THRUST_200600_302600_NS6detail15normal_iteratorINSA_10device_ptrIsEEEEPS6_SG_NS0_5tupleIJNSA_16discard_iteratorINSA_11use_defaultEEESF_EEENSH_IJSG_SG_EEES6_PlJ7is_evenIsEEEE10hipError_tPvRmT3_T4_T5_T6_T7_T9_mT8_P12ihipStream_tbDpT10_ENKUlT_T0_E_clISt17integral_constantIbLb1EES18_IbLb0EEEEDaS14_S15_EUlS14_E_NS1_11comp_targetILNS1_3genE0ELNS1_11target_archE4294967295ELNS1_3gpuE0ELNS1_3repE0EEENS1_30default_config_static_selectorELNS0_4arch9wavefront6targetE1EEEvT1_, .Lfunc_end2859-_ZN7rocprim17ROCPRIM_400000_NS6detail17trampoline_kernelINS0_14default_configENS1_25partition_config_selectorILNS1_17partition_subalgoE0EsNS0_10empty_typeEbEEZZNS1_14partition_implILS5_0ELb0ES3_jN6thrust23THRUST_200600_302600_NS6detail15normal_iteratorINSA_10device_ptrIsEEEEPS6_SG_NS0_5tupleIJNSA_16discard_iteratorINSA_11use_defaultEEESF_EEENSH_IJSG_SG_EEES6_PlJ7is_evenIsEEEE10hipError_tPvRmT3_T4_T5_T6_T7_T9_mT8_P12ihipStream_tbDpT10_ENKUlT_T0_E_clISt17integral_constantIbLb1EES18_IbLb0EEEEDaS14_S15_EUlS14_E_NS1_11comp_targetILNS1_3genE0ELNS1_11target_archE4294967295ELNS1_3gpuE0ELNS1_3repE0EEENS1_30default_config_static_selectorELNS0_4arch9wavefront6targetE1EEEvT1_
                                        ; -- End function
	.section	.AMDGPU.csdata,"",@progbits
; Kernel info:
; codeLenInByte = 0
; NumSgprs: 4
; NumVgprs: 0
; NumAgprs: 0
; TotalNumVgprs: 0
; ScratchSize: 0
; MemoryBound: 0
; FloatMode: 240
; IeeeMode: 1
; LDSByteSize: 0 bytes/workgroup (compile time only)
; SGPRBlocks: 0
; VGPRBlocks: 0
; NumSGPRsForWavesPerEU: 4
; NumVGPRsForWavesPerEU: 1
; AccumOffset: 4
; Occupancy: 8
; WaveLimiterHint : 0
; COMPUTE_PGM_RSRC2:SCRATCH_EN: 0
; COMPUTE_PGM_RSRC2:USER_SGPR: 6
; COMPUTE_PGM_RSRC2:TRAP_HANDLER: 0
; COMPUTE_PGM_RSRC2:TGID_X_EN: 1
; COMPUTE_PGM_RSRC2:TGID_Y_EN: 0
; COMPUTE_PGM_RSRC2:TGID_Z_EN: 0
; COMPUTE_PGM_RSRC2:TIDIG_COMP_CNT: 0
; COMPUTE_PGM_RSRC3_GFX90A:ACCUM_OFFSET: 0
; COMPUTE_PGM_RSRC3_GFX90A:TG_SPLIT: 0
	.section	.text._ZN7rocprim17ROCPRIM_400000_NS6detail17trampoline_kernelINS0_14default_configENS1_25partition_config_selectorILNS1_17partition_subalgoE0EsNS0_10empty_typeEbEEZZNS1_14partition_implILS5_0ELb0ES3_jN6thrust23THRUST_200600_302600_NS6detail15normal_iteratorINSA_10device_ptrIsEEEEPS6_SG_NS0_5tupleIJNSA_16discard_iteratorINSA_11use_defaultEEESF_EEENSH_IJSG_SG_EEES6_PlJ7is_evenIsEEEE10hipError_tPvRmT3_T4_T5_T6_T7_T9_mT8_P12ihipStream_tbDpT10_ENKUlT_T0_E_clISt17integral_constantIbLb1EES18_IbLb0EEEEDaS14_S15_EUlS14_E_NS1_11comp_targetILNS1_3genE5ELNS1_11target_archE942ELNS1_3gpuE9ELNS1_3repE0EEENS1_30default_config_static_selectorELNS0_4arch9wavefront6targetE1EEEvT1_,"axG",@progbits,_ZN7rocprim17ROCPRIM_400000_NS6detail17trampoline_kernelINS0_14default_configENS1_25partition_config_selectorILNS1_17partition_subalgoE0EsNS0_10empty_typeEbEEZZNS1_14partition_implILS5_0ELb0ES3_jN6thrust23THRUST_200600_302600_NS6detail15normal_iteratorINSA_10device_ptrIsEEEEPS6_SG_NS0_5tupleIJNSA_16discard_iteratorINSA_11use_defaultEEESF_EEENSH_IJSG_SG_EEES6_PlJ7is_evenIsEEEE10hipError_tPvRmT3_T4_T5_T6_T7_T9_mT8_P12ihipStream_tbDpT10_ENKUlT_T0_E_clISt17integral_constantIbLb1EES18_IbLb0EEEEDaS14_S15_EUlS14_E_NS1_11comp_targetILNS1_3genE5ELNS1_11target_archE942ELNS1_3gpuE9ELNS1_3repE0EEENS1_30default_config_static_selectorELNS0_4arch9wavefront6targetE1EEEvT1_,comdat
	.protected	_ZN7rocprim17ROCPRIM_400000_NS6detail17trampoline_kernelINS0_14default_configENS1_25partition_config_selectorILNS1_17partition_subalgoE0EsNS0_10empty_typeEbEEZZNS1_14partition_implILS5_0ELb0ES3_jN6thrust23THRUST_200600_302600_NS6detail15normal_iteratorINSA_10device_ptrIsEEEEPS6_SG_NS0_5tupleIJNSA_16discard_iteratorINSA_11use_defaultEEESF_EEENSH_IJSG_SG_EEES6_PlJ7is_evenIsEEEE10hipError_tPvRmT3_T4_T5_T6_T7_T9_mT8_P12ihipStream_tbDpT10_ENKUlT_T0_E_clISt17integral_constantIbLb1EES18_IbLb0EEEEDaS14_S15_EUlS14_E_NS1_11comp_targetILNS1_3genE5ELNS1_11target_archE942ELNS1_3gpuE9ELNS1_3repE0EEENS1_30default_config_static_selectorELNS0_4arch9wavefront6targetE1EEEvT1_ ; -- Begin function _ZN7rocprim17ROCPRIM_400000_NS6detail17trampoline_kernelINS0_14default_configENS1_25partition_config_selectorILNS1_17partition_subalgoE0EsNS0_10empty_typeEbEEZZNS1_14partition_implILS5_0ELb0ES3_jN6thrust23THRUST_200600_302600_NS6detail15normal_iteratorINSA_10device_ptrIsEEEEPS6_SG_NS0_5tupleIJNSA_16discard_iteratorINSA_11use_defaultEEESF_EEENSH_IJSG_SG_EEES6_PlJ7is_evenIsEEEE10hipError_tPvRmT3_T4_T5_T6_T7_T9_mT8_P12ihipStream_tbDpT10_ENKUlT_T0_E_clISt17integral_constantIbLb1EES18_IbLb0EEEEDaS14_S15_EUlS14_E_NS1_11comp_targetILNS1_3genE5ELNS1_11target_archE942ELNS1_3gpuE9ELNS1_3repE0EEENS1_30default_config_static_selectorELNS0_4arch9wavefront6targetE1EEEvT1_
	.globl	_ZN7rocprim17ROCPRIM_400000_NS6detail17trampoline_kernelINS0_14default_configENS1_25partition_config_selectorILNS1_17partition_subalgoE0EsNS0_10empty_typeEbEEZZNS1_14partition_implILS5_0ELb0ES3_jN6thrust23THRUST_200600_302600_NS6detail15normal_iteratorINSA_10device_ptrIsEEEEPS6_SG_NS0_5tupleIJNSA_16discard_iteratorINSA_11use_defaultEEESF_EEENSH_IJSG_SG_EEES6_PlJ7is_evenIsEEEE10hipError_tPvRmT3_T4_T5_T6_T7_T9_mT8_P12ihipStream_tbDpT10_ENKUlT_T0_E_clISt17integral_constantIbLb1EES18_IbLb0EEEEDaS14_S15_EUlS14_E_NS1_11comp_targetILNS1_3genE5ELNS1_11target_archE942ELNS1_3gpuE9ELNS1_3repE0EEENS1_30default_config_static_selectorELNS0_4arch9wavefront6targetE1EEEvT1_
	.p2align	8
	.type	_ZN7rocprim17ROCPRIM_400000_NS6detail17trampoline_kernelINS0_14default_configENS1_25partition_config_selectorILNS1_17partition_subalgoE0EsNS0_10empty_typeEbEEZZNS1_14partition_implILS5_0ELb0ES3_jN6thrust23THRUST_200600_302600_NS6detail15normal_iteratorINSA_10device_ptrIsEEEEPS6_SG_NS0_5tupleIJNSA_16discard_iteratorINSA_11use_defaultEEESF_EEENSH_IJSG_SG_EEES6_PlJ7is_evenIsEEEE10hipError_tPvRmT3_T4_T5_T6_T7_T9_mT8_P12ihipStream_tbDpT10_ENKUlT_T0_E_clISt17integral_constantIbLb1EES18_IbLb0EEEEDaS14_S15_EUlS14_E_NS1_11comp_targetILNS1_3genE5ELNS1_11target_archE942ELNS1_3gpuE9ELNS1_3repE0EEENS1_30default_config_static_selectorELNS0_4arch9wavefront6targetE1EEEvT1_,@function
_ZN7rocprim17ROCPRIM_400000_NS6detail17trampoline_kernelINS0_14default_configENS1_25partition_config_selectorILNS1_17partition_subalgoE0EsNS0_10empty_typeEbEEZZNS1_14partition_implILS5_0ELb0ES3_jN6thrust23THRUST_200600_302600_NS6detail15normal_iteratorINSA_10device_ptrIsEEEEPS6_SG_NS0_5tupleIJNSA_16discard_iteratorINSA_11use_defaultEEESF_EEENSH_IJSG_SG_EEES6_PlJ7is_evenIsEEEE10hipError_tPvRmT3_T4_T5_T6_T7_T9_mT8_P12ihipStream_tbDpT10_ENKUlT_T0_E_clISt17integral_constantIbLb1EES18_IbLb0EEEEDaS14_S15_EUlS14_E_NS1_11comp_targetILNS1_3genE5ELNS1_11target_archE942ELNS1_3gpuE9ELNS1_3repE0EEENS1_30default_config_static_selectorELNS0_4arch9wavefront6targetE1EEEvT1_: ; @_ZN7rocprim17ROCPRIM_400000_NS6detail17trampoline_kernelINS0_14default_configENS1_25partition_config_selectorILNS1_17partition_subalgoE0EsNS0_10empty_typeEbEEZZNS1_14partition_implILS5_0ELb0ES3_jN6thrust23THRUST_200600_302600_NS6detail15normal_iteratorINSA_10device_ptrIsEEEEPS6_SG_NS0_5tupleIJNSA_16discard_iteratorINSA_11use_defaultEEESF_EEENSH_IJSG_SG_EEES6_PlJ7is_evenIsEEEE10hipError_tPvRmT3_T4_T5_T6_T7_T9_mT8_P12ihipStream_tbDpT10_ENKUlT_T0_E_clISt17integral_constantIbLb1EES18_IbLb0EEEEDaS14_S15_EUlS14_E_NS1_11comp_targetILNS1_3genE5ELNS1_11target_archE942ELNS1_3gpuE9ELNS1_3repE0EEENS1_30default_config_static_selectorELNS0_4arch9wavefront6targetE1EEEvT1_
; %bb.0:
	.section	.rodata,"a",@progbits
	.p2align	6, 0x0
	.amdhsa_kernel _ZN7rocprim17ROCPRIM_400000_NS6detail17trampoline_kernelINS0_14default_configENS1_25partition_config_selectorILNS1_17partition_subalgoE0EsNS0_10empty_typeEbEEZZNS1_14partition_implILS5_0ELb0ES3_jN6thrust23THRUST_200600_302600_NS6detail15normal_iteratorINSA_10device_ptrIsEEEEPS6_SG_NS0_5tupleIJNSA_16discard_iteratorINSA_11use_defaultEEESF_EEENSH_IJSG_SG_EEES6_PlJ7is_evenIsEEEE10hipError_tPvRmT3_T4_T5_T6_T7_T9_mT8_P12ihipStream_tbDpT10_ENKUlT_T0_E_clISt17integral_constantIbLb1EES18_IbLb0EEEEDaS14_S15_EUlS14_E_NS1_11comp_targetILNS1_3genE5ELNS1_11target_archE942ELNS1_3gpuE9ELNS1_3repE0EEENS1_30default_config_static_selectorELNS0_4arch9wavefront6targetE1EEEvT1_
		.amdhsa_group_segment_fixed_size 0
		.amdhsa_private_segment_fixed_size 0
		.amdhsa_kernarg_size 128
		.amdhsa_user_sgpr_count 6
		.amdhsa_user_sgpr_private_segment_buffer 1
		.amdhsa_user_sgpr_dispatch_ptr 0
		.amdhsa_user_sgpr_queue_ptr 0
		.amdhsa_user_sgpr_kernarg_segment_ptr 1
		.amdhsa_user_sgpr_dispatch_id 0
		.amdhsa_user_sgpr_flat_scratch_init 0
		.amdhsa_user_sgpr_kernarg_preload_length 0
		.amdhsa_user_sgpr_kernarg_preload_offset 0
		.amdhsa_user_sgpr_private_segment_size 0
		.amdhsa_uses_dynamic_stack 0
		.amdhsa_system_sgpr_private_segment_wavefront_offset 0
		.amdhsa_system_sgpr_workgroup_id_x 1
		.amdhsa_system_sgpr_workgroup_id_y 0
		.amdhsa_system_sgpr_workgroup_id_z 0
		.amdhsa_system_sgpr_workgroup_info 0
		.amdhsa_system_vgpr_workitem_id 0
		.amdhsa_next_free_vgpr 1
		.amdhsa_next_free_sgpr 0
		.amdhsa_accum_offset 4
		.amdhsa_reserve_vcc 0
		.amdhsa_reserve_flat_scratch 0
		.amdhsa_float_round_mode_32 0
		.amdhsa_float_round_mode_16_64 0
		.amdhsa_float_denorm_mode_32 3
		.amdhsa_float_denorm_mode_16_64 3
		.amdhsa_dx10_clamp 1
		.amdhsa_ieee_mode 1
		.amdhsa_fp16_overflow 0
		.amdhsa_tg_split 0
		.amdhsa_exception_fp_ieee_invalid_op 0
		.amdhsa_exception_fp_denorm_src 0
		.amdhsa_exception_fp_ieee_div_zero 0
		.amdhsa_exception_fp_ieee_overflow 0
		.amdhsa_exception_fp_ieee_underflow 0
		.amdhsa_exception_fp_ieee_inexact 0
		.amdhsa_exception_int_div_zero 0
	.end_amdhsa_kernel
	.section	.text._ZN7rocprim17ROCPRIM_400000_NS6detail17trampoline_kernelINS0_14default_configENS1_25partition_config_selectorILNS1_17partition_subalgoE0EsNS0_10empty_typeEbEEZZNS1_14partition_implILS5_0ELb0ES3_jN6thrust23THRUST_200600_302600_NS6detail15normal_iteratorINSA_10device_ptrIsEEEEPS6_SG_NS0_5tupleIJNSA_16discard_iteratorINSA_11use_defaultEEESF_EEENSH_IJSG_SG_EEES6_PlJ7is_evenIsEEEE10hipError_tPvRmT3_T4_T5_T6_T7_T9_mT8_P12ihipStream_tbDpT10_ENKUlT_T0_E_clISt17integral_constantIbLb1EES18_IbLb0EEEEDaS14_S15_EUlS14_E_NS1_11comp_targetILNS1_3genE5ELNS1_11target_archE942ELNS1_3gpuE9ELNS1_3repE0EEENS1_30default_config_static_selectorELNS0_4arch9wavefront6targetE1EEEvT1_,"axG",@progbits,_ZN7rocprim17ROCPRIM_400000_NS6detail17trampoline_kernelINS0_14default_configENS1_25partition_config_selectorILNS1_17partition_subalgoE0EsNS0_10empty_typeEbEEZZNS1_14partition_implILS5_0ELb0ES3_jN6thrust23THRUST_200600_302600_NS6detail15normal_iteratorINSA_10device_ptrIsEEEEPS6_SG_NS0_5tupleIJNSA_16discard_iteratorINSA_11use_defaultEEESF_EEENSH_IJSG_SG_EEES6_PlJ7is_evenIsEEEE10hipError_tPvRmT3_T4_T5_T6_T7_T9_mT8_P12ihipStream_tbDpT10_ENKUlT_T0_E_clISt17integral_constantIbLb1EES18_IbLb0EEEEDaS14_S15_EUlS14_E_NS1_11comp_targetILNS1_3genE5ELNS1_11target_archE942ELNS1_3gpuE9ELNS1_3repE0EEENS1_30default_config_static_selectorELNS0_4arch9wavefront6targetE1EEEvT1_,comdat
.Lfunc_end2860:
	.size	_ZN7rocprim17ROCPRIM_400000_NS6detail17trampoline_kernelINS0_14default_configENS1_25partition_config_selectorILNS1_17partition_subalgoE0EsNS0_10empty_typeEbEEZZNS1_14partition_implILS5_0ELb0ES3_jN6thrust23THRUST_200600_302600_NS6detail15normal_iteratorINSA_10device_ptrIsEEEEPS6_SG_NS0_5tupleIJNSA_16discard_iteratorINSA_11use_defaultEEESF_EEENSH_IJSG_SG_EEES6_PlJ7is_evenIsEEEE10hipError_tPvRmT3_T4_T5_T6_T7_T9_mT8_P12ihipStream_tbDpT10_ENKUlT_T0_E_clISt17integral_constantIbLb1EES18_IbLb0EEEEDaS14_S15_EUlS14_E_NS1_11comp_targetILNS1_3genE5ELNS1_11target_archE942ELNS1_3gpuE9ELNS1_3repE0EEENS1_30default_config_static_selectorELNS0_4arch9wavefront6targetE1EEEvT1_, .Lfunc_end2860-_ZN7rocprim17ROCPRIM_400000_NS6detail17trampoline_kernelINS0_14default_configENS1_25partition_config_selectorILNS1_17partition_subalgoE0EsNS0_10empty_typeEbEEZZNS1_14partition_implILS5_0ELb0ES3_jN6thrust23THRUST_200600_302600_NS6detail15normal_iteratorINSA_10device_ptrIsEEEEPS6_SG_NS0_5tupleIJNSA_16discard_iteratorINSA_11use_defaultEEESF_EEENSH_IJSG_SG_EEES6_PlJ7is_evenIsEEEE10hipError_tPvRmT3_T4_T5_T6_T7_T9_mT8_P12ihipStream_tbDpT10_ENKUlT_T0_E_clISt17integral_constantIbLb1EES18_IbLb0EEEEDaS14_S15_EUlS14_E_NS1_11comp_targetILNS1_3genE5ELNS1_11target_archE942ELNS1_3gpuE9ELNS1_3repE0EEENS1_30default_config_static_selectorELNS0_4arch9wavefront6targetE1EEEvT1_
                                        ; -- End function
	.section	.AMDGPU.csdata,"",@progbits
; Kernel info:
; codeLenInByte = 0
; NumSgprs: 4
; NumVgprs: 0
; NumAgprs: 0
; TotalNumVgprs: 0
; ScratchSize: 0
; MemoryBound: 0
; FloatMode: 240
; IeeeMode: 1
; LDSByteSize: 0 bytes/workgroup (compile time only)
; SGPRBlocks: 0
; VGPRBlocks: 0
; NumSGPRsForWavesPerEU: 4
; NumVGPRsForWavesPerEU: 1
; AccumOffset: 4
; Occupancy: 8
; WaveLimiterHint : 0
; COMPUTE_PGM_RSRC2:SCRATCH_EN: 0
; COMPUTE_PGM_RSRC2:USER_SGPR: 6
; COMPUTE_PGM_RSRC2:TRAP_HANDLER: 0
; COMPUTE_PGM_RSRC2:TGID_X_EN: 1
; COMPUTE_PGM_RSRC2:TGID_Y_EN: 0
; COMPUTE_PGM_RSRC2:TGID_Z_EN: 0
; COMPUTE_PGM_RSRC2:TIDIG_COMP_CNT: 0
; COMPUTE_PGM_RSRC3_GFX90A:ACCUM_OFFSET: 0
; COMPUTE_PGM_RSRC3_GFX90A:TG_SPLIT: 0
	.section	.text._ZN7rocprim17ROCPRIM_400000_NS6detail17trampoline_kernelINS0_14default_configENS1_25partition_config_selectorILNS1_17partition_subalgoE0EsNS0_10empty_typeEbEEZZNS1_14partition_implILS5_0ELb0ES3_jN6thrust23THRUST_200600_302600_NS6detail15normal_iteratorINSA_10device_ptrIsEEEEPS6_SG_NS0_5tupleIJNSA_16discard_iteratorINSA_11use_defaultEEESF_EEENSH_IJSG_SG_EEES6_PlJ7is_evenIsEEEE10hipError_tPvRmT3_T4_T5_T6_T7_T9_mT8_P12ihipStream_tbDpT10_ENKUlT_T0_E_clISt17integral_constantIbLb1EES18_IbLb0EEEEDaS14_S15_EUlS14_E_NS1_11comp_targetILNS1_3genE4ELNS1_11target_archE910ELNS1_3gpuE8ELNS1_3repE0EEENS1_30default_config_static_selectorELNS0_4arch9wavefront6targetE1EEEvT1_,"axG",@progbits,_ZN7rocprim17ROCPRIM_400000_NS6detail17trampoline_kernelINS0_14default_configENS1_25partition_config_selectorILNS1_17partition_subalgoE0EsNS0_10empty_typeEbEEZZNS1_14partition_implILS5_0ELb0ES3_jN6thrust23THRUST_200600_302600_NS6detail15normal_iteratorINSA_10device_ptrIsEEEEPS6_SG_NS0_5tupleIJNSA_16discard_iteratorINSA_11use_defaultEEESF_EEENSH_IJSG_SG_EEES6_PlJ7is_evenIsEEEE10hipError_tPvRmT3_T4_T5_T6_T7_T9_mT8_P12ihipStream_tbDpT10_ENKUlT_T0_E_clISt17integral_constantIbLb1EES18_IbLb0EEEEDaS14_S15_EUlS14_E_NS1_11comp_targetILNS1_3genE4ELNS1_11target_archE910ELNS1_3gpuE8ELNS1_3repE0EEENS1_30default_config_static_selectorELNS0_4arch9wavefront6targetE1EEEvT1_,comdat
	.protected	_ZN7rocprim17ROCPRIM_400000_NS6detail17trampoline_kernelINS0_14default_configENS1_25partition_config_selectorILNS1_17partition_subalgoE0EsNS0_10empty_typeEbEEZZNS1_14partition_implILS5_0ELb0ES3_jN6thrust23THRUST_200600_302600_NS6detail15normal_iteratorINSA_10device_ptrIsEEEEPS6_SG_NS0_5tupleIJNSA_16discard_iteratorINSA_11use_defaultEEESF_EEENSH_IJSG_SG_EEES6_PlJ7is_evenIsEEEE10hipError_tPvRmT3_T4_T5_T6_T7_T9_mT8_P12ihipStream_tbDpT10_ENKUlT_T0_E_clISt17integral_constantIbLb1EES18_IbLb0EEEEDaS14_S15_EUlS14_E_NS1_11comp_targetILNS1_3genE4ELNS1_11target_archE910ELNS1_3gpuE8ELNS1_3repE0EEENS1_30default_config_static_selectorELNS0_4arch9wavefront6targetE1EEEvT1_ ; -- Begin function _ZN7rocprim17ROCPRIM_400000_NS6detail17trampoline_kernelINS0_14default_configENS1_25partition_config_selectorILNS1_17partition_subalgoE0EsNS0_10empty_typeEbEEZZNS1_14partition_implILS5_0ELb0ES3_jN6thrust23THRUST_200600_302600_NS6detail15normal_iteratorINSA_10device_ptrIsEEEEPS6_SG_NS0_5tupleIJNSA_16discard_iteratorINSA_11use_defaultEEESF_EEENSH_IJSG_SG_EEES6_PlJ7is_evenIsEEEE10hipError_tPvRmT3_T4_T5_T6_T7_T9_mT8_P12ihipStream_tbDpT10_ENKUlT_T0_E_clISt17integral_constantIbLb1EES18_IbLb0EEEEDaS14_S15_EUlS14_E_NS1_11comp_targetILNS1_3genE4ELNS1_11target_archE910ELNS1_3gpuE8ELNS1_3repE0EEENS1_30default_config_static_selectorELNS0_4arch9wavefront6targetE1EEEvT1_
	.globl	_ZN7rocprim17ROCPRIM_400000_NS6detail17trampoline_kernelINS0_14default_configENS1_25partition_config_selectorILNS1_17partition_subalgoE0EsNS0_10empty_typeEbEEZZNS1_14partition_implILS5_0ELb0ES3_jN6thrust23THRUST_200600_302600_NS6detail15normal_iteratorINSA_10device_ptrIsEEEEPS6_SG_NS0_5tupleIJNSA_16discard_iteratorINSA_11use_defaultEEESF_EEENSH_IJSG_SG_EEES6_PlJ7is_evenIsEEEE10hipError_tPvRmT3_T4_T5_T6_T7_T9_mT8_P12ihipStream_tbDpT10_ENKUlT_T0_E_clISt17integral_constantIbLb1EES18_IbLb0EEEEDaS14_S15_EUlS14_E_NS1_11comp_targetILNS1_3genE4ELNS1_11target_archE910ELNS1_3gpuE8ELNS1_3repE0EEENS1_30default_config_static_selectorELNS0_4arch9wavefront6targetE1EEEvT1_
	.p2align	8
	.type	_ZN7rocprim17ROCPRIM_400000_NS6detail17trampoline_kernelINS0_14default_configENS1_25partition_config_selectorILNS1_17partition_subalgoE0EsNS0_10empty_typeEbEEZZNS1_14partition_implILS5_0ELb0ES3_jN6thrust23THRUST_200600_302600_NS6detail15normal_iteratorINSA_10device_ptrIsEEEEPS6_SG_NS0_5tupleIJNSA_16discard_iteratorINSA_11use_defaultEEESF_EEENSH_IJSG_SG_EEES6_PlJ7is_evenIsEEEE10hipError_tPvRmT3_T4_T5_T6_T7_T9_mT8_P12ihipStream_tbDpT10_ENKUlT_T0_E_clISt17integral_constantIbLb1EES18_IbLb0EEEEDaS14_S15_EUlS14_E_NS1_11comp_targetILNS1_3genE4ELNS1_11target_archE910ELNS1_3gpuE8ELNS1_3repE0EEENS1_30default_config_static_selectorELNS0_4arch9wavefront6targetE1EEEvT1_,@function
_ZN7rocprim17ROCPRIM_400000_NS6detail17trampoline_kernelINS0_14default_configENS1_25partition_config_selectorILNS1_17partition_subalgoE0EsNS0_10empty_typeEbEEZZNS1_14partition_implILS5_0ELb0ES3_jN6thrust23THRUST_200600_302600_NS6detail15normal_iteratorINSA_10device_ptrIsEEEEPS6_SG_NS0_5tupleIJNSA_16discard_iteratorINSA_11use_defaultEEESF_EEENSH_IJSG_SG_EEES6_PlJ7is_evenIsEEEE10hipError_tPvRmT3_T4_T5_T6_T7_T9_mT8_P12ihipStream_tbDpT10_ENKUlT_T0_E_clISt17integral_constantIbLb1EES18_IbLb0EEEEDaS14_S15_EUlS14_E_NS1_11comp_targetILNS1_3genE4ELNS1_11target_archE910ELNS1_3gpuE8ELNS1_3repE0EEENS1_30default_config_static_selectorELNS0_4arch9wavefront6targetE1EEEvT1_: ; @_ZN7rocprim17ROCPRIM_400000_NS6detail17trampoline_kernelINS0_14default_configENS1_25partition_config_selectorILNS1_17partition_subalgoE0EsNS0_10empty_typeEbEEZZNS1_14partition_implILS5_0ELb0ES3_jN6thrust23THRUST_200600_302600_NS6detail15normal_iteratorINSA_10device_ptrIsEEEEPS6_SG_NS0_5tupleIJNSA_16discard_iteratorINSA_11use_defaultEEESF_EEENSH_IJSG_SG_EEES6_PlJ7is_evenIsEEEE10hipError_tPvRmT3_T4_T5_T6_T7_T9_mT8_P12ihipStream_tbDpT10_ENKUlT_T0_E_clISt17integral_constantIbLb1EES18_IbLb0EEEEDaS14_S15_EUlS14_E_NS1_11comp_targetILNS1_3genE4ELNS1_11target_archE910ELNS1_3gpuE8ELNS1_3repE0EEENS1_30default_config_static_selectorELNS0_4arch9wavefront6targetE1EEEvT1_
; %bb.0:
	s_load_dwordx2 s[0:1], s[4:5], 0x60
	s_load_dwordx4 s[20:23], s[4:5], 0x8
	s_load_dwordx4 s[24:27], s[4:5], 0x50
	s_load_dword s7, s[4:5], 0x78
	s_mul_i32 s8, s6, 0x1c00
	s_waitcnt lgkmcnt(0)
	v_mov_b32_e32 v3, s1
	s_lshl_b64 s[2:3], s[22:23], 1
	s_add_u32 s10, s20, s2
	s_mul_i32 s1, s7, 0x1c00
	s_addc_u32 s11, s21, s3
	s_add_i32 s3, s1, s22
	s_sub_i32 s33, s0, s3
	s_add_i32 s2, s7, -1
	s_addk_i32 s33, 0x1c00
	v_mov_b32_e32 v2, s0
	s_add_u32 s0, s22, s1
	s_addc_u32 s1, s23, 0
	s_cmp_eq_u32 s6, s2
	s_load_dwordx2 s[28:29], s[26:27], 0x0
	s_cselect_b64 s[26:27], -1, 0
	s_cmp_lg_u32 s6, s2
	s_mov_b32 s9, 0
	v_cmp_lt_u64_e32 vcc, s[0:1], v[2:3]
	s_cselect_b64 s[0:1], -1, 0
	s_or_b64 s[2:3], s[0:1], vcc
	s_lshl_b64 s[30:31], s[8:9], 1
	s_add_u32 s7, s10, s30
	s_addc_u32 s10, s11, s31
	s_mov_b64 s[0:1], -1
	s_and_b64 vcc, exec, s[2:3]
	v_lshlrev_b32_e32 v26, 1, v0
	s_cbranch_vccz .LBB2861_2
; %bb.1:
	v_mov_b32_e32 v1, s10
	v_add_co_u32_e32 v2, vcc, s7, v26
	v_addc_co_u32_e32 v3, vcc, 0, v1, vcc
	v_add_co_u32_e32 v4, vcc, 0x1000, v2
	v_addc_co_u32_e32 v5, vcc, 0, v3, vcc
	flat_load_ushort v1, v[2:3]
	flat_load_ushort v6, v[2:3] offset:512
	flat_load_ushort v7, v[2:3] offset:1024
	;; [unrolled: 1-line block ×7, first 2 shown]
	flat_load_ushort v13, v[4:5]
	flat_load_ushort v14, v[4:5] offset:512
	flat_load_ushort v15, v[4:5] offset:1024
	;; [unrolled: 1-line block ×7, first 2 shown]
	v_add_co_u32_e32 v4, vcc, 0x2000, v2
	v_addc_co_u32_e32 v5, vcc, 0, v3, vcc
	v_add_co_u32_e32 v2, vcc, 0x3000, v2
	v_addc_co_u32_e32 v3, vcc, 0, v3, vcc
	flat_load_ushort v21, v[4:5]
	flat_load_ushort v22, v[4:5] offset:512
	flat_load_ushort v23, v[4:5] offset:1024
	;; [unrolled: 1-line block ×7, first 2 shown]
	s_nop 0
	flat_load_ushort v4, v[2:3]
	flat_load_ushort v5, v[2:3] offset:512
	flat_load_ushort v30, v[2:3] offset:1024
	;; [unrolled: 1-line block ×3, first 2 shown]
	s_mov_b64 s[0:1], 0
	s_waitcnt vmcnt(0) lgkmcnt(0)
	ds_write_b16 v26, v1
	ds_write_b16 v26, v6 offset:512
	ds_write_b16 v26, v7 offset:1024
	;; [unrolled: 1-line block ×27, first 2 shown]
	s_waitcnt lgkmcnt(0)
	s_barrier
.LBB2861_2:
	s_andn2_b64 vcc, exec, s[0:1]
	v_cmp_gt_u32_e64 s[0:1], s33, v0
	s_cbranch_vccnz .LBB2861_60
; %bb.3:
                                        ; implicit-def: $vgpr1
	s_and_saveexec_b64 s[8:9], s[0:1]
	s_cbranch_execz .LBB2861_5
; %bb.4:
	v_mov_b32_e32 v1, s10
	v_add_co_u32_e32 v2, vcc, s7, v26
	v_addc_co_u32_e32 v3, vcc, 0, v1, vcc
	flat_load_ushort v1, v[2:3]
.LBB2861_5:
	s_or_b64 exec, exec, s[8:9]
	v_or_b32_e32 v2, 0x100, v0
	v_cmp_gt_u32_e32 vcc, s33, v2
                                        ; implicit-def: $vgpr2
	s_and_saveexec_b64 s[0:1], vcc
	s_cbranch_execz .LBB2861_7
; %bb.6:
	v_mov_b32_e32 v3, s10
	v_add_co_u32_e32 v2, vcc, s7, v26
	v_addc_co_u32_e32 v3, vcc, 0, v3, vcc
	flat_load_ushort v2, v[2:3] offset:512
.LBB2861_7:
	s_or_b64 exec, exec, s[0:1]
	v_or_b32_e32 v3, 0x200, v0
	v_cmp_gt_u32_e32 vcc, s33, v3
                                        ; implicit-def: $vgpr3
	s_and_saveexec_b64 s[0:1], vcc
	s_cbranch_execz .LBB2861_9
; %bb.8:
	v_mov_b32_e32 v3, s10
	v_add_co_u32_e32 v4, vcc, s7, v26
	v_addc_co_u32_e32 v5, vcc, 0, v3, vcc
	flat_load_ushort v3, v[4:5] offset:1024
.LBB2861_9:
	s_or_b64 exec, exec, s[0:1]
	v_or_b32_e32 v4, 0x300, v0
	v_cmp_gt_u32_e32 vcc, s33, v4
                                        ; implicit-def: $vgpr4
	s_and_saveexec_b64 s[0:1], vcc
	s_cbranch_execz .LBB2861_11
; %bb.10:
	v_mov_b32_e32 v5, s10
	v_add_co_u32_e32 v4, vcc, s7, v26
	v_addc_co_u32_e32 v5, vcc, 0, v5, vcc
	flat_load_ushort v4, v[4:5] offset:1536
.LBB2861_11:
	s_or_b64 exec, exec, s[0:1]
	v_or_b32_e32 v5, 0x400, v0
	v_cmp_gt_u32_e32 vcc, s33, v5
                                        ; implicit-def: $vgpr5
	s_and_saveexec_b64 s[0:1], vcc
	s_cbranch_execz .LBB2861_13
; %bb.12:
	v_mov_b32_e32 v5, s10
	v_add_co_u32_e32 v6, vcc, s7, v26
	v_addc_co_u32_e32 v7, vcc, 0, v5, vcc
	flat_load_ushort v5, v[6:7] offset:2048
.LBB2861_13:
	s_or_b64 exec, exec, s[0:1]
	v_or_b32_e32 v6, 0x500, v0
	v_cmp_gt_u32_e32 vcc, s33, v6
                                        ; implicit-def: $vgpr6
	s_and_saveexec_b64 s[0:1], vcc
	s_cbranch_execz .LBB2861_15
; %bb.14:
	v_mov_b32_e32 v7, s10
	v_add_co_u32_e32 v6, vcc, s7, v26
	v_addc_co_u32_e32 v7, vcc, 0, v7, vcc
	flat_load_ushort v6, v[6:7] offset:2560
.LBB2861_15:
	s_or_b64 exec, exec, s[0:1]
	v_or_b32_e32 v7, 0x600, v0
	v_cmp_gt_u32_e32 vcc, s33, v7
                                        ; implicit-def: $vgpr7
	s_and_saveexec_b64 s[0:1], vcc
	s_cbranch_execz .LBB2861_17
; %bb.16:
	v_mov_b32_e32 v7, s10
	v_add_co_u32_e32 v8, vcc, s7, v26
	v_addc_co_u32_e32 v9, vcc, 0, v7, vcc
	flat_load_ushort v7, v[8:9] offset:3072
.LBB2861_17:
	s_or_b64 exec, exec, s[0:1]
	v_or_b32_e32 v8, 0x700, v0
	v_cmp_gt_u32_e32 vcc, s33, v8
                                        ; implicit-def: $vgpr8
	s_and_saveexec_b64 s[0:1], vcc
	s_cbranch_execz .LBB2861_19
; %bb.18:
	v_mov_b32_e32 v9, s10
	v_add_co_u32_e32 v8, vcc, s7, v26
	v_addc_co_u32_e32 v9, vcc, 0, v9, vcc
	flat_load_ushort v8, v[8:9] offset:3584
.LBB2861_19:
	s_or_b64 exec, exec, s[0:1]
	v_or_b32_e32 v10, 0x800, v0
	v_cmp_gt_u32_e32 vcc, s33, v10
                                        ; implicit-def: $vgpr9
	s_and_saveexec_b64 s[0:1], vcc
	s_cbranch_execz .LBB2861_21
; %bb.20:
	v_lshlrev_b32_e32 v9, 1, v10
	v_mov_b32_e32 v11, s10
	v_add_co_u32_e32 v10, vcc, s7, v9
	v_addc_co_u32_e32 v11, vcc, 0, v11, vcc
	flat_load_ushort v9, v[10:11]
.LBB2861_21:
	s_or_b64 exec, exec, s[0:1]
	v_or_b32_e32 v11, 0x900, v0
	v_cmp_gt_u32_e32 vcc, s33, v11
                                        ; implicit-def: $vgpr10
	s_and_saveexec_b64 s[0:1], vcc
	s_cbranch_execz .LBB2861_23
; %bb.22:
	v_lshlrev_b32_e32 v10, 1, v11
	v_mov_b32_e32 v11, s10
	v_add_co_u32_e32 v10, vcc, s7, v10
	v_addc_co_u32_e32 v11, vcc, 0, v11, vcc
	flat_load_ushort v10, v[10:11]
.LBB2861_23:
	s_or_b64 exec, exec, s[0:1]
	v_or_b32_e32 v12, 0xa00, v0
	v_cmp_gt_u32_e32 vcc, s33, v12
                                        ; implicit-def: $vgpr11
	s_and_saveexec_b64 s[0:1], vcc
	s_cbranch_execz .LBB2861_25
; %bb.24:
	v_lshlrev_b32_e32 v11, 1, v12
	v_mov_b32_e32 v13, s10
	v_add_co_u32_e32 v12, vcc, s7, v11
	v_addc_co_u32_e32 v13, vcc, 0, v13, vcc
	flat_load_ushort v11, v[12:13]
.LBB2861_25:
	s_or_b64 exec, exec, s[0:1]
	v_or_b32_e32 v13, 0xb00, v0
	v_cmp_gt_u32_e32 vcc, s33, v13
                                        ; implicit-def: $vgpr12
	s_and_saveexec_b64 s[0:1], vcc
	s_cbranch_execz .LBB2861_27
; %bb.26:
	v_lshlrev_b32_e32 v12, 1, v13
	v_mov_b32_e32 v13, s10
	v_add_co_u32_e32 v12, vcc, s7, v12
	v_addc_co_u32_e32 v13, vcc, 0, v13, vcc
	flat_load_ushort v12, v[12:13]
.LBB2861_27:
	s_or_b64 exec, exec, s[0:1]
	v_or_b32_e32 v14, 0xc00, v0
	v_cmp_gt_u32_e32 vcc, s33, v14
                                        ; implicit-def: $vgpr13
	s_and_saveexec_b64 s[0:1], vcc
	s_cbranch_execz .LBB2861_29
; %bb.28:
	v_lshlrev_b32_e32 v13, 1, v14
	v_mov_b32_e32 v15, s10
	v_add_co_u32_e32 v14, vcc, s7, v13
	v_addc_co_u32_e32 v15, vcc, 0, v15, vcc
	flat_load_ushort v13, v[14:15]
.LBB2861_29:
	s_or_b64 exec, exec, s[0:1]
	v_or_b32_e32 v15, 0xd00, v0
	v_cmp_gt_u32_e32 vcc, s33, v15
                                        ; implicit-def: $vgpr14
	s_and_saveexec_b64 s[0:1], vcc
	s_cbranch_execz .LBB2861_31
; %bb.30:
	v_lshlrev_b32_e32 v14, 1, v15
	v_mov_b32_e32 v15, s10
	v_add_co_u32_e32 v14, vcc, s7, v14
	v_addc_co_u32_e32 v15, vcc, 0, v15, vcc
	flat_load_ushort v14, v[14:15]
.LBB2861_31:
	s_or_b64 exec, exec, s[0:1]
	v_or_b32_e32 v16, 0xe00, v0
	v_cmp_gt_u32_e32 vcc, s33, v16
                                        ; implicit-def: $vgpr15
	s_and_saveexec_b64 s[0:1], vcc
	s_cbranch_execz .LBB2861_33
; %bb.32:
	v_lshlrev_b32_e32 v15, 1, v16
	v_mov_b32_e32 v17, s10
	v_add_co_u32_e32 v16, vcc, s7, v15
	v_addc_co_u32_e32 v17, vcc, 0, v17, vcc
	flat_load_ushort v15, v[16:17]
.LBB2861_33:
	s_or_b64 exec, exec, s[0:1]
	v_or_b32_e32 v17, 0xf00, v0
	v_cmp_gt_u32_e32 vcc, s33, v17
                                        ; implicit-def: $vgpr16
	s_and_saveexec_b64 s[0:1], vcc
	s_cbranch_execz .LBB2861_35
; %bb.34:
	v_lshlrev_b32_e32 v16, 1, v17
	v_mov_b32_e32 v17, s10
	v_add_co_u32_e32 v16, vcc, s7, v16
	v_addc_co_u32_e32 v17, vcc, 0, v17, vcc
	flat_load_ushort v16, v[16:17]
.LBB2861_35:
	s_or_b64 exec, exec, s[0:1]
	v_or_b32_e32 v18, 0x1000, v0
	v_cmp_gt_u32_e32 vcc, s33, v18
                                        ; implicit-def: $vgpr17
	s_and_saveexec_b64 s[0:1], vcc
	s_cbranch_execz .LBB2861_37
; %bb.36:
	v_lshlrev_b32_e32 v17, 1, v18
	v_mov_b32_e32 v19, s10
	v_add_co_u32_e32 v18, vcc, s7, v17
	v_addc_co_u32_e32 v19, vcc, 0, v19, vcc
	flat_load_ushort v17, v[18:19]
.LBB2861_37:
	s_or_b64 exec, exec, s[0:1]
	v_or_b32_e32 v19, 0x1100, v0
	v_cmp_gt_u32_e32 vcc, s33, v19
                                        ; implicit-def: $vgpr18
	s_and_saveexec_b64 s[0:1], vcc
	s_cbranch_execz .LBB2861_39
; %bb.38:
	v_lshlrev_b32_e32 v18, 1, v19
	v_mov_b32_e32 v19, s10
	v_add_co_u32_e32 v18, vcc, s7, v18
	v_addc_co_u32_e32 v19, vcc, 0, v19, vcc
	flat_load_ushort v18, v[18:19]
.LBB2861_39:
	s_or_b64 exec, exec, s[0:1]
	v_or_b32_e32 v20, 0x1200, v0
	v_cmp_gt_u32_e32 vcc, s33, v20
                                        ; implicit-def: $vgpr19
	s_and_saveexec_b64 s[0:1], vcc
	s_cbranch_execz .LBB2861_41
; %bb.40:
	v_lshlrev_b32_e32 v19, 1, v20
	v_mov_b32_e32 v21, s10
	v_add_co_u32_e32 v20, vcc, s7, v19
	v_addc_co_u32_e32 v21, vcc, 0, v21, vcc
	flat_load_ushort v19, v[20:21]
.LBB2861_41:
	s_or_b64 exec, exec, s[0:1]
	v_or_b32_e32 v21, 0x1300, v0
	v_cmp_gt_u32_e32 vcc, s33, v21
                                        ; implicit-def: $vgpr20
	s_and_saveexec_b64 s[0:1], vcc
	s_cbranch_execz .LBB2861_43
; %bb.42:
	v_lshlrev_b32_e32 v20, 1, v21
	v_mov_b32_e32 v21, s10
	v_add_co_u32_e32 v20, vcc, s7, v20
	v_addc_co_u32_e32 v21, vcc, 0, v21, vcc
	flat_load_ushort v20, v[20:21]
.LBB2861_43:
	s_or_b64 exec, exec, s[0:1]
	v_or_b32_e32 v22, 0x1400, v0
	v_cmp_gt_u32_e32 vcc, s33, v22
                                        ; implicit-def: $vgpr21
	s_and_saveexec_b64 s[0:1], vcc
	s_cbranch_execz .LBB2861_45
; %bb.44:
	v_lshlrev_b32_e32 v21, 1, v22
	v_mov_b32_e32 v23, s10
	v_add_co_u32_e32 v22, vcc, s7, v21
	v_addc_co_u32_e32 v23, vcc, 0, v23, vcc
	flat_load_ushort v21, v[22:23]
.LBB2861_45:
	s_or_b64 exec, exec, s[0:1]
	v_or_b32_e32 v23, 0x1500, v0
	v_cmp_gt_u32_e32 vcc, s33, v23
                                        ; implicit-def: $vgpr22
	s_and_saveexec_b64 s[0:1], vcc
	s_cbranch_execz .LBB2861_47
; %bb.46:
	v_lshlrev_b32_e32 v22, 1, v23
	v_mov_b32_e32 v23, s10
	v_add_co_u32_e32 v22, vcc, s7, v22
	v_addc_co_u32_e32 v23, vcc, 0, v23, vcc
	flat_load_ushort v22, v[22:23]
.LBB2861_47:
	s_or_b64 exec, exec, s[0:1]
	v_or_b32_e32 v24, 0x1600, v0
	v_cmp_gt_u32_e32 vcc, s33, v24
                                        ; implicit-def: $vgpr23
	s_and_saveexec_b64 s[0:1], vcc
	s_cbranch_execz .LBB2861_49
; %bb.48:
	v_lshlrev_b32_e32 v23, 1, v24
	v_mov_b32_e32 v25, s10
	v_add_co_u32_e32 v24, vcc, s7, v23
	v_addc_co_u32_e32 v25, vcc, 0, v25, vcc
	flat_load_ushort v23, v[24:25]
.LBB2861_49:
	s_or_b64 exec, exec, s[0:1]
	v_or_b32_e32 v25, 0x1700, v0
	v_cmp_gt_u32_e32 vcc, s33, v25
                                        ; implicit-def: $vgpr24
	s_and_saveexec_b64 s[0:1], vcc
	s_cbranch_execz .LBB2861_51
; %bb.50:
	v_lshlrev_b32_e32 v24, 1, v25
	v_mov_b32_e32 v25, s10
	v_add_co_u32_e32 v24, vcc, s7, v24
	v_addc_co_u32_e32 v25, vcc, 0, v25, vcc
	flat_load_ushort v24, v[24:25]
.LBB2861_51:
	s_or_b64 exec, exec, s[0:1]
	v_or_b32_e32 v27, 0x1800, v0
	v_cmp_gt_u32_e32 vcc, s33, v27
                                        ; implicit-def: $vgpr25
	s_and_saveexec_b64 s[0:1], vcc
	s_cbranch_execz .LBB2861_53
; %bb.52:
	v_lshlrev_b32_e32 v25, 1, v27
	v_mov_b32_e32 v27, s10
	v_add_co_u32_e32 v28, vcc, s7, v25
	v_addc_co_u32_e32 v29, vcc, 0, v27, vcc
	flat_load_ushort v25, v[28:29]
.LBB2861_53:
	s_or_b64 exec, exec, s[0:1]
	v_or_b32_e32 v28, 0x1900, v0
	v_cmp_gt_u32_e32 vcc, s33, v28
                                        ; implicit-def: $vgpr27
	s_and_saveexec_b64 s[0:1], vcc
	s_cbranch_execz .LBB2861_55
; %bb.54:
	v_lshlrev_b32_e32 v27, 1, v28
	v_mov_b32_e32 v29, s10
	v_add_co_u32_e32 v28, vcc, s7, v27
	v_addc_co_u32_e32 v29, vcc, 0, v29, vcc
	flat_load_ushort v27, v[28:29]
.LBB2861_55:
	s_or_b64 exec, exec, s[0:1]
	v_or_b32_e32 v29, 0x1a00, v0
	v_cmp_gt_u32_e32 vcc, s33, v29
                                        ; implicit-def: $vgpr28
	s_and_saveexec_b64 s[0:1], vcc
	s_cbranch_execz .LBB2861_57
; %bb.56:
	v_lshlrev_b32_e32 v28, 1, v29
	v_mov_b32_e32 v29, s10
	v_add_co_u32_e32 v28, vcc, s7, v28
	v_addc_co_u32_e32 v29, vcc, 0, v29, vcc
	flat_load_ushort v28, v[28:29]
.LBB2861_57:
	s_or_b64 exec, exec, s[0:1]
	v_or_b32_e32 v30, 0x1b00, v0
	v_cmp_gt_u32_e32 vcc, s33, v30
                                        ; implicit-def: $vgpr29
	s_and_saveexec_b64 s[0:1], vcc
	s_cbranch_execz .LBB2861_59
; %bb.58:
	v_lshlrev_b32_e32 v29, 1, v30
	v_mov_b32_e32 v31, s10
	v_add_co_u32_e32 v30, vcc, s7, v29
	v_addc_co_u32_e32 v31, vcc, 0, v31, vcc
	flat_load_ushort v29, v[30:31]
.LBB2861_59:
	s_or_b64 exec, exec, s[0:1]
	s_waitcnt vmcnt(0) lgkmcnt(0)
	ds_write_b16 v26, v1
	ds_write_b16 v26, v2 offset:512
	ds_write_b16 v26, v3 offset:1024
	;; [unrolled: 1-line block ×27, first 2 shown]
	s_waitcnt lgkmcnt(0)
	s_barrier
.LBB2861_60:
	v_mul_u32_u24_e32 v39, 28, v0
	v_lshlrev_b32_e32 v6, 1, v39
	s_waitcnt lgkmcnt(0)
	ds_read_b64 v[16:17], v6 offset:48
	ds_read2_b64 v[2:5], v6 offset0:4 offset1:5
	ds_read2_b64 v[10:13], v6 offset1:1
	ds_read2_b64 v[6:9], v6 offset0:2 offset1:3
	v_cndmask_b32_e64 v14, 0, 1, s[2:3]
	s_waitcnt lgkmcnt(3)
	v_lshrrev_b32_e32 v27, 16, v16
	v_lshrrev_b32_e32 v1, 16, v17
	s_waitcnt lgkmcnt(2)
	v_lshrrev_b32_e32 v31, 16, v2
	v_lshrrev_b32_e32 v30, 16, v3
	v_lshrrev_b32_e32 v29, 16, v4
	v_lshrrev_b32_e32 v28, 16, v5
	s_waitcnt lgkmcnt(1)
	v_lshrrev_b32_e32 v40, 16, v10
	v_lshrrev_b32_e32 v38, 16, v11
	v_lshrrev_b32_e32 v37, 16, v12
	v_lshrrev_b32_e32 v36, 16, v13
	s_waitcnt lgkmcnt(0)
	v_lshrrev_b32_e32 v35, 16, v6
	v_lshrrev_b32_e32 v34, 16, v7
	v_lshrrev_b32_e32 v33, 16, v8
	v_lshrrev_b32_e32 v32, 16, v9
	v_cmp_ne_u32_e64 s[0:1], 1, v14
	s_andn2_b64 vcc, exec, s[2:3]
	v_xor_b32_e32 v86, -1, v10
	v_xor_b32_e32 v85, -1, v40
	v_xor_b32_e32 v84, -1, v11
	v_xor_b32_e32 v83, -1, v38
	v_xor_b32_e32 v82, -1, v12
	v_xor_b32_e32 v81, -1, v37
	v_xor_b32_e32 v80, -1, v13
	v_xor_b32_e32 v79, -1, v36
	v_xor_b32_e32 v78, -1, v6
	v_xor_b32_e32 v77, -1, v35
	v_xor_b32_e32 v76, -1, v7
	v_xor_b32_e32 v75, -1, v34
	v_xor_b32_e32 v74, -1, v8
	v_xor_b32_e32 v73, -1, v33
	v_xor_b32_e32 v72, -1, v9
	v_xor_b32_e32 v71, -1, v32
	v_xor_b32_e32 v70, -1, v2
	v_xor_b32_e32 v69, -1, v31
	v_xor_b32_e32 v25, -1, v3
	v_xor_b32_e32 v24, -1, v30
	v_xor_b32_e32 v23, -1, v4
	v_xor_b32_e32 v22, -1, v29
	v_xor_b32_e32 v21, -1, v5
	v_xor_b32_e32 v20, -1, v28
	v_xor_b32_e32 v19, -1, v16
	v_xor_b32_e32 v18, -1, v27
	v_xor_b32_e32 v15, -1, v17
	v_xor_b32_e32 v14, -1, v1
	s_barrier
	s_cbranch_vccnz .LBB2861_62
; %bb.61:
	v_and_b32_e32 v68, 1, v86
	v_and_b32_e32 v67, 1, v85
	;; [unrolled: 1-line block ×28, first 2 shown]
	s_load_dwordx2 s[34:35], s[4:5], 0x70
	s_cbranch_execz .LBB2861_63
	s_branch .LBB2861_64
.LBB2861_62:
                                        ; implicit-def: $vgpr68
                                        ; implicit-def: $vgpr67
                                        ; implicit-def: $vgpr66
                                        ; implicit-def: $vgpr65
                                        ; implicit-def: $vgpr64
                                        ; implicit-def: $vgpr63
                                        ; implicit-def: $vgpr62
                                        ; implicit-def: $vgpr61
                                        ; implicit-def: $vgpr60
                                        ; implicit-def: $vgpr59
                                        ; implicit-def: $vgpr58
                                        ; implicit-def: $vgpr57
                                        ; implicit-def: $vgpr56
                                        ; implicit-def: $vgpr55
                                        ; implicit-def: $vgpr54
                                        ; implicit-def: $vgpr53
                                        ; implicit-def: $vgpr52
                                        ; implicit-def: $vgpr51
                                        ; implicit-def: $vgpr50
                                        ; implicit-def: $vgpr49
                                        ; implicit-def: $vgpr48
                                        ; implicit-def: $vgpr47
                                        ; implicit-def: $vgpr46
                                        ; implicit-def: $vgpr45
                                        ; implicit-def: $vgpr44
                                        ; implicit-def: $vgpr43
                                        ; implicit-def: $vgpr41
                                        ; implicit-def: $vgpr42
	s_load_dwordx2 s[34:35], s[4:5], 0x70
.LBB2861_63:
	v_or_b32_e32 v50, 1, v39
	v_cmp_gt_u32_e32 vcc, s33, v39
	v_or_b32_e32 v51, 2, v39
	v_cndmask_b32_e64 v59, 0, 1, vcc
	v_cmp_gt_u32_e32 vcc, s33, v50
	v_or_b32_e32 v52, 3, v39
	v_cndmask_b32_e64 v50, 0, 1, vcc
	v_cmp_gt_u32_e32 vcc, s33, v51
	v_add_u32_e32 v53, 4, v39
	v_and_b32_e32 v67, v50, v85
	v_cndmask_b32_e64 v50, 0, 1, vcc
	v_cmp_gt_u32_e32 vcc, s33, v52
	v_add_u32_e32 v54, 5, v39
	v_and_b32_e32 v66, v50, v84
	v_cndmask_b32_e64 v50, 0, 1, vcc
	v_cmp_gt_u32_e32 vcc, s33, v53
	v_add_u32_e32 v55, 6, v39
	v_and_b32_e32 v65, v50, v83
	v_cndmask_b32_e64 v50, 0, 1, vcc
	v_cmp_gt_u32_e32 vcc, s33, v54
	v_add_u32_e32 v56, 7, v39
	v_and_b32_e32 v64, v50, v82
	v_cndmask_b32_e64 v50, 0, 1, vcc
	v_cmp_gt_u32_e32 vcc, s33, v55
	v_add_u32_e32 v57, 8, v39
	v_and_b32_e32 v63, v50, v81
	v_cndmask_b32_e64 v50, 0, 1, vcc
	v_cmp_gt_u32_e32 vcc, s33, v56
	v_add_u32_e32 v58, 9, v39
	v_and_b32_e32 v62, v50, v80
	v_cndmask_b32_e64 v50, 0, 1, vcc
	v_cmp_gt_u32_e32 vcc, s33, v57
	v_add_u32_e32 v87, 10, v39
	v_and_b32_e32 v61, v50, v79
	v_cndmask_b32_e64 v50, 0, 1, vcc
	v_cmp_gt_u32_e32 vcc, s33, v58
	v_add_u32_e32 v88, 11, v39
	v_and_b32_e32 v60, v50, v78
	v_cndmask_b32_e64 v50, 0, 1, vcc
	v_cmp_gt_u32_e32 vcc, s33, v87
	v_add_u32_e32 v89, 12, v39
	v_and_b32_e32 v68, v59, v86
	v_and_b32_e32 v59, v50, v77
	v_cndmask_b32_e64 v50, 0, 1, vcc
	v_cmp_gt_u32_e32 vcc, s33, v88
	v_add_u32_e32 v90, 13, v39
	v_and_b32_e32 v58, v50, v76
	v_cndmask_b32_e64 v50, 0, 1, vcc
	v_cmp_gt_u32_e32 vcc, s33, v89
	v_add_u32_e32 v91, 14, v39
	;; [unrolled: 4-line block ×15, first 2 shown]
	v_and_b32_e32 v44, v20, v19
	v_cndmask_b32_e64 v19, 0, 1, vcc
	v_cmp_gt_u32_e32 vcc, s33, v41
	v_and_b32_e32 v43, v19, v18
	v_cndmask_b32_e64 v18, 0, 1, vcc
	v_cmp_gt_u32_e32 vcc, s33, v42
	v_and_b32_e32 v41, v18, v15
	v_cndmask_b32_e64 v15, 0, 1, vcc
	v_and_b32_e32 v42, v15, v14
.LBB2861_64:
	v_and_b32_e32 v93, 0xff, v44
	v_and_b32_e32 v94, 0xff, v43
	v_add_u32_sdwa v14, v41, v42 dst_sel:DWORD dst_unused:UNUSED_PAD src0_sel:BYTE_0 src1_sel:BYTE_0
	v_and_b32_e32 v91, 0xff, v46
	v_and_b32_e32 v92, 0xff, v45
	v_add3_u32 v14, v14, v94, v93
	v_and_b32_e32 v89, 0xff, v48
	v_and_b32_e32 v90, 0xff, v47
	v_add3_u32 v14, v14, v92, v91
	;; [unrolled: 3-line block ×12, first 2 shown]
	v_add3_u32 v97, v14, v70, v69
	v_mbcnt_lo_u32_b32 v14, -1, 0
	v_mbcnt_hi_u32_b32 v95, -1, v14
	v_and_b32_e32 v14, 15, v95
	v_cmp_eq_u32_e64 s[16:17], 0, v14
	v_cmp_lt_u32_e64 s[14:15], 1, v14
	v_cmp_lt_u32_e64 s[12:13], 3, v14
	;; [unrolled: 1-line block ×3, first 2 shown]
	v_and_b32_e32 v14, 16, v95
	v_cmp_eq_u32_e64 s[8:9], 0, v14
	v_or_b32_e32 v14, 63, v0
	s_cmp_lg_u32 s6, 0
	v_cmp_lt_u32_e64 s[2:3], 31, v95
	v_lshrrev_b32_e32 v96, 6, v0
	v_cmp_eq_u32_e64 s[20:21], v14, v0
	s_cbranch_scc0 .LBB2861_95
; %bb.65:
	v_mov_b32_dpp v14, v97 row_shr:1 row_mask:0xf bank_mask:0xf
	v_cndmask_b32_e64 v14, v14, 0, s[16:17]
	v_add_u32_e32 v14, v14, v97
	s_nop 1
	v_mov_b32_dpp v15, v14 row_shr:2 row_mask:0xf bank_mask:0xf
	v_cndmask_b32_e64 v15, 0, v15, s[14:15]
	v_add_u32_e32 v14, v14, v15
	s_nop 1
	;; [unrolled: 4-line block ×4, first 2 shown]
	v_mov_b32_dpp v15, v14 row_bcast:15 row_mask:0xf bank_mask:0xf
	v_cndmask_b32_e64 v15, v15, 0, s[8:9]
	v_add_u32_e32 v14, v14, v15
	s_nop 1
	v_mov_b32_dpp v15, v14 row_bcast:31 row_mask:0xf bank_mask:0xf
	v_cndmask_b32_e64 v15, 0, v15, s[2:3]
	v_add_u32_e32 v14, v14, v15
	s_and_saveexec_b64 s[18:19], s[20:21]
	s_cbranch_execz .LBB2861_67
; %bb.66:
	v_lshlrev_b32_e32 v15, 2, v96
	ds_write_b32 v15, v14
.LBB2861_67:
	s_or_b64 exec, exec, s[18:19]
	v_cmp_gt_u32_e32 vcc, 4, v0
	s_waitcnt lgkmcnt(0)
	s_barrier
	s_and_saveexec_b64 s[18:19], vcc
	s_cbranch_execz .LBB2861_69
; %bb.68:
	v_lshlrev_b32_e32 v15, 2, v0
	ds_read_b32 v18, v15
	v_and_b32_e32 v19, 3, v95
	v_cmp_ne_u32_e32 vcc, 0, v19
	s_waitcnt lgkmcnt(0)
	v_mov_b32_dpp v20, v18 row_shr:1 row_mask:0xf bank_mask:0xf
	v_cndmask_b32_e32 v20, 0, v20, vcc
	v_add_u32_e32 v18, v20, v18
	v_cmp_lt_u32_e32 vcc, 1, v19
	s_nop 0
	v_mov_b32_dpp v20, v18 row_shr:2 row_mask:0xf bank_mask:0xf
	v_cndmask_b32_e32 v19, 0, v20, vcc
	v_add_u32_e32 v18, v18, v19
	ds_write_b32 v15, v18
.LBB2861_69:
	s_or_b64 exec, exec, s[18:19]
	v_cmp_gt_u32_e32 vcc, 64, v0
	v_cmp_lt_u32_e64 s[18:19], 63, v0
	s_waitcnt lgkmcnt(0)
	s_barrier
	s_waitcnt lgkmcnt(0)
                                        ; implicit-def: $vgpr98
	s_and_saveexec_b64 s[36:37], s[18:19]
	s_cbranch_execz .LBB2861_71
; %bb.70:
	v_lshl_add_u32 v15, v96, 2, -4
	ds_read_b32 v98, v15
	s_waitcnt lgkmcnt(0)
	v_add_u32_e32 v14, v98, v14
.LBB2861_71:
	s_or_b64 exec, exec, s[36:37]
	v_add_u32_e32 v15, -1, v95
	v_and_b32_e32 v18, 64, v95
	v_cmp_lt_i32_e64 s[18:19], v15, v18
	v_cndmask_b32_e64 v15, v15, v95, s[18:19]
	v_lshlrev_b32_e32 v15, 2, v15
	ds_bpermute_b32 v99, v15, v14
	v_cmp_eq_u32_e64 s[18:19], 0, v95
	s_and_saveexec_b64 s[36:37], vcc
	s_cbranch_execz .LBB2861_94
; %bb.72:
	v_mov_b32_e32 v25, 0
	ds_read_b32 v14, v25 offset:12
	s_and_saveexec_b64 s[38:39], s[18:19]
	s_cbranch_execz .LBB2861_74
; %bb.73:
	s_add_i32 s40, s6, 64
	s_mov_b32 s41, 0
	s_lshl_b64 s[40:41], s[40:41], 3
	s_add_u32 s40, s34, s40
	v_mov_b32_e32 v15, 1
	s_addc_u32 s41, s35, s41
	s_waitcnt lgkmcnt(0)
	global_store_dwordx2 v25, v[14:15], s[40:41]
.LBB2861_74:
	s_or_b64 exec, exec, s[38:39]
	v_xad_u32 v18, v95, -1, s6
	v_add_u32_e32 v24, 64, v18
	v_lshlrev_b64 v[20:21], 3, v[24:25]
	v_mov_b32_e32 v15, s35
	v_add_co_u32_e32 v20, vcc, s34, v20
	v_addc_co_u32_e32 v21, vcc, v15, v21, vcc
	global_load_dwordx2 v[22:23], v[20:21], off glc
	s_waitcnt vmcnt(0)
	v_cmp_eq_u16_sdwa s[40:41], v23, v25 src0_sel:BYTE_0 src1_sel:DWORD
	s_and_saveexec_b64 s[38:39], s[40:41]
	s_cbranch_execz .LBB2861_80
; %bb.75:
	s_mov_b32 s7, 1
	s_mov_b64 s[40:41], 0
	v_mov_b32_e32 v15, 0
.LBB2861_76:                            ; =>This Loop Header: Depth=1
                                        ;     Child Loop BB2861_77 Depth 2
	s_max_u32 s42, s7, 1
.LBB2861_77:                            ;   Parent Loop BB2861_76 Depth=1
                                        ; =>  This Inner Loop Header: Depth=2
	s_add_i32 s42, s42, -1
	s_cmp_eq_u32 s42, 0
	s_sleep 1
	s_cbranch_scc0 .LBB2861_77
; %bb.78:                               ;   in Loop: Header=BB2861_76 Depth=1
	global_load_dwordx2 v[22:23], v[20:21], off glc
	s_cmp_lt_u32 s7, 32
	s_cselect_b64 s[42:43], -1, 0
	s_cmp_lg_u64 s[42:43], 0
	s_addc_u32 s7, s7, 0
	s_waitcnt vmcnt(0)
	v_cmp_ne_u16_sdwa s[42:43], v23, v15 src0_sel:BYTE_0 src1_sel:DWORD
	s_or_b64 s[40:41], s[42:43], s[40:41]
	s_andn2_b64 exec, exec, s[40:41]
	s_cbranch_execnz .LBB2861_76
; %bb.79:
	s_or_b64 exec, exec, s[40:41]
.LBB2861_80:
	s_or_b64 exec, exec, s[38:39]
	v_and_b32_e32 v101, 63, v95
	v_mov_b32_e32 v100, 2
	v_cmp_ne_u32_e32 vcc, 63, v101
	v_cmp_eq_u16_sdwa s[38:39], v23, v100 src0_sel:BYTE_0 src1_sel:DWORD
	v_lshlrev_b64 v[20:21], v95, -1
	v_addc_co_u32_e32 v24, vcc, 0, v95, vcc
	v_and_b32_e32 v15, s39, v21
	v_lshlrev_b32_e32 v102, 2, v24
	v_or_b32_e32 v15, 0x80000000, v15
	ds_bpermute_b32 v24, v102, v22
	v_and_b32_e32 v19, s38, v20
	v_ffbl_b32_e32 v15, v15
	v_add_u32_e32 v15, 32, v15
	v_ffbl_b32_e32 v19, v19
	v_min_u32_e32 v15, v19, v15
	v_cmp_lt_u32_e32 vcc, v101, v15
	s_waitcnt lgkmcnt(0)
	v_cndmask_b32_e32 v19, 0, v24, vcc
	v_cmp_gt_u32_e32 vcc, 62, v101
	v_add_u32_e32 v19, v19, v22
	v_cndmask_b32_e64 v22, 0, 1, vcc
	v_lshlrev_b32_e32 v22, 1, v22
	v_add_lshl_u32 v103, v22, v95, 2
	ds_bpermute_b32 v22, v103, v19
	v_add_u32_e32 v104, 2, v101
	v_cmp_le_u32_e32 vcc, v104, v15
	v_add_u32_e32 v106, 4, v101
	v_add_u32_e32 v108, 8, v101
	s_waitcnt lgkmcnt(0)
	v_cndmask_b32_e32 v22, 0, v22, vcc
	v_cmp_gt_u32_e32 vcc, 60, v101
	v_add_u32_e32 v19, v19, v22
	v_cndmask_b32_e64 v22, 0, 1, vcc
	v_lshlrev_b32_e32 v22, 2, v22
	v_add_lshl_u32 v105, v22, v95, 2
	ds_bpermute_b32 v22, v105, v19
	v_cmp_le_u32_e32 vcc, v106, v15
	v_add_u32_e32 v110, 16, v101
	v_add_u32_e32 v112, 32, v101
	s_waitcnt lgkmcnt(0)
	v_cndmask_b32_e32 v22, 0, v22, vcc
	v_cmp_gt_u32_e32 vcc, 56, v101
	v_add_u32_e32 v19, v19, v22
	v_cndmask_b32_e64 v22, 0, 1, vcc
	v_lshlrev_b32_e32 v22, 3, v22
	v_add_lshl_u32 v107, v22, v95, 2
	ds_bpermute_b32 v22, v107, v19
	v_cmp_le_u32_e32 vcc, v108, v15
	s_waitcnt lgkmcnt(0)
	v_cndmask_b32_e32 v22, 0, v22, vcc
	v_cmp_gt_u32_e32 vcc, 48, v101
	v_add_u32_e32 v19, v19, v22
	v_cndmask_b32_e64 v22, 0, 1, vcc
	v_lshlrev_b32_e32 v22, 4, v22
	v_add_lshl_u32 v109, v22, v95, 2
	ds_bpermute_b32 v22, v109, v19
	v_cmp_le_u32_e32 vcc, v110, v15
	;; [unrolled: 9-line block ×3, first 2 shown]
	s_waitcnt lgkmcnt(0)
	v_cndmask_b32_e32 v15, 0, v22, vcc
	v_add_u32_e32 v22, v19, v15
	v_mov_b32_e32 v19, 0
	s_branch .LBB2861_82
.LBB2861_81:                            ;   in Loop: Header=BB2861_82 Depth=1
	s_or_b64 exec, exec, s[38:39]
	v_cmp_eq_u16_sdwa s[38:39], v23, v100 src0_sel:BYTE_0 src1_sel:DWORD
	v_and_b32_e32 v24, s39, v21
	v_or_b32_e32 v24, 0x80000000, v24
	ds_bpermute_b32 v113, v102, v22
	v_and_b32_e32 v25, s38, v20
	v_ffbl_b32_e32 v24, v24
	v_add_u32_e32 v24, 32, v24
	v_ffbl_b32_e32 v25, v25
	v_min_u32_e32 v24, v25, v24
	v_cmp_lt_u32_e32 vcc, v101, v24
	s_waitcnt lgkmcnt(0)
	v_cndmask_b32_e32 v25, 0, v113, vcc
	v_add_u32_e32 v22, v25, v22
	ds_bpermute_b32 v25, v103, v22
	v_cmp_le_u32_e32 vcc, v104, v24
	v_subrev_u32_e32 v18, 64, v18
	s_waitcnt lgkmcnt(0)
	v_cndmask_b32_e32 v25, 0, v25, vcc
	v_add_u32_e32 v22, v22, v25
	ds_bpermute_b32 v25, v105, v22
	v_cmp_le_u32_e32 vcc, v106, v24
	s_waitcnt lgkmcnt(0)
	v_cndmask_b32_e32 v25, 0, v25, vcc
	v_add_u32_e32 v22, v22, v25
	ds_bpermute_b32 v25, v107, v22
	v_cmp_le_u32_e32 vcc, v108, v24
	;; [unrolled: 5-line block ×4, first 2 shown]
	s_waitcnt lgkmcnt(0)
	v_cndmask_b32_e32 v24, 0, v25, vcc
	v_add3_u32 v22, v24, v15, v22
.LBB2861_82:                            ; =>This Loop Header: Depth=1
                                        ;     Child Loop BB2861_85 Depth 2
                                        ;       Child Loop BB2861_86 Depth 3
	v_cmp_ne_u16_sdwa s[38:39], v23, v100 src0_sel:BYTE_0 src1_sel:DWORD
	v_cndmask_b32_e64 v15, 0, 1, s[38:39]
	;;#ASMSTART
	;;#ASMEND
	v_cmp_ne_u32_e32 vcc, 0, v15
	s_cmp_lg_u64 vcc, exec
	v_mov_b32_e32 v15, v22
	s_cbranch_scc1 .LBB2861_89
; %bb.83:                               ;   in Loop: Header=BB2861_82 Depth=1
	v_lshlrev_b64 v[22:23], 3, v[18:19]
	v_mov_b32_e32 v25, s35
	v_add_co_u32_e32 v24, vcc, s34, v22
	v_addc_co_u32_e32 v25, vcc, v25, v23, vcc
	global_load_dwordx2 v[22:23], v[24:25], off glc
	s_waitcnt vmcnt(0)
	v_cmp_eq_u16_sdwa s[40:41], v23, v19 src0_sel:BYTE_0 src1_sel:DWORD
	s_and_saveexec_b64 s[38:39], s[40:41]
	s_cbranch_execz .LBB2861_81
; %bb.84:                               ;   in Loop: Header=BB2861_82 Depth=1
	s_mov_b32 s7, 1
	s_mov_b64 s[40:41], 0
.LBB2861_85:                            ;   Parent Loop BB2861_82 Depth=1
                                        ; =>  This Loop Header: Depth=2
                                        ;       Child Loop BB2861_86 Depth 3
	s_max_u32 s42, s7, 1
.LBB2861_86:                            ;   Parent Loop BB2861_82 Depth=1
                                        ;     Parent Loop BB2861_85 Depth=2
                                        ; =>    This Inner Loop Header: Depth=3
	s_add_i32 s42, s42, -1
	s_cmp_eq_u32 s42, 0
	s_sleep 1
	s_cbranch_scc0 .LBB2861_86
; %bb.87:                               ;   in Loop: Header=BB2861_85 Depth=2
	global_load_dwordx2 v[22:23], v[24:25], off glc
	s_cmp_lt_u32 s7, 32
	s_cselect_b64 s[42:43], -1, 0
	s_cmp_lg_u64 s[42:43], 0
	s_addc_u32 s7, s7, 0
	s_waitcnt vmcnt(0)
	v_cmp_ne_u16_sdwa s[42:43], v23, v19 src0_sel:BYTE_0 src1_sel:DWORD
	s_or_b64 s[40:41], s[42:43], s[40:41]
	s_andn2_b64 exec, exec, s[40:41]
	s_cbranch_execnz .LBB2861_85
; %bb.88:                               ;   in Loop: Header=BB2861_82 Depth=1
	s_or_b64 exec, exec, s[40:41]
	s_branch .LBB2861_81
.LBB2861_89:                            ;   in Loop: Header=BB2861_82 Depth=1
                                        ; implicit-def: $vgpr22
                                        ; implicit-def: $vgpr23
	s_cbranch_execz .LBB2861_82
; %bb.90:
	s_and_saveexec_b64 s[38:39], s[18:19]
	s_cbranch_execz .LBB2861_92
; %bb.91:
	s_add_i32 s6, s6, 64
	s_mov_b32 s7, 0
	s_lshl_b64 s[6:7], s[6:7], 3
	s_add_u32 s6, s34, s6
	v_add_u32_e32 v18, v15, v14
	v_mov_b32_e32 v19, 2
	s_addc_u32 s7, s35, s7
	v_mov_b32_e32 v20, 0
	global_store_dwordx2 v20, v[18:19], s[6:7]
	ds_write_b64 v20, v[14:15] offset:14336
.LBB2861_92:
	s_or_b64 exec, exec, s[38:39]
	v_cmp_eq_u32_e32 vcc, 0, v0
	s_and_b64 exec, exec, vcc
	s_cbranch_execz .LBB2861_94
; %bb.93:
	v_mov_b32_e32 v14, 0
	ds_write_b32 v14, v15 offset:12
.LBB2861_94:
	s_or_b64 exec, exec, s[36:37]
	v_mov_b32_e32 v14, 0
	s_waitcnt lgkmcnt(0)
	s_barrier
	ds_read_b32 v19, v14 offset:12
	s_waitcnt lgkmcnt(0)
	s_barrier
	ds_read_b64 v[14:15], v14 offset:14336
	v_cndmask_b32_e64 v18, v99, v98, s[18:19]
	v_cmp_ne_u32_e32 vcc, 0, v0
	v_cndmask_b32_e32 v18, 0, v18, vcc
	v_add_u32_e32 v18, v19, v18
	s_load_dwordx2 s[4:5], s[4:5], 0x38
	s_branch .LBB2861_105
.LBB2861_95:
                                        ; implicit-def: $vgpr15
                                        ; implicit-def: $vgpr18
	s_load_dwordx2 s[4:5], s[4:5], 0x38
	s_cbranch_execz .LBB2861_105
; %bb.96:
	s_waitcnt lgkmcnt(0)
	v_mov_b32_dpp v14, v97 row_shr:1 row_mask:0xf bank_mask:0xf
	v_cndmask_b32_e64 v14, v14, 0, s[16:17]
	v_add_u32_e32 v14, v14, v97
	s_nop 1
	v_mov_b32_dpp v15, v14 row_shr:2 row_mask:0xf bank_mask:0xf
	v_cndmask_b32_e64 v15, 0, v15, s[14:15]
	v_add_u32_e32 v14, v14, v15
	s_nop 1
	;; [unrolled: 4-line block ×4, first 2 shown]
	v_mov_b32_dpp v15, v14 row_bcast:15 row_mask:0xf bank_mask:0xf
	v_cndmask_b32_e64 v15, v15, 0, s[8:9]
	v_add_u32_e32 v14, v14, v15
	s_nop 1
	v_mov_b32_dpp v15, v14 row_bcast:31 row_mask:0xf bank_mask:0xf
	v_cndmask_b32_e64 v15, 0, v15, s[2:3]
	v_add_u32_e32 v14, v14, v15
	s_and_saveexec_b64 s[2:3], s[20:21]
	s_cbranch_execz .LBB2861_98
; %bb.97:
	v_lshlrev_b32_e32 v15, 2, v96
	ds_write_b32 v15, v14
.LBB2861_98:
	s_or_b64 exec, exec, s[2:3]
	v_cmp_gt_u32_e32 vcc, 4, v0
	s_waitcnt lgkmcnt(0)
	s_barrier
	s_and_saveexec_b64 s[2:3], vcc
	s_cbranch_execz .LBB2861_100
; %bb.99:
	v_lshlrev_b32_e32 v15, 2, v0
	ds_read_b32 v18, v15
	v_and_b32_e32 v19, 3, v95
	v_cmp_ne_u32_e32 vcc, 0, v19
	s_waitcnt lgkmcnt(0)
	v_mov_b32_dpp v20, v18 row_shr:1 row_mask:0xf bank_mask:0xf
	v_cndmask_b32_e32 v20, 0, v20, vcc
	v_add_u32_e32 v18, v20, v18
	v_cmp_lt_u32_e32 vcc, 1, v19
	s_nop 0
	v_mov_b32_dpp v20, v18 row_shr:2 row_mask:0xf bank_mask:0xf
	v_cndmask_b32_e32 v19, 0, v20, vcc
	v_add_u32_e32 v18, v18, v19
	ds_write_b32 v15, v18
.LBB2861_100:
	s_or_b64 exec, exec, s[2:3]
	v_cmp_lt_u32_e32 vcc, 63, v0
	v_mov_b32_e32 v15, 0
	v_mov_b32_e32 v18, 0
	s_waitcnt lgkmcnt(0)
	s_barrier
	s_and_saveexec_b64 s[2:3], vcc
	s_cbranch_execz .LBB2861_102
; %bb.101:
	v_lshl_add_u32 v18, v96, 2, -4
	ds_read_b32 v18, v18
.LBB2861_102:
	s_or_b64 exec, exec, s[2:3]
	v_add_u32_e32 v19, -1, v95
	v_and_b32_e32 v20, 64, v95
	v_cmp_lt_i32_e32 vcc, v19, v20
	v_cndmask_b32_e32 v19, v19, v95, vcc
	s_waitcnt lgkmcnt(0)
	v_add_u32_e32 v14, v18, v14
	v_lshlrev_b32_e32 v19, 2, v19
	ds_bpermute_b32 v19, v19, v14
	ds_read_b32 v14, v15 offset:12
	v_cmp_eq_u32_e32 vcc, 0, v0
	s_and_saveexec_b64 s[2:3], vcc
	s_cbranch_execz .LBB2861_104
; %bb.103:
	v_mov_b32_e32 v20, 0
	v_mov_b32_e32 v15, 2
	s_waitcnt lgkmcnt(0)
	global_store_dwordx2 v20, v[14:15], s[34:35] offset:512
.LBB2861_104:
	s_or_b64 exec, exec, s[2:3]
	v_cmp_eq_u32_e64 s[2:3], 0, v95
	s_waitcnt lgkmcnt(1)
	v_cndmask_b32_e64 v18, v19, v18, s[2:3]
	v_mov_b32_e32 v15, 0
	v_cndmask_b32_e64 v18, v18, 0, vcc
	s_waitcnt lgkmcnt(0)
	s_barrier
.LBB2861_105:
	v_add_u32_e32 v19, v18, v69
	v_add_u32_e32 v20, v19, v70
	;; [unrolled: 1-line block ×19, first 2 shown]
	s_waitcnt lgkmcnt(0)
	v_add_u32_e32 v39, v14, v39
	v_sub_u32_e32 v18, v18, v15
	v_and_b32_e32 v68, 1, v68
	v_add_u32_e32 v81, v80, v88
	v_sub_u32_e32 v88, v39, v18
	v_cmp_eq_u32_e32 vcc, 1, v68
	v_cndmask_b32_e32 v18, v88, v18, vcc
	v_lshlrev_b32_e32 v18, 1, v18
	ds_write_b16 v18, v10
	v_sub_u32_e32 v10, v19, v15
	v_sub_u32_e32 v18, v39, v10
	v_and_b32_e32 v19, 1, v67
	v_add_u32_e32 v18, 1, v18
	v_cmp_eq_u32_e32 vcc, 1, v19
	v_cndmask_b32_e32 v10, v18, v10, vcc
	v_lshlrev_b32_e32 v10, 1, v10
	ds_write_b16 v10, v40
	v_sub_u32_e32 v10, v20, v15
	v_sub_u32_e32 v18, v39, v10
	v_and_b32_e32 v19, 1, v66
	v_add_u32_e32 v18, 2, v18
	;; [unrolled: 8-line block ×20, first 2 shown]
	v_cmp_eq_u32_e32 vcc, 1, v6
	v_cndmask_b32_e32 v2, v3, v2, vcc
	v_add_u32_e32 v82, v81, v89
	v_lshlrev_b32_e32 v2, 1, v2
	ds_write_b16 v2, v4
	v_sub_u32_e32 v2, v82, v15
	v_sub_u32_e32 v3, v39, v2
	v_and_b32_e32 v4, 1, v47
	v_add_u32_e32 v3, 21, v3
	v_cmp_eq_u32_e32 vcc, 1, v4
	v_cndmask_b32_e32 v2, v3, v2, vcc
	v_add_u32_e32 v83, v82, v90
	v_lshlrev_b32_e32 v2, 1, v2
	ds_write_b16 v2, v29
	v_sub_u32_e32 v2, v83, v15
	v_sub_u32_e32 v3, v39, v2
	v_and_b32_e32 v4, 1, v46
	v_add_u32_e32 v3, 22, v3
	;; [unrolled: 9-line block ×6, first 2 shown]
	v_cmp_eq_u32_e32 vcc, 1, v4
	v_cndmask_b32_e32 v2, v3, v2, vcc
	v_lshlrev_b32_e32 v2, 1, v2
	ds_write_b16 v2, v17
	v_sub_u32_sdwa v2, v41, v15 dst_sel:DWORD dst_unused:UNUSED_PAD src0_sel:BYTE_0 src1_sel:DWORD
	v_add_u32_e32 v2, v87, v2
	v_sub_u32_e32 v3, v39, v2
	v_and_b32_e32 v4, 1, v42
	v_add_u32_e32 v3, 27, v3
	v_cmp_eq_u32_e32 vcc, 1, v4
	v_cndmask_b32_e32 v2, v3, v2, vcc
	v_lshlrev_b32_e32 v2, 1, v2
	ds_write_b16 v2, v1
	v_mov_b32_e32 v1, s29
	v_add_co_u32_e32 v2, vcc, s28, v14
	s_waitcnt lgkmcnt(0)
	s_barrier
	ds_read_u16 v62, v26
	ds_read_u16 v61, v26 offset:512
	ds_read_u16 v59, v26 offset:1024
	;; [unrolled: 1-line block ×23, first 2 shown]
	v_addc_co_u32_e32 v1, vcc, 0, v1, vcc
	v_add_co_u32_e32 v2, vcc, v2, v15
	v_addc_co_u32_e32 v3, vcc, 0, v1, vcc
	v_mov_b32_e32 v1, s23
	v_sub_co_u32_e32 v64, vcc, s22, v2
	ds_read_u16 v12, v26 offset:12288
	ds_read_u16 v10, v26 offset:12800
	;; [unrolled: 1-line block ×4, first 2 shown]
	v_subb_co_u32_e32 v65, vcc, v1, v3, vcc
	v_lshlrev_b64 v[64:65], 1, v[64:65]
	v_mov_b32_e32 v1, s5
	v_add_co_u32_e32 v4, vcc, s4, v64
	v_addc_co_u32_e32 v1, vcc, v1, v65, vcc
	v_mov_b32_e32 v15, s31
	v_add_co_u32_e32 v4, vcc, s30, v4
	v_addc_co_u32_e32 v1, vcc, v1, v15, vcc
	v_or_b32_e32 v60, 0x100, v0
	v_or_b32_e32 v58, 0x200, v0
	;; [unrolled: 1-line block ×27, first 2 shown]
	s_and_b64 vcc, exec, s[0:1]
	v_cmp_ge_u32_e64 s[0:1], v0, v14
	s_cbranch_vccnz .LBB2861_135
; %bb.106:
	s_and_saveexec_b64 s[2:3], s[0:1]
	s_cbranch_execnz .LBB2861_196
; %bb.107:
	s_or_b64 exec, exec, s[2:3]
	v_cmp_ge_u32_e32 vcc, v60, v14
	s_and_saveexec_b64 s[0:1], vcc
	s_cbranch_execnz .LBB2861_197
.LBB2861_108:
	s_or_b64 exec, exec, s[0:1]
	v_cmp_ge_u32_e32 vcc, v58, v14
	s_and_saveexec_b64 s[0:1], vcc
	s_cbranch_execnz .LBB2861_198
.LBB2861_109:
	s_or_b64 exec, exec, s[0:1]
	v_cmp_ge_u32_e32 vcc, v56, v14
	s_and_saveexec_b64 s[0:1], vcc
	s_cbranch_execnz .LBB2861_199
.LBB2861_110:
	s_or_b64 exec, exec, s[0:1]
	v_cmp_ge_u32_e32 vcc, v55, v14
	s_and_saveexec_b64 s[0:1], vcc
	s_cbranch_execnz .LBB2861_200
.LBB2861_111:
	s_or_b64 exec, exec, s[0:1]
	v_cmp_ge_u32_e32 vcc, v53, v14
	s_and_saveexec_b64 s[0:1], vcc
	s_cbranch_execnz .LBB2861_201
.LBB2861_112:
	s_or_b64 exec, exec, s[0:1]
	v_cmp_ge_u32_e32 vcc, v51, v14
	s_and_saveexec_b64 s[0:1], vcc
	s_cbranch_execnz .LBB2861_202
.LBB2861_113:
	s_or_b64 exec, exec, s[0:1]
	v_cmp_ge_u32_e32 vcc, v49, v14
	s_and_saveexec_b64 s[0:1], vcc
	s_cbranch_execnz .LBB2861_203
.LBB2861_114:
	s_or_b64 exec, exec, s[0:1]
	v_cmp_ge_u32_e32 vcc, v46, v14
	s_and_saveexec_b64 s[0:1], vcc
	s_cbranch_execnz .LBB2861_204
.LBB2861_115:
	s_or_b64 exec, exec, s[0:1]
	v_cmp_ge_u32_e32 vcc, v44, v14
	s_and_saveexec_b64 s[0:1], vcc
	s_cbranch_execnz .LBB2861_205
.LBB2861_116:
	s_or_b64 exec, exec, s[0:1]
	v_cmp_ge_u32_e32 vcc, v42, v14
	s_and_saveexec_b64 s[0:1], vcc
	s_cbranch_execnz .LBB2861_206
.LBB2861_117:
	s_or_b64 exec, exec, s[0:1]
	v_cmp_ge_u32_e32 vcc, v40, v14
	s_and_saveexec_b64 s[0:1], vcc
	s_cbranch_execnz .LBB2861_207
.LBB2861_118:
	s_or_b64 exec, exec, s[0:1]
	v_cmp_ge_u32_e32 vcc, v38, v14
	s_and_saveexec_b64 s[0:1], vcc
	s_cbranch_execnz .LBB2861_208
.LBB2861_119:
	s_or_b64 exec, exec, s[0:1]
	v_cmp_ge_u32_e32 vcc, v36, v14
	s_and_saveexec_b64 s[0:1], vcc
	s_cbranch_execnz .LBB2861_209
.LBB2861_120:
	s_or_b64 exec, exec, s[0:1]
	v_cmp_ge_u32_e32 vcc, v34, v14
	s_and_saveexec_b64 s[0:1], vcc
	s_cbranch_execnz .LBB2861_210
.LBB2861_121:
	s_or_b64 exec, exec, s[0:1]
	v_cmp_ge_u32_e32 vcc, v31, v14
	s_and_saveexec_b64 s[0:1], vcc
	s_cbranch_execnz .LBB2861_211
.LBB2861_122:
	s_or_b64 exec, exec, s[0:1]
	v_cmp_ge_u32_e32 vcc, v30, v14
	s_and_saveexec_b64 s[0:1], vcc
	s_cbranch_execnz .LBB2861_212
.LBB2861_123:
	s_or_b64 exec, exec, s[0:1]
	v_cmp_ge_u32_e32 vcc, v28, v14
	s_and_saveexec_b64 s[0:1], vcc
	s_cbranch_execnz .LBB2861_213
.LBB2861_124:
	s_or_b64 exec, exec, s[0:1]
	v_cmp_ge_u32_e32 vcc, v25, v14
	s_and_saveexec_b64 s[0:1], vcc
	s_cbranch_execnz .LBB2861_214
.LBB2861_125:
	s_or_b64 exec, exec, s[0:1]
	v_cmp_ge_u32_e32 vcc, v23, v14
	s_and_saveexec_b64 s[0:1], vcc
	s_cbranch_execnz .LBB2861_215
.LBB2861_126:
	s_or_b64 exec, exec, s[0:1]
	v_cmp_ge_u32_e32 vcc, v21, v14
	s_and_saveexec_b64 s[0:1], vcc
	s_cbranch_execnz .LBB2861_216
.LBB2861_127:
	s_or_b64 exec, exec, s[0:1]
	v_cmp_ge_u32_e32 vcc, v19, v14
	s_and_saveexec_b64 s[0:1], vcc
	s_cbranch_execnz .LBB2861_217
.LBB2861_128:
	s_or_b64 exec, exec, s[0:1]
	v_cmp_ge_u32_e32 vcc, v17, v14
	s_and_saveexec_b64 s[0:1], vcc
	s_cbranch_execnz .LBB2861_218
.LBB2861_129:
	s_or_b64 exec, exec, s[0:1]
	v_cmp_ge_u32_e32 vcc, v13, v14
	s_and_saveexec_b64 s[0:1], vcc
	s_cbranch_execnz .LBB2861_219
.LBB2861_130:
	s_or_b64 exec, exec, s[0:1]
	v_cmp_ge_u32_e32 vcc, v11, v14
	s_and_saveexec_b64 s[0:1], vcc
	s_cbranch_execnz .LBB2861_220
.LBB2861_131:
	s_or_b64 exec, exec, s[0:1]
	v_cmp_ge_u32_e32 vcc, v9, v14
	s_and_saveexec_b64 s[0:1], vcc
	s_cbranch_execnz .LBB2861_221
.LBB2861_132:
	s_or_b64 exec, exec, s[0:1]
	v_cmp_ge_u32_e32 vcc, v8, v14
	s_and_saveexec_b64 s[0:1], vcc
	s_cbranch_execz .LBB2861_134
.LBB2861_133:
	v_lshlrev_b32_e32 v15, 1, v8
	v_readfirstlane_b32 s2, v4
	v_readfirstlane_b32 s3, v1
	s_waitcnt lgkmcnt(1)
	s_nop 3
	global_store_short v15, v7, s[2:3]
.LBB2861_134:
	s_or_b64 exec, exec, s[0:1]
	v_cmp_ge_u32_e64 s[0:1], v6, v14
	s_branch .LBB2861_191
.LBB2861_135:
	s_mov_b64 s[0:1], 0
	s_cbranch_execz .LBB2861_191
; %bb.136:
	v_cmp_gt_u32_e32 vcc, s33, v0
	v_cmp_ge_u32_e64 s[0:1], v0, v14
	s_and_b64 s[2:3], vcc, s[0:1]
	s_and_saveexec_b64 s[0:1], s[2:3]
	s_cbranch_execz .LBB2861_138
; %bb.137:
	v_readfirstlane_b32 s2, v4
	v_readfirstlane_b32 s3, v1
	s_waitcnt lgkmcnt(14)
	s_nop 3
	global_store_short v26, v62, s[2:3]
.LBB2861_138:
	s_or_b64 exec, exec, s[0:1]
	v_cmp_gt_u32_e32 vcc, s33, v60
	v_cmp_ge_u32_e64 s[0:1], v60, v14
	s_and_b64 s[2:3], vcc, s[0:1]
	s_and_saveexec_b64 s[0:1], s[2:3]
	s_cbranch_execz .LBB2861_140
; %bb.139:
	v_readfirstlane_b32 s2, v4
	v_readfirstlane_b32 s3, v1
	s_waitcnt lgkmcnt(14)
	s_nop 3
	global_store_short v26, v61, s[2:3] offset:512
.LBB2861_140:
	s_or_b64 exec, exec, s[0:1]
	v_cmp_gt_u32_e32 vcc, s33, v58
	v_cmp_ge_u32_e64 s[0:1], v58, v14
	s_and_b64 s[2:3], vcc, s[0:1]
	s_and_saveexec_b64 s[0:1], s[2:3]
	s_cbranch_execz .LBB2861_142
; %bb.141:
	v_readfirstlane_b32 s2, v4
	v_readfirstlane_b32 s3, v1
	s_waitcnt lgkmcnt(14)
	s_nop 3
	global_store_short v26, v59, s[2:3] offset:1024
.LBB2861_142:
	;; [unrolled: 13-line block ×7, first 2 shown]
	s_or_b64 exec, exec, s[0:1]
	v_cmp_gt_u32_e32 vcc, s33, v46
	v_cmp_ge_u32_e64 s[0:1], v46, v14
	s_and_b64 s[2:3], vcc, s[0:1]
	s_and_saveexec_b64 s[0:1], s[2:3]
	s_cbranch_execz .LBB2861_154
; %bb.153:
	v_lshlrev_b32_e32 v15, 1, v46
	v_readfirstlane_b32 s2, v4
	v_readfirstlane_b32 s3, v1
	s_waitcnt lgkmcnt(14)
	s_nop 3
	global_store_short v15, v47, s[2:3]
.LBB2861_154:
	s_or_b64 exec, exec, s[0:1]
	v_cmp_gt_u32_e32 vcc, s33, v44
	v_cmp_ge_u32_e64 s[0:1], v44, v14
	s_and_b64 s[2:3], vcc, s[0:1]
	s_and_saveexec_b64 s[0:1], s[2:3]
	s_cbranch_execz .LBB2861_156
; %bb.155:
	v_lshlrev_b32_e32 v15, 1, v44
	v_readfirstlane_b32 s2, v4
	v_readfirstlane_b32 s3, v1
	s_waitcnt lgkmcnt(14)
	s_nop 3
	global_store_short v15, v45, s[2:3]
.LBB2861_156:
	;; [unrolled: 14-line block ×19, first 2 shown]
	s_or_b64 exec, exec, s[0:1]
	v_cmp_gt_u32_e32 vcc, s33, v6
	v_cmp_ge_u32_e64 s[0:1], v6, v14
	s_and_b64 s[0:1], vcc, s[0:1]
.LBB2861_191:
	s_and_saveexec_b64 s[2:3], s[0:1]
	s_cbranch_execz .LBB2861_193
; %bb.192:
	v_lshlrev_b32_e32 v6, 1, v6
	v_readfirstlane_b32 s0, v4
	v_readfirstlane_b32 s1, v1
	s_waitcnt lgkmcnt(0)
	s_nop 3
	global_store_short v6, v5, s[0:1]
.LBB2861_193:
	s_or_b64 exec, exec, s[2:3]
	v_cmp_eq_u32_e32 vcc, 0, v0
	s_and_b64 s[0:1], vcc, s[26:27]
	s_and_saveexec_b64 s[2:3], s[0:1]
	s_cbranch_execz .LBB2861_195
; %bb.194:
	v_mov_b32_e32 v0, 0
	global_store_dwordx2 v0, v[2:3], s[24:25]
.LBB2861_195:
	s_endpgm
.LBB2861_196:
	v_readfirstlane_b32 s0, v4
	v_readfirstlane_b32 s1, v1
	s_waitcnt lgkmcnt(14)
	s_nop 3
	global_store_short v26, v62, s[0:1]
	s_or_b64 exec, exec, s[2:3]
	v_cmp_ge_u32_e32 vcc, v60, v14
	s_and_saveexec_b64 s[0:1], vcc
	s_cbranch_execz .LBB2861_108
.LBB2861_197:
	v_readfirstlane_b32 s2, v4
	v_readfirstlane_b32 s3, v1
	s_waitcnt lgkmcnt(14)
	s_nop 3
	global_store_short v26, v61, s[2:3] offset:512
	s_or_b64 exec, exec, s[0:1]
	v_cmp_ge_u32_e32 vcc, v58, v14
	s_and_saveexec_b64 s[0:1], vcc
	s_cbranch_execz .LBB2861_109
.LBB2861_198:
	v_readfirstlane_b32 s2, v4
	v_readfirstlane_b32 s3, v1
	s_waitcnt lgkmcnt(14)
	s_nop 3
	global_store_short v26, v59, s[2:3] offset:1024
	s_or_b64 exec, exec, s[0:1]
	v_cmp_ge_u32_e32 vcc, v56, v14
	s_and_saveexec_b64 s[0:1], vcc
	s_cbranch_execz .LBB2861_110
.LBB2861_199:
	v_readfirstlane_b32 s2, v4
	v_readfirstlane_b32 s3, v1
	s_waitcnt lgkmcnt(14)
	s_nop 3
	global_store_short v26, v57, s[2:3] offset:1536
	s_or_b64 exec, exec, s[0:1]
	v_cmp_ge_u32_e32 vcc, v55, v14
	s_and_saveexec_b64 s[0:1], vcc
	s_cbranch_execz .LBB2861_111
.LBB2861_200:
	v_readfirstlane_b32 s2, v4
	v_readfirstlane_b32 s3, v1
	s_waitcnt lgkmcnt(14)
	s_nop 3
	global_store_short v26, v54, s[2:3] offset:2048
	s_or_b64 exec, exec, s[0:1]
	v_cmp_ge_u32_e32 vcc, v53, v14
	s_and_saveexec_b64 s[0:1], vcc
	s_cbranch_execz .LBB2861_112
.LBB2861_201:
	v_readfirstlane_b32 s2, v4
	v_readfirstlane_b32 s3, v1
	s_waitcnt lgkmcnt(14)
	s_nop 3
	global_store_short v26, v52, s[2:3] offset:2560
	s_or_b64 exec, exec, s[0:1]
	v_cmp_ge_u32_e32 vcc, v51, v14
	s_and_saveexec_b64 s[0:1], vcc
	s_cbranch_execz .LBB2861_113
.LBB2861_202:
	v_readfirstlane_b32 s2, v4
	v_readfirstlane_b32 s3, v1
	s_waitcnt lgkmcnt(14)
	s_nop 3
	global_store_short v26, v50, s[2:3] offset:3072
	s_or_b64 exec, exec, s[0:1]
	v_cmp_ge_u32_e32 vcc, v49, v14
	s_and_saveexec_b64 s[0:1], vcc
	s_cbranch_execz .LBB2861_114
.LBB2861_203:
	v_readfirstlane_b32 s2, v4
	v_readfirstlane_b32 s3, v1
	s_waitcnt lgkmcnt(14)
	s_nop 3
	global_store_short v26, v48, s[2:3] offset:3584
	s_or_b64 exec, exec, s[0:1]
	v_cmp_ge_u32_e32 vcc, v46, v14
	s_and_saveexec_b64 s[0:1], vcc
	s_cbranch_execz .LBB2861_115
.LBB2861_204:
	v_lshlrev_b32_e32 v15, 1, v46
	v_readfirstlane_b32 s2, v4
	v_readfirstlane_b32 s3, v1
	s_waitcnt lgkmcnt(14)
	s_nop 3
	global_store_short v15, v47, s[2:3]
	s_or_b64 exec, exec, s[0:1]
	v_cmp_ge_u32_e32 vcc, v44, v14
	s_and_saveexec_b64 s[0:1], vcc
	s_cbranch_execz .LBB2861_116
.LBB2861_205:
	v_lshlrev_b32_e32 v15, 1, v44
	v_readfirstlane_b32 s2, v4
	v_readfirstlane_b32 s3, v1
	s_waitcnt lgkmcnt(14)
	s_nop 3
	global_store_short v15, v45, s[2:3]
	s_or_b64 exec, exec, s[0:1]
	v_cmp_ge_u32_e32 vcc, v42, v14
	s_and_saveexec_b64 s[0:1], vcc
	s_cbranch_execz .LBB2861_117
.LBB2861_206:
	v_lshlrev_b32_e32 v15, 1, v42
	v_readfirstlane_b32 s2, v4
	v_readfirstlane_b32 s3, v1
	s_waitcnt lgkmcnt(14)
	s_nop 3
	global_store_short v15, v43, s[2:3]
	s_or_b64 exec, exec, s[0:1]
	v_cmp_ge_u32_e32 vcc, v40, v14
	s_and_saveexec_b64 s[0:1], vcc
	s_cbranch_execz .LBB2861_118
.LBB2861_207:
	v_lshlrev_b32_e32 v15, 1, v40
	v_readfirstlane_b32 s2, v4
	v_readfirstlane_b32 s3, v1
	s_waitcnt lgkmcnt(14)
	s_nop 3
	global_store_short v15, v41, s[2:3]
	s_or_b64 exec, exec, s[0:1]
	v_cmp_ge_u32_e32 vcc, v38, v14
	s_and_saveexec_b64 s[0:1], vcc
	s_cbranch_execz .LBB2861_119
.LBB2861_208:
	v_lshlrev_b32_e32 v15, 1, v38
	v_readfirstlane_b32 s2, v4
	v_readfirstlane_b32 s3, v1
	s_waitcnt lgkmcnt(14)
	s_nop 3
	global_store_short v15, v39, s[2:3]
	s_or_b64 exec, exec, s[0:1]
	v_cmp_ge_u32_e32 vcc, v36, v14
	s_and_saveexec_b64 s[0:1], vcc
	s_cbranch_execz .LBB2861_120
.LBB2861_209:
	v_lshlrev_b32_e32 v15, 1, v36
	v_readfirstlane_b32 s2, v4
	v_readfirstlane_b32 s3, v1
	s_waitcnt lgkmcnt(14)
	s_nop 3
	global_store_short v15, v37, s[2:3]
	s_or_b64 exec, exec, s[0:1]
	v_cmp_ge_u32_e32 vcc, v34, v14
	s_and_saveexec_b64 s[0:1], vcc
	s_cbranch_execz .LBB2861_121
.LBB2861_210:
	v_lshlrev_b32_e32 v15, 1, v34
	v_readfirstlane_b32 s2, v4
	v_readfirstlane_b32 s3, v1
	s_waitcnt lgkmcnt(13)
	s_nop 3
	global_store_short v15, v35, s[2:3]
	s_or_b64 exec, exec, s[0:1]
	v_cmp_ge_u32_e32 vcc, v31, v14
	s_and_saveexec_b64 s[0:1], vcc
	s_cbranch_execz .LBB2861_122
.LBB2861_211:
	v_lshlrev_b32_e32 v15, 1, v31
	v_readfirstlane_b32 s2, v4
	v_readfirstlane_b32 s3, v1
	s_waitcnt lgkmcnt(12)
	s_nop 3
	global_store_short v15, v33, s[2:3]
	s_or_b64 exec, exec, s[0:1]
	v_cmp_ge_u32_e32 vcc, v30, v14
	s_and_saveexec_b64 s[0:1], vcc
	s_cbranch_execz .LBB2861_123
.LBB2861_212:
	v_lshlrev_b32_e32 v15, 1, v30
	v_readfirstlane_b32 s2, v4
	v_readfirstlane_b32 s3, v1
	s_waitcnt lgkmcnt(11)
	s_nop 3
	global_store_short v15, v32, s[2:3]
	s_or_b64 exec, exec, s[0:1]
	v_cmp_ge_u32_e32 vcc, v28, v14
	s_and_saveexec_b64 s[0:1], vcc
	s_cbranch_execz .LBB2861_124
.LBB2861_213:
	v_lshlrev_b32_e32 v15, 1, v28
	v_readfirstlane_b32 s2, v4
	v_readfirstlane_b32 s3, v1
	s_waitcnt lgkmcnt(10)
	s_nop 3
	global_store_short v15, v29, s[2:3]
	s_or_b64 exec, exec, s[0:1]
	v_cmp_ge_u32_e32 vcc, v25, v14
	s_and_saveexec_b64 s[0:1], vcc
	s_cbranch_execz .LBB2861_125
.LBB2861_214:
	v_lshlrev_b32_e32 v15, 1, v25
	v_readfirstlane_b32 s2, v4
	v_readfirstlane_b32 s3, v1
	s_waitcnt lgkmcnt(9)
	s_nop 3
	global_store_short v15, v27, s[2:3]
	s_or_b64 exec, exec, s[0:1]
	v_cmp_ge_u32_e32 vcc, v23, v14
	s_and_saveexec_b64 s[0:1], vcc
	s_cbranch_execz .LBB2861_126
.LBB2861_215:
	v_lshlrev_b32_e32 v15, 1, v23
	v_readfirstlane_b32 s2, v4
	v_readfirstlane_b32 s3, v1
	s_waitcnt lgkmcnt(8)
	s_nop 3
	global_store_short v15, v24, s[2:3]
	s_or_b64 exec, exec, s[0:1]
	v_cmp_ge_u32_e32 vcc, v21, v14
	s_and_saveexec_b64 s[0:1], vcc
	s_cbranch_execz .LBB2861_127
.LBB2861_216:
	v_lshlrev_b32_e32 v15, 1, v21
	v_readfirstlane_b32 s2, v4
	v_readfirstlane_b32 s3, v1
	s_waitcnt lgkmcnt(7)
	s_nop 3
	global_store_short v15, v22, s[2:3]
	s_or_b64 exec, exec, s[0:1]
	v_cmp_ge_u32_e32 vcc, v19, v14
	s_and_saveexec_b64 s[0:1], vcc
	s_cbranch_execz .LBB2861_128
.LBB2861_217:
	v_lshlrev_b32_e32 v15, 1, v19
	v_readfirstlane_b32 s2, v4
	v_readfirstlane_b32 s3, v1
	s_waitcnt lgkmcnt(6)
	s_nop 3
	global_store_short v15, v20, s[2:3]
	s_or_b64 exec, exec, s[0:1]
	v_cmp_ge_u32_e32 vcc, v17, v14
	s_and_saveexec_b64 s[0:1], vcc
	s_cbranch_execz .LBB2861_129
.LBB2861_218:
	v_lshlrev_b32_e32 v15, 1, v17
	v_readfirstlane_b32 s2, v4
	v_readfirstlane_b32 s3, v1
	s_waitcnt lgkmcnt(5)
	s_nop 3
	global_store_short v15, v18, s[2:3]
	s_or_b64 exec, exec, s[0:1]
	v_cmp_ge_u32_e32 vcc, v13, v14
	s_and_saveexec_b64 s[0:1], vcc
	s_cbranch_execz .LBB2861_130
.LBB2861_219:
	v_lshlrev_b32_e32 v15, 1, v13
	v_readfirstlane_b32 s2, v4
	v_readfirstlane_b32 s3, v1
	s_waitcnt lgkmcnt(4)
	s_nop 3
	global_store_short v15, v16, s[2:3]
	s_or_b64 exec, exec, s[0:1]
	v_cmp_ge_u32_e32 vcc, v11, v14
	s_and_saveexec_b64 s[0:1], vcc
	s_cbranch_execz .LBB2861_131
.LBB2861_220:
	v_lshlrev_b32_e32 v15, 1, v11
	v_readfirstlane_b32 s2, v4
	v_readfirstlane_b32 s3, v1
	s_waitcnt lgkmcnt(3)
	s_nop 3
	global_store_short v15, v12, s[2:3]
	s_or_b64 exec, exec, s[0:1]
	v_cmp_ge_u32_e32 vcc, v9, v14
	s_and_saveexec_b64 s[0:1], vcc
	s_cbranch_execz .LBB2861_132
.LBB2861_221:
	v_lshlrev_b32_e32 v15, 1, v9
	v_readfirstlane_b32 s2, v4
	v_readfirstlane_b32 s3, v1
	s_waitcnt lgkmcnt(2)
	s_nop 3
	global_store_short v15, v10, s[2:3]
	s_or_b64 exec, exec, s[0:1]
	v_cmp_ge_u32_e32 vcc, v8, v14
	s_and_saveexec_b64 s[0:1], vcc
	s_cbranch_execnz .LBB2861_133
	s_branch .LBB2861_134
	.section	.rodata,"a",@progbits
	.p2align	6, 0x0
	.amdhsa_kernel _ZN7rocprim17ROCPRIM_400000_NS6detail17trampoline_kernelINS0_14default_configENS1_25partition_config_selectorILNS1_17partition_subalgoE0EsNS0_10empty_typeEbEEZZNS1_14partition_implILS5_0ELb0ES3_jN6thrust23THRUST_200600_302600_NS6detail15normal_iteratorINSA_10device_ptrIsEEEEPS6_SG_NS0_5tupleIJNSA_16discard_iteratorINSA_11use_defaultEEESF_EEENSH_IJSG_SG_EEES6_PlJ7is_evenIsEEEE10hipError_tPvRmT3_T4_T5_T6_T7_T9_mT8_P12ihipStream_tbDpT10_ENKUlT_T0_E_clISt17integral_constantIbLb1EES18_IbLb0EEEEDaS14_S15_EUlS14_E_NS1_11comp_targetILNS1_3genE4ELNS1_11target_archE910ELNS1_3gpuE8ELNS1_3repE0EEENS1_30default_config_static_selectorELNS0_4arch9wavefront6targetE1EEEvT1_
		.amdhsa_group_segment_fixed_size 14344
		.amdhsa_private_segment_fixed_size 0
		.amdhsa_kernarg_size 128
		.amdhsa_user_sgpr_count 6
		.amdhsa_user_sgpr_private_segment_buffer 1
		.amdhsa_user_sgpr_dispatch_ptr 0
		.amdhsa_user_sgpr_queue_ptr 0
		.amdhsa_user_sgpr_kernarg_segment_ptr 1
		.amdhsa_user_sgpr_dispatch_id 0
		.amdhsa_user_sgpr_flat_scratch_init 0
		.amdhsa_user_sgpr_kernarg_preload_length 0
		.amdhsa_user_sgpr_kernarg_preload_offset 0
		.amdhsa_user_sgpr_private_segment_size 0
		.amdhsa_uses_dynamic_stack 0
		.amdhsa_system_sgpr_private_segment_wavefront_offset 0
		.amdhsa_system_sgpr_workgroup_id_x 1
		.amdhsa_system_sgpr_workgroup_id_y 0
		.amdhsa_system_sgpr_workgroup_id_z 0
		.amdhsa_system_sgpr_workgroup_info 0
		.amdhsa_system_vgpr_workitem_id 0
		.amdhsa_next_free_vgpr 114
		.amdhsa_next_free_sgpr 44
		.amdhsa_accum_offset 116
		.amdhsa_reserve_vcc 1
		.amdhsa_reserve_flat_scratch 0
		.amdhsa_float_round_mode_32 0
		.amdhsa_float_round_mode_16_64 0
		.amdhsa_float_denorm_mode_32 3
		.amdhsa_float_denorm_mode_16_64 3
		.amdhsa_dx10_clamp 1
		.amdhsa_ieee_mode 1
		.amdhsa_fp16_overflow 0
		.amdhsa_tg_split 0
		.amdhsa_exception_fp_ieee_invalid_op 0
		.amdhsa_exception_fp_denorm_src 0
		.amdhsa_exception_fp_ieee_div_zero 0
		.amdhsa_exception_fp_ieee_overflow 0
		.amdhsa_exception_fp_ieee_underflow 0
		.amdhsa_exception_fp_ieee_inexact 0
		.amdhsa_exception_int_div_zero 0
	.end_amdhsa_kernel
	.section	.text._ZN7rocprim17ROCPRIM_400000_NS6detail17trampoline_kernelINS0_14default_configENS1_25partition_config_selectorILNS1_17partition_subalgoE0EsNS0_10empty_typeEbEEZZNS1_14partition_implILS5_0ELb0ES3_jN6thrust23THRUST_200600_302600_NS6detail15normal_iteratorINSA_10device_ptrIsEEEEPS6_SG_NS0_5tupleIJNSA_16discard_iteratorINSA_11use_defaultEEESF_EEENSH_IJSG_SG_EEES6_PlJ7is_evenIsEEEE10hipError_tPvRmT3_T4_T5_T6_T7_T9_mT8_P12ihipStream_tbDpT10_ENKUlT_T0_E_clISt17integral_constantIbLb1EES18_IbLb0EEEEDaS14_S15_EUlS14_E_NS1_11comp_targetILNS1_3genE4ELNS1_11target_archE910ELNS1_3gpuE8ELNS1_3repE0EEENS1_30default_config_static_selectorELNS0_4arch9wavefront6targetE1EEEvT1_,"axG",@progbits,_ZN7rocprim17ROCPRIM_400000_NS6detail17trampoline_kernelINS0_14default_configENS1_25partition_config_selectorILNS1_17partition_subalgoE0EsNS0_10empty_typeEbEEZZNS1_14partition_implILS5_0ELb0ES3_jN6thrust23THRUST_200600_302600_NS6detail15normal_iteratorINSA_10device_ptrIsEEEEPS6_SG_NS0_5tupleIJNSA_16discard_iteratorINSA_11use_defaultEEESF_EEENSH_IJSG_SG_EEES6_PlJ7is_evenIsEEEE10hipError_tPvRmT3_T4_T5_T6_T7_T9_mT8_P12ihipStream_tbDpT10_ENKUlT_T0_E_clISt17integral_constantIbLb1EES18_IbLb0EEEEDaS14_S15_EUlS14_E_NS1_11comp_targetILNS1_3genE4ELNS1_11target_archE910ELNS1_3gpuE8ELNS1_3repE0EEENS1_30default_config_static_selectorELNS0_4arch9wavefront6targetE1EEEvT1_,comdat
.Lfunc_end2861:
	.size	_ZN7rocprim17ROCPRIM_400000_NS6detail17trampoline_kernelINS0_14default_configENS1_25partition_config_selectorILNS1_17partition_subalgoE0EsNS0_10empty_typeEbEEZZNS1_14partition_implILS5_0ELb0ES3_jN6thrust23THRUST_200600_302600_NS6detail15normal_iteratorINSA_10device_ptrIsEEEEPS6_SG_NS0_5tupleIJNSA_16discard_iteratorINSA_11use_defaultEEESF_EEENSH_IJSG_SG_EEES6_PlJ7is_evenIsEEEE10hipError_tPvRmT3_T4_T5_T6_T7_T9_mT8_P12ihipStream_tbDpT10_ENKUlT_T0_E_clISt17integral_constantIbLb1EES18_IbLb0EEEEDaS14_S15_EUlS14_E_NS1_11comp_targetILNS1_3genE4ELNS1_11target_archE910ELNS1_3gpuE8ELNS1_3repE0EEENS1_30default_config_static_selectorELNS0_4arch9wavefront6targetE1EEEvT1_, .Lfunc_end2861-_ZN7rocprim17ROCPRIM_400000_NS6detail17trampoline_kernelINS0_14default_configENS1_25partition_config_selectorILNS1_17partition_subalgoE0EsNS0_10empty_typeEbEEZZNS1_14partition_implILS5_0ELb0ES3_jN6thrust23THRUST_200600_302600_NS6detail15normal_iteratorINSA_10device_ptrIsEEEEPS6_SG_NS0_5tupleIJNSA_16discard_iteratorINSA_11use_defaultEEESF_EEENSH_IJSG_SG_EEES6_PlJ7is_evenIsEEEE10hipError_tPvRmT3_T4_T5_T6_T7_T9_mT8_P12ihipStream_tbDpT10_ENKUlT_T0_E_clISt17integral_constantIbLb1EES18_IbLb0EEEEDaS14_S15_EUlS14_E_NS1_11comp_targetILNS1_3genE4ELNS1_11target_archE910ELNS1_3gpuE8ELNS1_3repE0EEENS1_30default_config_static_selectorELNS0_4arch9wavefront6targetE1EEEvT1_
                                        ; -- End function
	.section	.AMDGPU.csdata,"",@progbits
; Kernel info:
; codeLenInByte = 10308
; NumSgprs: 48
; NumVgprs: 114
; NumAgprs: 0
; TotalNumVgprs: 114
; ScratchSize: 0
; MemoryBound: 0
; FloatMode: 240
; IeeeMode: 1
; LDSByteSize: 14344 bytes/workgroup (compile time only)
; SGPRBlocks: 5
; VGPRBlocks: 14
; NumSGPRsForWavesPerEU: 48
; NumVGPRsForWavesPerEU: 114
; AccumOffset: 116
; Occupancy: 4
; WaveLimiterHint : 1
; COMPUTE_PGM_RSRC2:SCRATCH_EN: 0
; COMPUTE_PGM_RSRC2:USER_SGPR: 6
; COMPUTE_PGM_RSRC2:TRAP_HANDLER: 0
; COMPUTE_PGM_RSRC2:TGID_X_EN: 1
; COMPUTE_PGM_RSRC2:TGID_Y_EN: 0
; COMPUTE_PGM_RSRC2:TGID_Z_EN: 0
; COMPUTE_PGM_RSRC2:TIDIG_COMP_CNT: 0
; COMPUTE_PGM_RSRC3_GFX90A:ACCUM_OFFSET: 28
; COMPUTE_PGM_RSRC3_GFX90A:TG_SPLIT: 0
	.section	.text._ZN7rocprim17ROCPRIM_400000_NS6detail17trampoline_kernelINS0_14default_configENS1_25partition_config_selectorILNS1_17partition_subalgoE0EsNS0_10empty_typeEbEEZZNS1_14partition_implILS5_0ELb0ES3_jN6thrust23THRUST_200600_302600_NS6detail15normal_iteratorINSA_10device_ptrIsEEEEPS6_SG_NS0_5tupleIJNSA_16discard_iteratorINSA_11use_defaultEEESF_EEENSH_IJSG_SG_EEES6_PlJ7is_evenIsEEEE10hipError_tPvRmT3_T4_T5_T6_T7_T9_mT8_P12ihipStream_tbDpT10_ENKUlT_T0_E_clISt17integral_constantIbLb1EES18_IbLb0EEEEDaS14_S15_EUlS14_E_NS1_11comp_targetILNS1_3genE3ELNS1_11target_archE908ELNS1_3gpuE7ELNS1_3repE0EEENS1_30default_config_static_selectorELNS0_4arch9wavefront6targetE1EEEvT1_,"axG",@progbits,_ZN7rocprim17ROCPRIM_400000_NS6detail17trampoline_kernelINS0_14default_configENS1_25partition_config_selectorILNS1_17partition_subalgoE0EsNS0_10empty_typeEbEEZZNS1_14partition_implILS5_0ELb0ES3_jN6thrust23THRUST_200600_302600_NS6detail15normal_iteratorINSA_10device_ptrIsEEEEPS6_SG_NS0_5tupleIJNSA_16discard_iteratorINSA_11use_defaultEEESF_EEENSH_IJSG_SG_EEES6_PlJ7is_evenIsEEEE10hipError_tPvRmT3_T4_T5_T6_T7_T9_mT8_P12ihipStream_tbDpT10_ENKUlT_T0_E_clISt17integral_constantIbLb1EES18_IbLb0EEEEDaS14_S15_EUlS14_E_NS1_11comp_targetILNS1_3genE3ELNS1_11target_archE908ELNS1_3gpuE7ELNS1_3repE0EEENS1_30default_config_static_selectorELNS0_4arch9wavefront6targetE1EEEvT1_,comdat
	.protected	_ZN7rocprim17ROCPRIM_400000_NS6detail17trampoline_kernelINS0_14default_configENS1_25partition_config_selectorILNS1_17partition_subalgoE0EsNS0_10empty_typeEbEEZZNS1_14partition_implILS5_0ELb0ES3_jN6thrust23THRUST_200600_302600_NS6detail15normal_iteratorINSA_10device_ptrIsEEEEPS6_SG_NS0_5tupleIJNSA_16discard_iteratorINSA_11use_defaultEEESF_EEENSH_IJSG_SG_EEES6_PlJ7is_evenIsEEEE10hipError_tPvRmT3_T4_T5_T6_T7_T9_mT8_P12ihipStream_tbDpT10_ENKUlT_T0_E_clISt17integral_constantIbLb1EES18_IbLb0EEEEDaS14_S15_EUlS14_E_NS1_11comp_targetILNS1_3genE3ELNS1_11target_archE908ELNS1_3gpuE7ELNS1_3repE0EEENS1_30default_config_static_selectorELNS0_4arch9wavefront6targetE1EEEvT1_ ; -- Begin function _ZN7rocprim17ROCPRIM_400000_NS6detail17trampoline_kernelINS0_14default_configENS1_25partition_config_selectorILNS1_17partition_subalgoE0EsNS0_10empty_typeEbEEZZNS1_14partition_implILS5_0ELb0ES3_jN6thrust23THRUST_200600_302600_NS6detail15normal_iteratorINSA_10device_ptrIsEEEEPS6_SG_NS0_5tupleIJNSA_16discard_iteratorINSA_11use_defaultEEESF_EEENSH_IJSG_SG_EEES6_PlJ7is_evenIsEEEE10hipError_tPvRmT3_T4_T5_T6_T7_T9_mT8_P12ihipStream_tbDpT10_ENKUlT_T0_E_clISt17integral_constantIbLb1EES18_IbLb0EEEEDaS14_S15_EUlS14_E_NS1_11comp_targetILNS1_3genE3ELNS1_11target_archE908ELNS1_3gpuE7ELNS1_3repE0EEENS1_30default_config_static_selectorELNS0_4arch9wavefront6targetE1EEEvT1_
	.globl	_ZN7rocprim17ROCPRIM_400000_NS6detail17trampoline_kernelINS0_14default_configENS1_25partition_config_selectorILNS1_17partition_subalgoE0EsNS0_10empty_typeEbEEZZNS1_14partition_implILS5_0ELb0ES3_jN6thrust23THRUST_200600_302600_NS6detail15normal_iteratorINSA_10device_ptrIsEEEEPS6_SG_NS0_5tupleIJNSA_16discard_iteratorINSA_11use_defaultEEESF_EEENSH_IJSG_SG_EEES6_PlJ7is_evenIsEEEE10hipError_tPvRmT3_T4_T5_T6_T7_T9_mT8_P12ihipStream_tbDpT10_ENKUlT_T0_E_clISt17integral_constantIbLb1EES18_IbLb0EEEEDaS14_S15_EUlS14_E_NS1_11comp_targetILNS1_3genE3ELNS1_11target_archE908ELNS1_3gpuE7ELNS1_3repE0EEENS1_30default_config_static_selectorELNS0_4arch9wavefront6targetE1EEEvT1_
	.p2align	8
	.type	_ZN7rocprim17ROCPRIM_400000_NS6detail17trampoline_kernelINS0_14default_configENS1_25partition_config_selectorILNS1_17partition_subalgoE0EsNS0_10empty_typeEbEEZZNS1_14partition_implILS5_0ELb0ES3_jN6thrust23THRUST_200600_302600_NS6detail15normal_iteratorINSA_10device_ptrIsEEEEPS6_SG_NS0_5tupleIJNSA_16discard_iteratorINSA_11use_defaultEEESF_EEENSH_IJSG_SG_EEES6_PlJ7is_evenIsEEEE10hipError_tPvRmT3_T4_T5_T6_T7_T9_mT8_P12ihipStream_tbDpT10_ENKUlT_T0_E_clISt17integral_constantIbLb1EES18_IbLb0EEEEDaS14_S15_EUlS14_E_NS1_11comp_targetILNS1_3genE3ELNS1_11target_archE908ELNS1_3gpuE7ELNS1_3repE0EEENS1_30default_config_static_selectorELNS0_4arch9wavefront6targetE1EEEvT1_,@function
_ZN7rocprim17ROCPRIM_400000_NS6detail17trampoline_kernelINS0_14default_configENS1_25partition_config_selectorILNS1_17partition_subalgoE0EsNS0_10empty_typeEbEEZZNS1_14partition_implILS5_0ELb0ES3_jN6thrust23THRUST_200600_302600_NS6detail15normal_iteratorINSA_10device_ptrIsEEEEPS6_SG_NS0_5tupleIJNSA_16discard_iteratorINSA_11use_defaultEEESF_EEENSH_IJSG_SG_EEES6_PlJ7is_evenIsEEEE10hipError_tPvRmT3_T4_T5_T6_T7_T9_mT8_P12ihipStream_tbDpT10_ENKUlT_T0_E_clISt17integral_constantIbLb1EES18_IbLb0EEEEDaS14_S15_EUlS14_E_NS1_11comp_targetILNS1_3genE3ELNS1_11target_archE908ELNS1_3gpuE7ELNS1_3repE0EEENS1_30default_config_static_selectorELNS0_4arch9wavefront6targetE1EEEvT1_: ; @_ZN7rocprim17ROCPRIM_400000_NS6detail17trampoline_kernelINS0_14default_configENS1_25partition_config_selectorILNS1_17partition_subalgoE0EsNS0_10empty_typeEbEEZZNS1_14partition_implILS5_0ELb0ES3_jN6thrust23THRUST_200600_302600_NS6detail15normal_iteratorINSA_10device_ptrIsEEEEPS6_SG_NS0_5tupleIJNSA_16discard_iteratorINSA_11use_defaultEEESF_EEENSH_IJSG_SG_EEES6_PlJ7is_evenIsEEEE10hipError_tPvRmT3_T4_T5_T6_T7_T9_mT8_P12ihipStream_tbDpT10_ENKUlT_T0_E_clISt17integral_constantIbLb1EES18_IbLb0EEEEDaS14_S15_EUlS14_E_NS1_11comp_targetILNS1_3genE3ELNS1_11target_archE908ELNS1_3gpuE7ELNS1_3repE0EEENS1_30default_config_static_selectorELNS0_4arch9wavefront6targetE1EEEvT1_
; %bb.0:
	.section	.rodata,"a",@progbits
	.p2align	6, 0x0
	.amdhsa_kernel _ZN7rocprim17ROCPRIM_400000_NS6detail17trampoline_kernelINS0_14default_configENS1_25partition_config_selectorILNS1_17partition_subalgoE0EsNS0_10empty_typeEbEEZZNS1_14partition_implILS5_0ELb0ES3_jN6thrust23THRUST_200600_302600_NS6detail15normal_iteratorINSA_10device_ptrIsEEEEPS6_SG_NS0_5tupleIJNSA_16discard_iteratorINSA_11use_defaultEEESF_EEENSH_IJSG_SG_EEES6_PlJ7is_evenIsEEEE10hipError_tPvRmT3_T4_T5_T6_T7_T9_mT8_P12ihipStream_tbDpT10_ENKUlT_T0_E_clISt17integral_constantIbLb1EES18_IbLb0EEEEDaS14_S15_EUlS14_E_NS1_11comp_targetILNS1_3genE3ELNS1_11target_archE908ELNS1_3gpuE7ELNS1_3repE0EEENS1_30default_config_static_selectorELNS0_4arch9wavefront6targetE1EEEvT1_
		.amdhsa_group_segment_fixed_size 0
		.amdhsa_private_segment_fixed_size 0
		.amdhsa_kernarg_size 128
		.amdhsa_user_sgpr_count 6
		.amdhsa_user_sgpr_private_segment_buffer 1
		.amdhsa_user_sgpr_dispatch_ptr 0
		.amdhsa_user_sgpr_queue_ptr 0
		.amdhsa_user_sgpr_kernarg_segment_ptr 1
		.amdhsa_user_sgpr_dispatch_id 0
		.amdhsa_user_sgpr_flat_scratch_init 0
		.amdhsa_user_sgpr_kernarg_preload_length 0
		.amdhsa_user_sgpr_kernarg_preload_offset 0
		.amdhsa_user_sgpr_private_segment_size 0
		.amdhsa_uses_dynamic_stack 0
		.amdhsa_system_sgpr_private_segment_wavefront_offset 0
		.amdhsa_system_sgpr_workgroup_id_x 1
		.amdhsa_system_sgpr_workgroup_id_y 0
		.amdhsa_system_sgpr_workgroup_id_z 0
		.amdhsa_system_sgpr_workgroup_info 0
		.amdhsa_system_vgpr_workitem_id 0
		.amdhsa_next_free_vgpr 1
		.amdhsa_next_free_sgpr 0
		.amdhsa_accum_offset 4
		.amdhsa_reserve_vcc 0
		.amdhsa_reserve_flat_scratch 0
		.amdhsa_float_round_mode_32 0
		.amdhsa_float_round_mode_16_64 0
		.amdhsa_float_denorm_mode_32 3
		.amdhsa_float_denorm_mode_16_64 3
		.amdhsa_dx10_clamp 1
		.amdhsa_ieee_mode 1
		.amdhsa_fp16_overflow 0
		.amdhsa_tg_split 0
		.amdhsa_exception_fp_ieee_invalid_op 0
		.amdhsa_exception_fp_denorm_src 0
		.amdhsa_exception_fp_ieee_div_zero 0
		.amdhsa_exception_fp_ieee_overflow 0
		.amdhsa_exception_fp_ieee_underflow 0
		.amdhsa_exception_fp_ieee_inexact 0
		.amdhsa_exception_int_div_zero 0
	.end_amdhsa_kernel
	.section	.text._ZN7rocprim17ROCPRIM_400000_NS6detail17trampoline_kernelINS0_14default_configENS1_25partition_config_selectorILNS1_17partition_subalgoE0EsNS0_10empty_typeEbEEZZNS1_14partition_implILS5_0ELb0ES3_jN6thrust23THRUST_200600_302600_NS6detail15normal_iteratorINSA_10device_ptrIsEEEEPS6_SG_NS0_5tupleIJNSA_16discard_iteratorINSA_11use_defaultEEESF_EEENSH_IJSG_SG_EEES6_PlJ7is_evenIsEEEE10hipError_tPvRmT3_T4_T5_T6_T7_T9_mT8_P12ihipStream_tbDpT10_ENKUlT_T0_E_clISt17integral_constantIbLb1EES18_IbLb0EEEEDaS14_S15_EUlS14_E_NS1_11comp_targetILNS1_3genE3ELNS1_11target_archE908ELNS1_3gpuE7ELNS1_3repE0EEENS1_30default_config_static_selectorELNS0_4arch9wavefront6targetE1EEEvT1_,"axG",@progbits,_ZN7rocprim17ROCPRIM_400000_NS6detail17trampoline_kernelINS0_14default_configENS1_25partition_config_selectorILNS1_17partition_subalgoE0EsNS0_10empty_typeEbEEZZNS1_14partition_implILS5_0ELb0ES3_jN6thrust23THRUST_200600_302600_NS6detail15normal_iteratorINSA_10device_ptrIsEEEEPS6_SG_NS0_5tupleIJNSA_16discard_iteratorINSA_11use_defaultEEESF_EEENSH_IJSG_SG_EEES6_PlJ7is_evenIsEEEE10hipError_tPvRmT3_T4_T5_T6_T7_T9_mT8_P12ihipStream_tbDpT10_ENKUlT_T0_E_clISt17integral_constantIbLb1EES18_IbLb0EEEEDaS14_S15_EUlS14_E_NS1_11comp_targetILNS1_3genE3ELNS1_11target_archE908ELNS1_3gpuE7ELNS1_3repE0EEENS1_30default_config_static_selectorELNS0_4arch9wavefront6targetE1EEEvT1_,comdat
.Lfunc_end2862:
	.size	_ZN7rocprim17ROCPRIM_400000_NS6detail17trampoline_kernelINS0_14default_configENS1_25partition_config_selectorILNS1_17partition_subalgoE0EsNS0_10empty_typeEbEEZZNS1_14partition_implILS5_0ELb0ES3_jN6thrust23THRUST_200600_302600_NS6detail15normal_iteratorINSA_10device_ptrIsEEEEPS6_SG_NS0_5tupleIJNSA_16discard_iteratorINSA_11use_defaultEEESF_EEENSH_IJSG_SG_EEES6_PlJ7is_evenIsEEEE10hipError_tPvRmT3_T4_T5_T6_T7_T9_mT8_P12ihipStream_tbDpT10_ENKUlT_T0_E_clISt17integral_constantIbLb1EES18_IbLb0EEEEDaS14_S15_EUlS14_E_NS1_11comp_targetILNS1_3genE3ELNS1_11target_archE908ELNS1_3gpuE7ELNS1_3repE0EEENS1_30default_config_static_selectorELNS0_4arch9wavefront6targetE1EEEvT1_, .Lfunc_end2862-_ZN7rocprim17ROCPRIM_400000_NS6detail17trampoline_kernelINS0_14default_configENS1_25partition_config_selectorILNS1_17partition_subalgoE0EsNS0_10empty_typeEbEEZZNS1_14partition_implILS5_0ELb0ES3_jN6thrust23THRUST_200600_302600_NS6detail15normal_iteratorINSA_10device_ptrIsEEEEPS6_SG_NS0_5tupleIJNSA_16discard_iteratorINSA_11use_defaultEEESF_EEENSH_IJSG_SG_EEES6_PlJ7is_evenIsEEEE10hipError_tPvRmT3_T4_T5_T6_T7_T9_mT8_P12ihipStream_tbDpT10_ENKUlT_T0_E_clISt17integral_constantIbLb1EES18_IbLb0EEEEDaS14_S15_EUlS14_E_NS1_11comp_targetILNS1_3genE3ELNS1_11target_archE908ELNS1_3gpuE7ELNS1_3repE0EEENS1_30default_config_static_selectorELNS0_4arch9wavefront6targetE1EEEvT1_
                                        ; -- End function
	.section	.AMDGPU.csdata,"",@progbits
; Kernel info:
; codeLenInByte = 0
; NumSgprs: 4
; NumVgprs: 0
; NumAgprs: 0
; TotalNumVgprs: 0
; ScratchSize: 0
; MemoryBound: 0
; FloatMode: 240
; IeeeMode: 1
; LDSByteSize: 0 bytes/workgroup (compile time only)
; SGPRBlocks: 0
; VGPRBlocks: 0
; NumSGPRsForWavesPerEU: 4
; NumVGPRsForWavesPerEU: 1
; AccumOffset: 4
; Occupancy: 8
; WaveLimiterHint : 0
; COMPUTE_PGM_RSRC2:SCRATCH_EN: 0
; COMPUTE_PGM_RSRC2:USER_SGPR: 6
; COMPUTE_PGM_RSRC2:TRAP_HANDLER: 0
; COMPUTE_PGM_RSRC2:TGID_X_EN: 1
; COMPUTE_PGM_RSRC2:TGID_Y_EN: 0
; COMPUTE_PGM_RSRC2:TGID_Z_EN: 0
; COMPUTE_PGM_RSRC2:TIDIG_COMP_CNT: 0
; COMPUTE_PGM_RSRC3_GFX90A:ACCUM_OFFSET: 0
; COMPUTE_PGM_RSRC3_GFX90A:TG_SPLIT: 0
	.section	.text._ZN7rocprim17ROCPRIM_400000_NS6detail17trampoline_kernelINS0_14default_configENS1_25partition_config_selectorILNS1_17partition_subalgoE0EsNS0_10empty_typeEbEEZZNS1_14partition_implILS5_0ELb0ES3_jN6thrust23THRUST_200600_302600_NS6detail15normal_iteratorINSA_10device_ptrIsEEEEPS6_SG_NS0_5tupleIJNSA_16discard_iteratorINSA_11use_defaultEEESF_EEENSH_IJSG_SG_EEES6_PlJ7is_evenIsEEEE10hipError_tPvRmT3_T4_T5_T6_T7_T9_mT8_P12ihipStream_tbDpT10_ENKUlT_T0_E_clISt17integral_constantIbLb1EES18_IbLb0EEEEDaS14_S15_EUlS14_E_NS1_11comp_targetILNS1_3genE2ELNS1_11target_archE906ELNS1_3gpuE6ELNS1_3repE0EEENS1_30default_config_static_selectorELNS0_4arch9wavefront6targetE1EEEvT1_,"axG",@progbits,_ZN7rocprim17ROCPRIM_400000_NS6detail17trampoline_kernelINS0_14default_configENS1_25partition_config_selectorILNS1_17partition_subalgoE0EsNS0_10empty_typeEbEEZZNS1_14partition_implILS5_0ELb0ES3_jN6thrust23THRUST_200600_302600_NS6detail15normal_iteratorINSA_10device_ptrIsEEEEPS6_SG_NS0_5tupleIJNSA_16discard_iteratorINSA_11use_defaultEEESF_EEENSH_IJSG_SG_EEES6_PlJ7is_evenIsEEEE10hipError_tPvRmT3_T4_T5_T6_T7_T9_mT8_P12ihipStream_tbDpT10_ENKUlT_T0_E_clISt17integral_constantIbLb1EES18_IbLb0EEEEDaS14_S15_EUlS14_E_NS1_11comp_targetILNS1_3genE2ELNS1_11target_archE906ELNS1_3gpuE6ELNS1_3repE0EEENS1_30default_config_static_selectorELNS0_4arch9wavefront6targetE1EEEvT1_,comdat
	.protected	_ZN7rocprim17ROCPRIM_400000_NS6detail17trampoline_kernelINS0_14default_configENS1_25partition_config_selectorILNS1_17partition_subalgoE0EsNS0_10empty_typeEbEEZZNS1_14partition_implILS5_0ELb0ES3_jN6thrust23THRUST_200600_302600_NS6detail15normal_iteratorINSA_10device_ptrIsEEEEPS6_SG_NS0_5tupleIJNSA_16discard_iteratorINSA_11use_defaultEEESF_EEENSH_IJSG_SG_EEES6_PlJ7is_evenIsEEEE10hipError_tPvRmT3_T4_T5_T6_T7_T9_mT8_P12ihipStream_tbDpT10_ENKUlT_T0_E_clISt17integral_constantIbLb1EES18_IbLb0EEEEDaS14_S15_EUlS14_E_NS1_11comp_targetILNS1_3genE2ELNS1_11target_archE906ELNS1_3gpuE6ELNS1_3repE0EEENS1_30default_config_static_selectorELNS0_4arch9wavefront6targetE1EEEvT1_ ; -- Begin function _ZN7rocprim17ROCPRIM_400000_NS6detail17trampoline_kernelINS0_14default_configENS1_25partition_config_selectorILNS1_17partition_subalgoE0EsNS0_10empty_typeEbEEZZNS1_14partition_implILS5_0ELb0ES3_jN6thrust23THRUST_200600_302600_NS6detail15normal_iteratorINSA_10device_ptrIsEEEEPS6_SG_NS0_5tupleIJNSA_16discard_iteratorINSA_11use_defaultEEESF_EEENSH_IJSG_SG_EEES6_PlJ7is_evenIsEEEE10hipError_tPvRmT3_T4_T5_T6_T7_T9_mT8_P12ihipStream_tbDpT10_ENKUlT_T0_E_clISt17integral_constantIbLb1EES18_IbLb0EEEEDaS14_S15_EUlS14_E_NS1_11comp_targetILNS1_3genE2ELNS1_11target_archE906ELNS1_3gpuE6ELNS1_3repE0EEENS1_30default_config_static_selectorELNS0_4arch9wavefront6targetE1EEEvT1_
	.globl	_ZN7rocprim17ROCPRIM_400000_NS6detail17trampoline_kernelINS0_14default_configENS1_25partition_config_selectorILNS1_17partition_subalgoE0EsNS0_10empty_typeEbEEZZNS1_14partition_implILS5_0ELb0ES3_jN6thrust23THRUST_200600_302600_NS6detail15normal_iteratorINSA_10device_ptrIsEEEEPS6_SG_NS0_5tupleIJNSA_16discard_iteratorINSA_11use_defaultEEESF_EEENSH_IJSG_SG_EEES6_PlJ7is_evenIsEEEE10hipError_tPvRmT3_T4_T5_T6_T7_T9_mT8_P12ihipStream_tbDpT10_ENKUlT_T0_E_clISt17integral_constantIbLb1EES18_IbLb0EEEEDaS14_S15_EUlS14_E_NS1_11comp_targetILNS1_3genE2ELNS1_11target_archE906ELNS1_3gpuE6ELNS1_3repE0EEENS1_30default_config_static_selectorELNS0_4arch9wavefront6targetE1EEEvT1_
	.p2align	8
	.type	_ZN7rocprim17ROCPRIM_400000_NS6detail17trampoline_kernelINS0_14default_configENS1_25partition_config_selectorILNS1_17partition_subalgoE0EsNS0_10empty_typeEbEEZZNS1_14partition_implILS5_0ELb0ES3_jN6thrust23THRUST_200600_302600_NS6detail15normal_iteratorINSA_10device_ptrIsEEEEPS6_SG_NS0_5tupleIJNSA_16discard_iteratorINSA_11use_defaultEEESF_EEENSH_IJSG_SG_EEES6_PlJ7is_evenIsEEEE10hipError_tPvRmT3_T4_T5_T6_T7_T9_mT8_P12ihipStream_tbDpT10_ENKUlT_T0_E_clISt17integral_constantIbLb1EES18_IbLb0EEEEDaS14_S15_EUlS14_E_NS1_11comp_targetILNS1_3genE2ELNS1_11target_archE906ELNS1_3gpuE6ELNS1_3repE0EEENS1_30default_config_static_selectorELNS0_4arch9wavefront6targetE1EEEvT1_,@function
_ZN7rocprim17ROCPRIM_400000_NS6detail17trampoline_kernelINS0_14default_configENS1_25partition_config_selectorILNS1_17partition_subalgoE0EsNS0_10empty_typeEbEEZZNS1_14partition_implILS5_0ELb0ES3_jN6thrust23THRUST_200600_302600_NS6detail15normal_iteratorINSA_10device_ptrIsEEEEPS6_SG_NS0_5tupleIJNSA_16discard_iteratorINSA_11use_defaultEEESF_EEENSH_IJSG_SG_EEES6_PlJ7is_evenIsEEEE10hipError_tPvRmT3_T4_T5_T6_T7_T9_mT8_P12ihipStream_tbDpT10_ENKUlT_T0_E_clISt17integral_constantIbLb1EES18_IbLb0EEEEDaS14_S15_EUlS14_E_NS1_11comp_targetILNS1_3genE2ELNS1_11target_archE906ELNS1_3gpuE6ELNS1_3repE0EEENS1_30default_config_static_selectorELNS0_4arch9wavefront6targetE1EEEvT1_: ; @_ZN7rocprim17ROCPRIM_400000_NS6detail17trampoline_kernelINS0_14default_configENS1_25partition_config_selectorILNS1_17partition_subalgoE0EsNS0_10empty_typeEbEEZZNS1_14partition_implILS5_0ELb0ES3_jN6thrust23THRUST_200600_302600_NS6detail15normal_iteratorINSA_10device_ptrIsEEEEPS6_SG_NS0_5tupleIJNSA_16discard_iteratorINSA_11use_defaultEEESF_EEENSH_IJSG_SG_EEES6_PlJ7is_evenIsEEEE10hipError_tPvRmT3_T4_T5_T6_T7_T9_mT8_P12ihipStream_tbDpT10_ENKUlT_T0_E_clISt17integral_constantIbLb1EES18_IbLb0EEEEDaS14_S15_EUlS14_E_NS1_11comp_targetILNS1_3genE2ELNS1_11target_archE906ELNS1_3gpuE6ELNS1_3repE0EEENS1_30default_config_static_selectorELNS0_4arch9wavefront6targetE1EEEvT1_
; %bb.0:
	.section	.rodata,"a",@progbits
	.p2align	6, 0x0
	.amdhsa_kernel _ZN7rocprim17ROCPRIM_400000_NS6detail17trampoline_kernelINS0_14default_configENS1_25partition_config_selectorILNS1_17partition_subalgoE0EsNS0_10empty_typeEbEEZZNS1_14partition_implILS5_0ELb0ES3_jN6thrust23THRUST_200600_302600_NS6detail15normal_iteratorINSA_10device_ptrIsEEEEPS6_SG_NS0_5tupleIJNSA_16discard_iteratorINSA_11use_defaultEEESF_EEENSH_IJSG_SG_EEES6_PlJ7is_evenIsEEEE10hipError_tPvRmT3_T4_T5_T6_T7_T9_mT8_P12ihipStream_tbDpT10_ENKUlT_T0_E_clISt17integral_constantIbLb1EES18_IbLb0EEEEDaS14_S15_EUlS14_E_NS1_11comp_targetILNS1_3genE2ELNS1_11target_archE906ELNS1_3gpuE6ELNS1_3repE0EEENS1_30default_config_static_selectorELNS0_4arch9wavefront6targetE1EEEvT1_
		.amdhsa_group_segment_fixed_size 0
		.amdhsa_private_segment_fixed_size 0
		.amdhsa_kernarg_size 128
		.amdhsa_user_sgpr_count 6
		.amdhsa_user_sgpr_private_segment_buffer 1
		.amdhsa_user_sgpr_dispatch_ptr 0
		.amdhsa_user_sgpr_queue_ptr 0
		.amdhsa_user_sgpr_kernarg_segment_ptr 1
		.amdhsa_user_sgpr_dispatch_id 0
		.amdhsa_user_sgpr_flat_scratch_init 0
		.amdhsa_user_sgpr_kernarg_preload_length 0
		.amdhsa_user_sgpr_kernarg_preload_offset 0
		.amdhsa_user_sgpr_private_segment_size 0
		.amdhsa_uses_dynamic_stack 0
		.amdhsa_system_sgpr_private_segment_wavefront_offset 0
		.amdhsa_system_sgpr_workgroup_id_x 1
		.amdhsa_system_sgpr_workgroup_id_y 0
		.amdhsa_system_sgpr_workgroup_id_z 0
		.amdhsa_system_sgpr_workgroup_info 0
		.amdhsa_system_vgpr_workitem_id 0
		.amdhsa_next_free_vgpr 1
		.amdhsa_next_free_sgpr 0
		.amdhsa_accum_offset 4
		.amdhsa_reserve_vcc 0
		.amdhsa_reserve_flat_scratch 0
		.amdhsa_float_round_mode_32 0
		.amdhsa_float_round_mode_16_64 0
		.amdhsa_float_denorm_mode_32 3
		.amdhsa_float_denorm_mode_16_64 3
		.amdhsa_dx10_clamp 1
		.amdhsa_ieee_mode 1
		.amdhsa_fp16_overflow 0
		.amdhsa_tg_split 0
		.amdhsa_exception_fp_ieee_invalid_op 0
		.amdhsa_exception_fp_denorm_src 0
		.amdhsa_exception_fp_ieee_div_zero 0
		.amdhsa_exception_fp_ieee_overflow 0
		.amdhsa_exception_fp_ieee_underflow 0
		.amdhsa_exception_fp_ieee_inexact 0
		.amdhsa_exception_int_div_zero 0
	.end_amdhsa_kernel
	.section	.text._ZN7rocprim17ROCPRIM_400000_NS6detail17trampoline_kernelINS0_14default_configENS1_25partition_config_selectorILNS1_17partition_subalgoE0EsNS0_10empty_typeEbEEZZNS1_14partition_implILS5_0ELb0ES3_jN6thrust23THRUST_200600_302600_NS6detail15normal_iteratorINSA_10device_ptrIsEEEEPS6_SG_NS0_5tupleIJNSA_16discard_iteratorINSA_11use_defaultEEESF_EEENSH_IJSG_SG_EEES6_PlJ7is_evenIsEEEE10hipError_tPvRmT3_T4_T5_T6_T7_T9_mT8_P12ihipStream_tbDpT10_ENKUlT_T0_E_clISt17integral_constantIbLb1EES18_IbLb0EEEEDaS14_S15_EUlS14_E_NS1_11comp_targetILNS1_3genE2ELNS1_11target_archE906ELNS1_3gpuE6ELNS1_3repE0EEENS1_30default_config_static_selectorELNS0_4arch9wavefront6targetE1EEEvT1_,"axG",@progbits,_ZN7rocprim17ROCPRIM_400000_NS6detail17trampoline_kernelINS0_14default_configENS1_25partition_config_selectorILNS1_17partition_subalgoE0EsNS0_10empty_typeEbEEZZNS1_14partition_implILS5_0ELb0ES3_jN6thrust23THRUST_200600_302600_NS6detail15normal_iteratorINSA_10device_ptrIsEEEEPS6_SG_NS0_5tupleIJNSA_16discard_iteratorINSA_11use_defaultEEESF_EEENSH_IJSG_SG_EEES6_PlJ7is_evenIsEEEE10hipError_tPvRmT3_T4_T5_T6_T7_T9_mT8_P12ihipStream_tbDpT10_ENKUlT_T0_E_clISt17integral_constantIbLb1EES18_IbLb0EEEEDaS14_S15_EUlS14_E_NS1_11comp_targetILNS1_3genE2ELNS1_11target_archE906ELNS1_3gpuE6ELNS1_3repE0EEENS1_30default_config_static_selectorELNS0_4arch9wavefront6targetE1EEEvT1_,comdat
.Lfunc_end2863:
	.size	_ZN7rocprim17ROCPRIM_400000_NS6detail17trampoline_kernelINS0_14default_configENS1_25partition_config_selectorILNS1_17partition_subalgoE0EsNS0_10empty_typeEbEEZZNS1_14partition_implILS5_0ELb0ES3_jN6thrust23THRUST_200600_302600_NS6detail15normal_iteratorINSA_10device_ptrIsEEEEPS6_SG_NS0_5tupleIJNSA_16discard_iteratorINSA_11use_defaultEEESF_EEENSH_IJSG_SG_EEES6_PlJ7is_evenIsEEEE10hipError_tPvRmT3_T4_T5_T6_T7_T9_mT8_P12ihipStream_tbDpT10_ENKUlT_T0_E_clISt17integral_constantIbLb1EES18_IbLb0EEEEDaS14_S15_EUlS14_E_NS1_11comp_targetILNS1_3genE2ELNS1_11target_archE906ELNS1_3gpuE6ELNS1_3repE0EEENS1_30default_config_static_selectorELNS0_4arch9wavefront6targetE1EEEvT1_, .Lfunc_end2863-_ZN7rocprim17ROCPRIM_400000_NS6detail17trampoline_kernelINS0_14default_configENS1_25partition_config_selectorILNS1_17partition_subalgoE0EsNS0_10empty_typeEbEEZZNS1_14partition_implILS5_0ELb0ES3_jN6thrust23THRUST_200600_302600_NS6detail15normal_iteratorINSA_10device_ptrIsEEEEPS6_SG_NS0_5tupleIJNSA_16discard_iteratorINSA_11use_defaultEEESF_EEENSH_IJSG_SG_EEES6_PlJ7is_evenIsEEEE10hipError_tPvRmT3_T4_T5_T6_T7_T9_mT8_P12ihipStream_tbDpT10_ENKUlT_T0_E_clISt17integral_constantIbLb1EES18_IbLb0EEEEDaS14_S15_EUlS14_E_NS1_11comp_targetILNS1_3genE2ELNS1_11target_archE906ELNS1_3gpuE6ELNS1_3repE0EEENS1_30default_config_static_selectorELNS0_4arch9wavefront6targetE1EEEvT1_
                                        ; -- End function
	.section	.AMDGPU.csdata,"",@progbits
; Kernel info:
; codeLenInByte = 0
; NumSgprs: 4
; NumVgprs: 0
; NumAgprs: 0
; TotalNumVgprs: 0
; ScratchSize: 0
; MemoryBound: 0
; FloatMode: 240
; IeeeMode: 1
; LDSByteSize: 0 bytes/workgroup (compile time only)
; SGPRBlocks: 0
; VGPRBlocks: 0
; NumSGPRsForWavesPerEU: 4
; NumVGPRsForWavesPerEU: 1
; AccumOffset: 4
; Occupancy: 8
; WaveLimiterHint : 0
; COMPUTE_PGM_RSRC2:SCRATCH_EN: 0
; COMPUTE_PGM_RSRC2:USER_SGPR: 6
; COMPUTE_PGM_RSRC2:TRAP_HANDLER: 0
; COMPUTE_PGM_RSRC2:TGID_X_EN: 1
; COMPUTE_PGM_RSRC2:TGID_Y_EN: 0
; COMPUTE_PGM_RSRC2:TGID_Z_EN: 0
; COMPUTE_PGM_RSRC2:TIDIG_COMP_CNT: 0
; COMPUTE_PGM_RSRC3_GFX90A:ACCUM_OFFSET: 0
; COMPUTE_PGM_RSRC3_GFX90A:TG_SPLIT: 0
	.section	.text._ZN7rocprim17ROCPRIM_400000_NS6detail17trampoline_kernelINS0_14default_configENS1_25partition_config_selectorILNS1_17partition_subalgoE0EsNS0_10empty_typeEbEEZZNS1_14partition_implILS5_0ELb0ES3_jN6thrust23THRUST_200600_302600_NS6detail15normal_iteratorINSA_10device_ptrIsEEEEPS6_SG_NS0_5tupleIJNSA_16discard_iteratorINSA_11use_defaultEEESF_EEENSH_IJSG_SG_EEES6_PlJ7is_evenIsEEEE10hipError_tPvRmT3_T4_T5_T6_T7_T9_mT8_P12ihipStream_tbDpT10_ENKUlT_T0_E_clISt17integral_constantIbLb1EES18_IbLb0EEEEDaS14_S15_EUlS14_E_NS1_11comp_targetILNS1_3genE10ELNS1_11target_archE1200ELNS1_3gpuE4ELNS1_3repE0EEENS1_30default_config_static_selectorELNS0_4arch9wavefront6targetE1EEEvT1_,"axG",@progbits,_ZN7rocprim17ROCPRIM_400000_NS6detail17trampoline_kernelINS0_14default_configENS1_25partition_config_selectorILNS1_17partition_subalgoE0EsNS0_10empty_typeEbEEZZNS1_14partition_implILS5_0ELb0ES3_jN6thrust23THRUST_200600_302600_NS6detail15normal_iteratorINSA_10device_ptrIsEEEEPS6_SG_NS0_5tupleIJNSA_16discard_iteratorINSA_11use_defaultEEESF_EEENSH_IJSG_SG_EEES6_PlJ7is_evenIsEEEE10hipError_tPvRmT3_T4_T5_T6_T7_T9_mT8_P12ihipStream_tbDpT10_ENKUlT_T0_E_clISt17integral_constantIbLb1EES18_IbLb0EEEEDaS14_S15_EUlS14_E_NS1_11comp_targetILNS1_3genE10ELNS1_11target_archE1200ELNS1_3gpuE4ELNS1_3repE0EEENS1_30default_config_static_selectorELNS0_4arch9wavefront6targetE1EEEvT1_,comdat
	.protected	_ZN7rocprim17ROCPRIM_400000_NS6detail17trampoline_kernelINS0_14default_configENS1_25partition_config_selectorILNS1_17partition_subalgoE0EsNS0_10empty_typeEbEEZZNS1_14partition_implILS5_0ELb0ES3_jN6thrust23THRUST_200600_302600_NS6detail15normal_iteratorINSA_10device_ptrIsEEEEPS6_SG_NS0_5tupleIJNSA_16discard_iteratorINSA_11use_defaultEEESF_EEENSH_IJSG_SG_EEES6_PlJ7is_evenIsEEEE10hipError_tPvRmT3_T4_T5_T6_T7_T9_mT8_P12ihipStream_tbDpT10_ENKUlT_T0_E_clISt17integral_constantIbLb1EES18_IbLb0EEEEDaS14_S15_EUlS14_E_NS1_11comp_targetILNS1_3genE10ELNS1_11target_archE1200ELNS1_3gpuE4ELNS1_3repE0EEENS1_30default_config_static_selectorELNS0_4arch9wavefront6targetE1EEEvT1_ ; -- Begin function _ZN7rocprim17ROCPRIM_400000_NS6detail17trampoline_kernelINS0_14default_configENS1_25partition_config_selectorILNS1_17partition_subalgoE0EsNS0_10empty_typeEbEEZZNS1_14partition_implILS5_0ELb0ES3_jN6thrust23THRUST_200600_302600_NS6detail15normal_iteratorINSA_10device_ptrIsEEEEPS6_SG_NS0_5tupleIJNSA_16discard_iteratorINSA_11use_defaultEEESF_EEENSH_IJSG_SG_EEES6_PlJ7is_evenIsEEEE10hipError_tPvRmT3_T4_T5_T6_T7_T9_mT8_P12ihipStream_tbDpT10_ENKUlT_T0_E_clISt17integral_constantIbLb1EES18_IbLb0EEEEDaS14_S15_EUlS14_E_NS1_11comp_targetILNS1_3genE10ELNS1_11target_archE1200ELNS1_3gpuE4ELNS1_3repE0EEENS1_30default_config_static_selectorELNS0_4arch9wavefront6targetE1EEEvT1_
	.globl	_ZN7rocprim17ROCPRIM_400000_NS6detail17trampoline_kernelINS0_14default_configENS1_25partition_config_selectorILNS1_17partition_subalgoE0EsNS0_10empty_typeEbEEZZNS1_14partition_implILS5_0ELb0ES3_jN6thrust23THRUST_200600_302600_NS6detail15normal_iteratorINSA_10device_ptrIsEEEEPS6_SG_NS0_5tupleIJNSA_16discard_iteratorINSA_11use_defaultEEESF_EEENSH_IJSG_SG_EEES6_PlJ7is_evenIsEEEE10hipError_tPvRmT3_T4_T5_T6_T7_T9_mT8_P12ihipStream_tbDpT10_ENKUlT_T0_E_clISt17integral_constantIbLb1EES18_IbLb0EEEEDaS14_S15_EUlS14_E_NS1_11comp_targetILNS1_3genE10ELNS1_11target_archE1200ELNS1_3gpuE4ELNS1_3repE0EEENS1_30default_config_static_selectorELNS0_4arch9wavefront6targetE1EEEvT1_
	.p2align	8
	.type	_ZN7rocprim17ROCPRIM_400000_NS6detail17trampoline_kernelINS0_14default_configENS1_25partition_config_selectorILNS1_17partition_subalgoE0EsNS0_10empty_typeEbEEZZNS1_14partition_implILS5_0ELb0ES3_jN6thrust23THRUST_200600_302600_NS6detail15normal_iteratorINSA_10device_ptrIsEEEEPS6_SG_NS0_5tupleIJNSA_16discard_iteratorINSA_11use_defaultEEESF_EEENSH_IJSG_SG_EEES6_PlJ7is_evenIsEEEE10hipError_tPvRmT3_T4_T5_T6_T7_T9_mT8_P12ihipStream_tbDpT10_ENKUlT_T0_E_clISt17integral_constantIbLb1EES18_IbLb0EEEEDaS14_S15_EUlS14_E_NS1_11comp_targetILNS1_3genE10ELNS1_11target_archE1200ELNS1_3gpuE4ELNS1_3repE0EEENS1_30default_config_static_selectorELNS0_4arch9wavefront6targetE1EEEvT1_,@function
_ZN7rocprim17ROCPRIM_400000_NS6detail17trampoline_kernelINS0_14default_configENS1_25partition_config_selectorILNS1_17partition_subalgoE0EsNS0_10empty_typeEbEEZZNS1_14partition_implILS5_0ELb0ES3_jN6thrust23THRUST_200600_302600_NS6detail15normal_iteratorINSA_10device_ptrIsEEEEPS6_SG_NS0_5tupleIJNSA_16discard_iteratorINSA_11use_defaultEEESF_EEENSH_IJSG_SG_EEES6_PlJ7is_evenIsEEEE10hipError_tPvRmT3_T4_T5_T6_T7_T9_mT8_P12ihipStream_tbDpT10_ENKUlT_T0_E_clISt17integral_constantIbLb1EES18_IbLb0EEEEDaS14_S15_EUlS14_E_NS1_11comp_targetILNS1_3genE10ELNS1_11target_archE1200ELNS1_3gpuE4ELNS1_3repE0EEENS1_30default_config_static_selectorELNS0_4arch9wavefront6targetE1EEEvT1_: ; @_ZN7rocprim17ROCPRIM_400000_NS6detail17trampoline_kernelINS0_14default_configENS1_25partition_config_selectorILNS1_17partition_subalgoE0EsNS0_10empty_typeEbEEZZNS1_14partition_implILS5_0ELb0ES3_jN6thrust23THRUST_200600_302600_NS6detail15normal_iteratorINSA_10device_ptrIsEEEEPS6_SG_NS0_5tupleIJNSA_16discard_iteratorINSA_11use_defaultEEESF_EEENSH_IJSG_SG_EEES6_PlJ7is_evenIsEEEE10hipError_tPvRmT3_T4_T5_T6_T7_T9_mT8_P12ihipStream_tbDpT10_ENKUlT_T0_E_clISt17integral_constantIbLb1EES18_IbLb0EEEEDaS14_S15_EUlS14_E_NS1_11comp_targetILNS1_3genE10ELNS1_11target_archE1200ELNS1_3gpuE4ELNS1_3repE0EEENS1_30default_config_static_selectorELNS0_4arch9wavefront6targetE1EEEvT1_
; %bb.0:
	.section	.rodata,"a",@progbits
	.p2align	6, 0x0
	.amdhsa_kernel _ZN7rocprim17ROCPRIM_400000_NS6detail17trampoline_kernelINS0_14default_configENS1_25partition_config_selectorILNS1_17partition_subalgoE0EsNS0_10empty_typeEbEEZZNS1_14partition_implILS5_0ELb0ES3_jN6thrust23THRUST_200600_302600_NS6detail15normal_iteratorINSA_10device_ptrIsEEEEPS6_SG_NS0_5tupleIJNSA_16discard_iteratorINSA_11use_defaultEEESF_EEENSH_IJSG_SG_EEES6_PlJ7is_evenIsEEEE10hipError_tPvRmT3_T4_T5_T6_T7_T9_mT8_P12ihipStream_tbDpT10_ENKUlT_T0_E_clISt17integral_constantIbLb1EES18_IbLb0EEEEDaS14_S15_EUlS14_E_NS1_11comp_targetILNS1_3genE10ELNS1_11target_archE1200ELNS1_3gpuE4ELNS1_3repE0EEENS1_30default_config_static_selectorELNS0_4arch9wavefront6targetE1EEEvT1_
		.amdhsa_group_segment_fixed_size 0
		.amdhsa_private_segment_fixed_size 0
		.amdhsa_kernarg_size 128
		.amdhsa_user_sgpr_count 6
		.amdhsa_user_sgpr_private_segment_buffer 1
		.amdhsa_user_sgpr_dispatch_ptr 0
		.amdhsa_user_sgpr_queue_ptr 0
		.amdhsa_user_sgpr_kernarg_segment_ptr 1
		.amdhsa_user_sgpr_dispatch_id 0
		.amdhsa_user_sgpr_flat_scratch_init 0
		.amdhsa_user_sgpr_kernarg_preload_length 0
		.amdhsa_user_sgpr_kernarg_preload_offset 0
		.amdhsa_user_sgpr_private_segment_size 0
		.amdhsa_uses_dynamic_stack 0
		.amdhsa_system_sgpr_private_segment_wavefront_offset 0
		.amdhsa_system_sgpr_workgroup_id_x 1
		.amdhsa_system_sgpr_workgroup_id_y 0
		.amdhsa_system_sgpr_workgroup_id_z 0
		.amdhsa_system_sgpr_workgroup_info 0
		.amdhsa_system_vgpr_workitem_id 0
		.amdhsa_next_free_vgpr 1
		.amdhsa_next_free_sgpr 0
		.amdhsa_accum_offset 4
		.amdhsa_reserve_vcc 0
		.amdhsa_reserve_flat_scratch 0
		.amdhsa_float_round_mode_32 0
		.amdhsa_float_round_mode_16_64 0
		.amdhsa_float_denorm_mode_32 3
		.amdhsa_float_denorm_mode_16_64 3
		.amdhsa_dx10_clamp 1
		.amdhsa_ieee_mode 1
		.amdhsa_fp16_overflow 0
		.amdhsa_tg_split 0
		.amdhsa_exception_fp_ieee_invalid_op 0
		.amdhsa_exception_fp_denorm_src 0
		.amdhsa_exception_fp_ieee_div_zero 0
		.amdhsa_exception_fp_ieee_overflow 0
		.amdhsa_exception_fp_ieee_underflow 0
		.amdhsa_exception_fp_ieee_inexact 0
		.amdhsa_exception_int_div_zero 0
	.end_amdhsa_kernel
	.section	.text._ZN7rocprim17ROCPRIM_400000_NS6detail17trampoline_kernelINS0_14default_configENS1_25partition_config_selectorILNS1_17partition_subalgoE0EsNS0_10empty_typeEbEEZZNS1_14partition_implILS5_0ELb0ES3_jN6thrust23THRUST_200600_302600_NS6detail15normal_iteratorINSA_10device_ptrIsEEEEPS6_SG_NS0_5tupleIJNSA_16discard_iteratorINSA_11use_defaultEEESF_EEENSH_IJSG_SG_EEES6_PlJ7is_evenIsEEEE10hipError_tPvRmT3_T4_T5_T6_T7_T9_mT8_P12ihipStream_tbDpT10_ENKUlT_T0_E_clISt17integral_constantIbLb1EES18_IbLb0EEEEDaS14_S15_EUlS14_E_NS1_11comp_targetILNS1_3genE10ELNS1_11target_archE1200ELNS1_3gpuE4ELNS1_3repE0EEENS1_30default_config_static_selectorELNS0_4arch9wavefront6targetE1EEEvT1_,"axG",@progbits,_ZN7rocprim17ROCPRIM_400000_NS6detail17trampoline_kernelINS0_14default_configENS1_25partition_config_selectorILNS1_17partition_subalgoE0EsNS0_10empty_typeEbEEZZNS1_14partition_implILS5_0ELb0ES3_jN6thrust23THRUST_200600_302600_NS6detail15normal_iteratorINSA_10device_ptrIsEEEEPS6_SG_NS0_5tupleIJNSA_16discard_iteratorINSA_11use_defaultEEESF_EEENSH_IJSG_SG_EEES6_PlJ7is_evenIsEEEE10hipError_tPvRmT3_T4_T5_T6_T7_T9_mT8_P12ihipStream_tbDpT10_ENKUlT_T0_E_clISt17integral_constantIbLb1EES18_IbLb0EEEEDaS14_S15_EUlS14_E_NS1_11comp_targetILNS1_3genE10ELNS1_11target_archE1200ELNS1_3gpuE4ELNS1_3repE0EEENS1_30default_config_static_selectorELNS0_4arch9wavefront6targetE1EEEvT1_,comdat
.Lfunc_end2864:
	.size	_ZN7rocprim17ROCPRIM_400000_NS6detail17trampoline_kernelINS0_14default_configENS1_25partition_config_selectorILNS1_17partition_subalgoE0EsNS0_10empty_typeEbEEZZNS1_14partition_implILS5_0ELb0ES3_jN6thrust23THRUST_200600_302600_NS6detail15normal_iteratorINSA_10device_ptrIsEEEEPS6_SG_NS0_5tupleIJNSA_16discard_iteratorINSA_11use_defaultEEESF_EEENSH_IJSG_SG_EEES6_PlJ7is_evenIsEEEE10hipError_tPvRmT3_T4_T5_T6_T7_T9_mT8_P12ihipStream_tbDpT10_ENKUlT_T0_E_clISt17integral_constantIbLb1EES18_IbLb0EEEEDaS14_S15_EUlS14_E_NS1_11comp_targetILNS1_3genE10ELNS1_11target_archE1200ELNS1_3gpuE4ELNS1_3repE0EEENS1_30default_config_static_selectorELNS0_4arch9wavefront6targetE1EEEvT1_, .Lfunc_end2864-_ZN7rocprim17ROCPRIM_400000_NS6detail17trampoline_kernelINS0_14default_configENS1_25partition_config_selectorILNS1_17partition_subalgoE0EsNS0_10empty_typeEbEEZZNS1_14partition_implILS5_0ELb0ES3_jN6thrust23THRUST_200600_302600_NS6detail15normal_iteratorINSA_10device_ptrIsEEEEPS6_SG_NS0_5tupleIJNSA_16discard_iteratorINSA_11use_defaultEEESF_EEENSH_IJSG_SG_EEES6_PlJ7is_evenIsEEEE10hipError_tPvRmT3_T4_T5_T6_T7_T9_mT8_P12ihipStream_tbDpT10_ENKUlT_T0_E_clISt17integral_constantIbLb1EES18_IbLb0EEEEDaS14_S15_EUlS14_E_NS1_11comp_targetILNS1_3genE10ELNS1_11target_archE1200ELNS1_3gpuE4ELNS1_3repE0EEENS1_30default_config_static_selectorELNS0_4arch9wavefront6targetE1EEEvT1_
                                        ; -- End function
	.section	.AMDGPU.csdata,"",@progbits
; Kernel info:
; codeLenInByte = 0
; NumSgprs: 4
; NumVgprs: 0
; NumAgprs: 0
; TotalNumVgprs: 0
; ScratchSize: 0
; MemoryBound: 0
; FloatMode: 240
; IeeeMode: 1
; LDSByteSize: 0 bytes/workgroup (compile time only)
; SGPRBlocks: 0
; VGPRBlocks: 0
; NumSGPRsForWavesPerEU: 4
; NumVGPRsForWavesPerEU: 1
; AccumOffset: 4
; Occupancy: 8
; WaveLimiterHint : 0
; COMPUTE_PGM_RSRC2:SCRATCH_EN: 0
; COMPUTE_PGM_RSRC2:USER_SGPR: 6
; COMPUTE_PGM_RSRC2:TRAP_HANDLER: 0
; COMPUTE_PGM_RSRC2:TGID_X_EN: 1
; COMPUTE_PGM_RSRC2:TGID_Y_EN: 0
; COMPUTE_PGM_RSRC2:TGID_Z_EN: 0
; COMPUTE_PGM_RSRC2:TIDIG_COMP_CNT: 0
; COMPUTE_PGM_RSRC3_GFX90A:ACCUM_OFFSET: 0
; COMPUTE_PGM_RSRC3_GFX90A:TG_SPLIT: 0
	.section	.text._ZN7rocprim17ROCPRIM_400000_NS6detail17trampoline_kernelINS0_14default_configENS1_25partition_config_selectorILNS1_17partition_subalgoE0EsNS0_10empty_typeEbEEZZNS1_14partition_implILS5_0ELb0ES3_jN6thrust23THRUST_200600_302600_NS6detail15normal_iteratorINSA_10device_ptrIsEEEEPS6_SG_NS0_5tupleIJNSA_16discard_iteratorINSA_11use_defaultEEESF_EEENSH_IJSG_SG_EEES6_PlJ7is_evenIsEEEE10hipError_tPvRmT3_T4_T5_T6_T7_T9_mT8_P12ihipStream_tbDpT10_ENKUlT_T0_E_clISt17integral_constantIbLb1EES18_IbLb0EEEEDaS14_S15_EUlS14_E_NS1_11comp_targetILNS1_3genE9ELNS1_11target_archE1100ELNS1_3gpuE3ELNS1_3repE0EEENS1_30default_config_static_selectorELNS0_4arch9wavefront6targetE1EEEvT1_,"axG",@progbits,_ZN7rocprim17ROCPRIM_400000_NS6detail17trampoline_kernelINS0_14default_configENS1_25partition_config_selectorILNS1_17partition_subalgoE0EsNS0_10empty_typeEbEEZZNS1_14partition_implILS5_0ELb0ES3_jN6thrust23THRUST_200600_302600_NS6detail15normal_iteratorINSA_10device_ptrIsEEEEPS6_SG_NS0_5tupleIJNSA_16discard_iteratorINSA_11use_defaultEEESF_EEENSH_IJSG_SG_EEES6_PlJ7is_evenIsEEEE10hipError_tPvRmT3_T4_T5_T6_T7_T9_mT8_P12ihipStream_tbDpT10_ENKUlT_T0_E_clISt17integral_constantIbLb1EES18_IbLb0EEEEDaS14_S15_EUlS14_E_NS1_11comp_targetILNS1_3genE9ELNS1_11target_archE1100ELNS1_3gpuE3ELNS1_3repE0EEENS1_30default_config_static_selectorELNS0_4arch9wavefront6targetE1EEEvT1_,comdat
	.protected	_ZN7rocprim17ROCPRIM_400000_NS6detail17trampoline_kernelINS0_14default_configENS1_25partition_config_selectorILNS1_17partition_subalgoE0EsNS0_10empty_typeEbEEZZNS1_14partition_implILS5_0ELb0ES3_jN6thrust23THRUST_200600_302600_NS6detail15normal_iteratorINSA_10device_ptrIsEEEEPS6_SG_NS0_5tupleIJNSA_16discard_iteratorINSA_11use_defaultEEESF_EEENSH_IJSG_SG_EEES6_PlJ7is_evenIsEEEE10hipError_tPvRmT3_T4_T5_T6_T7_T9_mT8_P12ihipStream_tbDpT10_ENKUlT_T0_E_clISt17integral_constantIbLb1EES18_IbLb0EEEEDaS14_S15_EUlS14_E_NS1_11comp_targetILNS1_3genE9ELNS1_11target_archE1100ELNS1_3gpuE3ELNS1_3repE0EEENS1_30default_config_static_selectorELNS0_4arch9wavefront6targetE1EEEvT1_ ; -- Begin function _ZN7rocprim17ROCPRIM_400000_NS6detail17trampoline_kernelINS0_14default_configENS1_25partition_config_selectorILNS1_17partition_subalgoE0EsNS0_10empty_typeEbEEZZNS1_14partition_implILS5_0ELb0ES3_jN6thrust23THRUST_200600_302600_NS6detail15normal_iteratorINSA_10device_ptrIsEEEEPS6_SG_NS0_5tupleIJNSA_16discard_iteratorINSA_11use_defaultEEESF_EEENSH_IJSG_SG_EEES6_PlJ7is_evenIsEEEE10hipError_tPvRmT3_T4_T5_T6_T7_T9_mT8_P12ihipStream_tbDpT10_ENKUlT_T0_E_clISt17integral_constantIbLb1EES18_IbLb0EEEEDaS14_S15_EUlS14_E_NS1_11comp_targetILNS1_3genE9ELNS1_11target_archE1100ELNS1_3gpuE3ELNS1_3repE0EEENS1_30default_config_static_selectorELNS0_4arch9wavefront6targetE1EEEvT1_
	.globl	_ZN7rocprim17ROCPRIM_400000_NS6detail17trampoline_kernelINS0_14default_configENS1_25partition_config_selectorILNS1_17partition_subalgoE0EsNS0_10empty_typeEbEEZZNS1_14partition_implILS5_0ELb0ES3_jN6thrust23THRUST_200600_302600_NS6detail15normal_iteratorINSA_10device_ptrIsEEEEPS6_SG_NS0_5tupleIJNSA_16discard_iteratorINSA_11use_defaultEEESF_EEENSH_IJSG_SG_EEES6_PlJ7is_evenIsEEEE10hipError_tPvRmT3_T4_T5_T6_T7_T9_mT8_P12ihipStream_tbDpT10_ENKUlT_T0_E_clISt17integral_constantIbLb1EES18_IbLb0EEEEDaS14_S15_EUlS14_E_NS1_11comp_targetILNS1_3genE9ELNS1_11target_archE1100ELNS1_3gpuE3ELNS1_3repE0EEENS1_30default_config_static_selectorELNS0_4arch9wavefront6targetE1EEEvT1_
	.p2align	8
	.type	_ZN7rocprim17ROCPRIM_400000_NS6detail17trampoline_kernelINS0_14default_configENS1_25partition_config_selectorILNS1_17partition_subalgoE0EsNS0_10empty_typeEbEEZZNS1_14partition_implILS5_0ELb0ES3_jN6thrust23THRUST_200600_302600_NS6detail15normal_iteratorINSA_10device_ptrIsEEEEPS6_SG_NS0_5tupleIJNSA_16discard_iteratorINSA_11use_defaultEEESF_EEENSH_IJSG_SG_EEES6_PlJ7is_evenIsEEEE10hipError_tPvRmT3_T4_T5_T6_T7_T9_mT8_P12ihipStream_tbDpT10_ENKUlT_T0_E_clISt17integral_constantIbLb1EES18_IbLb0EEEEDaS14_S15_EUlS14_E_NS1_11comp_targetILNS1_3genE9ELNS1_11target_archE1100ELNS1_3gpuE3ELNS1_3repE0EEENS1_30default_config_static_selectorELNS0_4arch9wavefront6targetE1EEEvT1_,@function
_ZN7rocprim17ROCPRIM_400000_NS6detail17trampoline_kernelINS0_14default_configENS1_25partition_config_selectorILNS1_17partition_subalgoE0EsNS0_10empty_typeEbEEZZNS1_14partition_implILS5_0ELb0ES3_jN6thrust23THRUST_200600_302600_NS6detail15normal_iteratorINSA_10device_ptrIsEEEEPS6_SG_NS0_5tupleIJNSA_16discard_iteratorINSA_11use_defaultEEESF_EEENSH_IJSG_SG_EEES6_PlJ7is_evenIsEEEE10hipError_tPvRmT3_T4_T5_T6_T7_T9_mT8_P12ihipStream_tbDpT10_ENKUlT_T0_E_clISt17integral_constantIbLb1EES18_IbLb0EEEEDaS14_S15_EUlS14_E_NS1_11comp_targetILNS1_3genE9ELNS1_11target_archE1100ELNS1_3gpuE3ELNS1_3repE0EEENS1_30default_config_static_selectorELNS0_4arch9wavefront6targetE1EEEvT1_: ; @_ZN7rocprim17ROCPRIM_400000_NS6detail17trampoline_kernelINS0_14default_configENS1_25partition_config_selectorILNS1_17partition_subalgoE0EsNS0_10empty_typeEbEEZZNS1_14partition_implILS5_0ELb0ES3_jN6thrust23THRUST_200600_302600_NS6detail15normal_iteratorINSA_10device_ptrIsEEEEPS6_SG_NS0_5tupleIJNSA_16discard_iteratorINSA_11use_defaultEEESF_EEENSH_IJSG_SG_EEES6_PlJ7is_evenIsEEEE10hipError_tPvRmT3_T4_T5_T6_T7_T9_mT8_P12ihipStream_tbDpT10_ENKUlT_T0_E_clISt17integral_constantIbLb1EES18_IbLb0EEEEDaS14_S15_EUlS14_E_NS1_11comp_targetILNS1_3genE9ELNS1_11target_archE1100ELNS1_3gpuE3ELNS1_3repE0EEENS1_30default_config_static_selectorELNS0_4arch9wavefront6targetE1EEEvT1_
; %bb.0:
	.section	.rodata,"a",@progbits
	.p2align	6, 0x0
	.amdhsa_kernel _ZN7rocprim17ROCPRIM_400000_NS6detail17trampoline_kernelINS0_14default_configENS1_25partition_config_selectorILNS1_17partition_subalgoE0EsNS0_10empty_typeEbEEZZNS1_14partition_implILS5_0ELb0ES3_jN6thrust23THRUST_200600_302600_NS6detail15normal_iteratorINSA_10device_ptrIsEEEEPS6_SG_NS0_5tupleIJNSA_16discard_iteratorINSA_11use_defaultEEESF_EEENSH_IJSG_SG_EEES6_PlJ7is_evenIsEEEE10hipError_tPvRmT3_T4_T5_T6_T7_T9_mT8_P12ihipStream_tbDpT10_ENKUlT_T0_E_clISt17integral_constantIbLb1EES18_IbLb0EEEEDaS14_S15_EUlS14_E_NS1_11comp_targetILNS1_3genE9ELNS1_11target_archE1100ELNS1_3gpuE3ELNS1_3repE0EEENS1_30default_config_static_selectorELNS0_4arch9wavefront6targetE1EEEvT1_
		.amdhsa_group_segment_fixed_size 0
		.amdhsa_private_segment_fixed_size 0
		.amdhsa_kernarg_size 128
		.amdhsa_user_sgpr_count 6
		.amdhsa_user_sgpr_private_segment_buffer 1
		.amdhsa_user_sgpr_dispatch_ptr 0
		.amdhsa_user_sgpr_queue_ptr 0
		.amdhsa_user_sgpr_kernarg_segment_ptr 1
		.amdhsa_user_sgpr_dispatch_id 0
		.amdhsa_user_sgpr_flat_scratch_init 0
		.amdhsa_user_sgpr_kernarg_preload_length 0
		.amdhsa_user_sgpr_kernarg_preload_offset 0
		.amdhsa_user_sgpr_private_segment_size 0
		.amdhsa_uses_dynamic_stack 0
		.amdhsa_system_sgpr_private_segment_wavefront_offset 0
		.amdhsa_system_sgpr_workgroup_id_x 1
		.amdhsa_system_sgpr_workgroup_id_y 0
		.amdhsa_system_sgpr_workgroup_id_z 0
		.amdhsa_system_sgpr_workgroup_info 0
		.amdhsa_system_vgpr_workitem_id 0
		.amdhsa_next_free_vgpr 1
		.amdhsa_next_free_sgpr 0
		.amdhsa_accum_offset 4
		.amdhsa_reserve_vcc 0
		.amdhsa_reserve_flat_scratch 0
		.amdhsa_float_round_mode_32 0
		.amdhsa_float_round_mode_16_64 0
		.amdhsa_float_denorm_mode_32 3
		.amdhsa_float_denorm_mode_16_64 3
		.amdhsa_dx10_clamp 1
		.amdhsa_ieee_mode 1
		.amdhsa_fp16_overflow 0
		.amdhsa_tg_split 0
		.amdhsa_exception_fp_ieee_invalid_op 0
		.amdhsa_exception_fp_denorm_src 0
		.amdhsa_exception_fp_ieee_div_zero 0
		.amdhsa_exception_fp_ieee_overflow 0
		.amdhsa_exception_fp_ieee_underflow 0
		.amdhsa_exception_fp_ieee_inexact 0
		.amdhsa_exception_int_div_zero 0
	.end_amdhsa_kernel
	.section	.text._ZN7rocprim17ROCPRIM_400000_NS6detail17trampoline_kernelINS0_14default_configENS1_25partition_config_selectorILNS1_17partition_subalgoE0EsNS0_10empty_typeEbEEZZNS1_14partition_implILS5_0ELb0ES3_jN6thrust23THRUST_200600_302600_NS6detail15normal_iteratorINSA_10device_ptrIsEEEEPS6_SG_NS0_5tupleIJNSA_16discard_iteratorINSA_11use_defaultEEESF_EEENSH_IJSG_SG_EEES6_PlJ7is_evenIsEEEE10hipError_tPvRmT3_T4_T5_T6_T7_T9_mT8_P12ihipStream_tbDpT10_ENKUlT_T0_E_clISt17integral_constantIbLb1EES18_IbLb0EEEEDaS14_S15_EUlS14_E_NS1_11comp_targetILNS1_3genE9ELNS1_11target_archE1100ELNS1_3gpuE3ELNS1_3repE0EEENS1_30default_config_static_selectorELNS0_4arch9wavefront6targetE1EEEvT1_,"axG",@progbits,_ZN7rocprim17ROCPRIM_400000_NS6detail17trampoline_kernelINS0_14default_configENS1_25partition_config_selectorILNS1_17partition_subalgoE0EsNS0_10empty_typeEbEEZZNS1_14partition_implILS5_0ELb0ES3_jN6thrust23THRUST_200600_302600_NS6detail15normal_iteratorINSA_10device_ptrIsEEEEPS6_SG_NS0_5tupleIJNSA_16discard_iteratorINSA_11use_defaultEEESF_EEENSH_IJSG_SG_EEES6_PlJ7is_evenIsEEEE10hipError_tPvRmT3_T4_T5_T6_T7_T9_mT8_P12ihipStream_tbDpT10_ENKUlT_T0_E_clISt17integral_constantIbLb1EES18_IbLb0EEEEDaS14_S15_EUlS14_E_NS1_11comp_targetILNS1_3genE9ELNS1_11target_archE1100ELNS1_3gpuE3ELNS1_3repE0EEENS1_30default_config_static_selectorELNS0_4arch9wavefront6targetE1EEEvT1_,comdat
.Lfunc_end2865:
	.size	_ZN7rocprim17ROCPRIM_400000_NS6detail17trampoline_kernelINS0_14default_configENS1_25partition_config_selectorILNS1_17partition_subalgoE0EsNS0_10empty_typeEbEEZZNS1_14partition_implILS5_0ELb0ES3_jN6thrust23THRUST_200600_302600_NS6detail15normal_iteratorINSA_10device_ptrIsEEEEPS6_SG_NS0_5tupleIJNSA_16discard_iteratorINSA_11use_defaultEEESF_EEENSH_IJSG_SG_EEES6_PlJ7is_evenIsEEEE10hipError_tPvRmT3_T4_T5_T6_T7_T9_mT8_P12ihipStream_tbDpT10_ENKUlT_T0_E_clISt17integral_constantIbLb1EES18_IbLb0EEEEDaS14_S15_EUlS14_E_NS1_11comp_targetILNS1_3genE9ELNS1_11target_archE1100ELNS1_3gpuE3ELNS1_3repE0EEENS1_30default_config_static_selectorELNS0_4arch9wavefront6targetE1EEEvT1_, .Lfunc_end2865-_ZN7rocprim17ROCPRIM_400000_NS6detail17trampoline_kernelINS0_14default_configENS1_25partition_config_selectorILNS1_17partition_subalgoE0EsNS0_10empty_typeEbEEZZNS1_14partition_implILS5_0ELb0ES3_jN6thrust23THRUST_200600_302600_NS6detail15normal_iteratorINSA_10device_ptrIsEEEEPS6_SG_NS0_5tupleIJNSA_16discard_iteratorINSA_11use_defaultEEESF_EEENSH_IJSG_SG_EEES6_PlJ7is_evenIsEEEE10hipError_tPvRmT3_T4_T5_T6_T7_T9_mT8_P12ihipStream_tbDpT10_ENKUlT_T0_E_clISt17integral_constantIbLb1EES18_IbLb0EEEEDaS14_S15_EUlS14_E_NS1_11comp_targetILNS1_3genE9ELNS1_11target_archE1100ELNS1_3gpuE3ELNS1_3repE0EEENS1_30default_config_static_selectorELNS0_4arch9wavefront6targetE1EEEvT1_
                                        ; -- End function
	.section	.AMDGPU.csdata,"",@progbits
; Kernel info:
; codeLenInByte = 0
; NumSgprs: 4
; NumVgprs: 0
; NumAgprs: 0
; TotalNumVgprs: 0
; ScratchSize: 0
; MemoryBound: 0
; FloatMode: 240
; IeeeMode: 1
; LDSByteSize: 0 bytes/workgroup (compile time only)
; SGPRBlocks: 0
; VGPRBlocks: 0
; NumSGPRsForWavesPerEU: 4
; NumVGPRsForWavesPerEU: 1
; AccumOffset: 4
; Occupancy: 8
; WaveLimiterHint : 0
; COMPUTE_PGM_RSRC2:SCRATCH_EN: 0
; COMPUTE_PGM_RSRC2:USER_SGPR: 6
; COMPUTE_PGM_RSRC2:TRAP_HANDLER: 0
; COMPUTE_PGM_RSRC2:TGID_X_EN: 1
; COMPUTE_PGM_RSRC2:TGID_Y_EN: 0
; COMPUTE_PGM_RSRC2:TGID_Z_EN: 0
; COMPUTE_PGM_RSRC2:TIDIG_COMP_CNT: 0
; COMPUTE_PGM_RSRC3_GFX90A:ACCUM_OFFSET: 0
; COMPUTE_PGM_RSRC3_GFX90A:TG_SPLIT: 0
	.section	.text._ZN7rocprim17ROCPRIM_400000_NS6detail17trampoline_kernelINS0_14default_configENS1_25partition_config_selectorILNS1_17partition_subalgoE0EsNS0_10empty_typeEbEEZZNS1_14partition_implILS5_0ELb0ES3_jN6thrust23THRUST_200600_302600_NS6detail15normal_iteratorINSA_10device_ptrIsEEEEPS6_SG_NS0_5tupleIJNSA_16discard_iteratorINSA_11use_defaultEEESF_EEENSH_IJSG_SG_EEES6_PlJ7is_evenIsEEEE10hipError_tPvRmT3_T4_T5_T6_T7_T9_mT8_P12ihipStream_tbDpT10_ENKUlT_T0_E_clISt17integral_constantIbLb1EES18_IbLb0EEEEDaS14_S15_EUlS14_E_NS1_11comp_targetILNS1_3genE8ELNS1_11target_archE1030ELNS1_3gpuE2ELNS1_3repE0EEENS1_30default_config_static_selectorELNS0_4arch9wavefront6targetE1EEEvT1_,"axG",@progbits,_ZN7rocprim17ROCPRIM_400000_NS6detail17trampoline_kernelINS0_14default_configENS1_25partition_config_selectorILNS1_17partition_subalgoE0EsNS0_10empty_typeEbEEZZNS1_14partition_implILS5_0ELb0ES3_jN6thrust23THRUST_200600_302600_NS6detail15normal_iteratorINSA_10device_ptrIsEEEEPS6_SG_NS0_5tupleIJNSA_16discard_iteratorINSA_11use_defaultEEESF_EEENSH_IJSG_SG_EEES6_PlJ7is_evenIsEEEE10hipError_tPvRmT3_T4_T5_T6_T7_T9_mT8_P12ihipStream_tbDpT10_ENKUlT_T0_E_clISt17integral_constantIbLb1EES18_IbLb0EEEEDaS14_S15_EUlS14_E_NS1_11comp_targetILNS1_3genE8ELNS1_11target_archE1030ELNS1_3gpuE2ELNS1_3repE0EEENS1_30default_config_static_selectorELNS0_4arch9wavefront6targetE1EEEvT1_,comdat
	.protected	_ZN7rocprim17ROCPRIM_400000_NS6detail17trampoline_kernelINS0_14default_configENS1_25partition_config_selectorILNS1_17partition_subalgoE0EsNS0_10empty_typeEbEEZZNS1_14partition_implILS5_0ELb0ES3_jN6thrust23THRUST_200600_302600_NS6detail15normal_iteratorINSA_10device_ptrIsEEEEPS6_SG_NS0_5tupleIJNSA_16discard_iteratorINSA_11use_defaultEEESF_EEENSH_IJSG_SG_EEES6_PlJ7is_evenIsEEEE10hipError_tPvRmT3_T4_T5_T6_T7_T9_mT8_P12ihipStream_tbDpT10_ENKUlT_T0_E_clISt17integral_constantIbLb1EES18_IbLb0EEEEDaS14_S15_EUlS14_E_NS1_11comp_targetILNS1_3genE8ELNS1_11target_archE1030ELNS1_3gpuE2ELNS1_3repE0EEENS1_30default_config_static_selectorELNS0_4arch9wavefront6targetE1EEEvT1_ ; -- Begin function _ZN7rocprim17ROCPRIM_400000_NS6detail17trampoline_kernelINS0_14default_configENS1_25partition_config_selectorILNS1_17partition_subalgoE0EsNS0_10empty_typeEbEEZZNS1_14partition_implILS5_0ELb0ES3_jN6thrust23THRUST_200600_302600_NS6detail15normal_iteratorINSA_10device_ptrIsEEEEPS6_SG_NS0_5tupleIJNSA_16discard_iteratorINSA_11use_defaultEEESF_EEENSH_IJSG_SG_EEES6_PlJ7is_evenIsEEEE10hipError_tPvRmT3_T4_T5_T6_T7_T9_mT8_P12ihipStream_tbDpT10_ENKUlT_T0_E_clISt17integral_constantIbLb1EES18_IbLb0EEEEDaS14_S15_EUlS14_E_NS1_11comp_targetILNS1_3genE8ELNS1_11target_archE1030ELNS1_3gpuE2ELNS1_3repE0EEENS1_30default_config_static_selectorELNS0_4arch9wavefront6targetE1EEEvT1_
	.globl	_ZN7rocprim17ROCPRIM_400000_NS6detail17trampoline_kernelINS0_14default_configENS1_25partition_config_selectorILNS1_17partition_subalgoE0EsNS0_10empty_typeEbEEZZNS1_14partition_implILS5_0ELb0ES3_jN6thrust23THRUST_200600_302600_NS6detail15normal_iteratorINSA_10device_ptrIsEEEEPS6_SG_NS0_5tupleIJNSA_16discard_iteratorINSA_11use_defaultEEESF_EEENSH_IJSG_SG_EEES6_PlJ7is_evenIsEEEE10hipError_tPvRmT3_T4_T5_T6_T7_T9_mT8_P12ihipStream_tbDpT10_ENKUlT_T0_E_clISt17integral_constantIbLb1EES18_IbLb0EEEEDaS14_S15_EUlS14_E_NS1_11comp_targetILNS1_3genE8ELNS1_11target_archE1030ELNS1_3gpuE2ELNS1_3repE0EEENS1_30default_config_static_selectorELNS0_4arch9wavefront6targetE1EEEvT1_
	.p2align	8
	.type	_ZN7rocprim17ROCPRIM_400000_NS6detail17trampoline_kernelINS0_14default_configENS1_25partition_config_selectorILNS1_17partition_subalgoE0EsNS0_10empty_typeEbEEZZNS1_14partition_implILS5_0ELb0ES3_jN6thrust23THRUST_200600_302600_NS6detail15normal_iteratorINSA_10device_ptrIsEEEEPS6_SG_NS0_5tupleIJNSA_16discard_iteratorINSA_11use_defaultEEESF_EEENSH_IJSG_SG_EEES6_PlJ7is_evenIsEEEE10hipError_tPvRmT3_T4_T5_T6_T7_T9_mT8_P12ihipStream_tbDpT10_ENKUlT_T0_E_clISt17integral_constantIbLb1EES18_IbLb0EEEEDaS14_S15_EUlS14_E_NS1_11comp_targetILNS1_3genE8ELNS1_11target_archE1030ELNS1_3gpuE2ELNS1_3repE0EEENS1_30default_config_static_selectorELNS0_4arch9wavefront6targetE1EEEvT1_,@function
_ZN7rocprim17ROCPRIM_400000_NS6detail17trampoline_kernelINS0_14default_configENS1_25partition_config_selectorILNS1_17partition_subalgoE0EsNS0_10empty_typeEbEEZZNS1_14partition_implILS5_0ELb0ES3_jN6thrust23THRUST_200600_302600_NS6detail15normal_iteratorINSA_10device_ptrIsEEEEPS6_SG_NS0_5tupleIJNSA_16discard_iteratorINSA_11use_defaultEEESF_EEENSH_IJSG_SG_EEES6_PlJ7is_evenIsEEEE10hipError_tPvRmT3_T4_T5_T6_T7_T9_mT8_P12ihipStream_tbDpT10_ENKUlT_T0_E_clISt17integral_constantIbLb1EES18_IbLb0EEEEDaS14_S15_EUlS14_E_NS1_11comp_targetILNS1_3genE8ELNS1_11target_archE1030ELNS1_3gpuE2ELNS1_3repE0EEENS1_30default_config_static_selectorELNS0_4arch9wavefront6targetE1EEEvT1_: ; @_ZN7rocprim17ROCPRIM_400000_NS6detail17trampoline_kernelINS0_14default_configENS1_25partition_config_selectorILNS1_17partition_subalgoE0EsNS0_10empty_typeEbEEZZNS1_14partition_implILS5_0ELb0ES3_jN6thrust23THRUST_200600_302600_NS6detail15normal_iteratorINSA_10device_ptrIsEEEEPS6_SG_NS0_5tupleIJNSA_16discard_iteratorINSA_11use_defaultEEESF_EEENSH_IJSG_SG_EEES6_PlJ7is_evenIsEEEE10hipError_tPvRmT3_T4_T5_T6_T7_T9_mT8_P12ihipStream_tbDpT10_ENKUlT_T0_E_clISt17integral_constantIbLb1EES18_IbLb0EEEEDaS14_S15_EUlS14_E_NS1_11comp_targetILNS1_3genE8ELNS1_11target_archE1030ELNS1_3gpuE2ELNS1_3repE0EEENS1_30default_config_static_selectorELNS0_4arch9wavefront6targetE1EEEvT1_
; %bb.0:
	.section	.rodata,"a",@progbits
	.p2align	6, 0x0
	.amdhsa_kernel _ZN7rocprim17ROCPRIM_400000_NS6detail17trampoline_kernelINS0_14default_configENS1_25partition_config_selectorILNS1_17partition_subalgoE0EsNS0_10empty_typeEbEEZZNS1_14partition_implILS5_0ELb0ES3_jN6thrust23THRUST_200600_302600_NS6detail15normal_iteratorINSA_10device_ptrIsEEEEPS6_SG_NS0_5tupleIJNSA_16discard_iteratorINSA_11use_defaultEEESF_EEENSH_IJSG_SG_EEES6_PlJ7is_evenIsEEEE10hipError_tPvRmT3_T4_T5_T6_T7_T9_mT8_P12ihipStream_tbDpT10_ENKUlT_T0_E_clISt17integral_constantIbLb1EES18_IbLb0EEEEDaS14_S15_EUlS14_E_NS1_11comp_targetILNS1_3genE8ELNS1_11target_archE1030ELNS1_3gpuE2ELNS1_3repE0EEENS1_30default_config_static_selectorELNS0_4arch9wavefront6targetE1EEEvT1_
		.amdhsa_group_segment_fixed_size 0
		.amdhsa_private_segment_fixed_size 0
		.amdhsa_kernarg_size 128
		.amdhsa_user_sgpr_count 6
		.amdhsa_user_sgpr_private_segment_buffer 1
		.amdhsa_user_sgpr_dispatch_ptr 0
		.amdhsa_user_sgpr_queue_ptr 0
		.amdhsa_user_sgpr_kernarg_segment_ptr 1
		.amdhsa_user_sgpr_dispatch_id 0
		.amdhsa_user_sgpr_flat_scratch_init 0
		.amdhsa_user_sgpr_kernarg_preload_length 0
		.amdhsa_user_sgpr_kernarg_preload_offset 0
		.amdhsa_user_sgpr_private_segment_size 0
		.amdhsa_uses_dynamic_stack 0
		.amdhsa_system_sgpr_private_segment_wavefront_offset 0
		.amdhsa_system_sgpr_workgroup_id_x 1
		.amdhsa_system_sgpr_workgroup_id_y 0
		.amdhsa_system_sgpr_workgroup_id_z 0
		.amdhsa_system_sgpr_workgroup_info 0
		.amdhsa_system_vgpr_workitem_id 0
		.amdhsa_next_free_vgpr 1
		.amdhsa_next_free_sgpr 0
		.amdhsa_accum_offset 4
		.amdhsa_reserve_vcc 0
		.amdhsa_reserve_flat_scratch 0
		.amdhsa_float_round_mode_32 0
		.amdhsa_float_round_mode_16_64 0
		.amdhsa_float_denorm_mode_32 3
		.amdhsa_float_denorm_mode_16_64 3
		.amdhsa_dx10_clamp 1
		.amdhsa_ieee_mode 1
		.amdhsa_fp16_overflow 0
		.amdhsa_tg_split 0
		.amdhsa_exception_fp_ieee_invalid_op 0
		.amdhsa_exception_fp_denorm_src 0
		.amdhsa_exception_fp_ieee_div_zero 0
		.amdhsa_exception_fp_ieee_overflow 0
		.amdhsa_exception_fp_ieee_underflow 0
		.amdhsa_exception_fp_ieee_inexact 0
		.amdhsa_exception_int_div_zero 0
	.end_amdhsa_kernel
	.section	.text._ZN7rocprim17ROCPRIM_400000_NS6detail17trampoline_kernelINS0_14default_configENS1_25partition_config_selectorILNS1_17partition_subalgoE0EsNS0_10empty_typeEbEEZZNS1_14partition_implILS5_0ELb0ES3_jN6thrust23THRUST_200600_302600_NS6detail15normal_iteratorINSA_10device_ptrIsEEEEPS6_SG_NS0_5tupleIJNSA_16discard_iteratorINSA_11use_defaultEEESF_EEENSH_IJSG_SG_EEES6_PlJ7is_evenIsEEEE10hipError_tPvRmT3_T4_T5_T6_T7_T9_mT8_P12ihipStream_tbDpT10_ENKUlT_T0_E_clISt17integral_constantIbLb1EES18_IbLb0EEEEDaS14_S15_EUlS14_E_NS1_11comp_targetILNS1_3genE8ELNS1_11target_archE1030ELNS1_3gpuE2ELNS1_3repE0EEENS1_30default_config_static_selectorELNS0_4arch9wavefront6targetE1EEEvT1_,"axG",@progbits,_ZN7rocprim17ROCPRIM_400000_NS6detail17trampoline_kernelINS0_14default_configENS1_25partition_config_selectorILNS1_17partition_subalgoE0EsNS0_10empty_typeEbEEZZNS1_14partition_implILS5_0ELb0ES3_jN6thrust23THRUST_200600_302600_NS6detail15normal_iteratorINSA_10device_ptrIsEEEEPS6_SG_NS0_5tupleIJNSA_16discard_iteratorINSA_11use_defaultEEESF_EEENSH_IJSG_SG_EEES6_PlJ7is_evenIsEEEE10hipError_tPvRmT3_T4_T5_T6_T7_T9_mT8_P12ihipStream_tbDpT10_ENKUlT_T0_E_clISt17integral_constantIbLb1EES18_IbLb0EEEEDaS14_S15_EUlS14_E_NS1_11comp_targetILNS1_3genE8ELNS1_11target_archE1030ELNS1_3gpuE2ELNS1_3repE0EEENS1_30default_config_static_selectorELNS0_4arch9wavefront6targetE1EEEvT1_,comdat
.Lfunc_end2866:
	.size	_ZN7rocprim17ROCPRIM_400000_NS6detail17trampoline_kernelINS0_14default_configENS1_25partition_config_selectorILNS1_17partition_subalgoE0EsNS0_10empty_typeEbEEZZNS1_14partition_implILS5_0ELb0ES3_jN6thrust23THRUST_200600_302600_NS6detail15normal_iteratorINSA_10device_ptrIsEEEEPS6_SG_NS0_5tupleIJNSA_16discard_iteratorINSA_11use_defaultEEESF_EEENSH_IJSG_SG_EEES6_PlJ7is_evenIsEEEE10hipError_tPvRmT3_T4_T5_T6_T7_T9_mT8_P12ihipStream_tbDpT10_ENKUlT_T0_E_clISt17integral_constantIbLb1EES18_IbLb0EEEEDaS14_S15_EUlS14_E_NS1_11comp_targetILNS1_3genE8ELNS1_11target_archE1030ELNS1_3gpuE2ELNS1_3repE0EEENS1_30default_config_static_selectorELNS0_4arch9wavefront6targetE1EEEvT1_, .Lfunc_end2866-_ZN7rocprim17ROCPRIM_400000_NS6detail17trampoline_kernelINS0_14default_configENS1_25partition_config_selectorILNS1_17partition_subalgoE0EsNS0_10empty_typeEbEEZZNS1_14partition_implILS5_0ELb0ES3_jN6thrust23THRUST_200600_302600_NS6detail15normal_iteratorINSA_10device_ptrIsEEEEPS6_SG_NS0_5tupleIJNSA_16discard_iteratorINSA_11use_defaultEEESF_EEENSH_IJSG_SG_EEES6_PlJ7is_evenIsEEEE10hipError_tPvRmT3_T4_T5_T6_T7_T9_mT8_P12ihipStream_tbDpT10_ENKUlT_T0_E_clISt17integral_constantIbLb1EES18_IbLb0EEEEDaS14_S15_EUlS14_E_NS1_11comp_targetILNS1_3genE8ELNS1_11target_archE1030ELNS1_3gpuE2ELNS1_3repE0EEENS1_30default_config_static_selectorELNS0_4arch9wavefront6targetE1EEEvT1_
                                        ; -- End function
	.section	.AMDGPU.csdata,"",@progbits
; Kernel info:
; codeLenInByte = 0
; NumSgprs: 4
; NumVgprs: 0
; NumAgprs: 0
; TotalNumVgprs: 0
; ScratchSize: 0
; MemoryBound: 0
; FloatMode: 240
; IeeeMode: 1
; LDSByteSize: 0 bytes/workgroup (compile time only)
; SGPRBlocks: 0
; VGPRBlocks: 0
; NumSGPRsForWavesPerEU: 4
; NumVGPRsForWavesPerEU: 1
; AccumOffset: 4
; Occupancy: 8
; WaveLimiterHint : 0
; COMPUTE_PGM_RSRC2:SCRATCH_EN: 0
; COMPUTE_PGM_RSRC2:USER_SGPR: 6
; COMPUTE_PGM_RSRC2:TRAP_HANDLER: 0
; COMPUTE_PGM_RSRC2:TGID_X_EN: 1
; COMPUTE_PGM_RSRC2:TGID_Y_EN: 0
; COMPUTE_PGM_RSRC2:TGID_Z_EN: 0
; COMPUTE_PGM_RSRC2:TIDIG_COMP_CNT: 0
; COMPUTE_PGM_RSRC3_GFX90A:ACCUM_OFFSET: 0
; COMPUTE_PGM_RSRC3_GFX90A:TG_SPLIT: 0
	.section	.text._ZN7rocprim17ROCPRIM_400000_NS6detail17trampoline_kernelINS0_14default_configENS1_25partition_config_selectorILNS1_17partition_subalgoE0EsNS0_10empty_typeEbEEZZNS1_14partition_implILS5_0ELb0ES3_jN6thrust23THRUST_200600_302600_NS6detail15normal_iteratorINSA_10device_ptrIsEEEEPS6_SG_NS0_5tupleIJNSA_16discard_iteratorINSA_11use_defaultEEESF_EEENSH_IJSG_SG_EEES6_PlJ7is_evenIsEEEE10hipError_tPvRmT3_T4_T5_T6_T7_T9_mT8_P12ihipStream_tbDpT10_ENKUlT_T0_E_clISt17integral_constantIbLb0EES18_IbLb1EEEEDaS14_S15_EUlS14_E_NS1_11comp_targetILNS1_3genE0ELNS1_11target_archE4294967295ELNS1_3gpuE0ELNS1_3repE0EEENS1_30default_config_static_selectorELNS0_4arch9wavefront6targetE1EEEvT1_,"axG",@progbits,_ZN7rocprim17ROCPRIM_400000_NS6detail17trampoline_kernelINS0_14default_configENS1_25partition_config_selectorILNS1_17partition_subalgoE0EsNS0_10empty_typeEbEEZZNS1_14partition_implILS5_0ELb0ES3_jN6thrust23THRUST_200600_302600_NS6detail15normal_iteratorINSA_10device_ptrIsEEEEPS6_SG_NS0_5tupleIJNSA_16discard_iteratorINSA_11use_defaultEEESF_EEENSH_IJSG_SG_EEES6_PlJ7is_evenIsEEEE10hipError_tPvRmT3_T4_T5_T6_T7_T9_mT8_P12ihipStream_tbDpT10_ENKUlT_T0_E_clISt17integral_constantIbLb0EES18_IbLb1EEEEDaS14_S15_EUlS14_E_NS1_11comp_targetILNS1_3genE0ELNS1_11target_archE4294967295ELNS1_3gpuE0ELNS1_3repE0EEENS1_30default_config_static_selectorELNS0_4arch9wavefront6targetE1EEEvT1_,comdat
	.protected	_ZN7rocprim17ROCPRIM_400000_NS6detail17trampoline_kernelINS0_14default_configENS1_25partition_config_selectorILNS1_17partition_subalgoE0EsNS0_10empty_typeEbEEZZNS1_14partition_implILS5_0ELb0ES3_jN6thrust23THRUST_200600_302600_NS6detail15normal_iteratorINSA_10device_ptrIsEEEEPS6_SG_NS0_5tupleIJNSA_16discard_iteratorINSA_11use_defaultEEESF_EEENSH_IJSG_SG_EEES6_PlJ7is_evenIsEEEE10hipError_tPvRmT3_T4_T5_T6_T7_T9_mT8_P12ihipStream_tbDpT10_ENKUlT_T0_E_clISt17integral_constantIbLb0EES18_IbLb1EEEEDaS14_S15_EUlS14_E_NS1_11comp_targetILNS1_3genE0ELNS1_11target_archE4294967295ELNS1_3gpuE0ELNS1_3repE0EEENS1_30default_config_static_selectorELNS0_4arch9wavefront6targetE1EEEvT1_ ; -- Begin function _ZN7rocprim17ROCPRIM_400000_NS6detail17trampoline_kernelINS0_14default_configENS1_25partition_config_selectorILNS1_17partition_subalgoE0EsNS0_10empty_typeEbEEZZNS1_14partition_implILS5_0ELb0ES3_jN6thrust23THRUST_200600_302600_NS6detail15normal_iteratorINSA_10device_ptrIsEEEEPS6_SG_NS0_5tupleIJNSA_16discard_iteratorINSA_11use_defaultEEESF_EEENSH_IJSG_SG_EEES6_PlJ7is_evenIsEEEE10hipError_tPvRmT3_T4_T5_T6_T7_T9_mT8_P12ihipStream_tbDpT10_ENKUlT_T0_E_clISt17integral_constantIbLb0EES18_IbLb1EEEEDaS14_S15_EUlS14_E_NS1_11comp_targetILNS1_3genE0ELNS1_11target_archE4294967295ELNS1_3gpuE0ELNS1_3repE0EEENS1_30default_config_static_selectorELNS0_4arch9wavefront6targetE1EEEvT1_
	.globl	_ZN7rocprim17ROCPRIM_400000_NS6detail17trampoline_kernelINS0_14default_configENS1_25partition_config_selectorILNS1_17partition_subalgoE0EsNS0_10empty_typeEbEEZZNS1_14partition_implILS5_0ELb0ES3_jN6thrust23THRUST_200600_302600_NS6detail15normal_iteratorINSA_10device_ptrIsEEEEPS6_SG_NS0_5tupleIJNSA_16discard_iteratorINSA_11use_defaultEEESF_EEENSH_IJSG_SG_EEES6_PlJ7is_evenIsEEEE10hipError_tPvRmT3_T4_T5_T6_T7_T9_mT8_P12ihipStream_tbDpT10_ENKUlT_T0_E_clISt17integral_constantIbLb0EES18_IbLb1EEEEDaS14_S15_EUlS14_E_NS1_11comp_targetILNS1_3genE0ELNS1_11target_archE4294967295ELNS1_3gpuE0ELNS1_3repE0EEENS1_30default_config_static_selectorELNS0_4arch9wavefront6targetE1EEEvT1_
	.p2align	8
	.type	_ZN7rocprim17ROCPRIM_400000_NS6detail17trampoline_kernelINS0_14default_configENS1_25partition_config_selectorILNS1_17partition_subalgoE0EsNS0_10empty_typeEbEEZZNS1_14partition_implILS5_0ELb0ES3_jN6thrust23THRUST_200600_302600_NS6detail15normal_iteratorINSA_10device_ptrIsEEEEPS6_SG_NS0_5tupleIJNSA_16discard_iteratorINSA_11use_defaultEEESF_EEENSH_IJSG_SG_EEES6_PlJ7is_evenIsEEEE10hipError_tPvRmT3_T4_T5_T6_T7_T9_mT8_P12ihipStream_tbDpT10_ENKUlT_T0_E_clISt17integral_constantIbLb0EES18_IbLb1EEEEDaS14_S15_EUlS14_E_NS1_11comp_targetILNS1_3genE0ELNS1_11target_archE4294967295ELNS1_3gpuE0ELNS1_3repE0EEENS1_30default_config_static_selectorELNS0_4arch9wavefront6targetE1EEEvT1_,@function
_ZN7rocprim17ROCPRIM_400000_NS6detail17trampoline_kernelINS0_14default_configENS1_25partition_config_selectorILNS1_17partition_subalgoE0EsNS0_10empty_typeEbEEZZNS1_14partition_implILS5_0ELb0ES3_jN6thrust23THRUST_200600_302600_NS6detail15normal_iteratorINSA_10device_ptrIsEEEEPS6_SG_NS0_5tupleIJNSA_16discard_iteratorINSA_11use_defaultEEESF_EEENSH_IJSG_SG_EEES6_PlJ7is_evenIsEEEE10hipError_tPvRmT3_T4_T5_T6_T7_T9_mT8_P12ihipStream_tbDpT10_ENKUlT_T0_E_clISt17integral_constantIbLb0EES18_IbLb1EEEEDaS14_S15_EUlS14_E_NS1_11comp_targetILNS1_3genE0ELNS1_11target_archE4294967295ELNS1_3gpuE0ELNS1_3repE0EEENS1_30default_config_static_selectorELNS0_4arch9wavefront6targetE1EEEvT1_: ; @_ZN7rocprim17ROCPRIM_400000_NS6detail17trampoline_kernelINS0_14default_configENS1_25partition_config_selectorILNS1_17partition_subalgoE0EsNS0_10empty_typeEbEEZZNS1_14partition_implILS5_0ELb0ES3_jN6thrust23THRUST_200600_302600_NS6detail15normal_iteratorINSA_10device_ptrIsEEEEPS6_SG_NS0_5tupleIJNSA_16discard_iteratorINSA_11use_defaultEEESF_EEENSH_IJSG_SG_EEES6_PlJ7is_evenIsEEEE10hipError_tPvRmT3_T4_T5_T6_T7_T9_mT8_P12ihipStream_tbDpT10_ENKUlT_T0_E_clISt17integral_constantIbLb0EES18_IbLb1EEEEDaS14_S15_EUlS14_E_NS1_11comp_targetILNS1_3genE0ELNS1_11target_archE4294967295ELNS1_3gpuE0ELNS1_3repE0EEENS1_30default_config_static_selectorELNS0_4arch9wavefront6targetE1EEEvT1_
; %bb.0:
	.section	.rodata,"a",@progbits
	.p2align	6, 0x0
	.amdhsa_kernel _ZN7rocprim17ROCPRIM_400000_NS6detail17trampoline_kernelINS0_14default_configENS1_25partition_config_selectorILNS1_17partition_subalgoE0EsNS0_10empty_typeEbEEZZNS1_14partition_implILS5_0ELb0ES3_jN6thrust23THRUST_200600_302600_NS6detail15normal_iteratorINSA_10device_ptrIsEEEEPS6_SG_NS0_5tupleIJNSA_16discard_iteratorINSA_11use_defaultEEESF_EEENSH_IJSG_SG_EEES6_PlJ7is_evenIsEEEE10hipError_tPvRmT3_T4_T5_T6_T7_T9_mT8_P12ihipStream_tbDpT10_ENKUlT_T0_E_clISt17integral_constantIbLb0EES18_IbLb1EEEEDaS14_S15_EUlS14_E_NS1_11comp_targetILNS1_3genE0ELNS1_11target_archE4294967295ELNS1_3gpuE0ELNS1_3repE0EEENS1_30default_config_static_selectorELNS0_4arch9wavefront6targetE1EEEvT1_
		.amdhsa_group_segment_fixed_size 0
		.amdhsa_private_segment_fixed_size 0
		.amdhsa_kernarg_size 144
		.amdhsa_user_sgpr_count 6
		.amdhsa_user_sgpr_private_segment_buffer 1
		.amdhsa_user_sgpr_dispatch_ptr 0
		.amdhsa_user_sgpr_queue_ptr 0
		.amdhsa_user_sgpr_kernarg_segment_ptr 1
		.amdhsa_user_sgpr_dispatch_id 0
		.amdhsa_user_sgpr_flat_scratch_init 0
		.amdhsa_user_sgpr_kernarg_preload_length 0
		.amdhsa_user_sgpr_kernarg_preload_offset 0
		.amdhsa_user_sgpr_private_segment_size 0
		.amdhsa_uses_dynamic_stack 0
		.amdhsa_system_sgpr_private_segment_wavefront_offset 0
		.amdhsa_system_sgpr_workgroup_id_x 1
		.amdhsa_system_sgpr_workgroup_id_y 0
		.amdhsa_system_sgpr_workgroup_id_z 0
		.amdhsa_system_sgpr_workgroup_info 0
		.amdhsa_system_vgpr_workitem_id 0
		.amdhsa_next_free_vgpr 1
		.amdhsa_next_free_sgpr 0
		.amdhsa_accum_offset 4
		.amdhsa_reserve_vcc 0
		.amdhsa_reserve_flat_scratch 0
		.amdhsa_float_round_mode_32 0
		.amdhsa_float_round_mode_16_64 0
		.amdhsa_float_denorm_mode_32 3
		.amdhsa_float_denorm_mode_16_64 3
		.amdhsa_dx10_clamp 1
		.amdhsa_ieee_mode 1
		.amdhsa_fp16_overflow 0
		.amdhsa_tg_split 0
		.amdhsa_exception_fp_ieee_invalid_op 0
		.amdhsa_exception_fp_denorm_src 0
		.amdhsa_exception_fp_ieee_div_zero 0
		.amdhsa_exception_fp_ieee_overflow 0
		.amdhsa_exception_fp_ieee_underflow 0
		.amdhsa_exception_fp_ieee_inexact 0
		.amdhsa_exception_int_div_zero 0
	.end_amdhsa_kernel
	.section	.text._ZN7rocprim17ROCPRIM_400000_NS6detail17trampoline_kernelINS0_14default_configENS1_25partition_config_selectorILNS1_17partition_subalgoE0EsNS0_10empty_typeEbEEZZNS1_14partition_implILS5_0ELb0ES3_jN6thrust23THRUST_200600_302600_NS6detail15normal_iteratorINSA_10device_ptrIsEEEEPS6_SG_NS0_5tupleIJNSA_16discard_iteratorINSA_11use_defaultEEESF_EEENSH_IJSG_SG_EEES6_PlJ7is_evenIsEEEE10hipError_tPvRmT3_T4_T5_T6_T7_T9_mT8_P12ihipStream_tbDpT10_ENKUlT_T0_E_clISt17integral_constantIbLb0EES18_IbLb1EEEEDaS14_S15_EUlS14_E_NS1_11comp_targetILNS1_3genE0ELNS1_11target_archE4294967295ELNS1_3gpuE0ELNS1_3repE0EEENS1_30default_config_static_selectorELNS0_4arch9wavefront6targetE1EEEvT1_,"axG",@progbits,_ZN7rocprim17ROCPRIM_400000_NS6detail17trampoline_kernelINS0_14default_configENS1_25partition_config_selectorILNS1_17partition_subalgoE0EsNS0_10empty_typeEbEEZZNS1_14partition_implILS5_0ELb0ES3_jN6thrust23THRUST_200600_302600_NS6detail15normal_iteratorINSA_10device_ptrIsEEEEPS6_SG_NS0_5tupleIJNSA_16discard_iteratorINSA_11use_defaultEEESF_EEENSH_IJSG_SG_EEES6_PlJ7is_evenIsEEEE10hipError_tPvRmT3_T4_T5_T6_T7_T9_mT8_P12ihipStream_tbDpT10_ENKUlT_T0_E_clISt17integral_constantIbLb0EES18_IbLb1EEEEDaS14_S15_EUlS14_E_NS1_11comp_targetILNS1_3genE0ELNS1_11target_archE4294967295ELNS1_3gpuE0ELNS1_3repE0EEENS1_30default_config_static_selectorELNS0_4arch9wavefront6targetE1EEEvT1_,comdat
.Lfunc_end2867:
	.size	_ZN7rocprim17ROCPRIM_400000_NS6detail17trampoline_kernelINS0_14default_configENS1_25partition_config_selectorILNS1_17partition_subalgoE0EsNS0_10empty_typeEbEEZZNS1_14partition_implILS5_0ELb0ES3_jN6thrust23THRUST_200600_302600_NS6detail15normal_iteratorINSA_10device_ptrIsEEEEPS6_SG_NS0_5tupleIJNSA_16discard_iteratorINSA_11use_defaultEEESF_EEENSH_IJSG_SG_EEES6_PlJ7is_evenIsEEEE10hipError_tPvRmT3_T4_T5_T6_T7_T9_mT8_P12ihipStream_tbDpT10_ENKUlT_T0_E_clISt17integral_constantIbLb0EES18_IbLb1EEEEDaS14_S15_EUlS14_E_NS1_11comp_targetILNS1_3genE0ELNS1_11target_archE4294967295ELNS1_3gpuE0ELNS1_3repE0EEENS1_30default_config_static_selectorELNS0_4arch9wavefront6targetE1EEEvT1_, .Lfunc_end2867-_ZN7rocprim17ROCPRIM_400000_NS6detail17trampoline_kernelINS0_14default_configENS1_25partition_config_selectorILNS1_17partition_subalgoE0EsNS0_10empty_typeEbEEZZNS1_14partition_implILS5_0ELb0ES3_jN6thrust23THRUST_200600_302600_NS6detail15normal_iteratorINSA_10device_ptrIsEEEEPS6_SG_NS0_5tupleIJNSA_16discard_iteratorINSA_11use_defaultEEESF_EEENSH_IJSG_SG_EEES6_PlJ7is_evenIsEEEE10hipError_tPvRmT3_T4_T5_T6_T7_T9_mT8_P12ihipStream_tbDpT10_ENKUlT_T0_E_clISt17integral_constantIbLb0EES18_IbLb1EEEEDaS14_S15_EUlS14_E_NS1_11comp_targetILNS1_3genE0ELNS1_11target_archE4294967295ELNS1_3gpuE0ELNS1_3repE0EEENS1_30default_config_static_selectorELNS0_4arch9wavefront6targetE1EEEvT1_
                                        ; -- End function
	.section	.AMDGPU.csdata,"",@progbits
; Kernel info:
; codeLenInByte = 0
; NumSgprs: 4
; NumVgprs: 0
; NumAgprs: 0
; TotalNumVgprs: 0
; ScratchSize: 0
; MemoryBound: 0
; FloatMode: 240
; IeeeMode: 1
; LDSByteSize: 0 bytes/workgroup (compile time only)
; SGPRBlocks: 0
; VGPRBlocks: 0
; NumSGPRsForWavesPerEU: 4
; NumVGPRsForWavesPerEU: 1
; AccumOffset: 4
; Occupancy: 8
; WaveLimiterHint : 0
; COMPUTE_PGM_RSRC2:SCRATCH_EN: 0
; COMPUTE_PGM_RSRC2:USER_SGPR: 6
; COMPUTE_PGM_RSRC2:TRAP_HANDLER: 0
; COMPUTE_PGM_RSRC2:TGID_X_EN: 1
; COMPUTE_PGM_RSRC2:TGID_Y_EN: 0
; COMPUTE_PGM_RSRC2:TGID_Z_EN: 0
; COMPUTE_PGM_RSRC2:TIDIG_COMP_CNT: 0
; COMPUTE_PGM_RSRC3_GFX90A:ACCUM_OFFSET: 0
; COMPUTE_PGM_RSRC3_GFX90A:TG_SPLIT: 0
	.section	.text._ZN7rocprim17ROCPRIM_400000_NS6detail17trampoline_kernelINS0_14default_configENS1_25partition_config_selectorILNS1_17partition_subalgoE0EsNS0_10empty_typeEbEEZZNS1_14partition_implILS5_0ELb0ES3_jN6thrust23THRUST_200600_302600_NS6detail15normal_iteratorINSA_10device_ptrIsEEEEPS6_SG_NS0_5tupleIJNSA_16discard_iteratorINSA_11use_defaultEEESF_EEENSH_IJSG_SG_EEES6_PlJ7is_evenIsEEEE10hipError_tPvRmT3_T4_T5_T6_T7_T9_mT8_P12ihipStream_tbDpT10_ENKUlT_T0_E_clISt17integral_constantIbLb0EES18_IbLb1EEEEDaS14_S15_EUlS14_E_NS1_11comp_targetILNS1_3genE5ELNS1_11target_archE942ELNS1_3gpuE9ELNS1_3repE0EEENS1_30default_config_static_selectorELNS0_4arch9wavefront6targetE1EEEvT1_,"axG",@progbits,_ZN7rocprim17ROCPRIM_400000_NS6detail17trampoline_kernelINS0_14default_configENS1_25partition_config_selectorILNS1_17partition_subalgoE0EsNS0_10empty_typeEbEEZZNS1_14partition_implILS5_0ELb0ES3_jN6thrust23THRUST_200600_302600_NS6detail15normal_iteratorINSA_10device_ptrIsEEEEPS6_SG_NS0_5tupleIJNSA_16discard_iteratorINSA_11use_defaultEEESF_EEENSH_IJSG_SG_EEES6_PlJ7is_evenIsEEEE10hipError_tPvRmT3_T4_T5_T6_T7_T9_mT8_P12ihipStream_tbDpT10_ENKUlT_T0_E_clISt17integral_constantIbLb0EES18_IbLb1EEEEDaS14_S15_EUlS14_E_NS1_11comp_targetILNS1_3genE5ELNS1_11target_archE942ELNS1_3gpuE9ELNS1_3repE0EEENS1_30default_config_static_selectorELNS0_4arch9wavefront6targetE1EEEvT1_,comdat
	.protected	_ZN7rocprim17ROCPRIM_400000_NS6detail17trampoline_kernelINS0_14default_configENS1_25partition_config_selectorILNS1_17partition_subalgoE0EsNS0_10empty_typeEbEEZZNS1_14partition_implILS5_0ELb0ES3_jN6thrust23THRUST_200600_302600_NS6detail15normal_iteratorINSA_10device_ptrIsEEEEPS6_SG_NS0_5tupleIJNSA_16discard_iteratorINSA_11use_defaultEEESF_EEENSH_IJSG_SG_EEES6_PlJ7is_evenIsEEEE10hipError_tPvRmT3_T4_T5_T6_T7_T9_mT8_P12ihipStream_tbDpT10_ENKUlT_T0_E_clISt17integral_constantIbLb0EES18_IbLb1EEEEDaS14_S15_EUlS14_E_NS1_11comp_targetILNS1_3genE5ELNS1_11target_archE942ELNS1_3gpuE9ELNS1_3repE0EEENS1_30default_config_static_selectorELNS0_4arch9wavefront6targetE1EEEvT1_ ; -- Begin function _ZN7rocprim17ROCPRIM_400000_NS6detail17trampoline_kernelINS0_14default_configENS1_25partition_config_selectorILNS1_17partition_subalgoE0EsNS0_10empty_typeEbEEZZNS1_14partition_implILS5_0ELb0ES3_jN6thrust23THRUST_200600_302600_NS6detail15normal_iteratorINSA_10device_ptrIsEEEEPS6_SG_NS0_5tupleIJNSA_16discard_iteratorINSA_11use_defaultEEESF_EEENSH_IJSG_SG_EEES6_PlJ7is_evenIsEEEE10hipError_tPvRmT3_T4_T5_T6_T7_T9_mT8_P12ihipStream_tbDpT10_ENKUlT_T0_E_clISt17integral_constantIbLb0EES18_IbLb1EEEEDaS14_S15_EUlS14_E_NS1_11comp_targetILNS1_3genE5ELNS1_11target_archE942ELNS1_3gpuE9ELNS1_3repE0EEENS1_30default_config_static_selectorELNS0_4arch9wavefront6targetE1EEEvT1_
	.globl	_ZN7rocprim17ROCPRIM_400000_NS6detail17trampoline_kernelINS0_14default_configENS1_25partition_config_selectorILNS1_17partition_subalgoE0EsNS0_10empty_typeEbEEZZNS1_14partition_implILS5_0ELb0ES3_jN6thrust23THRUST_200600_302600_NS6detail15normal_iteratorINSA_10device_ptrIsEEEEPS6_SG_NS0_5tupleIJNSA_16discard_iteratorINSA_11use_defaultEEESF_EEENSH_IJSG_SG_EEES6_PlJ7is_evenIsEEEE10hipError_tPvRmT3_T4_T5_T6_T7_T9_mT8_P12ihipStream_tbDpT10_ENKUlT_T0_E_clISt17integral_constantIbLb0EES18_IbLb1EEEEDaS14_S15_EUlS14_E_NS1_11comp_targetILNS1_3genE5ELNS1_11target_archE942ELNS1_3gpuE9ELNS1_3repE0EEENS1_30default_config_static_selectorELNS0_4arch9wavefront6targetE1EEEvT1_
	.p2align	8
	.type	_ZN7rocprim17ROCPRIM_400000_NS6detail17trampoline_kernelINS0_14default_configENS1_25partition_config_selectorILNS1_17partition_subalgoE0EsNS0_10empty_typeEbEEZZNS1_14partition_implILS5_0ELb0ES3_jN6thrust23THRUST_200600_302600_NS6detail15normal_iteratorINSA_10device_ptrIsEEEEPS6_SG_NS0_5tupleIJNSA_16discard_iteratorINSA_11use_defaultEEESF_EEENSH_IJSG_SG_EEES6_PlJ7is_evenIsEEEE10hipError_tPvRmT3_T4_T5_T6_T7_T9_mT8_P12ihipStream_tbDpT10_ENKUlT_T0_E_clISt17integral_constantIbLb0EES18_IbLb1EEEEDaS14_S15_EUlS14_E_NS1_11comp_targetILNS1_3genE5ELNS1_11target_archE942ELNS1_3gpuE9ELNS1_3repE0EEENS1_30default_config_static_selectorELNS0_4arch9wavefront6targetE1EEEvT1_,@function
_ZN7rocprim17ROCPRIM_400000_NS6detail17trampoline_kernelINS0_14default_configENS1_25partition_config_selectorILNS1_17partition_subalgoE0EsNS0_10empty_typeEbEEZZNS1_14partition_implILS5_0ELb0ES3_jN6thrust23THRUST_200600_302600_NS6detail15normal_iteratorINSA_10device_ptrIsEEEEPS6_SG_NS0_5tupleIJNSA_16discard_iteratorINSA_11use_defaultEEESF_EEENSH_IJSG_SG_EEES6_PlJ7is_evenIsEEEE10hipError_tPvRmT3_T4_T5_T6_T7_T9_mT8_P12ihipStream_tbDpT10_ENKUlT_T0_E_clISt17integral_constantIbLb0EES18_IbLb1EEEEDaS14_S15_EUlS14_E_NS1_11comp_targetILNS1_3genE5ELNS1_11target_archE942ELNS1_3gpuE9ELNS1_3repE0EEENS1_30default_config_static_selectorELNS0_4arch9wavefront6targetE1EEEvT1_: ; @_ZN7rocprim17ROCPRIM_400000_NS6detail17trampoline_kernelINS0_14default_configENS1_25partition_config_selectorILNS1_17partition_subalgoE0EsNS0_10empty_typeEbEEZZNS1_14partition_implILS5_0ELb0ES3_jN6thrust23THRUST_200600_302600_NS6detail15normal_iteratorINSA_10device_ptrIsEEEEPS6_SG_NS0_5tupleIJNSA_16discard_iteratorINSA_11use_defaultEEESF_EEENSH_IJSG_SG_EEES6_PlJ7is_evenIsEEEE10hipError_tPvRmT3_T4_T5_T6_T7_T9_mT8_P12ihipStream_tbDpT10_ENKUlT_T0_E_clISt17integral_constantIbLb0EES18_IbLb1EEEEDaS14_S15_EUlS14_E_NS1_11comp_targetILNS1_3genE5ELNS1_11target_archE942ELNS1_3gpuE9ELNS1_3repE0EEENS1_30default_config_static_selectorELNS0_4arch9wavefront6targetE1EEEvT1_
; %bb.0:
	.section	.rodata,"a",@progbits
	.p2align	6, 0x0
	.amdhsa_kernel _ZN7rocprim17ROCPRIM_400000_NS6detail17trampoline_kernelINS0_14default_configENS1_25partition_config_selectorILNS1_17partition_subalgoE0EsNS0_10empty_typeEbEEZZNS1_14partition_implILS5_0ELb0ES3_jN6thrust23THRUST_200600_302600_NS6detail15normal_iteratorINSA_10device_ptrIsEEEEPS6_SG_NS0_5tupleIJNSA_16discard_iteratorINSA_11use_defaultEEESF_EEENSH_IJSG_SG_EEES6_PlJ7is_evenIsEEEE10hipError_tPvRmT3_T4_T5_T6_T7_T9_mT8_P12ihipStream_tbDpT10_ENKUlT_T0_E_clISt17integral_constantIbLb0EES18_IbLb1EEEEDaS14_S15_EUlS14_E_NS1_11comp_targetILNS1_3genE5ELNS1_11target_archE942ELNS1_3gpuE9ELNS1_3repE0EEENS1_30default_config_static_selectorELNS0_4arch9wavefront6targetE1EEEvT1_
		.amdhsa_group_segment_fixed_size 0
		.amdhsa_private_segment_fixed_size 0
		.amdhsa_kernarg_size 144
		.amdhsa_user_sgpr_count 6
		.amdhsa_user_sgpr_private_segment_buffer 1
		.amdhsa_user_sgpr_dispatch_ptr 0
		.amdhsa_user_sgpr_queue_ptr 0
		.amdhsa_user_sgpr_kernarg_segment_ptr 1
		.amdhsa_user_sgpr_dispatch_id 0
		.amdhsa_user_sgpr_flat_scratch_init 0
		.amdhsa_user_sgpr_kernarg_preload_length 0
		.amdhsa_user_sgpr_kernarg_preload_offset 0
		.amdhsa_user_sgpr_private_segment_size 0
		.amdhsa_uses_dynamic_stack 0
		.amdhsa_system_sgpr_private_segment_wavefront_offset 0
		.amdhsa_system_sgpr_workgroup_id_x 1
		.amdhsa_system_sgpr_workgroup_id_y 0
		.amdhsa_system_sgpr_workgroup_id_z 0
		.amdhsa_system_sgpr_workgroup_info 0
		.amdhsa_system_vgpr_workitem_id 0
		.amdhsa_next_free_vgpr 1
		.amdhsa_next_free_sgpr 0
		.amdhsa_accum_offset 4
		.amdhsa_reserve_vcc 0
		.amdhsa_reserve_flat_scratch 0
		.amdhsa_float_round_mode_32 0
		.amdhsa_float_round_mode_16_64 0
		.amdhsa_float_denorm_mode_32 3
		.amdhsa_float_denorm_mode_16_64 3
		.amdhsa_dx10_clamp 1
		.amdhsa_ieee_mode 1
		.amdhsa_fp16_overflow 0
		.amdhsa_tg_split 0
		.amdhsa_exception_fp_ieee_invalid_op 0
		.amdhsa_exception_fp_denorm_src 0
		.amdhsa_exception_fp_ieee_div_zero 0
		.amdhsa_exception_fp_ieee_overflow 0
		.amdhsa_exception_fp_ieee_underflow 0
		.amdhsa_exception_fp_ieee_inexact 0
		.amdhsa_exception_int_div_zero 0
	.end_amdhsa_kernel
	.section	.text._ZN7rocprim17ROCPRIM_400000_NS6detail17trampoline_kernelINS0_14default_configENS1_25partition_config_selectorILNS1_17partition_subalgoE0EsNS0_10empty_typeEbEEZZNS1_14partition_implILS5_0ELb0ES3_jN6thrust23THRUST_200600_302600_NS6detail15normal_iteratorINSA_10device_ptrIsEEEEPS6_SG_NS0_5tupleIJNSA_16discard_iteratorINSA_11use_defaultEEESF_EEENSH_IJSG_SG_EEES6_PlJ7is_evenIsEEEE10hipError_tPvRmT3_T4_T5_T6_T7_T9_mT8_P12ihipStream_tbDpT10_ENKUlT_T0_E_clISt17integral_constantIbLb0EES18_IbLb1EEEEDaS14_S15_EUlS14_E_NS1_11comp_targetILNS1_3genE5ELNS1_11target_archE942ELNS1_3gpuE9ELNS1_3repE0EEENS1_30default_config_static_selectorELNS0_4arch9wavefront6targetE1EEEvT1_,"axG",@progbits,_ZN7rocprim17ROCPRIM_400000_NS6detail17trampoline_kernelINS0_14default_configENS1_25partition_config_selectorILNS1_17partition_subalgoE0EsNS0_10empty_typeEbEEZZNS1_14partition_implILS5_0ELb0ES3_jN6thrust23THRUST_200600_302600_NS6detail15normal_iteratorINSA_10device_ptrIsEEEEPS6_SG_NS0_5tupleIJNSA_16discard_iteratorINSA_11use_defaultEEESF_EEENSH_IJSG_SG_EEES6_PlJ7is_evenIsEEEE10hipError_tPvRmT3_T4_T5_T6_T7_T9_mT8_P12ihipStream_tbDpT10_ENKUlT_T0_E_clISt17integral_constantIbLb0EES18_IbLb1EEEEDaS14_S15_EUlS14_E_NS1_11comp_targetILNS1_3genE5ELNS1_11target_archE942ELNS1_3gpuE9ELNS1_3repE0EEENS1_30default_config_static_selectorELNS0_4arch9wavefront6targetE1EEEvT1_,comdat
.Lfunc_end2868:
	.size	_ZN7rocprim17ROCPRIM_400000_NS6detail17trampoline_kernelINS0_14default_configENS1_25partition_config_selectorILNS1_17partition_subalgoE0EsNS0_10empty_typeEbEEZZNS1_14partition_implILS5_0ELb0ES3_jN6thrust23THRUST_200600_302600_NS6detail15normal_iteratorINSA_10device_ptrIsEEEEPS6_SG_NS0_5tupleIJNSA_16discard_iteratorINSA_11use_defaultEEESF_EEENSH_IJSG_SG_EEES6_PlJ7is_evenIsEEEE10hipError_tPvRmT3_T4_T5_T6_T7_T9_mT8_P12ihipStream_tbDpT10_ENKUlT_T0_E_clISt17integral_constantIbLb0EES18_IbLb1EEEEDaS14_S15_EUlS14_E_NS1_11comp_targetILNS1_3genE5ELNS1_11target_archE942ELNS1_3gpuE9ELNS1_3repE0EEENS1_30default_config_static_selectorELNS0_4arch9wavefront6targetE1EEEvT1_, .Lfunc_end2868-_ZN7rocprim17ROCPRIM_400000_NS6detail17trampoline_kernelINS0_14default_configENS1_25partition_config_selectorILNS1_17partition_subalgoE0EsNS0_10empty_typeEbEEZZNS1_14partition_implILS5_0ELb0ES3_jN6thrust23THRUST_200600_302600_NS6detail15normal_iteratorINSA_10device_ptrIsEEEEPS6_SG_NS0_5tupleIJNSA_16discard_iteratorINSA_11use_defaultEEESF_EEENSH_IJSG_SG_EEES6_PlJ7is_evenIsEEEE10hipError_tPvRmT3_T4_T5_T6_T7_T9_mT8_P12ihipStream_tbDpT10_ENKUlT_T0_E_clISt17integral_constantIbLb0EES18_IbLb1EEEEDaS14_S15_EUlS14_E_NS1_11comp_targetILNS1_3genE5ELNS1_11target_archE942ELNS1_3gpuE9ELNS1_3repE0EEENS1_30default_config_static_selectorELNS0_4arch9wavefront6targetE1EEEvT1_
                                        ; -- End function
	.section	.AMDGPU.csdata,"",@progbits
; Kernel info:
; codeLenInByte = 0
; NumSgprs: 4
; NumVgprs: 0
; NumAgprs: 0
; TotalNumVgprs: 0
; ScratchSize: 0
; MemoryBound: 0
; FloatMode: 240
; IeeeMode: 1
; LDSByteSize: 0 bytes/workgroup (compile time only)
; SGPRBlocks: 0
; VGPRBlocks: 0
; NumSGPRsForWavesPerEU: 4
; NumVGPRsForWavesPerEU: 1
; AccumOffset: 4
; Occupancy: 8
; WaveLimiterHint : 0
; COMPUTE_PGM_RSRC2:SCRATCH_EN: 0
; COMPUTE_PGM_RSRC2:USER_SGPR: 6
; COMPUTE_PGM_RSRC2:TRAP_HANDLER: 0
; COMPUTE_PGM_RSRC2:TGID_X_EN: 1
; COMPUTE_PGM_RSRC2:TGID_Y_EN: 0
; COMPUTE_PGM_RSRC2:TGID_Z_EN: 0
; COMPUTE_PGM_RSRC2:TIDIG_COMP_CNT: 0
; COMPUTE_PGM_RSRC3_GFX90A:ACCUM_OFFSET: 0
; COMPUTE_PGM_RSRC3_GFX90A:TG_SPLIT: 0
	.section	.text._ZN7rocprim17ROCPRIM_400000_NS6detail17trampoline_kernelINS0_14default_configENS1_25partition_config_selectorILNS1_17partition_subalgoE0EsNS0_10empty_typeEbEEZZNS1_14partition_implILS5_0ELb0ES3_jN6thrust23THRUST_200600_302600_NS6detail15normal_iteratorINSA_10device_ptrIsEEEEPS6_SG_NS0_5tupleIJNSA_16discard_iteratorINSA_11use_defaultEEESF_EEENSH_IJSG_SG_EEES6_PlJ7is_evenIsEEEE10hipError_tPvRmT3_T4_T5_T6_T7_T9_mT8_P12ihipStream_tbDpT10_ENKUlT_T0_E_clISt17integral_constantIbLb0EES18_IbLb1EEEEDaS14_S15_EUlS14_E_NS1_11comp_targetILNS1_3genE4ELNS1_11target_archE910ELNS1_3gpuE8ELNS1_3repE0EEENS1_30default_config_static_selectorELNS0_4arch9wavefront6targetE1EEEvT1_,"axG",@progbits,_ZN7rocprim17ROCPRIM_400000_NS6detail17trampoline_kernelINS0_14default_configENS1_25partition_config_selectorILNS1_17partition_subalgoE0EsNS0_10empty_typeEbEEZZNS1_14partition_implILS5_0ELb0ES3_jN6thrust23THRUST_200600_302600_NS6detail15normal_iteratorINSA_10device_ptrIsEEEEPS6_SG_NS0_5tupleIJNSA_16discard_iteratorINSA_11use_defaultEEESF_EEENSH_IJSG_SG_EEES6_PlJ7is_evenIsEEEE10hipError_tPvRmT3_T4_T5_T6_T7_T9_mT8_P12ihipStream_tbDpT10_ENKUlT_T0_E_clISt17integral_constantIbLb0EES18_IbLb1EEEEDaS14_S15_EUlS14_E_NS1_11comp_targetILNS1_3genE4ELNS1_11target_archE910ELNS1_3gpuE8ELNS1_3repE0EEENS1_30default_config_static_selectorELNS0_4arch9wavefront6targetE1EEEvT1_,comdat
	.protected	_ZN7rocprim17ROCPRIM_400000_NS6detail17trampoline_kernelINS0_14default_configENS1_25partition_config_selectorILNS1_17partition_subalgoE0EsNS0_10empty_typeEbEEZZNS1_14partition_implILS5_0ELb0ES3_jN6thrust23THRUST_200600_302600_NS6detail15normal_iteratorINSA_10device_ptrIsEEEEPS6_SG_NS0_5tupleIJNSA_16discard_iteratorINSA_11use_defaultEEESF_EEENSH_IJSG_SG_EEES6_PlJ7is_evenIsEEEE10hipError_tPvRmT3_T4_T5_T6_T7_T9_mT8_P12ihipStream_tbDpT10_ENKUlT_T0_E_clISt17integral_constantIbLb0EES18_IbLb1EEEEDaS14_S15_EUlS14_E_NS1_11comp_targetILNS1_3genE4ELNS1_11target_archE910ELNS1_3gpuE8ELNS1_3repE0EEENS1_30default_config_static_selectorELNS0_4arch9wavefront6targetE1EEEvT1_ ; -- Begin function _ZN7rocprim17ROCPRIM_400000_NS6detail17trampoline_kernelINS0_14default_configENS1_25partition_config_selectorILNS1_17partition_subalgoE0EsNS0_10empty_typeEbEEZZNS1_14partition_implILS5_0ELb0ES3_jN6thrust23THRUST_200600_302600_NS6detail15normal_iteratorINSA_10device_ptrIsEEEEPS6_SG_NS0_5tupleIJNSA_16discard_iteratorINSA_11use_defaultEEESF_EEENSH_IJSG_SG_EEES6_PlJ7is_evenIsEEEE10hipError_tPvRmT3_T4_T5_T6_T7_T9_mT8_P12ihipStream_tbDpT10_ENKUlT_T0_E_clISt17integral_constantIbLb0EES18_IbLb1EEEEDaS14_S15_EUlS14_E_NS1_11comp_targetILNS1_3genE4ELNS1_11target_archE910ELNS1_3gpuE8ELNS1_3repE0EEENS1_30default_config_static_selectorELNS0_4arch9wavefront6targetE1EEEvT1_
	.globl	_ZN7rocprim17ROCPRIM_400000_NS6detail17trampoline_kernelINS0_14default_configENS1_25partition_config_selectorILNS1_17partition_subalgoE0EsNS0_10empty_typeEbEEZZNS1_14partition_implILS5_0ELb0ES3_jN6thrust23THRUST_200600_302600_NS6detail15normal_iteratorINSA_10device_ptrIsEEEEPS6_SG_NS0_5tupleIJNSA_16discard_iteratorINSA_11use_defaultEEESF_EEENSH_IJSG_SG_EEES6_PlJ7is_evenIsEEEE10hipError_tPvRmT3_T4_T5_T6_T7_T9_mT8_P12ihipStream_tbDpT10_ENKUlT_T0_E_clISt17integral_constantIbLb0EES18_IbLb1EEEEDaS14_S15_EUlS14_E_NS1_11comp_targetILNS1_3genE4ELNS1_11target_archE910ELNS1_3gpuE8ELNS1_3repE0EEENS1_30default_config_static_selectorELNS0_4arch9wavefront6targetE1EEEvT1_
	.p2align	8
	.type	_ZN7rocprim17ROCPRIM_400000_NS6detail17trampoline_kernelINS0_14default_configENS1_25partition_config_selectorILNS1_17partition_subalgoE0EsNS0_10empty_typeEbEEZZNS1_14partition_implILS5_0ELb0ES3_jN6thrust23THRUST_200600_302600_NS6detail15normal_iteratorINSA_10device_ptrIsEEEEPS6_SG_NS0_5tupleIJNSA_16discard_iteratorINSA_11use_defaultEEESF_EEENSH_IJSG_SG_EEES6_PlJ7is_evenIsEEEE10hipError_tPvRmT3_T4_T5_T6_T7_T9_mT8_P12ihipStream_tbDpT10_ENKUlT_T0_E_clISt17integral_constantIbLb0EES18_IbLb1EEEEDaS14_S15_EUlS14_E_NS1_11comp_targetILNS1_3genE4ELNS1_11target_archE910ELNS1_3gpuE8ELNS1_3repE0EEENS1_30default_config_static_selectorELNS0_4arch9wavefront6targetE1EEEvT1_,@function
_ZN7rocprim17ROCPRIM_400000_NS6detail17trampoline_kernelINS0_14default_configENS1_25partition_config_selectorILNS1_17partition_subalgoE0EsNS0_10empty_typeEbEEZZNS1_14partition_implILS5_0ELb0ES3_jN6thrust23THRUST_200600_302600_NS6detail15normal_iteratorINSA_10device_ptrIsEEEEPS6_SG_NS0_5tupleIJNSA_16discard_iteratorINSA_11use_defaultEEESF_EEENSH_IJSG_SG_EEES6_PlJ7is_evenIsEEEE10hipError_tPvRmT3_T4_T5_T6_T7_T9_mT8_P12ihipStream_tbDpT10_ENKUlT_T0_E_clISt17integral_constantIbLb0EES18_IbLb1EEEEDaS14_S15_EUlS14_E_NS1_11comp_targetILNS1_3genE4ELNS1_11target_archE910ELNS1_3gpuE8ELNS1_3repE0EEENS1_30default_config_static_selectorELNS0_4arch9wavefront6targetE1EEEvT1_: ; @_ZN7rocprim17ROCPRIM_400000_NS6detail17trampoline_kernelINS0_14default_configENS1_25partition_config_selectorILNS1_17partition_subalgoE0EsNS0_10empty_typeEbEEZZNS1_14partition_implILS5_0ELb0ES3_jN6thrust23THRUST_200600_302600_NS6detail15normal_iteratorINSA_10device_ptrIsEEEEPS6_SG_NS0_5tupleIJNSA_16discard_iteratorINSA_11use_defaultEEESF_EEENSH_IJSG_SG_EEES6_PlJ7is_evenIsEEEE10hipError_tPvRmT3_T4_T5_T6_T7_T9_mT8_P12ihipStream_tbDpT10_ENKUlT_T0_E_clISt17integral_constantIbLb0EES18_IbLb1EEEEDaS14_S15_EUlS14_E_NS1_11comp_targetILNS1_3genE4ELNS1_11target_archE910ELNS1_3gpuE8ELNS1_3repE0EEENS1_30default_config_static_selectorELNS0_4arch9wavefront6targetE1EEEvT1_
; %bb.0:
	s_load_dwordx2 s[28:29], s[4:5], 0x38
	s_load_dwordx4 s[20:23], s[4:5], 0x50
	s_load_dwordx2 s[2:3], s[4:5], 0x60
	s_load_dwordx2 s[30:31], s[4:5], 0x70
	v_cmp_eq_u32_e64 s[0:1], 0, v0
	s_and_saveexec_b64 s[6:7], s[0:1]
	s_cbranch_execz .LBB2869_4
; %bb.1:
	s_mov_b64 s[10:11], exec
	v_mbcnt_lo_u32_b32 v1, s10, 0
	v_mbcnt_hi_u32_b32 v1, s11, v1
	v_cmp_eq_u32_e32 vcc, 0, v1
                                        ; implicit-def: $vgpr2
	s_and_saveexec_b64 s[8:9], vcc
	s_cbranch_execz .LBB2869_3
; %bb.2:
	s_load_dwordx2 s[12:13], s[4:5], 0x80
	s_bcnt1_i32_b64 s10, s[10:11]
	v_mov_b32_e32 v2, 0
	v_mov_b32_e32 v3, s10
	s_waitcnt lgkmcnt(0)
	global_atomic_add v2, v2, v3, s[12:13] glc
.LBB2869_3:
	s_or_b64 exec, exec, s[8:9]
	s_waitcnt vmcnt(0)
	v_readfirstlane_b32 s8, v2
	v_add_u32_e32 v1, s8, v1
	v_mov_b32_e32 v2, 0
	ds_write_b32 v2, v1
.LBB2869_4:
	s_or_b64 exec, exec, s[6:7]
	v_mov_b32_e32 v3, 0
	s_load_dwordx4 s[24:27], s[4:5], 0x8
	s_load_dword s6, s[4:5], 0x78
	s_waitcnt lgkmcnt(0)
	s_barrier
	ds_read_b32 v1, v3
	s_waitcnt lgkmcnt(0)
	s_barrier
	global_load_dwordx2 v[14:15], v3, s[22:23]
	v_mov_b32_e32 v5, s3
	s_lshl_b64 s[4:5], s[26:27], 1
	s_movk_i32 s3, 0x1c00
	s_add_u32 s7, s24, s4
	v_mul_lo_u32 v2, v1, s3
	s_mul_i32 s3, s6, 0x1c00
	s_addc_u32 s8, s25, s5
	s_add_i32 s5, s3, s26
	s_sub_i32 s33, s2, s5
	s_add_i32 s4, s6, -1
	s_addk_i32 s33, 0x1c00
	v_mov_b32_e32 v4, s2
	s_add_u32 s2, s26, s3
	v_readfirstlane_b32 s38, v1
	s_addc_u32 s3, s27, 0
	s_cmp_eq_u32 s38, s4
	s_cselect_b64 s[22:23], -1, 0
	s_cmp_lg_u32 s38, s4
	v_cmp_lt_u64_e32 vcc, s[2:3], v[4:5]
	s_cselect_b64 s[2:3], -1, 0
	v_lshlrev_b64 v[16:17], 1, v[2:3]
	s_or_b64 s[4:5], vcc, s[2:3]
	v_mov_b32_e32 v2, s8
	v_add_co_u32_e32 v1, vcc, s7, v16
	v_addc_co_u32_e32 v2, vcc, v2, v17, vcc
	s_mov_b64 s[2:3], -1
	s_and_b64 vcc, exec, s[4:5]
	v_lshlrev_b32_e32 v30, 1, v0
	s_cbranch_vccz .LBB2869_6
; %bb.5:
	v_add_co_u32_e32 v4, vcc, v1, v30
	v_addc_co_u32_e32 v5, vcc, 0, v2, vcc
	v_add_co_u32_e32 v6, vcc, 0x1000, v4
	v_addc_co_u32_e32 v7, vcc, 0, v5, vcc
	flat_load_ushort v3, v[4:5]
	flat_load_ushort v8, v[4:5] offset:512
	flat_load_ushort v9, v[4:5] offset:1024
	;; [unrolled: 1-line block ×7, first 2 shown]
	flat_load_ushort v19, v[6:7]
	flat_load_ushort v20, v[6:7] offset:512
	flat_load_ushort v21, v[6:7] offset:1024
	;; [unrolled: 1-line block ×7, first 2 shown]
	v_add_co_u32_e32 v6, vcc, 0x2000, v4
	v_addc_co_u32_e32 v7, vcc, 0, v5, vcc
	v_add_co_u32_e32 v4, vcc, 0x3000, v4
	v_addc_co_u32_e32 v5, vcc, 0, v5, vcc
	flat_load_ushort v27, v[6:7]
	flat_load_ushort v28, v[6:7] offset:512
	flat_load_ushort v29, v[6:7] offset:1024
	;; [unrolled: 1-line block ×7, first 2 shown]
	s_nop 0
	flat_load_ushort v6, v[4:5]
	flat_load_ushort v7, v[4:5] offset:512
	flat_load_ushort v36, v[4:5] offset:1024
	;; [unrolled: 1-line block ×3, first 2 shown]
	s_mov_b64 s[2:3], 0
	s_waitcnt vmcnt(0) lgkmcnt(0)
	ds_write_b16 v30, v3
	ds_write_b16 v30, v8 offset:512
	ds_write_b16 v30, v9 offset:1024
	;; [unrolled: 1-line block ×27, first 2 shown]
	s_waitcnt lgkmcnt(0)
	s_barrier
.LBB2869_6:
	s_andn2_b64 vcc, exec, s[2:3]
	v_cmp_gt_u32_e64 s[2:3], s33, v0
	s_cbranch_vccnz .LBB2869_64
; %bb.7:
                                        ; implicit-def: $vgpr3
	s_and_saveexec_b64 s[6:7], s[2:3]
	s_cbranch_execz .LBB2869_9
; %bb.8:
	v_add_co_u32_e32 v4, vcc, v1, v30
	v_addc_co_u32_e32 v5, vcc, 0, v2, vcc
	flat_load_ushort v3, v[4:5]
.LBB2869_9:
	s_or_b64 exec, exec, s[6:7]
	v_or_b32_e32 v4, 0x100, v0
	v_cmp_gt_u32_e32 vcc, s33, v4
                                        ; implicit-def: $vgpr4
	s_and_saveexec_b64 s[2:3], vcc
	s_cbranch_execz .LBB2869_11
; %bb.10:
	v_add_co_u32_e32 v4, vcc, v1, v30
	v_addc_co_u32_e32 v5, vcc, 0, v2, vcc
	flat_load_ushort v4, v[4:5] offset:512
.LBB2869_11:
	s_or_b64 exec, exec, s[2:3]
	v_or_b32_e32 v5, 0x200, v0
	v_cmp_gt_u32_e32 vcc, s33, v5
                                        ; implicit-def: $vgpr5
	s_and_saveexec_b64 s[2:3], vcc
	s_cbranch_execz .LBB2869_13
; %bb.12:
	v_add_co_u32_e32 v6, vcc, v1, v30
	v_addc_co_u32_e32 v7, vcc, 0, v2, vcc
	flat_load_ushort v5, v[6:7] offset:1024
.LBB2869_13:
	s_or_b64 exec, exec, s[2:3]
	v_or_b32_e32 v6, 0x300, v0
	v_cmp_gt_u32_e32 vcc, s33, v6
                                        ; implicit-def: $vgpr6
	s_and_saveexec_b64 s[2:3], vcc
	s_cbranch_execz .LBB2869_15
; %bb.14:
	v_add_co_u32_e32 v6, vcc, v1, v30
	v_addc_co_u32_e32 v7, vcc, 0, v2, vcc
	flat_load_ushort v6, v[6:7] offset:1536
.LBB2869_15:
	s_or_b64 exec, exec, s[2:3]
	v_or_b32_e32 v7, 0x400, v0
	v_cmp_gt_u32_e32 vcc, s33, v7
                                        ; implicit-def: $vgpr7
	s_and_saveexec_b64 s[2:3], vcc
	s_cbranch_execz .LBB2869_17
; %bb.16:
	v_add_co_u32_e32 v8, vcc, v1, v30
	v_addc_co_u32_e32 v9, vcc, 0, v2, vcc
	flat_load_ushort v7, v[8:9] offset:2048
.LBB2869_17:
	s_or_b64 exec, exec, s[2:3]
	v_or_b32_e32 v8, 0x500, v0
	v_cmp_gt_u32_e32 vcc, s33, v8
                                        ; implicit-def: $vgpr8
	s_and_saveexec_b64 s[2:3], vcc
	s_cbranch_execz .LBB2869_19
; %bb.18:
	v_add_co_u32_e32 v8, vcc, v1, v30
	v_addc_co_u32_e32 v9, vcc, 0, v2, vcc
	flat_load_ushort v8, v[8:9] offset:2560
.LBB2869_19:
	s_or_b64 exec, exec, s[2:3]
	v_or_b32_e32 v9, 0x600, v0
	v_cmp_gt_u32_e32 vcc, s33, v9
                                        ; implicit-def: $vgpr9
	s_and_saveexec_b64 s[2:3], vcc
	s_cbranch_execz .LBB2869_21
; %bb.20:
	v_add_co_u32_e32 v10, vcc, v1, v30
	v_addc_co_u32_e32 v11, vcc, 0, v2, vcc
	flat_load_ushort v9, v[10:11] offset:3072
.LBB2869_21:
	s_or_b64 exec, exec, s[2:3]
	v_or_b32_e32 v10, 0x700, v0
	v_cmp_gt_u32_e32 vcc, s33, v10
                                        ; implicit-def: $vgpr10
	s_and_saveexec_b64 s[2:3], vcc
	s_cbranch_execz .LBB2869_23
; %bb.22:
	v_add_co_u32_e32 v10, vcc, v1, v30
	v_addc_co_u32_e32 v11, vcc, 0, v2, vcc
	flat_load_ushort v10, v[10:11] offset:3584
.LBB2869_23:
	s_or_b64 exec, exec, s[2:3]
	v_or_b32_e32 v12, 0x800, v0
	v_cmp_gt_u32_e32 vcc, s33, v12
                                        ; implicit-def: $vgpr11
	s_and_saveexec_b64 s[2:3], vcc
	s_cbranch_execz .LBB2869_25
; %bb.24:
	v_lshlrev_b32_e32 v11, 1, v12
	v_add_co_u32_e32 v12, vcc, v1, v11
	v_addc_co_u32_e32 v13, vcc, 0, v2, vcc
	flat_load_ushort v11, v[12:13]
.LBB2869_25:
	s_or_b64 exec, exec, s[2:3]
	v_or_b32_e32 v13, 0x900, v0
	v_cmp_gt_u32_e32 vcc, s33, v13
                                        ; implicit-def: $vgpr12
	s_and_saveexec_b64 s[2:3], vcc
	s_cbranch_execz .LBB2869_27
; %bb.26:
	v_lshlrev_b32_e32 v12, 1, v13
	v_add_co_u32_e32 v12, vcc, v1, v12
	v_addc_co_u32_e32 v13, vcc, 0, v2, vcc
	flat_load_ushort v12, v[12:13]
.LBB2869_27:
	s_or_b64 exec, exec, s[2:3]
	v_or_b32_e32 v18, 0xa00, v0
	v_cmp_gt_u32_e32 vcc, s33, v18
                                        ; implicit-def: $vgpr13
	s_and_saveexec_b64 s[2:3], vcc
	s_cbranch_execz .LBB2869_29
; %bb.28:
	v_lshlrev_b32_e32 v13, 1, v18
	v_add_co_u32_e32 v18, vcc, v1, v13
	v_addc_co_u32_e32 v19, vcc, 0, v2, vcc
	flat_load_ushort v13, v[18:19]
.LBB2869_29:
	s_or_b64 exec, exec, s[2:3]
	v_or_b32_e32 v19, 0xb00, v0
	v_cmp_gt_u32_e32 vcc, s33, v19
                                        ; implicit-def: $vgpr18
	s_and_saveexec_b64 s[2:3], vcc
	s_cbranch_execz .LBB2869_31
; %bb.30:
	v_lshlrev_b32_e32 v18, 1, v19
	v_add_co_u32_e32 v18, vcc, v1, v18
	v_addc_co_u32_e32 v19, vcc, 0, v2, vcc
	flat_load_ushort v18, v[18:19]
.LBB2869_31:
	s_or_b64 exec, exec, s[2:3]
	v_or_b32_e32 v20, 0xc00, v0
	v_cmp_gt_u32_e32 vcc, s33, v20
                                        ; implicit-def: $vgpr19
	s_and_saveexec_b64 s[2:3], vcc
	s_cbranch_execz .LBB2869_33
; %bb.32:
	v_lshlrev_b32_e32 v19, 1, v20
	v_add_co_u32_e32 v20, vcc, v1, v19
	v_addc_co_u32_e32 v21, vcc, 0, v2, vcc
	flat_load_ushort v19, v[20:21]
.LBB2869_33:
	s_or_b64 exec, exec, s[2:3]
	v_or_b32_e32 v21, 0xd00, v0
	v_cmp_gt_u32_e32 vcc, s33, v21
                                        ; implicit-def: $vgpr20
	s_and_saveexec_b64 s[2:3], vcc
	s_cbranch_execz .LBB2869_35
; %bb.34:
	v_lshlrev_b32_e32 v20, 1, v21
	v_add_co_u32_e32 v20, vcc, v1, v20
	v_addc_co_u32_e32 v21, vcc, 0, v2, vcc
	flat_load_ushort v20, v[20:21]
.LBB2869_35:
	s_or_b64 exec, exec, s[2:3]
	v_or_b32_e32 v22, 0xe00, v0
	v_cmp_gt_u32_e32 vcc, s33, v22
                                        ; implicit-def: $vgpr21
	s_and_saveexec_b64 s[2:3], vcc
	s_cbranch_execz .LBB2869_37
; %bb.36:
	v_lshlrev_b32_e32 v21, 1, v22
	v_add_co_u32_e32 v22, vcc, v1, v21
	v_addc_co_u32_e32 v23, vcc, 0, v2, vcc
	flat_load_ushort v21, v[22:23]
.LBB2869_37:
	s_or_b64 exec, exec, s[2:3]
	v_or_b32_e32 v23, 0xf00, v0
	v_cmp_gt_u32_e32 vcc, s33, v23
                                        ; implicit-def: $vgpr22
	s_and_saveexec_b64 s[2:3], vcc
	s_cbranch_execz .LBB2869_39
; %bb.38:
	v_lshlrev_b32_e32 v22, 1, v23
	v_add_co_u32_e32 v22, vcc, v1, v22
	v_addc_co_u32_e32 v23, vcc, 0, v2, vcc
	flat_load_ushort v22, v[22:23]
.LBB2869_39:
	s_or_b64 exec, exec, s[2:3]
	v_or_b32_e32 v24, 0x1000, v0
	v_cmp_gt_u32_e32 vcc, s33, v24
                                        ; implicit-def: $vgpr23
	s_and_saveexec_b64 s[2:3], vcc
	s_cbranch_execz .LBB2869_41
; %bb.40:
	v_lshlrev_b32_e32 v23, 1, v24
	v_add_co_u32_e32 v24, vcc, v1, v23
	v_addc_co_u32_e32 v25, vcc, 0, v2, vcc
	flat_load_ushort v23, v[24:25]
.LBB2869_41:
	s_or_b64 exec, exec, s[2:3]
	v_or_b32_e32 v25, 0x1100, v0
	v_cmp_gt_u32_e32 vcc, s33, v25
                                        ; implicit-def: $vgpr24
	s_and_saveexec_b64 s[2:3], vcc
	s_cbranch_execz .LBB2869_43
; %bb.42:
	v_lshlrev_b32_e32 v24, 1, v25
	v_add_co_u32_e32 v24, vcc, v1, v24
	v_addc_co_u32_e32 v25, vcc, 0, v2, vcc
	flat_load_ushort v24, v[24:25]
.LBB2869_43:
	s_or_b64 exec, exec, s[2:3]
	v_or_b32_e32 v26, 0x1200, v0
	v_cmp_gt_u32_e32 vcc, s33, v26
                                        ; implicit-def: $vgpr25
	s_and_saveexec_b64 s[2:3], vcc
	s_cbranch_execz .LBB2869_45
; %bb.44:
	v_lshlrev_b32_e32 v25, 1, v26
	v_add_co_u32_e32 v26, vcc, v1, v25
	v_addc_co_u32_e32 v27, vcc, 0, v2, vcc
	flat_load_ushort v25, v[26:27]
.LBB2869_45:
	s_or_b64 exec, exec, s[2:3]
	v_or_b32_e32 v27, 0x1300, v0
	v_cmp_gt_u32_e32 vcc, s33, v27
                                        ; implicit-def: $vgpr26
	s_and_saveexec_b64 s[2:3], vcc
	s_cbranch_execz .LBB2869_47
; %bb.46:
	v_lshlrev_b32_e32 v26, 1, v27
	v_add_co_u32_e32 v26, vcc, v1, v26
	v_addc_co_u32_e32 v27, vcc, 0, v2, vcc
	flat_load_ushort v26, v[26:27]
.LBB2869_47:
	s_or_b64 exec, exec, s[2:3]
	v_or_b32_e32 v28, 0x1400, v0
	v_cmp_gt_u32_e32 vcc, s33, v28
                                        ; implicit-def: $vgpr27
	s_and_saveexec_b64 s[2:3], vcc
	s_cbranch_execz .LBB2869_49
; %bb.48:
	v_lshlrev_b32_e32 v27, 1, v28
	v_add_co_u32_e32 v28, vcc, v1, v27
	v_addc_co_u32_e32 v29, vcc, 0, v2, vcc
	flat_load_ushort v27, v[28:29]
.LBB2869_49:
	s_or_b64 exec, exec, s[2:3]
	v_or_b32_e32 v29, 0x1500, v0
	v_cmp_gt_u32_e32 vcc, s33, v29
                                        ; implicit-def: $vgpr28
	s_and_saveexec_b64 s[2:3], vcc
	s_cbranch_execz .LBB2869_51
; %bb.50:
	v_lshlrev_b32_e32 v28, 1, v29
	v_add_co_u32_e32 v28, vcc, v1, v28
	v_addc_co_u32_e32 v29, vcc, 0, v2, vcc
	flat_load_ushort v28, v[28:29]
.LBB2869_51:
	s_or_b64 exec, exec, s[2:3]
	v_or_b32_e32 v31, 0x1600, v0
	v_cmp_gt_u32_e32 vcc, s33, v31
                                        ; implicit-def: $vgpr29
	s_and_saveexec_b64 s[2:3], vcc
	s_cbranch_execz .LBB2869_53
; %bb.52:
	v_lshlrev_b32_e32 v29, 1, v31
	v_add_co_u32_e32 v32, vcc, v1, v29
	v_addc_co_u32_e32 v33, vcc, 0, v2, vcc
	flat_load_ushort v29, v[32:33]
.LBB2869_53:
	s_or_b64 exec, exec, s[2:3]
	v_or_b32_e32 v32, 0x1700, v0
	v_cmp_gt_u32_e32 vcc, s33, v32
                                        ; implicit-def: $vgpr31
	s_and_saveexec_b64 s[2:3], vcc
	s_cbranch_execz .LBB2869_55
; %bb.54:
	v_lshlrev_b32_e32 v31, 1, v32
	v_add_co_u32_e32 v32, vcc, v1, v31
	v_addc_co_u32_e32 v33, vcc, 0, v2, vcc
	flat_load_ushort v31, v[32:33]
.LBB2869_55:
	s_or_b64 exec, exec, s[2:3]
	v_or_b32_e32 v33, 0x1800, v0
	v_cmp_gt_u32_e32 vcc, s33, v33
                                        ; implicit-def: $vgpr32
	s_and_saveexec_b64 s[2:3], vcc
	s_cbranch_execz .LBB2869_57
; %bb.56:
	v_lshlrev_b32_e32 v32, 1, v33
	v_add_co_u32_e32 v32, vcc, v1, v32
	v_addc_co_u32_e32 v33, vcc, 0, v2, vcc
	flat_load_ushort v32, v[32:33]
.LBB2869_57:
	s_or_b64 exec, exec, s[2:3]
	v_or_b32_e32 v34, 0x1900, v0
	v_cmp_gt_u32_e32 vcc, s33, v34
                                        ; implicit-def: $vgpr33
	s_and_saveexec_b64 s[2:3], vcc
	s_cbranch_execz .LBB2869_59
; %bb.58:
	v_lshlrev_b32_e32 v33, 1, v34
	v_add_co_u32_e32 v34, vcc, v1, v33
	v_addc_co_u32_e32 v35, vcc, 0, v2, vcc
	flat_load_ushort v33, v[34:35]
.LBB2869_59:
	s_or_b64 exec, exec, s[2:3]
	v_or_b32_e32 v35, 0x1a00, v0
	v_cmp_gt_u32_e32 vcc, s33, v35
                                        ; implicit-def: $vgpr34
	s_and_saveexec_b64 s[2:3], vcc
	s_cbranch_execz .LBB2869_61
; %bb.60:
	v_lshlrev_b32_e32 v34, 1, v35
	v_add_co_u32_e32 v34, vcc, v1, v34
	v_addc_co_u32_e32 v35, vcc, 0, v2, vcc
	flat_load_ushort v34, v[34:35]
.LBB2869_61:
	s_or_b64 exec, exec, s[2:3]
	v_or_b32_e32 v36, 0x1b00, v0
	v_cmp_gt_u32_e32 vcc, s33, v36
                                        ; implicit-def: $vgpr35
	s_and_saveexec_b64 s[2:3], vcc
	s_cbranch_execz .LBB2869_63
; %bb.62:
	v_lshlrev_b32_e32 v35, 1, v36
	v_add_co_u32_e32 v36, vcc, v1, v35
	v_addc_co_u32_e32 v37, vcc, 0, v2, vcc
	flat_load_ushort v35, v[36:37]
.LBB2869_63:
	s_or_b64 exec, exec, s[2:3]
	s_waitcnt vmcnt(0) lgkmcnt(0)
	ds_write_b16 v30, v3
	ds_write_b16 v30, v4 offset:512
	ds_write_b16 v30, v5 offset:1024
	;; [unrolled: 1-line block ×27, first 2 shown]
	s_waitcnt lgkmcnt(0)
	s_barrier
.LBB2869_64:
	v_mul_u32_u24_e32 v43, 28, v0
	v_lshlrev_b32_e32 v6, 1, v43
	ds_read_b64 v[20:21], v6 offset:48
	ds_read2_b64 v[2:5], v6 offset0:4 offset1:5
	ds_read2_b64 v[10:13], v6 offset1:1
	ds_read2_b64 v[6:9], v6 offset0:2 offset1:3
	v_cndmask_b32_e64 v18, 0, 1, s[4:5]
	s_waitcnt lgkmcnt(3)
	v_lshrrev_b32_e32 v31, 16, v20
	v_lshrrev_b32_e32 v1, 16, v21
	s_waitcnt lgkmcnt(2)
	v_lshrrev_b32_e32 v35, 16, v2
	v_lshrrev_b32_e32 v34, 16, v3
	v_lshrrev_b32_e32 v33, 16, v4
	v_lshrrev_b32_e32 v32, 16, v5
	s_waitcnt lgkmcnt(1)
	v_lshrrev_b32_e32 v44, 16, v10
	v_lshrrev_b32_e32 v42, 16, v11
	;; [unrolled: 5-line block ×3, first 2 shown]
	v_lshrrev_b32_e32 v37, 16, v8
	v_lshrrev_b32_e32 v36, 16, v9
	v_cmp_ne_u32_e64 s[2:3], 1, v18
	s_andn2_b64 vcc, exec, s[4:5]
	v_xor_b32_e32 v90, -1, v10
	v_xor_b32_e32 v89, -1, v44
	;; [unrolled: 1-line block ×28, first 2 shown]
	s_barrier
	s_cbranch_vccnz .LBB2869_66
; %bb.65:
	v_and_b32_e32 v72, 1, v90
	v_and_b32_e32 v71, 1, v89
	;; [unrolled: 1-line block ×28, first 2 shown]
	s_cbranch_execz .LBB2869_67
	s_branch .LBB2869_68
.LBB2869_66:
                                        ; implicit-def: $vgpr72
                                        ; implicit-def: $vgpr71
                                        ; implicit-def: $vgpr70
                                        ; implicit-def: $vgpr69
                                        ; implicit-def: $vgpr68
                                        ; implicit-def: $vgpr67
                                        ; implicit-def: $vgpr66
                                        ; implicit-def: $vgpr65
                                        ; implicit-def: $vgpr64
                                        ; implicit-def: $vgpr63
                                        ; implicit-def: $vgpr62
                                        ; implicit-def: $vgpr61
                                        ; implicit-def: $vgpr60
                                        ; implicit-def: $vgpr59
                                        ; implicit-def: $vgpr58
                                        ; implicit-def: $vgpr57
                                        ; implicit-def: $vgpr56
                                        ; implicit-def: $vgpr55
                                        ; implicit-def: $vgpr54
                                        ; implicit-def: $vgpr53
                                        ; implicit-def: $vgpr52
                                        ; implicit-def: $vgpr51
                                        ; implicit-def: $vgpr50
                                        ; implicit-def: $vgpr49
                                        ; implicit-def: $vgpr48
                                        ; implicit-def: $vgpr47
                                        ; implicit-def: $vgpr45
                                        ; implicit-def: $vgpr46
.LBB2869_67:
	v_or_b32_e32 v54, 1, v43
	v_cmp_gt_u32_e32 vcc, s33, v43
	v_or_b32_e32 v55, 2, v43
	v_cndmask_b32_e64 v63, 0, 1, vcc
	v_cmp_gt_u32_e32 vcc, s33, v54
	v_or_b32_e32 v56, 3, v43
	v_cndmask_b32_e64 v54, 0, 1, vcc
	v_cmp_gt_u32_e32 vcc, s33, v55
	v_add_u32_e32 v57, 4, v43
	v_and_b32_e32 v71, v54, v89
	v_cndmask_b32_e64 v54, 0, 1, vcc
	v_cmp_gt_u32_e32 vcc, s33, v56
	v_add_u32_e32 v58, 5, v43
	v_and_b32_e32 v70, v54, v88
	;; [unrolled: 4-line block ×9, first 2 shown]
	v_and_b32_e32 v63, v54, v81
	v_cndmask_b32_e64 v54, 0, 1, vcc
	v_cmp_gt_u32_e32 vcc, s33, v92
	v_add_u32_e32 v94, 13, v43
	v_and_b32_e32 v62, v54, v80
	v_cndmask_b32_e64 v54, 0, 1, vcc
	v_cmp_gt_u32_e32 vcc, s33, v93
	v_add_u32_e32 v95, 14, v43
	v_and_b32_e32 v61, v54, v79
	v_cndmask_b32_e64 v54, 0, 1, vcc
	v_cmp_gt_u32_e32 vcc, s33, v94
	v_add_u32_e32 v96, 15, v43
	v_and_b32_e32 v60, v54, v78
	v_cndmask_b32_e64 v54, 0, 1, vcc
	v_cmp_gt_u32_e32 vcc, s33, v95
	v_add_u32_e32 v97, 16, v43
	v_and_b32_e32 v59, v54, v77
	v_cndmask_b32_e64 v54, 0, 1, vcc
	v_cmp_gt_u32_e32 vcc, s33, v96
	v_add_u32_e32 v98, 17, v43
	v_and_b32_e32 v58, v54, v76
	v_cndmask_b32_e64 v54, 0, 1, vcc
	v_cmp_gt_u32_e32 vcc, s33, v97
	v_add_u32_e32 v99, 18, v43
	v_and_b32_e32 v57, v54, v75
	v_cndmask_b32_e64 v54, 0, 1, vcc
	v_cmp_gt_u32_e32 vcc, s33, v98
	v_add_u32_e32 v53, 19, v43
	v_and_b32_e32 v56, v54, v74
	v_cndmask_b32_e64 v54, 0, 1, vcc
	v_cmp_gt_u32_e32 vcc, s33, v99
	v_add_u32_e32 v52, 20, v43
	v_and_b32_e32 v55, v54, v73
	v_cndmask_b32_e64 v54, 0, 1, vcc
	v_cmp_gt_u32_e32 vcc, s33, v53
	v_add_u32_e32 v51, 21, v43
	v_and_b32_e32 v54, v54, v29
	v_cndmask_b32_e64 v29, 0, 1, vcc
	v_cmp_gt_u32_e32 vcc, s33, v52
	v_add_u32_e32 v50, 22, v43
	v_and_b32_e32 v53, v29, v28
	v_cndmask_b32_e64 v28, 0, 1, vcc
	v_cmp_gt_u32_e32 vcc, s33, v51
	v_add_u32_e32 v49, 23, v43
	v_and_b32_e32 v52, v28, v27
	v_cndmask_b32_e64 v27, 0, 1, vcc
	v_cmp_gt_u32_e32 vcc, s33, v50
	v_add_u32_e32 v48, 24, v43
	v_and_b32_e32 v51, v27, v26
	v_cndmask_b32_e64 v26, 0, 1, vcc
	v_cmp_gt_u32_e32 vcc, s33, v49
	v_add_u32_e32 v47, 25, v43
	v_and_b32_e32 v50, v26, v25
	v_cndmask_b32_e64 v25, 0, 1, vcc
	v_cmp_gt_u32_e32 vcc, s33, v48
	v_add_u32_e32 v45, 26, v43
	v_and_b32_e32 v49, v25, v24
	v_cndmask_b32_e64 v24, 0, 1, vcc
	v_cmp_gt_u32_e32 vcc, s33, v47
	v_add_u32_e32 v46, 27, v43
	v_and_b32_e32 v48, v24, v23
	v_cndmask_b32_e64 v23, 0, 1, vcc
	v_cmp_gt_u32_e32 vcc, s33, v45
	v_and_b32_e32 v47, v23, v22
	v_cndmask_b32_e64 v22, 0, 1, vcc
	v_cmp_gt_u32_e32 vcc, s33, v46
	v_and_b32_e32 v45, v22, v19
	v_cndmask_b32_e64 v19, 0, 1, vcc
	v_and_b32_e32 v46, v19, v18
.LBB2869_68:
	v_and_b32_e32 v97, 0xff, v48
	v_and_b32_e32 v98, 0xff, v47
	v_add_u32_sdwa v18, v45, v46 dst_sel:DWORD dst_unused:UNUSED_PAD src0_sel:BYTE_0 src1_sel:BYTE_0
	v_and_b32_e32 v95, 0xff, v50
	v_and_b32_e32 v96, 0xff, v49
	v_add3_u32 v18, v18, v98, v97
	v_and_b32_e32 v93, 0xff, v52
	v_and_b32_e32 v94, 0xff, v51
	v_add3_u32 v18, v18, v96, v95
	;; [unrolled: 3-line block ×12, first 2 shown]
	v_add3_u32 v101, v18, v74, v73
	v_mbcnt_lo_u32_b32 v18, -1, 0
	v_mbcnt_hi_u32_b32 v99, -1, v18
	v_and_b32_e32 v18, 15, v99
	v_cmp_eq_u32_e64 s[16:17], 0, v18
	v_cmp_lt_u32_e64 s[14:15], 1, v18
	v_cmp_lt_u32_e64 s[12:13], 3, v18
	;; [unrolled: 1-line block ×3, first 2 shown]
	v_and_b32_e32 v18, 16, v99
	v_cmp_eq_u32_e64 s[8:9], 0, v18
	v_or_b32_e32 v18, 63, v0
	s_cmp_lg_u32 s38, 0
	v_cmp_lt_u32_e64 s[4:5], 31, v99
	v_lshrrev_b32_e32 v100, 6, v0
	v_cmp_eq_u32_e64 s[6:7], v18, v0
	s_cbranch_scc0 .LBB2869_95
; %bb.69:
	v_mov_b32_dpp v18, v101 row_shr:1 row_mask:0xf bank_mask:0xf
	v_cndmask_b32_e64 v18, v18, 0, s[16:17]
	v_add_u32_e32 v18, v18, v101
	s_nop 1
	v_mov_b32_dpp v19, v18 row_shr:2 row_mask:0xf bank_mask:0xf
	v_cndmask_b32_e64 v19, 0, v19, s[14:15]
	v_add_u32_e32 v18, v18, v19
	s_nop 1
	;; [unrolled: 4-line block ×4, first 2 shown]
	v_mov_b32_dpp v19, v18 row_bcast:15 row_mask:0xf bank_mask:0xf
	v_cndmask_b32_e64 v19, v19, 0, s[8:9]
	v_add_u32_e32 v18, v18, v19
	s_nop 1
	v_mov_b32_dpp v19, v18 row_bcast:31 row_mask:0xf bank_mask:0xf
	v_cndmask_b32_e64 v19, 0, v19, s[4:5]
	v_add_u32_e32 v18, v18, v19
	s_and_saveexec_b64 s[18:19], s[6:7]
	s_cbranch_execz .LBB2869_71
; %bb.70:
	v_lshlrev_b32_e32 v19, 2, v100
	ds_write_b32 v19, v18
.LBB2869_71:
	s_or_b64 exec, exec, s[18:19]
	v_cmp_gt_u32_e32 vcc, 4, v0
	s_waitcnt lgkmcnt(0)
	s_barrier
	s_and_saveexec_b64 s[18:19], vcc
	s_cbranch_execz .LBB2869_73
; %bb.72:
	v_lshlrev_b32_e32 v19, 2, v0
	ds_read_b32 v22, v19
	v_and_b32_e32 v23, 3, v99
	v_cmp_ne_u32_e32 vcc, 0, v23
	s_waitcnt lgkmcnt(0)
	v_mov_b32_dpp v24, v22 row_shr:1 row_mask:0xf bank_mask:0xf
	v_cndmask_b32_e32 v24, 0, v24, vcc
	v_add_u32_e32 v22, v24, v22
	v_cmp_lt_u32_e32 vcc, 1, v23
	s_nop 0
	v_mov_b32_dpp v24, v22 row_shr:2 row_mask:0xf bank_mask:0xf
	v_cndmask_b32_e32 v23, 0, v24, vcc
	v_add_u32_e32 v22, v22, v23
	ds_write_b32 v19, v22
.LBB2869_73:
	s_or_b64 exec, exec, s[18:19]
	v_cmp_gt_u32_e32 vcc, 64, v0
	v_cmp_lt_u32_e64 s[18:19], 63, v0
	s_waitcnt lgkmcnt(0)
	s_barrier
	s_waitcnt lgkmcnt(0)
                                        ; implicit-def: $vgpr102
	s_and_saveexec_b64 s[24:25], s[18:19]
	s_cbranch_execz .LBB2869_75
; %bb.74:
	v_lshl_add_u32 v19, v100, 2, -4
	ds_read_b32 v102, v19
	s_waitcnt lgkmcnt(0)
	v_add_u32_e32 v18, v102, v18
.LBB2869_75:
	s_or_b64 exec, exec, s[24:25]
	v_add_u32_e32 v19, -1, v99
	v_and_b32_e32 v22, 64, v99
	v_cmp_lt_i32_e64 s[18:19], v19, v22
	v_cndmask_b32_e64 v19, v19, v99, s[18:19]
	v_lshlrev_b32_e32 v19, 2, v19
	ds_bpermute_b32 v103, v19, v18
	v_cmp_eq_u32_e64 s[18:19], 0, v99
	s_and_saveexec_b64 s[24:25], vcc
	s_cbranch_execz .LBB2869_94
; %bb.76:
	v_mov_b32_e32 v27, 0
	ds_read_b32 v18, v27 offset:12
	s_and_saveexec_b64 s[34:35], s[18:19]
	s_cbranch_execz .LBB2869_78
; %bb.77:
	s_add_i32 s36, s38, 64
	s_mov_b32 s37, 0
	s_lshl_b64 s[36:37], s[36:37], 3
	s_add_u32 s36, s30, s36
	v_mov_b32_e32 v19, 1
	s_addc_u32 s37, s31, s37
	s_waitcnt lgkmcnt(0)
	global_store_dwordx2 v27, v[18:19], s[36:37]
.LBB2869_78:
	s_or_b64 exec, exec, s[34:35]
	v_xad_u32 v22, v99, -1, s38
	v_add_u32_e32 v26, 64, v22
	v_lshlrev_b64 v[24:25], 3, v[26:27]
	v_mov_b32_e32 v19, s31
	v_add_co_u32_e32 v28, vcc, s30, v24
	v_addc_co_u32_e32 v29, vcc, v19, v25, vcc
	global_load_dwordx2 v[24:25], v[28:29], off glc
	s_waitcnt vmcnt(0)
	v_cmp_eq_u16_sdwa s[36:37], v25, v27 src0_sel:BYTE_0 src1_sel:DWORD
	s_and_saveexec_b64 s[34:35], s[36:37]
	s_cbranch_execz .LBB2869_82
; %bb.79:
	s_mov_b64 s[36:37], 0
	v_mov_b32_e32 v19, 0
.LBB2869_80:                            ; =>This Inner Loop Header: Depth=1
	global_load_dwordx2 v[24:25], v[28:29], off glc
	s_waitcnt vmcnt(0)
	v_cmp_ne_u16_sdwa s[40:41], v25, v19 src0_sel:BYTE_0 src1_sel:DWORD
	s_or_b64 s[36:37], s[40:41], s[36:37]
	s_andn2_b64 exec, exec, s[36:37]
	s_cbranch_execnz .LBB2869_80
; %bb.81:
	s_or_b64 exec, exec, s[36:37]
.LBB2869_82:
	s_or_b64 exec, exec, s[34:35]
	v_and_b32_e32 v105, 63, v99
	v_mov_b32_e32 v104, 2
	v_cmp_ne_u32_e32 vcc, 63, v105
	v_cmp_eq_u16_sdwa s[34:35], v25, v104 src0_sel:BYTE_0 src1_sel:DWORD
	v_lshlrev_b64 v[26:27], v99, -1
	v_addc_co_u32_e32 v28, vcc, 0, v99, vcc
	v_and_b32_e32 v19, s35, v27
	v_lshlrev_b32_e32 v106, 2, v28
	v_or_b32_e32 v19, 0x80000000, v19
	ds_bpermute_b32 v28, v106, v24
	v_and_b32_e32 v23, s34, v26
	v_ffbl_b32_e32 v19, v19
	v_add_u32_e32 v19, 32, v19
	v_ffbl_b32_e32 v23, v23
	v_min_u32_e32 v19, v23, v19
	v_cmp_lt_u32_e32 vcc, v105, v19
	s_waitcnt lgkmcnt(0)
	v_cndmask_b32_e32 v23, 0, v28, vcc
	v_cmp_gt_u32_e32 vcc, 62, v105
	v_add_u32_e32 v23, v23, v24
	v_cndmask_b32_e64 v24, 0, 1, vcc
	v_lshlrev_b32_e32 v24, 1, v24
	v_add_lshl_u32 v107, v24, v99, 2
	ds_bpermute_b32 v24, v107, v23
	v_add_u32_e32 v108, 2, v105
	v_cmp_le_u32_e32 vcc, v108, v19
	v_add_u32_e32 v110, 4, v105
	v_add_u32_e32 v112, 8, v105
	s_waitcnt lgkmcnt(0)
	v_cndmask_b32_e32 v24, 0, v24, vcc
	v_cmp_gt_u32_e32 vcc, 60, v105
	v_add_u32_e32 v23, v23, v24
	v_cndmask_b32_e64 v24, 0, 1, vcc
	v_lshlrev_b32_e32 v24, 2, v24
	v_add_lshl_u32 v109, v24, v99, 2
	ds_bpermute_b32 v24, v109, v23
	v_cmp_le_u32_e32 vcc, v110, v19
	v_add_u32_e32 v114, 16, v105
	v_add_u32_e32 v116, 32, v105
	s_waitcnt lgkmcnt(0)
	v_cndmask_b32_e32 v24, 0, v24, vcc
	v_cmp_gt_u32_e32 vcc, 56, v105
	v_add_u32_e32 v23, v23, v24
	v_cndmask_b32_e64 v24, 0, 1, vcc
	v_lshlrev_b32_e32 v24, 3, v24
	v_add_lshl_u32 v111, v24, v99, 2
	ds_bpermute_b32 v24, v111, v23
	v_cmp_le_u32_e32 vcc, v112, v19
	s_waitcnt lgkmcnt(0)
	v_cndmask_b32_e32 v24, 0, v24, vcc
	v_cmp_gt_u32_e32 vcc, 48, v105
	v_add_u32_e32 v23, v23, v24
	v_cndmask_b32_e64 v24, 0, 1, vcc
	v_lshlrev_b32_e32 v24, 4, v24
	v_add_lshl_u32 v113, v24, v99, 2
	ds_bpermute_b32 v24, v113, v23
	v_cmp_le_u32_e32 vcc, v114, v19
	;; [unrolled: 9-line block ×3, first 2 shown]
	s_waitcnt lgkmcnt(0)
	v_cndmask_b32_e32 v19, 0, v24, vcc
	v_add_u32_e32 v24, v23, v19
	v_mov_b32_e32 v23, 0
	s_branch .LBB2869_84
.LBB2869_83:                            ;   in Loop: Header=BB2869_84 Depth=1
	s_or_b64 exec, exec, s[34:35]
	v_cmp_eq_u16_sdwa s[34:35], v25, v104 src0_sel:BYTE_0 src1_sel:DWORD
	v_and_b32_e32 v28, s35, v27
	v_or_b32_e32 v28, 0x80000000, v28
	ds_bpermute_b32 v117, v106, v24
	v_and_b32_e32 v29, s34, v26
	v_ffbl_b32_e32 v28, v28
	v_add_u32_e32 v28, 32, v28
	v_ffbl_b32_e32 v29, v29
	v_min_u32_e32 v28, v29, v28
	v_cmp_lt_u32_e32 vcc, v105, v28
	s_waitcnt lgkmcnt(0)
	v_cndmask_b32_e32 v29, 0, v117, vcc
	v_add_u32_e32 v24, v29, v24
	ds_bpermute_b32 v29, v107, v24
	v_cmp_le_u32_e32 vcc, v108, v28
	v_subrev_u32_e32 v22, 64, v22
	s_waitcnt lgkmcnt(0)
	v_cndmask_b32_e32 v29, 0, v29, vcc
	v_add_u32_e32 v24, v24, v29
	ds_bpermute_b32 v29, v109, v24
	v_cmp_le_u32_e32 vcc, v110, v28
	s_waitcnt lgkmcnt(0)
	v_cndmask_b32_e32 v29, 0, v29, vcc
	v_add_u32_e32 v24, v24, v29
	ds_bpermute_b32 v29, v111, v24
	v_cmp_le_u32_e32 vcc, v112, v28
	;; [unrolled: 5-line block ×4, first 2 shown]
	s_waitcnt lgkmcnt(0)
	v_cndmask_b32_e32 v28, 0, v29, vcc
	v_add3_u32 v24, v28, v19, v24
.LBB2869_84:                            ; =>This Loop Header: Depth=1
                                        ;     Child Loop BB2869_87 Depth 2
	v_cmp_ne_u16_sdwa s[34:35], v25, v104 src0_sel:BYTE_0 src1_sel:DWORD
	v_cndmask_b32_e64 v19, 0, 1, s[34:35]
	;;#ASMSTART
	;;#ASMEND
	v_cmp_ne_u32_e32 vcc, 0, v19
	s_cmp_lg_u64 vcc, exec
	v_mov_b32_e32 v19, v24
	s_cbranch_scc1 .LBB2869_89
; %bb.85:                               ;   in Loop: Header=BB2869_84 Depth=1
	v_lshlrev_b64 v[24:25], 3, v[22:23]
	v_mov_b32_e32 v29, s31
	v_add_co_u32_e32 v28, vcc, s30, v24
	v_addc_co_u32_e32 v29, vcc, v29, v25, vcc
	global_load_dwordx2 v[24:25], v[28:29], off glc
	s_waitcnt vmcnt(0)
	v_cmp_eq_u16_sdwa s[36:37], v25, v23 src0_sel:BYTE_0 src1_sel:DWORD
	s_and_saveexec_b64 s[34:35], s[36:37]
	s_cbranch_execz .LBB2869_83
; %bb.86:                               ;   in Loop: Header=BB2869_84 Depth=1
	s_mov_b64 s[36:37], 0
.LBB2869_87:                            ;   Parent Loop BB2869_84 Depth=1
                                        ; =>  This Inner Loop Header: Depth=2
	global_load_dwordx2 v[24:25], v[28:29], off glc
	s_waitcnt vmcnt(0)
	v_cmp_ne_u16_sdwa s[40:41], v25, v23 src0_sel:BYTE_0 src1_sel:DWORD
	s_or_b64 s[36:37], s[40:41], s[36:37]
	s_andn2_b64 exec, exec, s[36:37]
	s_cbranch_execnz .LBB2869_87
; %bb.88:                               ;   in Loop: Header=BB2869_84 Depth=1
	s_or_b64 exec, exec, s[36:37]
	s_branch .LBB2869_83
.LBB2869_89:                            ;   in Loop: Header=BB2869_84 Depth=1
                                        ; implicit-def: $vgpr24
                                        ; implicit-def: $vgpr25
	s_cbranch_execz .LBB2869_84
; %bb.90:
	s_and_saveexec_b64 s[34:35], s[18:19]
	s_cbranch_execz .LBB2869_92
; %bb.91:
	s_add_i32 s36, s38, 64
	s_mov_b32 s37, 0
	s_lshl_b64 s[36:37], s[36:37], 3
	s_add_u32 s36, s30, s36
	v_add_u32_e32 v22, v19, v18
	v_mov_b32_e32 v23, 2
	s_addc_u32 s37, s31, s37
	v_mov_b32_e32 v24, 0
	global_store_dwordx2 v24, v[22:23], s[36:37]
	ds_write_b64 v24, v[18:19] offset:14336
.LBB2869_92:
	s_or_b64 exec, exec, s[34:35]
	s_and_b64 exec, exec, s[0:1]
	s_cbranch_execz .LBB2869_94
; %bb.93:
	v_mov_b32_e32 v18, 0
	ds_write_b32 v18, v19 offset:12
.LBB2869_94:
	s_or_b64 exec, exec, s[24:25]
	v_mov_b32_e32 v18, 0
	s_waitcnt lgkmcnt(0)
	s_barrier
	ds_read_b32 v22, v18 offset:12
	s_waitcnt lgkmcnt(0)
	s_barrier
	ds_read_b64 v[18:19], v18 offset:14336
	v_cndmask_b32_e64 v23, v103, v102, s[18:19]
	v_cndmask_b32_e64 v23, v23, 0, s[0:1]
	v_add_u32_e32 v22, v22, v23
	s_branch .LBB2869_105
.LBB2869_95:
                                        ; implicit-def: $vgpr19
                                        ; implicit-def: $vgpr22
	s_cbranch_execz .LBB2869_105
; %bb.96:
	s_waitcnt lgkmcnt(0)
	v_mov_b32_dpp v18, v101 row_shr:1 row_mask:0xf bank_mask:0xf
	v_cndmask_b32_e64 v18, v18, 0, s[16:17]
	v_add_u32_e32 v18, v18, v101
	s_nop 1
	v_mov_b32_dpp v19, v18 row_shr:2 row_mask:0xf bank_mask:0xf
	v_cndmask_b32_e64 v19, 0, v19, s[14:15]
	v_add_u32_e32 v18, v18, v19
	s_nop 1
	;; [unrolled: 4-line block ×4, first 2 shown]
	v_mov_b32_dpp v19, v18 row_bcast:15 row_mask:0xf bank_mask:0xf
	v_cndmask_b32_e64 v19, v19, 0, s[8:9]
	v_add_u32_e32 v18, v18, v19
	s_nop 1
	v_mov_b32_dpp v19, v18 row_bcast:31 row_mask:0xf bank_mask:0xf
	v_cndmask_b32_e64 v19, 0, v19, s[4:5]
	v_add_u32_e32 v18, v18, v19
	s_and_saveexec_b64 s[4:5], s[6:7]
	s_cbranch_execz .LBB2869_98
; %bb.97:
	v_lshlrev_b32_e32 v19, 2, v100
	ds_write_b32 v19, v18
.LBB2869_98:
	s_or_b64 exec, exec, s[4:5]
	v_cmp_gt_u32_e32 vcc, 4, v0
	s_waitcnt lgkmcnt(0)
	s_barrier
	s_and_saveexec_b64 s[4:5], vcc
	s_cbranch_execz .LBB2869_100
; %bb.99:
	v_lshlrev_b32_e32 v19, 2, v0
	ds_read_b32 v22, v19
	v_and_b32_e32 v23, 3, v99
	v_cmp_ne_u32_e32 vcc, 0, v23
	s_waitcnt lgkmcnt(0)
	v_mov_b32_dpp v24, v22 row_shr:1 row_mask:0xf bank_mask:0xf
	v_cndmask_b32_e32 v24, 0, v24, vcc
	v_add_u32_e32 v22, v24, v22
	v_cmp_lt_u32_e32 vcc, 1, v23
	s_nop 0
	v_mov_b32_dpp v24, v22 row_shr:2 row_mask:0xf bank_mask:0xf
	v_cndmask_b32_e32 v23, 0, v24, vcc
	v_add_u32_e32 v22, v22, v23
	ds_write_b32 v19, v22
.LBB2869_100:
	s_or_b64 exec, exec, s[4:5]
	v_cmp_lt_u32_e32 vcc, 63, v0
	v_mov_b32_e32 v19, 0
	v_mov_b32_e32 v22, 0
	s_waitcnt lgkmcnt(0)
	s_barrier
	s_and_saveexec_b64 s[4:5], vcc
	s_cbranch_execz .LBB2869_102
; %bb.101:
	v_lshl_add_u32 v22, v100, 2, -4
	ds_read_b32 v22, v22
.LBB2869_102:
	s_or_b64 exec, exec, s[4:5]
	v_add_u32_e32 v23, -1, v99
	v_and_b32_e32 v24, 64, v99
	v_cmp_lt_i32_e32 vcc, v23, v24
	v_cndmask_b32_e32 v23, v23, v99, vcc
	s_waitcnt lgkmcnt(0)
	v_add_u32_e32 v18, v22, v18
	v_lshlrev_b32_e32 v23, 2, v23
	ds_bpermute_b32 v23, v23, v18
	ds_read_b32 v18, v19 offset:12
	s_and_saveexec_b64 s[4:5], s[0:1]
	s_cbranch_execz .LBB2869_104
; %bb.103:
	v_mov_b32_e32 v24, 0
	v_mov_b32_e32 v19, 2
	s_waitcnt lgkmcnt(0)
	global_store_dwordx2 v24, v[18:19], s[30:31] offset:512
.LBB2869_104:
	s_or_b64 exec, exec, s[4:5]
	v_cmp_eq_u32_e32 vcc, 0, v99
	s_waitcnt lgkmcnt(1)
	v_cndmask_b32_e32 v22, v23, v22, vcc
	v_mov_b32_e32 v19, 0
	v_cndmask_b32_e64 v22, v22, 0, s[0:1]
	s_waitcnt lgkmcnt(0)
	s_barrier
.LBB2869_105:
	v_add_u32_e32 v23, v22, v73
	v_add_u32_e32 v24, v23, v74
	;; [unrolled: 1-line block ×19, first 2 shown]
	s_waitcnt lgkmcnt(0)
	v_add_u32_e32 v43, v18, v43
	v_sub_u32_e32 v22, v22, v19
	v_and_b32_e32 v72, 1, v72
	v_add_u32_e32 v85, v84, v92
	v_sub_u32_e32 v92, v43, v22
	v_cmp_eq_u32_e32 vcc, 1, v72
	v_cndmask_b32_e32 v22, v92, v22, vcc
	v_lshlrev_b32_e32 v22, 1, v22
	ds_write_b16 v22, v10
	v_sub_u32_e32 v10, v23, v19
	v_sub_u32_e32 v22, v43, v10
	v_and_b32_e32 v23, 1, v71
	v_add_u32_e32 v22, 1, v22
	v_cmp_eq_u32_e32 vcc, 1, v23
	v_cndmask_b32_e32 v10, v22, v10, vcc
	v_lshlrev_b32_e32 v10, 1, v10
	ds_write_b16 v10, v44
	v_sub_u32_e32 v10, v24, v19
	v_sub_u32_e32 v22, v43, v10
	v_and_b32_e32 v23, 1, v70
	v_add_u32_e32 v22, 2, v22
	v_cmp_eq_u32_e32 vcc, 1, v23
	v_cndmask_b32_e32 v10, v22, v10, vcc
	v_lshlrev_b32_e32 v10, 1, v10
	ds_write_b16 v10, v11
	v_sub_u32_e32 v10, v25, v19
	v_sub_u32_e32 v11, v43, v10
	v_and_b32_e32 v22, 1, v69
	v_add_u32_e32 v11, 3, v11
	v_cmp_eq_u32_e32 vcc, 1, v22
	v_cndmask_b32_e32 v10, v11, v10, vcc
	v_lshlrev_b32_e32 v10, 1, v10
	ds_write_b16 v10, v42
	v_sub_u32_e32 v10, v26, v19
	v_sub_u32_e32 v11, v43, v10
	v_and_b32_e32 v22, 1, v68
	v_add_u32_e32 v11, 4, v11
	v_cmp_eq_u32_e32 vcc, 1, v22
	v_cndmask_b32_e32 v10, v11, v10, vcc
	v_lshlrev_b32_e32 v10, 1, v10
	ds_write_b16 v10, v12
	v_sub_u32_e32 v10, v27, v19
	v_sub_u32_e32 v11, v43, v10
	v_and_b32_e32 v12, 1, v67
	v_add_u32_e32 v11, 5, v11
	v_cmp_eq_u32_e32 vcc, 1, v12
	v_cndmask_b32_e32 v10, v11, v10, vcc
	v_lshlrev_b32_e32 v10, 1, v10
	ds_write_b16 v10, v41
	v_sub_u32_e32 v10, v28, v19
	v_sub_u32_e32 v11, v43, v10
	v_and_b32_e32 v12, 1, v66
	v_add_u32_e32 v11, 6, v11
	v_cmp_eq_u32_e32 vcc, 1, v12
	v_cndmask_b32_e32 v10, v11, v10, vcc
	v_lshlrev_b32_e32 v10, 1, v10
	ds_write_b16 v10, v13
	v_sub_u32_e32 v10, v29, v19
	v_sub_u32_e32 v11, v43, v10
	v_and_b32_e32 v12, 1, v65
	v_add_u32_e32 v11, 7, v11
	v_cmp_eq_u32_e32 vcc, 1, v12
	v_cndmask_b32_e32 v10, v11, v10, vcc
	v_lshlrev_b32_e32 v10, 1, v10
	ds_write_b16 v10, v40
	v_sub_u32_e32 v10, v73, v19
	v_sub_u32_e32 v11, v43, v10
	v_and_b32_e32 v12, 1, v64
	v_add_u32_e32 v11, 8, v11
	v_cmp_eq_u32_e32 vcc, 1, v12
	v_cndmask_b32_e32 v10, v11, v10, vcc
	v_lshlrev_b32_e32 v10, 1, v10
	ds_write_b16 v10, v6
	v_sub_u32_e32 v6, v74, v19
	v_sub_u32_e32 v10, v43, v6
	v_and_b32_e32 v11, 1, v63
	v_add_u32_e32 v10, 9, v10
	v_cmp_eq_u32_e32 vcc, 1, v11
	v_cndmask_b32_e32 v6, v10, v6, vcc
	v_lshlrev_b32_e32 v6, 1, v6
	ds_write_b16 v6, v39
	v_sub_u32_e32 v6, v75, v19
	v_sub_u32_e32 v10, v43, v6
	v_and_b32_e32 v11, 1, v62
	v_add_u32_e32 v10, 10, v10
	v_cmp_eq_u32_e32 vcc, 1, v11
	v_cndmask_b32_e32 v6, v10, v6, vcc
	v_lshlrev_b32_e32 v6, 1, v6
	ds_write_b16 v6, v7
	v_sub_u32_e32 v6, v76, v19
	v_sub_u32_e32 v7, v43, v6
	v_and_b32_e32 v10, 1, v61
	v_add_u32_e32 v7, 11, v7
	v_cmp_eq_u32_e32 vcc, 1, v10
	v_cndmask_b32_e32 v6, v7, v6, vcc
	v_lshlrev_b32_e32 v6, 1, v6
	ds_write_b16 v6, v38
	v_sub_u32_e32 v6, v77, v19
	v_sub_u32_e32 v7, v43, v6
	v_and_b32_e32 v10, 1, v60
	v_add_u32_e32 v7, 12, v7
	v_cmp_eq_u32_e32 vcc, 1, v10
	v_cndmask_b32_e32 v6, v7, v6, vcc
	v_lshlrev_b32_e32 v6, 1, v6
	ds_write_b16 v6, v8
	v_sub_u32_e32 v6, v78, v19
	v_sub_u32_e32 v7, v43, v6
	v_and_b32_e32 v8, 1, v59
	v_add_u32_e32 v7, 13, v7
	v_cmp_eq_u32_e32 vcc, 1, v8
	v_cndmask_b32_e32 v6, v7, v6, vcc
	v_lshlrev_b32_e32 v6, 1, v6
	ds_write_b16 v6, v37
	v_sub_u32_e32 v6, v79, v19
	v_sub_u32_e32 v7, v43, v6
	v_and_b32_e32 v8, 1, v58
	v_add_u32_e32 v7, 14, v7
	v_cmp_eq_u32_e32 vcc, 1, v8
	v_cndmask_b32_e32 v6, v7, v6, vcc
	v_lshlrev_b32_e32 v6, 1, v6
	ds_write_b16 v6, v9
	v_sub_u32_e32 v6, v80, v19
	v_sub_u32_e32 v7, v43, v6
	v_and_b32_e32 v8, 1, v57
	v_add_u32_e32 v7, 15, v7
	v_cmp_eq_u32_e32 vcc, 1, v8
	v_cndmask_b32_e32 v6, v7, v6, vcc
	v_lshlrev_b32_e32 v6, 1, v6
	ds_write_b16 v6, v36
	v_sub_u32_e32 v6, v81, v19
	v_sub_u32_e32 v7, v43, v6
	v_and_b32_e32 v8, 1, v56
	v_add_u32_e32 v7, 16, v7
	v_cmp_eq_u32_e32 vcc, 1, v8
	v_cndmask_b32_e32 v6, v7, v6, vcc
	v_lshlrev_b32_e32 v6, 1, v6
	ds_write_b16 v6, v2
	v_sub_u32_e32 v2, v82, v19
	v_sub_u32_e32 v6, v43, v2
	v_and_b32_e32 v7, 1, v55
	v_add_u32_e32 v6, 17, v6
	v_cmp_eq_u32_e32 vcc, 1, v7
	v_cndmask_b32_e32 v2, v6, v2, vcc
	v_lshlrev_b32_e32 v2, 1, v2
	ds_write_b16 v2, v35
	v_sub_u32_e32 v2, v83, v19
	v_sub_u32_e32 v6, v43, v2
	v_and_b32_e32 v7, 1, v54
	v_add_u32_e32 v6, 18, v6
	v_cmp_eq_u32_e32 vcc, 1, v7
	v_cndmask_b32_e32 v2, v6, v2, vcc
	v_lshlrev_b32_e32 v2, 1, v2
	ds_write_b16 v2, v3
	v_sub_u32_e32 v2, v84, v19
	v_sub_u32_e32 v3, v43, v2
	v_and_b32_e32 v6, 1, v53
	v_add_u32_e32 v3, 19, v3
	v_cmp_eq_u32_e32 vcc, 1, v6
	v_cndmask_b32_e32 v2, v3, v2, vcc
	v_lshlrev_b32_e32 v2, 1, v2
	ds_write_b16 v2, v34
	v_sub_u32_e32 v2, v85, v19
	v_sub_u32_e32 v3, v43, v2
	v_and_b32_e32 v6, 1, v52
	v_add_u32_e32 v3, 20, v3
	v_cmp_eq_u32_e32 vcc, 1, v6
	v_cndmask_b32_e32 v2, v3, v2, vcc
	v_add_u32_e32 v86, v85, v93
	v_lshlrev_b32_e32 v2, 1, v2
	ds_write_b16 v2, v4
	v_sub_u32_e32 v2, v86, v19
	v_sub_u32_e32 v3, v43, v2
	v_and_b32_e32 v4, 1, v51
	v_add_u32_e32 v3, 21, v3
	v_cmp_eq_u32_e32 vcc, 1, v4
	v_cndmask_b32_e32 v2, v3, v2, vcc
	v_add_u32_e32 v87, v86, v94
	v_lshlrev_b32_e32 v2, 1, v2
	ds_write_b16 v2, v33
	v_sub_u32_e32 v2, v87, v19
	v_sub_u32_e32 v3, v43, v2
	v_and_b32_e32 v4, 1, v50
	v_add_u32_e32 v3, 22, v3
	;; [unrolled: 9-line block ×6, first 2 shown]
	v_cmp_eq_u32_e32 vcc, 1, v4
	v_cndmask_b32_e32 v2, v3, v2, vcc
	v_lshlrev_b32_e32 v2, 1, v2
	ds_write_b16 v2, v21
	v_sub_u32_sdwa v2, v45, v19 dst_sel:DWORD dst_unused:UNUSED_PAD src0_sel:BYTE_0 src1_sel:DWORD
	v_add_u32_e32 v2, v91, v2
	v_sub_u32_e32 v3, v43, v2
	v_and_b32_e32 v4, 1, v46
	v_add_u32_e32 v3, 27, v3
	v_cmp_eq_u32_e32 vcc, 1, v4
	v_cndmask_b32_e32 v2, v3, v2, vcc
	v_lshlrev_b32_e32 v2, 1, v2
	ds_write_b16 v2, v1
	s_waitcnt vmcnt(0)
	v_add_co_u32_e32 v1, vcc, v14, v18
	s_waitcnt lgkmcnt(0)
	s_barrier
	ds_read_u16 v66, v30
	ds_read_u16 v65, v30 offset:512
	ds_read_u16 v63, v30 offset:1024
	;; [unrolled: 1-line block ×23, first 2 shown]
	v_addc_co_u32_e32 v3, vcc, 0, v15, vcc
	v_add_co_u32_e32 v2, vcc, v1, v19
	v_addc_co_u32_e32 v3, vcc, 0, v3, vcc
	v_mov_b32_e32 v1, s27
	v_sub_co_u32_e32 v14, vcc, s26, v2
	ds_read_u16 v12, v30 offset:12288
	ds_read_u16 v10, v30 offset:12800
	;; [unrolled: 1-line block ×4, first 2 shown]
	v_subb_co_u32_e32 v15, vcc, v1, v3, vcc
	v_lshlrev_b64 v[14:15], 1, v[14:15]
	v_mov_b32_e32 v1, s29
	v_add_co_u32_e32 v4, vcc, s28, v14
	v_addc_co_u32_e32 v1, vcc, v1, v15, vcc
	v_add_co_u32_e32 v4, vcc, v4, v16
	v_addc_co_u32_e32 v1, vcc, v1, v17, vcc
	v_or_b32_e32 v64, 0x100, v0
	v_or_b32_e32 v62, 0x200, v0
	;; [unrolled: 1-line block ×27, first 2 shown]
	s_and_b64 vcc, exec, s[2:3]
	v_cmp_ge_u32_e64 s[2:3], v0, v18
	s_cbranch_vccnz .LBB2869_135
; %bb.106:
	s_and_saveexec_b64 s[4:5], s[2:3]
	s_cbranch_execnz .LBB2869_196
; %bb.107:
	s_or_b64 exec, exec, s[4:5]
	v_cmp_ge_u32_e32 vcc, v64, v18
	s_and_saveexec_b64 s[2:3], vcc
	s_cbranch_execnz .LBB2869_197
.LBB2869_108:
	s_or_b64 exec, exec, s[2:3]
	v_cmp_ge_u32_e32 vcc, v62, v18
	s_and_saveexec_b64 s[2:3], vcc
	s_cbranch_execnz .LBB2869_198
.LBB2869_109:
	s_or_b64 exec, exec, s[2:3]
	v_cmp_ge_u32_e32 vcc, v60, v18
	s_and_saveexec_b64 s[2:3], vcc
	s_cbranch_execnz .LBB2869_199
.LBB2869_110:
	s_or_b64 exec, exec, s[2:3]
	v_cmp_ge_u32_e32 vcc, v59, v18
	s_and_saveexec_b64 s[2:3], vcc
	s_cbranch_execnz .LBB2869_200
.LBB2869_111:
	s_or_b64 exec, exec, s[2:3]
	v_cmp_ge_u32_e32 vcc, v57, v18
	s_and_saveexec_b64 s[2:3], vcc
	s_cbranch_execnz .LBB2869_201
.LBB2869_112:
	s_or_b64 exec, exec, s[2:3]
	v_cmp_ge_u32_e32 vcc, v55, v18
	s_and_saveexec_b64 s[2:3], vcc
	s_cbranch_execnz .LBB2869_202
.LBB2869_113:
	s_or_b64 exec, exec, s[2:3]
	v_cmp_ge_u32_e32 vcc, v53, v18
	s_and_saveexec_b64 s[2:3], vcc
	s_cbranch_execnz .LBB2869_203
.LBB2869_114:
	s_or_b64 exec, exec, s[2:3]
	v_cmp_ge_u32_e32 vcc, v50, v18
	s_and_saveexec_b64 s[2:3], vcc
	s_cbranch_execnz .LBB2869_204
.LBB2869_115:
	s_or_b64 exec, exec, s[2:3]
	v_cmp_ge_u32_e32 vcc, v48, v18
	s_and_saveexec_b64 s[2:3], vcc
	s_cbranch_execnz .LBB2869_205
.LBB2869_116:
	s_or_b64 exec, exec, s[2:3]
	v_cmp_ge_u32_e32 vcc, v46, v18
	s_and_saveexec_b64 s[2:3], vcc
	s_cbranch_execnz .LBB2869_206
.LBB2869_117:
	s_or_b64 exec, exec, s[2:3]
	v_cmp_ge_u32_e32 vcc, v44, v18
	s_and_saveexec_b64 s[2:3], vcc
	s_cbranch_execnz .LBB2869_207
.LBB2869_118:
	s_or_b64 exec, exec, s[2:3]
	v_cmp_ge_u32_e32 vcc, v42, v18
	s_and_saveexec_b64 s[2:3], vcc
	s_cbranch_execnz .LBB2869_208
.LBB2869_119:
	s_or_b64 exec, exec, s[2:3]
	v_cmp_ge_u32_e32 vcc, v40, v18
	s_and_saveexec_b64 s[2:3], vcc
	s_cbranch_execnz .LBB2869_209
.LBB2869_120:
	s_or_b64 exec, exec, s[2:3]
	v_cmp_ge_u32_e32 vcc, v38, v18
	s_and_saveexec_b64 s[2:3], vcc
	s_cbranch_execnz .LBB2869_210
.LBB2869_121:
	s_or_b64 exec, exec, s[2:3]
	v_cmp_ge_u32_e32 vcc, v35, v18
	s_and_saveexec_b64 s[2:3], vcc
	s_cbranch_execnz .LBB2869_211
.LBB2869_122:
	s_or_b64 exec, exec, s[2:3]
	v_cmp_ge_u32_e32 vcc, v34, v18
	s_and_saveexec_b64 s[2:3], vcc
	s_cbranch_execnz .LBB2869_212
.LBB2869_123:
	s_or_b64 exec, exec, s[2:3]
	v_cmp_ge_u32_e32 vcc, v32, v18
	s_and_saveexec_b64 s[2:3], vcc
	s_cbranch_execnz .LBB2869_213
.LBB2869_124:
	s_or_b64 exec, exec, s[2:3]
	v_cmp_ge_u32_e32 vcc, v29, v18
	s_and_saveexec_b64 s[2:3], vcc
	s_cbranch_execnz .LBB2869_214
.LBB2869_125:
	s_or_b64 exec, exec, s[2:3]
	v_cmp_ge_u32_e32 vcc, v27, v18
	s_and_saveexec_b64 s[2:3], vcc
	s_cbranch_execnz .LBB2869_215
.LBB2869_126:
	s_or_b64 exec, exec, s[2:3]
	v_cmp_ge_u32_e32 vcc, v25, v18
	s_and_saveexec_b64 s[2:3], vcc
	s_cbranch_execnz .LBB2869_216
.LBB2869_127:
	s_or_b64 exec, exec, s[2:3]
	v_cmp_ge_u32_e32 vcc, v23, v18
	s_and_saveexec_b64 s[2:3], vcc
	s_cbranch_execnz .LBB2869_217
.LBB2869_128:
	s_or_b64 exec, exec, s[2:3]
	v_cmp_ge_u32_e32 vcc, v21, v18
	s_and_saveexec_b64 s[2:3], vcc
	s_cbranch_execnz .LBB2869_218
.LBB2869_129:
	s_or_b64 exec, exec, s[2:3]
	v_cmp_ge_u32_e32 vcc, v13, v18
	s_and_saveexec_b64 s[2:3], vcc
	s_cbranch_execnz .LBB2869_219
.LBB2869_130:
	s_or_b64 exec, exec, s[2:3]
	v_cmp_ge_u32_e32 vcc, v11, v18
	s_and_saveexec_b64 s[2:3], vcc
	s_cbranch_execnz .LBB2869_220
.LBB2869_131:
	s_or_b64 exec, exec, s[2:3]
	v_cmp_ge_u32_e32 vcc, v9, v18
	s_and_saveexec_b64 s[2:3], vcc
	s_cbranch_execnz .LBB2869_221
.LBB2869_132:
	s_or_b64 exec, exec, s[2:3]
	v_cmp_ge_u32_e32 vcc, v8, v18
	s_and_saveexec_b64 s[2:3], vcc
	s_cbranch_execz .LBB2869_134
.LBB2869_133:
	v_lshlrev_b32_e32 v14, 1, v8
	v_readfirstlane_b32 s4, v4
	v_readfirstlane_b32 s5, v1
	s_waitcnt lgkmcnt(1)
	s_nop 3
	global_store_short v14, v7, s[4:5]
.LBB2869_134:
	s_or_b64 exec, exec, s[2:3]
	v_cmp_ge_u32_e64 s[2:3], v6, v18
	s_branch .LBB2869_191
.LBB2869_135:
	s_mov_b64 s[2:3], 0
	s_cbranch_execz .LBB2869_191
; %bb.136:
	v_cmp_gt_u32_e32 vcc, s33, v0
	v_cmp_ge_u32_e64 s[2:3], v0, v18
	s_and_b64 s[4:5], vcc, s[2:3]
	s_and_saveexec_b64 s[2:3], s[4:5]
	s_cbranch_execz .LBB2869_138
; %bb.137:
	v_readfirstlane_b32 s4, v4
	v_readfirstlane_b32 s5, v1
	s_waitcnt lgkmcnt(14)
	s_nop 3
	global_store_short v30, v66, s[4:5]
.LBB2869_138:
	s_or_b64 exec, exec, s[2:3]
	v_cmp_gt_u32_e32 vcc, s33, v64
	v_cmp_ge_u32_e64 s[2:3], v64, v18
	s_and_b64 s[4:5], vcc, s[2:3]
	s_and_saveexec_b64 s[2:3], s[4:5]
	s_cbranch_execz .LBB2869_140
; %bb.139:
	v_readfirstlane_b32 s4, v4
	v_readfirstlane_b32 s5, v1
	s_waitcnt lgkmcnt(14)
	s_nop 3
	global_store_short v30, v65, s[4:5] offset:512
.LBB2869_140:
	s_or_b64 exec, exec, s[2:3]
	v_cmp_gt_u32_e32 vcc, s33, v62
	v_cmp_ge_u32_e64 s[2:3], v62, v18
	s_and_b64 s[4:5], vcc, s[2:3]
	s_and_saveexec_b64 s[2:3], s[4:5]
	s_cbranch_execz .LBB2869_142
; %bb.141:
	v_readfirstlane_b32 s4, v4
	v_readfirstlane_b32 s5, v1
	s_waitcnt lgkmcnt(14)
	s_nop 3
	global_store_short v30, v63, s[4:5] offset:1024
.LBB2869_142:
	;; [unrolled: 13-line block ×7, first 2 shown]
	s_or_b64 exec, exec, s[2:3]
	v_cmp_gt_u32_e32 vcc, s33, v50
	v_cmp_ge_u32_e64 s[2:3], v50, v18
	s_and_b64 s[4:5], vcc, s[2:3]
	s_and_saveexec_b64 s[2:3], s[4:5]
	s_cbranch_execz .LBB2869_154
; %bb.153:
	v_lshlrev_b32_e32 v0, 1, v50
	v_readfirstlane_b32 s4, v4
	v_readfirstlane_b32 s5, v1
	s_waitcnt lgkmcnt(14)
	s_nop 3
	global_store_short v0, v51, s[4:5]
.LBB2869_154:
	s_or_b64 exec, exec, s[2:3]
	v_cmp_gt_u32_e32 vcc, s33, v48
	v_cmp_ge_u32_e64 s[2:3], v48, v18
	s_and_b64 s[4:5], vcc, s[2:3]
	s_and_saveexec_b64 s[2:3], s[4:5]
	s_cbranch_execz .LBB2869_156
; %bb.155:
	v_lshlrev_b32_e32 v0, 1, v48
	v_readfirstlane_b32 s4, v4
	v_readfirstlane_b32 s5, v1
	s_waitcnt lgkmcnt(14)
	s_nop 3
	global_store_short v0, v49, s[4:5]
.LBB2869_156:
	;; [unrolled: 14-line block ×19, first 2 shown]
	s_or_b64 exec, exec, s[2:3]
	v_cmp_gt_u32_e32 vcc, s33, v6
	v_cmp_ge_u32_e64 s[2:3], v6, v18
	s_and_b64 s[2:3], vcc, s[2:3]
.LBB2869_191:
	s_and_saveexec_b64 s[4:5], s[2:3]
	s_cbranch_execnz .LBB2869_194
; %bb.192:
	s_or_b64 exec, exec, s[4:5]
	s_and_b64 s[0:1], s[0:1], s[22:23]
	s_and_saveexec_b64 s[2:3], s[0:1]
	s_cbranch_execnz .LBB2869_195
.LBB2869_193:
	s_endpgm
.LBB2869_194:
	v_lshlrev_b32_e32 v0, 1, v6
	v_readfirstlane_b32 s2, v4
	v_readfirstlane_b32 s3, v1
	s_waitcnt lgkmcnt(0)
	s_nop 3
	global_store_short v0, v5, s[2:3]
	s_or_b64 exec, exec, s[4:5]
	s_and_b64 s[0:1], s[0:1], s[22:23]
	s_and_saveexec_b64 s[2:3], s[0:1]
	s_cbranch_execz .LBB2869_193
.LBB2869_195:
	v_mov_b32_e32 v0, 0
	global_store_dwordx2 v0, v[2:3], s[20:21]
	s_endpgm
.LBB2869_196:
	v_readfirstlane_b32 s2, v4
	v_readfirstlane_b32 s3, v1
	s_waitcnt lgkmcnt(14)
	s_nop 3
	global_store_short v30, v66, s[2:3]
	s_or_b64 exec, exec, s[4:5]
	v_cmp_ge_u32_e32 vcc, v64, v18
	s_and_saveexec_b64 s[2:3], vcc
	s_cbranch_execz .LBB2869_108
.LBB2869_197:
	v_readfirstlane_b32 s4, v4
	v_readfirstlane_b32 s5, v1
	s_waitcnt lgkmcnt(14)
	s_nop 3
	global_store_short v30, v65, s[4:5] offset:512
	s_or_b64 exec, exec, s[2:3]
	v_cmp_ge_u32_e32 vcc, v62, v18
	s_and_saveexec_b64 s[2:3], vcc
	s_cbranch_execz .LBB2869_109
.LBB2869_198:
	v_readfirstlane_b32 s4, v4
	v_readfirstlane_b32 s5, v1
	s_waitcnt lgkmcnt(14)
	s_nop 3
	global_store_short v30, v63, s[4:5] offset:1024
	s_or_b64 exec, exec, s[2:3]
	v_cmp_ge_u32_e32 vcc, v60, v18
	s_and_saveexec_b64 s[2:3], vcc
	s_cbranch_execz .LBB2869_110
.LBB2869_199:
	v_readfirstlane_b32 s4, v4
	v_readfirstlane_b32 s5, v1
	s_waitcnt lgkmcnt(14)
	s_nop 3
	global_store_short v30, v61, s[4:5] offset:1536
	s_or_b64 exec, exec, s[2:3]
	v_cmp_ge_u32_e32 vcc, v59, v18
	s_and_saveexec_b64 s[2:3], vcc
	s_cbranch_execz .LBB2869_111
.LBB2869_200:
	v_readfirstlane_b32 s4, v4
	v_readfirstlane_b32 s5, v1
	s_waitcnt lgkmcnt(14)
	s_nop 3
	global_store_short v30, v58, s[4:5] offset:2048
	s_or_b64 exec, exec, s[2:3]
	v_cmp_ge_u32_e32 vcc, v57, v18
	s_and_saveexec_b64 s[2:3], vcc
	s_cbranch_execz .LBB2869_112
.LBB2869_201:
	v_readfirstlane_b32 s4, v4
	v_readfirstlane_b32 s5, v1
	s_waitcnt lgkmcnt(14)
	s_nop 3
	global_store_short v30, v56, s[4:5] offset:2560
	s_or_b64 exec, exec, s[2:3]
	v_cmp_ge_u32_e32 vcc, v55, v18
	s_and_saveexec_b64 s[2:3], vcc
	s_cbranch_execz .LBB2869_113
.LBB2869_202:
	v_readfirstlane_b32 s4, v4
	v_readfirstlane_b32 s5, v1
	s_waitcnt lgkmcnt(14)
	s_nop 3
	global_store_short v30, v54, s[4:5] offset:3072
	s_or_b64 exec, exec, s[2:3]
	v_cmp_ge_u32_e32 vcc, v53, v18
	s_and_saveexec_b64 s[2:3], vcc
	s_cbranch_execz .LBB2869_114
.LBB2869_203:
	v_readfirstlane_b32 s4, v4
	v_readfirstlane_b32 s5, v1
	s_waitcnt lgkmcnt(14)
	s_nop 3
	global_store_short v30, v52, s[4:5] offset:3584
	s_or_b64 exec, exec, s[2:3]
	v_cmp_ge_u32_e32 vcc, v50, v18
	s_and_saveexec_b64 s[2:3], vcc
	s_cbranch_execz .LBB2869_115
.LBB2869_204:
	v_lshlrev_b32_e32 v14, 1, v50
	v_readfirstlane_b32 s4, v4
	v_readfirstlane_b32 s5, v1
	s_waitcnt lgkmcnt(14)
	s_nop 3
	global_store_short v14, v51, s[4:5]
	s_or_b64 exec, exec, s[2:3]
	v_cmp_ge_u32_e32 vcc, v48, v18
	s_and_saveexec_b64 s[2:3], vcc
	s_cbranch_execz .LBB2869_116
.LBB2869_205:
	v_lshlrev_b32_e32 v14, 1, v48
	v_readfirstlane_b32 s4, v4
	v_readfirstlane_b32 s5, v1
	s_waitcnt lgkmcnt(14)
	s_nop 3
	global_store_short v14, v49, s[4:5]
	s_or_b64 exec, exec, s[2:3]
	v_cmp_ge_u32_e32 vcc, v46, v18
	s_and_saveexec_b64 s[2:3], vcc
	s_cbranch_execz .LBB2869_117
.LBB2869_206:
	v_lshlrev_b32_e32 v14, 1, v46
	v_readfirstlane_b32 s4, v4
	v_readfirstlane_b32 s5, v1
	s_waitcnt lgkmcnt(14)
	s_nop 3
	global_store_short v14, v47, s[4:5]
	s_or_b64 exec, exec, s[2:3]
	v_cmp_ge_u32_e32 vcc, v44, v18
	s_and_saveexec_b64 s[2:3], vcc
	s_cbranch_execz .LBB2869_118
.LBB2869_207:
	v_lshlrev_b32_e32 v14, 1, v44
	v_readfirstlane_b32 s4, v4
	v_readfirstlane_b32 s5, v1
	s_waitcnt lgkmcnt(14)
	s_nop 3
	global_store_short v14, v45, s[4:5]
	s_or_b64 exec, exec, s[2:3]
	v_cmp_ge_u32_e32 vcc, v42, v18
	s_and_saveexec_b64 s[2:3], vcc
	s_cbranch_execz .LBB2869_119
.LBB2869_208:
	v_lshlrev_b32_e32 v14, 1, v42
	v_readfirstlane_b32 s4, v4
	v_readfirstlane_b32 s5, v1
	s_waitcnt lgkmcnt(14)
	s_nop 3
	global_store_short v14, v43, s[4:5]
	s_or_b64 exec, exec, s[2:3]
	v_cmp_ge_u32_e32 vcc, v40, v18
	s_and_saveexec_b64 s[2:3], vcc
	s_cbranch_execz .LBB2869_120
.LBB2869_209:
	v_lshlrev_b32_e32 v14, 1, v40
	v_readfirstlane_b32 s4, v4
	v_readfirstlane_b32 s5, v1
	s_waitcnt lgkmcnt(14)
	s_nop 3
	global_store_short v14, v41, s[4:5]
	s_or_b64 exec, exec, s[2:3]
	v_cmp_ge_u32_e32 vcc, v38, v18
	s_and_saveexec_b64 s[2:3], vcc
	s_cbranch_execz .LBB2869_121
.LBB2869_210:
	v_lshlrev_b32_e32 v14, 1, v38
	v_readfirstlane_b32 s4, v4
	v_readfirstlane_b32 s5, v1
	s_waitcnt lgkmcnt(13)
	s_nop 3
	global_store_short v14, v39, s[4:5]
	s_or_b64 exec, exec, s[2:3]
	v_cmp_ge_u32_e32 vcc, v35, v18
	s_and_saveexec_b64 s[2:3], vcc
	s_cbranch_execz .LBB2869_122
.LBB2869_211:
	v_lshlrev_b32_e32 v14, 1, v35
	v_readfirstlane_b32 s4, v4
	v_readfirstlane_b32 s5, v1
	s_waitcnt lgkmcnt(12)
	s_nop 3
	global_store_short v14, v37, s[4:5]
	s_or_b64 exec, exec, s[2:3]
	v_cmp_ge_u32_e32 vcc, v34, v18
	s_and_saveexec_b64 s[2:3], vcc
	s_cbranch_execz .LBB2869_123
.LBB2869_212:
	v_lshlrev_b32_e32 v14, 1, v34
	v_readfirstlane_b32 s4, v4
	v_readfirstlane_b32 s5, v1
	s_waitcnt lgkmcnt(11)
	s_nop 3
	global_store_short v14, v36, s[4:5]
	s_or_b64 exec, exec, s[2:3]
	v_cmp_ge_u32_e32 vcc, v32, v18
	s_and_saveexec_b64 s[2:3], vcc
	s_cbranch_execz .LBB2869_124
.LBB2869_213:
	v_lshlrev_b32_e32 v14, 1, v32
	v_readfirstlane_b32 s4, v4
	v_readfirstlane_b32 s5, v1
	s_waitcnt lgkmcnt(10)
	s_nop 3
	global_store_short v14, v33, s[4:5]
	s_or_b64 exec, exec, s[2:3]
	v_cmp_ge_u32_e32 vcc, v29, v18
	s_and_saveexec_b64 s[2:3], vcc
	s_cbranch_execz .LBB2869_125
.LBB2869_214:
	v_lshlrev_b32_e32 v14, 1, v29
	v_readfirstlane_b32 s4, v4
	v_readfirstlane_b32 s5, v1
	s_waitcnt lgkmcnt(9)
	s_nop 3
	global_store_short v14, v31, s[4:5]
	s_or_b64 exec, exec, s[2:3]
	v_cmp_ge_u32_e32 vcc, v27, v18
	s_and_saveexec_b64 s[2:3], vcc
	s_cbranch_execz .LBB2869_126
.LBB2869_215:
	v_lshlrev_b32_e32 v14, 1, v27
	v_readfirstlane_b32 s4, v4
	v_readfirstlane_b32 s5, v1
	s_waitcnt lgkmcnt(8)
	s_nop 3
	global_store_short v14, v28, s[4:5]
	s_or_b64 exec, exec, s[2:3]
	v_cmp_ge_u32_e32 vcc, v25, v18
	s_and_saveexec_b64 s[2:3], vcc
	s_cbranch_execz .LBB2869_127
.LBB2869_216:
	v_lshlrev_b32_e32 v14, 1, v25
	v_readfirstlane_b32 s4, v4
	v_readfirstlane_b32 s5, v1
	s_waitcnt lgkmcnt(7)
	s_nop 3
	global_store_short v14, v26, s[4:5]
	s_or_b64 exec, exec, s[2:3]
	v_cmp_ge_u32_e32 vcc, v23, v18
	s_and_saveexec_b64 s[2:3], vcc
	s_cbranch_execz .LBB2869_128
.LBB2869_217:
	v_lshlrev_b32_e32 v14, 1, v23
	v_readfirstlane_b32 s4, v4
	v_readfirstlane_b32 s5, v1
	s_waitcnt lgkmcnt(6)
	s_nop 3
	global_store_short v14, v24, s[4:5]
	s_or_b64 exec, exec, s[2:3]
	v_cmp_ge_u32_e32 vcc, v21, v18
	s_and_saveexec_b64 s[2:3], vcc
	s_cbranch_execz .LBB2869_129
.LBB2869_218:
	v_lshlrev_b32_e32 v14, 1, v21
	v_readfirstlane_b32 s4, v4
	v_readfirstlane_b32 s5, v1
	s_waitcnt lgkmcnt(5)
	s_nop 3
	global_store_short v14, v22, s[4:5]
	s_or_b64 exec, exec, s[2:3]
	v_cmp_ge_u32_e32 vcc, v13, v18
	s_and_saveexec_b64 s[2:3], vcc
	s_cbranch_execz .LBB2869_130
.LBB2869_219:
	v_lshlrev_b32_e32 v14, 1, v13
	v_readfirstlane_b32 s4, v4
	v_readfirstlane_b32 s5, v1
	s_waitcnt lgkmcnt(4)
	s_nop 3
	global_store_short v14, v20, s[4:5]
	s_or_b64 exec, exec, s[2:3]
	v_cmp_ge_u32_e32 vcc, v11, v18
	s_and_saveexec_b64 s[2:3], vcc
	s_cbranch_execz .LBB2869_131
.LBB2869_220:
	v_lshlrev_b32_e32 v14, 1, v11
	v_readfirstlane_b32 s4, v4
	v_readfirstlane_b32 s5, v1
	s_waitcnt lgkmcnt(3)
	s_nop 3
	global_store_short v14, v12, s[4:5]
	s_or_b64 exec, exec, s[2:3]
	v_cmp_ge_u32_e32 vcc, v9, v18
	s_and_saveexec_b64 s[2:3], vcc
	s_cbranch_execz .LBB2869_132
.LBB2869_221:
	v_lshlrev_b32_e32 v14, 1, v9
	v_readfirstlane_b32 s4, v4
	v_readfirstlane_b32 s5, v1
	s_waitcnt lgkmcnt(2)
	s_nop 3
	global_store_short v14, v10, s[4:5]
	s_or_b64 exec, exec, s[2:3]
	v_cmp_ge_u32_e32 vcc, v8, v18
	s_and_saveexec_b64 s[2:3], vcc
	s_cbranch_execnz .LBB2869_133
	s_branch .LBB2869_134
	.section	.rodata,"a",@progbits
	.p2align	6, 0x0
	.amdhsa_kernel _ZN7rocprim17ROCPRIM_400000_NS6detail17trampoline_kernelINS0_14default_configENS1_25partition_config_selectorILNS1_17partition_subalgoE0EsNS0_10empty_typeEbEEZZNS1_14partition_implILS5_0ELb0ES3_jN6thrust23THRUST_200600_302600_NS6detail15normal_iteratorINSA_10device_ptrIsEEEEPS6_SG_NS0_5tupleIJNSA_16discard_iteratorINSA_11use_defaultEEESF_EEENSH_IJSG_SG_EEES6_PlJ7is_evenIsEEEE10hipError_tPvRmT3_T4_T5_T6_T7_T9_mT8_P12ihipStream_tbDpT10_ENKUlT_T0_E_clISt17integral_constantIbLb0EES18_IbLb1EEEEDaS14_S15_EUlS14_E_NS1_11comp_targetILNS1_3genE4ELNS1_11target_archE910ELNS1_3gpuE8ELNS1_3repE0EEENS1_30default_config_static_selectorELNS0_4arch9wavefront6targetE1EEEvT1_
		.amdhsa_group_segment_fixed_size 14344
		.amdhsa_private_segment_fixed_size 0
		.amdhsa_kernarg_size 144
		.amdhsa_user_sgpr_count 6
		.amdhsa_user_sgpr_private_segment_buffer 1
		.amdhsa_user_sgpr_dispatch_ptr 0
		.amdhsa_user_sgpr_queue_ptr 0
		.amdhsa_user_sgpr_kernarg_segment_ptr 1
		.amdhsa_user_sgpr_dispatch_id 0
		.amdhsa_user_sgpr_flat_scratch_init 0
		.amdhsa_user_sgpr_kernarg_preload_length 0
		.amdhsa_user_sgpr_kernarg_preload_offset 0
		.amdhsa_user_sgpr_private_segment_size 0
		.amdhsa_uses_dynamic_stack 0
		.amdhsa_system_sgpr_private_segment_wavefront_offset 0
		.amdhsa_system_sgpr_workgroup_id_x 1
		.amdhsa_system_sgpr_workgroup_id_y 0
		.amdhsa_system_sgpr_workgroup_id_z 0
		.amdhsa_system_sgpr_workgroup_info 0
		.amdhsa_system_vgpr_workitem_id 0
		.amdhsa_next_free_vgpr 118
		.amdhsa_next_free_sgpr 42
		.amdhsa_accum_offset 120
		.amdhsa_reserve_vcc 1
		.amdhsa_reserve_flat_scratch 0
		.amdhsa_float_round_mode_32 0
		.amdhsa_float_round_mode_16_64 0
		.amdhsa_float_denorm_mode_32 3
		.amdhsa_float_denorm_mode_16_64 3
		.amdhsa_dx10_clamp 1
		.amdhsa_ieee_mode 1
		.amdhsa_fp16_overflow 0
		.amdhsa_tg_split 0
		.amdhsa_exception_fp_ieee_invalid_op 0
		.amdhsa_exception_fp_denorm_src 0
		.amdhsa_exception_fp_ieee_div_zero 0
		.amdhsa_exception_fp_ieee_overflow 0
		.amdhsa_exception_fp_ieee_underflow 0
		.amdhsa_exception_fp_ieee_inexact 0
		.amdhsa_exception_int_div_zero 0
	.end_amdhsa_kernel
	.section	.text._ZN7rocprim17ROCPRIM_400000_NS6detail17trampoline_kernelINS0_14default_configENS1_25partition_config_selectorILNS1_17partition_subalgoE0EsNS0_10empty_typeEbEEZZNS1_14partition_implILS5_0ELb0ES3_jN6thrust23THRUST_200600_302600_NS6detail15normal_iteratorINSA_10device_ptrIsEEEEPS6_SG_NS0_5tupleIJNSA_16discard_iteratorINSA_11use_defaultEEESF_EEENSH_IJSG_SG_EEES6_PlJ7is_evenIsEEEE10hipError_tPvRmT3_T4_T5_T6_T7_T9_mT8_P12ihipStream_tbDpT10_ENKUlT_T0_E_clISt17integral_constantIbLb0EES18_IbLb1EEEEDaS14_S15_EUlS14_E_NS1_11comp_targetILNS1_3genE4ELNS1_11target_archE910ELNS1_3gpuE8ELNS1_3repE0EEENS1_30default_config_static_selectorELNS0_4arch9wavefront6targetE1EEEvT1_,"axG",@progbits,_ZN7rocprim17ROCPRIM_400000_NS6detail17trampoline_kernelINS0_14default_configENS1_25partition_config_selectorILNS1_17partition_subalgoE0EsNS0_10empty_typeEbEEZZNS1_14partition_implILS5_0ELb0ES3_jN6thrust23THRUST_200600_302600_NS6detail15normal_iteratorINSA_10device_ptrIsEEEEPS6_SG_NS0_5tupleIJNSA_16discard_iteratorINSA_11use_defaultEEESF_EEENSH_IJSG_SG_EEES6_PlJ7is_evenIsEEEE10hipError_tPvRmT3_T4_T5_T6_T7_T9_mT8_P12ihipStream_tbDpT10_ENKUlT_T0_E_clISt17integral_constantIbLb0EES18_IbLb1EEEEDaS14_S15_EUlS14_E_NS1_11comp_targetILNS1_3genE4ELNS1_11target_archE910ELNS1_3gpuE8ELNS1_3repE0EEENS1_30default_config_static_selectorELNS0_4arch9wavefront6targetE1EEEvT1_,comdat
.Lfunc_end2869:
	.size	_ZN7rocprim17ROCPRIM_400000_NS6detail17trampoline_kernelINS0_14default_configENS1_25partition_config_selectorILNS1_17partition_subalgoE0EsNS0_10empty_typeEbEEZZNS1_14partition_implILS5_0ELb0ES3_jN6thrust23THRUST_200600_302600_NS6detail15normal_iteratorINSA_10device_ptrIsEEEEPS6_SG_NS0_5tupleIJNSA_16discard_iteratorINSA_11use_defaultEEESF_EEENSH_IJSG_SG_EEES6_PlJ7is_evenIsEEEE10hipError_tPvRmT3_T4_T5_T6_T7_T9_mT8_P12ihipStream_tbDpT10_ENKUlT_T0_E_clISt17integral_constantIbLb0EES18_IbLb1EEEEDaS14_S15_EUlS14_E_NS1_11comp_targetILNS1_3genE4ELNS1_11target_archE910ELNS1_3gpuE8ELNS1_3repE0EEENS1_30default_config_static_selectorELNS0_4arch9wavefront6targetE1EEEvT1_, .Lfunc_end2869-_ZN7rocprim17ROCPRIM_400000_NS6detail17trampoline_kernelINS0_14default_configENS1_25partition_config_selectorILNS1_17partition_subalgoE0EsNS0_10empty_typeEbEEZZNS1_14partition_implILS5_0ELb0ES3_jN6thrust23THRUST_200600_302600_NS6detail15normal_iteratorINSA_10device_ptrIsEEEEPS6_SG_NS0_5tupleIJNSA_16discard_iteratorINSA_11use_defaultEEESF_EEENSH_IJSG_SG_EEES6_PlJ7is_evenIsEEEE10hipError_tPvRmT3_T4_T5_T6_T7_T9_mT8_P12ihipStream_tbDpT10_ENKUlT_T0_E_clISt17integral_constantIbLb0EES18_IbLb1EEEEDaS14_S15_EUlS14_E_NS1_11comp_targetILNS1_3genE4ELNS1_11target_archE910ELNS1_3gpuE8ELNS1_3repE0EEENS1_30default_config_static_selectorELNS0_4arch9wavefront6targetE1EEEvT1_
                                        ; -- End function
	.section	.AMDGPU.csdata,"",@progbits
; Kernel info:
; codeLenInByte = 10236
; NumSgprs: 46
; NumVgprs: 118
; NumAgprs: 0
; TotalNumVgprs: 118
; ScratchSize: 0
; MemoryBound: 0
; FloatMode: 240
; IeeeMode: 1
; LDSByteSize: 14344 bytes/workgroup (compile time only)
; SGPRBlocks: 5
; VGPRBlocks: 14
; NumSGPRsForWavesPerEU: 46
; NumVGPRsForWavesPerEU: 118
; AccumOffset: 120
; Occupancy: 4
; WaveLimiterHint : 1
; COMPUTE_PGM_RSRC2:SCRATCH_EN: 0
; COMPUTE_PGM_RSRC2:USER_SGPR: 6
; COMPUTE_PGM_RSRC2:TRAP_HANDLER: 0
; COMPUTE_PGM_RSRC2:TGID_X_EN: 1
; COMPUTE_PGM_RSRC2:TGID_Y_EN: 0
; COMPUTE_PGM_RSRC2:TGID_Z_EN: 0
; COMPUTE_PGM_RSRC2:TIDIG_COMP_CNT: 0
; COMPUTE_PGM_RSRC3_GFX90A:ACCUM_OFFSET: 29
; COMPUTE_PGM_RSRC3_GFX90A:TG_SPLIT: 0
	.section	.text._ZN7rocprim17ROCPRIM_400000_NS6detail17trampoline_kernelINS0_14default_configENS1_25partition_config_selectorILNS1_17partition_subalgoE0EsNS0_10empty_typeEbEEZZNS1_14partition_implILS5_0ELb0ES3_jN6thrust23THRUST_200600_302600_NS6detail15normal_iteratorINSA_10device_ptrIsEEEEPS6_SG_NS0_5tupleIJNSA_16discard_iteratorINSA_11use_defaultEEESF_EEENSH_IJSG_SG_EEES6_PlJ7is_evenIsEEEE10hipError_tPvRmT3_T4_T5_T6_T7_T9_mT8_P12ihipStream_tbDpT10_ENKUlT_T0_E_clISt17integral_constantIbLb0EES18_IbLb1EEEEDaS14_S15_EUlS14_E_NS1_11comp_targetILNS1_3genE3ELNS1_11target_archE908ELNS1_3gpuE7ELNS1_3repE0EEENS1_30default_config_static_selectorELNS0_4arch9wavefront6targetE1EEEvT1_,"axG",@progbits,_ZN7rocprim17ROCPRIM_400000_NS6detail17trampoline_kernelINS0_14default_configENS1_25partition_config_selectorILNS1_17partition_subalgoE0EsNS0_10empty_typeEbEEZZNS1_14partition_implILS5_0ELb0ES3_jN6thrust23THRUST_200600_302600_NS6detail15normal_iteratorINSA_10device_ptrIsEEEEPS6_SG_NS0_5tupleIJNSA_16discard_iteratorINSA_11use_defaultEEESF_EEENSH_IJSG_SG_EEES6_PlJ7is_evenIsEEEE10hipError_tPvRmT3_T4_T5_T6_T7_T9_mT8_P12ihipStream_tbDpT10_ENKUlT_T0_E_clISt17integral_constantIbLb0EES18_IbLb1EEEEDaS14_S15_EUlS14_E_NS1_11comp_targetILNS1_3genE3ELNS1_11target_archE908ELNS1_3gpuE7ELNS1_3repE0EEENS1_30default_config_static_selectorELNS0_4arch9wavefront6targetE1EEEvT1_,comdat
	.protected	_ZN7rocprim17ROCPRIM_400000_NS6detail17trampoline_kernelINS0_14default_configENS1_25partition_config_selectorILNS1_17partition_subalgoE0EsNS0_10empty_typeEbEEZZNS1_14partition_implILS5_0ELb0ES3_jN6thrust23THRUST_200600_302600_NS6detail15normal_iteratorINSA_10device_ptrIsEEEEPS6_SG_NS0_5tupleIJNSA_16discard_iteratorINSA_11use_defaultEEESF_EEENSH_IJSG_SG_EEES6_PlJ7is_evenIsEEEE10hipError_tPvRmT3_T4_T5_T6_T7_T9_mT8_P12ihipStream_tbDpT10_ENKUlT_T0_E_clISt17integral_constantIbLb0EES18_IbLb1EEEEDaS14_S15_EUlS14_E_NS1_11comp_targetILNS1_3genE3ELNS1_11target_archE908ELNS1_3gpuE7ELNS1_3repE0EEENS1_30default_config_static_selectorELNS0_4arch9wavefront6targetE1EEEvT1_ ; -- Begin function _ZN7rocprim17ROCPRIM_400000_NS6detail17trampoline_kernelINS0_14default_configENS1_25partition_config_selectorILNS1_17partition_subalgoE0EsNS0_10empty_typeEbEEZZNS1_14partition_implILS5_0ELb0ES3_jN6thrust23THRUST_200600_302600_NS6detail15normal_iteratorINSA_10device_ptrIsEEEEPS6_SG_NS0_5tupleIJNSA_16discard_iteratorINSA_11use_defaultEEESF_EEENSH_IJSG_SG_EEES6_PlJ7is_evenIsEEEE10hipError_tPvRmT3_T4_T5_T6_T7_T9_mT8_P12ihipStream_tbDpT10_ENKUlT_T0_E_clISt17integral_constantIbLb0EES18_IbLb1EEEEDaS14_S15_EUlS14_E_NS1_11comp_targetILNS1_3genE3ELNS1_11target_archE908ELNS1_3gpuE7ELNS1_3repE0EEENS1_30default_config_static_selectorELNS0_4arch9wavefront6targetE1EEEvT1_
	.globl	_ZN7rocprim17ROCPRIM_400000_NS6detail17trampoline_kernelINS0_14default_configENS1_25partition_config_selectorILNS1_17partition_subalgoE0EsNS0_10empty_typeEbEEZZNS1_14partition_implILS5_0ELb0ES3_jN6thrust23THRUST_200600_302600_NS6detail15normal_iteratorINSA_10device_ptrIsEEEEPS6_SG_NS0_5tupleIJNSA_16discard_iteratorINSA_11use_defaultEEESF_EEENSH_IJSG_SG_EEES6_PlJ7is_evenIsEEEE10hipError_tPvRmT3_T4_T5_T6_T7_T9_mT8_P12ihipStream_tbDpT10_ENKUlT_T0_E_clISt17integral_constantIbLb0EES18_IbLb1EEEEDaS14_S15_EUlS14_E_NS1_11comp_targetILNS1_3genE3ELNS1_11target_archE908ELNS1_3gpuE7ELNS1_3repE0EEENS1_30default_config_static_selectorELNS0_4arch9wavefront6targetE1EEEvT1_
	.p2align	8
	.type	_ZN7rocprim17ROCPRIM_400000_NS6detail17trampoline_kernelINS0_14default_configENS1_25partition_config_selectorILNS1_17partition_subalgoE0EsNS0_10empty_typeEbEEZZNS1_14partition_implILS5_0ELb0ES3_jN6thrust23THRUST_200600_302600_NS6detail15normal_iteratorINSA_10device_ptrIsEEEEPS6_SG_NS0_5tupleIJNSA_16discard_iteratorINSA_11use_defaultEEESF_EEENSH_IJSG_SG_EEES6_PlJ7is_evenIsEEEE10hipError_tPvRmT3_T4_T5_T6_T7_T9_mT8_P12ihipStream_tbDpT10_ENKUlT_T0_E_clISt17integral_constantIbLb0EES18_IbLb1EEEEDaS14_S15_EUlS14_E_NS1_11comp_targetILNS1_3genE3ELNS1_11target_archE908ELNS1_3gpuE7ELNS1_3repE0EEENS1_30default_config_static_selectorELNS0_4arch9wavefront6targetE1EEEvT1_,@function
_ZN7rocprim17ROCPRIM_400000_NS6detail17trampoline_kernelINS0_14default_configENS1_25partition_config_selectorILNS1_17partition_subalgoE0EsNS0_10empty_typeEbEEZZNS1_14partition_implILS5_0ELb0ES3_jN6thrust23THRUST_200600_302600_NS6detail15normal_iteratorINSA_10device_ptrIsEEEEPS6_SG_NS0_5tupleIJNSA_16discard_iteratorINSA_11use_defaultEEESF_EEENSH_IJSG_SG_EEES6_PlJ7is_evenIsEEEE10hipError_tPvRmT3_T4_T5_T6_T7_T9_mT8_P12ihipStream_tbDpT10_ENKUlT_T0_E_clISt17integral_constantIbLb0EES18_IbLb1EEEEDaS14_S15_EUlS14_E_NS1_11comp_targetILNS1_3genE3ELNS1_11target_archE908ELNS1_3gpuE7ELNS1_3repE0EEENS1_30default_config_static_selectorELNS0_4arch9wavefront6targetE1EEEvT1_: ; @_ZN7rocprim17ROCPRIM_400000_NS6detail17trampoline_kernelINS0_14default_configENS1_25partition_config_selectorILNS1_17partition_subalgoE0EsNS0_10empty_typeEbEEZZNS1_14partition_implILS5_0ELb0ES3_jN6thrust23THRUST_200600_302600_NS6detail15normal_iteratorINSA_10device_ptrIsEEEEPS6_SG_NS0_5tupleIJNSA_16discard_iteratorINSA_11use_defaultEEESF_EEENSH_IJSG_SG_EEES6_PlJ7is_evenIsEEEE10hipError_tPvRmT3_T4_T5_T6_T7_T9_mT8_P12ihipStream_tbDpT10_ENKUlT_T0_E_clISt17integral_constantIbLb0EES18_IbLb1EEEEDaS14_S15_EUlS14_E_NS1_11comp_targetILNS1_3genE3ELNS1_11target_archE908ELNS1_3gpuE7ELNS1_3repE0EEENS1_30default_config_static_selectorELNS0_4arch9wavefront6targetE1EEEvT1_
; %bb.0:
	.section	.rodata,"a",@progbits
	.p2align	6, 0x0
	.amdhsa_kernel _ZN7rocprim17ROCPRIM_400000_NS6detail17trampoline_kernelINS0_14default_configENS1_25partition_config_selectorILNS1_17partition_subalgoE0EsNS0_10empty_typeEbEEZZNS1_14partition_implILS5_0ELb0ES3_jN6thrust23THRUST_200600_302600_NS6detail15normal_iteratorINSA_10device_ptrIsEEEEPS6_SG_NS0_5tupleIJNSA_16discard_iteratorINSA_11use_defaultEEESF_EEENSH_IJSG_SG_EEES6_PlJ7is_evenIsEEEE10hipError_tPvRmT3_T4_T5_T6_T7_T9_mT8_P12ihipStream_tbDpT10_ENKUlT_T0_E_clISt17integral_constantIbLb0EES18_IbLb1EEEEDaS14_S15_EUlS14_E_NS1_11comp_targetILNS1_3genE3ELNS1_11target_archE908ELNS1_3gpuE7ELNS1_3repE0EEENS1_30default_config_static_selectorELNS0_4arch9wavefront6targetE1EEEvT1_
		.amdhsa_group_segment_fixed_size 0
		.amdhsa_private_segment_fixed_size 0
		.amdhsa_kernarg_size 144
		.amdhsa_user_sgpr_count 6
		.amdhsa_user_sgpr_private_segment_buffer 1
		.amdhsa_user_sgpr_dispatch_ptr 0
		.amdhsa_user_sgpr_queue_ptr 0
		.amdhsa_user_sgpr_kernarg_segment_ptr 1
		.amdhsa_user_sgpr_dispatch_id 0
		.amdhsa_user_sgpr_flat_scratch_init 0
		.amdhsa_user_sgpr_kernarg_preload_length 0
		.amdhsa_user_sgpr_kernarg_preload_offset 0
		.amdhsa_user_sgpr_private_segment_size 0
		.amdhsa_uses_dynamic_stack 0
		.amdhsa_system_sgpr_private_segment_wavefront_offset 0
		.amdhsa_system_sgpr_workgroup_id_x 1
		.amdhsa_system_sgpr_workgroup_id_y 0
		.amdhsa_system_sgpr_workgroup_id_z 0
		.amdhsa_system_sgpr_workgroup_info 0
		.amdhsa_system_vgpr_workitem_id 0
		.amdhsa_next_free_vgpr 1
		.amdhsa_next_free_sgpr 0
		.amdhsa_accum_offset 4
		.amdhsa_reserve_vcc 0
		.amdhsa_reserve_flat_scratch 0
		.amdhsa_float_round_mode_32 0
		.amdhsa_float_round_mode_16_64 0
		.amdhsa_float_denorm_mode_32 3
		.amdhsa_float_denorm_mode_16_64 3
		.amdhsa_dx10_clamp 1
		.amdhsa_ieee_mode 1
		.amdhsa_fp16_overflow 0
		.amdhsa_tg_split 0
		.amdhsa_exception_fp_ieee_invalid_op 0
		.amdhsa_exception_fp_denorm_src 0
		.amdhsa_exception_fp_ieee_div_zero 0
		.amdhsa_exception_fp_ieee_overflow 0
		.amdhsa_exception_fp_ieee_underflow 0
		.amdhsa_exception_fp_ieee_inexact 0
		.amdhsa_exception_int_div_zero 0
	.end_amdhsa_kernel
	.section	.text._ZN7rocprim17ROCPRIM_400000_NS6detail17trampoline_kernelINS0_14default_configENS1_25partition_config_selectorILNS1_17partition_subalgoE0EsNS0_10empty_typeEbEEZZNS1_14partition_implILS5_0ELb0ES3_jN6thrust23THRUST_200600_302600_NS6detail15normal_iteratorINSA_10device_ptrIsEEEEPS6_SG_NS0_5tupleIJNSA_16discard_iteratorINSA_11use_defaultEEESF_EEENSH_IJSG_SG_EEES6_PlJ7is_evenIsEEEE10hipError_tPvRmT3_T4_T5_T6_T7_T9_mT8_P12ihipStream_tbDpT10_ENKUlT_T0_E_clISt17integral_constantIbLb0EES18_IbLb1EEEEDaS14_S15_EUlS14_E_NS1_11comp_targetILNS1_3genE3ELNS1_11target_archE908ELNS1_3gpuE7ELNS1_3repE0EEENS1_30default_config_static_selectorELNS0_4arch9wavefront6targetE1EEEvT1_,"axG",@progbits,_ZN7rocprim17ROCPRIM_400000_NS6detail17trampoline_kernelINS0_14default_configENS1_25partition_config_selectorILNS1_17partition_subalgoE0EsNS0_10empty_typeEbEEZZNS1_14partition_implILS5_0ELb0ES3_jN6thrust23THRUST_200600_302600_NS6detail15normal_iteratorINSA_10device_ptrIsEEEEPS6_SG_NS0_5tupleIJNSA_16discard_iteratorINSA_11use_defaultEEESF_EEENSH_IJSG_SG_EEES6_PlJ7is_evenIsEEEE10hipError_tPvRmT3_T4_T5_T6_T7_T9_mT8_P12ihipStream_tbDpT10_ENKUlT_T0_E_clISt17integral_constantIbLb0EES18_IbLb1EEEEDaS14_S15_EUlS14_E_NS1_11comp_targetILNS1_3genE3ELNS1_11target_archE908ELNS1_3gpuE7ELNS1_3repE0EEENS1_30default_config_static_selectorELNS0_4arch9wavefront6targetE1EEEvT1_,comdat
.Lfunc_end2870:
	.size	_ZN7rocprim17ROCPRIM_400000_NS6detail17trampoline_kernelINS0_14default_configENS1_25partition_config_selectorILNS1_17partition_subalgoE0EsNS0_10empty_typeEbEEZZNS1_14partition_implILS5_0ELb0ES3_jN6thrust23THRUST_200600_302600_NS6detail15normal_iteratorINSA_10device_ptrIsEEEEPS6_SG_NS0_5tupleIJNSA_16discard_iteratorINSA_11use_defaultEEESF_EEENSH_IJSG_SG_EEES6_PlJ7is_evenIsEEEE10hipError_tPvRmT3_T4_T5_T6_T7_T9_mT8_P12ihipStream_tbDpT10_ENKUlT_T0_E_clISt17integral_constantIbLb0EES18_IbLb1EEEEDaS14_S15_EUlS14_E_NS1_11comp_targetILNS1_3genE3ELNS1_11target_archE908ELNS1_3gpuE7ELNS1_3repE0EEENS1_30default_config_static_selectorELNS0_4arch9wavefront6targetE1EEEvT1_, .Lfunc_end2870-_ZN7rocprim17ROCPRIM_400000_NS6detail17trampoline_kernelINS0_14default_configENS1_25partition_config_selectorILNS1_17partition_subalgoE0EsNS0_10empty_typeEbEEZZNS1_14partition_implILS5_0ELb0ES3_jN6thrust23THRUST_200600_302600_NS6detail15normal_iteratorINSA_10device_ptrIsEEEEPS6_SG_NS0_5tupleIJNSA_16discard_iteratorINSA_11use_defaultEEESF_EEENSH_IJSG_SG_EEES6_PlJ7is_evenIsEEEE10hipError_tPvRmT3_T4_T5_T6_T7_T9_mT8_P12ihipStream_tbDpT10_ENKUlT_T0_E_clISt17integral_constantIbLb0EES18_IbLb1EEEEDaS14_S15_EUlS14_E_NS1_11comp_targetILNS1_3genE3ELNS1_11target_archE908ELNS1_3gpuE7ELNS1_3repE0EEENS1_30default_config_static_selectorELNS0_4arch9wavefront6targetE1EEEvT1_
                                        ; -- End function
	.section	.AMDGPU.csdata,"",@progbits
; Kernel info:
; codeLenInByte = 0
; NumSgprs: 4
; NumVgprs: 0
; NumAgprs: 0
; TotalNumVgprs: 0
; ScratchSize: 0
; MemoryBound: 0
; FloatMode: 240
; IeeeMode: 1
; LDSByteSize: 0 bytes/workgroup (compile time only)
; SGPRBlocks: 0
; VGPRBlocks: 0
; NumSGPRsForWavesPerEU: 4
; NumVGPRsForWavesPerEU: 1
; AccumOffset: 4
; Occupancy: 8
; WaveLimiterHint : 0
; COMPUTE_PGM_RSRC2:SCRATCH_EN: 0
; COMPUTE_PGM_RSRC2:USER_SGPR: 6
; COMPUTE_PGM_RSRC2:TRAP_HANDLER: 0
; COMPUTE_PGM_RSRC2:TGID_X_EN: 1
; COMPUTE_PGM_RSRC2:TGID_Y_EN: 0
; COMPUTE_PGM_RSRC2:TGID_Z_EN: 0
; COMPUTE_PGM_RSRC2:TIDIG_COMP_CNT: 0
; COMPUTE_PGM_RSRC3_GFX90A:ACCUM_OFFSET: 0
; COMPUTE_PGM_RSRC3_GFX90A:TG_SPLIT: 0
	.section	.text._ZN7rocprim17ROCPRIM_400000_NS6detail17trampoline_kernelINS0_14default_configENS1_25partition_config_selectorILNS1_17partition_subalgoE0EsNS0_10empty_typeEbEEZZNS1_14partition_implILS5_0ELb0ES3_jN6thrust23THRUST_200600_302600_NS6detail15normal_iteratorINSA_10device_ptrIsEEEEPS6_SG_NS0_5tupleIJNSA_16discard_iteratorINSA_11use_defaultEEESF_EEENSH_IJSG_SG_EEES6_PlJ7is_evenIsEEEE10hipError_tPvRmT3_T4_T5_T6_T7_T9_mT8_P12ihipStream_tbDpT10_ENKUlT_T0_E_clISt17integral_constantIbLb0EES18_IbLb1EEEEDaS14_S15_EUlS14_E_NS1_11comp_targetILNS1_3genE2ELNS1_11target_archE906ELNS1_3gpuE6ELNS1_3repE0EEENS1_30default_config_static_selectorELNS0_4arch9wavefront6targetE1EEEvT1_,"axG",@progbits,_ZN7rocprim17ROCPRIM_400000_NS6detail17trampoline_kernelINS0_14default_configENS1_25partition_config_selectorILNS1_17partition_subalgoE0EsNS0_10empty_typeEbEEZZNS1_14partition_implILS5_0ELb0ES3_jN6thrust23THRUST_200600_302600_NS6detail15normal_iteratorINSA_10device_ptrIsEEEEPS6_SG_NS0_5tupleIJNSA_16discard_iteratorINSA_11use_defaultEEESF_EEENSH_IJSG_SG_EEES6_PlJ7is_evenIsEEEE10hipError_tPvRmT3_T4_T5_T6_T7_T9_mT8_P12ihipStream_tbDpT10_ENKUlT_T0_E_clISt17integral_constantIbLb0EES18_IbLb1EEEEDaS14_S15_EUlS14_E_NS1_11comp_targetILNS1_3genE2ELNS1_11target_archE906ELNS1_3gpuE6ELNS1_3repE0EEENS1_30default_config_static_selectorELNS0_4arch9wavefront6targetE1EEEvT1_,comdat
	.protected	_ZN7rocprim17ROCPRIM_400000_NS6detail17trampoline_kernelINS0_14default_configENS1_25partition_config_selectorILNS1_17partition_subalgoE0EsNS0_10empty_typeEbEEZZNS1_14partition_implILS5_0ELb0ES3_jN6thrust23THRUST_200600_302600_NS6detail15normal_iteratorINSA_10device_ptrIsEEEEPS6_SG_NS0_5tupleIJNSA_16discard_iteratorINSA_11use_defaultEEESF_EEENSH_IJSG_SG_EEES6_PlJ7is_evenIsEEEE10hipError_tPvRmT3_T4_T5_T6_T7_T9_mT8_P12ihipStream_tbDpT10_ENKUlT_T0_E_clISt17integral_constantIbLb0EES18_IbLb1EEEEDaS14_S15_EUlS14_E_NS1_11comp_targetILNS1_3genE2ELNS1_11target_archE906ELNS1_3gpuE6ELNS1_3repE0EEENS1_30default_config_static_selectorELNS0_4arch9wavefront6targetE1EEEvT1_ ; -- Begin function _ZN7rocprim17ROCPRIM_400000_NS6detail17trampoline_kernelINS0_14default_configENS1_25partition_config_selectorILNS1_17partition_subalgoE0EsNS0_10empty_typeEbEEZZNS1_14partition_implILS5_0ELb0ES3_jN6thrust23THRUST_200600_302600_NS6detail15normal_iteratorINSA_10device_ptrIsEEEEPS6_SG_NS0_5tupleIJNSA_16discard_iteratorINSA_11use_defaultEEESF_EEENSH_IJSG_SG_EEES6_PlJ7is_evenIsEEEE10hipError_tPvRmT3_T4_T5_T6_T7_T9_mT8_P12ihipStream_tbDpT10_ENKUlT_T0_E_clISt17integral_constantIbLb0EES18_IbLb1EEEEDaS14_S15_EUlS14_E_NS1_11comp_targetILNS1_3genE2ELNS1_11target_archE906ELNS1_3gpuE6ELNS1_3repE0EEENS1_30default_config_static_selectorELNS0_4arch9wavefront6targetE1EEEvT1_
	.globl	_ZN7rocprim17ROCPRIM_400000_NS6detail17trampoline_kernelINS0_14default_configENS1_25partition_config_selectorILNS1_17partition_subalgoE0EsNS0_10empty_typeEbEEZZNS1_14partition_implILS5_0ELb0ES3_jN6thrust23THRUST_200600_302600_NS6detail15normal_iteratorINSA_10device_ptrIsEEEEPS6_SG_NS0_5tupleIJNSA_16discard_iteratorINSA_11use_defaultEEESF_EEENSH_IJSG_SG_EEES6_PlJ7is_evenIsEEEE10hipError_tPvRmT3_T4_T5_T6_T7_T9_mT8_P12ihipStream_tbDpT10_ENKUlT_T0_E_clISt17integral_constantIbLb0EES18_IbLb1EEEEDaS14_S15_EUlS14_E_NS1_11comp_targetILNS1_3genE2ELNS1_11target_archE906ELNS1_3gpuE6ELNS1_3repE0EEENS1_30default_config_static_selectorELNS0_4arch9wavefront6targetE1EEEvT1_
	.p2align	8
	.type	_ZN7rocprim17ROCPRIM_400000_NS6detail17trampoline_kernelINS0_14default_configENS1_25partition_config_selectorILNS1_17partition_subalgoE0EsNS0_10empty_typeEbEEZZNS1_14partition_implILS5_0ELb0ES3_jN6thrust23THRUST_200600_302600_NS6detail15normal_iteratorINSA_10device_ptrIsEEEEPS6_SG_NS0_5tupleIJNSA_16discard_iteratorINSA_11use_defaultEEESF_EEENSH_IJSG_SG_EEES6_PlJ7is_evenIsEEEE10hipError_tPvRmT3_T4_T5_T6_T7_T9_mT8_P12ihipStream_tbDpT10_ENKUlT_T0_E_clISt17integral_constantIbLb0EES18_IbLb1EEEEDaS14_S15_EUlS14_E_NS1_11comp_targetILNS1_3genE2ELNS1_11target_archE906ELNS1_3gpuE6ELNS1_3repE0EEENS1_30default_config_static_selectorELNS0_4arch9wavefront6targetE1EEEvT1_,@function
_ZN7rocprim17ROCPRIM_400000_NS6detail17trampoline_kernelINS0_14default_configENS1_25partition_config_selectorILNS1_17partition_subalgoE0EsNS0_10empty_typeEbEEZZNS1_14partition_implILS5_0ELb0ES3_jN6thrust23THRUST_200600_302600_NS6detail15normal_iteratorINSA_10device_ptrIsEEEEPS6_SG_NS0_5tupleIJNSA_16discard_iteratorINSA_11use_defaultEEESF_EEENSH_IJSG_SG_EEES6_PlJ7is_evenIsEEEE10hipError_tPvRmT3_T4_T5_T6_T7_T9_mT8_P12ihipStream_tbDpT10_ENKUlT_T0_E_clISt17integral_constantIbLb0EES18_IbLb1EEEEDaS14_S15_EUlS14_E_NS1_11comp_targetILNS1_3genE2ELNS1_11target_archE906ELNS1_3gpuE6ELNS1_3repE0EEENS1_30default_config_static_selectorELNS0_4arch9wavefront6targetE1EEEvT1_: ; @_ZN7rocprim17ROCPRIM_400000_NS6detail17trampoline_kernelINS0_14default_configENS1_25partition_config_selectorILNS1_17partition_subalgoE0EsNS0_10empty_typeEbEEZZNS1_14partition_implILS5_0ELb0ES3_jN6thrust23THRUST_200600_302600_NS6detail15normal_iteratorINSA_10device_ptrIsEEEEPS6_SG_NS0_5tupleIJNSA_16discard_iteratorINSA_11use_defaultEEESF_EEENSH_IJSG_SG_EEES6_PlJ7is_evenIsEEEE10hipError_tPvRmT3_T4_T5_T6_T7_T9_mT8_P12ihipStream_tbDpT10_ENKUlT_T0_E_clISt17integral_constantIbLb0EES18_IbLb1EEEEDaS14_S15_EUlS14_E_NS1_11comp_targetILNS1_3genE2ELNS1_11target_archE906ELNS1_3gpuE6ELNS1_3repE0EEENS1_30default_config_static_selectorELNS0_4arch9wavefront6targetE1EEEvT1_
; %bb.0:
	.section	.rodata,"a",@progbits
	.p2align	6, 0x0
	.amdhsa_kernel _ZN7rocprim17ROCPRIM_400000_NS6detail17trampoline_kernelINS0_14default_configENS1_25partition_config_selectorILNS1_17partition_subalgoE0EsNS0_10empty_typeEbEEZZNS1_14partition_implILS5_0ELb0ES3_jN6thrust23THRUST_200600_302600_NS6detail15normal_iteratorINSA_10device_ptrIsEEEEPS6_SG_NS0_5tupleIJNSA_16discard_iteratorINSA_11use_defaultEEESF_EEENSH_IJSG_SG_EEES6_PlJ7is_evenIsEEEE10hipError_tPvRmT3_T4_T5_T6_T7_T9_mT8_P12ihipStream_tbDpT10_ENKUlT_T0_E_clISt17integral_constantIbLb0EES18_IbLb1EEEEDaS14_S15_EUlS14_E_NS1_11comp_targetILNS1_3genE2ELNS1_11target_archE906ELNS1_3gpuE6ELNS1_3repE0EEENS1_30default_config_static_selectorELNS0_4arch9wavefront6targetE1EEEvT1_
		.amdhsa_group_segment_fixed_size 0
		.amdhsa_private_segment_fixed_size 0
		.amdhsa_kernarg_size 144
		.amdhsa_user_sgpr_count 6
		.amdhsa_user_sgpr_private_segment_buffer 1
		.amdhsa_user_sgpr_dispatch_ptr 0
		.amdhsa_user_sgpr_queue_ptr 0
		.amdhsa_user_sgpr_kernarg_segment_ptr 1
		.amdhsa_user_sgpr_dispatch_id 0
		.amdhsa_user_sgpr_flat_scratch_init 0
		.amdhsa_user_sgpr_kernarg_preload_length 0
		.amdhsa_user_sgpr_kernarg_preload_offset 0
		.amdhsa_user_sgpr_private_segment_size 0
		.amdhsa_uses_dynamic_stack 0
		.amdhsa_system_sgpr_private_segment_wavefront_offset 0
		.amdhsa_system_sgpr_workgroup_id_x 1
		.amdhsa_system_sgpr_workgroup_id_y 0
		.amdhsa_system_sgpr_workgroup_id_z 0
		.amdhsa_system_sgpr_workgroup_info 0
		.amdhsa_system_vgpr_workitem_id 0
		.amdhsa_next_free_vgpr 1
		.amdhsa_next_free_sgpr 0
		.amdhsa_accum_offset 4
		.amdhsa_reserve_vcc 0
		.amdhsa_reserve_flat_scratch 0
		.amdhsa_float_round_mode_32 0
		.amdhsa_float_round_mode_16_64 0
		.amdhsa_float_denorm_mode_32 3
		.amdhsa_float_denorm_mode_16_64 3
		.amdhsa_dx10_clamp 1
		.amdhsa_ieee_mode 1
		.amdhsa_fp16_overflow 0
		.amdhsa_tg_split 0
		.amdhsa_exception_fp_ieee_invalid_op 0
		.amdhsa_exception_fp_denorm_src 0
		.amdhsa_exception_fp_ieee_div_zero 0
		.amdhsa_exception_fp_ieee_overflow 0
		.amdhsa_exception_fp_ieee_underflow 0
		.amdhsa_exception_fp_ieee_inexact 0
		.amdhsa_exception_int_div_zero 0
	.end_amdhsa_kernel
	.section	.text._ZN7rocprim17ROCPRIM_400000_NS6detail17trampoline_kernelINS0_14default_configENS1_25partition_config_selectorILNS1_17partition_subalgoE0EsNS0_10empty_typeEbEEZZNS1_14partition_implILS5_0ELb0ES3_jN6thrust23THRUST_200600_302600_NS6detail15normal_iteratorINSA_10device_ptrIsEEEEPS6_SG_NS0_5tupleIJNSA_16discard_iteratorINSA_11use_defaultEEESF_EEENSH_IJSG_SG_EEES6_PlJ7is_evenIsEEEE10hipError_tPvRmT3_T4_T5_T6_T7_T9_mT8_P12ihipStream_tbDpT10_ENKUlT_T0_E_clISt17integral_constantIbLb0EES18_IbLb1EEEEDaS14_S15_EUlS14_E_NS1_11comp_targetILNS1_3genE2ELNS1_11target_archE906ELNS1_3gpuE6ELNS1_3repE0EEENS1_30default_config_static_selectorELNS0_4arch9wavefront6targetE1EEEvT1_,"axG",@progbits,_ZN7rocprim17ROCPRIM_400000_NS6detail17trampoline_kernelINS0_14default_configENS1_25partition_config_selectorILNS1_17partition_subalgoE0EsNS0_10empty_typeEbEEZZNS1_14partition_implILS5_0ELb0ES3_jN6thrust23THRUST_200600_302600_NS6detail15normal_iteratorINSA_10device_ptrIsEEEEPS6_SG_NS0_5tupleIJNSA_16discard_iteratorINSA_11use_defaultEEESF_EEENSH_IJSG_SG_EEES6_PlJ7is_evenIsEEEE10hipError_tPvRmT3_T4_T5_T6_T7_T9_mT8_P12ihipStream_tbDpT10_ENKUlT_T0_E_clISt17integral_constantIbLb0EES18_IbLb1EEEEDaS14_S15_EUlS14_E_NS1_11comp_targetILNS1_3genE2ELNS1_11target_archE906ELNS1_3gpuE6ELNS1_3repE0EEENS1_30default_config_static_selectorELNS0_4arch9wavefront6targetE1EEEvT1_,comdat
.Lfunc_end2871:
	.size	_ZN7rocprim17ROCPRIM_400000_NS6detail17trampoline_kernelINS0_14default_configENS1_25partition_config_selectorILNS1_17partition_subalgoE0EsNS0_10empty_typeEbEEZZNS1_14partition_implILS5_0ELb0ES3_jN6thrust23THRUST_200600_302600_NS6detail15normal_iteratorINSA_10device_ptrIsEEEEPS6_SG_NS0_5tupleIJNSA_16discard_iteratorINSA_11use_defaultEEESF_EEENSH_IJSG_SG_EEES6_PlJ7is_evenIsEEEE10hipError_tPvRmT3_T4_T5_T6_T7_T9_mT8_P12ihipStream_tbDpT10_ENKUlT_T0_E_clISt17integral_constantIbLb0EES18_IbLb1EEEEDaS14_S15_EUlS14_E_NS1_11comp_targetILNS1_3genE2ELNS1_11target_archE906ELNS1_3gpuE6ELNS1_3repE0EEENS1_30default_config_static_selectorELNS0_4arch9wavefront6targetE1EEEvT1_, .Lfunc_end2871-_ZN7rocprim17ROCPRIM_400000_NS6detail17trampoline_kernelINS0_14default_configENS1_25partition_config_selectorILNS1_17partition_subalgoE0EsNS0_10empty_typeEbEEZZNS1_14partition_implILS5_0ELb0ES3_jN6thrust23THRUST_200600_302600_NS6detail15normal_iteratorINSA_10device_ptrIsEEEEPS6_SG_NS0_5tupleIJNSA_16discard_iteratorINSA_11use_defaultEEESF_EEENSH_IJSG_SG_EEES6_PlJ7is_evenIsEEEE10hipError_tPvRmT3_T4_T5_T6_T7_T9_mT8_P12ihipStream_tbDpT10_ENKUlT_T0_E_clISt17integral_constantIbLb0EES18_IbLb1EEEEDaS14_S15_EUlS14_E_NS1_11comp_targetILNS1_3genE2ELNS1_11target_archE906ELNS1_3gpuE6ELNS1_3repE0EEENS1_30default_config_static_selectorELNS0_4arch9wavefront6targetE1EEEvT1_
                                        ; -- End function
	.section	.AMDGPU.csdata,"",@progbits
; Kernel info:
; codeLenInByte = 0
; NumSgprs: 4
; NumVgprs: 0
; NumAgprs: 0
; TotalNumVgprs: 0
; ScratchSize: 0
; MemoryBound: 0
; FloatMode: 240
; IeeeMode: 1
; LDSByteSize: 0 bytes/workgroup (compile time only)
; SGPRBlocks: 0
; VGPRBlocks: 0
; NumSGPRsForWavesPerEU: 4
; NumVGPRsForWavesPerEU: 1
; AccumOffset: 4
; Occupancy: 8
; WaveLimiterHint : 0
; COMPUTE_PGM_RSRC2:SCRATCH_EN: 0
; COMPUTE_PGM_RSRC2:USER_SGPR: 6
; COMPUTE_PGM_RSRC2:TRAP_HANDLER: 0
; COMPUTE_PGM_RSRC2:TGID_X_EN: 1
; COMPUTE_PGM_RSRC2:TGID_Y_EN: 0
; COMPUTE_PGM_RSRC2:TGID_Z_EN: 0
; COMPUTE_PGM_RSRC2:TIDIG_COMP_CNT: 0
; COMPUTE_PGM_RSRC3_GFX90A:ACCUM_OFFSET: 0
; COMPUTE_PGM_RSRC3_GFX90A:TG_SPLIT: 0
	.section	.text._ZN7rocprim17ROCPRIM_400000_NS6detail17trampoline_kernelINS0_14default_configENS1_25partition_config_selectorILNS1_17partition_subalgoE0EsNS0_10empty_typeEbEEZZNS1_14partition_implILS5_0ELb0ES3_jN6thrust23THRUST_200600_302600_NS6detail15normal_iteratorINSA_10device_ptrIsEEEEPS6_SG_NS0_5tupleIJNSA_16discard_iteratorINSA_11use_defaultEEESF_EEENSH_IJSG_SG_EEES6_PlJ7is_evenIsEEEE10hipError_tPvRmT3_T4_T5_T6_T7_T9_mT8_P12ihipStream_tbDpT10_ENKUlT_T0_E_clISt17integral_constantIbLb0EES18_IbLb1EEEEDaS14_S15_EUlS14_E_NS1_11comp_targetILNS1_3genE10ELNS1_11target_archE1200ELNS1_3gpuE4ELNS1_3repE0EEENS1_30default_config_static_selectorELNS0_4arch9wavefront6targetE1EEEvT1_,"axG",@progbits,_ZN7rocprim17ROCPRIM_400000_NS6detail17trampoline_kernelINS0_14default_configENS1_25partition_config_selectorILNS1_17partition_subalgoE0EsNS0_10empty_typeEbEEZZNS1_14partition_implILS5_0ELb0ES3_jN6thrust23THRUST_200600_302600_NS6detail15normal_iteratorINSA_10device_ptrIsEEEEPS6_SG_NS0_5tupleIJNSA_16discard_iteratorINSA_11use_defaultEEESF_EEENSH_IJSG_SG_EEES6_PlJ7is_evenIsEEEE10hipError_tPvRmT3_T4_T5_T6_T7_T9_mT8_P12ihipStream_tbDpT10_ENKUlT_T0_E_clISt17integral_constantIbLb0EES18_IbLb1EEEEDaS14_S15_EUlS14_E_NS1_11comp_targetILNS1_3genE10ELNS1_11target_archE1200ELNS1_3gpuE4ELNS1_3repE0EEENS1_30default_config_static_selectorELNS0_4arch9wavefront6targetE1EEEvT1_,comdat
	.protected	_ZN7rocprim17ROCPRIM_400000_NS6detail17trampoline_kernelINS0_14default_configENS1_25partition_config_selectorILNS1_17partition_subalgoE0EsNS0_10empty_typeEbEEZZNS1_14partition_implILS5_0ELb0ES3_jN6thrust23THRUST_200600_302600_NS6detail15normal_iteratorINSA_10device_ptrIsEEEEPS6_SG_NS0_5tupleIJNSA_16discard_iteratorINSA_11use_defaultEEESF_EEENSH_IJSG_SG_EEES6_PlJ7is_evenIsEEEE10hipError_tPvRmT3_T4_T5_T6_T7_T9_mT8_P12ihipStream_tbDpT10_ENKUlT_T0_E_clISt17integral_constantIbLb0EES18_IbLb1EEEEDaS14_S15_EUlS14_E_NS1_11comp_targetILNS1_3genE10ELNS1_11target_archE1200ELNS1_3gpuE4ELNS1_3repE0EEENS1_30default_config_static_selectorELNS0_4arch9wavefront6targetE1EEEvT1_ ; -- Begin function _ZN7rocprim17ROCPRIM_400000_NS6detail17trampoline_kernelINS0_14default_configENS1_25partition_config_selectorILNS1_17partition_subalgoE0EsNS0_10empty_typeEbEEZZNS1_14partition_implILS5_0ELb0ES3_jN6thrust23THRUST_200600_302600_NS6detail15normal_iteratorINSA_10device_ptrIsEEEEPS6_SG_NS0_5tupleIJNSA_16discard_iteratorINSA_11use_defaultEEESF_EEENSH_IJSG_SG_EEES6_PlJ7is_evenIsEEEE10hipError_tPvRmT3_T4_T5_T6_T7_T9_mT8_P12ihipStream_tbDpT10_ENKUlT_T0_E_clISt17integral_constantIbLb0EES18_IbLb1EEEEDaS14_S15_EUlS14_E_NS1_11comp_targetILNS1_3genE10ELNS1_11target_archE1200ELNS1_3gpuE4ELNS1_3repE0EEENS1_30default_config_static_selectorELNS0_4arch9wavefront6targetE1EEEvT1_
	.globl	_ZN7rocprim17ROCPRIM_400000_NS6detail17trampoline_kernelINS0_14default_configENS1_25partition_config_selectorILNS1_17partition_subalgoE0EsNS0_10empty_typeEbEEZZNS1_14partition_implILS5_0ELb0ES3_jN6thrust23THRUST_200600_302600_NS6detail15normal_iteratorINSA_10device_ptrIsEEEEPS6_SG_NS0_5tupleIJNSA_16discard_iteratorINSA_11use_defaultEEESF_EEENSH_IJSG_SG_EEES6_PlJ7is_evenIsEEEE10hipError_tPvRmT3_T4_T5_T6_T7_T9_mT8_P12ihipStream_tbDpT10_ENKUlT_T0_E_clISt17integral_constantIbLb0EES18_IbLb1EEEEDaS14_S15_EUlS14_E_NS1_11comp_targetILNS1_3genE10ELNS1_11target_archE1200ELNS1_3gpuE4ELNS1_3repE0EEENS1_30default_config_static_selectorELNS0_4arch9wavefront6targetE1EEEvT1_
	.p2align	8
	.type	_ZN7rocprim17ROCPRIM_400000_NS6detail17trampoline_kernelINS0_14default_configENS1_25partition_config_selectorILNS1_17partition_subalgoE0EsNS0_10empty_typeEbEEZZNS1_14partition_implILS5_0ELb0ES3_jN6thrust23THRUST_200600_302600_NS6detail15normal_iteratorINSA_10device_ptrIsEEEEPS6_SG_NS0_5tupleIJNSA_16discard_iteratorINSA_11use_defaultEEESF_EEENSH_IJSG_SG_EEES6_PlJ7is_evenIsEEEE10hipError_tPvRmT3_T4_T5_T6_T7_T9_mT8_P12ihipStream_tbDpT10_ENKUlT_T0_E_clISt17integral_constantIbLb0EES18_IbLb1EEEEDaS14_S15_EUlS14_E_NS1_11comp_targetILNS1_3genE10ELNS1_11target_archE1200ELNS1_3gpuE4ELNS1_3repE0EEENS1_30default_config_static_selectorELNS0_4arch9wavefront6targetE1EEEvT1_,@function
_ZN7rocprim17ROCPRIM_400000_NS6detail17trampoline_kernelINS0_14default_configENS1_25partition_config_selectorILNS1_17partition_subalgoE0EsNS0_10empty_typeEbEEZZNS1_14partition_implILS5_0ELb0ES3_jN6thrust23THRUST_200600_302600_NS6detail15normal_iteratorINSA_10device_ptrIsEEEEPS6_SG_NS0_5tupleIJNSA_16discard_iteratorINSA_11use_defaultEEESF_EEENSH_IJSG_SG_EEES6_PlJ7is_evenIsEEEE10hipError_tPvRmT3_T4_T5_T6_T7_T9_mT8_P12ihipStream_tbDpT10_ENKUlT_T0_E_clISt17integral_constantIbLb0EES18_IbLb1EEEEDaS14_S15_EUlS14_E_NS1_11comp_targetILNS1_3genE10ELNS1_11target_archE1200ELNS1_3gpuE4ELNS1_3repE0EEENS1_30default_config_static_selectorELNS0_4arch9wavefront6targetE1EEEvT1_: ; @_ZN7rocprim17ROCPRIM_400000_NS6detail17trampoline_kernelINS0_14default_configENS1_25partition_config_selectorILNS1_17partition_subalgoE0EsNS0_10empty_typeEbEEZZNS1_14partition_implILS5_0ELb0ES3_jN6thrust23THRUST_200600_302600_NS6detail15normal_iteratorINSA_10device_ptrIsEEEEPS6_SG_NS0_5tupleIJNSA_16discard_iteratorINSA_11use_defaultEEESF_EEENSH_IJSG_SG_EEES6_PlJ7is_evenIsEEEE10hipError_tPvRmT3_T4_T5_T6_T7_T9_mT8_P12ihipStream_tbDpT10_ENKUlT_T0_E_clISt17integral_constantIbLb0EES18_IbLb1EEEEDaS14_S15_EUlS14_E_NS1_11comp_targetILNS1_3genE10ELNS1_11target_archE1200ELNS1_3gpuE4ELNS1_3repE0EEENS1_30default_config_static_selectorELNS0_4arch9wavefront6targetE1EEEvT1_
; %bb.0:
	.section	.rodata,"a",@progbits
	.p2align	6, 0x0
	.amdhsa_kernel _ZN7rocprim17ROCPRIM_400000_NS6detail17trampoline_kernelINS0_14default_configENS1_25partition_config_selectorILNS1_17partition_subalgoE0EsNS0_10empty_typeEbEEZZNS1_14partition_implILS5_0ELb0ES3_jN6thrust23THRUST_200600_302600_NS6detail15normal_iteratorINSA_10device_ptrIsEEEEPS6_SG_NS0_5tupleIJNSA_16discard_iteratorINSA_11use_defaultEEESF_EEENSH_IJSG_SG_EEES6_PlJ7is_evenIsEEEE10hipError_tPvRmT3_T4_T5_T6_T7_T9_mT8_P12ihipStream_tbDpT10_ENKUlT_T0_E_clISt17integral_constantIbLb0EES18_IbLb1EEEEDaS14_S15_EUlS14_E_NS1_11comp_targetILNS1_3genE10ELNS1_11target_archE1200ELNS1_3gpuE4ELNS1_3repE0EEENS1_30default_config_static_selectorELNS0_4arch9wavefront6targetE1EEEvT1_
		.amdhsa_group_segment_fixed_size 0
		.amdhsa_private_segment_fixed_size 0
		.amdhsa_kernarg_size 144
		.amdhsa_user_sgpr_count 6
		.amdhsa_user_sgpr_private_segment_buffer 1
		.amdhsa_user_sgpr_dispatch_ptr 0
		.amdhsa_user_sgpr_queue_ptr 0
		.amdhsa_user_sgpr_kernarg_segment_ptr 1
		.amdhsa_user_sgpr_dispatch_id 0
		.amdhsa_user_sgpr_flat_scratch_init 0
		.amdhsa_user_sgpr_kernarg_preload_length 0
		.amdhsa_user_sgpr_kernarg_preload_offset 0
		.amdhsa_user_sgpr_private_segment_size 0
		.amdhsa_uses_dynamic_stack 0
		.amdhsa_system_sgpr_private_segment_wavefront_offset 0
		.amdhsa_system_sgpr_workgroup_id_x 1
		.amdhsa_system_sgpr_workgroup_id_y 0
		.amdhsa_system_sgpr_workgroup_id_z 0
		.amdhsa_system_sgpr_workgroup_info 0
		.amdhsa_system_vgpr_workitem_id 0
		.amdhsa_next_free_vgpr 1
		.amdhsa_next_free_sgpr 0
		.amdhsa_accum_offset 4
		.amdhsa_reserve_vcc 0
		.amdhsa_reserve_flat_scratch 0
		.amdhsa_float_round_mode_32 0
		.amdhsa_float_round_mode_16_64 0
		.amdhsa_float_denorm_mode_32 3
		.amdhsa_float_denorm_mode_16_64 3
		.amdhsa_dx10_clamp 1
		.amdhsa_ieee_mode 1
		.amdhsa_fp16_overflow 0
		.amdhsa_tg_split 0
		.amdhsa_exception_fp_ieee_invalid_op 0
		.amdhsa_exception_fp_denorm_src 0
		.amdhsa_exception_fp_ieee_div_zero 0
		.amdhsa_exception_fp_ieee_overflow 0
		.amdhsa_exception_fp_ieee_underflow 0
		.amdhsa_exception_fp_ieee_inexact 0
		.amdhsa_exception_int_div_zero 0
	.end_amdhsa_kernel
	.section	.text._ZN7rocprim17ROCPRIM_400000_NS6detail17trampoline_kernelINS0_14default_configENS1_25partition_config_selectorILNS1_17partition_subalgoE0EsNS0_10empty_typeEbEEZZNS1_14partition_implILS5_0ELb0ES3_jN6thrust23THRUST_200600_302600_NS6detail15normal_iteratorINSA_10device_ptrIsEEEEPS6_SG_NS0_5tupleIJNSA_16discard_iteratorINSA_11use_defaultEEESF_EEENSH_IJSG_SG_EEES6_PlJ7is_evenIsEEEE10hipError_tPvRmT3_T4_T5_T6_T7_T9_mT8_P12ihipStream_tbDpT10_ENKUlT_T0_E_clISt17integral_constantIbLb0EES18_IbLb1EEEEDaS14_S15_EUlS14_E_NS1_11comp_targetILNS1_3genE10ELNS1_11target_archE1200ELNS1_3gpuE4ELNS1_3repE0EEENS1_30default_config_static_selectorELNS0_4arch9wavefront6targetE1EEEvT1_,"axG",@progbits,_ZN7rocprim17ROCPRIM_400000_NS6detail17trampoline_kernelINS0_14default_configENS1_25partition_config_selectorILNS1_17partition_subalgoE0EsNS0_10empty_typeEbEEZZNS1_14partition_implILS5_0ELb0ES3_jN6thrust23THRUST_200600_302600_NS6detail15normal_iteratorINSA_10device_ptrIsEEEEPS6_SG_NS0_5tupleIJNSA_16discard_iteratorINSA_11use_defaultEEESF_EEENSH_IJSG_SG_EEES6_PlJ7is_evenIsEEEE10hipError_tPvRmT3_T4_T5_T6_T7_T9_mT8_P12ihipStream_tbDpT10_ENKUlT_T0_E_clISt17integral_constantIbLb0EES18_IbLb1EEEEDaS14_S15_EUlS14_E_NS1_11comp_targetILNS1_3genE10ELNS1_11target_archE1200ELNS1_3gpuE4ELNS1_3repE0EEENS1_30default_config_static_selectorELNS0_4arch9wavefront6targetE1EEEvT1_,comdat
.Lfunc_end2872:
	.size	_ZN7rocprim17ROCPRIM_400000_NS6detail17trampoline_kernelINS0_14default_configENS1_25partition_config_selectorILNS1_17partition_subalgoE0EsNS0_10empty_typeEbEEZZNS1_14partition_implILS5_0ELb0ES3_jN6thrust23THRUST_200600_302600_NS6detail15normal_iteratorINSA_10device_ptrIsEEEEPS6_SG_NS0_5tupleIJNSA_16discard_iteratorINSA_11use_defaultEEESF_EEENSH_IJSG_SG_EEES6_PlJ7is_evenIsEEEE10hipError_tPvRmT3_T4_T5_T6_T7_T9_mT8_P12ihipStream_tbDpT10_ENKUlT_T0_E_clISt17integral_constantIbLb0EES18_IbLb1EEEEDaS14_S15_EUlS14_E_NS1_11comp_targetILNS1_3genE10ELNS1_11target_archE1200ELNS1_3gpuE4ELNS1_3repE0EEENS1_30default_config_static_selectorELNS0_4arch9wavefront6targetE1EEEvT1_, .Lfunc_end2872-_ZN7rocprim17ROCPRIM_400000_NS6detail17trampoline_kernelINS0_14default_configENS1_25partition_config_selectorILNS1_17partition_subalgoE0EsNS0_10empty_typeEbEEZZNS1_14partition_implILS5_0ELb0ES3_jN6thrust23THRUST_200600_302600_NS6detail15normal_iteratorINSA_10device_ptrIsEEEEPS6_SG_NS0_5tupleIJNSA_16discard_iteratorINSA_11use_defaultEEESF_EEENSH_IJSG_SG_EEES6_PlJ7is_evenIsEEEE10hipError_tPvRmT3_T4_T5_T6_T7_T9_mT8_P12ihipStream_tbDpT10_ENKUlT_T0_E_clISt17integral_constantIbLb0EES18_IbLb1EEEEDaS14_S15_EUlS14_E_NS1_11comp_targetILNS1_3genE10ELNS1_11target_archE1200ELNS1_3gpuE4ELNS1_3repE0EEENS1_30default_config_static_selectorELNS0_4arch9wavefront6targetE1EEEvT1_
                                        ; -- End function
	.section	.AMDGPU.csdata,"",@progbits
; Kernel info:
; codeLenInByte = 0
; NumSgprs: 4
; NumVgprs: 0
; NumAgprs: 0
; TotalNumVgprs: 0
; ScratchSize: 0
; MemoryBound: 0
; FloatMode: 240
; IeeeMode: 1
; LDSByteSize: 0 bytes/workgroup (compile time only)
; SGPRBlocks: 0
; VGPRBlocks: 0
; NumSGPRsForWavesPerEU: 4
; NumVGPRsForWavesPerEU: 1
; AccumOffset: 4
; Occupancy: 8
; WaveLimiterHint : 0
; COMPUTE_PGM_RSRC2:SCRATCH_EN: 0
; COMPUTE_PGM_RSRC2:USER_SGPR: 6
; COMPUTE_PGM_RSRC2:TRAP_HANDLER: 0
; COMPUTE_PGM_RSRC2:TGID_X_EN: 1
; COMPUTE_PGM_RSRC2:TGID_Y_EN: 0
; COMPUTE_PGM_RSRC2:TGID_Z_EN: 0
; COMPUTE_PGM_RSRC2:TIDIG_COMP_CNT: 0
; COMPUTE_PGM_RSRC3_GFX90A:ACCUM_OFFSET: 0
; COMPUTE_PGM_RSRC3_GFX90A:TG_SPLIT: 0
	.section	.text._ZN7rocprim17ROCPRIM_400000_NS6detail17trampoline_kernelINS0_14default_configENS1_25partition_config_selectorILNS1_17partition_subalgoE0EsNS0_10empty_typeEbEEZZNS1_14partition_implILS5_0ELb0ES3_jN6thrust23THRUST_200600_302600_NS6detail15normal_iteratorINSA_10device_ptrIsEEEEPS6_SG_NS0_5tupleIJNSA_16discard_iteratorINSA_11use_defaultEEESF_EEENSH_IJSG_SG_EEES6_PlJ7is_evenIsEEEE10hipError_tPvRmT3_T4_T5_T6_T7_T9_mT8_P12ihipStream_tbDpT10_ENKUlT_T0_E_clISt17integral_constantIbLb0EES18_IbLb1EEEEDaS14_S15_EUlS14_E_NS1_11comp_targetILNS1_3genE9ELNS1_11target_archE1100ELNS1_3gpuE3ELNS1_3repE0EEENS1_30default_config_static_selectorELNS0_4arch9wavefront6targetE1EEEvT1_,"axG",@progbits,_ZN7rocprim17ROCPRIM_400000_NS6detail17trampoline_kernelINS0_14default_configENS1_25partition_config_selectorILNS1_17partition_subalgoE0EsNS0_10empty_typeEbEEZZNS1_14partition_implILS5_0ELb0ES3_jN6thrust23THRUST_200600_302600_NS6detail15normal_iteratorINSA_10device_ptrIsEEEEPS6_SG_NS0_5tupleIJNSA_16discard_iteratorINSA_11use_defaultEEESF_EEENSH_IJSG_SG_EEES6_PlJ7is_evenIsEEEE10hipError_tPvRmT3_T4_T5_T6_T7_T9_mT8_P12ihipStream_tbDpT10_ENKUlT_T0_E_clISt17integral_constantIbLb0EES18_IbLb1EEEEDaS14_S15_EUlS14_E_NS1_11comp_targetILNS1_3genE9ELNS1_11target_archE1100ELNS1_3gpuE3ELNS1_3repE0EEENS1_30default_config_static_selectorELNS0_4arch9wavefront6targetE1EEEvT1_,comdat
	.protected	_ZN7rocprim17ROCPRIM_400000_NS6detail17trampoline_kernelINS0_14default_configENS1_25partition_config_selectorILNS1_17partition_subalgoE0EsNS0_10empty_typeEbEEZZNS1_14partition_implILS5_0ELb0ES3_jN6thrust23THRUST_200600_302600_NS6detail15normal_iteratorINSA_10device_ptrIsEEEEPS6_SG_NS0_5tupleIJNSA_16discard_iteratorINSA_11use_defaultEEESF_EEENSH_IJSG_SG_EEES6_PlJ7is_evenIsEEEE10hipError_tPvRmT3_T4_T5_T6_T7_T9_mT8_P12ihipStream_tbDpT10_ENKUlT_T0_E_clISt17integral_constantIbLb0EES18_IbLb1EEEEDaS14_S15_EUlS14_E_NS1_11comp_targetILNS1_3genE9ELNS1_11target_archE1100ELNS1_3gpuE3ELNS1_3repE0EEENS1_30default_config_static_selectorELNS0_4arch9wavefront6targetE1EEEvT1_ ; -- Begin function _ZN7rocprim17ROCPRIM_400000_NS6detail17trampoline_kernelINS0_14default_configENS1_25partition_config_selectorILNS1_17partition_subalgoE0EsNS0_10empty_typeEbEEZZNS1_14partition_implILS5_0ELb0ES3_jN6thrust23THRUST_200600_302600_NS6detail15normal_iteratorINSA_10device_ptrIsEEEEPS6_SG_NS0_5tupleIJNSA_16discard_iteratorINSA_11use_defaultEEESF_EEENSH_IJSG_SG_EEES6_PlJ7is_evenIsEEEE10hipError_tPvRmT3_T4_T5_T6_T7_T9_mT8_P12ihipStream_tbDpT10_ENKUlT_T0_E_clISt17integral_constantIbLb0EES18_IbLb1EEEEDaS14_S15_EUlS14_E_NS1_11comp_targetILNS1_3genE9ELNS1_11target_archE1100ELNS1_3gpuE3ELNS1_3repE0EEENS1_30default_config_static_selectorELNS0_4arch9wavefront6targetE1EEEvT1_
	.globl	_ZN7rocprim17ROCPRIM_400000_NS6detail17trampoline_kernelINS0_14default_configENS1_25partition_config_selectorILNS1_17partition_subalgoE0EsNS0_10empty_typeEbEEZZNS1_14partition_implILS5_0ELb0ES3_jN6thrust23THRUST_200600_302600_NS6detail15normal_iteratorINSA_10device_ptrIsEEEEPS6_SG_NS0_5tupleIJNSA_16discard_iteratorINSA_11use_defaultEEESF_EEENSH_IJSG_SG_EEES6_PlJ7is_evenIsEEEE10hipError_tPvRmT3_T4_T5_T6_T7_T9_mT8_P12ihipStream_tbDpT10_ENKUlT_T0_E_clISt17integral_constantIbLb0EES18_IbLb1EEEEDaS14_S15_EUlS14_E_NS1_11comp_targetILNS1_3genE9ELNS1_11target_archE1100ELNS1_3gpuE3ELNS1_3repE0EEENS1_30default_config_static_selectorELNS0_4arch9wavefront6targetE1EEEvT1_
	.p2align	8
	.type	_ZN7rocprim17ROCPRIM_400000_NS6detail17trampoline_kernelINS0_14default_configENS1_25partition_config_selectorILNS1_17partition_subalgoE0EsNS0_10empty_typeEbEEZZNS1_14partition_implILS5_0ELb0ES3_jN6thrust23THRUST_200600_302600_NS6detail15normal_iteratorINSA_10device_ptrIsEEEEPS6_SG_NS0_5tupleIJNSA_16discard_iteratorINSA_11use_defaultEEESF_EEENSH_IJSG_SG_EEES6_PlJ7is_evenIsEEEE10hipError_tPvRmT3_T4_T5_T6_T7_T9_mT8_P12ihipStream_tbDpT10_ENKUlT_T0_E_clISt17integral_constantIbLb0EES18_IbLb1EEEEDaS14_S15_EUlS14_E_NS1_11comp_targetILNS1_3genE9ELNS1_11target_archE1100ELNS1_3gpuE3ELNS1_3repE0EEENS1_30default_config_static_selectorELNS0_4arch9wavefront6targetE1EEEvT1_,@function
_ZN7rocprim17ROCPRIM_400000_NS6detail17trampoline_kernelINS0_14default_configENS1_25partition_config_selectorILNS1_17partition_subalgoE0EsNS0_10empty_typeEbEEZZNS1_14partition_implILS5_0ELb0ES3_jN6thrust23THRUST_200600_302600_NS6detail15normal_iteratorINSA_10device_ptrIsEEEEPS6_SG_NS0_5tupleIJNSA_16discard_iteratorINSA_11use_defaultEEESF_EEENSH_IJSG_SG_EEES6_PlJ7is_evenIsEEEE10hipError_tPvRmT3_T4_T5_T6_T7_T9_mT8_P12ihipStream_tbDpT10_ENKUlT_T0_E_clISt17integral_constantIbLb0EES18_IbLb1EEEEDaS14_S15_EUlS14_E_NS1_11comp_targetILNS1_3genE9ELNS1_11target_archE1100ELNS1_3gpuE3ELNS1_3repE0EEENS1_30default_config_static_selectorELNS0_4arch9wavefront6targetE1EEEvT1_: ; @_ZN7rocprim17ROCPRIM_400000_NS6detail17trampoline_kernelINS0_14default_configENS1_25partition_config_selectorILNS1_17partition_subalgoE0EsNS0_10empty_typeEbEEZZNS1_14partition_implILS5_0ELb0ES3_jN6thrust23THRUST_200600_302600_NS6detail15normal_iteratorINSA_10device_ptrIsEEEEPS6_SG_NS0_5tupleIJNSA_16discard_iteratorINSA_11use_defaultEEESF_EEENSH_IJSG_SG_EEES6_PlJ7is_evenIsEEEE10hipError_tPvRmT3_T4_T5_T6_T7_T9_mT8_P12ihipStream_tbDpT10_ENKUlT_T0_E_clISt17integral_constantIbLb0EES18_IbLb1EEEEDaS14_S15_EUlS14_E_NS1_11comp_targetILNS1_3genE9ELNS1_11target_archE1100ELNS1_3gpuE3ELNS1_3repE0EEENS1_30default_config_static_selectorELNS0_4arch9wavefront6targetE1EEEvT1_
; %bb.0:
	.section	.rodata,"a",@progbits
	.p2align	6, 0x0
	.amdhsa_kernel _ZN7rocprim17ROCPRIM_400000_NS6detail17trampoline_kernelINS0_14default_configENS1_25partition_config_selectorILNS1_17partition_subalgoE0EsNS0_10empty_typeEbEEZZNS1_14partition_implILS5_0ELb0ES3_jN6thrust23THRUST_200600_302600_NS6detail15normal_iteratorINSA_10device_ptrIsEEEEPS6_SG_NS0_5tupleIJNSA_16discard_iteratorINSA_11use_defaultEEESF_EEENSH_IJSG_SG_EEES6_PlJ7is_evenIsEEEE10hipError_tPvRmT3_T4_T5_T6_T7_T9_mT8_P12ihipStream_tbDpT10_ENKUlT_T0_E_clISt17integral_constantIbLb0EES18_IbLb1EEEEDaS14_S15_EUlS14_E_NS1_11comp_targetILNS1_3genE9ELNS1_11target_archE1100ELNS1_3gpuE3ELNS1_3repE0EEENS1_30default_config_static_selectorELNS0_4arch9wavefront6targetE1EEEvT1_
		.amdhsa_group_segment_fixed_size 0
		.amdhsa_private_segment_fixed_size 0
		.amdhsa_kernarg_size 144
		.amdhsa_user_sgpr_count 6
		.amdhsa_user_sgpr_private_segment_buffer 1
		.amdhsa_user_sgpr_dispatch_ptr 0
		.amdhsa_user_sgpr_queue_ptr 0
		.amdhsa_user_sgpr_kernarg_segment_ptr 1
		.amdhsa_user_sgpr_dispatch_id 0
		.amdhsa_user_sgpr_flat_scratch_init 0
		.amdhsa_user_sgpr_kernarg_preload_length 0
		.amdhsa_user_sgpr_kernarg_preload_offset 0
		.amdhsa_user_sgpr_private_segment_size 0
		.amdhsa_uses_dynamic_stack 0
		.amdhsa_system_sgpr_private_segment_wavefront_offset 0
		.amdhsa_system_sgpr_workgroup_id_x 1
		.amdhsa_system_sgpr_workgroup_id_y 0
		.amdhsa_system_sgpr_workgroup_id_z 0
		.amdhsa_system_sgpr_workgroup_info 0
		.amdhsa_system_vgpr_workitem_id 0
		.amdhsa_next_free_vgpr 1
		.amdhsa_next_free_sgpr 0
		.amdhsa_accum_offset 4
		.amdhsa_reserve_vcc 0
		.amdhsa_reserve_flat_scratch 0
		.amdhsa_float_round_mode_32 0
		.amdhsa_float_round_mode_16_64 0
		.amdhsa_float_denorm_mode_32 3
		.amdhsa_float_denorm_mode_16_64 3
		.amdhsa_dx10_clamp 1
		.amdhsa_ieee_mode 1
		.amdhsa_fp16_overflow 0
		.amdhsa_tg_split 0
		.amdhsa_exception_fp_ieee_invalid_op 0
		.amdhsa_exception_fp_denorm_src 0
		.amdhsa_exception_fp_ieee_div_zero 0
		.amdhsa_exception_fp_ieee_overflow 0
		.amdhsa_exception_fp_ieee_underflow 0
		.amdhsa_exception_fp_ieee_inexact 0
		.amdhsa_exception_int_div_zero 0
	.end_amdhsa_kernel
	.section	.text._ZN7rocprim17ROCPRIM_400000_NS6detail17trampoline_kernelINS0_14default_configENS1_25partition_config_selectorILNS1_17partition_subalgoE0EsNS0_10empty_typeEbEEZZNS1_14partition_implILS5_0ELb0ES3_jN6thrust23THRUST_200600_302600_NS6detail15normal_iteratorINSA_10device_ptrIsEEEEPS6_SG_NS0_5tupleIJNSA_16discard_iteratorINSA_11use_defaultEEESF_EEENSH_IJSG_SG_EEES6_PlJ7is_evenIsEEEE10hipError_tPvRmT3_T4_T5_T6_T7_T9_mT8_P12ihipStream_tbDpT10_ENKUlT_T0_E_clISt17integral_constantIbLb0EES18_IbLb1EEEEDaS14_S15_EUlS14_E_NS1_11comp_targetILNS1_3genE9ELNS1_11target_archE1100ELNS1_3gpuE3ELNS1_3repE0EEENS1_30default_config_static_selectorELNS0_4arch9wavefront6targetE1EEEvT1_,"axG",@progbits,_ZN7rocprim17ROCPRIM_400000_NS6detail17trampoline_kernelINS0_14default_configENS1_25partition_config_selectorILNS1_17partition_subalgoE0EsNS0_10empty_typeEbEEZZNS1_14partition_implILS5_0ELb0ES3_jN6thrust23THRUST_200600_302600_NS6detail15normal_iteratorINSA_10device_ptrIsEEEEPS6_SG_NS0_5tupleIJNSA_16discard_iteratorINSA_11use_defaultEEESF_EEENSH_IJSG_SG_EEES6_PlJ7is_evenIsEEEE10hipError_tPvRmT3_T4_T5_T6_T7_T9_mT8_P12ihipStream_tbDpT10_ENKUlT_T0_E_clISt17integral_constantIbLb0EES18_IbLb1EEEEDaS14_S15_EUlS14_E_NS1_11comp_targetILNS1_3genE9ELNS1_11target_archE1100ELNS1_3gpuE3ELNS1_3repE0EEENS1_30default_config_static_selectorELNS0_4arch9wavefront6targetE1EEEvT1_,comdat
.Lfunc_end2873:
	.size	_ZN7rocprim17ROCPRIM_400000_NS6detail17trampoline_kernelINS0_14default_configENS1_25partition_config_selectorILNS1_17partition_subalgoE0EsNS0_10empty_typeEbEEZZNS1_14partition_implILS5_0ELb0ES3_jN6thrust23THRUST_200600_302600_NS6detail15normal_iteratorINSA_10device_ptrIsEEEEPS6_SG_NS0_5tupleIJNSA_16discard_iteratorINSA_11use_defaultEEESF_EEENSH_IJSG_SG_EEES6_PlJ7is_evenIsEEEE10hipError_tPvRmT3_T4_T5_T6_T7_T9_mT8_P12ihipStream_tbDpT10_ENKUlT_T0_E_clISt17integral_constantIbLb0EES18_IbLb1EEEEDaS14_S15_EUlS14_E_NS1_11comp_targetILNS1_3genE9ELNS1_11target_archE1100ELNS1_3gpuE3ELNS1_3repE0EEENS1_30default_config_static_selectorELNS0_4arch9wavefront6targetE1EEEvT1_, .Lfunc_end2873-_ZN7rocprim17ROCPRIM_400000_NS6detail17trampoline_kernelINS0_14default_configENS1_25partition_config_selectorILNS1_17partition_subalgoE0EsNS0_10empty_typeEbEEZZNS1_14partition_implILS5_0ELb0ES3_jN6thrust23THRUST_200600_302600_NS6detail15normal_iteratorINSA_10device_ptrIsEEEEPS6_SG_NS0_5tupleIJNSA_16discard_iteratorINSA_11use_defaultEEESF_EEENSH_IJSG_SG_EEES6_PlJ7is_evenIsEEEE10hipError_tPvRmT3_T4_T5_T6_T7_T9_mT8_P12ihipStream_tbDpT10_ENKUlT_T0_E_clISt17integral_constantIbLb0EES18_IbLb1EEEEDaS14_S15_EUlS14_E_NS1_11comp_targetILNS1_3genE9ELNS1_11target_archE1100ELNS1_3gpuE3ELNS1_3repE0EEENS1_30default_config_static_selectorELNS0_4arch9wavefront6targetE1EEEvT1_
                                        ; -- End function
	.section	.AMDGPU.csdata,"",@progbits
; Kernel info:
; codeLenInByte = 0
; NumSgprs: 4
; NumVgprs: 0
; NumAgprs: 0
; TotalNumVgprs: 0
; ScratchSize: 0
; MemoryBound: 0
; FloatMode: 240
; IeeeMode: 1
; LDSByteSize: 0 bytes/workgroup (compile time only)
; SGPRBlocks: 0
; VGPRBlocks: 0
; NumSGPRsForWavesPerEU: 4
; NumVGPRsForWavesPerEU: 1
; AccumOffset: 4
; Occupancy: 8
; WaveLimiterHint : 0
; COMPUTE_PGM_RSRC2:SCRATCH_EN: 0
; COMPUTE_PGM_RSRC2:USER_SGPR: 6
; COMPUTE_PGM_RSRC2:TRAP_HANDLER: 0
; COMPUTE_PGM_RSRC2:TGID_X_EN: 1
; COMPUTE_PGM_RSRC2:TGID_Y_EN: 0
; COMPUTE_PGM_RSRC2:TGID_Z_EN: 0
; COMPUTE_PGM_RSRC2:TIDIG_COMP_CNT: 0
; COMPUTE_PGM_RSRC3_GFX90A:ACCUM_OFFSET: 0
; COMPUTE_PGM_RSRC3_GFX90A:TG_SPLIT: 0
	.section	.text._ZN7rocprim17ROCPRIM_400000_NS6detail17trampoline_kernelINS0_14default_configENS1_25partition_config_selectorILNS1_17partition_subalgoE0EsNS0_10empty_typeEbEEZZNS1_14partition_implILS5_0ELb0ES3_jN6thrust23THRUST_200600_302600_NS6detail15normal_iteratorINSA_10device_ptrIsEEEEPS6_SG_NS0_5tupleIJNSA_16discard_iteratorINSA_11use_defaultEEESF_EEENSH_IJSG_SG_EEES6_PlJ7is_evenIsEEEE10hipError_tPvRmT3_T4_T5_T6_T7_T9_mT8_P12ihipStream_tbDpT10_ENKUlT_T0_E_clISt17integral_constantIbLb0EES18_IbLb1EEEEDaS14_S15_EUlS14_E_NS1_11comp_targetILNS1_3genE8ELNS1_11target_archE1030ELNS1_3gpuE2ELNS1_3repE0EEENS1_30default_config_static_selectorELNS0_4arch9wavefront6targetE1EEEvT1_,"axG",@progbits,_ZN7rocprim17ROCPRIM_400000_NS6detail17trampoline_kernelINS0_14default_configENS1_25partition_config_selectorILNS1_17partition_subalgoE0EsNS0_10empty_typeEbEEZZNS1_14partition_implILS5_0ELb0ES3_jN6thrust23THRUST_200600_302600_NS6detail15normal_iteratorINSA_10device_ptrIsEEEEPS6_SG_NS0_5tupleIJNSA_16discard_iteratorINSA_11use_defaultEEESF_EEENSH_IJSG_SG_EEES6_PlJ7is_evenIsEEEE10hipError_tPvRmT3_T4_T5_T6_T7_T9_mT8_P12ihipStream_tbDpT10_ENKUlT_T0_E_clISt17integral_constantIbLb0EES18_IbLb1EEEEDaS14_S15_EUlS14_E_NS1_11comp_targetILNS1_3genE8ELNS1_11target_archE1030ELNS1_3gpuE2ELNS1_3repE0EEENS1_30default_config_static_selectorELNS0_4arch9wavefront6targetE1EEEvT1_,comdat
	.protected	_ZN7rocprim17ROCPRIM_400000_NS6detail17trampoline_kernelINS0_14default_configENS1_25partition_config_selectorILNS1_17partition_subalgoE0EsNS0_10empty_typeEbEEZZNS1_14partition_implILS5_0ELb0ES3_jN6thrust23THRUST_200600_302600_NS6detail15normal_iteratorINSA_10device_ptrIsEEEEPS6_SG_NS0_5tupleIJNSA_16discard_iteratorINSA_11use_defaultEEESF_EEENSH_IJSG_SG_EEES6_PlJ7is_evenIsEEEE10hipError_tPvRmT3_T4_T5_T6_T7_T9_mT8_P12ihipStream_tbDpT10_ENKUlT_T0_E_clISt17integral_constantIbLb0EES18_IbLb1EEEEDaS14_S15_EUlS14_E_NS1_11comp_targetILNS1_3genE8ELNS1_11target_archE1030ELNS1_3gpuE2ELNS1_3repE0EEENS1_30default_config_static_selectorELNS0_4arch9wavefront6targetE1EEEvT1_ ; -- Begin function _ZN7rocprim17ROCPRIM_400000_NS6detail17trampoline_kernelINS0_14default_configENS1_25partition_config_selectorILNS1_17partition_subalgoE0EsNS0_10empty_typeEbEEZZNS1_14partition_implILS5_0ELb0ES3_jN6thrust23THRUST_200600_302600_NS6detail15normal_iteratorINSA_10device_ptrIsEEEEPS6_SG_NS0_5tupleIJNSA_16discard_iteratorINSA_11use_defaultEEESF_EEENSH_IJSG_SG_EEES6_PlJ7is_evenIsEEEE10hipError_tPvRmT3_T4_T5_T6_T7_T9_mT8_P12ihipStream_tbDpT10_ENKUlT_T0_E_clISt17integral_constantIbLb0EES18_IbLb1EEEEDaS14_S15_EUlS14_E_NS1_11comp_targetILNS1_3genE8ELNS1_11target_archE1030ELNS1_3gpuE2ELNS1_3repE0EEENS1_30default_config_static_selectorELNS0_4arch9wavefront6targetE1EEEvT1_
	.globl	_ZN7rocprim17ROCPRIM_400000_NS6detail17trampoline_kernelINS0_14default_configENS1_25partition_config_selectorILNS1_17partition_subalgoE0EsNS0_10empty_typeEbEEZZNS1_14partition_implILS5_0ELb0ES3_jN6thrust23THRUST_200600_302600_NS6detail15normal_iteratorINSA_10device_ptrIsEEEEPS6_SG_NS0_5tupleIJNSA_16discard_iteratorINSA_11use_defaultEEESF_EEENSH_IJSG_SG_EEES6_PlJ7is_evenIsEEEE10hipError_tPvRmT3_T4_T5_T6_T7_T9_mT8_P12ihipStream_tbDpT10_ENKUlT_T0_E_clISt17integral_constantIbLb0EES18_IbLb1EEEEDaS14_S15_EUlS14_E_NS1_11comp_targetILNS1_3genE8ELNS1_11target_archE1030ELNS1_3gpuE2ELNS1_3repE0EEENS1_30default_config_static_selectorELNS0_4arch9wavefront6targetE1EEEvT1_
	.p2align	8
	.type	_ZN7rocprim17ROCPRIM_400000_NS6detail17trampoline_kernelINS0_14default_configENS1_25partition_config_selectorILNS1_17partition_subalgoE0EsNS0_10empty_typeEbEEZZNS1_14partition_implILS5_0ELb0ES3_jN6thrust23THRUST_200600_302600_NS6detail15normal_iteratorINSA_10device_ptrIsEEEEPS6_SG_NS0_5tupleIJNSA_16discard_iteratorINSA_11use_defaultEEESF_EEENSH_IJSG_SG_EEES6_PlJ7is_evenIsEEEE10hipError_tPvRmT3_T4_T5_T6_T7_T9_mT8_P12ihipStream_tbDpT10_ENKUlT_T0_E_clISt17integral_constantIbLb0EES18_IbLb1EEEEDaS14_S15_EUlS14_E_NS1_11comp_targetILNS1_3genE8ELNS1_11target_archE1030ELNS1_3gpuE2ELNS1_3repE0EEENS1_30default_config_static_selectorELNS0_4arch9wavefront6targetE1EEEvT1_,@function
_ZN7rocprim17ROCPRIM_400000_NS6detail17trampoline_kernelINS0_14default_configENS1_25partition_config_selectorILNS1_17partition_subalgoE0EsNS0_10empty_typeEbEEZZNS1_14partition_implILS5_0ELb0ES3_jN6thrust23THRUST_200600_302600_NS6detail15normal_iteratorINSA_10device_ptrIsEEEEPS6_SG_NS0_5tupleIJNSA_16discard_iteratorINSA_11use_defaultEEESF_EEENSH_IJSG_SG_EEES6_PlJ7is_evenIsEEEE10hipError_tPvRmT3_T4_T5_T6_T7_T9_mT8_P12ihipStream_tbDpT10_ENKUlT_T0_E_clISt17integral_constantIbLb0EES18_IbLb1EEEEDaS14_S15_EUlS14_E_NS1_11comp_targetILNS1_3genE8ELNS1_11target_archE1030ELNS1_3gpuE2ELNS1_3repE0EEENS1_30default_config_static_selectorELNS0_4arch9wavefront6targetE1EEEvT1_: ; @_ZN7rocprim17ROCPRIM_400000_NS6detail17trampoline_kernelINS0_14default_configENS1_25partition_config_selectorILNS1_17partition_subalgoE0EsNS0_10empty_typeEbEEZZNS1_14partition_implILS5_0ELb0ES3_jN6thrust23THRUST_200600_302600_NS6detail15normal_iteratorINSA_10device_ptrIsEEEEPS6_SG_NS0_5tupleIJNSA_16discard_iteratorINSA_11use_defaultEEESF_EEENSH_IJSG_SG_EEES6_PlJ7is_evenIsEEEE10hipError_tPvRmT3_T4_T5_T6_T7_T9_mT8_P12ihipStream_tbDpT10_ENKUlT_T0_E_clISt17integral_constantIbLb0EES18_IbLb1EEEEDaS14_S15_EUlS14_E_NS1_11comp_targetILNS1_3genE8ELNS1_11target_archE1030ELNS1_3gpuE2ELNS1_3repE0EEENS1_30default_config_static_selectorELNS0_4arch9wavefront6targetE1EEEvT1_
; %bb.0:
	.section	.rodata,"a",@progbits
	.p2align	6, 0x0
	.amdhsa_kernel _ZN7rocprim17ROCPRIM_400000_NS6detail17trampoline_kernelINS0_14default_configENS1_25partition_config_selectorILNS1_17partition_subalgoE0EsNS0_10empty_typeEbEEZZNS1_14partition_implILS5_0ELb0ES3_jN6thrust23THRUST_200600_302600_NS6detail15normal_iteratorINSA_10device_ptrIsEEEEPS6_SG_NS0_5tupleIJNSA_16discard_iteratorINSA_11use_defaultEEESF_EEENSH_IJSG_SG_EEES6_PlJ7is_evenIsEEEE10hipError_tPvRmT3_T4_T5_T6_T7_T9_mT8_P12ihipStream_tbDpT10_ENKUlT_T0_E_clISt17integral_constantIbLb0EES18_IbLb1EEEEDaS14_S15_EUlS14_E_NS1_11comp_targetILNS1_3genE8ELNS1_11target_archE1030ELNS1_3gpuE2ELNS1_3repE0EEENS1_30default_config_static_selectorELNS0_4arch9wavefront6targetE1EEEvT1_
		.amdhsa_group_segment_fixed_size 0
		.amdhsa_private_segment_fixed_size 0
		.amdhsa_kernarg_size 144
		.amdhsa_user_sgpr_count 6
		.amdhsa_user_sgpr_private_segment_buffer 1
		.amdhsa_user_sgpr_dispatch_ptr 0
		.amdhsa_user_sgpr_queue_ptr 0
		.amdhsa_user_sgpr_kernarg_segment_ptr 1
		.amdhsa_user_sgpr_dispatch_id 0
		.amdhsa_user_sgpr_flat_scratch_init 0
		.amdhsa_user_sgpr_kernarg_preload_length 0
		.amdhsa_user_sgpr_kernarg_preload_offset 0
		.amdhsa_user_sgpr_private_segment_size 0
		.amdhsa_uses_dynamic_stack 0
		.amdhsa_system_sgpr_private_segment_wavefront_offset 0
		.amdhsa_system_sgpr_workgroup_id_x 1
		.amdhsa_system_sgpr_workgroup_id_y 0
		.amdhsa_system_sgpr_workgroup_id_z 0
		.amdhsa_system_sgpr_workgroup_info 0
		.amdhsa_system_vgpr_workitem_id 0
		.amdhsa_next_free_vgpr 1
		.amdhsa_next_free_sgpr 0
		.amdhsa_accum_offset 4
		.amdhsa_reserve_vcc 0
		.amdhsa_reserve_flat_scratch 0
		.amdhsa_float_round_mode_32 0
		.amdhsa_float_round_mode_16_64 0
		.amdhsa_float_denorm_mode_32 3
		.amdhsa_float_denorm_mode_16_64 3
		.amdhsa_dx10_clamp 1
		.amdhsa_ieee_mode 1
		.amdhsa_fp16_overflow 0
		.amdhsa_tg_split 0
		.amdhsa_exception_fp_ieee_invalid_op 0
		.amdhsa_exception_fp_denorm_src 0
		.amdhsa_exception_fp_ieee_div_zero 0
		.amdhsa_exception_fp_ieee_overflow 0
		.amdhsa_exception_fp_ieee_underflow 0
		.amdhsa_exception_fp_ieee_inexact 0
		.amdhsa_exception_int_div_zero 0
	.end_amdhsa_kernel
	.section	.text._ZN7rocprim17ROCPRIM_400000_NS6detail17trampoline_kernelINS0_14default_configENS1_25partition_config_selectorILNS1_17partition_subalgoE0EsNS0_10empty_typeEbEEZZNS1_14partition_implILS5_0ELb0ES3_jN6thrust23THRUST_200600_302600_NS6detail15normal_iteratorINSA_10device_ptrIsEEEEPS6_SG_NS0_5tupleIJNSA_16discard_iteratorINSA_11use_defaultEEESF_EEENSH_IJSG_SG_EEES6_PlJ7is_evenIsEEEE10hipError_tPvRmT3_T4_T5_T6_T7_T9_mT8_P12ihipStream_tbDpT10_ENKUlT_T0_E_clISt17integral_constantIbLb0EES18_IbLb1EEEEDaS14_S15_EUlS14_E_NS1_11comp_targetILNS1_3genE8ELNS1_11target_archE1030ELNS1_3gpuE2ELNS1_3repE0EEENS1_30default_config_static_selectorELNS0_4arch9wavefront6targetE1EEEvT1_,"axG",@progbits,_ZN7rocprim17ROCPRIM_400000_NS6detail17trampoline_kernelINS0_14default_configENS1_25partition_config_selectorILNS1_17partition_subalgoE0EsNS0_10empty_typeEbEEZZNS1_14partition_implILS5_0ELb0ES3_jN6thrust23THRUST_200600_302600_NS6detail15normal_iteratorINSA_10device_ptrIsEEEEPS6_SG_NS0_5tupleIJNSA_16discard_iteratorINSA_11use_defaultEEESF_EEENSH_IJSG_SG_EEES6_PlJ7is_evenIsEEEE10hipError_tPvRmT3_T4_T5_T6_T7_T9_mT8_P12ihipStream_tbDpT10_ENKUlT_T0_E_clISt17integral_constantIbLb0EES18_IbLb1EEEEDaS14_S15_EUlS14_E_NS1_11comp_targetILNS1_3genE8ELNS1_11target_archE1030ELNS1_3gpuE2ELNS1_3repE0EEENS1_30default_config_static_selectorELNS0_4arch9wavefront6targetE1EEEvT1_,comdat
.Lfunc_end2874:
	.size	_ZN7rocprim17ROCPRIM_400000_NS6detail17trampoline_kernelINS0_14default_configENS1_25partition_config_selectorILNS1_17partition_subalgoE0EsNS0_10empty_typeEbEEZZNS1_14partition_implILS5_0ELb0ES3_jN6thrust23THRUST_200600_302600_NS6detail15normal_iteratorINSA_10device_ptrIsEEEEPS6_SG_NS0_5tupleIJNSA_16discard_iteratorINSA_11use_defaultEEESF_EEENSH_IJSG_SG_EEES6_PlJ7is_evenIsEEEE10hipError_tPvRmT3_T4_T5_T6_T7_T9_mT8_P12ihipStream_tbDpT10_ENKUlT_T0_E_clISt17integral_constantIbLb0EES18_IbLb1EEEEDaS14_S15_EUlS14_E_NS1_11comp_targetILNS1_3genE8ELNS1_11target_archE1030ELNS1_3gpuE2ELNS1_3repE0EEENS1_30default_config_static_selectorELNS0_4arch9wavefront6targetE1EEEvT1_, .Lfunc_end2874-_ZN7rocprim17ROCPRIM_400000_NS6detail17trampoline_kernelINS0_14default_configENS1_25partition_config_selectorILNS1_17partition_subalgoE0EsNS0_10empty_typeEbEEZZNS1_14partition_implILS5_0ELb0ES3_jN6thrust23THRUST_200600_302600_NS6detail15normal_iteratorINSA_10device_ptrIsEEEEPS6_SG_NS0_5tupleIJNSA_16discard_iteratorINSA_11use_defaultEEESF_EEENSH_IJSG_SG_EEES6_PlJ7is_evenIsEEEE10hipError_tPvRmT3_T4_T5_T6_T7_T9_mT8_P12ihipStream_tbDpT10_ENKUlT_T0_E_clISt17integral_constantIbLb0EES18_IbLb1EEEEDaS14_S15_EUlS14_E_NS1_11comp_targetILNS1_3genE8ELNS1_11target_archE1030ELNS1_3gpuE2ELNS1_3repE0EEENS1_30default_config_static_selectorELNS0_4arch9wavefront6targetE1EEEvT1_
                                        ; -- End function
	.section	.AMDGPU.csdata,"",@progbits
; Kernel info:
; codeLenInByte = 0
; NumSgprs: 4
; NumVgprs: 0
; NumAgprs: 0
; TotalNumVgprs: 0
; ScratchSize: 0
; MemoryBound: 0
; FloatMode: 240
; IeeeMode: 1
; LDSByteSize: 0 bytes/workgroup (compile time only)
; SGPRBlocks: 0
; VGPRBlocks: 0
; NumSGPRsForWavesPerEU: 4
; NumVGPRsForWavesPerEU: 1
; AccumOffset: 4
; Occupancy: 8
; WaveLimiterHint : 0
; COMPUTE_PGM_RSRC2:SCRATCH_EN: 0
; COMPUTE_PGM_RSRC2:USER_SGPR: 6
; COMPUTE_PGM_RSRC2:TRAP_HANDLER: 0
; COMPUTE_PGM_RSRC2:TGID_X_EN: 1
; COMPUTE_PGM_RSRC2:TGID_Y_EN: 0
; COMPUTE_PGM_RSRC2:TGID_Z_EN: 0
; COMPUTE_PGM_RSRC2:TIDIG_COMP_CNT: 0
; COMPUTE_PGM_RSRC3_GFX90A:ACCUM_OFFSET: 0
; COMPUTE_PGM_RSRC3_GFX90A:TG_SPLIT: 0
	.section	.text._ZN7rocprim17ROCPRIM_400000_NS6detail17trampoline_kernelINS0_14default_configENS1_25partition_config_selectorILNS1_17partition_subalgoE1EyNS0_10empty_typeEbEEZZNS1_14partition_implILS5_1ELb0ES3_jN6thrust23THRUST_200600_302600_NS6detail15normal_iteratorINSA_10device_ptrIyEEEEPS6_NSA_18transform_iteratorI7is_evenIyESF_NSA_11use_defaultESK_EENS0_5tupleIJNSA_16discard_iteratorISK_EESO_EEENSM_IJSG_SG_EEES6_PlJS6_EEE10hipError_tPvRmT3_T4_T5_T6_T7_T9_mT8_P12ihipStream_tbDpT10_ENKUlT_T0_E_clISt17integral_constantIbLb0EES1B_EEDaS16_S17_EUlS16_E_NS1_11comp_targetILNS1_3genE0ELNS1_11target_archE4294967295ELNS1_3gpuE0ELNS1_3repE0EEENS1_30default_config_static_selectorELNS0_4arch9wavefront6targetE1EEEvT1_,"axG",@progbits,_ZN7rocprim17ROCPRIM_400000_NS6detail17trampoline_kernelINS0_14default_configENS1_25partition_config_selectorILNS1_17partition_subalgoE1EyNS0_10empty_typeEbEEZZNS1_14partition_implILS5_1ELb0ES3_jN6thrust23THRUST_200600_302600_NS6detail15normal_iteratorINSA_10device_ptrIyEEEEPS6_NSA_18transform_iteratorI7is_evenIyESF_NSA_11use_defaultESK_EENS0_5tupleIJNSA_16discard_iteratorISK_EESO_EEENSM_IJSG_SG_EEES6_PlJS6_EEE10hipError_tPvRmT3_T4_T5_T6_T7_T9_mT8_P12ihipStream_tbDpT10_ENKUlT_T0_E_clISt17integral_constantIbLb0EES1B_EEDaS16_S17_EUlS16_E_NS1_11comp_targetILNS1_3genE0ELNS1_11target_archE4294967295ELNS1_3gpuE0ELNS1_3repE0EEENS1_30default_config_static_selectorELNS0_4arch9wavefront6targetE1EEEvT1_,comdat
	.protected	_ZN7rocprim17ROCPRIM_400000_NS6detail17trampoline_kernelINS0_14default_configENS1_25partition_config_selectorILNS1_17partition_subalgoE1EyNS0_10empty_typeEbEEZZNS1_14partition_implILS5_1ELb0ES3_jN6thrust23THRUST_200600_302600_NS6detail15normal_iteratorINSA_10device_ptrIyEEEEPS6_NSA_18transform_iteratorI7is_evenIyESF_NSA_11use_defaultESK_EENS0_5tupleIJNSA_16discard_iteratorISK_EESO_EEENSM_IJSG_SG_EEES6_PlJS6_EEE10hipError_tPvRmT3_T4_T5_T6_T7_T9_mT8_P12ihipStream_tbDpT10_ENKUlT_T0_E_clISt17integral_constantIbLb0EES1B_EEDaS16_S17_EUlS16_E_NS1_11comp_targetILNS1_3genE0ELNS1_11target_archE4294967295ELNS1_3gpuE0ELNS1_3repE0EEENS1_30default_config_static_selectorELNS0_4arch9wavefront6targetE1EEEvT1_ ; -- Begin function _ZN7rocprim17ROCPRIM_400000_NS6detail17trampoline_kernelINS0_14default_configENS1_25partition_config_selectorILNS1_17partition_subalgoE1EyNS0_10empty_typeEbEEZZNS1_14partition_implILS5_1ELb0ES3_jN6thrust23THRUST_200600_302600_NS6detail15normal_iteratorINSA_10device_ptrIyEEEEPS6_NSA_18transform_iteratorI7is_evenIyESF_NSA_11use_defaultESK_EENS0_5tupleIJNSA_16discard_iteratorISK_EESO_EEENSM_IJSG_SG_EEES6_PlJS6_EEE10hipError_tPvRmT3_T4_T5_T6_T7_T9_mT8_P12ihipStream_tbDpT10_ENKUlT_T0_E_clISt17integral_constantIbLb0EES1B_EEDaS16_S17_EUlS16_E_NS1_11comp_targetILNS1_3genE0ELNS1_11target_archE4294967295ELNS1_3gpuE0ELNS1_3repE0EEENS1_30default_config_static_selectorELNS0_4arch9wavefront6targetE1EEEvT1_
	.globl	_ZN7rocprim17ROCPRIM_400000_NS6detail17trampoline_kernelINS0_14default_configENS1_25partition_config_selectorILNS1_17partition_subalgoE1EyNS0_10empty_typeEbEEZZNS1_14partition_implILS5_1ELb0ES3_jN6thrust23THRUST_200600_302600_NS6detail15normal_iteratorINSA_10device_ptrIyEEEEPS6_NSA_18transform_iteratorI7is_evenIyESF_NSA_11use_defaultESK_EENS0_5tupleIJNSA_16discard_iteratorISK_EESO_EEENSM_IJSG_SG_EEES6_PlJS6_EEE10hipError_tPvRmT3_T4_T5_T6_T7_T9_mT8_P12ihipStream_tbDpT10_ENKUlT_T0_E_clISt17integral_constantIbLb0EES1B_EEDaS16_S17_EUlS16_E_NS1_11comp_targetILNS1_3genE0ELNS1_11target_archE4294967295ELNS1_3gpuE0ELNS1_3repE0EEENS1_30default_config_static_selectorELNS0_4arch9wavefront6targetE1EEEvT1_
	.p2align	8
	.type	_ZN7rocprim17ROCPRIM_400000_NS6detail17trampoline_kernelINS0_14default_configENS1_25partition_config_selectorILNS1_17partition_subalgoE1EyNS0_10empty_typeEbEEZZNS1_14partition_implILS5_1ELb0ES3_jN6thrust23THRUST_200600_302600_NS6detail15normal_iteratorINSA_10device_ptrIyEEEEPS6_NSA_18transform_iteratorI7is_evenIyESF_NSA_11use_defaultESK_EENS0_5tupleIJNSA_16discard_iteratorISK_EESO_EEENSM_IJSG_SG_EEES6_PlJS6_EEE10hipError_tPvRmT3_T4_T5_T6_T7_T9_mT8_P12ihipStream_tbDpT10_ENKUlT_T0_E_clISt17integral_constantIbLb0EES1B_EEDaS16_S17_EUlS16_E_NS1_11comp_targetILNS1_3genE0ELNS1_11target_archE4294967295ELNS1_3gpuE0ELNS1_3repE0EEENS1_30default_config_static_selectorELNS0_4arch9wavefront6targetE1EEEvT1_,@function
_ZN7rocprim17ROCPRIM_400000_NS6detail17trampoline_kernelINS0_14default_configENS1_25partition_config_selectorILNS1_17partition_subalgoE1EyNS0_10empty_typeEbEEZZNS1_14partition_implILS5_1ELb0ES3_jN6thrust23THRUST_200600_302600_NS6detail15normal_iteratorINSA_10device_ptrIyEEEEPS6_NSA_18transform_iteratorI7is_evenIyESF_NSA_11use_defaultESK_EENS0_5tupleIJNSA_16discard_iteratorISK_EESO_EEENSM_IJSG_SG_EEES6_PlJS6_EEE10hipError_tPvRmT3_T4_T5_T6_T7_T9_mT8_P12ihipStream_tbDpT10_ENKUlT_T0_E_clISt17integral_constantIbLb0EES1B_EEDaS16_S17_EUlS16_E_NS1_11comp_targetILNS1_3genE0ELNS1_11target_archE4294967295ELNS1_3gpuE0ELNS1_3repE0EEENS1_30default_config_static_selectorELNS0_4arch9wavefront6targetE1EEEvT1_: ; @_ZN7rocprim17ROCPRIM_400000_NS6detail17trampoline_kernelINS0_14default_configENS1_25partition_config_selectorILNS1_17partition_subalgoE1EyNS0_10empty_typeEbEEZZNS1_14partition_implILS5_1ELb0ES3_jN6thrust23THRUST_200600_302600_NS6detail15normal_iteratorINSA_10device_ptrIyEEEEPS6_NSA_18transform_iteratorI7is_evenIyESF_NSA_11use_defaultESK_EENS0_5tupleIJNSA_16discard_iteratorISK_EESO_EEENSM_IJSG_SG_EEES6_PlJS6_EEE10hipError_tPvRmT3_T4_T5_T6_T7_T9_mT8_P12ihipStream_tbDpT10_ENKUlT_T0_E_clISt17integral_constantIbLb0EES1B_EEDaS16_S17_EUlS16_E_NS1_11comp_targetILNS1_3genE0ELNS1_11target_archE4294967295ELNS1_3gpuE0ELNS1_3repE0EEENS1_30default_config_static_selectorELNS0_4arch9wavefront6targetE1EEEvT1_
; %bb.0:
	.section	.rodata,"a",@progbits
	.p2align	6, 0x0
	.amdhsa_kernel _ZN7rocprim17ROCPRIM_400000_NS6detail17trampoline_kernelINS0_14default_configENS1_25partition_config_selectorILNS1_17partition_subalgoE1EyNS0_10empty_typeEbEEZZNS1_14partition_implILS5_1ELb0ES3_jN6thrust23THRUST_200600_302600_NS6detail15normal_iteratorINSA_10device_ptrIyEEEEPS6_NSA_18transform_iteratorI7is_evenIyESF_NSA_11use_defaultESK_EENS0_5tupleIJNSA_16discard_iteratorISK_EESO_EEENSM_IJSG_SG_EEES6_PlJS6_EEE10hipError_tPvRmT3_T4_T5_T6_T7_T9_mT8_P12ihipStream_tbDpT10_ENKUlT_T0_E_clISt17integral_constantIbLb0EES1B_EEDaS16_S17_EUlS16_E_NS1_11comp_targetILNS1_3genE0ELNS1_11target_archE4294967295ELNS1_3gpuE0ELNS1_3repE0EEENS1_30default_config_static_selectorELNS0_4arch9wavefront6targetE1EEEvT1_
		.amdhsa_group_segment_fixed_size 0
		.amdhsa_private_segment_fixed_size 0
		.amdhsa_kernarg_size 144
		.amdhsa_user_sgpr_count 6
		.amdhsa_user_sgpr_private_segment_buffer 1
		.amdhsa_user_sgpr_dispatch_ptr 0
		.amdhsa_user_sgpr_queue_ptr 0
		.amdhsa_user_sgpr_kernarg_segment_ptr 1
		.amdhsa_user_sgpr_dispatch_id 0
		.amdhsa_user_sgpr_flat_scratch_init 0
		.amdhsa_user_sgpr_kernarg_preload_length 0
		.amdhsa_user_sgpr_kernarg_preload_offset 0
		.amdhsa_user_sgpr_private_segment_size 0
		.amdhsa_uses_dynamic_stack 0
		.amdhsa_system_sgpr_private_segment_wavefront_offset 0
		.amdhsa_system_sgpr_workgroup_id_x 1
		.amdhsa_system_sgpr_workgroup_id_y 0
		.amdhsa_system_sgpr_workgroup_id_z 0
		.amdhsa_system_sgpr_workgroup_info 0
		.amdhsa_system_vgpr_workitem_id 0
		.amdhsa_next_free_vgpr 1
		.amdhsa_next_free_sgpr 0
		.amdhsa_accum_offset 4
		.amdhsa_reserve_vcc 0
		.amdhsa_reserve_flat_scratch 0
		.amdhsa_float_round_mode_32 0
		.amdhsa_float_round_mode_16_64 0
		.amdhsa_float_denorm_mode_32 3
		.amdhsa_float_denorm_mode_16_64 3
		.amdhsa_dx10_clamp 1
		.amdhsa_ieee_mode 1
		.amdhsa_fp16_overflow 0
		.amdhsa_tg_split 0
		.amdhsa_exception_fp_ieee_invalid_op 0
		.amdhsa_exception_fp_denorm_src 0
		.amdhsa_exception_fp_ieee_div_zero 0
		.amdhsa_exception_fp_ieee_overflow 0
		.amdhsa_exception_fp_ieee_underflow 0
		.amdhsa_exception_fp_ieee_inexact 0
		.amdhsa_exception_int_div_zero 0
	.end_amdhsa_kernel
	.section	.text._ZN7rocprim17ROCPRIM_400000_NS6detail17trampoline_kernelINS0_14default_configENS1_25partition_config_selectorILNS1_17partition_subalgoE1EyNS0_10empty_typeEbEEZZNS1_14partition_implILS5_1ELb0ES3_jN6thrust23THRUST_200600_302600_NS6detail15normal_iteratorINSA_10device_ptrIyEEEEPS6_NSA_18transform_iteratorI7is_evenIyESF_NSA_11use_defaultESK_EENS0_5tupleIJNSA_16discard_iteratorISK_EESO_EEENSM_IJSG_SG_EEES6_PlJS6_EEE10hipError_tPvRmT3_T4_T5_T6_T7_T9_mT8_P12ihipStream_tbDpT10_ENKUlT_T0_E_clISt17integral_constantIbLb0EES1B_EEDaS16_S17_EUlS16_E_NS1_11comp_targetILNS1_3genE0ELNS1_11target_archE4294967295ELNS1_3gpuE0ELNS1_3repE0EEENS1_30default_config_static_selectorELNS0_4arch9wavefront6targetE1EEEvT1_,"axG",@progbits,_ZN7rocprim17ROCPRIM_400000_NS6detail17trampoline_kernelINS0_14default_configENS1_25partition_config_selectorILNS1_17partition_subalgoE1EyNS0_10empty_typeEbEEZZNS1_14partition_implILS5_1ELb0ES3_jN6thrust23THRUST_200600_302600_NS6detail15normal_iteratorINSA_10device_ptrIyEEEEPS6_NSA_18transform_iteratorI7is_evenIyESF_NSA_11use_defaultESK_EENS0_5tupleIJNSA_16discard_iteratorISK_EESO_EEENSM_IJSG_SG_EEES6_PlJS6_EEE10hipError_tPvRmT3_T4_T5_T6_T7_T9_mT8_P12ihipStream_tbDpT10_ENKUlT_T0_E_clISt17integral_constantIbLb0EES1B_EEDaS16_S17_EUlS16_E_NS1_11comp_targetILNS1_3genE0ELNS1_11target_archE4294967295ELNS1_3gpuE0ELNS1_3repE0EEENS1_30default_config_static_selectorELNS0_4arch9wavefront6targetE1EEEvT1_,comdat
.Lfunc_end2875:
	.size	_ZN7rocprim17ROCPRIM_400000_NS6detail17trampoline_kernelINS0_14default_configENS1_25partition_config_selectorILNS1_17partition_subalgoE1EyNS0_10empty_typeEbEEZZNS1_14partition_implILS5_1ELb0ES3_jN6thrust23THRUST_200600_302600_NS6detail15normal_iteratorINSA_10device_ptrIyEEEEPS6_NSA_18transform_iteratorI7is_evenIyESF_NSA_11use_defaultESK_EENS0_5tupleIJNSA_16discard_iteratorISK_EESO_EEENSM_IJSG_SG_EEES6_PlJS6_EEE10hipError_tPvRmT3_T4_T5_T6_T7_T9_mT8_P12ihipStream_tbDpT10_ENKUlT_T0_E_clISt17integral_constantIbLb0EES1B_EEDaS16_S17_EUlS16_E_NS1_11comp_targetILNS1_3genE0ELNS1_11target_archE4294967295ELNS1_3gpuE0ELNS1_3repE0EEENS1_30default_config_static_selectorELNS0_4arch9wavefront6targetE1EEEvT1_, .Lfunc_end2875-_ZN7rocprim17ROCPRIM_400000_NS6detail17trampoline_kernelINS0_14default_configENS1_25partition_config_selectorILNS1_17partition_subalgoE1EyNS0_10empty_typeEbEEZZNS1_14partition_implILS5_1ELb0ES3_jN6thrust23THRUST_200600_302600_NS6detail15normal_iteratorINSA_10device_ptrIyEEEEPS6_NSA_18transform_iteratorI7is_evenIyESF_NSA_11use_defaultESK_EENS0_5tupleIJNSA_16discard_iteratorISK_EESO_EEENSM_IJSG_SG_EEES6_PlJS6_EEE10hipError_tPvRmT3_T4_T5_T6_T7_T9_mT8_P12ihipStream_tbDpT10_ENKUlT_T0_E_clISt17integral_constantIbLb0EES1B_EEDaS16_S17_EUlS16_E_NS1_11comp_targetILNS1_3genE0ELNS1_11target_archE4294967295ELNS1_3gpuE0ELNS1_3repE0EEENS1_30default_config_static_selectorELNS0_4arch9wavefront6targetE1EEEvT1_
                                        ; -- End function
	.section	.AMDGPU.csdata,"",@progbits
; Kernel info:
; codeLenInByte = 0
; NumSgprs: 4
; NumVgprs: 0
; NumAgprs: 0
; TotalNumVgprs: 0
; ScratchSize: 0
; MemoryBound: 0
; FloatMode: 240
; IeeeMode: 1
; LDSByteSize: 0 bytes/workgroup (compile time only)
; SGPRBlocks: 0
; VGPRBlocks: 0
; NumSGPRsForWavesPerEU: 4
; NumVGPRsForWavesPerEU: 1
; AccumOffset: 4
; Occupancy: 8
; WaveLimiterHint : 0
; COMPUTE_PGM_RSRC2:SCRATCH_EN: 0
; COMPUTE_PGM_RSRC2:USER_SGPR: 6
; COMPUTE_PGM_RSRC2:TRAP_HANDLER: 0
; COMPUTE_PGM_RSRC2:TGID_X_EN: 1
; COMPUTE_PGM_RSRC2:TGID_Y_EN: 0
; COMPUTE_PGM_RSRC2:TGID_Z_EN: 0
; COMPUTE_PGM_RSRC2:TIDIG_COMP_CNT: 0
; COMPUTE_PGM_RSRC3_GFX90A:ACCUM_OFFSET: 0
; COMPUTE_PGM_RSRC3_GFX90A:TG_SPLIT: 0
	.section	.text._ZN7rocprim17ROCPRIM_400000_NS6detail17trampoline_kernelINS0_14default_configENS1_25partition_config_selectorILNS1_17partition_subalgoE1EyNS0_10empty_typeEbEEZZNS1_14partition_implILS5_1ELb0ES3_jN6thrust23THRUST_200600_302600_NS6detail15normal_iteratorINSA_10device_ptrIyEEEEPS6_NSA_18transform_iteratorI7is_evenIyESF_NSA_11use_defaultESK_EENS0_5tupleIJNSA_16discard_iteratorISK_EESO_EEENSM_IJSG_SG_EEES6_PlJS6_EEE10hipError_tPvRmT3_T4_T5_T6_T7_T9_mT8_P12ihipStream_tbDpT10_ENKUlT_T0_E_clISt17integral_constantIbLb0EES1B_EEDaS16_S17_EUlS16_E_NS1_11comp_targetILNS1_3genE5ELNS1_11target_archE942ELNS1_3gpuE9ELNS1_3repE0EEENS1_30default_config_static_selectorELNS0_4arch9wavefront6targetE1EEEvT1_,"axG",@progbits,_ZN7rocprim17ROCPRIM_400000_NS6detail17trampoline_kernelINS0_14default_configENS1_25partition_config_selectorILNS1_17partition_subalgoE1EyNS0_10empty_typeEbEEZZNS1_14partition_implILS5_1ELb0ES3_jN6thrust23THRUST_200600_302600_NS6detail15normal_iteratorINSA_10device_ptrIyEEEEPS6_NSA_18transform_iteratorI7is_evenIyESF_NSA_11use_defaultESK_EENS0_5tupleIJNSA_16discard_iteratorISK_EESO_EEENSM_IJSG_SG_EEES6_PlJS6_EEE10hipError_tPvRmT3_T4_T5_T6_T7_T9_mT8_P12ihipStream_tbDpT10_ENKUlT_T0_E_clISt17integral_constantIbLb0EES1B_EEDaS16_S17_EUlS16_E_NS1_11comp_targetILNS1_3genE5ELNS1_11target_archE942ELNS1_3gpuE9ELNS1_3repE0EEENS1_30default_config_static_selectorELNS0_4arch9wavefront6targetE1EEEvT1_,comdat
	.protected	_ZN7rocprim17ROCPRIM_400000_NS6detail17trampoline_kernelINS0_14default_configENS1_25partition_config_selectorILNS1_17partition_subalgoE1EyNS0_10empty_typeEbEEZZNS1_14partition_implILS5_1ELb0ES3_jN6thrust23THRUST_200600_302600_NS6detail15normal_iteratorINSA_10device_ptrIyEEEEPS6_NSA_18transform_iteratorI7is_evenIyESF_NSA_11use_defaultESK_EENS0_5tupleIJNSA_16discard_iteratorISK_EESO_EEENSM_IJSG_SG_EEES6_PlJS6_EEE10hipError_tPvRmT3_T4_T5_T6_T7_T9_mT8_P12ihipStream_tbDpT10_ENKUlT_T0_E_clISt17integral_constantIbLb0EES1B_EEDaS16_S17_EUlS16_E_NS1_11comp_targetILNS1_3genE5ELNS1_11target_archE942ELNS1_3gpuE9ELNS1_3repE0EEENS1_30default_config_static_selectorELNS0_4arch9wavefront6targetE1EEEvT1_ ; -- Begin function _ZN7rocprim17ROCPRIM_400000_NS6detail17trampoline_kernelINS0_14default_configENS1_25partition_config_selectorILNS1_17partition_subalgoE1EyNS0_10empty_typeEbEEZZNS1_14partition_implILS5_1ELb0ES3_jN6thrust23THRUST_200600_302600_NS6detail15normal_iteratorINSA_10device_ptrIyEEEEPS6_NSA_18transform_iteratorI7is_evenIyESF_NSA_11use_defaultESK_EENS0_5tupleIJNSA_16discard_iteratorISK_EESO_EEENSM_IJSG_SG_EEES6_PlJS6_EEE10hipError_tPvRmT3_T4_T5_T6_T7_T9_mT8_P12ihipStream_tbDpT10_ENKUlT_T0_E_clISt17integral_constantIbLb0EES1B_EEDaS16_S17_EUlS16_E_NS1_11comp_targetILNS1_3genE5ELNS1_11target_archE942ELNS1_3gpuE9ELNS1_3repE0EEENS1_30default_config_static_selectorELNS0_4arch9wavefront6targetE1EEEvT1_
	.globl	_ZN7rocprim17ROCPRIM_400000_NS6detail17trampoline_kernelINS0_14default_configENS1_25partition_config_selectorILNS1_17partition_subalgoE1EyNS0_10empty_typeEbEEZZNS1_14partition_implILS5_1ELb0ES3_jN6thrust23THRUST_200600_302600_NS6detail15normal_iteratorINSA_10device_ptrIyEEEEPS6_NSA_18transform_iteratorI7is_evenIyESF_NSA_11use_defaultESK_EENS0_5tupleIJNSA_16discard_iteratorISK_EESO_EEENSM_IJSG_SG_EEES6_PlJS6_EEE10hipError_tPvRmT3_T4_T5_T6_T7_T9_mT8_P12ihipStream_tbDpT10_ENKUlT_T0_E_clISt17integral_constantIbLb0EES1B_EEDaS16_S17_EUlS16_E_NS1_11comp_targetILNS1_3genE5ELNS1_11target_archE942ELNS1_3gpuE9ELNS1_3repE0EEENS1_30default_config_static_selectorELNS0_4arch9wavefront6targetE1EEEvT1_
	.p2align	8
	.type	_ZN7rocprim17ROCPRIM_400000_NS6detail17trampoline_kernelINS0_14default_configENS1_25partition_config_selectorILNS1_17partition_subalgoE1EyNS0_10empty_typeEbEEZZNS1_14partition_implILS5_1ELb0ES3_jN6thrust23THRUST_200600_302600_NS6detail15normal_iteratorINSA_10device_ptrIyEEEEPS6_NSA_18transform_iteratorI7is_evenIyESF_NSA_11use_defaultESK_EENS0_5tupleIJNSA_16discard_iteratorISK_EESO_EEENSM_IJSG_SG_EEES6_PlJS6_EEE10hipError_tPvRmT3_T4_T5_T6_T7_T9_mT8_P12ihipStream_tbDpT10_ENKUlT_T0_E_clISt17integral_constantIbLb0EES1B_EEDaS16_S17_EUlS16_E_NS1_11comp_targetILNS1_3genE5ELNS1_11target_archE942ELNS1_3gpuE9ELNS1_3repE0EEENS1_30default_config_static_selectorELNS0_4arch9wavefront6targetE1EEEvT1_,@function
_ZN7rocprim17ROCPRIM_400000_NS6detail17trampoline_kernelINS0_14default_configENS1_25partition_config_selectorILNS1_17partition_subalgoE1EyNS0_10empty_typeEbEEZZNS1_14partition_implILS5_1ELb0ES3_jN6thrust23THRUST_200600_302600_NS6detail15normal_iteratorINSA_10device_ptrIyEEEEPS6_NSA_18transform_iteratorI7is_evenIyESF_NSA_11use_defaultESK_EENS0_5tupleIJNSA_16discard_iteratorISK_EESO_EEENSM_IJSG_SG_EEES6_PlJS6_EEE10hipError_tPvRmT3_T4_T5_T6_T7_T9_mT8_P12ihipStream_tbDpT10_ENKUlT_T0_E_clISt17integral_constantIbLb0EES1B_EEDaS16_S17_EUlS16_E_NS1_11comp_targetILNS1_3genE5ELNS1_11target_archE942ELNS1_3gpuE9ELNS1_3repE0EEENS1_30default_config_static_selectorELNS0_4arch9wavefront6targetE1EEEvT1_: ; @_ZN7rocprim17ROCPRIM_400000_NS6detail17trampoline_kernelINS0_14default_configENS1_25partition_config_selectorILNS1_17partition_subalgoE1EyNS0_10empty_typeEbEEZZNS1_14partition_implILS5_1ELb0ES3_jN6thrust23THRUST_200600_302600_NS6detail15normal_iteratorINSA_10device_ptrIyEEEEPS6_NSA_18transform_iteratorI7is_evenIyESF_NSA_11use_defaultESK_EENS0_5tupleIJNSA_16discard_iteratorISK_EESO_EEENSM_IJSG_SG_EEES6_PlJS6_EEE10hipError_tPvRmT3_T4_T5_T6_T7_T9_mT8_P12ihipStream_tbDpT10_ENKUlT_T0_E_clISt17integral_constantIbLb0EES1B_EEDaS16_S17_EUlS16_E_NS1_11comp_targetILNS1_3genE5ELNS1_11target_archE942ELNS1_3gpuE9ELNS1_3repE0EEENS1_30default_config_static_selectorELNS0_4arch9wavefront6targetE1EEEvT1_
; %bb.0:
	.section	.rodata,"a",@progbits
	.p2align	6, 0x0
	.amdhsa_kernel _ZN7rocprim17ROCPRIM_400000_NS6detail17trampoline_kernelINS0_14default_configENS1_25partition_config_selectorILNS1_17partition_subalgoE1EyNS0_10empty_typeEbEEZZNS1_14partition_implILS5_1ELb0ES3_jN6thrust23THRUST_200600_302600_NS6detail15normal_iteratorINSA_10device_ptrIyEEEEPS6_NSA_18transform_iteratorI7is_evenIyESF_NSA_11use_defaultESK_EENS0_5tupleIJNSA_16discard_iteratorISK_EESO_EEENSM_IJSG_SG_EEES6_PlJS6_EEE10hipError_tPvRmT3_T4_T5_T6_T7_T9_mT8_P12ihipStream_tbDpT10_ENKUlT_T0_E_clISt17integral_constantIbLb0EES1B_EEDaS16_S17_EUlS16_E_NS1_11comp_targetILNS1_3genE5ELNS1_11target_archE942ELNS1_3gpuE9ELNS1_3repE0EEENS1_30default_config_static_selectorELNS0_4arch9wavefront6targetE1EEEvT1_
		.amdhsa_group_segment_fixed_size 0
		.amdhsa_private_segment_fixed_size 0
		.amdhsa_kernarg_size 144
		.amdhsa_user_sgpr_count 6
		.amdhsa_user_sgpr_private_segment_buffer 1
		.amdhsa_user_sgpr_dispatch_ptr 0
		.amdhsa_user_sgpr_queue_ptr 0
		.amdhsa_user_sgpr_kernarg_segment_ptr 1
		.amdhsa_user_sgpr_dispatch_id 0
		.amdhsa_user_sgpr_flat_scratch_init 0
		.amdhsa_user_sgpr_kernarg_preload_length 0
		.amdhsa_user_sgpr_kernarg_preload_offset 0
		.amdhsa_user_sgpr_private_segment_size 0
		.amdhsa_uses_dynamic_stack 0
		.amdhsa_system_sgpr_private_segment_wavefront_offset 0
		.amdhsa_system_sgpr_workgroup_id_x 1
		.amdhsa_system_sgpr_workgroup_id_y 0
		.amdhsa_system_sgpr_workgroup_id_z 0
		.amdhsa_system_sgpr_workgroup_info 0
		.amdhsa_system_vgpr_workitem_id 0
		.amdhsa_next_free_vgpr 1
		.amdhsa_next_free_sgpr 0
		.amdhsa_accum_offset 4
		.amdhsa_reserve_vcc 0
		.amdhsa_reserve_flat_scratch 0
		.amdhsa_float_round_mode_32 0
		.amdhsa_float_round_mode_16_64 0
		.amdhsa_float_denorm_mode_32 3
		.amdhsa_float_denorm_mode_16_64 3
		.amdhsa_dx10_clamp 1
		.amdhsa_ieee_mode 1
		.amdhsa_fp16_overflow 0
		.amdhsa_tg_split 0
		.amdhsa_exception_fp_ieee_invalid_op 0
		.amdhsa_exception_fp_denorm_src 0
		.amdhsa_exception_fp_ieee_div_zero 0
		.amdhsa_exception_fp_ieee_overflow 0
		.amdhsa_exception_fp_ieee_underflow 0
		.amdhsa_exception_fp_ieee_inexact 0
		.amdhsa_exception_int_div_zero 0
	.end_amdhsa_kernel
	.section	.text._ZN7rocprim17ROCPRIM_400000_NS6detail17trampoline_kernelINS0_14default_configENS1_25partition_config_selectorILNS1_17partition_subalgoE1EyNS0_10empty_typeEbEEZZNS1_14partition_implILS5_1ELb0ES3_jN6thrust23THRUST_200600_302600_NS6detail15normal_iteratorINSA_10device_ptrIyEEEEPS6_NSA_18transform_iteratorI7is_evenIyESF_NSA_11use_defaultESK_EENS0_5tupleIJNSA_16discard_iteratorISK_EESO_EEENSM_IJSG_SG_EEES6_PlJS6_EEE10hipError_tPvRmT3_T4_T5_T6_T7_T9_mT8_P12ihipStream_tbDpT10_ENKUlT_T0_E_clISt17integral_constantIbLb0EES1B_EEDaS16_S17_EUlS16_E_NS1_11comp_targetILNS1_3genE5ELNS1_11target_archE942ELNS1_3gpuE9ELNS1_3repE0EEENS1_30default_config_static_selectorELNS0_4arch9wavefront6targetE1EEEvT1_,"axG",@progbits,_ZN7rocprim17ROCPRIM_400000_NS6detail17trampoline_kernelINS0_14default_configENS1_25partition_config_selectorILNS1_17partition_subalgoE1EyNS0_10empty_typeEbEEZZNS1_14partition_implILS5_1ELb0ES3_jN6thrust23THRUST_200600_302600_NS6detail15normal_iteratorINSA_10device_ptrIyEEEEPS6_NSA_18transform_iteratorI7is_evenIyESF_NSA_11use_defaultESK_EENS0_5tupleIJNSA_16discard_iteratorISK_EESO_EEENSM_IJSG_SG_EEES6_PlJS6_EEE10hipError_tPvRmT3_T4_T5_T6_T7_T9_mT8_P12ihipStream_tbDpT10_ENKUlT_T0_E_clISt17integral_constantIbLb0EES1B_EEDaS16_S17_EUlS16_E_NS1_11comp_targetILNS1_3genE5ELNS1_11target_archE942ELNS1_3gpuE9ELNS1_3repE0EEENS1_30default_config_static_selectorELNS0_4arch9wavefront6targetE1EEEvT1_,comdat
.Lfunc_end2876:
	.size	_ZN7rocprim17ROCPRIM_400000_NS6detail17trampoline_kernelINS0_14default_configENS1_25partition_config_selectorILNS1_17partition_subalgoE1EyNS0_10empty_typeEbEEZZNS1_14partition_implILS5_1ELb0ES3_jN6thrust23THRUST_200600_302600_NS6detail15normal_iteratorINSA_10device_ptrIyEEEEPS6_NSA_18transform_iteratorI7is_evenIyESF_NSA_11use_defaultESK_EENS0_5tupleIJNSA_16discard_iteratorISK_EESO_EEENSM_IJSG_SG_EEES6_PlJS6_EEE10hipError_tPvRmT3_T4_T5_T6_T7_T9_mT8_P12ihipStream_tbDpT10_ENKUlT_T0_E_clISt17integral_constantIbLb0EES1B_EEDaS16_S17_EUlS16_E_NS1_11comp_targetILNS1_3genE5ELNS1_11target_archE942ELNS1_3gpuE9ELNS1_3repE0EEENS1_30default_config_static_selectorELNS0_4arch9wavefront6targetE1EEEvT1_, .Lfunc_end2876-_ZN7rocprim17ROCPRIM_400000_NS6detail17trampoline_kernelINS0_14default_configENS1_25partition_config_selectorILNS1_17partition_subalgoE1EyNS0_10empty_typeEbEEZZNS1_14partition_implILS5_1ELb0ES3_jN6thrust23THRUST_200600_302600_NS6detail15normal_iteratorINSA_10device_ptrIyEEEEPS6_NSA_18transform_iteratorI7is_evenIyESF_NSA_11use_defaultESK_EENS0_5tupleIJNSA_16discard_iteratorISK_EESO_EEENSM_IJSG_SG_EEES6_PlJS6_EEE10hipError_tPvRmT3_T4_T5_T6_T7_T9_mT8_P12ihipStream_tbDpT10_ENKUlT_T0_E_clISt17integral_constantIbLb0EES1B_EEDaS16_S17_EUlS16_E_NS1_11comp_targetILNS1_3genE5ELNS1_11target_archE942ELNS1_3gpuE9ELNS1_3repE0EEENS1_30default_config_static_selectorELNS0_4arch9wavefront6targetE1EEEvT1_
                                        ; -- End function
	.section	.AMDGPU.csdata,"",@progbits
; Kernel info:
; codeLenInByte = 0
; NumSgprs: 4
; NumVgprs: 0
; NumAgprs: 0
; TotalNumVgprs: 0
; ScratchSize: 0
; MemoryBound: 0
; FloatMode: 240
; IeeeMode: 1
; LDSByteSize: 0 bytes/workgroup (compile time only)
; SGPRBlocks: 0
; VGPRBlocks: 0
; NumSGPRsForWavesPerEU: 4
; NumVGPRsForWavesPerEU: 1
; AccumOffset: 4
; Occupancy: 8
; WaveLimiterHint : 0
; COMPUTE_PGM_RSRC2:SCRATCH_EN: 0
; COMPUTE_PGM_RSRC2:USER_SGPR: 6
; COMPUTE_PGM_RSRC2:TRAP_HANDLER: 0
; COMPUTE_PGM_RSRC2:TGID_X_EN: 1
; COMPUTE_PGM_RSRC2:TGID_Y_EN: 0
; COMPUTE_PGM_RSRC2:TGID_Z_EN: 0
; COMPUTE_PGM_RSRC2:TIDIG_COMP_CNT: 0
; COMPUTE_PGM_RSRC3_GFX90A:ACCUM_OFFSET: 0
; COMPUTE_PGM_RSRC3_GFX90A:TG_SPLIT: 0
	.section	.text._ZN7rocprim17ROCPRIM_400000_NS6detail17trampoline_kernelINS0_14default_configENS1_25partition_config_selectorILNS1_17partition_subalgoE1EyNS0_10empty_typeEbEEZZNS1_14partition_implILS5_1ELb0ES3_jN6thrust23THRUST_200600_302600_NS6detail15normal_iteratorINSA_10device_ptrIyEEEEPS6_NSA_18transform_iteratorI7is_evenIyESF_NSA_11use_defaultESK_EENS0_5tupleIJNSA_16discard_iteratorISK_EESO_EEENSM_IJSG_SG_EEES6_PlJS6_EEE10hipError_tPvRmT3_T4_T5_T6_T7_T9_mT8_P12ihipStream_tbDpT10_ENKUlT_T0_E_clISt17integral_constantIbLb0EES1B_EEDaS16_S17_EUlS16_E_NS1_11comp_targetILNS1_3genE4ELNS1_11target_archE910ELNS1_3gpuE8ELNS1_3repE0EEENS1_30default_config_static_selectorELNS0_4arch9wavefront6targetE1EEEvT1_,"axG",@progbits,_ZN7rocprim17ROCPRIM_400000_NS6detail17trampoline_kernelINS0_14default_configENS1_25partition_config_selectorILNS1_17partition_subalgoE1EyNS0_10empty_typeEbEEZZNS1_14partition_implILS5_1ELb0ES3_jN6thrust23THRUST_200600_302600_NS6detail15normal_iteratorINSA_10device_ptrIyEEEEPS6_NSA_18transform_iteratorI7is_evenIyESF_NSA_11use_defaultESK_EENS0_5tupleIJNSA_16discard_iteratorISK_EESO_EEENSM_IJSG_SG_EEES6_PlJS6_EEE10hipError_tPvRmT3_T4_T5_T6_T7_T9_mT8_P12ihipStream_tbDpT10_ENKUlT_T0_E_clISt17integral_constantIbLb0EES1B_EEDaS16_S17_EUlS16_E_NS1_11comp_targetILNS1_3genE4ELNS1_11target_archE910ELNS1_3gpuE8ELNS1_3repE0EEENS1_30default_config_static_selectorELNS0_4arch9wavefront6targetE1EEEvT1_,comdat
	.protected	_ZN7rocprim17ROCPRIM_400000_NS6detail17trampoline_kernelINS0_14default_configENS1_25partition_config_selectorILNS1_17partition_subalgoE1EyNS0_10empty_typeEbEEZZNS1_14partition_implILS5_1ELb0ES3_jN6thrust23THRUST_200600_302600_NS6detail15normal_iteratorINSA_10device_ptrIyEEEEPS6_NSA_18transform_iteratorI7is_evenIyESF_NSA_11use_defaultESK_EENS0_5tupleIJNSA_16discard_iteratorISK_EESO_EEENSM_IJSG_SG_EEES6_PlJS6_EEE10hipError_tPvRmT3_T4_T5_T6_T7_T9_mT8_P12ihipStream_tbDpT10_ENKUlT_T0_E_clISt17integral_constantIbLb0EES1B_EEDaS16_S17_EUlS16_E_NS1_11comp_targetILNS1_3genE4ELNS1_11target_archE910ELNS1_3gpuE8ELNS1_3repE0EEENS1_30default_config_static_selectorELNS0_4arch9wavefront6targetE1EEEvT1_ ; -- Begin function _ZN7rocprim17ROCPRIM_400000_NS6detail17trampoline_kernelINS0_14default_configENS1_25partition_config_selectorILNS1_17partition_subalgoE1EyNS0_10empty_typeEbEEZZNS1_14partition_implILS5_1ELb0ES3_jN6thrust23THRUST_200600_302600_NS6detail15normal_iteratorINSA_10device_ptrIyEEEEPS6_NSA_18transform_iteratorI7is_evenIyESF_NSA_11use_defaultESK_EENS0_5tupleIJNSA_16discard_iteratorISK_EESO_EEENSM_IJSG_SG_EEES6_PlJS6_EEE10hipError_tPvRmT3_T4_T5_T6_T7_T9_mT8_P12ihipStream_tbDpT10_ENKUlT_T0_E_clISt17integral_constantIbLb0EES1B_EEDaS16_S17_EUlS16_E_NS1_11comp_targetILNS1_3genE4ELNS1_11target_archE910ELNS1_3gpuE8ELNS1_3repE0EEENS1_30default_config_static_selectorELNS0_4arch9wavefront6targetE1EEEvT1_
	.globl	_ZN7rocprim17ROCPRIM_400000_NS6detail17trampoline_kernelINS0_14default_configENS1_25partition_config_selectorILNS1_17partition_subalgoE1EyNS0_10empty_typeEbEEZZNS1_14partition_implILS5_1ELb0ES3_jN6thrust23THRUST_200600_302600_NS6detail15normal_iteratorINSA_10device_ptrIyEEEEPS6_NSA_18transform_iteratorI7is_evenIyESF_NSA_11use_defaultESK_EENS0_5tupleIJNSA_16discard_iteratorISK_EESO_EEENSM_IJSG_SG_EEES6_PlJS6_EEE10hipError_tPvRmT3_T4_T5_T6_T7_T9_mT8_P12ihipStream_tbDpT10_ENKUlT_T0_E_clISt17integral_constantIbLb0EES1B_EEDaS16_S17_EUlS16_E_NS1_11comp_targetILNS1_3genE4ELNS1_11target_archE910ELNS1_3gpuE8ELNS1_3repE0EEENS1_30default_config_static_selectorELNS0_4arch9wavefront6targetE1EEEvT1_
	.p2align	8
	.type	_ZN7rocprim17ROCPRIM_400000_NS6detail17trampoline_kernelINS0_14default_configENS1_25partition_config_selectorILNS1_17partition_subalgoE1EyNS0_10empty_typeEbEEZZNS1_14partition_implILS5_1ELb0ES3_jN6thrust23THRUST_200600_302600_NS6detail15normal_iteratorINSA_10device_ptrIyEEEEPS6_NSA_18transform_iteratorI7is_evenIyESF_NSA_11use_defaultESK_EENS0_5tupleIJNSA_16discard_iteratorISK_EESO_EEENSM_IJSG_SG_EEES6_PlJS6_EEE10hipError_tPvRmT3_T4_T5_T6_T7_T9_mT8_P12ihipStream_tbDpT10_ENKUlT_T0_E_clISt17integral_constantIbLb0EES1B_EEDaS16_S17_EUlS16_E_NS1_11comp_targetILNS1_3genE4ELNS1_11target_archE910ELNS1_3gpuE8ELNS1_3repE0EEENS1_30default_config_static_selectorELNS0_4arch9wavefront6targetE1EEEvT1_,@function
_ZN7rocprim17ROCPRIM_400000_NS6detail17trampoline_kernelINS0_14default_configENS1_25partition_config_selectorILNS1_17partition_subalgoE1EyNS0_10empty_typeEbEEZZNS1_14partition_implILS5_1ELb0ES3_jN6thrust23THRUST_200600_302600_NS6detail15normal_iteratorINSA_10device_ptrIyEEEEPS6_NSA_18transform_iteratorI7is_evenIyESF_NSA_11use_defaultESK_EENS0_5tupleIJNSA_16discard_iteratorISK_EESO_EEENSM_IJSG_SG_EEES6_PlJS6_EEE10hipError_tPvRmT3_T4_T5_T6_T7_T9_mT8_P12ihipStream_tbDpT10_ENKUlT_T0_E_clISt17integral_constantIbLb0EES1B_EEDaS16_S17_EUlS16_E_NS1_11comp_targetILNS1_3genE4ELNS1_11target_archE910ELNS1_3gpuE8ELNS1_3repE0EEENS1_30default_config_static_selectorELNS0_4arch9wavefront6targetE1EEEvT1_: ; @_ZN7rocprim17ROCPRIM_400000_NS6detail17trampoline_kernelINS0_14default_configENS1_25partition_config_selectorILNS1_17partition_subalgoE1EyNS0_10empty_typeEbEEZZNS1_14partition_implILS5_1ELb0ES3_jN6thrust23THRUST_200600_302600_NS6detail15normal_iteratorINSA_10device_ptrIyEEEEPS6_NSA_18transform_iteratorI7is_evenIyESF_NSA_11use_defaultESK_EENS0_5tupleIJNSA_16discard_iteratorISK_EESO_EEENSM_IJSG_SG_EEES6_PlJS6_EEE10hipError_tPvRmT3_T4_T5_T6_T7_T9_mT8_P12ihipStream_tbDpT10_ENKUlT_T0_E_clISt17integral_constantIbLb0EES1B_EEDaS16_S17_EUlS16_E_NS1_11comp_targetILNS1_3genE4ELNS1_11target_archE910ELNS1_3gpuE8ELNS1_3repE0EEENS1_30default_config_static_selectorELNS0_4arch9wavefront6targetE1EEEvT1_
; %bb.0:
	s_load_dwordx2 s[0:1], s[4:5], 0x70
	s_load_dwordx4 s[12:15], s[4:5], 0x8
	s_load_dwordx2 s[2:3], s[4:5], 0x20
	s_load_dwordx4 s[20:23], s[4:5], 0x60
	v_lshlrev_b32_e32 v10, 3, v0
	s_waitcnt lgkmcnt(0)
	v_mov_b32_e32 v3, s1
	s_load_dword s1, s[4:5], 0x88
	s_lshl_b64 s[8:9], s[14:15], 3
	s_add_u32 s16, s12, s8
	s_addc_u32 s17, s13, s9
	v_mov_b32_e32 v2, s0
	s_waitcnt lgkmcnt(0)
	s_add_i32 s10, s1, -1
	s_mulk_i32 s1, 0x300
	s_add_i32 s7, s1, s14
	s_sub_i32 s7, s0, s7
	s_addk_i32 s7, 0x300
	s_add_u32 s0, s14, s1
	s_addc_u32 s1, s15, 0
	s_cmp_eq_u32 s6, s10
	s_load_dwordx2 s[18:19], s[22:23], 0x0
	s_cselect_b64 s[22:23], -1, 0
	s_cmp_lg_u32 s6, s10
	s_mul_i32 s12, s6, 0x300
	s_mov_b32 s13, 0
	v_cmp_lt_u64_e32 vcc, s[0:1], v[2:3]
	s_cselect_b64 s[0:1], -1, 0
	s_or_b64 s[10:11], s[0:1], vcc
	s_lshl_b64 s[12:13], s[12:13], 3
	s_add_u32 s16, s16, s12
	s_addc_u32 s17, s17, s13
	s_mov_b64 s[0:1], -1
	s_and_b64 vcc, exec, s[10:11]
	v_lshrrev_b32_e32 v1, 2, v0
	s_cbranch_vccz .LBB2877_2
; %bb.1:
	v_mov_b32_e32 v3, s17
	v_add_co_u32_e32 v2, vcc, s16, v10
	v_addc_co_u32_e32 v3, vcc, 0, v3, vcc
	v_add_co_u32_e32 v4, vcc, 0x1000, v2
	v_addc_co_u32_e32 v5, vcc, 0, v3, vcc
	flat_load_dwordx2 v[6:7], v[2:3]
	flat_load_dwordx2 v[8:9], v[2:3] offset:1536
	flat_load_dwordx2 v[12:13], v[2:3] offset:3072
	;; [unrolled: 1-line block ×3, first 2 shown]
	v_add_u32_e32 v3, 0xc0, v0
	v_add_u32_e32 v4, 0x180, v0
	;; [unrolled: 1-line block ×3, first 2 shown]
	v_and_b32_e32 v2, 56, v1
	v_lshrrev_b32_e32 v3, 2, v3
	v_lshrrev_b32_e32 v4, 2, v4
	;; [unrolled: 1-line block ×3, first 2 shown]
	v_add_u32_e32 v2, v2, v10
	v_and_b32_e32 v3, 0x78, v3
	v_and_b32_e32 v4, 0xf8, v4
	;; [unrolled: 1-line block ×3, first 2 shown]
	v_add_u32_e32 v3, v3, v10
	v_add_u32_e32 v4, v4, v10
	;; [unrolled: 1-line block ×3, first 2 shown]
	s_mov_b64 s[0:1], 0
	s_waitcnt vmcnt(0) lgkmcnt(0)
	ds_write_b64 v2, v[6:7]
	ds_write_b64 v3, v[8:9] offset:1536
	ds_write_b64 v4, v[12:13] offset:3072
	;; [unrolled: 1-line block ×3, first 2 shown]
	s_waitcnt lgkmcnt(0)
	s_barrier
.LBB2877_2:
	s_andn2_b64 vcc, exec, s[0:1]
	v_cmp_gt_u32_e64 s[0:1], s7, v0
	s_cbranch_vccnz .LBB2877_12
; %bb.3:
                                        ; implicit-def: $vgpr2_vgpr3_vgpr4_vgpr5_vgpr6_vgpr7_vgpr8_vgpr9
	s_and_saveexec_b64 s[14:15], s[0:1]
	s_cbranch_execz .LBB2877_5
; %bb.4:
	v_mov_b32_e32 v3, s17
	v_add_co_u32_e32 v2, vcc, s16, v10
	v_addc_co_u32_e32 v3, vcc, 0, v3, vcc
	flat_load_dwordx2 v[2:3], v[2:3]
.LBB2877_5:
	s_or_b64 exec, exec, s[14:15]
	v_add_u32_e32 v11, 0xc0, v0
	v_cmp_gt_u32_e32 vcc, s7, v11
	s_and_saveexec_b64 s[0:1], vcc
	s_cbranch_execz .LBB2877_7
; %bb.6:
	v_mov_b32_e32 v5, s17
	v_add_co_u32_e32 v4, vcc, s16, v10
	v_addc_co_u32_e32 v5, vcc, 0, v5, vcc
	flat_load_dwordx2 v[4:5], v[4:5] offset:1536
.LBB2877_7:
	s_or_b64 exec, exec, s[0:1]
	v_add_u32_e32 v12, 0x180, v0
	v_cmp_gt_u32_e32 vcc, s7, v12
	s_and_saveexec_b64 s[0:1], vcc
	s_cbranch_execz .LBB2877_9
; %bb.8:
	v_mov_b32_e32 v7, s17
	v_add_co_u32_e32 v6, vcc, s16, v10
	v_addc_co_u32_e32 v7, vcc, 0, v7, vcc
	flat_load_dwordx2 v[6:7], v[6:7] offset:3072
.LBB2877_9:
	s_or_b64 exec, exec, s[0:1]
	v_add_u32_e32 v13, 0x240, v0
	v_cmp_gt_u32_e32 vcc, s7, v13
	s_and_saveexec_b64 s[0:1], vcc
	s_cbranch_execz .LBB2877_11
; %bb.10:
	v_lshlrev_b32_e32 v8, 3, v13
	v_mov_b32_e32 v9, s17
	v_add_co_u32_e32 v8, vcc, s16, v8
	v_addc_co_u32_e32 v9, vcc, 0, v9, vcc
	flat_load_dwordx2 v[8:9], v[8:9]
.LBB2877_11:
	s_or_b64 exec, exec, s[0:1]
	v_and_b32_e32 v1, 56, v1
	v_add_u32_e32 v1, v1, v10
	s_waitcnt vmcnt(0) lgkmcnt(0)
	ds_write_b64 v1, v[2:3]
	v_lshrrev_b32_e32 v1, 2, v11
	v_and_b32_e32 v1, 0x78, v1
	v_add_u32_e32 v1, v1, v10
	ds_write_b64 v1, v[4:5] offset:1536
	v_lshrrev_b32_e32 v1, 2, v12
	v_and_b32_e32 v1, 0xf8, v1
	v_add_u32_e32 v1, v1, v10
	ds_write_b64 v1, v[6:7] offset:3072
	;; [unrolled: 4-line block ×3, first 2 shown]
	s_waitcnt lgkmcnt(0)
	s_barrier
.LBB2877_12:
	v_lshlrev_b32_e32 v1, 2, v0
	v_lshrrev_b32_e32 v11, 3, v0
	v_add_lshl_u32 v2, v11, v1, 3
	s_waitcnt lgkmcnt(0)
	ds_read2_b64 v[6:9], v2 offset1:1
	ds_read2_b64 v[2:5], v2 offset0:2 offset1:3
	s_add_u32 s0, s2, s8
	s_addc_u32 s1, s3, s9
	s_add_u32 s0, s0, s12
	s_addc_u32 s1, s1, s13
	s_mov_b64 s[2:3], -1
	s_and_b64 vcc, exec, s[10:11]
	v_lshrrev_b32_e32 v12, 5, v0
	s_waitcnt lgkmcnt(0)
	s_barrier
	s_cbranch_vccz .LBB2877_14
; %bb.13:
	global_load_dwordx2 v[14:15], v10, s[0:1]
	global_load_dwordx2 v[16:17], v10, s[0:1] offset:1536
	global_load_dwordx2 v[18:19], v10, s[0:1] offset:3072
	v_mov_b32_e32 v13, s1
	s_waitcnt vmcnt(2)
	v_add_co_u32_e32 v15, vcc, s0, v10
	v_addc_co_u32_e32 v13, vcc, 0, v13, vcc
	v_add_co_u32_e32 v20, vcc, 0x1000, v15
	v_addc_co_u32_e32 v21, vcc, 0, v13, vcc
	global_load_dwordx2 v[20:21], v[20:21], off offset:512
	v_add_u32_e32 v15, 0xc0, v0
	s_waitcnt vmcnt(2)
	v_add_u32_e32 v17, 0x180, v0
	v_and_b32_e32 v13, 4, v12
	s_waitcnt vmcnt(1)
	v_add_u32_e32 v19, 0x240, v0
	v_lshrrev_b32_e32 v15, 5, v15
	v_lshrrev_b32_e32 v17, 5, v17
	v_add_u32_e32 v13, v13, v0
	v_lshrrev_b32_e32 v19, 5, v19
	v_and_b32_e32 v15, 12, v15
	v_and_b32_e32 v17, 28, v17
	;; [unrolled: 1-line block ×3, first 2 shown]
	v_add_u32_e32 v15, v15, v0
	v_add_u32_e32 v17, v17, v0
	;; [unrolled: 1-line block ×3, first 2 shown]
	s_mov_b64 s[2:3], 0
	v_xor_b32_e32 v14, -1, v14
	v_xor_b32_e32 v16, -1, v16
	;; [unrolled: 1-line block ×3, first 2 shown]
	v_and_b32_e32 v14, 1, v14
	v_and_b32_e32 v16, 1, v16
	;; [unrolled: 1-line block ×3, first 2 shown]
	ds_write_b8 v13, v14
	ds_write_b8 v15, v16 offset:192
	ds_write_b8 v17, v18 offset:384
	s_waitcnt vmcnt(0)
	v_xor_b32_e32 v13, -1, v20
	v_and_b32_e32 v13, 1, v13
	ds_write_b8 v19, v13 offset:576
	s_waitcnt lgkmcnt(0)
	s_barrier
.LBB2877_14:
	s_load_dwordx2 s[24:25], s[4:5], 0x80
	s_andn2_b64 vcc, exec, s[2:3]
	s_cbranch_vccnz .LBB2877_24
; %bb.15:
	v_cmp_gt_u32_e32 vcc, s7, v0
	v_mov_b32_e32 v13, 0
	v_mov_b32_e32 v14, 0
	s_and_saveexec_b64 s[2:3], vcc
	s_cbranch_execz .LBB2877_17
; %bb.16:
	global_load_dwordx2 v[14:15], v10, s[0:1]
	s_waitcnt vmcnt(0)
	v_xor_b32_e32 v14, -1, v14
	v_and_b32_e32 v14, 1, v14
.LBB2877_17:
	s_or_b64 exec, exec, s[2:3]
	v_add_u32_e32 v15, 0xc0, v0
	v_cmp_gt_u32_e32 vcc, s7, v15
	s_and_saveexec_b64 s[2:3], vcc
	s_cbranch_execz .LBB2877_19
; %bb.18:
	global_load_dwordx2 v[16:17], v10, s[0:1] offset:1536
	s_waitcnt vmcnt(0)
	v_xor_b32_e32 v13, -1, v16
	v_and_b32_e32 v13, 1, v13
.LBB2877_19:
	s_or_b64 exec, exec, s[2:3]
	v_add_u32_e32 v17, 0x180, v0
	v_cmp_gt_u32_e32 vcc, s7, v17
	v_mov_b32_e32 v16, 0
	v_mov_b32_e32 v18, 0
	s_and_saveexec_b64 s[2:3], vcc
	s_cbranch_execz .LBB2877_21
; %bb.20:
	global_load_dwordx2 v[18:19], v10, s[0:1] offset:3072
	s_waitcnt vmcnt(0)
	v_xor_b32_e32 v10, -1, v18
	v_and_b32_e32 v18, 1, v10
.LBB2877_21:
	s_or_b64 exec, exec, s[2:3]
	v_add_u32_e32 v10, 0x240, v0
	v_cmp_gt_u32_e32 vcc, s7, v10
	s_and_saveexec_b64 s[2:3], vcc
	s_cbranch_execz .LBB2877_23
; %bb.22:
	v_lshlrev_b32_e32 v16, 3, v10
	global_load_dwordx2 v[20:21], v16, s[0:1]
	s_waitcnt vmcnt(0)
	v_xor_b32_e32 v16, -1, v20
	v_and_b32_e32 v16, 1, v16
.LBB2877_23:
	s_or_b64 exec, exec, s[2:3]
	v_and_b32_e32 v12, 4, v12
	v_add_u32_e32 v12, v12, v0
	ds_write_b8 v12, v14
	v_lshrrev_b32_e32 v12, 5, v15
	v_and_b32_e32 v12, 12, v12
	v_add_u32_e32 v12, v12, v0
	ds_write_b8 v12, v13 offset:192
	v_lshrrev_b32_e32 v12, 5, v17
	v_lshrrev_b32_e32 v10, 5, v10
	v_and_b32_e32 v12, 28, v12
	v_and_b32_e32 v10, 28, v10
	v_add_u32_e32 v12, v12, v0
	v_add_u32_e32 v10, v10, v0
	ds_write_b8 v12, v18 offset:384
	ds_write_b8 v10, v16 offset:576
	s_waitcnt lgkmcnt(0)
	s_barrier
.LBB2877_24:
	v_and_b32_e32 v10, 28, v11
	v_add_u32_e32 v10, v10, v1
	s_waitcnt lgkmcnt(0)
	ds_read_b32 v21, v10
	s_cmp_lg_u32 s6, 0
	v_lshrrev_b32_e32 v24, 6, v0
	s_waitcnt lgkmcnt(0)
	s_barrier
	v_lshrrev_b32_e32 v20, 24, v21
	v_bfe_u32 v22, v21, 16, 8
	v_add_u32_sdwa v10, v21, v21 dst_sel:DWORD dst_unused:UNUSED_PAD src0_sel:BYTE_1 src1_sel:BYTE_0
	v_add3_u32 v25, v10, v22, v20
	v_mbcnt_lo_u32_b32 v10, -1, 0
	v_mbcnt_hi_u32_b32 v23, -1, v10
	v_and_b32_e32 v10, 15, v23
	v_cmp_eq_u32_e64 s[12:13], 0, v10
	v_cmp_lt_u32_e64 s[10:11], 1, v10
	v_cmp_lt_u32_e64 s[8:9], 3, v10
	;; [unrolled: 1-line block ×3, first 2 shown]
	v_and_b32_e32 v10, 16, v23
	v_cmp_eq_u32_e64 s[2:3], 0, v10
	v_and_b32_e32 v10, 0xc0, v0
	v_min_u32_e32 v10, 0x80, v10
	v_or_b32_e32 v10, 63, v10
	v_cmp_lt_u32_e64 s[0:1], 31, v23
	v_cmp_eq_u32_e64 s[4:5], v10, v0
	s_cbranch_scc0 .LBB2877_51
; %bb.25:
	v_mov_b32_dpp v10, v25 row_shr:1 row_mask:0xf bank_mask:0xf
	v_cndmask_b32_e64 v10, v10, 0, s[12:13]
	v_add_u32_e32 v10, v10, v25
	s_nop 1
	v_mov_b32_dpp v11, v10 row_shr:2 row_mask:0xf bank_mask:0xf
	v_cndmask_b32_e64 v11, 0, v11, s[10:11]
	v_add_u32_e32 v10, v10, v11
	s_nop 1
	;; [unrolled: 4-line block ×4, first 2 shown]
	v_mov_b32_dpp v11, v10 row_bcast:15 row_mask:0xf bank_mask:0xf
	v_cndmask_b32_e64 v11, v11, 0, s[2:3]
	v_add_u32_e32 v10, v10, v11
	s_nop 1
	v_mov_b32_dpp v11, v10 row_bcast:31 row_mask:0xf bank_mask:0xf
	v_cndmask_b32_e64 v11, 0, v11, s[0:1]
	v_add_u32_e32 v10, v10, v11
	s_and_saveexec_b64 s[14:15], s[4:5]
	s_cbranch_execz .LBB2877_27
; %bb.26:
	v_lshlrev_b32_e32 v11, 2, v24
	ds_write_b32 v11, v10
.LBB2877_27:
	s_or_b64 exec, exec, s[14:15]
	v_cmp_gt_u32_e32 vcc, 3, v0
	s_waitcnt lgkmcnt(0)
	s_barrier
	s_and_saveexec_b64 s[14:15], vcc
	s_cbranch_execz .LBB2877_29
; %bb.28:
	ds_read_b32 v11, v1
	v_and_b32_e32 v12, 3, v23
	v_cmp_ne_u32_e32 vcc, 0, v12
	s_waitcnt lgkmcnt(0)
	v_mov_b32_dpp v13, v11 row_shr:1 row_mask:0xf bank_mask:0xf
	v_cndmask_b32_e32 v13, 0, v13, vcc
	v_add_u32_e32 v11, v13, v11
	v_cmp_lt_u32_e32 vcc, 1, v12
	s_nop 0
	v_mov_b32_dpp v13, v11 row_shr:2 row_mask:0xf bank_mask:0xf
	v_cndmask_b32_e32 v12, 0, v13, vcc
	v_add_u32_e32 v11, v11, v12
	ds_write_b32 v1, v11
.LBB2877_29:
	s_or_b64 exec, exec, s[14:15]
	v_cmp_gt_u32_e32 vcc, 64, v0
	v_cmp_lt_u32_e64 s[14:15], 63, v0
	s_waitcnt lgkmcnt(0)
	s_barrier
	s_waitcnt lgkmcnt(0)
                                        ; implicit-def: $vgpr26
	s_and_saveexec_b64 s[26:27], s[14:15]
	s_cbranch_execz .LBB2877_31
; %bb.30:
	v_lshl_add_u32 v11, v24, 2, -4
	ds_read_b32 v26, v11
	s_waitcnt lgkmcnt(0)
	v_add_u32_e32 v10, v26, v10
.LBB2877_31:
	s_or_b64 exec, exec, s[26:27]
	v_add_u32_e32 v11, -1, v23
	v_and_b32_e32 v12, 64, v23
	v_cmp_lt_i32_e64 s[14:15], v11, v12
	v_cndmask_b32_e64 v11, v11, v23, s[14:15]
	v_lshlrev_b32_e32 v11, 2, v11
	ds_bpermute_b32 v27, v11, v10
	v_cmp_eq_u32_e64 s[14:15], 0, v23
	s_and_saveexec_b64 s[26:27], vcc
	s_cbranch_execz .LBB2877_50
; %bb.32:
	v_mov_b32_e32 v17, 0
	ds_read_b32 v10, v17 offset:8
	s_and_saveexec_b64 s[28:29], s[14:15]
	s_cbranch_execz .LBB2877_34
; %bb.33:
	s_add_i32 s30, s6, 64
	s_mov_b32 s31, 0
	s_lshl_b64 s[30:31], s[30:31], 3
	s_add_u32 s30, s24, s30
	v_mov_b32_e32 v11, 1
	s_addc_u32 s31, s25, s31
	s_waitcnt lgkmcnt(0)
	global_store_dwordx2 v17, v[10:11], s[30:31]
.LBB2877_34:
	s_or_b64 exec, exec, s[28:29]
	v_xad_u32 v12, v23, -1, s6
	v_add_u32_e32 v16, 64, v12
	v_lshlrev_b64 v[14:15], 3, v[16:17]
	v_mov_b32_e32 v11, s25
	v_add_co_u32_e32 v18, vcc, s24, v14
	v_addc_co_u32_e32 v19, vcc, v11, v15, vcc
	global_load_dwordx2 v[14:15], v[18:19], off glc
	s_waitcnt vmcnt(0)
	v_cmp_eq_u16_sdwa s[30:31], v15, v17 src0_sel:BYTE_0 src1_sel:DWORD
	s_and_saveexec_b64 s[28:29], s[30:31]
	s_cbranch_execz .LBB2877_38
; %bb.35:
	s_mov_b64 s[30:31], 0
	v_mov_b32_e32 v11, 0
.LBB2877_36:                            ; =>This Inner Loop Header: Depth=1
	global_load_dwordx2 v[14:15], v[18:19], off glc
	s_waitcnt vmcnt(0)
	v_cmp_ne_u16_sdwa s[34:35], v15, v11 src0_sel:BYTE_0 src1_sel:DWORD
	s_or_b64 s[30:31], s[34:35], s[30:31]
	s_andn2_b64 exec, exec, s[30:31]
	s_cbranch_execnz .LBB2877_36
; %bb.37:
	s_or_b64 exec, exec, s[30:31]
.LBB2877_38:
	s_or_b64 exec, exec, s[28:29]
	v_and_b32_e32 v29, 63, v23
	v_mov_b32_e32 v28, 2
	v_cmp_ne_u32_e32 vcc, 63, v29
	v_cmp_eq_u16_sdwa s[28:29], v15, v28 src0_sel:BYTE_0 src1_sel:DWORD
	v_lshlrev_b64 v[16:17], v23, -1
	v_addc_co_u32_e32 v18, vcc, 0, v23, vcc
	v_and_b32_e32 v11, s29, v17
	v_lshlrev_b32_e32 v30, 2, v18
	v_or_b32_e32 v11, 0x80000000, v11
	ds_bpermute_b32 v18, v30, v14
	v_and_b32_e32 v13, s28, v16
	v_ffbl_b32_e32 v11, v11
	v_add_u32_e32 v11, 32, v11
	v_ffbl_b32_e32 v13, v13
	v_min_u32_e32 v11, v13, v11
	v_cmp_lt_u32_e32 vcc, v29, v11
	s_waitcnt lgkmcnt(0)
	v_cndmask_b32_e32 v13, 0, v18, vcc
	v_cmp_gt_u32_e32 vcc, 62, v29
	v_add_u32_e32 v13, v13, v14
	v_cndmask_b32_e64 v14, 0, 1, vcc
	v_lshlrev_b32_e32 v14, 1, v14
	v_add_lshl_u32 v31, v14, v23, 2
	ds_bpermute_b32 v14, v31, v13
	v_add_u32_e32 v32, 2, v29
	v_cmp_le_u32_e32 vcc, v32, v11
	v_add_u32_e32 v34, 4, v29
	v_add_u32_e32 v36, 8, v29
	s_waitcnt lgkmcnt(0)
	v_cndmask_b32_e32 v14, 0, v14, vcc
	v_cmp_gt_u32_e32 vcc, 60, v29
	v_add_u32_e32 v13, v13, v14
	v_cndmask_b32_e64 v14, 0, 1, vcc
	v_lshlrev_b32_e32 v14, 2, v14
	v_add_lshl_u32 v33, v14, v23, 2
	ds_bpermute_b32 v14, v33, v13
	v_cmp_le_u32_e32 vcc, v34, v11
	v_add_u32_e32 v38, 16, v29
	v_add_u32_e32 v40, 32, v29
	s_waitcnt lgkmcnt(0)
	v_cndmask_b32_e32 v14, 0, v14, vcc
	v_cmp_gt_u32_e32 vcc, 56, v29
	v_add_u32_e32 v13, v13, v14
	v_cndmask_b32_e64 v14, 0, 1, vcc
	v_lshlrev_b32_e32 v14, 3, v14
	v_add_lshl_u32 v35, v14, v23, 2
	ds_bpermute_b32 v14, v35, v13
	v_cmp_le_u32_e32 vcc, v36, v11
	s_waitcnt lgkmcnt(0)
	v_cndmask_b32_e32 v14, 0, v14, vcc
	v_cmp_gt_u32_e32 vcc, 48, v29
	v_add_u32_e32 v13, v13, v14
	v_cndmask_b32_e64 v14, 0, 1, vcc
	v_lshlrev_b32_e32 v14, 4, v14
	v_add_lshl_u32 v37, v14, v23, 2
	ds_bpermute_b32 v14, v37, v13
	v_cmp_le_u32_e32 vcc, v38, v11
	;; [unrolled: 9-line block ×3, first 2 shown]
	s_waitcnt lgkmcnt(0)
	v_cndmask_b32_e32 v11, 0, v14, vcc
	v_add_u32_e32 v14, v13, v11
	v_mov_b32_e32 v13, 0
	s_branch .LBB2877_40
.LBB2877_39:                            ;   in Loop: Header=BB2877_40 Depth=1
	s_or_b64 exec, exec, s[28:29]
	v_cmp_eq_u16_sdwa s[28:29], v15, v28 src0_sel:BYTE_0 src1_sel:DWORD
	v_and_b32_e32 v18, s29, v17
	v_or_b32_e32 v18, 0x80000000, v18
	ds_bpermute_b32 v41, v30, v14
	v_and_b32_e32 v19, s28, v16
	v_ffbl_b32_e32 v18, v18
	v_add_u32_e32 v18, 32, v18
	v_ffbl_b32_e32 v19, v19
	v_min_u32_e32 v18, v19, v18
	v_cmp_lt_u32_e32 vcc, v29, v18
	s_waitcnt lgkmcnt(0)
	v_cndmask_b32_e32 v19, 0, v41, vcc
	v_add_u32_e32 v14, v19, v14
	ds_bpermute_b32 v19, v31, v14
	v_cmp_le_u32_e32 vcc, v32, v18
	v_subrev_u32_e32 v12, 64, v12
	s_waitcnt lgkmcnt(0)
	v_cndmask_b32_e32 v19, 0, v19, vcc
	v_add_u32_e32 v14, v14, v19
	ds_bpermute_b32 v19, v33, v14
	v_cmp_le_u32_e32 vcc, v34, v18
	s_waitcnt lgkmcnt(0)
	v_cndmask_b32_e32 v19, 0, v19, vcc
	v_add_u32_e32 v14, v14, v19
	ds_bpermute_b32 v19, v35, v14
	v_cmp_le_u32_e32 vcc, v36, v18
	;; [unrolled: 5-line block ×4, first 2 shown]
	s_waitcnt lgkmcnt(0)
	v_cndmask_b32_e32 v18, 0, v19, vcc
	v_add3_u32 v14, v18, v11, v14
.LBB2877_40:                            ; =>This Loop Header: Depth=1
                                        ;     Child Loop BB2877_43 Depth 2
	v_cmp_ne_u16_sdwa s[28:29], v15, v28 src0_sel:BYTE_0 src1_sel:DWORD
	v_cndmask_b32_e64 v11, 0, 1, s[28:29]
	;;#ASMSTART
	;;#ASMEND
	v_cmp_ne_u32_e32 vcc, 0, v11
	s_cmp_lg_u64 vcc, exec
	v_mov_b32_e32 v11, v14
	s_cbranch_scc1 .LBB2877_45
; %bb.41:                               ;   in Loop: Header=BB2877_40 Depth=1
	v_lshlrev_b64 v[14:15], 3, v[12:13]
	v_mov_b32_e32 v19, s25
	v_add_co_u32_e32 v18, vcc, s24, v14
	v_addc_co_u32_e32 v19, vcc, v19, v15, vcc
	global_load_dwordx2 v[14:15], v[18:19], off glc
	s_waitcnt vmcnt(0)
	v_cmp_eq_u16_sdwa s[30:31], v15, v13 src0_sel:BYTE_0 src1_sel:DWORD
	s_and_saveexec_b64 s[28:29], s[30:31]
	s_cbranch_execz .LBB2877_39
; %bb.42:                               ;   in Loop: Header=BB2877_40 Depth=1
	s_mov_b64 s[30:31], 0
.LBB2877_43:                            ;   Parent Loop BB2877_40 Depth=1
                                        ; =>  This Inner Loop Header: Depth=2
	global_load_dwordx2 v[14:15], v[18:19], off glc
	s_waitcnt vmcnt(0)
	v_cmp_ne_u16_sdwa s[34:35], v15, v13 src0_sel:BYTE_0 src1_sel:DWORD
	s_or_b64 s[30:31], s[34:35], s[30:31]
	s_andn2_b64 exec, exec, s[30:31]
	s_cbranch_execnz .LBB2877_43
; %bb.44:                               ;   in Loop: Header=BB2877_40 Depth=1
	s_or_b64 exec, exec, s[30:31]
	s_branch .LBB2877_39
.LBB2877_45:                            ;   in Loop: Header=BB2877_40 Depth=1
                                        ; implicit-def: $vgpr14
                                        ; implicit-def: $vgpr15
	s_cbranch_execz .LBB2877_40
; %bb.46:
	s_and_saveexec_b64 s[28:29], s[14:15]
	s_cbranch_execz .LBB2877_48
; %bb.47:
	s_add_i32 s6, s6, 64
	s_mov_b32 s7, 0
	s_lshl_b64 s[6:7], s[6:7], 3
	s_add_u32 s6, s24, s6
	v_add_u32_e32 v12, v11, v10
	v_mov_b32_e32 v13, 2
	s_addc_u32 s7, s25, s7
	v_mov_b32_e32 v14, 0
	global_store_dwordx2 v14, v[12:13], s[6:7]
	ds_write_b64 v14, v[10:11] offset:6336
.LBB2877_48:
	s_or_b64 exec, exec, s[28:29]
	v_cmp_eq_u32_e32 vcc, 0, v0
	s_and_b64 exec, exec, vcc
	s_cbranch_execz .LBB2877_50
; %bb.49:
	v_mov_b32_e32 v10, 0
	ds_write_b32 v10, v11 offset:8
.LBB2877_50:
	s_or_b64 exec, exec, s[26:27]
	v_mov_b32_e32 v10, 0
	s_waitcnt lgkmcnt(0)
	s_barrier
	ds_read_b32 v11, v10 offset:8
	v_cndmask_b32_e64 v12, v27, v26, s[14:15]
	v_cmp_ne_u32_e32 vcc, 0, v0
	v_cndmask_b32_e32 v12, 0, v12, vcc
	s_waitcnt lgkmcnt(0)
	v_add_u32_e32 v14, v11, v12
	s_barrier
	ds_read_b64 v[10:11], v10 offset:6336
	v_add_u32_sdwa v15, v14, v21 dst_sel:DWORD dst_unused:UNUSED_PAD src0_sel:DWORD src1_sel:BYTE_0
	v_add_u32_sdwa v13, v15, v21 dst_sel:DWORD dst_unused:UNUSED_PAD src0_sel:DWORD src1_sel:BYTE_1
	v_add_u32_e32 v12, v13, v22
	s_branch .LBB2877_61
.LBB2877_51:
                                        ; implicit-def: $vgpr11
                                        ; implicit-def: $vgpr12
                                        ; implicit-def: $vgpr13
                                        ; implicit-def: $vgpr15
                                        ; implicit-def: $vgpr14
	s_cbranch_execz .LBB2877_61
; %bb.52:
	s_waitcnt lgkmcnt(0)
	v_mov_b32_dpp v10, v25 row_shr:1 row_mask:0xf bank_mask:0xf
	v_cndmask_b32_e64 v10, v10, 0, s[12:13]
	v_add_u32_e32 v10, v10, v25
	s_nop 1
	v_mov_b32_dpp v11, v10 row_shr:2 row_mask:0xf bank_mask:0xf
	v_cndmask_b32_e64 v11, 0, v11, s[10:11]
	v_add_u32_e32 v10, v10, v11
	s_nop 1
	;; [unrolled: 4-line block ×4, first 2 shown]
	v_mov_b32_dpp v11, v10 row_bcast:15 row_mask:0xf bank_mask:0xf
	v_cndmask_b32_e64 v11, v11, 0, s[2:3]
	v_add_u32_e32 v10, v10, v11
	s_nop 1
	v_mov_b32_dpp v11, v10 row_bcast:31 row_mask:0xf bank_mask:0xf
	v_cndmask_b32_e64 v11, 0, v11, s[0:1]
	v_add_u32_e32 v10, v10, v11
	s_and_saveexec_b64 s[0:1], s[4:5]
	s_cbranch_execz .LBB2877_54
; %bb.53:
	v_lshlrev_b32_e32 v11, 2, v24
	ds_write_b32 v11, v10
.LBB2877_54:
	s_or_b64 exec, exec, s[0:1]
	v_cmp_gt_u32_e32 vcc, 3, v0
	s_waitcnt lgkmcnt(0)
	s_barrier
	s_and_saveexec_b64 s[0:1], vcc
	s_cbranch_execz .LBB2877_56
; %bb.55:
	ds_read_b32 v11, v1
	v_and_b32_e32 v12, 3, v23
	v_cmp_ne_u32_e32 vcc, 0, v12
	s_waitcnt lgkmcnt(0)
	v_mov_b32_dpp v13, v11 row_shr:1 row_mask:0xf bank_mask:0xf
	v_cndmask_b32_e32 v13, 0, v13, vcc
	v_add_u32_e32 v11, v13, v11
	v_cmp_lt_u32_e32 vcc, 1, v12
	s_nop 0
	v_mov_b32_dpp v13, v11 row_shr:2 row_mask:0xf bank_mask:0xf
	v_cndmask_b32_e32 v12, 0, v13, vcc
	v_add_u32_e32 v11, v11, v12
	ds_write_b32 v1, v11
.LBB2877_56:
	s_or_b64 exec, exec, s[0:1]
	v_cmp_lt_u32_e32 vcc, 63, v0
	v_mov_b32_e32 v11, 0
	v_mov_b32_e32 v12, 0
	s_waitcnt lgkmcnt(0)
	s_barrier
	s_and_saveexec_b64 s[0:1], vcc
	s_cbranch_execz .LBB2877_58
; %bb.57:
	v_lshl_add_u32 v12, v24, 2, -4
	ds_read_b32 v12, v12
.LBB2877_58:
	s_or_b64 exec, exec, s[0:1]
	v_add_u32_e32 v13, -1, v23
	v_and_b32_e32 v14, 64, v23
	v_cmp_lt_i32_e32 vcc, v13, v14
	v_cndmask_b32_e32 v13, v13, v23, vcc
	s_waitcnt lgkmcnt(0)
	v_add_u32_e32 v10, v12, v10
	v_lshlrev_b32_e32 v13, 2, v13
	ds_bpermute_b32 v13, v13, v10
	ds_read_b32 v10, v11 offset:8
	v_cmp_eq_u32_e32 vcc, 0, v0
	s_and_saveexec_b64 s[0:1], vcc
	s_cbranch_execz .LBB2877_60
; %bb.59:
	v_mov_b32_e32 v14, 0
	v_mov_b32_e32 v11, 2
	s_waitcnt lgkmcnt(0)
	global_store_dwordx2 v14, v[10:11], s[24:25] offset:512
.LBB2877_60:
	s_or_b64 exec, exec, s[0:1]
	v_cmp_eq_u32_e64 s[0:1], 0, v23
	s_waitcnt lgkmcnt(1)
	v_cndmask_b32_e64 v12, v13, v12, s[0:1]
	v_cndmask_b32_e64 v14, v12, 0, vcc
	v_add_u32_sdwa v15, v14, v21 dst_sel:DWORD dst_unused:UNUSED_PAD src0_sel:DWORD src1_sel:BYTE_0
	v_add_u32_sdwa v13, v15, v21 dst_sel:DWORD dst_unused:UNUSED_PAD src0_sel:DWORD src1_sel:BYTE_1
	v_mov_b32_e32 v11, 0
	v_add_u32_e32 v12, v13, v22
	s_waitcnt lgkmcnt(0)
	s_barrier
.LBB2877_61:
	s_waitcnt lgkmcnt(0)
	v_add_u32_e32 v1, v10, v1
	v_sub_u32_e32 v14, v14, v11
	v_and_b32_e32 v18, 1, v21
	v_sub_u32_e32 v17, v1, v14
	v_cmp_eq_u32_e32 vcc, 1, v18
	v_cndmask_b32_e32 v14, v17, v14, vcc
	v_lshlrev_b32_e32 v14, 3, v14
	v_lshrrev_b32_e32 v16, 8, v21
	ds_write_b64 v14, v[6:7]
	v_sub_u32_e32 v6, v15, v11
	v_sub_u32_e32 v7, v1, v6
	v_and_b32_e32 v14, 1, v16
	v_add_u32_e32 v7, 1, v7
	v_cmp_eq_u32_e32 vcc, 1, v14
	v_cndmask_b32_e32 v6, v7, v6, vcc
	v_lshlrev_b32_e32 v6, 3, v6
	ds_write_b64 v6, v[8:9]
	v_sub_u32_e32 v6, v13, v11
	v_mov_b32_e32 v8, 1
	v_sub_u32_e32 v7, v1, v6
	v_and_b32_sdwa v8, v8, v21 dst_sel:DWORD dst_unused:UNUSED_PAD src0_sel:DWORD src1_sel:WORD_1
	v_add_u32_e32 v7, 2, v7
	v_cmp_eq_u32_e32 vcc, 1, v8
	v_cndmask_b32_e32 v6, v7, v6, vcc
	v_lshlrev_b32_e32 v6, 3, v6
	ds_write_b64 v6, v[2:3]
	v_sub_u32_e32 v2, v12, v11
	v_sub_u32_e32 v1, v1, v2
	v_and_b32_e32 v3, 1, v20
	v_add_u32_e32 v1, 3, v1
	v_cmp_eq_u32_e32 vcc, 1, v3
	v_cndmask_b32_e32 v1, v1, v2, vcc
	v_cmp_eq_u32_e32 vcc, 0, v0
	v_lshlrev_b32_e32 v1, 3, v1
	s_and_b64 s[0:1], vcc, s[22:23]
	ds_write_b64 v1, v[4:5]
	s_waitcnt lgkmcnt(0)
	s_barrier
	s_and_saveexec_b64 s[2:3], s[0:1]
	s_cbranch_execz .LBB2877_63
; %bb.62:
	v_mov_b32_e32 v0, s19
	v_add_co_u32_e32 v1, vcc, s18, v10
	v_addc_co_u32_e32 v3, vcc, 0, v0, vcc
	v_add_co_u32_e32 v0, vcc, v1, v11
	v_mov_b32_e32 v2, 0
	v_addc_co_u32_e32 v1, vcc, 0, v3, vcc
	global_store_dwordx2 v2, v[0:1], s[20:21]
.LBB2877_63:
	s_endpgm
	.section	.rodata,"a",@progbits
	.p2align	6, 0x0
	.amdhsa_kernel _ZN7rocprim17ROCPRIM_400000_NS6detail17trampoline_kernelINS0_14default_configENS1_25partition_config_selectorILNS1_17partition_subalgoE1EyNS0_10empty_typeEbEEZZNS1_14partition_implILS5_1ELb0ES3_jN6thrust23THRUST_200600_302600_NS6detail15normal_iteratorINSA_10device_ptrIyEEEEPS6_NSA_18transform_iteratorI7is_evenIyESF_NSA_11use_defaultESK_EENS0_5tupleIJNSA_16discard_iteratorISK_EESO_EEENSM_IJSG_SG_EEES6_PlJS6_EEE10hipError_tPvRmT3_T4_T5_T6_T7_T9_mT8_P12ihipStream_tbDpT10_ENKUlT_T0_E_clISt17integral_constantIbLb0EES1B_EEDaS16_S17_EUlS16_E_NS1_11comp_targetILNS1_3genE4ELNS1_11target_archE910ELNS1_3gpuE8ELNS1_3repE0EEENS1_30default_config_static_selectorELNS0_4arch9wavefront6targetE1EEEvT1_
		.amdhsa_group_segment_fixed_size 6344
		.amdhsa_private_segment_fixed_size 0
		.amdhsa_kernarg_size 144
		.amdhsa_user_sgpr_count 6
		.amdhsa_user_sgpr_private_segment_buffer 1
		.amdhsa_user_sgpr_dispatch_ptr 0
		.amdhsa_user_sgpr_queue_ptr 0
		.amdhsa_user_sgpr_kernarg_segment_ptr 1
		.amdhsa_user_sgpr_dispatch_id 0
		.amdhsa_user_sgpr_flat_scratch_init 0
		.amdhsa_user_sgpr_kernarg_preload_length 0
		.amdhsa_user_sgpr_kernarg_preload_offset 0
		.amdhsa_user_sgpr_private_segment_size 0
		.amdhsa_uses_dynamic_stack 0
		.amdhsa_system_sgpr_private_segment_wavefront_offset 0
		.amdhsa_system_sgpr_workgroup_id_x 1
		.amdhsa_system_sgpr_workgroup_id_y 0
		.amdhsa_system_sgpr_workgroup_id_z 0
		.amdhsa_system_sgpr_workgroup_info 0
		.amdhsa_system_vgpr_workitem_id 0
		.amdhsa_next_free_vgpr 42
		.amdhsa_next_free_sgpr 36
		.amdhsa_accum_offset 44
		.amdhsa_reserve_vcc 1
		.amdhsa_reserve_flat_scratch 0
		.amdhsa_float_round_mode_32 0
		.amdhsa_float_round_mode_16_64 0
		.amdhsa_float_denorm_mode_32 3
		.amdhsa_float_denorm_mode_16_64 3
		.amdhsa_dx10_clamp 1
		.amdhsa_ieee_mode 1
		.amdhsa_fp16_overflow 0
		.amdhsa_tg_split 0
		.amdhsa_exception_fp_ieee_invalid_op 0
		.amdhsa_exception_fp_denorm_src 0
		.amdhsa_exception_fp_ieee_div_zero 0
		.amdhsa_exception_fp_ieee_overflow 0
		.amdhsa_exception_fp_ieee_underflow 0
		.amdhsa_exception_fp_ieee_inexact 0
		.amdhsa_exception_int_div_zero 0
	.end_amdhsa_kernel
	.section	.text._ZN7rocprim17ROCPRIM_400000_NS6detail17trampoline_kernelINS0_14default_configENS1_25partition_config_selectorILNS1_17partition_subalgoE1EyNS0_10empty_typeEbEEZZNS1_14partition_implILS5_1ELb0ES3_jN6thrust23THRUST_200600_302600_NS6detail15normal_iteratorINSA_10device_ptrIyEEEEPS6_NSA_18transform_iteratorI7is_evenIyESF_NSA_11use_defaultESK_EENS0_5tupleIJNSA_16discard_iteratorISK_EESO_EEENSM_IJSG_SG_EEES6_PlJS6_EEE10hipError_tPvRmT3_T4_T5_T6_T7_T9_mT8_P12ihipStream_tbDpT10_ENKUlT_T0_E_clISt17integral_constantIbLb0EES1B_EEDaS16_S17_EUlS16_E_NS1_11comp_targetILNS1_3genE4ELNS1_11target_archE910ELNS1_3gpuE8ELNS1_3repE0EEENS1_30default_config_static_selectorELNS0_4arch9wavefront6targetE1EEEvT1_,"axG",@progbits,_ZN7rocprim17ROCPRIM_400000_NS6detail17trampoline_kernelINS0_14default_configENS1_25partition_config_selectorILNS1_17partition_subalgoE1EyNS0_10empty_typeEbEEZZNS1_14partition_implILS5_1ELb0ES3_jN6thrust23THRUST_200600_302600_NS6detail15normal_iteratorINSA_10device_ptrIyEEEEPS6_NSA_18transform_iteratorI7is_evenIyESF_NSA_11use_defaultESK_EENS0_5tupleIJNSA_16discard_iteratorISK_EESO_EEENSM_IJSG_SG_EEES6_PlJS6_EEE10hipError_tPvRmT3_T4_T5_T6_T7_T9_mT8_P12ihipStream_tbDpT10_ENKUlT_T0_E_clISt17integral_constantIbLb0EES1B_EEDaS16_S17_EUlS16_E_NS1_11comp_targetILNS1_3genE4ELNS1_11target_archE910ELNS1_3gpuE8ELNS1_3repE0EEENS1_30default_config_static_selectorELNS0_4arch9wavefront6targetE1EEEvT1_,comdat
.Lfunc_end2877:
	.size	_ZN7rocprim17ROCPRIM_400000_NS6detail17trampoline_kernelINS0_14default_configENS1_25partition_config_selectorILNS1_17partition_subalgoE1EyNS0_10empty_typeEbEEZZNS1_14partition_implILS5_1ELb0ES3_jN6thrust23THRUST_200600_302600_NS6detail15normal_iteratorINSA_10device_ptrIyEEEEPS6_NSA_18transform_iteratorI7is_evenIyESF_NSA_11use_defaultESK_EENS0_5tupleIJNSA_16discard_iteratorISK_EESO_EEENSM_IJSG_SG_EEES6_PlJS6_EEE10hipError_tPvRmT3_T4_T5_T6_T7_T9_mT8_P12ihipStream_tbDpT10_ENKUlT_T0_E_clISt17integral_constantIbLb0EES1B_EEDaS16_S17_EUlS16_E_NS1_11comp_targetILNS1_3genE4ELNS1_11target_archE910ELNS1_3gpuE8ELNS1_3repE0EEENS1_30default_config_static_selectorELNS0_4arch9wavefront6targetE1EEEvT1_, .Lfunc_end2877-_ZN7rocprim17ROCPRIM_400000_NS6detail17trampoline_kernelINS0_14default_configENS1_25partition_config_selectorILNS1_17partition_subalgoE1EyNS0_10empty_typeEbEEZZNS1_14partition_implILS5_1ELb0ES3_jN6thrust23THRUST_200600_302600_NS6detail15normal_iteratorINSA_10device_ptrIyEEEEPS6_NSA_18transform_iteratorI7is_evenIyESF_NSA_11use_defaultESK_EENS0_5tupleIJNSA_16discard_iteratorISK_EESO_EEENSM_IJSG_SG_EEES6_PlJS6_EEE10hipError_tPvRmT3_T4_T5_T6_T7_T9_mT8_P12ihipStream_tbDpT10_ENKUlT_T0_E_clISt17integral_constantIbLb0EES1B_EEDaS16_S17_EUlS16_E_NS1_11comp_targetILNS1_3genE4ELNS1_11target_archE910ELNS1_3gpuE8ELNS1_3repE0EEENS1_30default_config_static_selectorELNS0_4arch9wavefront6targetE1EEEvT1_
                                        ; -- End function
	.section	.AMDGPU.csdata,"",@progbits
; Kernel info:
; codeLenInByte = 3448
; NumSgprs: 40
; NumVgprs: 42
; NumAgprs: 0
; TotalNumVgprs: 42
; ScratchSize: 0
; MemoryBound: 0
; FloatMode: 240
; IeeeMode: 1
; LDSByteSize: 6344 bytes/workgroup (compile time only)
; SGPRBlocks: 4
; VGPRBlocks: 5
; NumSGPRsForWavesPerEU: 40
; NumVGPRsForWavesPerEU: 42
; AccumOffset: 44
; Occupancy: 8
; WaveLimiterHint : 1
; COMPUTE_PGM_RSRC2:SCRATCH_EN: 0
; COMPUTE_PGM_RSRC2:USER_SGPR: 6
; COMPUTE_PGM_RSRC2:TRAP_HANDLER: 0
; COMPUTE_PGM_RSRC2:TGID_X_EN: 1
; COMPUTE_PGM_RSRC2:TGID_Y_EN: 0
; COMPUTE_PGM_RSRC2:TGID_Z_EN: 0
; COMPUTE_PGM_RSRC2:TIDIG_COMP_CNT: 0
; COMPUTE_PGM_RSRC3_GFX90A:ACCUM_OFFSET: 10
; COMPUTE_PGM_RSRC3_GFX90A:TG_SPLIT: 0
	.section	.text._ZN7rocprim17ROCPRIM_400000_NS6detail17trampoline_kernelINS0_14default_configENS1_25partition_config_selectorILNS1_17partition_subalgoE1EyNS0_10empty_typeEbEEZZNS1_14partition_implILS5_1ELb0ES3_jN6thrust23THRUST_200600_302600_NS6detail15normal_iteratorINSA_10device_ptrIyEEEEPS6_NSA_18transform_iteratorI7is_evenIyESF_NSA_11use_defaultESK_EENS0_5tupleIJNSA_16discard_iteratorISK_EESO_EEENSM_IJSG_SG_EEES6_PlJS6_EEE10hipError_tPvRmT3_T4_T5_T6_T7_T9_mT8_P12ihipStream_tbDpT10_ENKUlT_T0_E_clISt17integral_constantIbLb0EES1B_EEDaS16_S17_EUlS16_E_NS1_11comp_targetILNS1_3genE3ELNS1_11target_archE908ELNS1_3gpuE7ELNS1_3repE0EEENS1_30default_config_static_selectorELNS0_4arch9wavefront6targetE1EEEvT1_,"axG",@progbits,_ZN7rocprim17ROCPRIM_400000_NS6detail17trampoline_kernelINS0_14default_configENS1_25partition_config_selectorILNS1_17partition_subalgoE1EyNS0_10empty_typeEbEEZZNS1_14partition_implILS5_1ELb0ES3_jN6thrust23THRUST_200600_302600_NS6detail15normal_iteratorINSA_10device_ptrIyEEEEPS6_NSA_18transform_iteratorI7is_evenIyESF_NSA_11use_defaultESK_EENS0_5tupleIJNSA_16discard_iteratorISK_EESO_EEENSM_IJSG_SG_EEES6_PlJS6_EEE10hipError_tPvRmT3_T4_T5_T6_T7_T9_mT8_P12ihipStream_tbDpT10_ENKUlT_T0_E_clISt17integral_constantIbLb0EES1B_EEDaS16_S17_EUlS16_E_NS1_11comp_targetILNS1_3genE3ELNS1_11target_archE908ELNS1_3gpuE7ELNS1_3repE0EEENS1_30default_config_static_selectorELNS0_4arch9wavefront6targetE1EEEvT1_,comdat
	.protected	_ZN7rocprim17ROCPRIM_400000_NS6detail17trampoline_kernelINS0_14default_configENS1_25partition_config_selectorILNS1_17partition_subalgoE1EyNS0_10empty_typeEbEEZZNS1_14partition_implILS5_1ELb0ES3_jN6thrust23THRUST_200600_302600_NS6detail15normal_iteratorINSA_10device_ptrIyEEEEPS6_NSA_18transform_iteratorI7is_evenIyESF_NSA_11use_defaultESK_EENS0_5tupleIJNSA_16discard_iteratorISK_EESO_EEENSM_IJSG_SG_EEES6_PlJS6_EEE10hipError_tPvRmT3_T4_T5_T6_T7_T9_mT8_P12ihipStream_tbDpT10_ENKUlT_T0_E_clISt17integral_constantIbLb0EES1B_EEDaS16_S17_EUlS16_E_NS1_11comp_targetILNS1_3genE3ELNS1_11target_archE908ELNS1_3gpuE7ELNS1_3repE0EEENS1_30default_config_static_selectorELNS0_4arch9wavefront6targetE1EEEvT1_ ; -- Begin function _ZN7rocprim17ROCPRIM_400000_NS6detail17trampoline_kernelINS0_14default_configENS1_25partition_config_selectorILNS1_17partition_subalgoE1EyNS0_10empty_typeEbEEZZNS1_14partition_implILS5_1ELb0ES3_jN6thrust23THRUST_200600_302600_NS6detail15normal_iteratorINSA_10device_ptrIyEEEEPS6_NSA_18transform_iteratorI7is_evenIyESF_NSA_11use_defaultESK_EENS0_5tupleIJNSA_16discard_iteratorISK_EESO_EEENSM_IJSG_SG_EEES6_PlJS6_EEE10hipError_tPvRmT3_T4_T5_T6_T7_T9_mT8_P12ihipStream_tbDpT10_ENKUlT_T0_E_clISt17integral_constantIbLb0EES1B_EEDaS16_S17_EUlS16_E_NS1_11comp_targetILNS1_3genE3ELNS1_11target_archE908ELNS1_3gpuE7ELNS1_3repE0EEENS1_30default_config_static_selectorELNS0_4arch9wavefront6targetE1EEEvT1_
	.globl	_ZN7rocprim17ROCPRIM_400000_NS6detail17trampoline_kernelINS0_14default_configENS1_25partition_config_selectorILNS1_17partition_subalgoE1EyNS0_10empty_typeEbEEZZNS1_14partition_implILS5_1ELb0ES3_jN6thrust23THRUST_200600_302600_NS6detail15normal_iteratorINSA_10device_ptrIyEEEEPS6_NSA_18transform_iteratorI7is_evenIyESF_NSA_11use_defaultESK_EENS0_5tupleIJNSA_16discard_iteratorISK_EESO_EEENSM_IJSG_SG_EEES6_PlJS6_EEE10hipError_tPvRmT3_T4_T5_T6_T7_T9_mT8_P12ihipStream_tbDpT10_ENKUlT_T0_E_clISt17integral_constantIbLb0EES1B_EEDaS16_S17_EUlS16_E_NS1_11comp_targetILNS1_3genE3ELNS1_11target_archE908ELNS1_3gpuE7ELNS1_3repE0EEENS1_30default_config_static_selectorELNS0_4arch9wavefront6targetE1EEEvT1_
	.p2align	8
	.type	_ZN7rocprim17ROCPRIM_400000_NS6detail17trampoline_kernelINS0_14default_configENS1_25partition_config_selectorILNS1_17partition_subalgoE1EyNS0_10empty_typeEbEEZZNS1_14partition_implILS5_1ELb0ES3_jN6thrust23THRUST_200600_302600_NS6detail15normal_iteratorINSA_10device_ptrIyEEEEPS6_NSA_18transform_iteratorI7is_evenIyESF_NSA_11use_defaultESK_EENS0_5tupleIJNSA_16discard_iteratorISK_EESO_EEENSM_IJSG_SG_EEES6_PlJS6_EEE10hipError_tPvRmT3_T4_T5_T6_T7_T9_mT8_P12ihipStream_tbDpT10_ENKUlT_T0_E_clISt17integral_constantIbLb0EES1B_EEDaS16_S17_EUlS16_E_NS1_11comp_targetILNS1_3genE3ELNS1_11target_archE908ELNS1_3gpuE7ELNS1_3repE0EEENS1_30default_config_static_selectorELNS0_4arch9wavefront6targetE1EEEvT1_,@function
_ZN7rocprim17ROCPRIM_400000_NS6detail17trampoline_kernelINS0_14default_configENS1_25partition_config_selectorILNS1_17partition_subalgoE1EyNS0_10empty_typeEbEEZZNS1_14partition_implILS5_1ELb0ES3_jN6thrust23THRUST_200600_302600_NS6detail15normal_iteratorINSA_10device_ptrIyEEEEPS6_NSA_18transform_iteratorI7is_evenIyESF_NSA_11use_defaultESK_EENS0_5tupleIJNSA_16discard_iteratorISK_EESO_EEENSM_IJSG_SG_EEES6_PlJS6_EEE10hipError_tPvRmT3_T4_T5_T6_T7_T9_mT8_P12ihipStream_tbDpT10_ENKUlT_T0_E_clISt17integral_constantIbLb0EES1B_EEDaS16_S17_EUlS16_E_NS1_11comp_targetILNS1_3genE3ELNS1_11target_archE908ELNS1_3gpuE7ELNS1_3repE0EEENS1_30default_config_static_selectorELNS0_4arch9wavefront6targetE1EEEvT1_: ; @_ZN7rocprim17ROCPRIM_400000_NS6detail17trampoline_kernelINS0_14default_configENS1_25partition_config_selectorILNS1_17partition_subalgoE1EyNS0_10empty_typeEbEEZZNS1_14partition_implILS5_1ELb0ES3_jN6thrust23THRUST_200600_302600_NS6detail15normal_iteratorINSA_10device_ptrIyEEEEPS6_NSA_18transform_iteratorI7is_evenIyESF_NSA_11use_defaultESK_EENS0_5tupleIJNSA_16discard_iteratorISK_EESO_EEENSM_IJSG_SG_EEES6_PlJS6_EEE10hipError_tPvRmT3_T4_T5_T6_T7_T9_mT8_P12ihipStream_tbDpT10_ENKUlT_T0_E_clISt17integral_constantIbLb0EES1B_EEDaS16_S17_EUlS16_E_NS1_11comp_targetILNS1_3genE3ELNS1_11target_archE908ELNS1_3gpuE7ELNS1_3repE0EEENS1_30default_config_static_selectorELNS0_4arch9wavefront6targetE1EEEvT1_
; %bb.0:
	.section	.rodata,"a",@progbits
	.p2align	6, 0x0
	.amdhsa_kernel _ZN7rocprim17ROCPRIM_400000_NS6detail17trampoline_kernelINS0_14default_configENS1_25partition_config_selectorILNS1_17partition_subalgoE1EyNS0_10empty_typeEbEEZZNS1_14partition_implILS5_1ELb0ES3_jN6thrust23THRUST_200600_302600_NS6detail15normal_iteratorINSA_10device_ptrIyEEEEPS6_NSA_18transform_iteratorI7is_evenIyESF_NSA_11use_defaultESK_EENS0_5tupleIJNSA_16discard_iteratorISK_EESO_EEENSM_IJSG_SG_EEES6_PlJS6_EEE10hipError_tPvRmT3_T4_T5_T6_T7_T9_mT8_P12ihipStream_tbDpT10_ENKUlT_T0_E_clISt17integral_constantIbLb0EES1B_EEDaS16_S17_EUlS16_E_NS1_11comp_targetILNS1_3genE3ELNS1_11target_archE908ELNS1_3gpuE7ELNS1_3repE0EEENS1_30default_config_static_selectorELNS0_4arch9wavefront6targetE1EEEvT1_
		.amdhsa_group_segment_fixed_size 0
		.amdhsa_private_segment_fixed_size 0
		.amdhsa_kernarg_size 144
		.amdhsa_user_sgpr_count 6
		.amdhsa_user_sgpr_private_segment_buffer 1
		.amdhsa_user_sgpr_dispatch_ptr 0
		.amdhsa_user_sgpr_queue_ptr 0
		.amdhsa_user_sgpr_kernarg_segment_ptr 1
		.amdhsa_user_sgpr_dispatch_id 0
		.amdhsa_user_sgpr_flat_scratch_init 0
		.amdhsa_user_sgpr_kernarg_preload_length 0
		.amdhsa_user_sgpr_kernarg_preload_offset 0
		.amdhsa_user_sgpr_private_segment_size 0
		.amdhsa_uses_dynamic_stack 0
		.amdhsa_system_sgpr_private_segment_wavefront_offset 0
		.amdhsa_system_sgpr_workgroup_id_x 1
		.amdhsa_system_sgpr_workgroup_id_y 0
		.amdhsa_system_sgpr_workgroup_id_z 0
		.amdhsa_system_sgpr_workgroup_info 0
		.amdhsa_system_vgpr_workitem_id 0
		.amdhsa_next_free_vgpr 1
		.amdhsa_next_free_sgpr 0
		.amdhsa_accum_offset 4
		.amdhsa_reserve_vcc 0
		.amdhsa_reserve_flat_scratch 0
		.amdhsa_float_round_mode_32 0
		.amdhsa_float_round_mode_16_64 0
		.amdhsa_float_denorm_mode_32 3
		.amdhsa_float_denorm_mode_16_64 3
		.amdhsa_dx10_clamp 1
		.amdhsa_ieee_mode 1
		.amdhsa_fp16_overflow 0
		.amdhsa_tg_split 0
		.amdhsa_exception_fp_ieee_invalid_op 0
		.amdhsa_exception_fp_denorm_src 0
		.amdhsa_exception_fp_ieee_div_zero 0
		.amdhsa_exception_fp_ieee_overflow 0
		.amdhsa_exception_fp_ieee_underflow 0
		.amdhsa_exception_fp_ieee_inexact 0
		.amdhsa_exception_int_div_zero 0
	.end_amdhsa_kernel
	.section	.text._ZN7rocprim17ROCPRIM_400000_NS6detail17trampoline_kernelINS0_14default_configENS1_25partition_config_selectorILNS1_17partition_subalgoE1EyNS0_10empty_typeEbEEZZNS1_14partition_implILS5_1ELb0ES3_jN6thrust23THRUST_200600_302600_NS6detail15normal_iteratorINSA_10device_ptrIyEEEEPS6_NSA_18transform_iteratorI7is_evenIyESF_NSA_11use_defaultESK_EENS0_5tupleIJNSA_16discard_iteratorISK_EESO_EEENSM_IJSG_SG_EEES6_PlJS6_EEE10hipError_tPvRmT3_T4_T5_T6_T7_T9_mT8_P12ihipStream_tbDpT10_ENKUlT_T0_E_clISt17integral_constantIbLb0EES1B_EEDaS16_S17_EUlS16_E_NS1_11comp_targetILNS1_3genE3ELNS1_11target_archE908ELNS1_3gpuE7ELNS1_3repE0EEENS1_30default_config_static_selectorELNS0_4arch9wavefront6targetE1EEEvT1_,"axG",@progbits,_ZN7rocprim17ROCPRIM_400000_NS6detail17trampoline_kernelINS0_14default_configENS1_25partition_config_selectorILNS1_17partition_subalgoE1EyNS0_10empty_typeEbEEZZNS1_14partition_implILS5_1ELb0ES3_jN6thrust23THRUST_200600_302600_NS6detail15normal_iteratorINSA_10device_ptrIyEEEEPS6_NSA_18transform_iteratorI7is_evenIyESF_NSA_11use_defaultESK_EENS0_5tupleIJNSA_16discard_iteratorISK_EESO_EEENSM_IJSG_SG_EEES6_PlJS6_EEE10hipError_tPvRmT3_T4_T5_T6_T7_T9_mT8_P12ihipStream_tbDpT10_ENKUlT_T0_E_clISt17integral_constantIbLb0EES1B_EEDaS16_S17_EUlS16_E_NS1_11comp_targetILNS1_3genE3ELNS1_11target_archE908ELNS1_3gpuE7ELNS1_3repE0EEENS1_30default_config_static_selectorELNS0_4arch9wavefront6targetE1EEEvT1_,comdat
.Lfunc_end2878:
	.size	_ZN7rocprim17ROCPRIM_400000_NS6detail17trampoline_kernelINS0_14default_configENS1_25partition_config_selectorILNS1_17partition_subalgoE1EyNS0_10empty_typeEbEEZZNS1_14partition_implILS5_1ELb0ES3_jN6thrust23THRUST_200600_302600_NS6detail15normal_iteratorINSA_10device_ptrIyEEEEPS6_NSA_18transform_iteratorI7is_evenIyESF_NSA_11use_defaultESK_EENS0_5tupleIJNSA_16discard_iteratorISK_EESO_EEENSM_IJSG_SG_EEES6_PlJS6_EEE10hipError_tPvRmT3_T4_T5_T6_T7_T9_mT8_P12ihipStream_tbDpT10_ENKUlT_T0_E_clISt17integral_constantIbLb0EES1B_EEDaS16_S17_EUlS16_E_NS1_11comp_targetILNS1_3genE3ELNS1_11target_archE908ELNS1_3gpuE7ELNS1_3repE0EEENS1_30default_config_static_selectorELNS0_4arch9wavefront6targetE1EEEvT1_, .Lfunc_end2878-_ZN7rocprim17ROCPRIM_400000_NS6detail17trampoline_kernelINS0_14default_configENS1_25partition_config_selectorILNS1_17partition_subalgoE1EyNS0_10empty_typeEbEEZZNS1_14partition_implILS5_1ELb0ES3_jN6thrust23THRUST_200600_302600_NS6detail15normal_iteratorINSA_10device_ptrIyEEEEPS6_NSA_18transform_iteratorI7is_evenIyESF_NSA_11use_defaultESK_EENS0_5tupleIJNSA_16discard_iteratorISK_EESO_EEENSM_IJSG_SG_EEES6_PlJS6_EEE10hipError_tPvRmT3_T4_T5_T6_T7_T9_mT8_P12ihipStream_tbDpT10_ENKUlT_T0_E_clISt17integral_constantIbLb0EES1B_EEDaS16_S17_EUlS16_E_NS1_11comp_targetILNS1_3genE3ELNS1_11target_archE908ELNS1_3gpuE7ELNS1_3repE0EEENS1_30default_config_static_selectorELNS0_4arch9wavefront6targetE1EEEvT1_
                                        ; -- End function
	.section	.AMDGPU.csdata,"",@progbits
; Kernel info:
; codeLenInByte = 0
; NumSgprs: 4
; NumVgprs: 0
; NumAgprs: 0
; TotalNumVgprs: 0
; ScratchSize: 0
; MemoryBound: 0
; FloatMode: 240
; IeeeMode: 1
; LDSByteSize: 0 bytes/workgroup (compile time only)
; SGPRBlocks: 0
; VGPRBlocks: 0
; NumSGPRsForWavesPerEU: 4
; NumVGPRsForWavesPerEU: 1
; AccumOffset: 4
; Occupancy: 8
; WaveLimiterHint : 0
; COMPUTE_PGM_RSRC2:SCRATCH_EN: 0
; COMPUTE_PGM_RSRC2:USER_SGPR: 6
; COMPUTE_PGM_RSRC2:TRAP_HANDLER: 0
; COMPUTE_PGM_RSRC2:TGID_X_EN: 1
; COMPUTE_PGM_RSRC2:TGID_Y_EN: 0
; COMPUTE_PGM_RSRC2:TGID_Z_EN: 0
; COMPUTE_PGM_RSRC2:TIDIG_COMP_CNT: 0
; COMPUTE_PGM_RSRC3_GFX90A:ACCUM_OFFSET: 0
; COMPUTE_PGM_RSRC3_GFX90A:TG_SPLIT: 0
	.section	.text._ZN7rocprim17ROCPRIM_400000_NS6detail17trampoline_kernelINS0_14default_configENS1_25partition_config_selectorILNS1_17partition_subalgoE1EyNS0_10empty_typeEbEEZZNS1_14partition_implILS5_1ELb0ES3_jN6thrust23THRUST_200600_302600_NS6detail15normal_iteratorINSA_10device_ptrIyEEEEPS6_NSA_18transform_iteratorI7is_evenIyESF_NSA_11use_defaultESK_EENS0_5tupleIJNSA_16discard_iteratorISK_EESO_EEENSM_IJSG_SG_EEES6_PlJS6_EEE10hipError_tPvRmT3_T4_T5_T6_T7_T9_mT8_P12ihipStream_tbDpT10_ENKUlT_T0_E_clISt17integral_constantIbLb0EES1B_EEDaS16_S17_EUlS16_E_NS1_11comp_targetILNS1_3genE2ELNS1_11target_archE906ELNS1_3gpuE6ELNS1_3repE0EEENS1_30default_config_static_selectorELNS0_4arch9wavefront6targetE1EEEvT1_,"axG",@progbits,_ZN7rocprim17ROCPRIM_400000_NS6detail17trampoline_kernelINS0_14default_configENS1_25partition_config_selectorILNS1_17partition_subalgoE1EyNS0_10empty_typeEbEEZZNS1_14partition_implILS5_1ELb0ES3_jN6thrust23THRUST_200600_302600_NS6detail15normal_iteratorINSA_10device_ptrIyEEEEPS6_NSA_18transform_iteratorI7is_evenIyESF_NSA_11use_defaultESK_EENS0_5tupleIJNSA_16discard_iteratorISK_EESO_EEENSM_IJSG_SG_EEES6_PlJS6_EEE10hipError_tPvRmT3_T4_T5_T6_T7_T9_mT8_P12ihipStream_tbDpT10_ENKUlT_T0_E_clISt17integral_constantIbLb0EES1B_EEDaS16_S17_EUlS16_E_NS1_11comp_targetILNS1_3genE2ELNS1_11target_archE906ELNS1_3gpuE6ELNS1_3repE0EEENS1_30default_config_static_selectorELNS0_4arch9wavefront6targetE1EEEvT1_,comdat
	.protected	_ZN7rocprim17ROCPRIM_400000_NS6detail17trampoline_kernelINS0_14default_configENS1_25partition_config_selectorILNS1_17partition_subalgoE1EyNS0_10empty_typeEbEEZZNS1_14partition_implILS5_1ELb0ES3_jN6thrust23THRUST_200600_302600_NS6detail15normal_iteratorINSA_10device_ptrIyEEEEPS6_NSA_18transform_iteratorI7is_evenIyESF_NSA_11use_defaultESK_EENS0_5tupleIJNSA_16discard_iteratorISK_EESO_EEENSM_IJSG_SG_EEES6_PlJS6_EEE10hipError_tPvRmT3_T4_T5_T6_T7_T9_mT8_P12ihipStream_tbDpT10_ENKUlT_T0_E_clISt17integral_constantIbLb0EES1B_EEDaS16_S17_EUlS16_E_NS1_11comp_targetILNS1_3genE2ELNS1_11target_archE906ELNS1_3gpuE6ELNS1_3repE0EEENS1_30default_config_static_selectorELNS0_4arch9wavefront6targetE1EEEvT1_ ; -- Begin function _ZN7rocprim17ROCPRIM_400000_NS6detail17trampoline_kernelINS0_14default_configENS1_25partition_config_selectorILNS1_17partition_subalgoE1EyNS0_10empty_typeEbEEZZNS1_14partition_implILS5_1ELb0ES3_jN6thrust23THRUST_200600_302600_NS6detail15normal_iteratorINSA_10device_ptrIyEEEEPS6_NSA_18transform_iteratorI7is_evenIyESF_NSA_11use_defaultESK_EENS0_5tupleIJNSA_16discard_iteratorISK_EESO_EEENSM_IJSG_SG_EEES6_PlJS6_EEE10hipError_tPvRmT3_T4_T5_T6_T7_T9_mT8_P12ihipStream_tbDpT10_ENKUlT_T0_E_clISt17integral_constantIbLb0EES1B_EEDaS16_S17_EUlS16_E_NS1_11comp_targetILNS1_3genE2ELNS1_11target_archE906ELNS1_3gpuE6ELNS1_3repE0EEENS1_30default_config_static_selectorELNS0_4arch9wavefront6targetE1EEEvT1_
	.globl	_ZN7rocprim17ROCPRIM_400000_NS6detail17trampoline_kernelINS0_14default_configENS1_25partition_config_selectorILNS1_17partition_subalgoE1EyNS0_10empty_typeEbEEZZNS1_14partition_implILS5_1ELb0ES3_jN6thrust23THRUST_200600_302600_NS6detail15normal_iteratorINSA_10device_ptrIyEEEEPS6_NSA_18transform_iteratorI7is_evenIyESF_NSA_11use_defaultESK_EENS0_5tupleIJNSA_16discard_iteratorISK_EESO_EEENSM_IJSG_SG_EEES6_PlJS6_EEE10hipError_tPvRmT3_T4_T5_T6_T7_T9_mT8_P12ihipStream_tbDpT10_ENKUlT_T0_E_clISt17integral_constantIbLb0EES1B_EEDaS16_S17_EUlS16_E_NS1_11comp_targetILNS1_3genE2ELNS1_11target_archE906ELNS1_3gpuE6ELNS1_3repE0EEENS1_30default_config_static_selectorELNS0_4arch9wavefront6targetE1EEEvT1_
	.p2align	8
	.type	_ZN7rocprim17ROCPRIM_400000_NS6detail17trampoline_kernelINS0_14default_configENS1_25partition_config_selectorILNS1_17partition_subalgoE1EyNS0_10empty_typeEbEEZZNS1_14partition_implILS5_1ELb0ES3_jN6thrust23THRUST_200600_302600_NS6detail15normal_iteratorINSA_10device_ptrIyEEEEPS6_NSA_18transform_iteratorI7is_evenIyESF_NSA_11use_defaultESK_EENS0_5tupleIJNSA_16discard_iteratorISK_EESO_EEENSM_IJSG_SG_EEES6_PlJS6_EEE10hipError_tPvRmT3_T4_T5_T6_T7_T9_mT8_P12ihipStream_tbDpT10_ENKUlT_T0_E_clISt17integral_constantIbLb0EES1B_EEDaS16_S17_EUlS16_E_NS1_11comp_targetILNS1_3genE2ELNS1_11target_archE906ELNS1_3gpuE6ELNS1_3repE0EEENS1_30default_config_static_selectorELNS0_4arch9wavefront6targetE1EEEvT1_,@function
_ZN7rocprim17ROCPRIM_400000_NS6detail17trampoline_kernelINS0_14default_configENS1_25partition_config_selectorILNS1_17partition_subalgoE1EyNS0_10empty_typeEbEEZZNS1_14partition_implILS5_1ELb0ES3_jN6thrust23THRUST_200600_302600_NS6detail15normal_iteratorINSA_10device_ptrIyEEEEPS6_NSA_18transform_iteratorI7is_evenIyESF_NSA_11use_defaultESK_EENS0_5tupleIJNSA_16discard_iteratorISK_EESO_EEENSM_IJSG_SG_EEES6_PlJS6_EEE10hipError_tPvRmT3_T4_T5_T6_T7_T9_mT8_P12ihipStream_tbDpT10_ENKUlT_T0_E_clISt17integral_constantIbLb0EES1B_EEDaS16_S17_EUlS16_E_NS1_11comp_targetILNS1_3genE2ELNS1_11target_archE906ELNS1_3gpuE6ELNS1_3repE0EEENS1_30default_config_static_selectorELNS0_4arch9wavefront6targetE1EEEvT1_: ; @_ZN7rocprim17ROCPRIM_400000_NS6detail17trampoline_kernelINS0_14default_configENS1_25partition_config_selectorILNS1_17partition_subalgoE1EyNS0_10empty_typeEbEEZZNS1_14partition_implILS5_1ELb0ES3_jN6thrust23THRUST_200600_302600_NS6detail15normal_iteratorINSA_10device_ptrIyEEEEPS6_NSA_18transform_iteratorI7is_evenIyESF_NSA_11use_defaultESK_EENS0_5tupleIJNSA_16discard_iteratorISK_EESO_EEENSM_IJSG_SG_EEES6_PlJS6_EEE10hipError_tPvRmT3_T4_T5_T6_T7_T9_mT8_P12ihipStream_tbDpT10_ENKUlT_T0_E_clISt17integral_constantIbLb0EES1B_EEDaS16_S17_EUlS16_E_NS1_11comp_targetILNS1_3genE2ELNS1_11target_archE906ELNS1_3gpuE6ELNS1_3repE0EEENS1_30default_config_static_selectorELNS0_4arch9wavefront6targetE1EEEvT1_
; %bb.0:
	.section	.rodata,"a",@progbits
	.p2align	6, 0x0
	.amdhsa_kernel _ZN7rocprim17ROCPRIM_400000_NS6detail17trampoline_kernelINS0_14default_configENS1_25partition_config_selectorILNS1_17partition_subalgoE1EyNS0_10empty_typeEbEEZZNS1_14partition_implILS5_1ELb0ES3_jN6thrust23THRUST_200600_302600_NS6detail15normal_iteratorINSA_10device_ptrIyEEEEPS6_NSA_18transform_iteratorI7is_evenIyESF_NSA_11use_defaultESK_EENS0_5tupleIJNSA_16discard_iteratorISK_EESO_EEENSM_IJSG_SG_EEES6_PlJS6_EEE10hipError_tPvRmT3_T4_T5_T6_T7_T9_mT8_P12ihipStream_tbDpT10_ENKUlT_T0_E_clISt17integral_constantIbLb0EES1B_EEDaS16_S17_EUlS16_E_NS1_11comp_targetILNS1_3genE2ELNS1_11target_archE906ELNS1_3gpuE6ELNS1_3repE0EEENS1_30default_config_static_selectorELNS0_4arch9wavefront6targetE1EEEvT1_
		.amdhsa_group_segment_fixed_size 0
		.amdhsa_private_segment_fixed_size 0
		.amdhsa_kernarg_size 144
		.amdhsa_user_sgpr_count 6
		.amdhsa_user_sgpr_private_segment_buffer 1
		.amdhsa_user_sgpr_dispatch_ptr 0
		.amdhsa_user_sgpr_queue_ptr 0
		.amdhsa_user_sgpr_kernarg_segment_ptr 1
		.amdhsa_user_sgpr_dispatch_id 0
		.amdhsa_user_sgpr_flat_scratch_init 0
		.amdhsa_user_sgpr_kernarg_preload_length 0
		.amdhsa_user_sgpr_kernarg_preload_offset 0
		.amdhsa_user_sgpr_private_segment_size 0
		.amdhsa_uses_dynamic_stack 0
		.amdhsa_system_sgpr_private_segment_wavefront_offset 0
		.amdhsa_system_sgpr_workgroup_id_x 1
		.amdhsa_system_sgpr_workgroup_id_y 0
		.amdhsa_system_sgpr_workgroup_id_z 0
		.amdhsa_system_sgpr_workgroup_info 0
		.amdhsa_system_vgpr_workitem_id 0
		.amdhsa_next_free_vgpr 1
		.amdhsa_next_free_sgpr 0
		.amdhsa_accum_offset 4
		.amdhsa_reserve_vcc 0
		.amdhsa_reserve_flat_scratch 0
		.amdhsa_float_round_mode_32 0
		.amdhsa_float_round_mode_16_64 0
		.amdhsa_float_denorm_mode_32 3
		.amdhsa_float_denorm_mode_16_64 3
		.amdhsa_dx10_clamp 1
		.amdhsa_ieee_mode 1
		.amdhsa_fp16_overflow 0
		.amdhsa_tg_split 0
		.amdhsa_exception_fp_ieee_invalid_op 0
		.amdhsa_exception_fp_denorm_src 0
		.amdhsa_exception_fp_ieee_div_zero 0
		.amdhsa_exception_fp_ieee_overflow 0
		.amdhsa_exception_fp_ieee_underflow 0
		.amdhsa_exception_fp_ieee_inexact 0
		.amdhsa_exception_int_div_zero 0
	.end_amdhsa_kernel
	.section	.text._ZN7rocprim17ROCPRIM_400000_NS6detail17trampoline_kernelINS0_14default_configENS1_25partition_config_selectorILNS1_17partition_subalgoE1EyNS0_10empty_typeEbEEZZNS1_14partition_implILS5_1ELb0ES3_jN6thrust23THRUST_200600_302600_NS6detail15normal_iteratorINSA_10device_ptrIyEEEEPS6_NSA_18transform_iteratorI7is_evenIyESF_NSA_11use_defaultESK_EENS0_5tupleIJNSA_16discard_iteratorISK_EESO_EEENSM_IJSG_SG_EEES6_PlJS6_EEE10hipError_tPvRmT3_T4_T5_T6_T7_T9_mT8_P12ihipStream_tbDpT10_ENKUlT_T0_E_clISt17integral_constantIbLb0EES1B_EEDaS16_S17_EUlS16_E_NS1_11comp_targetILNS1_3genE2ELNS1_11target_archE906ELNS1_3gpuE6ELNS1_3repE0EEENS1_30default_config_static_selectorELNS0_4arch9wavefront6targetE1EEEvT1_,"axG",@progbits,_ZN7rocprim17ROCPRIM_400000_NS6detail17trampoline_kernelINS0_14default_configENS1_25partition_config_selectorILNS1_17partition_subalgoE1EyNS0_10empty_typeEbEEZZNS1_14partition_implILS5_1ELb0ES3_jN6thrust23THRUST_200600_302600_NS6detail15normal_iteratorINSA_10device_ptrIyEEEEPS6_NSA_18transform_iteratorI7is_evenIyESF_NSA_11use_defaultESK_EENS0_5tupleIJNSA_16discard_iteratorISK_EESO_EEENSM_IJSG_SG_EEES6_PlJS6_EEE10hipError_tPvRmT3_T4_T5_T6_T7_T9_mT8_P12ihipStream_tbDpT10_ENKUlT_T0_E_clISt17integral_constantIbLb0EES1B_EEDaS16_S17_EUlS16_E_NS1_11comp_targetILNS1_3genE2ELNS1_11target_archE906ELNS1_3gpuE6ELNS1_3repE0EEENS1_30default_config_static_selectorELNS0_4arch9wavefront6targetE1EEEvT1_,comdat
.Lfunc_end2879:
	.size	_ZN7rocprim17ROCPRIM_400000_NS6detail17trampoline_kernelINS0_14default_configENS1_25partition_config_selectorILNS1_17partition_subalgoE1EyNS0_10empty_typeEbEEZZNS1_14partition_implILS5_1ELb0ES3_jN6thrust23THRUST_200600_302600_NS6detail15normal_iteratorINSA_10device_ptrIyEEEEPS6_NSA_18transform_iteratorI7is_evenIyESF_NSA_11use_defaultESK_EENS0_5tupleIJNSA_16discard_iteratorISK_EESO_EEENSM_IJSG_SG_EEES6_PlJS6_EEE10hipError_tPvRmT3_T4_T5_T6_T7_T9_mT8_P12ihipStream_tbDpT10_ENKUlT_T0_E_clISt17integral_constantIbLb0EES1B_EEDaS16_S17_EUlS16_E_NS1_11comp_targetILNS1_3genE2ELNS1_11target_archE906ELNS1_3gpuE6ELNS1_3repE0EEENS1_30default_config_static_selectorELNS0_4arch9wavefront6targetE1EEEvT1_, .Lfunc_end2879-_ZN7rocprim17ROCPRIM_400000_NS6detail17trampoline_kernelINS0_14default_configENS1_25partition_config_selectorILNS1_17partition_subalgoE1EyNS0_10empty_typeEbEEZZNS1_14partition_implILS5_1ELb0ES3_jN6thrust23THRUST_200600_302600_NS6detail15normal_iteratorINSA_10device_ptrIyEEEEPS6_NSA_18transform_iteratorI7is_evenIyESF_NSA_11use_defaultESK_EENS0_5tupleIJNSA_16discard_iteratorISK_EESO_EEENSM_IJSG_SG_EEES6_PlJS6_EEE10hipError_tPvRmT3_T4_T5_T6_T7_T9_mT8_P12ihipStream_tbDpT10_ENKUlT_T0_E_clISt17integral_constantIbLb0EES1B_EEDaS16_S17_EUlS16_E_NS1_11comp_targetILNS1_3genE2ELNS1_11target_archE906ELNS1_3gpuE6ELNS1_3repE0EEENS1_30default_config_static_selectorELNS0_4arch9wavefront6targetE1EEEvT1_
                                        ; -- End function
	.section	.AMDGPU.csdata,"",@progbits
; Kernel info:
; codeLenInByte = 0
; NumSgprs: 4
; NumVgprs: 0
; NumAgprs: 0
; TotalNumVgprs: 0
; ScratchSize: 0
; MemoryBound: 0
; FloatMode: 240
; IeeeMode: 1
; LDSByteSize: 0 bytes/workgroup (compile time only)
; SGPRBlocks: 0
; VGPRBlocks: 0
; NumSGPRsForWavesPerEU: 4
; NumVGPRsForWavesPerEU: 1
; AccumOffset: 4
; Occupancy: 8
; WaveLimiterHint : 0
; COMPUTE_PGM_RSRC2:SCRATCH_EN: 0
; COMPUTE_PGM_RSRC2:USER_SGPR: 6
; COMPUTE_PGM_RSRC2:TRAP_HANDLER: 0
; COMPUTE_PGM_RSRC2:TGID_X_EN: 1
; COMPUTE_PGM_RSRC2:TGID_Y_EN: 0
; COMPUTE_PGM_RSRC2:TGID_Z_EN: 0
; COMPUTE_PGM_RSRC2:TIDIG_COMP_CNT: 0
; COMPUTE_PGM_RSRC3_GFX90A:ACCUM_OFFSET: 0
; COMPUTE_PGM_RSRC3_GFX90A:TG_SPLIT: 0
	.section	.text._ZN7rocprim17ROCPRIM_400000_NS6detail17trampoline_kernelINS0_14default_configENS1_25partition_config_selectorILNS1_17partition_subalgoE1EyNS0_10empty_typeEbEEZZNS1_14partition_implILS5_1ELb0ES3_jN6thrust23THRUST_200600_302600_NS6detail15normal_iteratorINSA_10device_ptrIyEEEEPS6_NSA_18transform_iteratorI7is_evenIyESF_NSA_11use_defaultESK_EENS0_5tupleIJNSA_16discard_iteratorISK_EESO_EEENSM_IJSG_SG_EEES6_PlJS6_EEE10hipError_tPvRmT3_T4_T5_T6_T7_T9_mT8_P12ihipStream_tbDpT10_ENKUlT_T0_E_clISt17integral_constantIbLb0EES1B_EEDaS16_S17_EUlS16_E_NS1_11comp_targetILNS1_3genE10ELNS1_11target_archE1200ELNS1_3gpuE4ELNS1_3repE0EEENS1_30default_config_static_selectorELNS0_4arch9wavefront6targetE1EEEvT1_,"axG",@progbits,_ZN7rocprim17ROCPRIM_400000_NS6detail17trampoline_kernelINS0_14default_configENS1_25partition_config_selectorILNS1_17partition_subalgoE1EyNS0_10empty_typeEbEEZZNS1_14partition_implILS5_1ELb0ES3_jN6thrust23THRUST_200600_302600_NS6detail15normal_iteratorINSA_10device_ptrIyEEEEPS6_NSA_18transform_iteratorI7is_evenIyESF_NSA_11use_defaultESK_EENS0_5tupleIJNSA_16discard_iteratorISK_EESO_EEENSM_IJSG_SG_EEES6_PlJS6_EEE10hipError_tPvRmT3_T4_T5_T6_T7_T9_mT8_P12ihipStream_tbDpT10_ENKUlT_T0_E_clISt17integral_constantIbLb0EES1B_EEDaS16_S17_EUlS16_E_NS1_11comp_targetILNS1_3genE10ELNS1_11target_archE1200ELNS1_3gpuE4ELNS1_3repE0EEENS1_30default_config_static_selectorELNS0_4arch9wavefront6targetE1EEEvT1_,comdat
	.protected	_ZN7rocprim17ROCPRIM_400000_NS6detail17trampoline_kernelINS0_14default_configENS1_25partition_config_selectorILNS1_17partition_subalgoE1EyNS0_10empty_typeEbEEZZNS1_14partition_implILS5_1ELb0ES3_jN6thrust23THRUST_200600_302600_NS6detail15normal_iteratorINSA_10device_ptrIyEEEEPS6_NSA_18transform_iteratorI7is_evenIyESF_NSA_11use_defaultESK_EENS0_5tupleIJNSA_16discard_iteratorISK_EESO_EEENSM_IJSG_SG_EEES6_PlJS6_EEE10hipError_tPvRmT3_T4_T5_T6_T7_T9_mT8_P12ihipStream_tbDpT10_ENKUlT_T0_E_clISt17integral_constantIbLb0EES1B_EEDaS16_S17_EUlS16_E_NS1_11comp_targetILNS1_3genE10ELNS1_11target_archE1200ELNS1_3gpuE4ELNS1_3repE0EEENS1_30default_config_static_selectorELNS0_4arch9wavefront6targetE1EEEvT1_ ; -- Begin function _ZN7rocprim17ROCPRIM_400000_NS6detail17trampoline_kernelINS0_14default_configENS1_25partition_config_selectorILNS1_17partition_subalgoE1EyNS0_10empty_typeEbEEZZNS1_14partition_implILS5_1ELb0ES3_jN6thrust23THRUST_200600_302600_NS6detail15normal_iteratorINSA_10device_ptrIyEEEEPS6_NSA_18transform_iteratorI7is_evenIyESF_NSA_11use_defaultESK_EENS0_5tupleIJNSA_16discard_iteratorISK_EESO_EEENSM_IJSG_SG_EEES6_PlJS6_EEE10hipError_tPvRmT3_T4_T5_T6_T7_T9_mT8_P12ihipStream_tbDpT10_ENKUlT_T0_E_clISt17integral_constantIbLb0EES1B_EEDaS16_S17_EUlS16_E_NS1_11comp_targetILNS1_3genE10ELNS1_11target_archE1200ELNS1_3gpuE4ELNS1_3repE0EEENS1_30default_config_static_selectorELNS0_4arch9wavefront6targetE1EEEvT1_
	.globl	_ZN7rocprim17ROCPRIM_400000_NS6detail17trampoline_kernelINS0_14default_configENS1_25partition_config_selectorILNS1_17partition_subalgoE1EyNS0_10empty_typeEbEEZZNS1_14partition_implILS5_1ELb0ES3_jN6thrust23THRUST_200600_302600_NS6detail15normal_iteratorINSA_10device_ptrIyEEEEPS6_NSA_18transform_iteratorI7is_evenIyESF_NSA_11use_defaultESK_EENS0_5tupleIJNSA_16discard_iteratorISK_EESO_EEENSM_IJSG_SG_EEES6_PlJS6_EEE10hipError_tPvRmT3_T4_T5_T6_T7_T9_mT8_P12ihipStream_tbDpT10_ENKUlT_T0_E_clISt17integral_constantIbLb0EES1B_EEDaS16_S17_EUlS16_E_NS1_11comp_targetILNS1_3genE10ELNS1_11target_archE1200ELNS1_3gpuE4ELNS1_3repE0EEENS1_30default_config_static_selectorELNS0_4arch9wavefront6targetE1EEEvT1_
	.p2align	8
	.type	_ZN7rocprim17ROCPRIM_400000_NS6detail17trampoline_kernelINS0_14default_configENS1_25partition_config_selectorILNS1_17partition_subalgoE1EyNS0_10empty_typeEbEEZZNS1_14partition_implILS5_1ELb0ES3_jN6thrust23THRUST_200600_302600_NS6detail15normal_iteratorINSA_10device_ptrIyEEEEPS6_NSA_18transform_iteratorI7is_evenIyESF_NSA_11use_defaultESK_EENS0_5tupleIJNSA_16discard_iteratorISK_EESO_EEENSM_IJSG_SG_EEES6_PlJS6_EEE10hipError_tPvRmT3_T4_T5_T6_T7_T9_mT8_P12ihipStream_tbDpT10_ENKUlT_T0_E_clISt17integral_constantIbLb0EES1B_EEDaS16_S17_EUlS16_E_NS1_11comp_targetILNS1_3genE10ELNS1_11target_archE1200ELNS1_3gpuE4ELNS1_3repE0EEENS1_30default_config_static_selectorELNS0_4arch9wavefront6targetE1EEEvT1_,@function
_ZN7rocprim17ROCPRIM_400000_NS6detail17trampoline_kernelINS0_14default_configENS1_25partition_config_selectorILNS1_17partition_subalgoE1EyNS0_10empty_typeEbEEZZNS1_14partition_implILS5_1ELb0ES3_jN6thrust23THRUST_200600_302600_NS6detail15normal_iteratorINSA_10device_ptrIyEEEEPS6_NSA_18transform_iteratorI7is_evenIyESF_NSA_11use_defaultESK_EENS0_5tupleIJNSA_16discard_iteratorISK_EESO_EEENSM_IJSG_SG_EEES6_PlJS6_EEE10hipError_tPvRmT3_T4_T5_T6_T7_T9_mT8_P12ihipStream_tbDpT10_ENKUlT_T0_E_clISt17integral_constantIbLb0EES1B_EEDaS16_S17_EUlS16_E_NS1_11comp_targetILNS1_3genE10ELNS1_11target_archE1200ELNS1_3gpuE4ELNS1_3repE0EEENS1_30default_config_static_selectorELNS0_4arch9wavefront6targetE1EEEvT1_: ; @_ZN7rocprim17ROCPRIM_400000_NS6detail17trampoline_kernelINS0_14default_configENS1_25partition_config_selectorILNS1_17partition_subalgoE1EyNS0_10empty_typeEbEEZZNS1_14partition_implILS5_1ELb0ES3_jN6thrust23THRUST_200600_302600_NS6detail15normal_iteratorINSA_10device_ptrIyEEEEPS6_NSA_18transform_iteratorI7is_evenIyESF_NSA_11use_defaultESK_EENS0_5tupleIJNSA_16discard_iteratorISK_EESO_EEENSM_IJSG_SG_EEES6_PlJS6_EEE10hipError_tPvRmT3_T4_T5_T6_T7_T9_mT8_P12ihipStream_tbDpT10_ENKUlT_T0_E_clISt17integral_constantIbLb0EES1B_EEDaS16_S17_EUlS16_E_NS1_11comp_targetILNS1_3genE10ELNS1_11target_archE1200ELNS1_3gpuE4ELNS1_3repE0EEENS1_30default_config_static_selectorELNS0_4arch9wavefront6targetE1EEEvT1_
; %bb.0:
	.section	.rodata,"a",@progbits
	.p2align	6, 0x0
	.amdhsa_kernel _ZN7rocprim17ROCPRIM_400000_NS6detail17trampoline_kernelINS0_14default_configENS1_25partition_config_selectorILNS1_17partition_subalgoE1EyNS0_10empty_typeEbEEZZNS1_14partition_implILS5_1ELb0ES3_jN6thrust23THRUST_200600_302600_NS6detail15normal_iteratorINSA_10device_ptrIyEEEEPS6_NSA_18transform_iteratorI7is_evenIyESF_NSA_11use_defaultESK_EENS0_5tupleIJNSA_16discard_iteratorISK_EESO_EEENSM_IJSG_SG_EEES6_PlJS6_EEE10hipError_tPvRmT3_T4_T5_T6_T7_T9_mT8_P12ihipStream_tbDpT10_ENKUlT_T0_E_clISt17integral_constantIbLb0EES1B_EEDaS16_S17_EUlS16_E_NS1_11comp_targetILNS1_3genE10ELNS1_11target_archE1200ELNS1_3gpuE4ELNS1_3repE0EEENS1_30default_config_static_selectorELNS0_4arch9wavefront6targetE1EEEvT1_
		.amdhsa_group_segment_fixed_size 0
		.amdhsa_private_segment_fixed_size 0
		.amdhsa_kernarg_size 144
		.amdhsa_user_sgpr_count 6
		.amdhsa_user_sgpr_private_segment_buffer 1
		.amdhsa_user_sgpr_dispatch_ptr 0
		.amdhsa_user_sgpr_queue_ptr 0
		.amdhsa_user_sgpr_kernarg_segment_ptr 1
		.amdhsa_user_sgpr_dispatch_id 0
		.amdhsa_user_sgpr_flat_scratch_init 0
		.amdhsa_user_sgpr_kernarg_preload_length 0
		.amdhsa_user_sgpr_kernarg_preload_offset 0
		.amdhsa_user_sgpr_private_segment_size 0
		.amdhsa_uses_dynamic_stack 0
		.amdhsa_system_sgpr_private_segment_wavefront_offset 0
		.amdhsa_system_sgpr_workgroup_id_x 1
		.amdhsa_system_sgpr_workgroup_id_y 0
		.amdhsa_system_sgpr_workgroup_id_z 0
		.amdhsa_system_sgpr_workgroup_info 0
		.amdhsa_system_vgpr_workitem_id 0
		.amdhsa_next_free_vgpr 1
		.amdhsa_next_free_sgpr 0
		.amdhsa_accum_offset 4
		.amdhsa_reserve_vcc 0
		.amdhsa_reserve_flat_scratch 0
		.amdhsa_float_round_mode_32 0
		.amdhsa_float_round_mode_16_64 0
		.amdhsa_float_denorm_mode_32 3
		.amdhsa_float_denorm_mode_16_64 3
		.amdhsa_dx10_clamp 1
		.amdhsa_ieee_mode 1
		.amdhsa_fp16_overflow 0
		.amdhsa_tg_split 0
		.amdhsa_exception_fp_ieee_invalid_op 0
		.amdhsa_exception_fp_denorm_src 0
		.amdhsa_exception_fp_ieee_div_zero 0
		.amdhsa_exception_fp_ieee_overflow 0
		.amdhsa_exception_fp_ieee_underflow 0
		.amdhsa_exception_fp_ieee_inexact 0
		.amdhsa_exception_int_div_zero 0
	.end_amdhsa_kernel
	.section	.text._ZN7rocprim17ROCPRIM_400000_NS6detail17trampoline_kernelINS0_14default_configENS1_25partition_config_selectorILNS1_17partition_subalgoE1EyNS0_10empty_typeEbEEZZNS1_14partition_implILS5_1ELb0ES3_jN6thrust23THRUST_200600_302600_NS6detail15normal_iteratorINSA_10device_ptrIyEEEEPS6_NSA_18transform_iteratorI7is_evenIyESF_NSA_11use_defaultESK_EENS0_5tupleIJNSA_16discard_iteratorISK_EESO_EEENSM_IJSG_SG_EEES6_PlJS6_EEE10hipError_tPvRmT3_T4_T5_T6_T7_T9_mT8_P12ihipStream_tbDpT10_ENKUlT_T0_E_clISt17integral_constantIbLb0EES1B_EEDaS16_S17_EUlS16_E_NS1_11comp_targetILNS1_3genE10ELNS1_11target_archE1200ELNS1_3gpuE4ELNS1_3repE0EEENS1_30default_config_static_selectorELNS0_4arch9wavefront6targetE1EEEvT1_,"axG",@progbits,_ZN7rocprim17ROCPRIM_400000_NS6detail17trampoline_kernelINS0_14default_configENS1_25partition_config_selectorILNS1_17partition_subalgoE1EyNS0_10empty_typeEbEEZZNS1_14partition_implILS5_1ELb0ES3_jN6thrust23THRUST_200600_302600_NS6detail15normal_iteratorINSA_10device_ptrIyEEEEPS6_NSA_18transform_iteratorI7is_evenIyESF_NSA_11use_defaultESK_EENS0_5tupleIJNSA_16discard_iteratorISK_EESO_EEENSM_IJSG_SG_EEES6_PlJS6_EEE10hipError_tPvRmT3_T4_T5_T6_T7_T9_mT8_P12ihipStream_tbDpT10_ENKUlT_T0_E_clISt17integral_constantIbLb0EES1B_EEDaS16_S17_EUlS16_E_NS1_11comp_targetILNS1_3genE10ELNS1_11target_archE1200ELNS1_3gpuE4ELNS1_3repE0EEENS1_30default_config_static_selectorELNS0_4arch9wavefront6targetE1EEEvT1_,comdat
.Lfunc_end2880:
	.size	_ZN7rocprim17ROCPRIM_400000_NS6detail17trampoline_kernelINS0_14default_configENS1_25partition_config_selectorILNS1_17partition_subalgoE1EyNS0_10empty_typeEbEEZZNS1_14partition_implILS5_1ELb0ES3_jN6thrust23THRUST_200600_302600_NS6detail15normal_iteratorINSA_10device_ptrIyEEEEPS6_NSA_18transform_iteratorI7is_evenIyESF_NSA_11use_defaultESK_EENS0_5tupleIJNSA_16discard_iteratorISK_EESO_EEENSM_IJSG_SG_EEES6_PlJS6_EEE10hipError_tPvRmT3_T4_T5_T6_T7_T9_mT8_P12ihipStream_tbDpT10_ENKUlT_T0_E_clISt17integral_constantIbLb0EES1B_EEDaS16_S17_EUlS16_E_NS1_11comp_targetILNS1_3genE10ELNS1_11target_archE1200ELNS1_3gpuE4ELNS1_3repE0EEENS1_30default_config_static_selectorELNS0_4arch9wavefront6targetE1EEEvT1_, .Lfunc_end2880-_ZN7rocprim17ROCPRIM_400000_NS6detail17trampoline_kernelINS0_14default_configENS1_25partition_config_selectorILNS1_17partition_subalgoE1EyNS0_10empty_typeEbEEZZNS1_14partition_implILS5_1ELb0ES3_jN6thrust23THRUST_200600_302600_NS6detail15normal_iteratorINSA_10device_ptrIyEEEEPS6_NSA_18transform_iteratorI7is_evenIyESF_NSA_11use_defaultESK_EENS0_5tupleIJNSA_16discard_iteratorISK_EESO_EEENSM_IJSG_SG_EEES6_PlJS6_EEE10hipError_tPvRmT3_T4_T5_T6_T7_T9_mT8_P12ihipStream_tbDpT10_ENKUlT_T0_E_clISt17integral_constantIbLb0EES1B_EEDaS16_S17_EUlS16_E_NS1_11comp_targetILNS1_3genE10ELNS1_11target_archE1200ELNS1_3gpuE4ELNS1_3repE0EEENS1_30default_config_static_selectorELNS0_4arch9wavefront6targetE1EEEvT1_
                                        ; -- End function
	.section	.AMDGPU.csdata,"",@progbits
; Kernel info:
; codeLenInByte = 0
; NumSgprs: 4
; NumVgprs: 0
; NumAgprs: 0
; TotalNumVgprs: 0
; ScratchSize: 0
; MemoryBound: 0
; FloatMode: 240
; IeeeMode: 1
; LDSByteSize: 0 bytes/workgroup (compile time only)
; SGPRBlocks: 0
; VGPRBlocks: 0
; NumSGPRsForWavesPerEU: 4
; NumVGPRsForWavesPerEU: 1
; AccumOffset: 4
; Occupancy: 8
; WaveLimiterHint : 0
; COMPUTE_PGM_RSRC2:SCRATCH_EN: 0
; COMPUTE_PGM_RSRC2:USER_SGPR: 6
; COMPUTE_PGM_RSRC2:TRAP_HANDLER: 0
; COMPUTE_PGM_RSRC2:TGID_X_EN: 1
; COMPUTE_PGM_RSRC2:TGID_Y_EN: 0
; COMPUTE_PGM_RSRC2:TGID_Z_EN: 0
; COMPUTE_PGM_RSRC2:TIDIG_COMP_CNT: 0
; COMPUTE_PGM_RSRC3_GFX90A:ACCUM_OFFSET: 0
; COMPUTE_PGM_RSRC3_GFX90A:TG_SPLIT: 0
	.section	.text._ZN7rocprim17ROCPRIM_400000_NS6detail17trampoline_kernelINS0_14default_configENS1_25partition_config_selectorILNS1_17partition_subalgoE1EyNS0_10empty_typeEbEEZZNS1_14partition_implILS5_1ELb0ES3_jN6thrust23THRUST_200600_302600_NS6detail15normal_iteratorINSA_10device_ptrIyEEEEPS6_NSA_18transform_iteratorI7is_evenIyESF_NSA_11use_defaultESK_EENS0_5tupleIJNSA_16discard_iteratorISK_EESO_EEENSM_IJSG_SG_EEES6_PlJS6_EEE10hipError_tPvRmT3_T4_T5_T6_T7_T9_mT8_P12ihipStream_tbDpT10_ENKUlT_T0_E_clISt17integral_constantIbLb0EES1B_EEDaS16_S17_EUlS16_E_NS1_11comp_targetILNS1_3genE9ELNS1_11target_archE1100ELNS1_3gpuE3ELNS1_3repE0EEENS1_30default_config_static_selectorELNS0_4arch9wavefront6targetE1EEEvT1_,"axG",@progbits,_ZN7rocprim17ROCPRIM_400000_NS6detail17trampoline_kernelINS0_14default_configENS1_25partition_config_selectorILNS1_17partition_subalgoE1EyNS0_10empty_typeEbEEZZNS1_14partition_implILS5_1ELb0ES3_jN6thrust23THRUST_200600_302600_NS6detail15normal_iteratorINSA_10device_ptrIyEEEEPS6_NSA_18transform_iteratorI7is_evenIyESF_NSA_11use_defaultESK_EENS0_5tupleIJNSA_16discard_iteratorISK_EESO_EEENSM_IJSG_SG_EEES6_PlJS6_EEE10hipError_tPvRmT3_T4_T5_T6_T7_T9_mT8_P12ihipStream_tbDpT10_ENKUlT_T0_E_clISt17integral_constantIbLb0EES1B_EEDaS16_S17_EUlS16_E_NS1_11comp_targetILNS1_3genE9ELNS1_11target_archE1100ELNS1_3gpuE3ELNS1_3repE0EEENS1_30default_config_static_selectorELNS0_4arch9wavefront6targetE1EEEvT1_,comdat
	.protected	_ZN7rocprim17ROCPRIM_400000_NS6detail17trampoline_kernelINS0_14default_configENS1_25partition_config_selectorILNS1_17partition_subalgoE1EyNS0_10empty_typeEbEEZZNS1_14partition_implILS5_1ELb0ES3_jN6thrust23THRUST_200600_302600_NS6detail15normal_iteratorINSA_10device_ptrIyEEEEPS6_NSA_18transform_iteratorI7is_evenIyESF_NSA_11use_defaultESK_EENS0_5tupleIJNSA_16discard_iteratorISK_EESO_EEENSM_IJSG_SG_EEES6_PlJS6_EEE10hipError_tPvRmT3_T4_T5_T6_T7_T9_mT8_P12ihipStream_tbDpT10_ENKUlT_T0_E_clISt17integral_constantIbLb0EES1B_EEDaS16_S17_EUlS16_E_NS1_11comp_targetILNS1_3genE9ELNS1_11target_archE1100ELNS1_3gpuE3ELNS1_3repE0EEENS1_30default_config_static_selectorELNS0_4arch9wavefront6targetE1EEEvT1_ ; -- Begin function _ZN7rocprim17ROCPRIM_400000_NS6detail17trampoline_kernelINS0_14default_configENS1_25partition_config_selectorILNS1_17partition_subalgoE1EyNS0_10empty_typeEbEEZZNS1_14partition_implILS5_1ELb0ES3_jN6thrust23THRUST_200600_302600_NS6detail15normal_iteratorINSA_10device_ptrIyEEEEPS6_NSA_18transform_iteratorI7is_evenIyESF_NSA_11use_defaultESK_EENS0_5tupleIJNSA_16discard_iteratorISK_EESO_EEENSM_IJSG_SG_EEES6_PlJS6_EEE10hipError_tPvRmT3_T4_T5_T6_T7_T9_mT8_P12ihipStream_tbDpT10_ENKUlT_T0_E_clISt17integral_constantIbLb0EES1B_EEDaS16_S17_EUlS16_E_NS1_11comp_targetILNS1_3genE9ELNS1_11target_archE1100ELNS1_3gpuE3ELNS1_3repE0EEENS1_30default_config_static_selectorELNS0_4arch9wavefront6targetE1EEEvT1_
	.globl	_ZN7rocprim17ROCPRIM_400000_NS6detail17trampoline_kernelINS0_14default_configENS1_25partition_config_selectorILNS1_17partition_subalgoE1EyNS0_10empty_typeEbEEZZNS1_14partition_implILS5_1ELb0ES3_jN6thrust23THRUST_200600_302600_NS6detail15normal_iteratorINSA_10device_ptrIyEEEEPS6_NSA_18transform_iteratorI7is_evenIyESF_NSA_11use_defaultESK_EENS0_5tupleIJNSA_16discard_iteratorISK_EESO_EEENSM_IJSG_SG_EEES6_PlJS6_EEE10hipError_tPvRmT3_T4_T5_T6_T7_T9_mT8_P12ihipStream_tbDpT10_ENKUlT_T0_E_clISt17integral_constantIbLb0EES1B_EEDaS16_S17_EUlS16_E_NS1_11comp_targetILNS1_3genE9ELNS1_11target_archE1100ELNS1_3gpuE3ELNS1_3repE0EEENS1_30default_config_static_selectorELNS0_4arch9wavefront6targetE1EEEvT1_
	.p2align	8
	.type	_ZN7rocprim17ROCPRIM_400000_NS6detail17trampoline_kernelINS0_14default_configENS1_25partition_config_selectorILNS1_17partition_subalgoE1EyNS0_10empty_typeEbEEZZNS1_14partition_implILS5_1ELb0ES3_jN6thrust23THRUST_200600_302600_NS6detail15normal_iteratorINSA_10device_ptrIyEEEEPS6_NSA_18transform_iteratorI7is_evenIyESF_NSA_11use_defaultESK_EENS0_5tupleIJNSA_16discard_iteratorISK_EESO_EEENSM_IJSG_SG_EEES6_PlJS6_EEE10hipError_tPvRmT3_T4_T5_T6_T7_T9_mT8_P12ihipStream_tbDpT10_ENKUlT_T0_E_clISt17integral_constantIbLb0EES1B_EEDaS16_S17_EUlS16_E_NS1_11comp_targetILNS1_3genE9ELNS1_11target_archE1100ELNS1_3gpuE3ELNS1_3repE0EEENS1_30default_config_static_selectorELNS0_4arch9wavefront6targetE1EEEvT1_,@function
_ZN7rocprim17ROCPRIM_400000_NS6detail17trampoline_kernelINS0_14default_configENS1_25partition_config_selectorILNS1_17partition_subalgoE1EyNS0_10empty_typeEbEEZZNS1_14partition_implILS5_1ELb0ES3_jN6thrust23THRUST_200600_302600_NS6detail15normal_iteratorINSA_10device_ptrIyEEEEPS6_NSA_18transform_iteratorI7is_evenIyESF_NSA_11use_defaultESK_EENS0_5tupleIJNSA_16discard_iteratorISK_EESO_EEENSM_IJSG_SG_EEES6_PlJS6_EEE10hipError_tPvRmT3_T4_T5_T6_T7_T9_mT8_P12ihipStream_tbDpT10_ENKUlT_T0_E_clISt17integral_constantIbLb0EES1B_EEDaS16_S17_EUlS16_E_NS1_11comp_targetILNS1_3genE9ELNS1_11target_archE1100ELNS1_3gpuE3ELNS1_3repE0EEENS1_30default_config_static_selectorELNS0_4arch9wavefront6targetE1EEEvT1_: ; @_ZN7rocprim17ROCPRIM_400000_NS6detail17trampoline_kernelINS0_14default_configENS1_25partition_config_selectorILNS1_17partition_subalgoE1EyNS0_10empty_typeEbEEZZNS1_14partition_implILS5_1ELb0ES3_jN6thrust23THRUST_200600_302600_NS6detail15normal_iteratorINSA_10device_ptrIyEEEEPS6_NSA_18transform_iteratorI7is_evenIyESF_NSA_11use_defaultESK_EENS0_5tupleIJNSA_16discard_iteratorISK_EESO_EEENSM_IJSG_SG_EEES6_PlJS6_EEE10hipError_tPvRmT3_T4_T5_T6_T7_T9_mT8_P12ihipStream_tbDpT10_ENKUlT_T0_E_clISt17integral_constantIbLb0EES1B_EEDaS16_S17_EUlS16_E_NS1_11comp_targetILNS1_3genE9ELNS1_11target_archE1100ELNS1_3gpuE3ELNS1_3repE0EEENS1_30default_config_static_selectorELNS0_4arch9wavefront6targetE1EEEvT1_
; %bb.0:
	.section	.rodata,"a",@progbits
	.p2align	6, 0x0
	.amdhsa_kernel _ZN7rocprim17ROCPRIM_400000_NS6detail17trampoline_kernelINS0_14default_configENS1_25partition_config_selectorILNS1_17partition_subalgoE1EyNS0_10empty_typeEbEEZZNS1_14partition_implILS5_1ELb0ES3_jN6thrust23THRUST_200600_302600_NS6detail15normal_iteratorINSA_10device_ptrIyEEEEPS6_NSA_18transform_iteratorI7is_evenIyESF_NSA_11use_defaultESK_EENS0_5tupleIJNSA_16discard_iteratorISK_EESO_EEENSM_IJSG_SG_EEES6_PlJS6_EEE10hipError_tPvRmT3_T4_T5_T6_T7_T9_mT8_P12ihipStream_tbDpT10_ENKUlT_T0_E_clISt17integral_constantIbLb0EES1B_EEDaS16_S17_EUlS16_E_NS1_11comp_targetILNS1_3genE9ELNS1_11target_archE1100ELNS1_3gpuE3ELNS1_3repE0EEENS1_30default_config_static_selectorELNS0_4arch9wavefront6targetE1EEEvT1_
		.amdhsa_group_segment_fixed_size 0
		.amdhsa_private_segment_fixed_size 0
		.amdhsa_kernarg_size 144
		.amdhsa_user_sgpr_count 6
		.amdhsa_user_sgpr_private_segment_buffer 1
		.amdhsa_user_sgpr_dispatch_ptr 0
		.amdhsa_user_sgpr_queue_ptr 0
		.amdhsa_user_sgpr_kernarg_segment_ptr 1
		.amdhsa_user_sgpr_dispatch_id 0
		.amdhsa_user_sgpr_flat_scratch_init 0
		.amdhsa_user_sgpr_kernarg_preload_length 0
		.amdhsa_user_sgpr_kernarg_preload_offset 0
		.amdhsa_user_sgpr_private_segment_size 0
		.amdhsa_uses_dynamic_stack 0
		.amdhsa_system_sgpr_private_segment_wavefront_offset 0
		.amdhsa_system_sgpr_workgroup_id_x 1
		.amdhsa_system_sgpr_workgroup_id_y 0
		.amdhsa_system_sgpr_workgroup_id_z 0
		.amdhsa_system_sgpr_workgroup_info 0
		.amdhsa_system_vgpr_workitem_id 0
		.amdhsa_next_free_vgpr 1
		.amdhsa_next_free_sgpr 0
		.amdhsa_accum_offset 4
		.amdhsa_reserve_vcc 0
		.amdhsa_reserve_flat_scratch 0
		.amdhsa_float_round_mode_32 0
		.amdhsa_float_round_mode_16_64 0
		.amdhsa_float_denorm_mode_32 3
		.amdhsa_float_denorm_mode_16_64 3
		.amdhsa_dx10_clamp 1
		.amdhsa_ieee_mode 1
		.amdhsa_fp16_overflow 0
		.amdhsa_tg_split 0
		.amdhsa_exception_fp_ieee_invalid_op 0
		.amdhsa_exception_fp_denorm_src 0
		.amdhsa_exception_fp_ieee_div_zero 0
		.amdhsa_exception_fp_ieee_overflow 0
		.amdhsa_exception_fp_ieee_underflow 0
		.amdhsa_exception_fp_ieee_inexact 0
		.amdhsa_exception_int_div_zero 0
	.end_amdhsa_kernel
	.section	.text._ZN7rocprim17ROCPRIM_400000_NS6detail17trampoline_kernelINS0_14default_configENS1_25partition_config_selectorILNS1_17partition_subalgoE1EyNS0_10empty_typeEbEEZZNS1_14partition_implILS5_1ELb0ES3_jN6thrust23THRUST_200600_302600_NS6detail15normal_iteratorINSA_10device_ptrIyEEEEPS6_NSA_18transform_iteratorI7is_evenIyESF_NSA_11use_defaultESK_EENS0_5tupleIJNSA_16discard_iteratorISK_EESO_EEENSM_IJSG_SG_EEES6_PlJS6_EEE10hipError_tPvRmT3_T4_T5_T6_T7_T9_mT8_P12ihipStream_tbDpT10_ENKUlT_T0_E_clISt17integral_constantIbLb0EES1B_EEDaS16_S17_EUlS16_E_NS1_11comp_targetILNS1_3genE9ELNS1_11target_archE1100ELNS1_3gpuE3ELNS1_3repE0EEENS1_30default_config_static_selectorELNS0_4arch9wavefront6targetE1EEEvT1_,"axG",@progbits,_ZN7rocprim17ROCPRIM_400000_NS6detail17trampoline_kernelINS0_14default_configENS1_25partition_config_selectorILNS1_17partition_subalgoE1EyNS0_10empty_typeEbEEZZNS1_14partition_implILS5_1ELb0ES3_jN6thrust23THRUST_200600_302600_NS6detail15normal_iteratorINSA_10device_ptrIyEEEEPS6_NSA_18transform_iteratorI7is_evenIyESF_NSA_11use_defaultESK_EENS0_5tupleIJNSA_16discard_iteratorISK_EESO_EEENSM_IJSG_SG_EEES6_PlJS6_EEE10hipError_tPvRmT3_T4_T5_T6_T7_T9_mT8_P12ihipStream_tbDpT10_ENKUlT_T0_E_clISt17integral_constantIbLb0EES1B_EEDaS16_S17_EUlS16_E_NS1_11comp_targetILNS1_3genE9ELNS1_11target_archE1100ELNS1_3gpuE3ELNS1_3repE0EEENS1_30default_config_static_selectorELNS0_4arch9wavefront6targetE1EEEvT1_,comdat
.Lfunc_end2881:
	.size	_ZN7rocprim17ROCPRIM_400000_NS6detail17trampoline_kernelINS0_14default_configENS1_25partition_config_selectorILNS1_17partition_subalgoE1EyNS0_10empty_typeEbEEZZNS1_14partition_implILS5_1ELb0ES3_jN6thrust23THRUST_200600_302600_NS6detail15normal_iteratorINSA_10device_ptrIyEEEEPS6_NSA_18transform_iteratorI7is_evenIyESF_NSA_11use_defaultESK_EENS0_5tupleIJNSA_16discard_iteratorISK_EESO_EEENSM_IJSG_SG_EEES6_PlJS6_EEE10hipError_tPvRmT3_T4_T5_T6_T7_T9_mT8_P12ihipStream_tbDpT10_ENKUlT_T0_E_clISt17integral_constantIbLb0EES1B_EEDaS16_S17_EUlS16_E_NS1_11comp_targetILNS1_3genE9ELNS1_11target_archE1100ELNS1_3gpuE3ELNS1_3repE0EEENS1_30default_config_static_selectorELNS0_4arch9wavefront6targetE1EEEvT1_, .Lfunc_end2881-_ZN7rocprim17ROCPRIM_400000_NS6detail17trampoline_kernelINS0_14default_configENS1_25partition_config_selectorILNS1_17partition_subalgoE1EyNS0_10empty_typeEbEEZZNS1_14partition_implILS5_1ELb0ES3_jN6thrust23THRUST_200600_302600_NS6detail15normal_iteratorINSA_10device_ptrIyEEEEPS6_NSA_18transform_iteratorI7is_evenIyESF_NSA_11use_defaultESK_EENS0_5tupleIJNSA_16discard_iteratorISK_EESO_EEENSM_IJSG_SG_EEES6_PlJS6_EEE10hipError_tPvRmT3_T4_T5_T6_T7_T9_mT8_P12ihipStream_tbDpT10_ENKUlT_T0_E_clISt17integral_constantIbLb0EES1B_EEDaS16_S17_EUlS16_E_NS1_11comp_targetILNS1_3genE9ELNS1_11target_archE1100ELNS1_3gpuE3ELNS1_3repE0EEENS1_30default_config_static_selectorELNS0_4arch9wavefront6targetE1EEEvT1_
                                        ; -- End function
	.section	.AMDGPU.csdata,"",@progbits
; Kernel info:
; codeLenInByte = 0
; NumSgprs: 4
; NumVgprs: 0
; NumAgprs: 0
; TotalNumVgprs: 0
; ScratchSize: 0
; MemoryBound: 0
; FloatMode: 240
; IeeeMode: 1
; LDSByteSize: 0 bytes/workgroup (compile time only)
; SGPRBlocks: 0
; VGPRBlocks: 0
; NumSGPRsForWavesPerEU: 4
; NumVGPRsForWavesPerEU: 1
; AccumOffset: 4
; Occupancy: 8
; WaveLimiterHint : 0
; COMPUTE_PGM_RSRC2:SCRATCH_EN: 0
; COMPUTE_PGM_RSRC2:USER_SGPR: 6
; COMPUTE_PGM_RSRC2:TRAP_HANDLER: 0
; COMPUTE_PGM_RSRC2:TGID_X_EN: 1
; COMPUTE_PGM_RSRC2:TGID_Y_EN: 0
; COMPUTE_PGM_RSRC2:TGID_Z_EN: 0
; COMPUTE_PGM_RSRC2:TIDIG_COMP_CNT: 0
; COMPUTE_PGM_RSRC3_GFX90A:ACCUM_OFFSET: 0
; COMPUTE_PGM_RSRC3_GFX90A:TG_SPLIT: 0
	.section	.text._ZN7rocprim17ROCPRIM_400000_NS6detail17trampoline_kernelINS0_14default_configENS1_25partition_config_selectorILNS1_17partition_subalgoE1EyNS0_10empty_typeEbEEZZNS1_14partition_implILS5_1ELb0ES3_jN6thrust23THRUST_200600_302600_NS6detail15normal_iteratorINSA_10device_ptrIyEEEEPS6_NSA_18transform_iteratorI7is_evenIyESF_NSA_11use_defaultESK_EENS0_5tupleIJNSA_16discard_iteratorISK_EESO_EEENSM_IJSG_SG_EEES6_PlJS6_EEE10hipError_tPvRmT3_T4_T5_T6_T7_T9_mT8_P12ihipStream_tbDpT10_ENKUlT_T0_E_clISt17integral_constantIbLb0EES1B_EEDaS16_S17_EUlS16_E_NS1_11comp_targetILNS1_3genE8ELNS1_11target_archE1030ELNS1_3gpuE2ELNS1_3repE0EEENS1_30default_config_static_selectorELNS0_4arch9wavefront6targetE1EEEvT1_,"axG",@progbits,_ZN7rocprim17ROCPRIM_400000_NS6detail17trampoline_kernelINS0_14default_configENS1_25partition_config_selectorILNS1_17partition_subalgoE1EyNS0_10empty_typeEbEEZZNS1_14partition_implILS5_1ELb0ES3_jN6thrust23THRUST_200600_302600_NS6detail15normal_iteratorINSA_10device_ptrIyEEEEPS6_NSA_18transform_iteratorI7is_evenIyESF_NSA_11use_defaultESK_EENS0_5tupleIJNSA_16discard_iteratorISK_EESO_EEENSM_IJSG_SG_EEES6_PlJS6_EEE10hipError_tPvRmT3_T4_T5_T6_T7_T9_mT8_P12ihipStream_tbDpT10_ENKUlT_T0_E_clISt17integral_constantIbLb0EES1B_EEDaS16_S17_EUlS16_E_NS1_11comp_targetILNS1_3genE8ELNS1_11target_archE1030ELNS1_3gpuE2ELNS1_3repE0EEENS1_30default_config_static_selectorELNS0_4arch9wavefront6targetE1EEEvT1_,comdat
	.protected	_ZN7rocprim17ROCPRIM_400000_NS6detail17trampoline_kernelINS0_14default_configENS1_25partition_config_selectorILNS1_17partition_subalgoE1EyNS0_10empty_typeEbEEZZNS1_14partition_implILS5_1ELb0ES3_jN6thrust23THRUST_200600_302600_NS6detail15normal_iteratorINSA_10device_ptrIyEEEEPS6_NSA_18transform_iteratorI7is_evenIyESF_NSA_11use_defaultESK_EENS0_5tupleIJNSA_16discard_iteratorISK_EESO_EEENSM_IJSG_SG_EEES6_PlJS6_EEE10hipError_tPvRmT3_T4_T5_T6_T7_T9_mT8_P12ihipStream_tbDpT10_ENKUlT_T0_E_clISt17integral_constantIbLb0EES1B_EEDaS16_S17_EUlS16_E_NS1_11comp_targetILNS1_3genE8ELNS1_11target_archE1030ELNS1_3gpuE2ELNS1_3repE0EEENS1_30default_config_static_selectorELNS0_4arch9wavefront6targetE1EEEvT1_ ; -- Begin function _ZN7rocprim17ROCPRIM_400000_NS6detail17trampoline_kernelINS0_14default_configENS1_25partition_config_selectorILNS1_17partition_subalgoE1EyNS0_10empty_typeEbEEZZNS1_14partition_implILS5_1ELb0ES3_jN6thrust23THRUST_200600_302600_NS6detail15normal_iteratorINSA_10device_ptrIyEEEEPS6_NSA_18transform_iteratorI7is_evenIyESF_NSA_11use_defaultESK_EENS0_5tupleIJNSA_16discard_iteratorISK_EESO_EEENSM_IJSG_SG_EEES6_PlJS6_EEE10hipError_tPvRmT3_T4_T5_T6_T7_T9_mT8_P12ihipStream_tbDpT10_ENKUlT_T0_E_clISt17integral_constantIbLb0EES1B_EEDaS16_S17_EUlS16_E_NS1_11comp_targetILNS1_3genE8ELNS1_11target_archE1030ELNS1_3gpuE2ELNS1_3repE0EEENS1_30default_config_static_selectorELNS0_4arch9wavefront6targetE1EEEvT1_
	.globl	_ZN7rocprim17ROCPRIM_400000_NS6detail17trampoline_kernelINS0_14default_configENS1_25partition_config_selectorILNS1_17partition_subalgoE1EyNS0_10empty_typeEbEEZZNS1_14partition_implILS5_1ELb0ES3_jN6thrust23THRUST_200600_302600_NS6detail15normal_iteratorINSA_10device_ptrIyEEEEPS6_NSA_18transform_iteratorI7is_evenIyESF_NSA_11use_defaultESK_EENS0_5tupleIJNSA_16discard_iteratorISK_EESO_EEENSM_IJSG_SG_EEES6_PlJS6_EEE10hipError_tPvRmT3_T4_T5_T6_T7_T9_mT8_P12ihipStream_tbDpT10_ENKUlT_T0_E_clISt17integral_constantIbLb0EES1B_EEDaS16_S17_EUlS16_E_NS1_11comp_targetILNS1_3genE8ELNS1_11target_archE1030ELNS1_3gpuE2ELNS1_3repE0EEENS1_30default_config_static_selectorELNS0_4arch9wavefront6targetE1EEEvT1_
	.p2align	8
	.type	_ZN7rocprim17ROCPRIM_400000_NS6detail17trampoline_kernelINS0_14default_configENS1_25partition_config_selectorILNS1_17partition_subalgoE1EyNS0_10empty_typeEbEEZZNS1_14partition_implILS5_1ELb0ES3_jN6thrust23THRUST_200600_302600_NS6detail15normal_iteratorINSA_10device_ptrIyEEEEPS6_NSA_18transform_iteratorI7is_evenIyESF_NSA_11use_defaultESK_EENS0_5tupleIJNSA_16discard_iteratorISK_EESO_EEENSM_IJSG_SG_EEES6_PlJS6_EEE10hipError_tPvRmT3_T4_T5_T6_T7_T9_mT8_P12ihipStream_tbDpT10_ENKUlT_T0_E_clISt17integral_constantIbLb0EES1B_EEDaS16_S17_EUlS16_E_NS1_11comp_targetILNS1_3genE8ELNS1_11target_archE1030ELNS1_3gpuE2ELNS1_3repE0EEENS1_30default_config_static_selectorELNS0_4arch9wavefront6targetE1EEEvT1_,@function
_ZN7rocprim17ROCPRIM_400000_NS6detail17trampoline_kernelINS0_14default_configENS1_25partition_config_selectorILNS1_17partition_subalgoE1EyNS0_10empty_typeEbEEZZNS1_14partition_implILS5_1ELb0ES3_jN6thrust23THRUST_200600_302600_NS6detail15normal_iteratorINSA_10device_ptrIyEEEEPS6_NSA_18transform_iteratorI7is_evenIyESF_NSA_11use_defaultESK_EENS0_5tupleIJNSA_16discard_iteratorISK_EESO_EEENSM_IJSG_SG_EEES6_PlJS6_EEE10hipError_tPvRmT3_T4_T5_T6_T7_T9_mT8_P12ihipStream_tbDpT10_ENKUlT_T0_E_clISt17integral_constantIbLb0EES1B_EEDaS16_S17_EUlS16_E_NS1_11comp_targetILNS1_3genE8ELNS1_11target_archE1030ELNS1_3gpuE2ELNS1_3repE0EEENS1_30default_config_static_selectorELNS0_4arch9wavefront6targetE1EEEvT1_: ; @_ZN7rocprim17ROCPRIM_400000_NS6detail17trampoline_kernelINS0_14default_configENS1_25partition_config_selectorILNS1_17partition_subalgoE1EyNS0_10empty_typeEbEEZZNS1_14partition_implILS5_1ELb0ES3_jN6thrust23THRUST_200600_302600_NS6detail15normal_iteratorINSA_10device_ptrIyEEEEPS6_NSA_18transform_iteratorI7is_evenIyESF_NSA_11use_defaultESK_EENS0_5tupleIJNSA_16discard_iteratorISK_EESO_EEENSM_IJSG_SG_EEES6_PlJS6_EEE10hipError_tPvRmT3_T4_T5_T6_T7_T9_mT8_P12ihipStream_tbDpT10_ENKUlT_T0_E_clISt17integral_constantIbLb0EES1B_EEDaS16_S17_EUlS16_E_NS1_11comp_targetILNS1_3genE8ELNS1_11target_archE1030ELNS1_3gpuE2ELNS1_3repE0EEENS1_30default_config_static_selectorELNS0_4arch9wavefront6targetE1EEEvT1_
; %bb.0:
	.section	.rodata,"a",@progbits
	.p2align	6, 0x0
	.amdhsa_kernel _ZN7rocprim17ROCPRIM_400000_NS6detail17trampoline_kernelINS0_14default_configENS1_25partition_config_selectorILNS1_17partition_subalgoE1EyNS0_10empty_typeEbEEZZNS1_14partition_implILS5_1ELb0ES3_jN6thrust23THRUST_200600_302600_NS6detail15normal_iteratorINSA_10device_ptrIyEEEEPS6_NSA_18transform_iteratorI7is_evenIyESF_NSA_11use_defaultESK_EENS0_5tupleIJNSA_16discard_iteratorISK_EESO_EEENSM_IJSG_SG_EEES6_PlJS6_EEE10hipError_tPvRmT3_T4_T5_T6_T7_T9_mT8_P12ihipStream_tbDpT10_ENKUlT_T0_E_clISt17integral_constantIbLb0EES1B_EEDaS16_S17_EUlS16_E_NS1_11comp_targetILNS1_3genE8ELNS1_11target_archE1030ELNS1_3gpuE2ELNS1_3repE0EEENS1_30default_config_static_selectorELNS0_4arch9wavefront6targetE1EEEvT1_
		.amdhsa_group_segment_fixed_size 0
		.amdhsa_private_segment_fixed_size 0
		.amdhsa_kernarg_size 144
		.amdhsa_user_sgpr_count 6
		.amdhsa_user_sgpr_private_segment_buffer 1
		.amdhsa_user_sgpr_dispatch_ptr 0
		.amdhsa_user_sgpr_queue_ptr 0
		.amdhsa_user_sgpr_kernarg_segment_ptr 1
		.amdhsa_user_sgpr_dispatch_id 0
		.amdhsa_user_sgpr_flat_scratch_init 0
		.amdhsa_user_sgpr_kernarg_preload_length 0
		.amdhsa_user_sgpr_kernarg_preload_offset 0
		.amdhsa_user_sgpr_private_segment_size 0
		.amdhsa_uses_dynamic_stack 0
		.amdhsa_system_sgpr_private_segment_wavefront_offset 0
		.amdhsa_system_sgpr_workgroup_id_x 1
		.amdhsa_system_sgpr_workgroup_id_y 0
		.amdhsa_system_sgpr_workgroup_id_z 0
		.amdhsa_system_sgpr_workgroup_info 0
		.amdhsa_system_vgpr_workitem_id 0
		.amdhsa_next_free_vgpr 1
		.amdhsa_next_free_sgpr 0
		.amdhsa_accum_offset 4
		.amdhsa_reserve_vcc 0
		.amdhsa_reserve_flat_scratch 0
		.amdhsa_float_round_mode_32 0
		.amdhsa_float_round_mode_16_64 0
		.amdhsa_float_denorm_mode_32 3
		.amdhsa_float_denorm_mode_16_64 3
		.amdhsa_dx10_clamp 1
		.amdhsa_ieee_mode 1
		.amdhsa_fp16_overflow 0
		.amdhsa_tg_split 0
		.amdhsa_exception_fp_ieee_invalid_op 0
		.amdhsa_exception_fp_denorm_src 0
		.amdhsa_exception_fp_ieee_div_zero 0
		.amdhsa_exception_fp_ieee_overflow 0
		.amdhsa_exception_fp_ieee_underflow 0
		.amdhsa_exception_fp_ieee_inexact 0
		.amdhsa_exception_int_div_zero 0
	.end_amdhsa_kernel
	.section	.text._ZN7rocprim17ROCPRIM_400000_NS6detail17trampoline_kernelINS0_14default_configENS1_25partition_config_selectorILNS1_17partition_subalgoE1EyNS0_10empty_typeEbEEZZNS1_14partition_implILS5_1ELb0ES3_jN6thrust23THRUST_200600_302600_NS6detail15normal_iteratorINSA_10device_ptrIyEEEEPS6_NSA_18transform_iteratorI7is_evenIyESF_NSA_11use_defaultESK_EENS0_5tupleIJNSA_16discard_iteratorISK_EESO_EEENSM_IJSG_SG_EEES6_PlJS6_EEE10hipError_tPvRmT3_T4_T5_T6_T7_T9_mT8_P12ihipStream_tbDpT10_ENKUlT_T0_E_clISt17integral_constantIbLb0EES1B_EEDaS16_S17_EUlS16_E_NS1_11comp_targetILNS1_3genE8ELNS1_11target_archE1030ELNS1_3gpuE2ELNS1_3repE0EEENS1_30default_config_static_selectorELNS0_4arch9wavefront6targetE1EEEvT1_,"axG",@progbits,_ZN7rocprim17ROCPRIM_400000_NS6detail17trampoline_kernelINS0_14default_configENS1_25partition_config_selectorILNS1_17partition_subalgoE1EyNS0_10empty_typeEbEEZZNS1_14partition_implILS5_1ELb0ES3_jN6thrust23THRUST_200600_302600_NS6detail15normal_iteratorINSA_10device_ptrIyEEEEPS6_NSA_18transform_iteratorI7is_evenIyESF_NSA_11use_defaultESK_EENS0_5tupleIJNSA_16discard_iteratorISK_EESO_EEENSM_IJSG_SG_EEES6_PlJS6_EEE10hipError_tPvRmT3_T4_T5_T6_T7_T9_mT8_P12ihipStream_tbDpT10_ENKUlT_T0_E_clISt17integral_constantIbLb0EES1B_EEDaS16_S17_EUlS16_E_NS1_11comp_targetILNS1_3genE8ELNS1_11target_archE1030ELNS1_3gpuE2ELNS1_3repE0EEENS1_30default_config_static_selectorELNS0_4arch9wavefront6targetE1EEEvT1_,comdat
.Lfunc_end2882:
	.size	_ZN7rocprim17ROCPRIM_400000_NS6detail17trampoline_kernelINS0_14default_configENS1_25partition_config_selectorILNS1_17partition_subalgoE1EyNS0_10empty_typeEbEEZZNS1_14partition_implILS5_1ELb0ES3_jN6thrust23THRUST_200600_302600_NS6detail15normal_iteratorINSA_10device_ptrIyEEEEPS6_NSA_18transform_iteratorI7is_evenIyESF_NSA_11use_defaultESK_EENS0_5tupleIJNSA_16discard_iteratorISK_EESO_EEENSM_IJSG_SG_EEES6_PlJS6_EEE10hipError_tPvRmT3_T4_T5_T6_T7_T9_mT8_P12ihipStream_tbDpT10_ENKUlT_T0_E_clISt17integral_constantIbLb0EES1B_EEDaS16_S17_EUlS16_E_NS1_11comp_targetILNS1_3genE8ELNS1_11target_archE1030ELNS1_3gpuE2ELNS1_3repE0EEENS1_30default_config_static_selectorELNS0_4arch9wavefront6targetE1EEEvT1_, .Lfunc_end2882-_ZN7rocprim17ROCPRIM_400000_NS6detail17trampoline_kernelINS0_14default_configENS1_25partition_config_selectorILNS1_17partition_subalgoE1EyNS0_10empty_typeEbEEZZNS1_14partition_implILS5_1ELb0ES3_jN6thrust23THRUST_200600_302600_NS6detail15normal_iteratorINSA_10device_ptrIyEEEEPS6_NSA_18transform_iteratorI7is_evenIyESF_NSA_11use_defaultESK_EENS0_5tupleIJNSA_16discard_iteratorISK_EESO_EEENSM_IJSG_SG_EEES6_PlJS6_EEE10hipError_tPvRmT3_T4_T5_T6_T7_T9_mT8_P12ihipStream_tbDpT10_ENKUlT_T0_E_clISt17integral_constantIbLb0EES1B_EEDaS16_S17_EUlS16_E_NS1_11comp_targetILNS1_3genE8ELNS1_11target_archE1030ELNS1_3gpuE2ELNS1_3repE0EEENS1_30default_config_static_selectorELNS0_4arch9wavefront6targetE1EEEvT1_
                                        ; -- End function
	.section	.AMDGPU.csdata,"",@progbits
; Kernel info:
; codeLenInByte = 0
; NumSgprs: 4
; NumVgprs: 0
; NumAgprs: 0
; TotalNumVgprs: 0
; ScratchSize: 0
; MemoryBound: 0
; FloatMode: 240
; IeeeMode: 1
; LDSByteSize: 0 bytes/workgroup (compile time only)
; SGPRBlocks: 0
; VGPRBlocks: 0
; NumSGPRsForWavesPerEU: 4
; NumVGPRsForWavesPerEU: 1
; AccumOffset: 4
; Occupancy: 8
; WaveLimiterHint : 0
; COMPUTE_PGM_RSRC2:SCRATCH_EN: 0
; COMPUTE_PGM_RSRC2:USER_SGPR: 6
; COMPUTE_PGM_RSRC2:TRAP_HANDLER: 0
; COMPUTE_PGM_RSRC2:TGID_X_EN: 1
; COMPUTE_PGM_RSRC2:TGID_Y_EN: 0
; COMPUTE_PGM_RSRC2:TGID_Z_EN: 0
; COMPUTE_PGM_RSRC2:TIDIG_COMP_CNT: 0
; COMPUTE_PGM_RSRC3_GFX90A:ACCUM_OFFSET: 0
; COMPUTE_PGM_RSRC3_GFX90A:TG_SPLIT: 0
	.section	.text._ZN7rocprim17ROCPRIM_400000_NS6detail17trampoline_kernelINS0_14default_configENS1_25partition_config_selectorILNS1_17partition_subalgoE1EyNS0_10empty_typeEbEEZZNS1_14partition_implILS5_1ELb0ES3_jN6thrust23THRUST_200600_302600_NS6detail15normal_iteratorINSA_10device_ptrIyEEEEPS6_NSA_18transform_iteratorI7is_evenIyESF_NSA_11use_defaultESK_EENS0_5tupleIJNSA_16discard_iteratorISK_EESO_EEENSM_IJSG_SG_EEES6_PlJS6_EEE10hipError_tPvRmT3_T4_T5_T6_T7_T9_mT8_P12ihipStream_tbDpT10_ENKUlT_T0_E_clISt17integral_constantIbLb1EES1B_EEDaS16_S17_EUlS16_E_NS1_11comp_targetILNS1_3genE0ELNS1_11target_archE4294967295ELNS1_3gpuE0ELNS1_3repE0EEENS1_30default_config_static_selectorELNS0_4arch9wavefront6targetE1EEEvT1_,"axG",@progbits,_ZN7rocprim17ROCPRIM_400000_NS6detail17trampoline_kernelINS0_14default_configENS1_25partition_config_selectorILNS1_17partition_subalgoE1EyNS0_10empty_typeEbEEZZNS1_14partition_implILS5_1ELb0ES3_jN6thrust23THRUST_200600_302600_NS6detail15normal_iteratorINSA_10device_ptrIyEEEEPS6_NSA_18transform_iteratorI7is_evenIyESF_NSA_11use_defaultESK_EENS0_5tupleIJNSA_16discard_iteratorISK_EESO_EEENSM_IJSG_SG_EEES6_PlJS6_EEE10hipError_tPvRmT3_T4_T5_T6_T7_T9_mT8_P12ihipStream_tbDpT10_ENKUlT_T0_E_clISt17integral_constantIbLb1EES1B_EEDaS16_S17_EUlS16_E_NS1_11comp_targetILNS1_3genE0ELNS1_11target_archE4294967295ELNS1_3gpuE0ELNS1_3repE0EEENS1_30default_config_static_selectorELNS0_4arch9wavefront6targetE1EEEvT1_,comdat
	.protected	_ZN7rocprim17ROCPRIM_400000_NS6detail17trampoline_kernelINS0_14default_configENS1_25partition_config_selectorILNS1_17partition_subalgoE1EyNS0_10empty_typeEbEEZZNS1_14partition_implILS5_1ELb0ES3_jN6thrust23THRUST_200600_302600_NS6detail15normal_iteratorINSA_10device_ptrIyEEEEPS6_NSA_18transform_iteratorI7is_evenIyESF_NSA_11use_defaultESK_EENS0_5tupleIJNSA_16discard_iteratorISK_EESO_EEENSM_IJSG_SG_EEES6_PlJS6_EEE10hipError_tPvRmT3_T4_T5_T6_T7_T9_mT8_P12ihipStream_tbDpT10_ENKUlT_T0_E_clISt17integral_constantIbLb1EES1B_EEDaS16_S17_EUlS16_E_NS1_11comp_targetILNS1_3genE0ELNS1_11target_archE4294967295ELNS1_3gpuE0ELNS1_3repE0EEENS1_30default_config_static_selectorELNS0_4arch9wavefront6targetE1EEEvT1_ ; -- Begin function _ZN7rocprim17ROCPRIM_400000_NS6detail17trampoline_kernelINS0_14default_configENS1_25partition_config_selectorILNS1_17partition_subalgoE1EyNS0_10empty_typeEbEEZZNS1_14partition_implILS5_1ELb0ES3_jN6thrust23THRUST_200600_302600_NS6detail15normal_iteratorINSA_10device_ptrIyEEEEPS6_NSA_18transform_iteratorI7is_evenIyESF_NSA_11use_defaultESK_EENS0_5tupleIJNSA_16discard_iteratorISK_EESO_EEENSM_IJSG_SG_EEES6_PlJS6_EEE10hipError_tPvRmT3_T4_T5_T6_T7_T9_mT8_P12ihipStream_tbDpT10_ENKUlT_T0_E_clISt17integral_constantIbLb1EES1B_EEDaS16_S17_EUlS16_E_NS1_11comp_targetILNS1_3genE0ELNS1_11target_archE4294967295ELNS1_3gpuE0ELNS1_3repE0EEENS1_30default_config_static_selectorELNS0_4arch9wavefront6targetE1EEEvT1_
	.globl	_ZN7rocprim17ROCPRIM_400000_NS6detail17trampoline_kernelINS0_14default_configENS1_25partition_config_selectorILNS1_17partition_subalgoE1EyNS0_10empty_typeEbEEZZNS1_14partition_implILS5_1ELb0ES3_jN6thrust23THRUST_200600_302600_NS6detail15normal_iteratorINSA_10device_ptrIyEEEEPS6_NSA_18transform_iteratorI7is_evenIyESF_NSA_11use_defaultESK_EENS0_5tupleIJNSA_16discard_iteratorISK_EESO_EEENSM_IJSG_SG_EEES6_PlJS6_EEE10hipError_tPvRmT3_T4_T5_T6_T7_T9_mT8_P12ihipStream_tbDpT10_ENKUlT_T0_E_clISt17integral_constantIbLb1EES1B_EEDaS16_S17_EUlS16_E_NS1_11comp_targetILNS1_3genE0ELNS1_11target_archE4294967295ELNS1_3gpuE0ELNS1_3repE0EEENS1_30default_config_static_selectorELNS0_4arch9wavefront6targetE1EEEvT1_
	.p2align	8
	.type	_ZN7rocprim17ROCPRIM_400000_NS6detail17trampoline_kernelINS0_14default_configENS1_25partition_config_selectorILNS1_17partition_subalgoE1EyNS0_10empty_typeEbEEZZNS1_14partition_implILS5_1ELb0ES3_jN6thrust23THRUST_200600_302600_NS6detail15normal_iteratorINSA_10device_ptrIyEEEEPS6_NSA_18transform_iteratorI7is_evenIyESF_NSA_11use_defaultESK_EENS0_5tupleIJNSA_16discard_iteratorISK_EESO_EEENSM_IJSG_SG_EEES6_PlJS6_EEE10hipError_tPvRmT3_T4_T5_T6_T7_T9_mT8_P12ihipStream_tbDpT10_ENKUlT_T0_E_clISt17integral_constantIbLb1EES1B_EEDaS16_S17_EUlS16_E_NS1_11comp_targetILNS1_3genE0ELNS1_11target_archE4294967295ELNS1_3gpuE0ELNS1_3repE0EEENS1_30default_config_static_selectorELNS0_4arch9wavefront6targetE1EEEvT1_,@function
_ZN7rocprim17ROCPRIM_400000_NS6detail17trampoline_kernelINS0_14default_configENS1_25partition_config_selectorILNS1_17partition_subalgoE1EyNS0_10empty_typeEbEEZZNS1_14partition_implILS5_1ELb0ES3_jN6thrust23THRUST_200600_302600_NS6detail15normal_iteratorINSA_10device_ptrIyEEEEPS6_NSA_18transform_iteratorI7is_evenIyESF_NSA_11use_defaultESK_EENS0_5tupleIJNSA_16discard_iteratorISK_EESO_EEENSM_IJSG_SG_EEES6_PlJS6_EEE10hipError_tPvRmT3_T4_T5_T6_T7_T9_mT8_P12ihipStream_tbDpT10_ENKUlT_T0_E_clISt17integral_constantIbLb1EES1B_EEDaS16_S17_EUlS16_E_NS1_11comp_targetILNS1_3genE0ELNS1_11target_archE4294967295ELNS1_3gpuE0ELNS1_3repE0EEENS1_30default_config_static_selectorELNS0_4arch9wavefront6targetE1EEEvT1_: ; @_ZN7rocprim17ROCPRIM_400000_NS6detail17trampoline_kernelINS0_14default_configENS1_25partition_config_selectorILNS1_17partition_subalgoE1EyNS0_10empty_typeEbEEZZNS1_14partition_implILS5_1ELb0ES3_jN6thrust23THRUST_200600_302600_NS6detail15normal_iteratorINSA_10device_ptrIyEEEEPS6_NSA_18transform_iteratorI7is_evenIyESF_NSA_11use_defaultESK_EENS0_5tupleIJNSA_16discard_iteratorISK_EESO_EEENSM_IJSG_SG_EEES6_PlJS6_EEE10hipError_tPvRmT3_T4_T5_T6_T7_T9_mT8_P12ihipStream_tbDpT10_ENKUlT_T0_E_clISt17integral_constantIbLb1EES1B_EEDaS16_S17_EUlS16_E_NS1_11comp_targetILNS1_3genE0ELNS1_11target_archE4294967295ELNS1_3gpuE0ELNS1_3repE0EEENS1_30default_config_static_selectorELNS0_4arch9wavefront6targetE1EEEvT1_
; %bb.0:
	.section	.rodata,"a",@progbits
	.p2align	6, 0x0
	.amdhsa_kernel _ZN7rocprim17ROCPRIM_400000_NS6detail17trampoline_kernelINS0_14default_configENS1_25partition_config_selectorILNS1_17partition_subalgoE1EyNS0_10empty_typeEbEEZZNS1_14partition_implILS5_1ELb0ES3_jN6thrust23THRUST_200600_302600_NS6detail15normal_iteratorINSA_10device_ptrIyEEEEPS6_NSA_18transform_iteratorI7is_evenIyESF_NSA_11use_defaultESK_EENS0_5tupleIJNSA_16discard_iteratorISK_EESO_EEENSM_IJSG_SG_EEES6_PlJS6_EEE10hipError_tPvRmT3_T4_T5_T6_T7_T9_mT8_P12ihipStream_tbDpT10_ENKUlT_T0_E_clISt17integral_constantIbLb1EES1B_EEDaS16_S17_EUlS16_E_NS1_11comp_targetILNS1_3genE0ELNS1_11target_archE4294967295ELNS1_3gpuE0ELNS1_3repE0EEENS1_30default_config_static_selectorELNS0_4arch9wavefront6targetE1EEEvT1_
		.amdhsa_group_segment_fixed_size 0
		.amdhsa_private_segment_fixed_size 0
		.amdhsa_kernarg_size 160
		.amdhsa_user_sgpr_count 6
		.amdhsa_user_sgpr_private_segment_buffer 1
		.amdhsa_user_sgpr_dispatch_ptr 0
		.amdhsa_user_sgpr_queue_ptr 0
		.amdhsa_user_sgpr_kernarg_segment_ptr 1
		.amdhsa_user_sgpr_dispatch_id 0
		.amdhsa_user_sgpr_flat_scratch_init 0
		.amdhsa_user_sgpr_kernarg_preload_length 0
		.amdhsa_user_sgpr_kernarg_preload_offset 0
		.amdhsa_user_sgpr_private_segment_size 0
		.amdhsa_uses_dynamic_stack 0
		.amdhsa_system_sgpr_private_segment_wavefront_offset 0
		.amdhsa_system_sgpr_workgroup_id_x 1
		.amdhsa_system_sgpr_workgroup_id_y 0
		.amdhsa_system_sgpr_workgroup_id_z 0
		.amdhsa_system_sgpr_workgroup_info 0
		.amdhsa_system_vgpr_workitem_id 0
		.amdhsa_next_free_vgpr 1
		.amdhsa_next_free_sgpr 0
		.amdhsa_accum_offset 4
		.amdhsa_reserve_vcc 0
		.amdhsa_reserve_flat_scratch 0
		.amdhsa_float_round_mode_32 0
		.amdhsa_float_round_mode_16_64 0
		.amdhsa_float_denorm_mode_32 3
		.amdhsa_float_denorm_mode_16_64 3
		.amdhsa_dx10_clamp 1
		.amdhsa_ieee_mode 1
		.amdhsa_fp16_overflow 0
		.amdhsa_tg_split 0
		.amdhsa_exception_fp_ieee_invalid_op 0
		.amdhsa_exception_fp_denorm_src 0
		.amdhsa_exception_fp_ieee_div_zero 0
		.amdhsa_exception_fp_ieee_overflow 0
		.amdhsa_exception_fp_ieee_underflow 0
		.amdhsa_exception_fp_ieee_inexact 0
		.amdhsa_exception_int_div_zero 0
	.end_amdhsa_kernel
	.section	.text._ZN7rocprim17ROCPRIM_400000_NS6detail17trampoline_kernelINS0_14default_configENS1_25partition_config_selectorILNS1_17partition_subalgoE1EyNS0_10empty_typeEbEEZZNS1_14partition_implILS5_1ELb0ES3_jN6thrust23THRUST_200600_302600_NS6detail15normal_iteratorINSA_10device_ptrIyEEEEPS6_NSA_18transform_iteratorI7is_evenIyESF_NSA_11use_defaultESK_EENS0_5tupleIJNSA_16discard_iteratorISK_EESO_EEENSM_IJSG_SG_EEES6_PlJS6_EEE10hipError_tPvRmT3_T4_T5_T6_T7_T9_mT8_P12ihipStream_tbDpT10_ENKUlT_T0_E_clISt17integral_constantIbLb1EES1B_EEDaS16_S17_EUlS16_E_NS1_11comp_targetILNS1_3genE0ELNS1_11target_archE4294967295ELNS1_3gpuE0ELNS1_3repE0EEENS1_30default_config_static_selectorELNS0_4arch9wavefront6targetE1EEEvT1_,"axG",@progbits,_ZN7rocprim17ROCPRIM_400000_NS6detail17trampoline_kernelINS0_14default_configENS1_25partition_config_selectorILNS1_17partition_subalgoE1EyNS0_10empty_typeEbEEZZNS1_14partition_implILS5_1ELb0ES3_jN6thrust23THRUST_200600_302600_NS6detail15normal_iteratorINSA_10device_ptrIyEEEEPS6_NSA_18transform_iteratorI7is_evenIyESF_NSA_11use_defaultESK_EENS0_5tupleIJNSA_16discard_iteratorISK_EESO_EEENSM_IJSG_SG_EEES6_PlJS6_EEE10hipError_tPvRmT3_T4_T5_T6_T7_T9_mT8_P12ihipStream_tbDpT10_ENKUlT_T0_E_clISt17integral_constantIbLb1EES1B_EEDaS16_S17_EUlS16_E_NS1_11comp_targetILNS1_3genE0ELNS1_11target_archE4294967295ELNS1_3gpuE0ELNS1_3repE0EEENS1_30default_config_static_selectorELNS0_4arch9wavefront6targetE1EEEvT1_,comdat
.Lfunc_end2883:
	.size	_ZN7rocprim17ROCPRIM_400000_NS6detail17trampoline_kernelINS0_14default_configENS1_25partition_config_selectorILNS1_17partition_subalgoE1EyNS0_10empty_typeEbEEZZNS1_14partition_implILS5_1ELb0ES3_jN6thrust23THRUST_200600_302600_NS6detail15normal_iteratorINSA_10device_ptrIyEEEEPS6_NSA_18transform_iteratorI7is_evenIyESF_NSA_11use_defaultESK_EENS0_5tupleIJNSA_16discard_iteratorISK_EESO_EEENSM_IJSG_SG_EEES6_PlJS6_EEE10hipError_tPvRmT3_T4_T5_T6_T7_T9_mT8_P12ihipStream_tbDpT10_ENKUlT_T0_E_clISt17integral_constantIbLb1EES1B_EEDaS16_S17_EUlS16_E_NS1_11comp_targetILNS1_3genE0ELNS1_11target_archE4294967295ELNS1_3gpuE0ELNS1_3repE0EEENS1_30default_config_static_selectorELNS0_4arch9wavefront6targetE1EEEvT1_, .Lfunc_end2883-_ZN7rocprim17ROCPRIM_400000_NS6detail17trampoline_kernelINS0_14default_configENS1_25partition_config_selectorILNS1_17partition_subalgoE1EyNS0_10empty_typeEbEEZZNS1_14partition_implILS5_1ELb0ES3_jN6thrust23THRUST_200600_302600_NS6detail15normal_iteratorINSA_10device_ptrIyEEEEPS6_NSA_18transform_iteratorI7is_evenIyESF_NSA_11use_defaultESK_EENS0_5tupleIJNSA_16discard_iteratorISK_EESO_EEENSM_IJSG_SG_EEES6_PlJS6_EEE10hipError_tPvRmT3_T4_T5_T6_T7_T9_mT8_P12ihipStream_tbDpT10_ENKUlT_T0_E_clISt17integral_constantIbLb1EES1B_EEDaS16_S17_EUlS16_E_NS1_11comp_targetILNS1_3genE0ELNS1_11target_archE4294967295ELNS1_3gpuE0ELNS1_3repE0EEENS1_30default_config_static_selectorELNS0_4arch9wavefront6targetE1EEEvT1_
                                        ; -- End function
	.section	.AMDGPU.csdata,"",@progbits
; Kernel info:
; codeLenInByte = 0
; NumSgprs: 4
; NumVgprs: 0
; NumAgprs: 0
; TotalNumVgprs: 0
; ScratchSize: 0
; MemoryBound: 0
; FloatMode: 240
; IeeeMode: 1
; LDSByteSize: 0 bytes/workgroup (compile time only)
; SGPRBlocks: 0
; VGPRBlocks: 0
; NumSGPRsForWavesPerEU: 4
; NumVGPRsForWavesPerEU: 1
; AccumOffset: 4
; Occupancy: 8
; WaveLimiterHint : 0
; COMPUTE_PGM_RSRC2:SCRATCH_EN: 0
; COMPUTE_PGM_RSRC2:USER_SGPR: 6
; COMPUTE_PGM_RSRC2:TRAP_HANDLER: 0
; COMPUTE_PGM_RSRC2:TGID_X_EN: 1
; COMPUTE_PGM_RSRC2:TGID_Y_EN: 0
; COMPUTE_PGM_RSRC2:TGID_Z_EN: 0
; COMPUTE_PGM_RSRC2:TIDIG_COMP_CNT: 0
; COMPUTE_PGM_RSRC3_GFX90A:ACCUM_OFFSET: 0
; COMPUTE_PGM_RSRC3_GFX90A:TG_SPLIT: 0
	.section	.text._ZN7rocprim17ROCPRIM_400000_NS6detail17trampoline_kernelINS0_14default_configENS1_25partition_config_selectorILNS1_17partition_subalgoE1EyNS0_10empty_typeEbEEZZNS1_14partition_implILS5_1ELb0ES3_jN6thrust23THRUST_200600_302600_NS6detail15normal_iteratorINSA_10device_ptrIyEEEEPS6_NSA_18transform_iteratorI7is_evenIyESF_NSA_11use_defaultESK_EENS0_5tupleIJNSA_16discard_iteratorISK_EESO_EEENSM_IJSG_SG_EEES6_PlJS6_EEE10hipError_tPvRmT3_T4_T5_T6_T7_T9_mT8_P12ihipStream_tbDpT10_ENKUlT_T0_E_clISt17integral_constantIbLb1EES1B_EEDaS16_S17_EUlS16_E_NS1_11comp_targetILNS1_3genE5ELNS1_11target_archE942ELNS1_3gpuE9ELNS1_3repE0EEENS1_30default_config_static_selectorELNS0_4arch9wavefront6targetE1EEEvT1_,"axG",@progbits,_ZN7rocprim17ROCPRIM_400000_NS6detail17trampoline_kernelINS0_14default_configENS1_25partition_config_selectorILNS1_17partition_subalgoE1EyNS0_10empty_typeEbEEZZNS1_14partition_implILS5_1ELb0ES3_jN6thrust23THRUST_200600_302600_NS6detail15normal_iteratorINSA_10device_ptrIyEEEEPS6_NSA_18transform_iteratorI7is_evenIyESF_NSA_11use_defaultESK_EENS0_5tupleIJNSA_16discard_iteratorISK_EESO_EEENSM_IJSG_SG_EEES6_PlJS6_EEE10hipError_tPvRmT3_T4_T5_T6_T7_T9_mT8_P12ihipStream_tbDpT10_ENKUlT_T0_E_clISt17integral_constantIbLb1EES1B_EEDaS16_S17_EUlS16_E_NS1_11comp_targetILNS1_3genE5ELNS1_11target_archE942ELNS1_3gpuE9ELNS1_3repE0EEENS1_30default_config_static_selectorELNS0_4arch9wavefront6targetE1EEEvT1_,comdat
	.protected	_ZN7rocprim17ROCPRIM_400000_NS6detail17trampoline_kernelINS0_14default_configENS1_25partition_config_selectorILNS1_17partition_subalgoE1EyNS0_10empty_typeEbEEZZNS1_14partition_implILS5_1ELb0ES3_jN6thrust23THRUST_200600_302600_NS6detail15normal_iteratorINSA_10device_ptrIyEEEEPS6_NSA_18transform_iteratorI7is_evenIyESF_NSA_11use_defaultESK_EENS0_5tupleIJNSA_16discard_iteratorISK_EESO_EEENSM_IJSG_SG_EEES6_PlJS6_EEE10hipError_tPvRmT3_T4_T5_T6_T7_T9_mT8_P12ihipStream_tbDpT10_ENKUlT_T0_E_clISt17integral_constantIbLb1EES1B_EEDaS16_S17_EUlS16_E_NS1_11comp_targetILNS1_3genE5ELNS1_11target_archE942ELNS1_3gpuE9ELNS1_3repE0EEENS1_30default_config_static_selectorELNS0_4arch9wavefront6targetE1EEEvT1_ ; -- Begin function _ZN7rocprim17ROCPRIM_400000_NS6detail17trampoline_kernelINS0_14default_configENS1_25partition_config_selectorILNS1_17partition_subalgoE1EyNS0_10empty_typeEbEEZZNS1_14partition_implILS5_1ELb0ES3_jN6thrust23THRUST_200600_302600_NS6detail15normal_iteratorINSA_10device_ptrIyEEEEPS6_NSA_18transform_iteratorI7is_evenIyESF_NSA_11use_defaultESK_EENS0_5tupleIJNSA_16discard_iteratorISK_EESO_EEENSM_IJSG_SG_EEES6_PlJS6_EEE10hipError_tPvRmT3_T4_T5_T6_T7_T9_mT8_P12ihipStream_tbDpT10_ENKUlT_T0_E_clISt17integral_constantIbLb1EES1B_EEDaS16_S17_EUlS16_E_NS1_11comp_targetILNS1_3genE5ELNS1_11target_archE942ELNS1_3gpuE9ELNS1_3repE0EEENS1_30default_config_static_selectorELNS0_4arch9wavefront6targetE1EEEvT1_
	.globl	_ZN7rocprim17ROCPRIM_400000_NS6detail17trampoline_kernelINS0_14default_configENS1_25partition_config_selectorILNS1_17partition_subalgoE1EyNS0_10empty_typeEbEEZZNS1_14partition_implILS5_1ELb0ES3_jN6thrust23THRUST_200600_302600_NS6detail15normal_iteratorINSA_10device_ptrIyEEEEPS6_NSA_18transform_iteratorI7is_evenIyESF_NSA_11use_defaultESK_EENS0_5tupleIJNSA_16discard_iteratorISK_EESO_EEENSM_IJSG_SG_EEES6_PlJS6_EEE10hipError_tPvRmT3_T4_T5_T6_T7_T9_mT8_P12ihipStream_tbDpT10_ENKUlT_T0_E_clISt17integral_constantIbLb1EES1B_EEDaS16_S17_EUlS16_E_NS1_11comp_targetILNS1_3genE5ELNS1_11target_archE942ELNS1_3gpuE9ELNS1_3repE0EEENS1_30default_config_static_selectorELNS0_4arch9wavefront6targetE1EEEvT1_
	.p2align	8
	.type	_ZN7rocprim17ROCPRIM_400000_NS6detail17trampoline_kernelINS0_14default_configENS1_25partition_config_selectorILNS1_17partition_subalgoE1EyNS0_10empty_typeEbEEZZNS1_14partition_implILS5_1ELb0ES3_jN6thrust23THRUST_200600_302600_NS6detail15normal_iteratorINSA_10device_ptrIyEEEEPS6_NSA_18transform_iteratorI7is_evenIyESF_NSA_11use_defaultESK_EENS0_5tupleIJNSA_16discard_iteratorISK_EESO_EEENSM_IJSG_SG_EEES6_PlJS6_EEE10hipError_tPvRmT3_T4_T5_T6_T7_T9_mT8_P12ihipStream_tbDpT10_ENKUlT_T0_E_clISt17integral_constantIbLb1EES1B_EEDaS16_S17_EUlS16_E_NS1_11comp_targetILNS1_3genE5ELNS1_11target_archE942ELNS1_3gpuE9ELNS1_3repE0EEENS1_30default_config_static_selectorELNS0_4arch9wavefront6targetE1EEEvT1_,@function
_ZN7rocprim17ROCPRIM_400000_NS6detail17trampoline_kernelINS0_14default_configENS1_25partition_config_selectorILNS1_17partition_subalgoE1EyNS0_10empty_typeEbEEZZNS1_14partition_implILS5_1ELb0ES3_jN6thrust23THRUST_200600_302600_NS6detail15normal_iteratorINSA_10device_ptrIyEEEEPS6_NSA_18transform_iteratorI7is_evenIyESF_NSA_11use_defaultESK_EENS0_5tupleIJNSA_16discard_iteratorISK_EESO_EEENSM_IJSG_SG_EEES6_PlJS6_EEE10hipError_tPvRmT3_T4_T5_T6_T7_T9_mT8_P12ihipStream_tbDpT10_ENKUlT_T0_E_clISt17integral_constantIbLb1EES1B_EEDaS16_S17_EUlS16_E_NS1_11comp_targetILNS1_3genE5ELNS1_11target_archE942ELNS1_3gpuE9ELNS1_3repE0EEENS1_30default_config_static_selectorELNS0_4arch9wavefront6targetE1EEEvT1_: ; @_ZN7rocprim17ROCPRIM_400000_NS6detail17trampoline_kernelINS0_14default_configENS1_25partition_config_selectorILNS1_17partition_subalgoE1EyNS0_10empty_typeEbEEZZNS1_14partition_implILS5_1ELb0ES3_jN6thrust23THRUST_200600_302600_NS6detail15normal_iteratorINSA_10device_ptrIyEEEEPS6_NSA_18transform_iteratorI7is_evenIyESF_NSA_11use_defaultESK_EENS0_5tupleIJNSA_16discard_iteratorISK_EESO_EEENSM_IJSG_SG_EEES6_PlJS6_EEE10hipError_tPvRmT3_T4_T5_T6_T7_T9_mT8_P12ihipStream_tbDpT10_ENKUlT_T0_E_clISt17integral_constantIbLb1EES1B_EEDaS16_S17_EUlS16_E_NS1_11comp_targetILNS1_3genE5ELNS1_11target_archE942ELNS1_3gpuE9ELNS1_3repE0EEENS1_30default_config_static_selectorELNS0_4arch9wavefront6targetE1EEEvT1_
; %bb.0:
	.section	.rodata,"a",@progbits
	.p2align	6, 0x0
	.amdhsa_kernel _ZN7rocprim17ROCPRIM_400000_NS6detail17trampoline_kernelINS0_14default_configENS1_25partition_config_selectorILNS1_17partition_subalgoE1EyNS0_10empty_typeEbEEZZNS1_14partition_implILS5_1ELb0ES3_jN6thrust23THRUST_200600_302600_NS6detail15normal_iteratorINSA_10device_ptrIyEEEEPS6_NSA_18transform_iteratorI7is_evenIyESF_NSA_11use_defaultESK_EENS0_5tupleIJNSA_16discard_iteratorISK_EESO_EEENSM_IJSG_SG_EEES6_PlJS6_EEE10hipError_tPvRmT3_T4_T5_T6_T7_T9_mT8_P12ihipStream_tbDpT10_ENKUlT_T0_E_clISt17integral_constantIbLb1EES1B_EEDaS16_S17_EUlS16_E_NS1_11comp_targetILNS1_3genE5ELNS1_11target_archE942ELNS1_3gpuE9ELNS1_3repE0EEENS1_30default_config_static_selectorELNS0_4arch9wavefront6targetE1EEEvT1_
		.amdhsa_group_segment_fixed_size 0
		.amdhsa_private_segment_fixed_size 0
		.amdhsa_kernarg_size 160
		.amdhsa_user_sgpr_count 6
		.amdhsa_user_sgpr_private_segment_buffer 1
		.amdhsa_user_sgpr_dispatch_ptr 0
		.amdhsa_user_sgpr_queue_ptr 0
		.amdhsa_user_sgpr_kernarg_segment_ptr 1
		.amdhsa_user_sgpr_dispatch_id 0
		.amdhsa_user_sgpr_flat_scratch_init 0
		.amdhsa_user_sgpr_kernarg_preload_length 0
		.amdhsa_user_sgpr_kernarg_preload_offset 0
		.amdhsa_user_sgpr_private_segment_size 0
		.amdhsa_uses_dynamic_stack 0
		.amdhsa_system_sgpr_private_segment_wavefront_offset 0
		.amdhsa_system_sgpr_workgroup_id_x 1
		.amdhsa_system_sgpr_workgroup_id_y 0
		.amdhsa_system_sgpr_workgroup_id_z 0
		.amdhsa_system_sgpr_workgroup_info 0
		.amdhsa_system_vgpr_workitem_id 0
		.amdhsa_next_free_vgpr 1
		.amdhsa_next_free_sgpr 0
		.amdhsa_accum_offset 4
		.amdhsa_reserve_vcc 0
		.amdhsa_reserve_flat_scratch 0
		.amdhsa_float_round_mode_32 0
		.amdhsa_float_round_mode_16_64 0
		.amdhsa_float_denorm_mode_32 3
		.amdhsa_float_denorm_mode_16_64 3
		.amdhsa_dx10_clamp 1
		.amdhsa_ieee_mode 1
		.amdhsa_fp16_overflow 0
		.amdhsa_tg_split 0
		.amdhsa_exception_fp_ieee_invalid_op 0
		.amdhsa_exception_fp_denorm_src 0
		.amdhsa_exception_fp_ieee_div_zero 0
		.amdhsa_exception_fp_ieee_overflow 0
		.amdhsa_exception_fp_ieee_underflow 0
		.amdhsa_exception_fp_ieee_inexact 0
		.amdhsa_exception_int_div_zero 0
	.end_amdhsa_kernel
	.section	.text._ZN7rocprim17ROCPRIM_400000_NS6detail17trampoline_kernelINS0_14default_configENS1_25partition_config_selectorILNS1_17partition_subalgoE1EyNS0_10empty_typeEbEEZZNS1_14partition_implILS5_1ELb0ES3_jN6thrust23THRUST_200600_302600_NS6detail15normal_iteratorINSA_10device_ptrIyEEEEPS6_NSA_18transform_iteratorI7is_evenIyESF_NSA_11use_defaultESK_EENS0_5tupleIJNSA_16discard_iteratorISK_EESO_EEENSM_IJSG_SG_EEES6_PlJS6_EEE10hipError_tPvRmT3_T4_T5_T6_T7_T9_mT8_P12ihipStream_tbDpT10_ENKUlT_T0_E_clISt17integral_constantIbLb1EES1B_EEDaS16_S17_EUlS16_E_NS1_11comp_targetILNS1_3genE5ELNS1_11target_archE942ELNS1_3gpuE9ELNS1_3repE0EEENS1_30default_config_static_selectorELNS0_4arch9wavefront6targetE1EEEvT1_,"axG",@progbits,_ZN7rocprim17ROCPRIM_400000_NS6detail17trampoline_kernelINS0_14default_configENS1_25partition_config_selectorILNS1_17partition_subalgoE1EyNS0_10empty_typeEbEEZZNS1_14partition_implILS5_1ELb0ES3_jN6thrust23THRUST_200600_302600_NS6detail15normal_iteratorINSA_10device_ptrIyEEEEPS6_NSA_18transform_iteratorI7is_evenIyESF_NSA_11use_defaultESK_EENS0_5tupleIJNSA_16discard_iteratorISK_EESO_EEENSM_IJSG_SG_EEES6_PlJS6_EEE10hipError_tPvRmT3_T4_T5_T6_T7_T9_mT8_P12ihipStream_tbDpT10_ENKUlT_T0_E_clISt17integral_constantIbLb1EES1B_EEDaS16_S17_EUlS16_E_NS1_11comp_targetILNS1_3genE5ELNS1_11target_archE942ELNS1_3gpuE9ELNS1_3repE0EEENS1_30default_config_static_selectorELNS0_4arch9wavefront6targetE1EEEvT1_,comdat
.Lfunc_end2884:
	.size	_ZN7rocprim17ROCPRIM_400000_NS6detail17trampoline_kernelINS0_14default_configENS1_25partition_config_selectorILNS1_17partition_subalgoE1EyNS0_10empty_typeEbEEZZNS1_14partition_implILS5_1ELb0ES3_jN6thrust23THRUST_200600_302600_NS6detail15normal_iteratorINSA_10device_ptrIyEEEEPS6_NSA_18transform_iteratorI7is_evenIyESF_NSA_11use_defaultESK_EENS0_5tupleIJNSA_16discard_iteratorISK_EESO_EEENSM_IJSG_SG_EEES6_PlJS6_EEE10hipError_tPvRmT3_T4_T5_T6_T7_T9_mT8_P12ihipStream_tbDpT10_ENKUlT_T0_E_clISt17integral_constantIbLb1EES1B_EEDaS16_S17_EUlS16_E_NS1_11comp_targetILNS1_3genE5ELNS1_11target_archE942ELNS1_3gpuE9ELNS1_3repE0EEENS1_30default_config_static_selectorELNS0_4arch9wavefront6targetE1EEEvT1_, .Lfunc_end2884-_ZN7rocprim17ROCPRIM_400000_NS6detail17trampoline_kernelINS0_14default_configENS1_25partition_config_selectorILNS1_17partition_subalgoE1EyNS0_10empty_typeEbEEZZNS1_14partition_implILS5_1ELb0ES3_jN6thrust23THRUST_200600_302600_NS6detail15normal_iteratorINSA_10device_ptrIyEEEEPS6_NSA_18transform_iteratorI7is_evenIyESF_NSA_11use_defaultESK_EENS0_5tupleIJNSA_16discard_iteratorISK_EESO_EEENSM_IJSG_SG_EEES6_PlJS6_EEE10hipError_tPvRmT3_T4_T5_T6_T7_T9_mT8_P12ihipStream_tbDpT10_ENKUlT_T0_E_clISt17integral_constantIbLb1EES1B_EEDaS16_S17_EUlS16_E_NS1_11comp_targetILNS1_3genE5ELNS1_11target_archE942ELNS1_3gpuE9ELNS1_3repE0EEENS1_30default_config_static_selectorELNS0_4arch9wavefront6targetE1EEEvT1_
                                        ; -- End function
	.section	.AMDGPU.csdata,"",@progbits
; Kernel info:
; codeLenInByte = 0
; NumSgprs: 4
; NumVgprs: 0
; NumAgprs: 0
; TotalNumVgprs: 0
; ScratchSize: 0
; MemoryBound: 0
; FloatMode: 240
; IeeeMode: 1
; LDSByteSize: 0 bytes/workgroup (compile time only)
; SGPRBlocks: 0
; VGPRBlocks: 0
; NumSGPRsForWavesPerEU: 4
; NumVGPRsForWavesPerEU: 1
; AccumOffset: 4
; Occupancy: 8
; WaveLimiterHint : 0
; COMPUTE_PGM_RSRC2:SCRATCH_EN: 0
; COMPUTE_PGM_RSRC2:USER_SGPR: 6
; COMPUTE_PGM_RSRC2:TRAP_HANDLER: 0
; COMPUTE_PGM_RSRC2:TGID_X_EN: 1
; COMPUTE_PGM_RSRC2:TGID_Y_EN: 0
; COMPUTE_PGM_RSRC2:TGID_Z_EN: 0
; COMPUTE_PGM_RSRC2:TIDIG_COMP_CNT: 0
; COMPUTE_PGM_RSRC3_GFX90A:ACCUM_OFFSET: 0
; COMPUTE_PGM_RSRC3_GFX90A:TG_SPLIT: 0
	.section	.text._ZN7rocprim17ROCPRIM_400000_NS6detail17trampoline_kernelINS0_14default_configENS1_25partition_config_selectorILNS1_17partition_subalgoE1EyNS0_10empty_typeEbEEZZNS1_14partition_implILS5_1ELb0ES3_jN6thrust23THRUST_200600_302600_NS6detail15normal_iteratorINSA_10device_ptrIyEEEEPS6_NSA_18transform_iteratorI7is_evenIyESF_NSA_11use_defaultESK_EENS0_5tupleIJNSA_16discard_iteratorISK_EESO_EEENSM_IJSG_SG_EEES6_PlJS6_EEE10hipError_tPvRmT3_T4_T5_T6_T7_T9_mT8_P12ihipStream_tbDpT10_ENKUlT_T0_E_clISt17integral_constantIbLb1EES1B_EEDaS16_S17_EUlS16_E_NS1_11comp_targetILNS1_3genE4ELNS1_11target_archE910ELNS1_3gpuE8ELNS1_3repE0EEENS1_30default_config_static_selectorELNS0_4arch9wavefront6targetE1EEEvT1_,"axG",@progbits,_ZN7rocprim17ROCPRIM_400000_NS6detail17trampoline_kernelINS0_14default_configENS1_25partition_config_selectorILNS1_17partition_subalgoE1EyNS0_10empty_typeEbEEZZNS1_14partition_implILS5_1ELb0ES3_jN6thrust23THRUST_200600_302600_NS6detail15normal_iteratorINSA_10device_ptrIyEEEEPS6_NSA_18transform_iteratorI7is_evenIyESF_NSA_11use_defaultESK_EENS0_5tupleIJNSA_16discard_iteratorISK_EESO_EEENSM_IJSG_SG_EEES6_PlJS6_EEE10hipError_tPvRmT3_T4_T5_T6_T7_T9_mT8_P12ihipStream_tbDpT10_ENKUlT_T0_E_clISt17integral_constantIbLb1EES1B_EEDaS16_S17_EUlS16_E_NS1_11comp_targetILNS1_3genE4ELNS1_11target_archE910ELNS1_3gpuE8ELNS1_3repE0EEENS1_30default_config_static_selectorELNS0_4arch9wavefront6targetE1EEEvT1_,comdat
	.protected	_ZN7rocprim17ROCPRIM_400000_NS6detail17trampoline_kernelINS0_14default_configENS1_25partition_config_selectorILNS1_17partition_subalgoE1EyNS0_10empty_typeEbEEZZNS1_14partition_implILS5_1ELb0ES3_jN6thrust23THRUST_200600_302600_NS6detail15normal_iteratorINSA_10device_ptrIyEEEEPS6_NSA_18transform_iteratorI7is_evenIyESF_NSA_11use_defaultESK_EENS0_5tupleIJNSA_16discard_iteratorISK_EESO_EEENSM_IJSG_SG_EEES6_PlJS6_EEE10hipError_tPvRmT3_T4_T5_T6_T7_T9_mT8_P12ihipStream_tbDpT10_ENKUlT_T0_E_clISt17integral_constantIbLb1EES1B_EEDaS16_S17_EUlS16_E_NS1_11comp_targetILNS1_3genE4ELNS1_11target_archE910ELNS1_3gpuE8ELNS1_3repE0EEENS1_30default_config_static_selectorELNS0_4arch9wavefront6targetE1EEEvT1_ ; -- Begin function _ZN7rocprim17ROCPRIM_400000_NS6detail17trampoline_kernelINS0_14default_configENS1_25partition_config_selectorILNS1_17partition_subalgoE1EyNS0_10empty_typeEbEEZZNS1_14partition_implILS5_1ELb0ES3_jN6thrust23THRUST_200600_302600_NS6detail15normal_iteratorINSA_10device_ptrIyEEEEPS6_NSA_18transform_iteratorI7is_evenIyESF_NSA_11use_defaultESK_EENS0_5tupleIJNSA_16discard_iteratorISK_EESO_EEENSM_IJSG_SG_EEES6_PlJS6_EEE10hipError_tPvRmT3_T4_T5_T6_T7_T9_mT8_P12ihipStream_tbDpT10_ENKUlT_T0_E_clISt17integral_constantIbLb1EES1B_EEDaS16_S17_EUlS16_E_NS1_11comp_targetILNS1_3genE4ELNS1_11target_archE910ELNS1_3gpuE8ELNS1_3repE0EEENS1_30default_config_static_selectorELNS0_4arch9wavefront6targetE1EEEvT1_
	.globl	_ZN7rocprim17ROCPRIM_400000_NS6detail17trampoline_kernelINS0_14default_configENS1_25partition_config_selectorILNS1_17partition_subalgoE1EyNS0_10empty_typeEbEEZZNS1_14partition_implILS5_1ELb0ES3_jN6thrust23THRUST_200600_302600_NS6detail15normal_iteratorINSA_10device_ptrIyEEEEPS6_NSA_18transform_iteratorI7is_evenIyESF_NSA_11use_defaultESK_EENS0_5tupleIJNSA_16discard_iteratorISK_EESO_EEENSM_IJSG_SG_EEES6_PlJS6_EEE10hipError_tPvRmT3_T4_T5_T6_T7_T9_mT8_P12ihipStream_tbDpT10_ENKUlT_T0_E_clISt17integral_constantIbLb1EES1B_EEDaS16_S17_EUlS16_E_NS1_11comp_targetILNS1_3genE4ELNS1_11target_archE910ELNS1_3gpuE8ELNS1_3repE0EEENS1_30default_config_static_selectorELNS0_4arch9wavefront6targetE1EEEvT1_
	.p2align	8
	.type	_ZN7rocprim17ROCPRIM_400000_NS6detail17trampoline_kernelINS0_14default_configENS1_25partition_config_selectorILNS1_17partition_subalgoE1EyNS0_10empty_typeEbEEZZNS1_14partition_implILS5_1ELb0ES3_jN6thrust23THRUST_200600_302600_NS6detail15normal_iteratorINSA_10device_ptrIyEEEEPS6_NSA_18transform_iteratorI7is_evenIyESF_NSA_11use_defaultESK_EENS0_5tupleIJNSA_16discard_iteratorISK_EESO_EEENSM_IJSG_SG_EEES6_PlJS6_EEE10hipError_tPvRmT3_T4_T5_T6_T7_T9_mT8_P12ihipStream_tbDpT10_ENKUlT_T0_E_clISt17integral_constantIbLb1EES1B_EEDaS16_S17_EUlS16_E_NS1_11comp_targetILNS1_3genE4ELNS1_11target_archE910ELNS1_3gpuE8ELNS1_3repE0EEENS1_30default_config_static_selectorELNS0_4arch9wavefront6targetE1EEEvT1_,@function
_ZN7rocprim17ROCPRIM_400000_NS6detail17trampoline_kernelINS0_14default_configENS1_25partition_config_selectorILNS1_17partition_subalgoE1EyNS0_10empty_typeEbEEZZNS1_14partition_implILS5_1ELb0ES3_jN6thrust23THRUST_200600_302600_NS6detail15normal_iteratorINSA_10device_ptrIyEEEEPS6_NSA_18transform_iteratorI7is_evenIyESF_NSA_11use_defaultESK_EENS0_5tupleIJNSA_16discard_iteratorISK_EESO_EEENSM_IJSG_SG_EEES6_PlJS6_EEE10hipError_tPvRmT3_T4_T5_T6_T7_T9_mT8_P12ihipStream_tbDpT10_ENKUlT_T0_E_clISt17integral_constantIbLb1EES1B_EEDaS16_S17_EUlS16_E_NS1_11comp_targetILNS1_3genE4ELNS1_11target_archE910ELNS1_3gpuE8ELNS1_3repE0EEENS1_30default_config_static_selectorELNS0_4arch9wavefront6targetE1EEEvT1_: ; @_ZN7rocprim17ROCPRIM_400000_NS6detail17trampoline_kernelINS0_14default_configENS1_25partition_config_selectorILNS1_17partition_subalgoE1EyNS0_10empty_typeEbEEZZNS1_14partition_implILS5_1ELb0ES3_jN6thrust23THRUST_200600_302600_NS6detail15normal_iteratorINSA_10device_ptrIyEEEEPS6_NSA_18transform_iteratorI7is_evenIyESF_NSA_11use_defaultESK_EENS0_5tupleIJNSA_16discard_iteratorISK_EESO_EEENSM_IJSG_SG_EEES6_PlJS6_EEE10hipError_tPvRmT3_T4_T5_T6_T7_T9_mT8_P12ihipStream_tbDpT10_ENKUlT_T0_E_clISt17integral_constantIbLb1EES1B_EEDaS16_S17_EUlS16_E_NS1_11comp_targetILNS1_3genE4ELNS1_11target_archE910ELNS1_3gpuE8ELNS1_3repE0EEENS1_30default_config_static_selectorELNS0_4arch9wavefront6targetE1EEEvT1_
; %bb.0:
	s_load_dwordx2 s[6:7], s[4:5], 0x20
	s_load_dwordx4 s[20:23], s[4:5], 0x60
	s_load_dwordx2 s[2:3], s[4:5], 0x70
	s_load_dwordx2 s[18:19], s[4:5], 0x80
	v_cmp_eq_u32_e64 s[0:1], 0, v0
	s_and_saveexec_b64 s[8:9], s[0:1]
	s_cbranch_execz .LBB2885_4
; %bb.1:
	s_mov_b64 s[12:13], exec
	v_mbcnt_lo_u32_b32 v1, s12, 0
	v_mbcnt_hi_u32_b32 v1, s13, v1
	v_cmp_eq_u32_e32 vcc, 0, v1
                                        ; implicit-def: $vgpr2
	s_and_saveexec_b64 s[10:11], vcc
	s_cbranch_execz .LBB2885_3
; %bb.2:
	s_load_dwordx2 s[14:15], s[4:5], 0x90
	s_bcnt1_i32_b64 s12, s[12:13]
	v_mov_b32_e32 v2, 0
	v_mov_b32_e32 v3, s12
	s_waitcnt lgkmcnt(0)
	global_atomic_add v2, v2, v3, s[14:15] glc
.LBB2885_3:
	s_or_b64 exec, exec, s[10:11]
	s_waitcnt vmcnt(0)
	v_readfirstlane_b32 s10, v2
	v_add_u32_e32 v1, s10, v1
	v_mov_b32_e32 v2, 0
	ds_write_b32 v2, v1
.LBB2885_4:
	s_or_b64 exec, exec, s[8:9]
	v_mov_b32_e32 v1, 0
	s_load_dwordx4 s[8:11], s[4:5], 0x8
	s_load_dword s12, s[4:5], 0x88
	s_waitcnt lgkmcnt(0)
	s_barrier
	ds_read_b32 v4, v1
	s_waitcnt lgkmcnt(0)
	s_barrier
	global_load_dwordx2 v[10:11], v1, s[22:23]
	s_lshl_b64 s[4:5], s[10:11], 3
	v_mov_b32_e32 v3, s3
	s_add_u32 s13, s8, s4
	s_mul_i32 s3, s12, 0x300
	s_addc_u32 s24, s9, s5
	s_add_i32 s9, s3, s10
	s_sub_i32 s14, s2, s9
	s_add_i32 s8, s12, -1
	s_addk_i32 s14, 0x300
	v_mov_b32_e32 v2, s2
	s_add_u32 s2, s10, s3
	v_readfirstlane_b32 s30, v4
	s_addc_u32 s3, s11, 0
	s_cmp_eq_u32 s30, s8
	s_cselect_b64 s[22:23], -1, 0
	s_cmp_lg_u32 s30, s8
	s_mul_i32 s16, s30, 0x300
	s_mov_b32 s17, 0
	v_cmp_lt_u64_e32 vcc, s[2:3], v[2:3]
	s_cselect_b64 s[2:3], -1, 0
	s_or_b64 s[8:9], vcc, s[2:3]
	s_lshl_b64 s[10:11], s[16:17], 3
	s_add_u32 s15, s13, s10
	s_addc_u32 s16, s24, s11
	s_mov_b64 s[2:3], -1
	s_and_b64 vcc, exec, s[8:9]
	v_lshrrev_b32_e32 v1, 2, v0
	s_cbranch_vccz .LBB2885_6
; %bb.5:
	v_lshlrev_b32_e32 v16, 3, v0
	v_mov_b32_e32 v3, s16
	v_add_co_u32_e32 v2, vcc, s15, v16
	v_addc_co_u32_e32 v3, vcc, 0, v3, vcc
	v_add_co_u32_e32 v4, vcc, 0x1000, v2
	v_addc_co_u32_e32 v5, vcc, 0, v3, vcc
	flat_load_dwordx2 v[6:7], v[2:3]
	flat_load_dwordx2 v[8:9], v[2:3] offset:1536
	flat_load_dwordx2 v[12:13], v[2:3] offset:3072
	;; [unrolled: 1-line block ×3, first 2 shown]
	v_add_u32_e32 v3, 0xc0, v0
	v_add_u32_e32 v4, 0x180, v0
	;; [unrolled: 1-line block ×3, first 2 shown]
	v_and_b32_e32 v2, 56, v1
	v_lshrrev_b32_e32 v3, 2, v3
	v_lshrrev_b32_e32 v4, 2, v4
	v_lshrrev_b32_e32 v5, 2, v5
	v_add_u32_e32 v2, v2, v16
	v_and_b32_e32 v3, 0x78, v3
	v_and_b32_e32 v4, 0xf8, v4
	;; [unrolled: 1-line block ×3, first 2 shown]
	v_add_u32_e32 v3, v3, v16
	v_add_u32_e32 v4, v4, v16
	;; [unrolled: 1-line block ×3, first 2 shown]
	s_mov_b64 s[2:3], 0
	s_waitcnt vmcnt(0) lgkmcnt(0)
	ds_write_b64 v2, v[6:7]
	ds_write_b64 v3, v[8:9] offset:1536
	ds_write_b64 v4, v[12:13] offset:3072
	;; [unrolled: 1-line block ×3, first 2 shown]
	s_waitcnt lgkmcnt(0)
	s_barrier
.LBB2885_6:
	s_andn2_b64 vcc, exec, s[2:3]
	v_cmp_gt_u32_e64 s[2:3], s14, v0
	s_cbranch_vccnz .LBB2885_16
; %bb.7:
                                        ; implicit-def: $vgpr2_vgpr3_vgpr4_vgpr5_vgpr6_vgpr7_vgpr8_vgpr9
	s_and_saveexec_b64 s[12:13], s[2:3]
	s_cbranch_execz .LBB2885_9
; %bb.8:
	v_lshlrev_b32_e32 v2, 3, v0
	v_mov_b32_e32 v3, s16
	v_add_co_u32_e32 v2, vcc, s15, v2
	v_addc_co_u32_e32 v3, vcc, 0, v3, vcc
	flat_load_dwordx2 v[2:3], v[2:3]
.LBB2885_9:
	s_or_b64 exec, exec, s[12:13]
	v_add_u32_e32 v12, 0xc0, v0
	v_cmp_gt_u32_e32 vcc, s14, v12
	s_and_saveexec_b64 s[2:3], vcc
	s_cbranch_execz .LBB2885_11
; %bb.10:
	v_lshlrev_b32_e32 v4, 3, v0
	v_mov_b32_e32 v5, s16
	v_add_co_u32_e32 v4, vcc, s15, v4
	v_addc_co_u32_e32 v5, vcc, 0, v5, vcc
	flat_load_dwordx2 v[4:5], v[4:5] offset:1536
.LBB2885_11:
	s_or_b64 exec, exec, s[2:3]
	v_add_u32_e32 v13, 0x180, v0
	v_cmp_gt_u32_e32 vcc, s14, v13
	s_and_saveexec_b64 s[2:3], vcc
	s_cbranch_execz .LBB2885_13
; %bb.12:
	v_lshlrev_b32_e32 v6, 3, v0
	v_mov_b32_e32 v7, s16
	v_add_co_u32_e32 v6, vcc, s15, v6
	v_addc_co_u32_e32 v7, vcc, 0, v7, vcc
	flat_load_dwordx2 v[6:7], v[6:7] offset:3072
.LBB2885_13:
	s_or_b64 exec, exec, s[2:3]
	v_add_u32_e32 v14, 0x240, v0
	v_cmp_gt_u32_e32 vcc, s14, v14
	s_and_saveexec_b64 s[2:3], vcc
	s_cbranch_execz .LBB2885_15
; %bb.14:
	v_lshlrev_b32_e32 v8, 3, v14
	v_mov_b32_e32 v9, s16
	v_add_co_u32_e32 v8, vcc, s15, v8
	v_addc_co_u32_e32 v9, vcc, 0, v9, vcc
	flat_load_dwordx2 v[8:9], v[8:9]
.LBB2885_15:
	s_or_b64 exec, exec, s[2:3]
	v_and_b32_e32 v1, 56, v1
	v_lshlrev_b32_e32 v15, 3, v0
	v_add_u32_e32 v1, v1, v15
	s_waitcnt vmcnt(0) lgkmcnt(0)
	ds_write_b64 v1, v[2:3]
	v_lshrrev_b32_e32 v1, 2, v12
	v_and_b32_e32 v1, 0x78, v1
	v_add_u32_e32 v1, v1, v15
	ds_write_b64 v1, v[4:5] offset:1536
	v_lshrrev_b32_e32 v1, 2, v13
	v_and_b32_e32 v1, 0xf8, v1
	v_add_u32_e32 v1, v1, v15
	ds_write_b64 v1, v[6:7] offset:3072
	;; [unrolled: 4-line block ×3, first 2 shown]
	s_waitcnt lgkmcnt(0)
	s_barrier
.LBB2885_16:
	v_lshlrev_b32_e32 v1, 2, v0
	v_lshrrev_b32_e32 v12, 3, v0
	v_add_lshl_u32 v2, v12, v1, 3
	ds_read2_b64 v[6:9], v2 offset1:1
	ds_read2_b64 v[2:5], v2 offset0:2 offset1:3
	s_add_u32 s2, s6, s4
	s_addc_u32 s3, s7, s5
	s_add_u32 s2, s2, s10
	s_addc_u32 s3, s3, s11
	s_mov_b64 s[4:5], -1
	s_and_b64 vcc, exec, s[8:9]
	v_lshrrev_b32_e32 v13, 5, v0
	s_waitcnt lgkmcnt(0)
	s_barrier
	s_cbranch_vccz .LBB2885_18
; %bb.17:
	v_lshlrev_b32_e32 v20, 3, v0
	global_load_dwordx2 v[14:15], v20, s[2:3]
	global_load_dwordx2 v[16:17], v20, s[2:3] offset:1536
	global_load_dwordx2 v[18:19], v20, s[2:3] offset:3072
	v_mov_b32_e32 v21, s3
	s_waitcnt vmcnt(2)
	v_add_co_u32_e32 v15, vcc, s2, v20
	s_waitcnt vmcnt(1)
	v_addc_co_u32_e32 v17, vcc, 0, v21, vcc
	v_add_co_u32_e32 v20, vcc, 0x1000, v15
	v_addc_co_u32_e32 v21, vcc, 0, v17, vcc
	global_load_dwordx2 v[20:21], v[20:21], off offset:512
	v_add_u32_e32 v17, 0xc0, v0
	s_waitcnt vmcnt(1)
	v_add_u32_e32 v19, 0x180, v0
	v_and_b32_e32 v15, 4, v13
	s_waitcnt vmcnt(0)
	v_add_u32_e32 v21, 0x240, v0
	v_lshrrev_b32_e32 v17, 5, v17
	v_lshrrev_b32_e32 v19, 5, v19
	v_add_u32_e32 v15, v15, v0
	v_lshrrev_b32_e32 v21, 5, v21
	v_and_b32_e32 v17, 12, v17
	v_and_b32_e32 v19, 28, v19
	;; [unrolled: 1-line block ×3, first 2 shown]
	v_add_u32_e32 v17, v17, v0
	v_add_u32_e32 v19, v19, v0
	;; [unrolled: 1-line block ×3, first 2 shown]
	s_mov_b64 s[4:5], 0
	v_xor_b32_e32 v14, -1, v14
	v_xor_b32_e32 v16, -1, v16
	;; [unrolled: 1-line block ×3, first 2 shown]
	v_and_b32_e32 v14, 1, v14
	v_and_b32_e32 v16, 1, v16
	;; [unrolled: 1-line block ×3, first 2 shown]
	ds_write_b8 v15, v14
	ds_write_b8 v17, v16 offset:192
	ds_write_b8 v19, v18 offset:384
	v_xor_b32_e32 v14, -1, v20
	v_and_b32_e32 v14, 1, v14
	ds_write_b8 v21, v14 offset:576
	s_waitcnt lgkmcnt(0)
	s_barrier
.LBB2885_18:
	s_andn2_b64 vcc, exec, s[4:5]
	s_cbranch_vccnz .LBB2885_28
; %bb.19:
	v_cmp_gt_u32_e32 vcc, s14, v0
	v_mov_b32_e32 v14, 0
	v_mov_b32_e32 v15, 0
	s_and_saveexec_b64 s[4:5], vcc
	s_cbranch_execz .LBB2885_21
; %bb.20:
	v_lshlrev_b32_e32 v15, 3, v0
	global_load_dwordx2 v[16:17], v15, s[2:3]
	s_waitcnt vmcnt(0)
	v_xor_b32_e32 v15, -1, v16
	v_and_b32_e32 v15, 1, v15
.LBB2885_21:
	s_or_b64 exec, exec, s[4:5]
	v_add_u32_e32 v16, 0xc0, v0
	v_cmp_gt_u32_e32 vcc, s14, v16
	s_and_saveexec_b64 s[4:5], vcc
	s_cbranch_execz .LBB2885_23
; %bb.22:
	v_lshlrev_b32_e32 v14, 3, v0
	global_load_dwordx2 v[18:19], v14, s[2:3] offset:1536
	s_waitcnt vmcnt(0)
	v_xor_b32_e32 v14, -1, v18
	v_and_b32_e32 v14, 1, v14
.LBB2885_23:
	s_or_b64 exec, exec, s[4:5]
	v_add_u32_e32 v18, 0x180, v0
	v_cmp_gt_u32_e32 vcc, s14, v18
	v_mov_b32_e32 v17, 0
	v_mov_b32_e32 v19, 0
	s_and_saveexec_b64 s[4:5], vcc
	s_cbranch_execz .LBB2885_25
; %bb.24:
	v_lshlrev_b32_e32 v19, 3, v0
	global_load_dwordx2 v[20:21], v19, s[2:3] offset:3072
	s_waitcnt vmcnt(0)
	v_xor_b32_e32 v19, -1, v20
	v_and_b32_e32 v19, 1, v19
.LBB2885_25:
	s_or_b64 exec, exec, s[4:5]
	v_add_u32_e32 v20, 0x240, v0
	v_cmp_gt_u32_e32 vcc, s14, v20
	s_and_saveexec_b64 s[4:5], vcc
	s_cbranch_execz .LBB2885_27
; %bb.26:
	v_lshlrev_b32_e32 v17, 3, v20
	global_load_dwordx2 v[22:23], v17, s[2:3]
	s_waitcnt vmcnt(0)
	v_xor_b32_e32 v17, -1, v22
	v_and_b32_e32 v17, 1, v17
.LBB2885_27:
	s_or_b64 exec, exec, s[4:5]
	v_and_b32_e32 v13, 4, v13
	v_add_u32_e32 v13, v13, v0
	ds_write_b8 v13, v15
	v_lshrrev_b32_e32 v13, 5, v16
	v_and_b32_e32 v13, 12, v13
	v_add_u32_e32 v13, v13, v0
	ds_write_b8 v13, v14 offset:192
	v_lshrrev_b32_e32 v13, 5, v18
	v_and_b32_e32 v13, 28, v13
	v_add_u32_e32 v13, v13, v0
	ds_write_b8 v13, v19 offset:384
	;; [unrolled: 4-line block ×3, first 2 shown]
	s_waitcnt lgkmcnt(0)
	s_barrier
.LBB2885_28:
	v_and_b32_e32 v12, 28, v12
	v_add_u32_e32 v12, v12, v1
	ds_read_b32 v23, v12
	s_cmp_lg_u32 s30, 0
	v_lshrrev_b32_e32 v26, 6, v0
	s_waitcnt lgkmcnt(0)
	s_barrier
	v_lshrrev_b32_e32 v22, 24, v23
	v_bfe_u32 v24, v23, 16, 8
	v_add_u32_sdwa v12, v23, v23 dst_sel:DWORD dst_unused:UNUSED_PAD src0_sel:BYTE_1 src1_sel:BYTE_0
	v_add3_u32 v27, v12, v24, v22
	v_mbcnt_lo_u32_b32 v12, -1, 0
	v_mbcnt_hi_u32_b32 v25, -1, v12
	v_and_b32_e32 v12, 15, v25
	v_cmp_eq_u32_e64 s[14:15], 0, v12
	v_cmp_lt_u32_e64 s[12:13], 1, v12
	v_cmp_lt_u32_e64 s[10:11], 3, v12
	;; [unrolled: 1-line block ×3, first 2 shown]
	v_and_b32_e32 v12, 16, v25
	v_cmp_eq_u32_e64 s[4:5], 0, v12
	v_and_b32_e32 v12, 0xc0, v0
	v_min_u32_e32 v12, 0x80, v12
	v_or_b32_e32 v12, 63, v12
	v_cmp_lt_u32_e64 s[2:3], 31, v25
	v_cmp_eq_u32_e64 s[6:7], v12, v0
	s_cbranch_scc0 .LBB2885_59
; %bb.29:
	v_mov_b32_dpp v12, v27 row_shr:1 row_mask:0xf bank_mask:0xf
	v_cndmask_b32_e64 v12, v12, 0, s[14:15]
	v_add_u32_e32 v12, v12, v27
	s_nop 1
	v_mov_b32_dpp v13, v12 row_shr:2 row_mask:0xf bank_mask:0xf
	v_cndmask_b32_e64 v13, 0, v13, s[12:13]
	v_add_u32_e32 v12, v12, v13
	s_nop 1
	;; [unrolled: 4-line block ×4, first 2 shown]
	v_mov_b32_dpp v13, v12 row_bcast:15 row_mask:0xf bank_mask:0xf
	v_cndmask_b32_e64 v13, v13, 0, s[4:5]
	v_add_u32_e32 v12, v12, v13
	s_nop 1
	v_mov_b32_dpp v13, v12 row_bcast:31 row_mask:0xf bank_mask:0xf
	v_cndmask_b32_e64 v13, 0, v13, s[2:3]
	v_add_u32_e32 v12, v12, v13
	s_and_saveexec_b64 s[16:17], s[6:7]
	s_cbranch_execz .LBB2885_31
; %bb.30:
	v_lshlrev_b32_e32 v13, 2, v26
	ds_write_b32 v13, v12
.LBB2885_31:
	s_or_b64 exec, exec, s[16:17]
	v_cmp_gt_u32_e32 vcc, 3, v0
	s_waitcnt lgkmcnt(0)
	s_barrier
	s_and_saveexec_b64 s[16:17], vcc
	s_cbranch_execz .LBB2885_33
; %bb.32:
	ds_read_b32 v13, v1
	v_and_b32_e32 v14, 3, v25
	v_cmp_ne_u32_e32 vcc, 0, v14
	s_waitcnt lgkmcnt(0)
	v_mov_b32_dpp v15, v13 row_shr:1 row_mask:0xf bank_mask:0xf
	v_cndmask_b32_e32 v15, 0, v15, vcc
	v_add_u32_e32 v13, v15, v13
	v_cmp_lt_u32_e32 vcc, 1, v14
	s_nop 0
	v_mov_b32_dpp v15, v13 row_shr:2 row_mask:0xf bank_mask:0xf
	v_cndmask_b32_e32 v14, 0, v15, vcc
	v_add_u32_e32 v13, v13, v14
	ds_write_b32 v1, v13
.LBB2885_33:
	s_or_b64 exec, exec, s[16:17]
	v_cmp_gt_u32_e32 vcc, 64, v0
	v_cmp_lt_u32_e64 s[16:17], 63, v0
	s_waitcnt lgkmcnt(0)
	s_barrier
	s_waitcnt lgkmcnt(0)
                                        ; implicit-def: $vgpr28
	s_and_saveexec_b64 s[24:25], s[16:17]
	s_cbranch_execz .LBB2885_35
; %bb.34:
	v_lshl_add_u32 v13, v26, 2, -4
	ds_read_b32 v28, v13
	s_waitcnt lgkmcnt(0)
	v_add_u32_e32 v12, v28, v12
.LBB2885_35:
	s_or_b64 exec, exec, s[24:25]
	v_add_u32_e32 v13, -1, v25
	v_and_b32_e32 v14, 64, v25
	v_cmp_lt_i32_e64 s[16:17], v13, v14
	v_cndmask_b32_e64 v13, v13, v25, s[16:17]
	v_lshlrev_b32_e32 v13, 2, v13
	ds_bpermute_b32 v29, v13, v12
	v_cmp_eq_u32_e64 s[16:17], 0, v25
	s_and_saveexec_b64 s[24:25], vcc
	s_cbranch_execz .LBB2885_58
; %bb.36:
	v_mov_b32_e32 v21, 0
	ds_read_b32 v12, v21 offset:8
	s_and_saveexec_b64 s[26:27], s[16:17]
	s_cbranch_execz .LBB2885_38
; %bb.37:
	s_add_i32 s28, s30, 64
	s_mov_b32 s29, 0
	s_lshl_b64 s[28:29], s[28:29], 3
	s_add_u32 s28, s18, s28
	v_mov_b32_e32 v13, 1
	s_addc_u32 s29, s19, s29
	s_waitcnt lgkmcnt(0)
	global_store_dwordx2 v21, v[12:13], s[28:29]
.LBB2885_38:
	s_or_b64 exec, exec, s[26:27]
	v_xad_u32 v14, v25, -1, s30
	v_add_u32_e32 v20, 64, v14
	v_lshlrev_b64 v[16:17], 3, v[20:21]
	v_mov_b32_e32 v13, s19
	v_add_co_u32_e32 v16, vcc, s18, v16
	v_addc_co_u32_e32 v17, vcc, v13, v17, vcc
	global_load_dwordx2 v[18:19], v[16:17], off glc
	s_waitcnt vmcnt(0)
	v_cmp_eq_u16_sdwa s[28:29], v19, v21 src0_sel:BYTE_0 src1_sel:DWORD
	s_and_saveexec_b64 s[26:27], s[28:29]
	s_cbranch_execz .LBB2885_44
; %bb.39:
	s_mov_b32 s31, 1
	s_mov_b64 s[28:29], 0
	v_mov_b32_e32 v13, 0
.LBB2885_40:                            ; =>This Loop Header: Depth=1
                                        ;     Child Loop BB2885_41 Depth 2
	s_max_u32 s33, s31, 1
.LBB2885_41:                            ;   Parent Loop BB2885_40 Depth=1
                                        ; =>  This Inner Loop Header: Depth=2
	s_add_i32 s33, s33, -1
	s_cmp_eq_u32 s33, 0
	s_sleep 1
	s_cbranch_scc0 .LBB2885_41
; %bb.42:                               ;   in Loop: Header=BB2885_40 Depth=1
	global_load_dwordx2 v[18:19], v[16:17], off glc
	s_cmp_lt_u32 s31, 32
	s_cselect_b64 s[34:35], -1, 0
	s_cmp_lg_u64 s[34:35], 0
	s_addc_u32 s31, s31, 0
	s_waitcnt vmcnt(0)
	v_cmp_ne_u16_sdwa s[34:35], v19, v13 src0_sel:BYTE_0 src1_sel:DWORD
	s_or_b64 s[28:29], s[34:35], s[28:29]
	s_andn2_b64 exec, exec, s[28:29]
	s_cbranch_execnz .LBB2885_40
; %bb.43:
	s_or_b64 exec, exec, s[28:29]
.LBB2885_44:
	s_or_b64 exec, exec, s[26:27]
	v_and_b32_e32 v31, 63, v25
	v_mov_b32_e32 v30, 2
	v_cmp_ne_u32_e32 vcc, 63, v31
	v_cmp_eq_u16_sdwa s[26:27], v19, v30 src0_sel:BYTE_0 src1_sel:DWORD
	v_lshlrev_b64 v[16:17], v25, -1
	v_addc_co_u32_e32 v20, vcc, 0, v25, vcc
	v_and_b32_e32 v13, s27, v17
	v_lshlrev_b32_e32 v32, 2, v20
	v_or_b32_e32 v13, 0x80000000, v13
	ds_bpermute_b32 v20, v32, v18
	v_and_b32_e32 v15, s26, v16
	v_ffbl_b32_e32 v13, v13
	v_add_u32_e32 v13, 32, v13
	v_ffbl_b32_e32 v15, v15
	v_min_u32_e32 v13, v15, v13
	v_cmp_lt_u32_e32 vcc, v31, v13
	s_waitcnt lgkmcnt(0)
	v_cndmask_b32_e32 v15, 0, v20, vcc
	v_cmp_gt_u32_e32 vcc, 62, v31
	v_add_u32_e32 v15, v15, v18
	v_cndmask_b32_e64 v18, 0, 1, vcc
	v_lshlrev_b32_e32 v18, 1, v18
	v_add_lshl_u32 v33, v18, v25, 2
	ds_bpermute_b32 v18, v33, v15
	v_add_u32_e32 v34, 2, v31
	v_cmp_le_u32_e32 vcc, v34, v13
	v_add_u32_e32 v36, 4, v31
	v_add_u32_e32 v38, 8, v31
	s_waitcnt lgkmcnt(0)
	v_cndmask_b32_e32 v18, 0, v18, vcc
	v_cmp_gt_u32_e32 vcc, 60, v31
	v_add_u32_e32 v15, v15, v18
	v_cndmask_b32_e64 v18, 0, 1, vcc
	v_lshlrev_b32_e32 v18, 2, v18
	v_add_lshl_u32 v35, v18, v25, 2
	ds_bpermute_b32 v18, v35, v15
	v_cmp_le_u32_e32 vcc, v36, v13
	v_add_u32_e32 v40, 16, v31
	v_add_u32_e32 v42, 32, v31
	s_waitcnt lgkmcnt(0)
	v_cndmask_b32_e32 v18, 0, v18, vcc
	v_cmp_gt_u32_e32 vcc, 56, v31
	v_add_u32_e32 v15, v15, v18
	v_cndmask_b32_e64 v18, 0, 1, vcc
	v_lshlrev_b32_e32 v18, 3, v18
	v_add_lshl_u32 v37, v18, v25, 2
	ds_bpermute_b32 v18, v37, v15
	v_cmp_le_u32_e32 vcc, v38, v13
	s_waitcnt lgkmcnt(0)
	v_cndmask_b32_e32 v18, 0, v18, vcc
	v_cmp_gt_u32_e32 vcc, 48, v31
	v_add_u32_e32 v15, v15, v18
	v_cndmask_b32_e64 v18, 0, 1, vcc
	v_lshlrev_b32_e32 v18, 4, v18
	v_add_lshl_u32 v39, v18, v25, 2
	ds_bpermute_b32 v18, v39, v15
	v_cmp_le_u32_e32 vcc, v40, v13
	;; [unrolled: 9-line block ×3, first 2 shown]
	s_waitcnt lgkmcnt(0)
	v_cndmask_b32_e32 v13, 0, v18, vcc
	v_add_u32_e32 v18, v15, v13
	v_mov_b32_e32 v15, 0
	s_branch .LBB2885_46
.LBB2885_45:                            ;   in Loop: Header=BB2885_46 Depth=1
	s_or_b64 exec, exec, s[26:27]
	v_cmp_eq_u16_sdwa s[26:27], v19, v30 src0_sel:BYTE_0 src1_sel:DWORD
	v_and_b32_e32 v20, s27, v17
	v_or_b32_e32 v20, 0x80000000, v20
	ds_bpermute_b32 v43, v32, v18
	v_and_b32_e32 v21, s26, v16
	v_ffbl_b32_e32 v20, v20
	v_add_u32_e32 v20, 32, v20
	v_ffbl_b32_e32 v21, v21
	v_min_u32_e32 v20, v21, v20
	v_cmp_lt_u32_e32 vcc, v31, v20
	s_waitcnt lgkmcnt(0)
	v_cndmask_b32_e32 v21, 0, v43, vcc
	v_add_u32_e32 v18, v21, v18
	ds_bpermute_b32 v21, v33, v18
	v_cmp_le_u32_e32 vcc, v34, v20
	v_subrev_u32_e32 v14, 64, v14
	s_waitcnt lgkmcnt(0)
	v_cndmask_b32_e32 v21, 0, v21, vcc
	v_add_u32_e32 v18, v18, v21
	ds_bpermute_b32 v21, v35, v18
	v_cmp_le_u32_e32 vcc, v36, v20
	s_waitcnt lgkmcnt(0)
	v_cndmask_b32_e32 v21, 0, v21, vcc
	v_add_u32_e32 v18, v18, v21
	ds_bpermute_b32 v21, v37, v18
	v_cmp_le_u32_e32 vcc, v38, v20
	;; [unrolled: 5-line block ×4, first 2 shown]
	s_waitcnt lgkmcnt(0)
	v_cndmask_b32_e32 v20, 0, v21, vcc
	v_add3_u32 v18, v20, v13, v18
.LBB2885_46:                            ; =>This Loop Header: Depth=1
                                        ;     Child Loop BB2885_49 Depth 2
                                        ;       Child Loop BB2885_50 Depth 3
	v_cmp_ne_u16_sdwa s[26:27], v19, v30 src0_sel:BYTE_0 src1_sel:DWORD
	v_cndmask_b32_e64 v13, 0, 1, s[26:27]
	;;#ASMSTART
	;;#ASMEND
	v_cmp_ne_u32_e32 vcc, 0, v13
	s_cmp_lg_u64 vcc, exec
	v_mov_b32_e32 v13, v18
	s_cbranch_scc1 .LBB2885_53
; %bb.47:                               ;   in Loop: Header=BB2885_46 Depth=1
	v_lshlrev_b64 v[18:19], 3, v[14:15]
	v_mov_b32_e32 v21, s19
	v_add_co_u32_e32 v20, vcc, s18, v18
	v_addc_co_u32_e32 v21, vcc, v21, v19, vcc
	global_load_dwordx2 v[18:19], v[20:21], off glc
	s_waitcnt vmcnt(0)
	v_cmp_eq_u16_sdwa s[28:29], v19, v15 src0_sel:BYTE_0 src1_sel:DWORD
	s_and_saveexec_b64 s[26:27], s[28:29]
	s_cbranch_execz .LBB2885_45
; %bb.48:                               ;   in Loop: Header=BB2885_46 Depth=1
	s_mov_b32 s31, 1
	s_mov_b64 s[28:29], 0
.LBB2885_49:                            ;   Parent Loop BB2885_46 Depth=1
                                        ; =>  This Loop Header: Depth=2
                                        ;       Child Loop BB2885_50 Depth 3
	s_max_u32 s33, s31, 1
.LBB2885_50:                            ;   Parent Loop BB2885_46 Depth=1
                                        ;     Parent Loop BB2885_49 Depth=2
                                        ; =>    This Inner Loop Header: Depth=3
	s_add_i32 s33, s33, -1
	s_cmp_eq_u32 s33, 0
	s_sleep 1
	s_cbranch_scc0 .LBB2885_50
; %bb.51:                               ;   in Loop: Header=BB2885_49 Depth=2
	global_load_dwordx2 v[18:19], v[20:21], off glc
	s_cmp_lt_u32 s31, 32
	s_cselect_b64 s[34:35], -1, 0
	s_cmp_lg_u64 s[34:35], 0
	s_addc_u32 s31, s31, 0
	s_waitcnt vmcnt(0)
	v_cmp_ne_u16_sdwa s[34:35], v19, v15 src0_sel:BYTE_0 src1_sel:DWORD
	s_or_b64 s[28:29], s[34:35], s[28:29]
	s_andn2_b64 exec, exec, s[28:29]
	s_cbranch_execnz .LBB2885_49
; %bb.52:                               ;   in Loop: Header=BB2885_46 Depth=1
	s_or_b64 exec, exec, s[28:29]
	s_branch .LBB2885_45
.LBB2885_53:                            ;   in Loop: Header=BB2885_46 Depth=1
                                        ; implicit-def: $vgpr18
                                        ; implicit-def: $vgpr19
	s_cbranch_execz .LBB2885_46
; %bb.54:
	s_and_saveexec_b64 s[26:27], s[16:17]
	s_cbranch_execz .LBB2885_56
; %bb.55:
	s_add_i32 s28, s30, 64
	s_mov_b32 s29, 0
	s_lshl_b64 s[28:29], s[28:29], 3
	s_add_u32 s28, s18, s28
	v_add_u32_e32 v14, v13, v12
	v_mov_b32_e32 v15, 2
	s_addc_u32 s29, s19, s29
	v_mov_b32_e32 v16, 0
	global_store_dwordx2 v16, v[14:15], s[28:29]
	ds_write_b64 v16, v[12:13] offset:6336
.LBB2885_56:
	s_or_b64 exec, exec, s[26:27]
	s_and_b64 exec, exec, s[0:1]
	s_cbranch_execz .LBB2885_58
; %bb.57:
	v_mov_b32_e32 v12, 0
	ds_write_b32 v12, v13 offset:8
.LBB2885_58:
	s_or_b64 exec, exec, s[24:25]
	v_mov_b32_e32 v12, 0
	s_waitcnt lgkmcnt(0)
	s_barrier
	ds_read_b32 v13, v12 offset:8
	v_cndmask_b32_e64 v14, v29, v28, s[16:17]
	v_cndmask_b32_e64 v14, v14, 0, s[0:1]
	s_waitcnt lgkmcnt(0)
	s_barrier
	v_add_u32_e32 v16, v13, v14
	ds_read_b64 v[12:13], v12 offset:6336
	v_add_u32_sdwa v17, v16, v23 dst_sel:DWORD dst_unused:UNUSED_PAD src0_sel:DWORD src1_sel:BYTE_0
	v_add_u32_sdwa v15, v17, v23 dst_sel:DWORD dst_unused:UNUSED_PAD src0_sel:DWORD src1_sel:BYTE_1
	v_add_u32_e32 v14, v15, v24
	s_branch .LBB2885_69
.LBB2885_59:
                                        ; implicit-def: $vgpr13
                                        ; implicit-def: $vgpr14
                                        ; implicit-def: $vgpr15
                                        ; implicit-def: $vgpr17
                                        ; implicit-def: $vgpr16
	s_cbranch_execz .LBB2885_69
; %bb.60:
	s_waitcnt lgkmcnt(0)
	v_mov_b32_dpp v12, v27 row_shr:1 row_mask:0xf bank_mask:0xf
	v_cndmask_b32_e64 v12, v12, 0, s[14:15]
	v_add_u32_e32 v12, v12, v27
	s_nop 1
	v_mov_b32_dpp v13, v12 row_shr:2 row_mask:0xf bank_mask:0xf
	v_cndmask_b32_e64 v13, 0, v13, s[12:13]
	v_add_u32_e32 v12, v12, v13
	s_nop 1
	;; [unrolled: 4-line block ×4, first 2 shown]
	v_mov_b32_dpp v13, v12 row_bcast:15 row_mask:0xf bank_mask:0xf
	v_cndmask_b32_e64 v13, v13, 0, s[4:5]
	v_add_u32_e32 v12, v12, v13
	s_nop 1
	v_mov_b32_dpp v13, v12 row_bcast:31 row_mask:0xf bank_mask:0xf
	v_cndmask_b32_e64 v13, 0, v13, s[2:3]
	v_add_u32_e32 v12, v12, v13
	s_and_saveexec_b64 s[2:3], s[6:7]
	s_cbranch_execz .LBB2885_62
; %bb.61:
	v_lshlrev_b32_e32 v13, 2, v26
	ds_write_b32 v13, v12
.LBB2885_62:
	s_or_b64 exec, exec, s[2:3]
	v_cmp_gt_u32_e32 vcc, 3, v0
	s_waitcnt lgkmcnt(0)
	s_barrier
	s_and_saveexec_b64 s[2:3], vcc
	s_cbranch_execz .LBB2885_64
; %bb.63:
	ds_read_b32 v13, v1
	v_and_b32_e32 v14, 3, v25
	v_cmp_ne_u32_e32 vcc, 0, v14
	s_waitcnt lgkmcnt(0)
	v_mov_b32_dpp v15, v13 row_shr:1 row_mask:0xf bank_mask:0xf
	v_cndmask_b32_e32 v15, 0, v15, vcc
	v_add_u32_e32 v13, v15, v13
	v_cmp_lt_u32_e32 vcc, 1, v14
	s_nop 0
	v_mov_b32_dpp v15, v13 row_shr:2 row_mask:0xf bank_mask:0xf
	v_cndmask_b32_e32 v14, 0, v15, vcc
	v_add_u32_e32 v13, v13, v14
	ds_write_b32 v1, v13
.LBB2885_64:
	s_or_b64 exec, exec, s[2:3]
	v_cmp_lt_u32_e32 vcc, 63, v0
	v_mov_b32_e32 v13, 0
	v_mov_b32_e32 v0, 0
	s_waitcnt lgkmcnt(0)
	s_barrier
	s_and_saveexec_b64 s[2:3], vcc
	s_cbranch_execz .LBB2885_66
; %bb.65:
	v_lshl_add_u32 v0, v26, 2, -4
	ds_read_b32 v0, v0
.LBB2885_66:
	s_or_b64 exec, exec, s[2:3]
	v_add_u32_e32 v14, -1, v25
	v_and_b32_e32 v15, 64, v25
	v_cmp_lt_i32_e32 vcc, v14, v15
	v_cndmask_b32_e32 v14, v14, v25, vcc
	s_waitcnt lgkmcnt(0)
	v_add_u32_e32 v12, v0, v12
	v_lshlrev_b32_e32 v14, 2, v14
	ds_bpermute_b32 v14, v14, v12
	ds_read_b32 v12, v13 offset:8
	s_and_saveexec_b64 s[2:3], s[0:1]
	s_cbranch_execz .LBB2885_68
; %bb.67:
	v_mov_b32_e32 v15, 0
	v_mov_b32_e32 v13, 2
	s_waitcnt lgkmcnt(0)
	global_store_dwordx2 v15, v[12:13], s[18:19] offset:512
.LBB2885_68:
	s_or_b64 exec, exec, s[2:3]
	v_cmp_eq_u32_e32 vcc, 0, v25
	s_waitcnt lgkmcnt(1)
	v_cndmask_b32_e32 v0, v14, v0, vcc
	v_cndmask_b32_e64 v16, v0, 0, s[0:1]
	v_add_u32_sdwa v17, v16, v23 dst_sel:DWORD dst_unused:UNUSED_PAD src0_sel:DWORD src1_sel:BYTE_0
	v_add_u32_sdwa v15, v17, v23 dst_sel:DWORD dst_unused:UNUSED_PAD src0_sel:DWORD src1_sel:BYTE_1
	v_mov_b32_e32 v13, 0
	v_add_u32_e32 v14, v15, v24
	s_waitcnt lgkmcnt(0)
	s_barrier
.LBB2885_69:
	s_waitcnt lgkmcnt(0)
	v_add_u32_e32 v1, v12, v1
	v_sub_u32_e32 v16, v16, v13
	v_and_b32_e32 v19, 1, v23
	v_sub_u32_e32 v18, v1, v16
	v_cmp_eq_u32_e32 vcc, 1, v19
	v_cndmask_b32_e32 v16, v18, v16, vcc
	v_lshlrev_b32_e32 v16, 3, v16
	v_lshrrev_b32_e32 v0, 8, v23
	ds_write_b64 v16, v[6:7]
	v_sub_u32_e32 v6, v17, v13
	v_sub_u32_e32 v7, v1, v6
	v_and_b32_e32 v0, 1, v0
	v_add_u32_e32 v7, 1, v7
	v_cmp_eq_u32_e32 vcc, 1, v0
	v_cndmask_b32_e32 v0, v7, v6, vcc
	v_lshlrev_b32_e32 v0, 3, v0
	ds_write_b64 v0, v[8:9]
	v_sub_u32_e32 v0, v15, v13
	v_mov_b32_e32 v7, 1
	v_sub_u32_e32 v6, v1, v0
	v_and_b32_sdwa v7, v7, v23 dst_sel:DWORD dst_unused:UNUSED_PAD src0_sel:DWORD src1_sel:WORD_1
	v_add_u32_e32 v6, 2, v6
	v_cmp_eq_u32_e32 vcc, 1, v7
	v_cndmask_b32_e32 v0, v6, v0, vcc
	v_lshlrev_b32_e32 v0, 3, v0
	ds_write_b64 v0, v[2:3]
	v_sub_u32_e32 v0, v14, v13
	v_sub_u32_e32 v1, v1, v0
	v_and_b32_e32 v2, 1, v22
	v_add_u32_e32 v1, 3, v1
	v_cmp_eq_u32_e32 vcc, 1, v2
	v_cndmask_b32_e32 v0, v1, v0, vcc
	v_lshlrev_b32_e32 v0, 3, v0
	s_and_b64 s[0:1], s[0:1], s[22:23]
	ds_write_b64 v0, v[4:5]
	s_waitcnt lgkmcnt(0)
	s_barrier
	s_and_saveexec_b64 s[2:3], s[0:1]
	s_cbranch_execz .LBB2885_71
; %bb.70:
	s_waitcnt vmcnt(0)
	v_add_co_u32_e32 v0, vcc, v10, v12
	v_addc_co_u32_e32 v1, vcc, 0, v11, vcc
	v_add_co_u32_e32 v0, vcc, v0, v13
	v_mov_b32_e32 v2, 0
	v_addc_co_u32_e32 v1, vcc, 0, v1, vcc
	global_store_dwordx2 v2, v[0:1], s[20:21]
.LBB2885_71:
	s_endpgm
	.section	.rodata,"a",@progbits
	.p2align	6, 0x0
	.amdhsa_kernel _ZN7rocprim17ROCPRIM_400000_NS6detail17trampoline_kernelINS0_14default_configENS1_25partition_config_selectorILNS1_17partition_subalgoE1EyNS0_10empty_typeEbEEZZNS1_14partition_implILS5_1ELb0ES3_jN6thrust23THRUST_200600_302600_NS6detail15normal_iteratorINSA_10device_ptrIyEEEEPS6_NSA_18transform_iteratorI7is_evenIyESF_NSA_11use_defaultESK_EENS0_5tupleIJNSA_16discard_iteratorISK_EESO_EEENSM_IJSG_SG_EEES6_PlJS6_EEE10hipError_tPvRmT3_T4_T5_T6_T7_T9_mT8_P12ihipStream_tbDpT10_ENKUlT_T0_E_clISt17integral_constantIbLb1EES1B_EEDaS16_S17_EUlS16_E_NS1_11comp_targetILNS1_3genE4ELNS1_11target_archE910ELNS1_3gpuE8ELNS1_3repE0EEENS1_30default_config_static_selectorELNS0_4arch9wavefront6targetE1EEEvT1_
		.amdhsa_group_segment_fixed_size 6344
		.amdhsa_private_segment_fixed_size 0
		.amdhsa_kernarg_size 160
		.amdhsa_user_sgpr_count 6
		.amdhsa_user_sgpr_private_segment_buffer 1
		.amdhsa_user_sgpr_dispatch_ptr 0
		.amdhsa_user_sgpr_queue_ptr 0
		.amdhsa_user_sgpr_kernarg_segment_ptr 1
		.amdhsa_user_sgpr_dispatch_id 0
		.amdhsa_user_sgpr_flat_scratch_init 0
		.amdhsa_user_sgpr_kernarg_preload_length 0
		.amdhsa_user_sgpr_kernarg_preload_offset 0
		.amdhsa_user_sgpr_private_segment_size 0
		.amdhsa_uses_dynamic_stack 0
		.amdhsa_system_sgpr_private_segment_wavefront_offset 0
		.amdhsa_system_sgpr_workgroup_id_x 1
		.amdhsa_system_sgpr_workgroup_id_y 0
		.amdhsa_system_sgpr_workgroup_id_z 0
		.amdhsa_system_sgpr_workgroup_info 0
		.amdhsa_system_vgpr_workitem_id 0
		.amdhsa_next_free_vgpr 44
		.amdhsa_next_free_sgpr 36
		.amdhsa_accum_offset 44
		.amdhsa_reserve_vcc 1
		.amdhsa_reserve_flat_scratch 0
		.amdhsa_float_round_mode_32 0
		.amdhsa_float_round_mode_16_64 0
		.amdhsa_float_denorm_mode_32 3
		.amdhsa_float_denorm_mode_16_64 3
		.amdhsa_dx10_clamp 1
		.amdhsa_ieee_mode 1
		.amdhsa_fp16_overflow 0
		.amdhsa_tg_split 0
		.amdhsa_exception_fp_ieee_invalid_op 0
		.amdhsa_exception_fp_denorm_src 0
		.amdhsa_exception_fp_ieee_div_zero 0
		.amdhsa_exception_fp_ieee_overflow 0
		.amdhsa_exception_fp_ieee_underflow 0
		.amdhsa_exception_fp_ieee_inexact 0
		.amdhsa_exception_int_div_zero 0
	.end_amdhsa_kernel
	.section	.text._ZN7rocprim17ROCPRIM_400000_NS6detail17trampoline_kernelINS0_14default_configENS1_25partition_config_selectorILNS1_17partition_subalgoE1EyNS0_10empty_typeEbEEZZNS1_14partition_implILS5_1ELb0ES3_jN6thrust23THRUST_200600_302600_NS6detail15normal_iteratorINSA_10device_ptrIyEEEEPS6_NSA_18transform_iteratorI7is_evenIyESF_NSA_11use_defaultESK_EENS0_5tupleIJNSA_16discard_iteratorISK_EESO_EEENSM_IJSG_SG_EEES6_PlJS6_EEE10hipError_tPvRmT3_T4_T5_T6_T7_T9_mT8_P12ihipStream_tbDpT10_ENKUlT_T0_E_clISt17integral_constantIbLb1EES1B_EEDaS16_S17_EUlS16_E_NS1_11comp_targetILNS1_3genE4ELNS1_11target_archE910ELNS1_3gpuE8ELNS1_3repE0EEENS1_30default_config_static_selectorELNS0_4arch9wavefront6targetE1EEEvT1_,"axG",@progbits,_ZN7rocprim17ROCPRIM_400000_NS6detail17trampoline_kernelINS0_14default_configENS1_25partition_config_selectorILNS1_17partition_subalgoE1EyNS0_10empty_typeEbEEZZNS1_14partition_implILS5_1ELb0ES3_jN6thrust23THRUST_200600_302600_NS6detail15normal_iteratorINSA_10device_ptrIyEEEEPS6_NSA_18transform_iteratorI7is_evenIyESF_NSA_11use_defaultESK_EENS0_5tupleIJNSA_16discard_iteratorISK_EESO_EEENSM_IJSG_SG_EEES6_PlJS6_EEE10hipError_tPvRmT3_T4_T5_T6_T7_T9_mT8_P12ihipStream_tbDpT10_ENKUlT_T0_E_clISt17integral_constantIbLb1EES1B_EEDaS16_S17_EUlS16_E_NS1_11comp_targetILNS1_3genE4ELNS1_11target_archE910ELNS1_3gpuE8ELNS1_3repE0EEENS1_30default_config_static_selectorELNS0_4arch9wavefront6targetE1EEEvT1_,comdat
.Lfunc_end2885:
	.size	_ZN7rocprim17ROCPRIM_400000_NS6detail17trampoline_kernelINS0_14default_configENS1_25partition_config_selectorILNS1_17partition_subalgoE1EyNS0_10empty_typeEbEEZZNS1_14partition_implILS5_1ELb0ES3_jN6thrust23THRUST_200600_302600_NS6detail15normal_iteratorINSA_10device_ptrIyEEEEPS6_NSA_18transform_iteratorI7is_evenIyESF_NSA_11use_defaultESK_EENS0_5tupleIJNSA_16discard_iteratorISK_EESO_EEENSM_IJSG_SG_EEES6_PlJS6_EEE10hipError_tPvRmT3_T4_T5_T6_T7_T9_mT8_P12ihipStream_tbDpT10_ENKUlT_T0_E_clISt17integral_constantIbLb1EES1B_EEDaS16_S17_EUlS16_E_NS1_11comp_targetILNS1_3genE4ELNS1_11target_archE910ELNS1_3gpuE8ELNS1_3repE0EEENS1_30default_config_static_selectorELNS0_4arch9wavefront6targetE1EEEvT1_, .Lfunc_end2885-_ZN7rocprim17ROCPRIM_400000_NS6detail17trampoline_kernelINS0_14default_configENS1_25partition_config_selectorILNS1_17partition_subalgoE1EyNS0_10empty_typeEbEEZZNS1_14partition_implILS5_1ELb0ES3_jN6thrust23THRUST_200600_302600_NS6detail15normal_iteratorINSA_10device_ptrIyEEEEPS6_NSA_18transform_iteratorI7is_evenIyESF_NSA_11use_defaultESK_EENS0_5tupleIJNSA_16discard_iteratorISK_EESO_EEENSM_IJSG_SG_EEES6_PlJS6_EEE10hipError_tPvRmT3_T4_T5_T6_T7_T9_mT8_P12ihipStream_tbDpT10_ENKUlT_T0_E_clISt17integral_constantIbLb1EES1B_EEDaS16_S17_EUlS16_E_NS1_11comp_targetILNS1_3genE4ELNS1_11target_archE910ELNS1_3gpuE8ELNS1_3repE0EEENS1_30default_config_static_selectorELNS0_4arch9wavefront6targetE1EEEvT1_
                                        ; -- End function
	.section	.AMDGPU.csdata,"",@progbits
; Kernel info:
; codeLenInByte = 3672
; NumSgprs: 40
; NumVgprs: 44
; NumAgprs: 0
; TotalNumVgprs: 44
; ScratchSize: 0
; MemoryBound: 0
; FloatMode: 240
; IeeeMode: 1
; LDSByteSize: 6344 bytes/workgroup (compile time only)
; SGPRBlocks: 4
; VGPRBlocks: 5
; NumSGPRsForWavesPerEU: 40
; NumVGPRsForWavesPerEU: 44
; AccumOffset: 44
; Occupancy: 8
; WaveLimiterHint : 1
; COMPUTE_PGM_RSRC2:SCRATCH_EN: 0
; COMPUTE_PGM_RSRC2:USER_SGPR: 6
; COMPUTE_PGM_RSRC2:TRAP_HANDLER: 0
; COMPUTE_PGM_RSRC2:TGID_X_EN: 1
; COMPUTE_PGM_RSRC2:TGID_Y_EN: 0
; COMPUTE_PGM_RSRC2:TGID_Z_EN: 0
; COMPUTE_PGM_RSRC2:TIDIG_COMP_CNT: 0
; COMPUTE_PGM_RSRC3_GFX90A:ACCUM_OFFSET: 10
; COMPUTE_PGM_RSRC3_GFX90A:TG_SPLIT: 0
	.section	.text._ZN7rocprim17ROCPRIM_400000_NS6detail17trampoline_kernelINS0_14default_configENS1_25partition_config_selectorILNS1_17partition_subalgoE1EyNS0_10empty_typeEbEEZZNS1_14partition_implILS5_1ELb0ES3_jN6thrust23THRUST_200600_302600_NS6detail15normal_iteratorINSA_10device_ptrIyEEEEPS6_NSA_18transform_iteratorI7is_evenIyESF_NSA_11use_defaultESK_EENS0_5tupleIJNSA_16discard_iteratorISK_EESO_EEENSM_IJSG_SG_EEES6_PlJS6_EEE10hipError_tPvRmT3_T4_T5_T6_T7_T9_mT8_P12ihipStream_tbDpT10_ENKUlT_T0_E_clISt17integral_constantIbLb1EES1B_EEDaS16_S17_EUlS16_E_NS1_11comp_targetILNS1_3genE3ELNS1_11target_archE908ELNS1_3gpuE7ELNS1_3repE0EEENS1_30default_config_static_selectorELNS0_4arch9wavefront6targetE1EEEvT1_,"axG",@progbits,_ZN7rocprim17ROCPRIM_400000_NS6detail17trampoline_kernelINS0_14default_configENS1_25partition_config_selectorILNS1_17partition_subalgoE1EyNS0_10empty_typeEbEEZZNS1_14partition_implILS5_1ELb0ES3_jN6thrust23THRUST_200600_302600_NS6detail15normal_iteratorINSA_10device_ptrIyEEEEPS6_NSA_18transform_iteratorI7is_evenIyESF_NSA_11use_defaultESK_EENS0_5tupleIJNSA_16discard_iteratorISK_EESO_EEENSM_IJSG_SG_EEES6_PlJS6_EEE10hipError_tPvRmT3_T4_T5_T6_T7_T9_mT8_P12ihipStream_tbDpT10_ENKUlT_T0_E_clISt17integral_constantIbLb1EES1B_EEDaS16_S17_EUlS16_E_NS1_11comp_targetILNS1_3genE3ELNS1_11target_archE908ELNS1_3gpuE7ELNS1_3repE0EEENS1_30default_config_static_selectorELNS0_4arch9wavefront6targetE1EEEvT1_,comdat
	.protected	_ZN7rocprim17ROCPRIM_400000_NS6detail17trampoline_kernelINS0_14default_configENS1_25partition_config_selectorILNS1_17partition_subalgoE1EyNS0_10empty_typeEbEEZZNS1_14partition_implILS5_1ELb0ES3_jN6thrust23THRUST_200600_302600_NS6detail15normal_iteratorINSA_10device_ptrIyEEEEPS6_NSA_18transform_iteratorI7is_evenIyESF_NSA_11use_defaultESK_EENS0_5tupleIJNSA_16discard_iteratorISK_EESO_EEENSM_IJSG_SG_EEES6_PlJS6_EEE10hipError_tPvRmT3_T4_T5_T6_T7_T9_mT8_P12ihipStream_tbDpT10_ENKUlT_T0_E_clISt17integral_constantIbLb1EES1B_EEDaS16_S17_EUlS16_E_NS1_11comp_targetILNS1_3genE3ELNS1_11target_archE908ELNS1_3gpuE7ELNS1_3repE0EEENS1_30default_config_static_selectorELNS0_4arch9wavefront6targetE1EEEvT1_ ; -- Begin function _ZN7rocprim17ROCPRIM_400000_NS6detail17trampoline_kernelINS0_14default_configENS1_25partition_config_selectorILNS1_17partition_subalgoE1EyNS0_10empty_typeEbEEZZNS1_14partition_implILS5_1ELb0ES3_jN6thrust23THRUST_200600_302600_NS6detail15normal_iteratorINSA_10device_ptrIyEEEEPS6_NSA_18transform_iteratorI7is_evenIyESF_NSA_11use_defaultESK_EENS0_5tupleIJNSA_16discard_iteratorISK_EESO_EEENSM_IJSG_SG_EEES6_PlJS6_EEE10hipError_tPvRmT3_T4_T5_T6_T7_T9_mT8_P12ihipStream_tbDpT10_ENKUlT_T0_E_clISt17integral_constantIbLb1EES1B_EEDaS16_S17_EUlS16_E_NS1_11comp_targetILNS1_3genE3ELNS1_11target_archE908ELNS1_3gpuE7ELNS1_3repE0EEENS1_30default_config_static_selectorELNS0_4arch9wavefront6targetE1EEEvT1_
	.globl	_ZN7rocprim17ROCPRIM_400000_NS6detail17trampoline_kernelINS0_14default_configENS1_25partition_config_selectorILNS1_17partition_subalgoE1EyNS0_10empty_typeEbEEZZNS1_14partition_implILS5_1ELb0ES3_jN6thrust23THRUST_200600_302600_NS6detail15normal_iteratorINSA_10device_ptrIyEEEEPS6_NSA_18transform_iteratorI7is_evenIyESF_NSA_11use_defaultESK_EENS0_5tupleIJNSA_16discard_iteratorISK_EESO_EEENSM_IJSG_SG_EEES6_PlJS6_EEE10hipError_tPvRmT3_T4_T5_T6_T7_T9_mT8_P12ihipStream_tbDpT10_ENKUlT_T0_E_clISt17integral_constantIbLb1EES1B_EEDaS16_S17_EUlS16_E_NS1_11comp_targetILNS1_3genE3ELNS1_11target_archE908ELNS1_3gpuE7ELNS1_3repE0EEENS1_30default_config_static_selectorELNS0_4arch9wavefront6targetE1EEEvT1_
	.p2align	8
	.type	_ZN7rocprim17ROCPRIM_400000_NS6detail17trampoline_kernelINS0_14default_configENS1_25partition_config_selectorILNS1_17partition_subalgoE1EyNS0_10empty_typeEbEEZZNS1_14partition_implILS5_1ELb0ES3_jN6thrust23THRUST_200600_302600_NS6detail15normal_iteratorINSA_10device_ptrIyEEEEPS6_NSA_18transform_iteratorI7is_evenIyESF_NSA_11use_defaultESK_EENS0_5tupleIJNSA_16discard_iteratorISK_EESO_EEENSM_IJSG_SG_EEES6_PlJS6_EEE10hipError_tPvRmT3_T4_T5_T6_T7_T9_mT8_P12ihipStream_tbDpT10_ENKUlT_T0_E_clISt17integral_constantIbLb1EES1B_EEDaS16_S17_EUlS16_E_NS1_11comp_targetILNS1_3genE3ELNS1_11target_archE908ELNS1_3gpuE7ELNS1_3repE0EEENS1_30default_config_static_selectorELNS0_4arch9wavefront6targetE1EEEvT1_,@function
_ZN7rocprim17ROCPRIM_400000_NS6detail17trampoline_kernelINS0_14default_configENS1_25partition_config_selectorILNS1_17partition_subalgoE1EyNS0_10empty_typeEbEEZZNS1_14partition_implILS5_1ELb0ES3_jN6thrust23THRUST_200600_302600_NS6detail15normal_iteratorINSA_10device_ptrIyEEEEPS6_NSA_18transform_iteratorI7is_evenIyESF_NSA_11use_defaultESK_EENS0_5tupleIJNSA_16discard_iteratorISK_EESO_EEENSM_IJSG_SG_EEES6_PlJS6_EEE10hipError_tPvRmT3_T4_T5_T6_T7_T9_mT8_P12ihipStream_tbDpT10_ENKUlT_T0_E_clISt17integral_constantIbLb1EES1B_EEDaS16_S17_EUlS16_E_NS1_11comp_targetILNS1_3genE3ELNS1_11target_archE908ELNS1_3gpuE7ELNS1_3repE0EEENS1_30default_config_static_selectorELNS0_4arch9wavefront6targetE1EEEvT1_: ; @_ZN7rocprim17ROCPRIM_400000_NS6detail17trampoline_kernelINS0_14default_configENS1_25partition_config_selectorILNS1_17partition_subalgoE1EyNS0_10empty_typeEbEEZZNS1_14partition_implILS5_1ELb0ES3_jN6thrust23THRUST_200600_302600_NS6detail15normal_iteratorINSA_10device_ptrIyEEEEPS6_NSA_18transform_iteratorI7is_evenIyESF_NSA_11use_defaultESK_EENS0_5tupleIJNSA_16discard_iteratorISK_EESO_EEENSM_IJSG_SG_EEES6_PlJS6_EEE10hipError_tPvRmT3_T4_T5_T6_T7_T9_mT8_P12ihipStream_tbDpT10_ENKUlT_T0_E_clISt17integral_constantIbLb1EES1B_EEDaS16_S17_EUlS16_E_NS1_11comp_targetILNS1_3genE3ELNS1_11target_archE908ELNS1_3gpuE7ELNS1_3repE0EEENS1_30default_config_static_selectorELNS0_4arch9wavefront6targetE1EEEvT1_
; %bb.0:
	.section	.rodata,"a",@progbits
	.p2align	6, 0x0
	.amdhsa_kernel _ZN7rocprim17ROCPRIM_400000_NS6detail17trampoline_kernelINS0_14default_configENS1_25partition_config_selectorILNS1_17partition_subalgoE1EyNS0_10empty_typeEbEEZZNS1_14partition_implILS5_1ELb0ES3_jN6thrust23THRUST_200600_302600_NS6detail15normal_iteratorINSA_10device_ptrIyEEEEPS6_NSA_18transform_iteratorI7is_evenIyESF_NSA_11use_defaultESK_EENS0_5tupleIJNSA_16discard_iteratorISK_EESO_EEENSM_IJSG_SG_EEES6_PlJS6_EEE10hipError_tPvRmT3_T4_T5_T6_T7_T9_mT8_P12ihipStream_tbDpT10_ENKUlT_T0_E_clISt17integral_constantIbLb1EES1B_EEDaS16_S17_EUlS16_E_NS1_11comp_targetILNS1_3genE3ELNS1_11target_archE908ELNS1_3gpuE7ELNS1_3repE0EEENS1_30default_config_static_selectorELNS0_4arch9wavefront6targetE1EEEvT1_
		.amdhsa_group_segment_fixed_size 0
		.amdhsa_private_segment_fixed_size 0
		.amdhsa_kernarg_size 160
		.amdhsa_user_sgpr_count 6
		.amdhsa_user_sgpr_private_segment_buffer 1
		.amdhsa_user_sgpr_dispatch_ptr 0
		.amdhsa_user_sgpr_queue_ptr 0
		.amdhsa_user_sgpr_kernarg_segment_ptr 1
		.amdhsa_user_sgpr_dispatch_id 0
		.amdhsa_user_sgpr_flat_scratch_init 0
		.amdhsa_user_sgpr_kernarg_preload_length 0
		.amdhsa_user_sgpr_kernarg_preload_offset 0
		.amdhsa_user_sgpr_private_segment_size 0
		.amdhsa_uses_dynamic_stack 0
		.amdhsa_system_sgpr_private_segment_wavefront_offset 0
		.amdhsa_system_sgpr_workgroup_id_x 1
		.amdhsa_system_sgpr_workgroup_id_y 0
		.amdhsa_system_sgpr_workgroup_id_z 0
		.amdhsa_system_sgpr_workgroup_info 0
		.amdhsa_system_vgpr_workitem_id 0
		.amdhsa_next_free_vgpr 1
		.amdhsa_next_free_sgpr 0
		.amdhsa_accum_offset 4
		.amdhsa_reserve_vcc 0
		.amdhsa_reserve_flat_scratch 0
		.amdhsa_float_round_mode_32 0
		.amdhsa_float_round_mode_16_64 0
		.amdhsa_float_denorm_mode_32 3
		.amdhsa_float_denorm_mode_16_64 3
		.amdhsa_dx10_clamp 1
		.amdhsa_ieee_mode 1
		.amdhsa_fp16_overflow 0
		.amdhsa_tg_split 0
		.amdhsa_exception_fp_ieee_invalid_op 0
		.amdhsa_exception_fp_denorm_src 0
		.amdhsa_exception_fp_ieee_div_zero 0
		.amdhsa_exception_fp_ieee_overflow 0
		.amdhsa_exception_fp_ieee_underflow 0
		.amdhsa_exception_fp_ieee_inexact 0
		.amdhsa_exception_int_div_zero 0
	.end_amdhsa_kernel
	.section	.text._ZN7rocprim17ROCPRIM_400000_NS6detail17trampoline_kernelINS0_14default_configENS1_25partition_config_selectorILNS1_17partition_subalgoE1EyNS0_10empty_typeEbEEZZNS1_14partition_implILS5_1ELb0ES3_jN6thrust23THRUST_200600_302600_NS6detail15normal_iteratorINSA_10device_ptrIyEEEEPS6_NSA_18transform_iteratorI7is_evenIyESF_NSA_11use_defaultESK_EENS0_5tupleIJNSA_16discard_iteratorISK_EESO_EEENSM_IJSG_SG_EEES6_PlJS6_EEE10hipError_tPvRmT3_T4_T5_T6_T7_T9_mT8_P12ihipStream_tbDpT10_ENKUlT_T0_E_clISt17integral_constantIbLb1EES1B_EEDaS16_S17_EUlS16_E_NS1_11comp_targetILNS1_3genE3ELNS1_11target_archE908ELNS1_3gpuE7ELNS1_3repE0EEENS1_30default_config_static_selectorELNS0_4arch9wavefront6targetE1EEEvT1_,"axG",@progbits,_ZN7rocprim17ROCPRIM_400000_NS6detail17trampoline_kernelINS0_14default_configENS1_25partition_config_selectorILNS1_17partition_subalgoE1EyNS0_10empty_typeEbEEZZNS1_14partition_implILS5_1ELb0ES3_jN6thrust23THRUST_200600_302600_NS6detail15normal_iteratorINSA_10device_ptrIyEEEEPS6_NSA_18transform_iteratorI7is_evenIyESF_NSA_11use_defaultESK_EENS0_5tupleIJNSA_16discard_iteratorISK_EESO_EEENSM_IJSG_SG_EEES6_PlJS6_EEE10hipError_tPvRmT3_T4_T5_T6_T7_T9_mT8_P12ihipStream_tbDpT10_ENKUlT_T0_E_clISt17integral_constantIbLb1EES1B_EEDaS16_S17_EUlS16_E_NS1_11comp_targetILNS1_3genE3ELNS1_11target_archE908ELNS1_3gpuE7ELNS1_3repE0EEENS1_30default_config_static_selectorELNS0_4arch9wavefront6targetE1EEEvT1_,comdat
.Lfunc_end2886:
	.size	_ZN7rocprim17ROCPRIM_400000_NS6detail17trampoline_kernelINS0_14default_configENS1_25partition_config_selectorILNS1_17partition_subalgoE1EyNS0_10empty_typeEbEEZZNS1_14partition_implILS5_1ELb0ES3_jN6thrust23THRUST_200600_302600_NS6detail15normal_iteratorINSA_10device_ptrIyEEEEPS6_NSA_18transform_iteratorI7is_evenIyESF_NSA_11use_defaultESK_EENS0_5tupleIJNSA_16discard_iteratorISK_EESO_EEENSM_IJSG_SG_EEES6_PlJS6_EEE10hipError_tPvRmT3_T4_T5_T6_T7_T9_mT8_P12ihipStream_tbDpT10_ENKUlT_T0_E_clISt17integral_constantIbLb1EES1B_EEDaS16_S17_EUlS16_E_NS1_11comp_targetILNS1_3genE3ELNS1_11target_archE908ELNS1_3gpuE7ELNS1_3repE0EEENS1_30default_config_static_selectorELNS0_4arch9wavefront6targetE1EEEvT1_, .Lfunc_end2886-_ZN7rocprim17ROCPRIM_400000_NS6detail17trampoline_kernelINS0_14default_configENS1_25partition_config_selectorILNS1_17partition_subalgoE1EyNS0_10empty_typeEbEEZZNS1_14partition_implILS5_1ELb0ES3_jN6thrust23THRUST_200600_302600_NS6detail15normal_iteratorINSA_10device_ptrIyEEEEPS6_NSA_18transform_iteratorI7is_evenIyESF_NSA_11use_defaultESK_EENS0_5tupleIJNSA_16discard_iteratorISK_EESO_EEENSM_IJSG_SG_EEES6_PlJS6_EEE10hipError_tPvRmT3_T4_T5_T6_T7_T9_mT8_P12ihipStream_tbDpT10_ENKUlT_T0_E_clISt17integral_constantIbLb1EES1B_EEDaS16_S17_EUlS16_E_NS1_11comp_targetILNS1_3genE3ELNS1_11target_archE908ELNS1_3gpuE7ELNS1_3repE0EEENS1_30default_config_static_selectorELNS0_4arch9wavefront6targetE1EEEvT1_
                                        ; -- End function
	.section	.AMDGPU.csdata,"",@progbits
; Kernel info:
; codeLenInByte = 0
; NumSgprs: 4
; NumVgprs: 0
; NumAgprs: 0
; TotalNumVgprs: 0
; ScratchSize: 0
; MemoryBound: 0
; FloatMode: 240
; IeeeMode: 1
; LDSByteSize: 0 bytes/workgroup (compile time only)
; SGPRBlocks: 0
; VGPRBlocks: 0
; NumSGPRsForWavesPerEU: 4
; NumVGPRsForWavesPerEU: 1
; AccumOffset: 4
; Occupancy: 8
; WaveLimiterHint : 0
; COMPUTE_PGM_RSRC2:SCRATCH_EN: 0
; COMPUTE_PGM_RSRC2:USER_SGPR: 6
; COMPUTE_PGM_RSRC2:TRAP_HANDLER: 0
; COMPUTE_PGM_RSRC2:TGID_X_EN: 1
; COMPUTE_PGM_RSRC2:TGID_Y_EN: 0
; COMPUTE_PGM_RSRC2:TGID_Z_EN: 0
; COMPUTE_PGM_RSRC2:TIDIG_COMP_CNT: 0
; COMPUTE_PGM_RSRC3_GFX90A:ACCUM_OFFSET: 0
; COMPUTE_PGM_RSRC3_GFX90A:TG_SPLIT: 0
	.section	.text._ZN7rocprim17ROCPRIM_400000_NS6detail17trampoline_kernelINS0_14default_configENS1_25partition_config_selectorILNS1_17partition_subalgoE1EyNS0_10empty_typeEbEEZZNS1_14partition_implILS5_1ELb0ES3_jN6thrust23THRUST_200600_302600_NS6detail15normal_iteratorINSA_10device_ptrIyEEEEPS6_NSA_18transform_iteratorI7is_evenIyESF_NSA_11use_defaultESK_EENS0_5tupleIJNSA_16discard_iteratorISK_EESO_EEENSM_IJSG_SG_EEES6_PlJS6_EEE10hipError_tPvRmT3_T4_T5_T6_T7_T9_mT8_P12ihipStream_tbDpT10_ENKUlT_T0_E_clISt17integral_constantIbLb1EES1B_EEDaS16_S17_EUlS16_E_NS1_11comp_targetILNS1_3genE2ELNS1_11target_archE906ELNS1_3gpuE6ELNS1_3repE0EEENS1_30default_config_static_selectorELNS0_4arch9wavefront6targetE1EEEvT1_,"axG",@progbits,_ZN7rocprim17ROCPRIM_400000_NS6detail17trampoline_kernelINS0_14default_configENS1_25partition_config_selectorILNS1_17partition_subalgoE1EyNS0_10empty_typeEbEEZZNS1_14partition_implILS5_1ELb0ES3_jN6thrust23THRUST_200600_302600_NS6detail15normal_iteratorINSA_10device_ptrIyEEEEPS6_NSA_18transform_iteratorI7is_evenIyESF_NSA_11use_defaultESK_EENS0_5tupleIJNSA_16discard_iteratorISK_EESO_EEENSM_IJSG_SG_EEES6_PlJS6_EEE10hipError_tPvRmT3_T4_T5_T6_T7_T9_mT8_P12ihipStream_tbDpT10_ENKUlT_T0_E_clISt17integral_constantIbLb1EES1B_EEDaS16_S17_EUlS16_E_NS1_11comp_targetILNS1_3genE2ELNS1_11target_archE906ELNS1_3gpuE6ELNS1_3repE0EEENS1_30default_config_static_selectorELNS0_4arch9wavefront6targetE1EEEvT1_,comdat
	.protected	_ZN7rocprim17ROCPRIM_400000_NS6detail17trampoline_kernelINS0_14default_configENS1_25partition_config_selectorILNS1_17partition_subalgoE1EyNS0_10empty_typeEbEEZZNS1_14partition_implILS5_1ELb0ES3_jN6thrust23THRUST_200600_302600_NS6detail15normal_iteratorINSA_10device_ptrIyEEEEPS6_NSA_18transform_iteratorI7is_evenIyESF_NSA_11use_defaultESK_EENS0_5tupleIJNSA_16discard_iteratorISK_EESO_EEENSM_IJSG_SG_EEES6_PlJS6_EEE10hipError_tPvRmT3_T4_T5_T6_T7_T9_mT8_P12ihipStream_tbDpT10_ENKUlT_T0_E_clISt17integral_constantIbLb1EES1B_EEDaS16_S17_EUlS16_E_NS1_11comp_targetILNS1_3genE2ELNS1_11target_archE906ELNS1_3gpuE6ELNS1_3repE0EEENS1_30default_config_static_selectorELNS0_4arch9wavefront6targetE1EEEvT1_ ; -- Begin function _ZN7rocprim17ROCPRIM_400000_NS6detail17trampoline_kernelINS0_14default_configENS1_25partition_config_selectorILNS1_17partition_subalgoE1EyNS0_10empty_typeEbEEZZNS1_14partition_implILS5_1ELb0ES3_jN6thrust23THRUST_200600_302600_NS6detail15normal_iteratorINSA_10device_ptrIyEEEEPS6_NSA_18transform_iteratorI7is_evenIyESF_NSA_11use_defaultESK_EENS0_5tupleIJNSA_16discard_iteratorISK_EESO_EEENSM_IJSG_SG_EEES6_PlJS6_EEE10hipError_tPvRmT3_T4_T5_T6_T7_T9_mT8_P12ihipStream_tbDpT10_ENKUlT_T0_E_clISt17integral_constantIbLb1EES1B_EEDaS16_S17_EUlS16_E_NS1_11comp_targetILNS1_3genE2ELNS1_11target_archE906ELNS1_3gpuE6ELNS1_3repE0EEENS1_30default_config_static_selectorELNS0_4arch9wavefront6targetE1EEEvT1_
	.globl	_ZN7rocprim17ROCPRIM_400000_NS6detail17trampoline_kernelINS0_14default_configENS1_25partition_config_selectorILNS1_17partition_subalgoE1EyNS0_10empty_typeEbEEZZNS1_14partition_implILS5_1ELb0ES3_jN6thrust23THRUST_200600_302600_NS6detail15normal_iteratorINSA_10device_ptrIyEEEEPS6_NSA_18transform_iteratorI7is_evenIyESF_NSA_11use_defaultESK_EENS0_5tupleIJNSA_16discard_iteratorISK_EESO_EEENSM_IJSG_SG_EEES6_PlJS6_EEE10hipError_tPvRmT3_T4_T5_T6_T7_T9_mT8_P12ihipStream_tbDpT10_ENKUlT_T0_E_clISt17integral_constantIbLb1EES1B_EEDaS16_S17_EUlS16_E_NS1_11comp_targetILNS1_3genE2ELNS1_11target_archE906ELNS1_3gpuE6ELNS1_3repE0EEENS1_30default_config_static_selectorELNS0_4arch9wavefront6targetE1EEEvT1_
	.p2align	8
	.type	_ZN7rocprim17ROCPRIM_400000_NS6detail17trampoline_kernelINS0_14default_configENS1_25partition_config_selectorILNS1_17partition_subalgoE1EyNS0_10empty_typeEbEEZZNS1_14partition_implILS5_1ELb0ES3_jN6thrust23THRUST_200600_302600_NS6detail15normal_iteratorINSA_10device_ptrIyEEEEPS6_NSA_18transform_iteratorI7is_evenIyESF_NSA_11use_defaultESK_EENS0_5tupleIJNSA_16discard_iteratorISK_EESO_EEENSM_IJSG_SG_EEES6_PlJS6_EEE10hipError_tPvRmT3_T4_T5_T6_T7_T9_mT8_P12ihipStream_tbDpT10_ENKUlT_T0_E_clISt17integral_constantIbLb1EES1B_EEDaS16_S17_EUlS16_E_NS1_11comp_targetILNS1_3genE2ELNS1_11target_archE906ELNS1_3gpuE6ELNS1_3repE0EEENS1_30default_config_static_selectorELNS0_4arch9wavefront6targetE1EEEvT1_,@function
_ZN7rocprim17ROCPRIM_400000_NS6detail17trampoline_kernelINS0_14default_configENS1_25partition_config_selectorILNS1_17partition_subalgoE1EyNS0_10empty_typeEbEEZZNS1_14partition_implILS5_1ELb0ES3_jN6thrust23THRUST_200600_302600_NS6detail15normal_iteratorINSA_10device_ptrIyEEEEPS6_NSA_18transform_iteratorI7is_evenIyESF_NSA_11use_defaultESK_EENS0_5tupleIJNSA_16discard_iteratorISK_EESO_EEENSM_IJSG_SG_EEES6_PlJS6_EEE10hipError_tPvRmT3_T4_T5_T6_T7_T9_mT8_P12ihipStream_tbDpT10_ENKUlT_T0_E_clISt17integral_constantIbLb1EES1B_EEDaS16_S17_EUlS16_E_NS1_11comp_targetILNS1_3genE2ELNS1_11target_archE906ELNS1_3gpuE6ELNS1_3repE0EEENS1_30default_config_static_selectorELNS0_4arch9wavefront6targetE1EEEvT1_: ; @_ZN7rocprim17ROCPRIM_400000_NS6detail17trampoline_kernelINS0_14default_configENS1_25partition_config_selectorILNS1_17partition_subalgoE1EyNS0_10empty_typeEbEEZZNS1_14partition_implILS5_1ELb0ES3_jN6thrust23THRUST_200600_302600_NS6detail15normal_iteratorINSA_10device_ptrIyEEEEPS6_NSA_18transform_iteratorI7is_evenIyESF_NSA_11use_defaultESK_EENS0_5tupleIJNSA_16discard_iteratorISK_EESO_EEENSM_IJSG_SG_EEES6_PlJS6_EEE10hipError_tPvRmT3_T4_T5_T6_T7_T9_mT8_P12ihipStream_tbDpT10_ENKUlT_T0_E_clISt17integral_constantIbLb1EES1B_EEDaS16_S17_EUlS16_E_NS1_11comp_targetILNS1_3genE2ELNS1_11target_archE906ELNS1_3gpuE6ELNS1_3repE0EEENS1_30default_config_static_selectorELNS0_4arch9wavefront6targetE1EEEvT1_
; %bb.0:
	.section	.rodata,"a",@progbits
	.p2align	6, 0x0
	.amdhsa_kernel _ZN7rocprim17ROCPRIM_400000_NS6detail17trampoline_kernelINS0_14default_configENS1_25partition_config_selectorILNS1_17partition_subalgoE1EyNS0_10empty_typeEbEEZZNS1_14partition_implILS5_1ELb0ES3_jN6thrust23THRUST_200600_302600_NS6detail15normal_iteratorINSA_10device_ptrIyEEEEPS6_NSA_18transform_iteratorI7is_evenIyESF_NSA_11use_defaultESK_EENS0_5tupleIJNSA_16discard_iteratorISK_EESO_EEENSM_IJSG_SG_EEES6_PlJS6_EEE10hipError_tPvRmT3_T4_T5_T6_T7_T9_mT8_P12ihipStream_tbDpT10_ENKUlT_T0_E_clISt17integral_constantIbLb1EES1B_EEDaS16_S17_EUlS16_E_NS1_11comp_targetILNS1_3genE2ELNS1_11target_archE906ELNS1_3gpuE6ELNS1_3repE0EEENS1_30default_config_static_selectorELNS0_4arch9wavefront6targetE1EEEvT1_
		.amdhsa_group_segment_fixed_size 0
		.amdhsa_private_segment_fixed_size 0
		.amdhsa_kernarg_size 160
		.amdhsa_user_sgpr_count 6
		.amdhsa_user_sgpr_private_segment_buffer 1
		.amdhsa_user_sgpr_dispatch_ptr 0
		.amdhsa_user_sgpr_queue_ptr 0
		.amdhsa_user_sgpr_kernarg_segment_ptr 1
		.amdhsa_user_sgpr_dispatch_id 0
		.amdhsa_user_sgpr_flat_scratch_init 0
		.amdhsa_user_sgpr_kernarg_preload_length 0
		.amdhsa_user_sgpr_kernarg_preload_offset 0
		.amdhsa_user_sgpr_private_segment_size 0
		.amdhsa_uses_dynamic_stack 0
		.amdhsa_system_sgpr_private_segment_wavefront_offset 0
		.amdhsa_system_sgpr_workgroup_id_x 1
		.amdhsa_system_sgpr_workgroup_id_y 0
		.amdhsa_system_sgpr_workgroup_id_z 0
		.amdhsa_system_sgpr_workgroup_info 0
		.amdhsa_system_vgpr_workitem_id 0
		.amdhsa_next_free_vgpr 1
		.amdhsa_next_free_sgpr 0
		.amdhsa_accum_offset 4
		.amdhsa_reserve_vcc 0
		.amdhsa_reserve_flat_scratch 0
		.amdhsa_float_round_mode_32 0
		.amdhsa_float_round_mode_16_64 0
		.amdhsa_float_denorm_mode_32 3
		.amdhsa_float_denorm_mode_16_64 3
		.amdhsa_dx10_clamp 1
		.amdhsa_ieee_mode 1
		.amdhsa_fp16_overflow 0
		.amdhsa_tg_split 0
		.amdhsa_exception_fp_ieee_invalid_op 0
		.amdhsa_exception_fp_denorm_src 0
		.amdhsa_exception_fp_ieee_div_zero 0
		.amdhsa_exception_fp_ieee_overflow 0
		.amdhsa_exception_fp_ieee_underflow 0
		.amdhsa_exception_fp_ieee_inexact 0
		.amdhsa_exception_int_div_zero 0
	.end_amdhsa_kernel
	.section	.text._ZN7rocprim17ROCPRIM_400000_NS6detail17trampoline_kernelINS0_14default_configENS1_25partition_config_selectorILNS1_17partition_subalgoE1EyNS0_10empty_typeEbEEZZNS1_14partition_implILS5_1ELb0ES3_jN6thrust23THRUST_200600_302600_NS6detail15normal_iteratorINSA_10device_ptrIyEEEEPS6_NSA_18transform_iteratorI7is_evenIyESF_NSA_11use_defaultESK_EENS0_5tupleIJNSA_16discard_iteratorISK_EESO_EEENSM_IJSG_SG_EEES6_PlJS6_EEE10hipError_tPvRmT3_T4_T5_T6_T7_T9_mT8_P12ihipStream_tbDpT10_ENKUlT_T0_E_clISt17integral_constantIbLb1EES1B_EEDaS16_S17_EUlS16_E_NS1_11comp_targetILNS1_3genE2ELNS1_11target_archE906ELNS1_3gpuE6ELNS1_3repE0EEENS1_30default_config_static_selectorELNS0_4arch9wavefront6targetE1EEEvT1_,"axG",@progbits,_ZN7rocprim17ROCPRIM_400000_NS6detail17trampoline_kernelINS0_14default_configENS1_25partition_config_selectorILNS1_17partition_subalgoE1EyNS0_10empty_typeEbEEZZNS1_14partition_implILS5_1ELb0ES3_jN6thrust23THRUST_200600_302600_NS6detail15normal_iteratorINSA_10device_ptrIyEEEEPS6_NSA_18transform_iteratorI7is_evenIyESF_NSA_11use_defaultESK_EENS0_5tupleIJNSA_16discard_iteratorISK_EESO_EEENSM_IJSG_SG_EEES6_PlJS6_EEE10hipError_tPvRmT3_T4_T5_T6_T7_T9_mT8_P12ihipStream_tbDpT10_ENKUlT_T0_E_clISt17integral_constantIbLb1EES1B_EEDaS16_S17_EUlS16_E_NS1_11comp_targetILNS1_3genE2ELNS1_11target_archE906ELNS1_3gpuE6ELNS1_3repE0EEENS1_30default_config_static_selectorELNS0_4arch9wavefront6targetE1EEEvT1_,comdat
.Lfunc_end2887:
	.size	_ZN7rocprim17ROCPRIM_400000_NS6detail17trampoline_kernelINS0_14default_configENS1_25partition_config_selectorILNS1_17partition_subalgoE1EyNS0_10empty_typeEbEEZZNS1_14partition_implILS5_1ELb0ES3_jN6thrust23THRUST_200600_302600_NS6detail15normal_iteratorINSA_10device_ptrIyEEEEPS6_NSA_18transform_iteratorI7is_evenIyESF_NSA_11use_defaultESK_EENS0_5tupleIJNSA_16discard_iteratorISK_EESO_EEENSM_IJSG_SG_EEES6_PlJS6_EEE10hipError_tPvRmT3_T4_T5_T6_T7_T9_mT8_P12ihipStream_tbDpT10_ENKUlT_T0_E_clISt17integral_constantIbLb1EES1B_EEDaS16_S17_EUlS16_E_NS1_11comp_targetILNS1_3genE2ELNS1_11target_archE906ELNS1_3gpuE6ELNS1_3repE0EEENS1_30default_config_static_selectorELNS0_4arch9wavefront6targetE1EEEvT1_, .Lfunc_end2887-_ZN7rocprim17ROCPRIM_400000_NS6detail17trampoline_kernelINS0_14default_configENS1_25partition_config_selectorILNS1_17partition_subalgoE1EyNS0_10empty_typeEbEEZZNS1_14partition_implILS5_1ELb0ES3_jN6thrust23THRUST_200600_302600_NS6detail15normal_iteratorINSA_10device_ptrIyEEEEPS6_NSA_18transform_iteratorI7is_evenIyESF_NSA_11use_defaultESK_EENS0_5tupleIJNSA_16discard_iteratorISK_EESO_EEENSM_IJSG_SG_EEES6_PlJS6_EEE10hipError_tPvRmT3_T4_T5_T6_T7_T9_mT8_P12ihipStream_tbDpT10_ENKUlT_T0_E_clISt17integral_constantIbLb1EES1B_EEDaS16_S17_EUlS16_E_NS1_11comp_targetILNS1_3genE2ELNS1_11target_archE906ELNS1_3gpuE6ELNS1_3repE0EEENS1_30default_config_static_selectorELNS0_4arch9wavefront6targetE1EEEvT1_
                                        ; -- End function
	.section	.AMDGPU.csdata,"",@progbits
; Kernel info:
; codeLenInByte = 0
; NumSgprs: 4
; NumVgprs: 0
; NumAgprs: 0
; TotalNumVgprs: 0
; ScratchSize: 0
; MemoryBound: 0
; FloatMode: 240
; IeeeMode: 1
; LDSByteSize: 0 bytes/workgroup (compile time only)
; SGPRBlocks: 0
; VGPRBlocks: 0
; NumSGPRsForWavesPerEU: 4
; NumVGPRsForWavesPerEU: 1
; AccumOffset: 4
; Occupancy: 8
; WaveLimiterHint : 0
; COMPUTE_PGM_RSRC2:SCRATCH_EN: 0
; COMPUTE_PGM_RSRC2:USER_SGPR: 6
; COMPUTE_PGM_RSRC2:TRAP_HANDLER: 0
; COMPUTE_PGM_RSRC2:TGID_X_EN: 1
; COMPUTE_PGM_RSRC2:TGID_Y_EN: 0
; COMPUTE_PGM_RSRC2:TGID_Z_EN: 0
; COMPUTE_PGM_RSRC2:TIDIG_COMP_CNT: 0
; COMPUTE_PGM_RSRC3_GFX90A:ACCUM_OFFSET: 0
; COMPUTE_PGM_RSRC3_GFX90A:TG_SPLIT: 0
	.section	.text._ZN7rocprim17ROCPRIM_400000_NS6detail17trampoline_kernelINS0_14default_configENS1_25partition_config_selectorILNS1_17partition_subalgoE1EyNS0_10empty_typeEbEEZZNS1_14partition_implILS5_1ELb0ES3_jN6thrust23THRUST_200600_302600_NS6detail15normal_iteratorINSA_10device_ptrIyEEEEPS6_NSA_18transform_iteratorI7is_evenIyESF_NSA_11use_defaultESK_EENS0_5tupleIJNSA_16discard_iteratorISK_EESO_EEENSM_IJSG_SG_EEES6_PlJS6_EEE10hipError_tPvRmT3_T4_T5_T6_T7_T9_mT8_P12ihipStream_tbDpT10_ENKUlT_T0_E_clISt17integral_constantIbLb1EES1B_EEDaS16_S17_EUlS16_E_NS1_11comp_targetILNS1_3genE10ELNS1_11target_archE1200ELNS1_3gpuE4ELNS1_3repE0EEENS1_30default_config_static_selectorELNS0_4arch9wavefront6targetE1EEEvT1_,"axG",@progbits,_ZN7rocprim17ROCPRIM_400000_NS6detail17trampoline_kernelINS0_14default_configENS1_25partition_config_selectorILNS1_17partition_subalgoE1EyNS0_10empty_typeEbEEZZNS1_14partition_implILS5_1ELb0ES3_jN6thrust23THRUST_200600_302600_NS6detail15normal_iteratorINSA_10device_ptrIyEEEEPS6_NSA_18transform_iteratorI7is_evenIyESF_NSA_11use_defaultESK_EENS0_5tupleIJNSA_16discard_iteratorISK_EESO_EEENSM_IJSG_SG_EEES6_PlJS6_EEE10hipError_tPvRmT3_T4_T5_T6_T7_T9_mT8_P12ihipStream_tbDpT10_ENKUlT_T0_E_clISt17integral_constantIbLb1EES1B_EEDaS16_S17_EUlS16_E_NS1_11comp_targetILNS1_3genE10ELNS1_11target_archE1200ELNS1_3gpuE4ELNS1_3repE0EEENS1_30default_config_static_selectorELNS0_4arch9wavefront6targetE1EEEvT1_,comdat
	.protected	_ZN7rocprim17ROCPRIM_400000_NS6detail17trampoline_kernelINS0_14default_configENS1_25partition_config_selectorILNS1_17partition_subalgoE1EyNS0_10empty_typeEbEEZZNS1_14partition_implILS5_1ELb0ES3_jN6thrust23THRUST_200600_302600_NS6detail15normal_iteratorINSA_10device_ptrIyEEEEPS6_NSA_18transform_iteratorI7is_evenIyESF_NSA_11use_defaultESK_EENS0_5tupleIJNSA_16discard_iteratorISK_EESO_EEENSM_IJSG_SG_EEES6_PlJS6_EEE10hipError_tPvRmT3_T4_T5_T6_T7_T9_mT8_P12ihipStream_tbDpT10_ENKUlT_T0_E_clISt17integral_constantIbLb1EES1B_EEDaS16_S17_EUlS16_E_NS1_11comp_targetILNS1_3genE10ELNS1_11target_archE1200ELNS1_3gpuE4ELNS1_3repE0EEENS1_30default_config_static_selectorELNS0_4arch9wavefront6targetE1EEEvT1_ ; -- Begin function _ZN7rocprim17ROCPRIM_400000_NS6detail17trampoline_kernelINS0_14default_configENS1_25partition_config_selectorILNS1_17partition_subalgoE1EyNS0_10empty_typeEbEEZZNS1_14partition_implILS5_1ELb0ES3_jN6thrust23THRUST_200600_302600_NS6detail15normal_iteratorINSA_10device_ptrIyEEEEPS6_NSA_18transform_iteratorI7is_evenIyESF_NSA_11use_defaultESK_EENS0_5tupleIJNSA_16discard_iteratorISK_EESO_EEENSM_IJSG_SG_EEES6_PlJS6_EEE10hipError_tPvRmT3_T4_T5_T6_T7_T9_mT8_P12ihipStream_tbDpT10_ENKUlT_T0_E_clISt17integral_constantIbLb1EES1B_EEDaS16_S17_EUlS16_E_NS1_11comp_targetILNS1_3genE10ELNS1_11target_archE1200ELNS1_3gpuE4ELNS1_3repE0EEENS1_30default_config_static_selectorELNS0_4arch9wavefront6targetE1EEEvT1_
	.globl	_ZN7rocprim17ROCPRIM_400000_NS6detail17trampoline_kernelINS0_14default_configENS1_25partition_config_selectorILNS1_17partition_subalgoE1EyNS0_10empty_typeEbEEZZNS1_14partition_implILS5_1ELb0ES3_jN6thrust23THRUST_200600_302600_NS6detail15normal_iteratorINSA_10device_ptrIyEEEEPS6_NSA_18transform_iteratorI7is_evenIyESF_NSA_11use_defaultESK_EENS0_5tupleIJNSA_16discard_iteratorISK_EESO_EEENSM_IJSG_SG_EEES6_PlJS6_EEE10hipError_tPvRmT3_T4_T5_T6_T7_T9_mT8_P12ihipStream_tbDpT10_ENKUlT_T0_E_clISt17integral_constantIbLb1EES1B_EEDaS16_S17_EUlS16_E_NS1_11comp_targetILNS1_3genE10ELNS1_11target_archE1200ELNS1_3gpuE4ELNS1_3repE0EEENS1_30default_config_static_selectorELNS0_4arch9wavefront6targetE1EEEvT1_
	.p2align	8
	.type	_ZN7rocprim17ROCPRIM_400000_NS6detail17trampoline_kernelINS0_14default_configENS1_25partition_config_selectorILNS1_17partition_subalgoE1EyNS0_10empty_typeEbEEZZNS1_14partition_implILS5_1ELb0ES3_jN6thrust23THRUST_200600_302600_NS6detail15normal_iteratorINSA_10device_ptrIyEEEEPS6_NSA_18transform_iteratorI7is_evenIyESF_NSA_11use_defaultESK_EENS0_5tupleIJNSA_16discard_iteratorISK_EESO_EEENSM_IJSG_SG_EEES6_PlJS6_EEE10hipError_tPvRmT3_T4_T5_T6_T7_T9_mT8_P12ihipStream_tbDpT10_ENKUlT_T0_E_clISt17integral_constantIbLb1EES1B_EEDaS16_S17_EUlS16_E_NS1_11comp_targetILNS1_3genE10ELNS1_11target_archE1200ELNS1_3gpuE4ELNS1_3repE0EEENS1_30default_config_static_selectorELNS0_4arch9wavefront6targetE1EEEvT1_,@function
_ZN7rocprim17ROCPRIM_400000_NS6detail17trampoline_kernelINS0_14default_configENS1_25partition_config_selectorILNS1_17partition_subalgoE1EyNS0_10empty_typeEbEEZZNS1_14partition_implILS5_1ELb0ES3_jN6thrust23THRUST_200600_302600_NS6detail15normal_iteratorINSA_10device_ptrIyEEEEPS6_NSA_18transform_iteratorI7is_evenIyESF_NSA_11use_defaultESK_EENS0_5tupleIJNSA_16discard_iteratorISK_EESO_EEENSM_IJSG_SG_EEES6_PlJS6_EEE10hipError_tPvRmT3_T4_T5_T6_T7_T9_mT8_P12ihipStream_tbDpT10_ENKUlT_T0_E_clISt17integral_constantIbLb1EES1B_EEDaS16_S17_EUlS16_E_NS1_11comp_targetILNS1_3genE10ELNS1_11target_archE1200ELNS1_3gpuE4ELNS1_3repE0EEENS1_30default_config_static_selectorELNS0_4arch9wavefront6targetE1EEEvT1_: ; @_ZN7rocprim17ROCPRIM_400000_NS6detail17trampoline_kernelINS0_14default_configENS1_25partition_config_selectorILNS1_17partition_subalgoE1EyNS0_10empty_typeEbEEZZNS1_14partition_implILS5_1ELb0ES3_jN6thrust23THRUST_200600_302600_NS6detail15normal_iteratorINSA_10device_ptrIyEEEEPS6_NSA_18transform_iteratorI7is_evenIyESF_NSA_11use_defaultESK_EENS0_5tupleIJNSA_16discard_iteratorISK_EESO_EEENSM_IJSG_SG_EEES6_PlJS6_EEE10hipError_tPvRmT3_T4_T5_T6_T7_T9_mT8_P12ihipStream_tbDpT10_ENKUlT_T0_E_clISt17integral_constantIbLb1EES1B_EEDaS16_S17_EUlS16_E_NS1_11comp_targetILNS1_3genE10ELNS1_11target_archE1200ELNS1_3gpuE4ELNS1_3repE0EEENS1_30default_config_static_selectorELNS0_4arch9wavefront6targetE1EEEvT1_
; %bb.0:
	.section	.rodata,"a",@progbits
	.p2align	6, 0x0
	.amdhsa_kernel _ZN7rocprim17ROCPRIM_400000_NS6detail17trampoline_kernelINS0_14default_configENS1_25partition_config_selectorILNS1_17partition_subalgoE1EyNS0_10empty_typeEbEEZZNS1_14partition_implILS5_1ELb0ES3_jN6thrust23THRUST_200600_302600_NS6detail15normal_iteratorINSA_10device_ptrIyEEEEPS6_NSA_18transform_iteratorI7is_evenIyESF_NSA_11use_defaultESK_EENS0_5tupleIJNSA_16discard_iteratorISK_EESO_EEENSM_IJSG_SG_EEES6_PlJS6_EEE10hipError_tPvRmT3_T4_T5_T6_T7_T9_mT8_P12ihipStream_tbDpT10_ENKUlT_T0_E_clISt17integral_constantIbLb1EES1B_EEDaS16_S17_EUlS16_E_NS1_11comp_targetILNS1_3genE10ELNS1_11target_archE1200ELNS1_3gpuE4ELNS1_3repE0EEENS1_30default_config_static_selectorELNS0_4arch9wavefront6targetE1EEEvT1_
		.amdhsa_group_segment_fixed_size 0
		.amdhsa_private_segment_fixed_size 0
		.amdhsa_kernarg_size 160
		.amdhsa_user_sgpr_count 6
		.amdhsa_user_sgpr_private_segment_buffer 1
		.amdhsa_user_sgpr_dispatch_ptr 0
		.amdhsa_user_sgpr_queue_ptr 0
		.amdhsa_user_sgpr_kernarg_segment_ptr 1
		.amdhsa_user_sgpr_dispatch_id 0
		.amdhsa_user_sgpr_flat_scratch_init 0
		.amdhsa_user_sgpr_kernarg_preload_length 0
		.amdhsa_user_sgpr_kernarg_preload_offset 0
		.amdhsa_user_sgpr_private_segment_size 0
		.amdhsa_uses_dynamic_stack 0
		.amdhsa_system_sgpr_private_segment_wavefront_offset 0
		.amdhsa_system_sgpr_workgroup_id_x 1
		.amdhsa_system_sgpr_workgroup_id_y 0
		.amdhsa_system_sgpr_workgroup_id_z 0
		.amdhsa_system_sgpr_workgroup_info 0
		.amdhsa_system_vgpr_workitem_id 0
		.amdhsa_next_free_vgpr 1
		.amdhsa_next_free_sgpr 0
		.amdhsa_accum_offset 4
		.amdhsa_reserve_vcc 0
		.amdhsa_reserve_flat_scratch 0
		.amdhsa_float_round_mode_32 0
		.amdhsa_float_round_mode_16_64 0
		.amdhsa_float_denorm_mode_32 3
		.amdhsa_float_denorm_mode_16_64 3
		.amdhsa_dx10_clamp 1
		.amdhsa_ieee_mode 1
		.amdhsa_fp16_overflow 0
		.amdhsa_tg_split 0
		.amdhsa_exception_fp_ieee_invalid_op 0
		.amdhsa_exception_fp_denorm_src 0
		.amdhsa_exception_fp_ieee_div_zero 0
		.amdhsa_exception_fp_ieee_overflow 0
		.amdhsa_exception_fp_ieee_underflow 0
		.amdhsa_exception_fp_ieee_inexact 0
		.amdhsa_exception_int_div_zero 0
	.end_amdhsa_kernel
	.section	.text._ZN7rocprim17ROCPRIM_400000_NS6detail17trampoline_kernelINS0_14default_configENS1_25partition_config_selectorILNS1_17partition_subalgoE1EyNS0_10empty_typeEbEEZZNS1_14partition_implILS5_1ELb0ES3_jN6thrust23THRUST_200600_302600_NS6detail15normal_iteratorINSA_10device_ptrIyEEEEPS6_NSA_18transform_iteratorI7is_evenIyESF_NSA_11use_defaultESK_EENS0_5tupleIJNSA_16discard_iteratorISK_EESO_EEENSM_IJSG_SG_EEES6_PlJS6_EEE10hipError_tPvRmT3_T4_T5_T6_T7_T9_mT8_P12ihipStream_tbDpT10_ENKUlT_T0_E_clISt17integral_constantIbLb1EES1B_EEDaS16_S17_EUlS16_E_NS1_11comp_targetILNS1_3genE10ELNS1_11target_archE1200ELNS1_3gpuE4ELNS1_3repE0EEENS1_30default_config_static_selectorELNS0_4arch9wavefront6targetE1EEEvT1_,"axG",@progbits,_ZN7rocprim17ROCPRIM_400000_NS6detail17trampoline_kernelINS0_14default_configENS1_25partition_config_selectorILNS1_17partition_subalgoE1EyNS0_10empty_typeEbEEZZNS1_14partition_implILS5_1ELb0ES3_jN6thrust23THRUST_200600_302600_NS6detail15normal_iteratorINSA_10device_ptrIyEEEEPS6_NSA_18transform_iteratorI7is_evenIyESF_NSA_11use_defaultESK_EENS0_5tupleIJNSA_16discard_iteratorISK_EESO_EEENSM_IJSG_SG_EEES6_PlJS6_EEE10hipError_tPvRmT3_T4_T5_T6_T7_T9_mT8_P12ihipStream_tbDpT10_ENKUlT_T0_E_clISt17integral_constantIbLb1EES1B_EEDaS16_S17_EUlS16_E_NS1_11comp_targetILNS1_3genE10ELNS1_11target_archE1200ELNS1_3gpuE4ELNS1_3repE0EEENS1_30default_config_static_selectorELNS0_4arch9wavefront6targetE1EEEvT1_,comdat
.Lfunc_end2888:
	.size	_ZN7rocprim17ROCPRIM_400000_NS6detail17trampoline_kernelINS0_14default_configENS1_25partition_config_selectorILNS1_17partition_subalgoE1EyNS0_10empty_typeEbEEZZNS1_14partition_implILS5_1ELb0ES3_jN6thrust23THRUST_200600_302600_NS6detail15normal_iteratorINSA_10device_ptrIyEEEEPS6_NSA_18transform_iteratorI7is_evenIyESF_NSA_11use_defaultESK_EENS0_5tupleIJNSA_16discard_iteratorISK_EESO_EEENSM_IJSG_SG_EEES6_PlJS6_EEE10hipError_tPvRmT3_T4_T5_T6_T7_T9_mT8_P12ihipStream_tbDpT10_ENKUlT_T0_E_clISt17integral_constantIbLb1EES1B_EEDaS16_S17_EUlS16_E_NS1_11comp_targetILNS1_3genE10ELNS1_11target_archE1200ELNS1_3gpuE4ELNS1_3repE0EEENS1_30default_config_static_selectorELNS0_4arch9wavefront6targetE1EEEvT1_, .Lfunc_end2888-_ZN7rocprim17ROCPRIM_400000_NS6detail17trampoline_kernelINS0_14default_configENS1_25partition_config_selectorILNS1_17partition_subalgoE1EyNS0_10empty_typeEbEEZZNS1_14partition_implILS5_1ELb0ES3_jN6thrust23THRUST_200600_302600_NS6detail15normal_iteratorINSA_10device_ptrIyEEEEPS6_NSA_18transform_iteratorI7is_evenIyESF_NSA_11use_defaultESK_EENS0_5tupleIJNSA_16discard_iteratorISK_EESO_EEENSM_IJSG_SG_EEES6_PlJS6_EEE10hipError_tPvRmT3_T4_T5_T6_T7_T9_mT8_P12ihipStream_tbDpT10_ENKUlT_T0_E_clISt17integral_constantIbLb1EES1B_EEDaS16_S17_EUlS16_E_NS1_11comp_targetILNS1_3genE10ELNS1_11target_archE1200ELNS1_3gpuE4ELNS1_3repE0EEENS1_30default_config_static_selectorELNS0_4arch9wavefront6targetE1EEEvT1_
                                        ; -- End function
	.section	.AMDGPU.csdata,"",@progbits
; Kernel info:
; codeLenInByte = 0
; NumSgprs: 4
; NumVgprs: 0
; NumAgprs: 0
; TotalNumVgprs: 0
; ScratchSize: 0
; MemoryBound: 0
; FloatMode: 240
; IeeeMode: 1
; LDSByteSize: 0 bytes/workgroup (compile time only)
; SGPRBlocks: 0
; VGPRBlocks: 0
; NumSGPRsForWavesPerEU: 4
; NumVGPRsForWavesPerEU: 1
; AccumOffset: 4
; Occupancy: 8
; WaveLimiterHint : 0
; COMPUTE_PGM_RSRC2:SCRATCH_EN: 0
; COMPUTE_PGM_RSRC2:USER_SGPR: 6
; COMPUTE_PGM_RSRC2:TRAP_HANDLER: 0
; COMPUTE_PGM_RSRC2:TGID_X_EN: 1
; COMPUTE_PGM_RSRC2:TGID_Y_EN: 0
; COMPUTE_PGM_RSRC2:TGID_Z_EN: 0
; COMPUTE_PGM_RSRC2:TIDIG_COMP_CNT: 0
; COMPUTE_PGM_RSRC3_GFX90A:ACCUM_OFFSET: 0
; COMPUTE_PGM_RSRC3_GFX90A:TG_SPLIT: 0
	.section	.text._ZN7rocprim17ROCPRIM_400000_NS6detail17trampoline_kernelINS0_14default_configENS1_25partition_config_selectorILNS1_17partition_subalgoE1EyNS0_10empty_typeEbEEZZNS1_14partition_implILS5_1ELb0ES3_jN6thrust23THRUST_200600_302600_NS6detail15normal_iteratorINSA_10device_ptrIyEEEEPS6_NSA_18transform_iteratorI7is_evenIyESF_NSA_11use_defaultESK_EENS0_5tupleIJNSA_16discard_iteratorISK_EESO_EEENSM_IJSG_SG_EEES6_PlJS6_EEE10hipError_tPvRmT3_T4_T5_T6_T7_T9_mT8_P12ihipStream_tbDpT10_ENKUlT_T0_E_clISt17integral_constantIbLb1EES1B_EEDaS16_S17_EUlS16_E_NS1_11comp_targetILNS1_3genE9ELNS1_11target_archE1100ELNS1_3gpuE3ELNS1_3repE0EEENS1_30default_config_static_selectorELNS0_4arch9wavefront6targetE1EEEvT1_,"axG",@progbits,_ZN7rocprim17ROCPRIM_400000_NS6detail17trampoline_kernelINS0_14default_configENS1_25partition_config_selectorILNS1_17partition_subalgoE1EyNS0_10empty_typeEbEEZZNS1_14partition_implILS5_1ELb0ES3_jN6thrust23THRUST_200600_302600_NS6detail15normal_iteratorINSA_10device_ptrIyEEEEPS6_NSA_18transform_iteratorI7is_evenIyESF_NSA_11use_defaultESK_EENS0_5tupleIJNSA_16discard_iteratorISK_EESO_EEENSM_IJSG_SG_EEES6_PlJS6_EEE10hipError_tPvRmT3_T4_T5_T6_T7_T9_mT8_P12ihipStream_tbDpT10_ENKUlT_T0_E_clISt17integral_constantIbLb1EES1B_EEDaS16_S17_EUlS16_E_NS1_11comp_targetILNS1_3genE9ELNS1_11target_archE1100ELNS1_3gpuE3ELNS1_3repE0EEENS1_30default_config_static_selectorELNS0_4arch9wavefront6targetE1EEEvT1_,comdat
	.protected	_ZN7rocprim17ROCPRIM_400000_NS6detail17trampoline_kernelINS0_14default_configENS1_25partition_config_selectorILNS1_17partition_subalgoE1EyNS0_10empty_typeEbEEZZNS1_14partition_implILS5_1ELb0ES3_jN6thrust23THRUST_200600_302600_NS6detail15normal_iteratorINSA_10device_ptrIyEEEEPS6_NSA_18transform_iteratorI7is_evenIyESF_NSA_11use_defaultESK_EENS0_5tupleIJNSA_16discard_iteratorISK_EESO_EEENSM_IJSG_SG_EEES6_PlJS6_EEE10hipError_tPvRmT3_T4_T5_T6_T7_T9_mT8_P12ihipStream_tbDpT10_ENKUlT_T0_E_clISt17integral_constantIbLb1EES1B_EEDaS16_S17_EUlS16_E_NS1_11comp_targetILNS1_3genE9ELNS1_11target_archE1100ELNS1_3gpuE3ELNS1_3repE0EEENS1_30default_config_static_selectorELNS0_4arch9wavefront6targetE1EEEvT1_ ; -- Begin function _ZN7rocprim17ROCPRIM_400000_NS6detail17trampoline_kernelINS0_14default_configENS1_25partition_config_selectorILNS1_17partition_subalgoE1EyNS0_10empty_typeEbEEZZNS1_14partition_implILS5_1ELb0ES3_jN6thrust23THRUST_200600_302600_NS6detail15normal_iteratorINSA_10device_ptrIyEEEEPS6_NSA_18transform_iteratorI7is_evenIyESF_NSA_11use_defaultESK_EENS0_5tupleIJNSA_16discard_iteratorISK_EESO_EEENSM_IJSG_SG_EEES6_PlJS6_EEE10hipError_tPvRmT3_T4_T5_T6_T7_T9_mT8_P12ihipStream_tbDpT10_ENKUlT_T0_E_clISt17integral_constantIbLb1EES1B_EEDaS16_S17_EUlS16_E_NS1_11comp_targetILNS1_3genE9ELNS1_11target_archE1100ELNS1_3gpuE3ELNS1_3repE0EEENS1_30default_config_static_selectorELNS0_4arch9wavefront6targetE1EEEvT1_
	.globl	_ZN7rocprim17ROCPRIM_400000_NS6detail17trampoline_kernelINS0_14default_configENS1_25partition_config_selectorILNS1_17partition_subalgoE1EyNS0_10empty_typeEbEEZZNS1_14partition_implILS5_1ELb0ES3_jN6thrust23THRUST_200600_302600_NS6detail15normal_iteratorINSA_10device_ptrIyEEEEPS6_NSA_18transform_iteratorI7is_evenIyESF_NSA_11use_defaultESK_EENS0_5tupleIJNSA_16discard_iteratorISK_EESO_EEENSM_IJSG_SG_EEES6_PlJS6_EEE10hipError_tPvRmT3_T4_T5_T6_T7_T9_mT8_P12ihipStream_tbDpT10_ENKUlT_T0_E_clISt17integral_constantIbLb1EES1B_EEDaS16_S17_EUlS16_E_NS1_11comp_targetILNS1_3genE9ELNS1_11target_archE1100ELNS1_3gpuE3ELNS1_3repE0EEENS1_30default_config_static_selectorELNS0_4arch9wavefront6targetE1EEEvT1_
	.p2align	8
	.type	_ZN7rocprim17ROCPRIM_400000_NS6detail17trampoline_kernelINS0_14default_configENS1_25partition_config_selectorILNS1_17partition_subalgoE1EyNS0_10empty_typeEbEEZZNS1_14partition_implILS5_1ELb0ES3_jN6thrust23THRUST_200600_302600_NS6detail15normal_iteratorINSA_10device_ptrIyEEEEPS6_NSA_18transform_iteratorI7is_evenIyESF_NSA_11use_defaultESK_EENS0_5tupleIJNSA_16discard_iteratorISK_EESO_EEENSM_IJSG_SG_EEES6_PlJS6_EEE10hipError_tPvRmT3_T4_T5_T6_T7_T9_mT8_P12ihipStream_tbDpT10_ENKUlT_T0_E_clISt17integral_constantIbLb1EES1B_EEDaS16_S17_EUlS16_E_NS1_11comp_targetILNS1_3genE9ELNS1_11target_archE1100ELNS1_3gpuE3ELNS1_3repE0EEENS1_30default_config_static_selectorELNS0_4arch9wavefront6targetE1EEEvT1_,@function
_ZN7rocprim17ROCPRIM_400000_NS6detail17trampoline_kernelINS0_14default_configENS1_25partition_config_selectorILNS1_17partition_subalgoE1EyNS0_10empty_typeEbEEZZNS1_14partition_implILS5_1ELb0ES3_jN6thrust23THRUST_200600_302600_NS6detail15normal_iteratorINSA_10device_ptrIyEEEEPS6_NSA_18transform_iteratorI7is_evenIyESF_NSA_11use_defaultESK_EENS0_5tupleIJNSA_16discard_iteratorISK_EESO_EEENSM_IJSG_SG_EEES6_PlJS6_EEE10hipError_tPvRmT3_T4_T5_T6_T7_T9_mT8_P12ihipStream_tbDpT10_ENKUlT_T0_E_clISt17integral_constantIbLb1EES1B_EEDaS16_S17_EUlS16_E_NS1_11comp_targetILNS1_3genE9ELNS1_11target_archE1100ELNS1_3gpuE3ELNS1_3repE0EEENS1_30default_config_static_selectorELNS0_4arch9wavefront6targetE1EEEvT1_: ; @_ZN7rocprim17ROCPRIM_400000_NS6detail17trampoline_kernelINS0_14default_configENS1_25partition_config_selectorILNS1_17partition_subalgoE1EyNS0_10empty_typeEbEEZZNS1_14partition_implILS5_1ELb0ES3_jN6thrust23THRUST_200600_302600_NS6detail15normal_iteratorINSA_10device_ptrIyEEEEPS6_NSA_18transform_iteratorI7is_evenIyESF_NSA_11use_defaultESK_EENS0_5tupleIJNSA_16discard_iteratorISK_EESO_EEENSM_IJSG_SG_EEES6_PlJS6_EEE10hipError_tPvRmT3_T4_T5_T6_T7_T9_mT8_P12ihipStream_tbDpT10_ENKUlT_T0_E_clISt17integral_constantIbLb1EES1B_EEDaS16_S17_EUlS16_E_NS1_11comp_targetILNS1_3genE9ELNS1_11target_archE1100ELNS1_3gpuE3ELNS1_3repE0EEENS1_30default_config_static_selectorELNS0_4arch9wavefront6targetE1EEEvT1_
; %bb.0:
	.section	.rodata,"a",@progbits
	.p2align	6, 0x0
	.amdhsa_kernel _ZN7rocprim17ROCPRIM_400000_NS6detail17trampoline_kernelINS0_14default_configENS1_25partition_config_selectorILNS1_17partition_subalgoE1EyNS0_10empty_typeEbEEZZNS1_14partition_implILS5_1ELb0ES3_jN6thrust23THRUST_200600_302600_NS6detail15normal_iteratorINSA_10device_ptrIyEEEEPS6_NSA_18transform_iteratorI7is_evenIyESF_NSA_11use_defaultESK_EENS0_5tupleIJNSA_16discard_iteratorISK_EESO_EEENSM_IJSG_SG_EEES6_PlJS6_EEE10hipError_tPvRmT3_T4_T5_T6_T7_T9_mT8_P12ihipStream_tbDpT10_ENKUlT_T0_E_clISt17integral_constantIbLb1EES1B_EEDaS16_S17_EUlS16_E_NS1_11comp_targetILNS1_3genE9ELNS1_11target_archE1100ELNS1_3gpuE3ELNS1_3repE0EEENS1_30default_config_static_selectorELNS0_4arch9wavefront6targetE1EEEvT1_
		.amdhsa_group_segment_fixed_size 0
		.amdhsa_private_segment_fixed_size 0
		.amdhsa_kernarg_size 160
		.amdhsa_user_sgpr_count 6
		.amdhsa_user_sgpr_private_segment_buffer 1
		.amdhsa_user_sgpr_dispatch_ptr 0
		.amdhsa_user_sgpr_queue_ptr 0
		.amdhsa_user_sgpr_kernarg_segment_ptr 1
		.amdhsa_user_sgpr_dispatch_id 0
		.amdhsa_user_sgpr_flat_scratch_init 0
		.amdhsa_user_sgpr_kernarg_preload_length 0
		.amdhsa_user_sgpr_kernarg_preload_offset 0
		.amdhsa_user_sgpr_private_segment_size 0
		.amdhsa_uses_dynamic_stack 0
		.amdhsa_system_sgpr_private_segment_wavefront_offset 0
		.amdhsa_system_sgpr_workgroup_id_x 1
		.amdhsa_system_sgpr_workgroup_id_y 0
		.amdhsa_system_sgpr_workgroup_id_z 0
		.amdhsa_system_sgpr_workgroup_info 0
		.amdhsa_system_vgpr_workitem_id 0
		.amdhsa_next_free_vgpr 1
		.amdhsa_next_free_sgpr 0
		.amdhsa_accum_offset 4
		.amdhsa_reserve_vcc 0
		.amdhsa_reserve_flat_scratch 0
		.amdhsa_float_round_mode_32 0
		.amdhsa_float_round_mode_16_64 0
		.amdhsa_float_denorm_mode_32 3
		.amdhsa_float_denorm_mode_16_64 3
		.amdhsa_dx10_clamp 1
		.amdhsa_ieee_mode 1
		.amdhsa_fp16_overflow 0
		.amdhsa_tg_split 0
		.amdhsa_exception_fp_ieee_invalid_op 0
		.amdhsa_exception_fp_denorm_src 0
		.amdhsa_exception_fp_ieee_div_zero 0
		.amdhsa_exception_fp_ieee_overflow 0
		.amdhsa_exception_fp_ieee_underflow 0
		.amdhsa_exception_fp_ieee_inexact 0
		.amdhsa_exception_int_div_zero 0
	.end_amdhsa_kernel
	.section	.text._ZN7rocprim17ROCPRIM_400000_NS6detail17trampoline_kernelINS0_14default_configENS1_25partition_config_selectorILNS1_17partition_subalgoE1EyNS0_10empty_typeEbEEZZNS1_14partition_implILS5_1ELb0ES3_jN6thrust23THRUST_200600_302600_NS6detail15normal_iteratorINSA_10device_ptrIyEEEEPS6_NSA_18transform_iteratorI7is_evenIyESF_NSA_11use_defaultESK_EENS0_5tupleIJNSA_16discard_iteratorISK_EESO_EEENSM_IJSG_SG_EEES6_PlJS6_EEE10hipError_tPvRmT3_T4_T5_T6_T7_T9_mT8_P12ihipStream_tbDpT10_ENKUlT_T0_E_clISt17integral_constantIbLb1EES1B_EEDaS16_S17_EUlS16_E_NS1_11comp_targetILNS1_3genE9ELNS1_11target_archE1100ELNS1_3gpuE3ELNS1_3repE0EEENS1_30default_config_static_selectorELNS0_4arch9wavefront6targetE1EEEvT1_,"axG",@progbits,_ZN7rocprim17ROCPRIM_400000_NS6detail17trampoline_kernelINS0_14default_configENS1_25partition_config_selectorILNS1_17partition_subalgoE1EyNS0_10empty_typeEbEEZZNS1_14partition_implILS5_1ELb0ES3_jN6thrust23THRUST_200600_302600_NS6detail15normal_iteratorINSA_10device_ptrIyEEEEPS6_NSA_18transform_iteratorI7is_evenIyESF_NSA_11use_defaultESK_EENS0_5tupleIJNSA_16discard_iteratorISK_EESO_EEENSM_IJSG_SG_EEES6_PlJS6_EEE10hipError_tPvRmT3_T4_T5_T6_T7_T9_mT8_P12ihipStream_tbDpT10_ENKUlT_T0_E_clISt17integral_constantIbLb1EES1B_EEDaS16_S17_EUlS16_E_NS1_11comp_targetILNS1_3genE9ELNS1_11target_archE1100ELNS1_3gpuE3ELNS1_3repE0EEENS1_30default_config_static_selectorELNS0_4arch9wavefront6targetE1EEEvT1_,comdat
.Lfunc_end2889:
	.size	_ZN7rocprim17ROCPRIM_400000_NS6detail17trampoline_kernelINS0_14default_configENS1_25partition_config_selectorILNS1_17partition_subalgoE1EyNS0_10empty_typeEbEEZZNS1_14partition_implILS5_1ELb0ES3_jN6thrust23THRUST_200600_302600_NS6detail15normal_iteratorINSA_10device_ptrIyEEEEPS6_NSA_18transform_iteratorI7is_evenIyESF_NSA_11use_defaultESK_EENS0_5tupleIJNSA_16discard_iteratorISK_EESO_EEENSM_IJSG_SG_EEES6_PlJS6_EEE10hipError_tPvRmT3_T4_T5_T6_T7_T9_mT8_P12ihipStream_tbDpT10_ENKUlT_T0_E_clISt17integral_constantIbLb1EES1B_EEDaS16_S17_EUlS16_E_NS1_11comp_targetILNS1_3genE9ELNS1_11target_archE1100ELNS1_3gpuE3ELNS1_3repE0EEENS1_30default_config_static_selectorELNS0_4arch9wavefront6targetE1EEEvT1_, .Lfunc_end2889-_ZN7rocprim17ROCPRIM_400000_NS6detail17trampoline_kernelINS0_14default_configENS1_25partition_config_selectorILNS1_17partition_subalgoE1EyNS0_10empty_typeEbEEZZNS1_14partition_implILS5_1ELb0ES3_jN6thrust23THRUST_200600_302600_NS6detail15normal_iteratorINSA_10device_ptrIyEEEEPS6_NSA_18transform_iteratorI7is_evenIyESF_NSA_11use_defaultESK_EENS0_5tupleIJNSA_16discard_iteratorISK_EESO_EEENSM_IJSG_SG_EEES6_PlJS6_EEE10hipError_tPvRmT3_T4_T5_T6_T7_T9_mT8_P12ihipStream_tbDpT10_ENKUlT_T0_E_clISt17integral_constantIbLb1EES1B_EEDaS16_S17_EUlS16_E_NS1_11comp_targetILNS1_3genE9ELNS1_11target_archE1100ELNS1_3gpuE3ELNS1_3repE0EEENS1_30default_config_static_selectorELNS0_4arch9wavefront6targetE1EEEvT1_
                                        ; -- End function
	.section	.AMDGPU.csdata,"",@progbits
; Kernel info:
; codeLenInByte = 0
; NumSgprs: 4
; NumVgprs: 0
; NumAgprs: 0
; TotalNumVgprs: 0
; ScratchSize: 0
; MemoryBound: 0
; FloatMode: 240
; IeeeMode: 1
; LDSByteSize: 0 bytes/workgroup (compile time only)
; SGPRBlocks: 0
; VGPRBlocks: 0
; NumSGPRsForWavesPerEU: 4
; NumVGPRsForWavesPerEU: 1
; AccumOffset: 4
; Occupancy: 8
; WaveLimiterHint : 0
; COMPUTE_PGM_RSRC2:SCRATCH_EN: 0
; COMPUTE_PGM_RSRC2:USER_SGPR: 6
; COMPUTE_PGM_RSRC2:TRAP_HANDLER: 0
; COMPUTE_PGM_RSRC2:TGID_X_EN: 1
; COMPUTE_PGM_RSRC2:TGID_Y_EN: 0
; COMPUTE_PGM_RSRC2:TGID_Z_EN: 0
; COMPUTE_PGM_RSRC2:TIDIG_COMP_CNT: 0
; COMPUTE_PGM_RSRC3_GFX90A:ACCUM_OFFSET: 0
; COMPUTE_PGM_RSRC3_GFX90A:TG_SPLIT: 0
	.section	.text._ZN7rocprim17ROCPRIM_400000_NS6detail17trampoline_kernelINS0_14default_configENS1_25partition_config_selectorILNS1_17partition_subalgoE1EyNS0_10empty_typeEbEEZZNS1_14partition_implILS5_1ELb0ES3_jN6thrust23THRUST_200600_302600_NS6detail15normal_iteratorINSA_10device_ptrIyEEEEPS6_NSA_18transform_iteratorI7is_evenIyESF_NSA_11use_defaultESK_EENS0_5tupleIJNSA_16discard_iteratorISK_EESO_EEENSM_IJSG_SG_EEES6_PlJS6_EEE10hipError_tPvRmT3_T4_T5_T6_T7_T9_mT8_P12ihipStream_tbDpT10_ENKUlT_T0_E_clISt17integral_constantIbLb1EES1B_EEDaS16_S17_EUlS16_E_NS1_11comp_targetILNS1_3genE8ELNS1_11target_archE1030ELNS1_3gpuE2ELNS1_3repE0EEENS1_30default_config_static_selectorELNS0_4arch9wavefront6targetE1EEEvT1_,"axG",@progbits,_ZN7rocprim17ROCPRIM_400000_NS6detail17trampoline_kernelINS0_14default_configENS1_25partition_config_selectorILNS1_17partition_subalgoE1EyNS0_10empty_typeEbEEZZNS1_14partition_implILS5_1ELb0ES3_jN6thrust23THRUST_200600_302600_NS6detail15normal_iteratorINSA_10device_ptrIyEEEEPS6_NSA_18transform_iteratorI7is_evenIyESF_NSA_11use_defaultESK_EENS0_5tupleIJNSA_16discard_iteratorISK_EESO_EEENSM_IJSG_SG_EEES6_PlJS6_EEE10hipError_tPvRmT3_T4_T5_T6_T7_T9_mT8_P12ihipStream_tbDpT10_ENKUlT_T0_E_clISt17integral_constantIbLb1EES1B_EEDaS16_S17_EUlS16_E_NS1_11comp_targetILNS1_3genE8ELNS1_11target_archE1030ELNS1_3gpuE2ELNS1_3repE0EEENS1_30default_config_static_selectorELNS0_4arch9wavefront6targetE1EEEvT1_,comdat
	.protected	_ZN7rocprim17ROCPRIM_400000_NS6detail17trampoline_kernelINS0_14default_configENS1_25partition_config_selectorILNS1_17partition_subalgoE1EyNS0_10empty_typeEbEEZZNS1_14partition_implILS5_1ELb0ES3_jN6thrust23THRUST_200600_302600_NS6detail15normal_iteratorINSA_10device_ptrIyEEEEPS6_NSA_18transform_iteratorI7is_evenIyESF_NSA_11use_defaultESK_EENS0_5tupleIJNSA_16discard_iteratorISK_EESO_EEENSM_IJSG_SG_EEES6_PlJS6_EEE10hipError_tPvRmT3_T4_T5_T6_T7_T9_mT8_P12ihipStream_tbDpT10_ENKUlT_T0_E_clISt17integral_constantIbLb1EES1B_EEDaS16_S17_EUlS16_E_NS1_11comp_targetILNS1_3genE8ELNS1_11target_archE1030ELNS1_3gpuE2ELNS1_3repE0EEENS1_30default_config_static_selectorELNS0_4arch9wavefront6targetE1EEEvT1_ ; -- Begin function _ZN7rocprim17ROCPRIM_400000_NS6detail17trampoline_kernelINS0_14default_configENS1_25partition_config_selectorILNS1_17partition_subalgoE1EyNS0_10empty_typeEbEEZZNS1_14partition_implILS5_1ELb0ES3_jN6thrust23THRUST_200600_302600_NS6detail15normal_iteratorINSA_10device_ptrIyEEEEPS6_NSA_18transform_iteratorI7is_evenIyESF_NSA_11use_defaultESK_EENS0_5tupleIJNSA_16discard_iteratorISK_EESO_EEENSM_IJSG_SG_EEES6_PlJS6_EEE10hipError_tPvRmT3_T4_T5_T6_T7_T9_mT8_P12ihipStream_tbDpT10_ENKUlT_T0_E_clISt17integral_constantIbLb1EES1B_EEDaS16_S17_EUlS16_E_NS1_11comp_targetILNS1_3genE8ELNS1_11target_archE1030ELNS1_3gpuE2ELNS1_3repE0EEENS1_30default_config_static_selectorELNS0_4arch9wavefront6targetE1EEEvT1_
	.globl	_ZN7rocprim17ROCPRIM_400000_NS6detail17trampoline_kernelINS0_14default_configENS1_25partition_config_selectorILNS1_17partition_subalgoE1EyNS0_10empty_typeEbEEZZNS1_14partition_implILS5_1ELb0ES3_jN6thrust23THRUST_200600_302600_NS6detail15normal_iteratorINSA_10device_ptrIyEEEEPS6_NSA_18transform_iteratorI7is_evenIyESF_NSA_11use_defaultESK_EENS0_5tupleIJNSA_16discard_iteratorISK_EESO_EEENSM_IJSG_SG_EEES6_PlJS6_EEE10hipError_tPvRmT3_T4_T5_T6_T7_T9_mT8_P12ihipStream_tbDpT10_ENKUlT_T0_E_clISt17integral_constantIbLb1EES1B_EEDaS16_S17_EUlS16_E_NS1_11comp_targetILNS1_3genE8ELNS1_11target_archE1030ELNS1_3gpuE2ELNS1_3repE0EEENS1_30default_config_static_selectorELNS0_4arch9wavefront6targetE1EEEvT1_
	.p2align	8
	.type	_ZN7rocprim17ROCPRIM_400000_NS6detail17trampoline_kernelINS0_14default_configENS1_25partition_config_selectorILNS1_17partition_subalgoE1EyNS0_10empty_typeEbEEZZNS1_14partition_implILS5_1ELb0ES3_jN6thrust23THRUST_200600_302600_NS6detail15normal_iteratorINSA_10device_ptrIyEEEEPS6_NSA_18transform_iteratorI7is_evenIyESF_NSA_11use_defaultESK_EENS0_5tupleIJNSA_16discard_iteratorISK_EESO_EEENSM_IJSG_SG_EEES6_PlJS6_EEE10hipError_tPvRmT3_T4_T5_T6_T7_T9_mT8_P12ihipStream_tbDpT10_ENKUlT_T0_E_clISt17integral_constantIbLb1EES1B_EEDaS16_S17_EUlS16_E_NS1_11comp_targetILNS1_3genE8ELNS1_11target_archE1030ELNS1_3gpuE2ELNS1_3repE0EEENS1_30default_config_static_selectorELNS0_4arch9wavefront6targetE1EEEvT1_,@function
_ZN7rocprim17ROCPRIM_400000_NS6detail17trampoline_kernelINS0_14default_configENS1_25partition_config_selectorILNS1_17partition_subalgoE1EyNS0_10empty_typeEbEEZZNS1_14partition_implILS5_1ELb0ES3_jN6thrust23THRUST_200600_302600_NS6detail15normal_iteratorINSA_10device_ptrIyEEEEPS6_NSA_18transform_iteratorI7is_evenIyESF_NSA_11use_defaultESK_EENS0_5tupleIJNSA_16discard_iteratorISK_EESO_EEENSM_IJSG_SG_EEES6_PlJS6_EEE10hipError_tPvRmT3_T4_T5_T6_T7_T9_mT8_P12ihipStream_tbDpT10_ENKUlT_T0_E_clISt17integral_constantIbLb1EES1B_EEDaS16_S17_EUlS16_E_NS1_11comp_targetILNS1_3genE8ELNS1_11target_archE1030ELNS1_3gpuE2ELNS1_3repE0EEENS1_30default_config_static_selectorELNS0_4arch9wavefront6targetE1EEEvT1_: ; @_ZN7rocprim17ROCPRIM_400000_NS6detail17trampoline_kernelINS0_14default_configENS1_25partition_config_selectorILNS1_17partition_subalgoE1EyNS0_10empty_typeEbEEZZNS1_14partition_implILS5_1ELb0ES3_jN6thrust23THRUST_200600_302600_NS6detail15normal_iteratorINSA_10device_ptrIyEEEEPS6_NSA_18transform_iteratorI7is_evenIyESF_NSA_11use_defaultESK_EENS0_5tupleIJNSA_16discard_iteratorISK_EESO_EEENSM_IJSG_SG_EEES6_PlJS6_EEE10hipError_tPvRmT3_T4_T5_T6_T7_T9_mT8_P12ihipStream_tbDpT10_ENKUlT_T0_E_clISt17integral_constantIbLb1EES1B_EEDaS16_S17_EUlS16_E_NS1_11comp_targetILNS1_3genE8ELNS1_11target_archE1030ELNS1_3gpuE2ELNS1_3repE0EEENS1_30default_config_static_selectorELNS0_4arch9wavefront6targetE1EEEvT1_
; %bb.0:
	.section	.rodata,"a",@progbits
	.p2align	6, 0x0
	.amdhsa_kernel _ZN7rocprim17ROCPRIM_400000_NS6detail17trampoline_kernelINS0_14default_configENS1_25partition_config_selectorILNS1_17partition_subalgoE1EyNS0_10empty_typeEbEEZZNS1_14partition_implILS5_1ELb0ES3_jN6thrust23THRUST_200600_302600_NS6detail15normal_iteratorINSA_10device_ptrIyEEEEPS6_NSA_18transform_iteratorI7is_evenIyESF_NSA_11use_defaultESK_EENS0_5tupleIJNSA_16discard_iteratorISK_EESO_EEENSM_IJSG_SG_EEES6_PlJS6_EEE10hipError_tPvRmT3_T4_T5_T6_T7_T9_mT8_P12ihipStream_tbDpT10_ENKUlT_T0_E_clISt17integral_constantIbLb1EES1B_EEDaS16_S17_EUlS16_E_NS1_11comp_targetILNS1_3genE8ELNS1_11target_archE1030ELNS1_3gpuE2ELNS1_3repE0EEENS1_30default_config_static_selectorELNS0_4arch9wavefront6targetE1EEEvT1_
		.amdhsa_group_segment_fixed_size 0
		.amdhsa_private_segment_fixed_size 0
		.amdhsa_kernarg_size 160
		.amdhsa_user_sgpr_count 6
		.amdhsa_user_sgpr_private_segment_buffer 1
		.amdhsa_user_sgpr_dispatch_ptr 0
		.amdhsa_user_sgpr_queue_ptr 0
		.amdhsa_user_sgpr_kernarg_segment_ptr 1
		.amdhsa_user_sgpr_dispatch_id 0
		.amdhsa_user_sgpr_flat_scratch_init 0
		.amdhsa_user_sgpr_kernarg_preload_length 0
		.amdhsa_user_sgpr_kernarg_preload_offset 0
		.amdhsa_user_sgpr_private_segment_size 0
		.amdhsa_uses_dynamic_stack 0
		.amdhsa_system_sgpr_private_segment_wavefront_offset 0
		.amdhsa_system_sgpr_workgroup_id_x 1
		.amdhsa_system_sgpr_workgroup_id_y 0
		.amdhsa_system_sgpr_workgroup_id_z 0
		.amdhsa_system_sgpr_workgroup_info 0
		.amdhsa_system_vgpr_workitem_id 0
		.amdhsa_next_free_vgpr 1
		.amdhsa_next_free_sgpr 0
		.amdhsa_accum_offset 4
		.amdhsa_reserve_vcc 0
		.amdhsa_reserve_flat_scratch 0
		.amdhsa_float_round_mode_32 0
		.amdhsa_float_round_mode_16_64 0
		.amdhsa_float_denorm_mode_32 3
		.amdhsa_float_denorm_mode_16_64 3
		.amdhsa_dx10_clamp 1
		.amdhsa_ieee_mode 1
		.amdhsa_fp16_overflow 0
		.amdhsa_tg_split 0
		.amdhsa_exception_fp_ieee_invalid_op 0
		.amdhsa_exception_fp_denorm_src 0
		.amdhsa_exception_fp_ieee_div_zero 0
		.amdhsa_exception_fp_ieee_overflow 0
		.amdhsa_exception_fp_ieee_underflow 0
		.amdhsa_exception_fp_ieee_inexact 0
		.amdhsa_exception_int_div_zero 0
	.end_amdhsa_kernel
	.section	.text._ZN7rocprim17ROCPRIM_400000_NS6detail17trampoline_kernelINS0_14default_configENS1_25partition_config_selectorILNS1_17partition_subalgoE1EyNS0_10empty_typeEbEEZZNS1_14partition_implILS5_1ELb0ES3_jN6thrust23THRUST_200600_302600_NS6detail15normal_iteratorINSA_10device_ptrIyEEEEPS6_NSA_18transform_iteratorI7is_evenIyESF_NSA_11use_defaultESK_EENS0_5tupleIJNSA_16discard_iteratorISK_EESO_EEENSM_IJSG_SG_EEES6_PlJS6_EEE10hipError_tPvRmT3_T4_T5_T6_T7_T9_mT8_P12ihipStream_tbDpT10_ENKUlT_T0_E_clISt17integral_constantIbLb1EES1B_EEDaS16_S17_EUlS16_E_NS1_11comp_targetILNS1_3genE8ELNS1_11target_archE1030ELNS1_3gpuE2ELNS1_3repE0EEENS1_30default_config_static_selectorELNS0_4arch9wavefront6targetE1EEEvT1_,"axG",@progbits,_ZN7rocprim17ROCPRIM_400000_NS6detail17trampoline_kernelINS0_14default_configENS1_25partition_config_selectorILNS1_17partition_subalgoE1EyNS0_10empty_typeEbEEZZNS1_14partition_implILS5_1ELb0ES3_jN6thrust23THRUST_200600_302600_NS6detail15normal_iteratorINSA_10device_ptrIyEEEEPS6_NSA_18transform_iteratorI7is_evenIyESF_NSA_11use_defaultESK_EENS0_5tupleIJNSA_16discard_iteratorISK_EESO_EEENSM_IJSG_SG_EEES6_PlJS6_EEE10hipError_tPvRmT3_T4_T5_T6_T7_T9_mT8_P12ihipStream_tbDpT10_ENKUlT_T0_E_clISt17integral_constantIbLb1EES1B_EEDaS16_S17_EUlS16_E_NS1_11comp_targetILNS1_3genE8ELNS1_11target_archE1030ELNS1_3gpuE2ELNS1_3repE0EEENS1_30default_config_static_selectorELNS0_4arch9wavefront6targetE1EEEvT1_,comdat
.Lfunc_end2890:
	.size	_ZN7rocprim17ROCPRIM_400000_NS6detail17trampoline_kernelINS0_14default_configENS1_25partition_config_selectorILNS1_17partition_subalgoE1EyNS0_10empty_typeEbEEZZNS1_14partition_implILS5_1ELb0ES3_jN6thrust23THRUST_200600_302600_NS6detail15normal_iteratorINSA_10device_ptrIyEEEEPS6_NSA_18transform_iteratorI7is_evenIyESF_NSA_11use_defaultESK_EENS0_5tupleIJNSA_16discard_iteratorISK_EESO_EEENSM_IJSG_SG_EEES6_PlJS6_EEE10hipError_tPvRmT3_T4_T5_T6_T7_T9_mT8_P12ihipStream_tbDpT10_ENKUlT_T0_E_clISt17integral_constantIbLb1EES1B_EEDaS16_S17_EUlS16_E_NS1_11comp_targetILNS1_3genE8ELNS1_11target_archE1030ELNS1_3gpuE2ELNS1_3repE0EEENS1_30default_config_static_selectorELNS0_4arch9wavefront6targetE1EEEvT1_, .Lfunc_end2890-_ZN7rocprim17ROCPRIM_400000_NS6detail17trampoline_kernelINS0_14default_configENS1_25partition_config_selectorILNS1_17partition_subalgoE1EyNS0_10empty_typeEbEEZZNS1_14partition_implILS5_1ELb0ES3_jN6thrust23THRUST_200600_302600_NS6detail15normal_iteratorINSA_10device_ptrIyEEEEPS6_NSA_18transform_iteratorI7is_evenIyESF_NSA_11use_defaultESK_EENS0_5tupleIJNSA_16discard_iteratorISK_EESO_EEENSM_IJSG_SG_EEES6_PlJS6_EEE10hipError_tPvRmT3_T4_T5_T6_T7_T9_mT8_P12ihipStream_tbDpT10_ENKUlT_T0_E_clISt17integral_constantIbLb1EES1B_EEDaS16_S17_EUlS16_E_NS1_11comp_targetILNS1_3genE8ELNS1_11target_archE1030ELNS1_3gpuE2ELNS1_3repE0EEENS1_30default_config_static_selectorELNS0_4arch9wavefront6targetE1EEEvT1_
                                        ; -- End function
	.section	.AMDGPU.csdata,"",@progbits
; Kernel info:
; codeLenInByte = 0
; NumSgprs: 4
; NumVgprs: 0
; NumAgprs: 0
; TotalNumVgprs: 0
; ScratchSize: 0
; MemoryBound: 0
; FloatMode: 240
; IeeeMode: 1
; LDSByteSize: 0 bytes/workgroup (compile time only)
; SGPRBlocks: 0
; VGPRBlocks: 0
; NumSGPRsForWavesPerEU: 4
; NumVGPRsForWavesPerEU: 1
; AccumOffset: 4
; Occupancy: 8
; WaveLimiterHint : 0
; COMPUTE_PGM_RSRC2:SCRATCH_EN: 0
; COMPUTE_PGM_RSRC2:USER_SGPR: 6
; COMPUTE_PGM_RSRC2:TRAP_HANDLER: 0
; COMPUTE_PGM_RSRC2:TGID_X_EN: 1
; COMPUTE_PGM_RSRC2:TGID_Y_EN: 0
; COMPUTE_PGM_RSRC2:TGID_Z_EN: 0
; COMPUTE_PGM_RSRC2:TIDIG_COMP_CNT: 0
; COMPUTE_PGM_RSRC3_GFX90A:ACCUM_OFFSET: 0
; COMPUTE_PGM_RSRC3_GFX90A:TG_SPLIT: 0
	.section	.text._ZN7rocprim17ROCPRIM_400000_NS6detail17trampoline_kernelINS0_14default_configENS1_25partition_config_selectorILNS1_17partition_subalgoE1EyNS0_10empty_typeEbEEZZNS1_14partition_implILS5_1ELb0ES3_jN6thrust23THRUST_200600_302600_NS6detail15normal_iteratorINSA_10device_ptrIyEEEEPS6_NSA_18transform_iteratorI7is_evenIyESF_NSA_11use_defaultESK_EENS0_5tupleIJNSA_16discard_iteratorISK_EESO_EEENSM_IJSG_SG_EEES6_PlJS6_EEE10hipError_tPvRmT3_T4_T5_T6_T7_T9_mT8_P12ihipStream_tbDpT10_ENKUlT_T0_E_clISt17integral_constantIbLb1EES1A_IbLb0EEEEDaS16_S17_EUlS16_E_NS1_11comp_targetILNS1_3genE0ELNS1_11target_archE4294967295ELNS1_3gpuE0ELNS1_3repE0EEENS1_30default_config_static_selectorELNS0_4arch9wavefront6targetE1EEEvT1_,"axG",@progbits,_ZN7rocprim17ROCPRIM_400000_NS6detail17trampoline_kernelINS0_14default_configENS1_25partition_config_selectorILNS1_17partition_subalgoE1EyNS0_10empty_typeEbEEZZNS1_14partition_implILS5_1ELb0ES3_jN6thrust23THRUST_200600_302600_NS6detail15normal_iteratorINSA_10device_ptrIyEEEEPS6_NSA_18transform_iteratorI7is_evenIyESF_NSA_11use_defaultESK_EENS0_5tupleIJNSA_16discard_iteratorISK_EESO_EEENSM_IJSG_SG_EEES6_PlJS6_EEE10hipError_tPvRmT3_T4_T5_T6_T7_T9_mT8_P12ihipStream_tbDpT10_ENKUlT_T0_E_clISt17integral_constantIbLb1EES1A_IbLb0EEEEDaS16_S17_EUlS16_E_NS1_11comp_targetILNS1_3genE0ELNS1_11target_archE4294967295ELNS1_3gpuE0ELNS1_3repE0EEENS1_30default_config_static_selectorELNS0_4arch9wavefront6targetE1EEEvT1_,comdat
	.protected	_ZN7rocprim17ROCPRIM_400000_NS6detail17trampoline_kernelINS0_14default_configENS1_25partition_config_selectorILNS1_17partition_subalgoE1EyNS0_10empty_typeEbEEZZNS1_14partition_implILS5_1ELb0ES3_jN6thrust23THRUST_200600_302600_NS6detail15normal_iteratorINSA_10device_ptrIyEEEEPS6_NSA_18transform_iteratorI7is_evenIyESF_NSA_11use_defaultESK_EENS0_5tupleIJNSA_16discard_iteratorISK_EESO_EEENSM_IJSG_SG_EEES6_PlJS6_EEE10hipError_tPvRmT3_T4_T5_T6_T7_T9_mT8_P12ihipStream_tbDpT10_ENKUlT_T0_E_clISt17integral_constantIbLb1EES1A_IbLb0EEEEDaS16_S17_EUlS16_E_NS1_11comp_targetILNS1_3genE0ELNS1_11target_archE4294967295ELNS1_3gpuE0ELNS1_3repE0EEENS1_30default_config_static_selectorELNS0_4arch9wavefront6targetE1EEEvT1_ ; -- Begin function _ZN7rocprim17ROCPRIM_400000_NS6detail17trampoline_kernelINS0_14default_configENS1_25partition_config_selectorILNS1_17partition_subalgoE1EyNS0_10empty_typeEbEEZZNS1_14partition_implILS5_1ELb0ES3_jN6thrust23THRUST_200600_302600_NS6detail15normal_iteratorINSA_10device_ptrIyEEEEPS6_NSA_18transform_iteratorI7is_evenIyESF_NSA_11use_defaultESK_EENS0_5tupleIJNSA_16discard_iteratorISK_EESO_EEENSM_IJSG_SG_EEES6_PlJS6_EEE10hipError_tPvRmT3_T4_T5_T6_T7_T9_mT8_P12ihipStream_tbDpT10_ENKUlT_T0_E_clISt17integral_constantIbLb1EES1A_IbLb0EEEEDaS16_S17_EUlS16_E_NS1_11comp_targetILNS1_3genE0ELNS1_11target_archE4294967295ELNS1_3gpuE0ELNS1_3repE0EEENS1_30default_config_static_selectorELNS0_4arch9wavefront6targetE1EEEvT1_
	.globl	_ZN7rocprim17ROCPRIM_400000_NS6detail17trampoline_kernelINS0_14default_configENS1_25partition_config_selectorILNS1_17partition_subalgoE1EyNS0_10empty_typeEbEEZZNS1_14partition_implILS5_1ELb0ES3_jN6thrust23THRUST_200600_302600_NS6detail15normal_iteratorINSA_10device_ptrIyEEEEPS6_NSA_18transform_iteratorI7is_evenIyESF_NSA_11use_defaultESK_EENS0_5tupleIJNSA_16discard_iteratorISK_EESO_EEENSM_IJSG_SG_EEES6_PlJS6_EEE10hipError_tPvRmT3_T4_T5_T6_T7_T9_mT8_P12ihipStream_tbDpT10_ENKUlT_T0_E_clISt17integral_constantIbLb1EES1A_IbLb0EEEEDaS16_S17_EUlS16_E_NS1_11comp_targetILNS1_3genE0ELNS1_11target_archE4294967295ELNS1_3gpuE0ELNS1_3repE0EEENS1_30default_config_static_selectorELNS0_4arch9wavefront6targetE1EEEvT1_
	.p2align	8
	.type	_ZN7rocprim17ROCPRIM_400000_NS6detail17trampoline_kernelINS0_14default_configENS1_25partition_config_selectorILNS1_17partition_subalgoE1EyNS0_10empty_typeEbEEZZNS1_14partition_implILS5_1ELb0ES3_jN6thrust23THRUST_200600_302600_NS6detail15normal_iteratorINSA_10device_ptrIyEEEEPS6_NSA_18transform_iteratorI7is_evenIyESF_NSA_11use_defaultESK_EENS0_5tupleIJNSA_16discard_iteratorISK_EESO_EEENSM_IJSG_SG_EEES6_PlJS6_EEE10hipError_tPvRmT3_T4_T5_T6_T7_T9_mT8_P12ihipStream_tbDpT10_ENKUlT_T0_E_clISt17integral_constantIbLb1EES1A_IbLb0EEEEDaS16_S17_EUlS16_E_NS1_11comp_targetILNS1_3genE0ELNS1_11target_archE4294967295ELNS1_3gpuE0ELNS1_3repE0EEENS1_30default_config_static_selectorELNS0_4arch9wavefront6targetE1EEEvT1_,@function
_ZN7rocprim17ROCPRIM_400000_NS6detail17trampoline_kernelINS0_14default_configENS1_25partition_config_selectorILNS1_17partition_subalgoE1EyNS0_10empty_typeEbEEZZNS1_14partition_implILS5_1ELb0ES3_jN6thrust23THRUST_200600_302600_NS6detail15normal_iteratorINSA_10device_ptrIyEEEEPS6_NSA_18transform_iteratorI7is_evenIyESF_NSA_11use_defaultESK_EENS0_5tupleIJNSA_16discard_iteratorISK_EESO_EEENSM_IJSG_SG_EEES6_PlJS6_EEE10hipError_tPvRmT3_T4_T5_T6_T7_T9_mT8_P12ihipStream_tbDpT10_ENKUlT_T0_E_clISt17integral_constantIbLb1EES1A_IbLb0EEEEDaS16_S17_EUlS16_E_NS1_11comp_targetILNS1_3genE0ELNS1_11target_archE4294967295ELNS1_3gpuE0ELNS1_3repE0EEENS1_30default_config_static_selectorELNS0_4arch9wavefront6targetE1EEEvT1_: ; @_ZN7rocprim17ROCPRIM_400000_NS6detail17trampoline_kernelINS0_14default_configENS1_25partition_config_selectorILNS1_17partition_subalgoE1EyNS0_10empty_typeEbEEZZNS1_14partition_implILS5_1ELb0ES3_jN6thrust23THRUST_200600_302600_NS6detail15normal_iteratorINSA_10device_ptrIyEEEEPS6_NSA_18transform_iteratorI7is_evenIyESF_NSA_11use_defaultESK_EENS0_5tupleIJNSA_16discard_iteratorISK_EESO_EEENSM_IJSG_SG_EEES6_PlJS6_EEE10hipError_tPvRmT3_T4_T5_T6_T7_T9_mT8_P12ihipStream_tbDpT10_ENKUlT_T0_E_clISt17integral_constantIbLb1EES1A_IbLb0EEEEDaS16_S17_EUlS16_E_NS1_11comp_targetILNS1_3genE0ELNS1_11target_archE4294967295ELNS1_3gpuE0ELNS1_3repE0EEENS1_30default_config_static_selectorELNS0_4arch9wavefront6targetE1EEEvT1_
; %bb.0:
	.section	.rodata,"a",@progbits
	.p2align	6, 0x0
	.amdhsa_kernel _ZN7rocprim17ROCPRIM_400000_NS6detail17trampoline_kernelINS0_14default_configENS1_25partition_config_selectorILNS1_17partition_subalgoE1EyNS0_10empty_typeEbEEZZNS1_14partition_implILS5_1ELb0ES3_jN6thrust23THRUST_200600_302600_NS6detail15normal_iteratorINSA_10device_ptrIyEEEEPS6_NSA_18transform_iteratorI7is_evenIyESF_NSA_11use_defaultESK_EENS0_5tupleIJNSA_16discard_iteratorISK_EESO_EEENSM_IJSG_SG_EEES6_PlJS6_EEE10hipError_tPvRmT3_T4_T5_T6_T7_T9_mT8_P12ihipStream_tbDpT10_ENKUlT_T0_E_clISt17integral_constantIbLb1EES1A_IbLb0EEEEDaS16_S17_EUlS16_E_NS1_11comp_targetILNS1_3genE0ELNS1_11target_archE4294967295ELNS1_3gpuE0ELNS1_3repE0EEENS1_30default_config_static_selectorELNS0_4arch9wavefront6targetE1EEEvT1_
		.amdhsa_group_segment_fixed_size 0
		.amdhsa_private_segment_fixed_size 0
		.amdhsa_kernarg_size 144
		.amdhsa_user_sgpr_count 6
		.amdhsa_user_sgpr_private_segment_buffer 1
		.amdhsa_user_sgpr_dispatch_ptr 0
		.amdhsa_user_sgpr_queue_ptr 0
		.amdhsa_user_sgpr_kernarg_segment_ptr 1
		.amdhsa_user_sgpr_dispatch_id 0
		.amdhsa_user_sgpr_flat_scratch_init 0
		.amdhsa_user_sgpr_kernarg_preload_length 0
		.amdhsa_user_sgpr_kernarg_preload_offset 0
		.amdhsa_user_sgpr_private_segment_size 0
		.amdhsa_uses_dynamic_stack 0
		.amdhsa_system_sgpr_private_segment_wavefront_offset 0
		.amdhsa_system_sgpr_workgroup_id_x 1
		.amdhsa_system_sgpr_workgroup_id_y 0
		.amdhsa_system_sgpr_workgroup_id_z 0
		.amdhsa_system_sgpr_workgroup_info 0
		.amdhsa_system_vgpr_workitem_id 0
		.amdhsa_next_free_vgpr 1
		.amdhsa_next_free_sgpr 0
		.amdhsa_accum_offset 4
		.amdhsa_reserve_vcc 0
		.amdhsa_reserve_flat_scratch 0
		.amdhsa_float_round_mode_32 0
		.amdhsa_float_round_mode_16_64 0
		.amdhsa_float_denorm_mode_32 3
		.amdhsa_float_denorm_mode_16_64 3
		.amdhsa_dx10_clamp 1
		.amdhsa_ieee_mode 1
		.amdhsa_fp16_overflow 0
		.amdhsa_tg_split 0
		.amdhsa_exception_fp_ieee_invalid_op 0
		.amdhsa_exception_fp_denorm_src 0
		.amdhsa_exception_fp_ieee_div_zero 0
		.amdhsa_exception_fp_ieee_overflow 0
		.amdhsa_exception_fp_ieee_underflow 0
		.amdhsa_exception_fp_ieee_inexact 0
		.amdhsa_exception_int_div_zero 0
	.end_amdhsa_kernel
	.section	.text._ZN7rocprim17ROCPRIM_400000_NS6detail17trampoline_kernelINS0_14default_configENS1_25partition_config_selectorILNS1_17partition_subalgoE1EyNS0_10empty_typeEbEEZZNS1_14partition_implILS5_1ELb0ES3_jN6thrust23THRUST_200600_302600_NS6detail15normal_iteratorINSA_10device_ptrIyEEEEPS6_NSA_18transform_iteratorI7is_evenIyESF_NSA_11use_defaultESK_EENS0_5tupleIJNSA_16discard_iteratorISK_EESO_EEENSM_IJSG_SG_EEES6_PlJS6_EEE10hipError_tPvRmT3_T4_T5_T6_T7_T9_mT8_P12ihipStream_tbDpT10_ENKUlT_T0_E_clISt17integral_constantIbLb1EES1A_IbLb0EEEEDaS16_S17_EUlS16_E_NS1_11comp_targetILNS1_3genE0ELNS1_11target_archE4294967295ELNS1_3gpuE0ELNS1_3repE0EEENS1_30default_config_static_selectorELNS0_4arch9wavefront6targetE1EEEvT1_,"axG",@progbits,_ZN7rocprim17ROCPRIM_400000_NS6detail17trampoline_kernelINS0_14default_configENS1_25partition_config_selectorILNS1_17partition_subalgoE1EyNS0_10empty_typeEbEEZZNS1_14partition_implILS5_1ELb0ES3_jN6thrust23THRUST_200600_302600_NS6detail15normal_iteratorINSA_10device_ptrIyEEEEPS6_NSA_18transform_iteratorI7is_evenIyESF_NSA_11use_defaultESK_EENS0_5tupleIJNSA_16discard_iteratorISK_EESO_EEENSM_IJSG_SG_EEES6_PlJS6_EEE10hipError_tPvRmT3_T4_T5_T6_T7_T9_mT8_P12ihipStream_tbDpT10_ENKUlT_T0_E_clISt17integral_constantIbLb1EES1A_IbLb0EEEEDaS16_S17_EUlS16_E_NS1_11comp_targetILNS1_3genE0ELNS1_11target_archE4294967295ELNS1_3gpuE0ELNS1_3repE0EEENS1_30default_config_static_selectorELNS0_4arch9wavefront6targetE1EEEvT1_,comdat
.Lfunc_end2891:
	.size	_ZN7rocprim17ROCPRIM_400000_NS6detail17trampoline_kernelINS0_14default_configENS1_25partition_config_selectorILNS1_17partition_subalgoE1EyNS0_10empty_typeEbEEZZNS1_14partition_implILS5_1ELb0ES3_jN6thrust23THRUST_200600_302600_NS6detail15normal_iteratorINSA_10device_ptrIyEEEEPS6_NSA_18transform_iteratorI7is_evenIyESF_NSA_11use_defaultESK_EENS0_5tupleIJNSA_16discard_iteratorISK_EESO_EEENSM_IJSG_SG_EEES6_PlJS6_EEE10hipError_tPvRmT3_T4_T5_T6_T7_T9_mT8_P12ihipStream_tbDpT10_ENKUlT_T0_E_clISt17integral_constantIbLb1EES1A_IbLb0EEEEDaS16_S17_EUlS16_E_NS1_11comp_targetILNS1_3genE0ELNS1_11target_archE4294967295ELNS1_3gpuE0ELNS1_3repE0EEENS1_30default_config_static_selectorELNS0_4arch9wavefront6targetE1EEEvT1_, .Lfunc_end2891-_ZN7rocprim17ROCPRIM_400000_NS6detail17trampoline_kernelINS0_14default_configENS1_25partition_config_selectorILNS1_17partition_subalgoE1EyNS0_10empty_typeEbEEZZNS1_14partition_implILS5_1ELb0ES3_jN6thrust23THRUST_200600_302600_NS6detail15normal_iteratorINSA_10device_ptrIyEEEEPS6_NSA_18transform_iteratorI7is_evenIyESF_NSA_11use_defaultESK_EENS0_5tupleIJNSA_16discard_iteratorISK_EESO_EEENSM_IJSG_SG_EEES6_PlJS6_EEE10hipError_tPvRmT3_T4_T5_T6_T7_T9_mT8_P12ihipStream_tbDpT10_ENKUlT_T0_E_clISt17integral_constantIbLb1EES1A_IbLb0EEEEDaS16_S17_EUlS16_E_NS1_11comp_targetILNS1_3genE0ELNS1_11target_archE4294967295ELNS1_3gpuE0ELNS1_3repE0EEENS1_30default_config_static_selectorELNS0_4arch9wavefront6targetE1EEEvT1_
                                        ; -- End function
	.section	.AMDGPU.csdata,"",@progbits
; Kernel info:
; codeLenInByte = 0
; NumSgprs: 4
; NumVgprs: 0
; NumAgprs: 0
; TotalNumVgprs: 0
; ScratchSize: 0
; MemoryBound: 0
; FloatMode: 240
; IeeeMode: 1
; LDSByteSize: 0 bytes/workgroup (compile time only)
; SGPRBlocks: 0
; VGPRBlocks: 0
; NumSGPRsForWavesPerEU: 4
; NumVGPRsForWavesPerEU: 1
; AccumOffset: 4
; Occupancy: 8
; WaveLimiterHint : 0
; COMPUTE_PGM_RSRC2:SCRATCH_EN: 0
; COMPUTE_PGM_RSRC2:USER_SGPR: 6
; COMPUTE_PGM_RSRC2:TRAP_HANDLER: 0
; COMPUTE_PGM_RSRC2:TGID_X_EN: 1
; COMPUTE_PGM_RSRC2:TGID_Y_EN: 0
; COMPUTE_PGM_RSRC2:TGID_Z_EN: 0
; COMPUTE_PGM_RSRC2:TIDIG_COMP_CNT: 0
; COMPUTE_PGM_RSRC3_GFX90A:ACCUM_OFFSET: 0
; COMPUTE_PGM_RSRC3_GFX90A:TG_SPLIT: 0
	.section	.text._ZN7rocprim17ROCPRIM_400000_NS6detail17trampoline_kernelINS0_14default_configENS1_25partition_config_selectorILNS1_17partition_subalgoE1EyNS0_10empty_typeEbEEZZNS1_14partition_implILS5_1ELb0ES3_jN6thrust23THRUST_200600_302600_NS6detail15normal_iteratorINSA_10device_ptrIyEEEEPS6_NSA_18transform_iteratorI7is_evenIyESF_NSA_11use_defaultESK_EENS0_5tupleIJNSA_16discard_iteratorISK_EESO_EEENSM_IJSG_SG_EEES6_PlJS6_EEE10hipError_tPvRmT3_T4_T5_T6_T7_T9_mT8_P12ihipStream_tbDpT10_ENKUlT_T0_E_clISt17integral_constantIbLb1EES1A_IbLb0EEEEDaS16_S17_EUlS16_E_NS1_11comp_targetILNS1_3genE5ELNS1_11target_archE942ELNS1_3gpuE9ELNS1_3repE0EEENS1_30default_config_static_selectorELNS0_4arch9wavefront6targetE1EEEvT1_,"axG",@progbits,_ZN7rocprim17ROCPRIM_400000_NS6detail17trampoline_kernelINS0_14default_configENS1_25partition_config_selectorILNS1_17partition_subalgoE1EyNS0_10empty_typeEbEEZZNS1_14partition_implILS5_1ELb0ES3_jN6thrust23THRUST_200600_302600_NS6detail15normal_iteratorINSA_10device_ptrIyEEEEPS6_NSA_18transform_iteratorI7is_evenIyESF_NSA_11use_defaultESK_EENS0_5tupleIJNSA_16discard_iteratorISK_EESO_EEENSM_IJSG_SG_EEES6_PlJS6_EEE10hipError_tPvRmT3_T4_T5_T6_T7_T9_mT8_P12ihipStream_tbDpT10_ENKUlT_T0_E_clISt17integral_constantIbLb1EES1A_IbLb0EEEEDaS16_S17_EUlS16_E_NS1_11comp_targetILNS1_3genE5ELNS1_11target_archE942ELNS1_3gpuE9ELNS1_3repE0EEENS1_30default_config_static_selectorELNS0_4arch9wavefront6targetE1EEEvT1_,comdat
	.protected	_ZN7rocprim17ROCPRIM_400000_NS6detail17trampoline_kernelINS0_14default_configENS1_25partition_config_selectorILNS1_17partition_subalgoE1EyNS0_10empty_typeEbEEZZNS1_14partition_implILS5_1ELb0ES3_jN6thrust23THRUST_200600_302600_NS6detail15normal_iteratorINSA_10device_ptrIyEEEEPS6_NSA_18transform_iteratorI7is_evenIyESF_NSA_11use_defaultESK_EENS0_5tupleIJNSA_16discard_iteratorISK_EESO_EEENSM_IJSG_SG_EEES6_PlJS6_EEE10hipError_tPvRmT3_T4_T5_T6_T7_T9_mT8_P12ihipStream_tbDpT10_ENKUlT_T0_E_clISt17integral_constantIbLb1EES1A_IbLb0EEEEDaS16_S17_EUlS16_E_NS1_11comp_targetILNS1_3genE5ELNS1_11target_archE942ELNS1_3gpuE9ELNS1_3repE0EEENS1_30default_config_static_selectorELNS0_4arch9wavefront6targetE1EEEvT1_ ; -- Begin function _ZN7rocprim17ROCPRIM_400000_NS6detail17trampoline_kernelINS0_14default_configENS1_25partition_config_selectorILNS1_17partition_subalgoE1EyNS0_10empty_typeEbEEZZNS1_14partition_implILS5_1ELb0ES3_jN6thrust23THRUST_200600_302600_NS6detail15normal_iteratorINSA_10device_ptrIyEEEEPS6_NSA_18transform_iteratorI7is_evenIyESF_NSA_11use_defaultESK_EENS0_5tupleIJNSA_16discard_iteratorISK_EESO_EEENSM_IJSG_SG_EEES6_PlJS6_EEE10hipError_tPvRmT3_T4_T5_T6_T7_T9_mT8_P12ihipStream_tbDpT10_ENKUlT_T0_E_clISt17integral_constantIbLb1EES1A_IbLb0EEEEDaS16_S17_EUlS16_E_NS1_11comp_targetILNS1_3genE5ELNS1_11target_archE942ELNS1_3gpuE9ELNS1_3repE0EEENS1_30default_config_static_selectorELNS0_4arch9wavefront6targetE1EEEvT1_
	.globl	_ZN7rocprim17ROCPRIM_400000_NS6detail17trampoline_kernelINS0_14default_configENS1_25partition_config_selectorILNS1_17partition_subalgoE1EyNS0_10empty_typeEbEEZZNS1_14partition_implILS5_1ELb0ES3_jN6thrust23THRUST_200600_302600_NS6detail15normal_iteratorINSA_10device_ptrIyEEEEPS6_NSA_18transform_iteratorI7is_evenIyESF_NSA_11use_defaultESK_EENS0_5tupleIJNSA_16discard_iteratorISK_EESO_EEENSM_IJSG_SG_EEES6_PlJS6_EEE10hipError_tPvRmT3_T4_T5_T6_T7_T9_mT8_P12ihipStream_tbDpT10_ENKUlT_T0_E_clISt17integral_constantIbLb1EES1A_IbLb0EEEEDaS16_S17_EUlS16_E_NS1_11comp_targetILNS1_3genE5ELNS1_11target_archE942ELNS1_3gpuE9ELNS1_3repE0EEENS1_30default_config_static_selectorELNS0_4arch9wavefront6targetE1EEEvT1_
	.p2align	8
	.type	_ZN7rocprim17ROCPRIM_400000_NS6detail17trampoline_kernelINS0_14default_configENS1_25partition_config_selectorILNS1_17partition_subalgoE1EyNS0_10empty_typeEbEEZZNS1_14partition_implILS5_1ELb0ES3_jN6thrust23THRUST_200600_302600_NS6detail15normal_iteratorINSA_10device_ptrIyEEEEPS6_NSA_18transform_iteratorI7is_evenIyESF_NSA_11use_defaultESK_EENS0_5tupleIJNSA_16discard_iteratorISK_EESO_EEENSM_IJSG_SG_EEES6_PlJS6_EEE10hipError_tPvRmT3_T4_T5_T6_T7_T9_mT8_P12ihipStream_tbDpT10_ENKUlT_T0_E_clISt17integral_constantIbLb1EES1A_IbLb0EEEEDaS16_S17_EUlS16_E_NS1_11comp_targetILNS1_3genE5ELNS1_11target_archE942ELNS1_3gpuE9ELNS1_3repE0EEENS1_30default_config_static_selectorELNS0_4arch9wavefront6targetE1EEEvT1_,@function
_ZN7rocprim17ROCPRIM_400000_NS6detail17trampoline_kernelINS0_14default_configENS1_25partition_config_selectorILNS1_17partition_subalgoE1EyNS0_10empty_typeEbEEZZNS1_14partition_implILS5_1ELb0ES3_jN6thrust23THRUST_200600_302600_NS6detail15normal_iteratorINSA_10device_ptrIyEEEEPS6_NSA_18transform_iteratorI7is_evenIyESF_NSA_11use_defaultESK_EENS0_5tupleIJNSA_16discard_iteratorISK_EESO_EEENSM_IJSG_SG_EEES6_PlJS6_EEE10hipError_tPvRmT3_T4_T5_T6_T7_T9_mT8_P12ihipStream_tbDpT10_ENKUlT_T0_E_clISt17integral_constantIbLb1EES1A_IbLb0EEEEDaS16_S17_EUlS16_E_NS1_11comp_targetILNS1_3genE5ELNS1_11target_archE942ELNS1_3gpuE9ELNS1_3repE0EEENS1_30default_config_static_selectorELNS0_4arch9wavefront6targetE1EEEvT1_: ; @_ZN7rocprim17ROCPRIM_400000_NS6detail17trampoline_kernelINS0_14default_configENS1_25partition_config_selectorILNS1_17partition_subalgoE1EyNS0_10empty_typeEbEEZZNS1_14partition_implILS5_1ELb0ES3_jN6thrust23THRUST_200600_302600_NS6detail15normal_iteratorINSA_10device_ptrIyEEEEPS6_NSA_18transform_iteratorI7is_evenIyESF_NSA_11use_defaultESK_EENS0_5tupleIJNSA_16discard_iteratorISK_EESO_EEENSM_IJSG_SG_EEES6_PlJS6_EEE10hipError_tPvRmT3_T4_T5_T6_T7_T9_mT8_P12ihipStream_tbDpT10_ENKUlT_T0_E_clISt17integral_constantIbLb1EES1A_IbLb0EEEEDaS16_S17_EUlS16_E_NS1_11comp_targetILNS1_3genE5ELNS1_11target_archE942ELNS1_3gpuE9ELNS1_3repE0EEENS1_30default_config_static_selectorELNS0_4arch9wavefront6targetE1EEEvT1_
; %bb.0:
	.section	.rodata,"a",@progbits
	.p2align	6, 0x0
	.amdhsa_kernel _ZN7rocprim17ROCPRIM_400000_NS6detail17trampoline_kernelINS0_14default_configENS1_25partition_config_selectorILNS1_17partition_subalgoE1EyNS0_10empty_typeEbEEZZNS1_14partition_implILS5_1ELb0ES3_jN6thrust23THRUST_200600_302600_NS6detail15normal_iteratorINSA_10device_ptrIyEEEEPS6_NSA_18transform_iteratorI7is_evenIyESF_NSA_11use_defaultESK_EENS0_5tupleIJNSA_16discard_iteratorISK_EESO_EEENSM_IJSG_SG_EEES6_PlJS6_EEE10hipError_tPvRmT3_T4_T5_T6_T7_T9_mT8_P12ihipStream_tbDpT10_ENKUlT_T0_E_clISt17integral_constantIbLb1EES1A_IbLb0EEEEDaS16_S17_EUlS16_E_NS1_11comp_targetILNS1_3genE5ELNS1_11target_archE942ELNS1_3gpuE9ELNS1_3repE0EEENS1_30default_config_static_selectorELNS0_4arch9wavefront6targetE1EEEvT1_
		.amdhsa_group_segment_fixed_size 0
		.amdhsa_private_segment_fixed_size 0
		.amdhsa_kernarg_size 144
		.amdhsa_user_sgpr_count 6
		.amdhsa_user_sgpr_private_segment_buffer 1
		.amdhsa_user_sgpr_dispatch_ptr 0
		.amdhsa_user_sgpr_queue_ptr 0
		.amdhsa_user_sgpr_kernarg_segment_ptr 1
		.amdhsa_user_sgpr_dispatch_id 0
		.amdhsa_user_sgpr_flat_scratch_init 0
		.amdhsa_user_sgpr_kernarg_preload_length 0
		.amdhsa_user_sgpr_kernarg_preload_offset 0
		.amdhsa_user_sgpr_private_segment_size 0
		.amdhsa_uses_dynamic_stack 0
		.amdhsa_system_sgpr_private_segment_wavefront_offset 0
		.amdhsa_system_sgpr_workgroup_id_x 1
		.amdhsa_system_sgpr_workgroup_id_y 0
		.amdhsa_system_sgpr_workgroup_id_z 0
		.amdhsa_system_sgpr_workgroup_info 0
		.amdhsa_system_vgpr_workitem_id 0
		.amdhsa_next_free_vgpr 1
		.amdhsa_next_free_sgpr 0
		.amdhsa_accum_offset 4
		.amdhsa_reserve_vcc 0
		.amdhsa_reserve_flat_scratch 0
		.amdhsa_float_round_mode_32 0
		.amdhsa_float_round_mode_16_64 0
		.amdhsa_float_denorm_mode_32 3
		.amdhsa_float_denorm_mode_16_64 3
		.amdhsa_dx10_clamp 1
		.amdhsa_ieee_mode 1
		.amdhsa_fp16_overflow 0
		.amdhsa_tg_split 0
		.amdhsa_exception_fp_ieee_invalid_op 0
		.amdhsa_exception_fp_denorm_src 0
		.amdhsa_exception_fp_ieee_div_zero 0
		.amdhsa_exception_fp_ieee_overflow 0
		.amdhsa_exception_fp_ieee_underflow 0
		.amdhsa_exception_fp_ieee_inexact 0
		.amdhsa_exception_int_div_zero 0
	.end_amdhsa_kernel
	.section	.text._ZN7rocprim17ROCPRIM_400000_NS6detail17trampoline_kernelINS0_14default_configENS1_25partition_config_selectorILNS1_17partition_subalgoE1EyNS0_10empty_typeEbEEZZNS1_14partition_implILS5_1ELb0ES3_jN6thrust23THRUST_200600_302600_NS6detail15normal_iteratorINSA_10device_ptrIyEEEEPS6_NSA_18transform_iteratorI7is_evenIyESF_NSA_11use_defaultESK_EENS0_5tupleIJNSA_16discard_iteratorISK_EESO_EEENSM_IJSG_SG_EEES6_PlJS6_EEE10hipError_tPvRmT3_T4_T5_T6_T7_T9_mT8_P12ihipStream_tbDpT10_ENKUlT_T0_E_clISt17integral_constantIbLb1EES1A_IbLb0EEEEDaS16_S17_EUlS16_E_NS1_11comp_targetILNS1_3genE5ELNS1_11target_archE942ELNS1_3gpuE9ELNS1_3repE0EEENS1_30default_config_static_selectorELNS0_4arch9wavefront6targetE1EEEvT1_,"axG",@progbits,_ZN7rocprim17ROCPRIM_400000_NS6detail17trampoline_kernelINS0_14default_configENS1_25partition_config_selectorILNS1_17partition_subalgoE1EyNS0_10empty_typeEbEEZZNS1_14partition_implILS5_1ELb0ES3_jN6thrust23THRUST_200600_302600_NS6detail15normal_iteratorINSA_10device_ptrIyEEEEPS6_NSA_18transform_iteratorI7is_evenIyESF_NSA_11use_defaultESK_EENS0_5tupleIJNSA_16discard_iteratorISK_EESO_EEENSM_IJSG_SG_EEES6_PlJS6_EEE10hipError_tPvRmT3_T4_T5_T6_T7_T9_mT8_P12ihipStream_tbDpT10_ENKUlT_T0_E_clISt17integral_constantIbLb1EES1A_IbLb0EEEEDaS16_S17_EUlS16_E_NS1_11comp_targetILNS1_3genE5ELNS1_11target_archE942ELNS1_3gpuE9ELNS1_3repE0EEENS1_30default_config_static_selectorELNS0_4arch9wavefront6targetE1EEEvT1_,comdat
.Lfunc_end2892:
	.size	_ZN7rocprim17ROCPRIM_400000_NS6detail17trampoline_kernelINS0_14default_configENS1_25partition_config_selectorILNS1_17partition_subalgoE1EyNS0_10empty_typeEbEEZZNS1_14partition_implILS5_1ELb0ES3_jN6thrust23THRUST_200600_302600_NS6detail15normal_iteratorINSA_10device_ptrIyEEEEPS6_NSA_18transform_iteratorI7is_evenIyESF_NSA_11use_defaultESK_EENS0_5tupleIJNSA_16discard_iteratorISK_EESO_EEENSM_IJSG_SG_EEES6_PlJS6_EEE10hipError_tPvRmT3_T4_T5_T6_T7_T9_mT8_P12ihipStream_tbDpT10_ENKUlT_T0_E_clISt17integral_constantIbLb1EES1A_IbLb0EEEEDaS16_S17_EUlS16_E_NS1_11comp_targetILNS1_3genE5ELNS1_11target_archE942ELNS1_3gpuE9ELNS1_3repE0EEENS1_30default_config_static_selectorELNS0_4arch9wavefront6targetE1EEEvT1_, .Lfunc_end2892-_ZN7rocprim17ROCPRIM_400000_NS6detail17trampoline_kernelINS0_14default_configENS1_25partition_config_selectorILNS1_17partition_subalgoE1EyNS0_10empty_typeEbEEZZNS1_14partition_implILS5_1ELb0ES3_jN6thrust23THRUST_200600_302600_NS6detail15normal_iteratorINSA_10device_ptrIyEEEEPS6_NSA_18transform_iteratorI7is_evenIyESF_NSA_11use_defaultESK_EENS0_5tupleIJNSA_16discard_iteratorISK_EESO_EEENSM_IJSG_SG_EEES6_PlJS6_EEE10hipError_tPvRmT3_T4_T5_T6_T7_T9_mT8_P12ihipStream_tbDpT10_ENKUlT_T0_E_clISt17integral_constantIbLb1EES1A_IbLb0EEEEDaS16_S17_EUlS16_E_NS1_11comp_targetILNS1_3genE5ELNS1_11target_archE942ELNS1_3gpuE9ELNS1_3repE0EEENS1_30default_config_static_selectorELNS0_4arch9wavefront6targetE1EEEvT1_
                                        ; -- End function
	.section	.AMDGPU.csdata,"",@progbits
; Kernel info:
; codeLenInByte = 0
; NumSgprs: 4
; NumVgprs: 0
; NumAgprs: 0
; TotalNumVgprs: 0
; ScratchSize: 0
; MemoryBound: 0
; FloatMode: 240
; IeeeMode: 1
; LDSByteSize: 0 bytes/workgroup (compile time only)
; SGPRBlocks: 0
; VGPRBlocks: 0
; NumSGPRsForWavesPerEU: 4
; NumVGPRsForWavesPerEU: 1
; AccumOffset: 4
; Occupancy: 8
; WaveLimiterHint : 0
; COMPUTE_PGM_RSRC2:SCRATCH_EN: 0
; COMPUTE_PGM_RSRC2:USER_SGPR: 6
; COMPUTE_PGM_RSRC2:TRAP_HANDLER: 0
; COMPUTE_PGM_RSRC2:TGID_X_EN: 1
; COMPUTE_PGM_RSRC2:TGID_Y_EN: 0
; COMPUTE_PGM_RSRC2:TGID_Z_EN: 0
; COMPUTE_PGM_RSRC2:TIDIG_COMP_CNT: 0
; COMPUTE_PGM_RSRC3_GFX90A:ACCUM_OFFSET: 0
; COMPUTE_PGM_RSRC3_GFX90A:TG_SPLIT: 0
	.section	.text._ZN7rocprim17ROCPRIM_400000_NS6detail17trampoline_kernelINS0_14default_configENS1_25partition_config_selectorILNS1_17partition_subalgoE1EyNS0_10empty_typeEbEEZZNS1_14partition_implILS5_1ELb0ES3_jN6thrust23THRUST_200600_302600_NS6detail15normal_iteratorINSA_10device_ptrIyEEEEPS6_NSA_18transform_iteratorI7is_evenIyESF_NSA_11use_defaultESK_EENS0_5tupleIJNSA_16discard_iteratorISK_EESO_EEENSM_IJSG_SG_EEES6_PlJS6_EEE10hipError_tPvRmT3_T4_T5_T6_T7_T9_mT8_P12ihipStream_tbDpT10_ENKUlT_T0_E_clISt17integral_constantIbLb1EES1A_IbLb0EEEEDaS16_S17_EUlS16_E_NS1_11comp_targetILNS1_3genE4ELNS1_11target_archE910ELNS1_3gpuE8ELNS1_3repE0EEENS1_30default_config_static_selectorELNS0_4arch9wavefront6targetE1EEEvT1_,"axG",@progbits,_ZN7rocprim17ROCPRIM_400000_NS6detail17trampoline_kernelINS0_14default_configENS1_25partition_config_selectorILNS1_17partition_subalgoE1EyNS0_10empty_typeEbEEZZNS1_14partition_implILS5_1ELb0ES3_jN6thrust23THRUST_200600_302600_NS6detail15normal_iteratorINSA_10device_ptrIyEEEEPS6_NSA_18transform_iteratorI7is_evenIyESF_NSA_11use_defaultESK_EENS0_5tupleIJNSA_16discard_iteratorISK_EESO_EEENSM_IJSG_SG_EEES6_PlJS6_EEE10hipError_tPvRmT3_T4_T5_T6_T7_T9_mT8_P12ihipStream_tbDpT10_ENKUlT_T0_E_clISt17integral_constantIbLb1EES1A_IbLb0EEEEDaS16_S17_EUlS16_E_NS1_11comp_targetILNS1_3genE4ELNS1_11target_archE910ELNS1_3gpuE8ELNS1_3repE0EEENS1_30default_config_static_selectorELNS0_4arch9wavefront6targetE1EEEvT1_,comdat
	.protected	_ZN7rocprim17ROCPRIM_400000_NS6detail17trampoline_kernelINS0_14default_configENS1_25partition_config_selectorILNS1_17partition_subalgoE1EyNS0_10empty_typeEbEEZZNS1_14partition_implILS5_1ELb0ES3_jN6thrust23THRUST_200600_302600_NS6detail15normal_iteratorINSA_10device_ptrIyEEEEPS6_NSA_18transform_iteratorI7is_evenIyESF_NSA_11use_defaultESK_EENS0_5tupleIJNSA_16discard_iteratorISK_EESO_EEENSM_IJSG_SG_EEES6_PlJS6_EEE10hipError_tPvRmT3_T4_T5_T6_T7_T9_mT8_P12ihipStream_tbDpT10_ENKUlT_T0_E_clISt17integral_constantIbLb1EES1A_IbLb0EEEEDaS16_S17_EUlS16_E_NS1_11comp_targetILNS1_3genE4ELNS1_11target_archE910ELNS1_3gpuE8ELNS1_3repE0EEENS1_30default_config_static_selectorELNS0_4arch9wavefront6targetE1EEEvT1_ ; -- Begin function _ZN7rocprim17ROCPRIM_400000_NS6detail17trampoline_kernelINS0_14default_configENS1_25partition_config_selectorILNS1_17partition_subalgoE1EyNS0_10empty_typeEbEEZZNS1_14partition_implILS5_1ELb0ES3_jN6thrust23THRUST_200600_302600_NS6detail15normal_iteratorINSA_10device_ptrIyEEEEPS6_NSA_18transform_iteratorI7is_evenIyESF_NSA_11use_defaultESK_EENS0_5tupleIJNSA_16discard_iteratorISK_EESO_EEENSM_IJSG_SG_EEES6_PlJS6_EEE10hipError_tPvRmT3_T4_T5_T6_T7_T9_mT8_P12ihipStream_tbDpT10_ENKUlT_T0_E_clISt17integral_constantIbLb1EES1A_IbLb0EEEEDaS16_S17_EUlS16_E_NS1_11comp_targetILNS1_3genE4ELNS1_11target_archE910ELNS1_3gpuE8ELNS1_3repE0EEENS1_30default_config_static_selectorELNS0_4arch9wavefront6targetE1EEEvT1_
	.globl	_ZN7rocprim17ROCPRIM_400000_NS6detail17trampoline_kernelINS0_14default_configENS1_25partition_config_selectorILNS1_17partition_subalgoE1EyNS0_10empty_typeEbEEZZNS1_14partition_implILS5_1ELb0ES3_jN6thrust23THRUST_200600_302600_NS6detail15normal_iteratorINSA_10device_ptrIyEEEEPS6_NSA_18transform_iteratorI7is_evenIyESF_NSA_11use_defaultESK_EENS0_5tupleIJNSA_16discard_iteratorISK_EESO_EEENSM_IJSG_SG_EEES6_PlJS6_EEE10hipError_tPvRmT3_T4_T5_T6_T7_T9_mT8_P12ihipStream_tbDpT10_ENKUlT_T0_E_clISt17integral_constantIbLb1EES1A_IbLb0EEEEDaS16_S17_EUlS16_E_NS1_11comp_targetILNS1_3genE4ELNS1_11target_archE910ELNS1_3gpuE8ELNS1_3repE0EEENS1_30default_config_static_selectorELNS0_4arch9wavefront6targetE1EEEvT1_
	.p2align	8
	.type	_ZN7rocprim17ROCPRIM_400000_NS6detail17trampoline_kernelINS0_14default_configENS1_25partition_config_selectorILNS1_17partition_subalgoE1EyNS0_10empty_typeEbEEZZNS1_14partition_implILS5_1ELb0ES3_jN6thrust23THRUST_200600_302600_NS6detail15normal_iteratorINSA_10device_ptrIyEEEEPS6_NSA_18transform_iteratorI7is_evenIyESF_NSA_11use_defaultESK_EENS0_5tupleIJNSA_16discard_iteratorISK_EESO_EEENSM_IJSG_SG_EEES6_PlJS6_EEE10hipError_tPvRmT3_T4_T5_T6_T7_T9_mT8_P12ihipStream_tbDpT10_ENKUlT_T0_E_clISt17integral_constantIbLb1EES1A_IbLb0EEEEDaS16_S17_EUlS16_E_NS1_11comp_targetILNS1_3genE4ELNS1_11target_archE910ELNS1_3gpuE8ELNS1_3repE0EEENS1_30default_config_static_selectorELNS0_4arch9wavefront6targetE1EEEvT1_,@function
_ZN7rocprim17ROCPRIM_400000_NS6detail17trampoline_kernelINS0_14default_configENS1_25partition_config_selectorILNS1_17partition_subalgoE1EyNS0_10empty_typeEbEEZZNS1_14partition_implILS5_1ELb0ES3_jN6thrust23THRUST_200600_302600_NS6detail15normal_iteratorINSA_10device_ptrIyEEEEPS6_NSA_18transform_iteratorI7is_evenIyESF_NSA_11use_defaultESK_EENS0_5tupleIJNSA_16discard_iteratorISK_EESO_EEENSM_IJSG_SG_EEES6_PlJS6_EEE10hipError_tPvRmT3_T4_T5_T6_T7_T9_mT8_P12ihipStream_tbDpT10_ENKUlT_T0_E_clISt17integral_constantIbLb1EES1A_IbLb0EEEEDaS16_S17_EUlS16_E_NS1_11comp_targetILNS1_3genE4ELNS1_11target_archE910ELNS1_3gpuE8ELNS1_3repE0EEENS1_30default_config_static_selectorELNS0_4arch9wavefront6targetE1EEEvT1_: ; @_ZN7rocprim17ROCPRIM_400000_NS6detail17trampoline_kernelINS0_14default_configENS1_25partition_config_selectorILNS1_17partition_subalgoE1EyNS0_10empty_typeEbEEZZNS1_14partition_implILS5_1ELb0ES3_jN6thrust23THRUST_200600_302600_NS6detail15normal_iteratorINSA_10device_ptrIyEEEEPS6_NSA_18transform_iteratorI7is_evenIyESF_NSA_11use_defaultESK_EENS0_5tupleIJNSA_16discard_iteratorISK_EESO_EEENSM_IJSG_SG_EEES6_PlJS6_EEE10hipError_tPvRmT3_T4_T5_T6_T7_T9_mT8_P12ihipStream_tbDpT10_ENKUlT_T0_E_clISt17integral_constantIbLb1EES1A_IbLb0EEEEDaS16_S17_EUlS16_E_NS1_11comp_targetILNS1_3genE4ELNS1_11target_archE910ELNS1_3gpuE8ELNS1_3repE0EEENS1_30default_config_static_selectorELNS0_4arch9wavefront6targetE1EEEvT1_
; %bb.0:
	s_load_dwordx2 s[0:1], s[4:5], 0x70
	s_load_dwordx4 s[12:15], s[4:5], 0x8
	s_load_dwordx2 s[2:3], s[4:5], 0x20
	s_load_dwordx4 s[20:23], s[4:5], 0x60
	v_lshrrev_b32_e32 v1, 2, v0
	s_waitcnt lgkmcnt(0)
	v_mov_b32_e32 v3, s1
	s_load_dword s1, s[4:5], 0x88
	s_lshl_b64 s[8:9], s[14:15], 3
	s_add_u32 s16, s12, s8
	s_addc_u32 s17, s13, s9
	v_mov_b32_e32 v2, s0
	s_waitcnt lgkmcnt(0)
	s_add_i32 s10, s1, -1
	s_mulk_i32 s1, 0x300
	s_add_i32 s7, s1, s14
	s_sub_i32 s7, s0, s7
	s_addk_i32 s7, 0x300
	s_add_u32 s0, s14, s1
	s_addc_u32 s1, s15, 0
	s_cmp_eq_u32 s6, s10
	s_load_dwordx2 s[18:19], s[22:23], 0x0
	s_cselect_b64 s[22:23], -1, 0
	s_cmp_lg_u32 s6, s10
	s_mul_i32 s12, s6, 0x300
	s_mov_b32 s13, 0
	v_cmp_lt_u64_e32 vcc, s[0:1], v[2:3]
	s_cselect_b64 s[0:1], -1, 0
	s_or_b64 s[10:11], s[0:1], vcc
	s_lshl_b64 s[12:13], s[12:13], 3
	s_add_u32 s16, s16, s12
	s_addc_u32 s17, s17, s13
	s_mov_b64 s[0:1], -1
	s_and_b64 vcc, exec, s[10:11]
	s_cbranch_vccz .LBB2893_2
; %bb.1:
	v_lshlrev_b32_e32 v14, 3, v0
	v_mov_b32_e32 v3, s17
	v_add_co_u32_e32 v2, vcc, s16, v14
	v_addc_co_u32_e32 v3, vcc, 0, v3, vcc
	v_add_co_u32_e32 v4, vcc, 0x1000, v2
	v_addc_co_u32_e32 v5, vcc, 0, v3, vcc
	flat_load_dwordx2 v[6:7], v[2:3]
	flat_load_dwordx2 v[8:9], v[2:3] offset:1536
	flat_load_dwordx2 v[10:11], v[2:3] offset:3072
	flat_load_dwordx2 v[12:13], v[4:5] offset:512
	v_add_u32_e32 v3, 0xc0, v0
	v_add_u32_e32 v4, 0x180, v0
	;; [unrolled: 1-line block ×3, first 2 shown]
	v_and_b32_e32 v2, 56, v1
	v_lshrrev_b32_e32 v3, 2, v3
	v_lshrrev_b32_e32 v4, 2, v4
	;; [unrolled: 1-line block ×3, first 2 shown]
	v_add_u32_e32 v2, v2, v14
	v_and_b32_e32 v3, 0x78, v3
	v_and_b32_e32 v4, 0xf8, v4
	;; [unrolled: 1-line block ×3, first 2 shown]
	v_add_u32_e32 v3, v3, v14
	v_add_u32_e32 v4, v4, v14
	;; [unrolled: 1-line block ×3, first 2 shown]
	s_mov_b64 s[0:1], 0
	s_waitcnt vmcnt(0) lgkmcnt(0)
	ds_write_b64 v2, v[6:7]
	ds_write_b64 v3, v[8:9] offset:1536
	ds_write_b64 v4, v[10:11] offset:3072
	;; [unrolled: 1-line block ×3, first 2 shown]
	s_waitcnt lgkmcnt(0)
	s_barrier
.LBB2893_2:
	s_andn2_b64 vcc, exec, s[0:1]
	v_cmp_gt_u32_e64 s[0:1], s7, v0
	s_cbranch_vccnz .LBB2893_12
; %bb.3:
                                        ; implicit-def: $vgpr2_vgpr3_vgpr4_vgpr5_vgpr6_vgpr7_vgpr8_vgpr9
	s_and_saveexec_b64 s[14:15], s[0:1]
	s_cbranch_execz .LBB2893_5
; %bb.4:
	v_lshlrev_b32_e32 v2, 3, v0
	v_mov_b32_e32 v3, s17
	v_add_co_u32_e32 v2, vcc, s16, v2
	v_addc_co_u32_e32 v3, vcc, 0, v3, vcc
	flat_load_dwordx2 v[2:3], v[2:3]
.LBB2893_5:
	s_or_b64 exec, exec, s[14:15]
	v_add_u32_e32 v10, 0xc0, v0
	v_cmp_gt_u32_e32 vcc, s7, v10
	s_and_saveexec_b64 s[0:1], vcc
	s_cbranch_execz .LBB2893_7
; %bb.6:
	v_lshlrev_b32_e32 v4, 3, v0
	v_mov_b32_e32 v5, s17
	v_add_co_u32_e32 v4, vcc, s16, v4
	v_addc_co_u32_e32 v5, vcc, 0, v5, vcc
	flat_load_dwordx2 v[4:5], v[4:5] offset:1536
.LBB2893_7:
	s_or_b64 exec, exec, s[0:1]
	v_add_u32_e32 v11, 0x180, v0
	v_cmp_gt_u32_e32 vcc, s7, v11
	s_and_saveexec_b64 s[0:1], vcc
	s_cbranch_execz .LBB2893_9
; %bb.8:
	v_lshlrev_b32_e32 v6, 3, v0
	v_mov_b32_e32 v7, s17
	v_add_co_u32_e32 v6, vcc, s16, v6
	v_addc_co_u32_e32 v7, vcc, 0, v7, vcc
	flat_load_dwordx2 v[6:7], v[6:7] offset:3072
.LBB2893_9:
	s_or_b64 exec, exec, s[0:1]
	v_add_u32_e32 v12, 0x240, v0
	v_cmp_gt_u32_e32 vcc, s7, v12
	s_and_saveexec_b64 s[0:1], vcc
	s_cbranch_execz .LBB2893_11
; %bb.10:
	v_lshlrev_b32_e32 v8, 3, v12
	v_mov_b32_e32 v9, s17
	v_add_co_u32_e32 v8, vcc, s16, v8
	v_addc_co_u32_e32 v9, vcc, 0, v9, vcc
	flat_load_dwordx2 v[8:9], v[8:9]
.LBB2893_11:
	s_or_b64 exec, exec, s[0:1]
	v_and_b32_e32 v1, 56, v1
	v_lshlrev_b32_e32 v13, 3, v0
	v_add_u32_e32 v1, v1, v13
	s_waitcnt vmcnt(0) lgkmcnt(0)
	ds_write_b64 v1, v[2:3]
	v_lshrrev_b32_e32 v1, 2, v10
	v_and_b32_e32 v1, 0x78, v1
	v_add_u32_e32 v1, v1, v13
	ds_write_b64 v1, v[4:5] offset:1536
	v_lshrrev_b32_e32 v1, 2, v11
	v_and_b32_e32 v1, 0xf8, v1
	v_add_u32_e32 v1, v1, v13
	ds_write_b64 v1, v[6:7] offset:3072
	;; [unrolled: 4-line block ×3, first 2 shown]
	s_waitcnt lgkmcnt(0)
	s_barrier
.LBB2893_12:
	v_lshlrev_b32_e32 v1, 2, v0
	v_lshrrev_b32_e32 v10, 3, v0
	v_add_lshl_u32 v2, v10, v1, 3
	s_waitcnt lgkmcnt(0)
	ds_read2_b64 v[6:9], v2 offset1:1
	ds_read2_b64 v[2:5], v2 offset0:2 offset1:3
	s_add_u32 s0, s2, s8
	s_addc_u32 s1, s3, s9
	s_add_u32 s0, s0, s12
	s_addc_u32 s1, s1, s13
	s_mov_b64 s[2:3], -1
	s_and_b64 vcc, exec, s[10:11]
	v_lshrrev_b32_e32 v11, 5, v0
	s_waitcnt lgkmcnt(0)
	s_barrier
	s_cbranch_vccz .LBB2893_14
; %bb.13:
	v_lshlrev_b32_e32 v18, 3, v0
	global_load_dwordx2 v[12:13], v18, s[0:1]
	global_load_dwordx2 v[14:15], v18, s[0:1] offset:1536
	global_load_dwordx2 v[16:17], v18, s[0:1] offset:3072
	v_mov_b32_e32 v19, s1
	s_waitcnt vmcnt(2)
	v_add_co_u32_e32 v13, vcc, s0, v18
	s_waitcnt vmcnt(1)
	v_addc_co_u32_e32 v15, vcc, 0, v19, vcc
	v_add_co_u32_e32 v18, vcc, 0x1000, v13
	v_addc_co_u32_e32 v19, vcc, 0, v15, vcc
	global_load_dwordx2 v[18:19], v[18:19], off offset:512
	v_add_u32_e32 v15, 0xc0, v0
	s_waitcnt vmcnt(1)
	v_add_u32_e32 v17, 0x180, v0
	v_and_b32_e32 v13, 4, v11
	s_waitcnt vmcnt(0)
	v_add_u32_e32 v19, 0x240, v0
	v_lshrrev_b32_e32 v15, 5, v15
	v_lshrrev_b32_e32 v17, 5, v17
	v_add_u32_e32 v13, v13, v0
	v_lshrrev_b32_e32 v19, 5, v19
	v_and_b32_e32 v15, 12, v15
	v_and_b32_e32 v17, 28, v17
	;; [unrolled: 1-line block ×3, first 2 shown]
	v_add_u32_e32 v15, v15, v0
	v_add_u32_e32 v17, v17, v0
	;; [unrolled: 1-line block ×3, first 2 shown]
	s_mov_b64 s[2:3], 0
	v_xor_b32_e32 v12, -1, v12
	v_xor_b32_e32 v14, -1, v14
	;; [unrolled: 1-line block ×3, first 2 shown]
	v_and_b32_e32 v12, 1, v12
	v_and_b32_e32 v14, 1, v14
	v_and_b32_e32 v16, 1, v16
	ds_write_b8 v13, v12
	ds_write_b8 v15, v14 offset:192
	ds_write_b8 v17, v16 offset:384
	v_xor_b32_e32 v12, -1, v18
	v_and_b32_e32 v12, 1, v12
	ds_write_b8 v19, v12 offset:576
	s_waitcnt lgkmcnt(0)
	s_barrier
.LBB2893_14:
	s_load_dwordx2 s[24:25], s[4:5], 0x80
	s_andn2_b64 vcc, exec, s[2:3]
	s_cbranch_vccnz .LBB2893_24
; %bb.15:
	v_cmp_gt_u32_e32 vcc, s7, v0
	v_mov_b32_e32 v12, 0
	v_mov_b32_e32 v13, 0
	s_and_saveexec_b64 s[2:3], vcc
	s_cbranch_execz .LBB2893_17
; %bb.16:
	v_lshlrev_b32_e32 v13, 3, v0
	global_load_dwordx2 v[14:15], v13, s[0:1]
	s_waitcnt vmcnt(0)
	v_xor_b32_e32 v13, -1, v14
	v_and_b32_e32 v13, 1, v13
.LBB2893_17:
	s_or_b64 exec, exec, s[2:3]
	v_add_u32_e32 v14, 0xc0, v0
	v_cmp_gt_u32_e32 vcc, s7, v14
	s_and_saveexec_b64 s[2:3], vcc
	s_cbranch_execz .LBB2893_19
; %bb.18:
	v_lshlrev_b32_e32 v12, 3, v0
	global_load_dwordx2 v[16:17], v12, s[0:1] offset:1536
	s_waitcnt vmcnt(0)
	v_xor_b32_e32 v12, -1, v16
	v_and_b32_e32 v12, 1, v12
.LBB2893_19:
	s_or_b64 exec, exec, s[2:3]
	v_add_u32_e32 v16, 0x180, v0
	v_cmp_gt_u32_e32 vcc, s7, v16
	v_mov_b32_e32 v15, 0
	v_mov_b32_e32 v17, 0
	s_and_saveexec_b64 s[2:3], vcc
	s_cbranch_execz .LBB2893_21
; %bb.20:
	v_lshlrev_b32_e32 v17, 3, v0
	global_load_dwordx2 v[18:19], v17, s[0:1] offset:3072
	s_waitcnt vmcnt(0)
	v_xor_b32_e32 v17, -1, v18
	v_and_b32_e32 v17, 1, v17
.LBB2893_21:
	s_or_b64 exec, exec, s[2:3]
	v_add_u32_e32 v18, 0x240, v0
	v_cmp_gt_u32_e32 vcc, s7, v18
	s_and_saveexec_b64 s[2:3], vcc
	s_cbranch_execz .LBB2893_23
; %bb.22:
	v_lshlrev_b32_e32 v15, 3, v18
	global_load_dwordx2 v[20:21], v15, s[0:1]
	s_waitcnt vmcnt(0)
	v_xor_b32_e32 v15, -1, v20
	v_and_b32_e32 v15, 1, v15
.LBB2893_23:
	s_or_b64 exec, exec, s[2:3]
	v_and_b32_e32 v11, 4, v11
	v_add_u32_e32 v11, v11, v0
	ds_write_b8 v11, v13
	v_lshrrev_b32_e32 v11, 5, v14
	v_and_b32_e32 v11, 12, v11
	v_add_u32_e32 v11, v11, v0
	ds_write_b8 v11, v12 offset:192
	v_lshrrev_b32_e32 v11, 5, v16
	v_and_b32_e32 v11, 28, v11
	v_add_u32_e32 v11, v11, v0
	ds_write_b8 v11, v17 offset:384
	;; [unrolled: 4-line block ×3, first 2 shown]
	s_waitcnt lgkmcnt(0)
	s_barrier
.LBB2893_24:
	v_and_b32_e32 v10, 28, v10
	v_add_u32_e32 v10, v10, v1
	s_waitcnt lgkmcnt(0)
	ds_read_b32 v21, v10
	s_cmp_lg_u32 s6, 0
	v_lshrrev_b32_e32 v24, 6, v0
	s_waitcnt lgkmcnt(0)
	s_barrier
	v_lshrrev_b32_e32 v20, 24, v21
	v_bfe_u32 v22, v21, 16, 8
	v_add_u32_sdwa v10, v21, v21 dst_sel:DWORD dst_unused:UNUSED_PAD src0_sel:BYTE_1 src1_sel:BYTE_0
	v_add3_u32 v25, v10, v22, v20
	v_mbcnt_lo_u32_b32 v10, -1, 0
	v_mbcnt_hi_u32_b32 v23, -1, v10
	v_and_b32_e32 v10, 15, v23
	v_cmp_eq_u32_e64 s[12:13], 0, v10
	v_cmp_lt_u32_e64 s[10:11], 1, v10
	v_cmp_lt_u32_e64 s[8:9], 3, v10
	;; [unrolled: 1-line block ×3, first 2 shown]
	v_and_b32_e32 v10, 16, v23
	v_cmp_eq_u32_e64 s[2:3], 0, v10
	v_and_b32_e32 v10, 0xc0, v0
	v_min_u32_e32 v10, 0x80, v10
	v_or_b32_e32 v10, 63, v10
	v_cmp_lt_u32_e64 s[0:1], 31, v23
	v_cmp_eq_u32_e64 s[4:5], v10, v0
	s_cbranch_scc0 .LBB2893_55
; %bb.25:
	v_mov_b32_dpp v10, v25 row_shr:1 row_mask:0xf bank_mask:0xf
	v_cndmask_b32_e64 v10, v10, 0, s[12:13]
	v_add_u32_e32 v10, v10, v25
	s_nop 1
	v_mov_b32_dpp v11, v10 row_shr:2 row_mask:0xf bank_mask:0xf
	v_cndmask_b32_e64 v11, 0, v11, s[10:11]
	v_add_u32_e32 v10, v10, v11
	s_nop 1
	;; [unrolled: 4-line block ×4, first 2 shown]
	v_mov_b32_dpp v11, v10 row_bcast:15 row_mask:0xf bank_mask:0xf
	v_cndmask_b32_e64 v11, v11, 0, s[2:3]
	v_add_u32_e32 v10, v10, v11
	s_nop 1
	v_mov_b32_dpp v11, v10 row_bcast:31 row_mask:0xf bank_mask:0xf
	v_cndmask_b32_e64 v11, 0, v11, s[0:1]
	v_add_u32_e32 v10, v10, v11
	s_and_saveexec_b64 s[14:15], s[4:5]
	s_cbranch_execz .LBB2893_27
; %bb.26:
	v_lshlrev_b32_e32 v11, 2, v24
	ds_write_b32 v11, v10
.LBB2893_27:
	s_or_b64 exec, exec, s[14:15]
	v_cmp_gt_u32_e32 vcc, 3, v0
	s_waitcnt lgkmcnt(0)
	s_barrier
	s_and_saveexec_b64 s[14:15], vcc
	s_cbranch_execz .LBB2893_29
; %bb.28:
	ds_read_b32 v11, v1
	v_and_b32_e32 v12, 3, v23
	v_cmp_ne_u32_e32 vcc, 0, v12
	s_waitcnt lgkmcnt(0)
	v_mov_b32_dpp v13, v11 row_shr:1 row_mask:0xf bank_mask:0xf
	v_cndmask_b32_e32 v13, 0, v13, vcc
	v_add_u32_e32 v11, v13, v11
	v_cmp_lt_u32_e32 vcc, 1, v12
	s_nop 0
	v_mov_b32_dpp v13, v11 row_shr:2 row_mask:0xf bank_mask:0xf
	v_cndmask_b32_e32 v12, 0, v13, vcc
	v_add_u32_e32 v11, v11, v12
	ds_write_b32 v1, v11
.LBB2893_29:
	s_or_b64 exec, exec, s[14:15]
	v_cmp_gt_u32_e32 vcc, 64, v0
	v_cmp_lt_u32_e64 s[14:15], 63, v0
	s_waitcnt lgkmcnt(0)
	s_barrier
	s_waitcnt lgkmcnt(0)
                                        ; implicit-def: $vgpr26
	s_and_saveexec_b64 s[26:27], s[14:15]
	s_cbranch_execz .LBB2893_31
; %bb.30:
	v_lshl_add_u32 v11, v24, 2, -4
	ds_read_b32 v26, v11
	s_waitcnt lgkmcnt(0)
	v_add_u32_e32 v10, v26, v10
.LBB2893_31:
	s_or_b64 exec, exec, s[26:27]
	v_add_u32_e32 v11, -1, v23
	v_and_b32_e32 v12, 64, v23
	v_cmp_lt_i32_e64 s[14:15], v11, v12
	v_cndmask_b32_e64 v11, v11, v23, s[14:15]
	v_lshlrev_b32_e32 v11, 2, v11
	ds_bpermute_b32 v27, v11, v10
	v_cmp_eq_u32_e64 s[14:15], 0, v23
	s_and_saveexec_b64 s[26:27], vcc
	s_cbranch_execz .LBB2893_54
; %bb.32:
	v_mov_b32_e32 v19, 0
	ds_read_b32 v10, v19 offset:8
	s_and_saveexec_b64 s[28:29], s[14:15]
	s_cbranch_execz .LBB2893_34
; %bb.33:
	s_add_i32 s30, s6, 64
	s_mov_b32 s31, 0
	s_lshl_b64 s[30:31], s[30:31], 3
	s_add_u32 s30, s24, s30
	v_mov_b32_e32 v11, 1
	s_addc_u32 s31, s25, s31
	s_waitcnt lgkmcnt(0)
	global_store_dwordx2 v19, v[10:11], s[30:31]
.LBB2893_34:
	s_or_b64 exec, exec, s[28:29]
	v_xad_u32 v12, v23, -1, s6
	v_add_u32_e32 v18, 64, v12
	v_lshlrev_b64 v[14:15], 3, v[18:19]
	v_mov_b32_e32 v11, s25
	v_add_co_u32_e32 v14, vcc, s24, v14
	v_addc_co_u32_e32 v15, vcc, v11, v15, vcc
	global_load_dwordx2 v[16:17], v[14:15], off glc
	s_waitcnt vmcnt(0)
	v_cmp_eq_u16_sdwa s[30:31], v17, v19 src0_sel:BYTE_0 src1_sel:DWORD
	s_and_saveexec_b64 s[28:29], s[30:31]
	s_cbranch_execz .LBB2893_40
; %bb.35:
	s_mov_b32 s7, 1
	s_mov_b64 s[30:31], 0
	v_mov_b32_e32 v11, 0
.LBB2893_36:                            ; =>This Loop Header: Depth=1
                                        ;     Child Loop BB2893_37 Depth 2
	s_max_u32 s33, s7, 1
.LBB2893_37:                            ;   Parent Loop BB2893_36 Depth=1
                                        ; =>  This Inner Loop Header: Depth=2
	s_add_i32 s33, s33, -1
	s_cmp_eq_u32 s33, 0
	s_sleep 1
	s_cbranch_scc0 .LBB2893_37
; %bb.38:                               ;   in Loop: Header=BB2893_36 Depth=1
	global_load_dwordx2 v[16:17], v[14:15], off glc
	s_cmp_lt_u32 s7, 32
	s_cselect_b64 s[34:35], -1, 0
	s_cmp_lg_u64 s[34:35], 0
	s_addc_u32 s7, s7, 0
	s_waitcnt vmcnt(0)
	v_cmp_ne_u16_sdwa s[34:35], v17, v11 src0_sel:BYTE_0 src1_sel:DWORD
	s_or_b64 s[30:31], s[34:35], s[30:31]
	s_andn2_b64 exec, exec, s[30:31]
	s_cbranch_execnz .LBB2893_36
; %bb.39:
	s_or_b64 exec, exec, s[30:31]
.LBB2893_40:
	s_or_b64 exec, exec, s[28:29]
	v_and_b32_e32 v29, 63, v23
	v_mov_b32_e32 v28, 2
	v_cmp_ne_u32_e32 vcc, 63, v29
	v_cmp_eq_u16_sdwa s[28:29], v17, v28 src0_sel:BYTE_0 src1_sel:DWORD
	v_lshlrev_b64 v[14:15], v23, -1
	v_addc_co_u32_e32 v18, vcc, 0, v23, vcc
	v_and_b32_e32 v11, s29, v15
	v_lshlrev_b32_e32 v30, 2, v18
	v_or_b32_e32 v11, 0x80000000, v11
	ds_bpermute_b32 v18, v30, v16
	v_and_b32_e32 v13, s28, v14
	v_ffbl_b32_e32 v11, v11
	v_add_u32_e32 v11, 32, v11
	v_ffbl_b32_e32 v13, v13
	v_min_u32_e32 v11, v13, v11
	v_cmp_lt_u32_e32 vcc, v29, v11
	s_waitcnt lgkmcnt(0)
	v_cndmask_b32_e32 v13, 0, v18, vcc
	v_cmp_gt_u32_e32 vcc, 62, v29
	v_add_u32_e32 v13, v13, v16
	v_cndmask_b32_e64 v16, 0, 1, vcc
	v_lshlrev_b32_e32 v16, 1, v16
	v_add_lshl_u32 v31, v16, v23, 2
	ds_bpermute_b32 v16, v31, v13
	v_add_u32_e32 v32, 2, v29
	v_cmp_le_u32_e32 vcc, v32, v11
	v_add_u32_e32 v34, 4, v29
	v_add_u32_e32 v36, 8, v29
	s_waitcnt lgkmcnt(0)
	v_cndmask_b32_e32 v16, 0, v16, vcc
	v_cmp_gt_u32_e32 vcc, 60, v29
	v_add_u32_e32 v13, v13, v16
	v_cndmask_b32_e64 v16, 0, 1, vcc
	v_lshlrev_b32_e32 v16, 2, v16
	v_add_lshl_u32 v33, v16, v23, 2
	ds_bpermute_b32 v16, v33, v13
	v_cmp_le_u32_e32 vcc, v34, v11
	v_add_u32_e32 v38, 16, v29
	v_add_u32_e32 v40, 32, v29
	s_waitcnt lgkmcnt(0)
	v_cndmask_b32_e32 v16, 0, v16, vcc
	v_cmp_gt_u32_e32 vcc, 56, v29
	v_add_u32_e32 v13, v13, v16
	v_cndmask_b32_e64 v16, 0, 1, vcc
	v_lshlrev_b32_e32 v16, 3, v16
	v_add_lshl_u32 v35, v16, v23, 2
	ds_bpermute_b32 v16, v35, v13
	v_cmp_le_u32_e32 vcc, v36, v11
	s_waitcnt lgkmcnt(0)
	v_cndmask_b32_e32 v16, 0, v16, vcc
	v_cmp_gt_u32_e32 vcc, 48, v29
	v_add_u32_e32 v13, v13, v16
	v_cndmask_b32_e64 v16, 0, 1, vcc
	v_lshlrev_b32_e32 v16, 4, v16
	v_add_lshl_u32 v37, v16, v23, 2
	ds_bpermute_b32 v16, v37, v13
	v_cmp_le_u32_e32 vcc, v38, v11
	;; [unrolled: 9-line block ×3, first 2 shown]
	s_waitcnt lgkmcnt(0)
	v_cndmask_b32_e32 v11, 0, v16, vcc
	v_add_u32_e32 v16, v13, v11
	v_mov_b32_e32 v13, 0
	s_branch .LBB2893_42
.LBB2893_41:                            ;   in Loop: Header=BB2893_42 Depth=1
	s_or_b64 exec, exec, s[28:29]
	v_cmp_eq_u16_sdwa s[28:29], v17, v28 src0_sel:BYTE_0 src1_sel:DWORD
	v_and_b32_e32 v18, s29, v15
	v_or_b32_e32 v18, 0x80000000, v18
	ds_bpermute_b32 v41, v30, v16
	v_and_b32_e32 v19, s28, v14
	v_ffbl_b32_e32 v18, v18
	v_add_u32_e32 v18, 32, v18
	v_ffbl_b32_e32 v19, v19
	v_min_u32_e32 v18, v19, v18
	v_cmp_lt_u32_e32 vcc, v29, v18
	s_waitcnt lgkmcnt(0)
	v_cndmask_b32_e32 v19, 0, v41, vcc
	v_add_u32_e32 v16, v19, v16
	ds_bpermute_b32 v19, v31, v16
	v_cmp_le_u32_e32 vcc, v32, v18
	v_subrev_u32_e32 v12, 64, v12
	s_waitcnt lgkmcnt(0)
	v_cndmask_b32_e32 v19, 0, v19, vcc
	v_add_u32_e32 v16, v16, v19
	ds_bpermute_b32 v19, v33, v16
	v_cmp_le_u32_e32 vcc, v34, v18
	s_waitcnt lgkmcnt(0)
	v_cndmask_b32_e32 v19, 0, v19, vcc
	v_add_u32_e32 v16, v16, v19
	ds_bpermute_b32 v19, v35, v16
	v_cmp_le_u32_e32 vcc, v36, v18
	;; [unrolled: 5-line block ×4, first 2 shown]
	s_waitcnt lgkmcnt(0)
	v_cndmask_b32_e32 v18, 0, v19, vcc
	v_add3_u32 v16, v18, v11, v16
.LBB2893_42:                            ; =>This Loop Header: Depth=1
                                        ;     Child Loop BB2893_45 Depth 2
                                        ;       Child Loop BB2893_46 Depth 3
	v_cmp_ne_u16_sdwa s[28:29], v17, v28 src0_sel:BYTE_0 src1_sel:DWORD
	v_cndmask_b32_e64 v11, 0, 1, s[28:29]
	;;#ASMSTART
	;;#ASMEND
	v_cmp_ne_u32_e32 vcc, 0, v11
	s_cmp_lg_u64 vcc, exec
	v_mov_b32_e32 v11, v16
	s_cbranch_scc1 .LBB2893_49
; %bb.43:                               ;   in Loop: Header=BB2893_42 Depth=1
	v_lshlrev_b64 v[16:17], 3, v[12:13]
	v_mov_b32_e32 v19, s25
	v_add_co_u32_e32 v18, vcc, s24, v16
	v_addc_co_u32_e32 v19, vcc, v19, v17, vcc
	global_load_dwordx2 v[16:17], v[18:19], off glc
	s_waitcnt vmcnt(0)
	v_cmp_eq_u16_sdwa s[30:31], v17, v13 src0_sel:BYTE_0 src1_sel:DWORD
	s_and_saveexec_b64 s[28:29], s[30:31]
	s_cbranch_execz .LBB2893_41
; %bb.44:                               ;   in Loop: Header=BB2893_42 Depth=1
	s_mov_b32 s7, 1
	s_mov_b64 s[30:31], 0
.LBB2893_45:                            ;   Parent Loop BB2893_42 Depth=1
                                        ; =>  This Loop Header: Depth=2
                                        ;       Child Loop BB2893_46 Depth 3
	s_max_u32 s33, s7, 1
.LBB2893_46:                            ;   Parent Loop BB2893_42 Depth=1
                                        ;     Parent Loop BB2893_45 Depth=2
                                        ; =>    This Inner Loop Header: Depth=3
	s_add_i32 s33, s33, -1
	s_cmp_eq_u32 s33, 0
	s_sleep 1
	s_cbranch_scc0 .LBB2893_46
; %bb.47:                               ;   in Loop: Header=BB2893_45 Depth=2
	global_load_dwordx2 v[16:17], v[18:19], off glc
	s_cmp_lt_u32 s7, 32
	s_cselect_b64 s[34:35], -1, 0
	s_cmp_lg_u64 s[34:35], 0
	s_addc_u32 s7, s7, 0
	s_waitcnt vmcnt(0)
	v_cmp_ne_u16_sdwa s[34:35], v17, v13 src0_sel:BYTE_0 src1_sel:DWORD
	s_or_b64 s[30:31], s[34:35], s[30:31]
	s_andn2_b64 exec, exec, s[30:31]
	s_cbranch_execnz .LBB2893_45
; %bb.48:                               ;   in Loop: Header=BB2893_42 Depth=1
	s_or_b64 exec, exec, s[30:31]
	s_branch .LBB2893_41
.LBB2893_49:                            ;   in Loop: Header=BB2893_42 Depth=1
                                        ; implicit-def: $vgpr16
                                        ; implicit-def: $vgpr17
	s_cbranch_execz .LBB2893_42
; %bb.50:
	s_and_saveexec_b64 s[28:29], s[14:15]
	s_cbranch_execz .LBB2893_52
; %bb.51:
	s_add_i32 s6, s6, 64
	s_mov_b32 s7, 0
	s_lshl_b64 s[6:7], s[6:7], 3
	s_add_u32 s6, s24, s6
	v_add_u32_e32 v12, v11, v10
	v_mov_b32_e32 v13, 2
	s_addc_u32 s7, s25, s7
	v_mov_b32_e32 v14, 0
	global_store_dwordx2 v14, v[12:13], s[6:7]
	ds_write_b64 v14, v[10:11] offset:6336
.LBB2893_52:
	s_or_b64 exec, exec, s[28:29]
	v_cmp_eq_u32_e32 vcc, 0, v0
	s_and_b64 exec, exec, vcc
	s_cbranch_execz .LBB2893_54
; %bb.53:
	v_mov_b32_e32 v10, 0
	ds_write_b32 v10, v11 offset:8
.LBB2893_54:
	s_or_b64 exec, exec, s[26:27]
	v_mov_b32_e32 v10, 0
	s_waitcnt lgkmcnt(0)
	s_barrier
	ds_read_b32 v11, v10 offset:8
	v_cndmask_b32_e64 v12, v27, v26, s[14:15]
	v_cmp_ne_u32_e32 vcc, 0, v0
	v_cndmask_b32_e32 v12, 0, v12, vcc
	s_waitcnt lgkmcnt(0)
	v_add_u32_e32 v14, v11, v12
	s_barrier
	ds_read_b64 v[10:11], v10 offset:6336
	v_add_u32_sdwa v15, v14, v21 dst_sel:DWORD dst_unused:UNUSED_PAD src0_sel:DWORD src1_sel:BYTE_0
	v_add_u32_sdwa v13, v15, v21 dst_sel:DWORD dst_unused:UNUSED_PAD src0_sel:DWORD src1_sel:BYTE_1
	v_add_u32_e32 v12, v13, v22
	s_branch .LBB2893_65
.LBB2893_55:
                                        ; implicit-def: $vgpr11
                                        ; implicit-def: $vgpr12
                                        ; implicit-def: $vgpr13
                                        ; implicit-def: $vgpr15
                                        ; implicit-def: $vgpr14
	s_cbranch_execz .LBB2893_65
; %bb.56:
	s_waitcnt lgkmcnt(0)
	v_mov_b32_dpp v10, v25 row_shr:1 row_mask:0xf bank_mask:0xf
	v_cndmask_b32_e64 v10, v10, 0, s[12:13]
	v_add_u32_e32 v10, v10, v25
	s_nop 1
	v_mov_b32_dpp v11, v10 row_shr:2 row_mask:0xf bank_mask:0xf
	v_cndmask_b32_e64 v11, 0, v11, s[10:11]
	v_add_u32_e32 v10, v10, v11
	s_nop 1
	;; [unrolled: 4-line block ×4, first 2 shown]
	v_mov_b32_dpp v11, v10 row_bcast:15 row_mask:0xf bank_mask:0xf
	v_cndmask_b32_e64 v11, v11, 0, s[2:3]
	v_add_u32_e32 v10, v10, v11
	s_nop 1
	v_mov_b32_dpp v11, v10 row_bcast:31 row_mask:0xf bank_mask:0xf
	v_cndmask_b32_e64 v11, 0, v11, s[0:1]
	v_add_u32_e32 v10, v10, v11
	s_and_saveexec_b64 s[0:1], s[4:5]
	s_cbranch_execz .LBB2893_58
; %bb.57:
	v_lshlrev_b32_e32 v11, 2, v24
	ds_write_b32 v11, v10
.LBB2893_58:
	s_or_b64 exec, exec, s[0:1]
	v_cmp_gt_u32_e32 vcc, 3, v0
	s_waitcnt lgkmcnt(0)
	s_barrier
	s_and_saveexec_b64 s[0:1], vcc
	s_cbranch_execz .LBB2893_60
; %bb.59:
	ds_read_b32 v11, v1
	v_and_b32_e32 v12, 3, v23
	v_cmp_ne_u32_e32 vcc, 0, v12
	s_waitcnt lgkmcnt(0)
	v_mov_b32_dpp v13, v11 row_shr:1 row_mask:0xf bank_mask:0xf
	v_cndmask_b32_e32 v13, 0, v13, vcc
	v_add_u32_e32 v11, v13, v11
	v_cmp_lt_u32_e32 vcc, 1, v12
	s_nop 0
	v_mov_b32_dpp v13, v11 row_shr:2 row_mask:0xf bank_mask:0xf
	v_cndmask_b32_e32 v12, 0, v13, vcc
	v_add_u32_e32 v11, v11, v12
	ds_write_b32 v1, v11
.LBB2893_60:
	s_or_b64 exec, exec, s[0:1]
	v_cmp_lt_u32_e32 vcc, 63, v0
	v_mov_b32_e32 v11, 0
	v_mov_b32_e32 v12, 0
	s_waitcnt lgkmcnt(0)
	s_barrier
	s_and_saveexec_b64 s[0:1], vcc
	s_cbranch_execz .LBB2893_62
; %bb.61:
	v_lshl_add_u32 v12, v24, 2, -4
	ds_read_b32 v12, v12
.LBB2893_62:
	s_or_b64 exec, exec, s[0:1]
	v_add_u32_e32 v13, -1, v23
	v_and_b32_e32 v14, 64, v23
	v_cmp_lt_i32_e32 vcc, v13, v14
	v_cndmask_b32_e32 v13, v13, v23, vcc
	s_waitcnt lgkmcnt(0)
	v_add_u32_e32 v10, v12, v10
	v_lshlrev_b32_e32 v13, 2, v13
	ds_bpermute_b32 v13, v13, v10
	ds_read_b32 v10, v11 offset:8
	v_cmp_eq_u32_e32 vcc, 0, v0
	s_and_saveexec_b64 s[0:1], vcc
	s_cbranch_execz .LBB2893_64
; %bb.63:
	v_mov_b32_e32 v14, 0
	v_mov_b32_e32 v11, 2
	s_waitcnt lgkmcnt(0)
	global_store_dwordx2 v14, v[10:11], s[24:25] offset:512
.LBB2893_64:
	s_or_b64 exec, exec, s[0:1]
	v_cmp_eq_u32_e64 s[0:1], 0, v23
	s_waitcnt lgkmcnt(1)
	v_cndmask_b32_e64 v12, v13, v12, s[0:1]
	v_cndmask_b32_e64 v14, v12, 0, vcc
	v_add_u32_sdwa v15, v14, v21 dst_sel:DWORD dst_unused:UNUSED_PAD src0_sel:DWORD src1_sel:BYTE_0
	v_add_u32_sdwa v13, v15, v21 dst_sel:DWORD dst_unused:UNUSED_PAD src0_sel:DWORD src1_sel:BYTE_1
	v_mov_b32_e32 v11, 0
	v_add_u32_e32 v12, v13, v22
	s_waitcnt lgkmcnt(0)
	s_barrier
.LBB2893_65:
	s_waitcnt lgkmcnt(0)
	v_add_u32_e32 v1, v10, v1
	v_sub_u32_e32 v14, v14, v11
	v_and_b32_e32 v18, 1, v21
	v_sub_u32_e32 v17, v1, v14
	v_cmp_eq_u32_e32 vcc, 1, v18
	v_cndmask_b32_e32 v14, v17, v14, vcc
	v_lshlrev_b32_e32 v14, 3, v14
	v_lshrrev_b32_e32 v16, 8, v21
	ds_write_b64 v14, v[6:7]
	v_sub_u32_e32 v6, v15, v11
	v_sub_u32_e32 v7, v1, v6
	v_and_b32_e32 v14, 1, v16
	v_add_u32_e32 v7, 1, v7
	v_cmp_eq_u32_e32 vcc, 1, v14
	v_cndmask_b32_e32 v6, v7, v6, vcc
	v_lshlrev_b32_e32 v6, 3, v6
	ds_write_b64 v6, v[8:9]
	v_sub_u32_e32 v6, v13, v11
	v_mov_b32_e32 v8, 1
	v_sub_u32_e32 v7, v1, v6
	v_and_b32_sdwa v8, v8, v21 dst_sel:DWORD dst_unused:UNUSED_PAD src0_sel:DWORD src1_sel:WORD_1
	v_add_u32_e32 v7, 2, v7
	v_cmp_eq_u32_e32 vcc, 1, v8
	v_cndmask_b32_e32 v6, v7, v6, vcc
	v_lshlrev_b32_e32 v6, 3, v6
	ds_write_b64 v6, v[2:3]
	v_sub_u32_e32 v2, v12, v11
	v_sub_u32_e32 v1, v1, v2
	v_and_b32_e32 v3, 1, v20
	v_add_u32_e32 v1, 3, v1
	v_cmp_eq_u32_e32 vcc, 1, v3
	v_cndmask_b32_e32 v1, v1, v2, vcc
	v_cmp_eq_u32_e32 vcc, 0, v0
	v_lshlrev_b32_e32 v1, 3, v1
	s_and_b64 s[0:1], vcc, s[22:23]
	ds_write_b64 v1, v[4:5]
	s_waitcnt lgkmcnt(0)
	s_barrier
	s_and_saveexec_b64 s[2:3], s[0:1]
	s_cbranch_execz .LBB2893_67
; %bb.66:
	v_mov_b32_e32 v0, s19
	v_add_co_u32_e32 v1, vcc, s18, v10
	v_addc_co_u32_e32 v3, vcc, 0, v0, vcc
	v_add_co_u32_e32 v0, vcc, v1, v11
	v_mov_b32_e32 v2, 0
	v_addc_co_u32_e32 v1, vcc, 0, v3, vcc
	global_store_dwordx2 v2, v[0:1], s[20:21]
.LBB2893_67:
	s_endpgm
	.section	.rodata,"a",@progbits
	.p2align	6, 0x0
	.amdhsa_kernel _ZN7rocprim17ROCPRIM_400000_NS6detail17trampoline_kernelINS0_14default_configENS1_25partition_config_selectorILNS1_17partition_subalgoE1EyNS0_10empty_typeEbEEZZNS1_14partition_implILS5_1ELb0ES3_jN6thrust23THRUST_200600_302600_NS6detail15normal_iteratorINSA_10device_ptrIyEEEEPS6_NSA_18transform_iteratorI7is_evenIyESF_NSA_11use_defaultESK_EENS0_5tupleIJNSA_16discard_iteratorISK_EESO_EEENSM_IJSG_SG_EEES6_PlJS6_EEE10hipError_tPvRmT3_T4_T5_T6_T7_T9_mT8_P12ihipStream_tbDpT10_ENKUlT_T0_E_clISt17integral_constantIbLb1EES1A_IbLb0EEEEDaS16_S17_EUlS16_E_NS1_11comp_targetILNS1_3genE4ELNS1_11target_archE910ELNS1_3gpuE8ELNS1_3repE0EEENS1_30default_config_static_selectorELNS0_4arch9wavefront6targetE1EEEvT1_
		.amdhsa_group_segment_fixed_size 6344
		.amdhsa_private_segment_fixed_size 0
		.amdhsa_kernarg_size 144
		.amdhsa_user_sgpr_count 6
		.amdhsa_user_sgpr_private_segment_buffer 1
		.amdhsa_user_sgpr_dispatch_ptr 0
		.amdhsa_user_sgpr_queue_ptr 0
		.amdhsa_user_sgpr_kernarg_segment_ptr 1
		.amdhsa_user_sgpr_dispatch_id 0
		.amdhsa_user_sgpr_flat_scratch_init 0
		.amdhsa_user_sgpr_kernarg_preload_length 0
		.amdhsa_user_sgpr_kernarg_preload_offset 0
		.amdhsa_user_sgpr_private_segment_size 0
		.amdhsa_uses_dynamic_stack 0
		.amdhsa_system_sgpr_private_segment_wavefront_offset 0
		.amdhsa_system_sgpr_workgroup_id_x 1
		.amdhsa_system_sgpr_workgroup_id_y 0
		.amdhsa_system_sgpr_workgroup_id_z 0
		.amdhsa_system_sgpr_workgroup_info 0
		.amdhsa_system_vgpr_workitem_id 0
		.amdhsa_next_free_vgpr 42
		.amdhsa_next_free_sgpr 36
		.amdhsa_accum_offset 44
		.amdhsa_reserve_vcc 1
		.amdhsa_reserve_flat_scratch 0
		.amdhsa_float_round_mode_32 0
		.amdhsa_float_round_mode_16_64 0
		.amdhsa_float_denorm_mode_32 3
		.amdhsa_float_denorm_mode_16_64 3
		.amdhsa_dx10_clamp 1
		.amdhsa_ieee_mode 1
		.amdhsa_fp16_overflow 0
		.amdhsa_tg_split 0
		.amdhsa_exception_fp_ieee_invalid_op 0
		.amdhsa_exception_fp_denorm_src 0
		.amdhsa_exception_fp_ieee_div_zero 0
		.amdhsa_exception_fp_ieee_overflow 0
		.amdhsa_exception_fp_ieee_underflow 0
		.amdhsa_exception_fp_ieee_inexact 0
		.amdhsa_exception_int_div_zero 0
	.end_amdhsa_kernel
	.section	.text._ZN7rocprim17ROCPRIM_400000_NS6detail17trampoline_kernelINS0_14default_configENS1_25partition_config_selectorILNS1_17partition_subalgoE1EyNS0_10empty_typeEbEEZZNS1_14partition_implILS5_1ELb0ES3_jN6thrust23THRUST_200600_302600_NS6detail15normal_iteratorINSA_10device_ptrIyEEEEPS6_NSA_18transform_iteratorI7is_evenIyESF_NSA_11use_defaultESK_EENS0_5tupleIJNSA_16discard_iteratorISK_EESO_EEENSM_IJSG_SG_EEES6_PlJS6_EEE10hipError_tPvRmT3_T4_T5_T6_T7_T9_mT8_P12ihipStream_tbDpT10_ENKUlT_T0_E_clISt17integral_constantIbLb1EES1A_IbLb0EEEEDaS16_S17_EUlS16_E_NS1_11comp_targetILNS1_3genE4ELNS1_11target_archE910ELNS1_3gpuE8ELNS1_3repE0EEENS1_30default_config_static_selectorELNS0_4arch9wavefront6targetE1EEEvT1_,"axG",@progbits,_ZN7rocprim17ROCPRIM_400000_NS6detail17trampoline_kernelINS0_14default_configENS1_25partition_config_selectorILNS1_17partition_subalgoE1EyNS0_10empty_typeEbEEZZNS1_14partition_implILS5_1ELb0ES3_jN6thrust23THRUST_200600_302600_NS6detail15normal_iteratorINSA_10device_ptrIyEEEEPS6_NSA_18transform_iteratorI7is_evenIyESF_NSA_11use_defaultESK_EENS0_5tupleIJNSA_16discard_iteratorISK_EESO_EEENSM_IJSG_SG_EEES6_PlJS6_EEE10hipError_tPvRmT3_T4_T5_T6_T7_T9_mT8_P12ihipStream_tbDpT10_ENKUlT_T0_E_clISt17integral_constantIbLb1EES1A_IbLb0EEEEDaS16_S17_EUlS16_E_NS1_11comp_targetILNS1_3genE4ELNS1_11target_archE910ELNS1_3gpuE8ELNS1_3repE0EEENS1_30default_config_static_selectorELNS0_4arch9wavefront6targetE1EEEvT1_,comdat
.Lfunc_end2893:
	.size	_ZN7rocprim17ROCPRIM_400000_NS6detail17trampoline_kernelINS0_14default_configENS1_25partition_config_selectorILNS1_17partition_subalgoE1EyNS0_10empty_typeEbEEZZNS1_14partition_implILS5_1ELb0ES3_jN6thrust23THRUST_200600_302600_NS6detail15normal_iteratorINSA_10device_ptrIyEEEEPS6_NSA_18transform_iteratorI7is_evenIyESF_NSA_11use_defaultESK_EENS0_5tupleIJNSA_16discard_iteratorISK_EESO_EEENSM_IJSG_SG_EEES6_PlJS6_EEE10hipError_tPvRmT3_T4_T5_T6_T7_T9_mT8_P12ihipStream_tbDpT10_ENKUlT_T0_E_clISt17integral_constantIbLb1EES1A_IbLb0EEEEDaS16_S17_EUlS16_E_NS1_11comp_targetILNS1_3genE4ELNS1_11target_archE910ELNS1_3gpuE8ELNS1_3repE0EEENS1_30default_config_static_selectorELNS0_4arch9wavefront6targetE1EEEvT1_, .Lfunc_end2893-_ZN7rocprim17ROCPRIM_400000_NS6detail17trampoline_kernelINS0_14default_configENS1_25partition_config_selectorILNS1_17partition_subalgoE1EyNS0_10empty_typeEbEEZZNS1_14partition_implILS5_1ELb0ES3_jN6thrust23THRUST_200600_302600_NS6detail15normal_iteratorINSA_10device_ptrIyEEEEPS6_NSA_18transform_iteratorI7is_evenIyESF_NSA_11use_defaultESK_EENS0_5tupleIJNSA_16discard_iteratorISK_EESO_EEENSM_IJSG_SG_EEES6_PlJS6_EEE10hipError_tPvRmT3_T4_T5_T6_T7_T9_mT8_P12ihipStream_tbDpT10_ENKUlT_T0_E_clISt17integral_constantIbLb1EES1A_IbLb0EEEEDaS16_S17_EUlS16_E_NS1_11comp_targetILNS1_3genE4ELNS1_11target_archE910ELNS1_3gpuE8ELNS1_3repE0EEENS1_30default_config_static_selectorELNS0_4arch9wavefront6targetE1EEEvT1_
                                        ; -- End function
	.section	.AMDGPU.csdata,"",@progbits
; Kernel info:
; codeLenInByte = 3560
; NumSgprs: 40
; NumVgprs: 42
; NumAgprs: 0
; TotalNumVgprs: 42
; ScratchSize: 0
; MemoryBound: 0
; FloatMode: 240
; IeeeMode: 1
; LDSByteSize: 6344 bytes/workgroup (compile time only)
; SGPRBlocks: 4
; VGPRBlocks: 5
; NumSGPRsForWavesPerEU: 40
; NumVGPRsForWavesPerEU: 42
; AccumOffset: 44
; Occupancy: 8
; WaveLimiterHint : 1
; COMPUTE_PGM_RSRC2:SCRATCH_EN: 0
; COMPUTE_PGM_RSRC2:USER_SGPR: 6
; COMPUTE_PGM_RSRC2:TRAP_HANDLER: 0
; COMPUTE_PGM_RSRC2:TGID_X_EN: 1
; COMPUTE_PGM_RSRC2:TGID_Y_EN: 0
; COMPUTE_PGM_RSRC2:TGID_Z_EN: 0
; COMPUTE_PGM_RSRC2:TIDIG_COMP_CNT: 0
; COMPUTE_PGM_RSRC3_GFX90A:ACCUM_OFFSET: 10
; COMPUTE_PGM_RSRC3_GFX90A:TG_SPLIT: 0
	.section	.text._ZN7rocprim17ROCPRIM_400000_NS6detail17trampoline_kernelINS0_14default_configENS1_25partition_config_selectorILNS1_17partition_subalgoE1EyNS0_10empty_typeEbEEZZNS1_14partition_implILS5_1ELb0ES3_jN6thrust23THRUST_200600_302600_NS6detail15normal_iteratorINSA_10device_ptrIyEEEEPS6_NSA_18transform_iteratorI7is_evenIyESF_NSA_11use_defaultESK_EENS0_5tupleIJNSA_16discard_iteratorISK_EESO_EEENSM_IJSG_SG_EEES6_PlJS6_EEE10hipError_tPvRmT3_T4_T5_T6_T7_T9_mT8_P12ihipStream_tbDpT10_ENKUlT_T0_E_clISt17integral_constantIbLb1EES1A_IbLb0EEEEDaS16_S17_EUlS16_E_NS1_11comp_targetILNS1_3genE3ELNS1_11target_archE908ELNS1_3gpuE7ELNS1_3repE0EEENS1_30default_config_static_selectorELNS0_4arch9wavefront6targetE1EEEvT1_,"axG",@progbits,_ZN7rocprim17ROCPRIM_400000_NS6detail17trampoline_kernelINS0_14default_configENS1_25partition_config_selectorILNS1_17partition_subalgoE1EyNS0_10empty_typeEbEEZZNS1_14partition_implILS5_1ELb0ES3_jN6thrust23THRUST_200600_302600_NS6detail15normal_iteratorINSA_10device_ptrIyEEEEPS6_NSA_18transform_iteratorI7is_evenIyESF_NSA_11use_defaultESK_EENS0_5tupleIJNSA_16discard_iteratorISK_EESO_EEENSM_IJSG_SG_EEES6_PlJS6_EEE10hipError_tPvRmT3_T4_T5_T6_T7_T9_mT8_P12ihipStream_tbDpT10_ENKUlT_T0_E_clISt17integral_constantIbLb1EES1A_IbLb0EEEEDaS16_S17_EUlS16_E_NS1_11comp_targetILNS1_3genE3ELNS1_11target_archE908ELNS1_3gpuE7ELNS1_3repE0EEENS1_30default_config_static_selectorELNS0_4arch9wavefront6targetE1EEEvT1_,comdat
	.protected	_ZN7rocprim17ROCPRIM_400000_NS6detail17trampoline_kernelINS0_14default_configENS1_25partition_config_selectorILNS1_17partition_subalgoE1EyNS0_10empty_typeEbEEZZNS1_14partition_implILS5_1ELb0ES3_jN6thrust23THRUST_200600_302600_NS6detail15normal_iteratorINSA_10device_ptrIyEEEEPS6_NSA_18transform_iteratorI7is_evenIyESF_NSA_11use_defaultESK_EENS0_5tupleIJNSA_16discard_iteratorISK_EESO_EEENSM_IJSG_SG_EEES6_PlJS6_EEE10hipError_tPvRmT3_T4_T5_T6_T7_T9_mT8_P12ihipStream_tbDpT10_ENKUlT_T0_E_clISt17integral_constantIbLb1EES1A_IbLb0EEEEDaS16_S17_EUlS16_E_NS1_11comp_targetILNS1_3genE3ELNS1_11target_archE908ELNS1_3gpuE7ELNS1_3repE0EEENS1_30default_config_static_selectorELNS0_4arch9wavefront6targetE1EEEvT1_ ; -- Begin function _ZN7rocprim17ROCPRIM_400000_NS6detail17trampoline_kernelINS0_14default_configENS1_25partition_config_selectorILNS1_17partition_subalgoE1EyNS0_10empty_typeEbEEZZNS1_14partition_implILS5_1ELb0ES3_jN6thrust23THRUST_200600_302600_NS6detail15normal_iteratorINSA_10device_ptrIyEEEEPS6_NSA_18transform_iteratorI7is_evenIyESF_NSA_11use_defaultESK_EENS0_5tupleIJNSA_16discard_iteratorISK_EESO_EEENSM_IJSG_SG_EEES6_PlJS6_EEE10hipError_tPvRmT3_T4_T5_T6_T7_T9_mT8_P12ihipStream_tbDpT10_ENKUlT_T0_E_clISt17integral_constantIbLb1EES1A_IbLb0EEEEDaS16_S17_EUlS16_E_NS1_11comp_targetILNS1_3genE3ELNS1_11target_archE908ELNS1_3gpuE7ELNS1_3repE0EEENS1_30default_config_static_selectorELNS0_4arch9wavefront6targetE1EEEvT1_
	.globl	_ZN7rocprim17ROCPRIM_400000_NS6detail17trampoline_kernelINS0_14default_configENS1_25partition_config_selectorILNS1_17partition_subalgoE1EyNS0_10empty_typeEbEEZZNS1_14partition_implILS5_1ELb0ES3_jN6thrust23THRUST_200600_302600_NS6detail15normal_iteratorINSA_10device_ptrIyEEEEPS6_NSA_18transform_iteratorI7is_evenIyESF_NSA_11use_defaultESK_EENS0_5tupleIJNSA_16discard_iteratorISK_EESO_EEENSM_IJSG_SG_EEES6_PlJS6_EEE10hipError_tPvRmT3_T4_T5_T6_T7_T9_mT8_P12ihipStream_tbDpT10_ENKUlT_T0_E_clISt17integral_constantIbLb1EES1A_IbLb0EEEEDaS16_S17_EUlS16_E_NS1_11comp_targetILNS1_3genE3ELNS1_11target_archE908ELNS1_3gpuE7ELNS1_3repE0EEENS1_30default_config_static_selectorELNS0_4arch9wavefront6targetE1EEEvT1_
	.p2align	8
	.type	_ZN7rocprim17ROCPRIM_400000_NS6detail17trampoline_kernelINS0_14default_configENS1_25partition_config_selectorILNS1_17partition_subalgoE1EyNS0_10empty_typeEbEEZZNS1_14partition_implILS5_1ELb0ES3_jN6thrust23THRUST_200600_302600_NS6detail15normal_iteratorINSA_10device_ptrIyEEEEPS6_NSA_18transform_iteratorI7is_evenIyESF_NSA_11use_defaultESK_EENS0_5tupleIJNSA_16discard_iteratorISK_EESO_EEENSM_IJSG_SG_EEES6_PlJS6_EEE10hipError_tPvRmT3_T4_T5_T6_T7_T9_mT8_P12ihipStream_tbDpT10_ENKUlT_T0_E_clISt17integral_constantIbLb1EES1A_IbLb0EEEEDaS16_S17_EUlS16_E_NS1_11comp_targetILNS1_3genE3ELNS1_11target_archE908ELNS1_3gpuE7ELNS1_3repE0EEENS1_30default_config_static_selectorELNS0_4arch9wavefront6targetE1EEEvT1_,@function
_ZN7rocprim17ROCPRIM_400000_NS6detail17trampoline_kernelINS0_14default_configENS1_25partition_config_selectorILNS1_17partition_subalgoE1EyNS0_10empty_typeEbEEZZNS1_14partition_implILS5_1ELb0ES3_jN6thrust23THRUST_200600_302600_NS6detail15normal_iteratorINSA_10device_ptrIyEEEEPS6_NSA_18transform_iteratorI7is_evenIyESF_NSA_11use_defaultESK_EENS0_5tupleIJNSA_16discard_iteratorISK_EESO_EEENSM_IJSG_SG_EEES6_PlJS6_EEE10hipError_tPvRmT3_T4_T5_T6_T7_T9_mT8_P12ihipStream_tbDpT10_ENKUlT_T0_E_clISt17integral_constantIbLb1EES1A_IbLb0EEEEDaS16_S17_EUlS16_E_NS1_11comp_targetILNS1_3genE3ELNS1_11target_archE908ELNS1_3gpuE7ELNS1_3repE0EEENS1_30default_config_static_selectorELNS0_4arch9wavefront6targetE1EEEvT1_: ; @_ZN7rocprim17ROCPRIM_400000_NS6detail17trampoline_kernelINS0_14default_configENS1_25partition_config_selectorILNS1_17partition_subalgoE1EyNS0_10empty_typeEbEEZZNS1_14partition_implILS5_1ELb0ES3_jN6thrust23THRUST_200600_302600_NS6detail15normal_iteratorINSA_10device_ptrIyEEEEPS6_NSA_18transform_iteratorI7is_evenIyESF_NSA_11use_defaultESK_EENS0_5tupleIJNSA_16discard_iteratorISK_EESO_EEENSM_IJSG_SG_EEES6_PlJS6_EEE10hipError_tPvRmT3_T4_T5_T6_T7_T9_mT8_P12ihipStream_tbDpT10_ENKUlT_T0_E_clISt17integral_constantIbLb1EES1A_IbLb0EEEEDaS16_S17_EUlS16_E_NS1_11comp_targetILNS1_3genE3ELNS1_11target_archE908ELNS1_3gpuE7ELNS1_3repE0EEENS1_30default_config_static_selectorELNS0_4arch9wavefront6targetE1EEEvT1_
; %bb.0:
	.section	.rodata,"a",@progbits
	.p2align	6, 0x0
	.amdhsa_kernel _ZN7rocprim17ROCPRIM_400000_NS6detail17trampoline_kernelINS0_14default_configENS1_25partition_config_selectorILNS1_17partition_subalgoE1EyNS0_10empty_typeEbEEZZNS1_14partition_implILS5_1ELb0ES3_jN6thrust23THRUST_200600_302600_NS6detail15normal_iteratorINSA_10device_ptrIyEEEEPS6_NSA_18transform_iteratorI7is_evenIyESF_NSA_11use_defaultESK_EENS0_5tupleIJNSA_16discard_iteratorISK_EESO_EEENSM_IJSG_SG_EEES6_PlJS6_EEE10hipError_tPvRmT3_T4_T5_T6_T7_T9_mT8_P12ihipStream_tbDpT10_ENKUlT_T0_E_clISt17integral_constantIbLb1EES1A_IbLb0EEEEDaS16_S17_EUlS16_E_NS1_11comp_targetILNS1_3genE3ELNS1_11target_archE908ELNS1_3gpuE7ELNS1_3repE0EEENS1_30default_config_static_selectorELNS0_4arch9wavefront6targetE1EEEvT1_
		.amdhsa_group_segment_fixed_size 0
		.amdhsa_private_segment_fixed_size 0
		.amdhsa_kernarg_size 144
		.amdhsa_user_sgpr_count 6
		.amdhsa_user_sgpr_private_segment_buffer 1
		.amdhsa_user_sgpr_dispatch_ptr 0
		.amdhsa_user_sgpr_queue_ptr 0
		.amdhsa_user_sgpr_kernarg_segment_ptr 1
		.amdhsa_user_sgpr_dispatch_id 0
		.amdhsa_user_sgpr_flat_scratch_init 0
		.amdhsa_user_sgpr_kernarg_preload_length 0
		.amdhsa_user_sgpr_kernarg_preload_offset 0
		.amdhsa_user_sgpr_private_segment_size 0
		.amdhsa_uses_dynamic_stack 0
		.amdhsa_system_sgpr_private_segment_wavefront_offset 0
		.amdhsa_system_sgpr_workgroup_id_x 1
		.amdhsa_system_sgpr_workgroup_id_y 0
		.amdhsa_system_sgpr_workgroup_id_z 0
		.amdhsa_system_sgpr_workgroup_info 0
		.amdhsa_system_vgpr_workitem_id 0
		.amdhsa_next_free_vgpr 1
		.amdhsa_next_free_sgpr 0
		.amdhsa_accum_offset 4
		.amdhsa_reserve_vcc 0
		.amdhsa_reserve_flat_scratch 0
		.amdhsa_float_round_mode_32 0
		.amdhsa_float_round_mode_16_64 0
		.amdhsa_float_denorm_mode_32 3
		.amdhsa_float_denorm_mode_16_64 3
		.amdhsa_dx10_clamp 1
		.amdhsa_ieee_mode 1
		.amdhsa_fp16_overflow 0
		.amdhsa_tg_split 0
		.amdhsa_exception_fp_ieee_invalid_op 0
		.amdhsa_exception_fp_denorm_src 0
		.amdhsa_exception_fp_ieee_div_zero 0
		.amdhsa_exception_fp_ieee_overflow 0
		.amdhsa_exception_fp_ieee_underflow 0
		.amdhsa_exception_fp_ieee_inexact 0
		.amdhsa_exception_int_div_zero 0
	.end_amdhsa_kernel
	.section	.text._ZN7rocprim17ROCPRIM_400000_NS6detail17trampoline_kernelINS0_14default_configENS1_25partition_config_selectorILNS1_17partition_subalgoE1EyNS0_10empty_typeEbEEZZNS1_14partition_implILS5_1ELb0ES3_jN6thrust23THRUST_200600_302600_NS6detail15normal_iteratorINSA_10device_ptrIyEEEEPS6_NSA_18transform_iteratorI7is_evenIyESF_NSA_11use_defaultESK_EENS0_5tupleIJNSA_16discard_iteratorISK_EESO_EEENSM_IJSG_SG_EEES6_PlJS6_EEE10hipError_tPvRmT3_T4_T5_T6_T7_T9_mT8_P12ihipStream_tbDpT10_ENKUlT_T0_E_clISt17integral_constantIbLb1EES1A_IbLb0EEEEDaS16_S17_EUlS16_E_NS1_11comp_targetILNS1_3genE3ELNS1_11target_archE908ELNS1_3gpuE7ELNS1_3repE0EEENS1_30default_config_static_selectorELNS0_4arch9wavefront6targetE1EEEvT1_,"axG",@progbits,_ZN7rocprim17ROCPRIM_400000_NS6detail17trampoline_kernelINS0_14default_configENS1_25partition_config_selectorILNS1_17partition_subalgoE1EyNS0_10empty_typeEbEEZZNS1_14partition_implILS5_1ELb0ES3_jN6thrust23THRUST_200600_302600_NS6detail15normal_iteratorINSA_10device_ptrIyEEEEPS6_NSA_18transform_iteratorI7is_evenIyESF_NSA_11use_defaultESK_EENS0_5tupleIJNSA_16discard_iteratorISK_EESO_EEENSM_IJSG_SG_EEES6_PlJS6_EEE10hipError_tPvRmT3_T4_T5_T6_T7_T9_mT8_P12ihipStream_tbDpT10_ENKUlT_T0_E_clISt17integral_constantIbLb1EES1A_IbLb0EEEEDaS16_S17_EUlS16_E_NS1_11comp_targetILNS1_3genE3ELNS1_11target_archE908ELNS1_3gpuE7ELNS1_3repE0EEENS1_30default_config_static_selectorELNS0_4arch9wavefront6targetE1EEEvT1_,comdat
.Lfunc_end2894:
	.size	_ZN7rocprim17ROCPRIM_400000_NS6detail17trampoline_kernelINS0_14default_configENS1_25partition_config_selectorILNS1_17partition_subalgoE1EyNS0_10empty_typeEbEEZZNS1_14partition_implILS5_1ELb0ES3_jN6thrust23THRUST_200600_302600_NS6detail15normal_iteratorINSA_10device_ptrIyEEEEPS6_NSA_18transform_iteratorI7is_evenIyESF_NSA_11use_defaultESK_EENS0_5tupleIJNSA_16discard_iteratorISK_EESO_EEENSM_IJSG_SG_EEES6_PlJS6_EEE10hipError_tPvRmT3_T4_T5_T6_T7_T9_mT8_P12ihipStream_tbDpT10_ENKUlT_T0_E_clISt17integral_constantIbLb1EES1A_IbLb0EEEEDaS16_S17_EUlS16_E_NS1_11comp_targetILNS1_3genE3ELNS1_11target_archE908ELNS1_3gpuE7ELNS1_3repE0EEENS1_30default_config_static_selectorELNS0_4arch9wavefront6targetE1EEEvT1_, .Lfunc_end2894-_ZN7rocprim17ROCPRIM_400000_NS6detail17trampoline_kernelINS0_14default_configENS1_25partition_config_selectorILNS1_17partition_subalgoE1EyNS0_10empty_typeEbEEZZNS1_14partition_implILS5_1ELb0ES3_jN6thrust23THRUST_200600_302600_NS6detail15normal_iteratorINSA_10device_ptrIyEEEEPS6_NSA_18transform_iteratorI7is_evenIyESF_NSA_11use_defaultESK_EENS0_5tupleIJNSA_16discard_iteratorISK_EESO_EEENSM_IJSG_SG_EEES6_PlJS6_EEE10hipError_tPvRmT3_T4_T5_T6_T7_T9_mT8_P12ihipStream_tbDpT10_ENKUlT_T0_E_clISt17integral_constantIbLb1EES1A_IbLb0EEEEDaS16_S17_EUlS16_E_NS1_11comp_targetILNS1_3genE3ELNS1_11target_archE908ELNS1_3gpuE7ELNS1_3repE0EEENS1_30default_config_static_selectorELNS0_4arch9wavefront6targetE1EEEvT1_
                                        ; -- End function
	.section	.AMDGPU.csdata,"",@progbits
; Kernel info:
; codeLenInByte = 0
; NumSgprs: 4
; NumVgprs: 0
; NumAgprs: 0
; TotalNumVgprs: 0
; ScratchSize: 0
; MemoryBound: 0
; FloatMode: 240
; IeeeMode: 1
; LDSByteSize: 0 bytes/workgroup (compile time only)
; SGPRBlocks: 0
; VGPRBlocks: 0
; NumSGPRsForWavesPerEU: 4
; NumVGPRsForWavesPerEU: 1
; AccumOffset: 4
; Occupancy: 8
; WaveLimiterHint : 0
; COMPUTE_PGM_RSRC2:SCRATCH_EN: 0
; COMPUTE_PGM_RSRC2:USER_SGPR: 6
; COMPUTE_PGM_RSRC2:TRAP_HANDLER: 0
; COMPUTE_PGM_RSRC2:TGID_X_EN: 1
; COMPUTE_PGM_RSRC2:TGID_Y_EN: 0
; COMPUTE_PGM_RSRC2:TGID_Z_EN: 0
; COMPUTE_PGM_RSRC2:TIDIG_COMP_CNT: 0
; COMPUTE_PGM_RSRC3_GFX90A:ACCUM_OFFSET: 0
; COMPUTE_PGM_RSRC3_GFX90A:TG_SPLIT: 0
	.section	.text._ZN7rocprim17ROCPRIM_400000_NS6detail17trampoline_kernelINS0_14default_configENS1_25partition_config_selectorILNS1_17partition_subalgoE1EyNS0_10empty_typeEbEEZZNS1_14partition_implILS5_1ELb0ES3_jN6thrust23THRUST_200600_302600_NS6detail15normal_iteratorINSA_10device_ptrIyEEEEPS6_NSA_18transform_iteratorI7is_evenIyESF_NSA_11use_defaultESK_EENS0_5tupleIJNSA_16discard_iteratorISK_EESO_EEENSM_IJSG_SG_EEES6_PlJS6_EEE10hipError_tPvRmT3_T4_T5_T6_T7_T9_mT8_P12ihipStream_tbDpT10_ENKUlT_T0_E_clISt17integral_constantIbLb1EES1A_IbLb0EEEEDaS16_S17_EUlS16_E_NS1_11comp_targetILNS1_3genE2ELNS1_11target_archE906ELNS1_3gpuE6ELNS1_3repE0EEENS1_30default_config_static_selectorELNS0_4arch9wavefront6targetE1EEEvT1_,"axG",@progbits,_ZN7rocprim17ROCPRIM_400000_NS6detail17trampoline_kernelINS0_14default_configENS1_25partition_config_selectorILNS1_17partition_subalgoE1EyNS0_10empty_typeEbEEZZNS1_14partition_implILS5_1ELb0ES3_jN6thrust23THRUST_200600_302600_NS6detail15normal_iteratorINSA_10device_ptrIyEEEEPS6_NSA_18transform_iteratorI7is_evenIyESF_NSA_11use_defaultESK_EENS0_5tupleIJNSA_16discard_iteratorISK_EESO_EEENSM_IJSG_SG_EEES6_PlJS6_EEE10hipError_tPvRmT3_T4_T5_T6_T7_T9_mT8_P12ihipStream_tbDpT10_ENKUlT_T0_E_clISt17integral_constantIbLb1EES1A_IbLb0EEEEDaS16_S17_EUlS16_E_NS1_11comp_targetILNS1_3genE2ELNS1_11target_archE906ELNS1_3gpuE6ELNS1_3repE0EEENS1_30default_config_static_selectorELNS0_4arch9wavefront6targetE1EEEvT1_,comdat
	.protected	_ZN7rocprim17ROCPRIM_400000_NS6detail17trampoline_kernelINS0_14default_configENS1_25partition_config_selectorILNS1_17partition_subalgoE1EyNS0_10empty_typeEbEEZZNS1_14partition_implILS5_1ELb0ES3_jN6thrust23THRUST_200600_302600_NS6detail15normal_iteratorINSA_10device_ptrIyEEEEPS6_NSA_18transform_iteratorI7is_evenIyESF_NSA_11use_defaultESK_EENS0_5tupleIJNSA_16discard_iteratorISK_EESO_EEENSM_IJSG_SG_EEES6_PlJS6_EEE10hipError_tPvRmT3_T4_T5_T6_T7_T9_mT8_P12ihipStream_tbDpT10_ENKUlT_T0_E_clISt17integral_constantIbLb1EES1A_IbLb0EEEEDaS16_S17_EUlS16_E_NS1_11comp_targetILNS1_3genE2ELNS1_11target_archE906ELNS1_3gpuE6ELNS1_3repE0EEENS1_30default_config_static_selectorELNS0_4arch9wavefront6targetE1EEEvT1_ ; -- Begin function _ZN7rocprim17ROCPRIM_400000_NS6detail17trampoline_kernelINS0_14default_configENS1_25partition_config_selectorILNS1_17partition_subalgoE1EyNS0_10empty_typeEbEEZZNS1_14partition_implILS5_1ELb0ES3_jN6thrust23THRUST_200600_302600_NS6detail15normal_iteratorINSA_10device_ptrIyEEEEPS6_NSA_18transform_iteratorI7is_evenIyESF_NSA_11use_defaultESK_EENS0_5tupleIJNSA_16discard_iteratorISK_EESO_EEENSM_IJSG_SG_EEES6_PlJS6_EEE10hipError_tPvRmT3_T4_T5_T6_T7_T9_mT8_P12ihipStream_tbDpT10_ENKUlT_T0_E_clISt17integral_constantIbLb1EES1A_IbLb0EEEEDaS16_S17_EUlS16_E_NS1_11comp_targetILNS1_3genE2ELNS1_11target_archE906ELNS1_3gpuE6ELNS1_3repE0EEENS1_30default_config_static_selectorELNS0_4arch9wavefront6targetE1EEEvT1_
	.globl	_ZN7rocprim17ROCPRIM_400000_NS6detail17trampoline_kernelINS0_14default_configENS1_25partition_config_selectorILNS1_17partition_subalgoE1EyNS0_10empty_typeEbEEZZNS1_14partition_implILS5_1ELb0ES3_jN6thrust23THRUST_200600_302600_NS6detail15normal_iteratorINSA_10device_ptrIyEEEEPS6_NSA_18transform_iteratorI7is_evenIyESF_NSA_11use_defaultESK_EENS0_5tupleIJNSA_16discard_iteratorISK_EESO_EEENSM_IJSG_SG_EEES6_PlJS6_EEE10hipError_tPvRmT3_T4_T5_T6_T7_T9_mT8_P12ihipStream_tbDpT10_ENKUlT_T0_E_clISt17integral_constantIbLb1EES1A_IbLb0EEEEDaS16_S17_EUlS16_E_NS1_11comp_targetILNS1_3genE2ELNS1_11target_archE906ELNS1_3gpuE6ELNS1_3repE0EEENS1_30default_config_static_selectorELNS0_4arch9wavefront6targetE1EEEvT1_
	.p2align	8
	.type	_ZN7rocprim17ROCPRIM_400000_NS6detail17trampoline_kernelINS0_14default_configENS1_25partition_config_selectorILNS1_17partition_subalgoE1EyNS0_10empty_typeEbEEZZNS1_14partition_implILS5_1ELb0ES3_jN6thrust23THRUST_200600_302600_NS6detail15normal_iteratorINSA_10device_ptrIyEEEEPS6_NSA_18transform_iteratorI7is_evenIyESF_NSA_11use_defaultESK_EENS0_5tupleIJNSA_16discard_iteratorISK_EESO_EEENSM_IJSG_SG_EEES6_PlJS6_EEE10hipError_tPvRmT3_T4_T5_T6_T7_T9_mT8_P12ihipStream_tbDpT10_ENKUlT_T0_E_clISt17integral_constantIbLb1EES1A_IbLb0EEEEDaS16_S17_EUlS16_E_NS1_11comp_targetILNS1_3genE2ELNS1_11target_archE906ELNS1_3gpuE6ELNS1_3repE0EEENS1_30default_config_static_selectorELNS0_4arch9wavefront6targetE1EEEvT1_,@function
_ZN7rocprim17ROCPRIM_400000_NS6detail17trampoline_kernelINS0_14default_configENS1_25partition_config_selectorILNS1_17partition_subalgoE1EyNS0_10empty_typeEbEEZZNS1_14partition_implILS5_1ELb0ES3_jN6thrust23THRUST_200600_302600_NS6detail15normal_iteratorINSA_10device_ptrIyEEEEPS6_NSA_18transform_iteratorI7is_evenIyESF_NSA_11use_defaultESK_EENS0_5tupleIJNSA_16discard_iteratorISK_EESO_EEENSM_IJSG_SG_EEES6_PlJS6_EEE10hipError_tPvRmT3_T4_T5_T6_T7_T9_mT8_P12ihipStream_tbDpT10_ENKUlT_T0_E_clISt17integral_constantIbLb1EES1A_IbLb0EEEEDaS16_S17_EUlS16_E_NS1_11comp_targetILNS1_3genE2ELNS1_11target_archE906ELNS1_3gpuE6ELNS1_3repE0EEENS1_30default_config_static_selectorELNS0_4arch9wavefront6targetE1EEEvT1_: ; @_ZN7rocprim17ROCPRIM_400000_NS6detail17trampoline_kernelINS0_14default_configENS1_25partition_config_selectorILNS1_17partition_subalgoE1EyNS0_10empty_typeEbEEZZNS1_14partition_implILS5_1ELb0ES3_jN6thrust23THRUST_200600_302600_NS6detail15normal_iteratorINSA_10device_ptrIyEEEEPS6_NSA_18transform_iteratorI7is_evenIyESF_NSA_11use_defaultESK_EENS0_5tupleIJNSA_16discard_iteratorISK_EESO_EEENSM_IJSG_SG_EEES6_PlJS6_EEE10hipError_tPvRmT3_T4_T5_T6_T7_T9_mT8_P12ihipStream_tbDpT10_ENKUlT_T0_E_clISt17integral_constantIbLb1EES1A_IbLb0EEEEDaS16_S17_EUlS16_E_NS1_11comp_targetILNS1_3genE2ELNS1_11target_archE906ELNS1_3gpuE6ELNS1_3repE0EEENS1_30default_config_static_selectorELNS0_4arch9wavefront6targetE1EEEvT1_
; %bb.0:
	.section	.rodata,"a",@progbits
	.p2align	6, 0x0
	.amdhsa_kernel _ZN7rocprim17ROCPRIM_400000_NS6detail17trampoline_kernelINS0_14default_configENS1_25partition_config_selectorILNS1_17partition_subalgoE1EyNS0_10empty_typeEbEEZZNS1_14partition_implILS5_1ELb0ES3_jN6thrust23THRUST_200600_302600_NS6detail15normal_iteratorINSA_10device_ptrIyEEEEPS6_NSA_18transform_iteratorI7is_evenIyESF_NSA_11use_defaultESK_EENS0_5tupleIJNSA_16discard_iteratorISK_EESO_EEENSM_IJSG_SG_EEES6_PlJS6_EEE10hipError_tPvRmT3_T4_T5_T6_T7_T9_mT8_P12ihipStream_tbDpT10_ENKUlT_T0_E_clISt17integral_constantIbLb1EES1A_IbLb0EEEEDaS16_S17_EUlS16_E_NS1_11comp_targetILNS1_3genE2ELNS1_11target_archE906ELNS1_3gpuE6ELNS1_3repE0EEENS1_30default_config_static_selectorELNS0_4arch9wavefront6targetE1EEEvT1_
		.amdhsa_group_segment_fixed_size 0
		.amdhsa_private_segment_fixed_size 0
		.amdhsa_kernarg_size 144
		.amdhsa_user_sgpr_count 6
		.amdhsa_user_sgpr_private_segment_buffer 1
		.amdhsa_user_sgpr_dispatch_ptr 0
		.amdhsa_user_sgpr_queue_ptr 0
		.amdhsa_user_sgpr_kernarg_segment_ptr 1
		.amdhsa_user_sgpr_dispatch_id 0
		.amdhsa_user_sgpr_flat_scratch_init 0
		.amdhsa_user_sgpr_kernarg_preload_length 0
		.amdhsa_user_sgpr_kernarg_preload_offset 0
		.amdhsa_user_sgpr_private_segment_size 0
		.amdhsa_uses_dynamic_stack 0
		.amdhsa_system_sgpr_private_segment_wavefront_offset 0
		.amdhsa_system_sgpr_workgroup_id_x 1
		.amdhsa_system_sgpr_workgroup_id_y 0
		.amdhsa_system_sgpr_workgroup_id_z 0
		.amdhsa_system_sgpr_workgroup_info 0
		.amdhsa_system_vgpr_workitem_id 0
		.amdhsa_next_free_vgpr 1
		.amdhsa_next_free_sgpr 0
		.amdhsa_accum_offset 4
		.amdhsa_reserve_vcc 0
		.amdhsa_reserve_flat_scratch 0
		.amdhsa_float_round_mode_32 0
		.amdhsa_float_round_mode_16_64 0
		.amdhsa_float_denorm_mode_32 3
		.amdhsa_float_denorm_mode_16_64 3
		.amdhsa_dx10_clamp 1
		.amdhsa_ieee_mode 1
		.amdhsa_fp16_overflow 0
		.amdhsa_tg_split 0
		.amdhsa_exception_fp_ieee_invalid_op 0
		.amdhsa_exception_fp_denorm_src 0
		.amdhsa_exception_fp_ieee_div_zero 0
		.amdhsa_exception_fp_ieee_overflow 0
		.amdhsa_exception_fp_ieee_underflow 0
		.amdhsa_exception_fp_ieee_inexact 0
		.amdhsa_exception_int_div_zero 0
	.end_amdhsa_kernel
	.section	.text._ZN7rocprim17ROCPRIM_400000_NS6detail17trampoline_kernelINS0_14default_configENS1_25partition_config_selectorILNS1_17partition_subalgoE1EyNS0_10empty_typeEbEEZZNS1_14partition_implILS5_1ELb0ES3_jN6thrust23THRUST_200600_302600_NS6detail15normal_iteratorINSA_10device_ptrIyEEEEPS6_NSA_18transform_iteratorI7is_evenIyESF_NSA_11use_defaultESK_EENS0_5tupleIJNSA_16discard_iteratorISK_EESO_EEENSM_IJSG_SG_EEES6_PlJS6_EEE10hipError_tPvRmT3_T4_T5_T6_T7_T9_mT8_P12ihipStream_tbDpT10_ENKUlT_T0_E_clISt17integral_constantIbLb1EES1A_IbLb0EEEEDaS16_S17_EUlS16_E_NS1_11comp_targetILNS1_3genE2ELNS1_11target_archE906ELNS1_3gpuE6ELNS1_3repE0EEENS1_30default_config_static_selectorELNS0_4arch9wavefront6targetE1EEEvT1_,"axG",@progbits,_ZN7rocprim17ROCPRIM_400000_NS6detail17trampoline_kernelINS0_14default_configENS1_25partition_config_selectorILNS1_17partition_subalgoE1EyNS0_10empty_typeEbEEZZNS1_14partition_implILS5_1ELb0ES3_jN6thrust23THRUST_200600_302600_NS6detail15normal_iteratorINSA_10device_ptrIyEEEEPS6_NSA_18transform_iteratorI7is_evenIyESF_NSA_11use_defaultESK_EENS0_5tupleIJNSA_16discard_iteratorISK_EESO_EEENSM_IJSG_SG_EEES6_PlJS6_EEE10hipError_tPvRmT3_T4_T5_T6_T7_T9_mT8_P12ihipStream_tbDpT10_ENKUlT_T0_E_clISt17integral_constantIbLb1EES1A_IbLb0EEEEDaS16_S17_EUlS16_E_NS1_11comp_targetILNS1_3genE2ELNS1_11target_archE906ELNS1_3gpuE6ELNS1_3repE0EEENS1_30default_config_static_selectorELNS0_4arch9wavefront6targetE1EEEvT1_,comdat
.Lfunc_end2895:
	.size	_ZN7rocprim17ROCPRIM_400000_NS6detail17trampoline_kernelINS0_14default_configENS1_25partition_config_selectorILNS1_17partition_subalgoE1EyNS0_10empty_typeEbEEZZNS1_14partition_implILS5_1ELb0ES3_jN6thrust23THRUST_200600_302600_NS6detail15normal_iteratorINSA_10device_ptrIyEEEEPS6_NSA_18transform_iteratorI7is_evenIyESF_NSA_11use_defaultESK_EENS0_5tupleIJNSA_16discard_iteratorISK_EESO_EEENSM_IJSG_SG_EEES6_PlJS6_EEE10hipError_tPvRmT3_T4_T5_T6_T7_T9_mT8_P12ihipStream_tbDpT10_ENKUlT_T0_E_clISt17integral_constantIbLb1EES1A_IbLb0EEEEDaS16_S17_EUlS16_E_NS1_11comp_targetILNS1_3genE2ELNS1_11target_archE906ELNS1_3gpuE6ELNS1_3repE0EEENS1_30default_config_static_selectorELNS0_4arch9wavefront6targetE1EEEvT1_, .Lfunc_end2895-_ZN7rocprim17ROCPRIM_400000_NS6detail17trampoline_kernelINS0_14default_configENS1_25partition_config_selectorILNS1_17partition_subalgoE1EyNS0_10empty_typeEbEEZZNS1_14partition_implILS5_1ELb0ES3_jN6thrust23THRUST_200600_302600_NS6detail15normal_iteratorINSA_10device_ptrIyEEEEPS6_NSA_18transform_iteratorI7is_evenIyESF_NSA_11use_defaultESK_EENS0_5tupleIJNSA_16discard_iteratorISK_EESO_EEENSM_IJSG_SG_EEES6_PlJS6_EEE10hipError_tPvRmT3_T4_T5_T6_T7_T9_mT8_P12ihipStream_tbDpT10_ENKUlT_T0_E_clISt17integral_constantIbLb1EES1A_IbLb0EEEEDaS16_S17_EUlS16_E_NS1_11comp_targetILNS1_3genE2ELNS1_11target_archE906ELNS1_3gpuE6ELNS1_3repE0EEENS1_30default_config_static_selectorELNS0_4arch9wavefront6targetE1EEEvT1_
                                        ; -- End function
	.section	.AMDGPU.csdata,"",@progbits
; Kernel info:
; codeLenInByte = 0
; NumSgprs: 4
; NumVgprs: 0
; NumAgprs: 0
; TotalNumVgprs: 0
; ScratchSize: 0
; MemoryBound: 0
; FloatMode: 240
; IeeeMode: 1
; LDSByteSize: 0 bytes/workgroup (compile time only)
; SGPRBlocks: 0
; VGPRBlocks: 0
; NumSGPRsForWavesPerEU: 4
; NumVGPRsForWavesPerEU: 1
; AccumOffset: 4
; Occupancy: 8
; WaveLimiterHint : 0
; COMPUTE_PGM_RSRC2:SCRATCH_EN: 0
; COMPUTE_PGM_RSRC2:USER_SGPR: 6
; COMPUTE_PGM_RSRC2:TRAP_HANDLER: 0
; COMPUTE_PGM_RSRC2:TGID_X_EN: 1
; COMPUTE_PGM_RSRC2:TGID_Y_EN: 0
; COMPUTE_PGM_RSRC2:TGID_Z_EN: 0
; COMPUTE_PGM_RSRC2:TIDIG_COMP_CNT: 0
; COMPUTE_PGM_RSRC3_GFX90A:ACCUM_OFFSET: 0
; COMPUTE_PGM_RSRC3_GFX90A:TG_SPLIT: 0
	.section	.text._ZN7rocprim17ROCPRIM_400000_NS6detail17trampoline_kernelINS0_14default_configENS1_25partition_config_selectorILNS1_17partition_subalgoE1EyNS0_10empty_typeEbEEZZNS1_14partition_implILS5_1ELb0ES3_jN6thrust23THRUST_200600_302600_NS6detail15normal_iteratorINSA_10device_ptrIyEEEEPS6_NSA_18transform_iteratorI7is_evenIyESF_NSA_11use_defaultESK_EENS0_5tupleIJNSA_16discard_iteratorISK_EESO_EEENSM_IJSG_SG_EEES6_PlJS6_EEE10hipError_tPvRmT3_T4_T5_T6_T7_T9_mT8_P12ihipStream_tbDpT10_ENKUlT_T0_E_clISt17integral_constantIbLb1EES1A_IbLb0EEEEDaS16_S17_EUlS16_E_NS1_11comp_targetILNS1_3genE10ELNS1_11target_archE1200ELNS1_3gpuE4ELNS1_3repE0EEENS1_30default_config_static_selectorELNS0_4arch9wavefront6targetE1EEEvT1_,"axG",@progbits,_ZN7rocprim17ROCPRIM_400000_NS6detail17trampoline_kernelINS0_14default_configENS1_25partition_config_selectorILNS1_17partition_subalgoE1EyNS0_10empty_typeEbEEZZNS1_14partition_implILS5_1ELb0ES3_jN6thrust23THRUST_200600_302600_NS6detail15normal_iteratorINSA_10device_ptrIyEEEEPS6_NSA_18transform_iteratorI7is_evenIyESF_NSA_11use_defaultESK_EENS0_5tupleIJNSA_16discard_iteratorISK_EESO_EEENSM_IJSG_SG_EEES6_PlJS6_EEE10hipError_tPvRmT3_T4_T5_T6_T7_T9_mT8_P12ihipStream_tbDpT10_ENKUlT_T0_E_clISt17integral_constantIbLb1EES1A_IbLb0EEEEDaS16_S17_EUlS16_E_NS1_11comp_targetILNS1_3genE10ELNS1_11target_archE1200ELNS1_3gpuE4ELNS1_3repE0EEENS1_30default_config_static_selectorELNS0_4arch9wavefront6targetE1EEEvT1_,comdat
	.protected	_ZN7rocprim17ROCPRIM_400000_NS6detail17trampoline_kernelINS0_14default_configENS1_25partition_config_selectorILNS1_17partition_subalgoE1EyNS0_10empty_typeEbEEZZNS1_14partition_implILS5_1ELb0ES3_jN6thrust23THRUST_200600_302600_NS6detail15normal_iteratorINSA_10device_ptrIyEEEEPS6_NSA_18transform_iteratorI7is_evenIyESF_NSA_11use_defaultESK_EENS0_5tupleIJNSA_16discard_iteratorISK_EESO_EEENSM_IJSG_SG_EEES6_PlJS6_EEE10hipError_tPvRmT3_T4_T5_T6_T7_T9_mT8_P12ihipStream_tbDpT10_ENKUlT_T0_E_clISt17integral_constantIbLb1EES1A_IbLb0EEEEDaS16_S17_EUlS16_E_NS1_11comp_targetILNS1_3genE10ELNS1_11target_archE1200ELNS1_3gpuE4ELNS1_3repE0EEENS1_30default_config_static_selectorELNS0_4arch9wavefront6targetE1EEEvT1_ ; -- Begin function _ZN7rocprim17ROCPRIM_400000_NS6detail17trampoline_kernelINS0_14default_configENS1_25partition_config_selectorILNS1_17partition_subalgoE1EyNS0_10empty_typeEbEEZZNS1_14partition_implILS5_1ELb0ES3_jN6thrust23THRUST_200600_302600_NS6detail15normal_iteratorINSA_10device_ptrIyEEEEPS6_NSA_18transform_iteratorI7is_evenIyESF_NSA_11use_defaultESK_EENS0_5tupleIJNSA_16discard_iteratorISK_EESO_EEENSM_IJSG_SG_EEES6_PlJS6_EEE10hipError_tPvRmT3_T4_T5_T6_T7_T9_mT8_P12ihipStream_tbDpT10_ENKUlT_T0_E_clISt17integral_constantIbLb1EES1A_IbLb0EEEEDaS16_S17_EUlS16_E_NS1_11comp_targetILNS1_3genE10ELNS1_11target_archE1200ELNS1_3gpuE4ELNS1_3repE0EEENS1_30default_config_static_selectorELNS0_4arch9wavefront6targetE1EEEvT1_
	.globl	_ZN7rocprim17ROCPRIM_400000_NS6detail17trampoline_kernelINS0_14default_configENS1_25partition_config_selectorILNS1_17partition_subalgoE1EyNS0_10empty_typeEbEEZZNS1_14partition_implILS5_1ELb0ES3_jN6thrust23THRUST_200600_302600_NS6detail15normal_iteratorINSA_10device_ptrIyEEEEPS6_NSA_18transform_iteratorI7is_evenIyESF_NSA_11use_defaultESK_EENS0_5tupleIJNSA_16discard_iteratorISK_EESO_EEENSM_IJSG_SG_EEES6_PlJS6_EEE10hipError_tPvRmT3_T4_T5_T6_T7_T9_mT8_P12ihipStream_tbDpT10_ENKUlT_T0_E_clISt17integral_constantIbLb1EES1A_IbLb0EEEEDaS16_S17_EUlS16_E_NS1_11comp_targetILNS1_3genE10ELNS1_11target_archE1200ELNS1_3gpuE4ELNS1_3repE0EEENS1_30default_config_static_selectorELNS0_4arch9wavefront6targetE1EEEvT1_
	.p2align	8
	.type	_ZN7rocprim17ROCPRIM_400000_NS6detail17trampoline_kernelINS0_14default_configENS1_25partition_config_selectorILNS1_17partition_subalgoE1EyNS0_10empty_typeEbEEZZNS1_14partition_implILS5_1ELb0ES3_jN6thrust23THRUST_200600_302600_NS6detail15normal_iteratorINSA_10device_ptrIyEEEEPS6_NSA_18transform_iteratorI7is_evenIyESF_NSA_11use_defaultESK_EENS0_5tupleIJNSA_16discard_iteratorISK_EESO_EEENSM_IJSG_SG_EEES6_PlJS6_EEE10hipError_tPvRmT3_T4_T5_T6_T7_T9_mT8_P12ihipStream_tbDpT10_ENKUlT_T0_E_clISt17integral_constantIbLb1EES1A_IbLb0EEEEDaS16_S17_EUlS16_E_NS1_11comp_targetILNS1_3genE10ELNS1_11target_archE1200ELNS1_3gpuE4ELNS1_3repE0EEENS1_30default_config_static_selectorELNS0_4arch9wavefront6targetE1EEEvT1_,@function
_ZN7rocprim17ROCPRIM_400000_NS6detail17trampoline_kernelINS0_14default_configENS1_25partition_config_selectorILNS1_17partition_subalgoE1EyNS0_10empty_typeEbEEZZNS1_14partition_implILS5_1ELb0ES3_jN6thrust23THRUST_200600_302600_NS6detail15normal_iteratorINSA_10device_ptrIyEEEEPS6_NSA_18transform_iteratorI7is_evenIyESF_NSA_11use_defaultESK_EENS0_5tupleIJNSA_16discard_iteratorISK_EESO_EEENSM_IJSG_SG_EEES6_PlJS6_EEE10hipError_tPvRmT3_T4_T5_T6_T7_T9_mT8_P12ihipStream_tbDpT10_ENKUlT_T0_E_clISt17integral_constantIbLb1EES1A_IbLb0EEEEDaS16_S17_EUlS16_E_NS1_11comp_targetILNS1_3genE10ELNS1_11target_archE1200ELNS1_3gpuE4ELNS1_3repE0EEENS1_30default_config_static_selectorELNS0_4arch9wavefront6targetE1EEEvT1_: ; @_ZN7rocprim17ROCPRIM_400000_NS6detail17trampoline_kernelINS0_14default_configENS1_25partition_config_selectorILNS1_17partition_subalgoE1EyNS0_10empty_typeEbEEZZNS1_14partition_implILS5_1ELb0ES3_jN6thrust23THRUST_200600_302600_NS6detail15normal_iteratorINSA_10device_ptrIyEEEEPS6_NSA_18transform_iteratorI7is_evenIyESF_NSA_11use_defaultESK_EENS0_5tupleIJNSA_16discard_iteratorISK_EESO_EEENSM_IJSG_SG_EEES6_PlJS6_EEE10hipError_tPvRmT3_T4_T5_T6_T7_T9_mT8_P12ihipStream_tbDpT10_ENKUlT_T0_E_clISt17integral_constantIbLb1EES1A_IbLb0EEEEDaS16_S17_EUlS16_E_NS1_11comp_targetILNS1_3genE10ELNS1_11target_archE1200ELNS1_3gpuE4ELNS1_3repE0EEENS1_30default_config_static_selectorELNS0_4arch9wavefront6targetE1EEEvT1_
; %bb.0:
	.section	.rodata,"a",@progbits
	.p2align	6, 0x0
	.amdhsa_kernel _ZN7rocprim17ROCPRIM_400000_NS6detail17trampoline_kernelINS0_14default_configENS1_25partition_config_selectorILNS1_17partition_subalgoE1EyNS0_10empty_typeEbEEZZNS1_14partition_implILS5_1ELb0ES3_jN6thrust23THRUST_200600_302600_NS6detail15normal_iteratorINSA_10device_ptrIyEEEEPS6_NSA_18transform_iteratorI7is_evenIyESF_NSA_11use_defaultESK_EENS0_5tupleIJNSA_16discard_iteratorISK_EESO_EEENSM_IJSG_SG_EEES6_PlJS6_EEE10hipError_tPvRmT3_T4_T5_T6_T7_T9_mT8_P12ihipStream_tbDpT10_ENKUlT_T0_E_clISt17integral_constantIbLb1EES1A_IbLb0EEEEDaS16_S17_EUlS16_E_NS1_11comp_targetILNS1_3genE10ELNS1_11target_archE1200ELNS1_3gpuE4ELNS1_3repE0EEENS1_30default_config_static_selectorELNS0_4arch9wavefront6targetE1EEEvT1_
		.amdhsa_group_segment_fixed_size 0
		.amdhsa_private_segment_fixed_size 0
		.amdhsa_kernarg_size 144
		.amdhsa_user_sgpr_count 6
		.amdhsa_user_sgpr_private_segment_buffer 1
		.amdhsa_user_sgpr_dispatch_ptr 0
		.amdhsa_user_sgpr_queue_ptr 0
		.amdhsa_user_sgpr_kernarg_segment_ptr 1
		.amdhsa_user_sgpr_dispatch_id 0
		.amdhsa_user_sgpr_flat_scratch_init 0
		.amdhsa_user_sgpr_kernarg_preload_length 0
		.amdhsa_user_sgpr_kernarg_preload_offset 0
		.amdhsa_user_sgpr_private_segment_size 0
		.amdhsa_uses_dynamic_stack 0
		.amdhsa_system_sgpr_private_segment_wavefront_offset 0
		.amdhsa_system_sgpr_workgroup_id_x 1
		.amdhsa_system_sgpr_workgroup_id_y 0
		.amdhsa_system_sgpr_workgroup_id_z 0
		.amdhsa_system_sgpr_workgroup_info 0
		.amdhsa_system_vgpr_workitem_id 0
		.amdhsa_next_free_vgpr 1
		.amdhsa_next_free_sgpr 0
		.amdhsa_accum_offset 4
		.amdhsa_reserve_vcc 0
		.amdhsa_reserve_flat_scratch 0
		.amdhsa_float_round_mode_32 0
		.amdhsa_float_round_mode_16_64 0
		.amdhsa_float_denorm_mode_32 3
		.amdhsa_float_denorm_mode_16_64 3
		.amdhsa_dx10_clamp 1
		.amdhsa_ieee_mode 1
		.amdhsa_fp16_overflow 0
		.amdhsa_tg_split 0
		.amdhsa_exception_fp_ieee_invalid_op 0
		.amdhsa_exception_fp_denorm_src 0
		.amdhsa_exception_fp_ieee_div_zero 0
		.amdhsa_exception_fp_ieee_overflow 0
		.amdhsa_exception_fp_ieee_underflow 0
		.amdhsa_exception_fp_ieee_inexact 0
		.amdhsa_exception_int_div_zero 0
	.end_amdhsa_kernel
	.section	.text._ZN7rocprim17ROCPRIM_400000_NS6detail17trampoline_kernelINS0_14default_configENS1_25partition_config_selectorILNS1_17partition_subalgoE1EyNS0_10empty_typeEbEEZZNS1_14partition_implILS5_1ELb0ES3_jN6thrust23THRUST_200600_302600_NS6detail15normal_iteratorINSA_10device_ptrIyEEEEPS6_NSA_18transform_iteratorI7is_evenIyESF_NSA_11use_defaultESK_EENS0_5tupleIJNSA_16discard_iteratorISK_EESO_EEENSM_IJSG_SG_EEES6_PlJS6_EEE10hipError_tPvRmT3_T4_T5_T6_T7_T9_mT8_P12ihipStream_tbDpT10_ENKUlT_T0_E_clISt17integral_constantIbLb1EES1A_IbLb0EEEEDaS16_S17_EUlS16_E_NS1_11comp_targetILNS1_3genE10ELNS1_11target_archE1200ELNS1_3gpuE4ELNS1_3repE0EEENS1_30default_config_static_selectorELNS0_4arch9wavefront6targetE1EEEvT1_,"axG",@progbits,_ZN7rocprim17ROCPRIM_400000_NS6detail17trampoline_kernelINS0_14default_configENS1_25partition_config_selectorILNS1_17partition_subalgoE1EyNS0_10empty_typeEbEEZZNS1_14partition_implILS5_1ELb0ES3_jN6thrust23THRUST_200600_302600_NS6detail15normal_iteratorINSA_10device_ptrIyEEEEPS6_NSA_18transform_iteratorI7is_evenIyESF_NSA_11use_defaultESK_EENS0_5tupleIJNSA_16discard_iteratorISK_EESO_EEENSM_IJSG_SG_EEES6_PlJS6_EEE10hipError_tPvRmT3_T4_T5_T6_T7_T9_mT8_P12ihipStream_tbDpT10_ENKUlT_T0_E_clISt17integral_constantIbLb1EES1A_IbLb0EEEEDaS16_S17_EUlS16_E_NS1_11comp_targetILNS1_3genE10ELNS1_11target_archE1200ELNS1_3gpuE4ELNS1_3repE0EEENS1_30default_config_static_selectorELNS0_4arch9wavefront6targetE1EEEvT1_,comdat
.Lfunc_end2896:
	.size	_ZN7rocprim17ROCPRIM_400000_NS6detail17trampoline_kernelINS0_14default_configENS1_25partition_config_selectorILNS1_17partition_subalgoE1EyNS0_10empty_typeEbEEZZNS1_14partition_implILS5_1ELb0ES3_jN6thrust23THRUST_200600_302600_NS6detail15normal_iteratorINSA_10device_ptrIyEEEEPS6_NSA_18transform_iteratorI7is_evenIyESF_NSA_11use_defaultESK_EENS0_5tupleIJNSA_16discard_iteratorISK_EESO_EEENSM_IJSG_SG_EEES6_PlJS6_EEE10hipError_tPvRmT3_T4_T5_T6_T7_T9_mT8_P12ihipStream_tbDpT10_ENKUlT_T0_E_clISt17integral_constantIbLb1EES1A_IbLb0EEEEDaS16_S17_EUlS16_E_NS1_11comp_targetILNS1_3genE10ELNS1_11target_archE1200ELNS1_3gpuE4ELNS1_3repE0EEENS1_30default_config_static_selectorELNS0_4arch9wavefront6targetE1EEEvT1_, .Lfunc_end2896-_ZN7rocprim17ROCPRIM_400000_NS6detail17trampoline_kernelINS0_14default_configENS1_25partition_config_selectorILNS1_17partition_subalgoE1EyNS0_10empty_typeEbEEZZNS1_14partition_implILS5_1ELb0ES3_jN6thrust23THRUST_200600_302600_NS6detail15normal_iteratorINSA_10device_ptrIyEEEEPS6_NSA_18transform_iteratorI7is_evenIyESF_NSA_11use_defaultESK_EENS0_5tupleIJNSA_16discard_iteratorISK_EESO_EEENSM_IJSG_SG_EEES6_PlJS6_EEE10hipError_tPvRmT3_T4_T5_T6_T7_T9_mT8_P12ihipStream_tbDpT10_ENKUlT_T0_E_clISt17integral_constantIbLb1EES1A_IbLb0EEEEDaS16_S17_EUlS16_E_NS1_11comp_targetILNS1_3genE10ELNS1_11target_archE1200ELNS1_3gpuE4ELNS1_3repE0EEENS1_30default_config_static_selectorELNS0_4arch9wavefront6targetE1EEEvT1_
                                        ; -- End function
	.section	.AMDGPU.csdata,"",@progbits
; Kernel info:
; codeLenInByte = 0
; NumSgprs: 4
; NumVgprs: 0
; NumAgprs: 0
; TotalNumVgprs: 0
; ScratchSize: 0
; MemoryBound: 0
; FloatMode: 240
; IeeeMode: 1
; LDSByteSize: 0 bytes/workgroup (compile time only)
; SGPRBlocks: 0
; VGPRBlocks: 0
; NumSGPRsForWavesPerEU: 4
; NumVGPRsForWavesPerEU: 1
; AccumOffset: 4
; Occupancy: 8
; WaveLimiterHint : 0
; COMPUTE_PGM_RSRC2:SCRATCH_EN: 0
; COMPUTE_PGM_RSRC2:USER_SGPR: 6
; COMPUTE_PGM_RSRC2:TRAP_HANDLER: 0
; COMPUTE_PGM_RSRC2:TGID_X_EN: 1
; COMPUTE_PGM_RSRC2:TGID_Y_EN: 0
; COMPUTE_PGM_RSRC2:TGID_Z_EN: 0
; COMPUTE_PGM_RSRC2:TIDIG_COMP_CNT: 0
; COMPUTE_PGM_RSRC3_GFX90A:ACCUM_OFFSET: 0
; COMPUTE_PGM_RSRC3_GFX90A:TG_SPLIT: 0
	.section	.text._ZN7rocprim17ROCPRIM_400000_NS6detail17trampoline_kernelINS0_14default_configENS1_25partition_config_selectorILNS1_17partition_subalgoE1EyNS0_10empty_typeEbEEZZNS1_14partition_implILS5_1ELb0ES3_jN6thrust23THRUST_200600_302600_NS6detail15normal_iteratorINSA_10device_ptrIyEEEEPS6_NSA_18transform_iteratorI7is_evenIyESF_NSA_11use_defaultESK_EENS0_5tupleIJNSA_16discard_iteratorISK_EESO_EEENSM_IJSG_SG_EEES6_PlJS6_EEE10hipError_tPvRmT3_T4_T5_T6_T7_T9_mT8_P12ihipStream_tbDpT10_ENKUlT_T0_E_clISt17integral_constantIbLb1EES1A_IbLb0EEEEDaS16_S17_EUlS16_E_NS1_11comp_targetILNS1_3genE9ELNS1_11target_archE1100ELNS1_3gpuE3ELNS1_3repE0EEENS1_30default_config_static_selectorELNS0_4arch9wavefront6targetE1EEEvT1_,"axG",@progbits,_ZN7rocprim17ROCPRIM_400000_NS6detail17trampoline_kernelINS0_14default_configENS1_25partition_config_selectorILNS1_17partition_subalgoE1EyNS0_10empty_typeEbEEZZNS1_14partition_implILS5_1ELb0ES3_jN6thrust23THRUST_200600_302600_NS6detail15normal_iteratorINSA_10device_ptrIyEEEEPS6_NSA_18transform_iteratorI7is_evenIyESF_NSA_11use_defaultESK_EENS0_5tupleIJNSA_16discard_iteratorISK_EESO_EEENSM_IJSG_SG_EEES6_PlJS6_EEE10hipError_tPvRmT3_T4_T5_T6_T7_T9_mT8_P12ihipStream_tbDpT10_ENKUlT_T0_E_clISt17integral_constantIbLb1EES1A_IbLb0EEEEDaS16_S17_EUlS16_E_NS1_11comp_targetILNS1_3genE9ELNS1_11target_archE1100ELNS1_3gpuE3ELNS1_3repE0EEENS1_30default_config_static_selectorELNS0_4arch9wavefront6targetE1EEEvT1_,comdat
	.protected	_ZN7rocprim17ROCPRIM_400000_NS6detail17trampoline_kernelINS0_14default_configENS1_25partition_config_selectorILNS1_17partition_subalgoE1EyNS0_10empty_typeEbEEZZNS1_14partition_implILS5_1ELb0ES3_jN6thrust23THRUST_200600_302600_NS6detail15normal_iteratorINSA_10device_ptrIyEEEEPS6_NSA_18transform_iteratorI7is_evenIyESF_NSA_11use_defaultESK_EENS0_5tupleIJNSA_16discard_iteratorISK_EESO_EEENSM_IJSG_SG_EEES6_PlJS6_EEE10hipError_tPvRmT3_T4_T5_T6_T7_T9_mT8_P12ihipStream_tbDpT10_ENKUlT_T0_E_clISt17integral_constantIbLb1EES1A_IbLb0EEEEDaS16_S17_EUlS16_E_NS1_11comp_targetILNS1_3genE9ELNS1_11target_archE1100ELNS1_3gpuE3ELNS1_3repE0EEENS1_30default_config_static_selectorELNS0_4arch9wavefront6targetE1EEEvT1_ ; -- Begin function _ZN7rocprim17ROCPRIM_400000_NS6detail17trampoline_kernelINS0_14default_configENS1_25partition_config_selectorILNS1_17partition_subalgoE1EyNS0_10empty_typeEbEEZZNS1_14partition_implILS5_1ELb0ES3_jN6thrust23THRUST_200600_302600_NS6detail15normal_iteratorINSA_10device_ptrIyEEEEPS6_NSA_18transform_iteratorI7is_evenIyESF_NSA_11use_defaultESK_EENS0_5tupleIJNSA_16discard_iteratorISK_EESO_EEENSM_IJSG_SG_EEES6_PlJS6_EEE10hipError_tPvRmT3_T4_T5_T6_T7_T9_mT8_P12ihipStream_tbDpT10_ENKUlT_T0_E_clISt17integral_constantIbLb1EES1A_IbLb0EEEEDaS16_S17_EUlS16_E_NS1_11comp_targetILNS1_3genE9ELNS1_11target_archE1100ELNS1_3gpuE3ELNS1_3repE0EEENS1_30default_config_static_selectorELNS0_4arch9wavefront6targetE1EEEvT1_
	.globl	_ZN7rocprim17ROCPRIM_400000_NS6detail17trampoline_kernelINS0_14default_configENS1_25partition_config_selectorILNS1_17partition_subalgoE1EyNS0_10empty_typeEbEEZZNS1_14partition_implILS5_1ELb0ES3_jN6thrust23THRUST_200600_302600_NS6detail15normal_iteratorINSA_10device_ptrIyEEEEPS6_NSA_18transform_iteratorI7is_evenIyESF_NSA_11use_defaultESK_EENS0_5tupleIJNSA_16discard_iteratorISK_EESO_EEENSM_IJSG_SG_EEES6_PlJS6_EEE10hipError_tPvRmT3_T4_T5_T6_T7_T9_mT8_P12ihipStream_tbDpT10_ENKUlT_T0_E_clISt17integral_constantIbLb1EES1A_IbLb0EEEEDaS16_S17_EUlS16_E_NS1_11comp_targetILNS1_3genE9ELNS1_11target_archE1100ELNS1_3gpuE3ELNS1_3repE0EEENS1_30default_config_static_selectorELNS0_4arch9wavefront6targetE1EEEvT1_
	.p2align	8
	.type	_ZN7rocprim17ROCPRIM_400000_NS6detail17trampoline_kernelINS0_14default_configENS1_25partition_config_selectorILNS1_17partition_subalgoE1EyNS0_10empty_typeEbEEZZNS1_14partition_implILS5_1ELb0ES3_jN6thrust23THRUST_200600_302600_NS6detail15normal_iteratorINSA_10device_ptrIyEEEEPS6_NSA_18transform_iteratorI7is_evenIyESF_NSA_11use_defaultESK_EENS0_5tupleIJNSA_16discard_iteratorISK_EESO_EEENSM_IJSG_SG_EEES6_PlJS6_EEE10hipError_tPvRmT3_T4_T5_T6_T7_T9_mT8_P12ihipStream_tbDpT10_ENKUlT_T0_E_clISt17integral_constantIbLb1EES1A_IbLb0EEEEDaS16_S17_EUlS16_E_NS1_11comp_targetILNS1_3genE9ELNS1_11target_archE1100ELNS1_3gpuE3ELNS1_3repE0EEENS1_30default_config_static_selectorELNS0_4arch9wavefront6targetE1EEEvT1_,@function
_ZN7rocprim17ROCPRIM_400000_NS6detail17trampoline_kernelINS0_14default_configENS1_25partition_config_selectorILNS1_17partition_subalgoE1EyNS0_10empty_typeEbEEZZNS1_14partition_implILS5_1ELb0ES3_jN6thrust23THRUST_200600_302600_NS6detail15normal_iteratorINSA_10device_ptrIyEEEEPS6_NSA_18transform_iteratorI7is_evenIyESF_NSA_11use_defaultESK_EENS0_5tupleIJNSA_16discard_iteratorISK_EESO_EEENSM_IJSG_SG_EEES6_PlJS6_EEE10hipError_tPvRmT3_T4_T5_T6_T7_T9_mT8_P12ihipStream_tbDpT10_ENKUlT_T0_E_clISt17integral_constantIbLb1EES1A_IbLb0EEEEDaS16_S17_EUlS16_E_NS1_11comp_targetILNS1_3genE9ELNS1_11target_archE1100ELNS1_3gpuE3ELNS1_3repE0EEENS1_30default_config_static_selectorELNS0_4arch9wavefront6targetE1EEEvT1_: ; @_ZN7rocprim17ROCPRIM_400000_NS6detail17trampoline_kernelINS0_14default_configENS1_25partition_config_selectorILNS1_17partition_subalgoE1EyNS0_10empty_typeEbEEZZNS1_14partition_implILS5_1ELb0ES3_jN6thrust23THRUST_200600_302600_NS6detail15normal_iteratorINSA_10device_ptrIyEEEEPS6_NSA_18transform_iteratorI7is_evenIyESF_NSA_11use_defaultESK_EENS0_5tupleIJNSA_16discard_iteratorISK_EESO_EEENSM_IJSG_SG_EEES6_PlJS6_EEE10hipError_tPvRmT3_T4_T5_T6_T7_T9_mT8_P12ihipStream_tbDpT10_ENKUlT_T0_E_clISt17integral_constantIbLb1EES1A_IbLb0EEEEDaS16_S17_EUlS16_E_NS1_11comp_targetILNS1_3genE9ELNS1_11target_archE1100ELNS1_3gpuE3ELNS1_3repE0EEENS1_30default_config_static_selectorELNS0_4arch9wavefront6targetE1EEEvT1_
; %bb.0:
	.section	.rodata,"a",@progbits
	.p2align	6, 0x0
	.amdhsa_kernel _ZN7rocprim17ROCPRIM_400000_NS6detail17trampoline_kernelINS0_14default_configENS1_25partition_config_selectorILNS1_17partition_subalgoE1EyNS0_10empty_typeEbEEZZNS1_14partition_implILS5_1ELb0ES3_jN6thrust23THRUST_200600_302600_NS6detail15normal_iteratorINSA_10device_ptrIyEEEEPS6_NSA_18transform_iteratorI7is_evenIyESF_NSA_11use_defaultESK_EENS0_5tupleIJNSA_16discard_iteratorISK_EESO_EEENSM_IJSG_SG_EEES6_PlJS6_EEE10hipError_tPvRmT3_T4_T5_T6_T7_T9_mT8_P12ihipStream_tbDpT10_ENKUlT_T0_E_clISt17integral_constantIbLb1EES1A_IbLb0EEEEDaS16_S17_EUlS16_E_NS1_11comp_targetILNS1_3genE9ELNS1_11target_archE1100ELNS1_3gpuE3ELNS1_3repE0EEENS1_30default_config_static_selectorELNS0_4arch9wavefront6targetE1EEEvT1_
		.amdhsa_group_segment_fixed_size 0
		.amdhsa_private_segment_fixed_size 0
		.amdhsa_kernarg_size 144
		.amdhsa_user_sgpr_count 6
		.amdhsa_user_sgpr_private_segment_buffer 1
		.amdhsa_user_sgpr_dispatch_ptr 0
		.amdhsa_user_sgpr_queue_ptr 0
		.amdhsa_user_sgpr_kernarg_segment_ptr 1
		.amdhsa_user_sgpr_dispatch_id 0
		.amdhsa_user_sgpr_flat_scratch_init 0
		.amdhsa_user_sgpr_kernarg_preload_length 0
		.amdhsa_user_sgpr_kernarg_preload_offset 0
		.amdhsa_user_sgpr_private_segment_size 0
		.amdhsa_uses_dynamic_stack 0
		.amdhsa_system_sgpr_private_segment_wavefront_offset 0
		.amdhsa_system_sgpr_workgroup_id_x 1
		.amdhsa_system_sgpr_workgroup_id_y 0
		.amdhsa_system_sgpr_workgroup_id_z 0
		.amdhsa_system_sgpr_workgroup_info 0
		.amdhsa_system_vgpr_workitem_id 0
		.amdhsa_next_free_vgpr 1
		.amdhsa_next_free_sgpr 0
		.amdhsa_accum_offset 4
		.amdhsa_reserve_vcc 0
		.amdhsa_reserve_flat_scratch 0
		.amdhsa_float_round_mode_32 0
		.amdhsa_float_round_mode_16_64 0
		.amdhsa_float_denorm_mode_32 3
		.amdhsa_float_denorm_mode_16_64 3
		.amdhsa_dx10_clamp 1
		.amdhsa_ieee_mode 1
		.amdhsa_fp16_overflow 0
		.amdhsa_tg_split 0
		.amdhsa_exception_fp_ieee_invalid_op 0
		.amdhsa_exception_fp_denorm_src 0
		.amdhsa_exception_fp_ieee_div_zero 0
		.amdhsa_exception_fp_ieee_overflow 0
		.amdhsa_exception_fp_ieee_underflow 0
		.amdhsa_exception_fp_ieee_inexact 0
		.amdhsa_exception_int_div_zero 0
	.end_amdhsa_kernel
	.section	.text._ZN7rocprim17ROCPRIM_400000_NS6detail17trampoline_kernelINS0_14default_configENS1_25partition_config_selectorILNS1_17partition_subalgoE1EyNS0_10empty_typeEbEEZZNS1_14partition_implILS5_1ELb0ES3_jN6thrust23THRUST_200600_302600_NS6detail15normal_iteratorINSA_10device_ptrIyEEEEPS6_NSA_18transform_iteratorI7is_evenIyESF_NSA_11use_defaultESK_EENS0_5tupleIJNSA_16discard_iteratorISK_EESO_EEENSM_IJSG_SG_EEES6_PlJS6_EEE10hipError_tPvRmT3_T4_T5_T6_T7_T9_mT8_P12ihipStream_tbDpT10_ENKUlT_T0_E_clISt17integral_constantIbLb1EES1A_IbLb0EEEEDaS16_S17_EUlS16_E_NS1_11comp_targetILNS1_3genE9ELNS1_11target_archE1100ELNS1_3gpuE3ELNS1_3repE0EEENS1_30default_config_static_selectorELNS0_4arch9wavefront6targetE1EEEvT1_,"axG",@progbits,_ZN7rocprim17ROCPRIM_400000_NS6detail17trampoline_kernelINS0_14default_configENS1_25partition_config_selectorILNS1_17partition_subalgoE1EyNS0_10empty_typeEbEEZZNS1_14partition_implILS5_1ELb0ES3_jN6thrust23THRUST_200600_302600_NS6detail15normal_iteratorINSA_10device_ptrIyEEEEPS6_NSA_18transform_iteratorI7is_evenIyESF_NSA_11use_defaultESK_EENS0_5tupleIJNSA_16discard_iteratorISK_EESO_EEENSM_IJSG_SG_EEES6_PlJS6_EEE10hipError_tPvRmT3_T4_T5_T6_T7_T9_mT8_P12ihipStream_tbDpT10_ENKUlT_T0_E_clISt17integral_constantIbLb1EES1A_IbLb0EEEEDaS16_S17_EUlS16_E_NS1_11comp_targetILNS1_3genE9ELNS1_11target_archE1100ELNS1_3gpuE3ELNS1_3repE0EEENS1_30default_config_static_selectorELNS0_4arch9wavefront6targetE1EEEvT1_,comdat
.Lfunc_end2897:
	.size	_ZN7rocprim17ROCPRIM_400000_NS6detail17trampoline_kernelINS0_14default_configENS1_25partition_config_selectorILNS1_17partition_subalgoE1EyNS0_10empty_typeEbEEZZNS1_14partition_implILS5_1ELb0ES3_jN6thrust23THRUST_200600_302600_NS6detail15normal_iteratorINSA_10device_ptrIyEEEEPS6_NSA_18transform_iteratorI7is_evenIyESF_NSA_11use_defaultESK_EENS0_5tupleIJNSA_16discard_iteratorISK_EESO_EEENSM_IJSG_SG_EEES6_PlJS6_EEE10hipError_tPvRmT3_T4_T5_T6_T7_T9_mT8_P12ihipStream_tbDpT10_ENKUlT_T0_E_clISt17integral_constantIbLb1EES1A_IbLb0EEEEDaS16_S17_EUlS16_E_NS1_11comp_targetILNS1_3genE9ELNS1_11target_archE1100ELNS1_3gpuE3ELNS1_3repE0EEENS1_30default_config_static_selectorELNS0_4arch9wavefront6targetE1EEEvT1_, .Lfunc_end2897-_ZN7rocprim17ROCPRIM_400000_NS6detail17trampoline_kernelINS0_14default_configENS1_25partition_config_selectorILNS1_17partition_subalgoE1EyNS0_10empty_typeEbEEZZNS1_14partition_implILS5_1ELb0ES3_jN6thrust23THRUST_200600_302600_NS6detail15normal_iteratorINSA_10device_ptrIyEEEEPS6_NSA_18transform_iteratorI7is_evenIyESF_NSA_11use_defaultESK_EENS0_5tupleIJNSA_16discard_iteratorISK_EESO_EEENSM_IJSG_SG_EEES6_PlJS6_EEE10hipError_tPvRmT3_T4_T5_T6_T7_T9_mT8_P12ihipStream_tbDpT10_ENKUlT_T0_E_clISt17integral_constantIbLb1EES1A_IbLb0EEEEDaS16_S17_EUlS16_E_NS1_11comp_targetILNS1_3genE9ELNS1_11target_archE1100ELNS1_3gpuE3ELNS1_3repE0EEENS1_30default_config_static_selectorELNS0_4arch9wavefront6targetE1EEEvT1_
                                        ; -- End function
	.section	.AMDGPU.csdata,"",@progbits
; Kernel info:
; codeLenInByte = 0
; NumSgprs: 4
; NumVgprs: 0
; NumAgprs: 0
; TotalNumVgprs: 0
; ScratchSize: 0
; MemoryBound: 0
; FloatMode: 240
; IeeeMode: 1
; LDSByteSize: 0 bytes/workgroup (compile time only)
; SGPRBlocks: 0
; VGPRBlocks: 0
; NumSGPRsForWavesPerEU: 4
; NumVGPRsForWavesPerEU: 1
; AccumOffset: 4
; Occupancy: 8
; WaveLimiterHint : 0
; COMPUTE_PGM_RSRC2:SCRATCH_EN: 0
; COMPUTE_PGM_RSRC2:USER_SGPR: 6
; COMPUTE_PGM_RSRC2:TRAP_HANDLER: 0
; COMPUTE_PGM_RSRC2:TGID_X_EN: 1
; COMPUTE_PGM_RSRC2:TGID_Y_EN: 0
; COMPUTE_PGM_RSRC2:TGID_Z_EN: 0
; COMPUTE_PGM_RSRC2:TIDIG_COMP_CNT: 0
; COMPUTE_PGM_RSRC3_GFX90A:ACCUM_OFFSET: 0
; COMPUTE_PGM_RSRC3_GFX90A:TG_SPLIT: 0
	.section	.text._ZN7rocprim17ROCPRIM_400000_NS6detail17trampoline_kernelINS0_14default_configENS1_25partition_config_selectorILNS1_17partition_subalgoE1EyNS0_10empty_typeEbEEZZNS1_14partition_implILS5_1ELb0ES3_jN6thrust23THRUST_200600_302600_NS6detail15normal_iteratorINSA_10device_ptrIyEEEEPS6_NSA_18transform_iteratorI7is_evenIyESF_NSA_11use_defaultESK_EENS0_5tupleIJNSA_16discard_iteratorISK_EESO_EEENSM_IJSG_SG_EEES6_PlJS6_EEE10hipError_tPvRmT3_T4_T5_T6_T7_T9_mT8_P12ihipStream_tbDpT10_ENKUlT_T0_E_clISt17integral_constantIbLb1EES1A_IbLb0EEEEDaS16_S17_EUlS16_E_NS1_11comp_targetILNS1_3genE8ELNS1_11target_archE1030ELNS1_3gpuE2ELNS1_3repE0EEENS1_30default_config_static_selectorELNS0_4arch9wavefront6targetE1EEEvT1_,"axG",@progbits,_ZN7rocprim17ROCPRIM_400000_NS6detail17trampoline_kernelINS0_14default_configENS1_25partition_config_selectorILNS1_17partition_subalgoE1EyNS0_10empty_typeEbEEZZNS1_14partition_implILS5_1ELb0ES3_jN6thrust23THRUST_200600_302600_NS6detail15normal_iteratorINSA_10device_ptrIyEEEEPS6_NSA_18transform_iteratorI7is_evenIyESF_NSA_11use_defaultESK_EENS0_5tupleIJNSA_16discard_iteratorISK_EESO_EEENSM_IJSG_SG_EEES6_PlJS6_EEE10hipError_tPvRmT3_T4_T5_T6_T7_T9_mT8_P12ihipStream_tbDpT10_ENKUlT_T0_E_clISt17integral_constantIbLb1EES1A_IbLb0EEEEDaS16_S17_EUlS16_E_NS1_11comp_targetILNS1_3genE8ELNS1_11target_archE1030ELNS1_3gpuE2ELNS1_3repE0EEENS1_30default_config_static_selectorELNS0_4arch9wavefront6targetE1EEEvT1_,comdat
	.protected	_ZN7rocprim17ROCPRIM_400000_NS6detail17trampoline_kernelINS0_14default_configENS1_25partition_config_selectorILNS1_17partition_subalgoE1EyNS0_10empty_typeEbEEZZNS1_14partition_implILS5_1ELb0ES3_jN6thrust23THRUST_200600_302600_NS6detail15normal_iteratorINSA_10device_ptrIyEEEEPS6_NSA_18transform_iteratorI7is_evenIyESF_NSA_11use_defaultESK_EENS0_5tupleIJNSA_16discard_iteratorISK_EESO_EEENSM_IJSG_SG_EEES6_PlJS6_EEE10hipError_tPvRmT3_T4_T5_T6_T7_T9_mT8_P12ihipStream_tbDpT10_ENKUlT_T0_E_clISt17integral_constantIbLb1EES1A_IbLb0EEEEDaS16_S17_EUlS16_E_NS1_11comp_targetILNS1_3genE8ELNS1_11target_archE1030ELNS1_3gpuE2ELNS1_3repE0EEENS1_30default_config_static_selectorELNS0_4arch9wavefront6targetE1EEEvT1_ ; -- Begin function _ZN7rocprim17ROCPRIM_400000_NS6detail17trampoline_kernelINS0_14default_configENS1_25partition_config_selectorILNS1_17partition_subalgoE1EyNS0_10empty_typeEbEEZZNS1_14partition_implILS5_1ELb0ES3_jN6thrust23THRUST_200600_302600_NS6detail15normal_iteratorINSA_10device_ptrIyEEEEPS6_NSA_18transform_iteratorI7is_evenIyESF_NSA_11use_defaultESK_EENS0_5tupleIJNSA_16discard_iteratorISK_EESO_EEENSM_IJSG_SG_EEES6_PlJS6_EEE10hipError_tPvRmT3_T4_T5_T6_T7_T9_mT8_P12ihipStream_tbDpT10_ENKUlT_T0_E_clISt17integral_constantIbLb1EES1A_IbLb0EEEEDaS16_S17_EUlS16_E_NS1_11comp_targetILNS1_3genE8ELNS1_11target_archE1030ELNS1_3gpuE2ELNS1_3repE0EEENS1_30default_config_static_selectorELNS0_4arch9wavefront6targetE1EEEvT1_
	.globl	_ZN7rocprim17ROCPRIM_400000_NS6detail17trampoline_kernelINS0_14default_configENS1_25partition_config_selectorILNS1_17partition_subalgoE1EyNS0_10empty_typeEbEEZZNS1_14partition_implILS5_1ELb0ES3_jN6thrust23THRUST_200600_302600_NS6detail15normal_iteratorINSA_10device_ptrIyEEEEPS6_NSA_18transform_iteratorI7is_evenIyESF_NSA_11use_defaultESK_EENS0_5tupleIJNSA_16discard_iteratorISK_EESO_EEENSM_IJSG_SG_EEES6_PlJS6_EEE10hipError_tPvRmT3_T4_T5_T6_T7_T9_mT8_P12ihipStream_tbDpT10_ENKUlT_T0_E_clISt17integral_constantIbLb1EES1A_IbLb0EEEEDaS16_S17_EUlS16_E_NS1_11comp_targetILNS1_3genE8ELNS1_11target_archE1030ELNS1_3gpuE2ELNS1_3repE0EEENS1_30default_config_static_selectorELNS0_4arch9wavefront6targetE1EEEvT1_
	.p2align	8
	.type	_ZN7rocprim17ROCPRIM_400000_NS6detail17trampoline_kernelINS0_14default_configENS1_25partition_config_selectorILNS1_17partition_subalgoE1EyNS0_10empty_typeEbEEZZNS1_14partition_implILS5_1ELb0ES3_jN6thrust23THRUST_200600_302600_NS6detail15normal_iteratorINSA_10device_ptrIyEEEEPS6_NSA_18transform_iteratorI7is_evenIyESF_NSA_11use_defaultESK_EENS0_5tupleIJNSA_16discard_iteratorISK_EESO_EEENSM_IJSG_SG_EEES6_PlJS6_EEE10hipError_tPvRmT3_T4_T5_T6_T7_T9_mT8_P12ihipStream_tbDpT10_ENKUlT_T0_E_clISt17integral_constantIbLb1EES1A_IbLb0EEEEDaS16_S17_EUlS16_E_NS1_11comp_targetILNS1_3genE8ELNS1_11target_archE1030ELNS1_3gpuE2ELNS1_3repE0EEENS1_30default_config_static_selectorELNS0_4arch9wavefront6targetE1EEEvT1_,@function
_ZN7rocprim17ROCPRIM_400000_NS6detail17trampoline_kernelINS0_14default_configENS1_25partition_config_selectorILNS1_17partition_subalgoE1EyNS0_10empty_typeEbEEZZNS1_14partition_implILS5_1ELb0ES3_jN6thrust23THRUST_200600_302600_NS6detail15normal_iteratorINSA_10device_ptrIyEEEEPS6_NSA_18transform_iteratorI7is_evenIyESF_NSA_11use_defaultESK_EENS0_5tupleIJNSA_16discard_iteratorISK_EESO_EEENSM_IJSG_SG_EEES6_PlJS6_EEE10hipError_tPvRmT3_T4_T5_T6_T7_T9_mT8_P12ihipStream_tbDpT10_ENKUlT_T0_E_clISt17integral_constantIbLb1EES1A_IbLb0EEEEDaS16_S17_EUlS16_E_NS1_11comp_targetILNS1_3genE8ELNS1_11target_archE1030ELNS1_3gpuE2ELNS1_3repE0EEENS1_30default_config_static_selectorELNS0_4arch9wavefront6targetE1EEEvT1_: ; @_ZN7rocprim17ROCPRIM_400000_NS6detail17trampoline_kernelINS0_14default_configENS1_25partition_config_selectorILNS1_17partition_subalgoE1EyNS0_10empty_typeEbEEZZNS1_14partition_implILS5_1ELb0ES3_jN6thrust23THRUST_200600_302600_NS6detail15normal_iteratorINSA_10device_ptrIyEEEEPS6_NSA_18transform_iteratorI7is_evenIyESF_NSA_11use_defaultESK_EENS0_5tupleIJNSA_16discard_iteratorISK_EESO_EEENSM_IJSG_SG_EEES6_PlJS6_EEE10hipError_tPvRmT3_T4_T5_T6_T7_T9_mT8_P12ihipStream_tbDpT10_ENKUlT_T0_E_clISt17integral_constantIbLb1EES1A_IbLb0EEEEDaS16_S17_EUlS16_E_NS1_11comp_targetILNS1_3genE8ELNS1_11target_archE1030ELNS1_3gpuE2ELNS1_3repE0EEENS1_30default_config_static_selectorELNS0_4arch9wavefront6targetE1EEEvT1_
; %bb.0:
	.section	.rodata,"a",@progbits
	.p2align	6, 0x0
	.amdhsa_kernel _ZN7rocprim17ROCPRIM_400000_NS6detail17trampoline_kernelINS0_14default_configENS1_25partition_config_selectorILNS1_17partition_subalgoE1EyNS0_10empty_typeEbEEZZNS1_14partition_implILS5_1ELb0ES3_jN6thrust23THRUST_200600_302600_NS6detail15normal_iteratorINSA_10device_ptrIyEEEEPS6_NSA_18transform_iteratorI7is_evenIyESF_NSA_11use_defaultESK_EENS0_5tupleIJNSA_16discard_iteratorISK_EESO_EEENSM_IJSG_SG_EEES6_PlJS6_EEE10hipError_tPvRmT3_T4_T5_T6_T7_T9_mT8_P12ihipStream_tbDpT10_ENKUlT_T0_E_clISt17integral_constantIbLb1EES1A_IbLb0EEEEDaS16_S17_EUlS16_E_NS1_11comp_targetILNS1_3genE8ELNS1_11target_archE1030ELNS1_3gpuE2ELNS1_3repE0EEENS1_30default_config_static_selectorELNS0_4arch9wavefront6targetE1EEEvT1_
		.amdhsa_group_segment_fixed_size 0
		.amdhsa_private_segment_fixed_size 0
		.amdhsa_kernarg_size 144
		.amdhsa_user_sgpr_count 6
		.amdhsa_user_sgpr_private_segment_buffer 1
		.amdhsa_user_sgpr_dispatch_ptr 0
		.amdhsa_user_sgpr_queue_ptr 0
		.amdhsa_user_sgpr_kernarg_segment_ptr 1
		.amdhsa_user_sgpr_dispatch_id 0
		.amdhsa_user_sgpr_flat_scratch_init 0
		.amdhsa_user_sgpr_kernarg_preload_length 0
		.amdhsa_user_sgpr_kernarg_preload_offset 0
		.amdhsa_user_sgpr_private_segment_size 0
		.amdhsa_uses_dynamic_stack 0
		.amdhsa_system_sgpr_private_segment_wavefront_offset 0
		.amdhsa_system_sgpr_workgroup_id_x 1
		.amdhsa_system_sgpr_workgroup_id_y 0
		.amdhsa_system_sgpr_workgroup_id_z 0
		.amdhsa_system_sgpr_workgroup_info 0
		.amdhsa_system_vgpr_workitem_id 0
		.amdhsa_next_free_vgpr 1
		.amdhsa_next_free_sgpr 0
		.amdhsa_accum_offset 4
		.amdhsa_reserve_vcc 0
		.amdhsa_reserve_flat_scratch 0
		.amdhsa_float_round_mode_32 0
		.amdhsa_float_round_mode_16_64 0
		.amdhsa_float_denorm_mode_32 3
		.amdhsa_float_denorm_mode_16_64 3
		.amdhsa_dx10_clamp 1
		.amdhsa_ieee_mode 1
		.amdhsa_fp16_overflow 0
		.amdhsa_tg_split 0
		.amdhsa_exception_fp_ieee_invalid_op 0
		.amdhsa_exception_fp_denorm_src 0
		.amdhsa_exception_fp_ieee_div_zero 0
		.amdhsa_exception_fp_ieee_overflow 0
		.amdhsa_exception_fp_ieee_underflow 0
		.amdhsa_exception_fp_ieee_inexact 0
		.amdhsa_exception_int_div_zero 0
	.end_amdhsa_kernel
	.section	.text._ZN7rocprim17ROCPRIM_400000_NS6detail17trampoline_kernelINS0_14default_configENS1_25partition_config_selectorILNS1_17partition_subalgoE1EyNS0_10empty_typeEbEEZZNS1_14partition_implILS5_1ELb0ES3_jN6thrust23THRUST_200600_302600_NS6detail15normal_iteratorINSA_10device_ptrIyEEEEPS6_NSA_18transform_iteratorI7is_evenIyESF_NSA_11use_defaultESK_EENS0_5tupleIJNSA_16discard_iteratorISK_EESO_EEENSM_IJSG_SG_EEES6_PlJS6_EEE10hipError_tPvRmT3_T4_T5_T6_T7_T9_mT8_P12ihipStream_tbDpT10_ENKUlT_T0_E_clISt17integral_constantIbLb1EES1A_IbLb0EEEEDaS16_S17_EUlS16_E_NS1_11comp_targetILNS1_3genE8ELNS1_11target_archE1030ELNS1_3gpuE2ELNS1_3repE0EEENS1_30default_config_static_selectorELNS0_4arch9wavefront6targetE1EEEvT1_,"axG",@progbits,_ZN7rocprim17ROCPRIM_400000_NS6detail17trampoline_kernelINS0_14default_configENS1_25partition_config_selectorILNS1_17partition_subalgoE1EyNS0_10empty_typeEbEEZZNS1_14partition_implILS5_1ELb0ES3_jN6thrust23THRUST_200600_302600_NS6detail15normal_iteratorINSA_10device_ptrIyEEEEPS6_NSA_18transform_iteratorI7is_evenIyESF_NSA_11use_defaultESK_EENS0_5tupleIJNSA_16discard_iteratorISK_EESO_EEENSM_IJSG_SG_EEES6_PlJS6_EEE10hipError_tPvRmT3_T4_T5_T6_T7_T9_mT8_P12ihipStream_tbDpT10_ENKUlT_T0_E_clISt17integral_constantIbLb1EES1A_IbLb0EEEEDaS16_S17_EUlS16_E_NS1_11comp_targetILNS1_3genE8ELNS1_11target_archE1030ELNS1_3gpuE2ELNS1_3repE0EEENS1_30default_config_static_selectorELNS0_4arch9wavefront6targetE1EEEvT1_,comdat
.Lfunc_end2898:
	.size	_ZN7rocprim17ROCPRIM_400000_NS6detail17trampoline_kernelINS0_14default_configENS1_25partition_config_selectorILNS1_17partition_subalgoE1EyNS0_10empty_typeEbEEZZNS1_14partition_implILS5_1ELb0ES3_jN6thrust23THRUST_200600_302600_NS6detail15normal_iteratorINSA_10device_ptrIyEEEEPS6_NSA_18transform_iteratorI7is_evenIyESF_NSA_11use_defaultESK_EENS0_5tupleIJNSA_16discard_iteratorISK_EESO_EEENSM_IJSG_SG_EEES6_PlJS6_EEE10hipError_tPvRmT3_T4_T5_T6_T7_T9_mT8_P12ihipStream_tbDpT10_ENKUlT_T0_E_clISt17integral_constantIbLb1EES1A_IbLb0EEEEDaS16_S17_EUlS16_E_NS1_11comp_targetILNS1_3genE8ELNS1_11target_archE1030ELNS1_3gpuE2ELNS1_3repE0EEENS1_30default_config_static_selectorELNS0_4arch9wavefront6targetE1EEEvT1_, .Lfunc_end2898-_ZN7rocprim17ROCPRIM_400000_NS6detail17trampoline_kernelINS0_14default_configENS1_25partition_config_selectorILNS1_17partition_subalgoE1EyNS0_10empty_typeEbEEZZNS1_14partition_implILS5_1ELb0ES3_jN6thrust23THRUST_200600_302600_NS6detail15normal_iteratorINSA_10device_ptrIyEEEEPS6_NSA_18transform_iteratorI7is_evenIyESF_NSA_11use_defaultESK_EENS0_5tupleIJNSA_16discard_iteratorISK_EESO_EEENSM_IJSG_SG_EEES6_PlJS6_EEE10hipError_tPvRmT3_T4_T5_T6_T7_T9_mT8_P12ihipStream_tbDpT10_ENKUlT_T0_E_clISt17integral_constantIbLb1EES1A_IbLb0EEEEDaS16_S17_EUlS16_E_NS1_11comp_targetILNS1_3genE8ELNS1_11target_archE1030ELNS1_3gpuE2ELNS1_3repE0EEENS1_30default_config_static_selectorELNS0_4arch9wavefront6targetE1EEEvT1_
                                        ; -- End function
	.section	.AMDGPU.csdata,"",@progbits
; Kernel info:
; codeLenInByte = 0
; NumSgprs: 4
; NumVgprs: 0
; NumAgprs: 0
; TotalNumVgprs: 0
; ScratchSize: 0
; MemoryBound: 0
; FloatMode: 240
; IeeeMode: 1
; LDSByteSize: 0 bytes/workgroup (compile time only)
; SGPRBlocks: 0
; VGPRBlocks: 0
; NumSGPRsForWavesPerEU: 4
; NumVGPRsForWavesPerEU: 1
; AccumOffset: 4
; Occupancy: 8
; WaveLimiterHint : 0
; COMPUTE_PGM_RSRC2:SCRATCH_EN: 0
; COMPUTE_PGM_RSRC2:USER_SGPR: 6
; COMPUTE_PGM_RSRC2:TRAP_HANDLER: 0
; COMPUTE_PGM_RSRC2:TGID_X_EN: 1
; COMPUTE_PGM_RSRC2:TGID_Y_EN: 0
; COMPUTE_PGM_RSRC2:TGID_Z_EN: 0
; COMPUTE_PGM_RSRC2:TIDIG_COMP_CNT: 0
; COMPUTE_PGM_RSRC3_GFX90A:ACCUM_OFFSET: 0
; COMPUTE_PGM_RSRC3_GFX90A:TG_SPLIT: 0
	.section	.text._ZN7rocprim17ROCPRIM_400000_NS6detail17trampoline_kernelINS0_14default_configENS1_25partition_config_selectorILNS1_17partition_subalgoE1EyNS0_10empty_typeEbEEZZNS1_14partition_implILS5_1ELb0ES3_jN6thrust23THRUST_200600_302600_NS6detail15normal_iteratorINSA_10device_ptrIyEEEEPS6_NSA_18transform_iteratorI7is_evenIyESF_NSA_11use_defaultESK_EENS0_5tupleIJNSA_16discard_iteratorISK_EESO_EEENSM_IJSG_SG_EEES6_PlJS6_EEE10hipError_tPvRmT3_T4_T5_T6_T7_T9_mT8_P12ihipStream_tbDpT10_ENKUlT_T0_E_clISt17integral_constantIbLb0EES1A_IbLb1EEEEDaS16_S17_EUlS16_E_NS1_11comp_targetILNS1_3genE0ELNS1_11target_archE4294967295ELNS1_3gpuE0ELNS1_3repE0EEENS1_30default_config_static_selectorELNS0_4arch9wavefront6targetE1EEEvT1_,"axG",@progbits,_ZN7rocprim17ROCPRIM_400000_NS6detail17trampoline_kernelINS0_14default_configENS1_25partition_config_selectorILNS1_17partition_subalgoE1EyNS0_10empty_typeEbEEZZNS1_14partition_implILS5_1ELb0ES3_jN6thrust23THRUST_200600_302600_NS6detail15normal_iteratorINSA_10device_ptrIyEEEEPS6_NSA_18transform_iteratorI7is_evenIyESF_NSA_11use_defaultESK_EENS0_5tupleIJNSA_16discard_iteratorISK_EESO_EEENSM_IJSG_SG_EEES6_PlJS6_EEE10hipError_tPvRmT3_T4_T5_T6_T7_T9_mT8_P12ihipStream_tbDpT10_ENKUlT_T0_E_clISt17integral_constantIbLb0EES1A_IbLb1EEEEDaS16_S17_EUlS16_E_NS1_11comp_targetILNS1_3genE0ELNS1_11target_archE4294967295ELNS1_3gpuE0ELNS1_3repE0EEENS1_30default_config_static_selectorELNS0_4arch9wavefront6targetE1EEEvT1_,comdat
	.protected	_ZN7rocprim17ROCPRIM_400000_NS6detail17trampoline_kernelINS0_14default_configENS1_25partition_config_selectorILNS1_17partition_subalgoE1EyNS0_10empty_typeEbEEZZNS1_14partition_implILS5_1ELb0ES3_jN6thrust23THRUST_200600_302600_NS6detail15normal_iteratorINSA_10device_ptrIyEEEEPS6_NSA_18transform_iteratorI7is_evenIyESF_NSA_11use_defaultESK_EENS0_5tupleIJNSA_16discard_iteratorISK_EESO_EEENSM_IJSG_SG_EEES6_PlJS6_EEE10hipError_tPvRmT3_T4_T5_T6_T7_T9_mT8_P12ihipStream_tbDpT10_ENKUlT_T0_E_clISt17integral_constantIbLb0EES1A_IbLb1EEEEDaS16_S17_EUlS16_E_NS1_11comp_targetILNS1_3genE0ELNS1_11target_archE4294967295ELNS1_3gpuE0ELNS1_3repE0EEENS1_30default_config_static_selectorELNS0_4arch9wavefront6targetE1EEEvT1_ ; -- Begin function _ZN7rocprim17ROCPRIM_400000_NS6detail17trampoline_kernelINS0_14default_configENS1_25partition_config_selectorILNS1_17partition_subalgoE1EyNS0_10empty_typeEbEEZZNS1_14partition_implILS5_1ELb0ES3_jN6thrust23THRUST_200600_302600_NS6detail15normal_iteratorINSA_10device_ptrIyEEEEPS6_NSA_18transform_iteratorI7is_evenIyESF_NSA_11use_defaultESK_EENS0_5tupleIJNSA_16discard_iteratorISK_EESO_EEENSM_IJSG_SG_EEES6_PlJS6_EEE10hipError_tPvRmT3_T4_T5_T6_T7_T9_mT8_P12ihipStream_tbDpT10_ENKUlT_T0_E_clISt17integral_constantIbLb0EES1A_IbLb1EEEEDaS16_S17_EUlS16_E_NS1_11comp_targetILNS1_3genE0ELNS1_11target_archE4294967295ELNS1_3gpuE0ELNS1_3repE0EEENS1_30default_config_static_selectorELNS0_4arch9wavefront6targetE1EEEvT1_
	.globl	_ZN7rocprim17ROCPRIM_400000_NS6detail17trampoline_kernelINS0_14default_configENS1_25partition_config_selectorILNS1_17partition_subalgoE1EyNS0_10empty_typeEbEEZZNS1_14partition_implILS5_1ELb0ES3_jN6thrust23THRUST_200600_302600_NS6detail15normal_iteratorINSA_10device_ptrIyEEEEPS6_NSA_18transform_iteratorI7is_evenIyESF_NSA_11use_defaultESK_EENS0_5tupleIJNSA_16discard_iteratorISK_EESO_EEENSM_IJSG_SG_EEES6_PlJS6_EEE10hipError_tPvRmT3_T4_T5_T6_T7_T9_mT8_P12ihipStream_tbDpT10_ENKUlT_T0_E_clISt17integral_constantIbLb0EES1A_IbLb1EEEEDaS16_S17_EUlS16_E_NS1_11comp_targetILNS1_3genE0ELNS1_11target_archE4294967295ELNS1_3gpuE0ELNS1_3repE0EEENS1_30default_config_static_selectorELNS0_4arch9wavefront6targetE1EEEvT1_
	.p2align	8
	.type	_ZN7rocprim17ROCPRIM_400000_NS6detail17trampoline_kernelINS0_14default_configENS1_25partition_config_selectorILNS1_17partition_subalgoE1EyNS0_10empty_typeEbEEZZNS1_14partition_implILS5_1ELb0ES3_jN6thrust23THRUST_200600_302600_NS6detail15normal_iteratorINSA_10device_ptrIyEEEEPS6_NSA_18transform_iteratorI7is_evenIyESF_NSA_11use_defaultESK_EENS0_5tupleIJNSA_16discard_iteratorISK_EESO_EEENSM_IJSG_SG_EEES6_PlJS6_EEE10hipError_tPvRmT3_T4_T5_T6_T7_T9_mT8_P12ihipStream_tbDpT10_ENKUlT_T0_E_clISt17integral_constantIbLb0EES1A_IbLb1EEEEDaS16_S17_EUlS16_E_NS1_11comp_targetILNS1_3genE0ELNS1_11target_archE4294967295ELNS1_3gpuE0ELNS1_3repE0EEENS1_30default_config_static_selectorELNS0_4arch9wavefront6targetE1EEEvT1_,@function
_ZN7rocprim17ROCPRIM_400000_NS6detail17trampoline_kernelINS0_14default_configENS1_25partition_config_selectorILNS1_17partition_subalgoE1EyNS0_10empty_typeEbEEZZNS1_14partition_implILS5_1ELb0ES3_jN6thrust23THRUST_200600_302600_NS6detail15normal_iteratorINSA_10device_ptrIyEEEEPS6_NSA_18transform_iteratorI7is_evenIyESF_NSA_11use_defaultESK_EENS0_5tupleIJNSA_16discard_iteratorISK_EESO_EEENSM_IJSG_SG_EEES6_PlJS6_EEE10hipError_tPvRmT3_T4_T5_T6_T7_T9_mT8_P12ihipStream_tbDpT10_ENKUlT_T0_E_clISt17integral_constantIbLb0EES1A_IbLb1EEEEDaS16_S17_EUlS16_E_NS1_11comp_targetILNS1_3genE0ELNS1_11target_archE4294967295ELNS1_3gpuE0ELNS1_3repE0EEENS1_30default_config_static_selectorELNS0_4arch9wavefront6targetE1EEEvT1_: ; @_ZN7rocprim17ROCPRIM_400000_NS6detail17trampoline_kernelINS0_14default_configENS1_25partition_config_selectorILNS1_17partition_subalgoE1EyNS0_10empty_typeEbEEZZNS1_14partition_implILS5_1ELb0ES3_jN6thrust23THRUST_200600_302600_NS6detail15normal_iteratorINSA_10device_ptrIyEEEEPS6_NSA_18transform_iteratorI7is_evenIyESF_NSA_11use_defaultESK_EENS0_5tupleIJNSA_16discard_iteratorISK_EESO_EEENSM_IJSG_SG_EEES6_PlJS6_EEE10hipError_tPvRmT3_T4_T5_T6_T7_T9_mT8_P12ihipStream_tbDpT10_ENKUlT_T0_E_clISt17integral_constantIbLb0EES1A_IbLb1EEEEDaS16_S17_EUlS16_E_NS1_11comp_targetILNS1_3genE0ELNS1_11target_archE4294967295ELNS1_3gpuE0ELNS1_3repE0EEENS1_30default_config_static_selectorELNS0_4arch9wavefront6targetE1EEEvT1_
; %bb.0:
	.section	.rodata,"a",@progbits
	.p2align	6, 0x0
	.amdhsa_kernel _ZN7rocprim17ROCPRIM_400000_NS6detail17trampoline_kernelINS0_14default_configENS1_25partition_config_selectorILNS1_17partition_subalgoE1EyNS0_10empty_typeEbEEZZNS1_14partition_implILS5_1ELb0ES3_jN6thrust23THRUST_200600_302600_NS6detail15normal_iteratorINSA_10device_ptrIyEEEEPS6_NSA_18transform_iteratorI7is_evenIyESF_NSA_11use_defaultESK_EENS0_5tupleIJNSA_16discard_iteratorISK_EESO_EEENSM_IJSG_SG_EEES6_PlJS6_EEE10hipError_tPvRmT3_T4_T5_T6_T7_T9_mT8_P12ihipStream_tbDpT10_ENKUlT_T0_E_clISt17integral_constantIbLb0EES1A_IbLb1EEEEDaS16_S17_EUlS16_E_NS1_11comp_targetILNS1_3genE0ELNS1_11target_archE4294967295ELNS1_3gpuE0ELNS1_3repE0EEENS1_30default_config_static_selectorELNS0_4arch9wavefront6targetE1EEEvT1_
		.amdhsa_group_segment_fixed_size 0
		.amdhsa_private_segment_fixed_size 0
		.amdhsa_kernarg_size 160
		.amdhsa_user_sgpr_count 6
		.amdhsa_user_sgpr_private_segment_buffer 1
		.amdhsa_user_sgpr_dispatch_ptr 0
		.amdhsa_user_sgpr_queue_ptr 0
		.amdhsa_user_sgpr_kernarg_segment_ptr 1
		.amdhsa_user_sgpr_dispatch_id 0
		.amdhsa_user_sgpr_flat_scratch_init 0
		.amdhsa_user_sgpr_kernarg_preload_length 0
		.amdhsa_user_sgpr_kernarg_preload_offset 0
		.amdhsa_user_sgpr_private_segment_size 0
		.amdhsa_uses_dynamic_stack 0
		.amdhsa_system_sgpr_private_segment_wavefront_offset 0
		.amdhsa_system_sgpr_workgroup_id_x 1
		.amdhsa_system_sgpr_workgroup_id_y 0
		.amdhsa_system_sgpr_workgroup_id_z 0
		.amdhsa_system_sgpr_workgroup_info 0
		.amdhsa_system_vgpr_workitem_id 0
		.amdhsa_next_free_vgpr 1
		.amdhsa_next_free_sgpr 0
		.amdhsa_accum_offset 4
		.amdhsa_reserve_vcc 0
		.amdhsa_reserve_flat_scratch 0
		.amdhsa_float_round_mode_32 0
		.amdhsa_float_round_mode_16_64 0
		.amdhsa_float_denorm_mode_32 3
		.amdhsa_float_denorm_mode_16_64 3
		.amdhsa_dx10_clamp 1
		.amdhsa_ieee_mode 1
		.amdhsa_fp16_overflow 0
		.amdhsa_tg_split 0
		.amdhsa_exception_fp_ieee_invalid_op 0
		.amdhsa_exception_fp_denorm_src 0
		.amdhsa_exception_fp_ieee_div_zero 0
		.amdhsa_exception_fp_ieee_overflow 0
		.amdhsa_exception_fp_ieee_underflow 0
		.amdhsa_exception_fp_ieee_inexact 0
		.amdhsa_exception_int_div_zero 0
	.end_amdhsa_kernel
	.section	.text._ZN7rocprim17ROCPRIM_400000_NS6detail17trampoline_kernelINS0_14default_configENS1_25partition_config_selectorILNS1_17partition_subalgoE1EyNS0_10empty_typeEbEEZZNS1_14partition_implILS5_1ELb0ES3_jN6thrust23THRUST_200600_302600_NS6detail15normal_iteratorINSA_10device_ptrIyEEEEPS6_NSA_18transform_iteratorI7is_evenIyESF_NSA_11use_defaultESK_EENS0_5tupleIJNSA_16discard_iteratorISK_EESO_EEENSM_IJSG_SG_EEES6_PlJS6_EEE10hipError_tPvRmT3_T4_T5_T6_T7_T9_mT8_P12ihipStream_tbDpT10_ENKUlT_T0_E_clISt17integral_constantIbLb0EES1A_IbLb1EEEEDaS16_S17_EUlS16_E_NS1_11comp_targetILNS1_3genE0ELNS1_11target_archE4294967295ELNS1_3gpuE0ELNS1_3repE0EEENS1_30default_config_static_selectorELNS0_4arch9wavefront6targetE1EEEvT1_,"axG",@progbits,_ZN7rocprim17ROCPRIM_400000_NS6detail17trampoline_kernelINS0_14default_configENS1_25partition_config_selectorILNS1_17partition_subalgoE1EyNS0_10empty_typeEbEEZZNS1_14partition_implILS5_1ELb0ES3_jN6thrust23THRUST_200600_302600_NS6detail15normal_iteratorINSA_10device_ptrIyEEEEPS6_NSA_18transform_iteratorI7is_evenIyESF_NSA_11use_defaultESK_EENS0_5tupleIJNSA_16discard_iteratorISK_EESO_EEENSM_IJSG_SG_EEES6_PlJS6_EEE10hipError_tPvRmT3_T4_T5_T6_T7_T9_mT8_P12ihipStream_tbDpT10_ENKUlT_T0_E_clISt17integral_constantIbLb0EES1A_IbLb1EEEEDaS16_S17_EUlS16_E_NS1_11comp_targetILNS1_3genE0ELNS1_11target_archE4294967295ELNS1_3gpuE0ELNS1_3repE0EEENS1_30default_config_static_selectorELNS0_4arch9wavefront6targetE1EEEvT1_,comdat
.Lfunc_end2899:
	.size	_ZN7rocprim17ROCPRIM_400000_NS6detail17trampoline_kernelINS0_14default_configENS1_25partition_config_selectorILNS1_17partition_subalgoE1EyNS0_10empty_typeEbEEZZNS1_14partition_implILS5_1ELb0ES3_jN6thrust23THRUST_200600_302600_NS6detail15normal_iteratorINSA_10device_ptrIyEEEEPS6_NSA_18transform_iteratorI7is_evenIyESF_NSA_11use_defaultESK_EENS0_5tupleIJNSA_16discard_iteratorISK_EESO_EEENSM_IJSG_SG_EEES6_PlJS6_EEE10hipError_tPvRmT3_T4_T5_T6_T7_T9_mT8_P12ihipStream_tbDpT10_ENKUlT_T0_E_clISt17integral_constantIbLb0EES1A_IbLb1EEEEDaS16_S17_EUlS16_E_NS1_11comp_targetILNS1_3genE0ELNS1_11target_archE4294967295ELNS1_3gpuE0ELNS1_3repE0EEENS1_30default_config_static_selectorELNS0_4arch9wavefront6targetE1EEEvT1_, .Lfunc_end2899-_ZN7rocprim17ROCPRIM_400000_NS6detail17trampoline_kernelINS0_14default_configENS1_25partition_config_selectorILNS1_17partition_subalgoE1EyNS0_10empty_typeEbEEZZNS1_14partition_implILS5_1ELb0ES3_jN6thrust23THRUST_200600_302600_NS6detail15normal_iteratorINSA_10device_ptrIyEEEEPS6_NSA_18transform_iteratorI7is_evenIyESF_NSA_11use_defaultESK_EENS0_5tupleIJNSA_16discard_iteratorISK_EESO_EEENSM_IJSG_SG_EEES6_PlJS6_EEE10hipError_tPvRmT3_T4_T5_T6_T7_T9_mT8_P12ihipStream_tbDpT10_ENKUlT_T0_E_clISt17integral_constantIbLb0EES1A_IbLb1EEEEDaS16_S17_EUlS16_E_NS1_11comp_targetILNS1_3genE0ELNS1_11target_archE4294967295ELNS1_3gpuE0ELNS1_3repE0EEENS1_30default_config_static_selectorELNS0_4arch9wavefront6targetE1EEEvT1_
                                        ; -- End function
	.section	.AMDGPU.csdata,"",@progbits
; Kernel info:
; codeLenInByte = 0
; NumSgprs: 4
; NumVgprs: 0
; NumAgprs: 0
; TotalNumVgprs: 0
; ScratchSize: 0
; MemoryBound: 0
; FloatMode: 240
; IeeeMode: 1
; LDSByteSize: 0 bytes/workgroup (compile time only)
; SGPRBlocks: 0
; VGPRBlocks: 0
; NumSGPRsForWavesPerEU: 4
; NumVGPRsForWavesPerEU: 1
; AccumOffset: 4
; Occupancy: 8
; WaveLimiterHint : 0
; COMPUTE_PGM_RSRC2:SCRATCH_EN: 0
; COMPUTE_PGM_RSRC2:USER_SGPR: 6
; COMPUTE_PGM_RSRC2:TRAP_HANDLER: 0
; COMPUTE_PGM_RSRC2:TGID_X_EN: 1
; COMPUTE_PGM_RSRC2:TGID_Y_EN: 0
; COMPUTE_PGM_RSRC2:TGID_Z_EN: 0
; COMPUTE_PGM_RSRC2:TIDIG_COMP_CNT: 0
; COMPUTE_PGM_RSRC3_GFX90A:ACCUM_OFFSET: 0
; COMPUTE_PGM_RSRC3_GFX90A:TG_SPLIT: 0
	.section	.text._ZN7rocprim17ROCPRIM_400000_NS6detail17trampoline_kernelINS0_14default_configENS1_25partition_config_selectorILNS1_17partition_subalgoE1EyNS0_10empty_typeEbEEZZNS1_14partition_implILS5_1ELb0ES3_jN6thrust23THRUST_200600_302600_NS6detail15normal_iteratorINSA_10device_ptrIyEEEEPS6_NSA_18transform_iteratorI7is_evenIyESF_NSA_11use_defaultESK_EENS0_5tupleIJNSA_16discard_iteratorISK_EESO_EEENSM_IJSG_SG_EEES6_PlJS6_EEE10hipError_tPvRmT3_T4_T5_T6_T7_T9_mT8_P12ihipStream_tbDpT10_ENKUlT_T0_E_clISt17integral_constantIbLb0EES1A_IbLb1EEEEDaS16_S17_EUlS16_E_NS1_11comp_targetILNS1_3genE5ELNS1_11target_archE942ELNS1_3gpuE9ELNS1_3repE0EEENS1_30default_config_static_selectorELNS0_4arch9wavefront6targetE1EEEvT1_,"axG",@progbits,_ZN7rocprim17ROCPRIM_400000_NS6detail17trampoline_kernelINS0_14default_configENS1_25partition_config_selectorILNS1_17partition_subalgoE1EyNS0_10empty_typeEbEEZZNS1_14partition_implILS5_1ELb0ES3_jN6thrust23THRUST_200600_302600_NS6detail15normal_iteratorINSA_10device_ptrIyEEEEPS6_NSA_18transform_iteratorI7is_evenIyESF_NSA_11use_defaultESK_EENS0_5tupleIJNSA_16discard_iteratorISK_EESO_EEENSM_IJSG_SG_EEES6_PlJS6_EEE10hipError_tPvRmT3_T4_T5_T6_T7_T9_mT8_P12ihipStream_tbDpT10_ENKUlT_T0_E_clISt17integral_constantIbLb0EES1A_IbLb1EEEEDaS16_S17_EUlS16_E_NS1_11comp_targetILNS1_3genE5ELNS1_11target_archE942ELNS1_3gpuE9ELNS1_3repE0EEENS1_30default_config_static_selectorELNS0_4arch9wavefront6targetE1EEEvT1_,comdat
	.protected	_ZN7rocprim17ROCPRIM_400000_NS6detail17trampoline_kernelINS0_14default_configENS1_25partition_config_selectorILNS1_17partition_subalgoE1EyNS0_10empty_typeEbEEZZNS1_14partition_implILS5_1ELb0ES3_jN6thrust23THRUST_200600_302600_NS6detail15normal_iteratorINSA_10device_ptrIyEEEEPS6_NSA_18transform_iteratorI7is_evenIyESF_NSA_11use_defaultESK_EENS0_5tupleIJNSA_16discard_iteratorISK_EESO_EEENSM_IJSG_SG_EEES6_PlJS6_EEE10hipError_tPvRmT3_T4_T5_T6_T7_T9_mT8_P12ihipStream_tbDpT10_ENKUlT_T0_E_clISt17integral_constantIbLb0EES1A_IbLb1EEEEDaS16_S17_EUlS16_E_NS1_11comp_targetILNS1_3genE5ELNS1_11target_archE942ELNS1_3gpuE9ELNS1_3repE0EEENS1_30default_config_static_selectorELNS0_4arch9wavefront6targetE1EEEvT1_ ; -- Begin function _ZN7rocprim17ROCPRIM_400000_NS6detail17trampoline_kernelINS0_14default_configENS1_25partition_config_selectorILNS1_17partition_subalgoE1EyNS0_10empty_typeEbEEZZNS1_14partition_implILS5_1ELb0ES3_jN6thrust23THRUST_200600_302600_NS6detail15normal_iteratorINSA_10device_ptrIyEEEEPS6_NSA_18transform_iteratorI7is_evenIyESF_NSA_11use_defaultESK_EENS0_5tupleIJNSA_16discard_iteratorISK_EESO_EEENSM_IJSG_SG_EEES6_PlJS6_EEE10hipError_tPvRmT3_T4_T5_T6_T7_T9_mT8_P12ihipStream_tbDpT10_ENKUlT_T0_E_clISt17integral_constantIbLb0EES1A_IbLb1EEEEDaS16_S17_EUlS16_E_NS1_11comp_targetILNS1_3genE5ELNS1_11target_archE942ELNS1_3gpuE9ELNS1_3repE0EEENS1_30default_config_static_selectorELNS0_4arch9wavefront6targetE1EEEvT1_
	.globl	_ZN7rocprim17ROCPRIM_400000_NS6detail17trampoline_kernelINS0_14default_configENS1_25partition_config_selectorILNS1_17partition_subalgoE1EyNS0_10empty_typeEbEEZZNS1_14partition_implILS5_1ELb0ES3_jN6thrust23THRUST_200600_302600_NS6detail15normal_iteratorINSA_10device_ptrIyEEEEPS6_NSA_18transform_iteratorI7is_evenIyESF_NSA_11use_defaultESK_EENS0_5tupleIJNSA_16discard_iteratorISK_EESO_EEENSM_IJSG_SG_EEES6_PlJS6_EEE10hipError_tPvRmT3_T4_T5_T6_T7_T9_mT8_P12ihipStream_tbDpT10_ENKUlT_T0_E_clISt17integral_constantIbLb0EES1A_IbLb1EEEEDaS16_S17_EUlS16_E_NS1_11comp_targetILNS1_3genE5ELNS1_11target_archE942ELNS1_3gpuE9ELNS1_3repE0EEENS1_30default_config_static_selectorELNS0_4arch9wavefront6targetE1EEEvT1_
	.p2align	8
	.type	_ZN7rocprim17ROCPRIM_400000_NS6detail17trampoline_kernelINS0_14default_configENS1_25partition_config_selectorILNS1_17partition_subalgoE1EyNS0_10empty_typeEbEEZZNS1_14partition_implILS5_1ELb0ES3_jN6thrust23THRUST_200600_302600_NS6detail15normal_iteratorINSA_10device_ptrIyEEEEPS6_NSA_18transform_iteratorI7is_evenIyESF_NSA_11use_defaultESK_EENS0_5tupleIJNSA_16discard_iteratorISK_EESO_EEENSM_IJSG_SG_EEES6_PlJS6_EEE10hipError_tPvRmT3_T4_T5_T6_T7_T9_mT8_P12ihipStream_tbDpT10_ENKUlT_T0_E_clISt17integral_constantIbLb0EES1A_IbLb1EEEEDaS16_S17_EUlS16_E_NS1_11comp_targetILNS1_3genE5ELNS1_11target_archE942ELNS1_3gpuE9ELNS1_3repE0EEENS1_30default_config_static_selectorELNS0_4arch9wavefront6targetE1EEEvT1_,@function
_ZN7rocprim17ROCPRIM_400000_NS6detail17trampoline_kernelINS0_14default_configENS1_25partition_config_selectorILNS1_17partition_subalgoE1EyNS0_10empty_typeEbEEZZNS1_14partition_implILS5_1ELb0ES3_jN6thrust23THRUST_200600_302600_NS6detail15normal_iteratorINSA_10device_ptrIyEEEEPS6_NSA_18transform_iteratorI7is_evenIyESF_NSA_11use_defaultESK_EENS0_5tupleIJNSA_16discard_iteratorISK_EESO_EEENSM_IJSG_SG_EEES6_PlJS6_EEE10hipError_tPvRmT3_T4_T5_T6_T7_T9_mT8_P12ihipStream_tbDpT10_ENKUlT_T0_E_clISt17integral_constantIbLb0EES1A_IbLb1EEEEDaS16_S17_EUlS16_E_NS1_11comp_targetILNS1_3genE5ELNS1_11target_archE942ELNS1_3gpuE9ELNS1_3repE0EEENS1_30default_config_static_selectorELNS0_4arch9wavefront6targetE1EEEvT1_: ; @_ZN7rocprim17ROCPRIM_400000_NS6detail17trampoline_kernelINS0_14default_configENS1_25partition_config_selectorILNS1_17partition_subalgoE1EyNS0_10empty_typeEbEEZZNS1_14partition_implILS5_1ELb0ES3_jN6thrust23THRUST_200600_302600_NS6detail15normal_iteratorINSA_10device_ptrIyEEEEPS6_NSA_18transform_iteratorI7is_evenIyESF_NSA_11use_defaultESK_EENS0_5tupleIJNSA_16discard_iteratorISK_EESO_EEENSM_IJSG_SG_EEES6_PlJS6_EEE10hipError_tPvRmT3_T4_T5_T6_T7_T9_mT8_P12ihipStream_tbDpT10_ENKUlT_T0_E_clISt17integral_constantIbLb0EES1A_IbLb1EEEEDaS16_S17_EUlS16_E_NS1_11comp_targetILNS1_3genE5ELNS1_11target_archE942ELNS1_3gpuE9ELNS1_3repE0EEENS1_30default_config_static_selectorELNS0_4arch9wavefront6targetE1EEEvT1_
; %bb.0:
	.section	.rodata,"a",@progbits
	.p2align	6, 0x0
	.amdhsa_kernel _ZN7rocprim17ROCPRIM_400000_NS6detail17trampoline_kernelINS0_14default_configENS1_25partition_config_selectorILNS1_17partition_subalgoE1EyNS0_10empty_typeEbEEZZNS1_14partition_implILS5_1ELb0ES3_jN6thrust23THRUST_200600_302600_NS6detail15normal_iteratorINSA_10device_ptrIyEEEEPS6_NSA_18transform_iteratorI7is_evenIyESF_NSA_11use_defaultESK_EENS0_5tupleIJNSA_16discard_iteratorISK_EESO_EEENSM_IJSG_SG_EEES6_PlJS6_EEE10hipError_tPvRmT3_T4_T5_T6_T7_T9_mT8_P12ihipStream_tbDpT10_ENKUlT_T0_E_clISt17integral_constantIbLb0EES1A_IbLb1EEEEDaS16_S17_EUlS16_E_NS1_11comp_targetILNS1_3genE5ELNS1_11target_archE942ELNS1_3gpuE9ELNS1_3repE0EEENS1_30default_config_static_selectorELNS0_4arch9wavefront6targetE1EEEvT1_
		.amdhsa_group_segment_fixed_size 0
		.amdhsa_private_segment_fixed_size 0
		.amdhsa_kernarg_size 160
		.amdhsa_user_sgpr_count 6
		.amdhsa_user_sgpr_private_segment_buffer 1
		.amdhsa_user_sgpr_dispatch_ptr 0
		.amdhsa_user_sgpr_queue_ptr 0
		.amdhsa_user_sgpr_kernarg_segment_ptr 1
		.amdhsa_user_sgpr_dispatch_id 0
		.amdhsa_user_sgpr_flat_scratch_init 0
		.amdhsa_user_sgpr_kernarg_preload_length 0
		.amdhsa_user_sgpr_kernarg_preload_offset 0
		.amdhsa_user_sgpr_private_segment_size 0
		.amdhsa_uses_dynamic_stack 0
		.amdhsa_system_sgpr_private_segment_wavefront_offset 0
		.amdhsa_system_sgpr_workgroup_id_x 1
		.amdhsa_system_sgpr_workgroup_id_y 0
		.amdhsa_system_sgpr_workgroup_id_z 0
		.amdhsa_system_sgpr_workgroup_info 0
		.amdhsa_system_vgpr_workitem_id 0
		.amdhsa_next_free_vgpr 1
		.amdhsa_next_free_sgpr 0
		.amdhsa_accum_offset 4
		.amdhsa_reserve_vcc 0
		.amdhsa_reserve_flat_scratch 0
		.amdhsa_float_round_mode_32 0
		.amdhsa_float_round_mode_16_64 0
		.amdhsa_float_denorm_mode_32 3
		.amdhsa_float_denorm_mode_16_64 3
		.amdhsa_dx10_clamp 1
		.amdhsa_ieee_mode 1
		.amdhsa_fp16_overflow 0
		.amdhsa_tg_split 0
		.amdhsa_exception_fp_ieee_invalid_op 0
		.amdhsa_exception_fp_denorm_src 0
		.amdhsa_exception_fp_ieee_div_zero 0
		.amdhsa_exception_fp_ieee_overflow 0
		.amdhsa_exception_fp_ieee_underflow 0
		.amdhsa_exception_fp_ieee_inexact 0
		.amdhsa_exception_int_div_zero 0
	.end_amdhsa_kernel
	.section	.text._ZN7rocprim17ROCPRIM_400000_NS6detail17trampoline_kernelINS0_14default_configENS1_25partition_config_selectorILNS1_17partition_subalgoE1EyNS0_10empty_typeEbEEZZNS1_14partition_implILS5_1ELb0ES3_jN6thrust23THRUST_200600_302600_NS6detail15normal_iteratorINSA_10device_ptrIyEEEEPS6_NSA_18transform_iteratorI7is_evenIyESF_NSA_11use_defaultESK_EENS0_5tupleIJNSA_16discard_iteratorISK_EESO_EEENSM_IJSG_SG_EEES6_PlJS6_EEE10hipError_tPvRmT3_T4_T5_T6_T7_T9_mT8_P12ihipStream_tbDpT10_ENKUlT_T0_E_clISt17integral_constantIbLb0EES1A_IbLb1EEEEDaS16_S17_EUlS16_E_NS1_11comp_targetILNS1_3genE5ELNS1_11target_archE942ELNS1_3gpuE9ELNS1_3repE0EEENS1_30default_config_static_selectorELNS0_4arch9wavefront6targetE1EEEvT1_,"axG",@progbits,_ZN7rocprim17ROCPRIM_400000_NS6detail17trampoline_kernelINS0_14default_configENS1_25partition_config_selectorILNS1_17partition_subalgoE1EyNS0_10empty_typeEbEEZZNS1_14partition_implILS5_1ELb0ES3_jN6thrust23THRUST_200600_302600_NS6detail15normal_iteratorINSA_10device_ptrIyEEEEPS6_NSA_18transform_iteratorI7is_evenIyESF_NSA_11use_defaultESK_EENS0_5tupleIJNSA_16discard_iteratorISK_EESO_EEENSM_IJSG_SG_EEES6_PlJS6_EEE10hipError_tPvRmT3_T4_T5_T6_T7_T9_mT8_P12ihipStream_tbDpT10_ENKUlT_T0_E_clISt17integral_constantIbLb0EES1A_IbLb1EEEEDaS16_S17_EUlS16_E_NS1_11comp_targetILNS1_3genE5ELNS1_11target_archE942ELNS1_3gpuE9ELNS1_3repE0EEENS1_30default_config_static_selectorELNS0_4arch9wavefront6targetE1EEEvT1_,comdat
.Lfunc_end2900:
	.size	_ZN7rocprim17ROCPRIM_400000_NS6detail17trampoline_kernelINS0_14default_configENS1_25partition_config_selectorILNS1_17partition_subalgoE1EyNS0_10empty_typeEbEEZZNS1_14partition_implILS5_1ELb0ES3_jN6thrust23THRUST_200600_302600_NS6detail15normal_iteratorINSA_10device_ptrIyEEEEPS6_NSA_18transform_iteratorI7is_evenIyESF_NSA_11use_defaultESK_EENS0_5tupleIJNSA_16discard_iteratorISK_EESO_EEENSM_IJSG_SG_EEES6_PlJS6_EEE10hipError_tPvRmT3_T4_T5_T6_T7_T9_mT8_P12ihipStream_tbDpT10_ENKUlT_T0_E_clISt17integral_constantIbLb0EES1A_IbLb1EEEEDaS16_S17_EUlS16_E_NS1_11comp_targetILNS1_3genE5ELNS1_11target_archE942ELNS1_3gpuE9ELNS1_3repE0EEENS1_30default_config_static_selectorELNS0_4arch9wavefront6targetE1EEEvT1_, .Lfunc_end2900-_ZN7rocprim17ROCPRIM_400000_NS6detail17trampoline_kernelINS0_14default_configENS1_25partition_config_selectorILNS1_17partition_subalgoE1EyNS0_10empty_typeEbEEZZNS1_14partition_implILS5_1ELb0ES3_jN6thrust23THRUST_200600_302600_NS6detail15normal_iteratorINSA_10device_ptrIyEEEEPS6_NSA_18transform_iteratorI7is_evenIyESF_NSA_11use_defaultESK_EENS0_5tupleIJNSA_16discard_iteratorISK_EESO_EEENSM_IJSG_SG_EEES6_PlJS6_EEE10hipError_tPvRmT3_T4_T5_T6_T7_T9_mT8_P12ihipStream_tbDpT10_ENKUlT_T0_E_clISt17integral_constantIbLb0EES1A_IbLb1EEEEDaS16_S17_EUlS16_E_NS1_11comp_targetILNS1_3genE5ELNS1_11target_archE942ELNS1_3gpuE9ELNS1_3repE0EEENS1_30default_config_static_selectorELNS0_4arch9wavefront6targetE1EEEvT1_
                                        ; -- End function
	.section	.AMDGPU.csdata,"",@progbits
; Kernel info:
; codeLenInByte = 0
; NumSgprs: 4
; NumVgprs: 0
; NumAgprs: 0
; TotalNumVgprs: 0
; ScratchSize: 0
; MemoryBound: 0
; FloatMode: 240
; IeeeMode: 1
; LDSByteSize: 0 bytes/workgroup (compile time only)
; SGPRBlocks: 0
; VGPRBlocks: 0
; NumSGPRsForWavesPerEU: 4
; NumVGPRsForWavesPerEU: 1
; AccumOffset: 4
; Occupancy: 8
; WaveLimiterHint : 0
; COMPUTE_PGM_RSRC2:SCRATCH_EN: 0
; COMPUTE_PGM_RSRC2:USER_SGPR: 6
; COMPUTE_PGM_RSRC2:TRAP_HANDLER: 0
; COMPUTE_PGM_RSRC2:TGID_X_EN: 1
; COMPUTE_PGM_RSRC2:TGID_Y_EN: 0
; COMPUTE_PGM_RSRC2:TGID_Z_EN: 0
; COMPUTE_PGM_RSRC2:TIDIG_COMP_CNT: 0
; COMPUTE_PGM_RSRC3_GFX90A:ACCUM_OFFSET: 0
; COMPUTE_PGM_RSRC3_GFX90A:TG_SPLIT: 0
	.section	.text._ZN7rocprim17ROCPRIM_400000_NS6detail17trampoline_kernelINS0_14default_configENS1_25partition_config_selectorILNS1_17partition_subalgoE1EyNS0_10empty_typeEbEEZZNS1_14partition_implILS5_1ELb0ES3_jN6thrust23THRUST_200600_302600_NS6detail15normal_iteratorINSA_10device_ptrIyEEEEPS6_NSA_18transform_iteratorI7is_evenIyESF_NSA_11use_defaultESK_EENS0_5tupleIJNSA_16discard_iteratorISK_EESO_EEENSM_IJSG_SG_EEES6_PlJS6_EEE10hipError_tPvRmT3_T4_T5_T6_T7_T9_mT8_P12ihipStream_tbDpT10_ENKUlT_T0_E_clISt17integral_constantIbLb0EES1A_IbLb1EEEEDaS16_S17_EUlS16_E_NS1_11comp_targetILNS1_3genE4ELNS1_11target_archE910ELNS1_3gpuE8ELNS1_3repE0EEENS1_30default_config_static_selectorELNS0_4arch9wavefront6targetE1EEEvT1_,"axG",@progbits,_ZN7rocprim17ROCPRIM_400000_NS6detail17trampoline_kernelINS0_14default_configENS1_25partition_config_selectorILNS1_17partition_subalgoE1EyNS0_10empty_typeEbEEZZNS1_14partition_implILS5_1ELb0ES3_jN6thrust23THRUST_200600_302600_NS6detail15normal_iteratorINSA_10device_ptrIyEEEEPS6_NSA_18transform_iteratorI7is_evenIyESF_NSA_11use_defaultESK_EENS0_5tupleIJNSA_16discard_iteratorISK_EESO_EEENSM_IJSG_SG_EEES6_PlJS6_EEE10hipError_tPvRmT3_T4_T5_T6_T7_T9_mT8_P12ihipStream_tbDpT10_ENKUlT_T0_E_clISt17integral_constantIbLb0EES1A_IbLb1EEEEDaS16_S17_EUlS16_E_NS1_11comp_targetILNS1_3genE4ELNS1_11target_archE910ELNS1_3gpuE8ELNS1_3repE0EEENS1_30default_config_static_selectorELNS0_4arch9wavefront6targetE1EEEvT1_,comdat
	.protected	_ZN7rocprim17ROCPRIM_400000_NS6detail17trampoline_kernelINS0_14default_configENS1_25partition_config_selectorILNS1_17partition_subalgoE1EyNS0_10empty_typeEbEEZZNS1_14partition_implILS5_1ELb0ES3_jN6thrust23THRUST_200600_302600_NS6detail15normal_iteratorINSA_10device_ptrIyEEEEPS6_NSA_18transform_iteratorI7is_evenIyESF_NSA_11use_defaultESK_EENS0_5tupleIJNSA_16discard_iteratorISK_EESO_EEENSM_IJSG_SG_EEES6_PlJS6_EEE10hipError_tPvRmT3_T4_T5_T6_T7_T9_mT8_P12ihipStream_tbDpT10_ENKUlT_T0_E_clISt17integral_constantIbLb0EES1A_IbLb1EEEEDaS16_S17_EUlS16_E_NS1_11comp_targetILNS1_3genE4ELNS1_11target_archE910ELNS1_3gpuE8ELNS1_3repE0EEENS1_30default_config_static_selectorELNS0_4arch9wavefront6targetE1EEEvT1_ ; -- Begin function _ZN7rocprim17ROCPRIM_400000_NS6detail17trampoline_kernelINS0_14default_configENS1_25partition_config_selectorILNS1_17partition_subalgoE1EyNS0_10empty_typeEbEEZZNS1_14partition_implILS5_1ELb0ES3_jN6thrust23THRUST_200600_302600_NS6detail15normal_iteratorINSA_10device_ptrIyEEEEPS6_NSA_18transform_iteratorI7is_evenIyESF_NSA_11use_defaultESK_EENS0_5tupleIJNSA_16discard_iteratorISK_EESO_EEENSM_IJSG_SG_EEES6_PlJS6_EEE10hipError_tPvRmT3_T4_T5_T6_T7_T9_mT8_P12ihipStream_tbDpT10_ENKUlT_T0_E_clISt17integral_constantIbLb0EES1A_IbLb1EEEEDaS16_S17_EUlS16_E_NS1_11comp_targetILNS1_3genE4ELNS1_11target_archE910ELNS1_3gpuE8ELNS1_3repE0EEENS1_30default_config_static_selectorELNS0_4arch9wavefront6targetE1EEEvT1_
	.globl	_ZN7rocprim17ROCPRIM_400000_NS6detail17trampoline_kernelINS0_14default_configENS1_25partition_config_selectorILNS1_17partition_subalgoE1EyNS0_10empty_typeEbEEZZNS1_14partition_implILS5_1ELb0ES3_jN6thrust23THRUST_200600_302600_NS6detail15normal_iteratorINSA_10device_ptrIyEEEEPS6_NSA_18transform_iteratorI7is_evenIyESF_NSA_11use_defaultESK_EENS0_5tupleIJNSA_16discard_iteratorISK_EESO_EEENSM_IJSG_SG_EEES6_PlJS6_EEE10hipError_tPvRmT3_T4_T5_T6_T7_T9_mT8_P12ihipStream_tbDpT10_ENKUlT_T0_E_clISt17integral_constantIbLb0EES1A_IbLb1EEEEDaS16_S17_EUlS16_E_NS1_11comp_targetILNS1_3genE4ELNS1_11target_archE910ELNS1_3gpuE8ELNS1_3repE0EEENS1_30default_config_static_selectorELNS0_4arch9wavefront6targetE1EEEvT1_
	.p2align	8
	.type	_ZN7rocprim17ROCPRIM_400000_NS6detail17trampoline_kernelINS0_14default_configENS1_25partition_config_selectorILNS1_17partition_subalgoE1EyNS0_10empty_typeEbEEZZNS1_14partition_implILS5_1ELb0ES3_jN6thrust23THRUST_200600_302600_NS6detail15normal_iteratorINSA_10device_ptrIyEEEEPS6_NSA_18transform_iteratorI7is_evenIyESF_NSA_11use_defaultESK_EENS0_5tupleIJNSA_16discard_iteratorISK_EESO_EEENSM_IJSG_SG_EEES6_PlJS6_EEE10hipError_tPvRmT3_T4_T5_T6_T7_T9_mT8_P12ihipStream_tbDpT10_ENKUlT_T0_E_clISt17integral_constantIbLb0EES1A_IbLb1EEEEDaS16_S17_EUlS16_E_NS1_11comp_targetILNS1_3genE4ELNS1_11target_archE910ELNS1_3gpuE8ELNS1_3repE0EEENS1_30default_config_static_selectorELNS0_4arch9wavefront6targetE1EEEvT1_,@function
_ZN7rocprim17ROCPRIM_400000_NS6detail17trampoline_kernelINS0_14default_configENS1_25partition_config_selectorILNS1_17partition_subalgoE1EyNS0_10empty_typeEbEEZZNS1_14partition_implILS5_1ELb0ES3_jN6thrust23THRUST_200600_302600_NS6detail15normal_iteratorINSA_10device_ptrIyEEEEPS6_NSA_18transform_iteratorI7is_evenIyESF_NSA_11use_defaultESK_EENS0_5tupleIJNSA_16discard_iteratorISK_EESO_EEENSM_IJSG_SG_EEES6_PlJS6_EEE10hipError_tPvRmT3_T4_T5_T6_T7_T9_mT8_P12ihipStream_tbDpT10_ENKUlT_T0_E_clISt17integral_constantIbLb0EES1A_IbLb1EEEEDaS16_S17_EUlS16_E_NS1_11comp_targetILNS1_3genE4ELNS1_11target_archE910ELNS1_3gpuE8ELNS1_3repE0EEENS1_30default_config_static_selectorELNS0_4arch9wavefront6targetE1EEEvT1_: ; @_ZN7rocprim17ROCPRIM_400000_NS6detail17trampoline_kernelINS0_14default_configENS1_25partition_config_selectorILNS1_17partition_subalgoE1EyNS0_10empty_typeEbEEZZNS1_14partition_implILS5_1ELb0ES3_jN6thrust23THRUST_200600_302600_NS6detail15normal_iteratorINSA_10device_ptrIyEEEEPS6_NSA_18transform_iteratorI7is_evenIyESF_NSA_11use_defaultESK_EENS0_5tupleIJNSA_16discard_iteratorISK_EESO_EEENSM_IJSG_SG_EEES6_PlJS6_EEE10hipError_tPvRmT3_T4_T5_T6_T7_T9_mT8_P12ihipStream_tbDpT10_ENKUlT_T0_E_clISt17integral_constantIbLb0EES1A_IbLb1EEEEDaS16_S17_EUlS16_E_NS1_11comp_targetILNS1_3genE4ELNS1_11target_archE910ELNS1_3gpuE8ELNS1_3repE0EEENS1_30default_config_static_selectorELNS0_4arch9wavefront6targetE1EEEvT1_
; %bb.0:
	s_load_dwordx2 s[6:7], s[4:5], 0x20
	s_load_dwordx4 s[20:23], s[4:5], 0x60
	s_load_dwordx2 s[2:3], s[4:5], 0x70
	s_load_dwordx2 s[18:19], s[4:5], 0x80
	v_cmp_eq_u32_e64 s[0:1], 0, v0
	s_and_saveexec_b64 s[8:9], s[0:1]
	s_cbranch_execz .LBB2901_4
; %bb.1:
	s_mov_b64 s[12:13], exec
	v_mbcnt_lo_u32_b32 v1, s12, 0
	v_mbcnt_hi_u32_b32 v1, s13, v1
	v_cmp_eq_u32_e32 vcc, 0, v1
                                        ; implicit-def: $vgpr2
	s_and_saveexec_b64 s[10:11], vcc
	s_cbranch_execz .LBB2901_3
; %bb.2:
	s_load_dwordx2 s[14:15], s[4:5], 0x90
	s_bcnt1_i32_b64 s12, s[12:13]
	v_mov_b32_e32 v2, 0
	v_mov_b32_e32 v3, s12
	s_waitcnt lgkmcnt(0)
	global_atomic_add v2, v2, v3, s[14:15] glc
.LBB2901_3:
	s_or_b64 exec, exec, s[10:11]
	s_waitcnt vmcnt(0)
	v_readfirstlane_b32 s10, v2
	v_add_u32_e32 v1, s10, v1
	v_mov_b32_e32 v2, 0
	ds_write_b32 v2, v1
.LBB2901_4:
	s_or_b64 exec, exec, s[8:9]
	v_mov_b32_e32 v1, 0
	s_load_dwordx4 s[8:11], s[4:5], 0x8
	s_load_dword s12, s[4:5], 0x88
	s_waitcnt lgkmcnt(0)
	s_barrier
	ds_read_b32 v4, v1
	s_waitcnt lgkmcnt(0)
	s_barrier
	global_load_dwordx2 v[10:11], v1, s[22:23]
	s_lshl_b64 s[4:5], s[10:11], 3
	v_mov_b32_e32 v3, s3
	s_add_u32 s13, s8, s4
	s_mul_i32 s3, s12, 0x300
	s_addc_u32 s24, s9, s5
	s_add_i32 s9, s3, s10
	s_sub_i32 s14, s2, s9
	s_add_i32 s8, s12, -1
	s_addk_i32 s14, 0x300
	v_mov_b32_e32 v2, s2
	s_add_u32 s2, s10, s3
	v_readfirstlane_b32 s30, v4
	s_addc_u32 s3, s11, 0
	s_cmp_eq_u32 s30, s8
	s_cselect_b64 s[22:23], -1, 0
	s_cmp_lg_u32 s30, s8
	s_mul_i32 s16, s30, 0x300
	s_mov_b32 s17, 0
	v_cmp_lt_u64_e32 vcc, s[2:3], v[2:3]
	s_cselect_b64 s[2:3], -1, 0
	s_or_b64 s[8:9], vcc, s[2:3]
	s_lshl_b64 s[10:11], s[16:17], 3
	s_add_u32 s15, s13, s10
	s_addc_u32 s16, s24, s11
	s_mov_b64 s[2:3], -1
	s_and_b64 vcc, exec, s[8:9]
	v_lshlrev_b32_e32 v12, 3, v0
	v_lshrrev_b32_e32 v1, 2, v0
	s_cbranch_vccz .LBB2901_6
; %bb.5:
	v_mov_b32_e32 v3, s16
	v_add_co_u32_e32 v2, vcc, s15, v12
	v_addc_co_u32_e32 v3, vcc, 0, v3, vcc
	v_add_co_u32_e32 v4, vcc, 0x1000, v2
	v_addc_co_u32_e32 v5, vcc, 0, v3, vcc
	flat_load_dwordx2 v[6:7], v[2:3]
	flat_load_dwordx2 v[8:9], v[2:3] offset:1536
	flat_load_dwordx2 v[14:15], v[2:3] offset:3072
	;; [unrolled: 1-line block ×3, first 2 shown]
	v_add_u32_e32 v3, 0xc0, v0
	v_add_u32_e32 v4, 0x180, v0
	;; [unrolled: 1-line block ×3, first 2 shown]
	v_and_b32_e32 v2, 56, v1
	v_lshrrev_b32_e32 v3, 2, v3
	v_lshrrev_b32_e32 v4, 2, v4
	;; [unrolled: 1-line block ×3, first 2 shown]
	v_add_u32_e32 v2, v2, v12
	v_and_b32_e32 v3, 0x78, v3
	v_and_b32_e32 v4, 0xf8, v4
	;; [unrolled: 1-line block ×3, first 2 shown]
	v_add_u32_e32 v3, v3, v12
	v_add_u32_e32 v4, v4, v12
	;; [unrolled: 1-line block ×3, first 2 shown]
	s_mov_b64 s[2:3], 0
	s_waitcnt vmcnt(0) lgkmcnt(0)
	ds_write_b64 v2, v[6:7]
	ds_write_b64 v3, v[8:9] offset:1536
	ds_write_b64 v4, v[14:15] offset:3072
	;; [unrolled: 1-line block ×3, first 2 shown]
	s_waitcnt lgkmcnt(0)
	s_barrier
.LBB2901_6:
	s_andn2_b64 vcc, exec, s[2:3]
	v_cmp_gt_u32_e64 s[2:3], s14, v0
	s_cbranch_vccnz .LBB2901_16
; %bb.7:
                                        ; implicit-def: $vgpr2_vgpr3_vgpr4_vgpr5_vgpr6_vgpr7_vgpr8_vgpr9
	s_and_saveexec_b64 s[12:13], s[2:3]
	s_cbranch_execz .LBB2901_9
; %bb.8:
	v_mov_b32_e32 v3, s16
	v_add_co_u32_e32 v2, vcc, s15, v12
	v_addc_co_u32_e32 v3, vcc, 0, v3, vcc
	flat_load_dwordx2 v[2:3], v[2:3]
.LBB2901_9:
	s_or_b64 exec, exec, s[12:13]
	v_add_u32_e32 v13, 0xc0, v0
	v_cmp_gt_u32_e32 vcc, s14, v13
	s_and_saveexec_b64 s[2:3], vcc
	s_cbranch_execz .LBB2901_11
; %bb.10:
	v_mov_b32_e32 v5, s16
	v_add_co_u32_e32 v4, vcc, s15, v12
	v_addc_co_u32_e32 v5, vcc, 0, v5, vcc
	flat_load_dwordx2 v[4:5], v[4:5] offset:1536
.LBB2901_11:
	s_or_b64 exec, exec, s[2:3]
	v_add_u32_e32 v14, 0x180, v0
	v_cmp_gt_u32_e32 vcc, s14, v14
	s_and_saveexec_b64 s[2:3], vcc
	s_cbranch_execz .LBB2901_13
; %bb.12:
	v_mov_b32_e32 v7, s16
	v_add_co_u32_e32 v6, vcc, s15, v12
	v_addc_co_u32_e32 v7, vcc, 0, v7, vcc
	flat_load_dwordx2 v[6:7], v[6:7] offset:3072
.LBB2901_13:
	s_or_b64 exec, exec, s[2:3]
	v_add_u32_e32 v15, 0x240, v0
	v_cmp_gt_u32_e32 vcc, s14, v15
	s_and_saveexec_b64 s[2:3], vcc
	s_cbranch_execz .LBB2901_15
; %bb.14:
	v_lshlrev_b32_e32 v8, 3, v15
	v_mov_b32_e32 v9, s16
	v_add_co_u32_e32 v8, vcc, s15, v8
	v_addc_co_u32_e32 v9, vcc, 0, v9, vcc
	flat_load_dwordx2 v[8:9], v[8:9]
.LBB2901_15:
	s_or_b64 exec, exec, s[2:3]
	v_and_b32_e32 v1, 56, v1
	v_add_u32_e32 v1, v1, v12
	s_waitcnt vmcnt(0) lgkmcnt(0)
	ds_write_b64 v1, v[2:3]
	v_lshrrev_b32_e32 v1, 2, v13
	v_and_b32_e32 v1, 0x78, v1
	v_add_u32_e32 v1, v1, v12
	ds_write_b64 v1, v[4:5] offset:1536
	v_lshrrev_b32_e32 v1, 2, v14
	v_and_b32_e32 v1, 0xf8, v1
	v_add_u32_e32 v1, v1, v12
	ds_write_b64 v1, v[6:7] offset:3072
	v_lshrrev_b32_e32 v1, 2, v15
	v_and_b32_e32 v1, 0xf8, v1
	v_add_u32_e32 v1, v1, v12
	ds_write_b64 v1, v[8:9] offset:4608
	s_waitcnt lgkmcnt(0)
	s_barrier
.LBB2901_16:
	v_lshlrev_b32_e32 v1, 2, v0
	v_lshrrev_b32_e32 v13, 3, v0
	v_add_lshl_u32 v2, v13, v1, 3
	ds_read2_b64 v[6:9], v2 offset1:1
	ds_read2_b64 v[2:5], v2 offset0:2 offset1:3
	s_add_u32 s2, s6, s4
	s_addc_u32 s3, s7, s5
	s_add_u32 s2, s2, s10
	s_addc_u32 s3, s3, s11
	s_mov_b64 s[4:5], -1
	s_and_b64 vcc, exec, s[8:9]
	v_lshrrev_b32_e32 v14, 5, v0
	s_waitcnt lgkmcnt(0)
	s_barrier
	s_cbranch_vccz .LBB2901_18
; %bb.17:
	global_load_dwordx2 v[16:17], v12, s[2:3]
	global_load_dwordx2 v[18:19], v12, s[2:3] offset:1536
	global_load_dwordx2 v[20:21], v12, s[2:3] offset:3072
	v_mov_b32_e32 v15, s3
	s_waitcnt vmcnt(2)
	v_add_co_u32_e32 v17, vcc, s2, v12
	v_addc_co_u32_e32 v15, vcc, 0, v15, vcc
	v_add_co_u32_e32 v22, vcc, 0x1000, v17
	v_addc_co_u32_e32 v23, vcc, 0, v15, vcc
	global_load_dwordx2 v[22:23], v[22:23], off offset:512
	v_add_u32_e32 v17, 0xc0, v0
	s_waitcnt vmcnt(2)
	v_add_u32_e32 v19, 0x180, v0
	v_and_b32_e32 v15, 4, v14
	s_waitcnt vmcnt(1)
	v_add_u32_e32 v21, 0x240, v0
	v_lshrrev_b32_e32 v17, 5, v17
	v_lshrrev_b32_e32 v19, 5, v19
	v_add_u32_e32 v15, v15, v0
	v_lshrrev_b32_e32 v21, 5, v21
	v_and_b32_e32 v17, 12, v17
	v_and_b32_e32 v19, 28, v19
	;; [unrolled: 1-line block ×3, first 2 shown]
	v_add_u32_e32 v17, v17, v0
	v_add_u32_e32 v19, v19, v0
	v_add_u32_e32 v21, v21, v0
	s_mov_b64 s[4:5], 0
	v_xor_b32_e32 v16, -1, v16
	v_xor_b32_e32 v18, -1, v18
	v_xor_b32_e32 v20, -1, v20
	v_and_b32_e32 v16, 1, v16
	v_and_b32_e32 v18, 1, v18
	;; [unrolled: 1-line block ×3, first 2 shown]
	ds_write_b8 v15, v16
	ds_write_b8 v17, v18 offset:192
	ds_write_b8 v19, v20 offset:384
	s_waitcnt vmcnt(0)
	v_xor_b32_e32 v15, -1, v22
	v_and_b32_e32 v15, 1, v15
	ds_write_b8 v21, v15 offset:576
	s_waitcnt lgkmcnt(0)
	s_barrier
.LBB2901_18:
	s_andn2_b64 vcc, exec, s[4:5]
	s_cbranch_vccnz .LBB2901_28
; %bb.19:
	v_cmp_gt_u32_e32 vcc, s14, v0
	v_mov_b32_e32 v15, 0
	v_mov_b32_e32 v16, 0
	s_and_saveexec_b64 s[4:5], vcc
	s_cbranch_execz .LBB2901_21
; %bb.20:
	global_load_dwordx2 v[16:17], v12, s[2:3]
	s_waitcnt vmcnt(0)
	v_xor_b32_e32 v16, -1, v16
	v_and_b32_e32 v16, 1, v16
.LBB2901_21:
	s_or_b64 exec, exec, s[4:5]
	v_add_u32_e32 v17, 0xc0, v0
	v_cmp_gt_u32_e32 vcc, s14, v17
	s_and_saveexec_b64 s[4:5], vcc
	s_cbranch_execz .LBB2901_23
; %bb.22:
	global_load_dwordx2 v[18:19], v12, s[2:3] offset:1536
	s_waitcnt vmcnt(0)
	v_xor_b32_e32 v15, -1, v18
	v_and_b32_e32 v15, 1, v15
.LBB2901_23:
	s_or_b64 exec, exec, s[4:5]
	v_add_u32_e32 v19, 0x180, v0
	v_cmp_gt_u32_e32 vcc, s14, v19
	v_mov_b32_e32 v18, 0
	v_mov_b32_e32 v20, 0
	s_and_saveexec_b64 s[4:5], vcc
	s_cbranch_execz .LBB2901_25
; %bb.24:
	global_load_dwordx2 v[20:21], v12, s[2:3] offset:3072
	s_waitcnt vmcnt(0)
	v_xor_b32_e32 v12, -1, v20
	v_and_b32_e32 v20, 1, v12
.LBB2901_25:
	s_or_b64 exec, exec, s[4:5]
	v_add_u32_e32 v12, 0x240, v0
	v_cmp_gt_u32_e32 vcc, s14, v12
	s_and_saveexec_b64 s[4:5], vcc
	s_cbranch_execz .LBB2901_27
; %bb.26:
	v_lshlrev_b32_e32 v18, 3, v12
	global_load_dwordx2 v[22:23], v18, s[2:3]
	s_waitcnt vmcnt(0)
	v_xor_b32_e32 v18, -1, v22
	v_and_b32_e32 v18, 1, v18
.LBB2901_27:
	s_or_b64 exec, exec, s[4:5]
	v_and_b32_e32 v14, 4, v14
	v_add_u32_e32 v14, v14, v0
	ds_write_b8 v14, v16
	v_lshrrev_b32_e32 v14, 5, v17
	v_and_b32_e32 v14, 12, v14
	v_add_u32_e32 v14, v14, v0
	ds_write_b8 v14, v15 offset:192
	v_lshrrev_b32_e32 v14, 5, v19
	v_lshrrev_b32_e32 v12, 5, v12
	v_and_b32_e32 v14, 28, v14
	v_and_b32_e32 v12, 28, v12
	v_add_u32_e32 v14, v14, v0
	v_add_u32_e32 v12, v12, v0
	ds_write_b8 v14, v20 offset:384
	ds_write_b8 v12, v18 offset:576
	s_waitcnt lgkmcnt(0)
	s_barrier
.LBB2901_28:
	v_and_b32_e32 v12, 28, v13
	v_add_u32_e32 v12, v12, v1
	ds_read_b32 v23, v12
	s_cmp_lg_u32 s30, 0
	v_lshrrev_b32_e32 v26, 6, v0
	s_waitcnt lgkmcnt(0)
	s_barrier
	v_lshrrev_b32_e32 v22, 24, v23
	v_bfe_u32 v24, v23, 16, 8
	v_add_u32_sdwa v12, v23, v23 dst_sel:DWORD dst_unused:UNUSED_PAD src0_sel:BYTE_1 src1_sel:BYTE_0
	v_add3_u32 v27, v12, v24, v22
	v_mbcnt_lo_u32_b32 v12, -1, 0
	v_mbcnt_hi_u32_b32 v25, -1, v12
	v_and_b32_e32 v12, 15, v25
	v_cmp_eq_u32_e64 s[14:15], 0, v12
	v_cmp_lt_u32_e64 s[12:13], 1, v12
	v_cmp_lt_u32_e64 s[10:11], 3, v12
	;; [unrolled: 1-line block ×3, first 2 shown]
	v_and_b32_e32 v12, 16, v25
	v_cmp_eq_u32_e64 s[4:5], 0, v12
	v_and_b32_e32 v12, 0xc0, v0
	v_min_u32_e32 v12, 0x80, v12
	v_or_b32_e32 v12, 63, v12
	v_cmp_lt_u32_e64 s[2:3], 31, v25
	v_cmp_eq_u32_e64 s[6:7], v12, v0
	s_cbranch_scc0 .LBB2901_55
; %bb.29:
	v_mov_b32_dpp v12, v27 row_shr:1 row_mask:0xf bank_mask:0xf
	v_cndmask_b32_e64 v12, v12, 0, s[14:15]
	v_add_u32_e32 v12, v12, v27
	s_nop 1
	v_mov_b32_dpp v13, v12 row_shr:2 row_mask:0xf bank_mask:0xf
	v_cndmask_b32_e64 v13, 0, v13, s[12:13]
	v_add_u32_e32 v12, v12, v13
	s_nop 1
	;; [unrolled: 4-line block ×4, first 2 shown]
	v_mov_b32_dpp v13, v12 row_bcast:15 row_mask:0xf bank_mask:0xf
	v_cndmask_b32_e64 v13, v13, 0, s[4:5]
	v_add_u32_e32 v12, v12, v13
	s_nop 1
	v_mov_b32_dpp v13, v12 row_bcast:31 row_mask:0xf bank_mask:0xf
	v_cndmask_b32_e64 v13, 0, v13, s[2:3]
	v_add_u32_e32 v12, v12, v13
	s_and_saveexec_b64 s[16:17], s[6:7]
	s_cbranch_execz .LBB2901_31
; %bb.30:
	v_lshlrev_b32_e32 v13, 2, v26
	ds_write_b32 v13, v12
.LBB2901_31:
	s_or_b64 exec, exec, s[16:17]
	v_cmp_gt_u32_e32 vcc, 3, v0
	s_waitcnt lgkmcnt(0)
	s_barrier
	s_and_saveexec_b64 s[16:17], vcc
	s_cbranch_execz .LBB2901_33
; %bb.32:
	ds_read_b32 v13, v1
	v_and_b32_e32 v14, 3, v25
	v_cmp_ne_u32_e32 vcc, 0, v14
	s_waitcnt lgkmcnt(0)
	v_mov_b32_dpp v15, v13 row_shr:1 row_mask:0xf bank_mask:0xf
	v_cndmask_b32_e32 v15, 0, v15, vcc
	v_add_u32_e32 v13, v15, v13
	v_cmp_lt_u32_e32 vcc, 1, v14
	s_nop 0
	v_mov_b32_dpp v15, v13 row_shr:2 row_mask:0xf bank_mask:0xf
	v_cndmask_b32_e32 v14, 0, v15, vcc
	v_add_u32_e32 v13, v13, v14
	ds_write_b32 v1, v13
.LBB2901_33:
	s_or_b64 exec, exec, s[16:17]
	v_cmp_gt_u32_e32 vcc, 64, v0
	v_cmp_lt_u32_e64 s[16:17], 63, v0
	s_waitcnt lgkmcnt(0)
	s_barrier
	s_waitcnt lgkmcnt(0)
                                        ; implicit-def: $vgpr28
	s_and_saveexec_b64 s[24:25], s[16:17]
	s_cbranch_execz .LBB2901_35
; %bb.34:
	v_lshl_add_u32 v13, v26, 2, -4
	ds_read_b32 v28, v13
	s_waitcnt lgkmcnt(0)
	v_add_u32_e32 v12, v28, v12
.LBB2901_35:
	s_or_b64 exec, exec, s[24:25]
	v_add_u32_e32 v13, -1, v25
	v_and_b32_e32 v14, 64, v25
	v_cmp_lt_i32_e64 s[16:17], v13, v14
	v_cndmask_b32_e64 v13, v13, v25, s[16:17]
	v_lshlrev_b32_e32 v13, 2, v13
	ds_bpermute_b32 v29, v13, v12
	v_cmp_eq_u32_e64 s[16:17], 0, v25
	s_and_saveexec_b64 s[24:25], vcc
	s_cbranch_execz .LBB2901_54
; %bb.36:
	v_mov_b32_e32 v19, 0
	ds_read_b32 v12, v19 offset:8
	s_and_saveexec_b64 s[26:27], s[16:17]
	s_cbranch_execz .LBB2901_38
; %bb.37:
	s_add_i32 s28, s30, 64
	s_mov_b32 s29, 0
	s_lshl_b64 s[28:29], s[28:29], 3
	s_add_u32 s28, s18, s28
	v_mov_b32_e32 v13, 1
	s_addc_u32 s29, s19, s29
	s_waitcnt lgkmcnt(0)
	global_store_dwordx2 v19, v[12:13], s[28:29]
.LBB2901_38:
	s_or_b64 exec, exec, s[26:27]
	v_xad_u32 v14, v25, -1, s30
	v_add_u32_e32 v18, 64, v14
	v_lshlrev_b64 v[16:17], 3, v[18:19]
	v_mov_b32_e32 v13, s19
	v_add_co_u32_e32 v20, vcc, s18, v16
	v_addc_co_u32_e32 v21, vcc, v13, v17, vcc
	global_load_dwordx2 v[16:17], v[20:21], off glc
	s_waitcnt vmcnt(0)
	v_cmp_eq_u16_sdwa s[28:29], v17, v19 src0_sel:BYTE_0 src1_sel:DWORD
	s_and_saveexec_b64 s[26:27], s[28:29]
	s_cbranch_execz .LBB2901_42
; %bb.39:
	s_mov_b64 s[28:29], 0
	v_mov_b32_e32 v13, 0
.LBB2901_40:                            ; =>This Inner Loop Header: Depth=1
	global_load_dwordx2 v[16:17], v[20:21], off glc
	s_waitcnt vmcnt(0)
	v_cmp_ne_u16_sdwa s[34:35], v17, v13 src0_sel:BYTE_0 src1_sel:DWORD
	s_or_b64 s[28:29], s[34:35], s[28:29]
	s_andn2_b64 exec, exec, s[28:29]
	s_cbranch_execnz .LBB2901_40
; %bb.41:
	s_or_b64 exec, exec, s[28:29]
.LBB2901_42:
	s_or_b64 exec, exec, s[26:27]
	v_and_b32_e32 v31, 63, v25
	v_mov_b32_e32 v30, 2
	v_cmp_ne_u32_e32 vcc, 63, v31
	v_cmp_eq_u16_sdwa s[26:27], v17, v30 src0_sel:BYTE_0 src1_sel:DWORD
	v_lshlrev_b64 v[18:19], v25, -1
	v_addc_co_u32_e32 v20, vcc, 0, v25, vcc
	v_and_b32_e32 v13, s27, v19
	v_lshlrev_b32_e32 v32, 2, v20
	v_or_b32_e32 v13, 0x80000000, v13
	ds_bpermute_b32 v20, v32, v16
	v_and_b32_e32 v15, s26, v18
	v_ffbl_b32_e32 v13, v13
	v_add_u32_e32 v13, 32, v13
	v_ffbl_b32_e32 v15, v15
	v_min_u32_e32 v13, v15, v13
	v_cmp_lt_u32_e32 vcc, v31, v13
	s_waitcnt lgkmcnt(0)
	v_cndmask_b32_e32 v15, 0, v20, vcc
	v_cmp_gt_u32_e32 vcc, 62, v31
	v_add_u32_e32 v15, v15, v16
	v_cndmask_b32_e64 v16, 0, 1, vcc
	v_lshlrev_b32_e32 v16, 1, v16
	v_add_lshl_u32 v33, v16, v25, 2
	ds_bpermute_b32 v16, v33, v15
	v_add_u32_e32 v34, 2, v31
	v_cmp_le_u32_e32 vcc, v34, v13
	v_add_u32_e32 v36, 4, v31
	v_add_u32_e32 v38, 8, v31
	s_waitcnt lgkmcnt(0)
	v_cndmask_b32_e32 v16, 0, v16, vcc
	v_cmp_gt_u32_e32 vcc, 60, v31
	v_add_u32_e32 v15, v15, v16
	v_cndmask_b32_e64 v16, 0, 1, vcc
	v_lshlrev_b32_e32 v16, 2, v16
	v_add_lshl_u32 v35, v16, v25, 2
	ds_bpermute_b32 v16, v35, v15
	v_cmp_le_u32_e32 vcc, v36, v13
	v_add_u32_e32 v40, 16, v31
	v_add_u32_e32 v42, 32, v31
	s_waitcnt lgkmcnt(0)
	v_cndmask_b32_e32 v16, 0, v16, vcc
	v_cmp_gt_u32_e32 vcc, 56, v31
	v_add_u32_e32 v15, v15, v16
	v_cndmask_b32_e64 v16, 0, 1, vcc
	v_lshlrev_b32_e32 v16, 3, v16
	v_add_lshl_u32 v37, v16, v25, 2
	ds_bpermute_b32 v16, v37, v15
	v_cmp_le_u32_e32 vcc, v38, v13
	s_waitcnt lgkmcnt(0)
	v_cndmask_b32_e32 v16, 0, v16, vcc
	v_cmp_gt_u32_e32 vcc, 48, v31
	v_add_u32_e32 v15, v15, v16
	v_cndmask_b32_e64 v16, 0, 1, vcc
	v_lshlrev_b32_e32 v16, 4, v16
	v_add_lshl_u32 v39, v16, v25, 2
	ds_bpermute_b32 v16, v39, v15
	v_cmp_le_u32_e32 vcc, v40, v13
	s_waitcnt lgkmcnt(0)
	v_cndmask_b32_e32 v16, 0, v16, vcc
	v_cmp_gt_u32_e32 vcc, 32, v31
	v_add_u32_e32 v15, v15, v16
	v_cndmask_b32_e64 v16, 0, 1, vcc
	v_lshlrev_b32_e32 v16, 5, v16
	v_add_lshl_u32 v41, v16, v25, 2
	ds_bpermute_b32 v16, v41, v15
	v_cmp_le_u32_e32 vcc, v42, v13
	s_waitcnt lgkmcnt(0)
	v_cndmask_b32_e32 v13, 0, v16, vcc
	v_add_u32_e32 v16, v15, v13
	v_mov_b32_e32 v15, 0
	s_branch .LBB2901_44
.LBB2901_43:                            ;   in Loop: Header=BB2901_44 Depth=1
	s_or_b64 exec, exec, s[26:27]
	v_cmp_eq_u16_sdwa s[26:27], v17, v30 src0_sel:BYTE_0 src1_sel:DWORD
	v_and_b32_e32 v20, s27, v19
	v_or_b32_e32 v20, 0x80000000, v20
	ds_bpermute_b32 v43, v32, v16
	v_and_b32_e32 v21, s26, v18
	v_ffbl_b32_e32 v20, v20
	v_add_u32_e32 v20, 32, v20
	v_ffbl_b32_e32 v21, v21
	v_min_u32_e32 v20, v21, v20
	v_cmp_lt_u32_e32 vcc, v31, v20
	s_waitcnt lgkmcnt(0)
	v_cndmask_b32_e32 v21, 0, v43, vcc
	v_add_u32_e32 v16, v21, v16
	ds_bpermute_b32 v21, v33, v16
	v_cmp_le_u32_e32 vcc, v34, v20
	v_subrev_u32_e32 v14, 64, v14
	s_waitcnt lgkmcnt(0)
	v_cndmask_b32_e32 v21, 0, v21, vcc
	v_add_u32_e32 v16, v16, v21
	ds_bpermute_b32 v21, v35, v16
	v_cmp_le_u32_e32 vcc, v36, v20
	s_waitcnt lgkmcnt(0)
	v_cndmask_b32_e32 v21, 0, v21, vcc
	v_add_u32_e32 v16, v16, v21
	ds_bpermute_b32 v21, v37, v16
	v_cmp_le_u32_e32 vcc, v38, v20
	s_waitcnt lgkmcnt(0)
	v_cndmask_b32_e32 v21, 0, v21, vcc
	v_add_u32_e32 v16, v16, v21
	ds_bpermute_b32 v21, v39, v16
	v_cmp_le_u32_e32 vcc, v40, v20
	s_waitcnt lgkmcnt(0)
	v_cndmask_b32_e32 v21, 0, v21, vcc
	v_add_u32_e32 v16, v16, v21
	ds_bpermute_b32 v21, v41, v16
	v_cmp_le_u32_e32 vcc, v42, v20
	s_waitcnt lgkmcnt(0)
	v_cndmask_b32_e32 v20, 0, v21, vcc
	v_add3_u32 v16, v20, v13, v16
.LBB2901_44:                            ; =>This Loop Header: Depth=1
                                        ;     Child Loop BB2901_47 Depth 2
	v_cmp_ne_u16_sdwa s[26:27], v17, v30 src0_sel:BYTE_0 src1_sel:DWORD
	v_cndmask_b32_e64 v13, 0, 1, s[26:27]
	;;#ASMSTART
	;;#ASMEND
	v_cmp_ne_u32_e32 vcc, 0, v13
	s_cmp_lg_u64 vcc, exec
	v_mov_b32_e32 v13, v16
	s_cbranch_scc1 .LBB2901_49
; %bb.45:                               ;   in Loop: Header=BB2901_44 Depth=1
	v_lshlrev_b64 v[16:17], 3, v[14:15]
	v_mov_b32_e32 v21, s19
	v_add_co_u32_e32 v20, vcc, s18, v16
	v_addc_co_u32_e32 v21, vcc, v21, v17, vcc
	global_load_dwordx2 v[16:17], v[20:21], off glc
	s_waitcnt vmcnt(0)
	v_cmp_eq_u16_sdwa s[28:29], v17, v15 src0_sel:BYTE_0 src1_sel:DWORD
	s_and_saveexec_b64 s[26:27], s[28:29]
	s_cbranch_execz .LBB2901_43
; %bb.46:                               ;   in Loop: Header=BB2901_44 Depth=1
	s_mov_b64 s[28:29], 0
.LBB2901_47:                            ;   Parent Loop BB2901_44 Depth=1
                                        ; =>  This Inner Loop Header: Depth=2
	global_load_dwordx2 v[16:17], v[20:21], off glc
	s_waitcnt vmcnt(0)
	v_cmp_ne_u16_sdwa s[34:35], v17, v15 src0_sel:BYTE_0 src1_sel:DWORD
	s_or_b64 s[28:29], s[34:35], s[28:29]
	s_andn2_b64 exec, exec, s[28:29]
	s_cbranch_execnz .LBB2901_47
; %bb.48:                               ;   in Loop: Header=BB2901_44 Depth=1
	s_or_b64 exec, exec, s[28:29]
	s_branch .LBB2901_43
.LBB2901_49:                            ;   in Loop: Header=BB2901_44 Depth=1
                                        ; implicit-def: $vgpr16
                                        ; implicit-def: $vgpr17
	s_cbranch_execz .LBB2901_44
; %bb.50:
	s_and_saveexec_b64 s[26:27], s[16:17]
	s_cbranch_execz .LBB2901_52
; %bb.51:
	s_add_i32 s28, s30, 64
	s_mov_b32 s29, 0
	s_lshl_b64 s[28:29], s[28:29], 3
	s_add_u32 s28, s18, s28
	v_add_u32_e32 v14, v13, v12
	v_mov_b32_e32 v15, 2
	s_addc_u32 s29, s19, s29
	v_mov_b32_e32 v16, 0
	global_store_dwordx2 v16, v[14:15], s[28:29]
	ds_write_b64 v16, v[12:13] offset:6336
.LBB2901_52:
	s_or_b64 exec, exec, s[26:27]
	s_and_b64 exec, exec, s[0:1]
	s_cbranch_execz .LBB2901_54
; %bb.53:
	v_mov_b32_e32 v12, 0
	ds_write_b32 v12, v13 offset:8
.LBB2901_54:
	s_or_b64 exec, exec, s[24:25]
	v_mov_b32_e32 v12, 0
	s_waitcnt lgkmcnt(0)
	s_barrier
	ds_read_b32 v13, v12 offset:8
	v_cndmask_b32_e64 v14, v29, v28, s[16:17]
	v_cndmask_b32_e64 v14, v14, 0, s[0:1]
	s_waitcnt lgkmcnt(0)
	s_barrier
	v_add_u32_e32 v16, v13, v14
	ds_read_b64 v[12:13], v12 offset:6336
	v_add_u32_sdwa v17, v16, v23 dst_sel:DWORD dst_unused:UNUSED_PAD src0_sel:DWORD src1_sel:BYTE_0
	v_add_u32_sdwa v15, v17, v23 dst_sel:DWORD dst_unused:UNUSED_PAD src0_sel:DWORD src1_sel:BYTE_1
	v_add_u32_e32 v14, v15, v24
	s_branch .LBB2901_65
.LBB2901_55:
                                        ; implicit-def: $vgpr13
                                        ; implicit-def: $vgpr14
                                        ; implicit-def: $vgpr15
                                        ; implicit-def: $vgpr17
                                        ; implicit-def: $vgpr16
	s_cbranch_execz .LBB2901_65
; %bb.56:
	s_waitcnt lgkmcnt(0)
	v_mov_b32_dpp v12, v27 row_shr:1 row_mask:0xf bank_mask:0xf
	v_cndmask_b32_e64 v12, v12, 0, s[14:15]
	v_add_u32_e32 v12, v12, v27
	s_nop 1
	v_mov_b32_dpp v13, v12 row_shr:2 row_mask:0xf bank_mask:0xf
	v_cndmask_b32_e64 v13, 0, v13, s[12:13]
	v_add_u32_e32 v12, v12, v13
	s_nop 1
	;; [unrolled: 4-line block ×4, first 2 shown]
	v_mov_b32_dpp v13, v12 row_bcast:15 row_mask:0xf bank_mask:0xf
	v_cndmask_b32_e64 v13, v13, 0, s[4:5]
	v_add_u32_e32 v12, v12, v13
	s_nop 1
	v_mov_b32_dpp v13, v12 row_bcast:31 row_mask:0xf bank_mask:0xf
	v_cndmask_b32_e64 v13, 0, v13, s[2:3]
	v_add_u32_e32 v12, v12, v13
	s_and_saveexec_b64 s[2:3], s[6:7]
	s_cbranch_execz .LBB2901_58
; %bb.57:
	v_lshlrev_b32_e32 v13, 2, v26
	ds_write_b32 v13, v12
.LBB2901_58:
	s_or_b64 exec, exec, s[2:3]
	v_cmp_gt_u32_e32 vcc, 3, v0
	s_waitcnt lgkmcnt(0)
	s_barrier
	s_and_saveexec_b64 s[2:3], vcc
	s_cbranch_execz .LBB2901_60
; %bb.59:
	ds_read_b32 v13, v1
	v_and_b32_e32 v14, 3, v25
	v_cmp_ne_u32_e32 vcc, 0, v14
	s_waitcnt lgkmcnt(0)
	v_mov_b32_dpp v15, v13 row_shr:1 row_mask:0xf bank_mask:0xf
	v_cndmask_b32_e32 v15, 0, v15, vcc
	v_add_u32_e32 v13, v15, v13
	v_cmp_lt_u32_e32 vcc, 1, v14
	s_nop 0
	v_mov_b32_dpp v15, v13 row_shr:2 row_mask:0xf bank_mask:0xf
	v_cndmask_b32_e32 v14, 0, v15, vcc
	v_add_u32_e32 v13, v13, v14
	ds_write_b32 v1, v13
.LBB2901_60:
	s_or_b64 exec, exec, s[2:3]
	v_cmp_lt_u32_e32 vcc, 63, v0
	v_mov_b32_e32 v13, 0
	v_mov_b32_e32 v0, 0
	s_waitcnt lgkmcnt(0)
	s_barrier
	s_and_saveexec_b64 s[2:3], vcc
	s_cbranch_execz .LBB2901_62
; %bb.61:
	v_lshl_add_u32 v0, v26, 2, -4
	ds_read_b32 v0, v0
.LBB2901_62:
	s_or_b64 exec, exec, s[2:3]
	v_add_u32_e32 v14, -1, v25
	v_and_b32_e32 v15, 64, v25
	v_cmp_lt_i32_e32 vcc, v14, v15
	v_cndmask_b32_e32 v14, v14, v25, vcc
	s_waitcnt lgkmcnt(0)
	v_add_u32_e32 v12, v0, v12
	v_lshlrev_b32_e32 v14, 2, v14
	ds_bpermute_b32 v14, v14, v12
	ds_read_b32 v12, v13 offset:8
	s_and_saveexec_b64 s[2:3], s[0:1]
	s_cbranch_execz .LBB2901_64
; %bb.63:
	v_mov_b32_e32 v15, 0
	v_mov_b32_e32 v13, 2
	s_waitcnt lgkmcnt(0)
	global_store_dwordx2 v15, v[12:13], s[18:19] offset:512
.LBB2901_64:
	s_or_b64 exec, exec, s[2:3]
	v_cmp_eq_u32_e32 vcc, 0, v25
	s_waitcnt lgkmcnt(1)
	v_cndmask_b32_e32 v0, v14, v0, vcc
	v_cndmask_b32_e64 v16, v0, 0, s[0:1]
	v_add_u32_sdwa v17, v16, v23 dst_sel:DWORD dst_unused:UNUSED_PAD src0_sel:DWORD src1_sel:BYTE_0
	v_add_u32_sdwa v15, v17, v23 dst_sel:DWORD dst_unused:UNUSED_PAD src0_sel:DWORD src1_sel:BYTE_1
	v_mov_b32_e32 v13, 0
	v_add_u32_e32 v14, v15, v24
	s_waitcnt lgkmcnt(0)
	s_barrier
.LBB2901_65:
	s_waitcnt lgkmcnt(0)
	v_add_u32_e32 v1, v12, v1
	v_sub_u32_e32 v16, v16, v13
	v_and_b32_e32 v19, 1, v23
	v_sub_u32_e32 v18, v1, v16
	v_cmp_eq_u32_e32 vcc, 1, v19
	v_cndmask_b32_e32 v16, v18, v16, vcc
	v_lshlrev_b32_e32 v16, 3, v16
	v_lshrrev_b32_e32 v0, 8, v23
	ds_write_b64 v16, v[6:7]
	v_sub_u32_e32 v6, v17, v13
	v_sub_u32_e32 v7, v1, v6
	v_and_b32_e32 v0, 1, v0
	v_add_u32_e32 v7, 1, v7
	v_cmp_eq_u32_e32 vcc, 1, v0
	v_cndmask_b32_e32 v0, v7, v6, vcc
	v_lshlrev_b32_e32 v0, 3, v0
	ds_write_b64 v0, v[8:9]
	v_sub_u32_e32 v0, v15, v13
	v_mov_b32_e32 v7, 1
	v_sub_u32_e32 v6, v1, v0
	v_and_b32_sdwa v7, v7, v23 dst_sel:DWORD dst_unused:UNUSED_PAD src0_sel:DWORD src1_sel:WORD_1
	v_add_u32_e32 v6, 2, v6
	v_cmp_eq_u32_e32 vcc, 1, v7
	v_cndmask_b32_e32 v0, v6, v0, vcc
	v_lshlrev_b32_e32 v0, 3, v0
	ds_write_b64 v0, v[2:3]
	v_sub_u32_e32 v0, v14, v13
	v_sub_u32_e32 v1, v1, v0
	v_and_b32_e32 v2, 1, v22
	v_add_u32_e32 v1, 3, v1
	v_cmp_eq_u32_e32 vcc, 1, v2
	v_cndmask_b32_e32 v0, v1, v0, vcc
	v_lshlrev_b32_e32 v0, 3, v0
	s_and_b64 s[0:1], s[0:1], s[22:23]
	ds_write_b64 v0, v[4:5]
	s_waitcnt lgkmcnt(0)
	s_barrier
	s_and_saveexec_b64 s[2:3], s[0:1]
	s_cbranch_execz .LBB2901_67
; %bb.66:
	s_waitcnt vmcnt(0)
	v_add_co_u32_e32 v0, vcc, v10, v12
	v_addc_co_u32_e32 v1, vcc, 0, v11, vcc
	v_add_co_u32_e32 v0, vcc, v0, v13
	v_mov_b32_e32 v2, 0
	v_addc_co_u32_e32 v1, vcc, 0, v1, vcc
	global_store_dwordx2 v2, v[0:1], s[20:21]
.LBB2901_67:
	s_endpgm
	.section	.rodata,"a",@progbits
	.p2align	6, 0x0
	.amdhsa_kernel _ZN7rocprim17ROCPRIM_400000_NS6detail17trampoline_kernelINS0_14default_configENS1_25partition_config_selectorILNS1_17partition_subalgoE1EyNS0_10empty_typeEbEEZZNS1_14partition_implILS5_1ELb0ES3_jN6thrust23THRUST_200600_302600_NS6detail15normal_iteratorINSA_10device_ptrIyEEEEPS6_NSA_18transform_iteratorI7is_evenIyESF_NSA_11use_defaultESK_EENS0_5tupleIJNSA_16discard_iteratorISK_EESO_EEENSM_IJSG_SG_EEES6_PlJS6_EEE10hipError_tPvRmT3_T4_T5_T6_T7_T9_mT8_P12ihipStream_tbDpT10_ENKUlT_T0_E_clISt17integral_constantIbLb0EES1A_IbLb1EEEEDaS16_S17_EUlS16_E_NS1_11comp_targetILNS1_3genE4ELNS1_11target_archE910ELNS1_3gpuE8ELNS1_3repE0EEENS1_30default_config_static_selectorELNS0_4arch9wavefront6targetE1EEEvT1_
		.amdhsa_group_segment_fixed_size 6344
		.amdhsa_private_segment_fixed_size 0
		.amdhsa_kernarg_size 160
		.amdhsa_user_sgpr_count 6
		.amdhsa_user_sgpr_private_segment_buffer 1
		.amdhsa_user_sgpr_dispatch_ptr 0
		.amdhsa_user_sgpr_queue_ptr 0
		.amdhsa_user_sgpr_kernarg_segment_ptr 1
		.amdhsa_user_sgpr_dispatch_id 0
		.amdhsa_user_sgpr_flat_scratch_init 0
		.amdhsa_user_sgpr_kernarg_preload_length 0
		.amdhsa_user_sgpr_kernarg_preload_offset 0
		.amdhsa_user_sgpr_private_segment_size 0
		.amdhsa_uses_dynamic_stack 0
		.amdhsa_system_sgpr_private_segment_wavefront_offset 0
		.amdhsa_system_sgpr_workgroup_id_x 1
		.amdhsa_system_sgpr_workgroup_id_y 0
		.amdhsa_system_sgpr_workgroup_id_z 0
		.amdhsa_system_sgpr_workgroup_info 0
		.amdhsa_system_vgpr_workitem_id 0
		.amdhsa_next_free_vgpr 44
		.amdhsa_next_free_sgpr 36
		.amdhsa_accum_offset 44
		.amdhsa_reserve_vcc 1
		.amdhsa_reserve_flat_scratch 0
		.amdhsa_float_round_mode_32 0
		.amdhsa_float_round_mode_16_64 0
		.amdhsa_float_denorm_mode_32 3
		.amdhsa_float_denorm_mode_16_64 3
		.amdhsa_dx10_clamp 1
		.amdhsa_ieee_mode 1
		.amdhsa_fp16_overflow 0
		.amdhsa_tg_split 0
		.amdhsa_exception_fp_ieee_invalid_op 0
		.amdhsa_exception_fp_denorm_src 0
		.amdhsa_exception_fp_ieee_div_zero 0
		.amdhsa_exception_fp_ieee_overflow 0
		.amdhsa_exception_fp_ieee_underflow 0
		.amdhsa_exception_fp_ieee_inexact 0
		.amdhsa_exception_int_div_zero 0
	.end_amdhsa_kernel
	.section	.text._ZN7rocprim17ROCPRIM_400000_NS6detail17trampoline_kernelINS0_14default_configENS1_25partition_config_selectorILNS1_17partition_subalgoE1EyNS0_10empty_typeEbEEZZNS1_14partition_implILS5_1ELb0ES3_jN6thrust23THRUST_200600_302600_NS6detail15normal_iteratorINSA_10device_ptrIyEEEEPS6_NSA_18transform_iteratorI7is_evenIyESF_NSA_11use_defaultESK_EENS0_5tupleIJNSA_16discard_iteratorISK_EESO_EEENSM_IJSG_SG_EEES6_PlJS6_EEE10hipError_tPvRmT3_T4_T5_T6_T7_T9_mT8_P12ihipStream_tbDpT10_ENKUlT_T0_E_clISt17integral_constantIbLb0EES1A_IbLb1EEEEDaS16_S17_EUlS16_E_NS1_11comp_targetILNS1_3genE4ELNS1_11target_archE910ELNS1_3gpuE8ELNS1_3repE0EEENS1_30default_config_static_selectorELNS0_4arch9wavefront6targetE1EEEvT1_,"axG",@progbits,_ZN7rocprim17ROCPRIM_400000_NS6detail17trampoline_kernelINS0_14default_configENS1_25partition_config_selectorILNS1_17partition_subalgoE1EyNS0_10empty_typeEbEEZZNS1_14partition_implILS5_1ELb0ES3_jN6thrust23THRUST_200600_302600_NS6detail15normal_iteratorINSA_10device_ptrIyEEEEPS6_NSA_18transform_iteratorI7is_evenIyESF_NSA_11use_defaultESK_EENS0_5tupleIJNSA_16discard_iteratorISK_EESO_EEENSM_IJSG_SG_EEES6_PlJS6_EEE10hipError_tPvRmT3_T4_T5_T6_T7_T9_mT8_P12ihipStream_tbDpT10_ENKUlT_T0_E_clISt17integral_constantIbLb0EES1A_IbLb1EEEEDaS16_S17_EUlS16_E_NS1_11comp_targetILNS1_3genE4ELNS1_11target_archE910ELNS1_3gpuE8ELNS1_3repE0EEENS1_30default_config_static_selectorELNS0_4arch9wavefront6targetE1EEEvT1_,comdat
.Lfunc_end2901:
	.size	_ZN7rocprim17ROCPRIM_400000_NS6detail17trampoline_kernelINS0_14default_configENS1_25partition_config_selectorILNS1_17partition_subalgoE1EyNS0_10empty_typeEbEEZZNS1_14partition_implILS5_1ELb0ES3_jN6thrust23THRUST_200600_302600_NS6detail15normal_iteratorINSA_10device_ptrIyEEEEPS6_NSA_18transform_iteratorI7is_evenIyESF_NSA_11use_defaultESK_EENS0_5tupleIJNSA_16discard_iteratorISK_EESO_EEENSM_IJSG_SG_EEES6_PlJS6_EEE10hipError_tPvRmT3_T4_T5_T6_T7_T9_mT8_P12ihipStream_tbDpT10_ENKUlT_T0_E_clISt17integral_constantIbLb0EES1A_IbLb1EEEEDaS16_S17_EUlS16_E_NS1_11comp_targetILNS1_3genE4ELNS1_11target_archE910ELNS1_3gpuE8ELNS1_3repE0EEENS1_30default_config_static_selectorELNS0_4arch9wavefront6targetE1EEEvT1_, .Lfunc_end2901-_ZN7rocprim17ROCPRIM_400000_NS6detail17trampoline_kernelINS0_14default_configENS1_25partition_config_selectorILNS1_17partition_subalgoE1EyNS0_10empty_typeEbEEZZNS1_14partition_implILS5_1ELb0ES3_jN6thrust23THRUST_200600_302600_NS6detail15normal_iteratorINSA_10device_ptrIyEEEEPS6_NSA_18transform_iteratorI7is_evenIyESF_NSA_11use_defaultESK_EENS0_5tupleIJNSA_16discard_iteratorISK_EESO_EEENSM_IJSG_SG_EEES6_PlJS6_EEE10hipError_tPvRmT3_T4_T5_T6_T7_T9_mT8_P12ihipStream_tbDpT10_ENKUlT_T0_E_clISt17integral_constantIbLb0EES1A_IbLb1EEEEDaS16_S17_EUlS16_E_NS1_11comp_targetILNS1_3genE4ELNS1_11target_archE910ELNS1_3gpuE8ELNS1_3repE0EEENS1_30default_config_static_selectorELNS0_4arch9wavefront6targetE1EEEvT1_
                                        ; -- End function
	.section	.AMDGPU.csdata,"",@progbits
; Kernel info:
; codeLenInByte = 3560
; NumSgprs: 40
; NumVgprs: 44
; NumAgprs: 0
; TotalNumVgprs: 44
; ScratchSize: 0
; MemoryBound: 0
; FloatMode: 240
; IeeeMode: 1
; LDSByteSize: 6344 bytes/workgroup (compile time only)
; SGPRBlocks: 4
; VGPRBlocks: 5
; NumSGPRsForWavesPerEU: 40
; NumVGPRsForWavesPerEU: 44
; AccumOffset: 44
; Occupancy: 8
; WaveLimiterHint : 1
; COMPUTE_PGM_RSRC2:SCRATCH_EN: 0
; COMPUTE_PGM_RSRC2:USER_SGPR: 6
; COMPUTE_PGM_RSRC2:TRAP_HANDLER: 0
; COMPUTE_PGM_RSRC2:TGID_X_EN: 1
; COMPUTE_PGM_RSRC2:TGID_Y_EN: 0
; COMPUTE_PGM_RSRC2:TGID_Z_EN: 0
; COMPUTE_PGM_RSRC2:TIDIG_COMP_CNT: 0
; COMPUTE_PGM_RSRC3_GFX90A:ACCUM_OFFSET: 10
; COMPUTE_PGM_RSRC3_GFX90A:TG_SPLIT: 0
	.section	.text._ZN7rocprim17ROCPRIM_400000_NS6detail17trampoline_kernelINS0_14default_configENS1_25partition_config_selectorILNS1_17partition_subalgoE1EyNS0_10empty_typeEbEEZZNS1_14partition_implILS5_1ELb0ES3_jN6thrust23THRUST_200600_302600_NS6detail15normal_iteratorINSA_10device_ptrIyEEEEPS6_NSA_18transform_iteratorI7is_evenIyESF_NSA_11use_defaultESK_EENS0_5tupleIJNSA_16discard_iteratorISK_EESO_EEENSM_IJSG_SG_EEES6_PlJS6_EEE10hipError_tPvRmT3_T4_T5_T6_T7_T9_mT8_P12ihipStream_tbDpT10_ENKUlT_T0_E_clISt17integral_constantIbLb0EES1A_IbLb1EEEEDaS16_S17_EUlS16_E_NS1_11comp_targetILNS1_3genE3ELNS1_11target_archE908ELNS1_3gpuE7ELNS1_3repE0EEENS1_30default_config_static_selectorELNS0_4arch9wavefront6targetE1EEEvT1_,"axG",@progbits,_ZN7rocprim17ROCPRIM_400000_NS6detail17trampoline_kernelINS0_14default_configENS1_25partition_config_selectorILNS1_17partition_subalgoE1EyNS0_10empty_typeEbEEZZNS1_14partition_implILS5_1ELb0ES3_jN6thrust23THRUST_200600_302600_NS6detail15normal_iteratorINSA_10device_ptrIyEEEEPS6_NSA_18transform_iteratorI7is_evenIyESF_NSA_11use_defaultESK_EENS0_5tupleIJNSA_16discard_iteratorISK_EESO_EEENSM_IJSG_SG_EEES6_PlJS6_EEE10hipError_tPvRmT3_T4_T5_T6_T7_T9_mT8_P12ihipStream_tbDpT10_ENKUlT_T0_E_clISt17integral_constantIbLb0EES1A_IbLb1EEEEDaS16_S17_EUlS16_E_NS1_11comp_targetILNS1_3genE3ELNS1_11target_archE908ELNS1_3gpuE7ELNS1_3repE0EEENS1_30default_config_static_selectorELNS0_4arch9wavefront6targetE1EEEvT1_,comdat
	.protected	_ZN7rocprim17ROCPRIM_400000_NS6detail17trampoline_kernelINS0_14default_configENS1_25partition_config_selectorILNS1_17partition_subalgoE1EyNS0_10empty_typeEbEEZZNS1_14partition_implILS5_1ELb0ES3_jN6thrust23THRUST_200600_302600_NS6detail15normal_iteratorINSA_10device_ptrIyEEEEPS6_NSA_18transform_iteratorI7is_evenIyESF_NSA_11use_defaultESK_EENS0_5tupleIJNSA_16discard_iteratorISK_EESO_EEENSM_IJSG_SG_EEES6_PlJS6_EEE10hipError_tPvRmT3_T4_T5_T6_T7_T9_mT8_P12ihipStream_tbDpT10_ENKUlT_T0_E_clISt17integral_constantIbLb0EES1A_IbLb1EEEEDaS16_S17_EUlS16_E_NS1_11comp_targetILNS1_3genE3ELNS1_11target_archE908ELNS1_3gpuE7ELNS1_3repE0EEENS1_30default_config_static_selectorELNS0_4arch9wavefront6targetE1EEEvT1_ ; -- Begin function _ZN7rocprim17ROCPRIM_400000_NS6detail17trampoline_kernelINS0_14default_configENS1_25partition_config_selectorILNS1_17partition_subalgoE1EyNS0_10empty_typeEbEEZZNS1_14partition_implILS5_1ELb0ES3_jN6thrust23THRUST_200600_302600_NS6detail15normal_iteratorINSA_10device_ptrIyEEEEPS6_NSA_18transform_iteratorI7is_evenIyESF_NSA_11use_defaultESK_EENS0_5tupleIJNSA_16discard_iteratorISK_EESO_EEENSM_IJSG_SG_EEES6_PlJS6_EEE10hipError_tPvRmT3_T4_T5_T6_T7_T9_mT8_P12ihipStream_tbDpT10_ENKUlT_T0_E_clISt17integral_constantIbLb0EES1A_IbLb1EEEEDaS16_S17_EUlS16_E_NS1_11comp_targetILNS1_3genE3ELNS1_11target_archE908ELNS1_3gpuE7ELNS1_3repE0EEENS1_30default_config_static_selectorELNS0_4arch9wavefront6targetE1EEEvT1_
	.globl	_ZN7rocprim17ROCPRIM_400000_NS6detail17trampoline_kernelINS0_14default_configENS1_25partition_config_selectorILNS1_17partition_subalgoE1EyNS0_10empty_typeEbEEZZNS1_14partition_implILS5_1ELb0ES3_jN6thrust23THRUST_200600_302600_NS6detail15normal_iteratorINSA_10device_ptrIyEEEEPS6_NSA_18transform_iteratorI7is_evenIyESF_NSA_11use_defaultESK_EENS0_5tupleIJNSA_16discard_iteratorISK_EESO_EEENSM_IJSG_SG_EEES6_PlJS6_EEE10hipError_tPvRmT3_T4_T5_T6_T7_T9_mT8_P12ihipStream_tbDpT10_ENKUlT_T0_E_clISt17integral_constantIbLb0EES1A_IbLb1EEEEDaS16_S17_EUlS16_E_NS1_11comp_targetILNS1_3genE3ELNS1_11target_archE908ELNS1_3gpuE7ELNS1_3repE0EEENS1_30default_config_static_selectorELNS0_4arch9wavefront6targetE1EEEvT1_
	.p2align	8
	.type	_ZN7rocprim17ROCPRIM_400000_NS6detail17trampoline_kernelINS0_14default_configENS1_25partition_config_selectorILNS1_17partition_subalgoE1EyNS0_10empty_typeEbEEZZNS1_14partition_implILS5_1ELb0ES3_jN6thrust23THRUST_200600_302600_NS6detail15normal_iteratorINSA_10device_ptrIyEEEEPS6_NSA_18transform_iteratorI7is_evenIyESF_NSA_11use_defaultESK_EENS0_5tupleIJNSA_16discard_iteratorISK_EESO_EEENSM_IJSG_SG_EEES6_PlJS6_EEE10hipError_tPvRmT3_T4_T5_T6_T7_T9_mT8_P12ihipStream_tbDpT10_ENKUlT_T0_E_clISt17integral_constantIbLb0EES1A_IbLb1EEEEDaS16_S17_EUlS16_E_NS1_11comp_targetILNS1_3genE3ELNS1_11target_archE908ELNS1_3gpuE7ELNS1_3repE0EEENS1_30default_config_static_selectorELNS0_4arch9wavefront6targetE1EEEvT1_,@function
_ZN7rocprim17ROCPRIM_400000_NS6detail17trampoline_kernelINS0_14default_configENS1_25partition_config_selectorILNS1_17partition_subalgoE1EyNS0_10empty_typeEbEEZZNS1_14partition_implILS5_1ELb0ES3_jN6thrust23THRUST_200600_302600_NS6detail15normal_iteratorINSA_10device_ptrIyEEEEPS6_NSA_18transform_iteratorI7is_evenIyESF_NSA_11use_defaultESK_EENS0_5tupleIJNSA_16discard_iteratorISK_EESO_EEENSM_IJSG_SG_EEES6_PlJS6_EEE10hipError_tPvRmT3_T4_T5_T6_T7_T9_mT8_P12ihipStream_tbDpT10_ENKUlT_T0_E_clISt17integral_constantIbLb0EES1A_IbLb1EEEEDaS16_S17_EUlS16_E_NS1_11comp_targetILNS1_3genE3ELNS1_11target_archE908ELNS1_3gpuE7ELNS1_3repE0EEENS1_30default_config_static_selectorELNS0_4arch9wavefront6targetE1EEEvT1_: ; @_ZN7rocprim17ROCPRIM_400000_NS6detail17trampoline_kernelINS0_14default_configENS1_25partition_config_selectorILNS1_17partition_subalgoE1EyNS0_10empty_typeEbEEZZNS1_14partition_implILS5_1ELb0ES3_jN6thrust23THRUST_200600_302600_NS6detail15normal_iteratorINSA_10device_ptrIyEEEEPS6_NSA_18transform_iteratorI7is_evenIyESF_NSA_11use_defaultESK_EENS0_5tupleIJNSA_16discard_iteratorISK_EESO_EEENSM_IJSG_SG_EEES6_PlJS6_EEE10hipError_tPvRmT3_T4_T5_T6_T7_T9_mT8_P12ihipStream_tbDpT10_ENKUlT_T0_E_clISt17integral_constantIbLb0EES1A_IbLb1EEEEDaS16_S17_EUlS16_E_NS1_11comp_targetILNS1_3genE3ELNS1_11target_archE908ELNS1_3gpuE7ELNS1_3repE0EEENS1_30default_config_static_selectorELNS0_4arch9wavefront6targetE1EEEvT1_
; %bb.0:
	.section	.rodata,"a",@progbits
	.p2align	6, 0x0
	.amdhsa_kernel _ZN7rocprim17ROCPRIM_400000_NS6detail17trampoline_kernelINS0_14default_configENS1_25partition_config_selectorILNS1_17partition_subalgoE1EyNS0_10empty_typeEbEEZZNS1_14partition_implILS5_1ELb0ES3_jN6thrust23THRUST_200600_302600_NS6detail15normal_iteratorINSA_10device_ptrIyEEEEPS6_NSA_18transform_iteratorI7is_evenIyESF_NSA_11use_defaultESK_EENS0_5tupleIJNSA_16discard_iteratorISK_EESO_EEENSM_IJSG_SG_EEES6_PlJS6_EEE10hipError_tPvRmT3_T4_T5_T6_T7_T9_mT8_P12ihipStream_tbDpT10_ENKUlT_T0_E_clISt17integral_constantIbLb0EES1A_IbLb1EEEEDaS16_S17_EUlS16_E_NS1_11comp_targetILNS1_3genE3ELNS1_11target_archE908ELNS1_3gpuE7ELNS1_3repE0EEENS1_30default_config_static_selectorELNS0_4arch9wavefront6targetE1EEEvT1_
		.amdhsa_group_segment_fixed_size 0
		.amdhsa_private_segment_fixed_size 0
		.amdhsa_kernarg_size 160
		.amdhsa_user_sgpr_count 6
		.amdhsa_user_sgpr_private_segment_buffer 1
		.amdhsa_user_sgpr_dispatch_ptr 0
		.amdhsa_user_sgpr_queue_ptr 0
		.amdhsa_user_sgpr_kernarg_segment_ptr 1
		.amdhsa_user_sgpr_dispatch_id 0
		.amdhsa_user_sgpr_flat_scratch_init 0
		.amdhsa_user_sgpr_kernarg_preload_length 0
		.amdhsa_user_sgpr_kernarg_preload_offset 0
		.amdhsa_user_sgpr_private_segment_size 0
		.amdhsa_uses_dynamic_stack 0
		.amdhsa_system_sgpr_private_segment_wavefront_offset 0
		.amdhsa_system_sgpr_workgroup_id_x 1
		.amdhsa_system_sgpr_workgroup_id_y 0
		.amdhsa_system_sgpr_workgroup_id_z 0
		.amdhsa_system_sgpr_workgroup_info 0
		.amdhsa_system_vgpr_workitem_id 0
		.amdhsa_next_free_vgpr 1
		.amdhsa_next_free_sgpr 0
		.amdhsa_accum_offset 4
		.amdhsa_reserve_vcc 0
		.amdhsa_reserve_flat_scratch 0
		.amdhsa_float_round_mode_32 0
		.amdhsa_float_round_mode_16_64 0
		.amdhsa_float_denorm_mode_32 3
		.amdhsa_float_denorm_mode_16_64 3
		.amdhsa_dx10_clamp 1
		.amdhsa_ieee_mode 1
		.amdhsa_fp16_overflow 0
		.amdhsa_tg_split 0
		.amdhsa_exception_fp_ieee_invalid_op 0
		.amdhsa_exception_fp_denorm_src 0
		.amdhsa_exception_fp_ieee_div_zero 0
		.amdhsa_exception_fp_ieee_overflow 0
		.amdhsa_exception_fp_ieee_underflow 0
		.amdhsa_exception_fp_ieee_inexact 0
		.amdhsa_exception_int_div_zero 0
	.end_amdhsa_kernel
	.section	.text._ZN7rocprim17ROCPRIM_400000_NS6detail17trampoline_kernelINS0_14default_configENS1_25partition_config_selectorILNS1_17partition_subalgoE1EyNS0_10empty_typeEbEEZZNS1_14partition_implILS5_1ELb0ES3_jN6thrust23THRUST_200600_302600_NS6detail15normal_iteratorINSA_10device_ptrIyEEEEPS6_NSA_18transform_iteratorI7is_evenIyESF_NSA_11use_defaultESK_EENS0_5tupleIJNSA_16discard_iteratorISK_EESO_EEENSM_IJSG_SG_EEES6_PlJS6_EEE10hipError_tPvRmT3_T4_T5_T6_T7_T9_mT8_P12ihipStream_tbDpT10_ENKUlT_T0_E_clISt17integral_constantIbLb0EES1A_IbLb1EEEEDaS16_S17_EUlS16_E_NS1_11comp_targetILNS1_3genE3ELNS1_11target_archE908ELNS1_3gpuE7ELNS1_3repE0EEENS1_30default_config_static_selectorELNS0_4arch9wavefront6targetE1EEEvT1_,"axG",@progbits,_ZN7rocprim17ROCPRIM_400000_NS6detail17trampoline_kernelINS0_14default_configENS1_25partition_config_selectorILNS1_17partition_subalgoE1EyNS0_10empty_typeEbEEZZNS1_14partition_implILS5_1ELb0ES3_jN6thrust23THRUST_200600_302600_NS6detail15normal_iteratorINSA_10device_ptrIyEEEEPS6_NSA_18transform_iteratorI7is_evenIyESF_NSA_11use_defaultESK_EENS0_5tupleIJNSA_16discard_iteratorISK_EESO_EEENSM_IJSG_SG_EEES6_PlJS6_EEE10hipError_tPvRmT3_T4_T5_T6_T7_T9_mT8_P12ihipStream_tbDpT10_ENKUlT_T0_E_clISt17integral_constantIbLb0EES1A_IbLb1EEEEDaS16_S17_EUlS16_E_NS1_11comp_targetILNS1_3genE3ELNS1_11target_archE908ELNS1_3gpuE7ELNS1_3repE0EEENS1_30default_config_static_selectorELNS0_4arch9wavefront6targetE1EEEvT1_,comdat
.Lfunc_end2902:
	.size	_ZN7rocprim17ROCPRIM_400000_NS6detail17trampoline_kernelINS0_14default_configENS1_25partition_config_selectorILNS1_17partition_subalgoE1EyNS0_10empty_typeEbEEZZNS1_14partition_implILS5_1ELb0ES3_jN6thrust23THRUST_200600_302600_NS6detail15normal_iteratorINSA_10device_ptrIyEEEEPS6_NSA_18transform_iteratorI7is_evenIyESF_NSA_11use_defaultESK_EENS0_5tupleIJNSA_16discard_iteratorISK_EESO_EEENSM_IJSG_SG_EEES6_PlJS6_EEE10hipError_tPvRmT3_T4_T5_T6_T7_T9_mT8_P12ihipStream_tbDpT10_ENKUlT_T0_E_clISt17integral_constantIbLb0EES1A_IbLb1EEEEDaS16_S17_EUlS16_E_NS1_11comp_targetILNS1_3genE3ELNS1_11target_archE908ELNS1_3gpuE7ELNS1_3repE0EEENS1_30default_config_static_selectorELNS0_4arch9wavefront6targetE1EEEvT1_, .Lfunc_end2902-_ZN7rocprim17ROCPRIM_400000_NS6detail17trampoline_kernelINS0_14default_configENS1_25partition_config_selectorILNS1_17partition_subalgoE1EyNS0_10empty_typeEbEEZZNS1_14partition_implILS5_1ELb0ES3_jN6thrust23THRUST_200600_302600_NS6detail15normal_iteratorINSA_10device_ptrIyEEEEPS6_NSA_18transform_iteratorI7is_evenIyESF_NSA_11use_defaultESK_EENS0_5tupleIJNSA_16discard_iteratorISK_EESO_EEENSM_IJSG_SG_EEES6_PlJS6_EEE10hipError_tPvRmT3_T4_T5_T6_T7_T9_mT8_P12ihipStream_tbDpT10_ENKUlT_T0_E_clISt17integral_constantIbLb0EES1A_IbLb1EEEEDaS16_S17_EUlS16_E_NS1_11comp_targetILNS1_3genE3ELNS1_11target_archE908ELNS1_3gpuE7ELNS1_3repE0EEENS1_30default_config_static_selectorELNS0_4arch9wavefront6targetE1EEEvT1_
                                        ; -- End function
	.section	.AMDGPU.csdata,"",@progbits
; Kernel info:
; codeLenInByte = 0
; NumSgprs: 4
; NumVgprs: 0
; NumAgprs: 0
; TotalNumVgprs: 0
; ScratchSize: 0
; MemoryBound: 0
; FloatMode: 240
; IeeeMode: 1
; LDSByteSize: 0 bytes/workgroup (compile time only)
; SGPRBlocks: 0
; VGPRBlocks: 0
; NumSGPRsForWavesPerEU: 4
; NumVGPRsForWavesPerEU: 1
; AccumOffset: 4
; Occupancy: 8
; WaveLimiterHint : 0
; COMPUTE_PGM_RSRC2:SCRATCH_EN: 0
; COMPUTE_PGM_RSRC2:USER_SGPR: 6
; COMPUTE_PGM_RSRC2:TRAP_HANDLER: 0
; COMPUTE_PGM_RSRC2:TGID_X_EN: 1
; COMPUTE_PGM_RSRC2:TGID_Y_EN: 0
; COMPUTE_PGM_RSRC2:TGID_Z_EN: 0
; COMPUTE_PGM_RSRC2:TIDIG_COMP_CNT: 0
; COMPUTE_PGM_RSRC3_GFX90A:ACCUM_OFFSET: 0
; COMPUTE_PGM_RSRC3_GFX90A:TG_SPLIT: 0
	.section	.text._ZN7rocprim17ROCPRIM_400000_NS6detail17trampoline_kernelINS0_14default_configENS1_25partition_config_selectorILNS1_17partition_subalgoE1EyNS0_10empty_typeEbEEZZNS1_14partition_implILS5_1ELb0ES3_jN6thrust23THRUST_200600_302600_NS6detail15normal_iteratorINSA_10device_ptrIyEEEEPS6_NSA_18transform_iteratorI7is_evenIyESF_NSA_11use_defaultESK_EENS0_5tupleIJNSA_16discard_iteratorISK_EESO_EEENSM_IJSG_SG_EEES6_PlJS6_EEE10hipError_tPvRmT3_T4_T5_T6_T7_T9_mT8_P12ihipStream_tbDpT10_ENKUlT_T0_E_clISt17integral_constantIbLb0EES1A_IbLb1EEEEDaS16_S17_EUlS16_E_NS1_11comp_targetILNS1_3genE2ELNS1_11target_archE906ELNS1_3gpuE6ELNS1_3repE0EEENS1_30default_config_static_selectorELNS0_4arch9wavefront6targetE1EEEvT1_,"axG",@progbits,_ZN7rocprim17ROCPRIM_400000_NS6detail17trampoline_kernelINS0_14default_configENS1_25partition_config_selectorILNS1_17partition_subalgoE1EyNS0_10empty_typeEbEEZZNS1_14partition_implILS5_1ELb0ES3_jN6thrust23THRUST_200600_302600_NS6detail15normal_iteratorINSA_10device_ptrIyEEEEPS6_NSA_18transform_iteratorI7is_evenIyESF_NSA_11use_defaultESK_EENS0_5tupleIJNSA_16discard_iteratorISK_EESO_EEENSM_IJSG_SG_EEES6_PlJS6_EEE10hipError_tPvRmT3_T4_T5_T6_T7_T9_mT8_P12ihipStream_tbDpT10_ENKUlT_T0_E_clISt17integral_constantIbLb0EES1A_IbLb1EEEEDaS16_S17_EUlS16_E_NS1_11comp_targetILNS1_3genE2ELNS1_11target_archE906ELNS1_3gpuE6ELNS1_3repE0EEENS1_30default_config_static_selectorELNS0_4arch9wavefront6targetE1EEEvT1_,comdat
	.protected	_ZN7rocprim17ROCPRIM_400000_NS6detail17trampoline_kernelINS0_14default_configENS1_25partition_config_selectorILNS1_17partition_subalgoE1EyNS0_10empty_typeEbEEZZNS1_14partition_implILS5_1ELb0ES3_jN6thrust23THRUST_200600_302600_NS6detail15normal_iteratorINSA_10device_ptrIyEEEEPS6_NSA_18transform_iteratorI7is_evenIyESF_NSA_11use_defaultESK_EENS0_5tupleIJNSA_16discard_iteratorISK_EESO_EEENSM_IJSG_SG_EEES6_PlJS6_EEE10hipError_tPvRmT3_T4_T5_T6_T7_T9_mT8_P12ihipStream_tbDpT10_ENKUlT_T0_E_clISt17integral_constantIbLb0EES1A_IbLb1EEEEDaS16_S17_EUlS16_E_NS1_11comp_targetILNS1_3genE2ELNS1_11target_archE906ELNS1_3gpuE6ELNS1_3repE0EEENS1_30default_config_static_selectorELNS0_4arch9wavefront6targetE1EEEvT1_ ; -- Begin function _ZN7rocprim17ROCPRIM_400000_NS6detail17trampoline_kernelINS0_14default_configENS1_25partition_config_selectorILNS1_17partition_subalgoE1EyNS0_10empty_typeEbEEZZNS1_14partition_implILS5_1ELb0ES3_jN6thrust23THRUST_200600_302600_NS6detail15normal_iteratorINSA_10device_ptrIyEEEEPS6_NSA_18transform_iteratorI7is_evenIyESF_NSA_11use_defaultESK_EENS0_5tupleIJNSA_16discard_iteratorISK_EESO_EEENSM_IJSG_SG_EEES6_PlJS6_EEE10hipError_tPvRmT3_T4_T5_T6_T7_T9_mT8_P12ihipStream_tbDpT10_ENKUlT_T0_E_clISt17integral_constantIbLb0EES1A_IbLb1EEEEDaS16_S17_EUlS16_E_NS1_11comp_targetILNS1_3genE2ELNS1_11target_archE906ELNS1_3gpuE6ELNS1_3repE0EEENS1_30default_config_static_selectorELNS0_4arch9wavefront6targetE1EEEvT1_
	.globl	_ZN7rocprim17ROCPRIM_400000_NS6detail17trampoline_kernelINS0_14default_configENS1_25partition_config_selectorILNS1_17partition_subalgoE1EyNS0_10empty_typeEbEEZZNS1_14partition_implILS5_1ELb0ES3_jN6thrust23THRUST_200600_302600_NS6detail15normal_iteratorINSA_10device_ptrIyEEEEPS6_NSA_18transform_iteratorI7is_evenIyESF_NSA_11use_defaultESK_EENS0_5tupleIJNSA_16discard_iteratorISK_EESO_EEENSM_IJSG_SG_EEES6_PlJS6_EEE10hipError_tPvRmT3_T4_T5_T6_T7_T9_mT8_P12ihipStream_tbDpT10_ENKUlT_T0_E_clISt17integral_constantIbLb0EES1A_IbLb1EEEEDaS16_S17_EUlS16_E_NS1_11comp_targetILNS1_3genE2ELNS1_11target_archE906ELNS1_3gpuE6ELNS1_3repE0EEENS1_30default_config_static_selectorELNS0_4arch9wavefront6targetE1EEEvT1_
	.p2align	8
	.type	_ZN7rocprim17ROCPRIM_400000_NS6detail17trampoline_kernelINS0_14default_configENS1_25partition_config_selectorILNS1_17partition_subalgoE1EyNS0_10empty_typeEbEEZZNS1_14partition_implILS5_1ELb0ES3_jN6thrust23THRUST_200600_302600_NS6detail15normal_iteratorINSA_10device_ptrIyEEEEPS6_NSA_18transform_iteratorI7is_evenIyESF_NSA_11use_defaultESK_EENS0_5tupleIJNSA_16discard_iteratorISK_EESO_EEENSM_IJSG_SG_EEES6_PlJS6_EEE10hipError_tPvRmT3_T4_T5_T6_T7_T9_mT8_P12ihipStream_tbDpT10_ENKUlT_T0_E_clISt17integral_constantIbLb0EES1A_IbLb1EEEEDaS16_S17_EUlS16_E_NS1_11comp_targetILNS1_3genE2ELNS1_11target_archE906ELNS1_3gpuE6ELNS1_3repE0EEENS1_30default_config_static_selectorELNS0_4arch9wavefront6targetE1EEEvT1_,@function
_ZN7rocprim17ROCPRIM_400000_NS6detail17trampoline_kernelINS0_14default_configENS1_25partition_config_selectorILNS1_17partition_subalgoE1EyNS0_10empty_typeEbEEZZNS1_14partition_implILS5_1ELb0ES3_jN6thrust23THRUST_200600_302600_NS6detail15normal_iteratorINSA_10device_ptrIyEEEEPS6_NSA_18transform_iteratorI7is_evenIyESF_NSA_11use_defaultESK_EENS0_5tupleIJNSA_16discard_iteratorISK_EESO_EEENSM_IJSG_SG_EEES6_PlJS6_EEE10hipError_tPvRmT3_T4_T5_T6_T7_T9_mT8_P12ihipStream_tbDpT10_ENKUlT_T0_E_clISt17integral_constantIbLb0EES1A_IbLb1EEEEDaS16_S17_EUlS16_E_NS1_11comp_targetILNS1_3genE2ELNS1_11target_archE906ELNS1_3gpuE6ELNS1_3repE0EEENS1_30default_config_static_selectorELNS0_4arch9wavefront6targetE1EEEvT1_: ; @_ZN7rocprim17ROCPRIM_400000_NS6detail17trampoline_kernelINS0_14default_configENS1_25partition_config_selectorILNS1_17partition_subalgoE1EyNS0_10empty_typeEbEEZZNS1_14partition_implILS5_1ELb0ES3_jN6thrust23THRUST_200600_302600_NS6detail15normal_iteratorINSA_10device_ptrIyEEEEPS6_NSA_18transform_iteratorI7is_evenIyESF_NSA_11use_defaultESK_EENS0_5tupleIJNSA_16discard_iteratorISK_EESO_EEENSM_IJSG_SG_EEES6_PlJS6_EEE10hipError_tPvRmT3_T4_T5_T6_T7_T9_mT8_P12ihipStream_tbDpT10_ENKUlT_T0_E_clISt17integral_constantIbLb0EES1A_IbLb1EEEEDaS16_S17_EUlS16_E_NS1_11comp_targetILNS1_3genE2ELNS1_11target_archE906ELNS1_3gpuE6ELNS1_3repE0EEENS1_30default_config_static_selectorELNS0_4arch9wavefront6targetE1EEEvT1_
; %bb.0:
	.section	.rodata,"a",@progbits
	.p2align	6, 0x0
	.amdhsa_kernel _ZN7rocprim17ROCPRIM_400000_NS6detail17trampoline_kernelINS0_14default_configENS1_25partition_config_selectorILNS1_17partition_subalgoE1EyNS0_10empty_typeEbEEZZNS1_14partition_implILS5_1ELb0ES3_jN6thrust23THRUST_200600_302600_NS6detail15normal_iteratorINSA_10device_ptrIyEEEEPS6_NSA_18transform_iteratorI7is_evenIyESF_NSA_11use_defaultESK_EENS0_5tupleIJNSA_16discard_iteratorISK_EESO_EEENSM_IJSG_SG_EEES6_PlJS6_EEE10hipError_tPvRmT3_T4_T5_T6_T7_T9_mT8_P12ihipStream_tbDpT10_ENKUlT_T0_E_clISt17integral_constantIbLb0EES1A_IbLb1EEEEDaS16_S17_EUlS16_E_NS1_11comp_targetILNS1_3genE2ELNS1_11target_archE906ELNS1_3gpuE6ELNS1_3repE0EEENS1_30default_config_static_selectorELNS0_4arch9wavefront6targetE1EEEvT1_
		.amdhsa_group_segment_fixed_size 0
		.amdhsa_private_segment_fixed_size 0
		.amdhsa_kernarg_size 160
		.amdhsa_user_sgpr_count 6
		.amdhsa_user_sgpr_private_segment_buffer 1
		.amdhsa_user_sgpr_dispatch_ptr 0
		.amdhsa_user_sgpr_queue_ptr 0
		.amdhsa_user_sgpr_kernarg_segment_ptr 1
		.amdhsa_user_sgpr_dispatch_id 0
		.amdhsa_user_sgpr_flat_scratch_init 0
		.amdhsa_user_sgpr_kernarg_preload_length 0
		.amdhsa_user_sgpr_kernarg_preload_offset 0
		.amdhsa_user_sgpr_private_segment_size 0
		.amdhsa_uses_dynamic_stack 0
		.amdhsa_system_sgpr_private_segment_wavefront_offset 0
		.amdhsa_system_sgpr_workgroup_id_x 1
		.amdhsa_system_sgpr_workgroup_id_y 0
		.amdhsa_system_sgpr_workgroup_id_z 0
		.amdhsa_system_sgpr_workgroup_info 0
		.amdhsa_system_vgpr_workitem_id 0
		.amdhsa_next_free_vgpr 1
		.amdhsa_next_free_sgpr 0
		.amdhsa_accum_offset 4
		.amdhsa_reserve_vcc 0
		.amdhsa_reserve_flat_scratch 0
		.amdhsa_float_round_mode_32 0
		.amdhsa_float_round_mode_16_64 0
		.amdhsa_float_denorm_mode_32 3
		.amdhsa_float_denorm_mode_16_64 3
		.amdhsa_dx10_clamp 1
		.amdhsa_ieee_mode 1
		.amdhsa_fp16_overflow 0
		.amdhsa_tg_split 0
		.amdhsa_exception_fp_ieee_invalid_op 0
		.amdhsa_exception_fp_denorm_src 0
		.amdhsa_exception_fp_ieee_div_zero 0
		.amdhsa_exception_fp_ieee_overflow 0
		.amdhsa_exception_fp_ieee_underflow 0
		.amdhsa_exception_fp_ieee_inexact 0
		.amdhsa_exception_int_div_zero 0
	.end_amdhsa_kernel
	.section	.text._ZN7rocprim17ROCPRIM_400000_NS6detail17trampoline_kernelINS0_14default_configENS1_25partition_config_selectorILNS1_17partition_subalgoE1EyNS0_10empty_typeEbEEZZNS1_14partition_implILS5_1ELb0ES3_jN6thrust23THRUST_200600_302600_NS6detail15normal_iteratorINSA_10device_ptrIyEEEEPS6_NSA_18transform_iteratorI7is_evenIyESF_NSA_11use_defaultESK_EENS0_5tupleIJNSA_16discard_iteratorISK_EESO_EEENSM_IJSG_SG_EEES6_PlJS6_EEE10hipError_tPvRmT3_T4_T5_T6_T7_T9_mT8_P12ihipStream_tbDpT10_ENKUlT_T0_E_clISt17integral_constantIbLb0EES1A_IbLb1EEEEDaS16_S17_EUlS16_E_NS1_11comp_targetILNS1_3genE2ELNS1_11target_archE906ELNS1_3gpuE6ELNS1_3repE0EEENS1_30default_config_static_selectorELNS0_4arch9wavefront6targetE1EEEvT1_,"axG",@progbits,_ZN7rocprim17ROCPRIM_400000_NS6detail17trampoline_kernelINS0_14default_configENS1_25partition_config_selectorILNS1_17partition_subalgoE1EyNS0_10empty_typeEbEEZZNS1_14partition_implILS5_1ELb0ES3_jN6thrust23THRUST_200600_302600_NS6detail15normal_iteratorINSA_10device_ptrIyEEEEPS6_NSA_18transform_iteratorI7is_evenIyESF_NSA_11use_defaultESK_EENS0_5tupleIJNSA_16discard_iteratorISK_EESO_EEENSM_IJSG_SG_EEES6_PlJS6_EEE10hipError_tPvRmT3_T4_T5_T6_T7_T9_mT8_P12ihipStream_tbDpT10_ENKUlT_T0_E_clISt17integral_constantIbLb0EES1A_IbLb1EEEEDaS16_S17_EUlS16_E_NS1_11comp_targetILNS1_3genE2ELNS1_11target_archE906ELNS1_3gpuE6ELNS1_3repE0EEENS1_30default_config_static_selectorELNS0_4arch9wavefront6targetE1EEEvT1_,comdat
.Lfunc_end2903:
	.size	_ZN7rocprim17ROCPRIM_400000_NS6detail17trampoline_kernelINS0_14default_configENS1_25partition_config_selectorILNS1_17partition_subalgoE1EyNS0_10empty_typeEbEEZZNS1_14partition_implILS5_1ELb0ES3_jN6thrust23THRUST_200600_302600_NS6detail15normal_iteratorINSA_10device_ptrIyEEEEPS6_NSA_18transform_iteratorI7is_evenIyESF_NSA_11use_defaultESK_EENS0_5tupleIJNSA_16discard_iteratorISK_EESO_EEENSM_IJSG_SG_EEES6_PlJS6_EEE10hipError_tPvRmT3_T4_T5_T6_T7_T9_mT8_P12ihipStream_tbDpT10_ENKUlT_T0_E_clISt17integral_constantIbLb0EES1A_IbLb1EEEEDaS16_S17_EUlS16_E_NS1_11comp_targetILNS1_3genE2ELNS1_11target_archE906ELNS1_3gpuE6ELNS1_3repE0EEENS1_30default_config_static_selectorELNS0_4arch9wavefront6targetE1EEEvT1_, .Lfunc_end2903-_ZN7rocprim17ROCPRIM_400000_NS6detail17trampoline_kernelINS0_14default_configENS1_25partition_config_selectorILNS1_17partition_subalgoE1EyNS0_10empty_typeEbEEZZNS1_14partition_implILS5_1ELb0ES3_jN6thrust23THRUST_200600_302600_NS6detail15normal_iteratorINSA_10device_ptrIyEEEEPS6_NSA_18transform_iteratorI7is_evenIyESF_NSA_11use_defaultESK_EENS0_5tupleIJNSA_16discard_iteratorISK_EESO_EEENSM_IJSG_SG_EEES6_PlJS6_EEE10hipError_tPvRmT3_T4_T5_T6_T7_T9_mT8_P12ihipStream_tbDpT10_ENKUlT_T0_E_clISt17integral_constantIbLb0EES1A_IbLb1EEEEDaS16_S17_EUlS16_E_NS1_11comp_targetILNS1_3genE2ELNS1_11target_archE906ELNS1_3gpuE6ELNS1_3repE0EEENS1_30default_config_static_selectorELNS0_4arch9wavefront6targetE1EEEvT1_
                                        ; -- End function
	.section	.AMDGPU.csdata,"",@progbits
; Kernel info:
; codeLenInByte = 0
; NumSgprs: 4
; NumVgprs: 0
; NumAgprs: 0
; TotalNumVgprs: 0
; ScratchSize: 0
; MemoryBound: 0
; FloatMode: 240
; IeeeMode: 1
; LDSByteSize: 0 bytes/workgroup (compile time only)
; SGPRBlocks: 0
; VGPRBlocks: 0
; NumSGPRsForWavesPerEU: 4
; NumVGPRsForWavesPerEU: 1
; AccumOffset: 4
; Occupancy: 8
; WaveLimiterHint : 0
; COMPUTE_PGM_RSRC2:SCRATCH_EN: 0
; COMPUTE_PGM_RSRC2:USER_SGPR: 6
; COMPUTE_PGM_RSRC2:TRAP_HANDLER: 0
; COMPUTE_PGM_RSRC2:TGID_X_EN: 1
; COMPUTE_PGM_RSRC2:TGID_Y_EN: 0
; COMPUTE_PGM_RSRC2:TGID_Z_EN: 0
; COMPUTE_PGM_RSRC2:TIDIG_COMP_CNT: 0
; COMPUTE_PGM_RSRC3_GFX90A:ACCUM_OFFSET: 0
; COMPUTE_PGM_RSRC3_GFX90A:TG_SPLIT: 0
	.section	.text._ZN7rocprim17ROCPRIM_400000_NS6detail17trampoline_kernelINS0_14default_configENS1_25partition_config_selectorILNS1_17partition_subalgoE1EyNS0_10empty_typeEbEEZZNS1_14partition_implILS5_1ELb0ES3_jN6thrust23THRUST_200600_302600_NS6detail15normal_iteratorINSA_10device_ptrIyEEEEPS6_NSA_18transform_iteratorI7is_evenIyESF_NSA_11use_defaultESK_EENS0_5tupleIJNSA_16discard_iteratorISK_EESO_EEENSM_IJSG_SG_EEES6_PlJS6_EEE10hipError_tPvRmT3_T4_T5_T6_T7_T9_mT8_P12ihipStream_tbDpT10_ENKUlT_T0_E_clISt17integral_constantIbLb0EES1A_IbLb1EEEEDaS16_S17_EUlS16_E_NS1_11comp_targetILNS1_3genE10ELNS1_11target_archE1200ELNS1_3gpuE4ELNS1_3repE0EEENS1_30default_config_static_selectorELNS0_4arch9wavefront6targetE1EEEvT1_,"axG",@progbits,_ZN7rocprim17ROCPRIM_400000_NS6detail17trampoline_kernelINS0_14default_configENS1_25partition_config_selectorILNS1_17partition_subalgoE1EyNS0_10empty_typeEbEEZZNS1_14partition_implILS5_1ELb0ES3_jN6thrust23THRUST_200600_302600_NS6detail15normal_iteratorINSA_10device_ptrIyEEEEPS6_NSA_18transform_iteratorI7is_evenIyESF_NSA_11use_defaultESK_EENS0_5tupleIJNSA_16discard_iteratorISK_EESO_EEENSM_IJSG_SG_EEES6_PlJS6_EEE10hipError_tPvRmT3_T4_T5_T6_T7_T9_mT8_P12ihipStream_tbDpT10_ENKUlT_T0_E_clISt17integral_constantIbLb0EES1A_IbLb1EEEEDaS16_S17_EUlS16_E_NS1_11comp_targetILNS1_3genE10ELNS1_11target_archE1200ELNS1_3gpuE4ELNS1_3repE0EEENS1_30default_config_static_selectorELNS0_4arch9wavefront6targetE1EEEvT1_,comdat
	.protected	_ZN7rocprim17ROCPRIM_400000_NS6detail17trampoline_kernelINS0_14default_configENS1_25partition_config_selectorILNS1_17partition_subalgoE1EyNS0_10empty_typeEbEEZZNS1_14partition_implILS5_1ELb0ES3_jN6thrust23THRUST_200600_302600_NS6detail15normal_iteratorINSA_10device_ptrIyEEEEPS6_NSA_18transform_iteratorI7is_evenIyESF_NSA_11use_defaultESK_EENS0_5tupleIJNSA_16discard_iteratorISK_EESO_EEENSM_IJSG_SG_EEES6_PlJS6_EEE10hipError_tPvRmT3_T4_T5_T6_T7_T9_mT8_P12ihipStream_tbDpT10_ENKUlT_T0_E_clISt17integral_constantIbLb0EES1A_IbLb1EEEEDaS16_S17_EUlS16_E_NS1_11comp_targetILNS1_3genE10ELNS1_11target_archE1200ELNS1_3gpuE4ELNS1_3repE0EEENS1_30default_config_static_selectorELNS0_4arch9wavefront6targetE1EEEvT1_ ; -- Begin function _ZN7rocprim17ROCPRIM_400000_NS6detail17trampoline_kernelINS0_14default_configENS1_25partition_config_selectorILNS1_17partition_subalgoE1EyNS0_10empty_typeEbEEZZNS1_14partition_implILS5_1ELb0ES3_jN6thrust23THRUST_200600_302600_NS6detail15normal_iteratorINSA_10device_ptrIyEEEEPS6_NSA_18transform_iteratorI7is_evenIyESF_NSA_11use_defaultESK_EENS0_5tupleIJNSA_16discard_iteratorISK_EESO_EEENSM_IJSG_SG_EEES6_PlJS6_EEE10hipError_tPvRmT3_T4_T5_T6_T7_T9_mT8_P12ihipStream_tbDpT10_ENKUlT_T0_E_clISt17integral_constantIbLb0EES1A_IbLb1EEEEDaS16_S17_EUlS16_E_NS1_11comp_targetILNS1_3genE10ELNS1_11target_archE1200ELNS1_3gpuE4ELNS1_3repE0EEENS1_30default_config_static_selectorELNS0_4arch9wavefront6targetE1EEEvT1_
	.globl	_ZN7rocprim17ROCPRIM_400000_NS6detail17trampoline_kernelINS0_14default_configENS1_25partition_config_selectorILNS1_17partition_subalgoE1EyNS0_10empty_typeEbEEZZNS1_14partition_implILS5_1ELb0ES3_jN6thrust23THRUST_200600_302600_NS6detail15normal_iteratorINSA_10device_ptrIyEEEEPS6_NSA_18transform_iteratorI7is_evenIyESF_NSA_11use_defaultESK_EENS0_5tupleIJNSA_16discard_iteratorISK_EESO_EEENSM_IJSG_SG_EEES6_PlJS6_EEE10hipError_tPvRmT3_T4_T5_T6_T7_T9_mT8_P12ihipStream_tbDpT10_ENKUlT_T0_E_clISt17integral_constantIbLb0EES1A_IbLb1EEEEDaS16_S17_EUlS16_E_NS1_11comp_targetILNS1_3genE10ELNS1_11target_archE1200ELNS1_3gpuE4ELNS1_3repE0EEENS1_30default_config_static_selectorELNS0_4arch9wavefront6targetE1EEEvT1_
	.p2align	8
	.type	_ZN7rocprim17ROCPRIM_400000_NS6detail17trampoline_kernelINS0_14default_configENS1_25partition_config_selectorILNS1_17partition_subalgoE1EyNS0_10empty_typeEbEEZZNS1_14partition_implILS5_1ELb0ES3_jN6thrust23THRUST_200600_302600_NS6detail15normal_iteratorINSA_10device_ptrIyEEEEPS6_NSA_18transform_iteratorI7is_evenIyESF_NSA_11use_defaultESK_EENS0_5tupleIJNSA_16discard_iteratorISK_EESO_EEENSM_IJSG_SG_EEES6_PlJS6_EEE10hipError_tPvRmT3_T4_T5_T6_T7_T9_mT8_P12ihipStream_tbDpT10_ENKUlT_T0_E_clISt17integral_constantIbLb0EES1A_IbLb1EEEEDaS16_S17_EUlS16_E_NS1_11comp_targetILNS1_3genE10ELNS1_11target_archE1200ELNS1_3gpuE4ELNS1_3repE0EEENS1_30default_config_static_selectorELNS0_4arch9wavefront6targetE1EEEvT1_,@function
_ZN7rocprim17ROCPRIM_400000_NS6detail17trampoline_kernelINS0_14default_configENS1_25partition_config_selectorILNS1_17partition_subalgoE1EyNS0_10empty_typeEbEEZZNS1_14partition_implILS5_1ELb0ES3_jN6thrust23THRUST_200600_302600_NS6detail15normal_iteratorINSA_10device_ptrIyEEEEPS6_NSA_18transform_iteratorI7is_evenIyESF_NSA_11use_defaultESK_EENS0_5tupleIJNSA_16discard_iteratorISK_EESO_EEENSM_IJSG_SG_EEES6_PlJS6_EEE10hipError_tPvRmT3_T4_T5_T6_T7_T9_mT8_P12ihipStream_tbDpT10_ENKUlT_T0_E_clISt17integral_constantIbLb0EES1A_IbLb1EEEEDaS16_S17_EUlS16_E_NS1_11comp_targetILNS1_3genE10ELNS1_11target_archE1200ELNS1_3gpuE4ELNS1_3repE0EEENS1_30default_config_static_selectorELNS0_4arch9wavefront6targetE1EEEvT1_: ; @_ZN7rocprim17ROCPRIM_400000_NS6detail17trampoline_kernelINS0_14default_configENS1_25partition_config_selectorILNS1_17partition_subalgoE1EyNS0_10empty_typeEbEEZZNS1_14partition_implILS5_1ELb0ES3_jN6thrust23THRUST_200600_302600_NS6detail15normal_iteratorINSA_10device_ptrIyEEEEPS6_NSA_18transform_iteratorI7is_evenIyESF_NSA_11use_defaultESK_EENS0_5tupleIJNSA_16discard_iteratorISK_EESO_EEENSM_IJSG_SG_EEES6_PlJS6_EEE10hipError_tPvRmT3_T4_T5_T6_T7_T9_mT8_P12ihipStream_tbDpT10_ENKUlT_T0_E_clISt17integral_constantIbLb0EES1A_IbLb1EEEEDaS16_S17_EUlS16_E_NS1_11comp_targetILNS1_3genE10ELNS1_11target_archE1200ELNS1_3gpuE4ELNS1_3repE0EEENS1_30default_config_static_selectorELNS0_4arch9wavefront6targetE1EEEvT1_
; %bb.0:
	.section	.rodata,"a",@progbits
	.p2align	6, 0x0
	.amdhsa_kernel _ZN7rocprim17ROCPRIM_400000_NS6detail17trampoline_kernelINS0_14default_configENS1_25partition_config_selectorILNS1_17partition_subalgoE1EyNS0_10empty_typeEbEEZZNS1_14partition_implILS5_1ELb0ES3_jN6thrust23THRUST_200600_302600_NS6detail15normal_iteratorINSA_10device_ptrIyEEEEPS6_NSA_18transform_iteratorI7is_evenIyESF_NSA_11use_defaultESK_EENS0_5tupleIJNSA_16discard_iteratorISK_EESO_EEENSM_IJSG_SG_EEES6_PlJS6_EEE10hipError_tPvRmT3_T4_T5_T6_T7_T9_mT8_P12ihipStream_tbDpT10_ENKUlT_T0_E_clISt17integral_constantIbLb0EES1A_IbLb1EEEEDaS16_S17_EUlS16_E_NS1_11comp_targetILNS1_3genE10ELNS1_11target_archE1200ELNS1_3gpuE4ELNS1_3repE0EEENS1_30default_config_static_selectorELNS0_4arch9wavefront6targetE1EEEvT1_
		.amdhsa_group_segment_fixed_size 0
		.amdhsa_private_segment_fixed_size 0
		.amdhsa_kernarg_size 160
		.amdhsa_user_sgpr_count 6
		.amdhsa_user_sgpr_private_segment_buffer 1
		.amdhsa_user_sgpr_dispatch_ptr 0
		.amdhsa_user_sgpr_queue_ptr 0
		.amdhsa_user_sgpr_kernarg_segment_ptr 1
		.amdhsa_user_sgpr_dispatch_id 0
		.amdhsa_user_sgpr_flat_scratch_init 0
		.amdhsa_user_sgpr_kernarg_preload_length 0
		.amdhsa_user_sgpr_kernarg_preload_offset 0
		.amdhsa_user_sgpr_private_segment_size 0
		.amdhsa_uses_dynamic_stack 0
		.amdhsa_system_sgpr_private_segment_wavefront_offset 0
		.amdhsa_system_sgpr_workgroup_id_x 1
		.amdhsa_system_sgpr_workgroup_id_y 0
		.amdhsa_system_sgpr_workgroup_id_z 0
		.amdhsa_system_sgpr_workgroup_info 0
		.amdhsa_system_vgpr_workitem_id 0
		.amdhsa_next_free_vgpr 1
		.amdhsa_next_free_sgpr 0
		.amdhsa_accum_offset 4
		.amdhsa_reserve_vcc 0
		.amdhsa_reserve_flat_scratch 0
		.amdhsa_float_round_mode_32 0
		.amdhsa_float_round_mode_16_64 0
		.amdhsa_float_denorm_mode_32 3
		.amdhsa_float_denorm_mode_16_64 3
		.amdhsa_dx10_clamp 1
		.amdhsa_ieee_mode 1
		.amdhsa_fp16_overflow 0
		.amdhsa_tg_split 0
		.amdhsa_exception_fp_ieee_invalid_op 0
		.amdhsa_exception_fp_denorm_src 0
		.amdhsa_exception_fp_ieee_div_zero 0
		.amdhsa_exception_fp_ieee_overflow 0
		.amdhsa_exception_fp_ieee_underflow 0
		.amdhsa_exception_fp_ieee_inexact 0
		.amdhsa_exception_int_div_zero 0
	.end_amdhsa_kernel
	.section	.text._ZN7rocprim17ROCPRIM_400000_NS6detail17trampoline_kernelINS0_14default_configENS1_25partition_config_selectorILNS1_17partition_subalgoE1EyNS0_10empty_typeEbEEZZNS1_14partition_implILS5_1ELb0ES3_jN6thrust23THRUST_200600_302600_NS6detail15normal_iteratorINSA_10device_ptrIyEEEEPS6_NSA_18transform_iteratorI7is_evenIyESF_NSA_11use_defaultESK_EENS0_5tupleIJNSA_16discard_iteratorISK_EESO_EEENSM_IJSG_SG_EEES6_PlJS6_EEE10hipError_tPvRmT3_T4_T5_T6_T7_T9_mT8_P12ihipStream_tbDpT10_ENKUlT_T0_E_clISt17integral_constantIbLb0EES1A_IbLb1EEEEDaS16_S17_EUlS16_E_NS1_11comp_targetILNS1_3genE10ELNS1_11target_archE1200ELNS1_3gpuE4ELNS1_3repE0EEENS1_30default_config_static_selectorELNS0_4arch9wavefront6targetE1EEEvT1_,"axG",@progbits,_ZN7rocprim17ROCPRIM_400000_NS6detail17trampoline_kernelINS0_14default_configENS1_25partition_config_selectorILNS1_17partition_subalgoE1EyNS0_10empty_typeEbEEZZNS1_14partition_implILS5_1ELb0ES3_jN6thrust23THRUST_200600_302600_NS6detail15normal_iteratorINSA_10device_ptrIyEEEEPS6_NSA_18transform_iteratorI7is_evenIyESF_NSA_11use_defaultESK_EENS0_5tupleIJNSA_16discard_iteratorISK_EESO_EEENSM_IJSG_SG_EEES6_PlJS6_EEE10hipError_tPvRmT3_T4_T5_T6_T7_T9_mT8_P12ihipStream_tbDpT10_ENKUlT_T0_E_clISt17integral_constantIbLb0EES1A_IbLb1EEEEDaS16_S17_EUlS16_E_NS1_11comp_targetILNS1_3genE10ELNS1_11target_archE1200ELNS1_3gpuE4ELNS1_3repE0EEENS1_30default_config_static_selectorELNS0_4arch9wavefront6targetE1EEEvT1_,comdat
.Lfunc_end2904:
	.size	_ZN7rocprim17ROCPRIM_400000_NS6detail17trampoline_kernelINS0_14default_configENS1_25partition_config_selectorILNS1_17partition_subalgoE1EyNS0_10empty_typeEbEEZZNS1_14partition_implILS5_1ELb0ES3_jN6thrust23THRUST_200600_302600_NS6detail15normal_iteratorINSA_10device_ptrIyEEEEPS6_NSA_18transform_iteratorI7is_evenIyESF_NSA_11use_defaultESK_EENS0_5tupleIJNSA_16discard_iteratorISK_EESO_EEENSM_IJSG_SG_EEES6_PlJS6_EEE10hipError_tPvRmT3_T4_T5_T6_T7_T9_mT8_P12ihipStream_tbDpT10_ENKUlT_T0_E_clISt17integral_constantIbLb0EES1A_IbLb1EEEEDaS16_S17_EUlS16_E_NS1_11comp_targetILNS1_3genE10ELNS1_11target_archE1200ELNS1_3gpuE4ELNS1_3repE0EEENS1_30default_config_static_selectorELNS0_4arch9wavefront6targetE1EEEvT1_, .Lfunc_end2904-_ZN7rocprim17ROCPRIM_400000_NS6detail17trampoline_kernelINS0_14default_configENS1_25partition_config_selectorILNS1_17partition_subalgoE1EyNS0_10empty_typeEbEEZZNS1_14partition_implILS5_1ELb0ES3_jN6thrust23THRUST_200600_302600_NS6detail15normal_iteratorINSA_10device_ptrIyEEEEPS6_NSA_18transform_iteratorI7is_evenIyESF_NSA_11use_defaultESK_EENS0_5tupleIJNSA_16discard_iteratorISK_EESO_EEENSM_IJSG_SG_EEES6_PlJS6_EEE10hipError_tPvRmT3_T4_T5_T6_T7_T9_mT8_P12ihipStream_tbDpT10_ENKUlT_T0_E_clISt17integral_constantIbLb0EES1A_IbLb1EEEEDaS16_S17_EUlS16_E_NS1_11comp_targetILNS1_3genE10ELNS1_11target_archE1200ELNS1_3gpuE4ELNS1_3repE0EEENS1_30default_config_static_selectorELNS0_4arch9wavefront6targetE1EEEvT1_
                                        ; -- End function
	.section	.AMDGPU.csdata,"",@progbits
; Kernel info:
; codeLenInByte = 0
; NumSgprs: 4
; NumVgprs: 0
; NumAgprs: 0
; TotalNumVgprs: 0
; ScratchSize: 0
; MemoryBound: 0
; FloatMode: 240
; IeeeMode: 1
; LDSByteSize: 0 bytes/workgroup (compile time only)
; SGPRBlocks: 0
; VGPRBlocks: 0
; NumSGPRsForWavesPerEU: 4
; NumVGPRsForWavesPerEU: 1
; AccumOffset: 4
; Occupancy: 8
; WaveLimiterHint : 0
; COMPUTE_PGM_RSRC2:SCRATCH_EN: 0
; COMPUTE_PGM_RSRC2:USER_SGPR: 6
; COMPUTE_PGM_RSRC2:TRAP_HANDLER: 0
; COMPUTE_PGM_RSRC2:TGID_X_EN: 1
; COMPUTE_PGM_RSRC2:TGID_Y_EN: 0
; COMPUTE_PGM_RSRC2:TGID_Z_EN: 0
; COMPUTE_PGM_RSRC2:TIDIG_COMP_CNT: 0
; COMPUTE_PGM_RSRC3_GFX90A:ACCUM_OFFSET: 0
; COMPUTE_PGM_RSRC3_GFX90A:TG_SPLIT: 0
	.section	.text._ZN7rocprim17ROCPRIM_400000_NS6detail17trampoline_kernelINS0_14default_configENS1_25partition_config_selectorILNS1_17partition_subalgoE1EyNS0_10empty_typeEbEEZZNS1_14partition_implILS5_1ELb0ES3_jN6thrust23THRUST_200600_302600_NS6detail15normal_iteratorINSA_10device_ptrIyEEEEPS6_NSA_18transform_iteratorI7is_evenIyESF_NSA_11use_defaultESK_EENS0_5tupleIJNSA_16discard_iteratorISK_EESO_EEENSM_IJSG_SG_EEES6_PlJS6_EEE10hipError_tPvRmT3_T4_T5_T6_T7_T9_mT8_P12ihipStream_tbDpT10_ENKUlT_T0_E_clISt17integral_constantIbLb0EES1A_IbLb1EEEEDaS16_S17_EUlS16_E_NS1_11comp_targetILNS1_3genE9ELNS1_11target_archE1100ELNS1_3gpuE3ELNS1_3repE0EEENS1_30default_config_static_selectorELNS0_4arch9wavefront6targetE1EEEvT1_,"axG",@progbits,_ZN7rocprim17ROCPRIM_400000_NS6detail17trampoline_kernelINS0_14default_configENS1_25partition_config_selectorILNS1_17partition_subalgoE1EyNS0_10empty_typeEbEEZZNS1_14partition_implILS5_1ELb0ES3_jN6thrust23THRUST_200600_302600_NS6detail15normal_iteratorINSA_10device_ptrIyEEEEPS6_NSA_18transform_iteratorI7is_evenIyESF_NSA_11use_defaultESK_EENS0_5tupleIJNSA_16discard_iteratorISK_EESO_EEENSM_IJSG_SG_EEES6_PlJS6_EEE10hipError_tPvRmT3_T4_T5_T6_T7_T9_mT8_P12ihipStream_tbDpT10_ENKUlT_T0_E_clISt17integral_constantIbLb0EES1A_IbLb1EEEEDaS16_S17_EUlS16_E_NS1_11comp_targetILNS1_3genE9ELNS1_11target_archE1100ELNS1_3gpuE3ELNS1_3repE0EEENS1_30default_config_static_selectorELNS0_4arch9wavefront6targetE1EEEvT1_,comdat
	.protected	_ZN7rocprim17ROCPRIM_400000_NS6detail17trampoline_kernelINS0_14default_configENS1_25partition_config_selectorILNS1_17partition_subalgoE1EyNS0_10empty_typeEbEEZZNS1_14partition_implILS5_1ELb0ES3_jN6thrust23THRUST_200600_302600_NS6detail15normal_iteratorINSA_10device_ptrIyEEEEPS6_NSA_18transform_iteratorI7is_evenIyESF_NSA_11use_defaultESK_EENS0_5tupleIJNSA_16discard_iteratorISK_EESO_EEENSM_IJSG_SG_EEES6_PlJS6_EEE10hipError_tPvRmT3_T4_T5_T6_T7_T9_mT8_P12ihipStream_tbDpT10_ENKUlT_T0_E_clISt17integral_constantIbLb0EES1A_IbLb1EEEEDaS16_S17_EUlS16_E_NS1_11comp_targetILNS1_3genE9ELNS1_11target_archE1100ELNS1_3gpuE3ELNS1_3repE0EEENS1_30default_config_static_selectorELNS0_4arch9wavefront6targetE1EEEvT1_ ; -- Begin function _ZN7rocprim17ROCPRIM_400000_NS6detail17trampoline_kernelINS0_14default_configENS1_25partition_config_selectorILNS1_17partition_subalgoE1EyNS0_10empty_typeEbEEZZNS1_14partition_implILS5_1ELb0ES3_jN6thrust23THRUST_200600_302600_NS6detail15normal_iteratorINSA_10device_ptrIyEEEEPS6_NSA_18transform_iteratorI7is_evenIyESF_NSA_11use_defaultESK_EENS0_5tupleIJNSA_16discard_iteratorISK_EESO_EEENSM_IJSG_SG_EEES6_PlJS6_EEE10hipError_tPvRmT3_T4_T5_T6_T7_T9_mT8_P12ihipStream_tbDpT10_ENKUlT_T0_E_clISt17integral_constantIbLb0EES1A_IbLb1EEEEDaS16_S17_EUlS16_E_NS1_11comp_targetILNS1_3genE9ELNS1_11target_archE1100ELNS1_3gpuE3ELNS1_3repE0EEENS1_30default_config_static_selectorELNS0_4arch9wavefront6targetE1EEEvT1_
	.globl	_ZN7rocprim17ROCPRIM_400000_NS6detail17trampoline_kernelINS0_14default_configENS1_25partition_config_selectorILNS1_17partition_subalgoE1EyNS0_10empty_typeEbEEZZNS1_14partition_implILS5_1ELb0ES3_jN6thrust23THRUST_200600_302600_NS6detail15normal_iteratorINSA_10device_ptrIyEEEEPS6_NSA_18transform_iteratorI7is_evenIyESF_NSA_11use_defaultESK_EENS0_5tupleIJNSA_16discard_iteratorISK_EESO_EEENSM_IJSG_SG_EEES6_PlJS6_EEE10hipError_tPvRmT3_T4_T5_T6_T7_T9_mT8_P12ihipStream_tbDpT10_ENKUlT_T0_E_clISt17integral_constantIbLb0EES1A_IbLb1EEEEDaS16_S17_EUlS16_E_NS1_11comp_targetILNS1_3genE9ELNS1_11target_archE1100ELNS1_3gpuE3ELNS1_3repE0EEENS1_30default_config_static_selectorELNS0_4arch9wavefront6targetE1EEEvT1_
	.p2align	8
	.type	_ZN7rocprim17ROCPRIM_400000_NS6detail17trampoline_kernelINS0_14default_configENS1_25partition_config_selectorILNS1_17partition_subalgoE1EyNS0_10empty_typeEbEEZZNS1_14partition_implILS5_1ELb0ES3_jN6thrust23THRUST_200600_302600_NS6detail15normal_iteratorINSA_10device_ptrIyEEEEPS6_NSA_18transform_iteratorI7is_evenIyESF_NSA_11use_defaultESK_EENS0_5tupleIJNSA_16discard_iteratorISK_EESO_EEENSM_IJSG_SG_EEES6_PlJS6_EEE10hipError_tPvRmT3_T4_T5_T6_T7_T9_mT8_P12ihipStream_tbDpT10_ENKUlT_T0_E_clISt17integral_constantIbLb0EES1A_IbLb1EEEEDaS16_S17_EUlS16_E_NS1_11comp_targetILNS1_3genE9ELNS1_11target_archE1100ELNS1_3gpuE3ELNS1_3repE0EEENS1_30default_config_static_selectorELNS0_4arch9wavefront6targetE1EEEvT1_,@function
_ZN7rocprim17ROCPRIM_400000_NS6detail17trampoline_kernelINS0_14default_configENS1_25partition_config_selectorILNS1_17partition_subalgoE1EyNS0_10empty_typeEbEEZZNS1_14partition_implILS5_1ELb0ES3_jN6thrust23THRUST_200600_302600_NS6detail15normal_iteratorINSA_10device_ptrIyEEEEPS6_NSA_18transform_iteratorI7is_evenIyESF_NSA_11use_defaultESK_EENS0_5tupleIJNSA_16discard_iteratorISK_EESO_EEENSM_IJSG_SG_EEES6_PlJS6_EEE10hipError_tPvRmT3_T4_T5_T6_T7_T9_mT8_P12ihipStream_tbDpT10_ENKUlT_T0_E_clISt17integral_constantIbLb0EES1A_IbLb1EEEEDaS16_S17_EUlS16_E_NS1_11comp_targetILNS1_3genE9ELNS1_11target_archE1100ELNS1_3gpuE3ELNS1_3repE0EEENS1_30default_config_static_selectorELNS0_4arch9wavefront6targetE1EEEvT1_: ; @_ZN7rocprim17ROCPRIM_400000_NS6detail17trampoline_kernelINS0_14default_configENS1_25partition_config_selectorILNS1_17partition_subalgoE1EyNS0_10empty_typeEbEEZZNS1_14partition_implILS5_1ELb0ES3_jN6thrust23THRUST_200600_302600_NS6detail15normal_iteratorINSA_10device_ptrIyEEEEPS6_NSA_18transform_iteratorI7is_evenIyESF_NSA_11use_defaultESK_EENS0_5tupleIJNSA_16discard_iteratorISK_EESO_EEENSM_IJSG_SG_EEES6_PlJS6_EEE10hipError_tPvRmT3_T4_T5_T6_T7_T9_mT8_P12ihipStream_tbDpT10_ENKUlT_T0_E_clISt17integral_constantIbLb0EES1A_IbLb1EEEEDaS16_S17_EUlS16_E_NS1_11comp_targetILNS1_3genE9ELNS1_11target_archE1100ELNS1_3gpuE3ELNS1_3repE0EEENS1_30default_config_static_selectorELNS0_4arch9wavefront6targetE1EEEvT1_
; %bb.0:
	.section	.rodata,"a",@progbits
	.p2align	6, 0x0
	.amdhsa_kernel _ZN7rocprim17ROCPRIM_400000_NS6detail17trampoline_kernelINS0_14default_configENS1_25partition_config_selectorILNS1_17partition_subalgoE1EyNS0_10empty_typeEbEEZZNS1_14partition_implILS5_1ELb0ES3_jN6thrust23THRUST_200600_302600_NS6detail15normal_iteratorINSA_10device_ptrIyEEEEPS6_NSA_18transform_iteratorI7is_evenIyESF_NSA_11use_defaultESK_EENS0_5tupleIJNSA_16discard_iteratorISK_EESO_EEENSM_IJSG_SG_EEES6_PlJS6_EEE10hipError_tPvRmT3_T4_T5_T6_T7_T9_mT8_P12ihipStream_tbDpT10_ENKUlT_T0_E_clISt17integral_constantIbLb0EES1A_IbLb1EEEEDaS16_S17_EUlS16_E_NS1_11comp_targetILNS1_3genE9ELNS1_11target_archE1100ELNS1_3gpuE3ELNS1_3repE0EEENS1_30default_config_static_selectorELNS0_4arch9wavefront6targetE1EEEvT1_
		.amdhsa_group_segment_fixed_size 0
		.amdhsa_private_segment_fixed_size 0
		.amdhsa_kernarg_size 160
		.amdhsa_user_sgpr_count 6
		.amdhsa_user_sgpr_private_segment_buffer 1
		.amdhsa_user_sgpr_dispatch_ptr 0
		.amdhsa_user_sgpr_queue_ptr 0
		.amdhsa_user_sgpr_kernarg_segment_ptr 1
		.amdhsa_user_sgpr_dispatch_id 0
		.amdhsa_user_sgpr_flat_scratch_init 0
		.amdhsa_user_sgpr_kernarg_preload_length 0
		.amdhsa_user_sgpr_kernarg_preload_offset 0
		.amdhsa_user_sgpr_private_segment_size 0
		.amdhsa_uses_dynamic_stack 0
		.amdhsa_system_sgpr_private_segment_wavefront_offset 0
		.amdhsa_system_sgpr_workgroup_id_x 1
		.amdhsa_system_sgpr_workgroup_id_y 0
		.amdhsa_system_sgpr_workgroup_id_z 0
		.amdhsa_system_sgpr_workgroup_info 0
		.amdhsa_system_vgpr_workitem_id 0
		.amdhsa_next_free_vgpr 1
		.amdhsa_next_free_sgpr 0
		.amdhsa_accum_offset 4
		.amdhsa_reserve_vcc 0
		.amdhsa_reserve_flat_scratch 0
		.amdhsa_float_round_mode_32 0
		.amdhsa_float_round_mode_16_64 0
		.amdhsa_float_denorm_mode_32 3
		.amdhsa_float_denorm_mode_16_64 3
		.amdhsa_dx10_clamp 1
		.amdhsa_ieee_mode 1
		.amdhsa_fp16_overflow 0
		.amdhsa_tg_split 0
		.amdhsa_exception_fp_ieee_invalid_op 0
		.amdhsa_exception_fp_denorm_src 0
		.amdhsa_exception_fp_ieee_div_zero 0
		.amdhsa_exception_fp_ieee_overflow 0
		.amdhsa_exception_fp_ieee_underflow 0
		.amdhsa_exception_fp_ieee_inexact 0
		.amdhsa_exception_int_div_zero 0
	.end_amdhsa_kernel
	.section	.text._ZN7rocprim17ROCPRIM_400000_NS6detail17trampoline_kernelINS0_14default_configENS1_25partition_config_selectorILNS1_17partition_subalgoE1EyNS0_10empty_typeEbEEZZNS1_14partition_implILS5_1ELb0ES3_jN6thrust23THRUST_200600_302600_NS6detail15normal_iteratorINSA_10device_ptrIyEEEEPS6_NSA_18transform_iteratorI7is_evenIyESF_NSA_11use_defaultESK_EENS0_5tupleIJNSA_16discard_iteratorISK_EESO_EEENSM_IJSG_SG_EEES6_PlJS6_EEE10hipError_tPvRmT3_T4_T5_T6_T7_T9_mT8_P12ihipStream_tbDpT10_ENKUlT_T0_E_clISt17integral_constantIbLb0EES1A_IbLb1EEEEDaS16_S17_EUlS16_E_NS1_11comp_targetILNS1_3genE9ELNS1_11target_archE1100ELNS1_3gpuE3ELNS1_3repE0EEENS1_30default_config_static_selectorELNS0_4arch9wavefront6targetE1EEEvT1_,"axG",@progbits,_ZN7rocprim17ROCPRIM_400000_NS6detail17trampoline_kernelINS0_14default_configENS1_25partition_config_selectorILNS1_17partition_subalgoE1EyNS0_10empty_typeEbEEZZNS1_14partition_implILS5_1ELb0ES3_jN6thrust23THRUST_200600_302600_NS6detail15normal_iteratorINSA_10device_ptrIyEEEEPS6_NSA_18transform_iteratorI7is_evenIyESF_NSA_11use_defaultESK_EENS0_5tupleIJNSA_16discard_iteratorISK_EESO_EEENSM_IJSG_SG_EEES6_PlJS6_EEE10hipError_tPvRmT3_T4_T5_T6_T7_T9_mT8_P12ihipStream_tbDpT10_ENKUlT_T0_E_clISt17integral_constantIbLb0EES1A_IbLb1EEEEDaS16_S17_EUlS16_E_NS1_11comp_targetILNS1_3genE9ELNS1_11target_archE1100ELNS1_3gpuE3ELNS1_3repE0EEENS1_30default_config_static_selectorELNS0_4arch9wavefront6targetE1EEEvT1_,comdat
.Lfunc_end2905:
	.size	_ZN7rocprim17ROCPRIM_400000_NS6detail17trampoline_kernelINS0_14default_configENS1_25partition_config_selectorILNS1_17partition_subalgoE1EyNS0_10empty_typeEbEEZZNS1_14partition_implILS5_1ELb0ES3_jN6thrust23THRUST_200600_302600_NS6detail15normal_iteratorINSA_10device_ptrIyEEEEPS6_NSA_18transform_iteratorI7is_evenIyESF_NSA_11use_defaultESK_EENS0_5tupleIJNSA_16discard_iteratorISK_EESO_EEENSM_IJSG_SG_EEES6_PlJS6_EEE10hipError_tPvRmT3_T4_T5_T6_T7_T9_mT8_P12ihipStream_tbDpT10_ENKUlT_T0_E_clISt17integral_constantIbLb0EES1A_IbLb1EEEEDaS16_S17_EUlS16_E_NS1_11comp_targetILNS1_3genE9ELNS1_11target_archE1100ELNS1_3gpuE3ELNS1_3repE0EEENS1_30default_config_static_selectorELNS0_4arch9wavefront6targetE1EEEvT1_, .Lfunc_end2905-_ZN7rocprim17ROCPRIM_400000_NS6detail17trampoline_kernelINS0_14default_configENS1_25partition_config_selectorILNS1_17partition_subalgoE1EyNS0_10empty_typeEbEEZZNS1_14partition_implILS5_1ELb0ES3_jN6thrust23THRUST_200600_302600_NS6detail15normal_iteratorINSA_10device_ptrIyEEEEPS6_NSA_18transform_iteratorI7is_evenIyESF_NSA_11use_defaultESK_EENS0_5tupleIJNSA_16discard_iteratorISK_EESO_EEENSM_IJSG_SG_EEES6_PlJS6_EEE10hipError_tPvRmT3_T4_T5_T6_T7_T9_mT8_P12ihipStream_tbDpT10_ENKUlT_T0_E_clISt17integral_constantIbLb0EES1A_IbLb1EEEEDaS16_S17_EUlS16_E_NS1_11comp_targetILNS1_3genE9ELNS1_11target_archE1100ELNS1_3gpuE3ELNS1_3repE0EEENS1_30default_config_static_selectorELNS0_4arch9wavefront6targetE1EEEvT1_
                                        ; -- End function
	.section	.AMDGPU.csdata,"",@progbits
; Kernel info:
; codeLenInByte = 0
; NumSgprs: 4
; NumVgprs: 0
; NumAgprs: 0
; TotalNumVgprs: 0
; ScratchSize: 0
; MemoryBound: 0
; FloatMode: 240
; IeeeMode: 1
; LDSByteSize: 0 bytes/workgroup (compile time only)
; SGPRBlocks: 0
; VGPRBlocks: 0
; NumSGPRsForWavesPerEU: 4
; NumVGPRsForWavesPerEU: 1
; AccumOffset: 4
; Occupancy: 8
; WaveLimiterHint : 0
; COMPUTE_PGM_RSRC2:SCRATCH_EN: 0
; COMPUTE_PGM_RSRC2:USER_SGPR: 6
; COMPUTE_PGM_RSRC2:TRAP_HANDLER: 0
; COMPUTE_PGM_RSRC2:TGID_X_EN: 1
; COMPUTE_PGM_RSRC2:TGID_Y_EN: 0
; COMPUTE_PGM_RSRC2:TGID_Z_EN: 0
; COMPUTE_PGM_RSRC2:TIDIG_COMP_CNT: 0
; COMPUTE_PGM_RSRC3_GFX90A:ACCUM_OFFSET: 0
; COMPUTE_PGM_RSRC3_GFX90A:TG_SPLIT: 0
	.section	.text._ZN7rocprim17ROCPRIM_400000_NS6detail17trampoline_kernelINS0_14default_configENS1_25partition_config_selectorILNS1_17partition_subalgoE1EyNS0_10empty_typeEbEEZZNS1_14partition_implILS5_1ELb0ES3_jN6thrust23THRUST_200600_302600_NS6detail15normal_iteratorINSA_10device_ptrIyEEEEPS6_NSA_18transform_iteratorI7is_evenIyESF_NSA_11use_defaultESK_EENS0_5tupleIJNSA_16discard_iteratorISK_EESO_EEENSM_IJSG_SG_EEES6_PlJS6_EEE10hipError_tPvRmT3_T4_T5_T6_T7_T9_mT8_P12ihipStream_tbDpT10_ENKUlT_T0_E_clISt17integral_constantIbLb0EES1A_IbLb1EEEEDaS16_S17_EUlS16_E_NS1_11comp_targetILNS1_3genE8ELNS1_11target_archE1030ELNS1_3gpuE2ELNS1_3repE0EEENS1_30default_config_static_selectorELNS0_4arch9wavefront6targetE1EEEvT1_,"axG",@progbits,_ZN7rocprim17ROCPRIM_400000_NS6detail17trampoline_kernelINS0_14default_configENS1_25partition_config_selectorILNS1_17partition_subalgoE1EyNS0_10empty_typeEbEEZZNS1_14partition_implILS5_1ELb0ES3_jN6thrust23THRUST_200600_302600_NS6detail15normal_iteratorINSA_10device_ptrIyEEEEPS6_NSA_18transform_iteratorI7is_evenIyESF_NSA_11use_defaultESK_EENS0_5tupleIJNSA_16discard_iteratorISK_EESO_EEENSM_IJSG_SG_EEES6_PlJS6_EEE10hipError_tPvRmT3_T4_T5_T6_T7_T9_mT8_P12ihipStream_tbDpT10_ENKUlT_T0_E_clISt17integral_constantIbLb0EES1A_IbLb1EEEEDaS16_S17_EUlS16_E_NS1_11comp_targetILNS1_3genE8ELNS1_11target_archE1030ELNS1_3gpuE2ELNS1_3repE0EEENS1_30default_config_static_selectorELNS0_4arch9wavefront6targetE1EEEvT1_,comdat
	.protected	_ZN7rocprim17ROCPRIM_400000_NS6detail17trampoline_kernelINS0_14default_configENS1_25partition_config_selectorILNS1_17partition_subalgoE1EyNS0_10empty_typeEbEEZZNS1_14partition_implILS5_1ELb0ES3_jN6thrust23THRUST_200600_302600_NS6detail15normal_iteratorINSA_10device_ptrIyEEEEPS6_NSA_18transform_iteratorI7is_evenIyESF_NSA_11use_defaultESK_EENS0_5tupleIJNSA_16discard_iteratorISK_EESO_EEENSM_IJSG_SG_EEES6_PlJS6_EEE10hipError_tPvRmT3_T4_T5_T6_T7_T9_mT8_P12ihipStream_tbDpT10_ENKUlT_T0_E_clISt17integral_constantIbLb0EES1A_IbLb1EEEEDaS16_S17_EUlS16_E_NS1_11comp_targetILNS1_3genE8ELNS1_11target_archE1030ELNS1_3gpuE2ELNS1_3repE0EEENS1_30default_config_static_selectorELNS0_4arch9wavefront6targetE1EEEvT1_ ; -- Begin function _ZN7rocprim17ROCPRIM_400000_NS6detail17trampoline_kernelINS0_14default_configENS1_25partition_config_selectorILNS1_17partition_subalgoE1EyNS0_10empty_typeEbEEZZNS1_14partition_implILS5_1ELb0ES3_jN6thrust23THRUST_200600_302600_NS6detail15normal_iteratorINSA_10device_ptrIyEEEEPS6_NSA_18transform_iteratorI7is_evenIyESF_NSA_11use_defaultESK_EENS0_5tupleIJNSA_16discard_iteratorISK_EESO_EEENSM_IJSG_SG_EEES6_PlJS6_EEE10hipError_tPvRmT3_T4_T5_T6_T7_T9_mT8_P12ihipStream_tbDpT10_ENKUlT_T0_E_clISt17integral_constantIbLb0EES1A_IbLb1EEEEDaS16_S17_EUlS16_E_NS1_11comp_targetILNS1_3genE8ELNS1_11target_archE1030ELNS1_3gpuE2ELNS1_3repE0EEENS1_30default_config_static_selectorELNS0_4arch9wavefront6targetE1EEEvT1_
	.globl	_ZN7rocprim17ROCPRIM_400000_NS6detail17trampoline_kernelINS0_14default_configENS1_25partition_config_selectorILNS1_17partition_subalgoE1EyNS0_10empty_typeEbEEZZNS1_14partition_implILS5_1ELb0ES3_jN6thrust23THRUST_200600_302600_NS6detail15normal_iteratorINSA_10device_ptrIyEEEEPS6_NSA_18transform_iteratorI7is_evenIyESF_NSA_11use_defaultESK_EENS0_5tupleIJNSA_16discard_iteratorISK_EESO_EEENSM_IJSG_SG_EEES6_PlJS6_EEE10hipError_tPvRmT3_T4_T5_T6_T7_T9_mT8_P12ihipStream_tbDpT10_ENKUlT_T0_E_clISt17integral_constantIbLb0EES1A_IbLb1EEEEDaS16_S17_EUlS16_E_NS1_11comp_targetILNS1_3genE8ELNS1_11target_archE1030ELNS1_3gpuE2ELNS1_3repE0EEENS1_30default_config_static_selectorELNS0_4arch9wavefront6targetE1EEEvT1_
	.p2align	8
	.type	_ZN7rocprim17ROCPRIM_400000_NS6detail17trampoline_kernelINS0_14default_configENS1_25partition_config_selectorILNS1_17partition_subalgoE1EyNS0_10empty_typeEbEEZZNS1_14partition_implILS5_1ELb0ES3_jN6thrust23THRUST_200600_302600_NS6detail15normal_iteratorINSA_10device_ptrIyEEEEPS6_NSA_18transform_iteratorI7is_evenIyESF_NSA_11use_defaultESK_EENS0_5tupleIJNSA_16discard_iteratorISK_EESO_EEENSM_IJSG_SG_EEES6_PlJS6_EEE10hipError_tPvRmT3_T4_T5_T6_T7_T9_mT8_P12ihipStream_tbDpT10_ENKUlT_T0_E_clISt17integral_constantIbLb0EES1A_IbLb1EEEEDaS16_S17_EUlS16_E_NS1_11comp_targetILNS1_3genE8ELNS1_11target_archE1030ELNS1_3gpuE2ELNS1_3repE0EEENS1_30default_config_static_selectorELNS0_4arch9wavefront6targetE1EEEvT1_,@function
_ZN7rocprim17ROCPRIM_400000_NS6detail17trampoline_kernelINS0_14default_configENS1_25partition_config_selectorILNS1_17partition_subalgoE1EyNS0_10empty_typeEbEEZZNS1_14partition_implILS5_1ELb0ES3_jN6thrust23THRUST_200600_302600_NS6detail15normal_iteratorINSA_10device_ptrIyEEEEPS6_NSA_18transform_iteratorI7is_evenIyESF_NSA_11use_defaultESK_EENS0_5tupleIJNSA_16discard_iteratorISK_EESO_EEENSM_IJSG_SG_EEES6_PlJS6_EEE10hipError_tPvRmT3_T4_T5_T6_T7_T9_mT8_P12ihipStream_tbDpT10_ENKUlT_T0_E_clISt17integral_constantIbLb0EES1A_IbLb1EEEEDaS16_S17_EUlS16_E_NS1_11comp_targetILNS1_3genE8ELNS1_11target_archE1030ELNS1_3gpuE2ELNS1_3repE0EEENS1_30default_config_static_selectorELNS0_4arch9wavefront6targetE1EEEvT1_: ; @_ZN7rocprim17ROCPRIM_400000_NS6detail17trampoline_kernelINS0_14default_configENS1_25partition_config_selectorILNS1_17partition_subalgoE1EyNS0_10empty_typeEbEEZZNS1_14partition_implILS5_1ELb0ES3_jN6thrust23THRUST_200600_302600_NS6detail15normal_iteratorINSA_10device_ptrIyEEEEPS6_NSA_18transform_iteratorI7is_evenIyESF_NSA_11use_defaultESK_EENS0_5tupleIJNSA_16discard_iteratorISK_EESO_EEENSM_IJSG_SG_EEES6_PlJS6_EEE10hipError_tPvRmT3_T4_T5_T6_T7_T9_mT8_P12ihipStream_tbDpT10_ENKUlT_T0_E_clISt17integral_constantIbLb0EES1A_IbLb1EEEEDaS16_S17_EUlS16_E_NS1_11comp_targetILNS1_3genE8ELNS1_11target_archE1030ELNS1_3gpuE2ELNS1_3repE0EEENS1_30default_config_static_selectorELNS0_4arch9wavefront6targetE1EEEvT1_
; %bb.0:
	.section	.rodata,"a",@progbits
	.p2align	6, 0x0
	.amdhsa_kernel _ZN7rocprim17ROCPRIM_400000_NS6detail17trampoline_kernelINS0_14default_configENS1_25partition_config_selectorILNS1_17partition_subalgoE1EyNS0_10empty_typeEbEEZZNS1_14partition_implILS5_1ELb0ES3_jN6thrust23THRUST_200600_302600_NS6detail15normal_iteratorINSA_10device_ptrIyEEEEPS6_NSA_18transform_iteratorI7is_evenIyESF_NSA_11use_defaultESK_EENS0_5tupleIJNSA_16discard_iteratorISK_EESO_EEENSM_IJSG_SG_EEES6_PlJS6_EEE10hipError_tPvRmT3_T4_T5_T6_T7_T9_mT8_P12ihipStream_tbDpT10_ENKUlT_T0_E_clISt17integral_constantIbLb0EES1A_IbLb1EEEEDaS16_S17_EUlS16_E_NS1_11comp_targetILNS1_3genE8ELNS1_11target_archE1030ELNS1_3gpuE2ELNS1_3repE0EEENS1_30default_config_static_selectorELNS0_4arch9wavefront6targetE1EEEvT1_
		.amdhsa_group_segment_fixed_size 0
		.amdhsa_private_segment_fixed_size 0
		.amdhsa_kernarg_size 160
		.amdhsa_user_sgpr_count 6
		.amdhsa_user_sgpr_private_segment_buffer 1
		.amdhsa_user_sgpr_dispatch_ptr 0
		.amdhsa_user_sgpr_queue_ptr 0
		.amdhsa_user_sgpr_kernarg_segment_ptr 1
		.amdhsa_user_sgpr_dispatch_id 0
		.amdhsa_user_sgpr_flat_scratch_init 0
		.amdhsa_user_sgpr_kernarg_preload_length 0
		.amdhsa_user_sgpr_kernarg_preload_offset 0
		.amdhsa_user_sgpr_private_segment_size 0
		.amdhsa_uses_dynamic_stack 0
		.amdhsa_system_sgpr_private_segment_wavefront_offset 0
		.amdhsa_system_sgpr_workgroup_id_x 1
		.amdhsa_system_sgpr_workgroup_id_y 0
		.amdhsa_system_sgpr_workgroup_id_z 0
		.amdhsa_system_sgpr_workgroup_info 0
		.amdhsa_system_vgpr_workitem_id 0
		.amdhsa_next_free_vgpr 1
		.amdhsa_next_free_sgpr 0
		.amdhsa_accum_offset 4
		.amdhsa_reserve_vcc 0
		.amdhsa_reserve_flat_scratch 0
		.amdhsa_float_round_mode_32 0
		.amdhsa_float_round_mode_16_64 0
		.amdhsa_float_denorm_mode_32 3
		.amdhsa_float_denorm_mode_16_64 3
		.amdhsa_dx10_clamp 1
		.amdhsa_ieee_mode 1
		.amdhsa_fp16_overflow 0
		.amdhsa_tg_split 0
		.amdhsa_exception_fp_ieee_invalid_op 0
		.amdhsa_exception_fp_denorm_src 0
		.amdhsa_exception_fp_ieee_div_zero 0
		.amdhsa_exception_fp_ieee_overflow 0
		.amdhsa_exception_fp_ieee_underflow 0
		.amdhsa_exception_fp_ieee_inexact 0
		.amdhsa_exception_int_div_zero 0
	.end_amdhsa_kernel
	.section	.text._ZN7rocprim17ROCPRIM_400000_NS6detail17trampoline_kernelINS0_14default_configENS1_25partition_config_selectorILNS1_17partition_subalgoE1EyNS0_10empty_typeEbEEZZNS1_14partition_implILS5_1ELb0ES3_jN6thrust23THRUST_200600_302600_NS6detail15normal_iteratorINSA_10device_ptrIyEEEEPS6_NSA_18transform_iteratorI7is_evenIyESF_NSA_11use_defaultESK_EENS0_5tupleIJNSA_16discard_iteratorISK_EESO_EEENSM_IJSG_SG_EEES6_PlJS6_EEE10hipError_tPvRmT3_T4_T5_T6_T7_T9_mT8_P12ihipStream_tbDpT10_ENKUlT_T0_E_clISt17integral_constantIbLb0EES1A_IbLb1EEEEDaS16_S17_EUlS16_E_NS1_11comp_targetILNS1_3genE8ELNS1_11target_archE1030ELNS1_3gpuE2ELNS1_3repE0EEENS1_30default_config_static_selectorELNS0_4arch9wavefront6targetE1EEEvT1_,"axG",@progbits,_ZN7rocprim17ROCPRIM_400000_NS6detail17trampoline_kernelINS0_14default_configENS1_25partition_config_selectorILNS1_17partition_subalgoE1EyNS0_10empty_typeEbEEZZNS1_14partition_implILS5_1ELb0ES3_jN6thrust23THRUST_200600_302600_NS6detail15normal_iteratorINSA_10device_ptrIyEEEEPS6_NSA_18transform_iteratorI7is_evenIyESF_NSA_11use_defaultESK_EENS0_5tupleIJNSA_16discard_iteratorISK_EESO_EEENSM_IJSG_SG_EEES6_PlJS6_EEE10hipError_tPvRmT3_T4_T5_T6_T7_T9_mT8_P12ihipStream_tbDpT10_ENKUlT_T0_E_clISt17integral_constantIbLb0EES1A_IbLb1EEEEDaS16_S17_EUlS16_E_NS1_11comp_targetILNS1_3genE8ELNS1_11target_archE1030ELNS1_3gpuE2ELNS1_3repE0EEENS1_30default_config_static_selectorELNS0_4arch9wavefront6targetE1EEEvT1_,comdat
.Lfunc_end2906:
	.size	_ZN7rocprim17ROCPRIM_400000_NS6detail17trampoline_kernelINS0_14default_configENS1_25partition_config_selectorILNS1_17partition_subalgoE1EyNS0_10empty_typeEbEEZZNS1_14partition_implILS5_1ELb0ES3_jN6thrust23THRUST_200600_302600_NS6detail15normal_iteratorINSA_10device_ptrIyEEEEPS6_NSA_18transform_iteratorI7is_evenIyESF_NSA_11use_defaultESK_EENS0_5tupleIJNSA_16discard_iteratorISK_EESO_EEENSM_IJSG_SG_EEES6_PlJS6_EEE10hipError_tPvRmT3_T4_T5_T6_T7_T9_mT8_P12ihipStream_tbDpT10_ENKUlT_T0_E_clISt17integral_constantIbLb0EES1A_IbLb1EEEEDaS16_S17_EUlS16_E_NS1_11comp_targetILNS1_3genE8ELNS1_11target_archE1030ELNS1_3gpuE2ELNS1_3repE0EEENS1_30default_config_static_selectorELNS0_4arch9wavefront6targetE1EEEvT1_, .Lfunc_end2906-_ZN7rocprim17ROCPRIM_400000_NS6detail17trampoline_kernelINS0_14default_configENS1_25partition_config_selectorILNS1_17partition_subalgoE1EyNS0_10empty_typeEbEEZZNS1_14partition_implILS5_1ELb0ES3_jN6thrust23THRUST_200600_302600_NS6detail15normal_iteratorINSA_10device_ptrIyEEEEPS6_NSA_18transform_iteratorI7is_evenIyESF_NSA_11use_defaultESK_EENS0_5tupleIJNSA_16discard_iteratorISK_EESO_EEENSM_IJSG_SG_EEES6_PlJS6_EEE10hipError_tPvRmT3_T4_T5_T6_T7_T9_mT8_P12ihipStream_tbDpT10_ENKUlT_T0_E_clISt17integral_constantIbLb0EES1A_IbLb1EEEEDaS16_S17_EUlS16_E_NS1_11comp_targetILNS1_3genE8ELNS1_11target_archE1030ELNS1_3gpuE2ELNS1_3repE0EEENS1_30default_config_static_selectorELNS0_4arch9wavefront6targetE1EEEvT1_
                                        ; -- End function
	.section	.AMDGPU.csdata,"",@progbits
; Kernel info:
; codeLenInByte = 0
; NumSgprs: 4
; NumVgprs: 0
; NumAgprs: 0
; TotalNumVgprs: 0
; ScratchSize: 0
; MemoryBound: 0
; FloatMode: 240
; IeeeMode: 1
; LDSByteSize: 0 bytes/workgroup (compile time only)
; SGPRBlocks: 0
; VGPRBlocks: 0
; NumSGPRsForWavesPerEU: 4
; NumVGPRsForWavesPerEU: 1
; AccumOffset: 4
; Occupancy: 8
; WaveLimiterHint : 0
; COMPUTE_PGM_RSRC2:SCRATCH_EN: 0
; COMPUTE_PGM_RSRC2:USER_SGPR: 6
; COMPUTE_PGM_RSRC2:TRAP_HANDLER: 0
; COMPUTE_PGM_RSRC2:TGID_X_EN: 1
; COMPUTE_PGM_RSRC2:TGID_Y_EN: 0
; COMPUTE_PGM_RSRC2:TGID_Z_EN: 0
; COMPUTE_PGM_RSRC2:TIDIG_COMP_CNT: 0
; COMPUTE_PGM_RSRC3_GFX90A:ACCUM_OFFSET: 0
; COMPUTE_PGM_RSRC3_GFX90A:TG_SPLIT: 0
	.section	.text._ZN7rocprim17ROCPRIM_400000_NS6detail17trampoline_kernelINS0_14default_configENS1_25partition_config_selectorILNS1_17partition_subalgoE1EyNS0_10empty_typeEbEEZZNS1_14partition_implILS5_1ELb0ES3_jN6thrust23THRUST_200600_302600_NS6detail15normal_iteratorINSA_10device_ptrIyEEEEPS6_NSA_18transform_iteratorI7is_evenIyESF_NSA_11use_defaultESK_EENS0_5tupleIJSF_NSA_16discard_iteratorISK_EEEEENSM_IJSG_SG_EEES6_PlJS6_EEE10hipError_tPvRmT3_T4_T5_T6_T7_T9_mT8_P12ihipStream_tbDpT10_ENKUlT_T0_E_clISt17integral_constantIbLb0EES1B_EEDaS16_S17_EUlS16_E_NS1_11comp_targetILNS1_3genE0ELNS1_11target_archE4294967295ELNS1_3gpuE0ELNS1_3repE0EEENS1_30default_config_static_selectorELNS0_4arch9wavefront6targetE1EEEvT1_,"axG",@progbits,_ZN7rocprim17ROCPRIM_400000_NS6detail17trampoline_kernelINS0_14default_configENS1_25partition_config_selectorILNS1_17partition_subalgoE1EyNS0_10empty_typeEbEEZZNS1_14partition_implILS5_1ELb0ES3_jN6thrust23THRUST_200600_302600_NS6detail15normal_iteratorINSA_10device_ptrIyEEEEPS6_NSA_18transform_iteratorI7is_evenIyESF_NSA_11use_defaultESK_EENS0_5tupleIJSF_NSA_16discard_iteratorISK_EEEEENSM_IJSG_SG_EEES6_PlJS6_EEE10hipError_tPvRmT3_T4_T5_T6_T7_T9_mT8_P12ihipStream_tbDpT10_ENKUlT_T0_E_clISt17integral_constantIbLb0EES1B_EEDaS16_S17_EUlS16_E_NS1_11comp_targetILNS1_3genE0ELNS1_11target_archE4294967295ELNS1_3gpuE0ELNS1_3repE0EEENS1_30default_config_static_selectorELNS0_4arch9wavefront6targetE1EEEvT1_,comdat
	.protected	_ZN7rocprim17ROCPRIM_400000_NS6detail17trampoline_kernelINS0_14default_configENS1_25partition_config_selectorILNS1_17partition_subalgoE1EyNS0_10empty_typeEbEEZZNS1_14partition_implILS5_1ELb0ES3_jN6thrust23THRUST_200600_302600_NS6detail15normal_iteratorINSA_10device_ptrIyEEEEPS6_NSA_18transform_iteratorI7is_evenIyESF_NSA_11use_defaultESK_EENS0_5tupleIJSF_NSA_16discard_iteratorISK_EEEEENSM_IJSG_SG_EEES6_PlJS6_EEE10hipError_tPvRmT3_T4_T5_T6_T7_T9_mT8_P12ihipStream_tbDpT10_ENKUlT_T0_E_clISt17integral_constantIbLb0EES1B_EEDaS16_S17_EUlS16_E_NS1_11comp_targetILNS1_3genE0ELNS1_11target_archE4294967295ELNS1_3gpuE0ELNS1_3repE0EEENS1_30default_config_static_selectorELNS0_4arch9wavefront6targetE1EEEvT1_ ; -- Begin function _ZN7rocprim17ROCPRIM_400000_NS6detail17trampoline_kernelINS0_14default_configENS1_25partition_config_selectorILNS1_17partition_subalgoE1EyNS0_10empty_typeEbEEZZNS1_14partition_implILS5_1ELb0ES3_jN6thrust23THRUST_200600_302600_NS6detail15normal_iteratorINSA_10device_ptrIyEEEEPS6_NSA_18transform_iteratorI7is_evenIyESF_NSA_11use_defaultESK_EENS0_5tupleIJSF_NSA_16discard_iteratorISK_EEEEENSM_IJSG_SG_EEES6_PlJS6_EEE10hipError_tPvRmT3_T4_T5_T6_T7_T9_mT8_P12ihipStream_tbDpT10_ENKUlT_T0_E_clISt17integral_constantIbLb0EES1B_EEDaS16_S17_EUlS16_E_NS1_11comp_targetILNS1_3genE0ELNS1_11target_archE4294967295ELNS1_3gpuE0ELNS1_3repE0EEENS1_30default_config_static_selectorELNS0_4arch9wavefront6targetE1EEEvT1_
	.globl	_ZN7rocprim17ROCPRIM_400000_NS6detail17trampoline_kernelINS0_14default_configENS1_25partition_config_selectorILNS1_17partition_subalgoE1EyNS0_10empty_typeEbEEZZNS1_14partition_implILS5_1ELb0ES3_jN6thrust23THRUST_200600_302600_NS6detail15normal_iteratorINSA_10device_ptrIyEEEEPS6_NSA_18transform_iteratorI7is_evenIyESF_NSA_11use_defaultESK_EENS0_5tupleIJSF_NSA_16discard_iteratorISK_EEEEENSM_IJSG_SG_EEES6_PlJS6_EEE10hipError_tPvRmT3_T4_T5_T6_T7_T9_mT8_P12ihipStream_tbDpT10_ENKUlT_T0_E_clISt17integral_constantIbLb0EES1B_EEDaS16_S17_EUlS16_E_NS1_11comp_targetILNS1_3genE0ELNS1_11target_archE4294967295ELNS1_3gpuE0ELNS1_3repE0EEENS1_30default_config_static_selectorELNS0_4arch9wavefront6targetE1EEEvT1_
	.p2align	8
	.type	_ZN7rocprim17ROCPRIM_400000_NS6detail17trampoline_kernelINS0_14default_configENS1_25partition_config_selectorILNS1_17partition_subalgoE1EyNS0_10empty_typeEbEEZZNS1_14partition_implILS5_1ELb0ES3_jN6thrust23THRUST_200600_302600_NS6detail15normal_iteratorINSA_10device_ptrIyEEEEPS6_NSA_18transform_iteratorI7is_evenIyESF_NSA_11use_defaultESK_EENS0_5tupleIJSF_NSA_16discard_iteratorISK_EEEEENSM_IJSG_SG_EEES6_PlJS6_EEE10hipError_tPvRmT3_T4_T5_T6_T7_T9_mT8_P12ihipStream_tbDpT10_ENKUlT_T0_E_clISt17integral_constantIbLb0EES1B_EEDaS16_S17_EUlS16_E_NS1_11comp_targetILNS1_3genE0ELNS1_11target_archE4294967295ELNS1_3gpuE0ELNS1_3repE0EEENS1_30default_config_static_selectorELNS0_4arch9wavefront6targetE1EEEvT1_,@function
_ZN7rocprim17ROCPRIM_400000_NS6detail17trampoline_kernelINS0_14default_configENS1_25partition_config_selectorILNS1_17partition_subalgoE1EyNS0_10empty_typeEbEEZZNS1_14partition_implILS5_1ELb0ES3_jN6thrust23THRUST_200600_302600_NS6detail15normal_iteratorINSA_10device_ptrIyEEEEPS6_NSA_18transform_iteratorI7is_evenIyESF_NSA_11use_defaultESK_EENS0_5tupleIJSF_NSA_16discard_iteratorISK_EEEEENSM_IJSG_SG_EEES6_PlJS6_EEE10hipError_tPvRmT3_T4_T5_T6_T7_T9_mT8_P12ihipStream_tbDpT10_ENKUlT_T0_E_clISt17integral_constantIbLb0EES1B_EEDaS16_S17_EUlS16_E_NS1_11comp_targetILNS1_3genE0ELNS1_11target_archE4294967295ELNS1_3gpuE0ELNS1_3repE0EEENS1_30default_config_static_selectorELNS0_4arch9wavefront6targetE1EEEvT1_: ; @_ZN7rocprim17ROCPRIM_400000_NS6detail17trampoline_kernelINS0_14default_configENS1_25partition_config_selectorILNS1_17partition_subalgoE1EyNS0_10empty_typeEbEEZZNS1_14partition_implILS5_1ELb0ES3_jN6thrust23THRUST_200600_302600_NS6detail15normal_iteratorINSA_10device_ptrIyEEEEPS6_NSA_18transform_iteratorI7is_evenIyESF_NSA_11use_defaultESK_EENS0_5tupleIJSF_NSA_16discard_iteratorISK_EEEEENSM_IJSG_SG_EEES6_PlJS6_EEE10hipError_tPvRmT3_T4_T5_T6_T7_T9_mT8_P12ihipStream_tbDpT10_ENKUlT_T0_E_clISt17integral_constantIbLb0EES1B_EEDaS16_S17_EUlS16_E_NS1_11comp_targetILNS1_3genE0ELNS1_11target_archE4294967295ELNS1_3gpuE0ELNS1_3repE0EEENS1_30default_config_static_selectorELNS0_4arch9wavefront6targetE1EEEvT1_
; %bb.0:
	.section	.rodata,"a",@progbits
	.p2align	6, 0x0
	.amdhsa_kernel _ZN7rocprim17ROCPRIM_400000_NS6detail17trampoline_kernelINS0_14default_configENS1_25partition_config_selectorILNS1_17partition_subalgoE1EyNS0_10empty_typeEbEEZZNS1_14partition_implILS5_1ELb0ES3_jN6thrust23THRUST_200600_302600_NS6detail15normal_iteratorINSA_10device_ptrIyEEEEPS6_NSA_18transform_iteratorI7is_evenIyESF_NSA_11use_defaultESK_EENS0_5tupleIJSF_NSA_16discard_iteratorISK_EEEEENSM_IJSG_SG_EEES6_PlJS6_EEE10hipError_tPvRmT3_T4_T5_T6_T7_T9_mT8_P12ihipStream_tbDpT10_ENKUlT_T0_E_clISt17integral_constantIbLb0EES1B_EEDaS16_S17_EUlS16_E_NS1_11comp_targetILNS1_3genE0ELNS1_11target_archE4294967295ELNS1_3gpuE0ELNS1_3repE0EEENS1_30default_config_static_selectorELNS0_4arch9wavefront6targetE1EEEvT1_
		.amdhsa_group_segment_fixed_size 0
		.amdhsa_private_segment_fixed_size 0
		.amdhsa_kernarg_size 136
		.amdhsa_user_sgpr_count 6
		.amdhsa_user_sgpr_private_segment_buffer 1
		.amdhsa_user_sgpr_dispatch_ptr 0
		.amdhsa_user_sgpr_queue_ptr 0
		.amdhsa_user_sgpr_kernarg_segment_ptr 1
		.amdhsa_user_sgpr_dispatch_id 0
		.amdhsa_user_sgpr_flat_scratch_init 0
		.amdhsa_user_sgpr_kernarg_preload_length 0
		.amdhsa_user_sgpr_kernarg_preload_offset 0
		.amdhsa_user_sgpr_private_segment_size 0
		.amdhsa_uses_dynamic_stack 0
		.amdhsa_system_sgpr_private_segment_wavefront_offset 0
		.amdhsa_system_sgpr_workgroup_id_x 1
		.amdhsa_system_sgpr_workgroup_id_y 0
		.amdhsa_system_sgpr_workgroup_id_z 0
		.amdhsa_system_sgpr_workgroup_info 0
		.amdhsa_system_vgpr_workitem_id 0
		.amdhsa_next_free_vgpr 1
		.amdhsa_next_free_sgpr 0
		.amdhsa_accum_offset 4
		.amdhsa_reserve_vcc 0
		.amdhsa_reserve_flat_scratch 0
		.amdhsa_float_round_mode_32 0
		.amdhsa_float_round_mode_16_64 0
		.amdhsa_float_denorm_mode_32 3
		.amdhsa_float_denorm_mode_16_64 3
		.amdhsa_dx10_clamp 1
		.amdhsa_ieee_mode 1
		.amdhsa_fp16_overflow 0
		.amdhsa_tg_split 0
		.amdhsa_exception_fp_ieee_invalid_op 0
		.amdhsa_exception_fp_denorm_src 0
		.amdhsa_exception_fp_ieee_div_zero 0
		.amdhsa_exception_fp_ieee_overflow 0
		.amdhsa_exception_fp_ieee_underflow 0
		.amdhsa_exception_fp_ieee_inexact 0
		.amdhsa_exception_int_div_zero 0
	.end_amdhsa_kernel
	.section	.text._ZN7rocprim17ROCPRIM_400000_NS6detail17trampoline_kernelINS0_14default_configENS1_25partition_config_selectorILNS1_17partition_subalgoE1EyNS0_10empty_typeEbEEZZNS1_14partition_implILS5_1ELb0ES3_jN6thrust23THRUST_200600_302600_NS6detail15normal_iteratorINSA_10device_ptrIyEEEEPS6_NSA_18transform_iteratorI7is_evenIyESF_NSA_11use_defaultESK_EENS0_5tupleIJSF_NSA_16discard_iteratorISK_EEEEENSM_IJSG_SG_EEES6_PlJS6_EEE10hipError_tPvRmT3_T4_T5_T6_T7_T9_mT8_P12ihipStream_tbDpT10_ENKUlT_T0_E_clISt17integral_constantIbLb0EES1B_EEDaS16_S17_EUlS16_E_NS1_11comp_targetILNS1_3genE0ELNS1_11target_archE4294967295ELNS1_3gpuE0ELNS1_3repE0EEENS1_30default_config_static_selectorELNS0_4arch9wavefront6targetE1EEEvT1_,"axG",@progbits,_ZN7rocprim17ROCPRIM_400000_NS6detail17trampoline_kernelINS0_14default_configENS1_25partition_config_selectorILNS1_17partition_subalgoE1EyNS0_10empty_typeEbEEZZNS1_14partition_implILS5_1ELb0ES3_jN6thrust23THRUST_200600_302600_NS6detail15normal_iteratorINSA_10device_ptrIyEEEEPS6_NSA_18transform_iteratorI7is_evenIyESF_NSA_11use_defaultESK_EENS0_5tupleIJSF_NSA_16discard_iteratorISK_EEEEENSM_IJSG_SG_EEES6_PlJS6_EEE10hipError_tPvRmT3_T4_T5_T6_T7_T9_mT8_P12ihipStream_tbDpT10_ENKUlT_T0_E_clISt17integral_constantIbLb0EES1B_EEDaS16_S17_EUlS16_E_NS1_11comp_targetILNS1_3genE0ELNS1_11target_archE4294967295ELNS1_3gpuE0ELNS1_3repE0EEENS1_30default_config_static_selectorELNS0_4arch9wavefront6targetE1EEEvT1_,comdat
.Lfunc_end2907:
	.size	_ZN7rocprim17ROCPRIM_400000_NS6detail17trampoline_kernelINS0_14default_configENS1_25partition_config_selectorILNS1_17partition_subalgoE1EyNS0_10empty_typeEbEEZZNS1_14partition_implILS5_1ELb0ES3_jN6thrust23THRUST_200600_302600_NS6detail15normal_iteratorINSA_10device_ptrIyEEEEPS6_NSA_18transform_iteratorI7is_evenIyESF_NSA_11use_defaultESK_EENS0_5tupleIJSF_NSA_16discard_iteratorISK_EEEEENSM_IJSG_SG_EEES6_PlJS6_EEE10hipError_tPvRmT3_T4_T5_T6_T7_T9_mT8_P12ihipStream_tbDpT10_ENKUlT_T0_E_clISt17integral_constantIbLb0EES1B_EEDaS16_S17_EUlS16_E_NS1_11comp_targetILNS1_3genE0ELNS1_11target_archE4294967295ELNS1_3gpuE0ELNS1_3repE0EEENS1_30default_config_static_selectorELNS0_4arch9wavefront6targetE1EEEvT1_, .Lfunc_end2907-_ZN7rocprim17ROCPRIM_400000_NS6detail17trampoline_kernelINS0_14default_configENS1_25partition_config_selectorILNS1_17partition_subalgoE1EyNS0_10empty_typeEbEEZZNS1_14partition_implILS5_1ELb0ES3_jN6thrust23THRUST_200600_302600_NS6detail15normal_iteratorINSA_10device_ptrIyEEEEPS6_NSA_18transform_iteratorI7is_evenIyESF_NSA_11use_defaultESK_EENS0_5tupleIJSF_NSA_16discard_iteratorISK_EEEEENSM_IJSG_SG_EEES6_PlJS6_EEE10hipError_tPvRmT3_T4_T5_T6_T7_T9_mT8_P12ihipStream_tbDpT10_ENKUlT_T0_E_clISt17integral_constantIbLb0EES1B_EEDaS16_S17_EUlS16_E_NS1_11comp_targetILNS1_3genE0ELNS1_11target_archE4294967295ELNS1_3gpuE0ELNS1_3repE0EEENS1_30default_config_static_selectorELNS0_4arch9wavefront6targetE1EEEvT1_
                                        ; -- End function
	.section	.AMDGPU.csdata,"",@progbits
; Kernel info:
; codeLenInByte = 0
; NumSgprs: 4
; NumVgprs: 0
; NumAgprs: 0
; TotalNumVgprs: 0
; ScratchSize: 0
; MemoryBound: 0
; FloatMode: 240
; IeeeMode: 1
; LDSByteSize: 0 bytes/workgroup (compile time only)
; SGPRBlocks: 0
; VGPRBlocks: 0
; NumSGPRsForWavesPerEU: 4
; NumVGPRsForWavesPerEU: 1
; AccumOffset: 4
; Occupancy: 8
; WaveLimiterHint : 0
; COMPUTE_PGM_RSRC2:SCRATCH_EN: 0
; COMPUTE_PGM_RSRC2:USER_SGPR: 6
; COMPUTE_PGM_RSRC2:TRAP_HANDLER: 0
; COMPUTE_PGM_RSRC2:TGID_X_EN: 1
; COMPUTE_PGM_RSRC2:TGID_Y_EN: 0
; COMPUTE_PGM_RSRC2:TGID_Z_EN: 0
; COMPUTE_PGM_RSRC2:TIDIG_COMP_CNT: 0
; COMPUTE_PGM_RSRC3_GFX90A:ACCUM_OFFSET: 0
; COMPUTE_PGM_RSRC3_GFX90A:TG_SPLIT: 0
	.section	.text._ZN7rocprim17ROCPRIM_400000_NS6detail17trampoline_kernelINS0_14default_configENS1_25partition_config_selectorILNS1_17partition_subalgoE1EyNS0_10empty_typeEbEEZZNS1_14partition_implILS5_1ELb0ES3_jN6thrust23THRUST_200600_302600_NS6detail15normal_iteratorINSA_10device_ptrIyEEEEPS6_NSA_18transform_iteratorI7is_evenIyESF_NSA_11use_defaultESK_EENS0_5tupleIJSF_NSA_16discard_iteratorISK_EEEEENSM_IJSG_SG_EEES6_PlJS6_EEE10hipError_tPvRmT3_T4_T5_T6_T7_T9_mT8_P12ihipStream_tbDpT10_ENKUlT_T0_E_clISt17integral_constantIbLb0EES1B_EEDaS16_S17_EUlS16_E_NS1_11comp_targetILNS1_3genE5ELNS1_11target_archE942ELNS1_3gpuE9ELNS1_3repE0EEENS1_30default_config_static_selectorELNS0_4arch9wavefront6targetE1EEEvT1_,"axG",@progbits,_ZN7rocprim17ROCPRIM_400000_NS6detail17trampoline_kernelINS0_14default_configENS1_25partition_config_selectorILNS1_17partition_subalgoE1EyNS0_10empty_typeEbEEZZNS1_14partition_implILS5_1ELb0ES3_jN6thrust23THRUST_200600_302600_NS6detail15normal_iteratorINSA_10device_ptrIyEEEEPS6_NSA_18transform_iteratorI7is_evenIyESF_NSA_11use_defaultESK_EENS0_5tupleIJSF_NSA_16discard_iteratorISK_EEEEENSM_IJSG_SG_EEES6_PlJS6_EEE10hipError_tPvRmT3_T4_T5_T6_T7_T9_mT8_P12ihipStream_tbDpT10_ENKUlT_T0_E_clISt17integral_constantIbLb0EES1B_EEDaS16_S17_EUlS16_E_NS1_11comp_targetILNS1_3genE5ELNS1_11target_archE942ELNS1_3gpuE9ELNS1_3repE0EEENS1_30default_config_static_selectorELNS0_4arch9wavefront6targetE1EEEvT1_,comdat
	.protected	_ZN7rocprim17ROCPRIM_400000_NS6detail17trampoline_kernelINS0_14default_configENS1_25partition_config_selectorILNS1_17partition_subalgoE1EyNS0_10empty_typeEbEEZZNS1_14partition_implILS5_1ELb0ES3_jN6thrust23THRUST_200600_302600_NS6detail15normal_iteratorINSA_10device_ptrIyEEEEPS6_NSA_18transform_iteratorI7is_evenIyESF_NSA_11use_defaultESK_EENS0_5tupleIJSF_NSA_16discard_iteratorISK_EEEEENSM_IJSG_SG_EEES6_PlJS6_EEE10hipError_tPvRmT3_T4_T5_T6_T7_T9_mT8_P12ihipStream_tbDpT10_ENKUlT_T0_E_clISt17integral_constantIbLb0EES1B_EEDaS16_S17_EUlS16_E_NS1_11comp_targetILNS1_3genE5ELNS1_11target_archE942ELNS1_3gpuE9ELNS1_3repE0EEENS1_30default_config_static_selectorELNS0_4arch9wavefront6targetE1EEEvT1_ ; -- Begin function _ZN7rocprim17ROCPRIM_400000_NS6detail17trampoline_kernelINS0_14default_configENS1_25partition_config_selectorILNS1_17partition_subalgoE1EyNS0_10empty_typeEbEEZZNS1_14partition_implILS5_1ELb0ES3_jN6thrust23THRUST_200600_302600_NS6detail15normal_iteratorINSA_10device_ptrIyEEEEPS6_NSA_18transform_iteratorI7is_evenIyESF_NSA_11use_defaultESK_EENS0_5tupleIJSF_NSA_16discard_iteratorISK_EEEEENSM_IJSG_SG_EEES6_PlJS6_EEE10hipError_tPvRmT3_T4_T5_T6_T7_T9_mT8_P12ihipStream_tbDpT10_ENKUlT_T0_E_clISt17integral_constantIbLb0EES1B_EEDaS16_S17_EUlS16_E_NS1_11comp_targetILNS1_3genE5ELNS1_11target_archE942ELNS1_3gpuE9ELNS1_3repE0EEENS1_30default_config_static_selectorELNS0_4arch9wavefront6targetE1EEEvT1_
	.globl	_ZN7rocprim17ROCPRIM_400000_NS6detail17trampoline_kernelINS0_14default_configENS1_25partition_config_selectorILNS1_17partition_subalgoE1EyNS0_10empty_typeEbEEZZNS1_14partition_implILS5_1ELb0ES3_jN6thrust23THRUST_200600_302600_NS6detail15normal_iteratorINSA_10device_ptrIyEEEEPS6_NSA_18transform_iteratorI7is_evenIyESF_NSA_11use_defaultESK_EENS0_5tupleIJSF_NSA_16discard_iteratorISK_EEEEENSM_IJSG_SG_EEES6_PlJS6_EEE10hipError_tPvRmT3_T4_T5_T6_T7_T9_mT8_P12ihipStream_tbDpT10_ENKUlT_T0_E_clISt17integral_constantIbLb0EES1B_EEDaS16_S17_EUlS16_E_NS1_11comp_targetILNS1_3genE5ELNS1_11target_archE942ELNS1_3gpuE9ELNS1_3repE0EEENS1_30default_config_static_selectorELNS0_4arch9wavefront6targetE1EEEvT1_
	.p2align	8
	.type	_ZN7rocprim17ROCPRIM_400000_NS6detail17trampoline_kernelINS0_14default_configENS1_25partition_config_selectorILNS1_17partition_subalgoE1EyNS0_10empty_typeEbEEZZNS1_14partition_implILS5_1ELb0ES3_jN6thrust23THRUST_200600_302600_NS6detail15normal_iteratorINSA_10device_ptrIyEEEEPS6_NSA_18transform_iteratorI7is_evenIyESF_NSA_11use_defaultESK_EENS0_5tupleIJSF_NSA_16discard_iteratorISK_EEEEENSM_IJSG_SG_EEES6_PlJS6_EEE10hipError_tPvRmT3_T4_T5_T6_T7_T9_mT8_P12ihipStream_tbDpT10_ENKUlT_T0_E_clISt17integral_constantIbLb0EES1B_EEDaS16_S17_EUlS16_E_NS1_11comp_targetILNS1_3genE5ELNS1_11target_archE942ELNS1_3gpuE9ELNS1_3repE0EEENS1_30default_config_static_selectorELNS0_4arch9wavefront6targetE1EEEvT1_,@function
_ZN7rocprim17ROCPRIM_400000_NS6detail17trampoline_kernelINS0_14default_configENS1_25partition_config_selectorILNS1_17partition_subalgoE1EyNS0_10empty_typeEbEEZZNS1_14partition_implILS5_1ELb0ES3_jN6thrust23THRUST_200600_302600_NS6detail15normal_iteratorINSA_10device_ptrIyEEEEPS6_NSA_18transform_iteratorI7is_evenIyESF_NSA_11use_defaultESK_EENS0_5tupleIJSF_NSA_16discard_iteratorISK_EEEEENSM_IJSG_SG_EEES6_PlJS6_EEE10hipError_tPvRmT3_T4_T5_T6_T7_T9_mT8_P12ihipStream_tbDpT10_ENKUlT_T0_E_clISt17integral_constantIbLb0EES1B_EEDaS16_S17_EUlS16_E_NS1_11comp_targetILNS1_3genE5ELNS1_11target_archE942ELNS1_3gpuE9ELNS1_3repE0EEENS1_30default_config_static_selectorELNS0_4arch9wavefront6targetE1EEEvT1_: ; @_ZN7rocprim17ROCPRIM_400000_NS6detail17trampoline_kernelINS0_14default_configENS1_25partition_config_selectorILNS1_17partition_subalgoE1EyNS0_10empty_typeEbEEZZNS1_14partition_implILS5_1ELb0ES3_jN6thrust23THRUST_200600_302600_NS6detail15normal_iteratorINSA_10device_ptrIyEEEEPS6_NSA_18transform_iteratorI7is_evenIyESF_NSA_11use_defaultESK_EENS0_5tupleIJSF_NSA_16discard_iteratorISK_EEEEENSM_IJSG_SG_EEES6_PlJS6_EEE10hipError_tPvRmT3_T4_T5_T6_T7_T9_mT8_P12ihipStream_tbDpT10_ENKUlT_T0_E_clISt17integral_constantIbLb0EES1B_EEDaS16_S17_EUlS16_E_NS1_11comp_targetILNS1_3genE5ELNS1_11target_archE942ELNS1_3gpuE9ELNS1_3repE0EEENS1_30default_config_static_selectorELNS0_4arch9wavefront6targetE1EEEvT1_
; %bb.0:
	.section	.rodata,"a",@progbits
	.p2align	6, 0x0
	.amdhsa_kernel _ZN7rocprim17ROCPRIM_400000_NS6detail17trampoline_kernelINS0_14default_configENS1_25partition_config_selectorILNS1_17partition_subalgoE1EyNS0_10empty_typeEbEEZZNS1_14partition_implILS5_1ELb0ES3_jN6thrust23THRUST_200600_302600_NS6detail15normal_iteratorINSA_10device_ptrIyEEEEPS6_NSA_18transform_iteratorI7is_evenIyESF_NSA_11use_defaultESK_EENS0_5tupleIJSF_NSA_16discard_iteratorISK_EEEEENSM_IJSG_SG_EEES6_PlJS6_EEE10hipError_tPvRmT3_T4_T5_T6_T7_T9_mT8_P12ihipStream_tbDpT10_ENKUlT_T0_E_clISt17integral_constantIbLb0EES1B_EEDaS16_S17_EUlS16_E_NS1_11comp_targetILNS1_3genE5ELNS1_11target_archE942ELNS1_3gpuE9ELNS1_3repE0EEENS1_30default_config_static_selectorELNS0_4arch9wavefront6targetE1EEEvT1_
		.amdhsa_group_segment_fixed_size 0
		.amdhsa_private_segment_fixed_size 0
		.amdhsa_kernarg_size 136
		.amdhsa_user_sgpr_count 6
		.amdhsa_user_sgpr_private_segment_buffer 1
		.amdhsa_user_sgpr_dispatch_ptr 0
		.amdhsa_user_sgpr_queue_ptr 0
		.amdhsa_user_sgpr_kernarg_segment_ptr 1
		.amdhsa_user_sgpr_dispatch_id 0
		.amdhsa_user_sgpr_flat_scratch_init 0
		.amdhsa_user_sgpr_kernarg_preload_length 0
		.amdhsa_user_sgpr_kernarg_preload_offset 0
		.amdhsa_user_sgpr_private_segment_size 0
		.amdhsa_uses_dynamic_stack 0
		.amdhsa_system_sgpr_private_segment_wavefront_offset 0
		.amdhsa_system_sgpr_workgroup_id_x 1
		.amdhsa_system_sgpr_workgroup_id_y 0
		.amdhsa_system_sgpr_workgroup_id_z 0
		.amdhsa_system_sgpr_workgroup_info 0
		.amdhsa_system_vgpr_workitem_id 0
		.amdhsa_next_free_vgpr 1
		.amdhsa_next_free_sgpr 0
		.amdhsa_accum_offset 4
		.amdhsa_reserve_vcc 0
		.amdhsa_reserve_flat_scratch 0
		.amdhsa_float_round_mode_32 0
		.amdhsa_float_round_mode_16_64 0
		.amdhsa_float_denorm_mode_32 3
		.amdhsa_float_denorm_mode_16_64 3
		.amdhsa_dx10_clamp 1
		.amdhsa_ieee_mode 1
		.amdhsa_fp16_overflow 0
		.amdhsa_tg_split 0
		.amdhsa_exception_fp_ieee_invalid_op 0
		.amdhsa_exception_fp_denorm_src 0
		.amdhsa_exception_fp_ieee_div_zero 0
		.amdhsa_exception_fp_ieee_overflow 0
		.amdhsa_exception_fp_ieee_underflow 0
		.amdhsa_exception_fp_ieee_inexact 0
		.amdhsa_exception_int_div_zero 0
	.end_amdhsa_kernel
	.section	.text._ZN7rocprim17ROCPRIM_400000_NS6detail17trampoline_kernelINS0_14default_configENS1_25partition_config_selectorILNS1_17partition_subalgoE1EyNS0_10empty_typeEbEEZZNS1_14partition_implILS5_1ELb0ES3_jN6thrust23THRUST_200600_302600_NS6detail15normal_iteratorINSA_10device_ptrIyEEEEPS6_NSA_18transform_iteratorI7is_evenIyESF_NSA_11use_defaultESK_EENS0_5tupleIJSF_NSA_16discard_iteratorISK_EEEEENSM_IJSG_SG_EEES6_PlJS6_EEE10hipError_tPvRmT3_T4_T5_T6_T7_T9_mT8_P12ihipStream_tbDpT10_ENKUlT_T0_E_clISt17integral_constantIbLb0EES1B_EEDaS16_S17_EUlS16_E_NS1_11comp_targetILNS1_3genE5ELNS1_11target_archE942ELNS1_3gpuE9ELNS1_3repE0EEENS1_30default_config_static_selectorELNS0_4arch9wavefront6targetE1EEEvT1_,"axG",@progbits,_ZN7rocprim17ROCPRIM_400000_NS6detail17trampoline_kernelINS0_14default_configENS1_25partition_config_selectorILNS1_17partition_subalgoE1EyNS0_10empty_typeEbEEZZNS1_14partition_implILS5_1ELb0ES3_jN6thrust23THRUST_200600_302600_NS6detail15normal_iteratorINSA_10device_ptrIyEEEEPS6_NSA_18transform_iteratorI7is_evenIyESF_NSA_11use_defaultESK_EENS0_5tupleIJSF_NSA_16discard_iteratorISK_EEEEENSM_IJSG_SG_EEES6_PlJS6_EEE10hipError_tPvRmT3_T4_T5_T6_T7_T9_mT8_P12ihipStream_tbDpT10_ENKUlT_T0_E_clISt17integral_constantIbLb0EES1B_EEDaS16_S17_EUlS16_E_NS1_11comp_targetILNS1_3genE5ELNS1_11target_archE942ELNS1_3gpuE9ELNS1_3repE0EEENS1_30default_config_static_selectorELNS0_4arch9wavefront6targetE1EEEvT1_,comdat
.Lfunc_end2908:
	.size	_ZN7rocprim17ROCPRIM_400000_NS6detail17trampoline_kernelINS0_14default_configENS1_25partition_config_selectorILNS1_17partition_subalgoE1EyNS0_10empty_typeEbEEZZNS1_14partition_implILS5_1ELb0ES3_jN6thrust23THRUST_200600_302600_NS6detail15normal_iteratorINSA_10device_ptrIyEEEEPS6_NSA_18transform_iteratorI7is_evenIyESF_NSA_11use_defaultESK_EENS0_5tupleIJSF_NSA_16discard_iteratorISK_EEEEENSM_IJSG_SG_EEES6_PlJS6_EEE10hipError_tPvRmT3_T4_T5_T6_T7_T9_mT8_P12ihipStream_tbDpT10_ENKUlT_T0_E_clISt17integral_constantIbLb0EES1B_EEDaS16_S17_EUlS16_E_NS1_11comp_targetILNS1_3genE5ELNS1_11target_archE942ELNS1_3gpuE9ELNS1_3repE0EEENS1_30default_config_static_selectorELNS0_4arch9wavefront6targetE1EEEvT1_, .Lfunc_end2908-_ZN7rocprim17ROCPRIM_400000_NS6detail17trampoline_kernelINS0_14default_configENS1_25partition_config_selectorILNS1_17partition_subalgoE1EyNS0_10empty_typeEbEEZZNS1_14partition_implILS5_1ELb0ES3_jN6thrust23THRUST_200600_302600_NS6detail15normal_iteratorINSA_10device_ptrIyEEEEPS6_NSA_18transform_iteratorI7is_evenIyESF_NSA_11use_defaultESK_EENS0_5tupleIJSF_NSA_16discard_iteratorISK_EEEEENSM_IJSG_SG_EEES6_PlJS6_EEE10hipError_tPvRmT3_T4_T5_T6_T7_T9_mT8_P12ihipStream_tbDpT10_ENKUlT_T0_E_clISt17integral_constantIbLb0EES1B_EEDaS16_S17_EUlS16_E_NS1_11comp_targetILNS1_3genE5ELNS1_11target_archE942ELNS1_3gpuE9ELNS1_3repE0EEENS1_30default_config_static_selectorELNS0_4arch9wavefront6targetE1EEEvT1_
                                        ; -- End function
	.section	.AMDGPU.csdata,"",@progbits
; Kernel info:
; codeLenInByte = 0
; NumSgprs: 4
; NumVgprs: 0
; NumAgprs: 0
; TotalNumVgprs: 0
; ScratchSize: 0
; MemoryBound: 0
; FloatMode: 240
; IeeeMode: 1
; LDSByteSize: 0 bytes/workgroup (compile time only)
; SGPRBlocks: 0
; VGPRBlocks: 0
; NumSGPRsForWavesPerEU: 4
; NumVGPRsForWavesPerEU: 1
; AccumOffset: 4
; Occupancy: 8
; WaveLimiterHint : 0
; COMPUTE_PGM_RSRC2:SCRATCH_EN: 0
; COMPUTE_PGM_RSRC2:USER_SGPR: 6
; COMPUTE_PGM_RSRC2:TRAP_HANDLER: 0
; COMPUTE_PGM_RSRC2:TGID_X_EN: 1
; COMPUTE_PGM_RSRC2:TGID_Y_EN: 0
; COMPUTE_PGM_RSRC2:TGID_Z_EN: 0
; COMPUTE_PGM_RSRC2:TIDIG_COMP_CNT: 0
; COMPUTE_PGM_RSRC3_GFX90A:ACCUM_OFFSET: 0
; COMPUTE_PGM_RSRC3_GFX90A:TG_SPLIT: 0
	.section	.text._ZN7rocprim17ROCPRIM_400000_NS6detail17trampoline_kernelINS0_14default_configENS1_25partition_config_selectorILNS1_17partition_subalgoE1EyNS0_10empty_typeEbEEZZNS1_14partition_implILS5_1ELb0ES3_jN6thrust23THRUST_200600_302600_NS6detail15normal_iteratorINSA_10device_ptrIyEEEEPS6_NSA_18transform_iteratorI7is_evenIyESF_NSA_11use_defaultESK_EENS0_5tupleIJSF_NSA_16discard_iteratorISK_EEEEENSM_IJSG_SG_EEES6_PlJS6_EEE10hipError_tPvRmT3_T4_T5_T6_T7_T9_mT8_P12ihipStream_tbDpT10_ENKUlT_T0_E_clISt17integral_constantIbLb0EES1B_EEDaS16_S17_EUlS16_E_NS1_11comp_targetILNS1_3genE4ELNS1_11target_archE910ELNS1_3gpuE8ELNS1_3repE0EEENS1_30default_config_static_selectorELNS0_4arch9wavefront6targetE1EEEvT1_,"axG",@progbits,_ZN7rocprim17ROCPRIM_400000_NS6detail17trampoline_kernelINS0_14default_configENS1_25partition_config_selectorILNS1_17partition_subalgoE1EyNS0_10empty_typeEbEEZZNS1_14partition_implILS5_1ELb0ES3_jN6thrust23THRUST_200600_302600_NS6detail15normal_iteratorINSA_10device_ptrIyEEEEPS6_NSA_18transform_iteratorI7is_evenIyESF_NSA_11use_defaultESK_EENS0_5tupleIJSF_NSA_16discard_iteratorISK_EEEEENSM_IJSG_SG_EEES6_PlJS6_EEE10hipError_tPvRmT3_T4_T5_T6_T7_T9_mT8_P12ihipStream_tbDpT10_ENKUlT_T0_E_clISt17integral_constantIbLb0EES1B_EEDaS16_S17_EUlS16_E_NS1_11comp_targetILNS1_3genE4ELNS1_11target_archE910ELNS1_3gpuE8ELNS1_3repE0EEENS1_30default_config_static_selectorELNS0_4arch9wavefront6targetE1EEEvT1_,comdat
	.protected	_ZN7rocprim17ROCPRIM_400000_NS6detail17trampoline_kernelINS0_14default_configENS1_25partition_config_selectorILNS1_17partition_subalgoE1EyNS0_10empty_typeEbEEZZNS1_14partition_implILS5_1ELb0ES3_jN6thrust23THRUST_200600_302600_NS6detail15normal_iteratorINSA_10device_ptrIyEEEEPS6_NSA_18transform_iteratorI7is_evenIyESF_NSA_11use_defaultESK_EENS0_5tupleIJSF_NSA_16discard_iteratorISK_EEEEENSM_IJSG_SG_EEES6_PlJS6_EEE10hipError_tPvRmT3_T4_T5_T6_T7_T9_mT8_P12ihipStream_tbDpT10_ENKUlT_T0_E_clISt17integral_constantIbLb0EES1B_EEDaS16_S17_EUlS16_E_NS1_11comp_targetILNS1_3genE4ELNS1_11target_archE910ELNS1_3gpuE8ELNS1_3repE0EEENS1_30default_config_static_selectorELNS0_4arch9wavefront6targetE1EEEvT1_ ; -- Begin function _ZN7rocprim17ROCPRIM_400000_NS6detail17trampoline_kernelINS0_14default_configENS1_25partition_config_selectorILNS1_17partition_subalgoE1EyNS0_10empty_typeEbEEZZNS1_14partition_implILS5_1ELb0ES3_jN6thrust23THRUST_200600_302600_NS6detail15normal_iteratorINSA_10device_ptrIyEEEEPS6_NSA_18transform_iteratorI7is_evenIyESF_NSA_11use_defaultESK_EENS0_5tupleIJSF_NSA_16discard_iteratorISK_EEEEENSM_IJSG_SG_EEES6_PlJS6_EEE10hipError_tPvRmT3_T4_T5_T6_T7_T9_mT8_P12ihipStream_tbDpT10_ENKUlT_T0_E_clISt17integral_constantIbLb0EES1B_EEDaS16_S17_EUlS16_E_NS1_11comp_targetILNS1_3genE4ELNS1_11target_archE910ELNS1_3gpuE8ELNS1_3repE0EEENS1_30default_config_static_selectorELNS0_4arch9wavefront6targetE1EEEvT1_
	.globl	_ZN7rocprim17ROCPRIM_400000_NS6detail17trampoline_kernelINS0_14default_configENS1_25partition_config_selectorILNS1_17partition_subalgoE1EyNS0_10empty_typeEbEEZZNS1_14partition_implILS5_1ELb0ES3_jN6thrust23THRUST_200600_302600_NS6detail15normal_iteratorINSA_10device_ptrIyEEEEPS6_NSA_18transform_iteratorI7is_evenIyESF_NSA_11use_defaultESK_EENS0_5tupleIJSF_NSA_16discard_iteratorISK_EEEEENSM_IJSG_SG_EEES6_PlJS6_EEE10hipError_tPvRmT3_T4_T5_T6_T7_T9_mT8_P12ihipStream_tbDpT10_ENKUlT_T0_E_clISt17integral_constantIbLb0EES1B_EEDaS16_S17_EUlS16_E_NS1_11comp_targetILNS1_3genE4ELNS1_11target_archE910ELNS1_3gpuE8ELNS1_3repE0EEENS1_30default_config_static_selectorELNS0_4arch9wavefront6targetE1EEEvT1_
	.p2align	8
	.type	_ZN7rocprim17ROCPRIM_400000_NS6detail17trampoline_kernelINS0_14default_configENS1_25partition_config_selectorILNS1_17partition_subalgoE1EyNS0_10empty_typeEbEEZZNS1_14partition_implILS5_1ELb0ES3_jN6thrust23THRUST_200600_302600_NS6detail15normal_iteratorINSA_10device_ptrIyEEEEPS6_NSA_18transform_iteratorI7is_evenIyESF_NSA_11use_defaultESK_EENS0_5tupleIJSF_NSA_16discard_iteratorISK_EEEEENSM_IJSG_SG_EEES6_PlJS6_EEE10hipError_tPvRmT3_T4_T5_T6_T7_T9_mT8_P12ihipStream_tbDpT10_ENKUlT_T0_E_clISt17integral_constantIbLb0EES1B_EEDaS16_S17_EUlS16_E_NS1_11comp_targetILNS1_3genE4ELNS1_11target_archE910ELNS1_3gpuE8ELNS1_3repE0EEENS1_30default_config_static_selectorELNS0_4arch9wavefront6targetE1EEEvT1_,@function
_ZN7rocprim17ROCPRIM_400000_NS6detail17trampoline_kernelINS0_14default_configENS1_25partition_config_selectorILNS1_17partition_subalgoE1EyNS0_10empty_typeEbEEZZNS1_14partition_implILS5_1ELb0ES3_jN6thrust23THRUST_200600_302600_NS6detail15normal_iteratorINSA_10device_ptrIyEEEEPS6_NSA_18transform_iteratorI7is_evenIyESF_NSA_11use_defaultESK_EENS0_5tupleIJSF_NSA_16discard_iteratorISK_EEEEENSM_IJSG_SG_EEES6_PlJS6_EEE10hipError_tPvRmT3_T4_T5_T6_T7_T9_mT8_P12ihipStream_tbDpT10_ENKUlT_T0_E_clISt17integral_constantIbLb0EES1B_EEDaS16_S17_EUlS16_E_NS1_11comp_targetILNS1_3genE4ELNS1_11target_archE910ELNS1_3gpuE8ELNS1_3repE0EEENS1_30default_config_static_selectorELNS0_4arch9wavefront6targetE1EEEvT1_: ; @_ZN7rocprim17ROCPRIM_400000_NS6detail17trampoline_kernelINS0_14default_configENS1_25partition_config_selectorILNS1_17partition_subalgoE1EyNS0_10empty_typeEbEEZZNS1_14partition_implILS5_1ELb0ES3_jN6thrust23THRUST_200600_302600_NS6detail15normal_iteratorINSA_10device_ptrIyEEEEPS6_NSA_18transform_iteratorI7is_evenIyESF_NSA_11use_defaultESK_EENS0_5tupleIJSF_NSA_16discard_iteratorISK_EEEEENSM_IJSG_SG_EEES6_PlJS6_EEE10hipError_tPvRmT3_T4_T5_T6_T7_T9_mT8_P12ihipStream_tbDpT10_ENKUlT_T0_E_clISt17integral_constantIbLb0EES1B_EEDaS16_S17_EUlS16_E_NS1_11comp_targetILNS1_3genE4ELNS1_11target_archE910ELNS1_3gpuE8ELNS1_3repE0EEENS1_30default_config_static_selectorELNS0_4arch9wavefront6targetE1EEEvT1_
; %bb.0:
	s_load_dwordx2 s[0:1], s[4:5], 0x68
	s_load_dwordx4 s[12:15], s[4:5], 0x8
	s_load_dwordx2 s[2:3], s[4:5], 0x20
	s_load_dwordx4 s[20:23], s[4:5], 0x58
	s_mul_i32 s10, s6, 0x300
	s_waitcnt lgkmcnt(0)
	v_mov_b32_e32 v3, s1
	s_load_dword s1, s[4:5], 0x80
	s_lshl_b64 s[8:9], s[14:15], 3
	s_add_u32 s7, s12, s8
	s_addc_u32 s12, s13, s9
	v_mov_b32_e32 v2, s0
	s_waitcnt lgkmcnt(0)
	s_add_i32 s13, s1, -1
	s_mulk_i32 s1, 0x300
	s_add_i32 s11, s1, s14
	s_sub_i32 s33, s0, s11
	s_addk_i32 s33, 0x300
	s_add_u32 s0, s14, s1
	s_addc_u32 s1, s15, 0
	s_cmp_eq_u32 s6, s13
	s_load_dwordx2 s[22:23], s[22:23], 0x0
	s_cselect_b64 s[24:25], -1, 0
	s_cmp_lg_u32 s6, s13
	s_mov_b32 s11, 0
	v_cmp_lt_u64_e32 vcc, s[0:1], v[2:3]
	s_cselect_b64 s[0:1], -1, 0
	s_or_b64 s[26:27], s[0:1], vcc
	s_lshl_b64 s[10:11], s[10:11], 3
	s_add_u32 s7, s7, s10
	s_addc_u32 s14, s12, s11
	s_mov_b64 s[0:1], -1
	s_and_b64 vcc, exec, s[26:27]
	v_lshlrev_b32_e32 v1, 3, v0
	v_lshrrev_b32_e32 v10, 2, v0
	s_cbranch_vccz .LBB2909_2
; %bb.1:
	v_mov_b32_e32 v3, s14
	v_add_co_u32_e32 v2, vcc, s7, v1
	v_addc_co_u32_e32 v3, vcc, 0, v3, vcc
	v_add_co_u32_e32 v4, vcc, 0x1000, v2
	v_addc_co_u32_e32 v5, vcc, 0, v3, vcc
	flat_load_dwordx2 v[6:7], v[2:3]
	flat_load_dwordx2 v[8:9], v[2:3] offset:1536
	flat_load_dwordx2 v[12:13], v[2:3] offset:3072
	;; [unrolled: 1-line block ×3, first 2 shown]
	v_add_u32_e32 v3, 0xc0, v0
	v_add_u32_e32 v4, 0x180, v0
	;; [unrolled: 1-line block ×3, first 2 shown]
	v_and_b32_e32 v2, 56, v10
	v_lshrrev_b32_e32 v3, 2, v3
	v_lshrrev_b32_e32 v4, 2, v4
	;; [unrolled: 1-line block ×3, first 2 shown]
	v_add_u32_e32 v2, v2, v1
	v_and_b32_e32 v3, 0x78, v3
	v_and_b32_e32 v4, 0xf8, v4
	;; [unrolled: 1-line block ×3, first 2 shown]
	v_add_u32_e32 v3, v3, v1
	v_add_u32_e32 v4, v4, v1
	;; [unrolled: 1-line block ×3, first 2 shown]
	s_mov_b64 s[0:1], 0
	s_waitcnt vmcnt(0) lgkmcnt(0)
	ds_write_b64 v2, v[6:7]
	ds_write_b64 v3, v[8:9] offset:1536
	ds_write_b64 v4, v[12:13] offset:3072
	;; [unrolled: 1-line block ×3, first 2 shown]
	s_waitcnt lgkmcnt(0)
	s_barrier
.LBB2909_2:
	s_andn2_b64 vcc, exec, s[0:1]
	v_cmp_gt_u32_e64 s[0:1], s33, v0
	s_cbranch_vccnz .LBB2909_12
; %bb.3:
                                        ; implicit-def: $vgpr2_vgpr3_vgpr4_vgpr5_vgpr6_vgpr7_vgpr8_vgpr9
	s_and_saveexec_b64 s[12:13], s[0:1]
	s_cbranch_execz .LBB2909_5
; %bb.4:
	v_mov_b32_e32 v3, s14
	v_add_co_u32_e32 v2, vcc, s7, v1
	v_addc_co_u32_e32 v3, vcc, 0, v3, vcc
	flat_load_dwordx2 v[2:3], v[2:3]
.LBB2909_5:
	s_or_b64 exec, exec, s[12:13]
	v_add_u32_e32 v11, 0xc0, v0
	v_cmp_gt_u32_e32 vcc, s33, v11
	s_and_saveexec_b64 s[0:1], vcc
	s_cbranch_execz .LBB2909_7
; %bb.6:
	v_mov_b32_e32 v5, s14
	v_add_co_u32_e32 v4, vcc, s7, v1
	v_addc_co_u32_e32 v5, vcc, 0, v5, vcc
	flat_load_dwordx2 v[4:5], v[4:5] offset:1536
.LBB2909_7:
	s_or_b64 exec, exec, s[0:1]
	v_add_u32_e32 v12, 0x180, v0
	v_cmp_gt_u32_e32 vcc, s33, v12
	s_and_saveexec_b64 s[0:1], vcc
	s_cbranch_execz .LBB2909_9
; %bb.8:
	v_mov_b32_e32 v7, s14
	v_add_co_u32_e32 v6, vcc, s7, v1
	v_addc_co_u32_e32 v7, vcc, 0, v7, vcc
	flat_load_dwordx2 v[6:7], v[6:7] offset:3072
.LBB2909_9:
	s_or_b64 exec, exec, s[0:1]
	v_add_u32_e32 v13, 0x240, v0
	v_cmp_gt_u32_e32 vcc, s33, v13
	s_and_saveexec_b64 s[0:1], vcc
	s_cbranch_execz .LBB2909_11
; %bb.10:
	v_lshlrev_b32_e32 v8, 3, v13
	v_mov_b32_e32 v9, s14
	v_add_co_u32_e32 v8, vcc, s7, v8
	v_addc_co_u32_e32 v9, vcc, 0, v9, vcc
	flat_load_dwordx2 v[8:9], v[8:9]
.LBB2909_11:
	s_or_b64 exec, exec, s[0:1]
	v_and_b32_e32 v10, 56, v10
	v_add_u32_e32 v10, v10, v1
	s_waitcnt vmcnt(0) lgkmcnt(0)
	ds_write_b64 v10, v[2:3]
	v_lshrrev_b32_e32 v2, 2, v11
	v_and_b32_e32 v2, 0x78, v2
	v_add_u32_e32 v2, v2, v1
	ds_write_b64 v2, v[4:5] offset:1536
	v_lshrrev_b32_e32 v2, 2, v12
	v_and_b32_e32 v2, 0xf8, v2
	v_add_u32_e32 v2, v2, v1
	ds_write_b64 v2, v[6:7] offset:3072
	;; [unrolled: 4-line block ×3, first 2 shown]
	s_waitcnt lgkmcnt(0)
	s_barrier
.LBB2909_12:
	v_lshlrev_b32_e32 v20, 2, v0
	v_lshrrev_b32_e32 v10, 3, v0
	v_add_lshl_u32 v2, v10, v20, 3
	s_waitcnt lgkmcnt(0)
	ds_read2_b64 v[6:9], v2 offset1:1
	ds_read2_b64 v[2:5], v2 offset0:2 offset1:3
	s_add_u32 s0, s2, s8
	s_addc_u32 s1, s3, s9
	s_add_u32 s0, s0, s10
	s_addc_u32 s1, s1, s11
	s_mov_b64 s[2:3], -1
	s_and_b64 vcc, exec, s[26:27]
	v_lshrrev_b32_e32 v11, 5, v0
	s_waitcnt lgkmcnt(0)
	s_barrier
	s_cbranch_vccz .LBB2909_14
; %bb.13:
	global_load_dwordx2 v[12:13], v1, s[0:1]
	global_load_dwordx2 v[14:15], v1, s[0:1] offset:1536
	global_load_dwordx2 v[16:17], v1, s[0:1] offset:3072
	v_mov_b32_e32 v18, s1
	s_waitcnt vmcnt(2)
	v_add_co_u32_e32 v13, vcc, s0, v1
	s_waitcnt vmcnt(1)
	v_addc_co_u32_e32 v15, vcc, 0, v18, vcc
	v_add_co_u32_e32 v18, vcc, 0x1000, v13
	v_addc_co_u32_e32 v19, vcc, 0, v15, vcc
	global_load_dwordx2 v[18:19], v[18:19], off offset:512
	v_add_u32_e32 v15, 0xc0, v0
	s_waitcnt vmcnt(1)
	v_add_u32_e32 v17, 0x180, v0
	v_and_b32_e32 v13, 4, v11
	s_waitcnt vmcnt(0)
	v_add_u32_e32 v19, 0x240, v0
	v_lshrrev_b32_e32 v15, 5, v15
	v_lshrrev_b32_e32 v17, 5, v17
	v_add_u32_e32 v13, v13, v0
	v_lshrrev_b32_e32 v19, 5, v19
	v_and_b32_e32 v15, 12, v15
	v_and_b32_e32 v17, 28, v17
	;; [unrolled: 1-line block ×3, first 2 shown]
	v_add_u32_e32 v15, v15, v0
	v_add_u32_e32 v17, v17, v0
	;; [unrolled: 1-line block ×3, first 2 shown]
	s_mov_b64 s[2:3], 0
	v_xor_b32_e32 v12, -1, v12
	v_xor_b32_e32 v14, -1, v14
	;; [unrolled: 1-line block ×3, first 2 shown]
	v_and_b32_e32 v12, 1, v12
	v_and_b32_e32 v14, 1, v14
	;; [unrolled: 1-line block ×3, first 2 shown]
	ds_write_b8 v13, v12
	ds_write_b8 v15, v14 offset:192
	ds_write_b8 v17, v16 offset:384
	v_xor_b32_e32 v12, -1, v18
	v_and_b32_e32 v12, 1, v12
	ds_write_b8 v19, v12 offset:576
	s_waitcnt lgkmcnt(0)
	s_barrier
.LBB2909_14:
	s_load_dwordx2 s[28:29], s[4:5], 0x78
	s_andn2_b64 vcc, exec, s[2:3]
	s_cbranch_vccnz .LBB2909_24
; %bb.15:
	v_cmp_gt_u32_e32 vcc, s33, v0
	v_mov_b32_e32 v12, 0
	v_mov_b32_e32 v13, 0
	s_and_saveexec_b64 s[2:3], vcc
	s_cbranch_execz .LBB2909_17
; %bb.16:
	global_load_dwordx2 v[14:15], v1, s[0:1]
	s_waitcnt vmcnt(0)
	v_xor_b32_e32 v13, -1, v14
	v_and_b32_e32 v13, 1, v13
.LBB2909_17:
	s_or_b64 exec, exec, s[2:3]
	v_add_u32_e32 v14, 0xc0, v0
	v_cmp_gt_u32_e32 vcc, s33, v14
	s_and_saveexec_b64 s[2:3], vcc
	s_cbranch_execz .LBB2909_19
; %bb.18:
	global_load_dwordx2 v[16:17], v1, s[0:1] offset:1536
	s_waitcnt vmcnt(0)
	v_xor_b32_e32 v12, -1, v16
	v_and_b32_e32 v12, 1, v12
.LBB2909_19:
	s_or_b64 exec, exec, s[2:3]
	v_add_u32_e32 v16, 0x180, v0
	v_cmp_gt_u32_e32 vcc, s33, v16
	v_mov_b32_e32 v15, 0
	v_mov_b32_e32 v17, 0
	s_and_saveexec_b64 s[2:3], vcc
	s_cbranch_execz .LBB2909_21
; %bb.20:
	global_load_dwordx2 v[18:19], v1, s[0:1] offset:3072
	s_waitcnt vmcnt(0)
	v_xor_b32_e32 v17, -1, v18
	v_and_b32_e32 v17, 1, v17
.LBB2909_21:
	s_or_b64 exec, exec, s[2:3]
	v_add_u32_e32 v18, 0x240, v0
	v_cmp_gt_u32_e32 vcc, s33, v18
	s_and_saveexec_b64 s[2:3], vcc
	s_cbranch_execz .LBB2909_23
; %bb.22:
	v_lshlrev_b32_e32 v15, 3, v18
	global_load_dwordx2 v[22:23], v15, s[0:1]
	s_waitcnt vmcnt(0)
	v_xor_b32_e32 v15, -1, v22
	v_and_b32_e32 v15, 1, v15
.LBB2909_23:
	s_or_b64 exec, exec, s[2:3]
	v_and_b32_e32 v11, 4, v11
	v_add_u32_e32 v11, v11, v0
	ds_write_b8 v11, v13
	v_lshrrev_b32_e32 v11, 5, v14
	v_and_b32_e32 v11, 12, v11
	v_add_u32_e32 v11, v11, v0
	ds_write_b8 v11, v12 offset:192
	v_lshrrev_b32_e32 v11, 5, v16
	v_and_b32_e32 v11, 28, v11
	v_add_u32_e32 v11, v11, v0
	ds_write_b8 v11, v17 offset:384
	v_lshrrev_b32_e32 v11, 5, v18
	v_and_b32_e32 v11, 28, v11
	v_add_u32_e32 v11, v11, v0
	ds_write_b8 v11, v15 offset:576
	s_waitcnt lgkmcnt(0)
	s_barrier
.LBB2909_24:
	v_and_b32_e32 v10, 28, v10
	v_add_u32_e32 v10, v10, v20
	s_waitcnt lgkmcnt(0)
	ds_read_b32 v22, v10
	s_cmp_lg_u32 s6, 0
	v_lshrrev_b32_e32 v25, 6, v0
	s_waitcnt lgkmcnt(0)
	s_barrier
	v_lshrrev_b32_e32 v21, 24, v22
	v_bfe_u32 v23, v22, 16, 8
	v_add_u32_sdwa v10, v22, v22 dst_sel:DWORD dst_unused:UNUSED_PAD src0_sel:BYTE_1 src1_sel:BYTE_0
	v_add3_u32 v26, v10, v23, v21
	v_mbcnt_lo_u32_b32 v10, -1, 0
	v_mbcnt_hi_u32_b32 v24, -1, v10
	v_and_b32_e32 v10, 15, v24
	v_cmp_eq_u32_e64 s[14:15], 0, v10
	v_cmp_lt_u32_e64 s[12:13], 1, v10
	v_cmp_lt_u32_e64 s[10:11], 3, v10
	;; [unrolled: 1-line block ×3, first 2 shown]
	v_and_b32_e32 v10, 16, v24
	v_cmp_eq_u32_e64 s[2:3], 0, v10
	v_and_b32_e32 v10, 0xc0, v0
	v_min_u32_e32 v10, 0x80, v10
	v_or_b32_e32 v10, 63, v10
	v_cmp_lt_u32_e64 s[0:1], 31, v24
	v_cmp_eq_u32_e64 s[18:19], v10, v0
	s_cbranch_scc0 .LBB2909_51
; %bb.25:
	v_mov_b32_dpp v10, v26 row_shr:1 row_mask:0xf bank_mask:0xf
	v_cndmask_b32_e64 v10, v10, 0, s[14:15]
	v_add_u32_e32 v10, v10, v26
	s_nop 1
	v_mov_b32_dpp v11, v10 row_shr:2 row_mask:0xf bank_mask:0xf
	v_cndmask_b32_e64 v11, 0, v11, s[12:13]
	v_add_u32_e32 v10, v10, v11
	s_nop 1
	;; [unrolled: 4-line block ×4, first 2 shown]
	v_mov_b32_dpp v11, v10 row_bcast:15 row_mask:0xf bank_mask:0xf
	v_cndmask_b32_e64 v11, v11, 0, s[2:3]
	v_add_u32_e32 v10, v10, v11
	s_nop 1
	v_mov_b32_dpp v11, v10 row_bcast:31 row_mask:0xf bank_mask:0xf
	v_cndmask_b32_e64 v11, 0, v11, s[0:1]
	v_add_u32_e32 v10, v10, v11
	s_and_saveexec_b64 s[16:17], s[18:19]
	s_cbranch_execz .LBB2909_27
; %bb.26:
	v_lshlrev_b32_e32 v11, 2, v25
	ds_write_b32 v11, v10
.LBB2909_27:
	s_or_b64 exec, exec, s[16:17]
	v_cmp_gt_u32_e32 vcc, 3, v0
	s_waitcnt lgkmcnt(0)
	s_barrier
	s_and_saveexec_b64 s[16:17], vcc
	s_cbranch_execz .LBB2909_29
; %bb.28:
	ds_read_b32 v11, v20
	v_and_b32_e32 v12, 3, v24
	v_cmp_ne_u32_e32 vcc, 0, v12
	s_waitcnt lgkmcnt(0)
	v_mov_b32_dpp v13, v11 row_shr:1 row_mask:0xf bank_mask:0xf
	v_cndmask_b32_e32 v13, 0, v13, vcc
	v_add_u32_e32 v11, v13, v11
	v_cmp_lt_u32_e32 vcc, 1, v12
	s_nop 0
	v_mov_b32_dpp v13, v11 row_shr:2 row_mask:0xf bank_mask:0xf
	v_cndmask_b32_e32 v12, 0, v13, vcc
	v_add_u32_e32 v11, v11, v12
	ds_write_b32 v20, v11
.LBB2909_29:
	s_or_b64 exec, exec, s[16:17]
	v_cmp_gt_u32_e32 vcc, 64, v0
	v_cmp_lt_u32_e64 s[16:17], 63, v0
	s_waitcnt lgkmcnt(0)
	s_barrier
	s_waitcnt lgkmcnt(0)
                                        ; implicit-def: $vgpr27
	s_and_saveexec_b64 s[30:31], s[16:17]
	s_cbranch_execz .LBB2909_31
; %bb.30:
	v_lshl_add_u32 v11, v25, 2, -4
	ds_read_b32 v27, v11
	s_waitcnt lgkmcnt(0)
	v_add_u32_e32 v10, v27, v10
.LBB2909_31:
	s_or_b64 exec, exec, s[30:31]
	v_add_u32_e32 v11, -1, v24
	v_and_b32_e32 v12, 64, v24
	v_cmp_lt_i32_e64 s[16:17], v11, v12
	v_cndmask_b32_e64 v11, v11, v24, s[16:17]
	v_lshlrev_b32_e32 v11, 2, v11
	ds_bpermute_b32 v28, v11, v10
	v_cmp_eq_u32_e64 s[16:17], 0, v24
	s_and_saveexec_b64 s[30:31], vcc
	s_cbranch_execz .LBB2909_50
; %bb.32:
	v_mov_b32_e32 v17, 0
	ds_read_b32 v10, v17 offset:8
	s_and_saveexec_b64 s[34:35], s[16:17]
	s_cbranch_execz .LBB2909_34
; %bb.33:
	s_add_i32 s36, s6, 64
	s_mov_b32 s37, 0
	s_lshl_b64 s[36:37], s[36:37], 3
	s_add_u32 s36, s28, s36
	v_mov_b32_e32 v11, 1
	s_addc_u32 s37, s29, s37
	s_waitcnt lgkmcnt(0)
	global_store_dwordx2 v17, v[10:11], s[36:37]
.LBB2909_34:
	s_or_b64 exec, exec, s[34:35]
	v_xad_u32 v12, v24, -1, s6
	v_add_u32_e32 v16, 64, v12
	v_lshlrev_b64 v[14:15], 3, v[16:17]
	v_mov_b32_e32 v11, s29
	v_add_co_u32_e32 v18, vcc, s28, v14
	v_addc_co_u32_e32 v19, vcc, v11, v15, vcc
	global_load_dwordx2 v[14:15], v[18:19], off glc
	s_waitcnt vmcnt(0)
	v_cmp_eq_u16_sdwa s[36:37], v15, v17 src0_sel:BYTE_0 src1_sel:DWORD
	s_and_saveexec_b64 s[34:35], s[36:37]
	s_cbranch_execz .LBB2909_38
; %bb.35:
	s_mov_b64 s[36:37], 0
	v_mov_b32_e32 v11, 0
.LBB2909_36:                            ; =>This Inner Loop Header: Depth=1
	global_load_dwordx2 v[14:15], v[18:19], off glc
	s_waitcnt vmcnt(0)
	v_cmp_ne_u16_sdwa s[38:39], v15, v11 src0_sel:BYTE_0 src1_sel:DWORD
	s_or_b64 s[36:37], s[38:39], s[36:37]
	s_andn2_b64 exec, exec, s[36:37]
	s_cbranch_execnz .LBB2909_36
; %bb.37:
	s_or_b64 exec, exec, s[36:37]
.LBB2909_38:
	s_or_b64 exec, exec, s[34:35]
	v_and_b32_e32 v30, 63, v24
	v_mov_b32_e32 v29, 2
	v_cmp_ne_u32_e32 vcc, 63, v30
	v_cmp_eq_u16_sdwa s[34:35], v15, v29 src0_sel:BYTE_0 src1_sel:DWORD
	v_lshlrev_b64 v[16:17], v24, -1
	v_addc_co_u32_e32 v18, vcc, 0, v24, vcc
	v_and_b32_e32 v11, s35, v17
	v_lshlrev_b32_e32 v31, 2, v18
	v_or_b32_e32 v11, 0x80000000, v11
	ds_bpermute_b32 v18, v31, v14
	v_and_b32_e32 v13, s34, v16
	v_ffbl_b32_e32 v11, v11
	v_add_u32_e32 v11, 32, v11
	v_ffbl_b32_e32 v13, v13
	v_min_u32_e32 v11, v13, v11
	v_cmp_lt_u32_e32 vcc, v30, v11
	s_waitcnt lgkmcnt(0)
	v_cndmask_b32_e32 v13, 0, v18, vcc
	v_cmp_gt_u32_e32 vcc, 62, v30
	v_add_u32_e32 v13, v13, v14
	v_cndmask_b32_e64 v14, 0, 1, vcc
	v_lshlrev_b32_e32 v14, 1, v14
	v_add_lshl_u32 v32, v14, v24, 2
	ds_bpermute_b32 v14, v32, v13
	v_add_u32_e32 v33, 2, v30
	v_cmp_le_u32_e32 vcc, v33, v11
	v_add_u32_e32 v35, 4, v30
	v_add_u32_e32 v37, 8, v30
	s_waitcnt lgkmcnt(0)
	v_cndmask_b32_e32 v14, 0, v14, vcc
	v_cmp_gt_u32_e32 vcc, 60, v30
	v_add_u32_e32 v13, v13, v14
	v_cndmask_b32_e64 v14, 0, 1, vcc
	v_lshlrev_b32_e32 v14, 2, v14
	v_add_lshl_u32 v34, v14, v24, 2
	ds_bpermute_b32 v14, v34, v13
	v_cmp_le_u32_e32 vcc, v35, v11
	v_add_u32_e32 v39, 16, v30
	v_add_u32_e32 v41, 32, v30
	s_waitcnt lgkmcnt(0)
	v_cndmask_b32_e32 v14, 0, v14, vcc
	v_cmp_gt_u32_e32 vcc, 56, v30
	v_add_u32_e32 v13, v13, v14
	v_cndmask_b32_e64 v14, 0, 1, vcc
	v_lshlrev_b32_e32 v14, 3, v14
	v_add_lshl_u32 v36, v14, v24, 2
	ds_bpermute_b32 v14, v36, v13
	v_cmp_le_u32_e32 vcc, v37, v11
	s_waitcnt lgkmcnt(0)
	v_cndmask_b32_e32 v14, 0, v14, vcc
	v_cmp_gt_u32_e32 vcc, 48, v30
	v_add_u32_e32 v13, v13, v14
	v_cndmask_b32_e64 v14, 0, 1, vcc
	v_lshlrev_b32_e32 v14, 4, v14
	v_add_lshl_u32 v38, v14, v24, 2
	ds_bpermute_b32 v14, v38, v13
	v_cmp_le_u32_e32 vcc, v39, v11
	;; [unrolled: 9-line block ×3, first 2 shown]
	s_waitcnt lgkmcnt(0)
	v_cndmask_b32_e32 v11, 0, v14, vcc
	v_add_u32_e32 v14, v13, v11
	v_mov_b32_e32 v13, 0
	s_branch .LBB2909_40
.LBB2909_39:                            ;   in Loop: Header=BB2909_40 Depth=1
	s_or_b64 exec, exec, s[34:35]
	v_cmp_eq_u16_sdwa s[34:35], v15, v29 src0_sel:BYTE_0 src1_sel:DWORD
	v_and_b32_e32 v18, s35, v17
	v_or_b32_e32 v18, 0x80000000, v18
	ds_bpermute_b32 v42, v31, v14
	v_and_b32_e32 v19, s34, v16
	v_ffbl_b32_e32 v18, v18
	v_add_u32_e32 v18, 32, v18
	v_ffbl_b32_e32 v19, v19
	v_min_u32_e32 v18, v19, v18
	v_cmp_lt_u32_e32 vcc, v30, v18
	s_waitcnt lgkmcnt(0)
	v_cndmask_b32_e32 v19, 0, v42, vcc
	v_add_u32_e32 v14, v19, v14
	ds_bpermute_b32 v19, v32, v14
	v_cmp_le_u32_e32 vcc, v33, v18
	v_subrev_u32_e32 v12, 64, v12
	s_waitcnt lgkmcnt(0)
	v_cndmask_b32_e32 v19, 0, v19, vcc
	v_add_u32_e32 v14, v14, v19
	ds_bpermute_b32 v19, v34, v14
	v_cmp_le_u32_e32 vcc, v35, v18
	s_waitcnt lgkmcnt(0)
	v_cndmask_b32_e32 v19, 0, v19, vcc
	v_add_u32_e32 v14, v14, v19
	ds_bpermute_b32 v19, v36, v14
	v_cmp_le_u32_e32 vcc, v37, v18
	;; [unrolled: 5-line block ×4, first 2 shown]
	s_waitcnt lgkmcnt(0)
	v_cndmask_b32_e32 v18, 0, v19, vcc
	v_add3_u32 v14, v18, v11, v14
.LBB2909_40:                            ; =>This Loop Header: Depth=1
                                        ;     Child Loop BB2909_43 Depth 2
	v_cmp_ne_u16_sdwa s[34:35], v15, v29 src0_sel:BYTE_0 src1_sel:DWORD
	v_cndmask_b32_e64 v11, 0, 1, s[34:35]
	;;#ASMSTART
	;;#ASMEND
	v_cmp_ne_u32_e32 vcc, 0, v11
	s_cmp_lg_u64 vcc, exec
	v_mov_b32_e32 v11, v14
	s_cbranch_scc1 .LBB2909_45
; %bb.41:                               ;   in Loop: Header=BB2909_40 Depth=1
	v_lshlrev_b64 v[14:15], 3, v[12:13]
	v_mov_b32_e32 v19, s29
	v_add_co_u32_e32 v18, vcc, s28, v14
	v_addc_co_u32_e32 v19, vcc, v19, v15, vcc
	global_load_dwordx2 v[14:15], v[18:19], off glc
	s_waitcnt vmcnt(0)
	v_cmp_eq_u16_sdwa s[36:37], v15, v13 src0_sel:BYTE_0 src1_sel:DWORD
	s_and_saveexec_b64 s[34:35], s[36:37]
	s_cbranch_execz .LBB2909_39
; %bb.42:                               ;   in Loop: Header=BB2909_40 Depth=1
	s_mov_b64 s[36:37], 0
.LBB2909_43:                            ;   Parent Loop BB2909_40 Depth=1
                                        ; =>  This Inner Loop Header: Depth=2
	global_load_dwordx2 v[14:15], v[18:19], off glc
	s_waitcnt vmcnt(0)
	v_cmp_ne_u16_sdwa s[38:39], v15, v13 src0_sel:BYTE_0 src1_sel:DWORD
	s_or_b64 s[36:37], s[38:39], s[36:37]
	s_andn2_b64 exec, exec, s[36:37]
	s_cbranch_execnz .LBB2909_43
; %bb.44:                               ;   in Loop: Header=BB2909_40 Depth=1
	s_or_b64 exec, exec, s[36:37]
	s_branch .LBB2909_39
.LBB2909_45:                            ;   in Loop: Header=BB2909_40 Depth=1
                                        ; implicit-def: $vgpr14
                                        ; implicit-def: $vgpr15
	s_cbranch_execz .LBB2909_40
; %bb.46:
	s_and_saveexec_b64 s[34:35], s[16:17]
	s_cbranch_execz .LBB2909_48
; %bb.47:
	s_add_i32 s6, s6, 64
	s_mov_b32 s7, 0
	s_lshl_b64 s[6:7], s[6:7], 3
	s_add_u32 s6, s28, s6
	v_add_u32_e32 v12, v11, v10
	v_mov_b32_e32 v13, 2
	s_addc_u32 s7, s29, s7
	v_mov_b32_e32 v14, 0
	global_store_dwordx2 v14, v[12:13], s[6:7]
	ds_write_b64 v14, v[10:11] offset:6336
.LBB2909_48:
	s_or_b64 exec, exec, s[34:35]
	v_cmp_eq_u32_e32 vcc, 0, v0
	s_and_b64 exec, exec, vcc
	s_cbranch_execz .LBB2909_50
; %bb.49:
	v_mov_b32_e32 v10, 0
	ds_write_b32 v10, v11 offset:8
.LBB2909_50:
	s_or_b64 exec, exec, s[30:31]
	v_mov_b32_e32 v10, 0
	s_waitcnt lgkmcnt(0)
	s_barrier
	ds_read_b32 v11, v10 offset:8
	v_cndmask_b32_e64 v12, v28, v27, s[16:17]
	v_cmp_ne_u32_e32 vcc, 0, v0
	v_cndmask_b32_e32 v12, 0, v12, vcc
	s_waitcnt lgkmcnt(0)
	v_add_u32_e32 v15, v11, v12
	s_barrier
	ds_read_b64 v[10:11], v10 offset:6336
	v_add_u32_sdwa v16, v15, v22 dst_sel:DWORD dst_unused:UNUSED_PAD src0_sel:DWORD src1_sel:BYTE_0
	v_add_u32_sdwa v14, v16, v22 dst_sel:DWORD dst_unused:UNUSED_PAD src0_sel:DWORD src1_sel:BYTE_1
	v_add_u32_e32 v13, v14, v23
	s_waitcnt lgkmcnt(0)
	v_mov_b32_e32 v12, v11
	s_load_dwordx2 s[4:5], s[4:5], 0x30
	s_branch .LBB2909_61
.LBB2909_51:
                                        ; implicit-def: $vgpr12
                                        ; implicit-def: $vgpr10
                                        ; implicit-def: $vgpr13
                                        ; implicit-def: $vgpr14
                                        ; implicit-def: $vgpr16
                                        ; implicit-def: $vgpr15
	s_load_dwordx2 s[4:5], s[4:5], 0x30
	s_cbranch_execz .LBB2909_61
; %bb.52:
	v_mov_b32_dpp v10, v26 row_shr:1 row_mask:0xf bank_mask:0xf
	v_cndmask_b32_e64 v10, v10, 0, s[14:15]
	v_add_u32_e32 v10, v10, v26
	s_nop 1
	v_mov_b32_dpp v11, v10 row_shr:2 row_mask:0xf bank_mask:0xf
	v_cndmask_b32_e64 v11, 0, v11, s[12:13]
	v_add_u32_e32 v10, v10, v11
	s_nop 1
	;; [unrolled: 4-line block ×4, first 2 shown]
	v_mov_b32_dpp v11, v10 row_bcast:15 row_mask:0xf bank_mask:0xf
	v_cndmask_b32_e64 v11, v11, 0, s[2:3]
	v_add_u32_e32 v10, v10, v11
	s_nop 1
	v_mov_b32_dpp v11, v10 row_bcast:31 row_mask:0xf bank_mask:0xf
	v_cndmask_b32_e64 v11, 0, v11, s[0:1]
	v_add_u32_e32 v10, v10, v11
	s_and_saveexec_b64 s[0:1], s[18:19]
	s_cbranch_execz .LBB2909_54
; %bb.53:
	v_lshlrev_b32_e32 v11, 2, v25
	ds_write_b32 v11, v10
.LBB2909_54:
	s_or_b64 exec, exec, s[0:1]
	v_cmp_gt_u32_e32 vcc, 3, v0
	s_waitcnt lgkmcnt(0)
	s_barrier
	s_and_saveexec_b64 s[0:1], vcc
	s_cbranch_execz .LBB2909_56
; %bb.55:
	ds_read_b32 v11, v20
	v_and_b32_e32 v12, 3, v24
	v_cmp_ne_u32_e32 vcc, 0, v12
	s_waitcnt lgkmcnt(0)
	v_mov_b32_dpp v13, v11 row_shr:1 row_mask:0xf bank_mask:0xf
	v_cndmask_b32_e32 v13, 0, v13, vcc
	v_add_u32_e32 v11, v13, v11
	v_cmp_lt_u32_e32 vcc, 1, v12
	s_nop 0
	v_mov_b32_dpp v13, v11 row_shr:2 row_mask:0xf bank_mask:0xf
	v_cndmask_b32_e32 v12, 0, v13, vcc
	v_add_u32_e32 v11, v11, v12
	ds_write_b32 v20, v11
.LBB2909_56:
	s_or_b64 exec, exec, s[0:1]
	v_cmp_lt_u32_e32 vcc, 63, v0
	v_mov_b32_e32 v11, 0
	v_mov_b32_e32 v12, 0
	s_waitcnt lgkmcnt(0)
	s_barrier
	s_and_saveexec_b64 s[0:1], vcc
	s_cbranch_execz .LBB2909_58
; %bb.57:
	v_lshl_add_u32 v12, v25, 2, -4
	ds_read_b32 v12, v12
.LBB2909_58:
	s_or_b64 exec, exec, s[0:1]
	v_add_u32_e32 v13, -1, v24
	v_and_b32_e32 v14, 64, v24
	v_cmp_lt_i32_e32 vcc, v13, v14
	v_cndmask_b32_e32 v13, v13, v24, vcc
	s_waitcnt lgkmcnt(0)
	v_add_u32_e32 v10, v12, v10
	v_lshlrev_b32_e32 v13, 2, v13
	ds_bpermute_b32 v13, v13, v10
	ds_read_b32 v10, v11 offset:8
	v_cmp_eq_u32_e32 vcc, 0, v0
	s_and_saveexec_b64 s[0:1], vcc
	s_cbranch_execz .LBB2909_60
; %bb.59:
	v_mov_b32_e32 v14, 0
	v_mov_b32_e32 v11, 2
	s_waitcnt lgkmcnt(0)
	global_store_dwordx2 v14, v[10:11], s[28:29] offset:512
.LBB2909_60:
	s_or_b64 exec, exec, s[0:1]
	v_cmp_eq_u32_e64 s[0:1], 0, v24
	s_waitcnt lgkmcnt(1)
	v_cndmask_b32_e64 v11, v13, v12, s[0:1]
	v_cndmask_b32_e64 v15, v11, 0, vcc
	v_add_u32_sdwa v16, v15, v22 dst_sel:DWORD dst_unused:UNUSED_PAD src0_sel:DWORD src1_sel:BYTE_0
	v_add_u32_sdwa v14, v16, v22 dst_sel:DWORD dst_unused:UNUSED_PAD src0_sel:DWORD src1_sel:BYTE_1
	v_mov_b32_e32 v12, 0
	v_add_u32_e32 v13, v14, v23
	s_waitcnt lgkmcnt(0)
	s_barrier
.LBB2909_61:
	v_add_u32_e32 v17, v10, v20
	v_sub_u32_e32 v15, v15, v12
	v_and_b32_e32 v19, 1, v22
	v_sub_u32_e32 v18, v17, v15
	v_cmp_eq_u32_e32 vcc, 1, v19
	v_cndmask_b32_e32 v15, v18, v15, vcc
	v_lshlrev_b32_e32 v15, 3, v15
	v_lshrrev_b32_e32 v11, 8, v22
	ds_write_b64 v15, v[6:7]
	v_sub_u32_e32 v6, v16, v12
	v_sub_u32_e32 v7, v17, v6
	v_and_b32_e32 v11, 1, v11
	v_add_u32_e32 v7, 1, v7
	v_cmp_eq_u32_e32 vcc, 1, v11
	v_cndmask_b32_e32 v6, v7, v6, vcc
	v_lshlrev_b32_e32 v6, 3, v6
	ds_write_b64 v6, v[8:9]
	v_sub_u32_e32 v6, v14, v12
	v_mov_b32_e32 v8, 1
	v_sub_u32_e32 v7, v17, v6
	v_and_b32_sdwa v8, v8, v22 dst_sel:DWORD dst_unused:UNUSED_PAD src0_sel:DWORD src1_sel:WORD_1
	v_add_u32_e32 v7, 2, v7
	v_cmp_eq_u32_e32 vcc, 1, v8
	v_cndmask_b32_e32 v6, v7, v6, vcc
	v_lshlrev_b32_e32 v6, 3, v6
	ds_write_b64 v6, v[2:3]
	v_sub_u32_e32 v2, v13, v12
	v_sub_u32_e32 v3, v17, v2
	v_and_b32_e32 v6, 1, v21
	v_add_u32_e32 v3, 3, v3
	v_cmp_eq_u32_e32 vcc, 1, v6
	v_cndmask_b32_e32 v2, v3, v2, vcc
	v_lshlrev_b32_e32 v2, 3, v2
	ds_write_b64 v2, v[4:5]
	s_waitcnt lgkmcnt(0)
	s_barrier
	ds_read2st64_b64 v[6:9], v1 offset1:3
	ds_read2st64_b64 v[2:5], v1 offset0:6 offset1:9
	v_add_u32_e32 v17, 0xc0, v0
	v_add_u32_e32 v16, 0x180, v0
	s_andn2_b64 vcc, exec, s[26:27]
	v_add_u32_e32 v11, 0x240, v0
	s_cbranch_vccnz .LBB2909_67
; %bb.62:
	s_lshl_b64 s[0:1], s[22:23], 3
	v_mov_b32_e32 v13, 0
	s_add_u32 s0, s4, s0
	s_addc_u32 s1, s5, s1
	v_lshlrev_b64 v[14:15], 3, v[12:13]
	v_mov_b32_e32 v13, s1
	v_add_co_u32_e32 v14, vcc, s0, v14
	v_addc_co_u32_e32 v15, vcc, v13, v15, vcc
	v_cmp_lt_u32_e32 vcc, v0, v10
	s_and_saveexec_b64 s[0:1], vcc
	s_cbranch_execnz .LBB2909_78
; %bb.63:
	s_or_b64 exec, exec, s[0:1]
	v_cmp_lt_u32_e32 vcc, v17, v10
	s_and_saveexec_b64 s[0:1], vcc
	s_cbranch_execnz .LBB2909_79
.LBB2909_64:
	s_or_b64 exec, exec, s[0:1]
	v_cmp_lt_u32_e32 vcc, v16, v10
	s_and_saveexec_b64 s[0:1], vcc
	s_cbranch_execz .LBB2909_66
.LBB2909_65:
	v_readfirstlane_b32 s2, v14
	v_readfirstlane_b32 s3, v15
	s_waitcnt lgkmcnt(0)
	s_nop 3
	global_store_dwordx2 v1, v[2:3], s[2:3] offset:3072
.LBB2909_66:
	s_or_b64 exec, exec, s[0:1]
	v_cmp_lt_u32_e64 s[0:1], v11, v10
	s_branch .LBB2909_73
.LBB2909_67:
	s_mov_b64 s[0:1], 0
                                        ; implicit-def: $vgpr14_vgpr15
	s_cbranch_execz .LBB2909_73
; %bb.68:
	s_lshl_b64 s[0:1], s[22:23], 3
	v_mov_b32_e32 v13, 0
	s_add_u32 s0, s4, s0
	s_addc_u32 s1, s5, s1
	v_lshlrev_b64 v[14:15], 3, v[12:13]
	v_mov_b32_e32 v13, s1
	v_add_co_u32_e32 v14, vcc, s0, v14
	v_min_u32_e32 v18, s33, v10
	v_addc_co_u32_e32 v15, vcc, v13, v15, vcc
	v_cmp_gt_u32_e32 vcc, v18, v0
	s_and_saveexec_b64 s[0:1], vcc
	s_cbranch_execnz .LBB2909_80
; %bb.69:
	s_or_b64 exec, exec, s[0:1]
	v_cmp_lt_u32_e32 vcc, v17, v18
	s_and_saveexec_b64 s[0:1], vcc
	s_cbranch_execnz .LBB2909_81
.LBB2909_70:
	s_or_b64 exec, exec, s[0:1]
	v_cmp_lt_u32_e32 vcc, v16, v18
	s_and_saveexec_b64 s[0:1], vcc
	s_cbranch_execz .LBB2909_72
.LBB2909_71:
	v_readfirstlane_b32 s2, v14
	v_readfirstlane_b32 s3, v15
	s_waitcnt lgkmcnt(0)
	s_nop 3
	global_store_dwordx2 v1, v[2:3], s[2:3] offset:3072
.LBB2909_72:
	s_or_b64 exec, exec, s[0:1]
	v_cmp_lt_u32_e64 s[0:1], v11, v18
.LBB2909_73:
	s_and_saveexec_b64 s[2:3], s[0:1]
	s_cbranch_execz .LBB2909_75
; %bb.74:
	v_lshlrev_b32_e32 v1, 3, v11
	v_readfirstlane_b32 s0, v14
	v_readfirstlane_b32 s1, v15
	s_waitcnt lgkmcnt(0)
	s_nop 3
	global_store_dwordx2 v1, v[4:5], s[0:1]
.LBB2909_75:
	s_or_b64 exec, exec, s[2:3]
	v_cmp_eq_u32_e32 vcc, 0, v0
	s_and_b64 s[0:1], vcc, s[24:25]
	s_and_saveexec_b64 s[2:3], s[0:1]
	s_cbranch_execz .LBB2909_77
; %bb.76:
	v_mov_b32_e32 v0, s23
	v_add_co_u32_e32 v1, vcc, s22, v10
	s_waitcnt lgkmcnt(0)
	v_addc_co_u32_e32 v3, vcc, 0, v0, vcc
	v_add_co_u32_e32 v0, vcc, v1, v12
	v_mov_b32_e32 v2, 0
	v_addc_co_u32_e32 v1, vcc, 0, v3, vcc
	global_store_dwordx2 v2, v[0:1], s[20:21]
.LBB2909_77:
	s_endpgm
.LBB2909_78:
	v_readfirstlane_b32 s2, v14
	v_readfirstlane_b32 s3, v15
	s_waitcnt lgkmcnt(1)
	s_nop 3
	global_store_dwordx2 v1, v[6:7], s[2:3]
	s_or_b64 exec, exec, s[0:1]
	v_cmp_lt_u32_e32 vcc, v17, v10
	s_and_saveexec_b64 s[0:1], vcc
	s_cbranch_execz .LBB2909_64
.LBB2909_79:
	v_readfirstlane_b32 s2, v14
	v_readfirstlane_b32 s3, v15
	s_waitcnt lgkmcnt(1)
	s_nop 3
	global_store_dwordx2 v1, v[8:9], s[2:3] offset:1536
	s_or_b64 exec, exec, s[0:1]
	v_cmp_lt_u32_e32 vcc, v16, v10
	s_and_saveexec_b64 s[0:1], vcc
	s_cbranch_execnz .LBB2909_65
	s_branch .LBB2909_66
.LBB2909_80:
	v_readfirstlane_b32 s2, v14
	v_readfirstlane_b32 s3, v15
	s_waitcnt lgkmcnt(1)
	s_nop 3
	global_store_dwordx2 v1, v[6:7], s[2:3]
	s_or_b64 exec, exec, s[0:1]
	v_cmp_lt_u32_e32 vcc, v17, v18
	s_and_saveexec_b64 s[0:1], vcc
	s_cbranch_execz .LBB2909_70
.LBB2909_81:
	v_readfirstlane_b32 s2, v14
	v_readfirstlane_b32 s3, v15
	s_waitcnt lgkmcnt(1)
	s_nop 3
	global_store_dwordx2 v1, v[8:9], s[2:3] offset:1536
	s_or_b64 exec, exec, s[0:1]
	v_cmp_lt_u32_e32 vcc, v16, v18
	s_and_saveexec_b64 s[0:1], vcc
	s_cbranch_execnz .LBB2909_71
	s_branch .LBB2909_72
	.section	.rodata,"a",@progbits
	.p2align	6, 0x0
	.amdhsa_kernel _ZN7rocprim17ROCPRIM_400000_NS6detail17trampoline_kernelINS0_14default_configENS1_25partition_config_selectorILNS1_17partition_subalgoE1EyNS0_10empty_typeEbEEZZNS1_14partition_implILS5_1ELb0ES3_jN6thrust23THRUST_200600_302600_NS6detail15normal_iteratorINSA_10device_ptrIyEEEEPS6_NSA_18transform_iteratorI7is_evenIyESF_NSA_11use_defaultESK_EENS0_5tupleIJSF_NSA_16discard_iteratorISK_EEEEENSM_IJSG_SG_EEES6_PlJS6_EEE10hipError_tPvRmT3_T4_T5_T6_T7_T9_mT8_P12ihipStream_tbDpT10_ENKUlT_T0_E_clISt17integral_constantIbLb0EES1B_EEDaS16_S17_EUlS16_E_NS1_11comp_targetILNS1_3genE4ELNS1_11target_archE910ELNS1_3gpuE8ELNS1_3repE0EEENS1_30default_config_static_selectorELNS0_4arch9wavefront6targetE1EEEvT1_
		.amdhsa_group_segment_fixed_size 6344
		.amdhsa_private_segment_fixed_size 0
		.amdhsa_kernarg_size 136
		.amdhsa_user_sgpr_count 6
		.amdhsa_user_sgpr_private_segment_buffer 1
		.amdhsa_user_sgpr_dispatch_ptr 0
		.amdhsa_user_sgpr_queue_ptr 0
		.amdhsa_user_sgpr_kernarg_segment_ptr 1
		.amdhsa_user_sgpr_dispatch_id 0
		.amdhsa_user_sgpr_flat_scratch_init 0
		.amdhsa_user_sgpr_kernarg_preload_length 0
		.amdhsa_user_sgpr_kernarg_preload_offset 0
		.amdhsa_user_sgpr_private_segment_size 0
		.amdhsa_uses_dynamic_stack 0
		.amdhsa_system_sgpr_private_segment_wavefront_offset 0
		.amdhsa_system_sgpr_workgroup_id_x 1
		.amdhsa_system_sgpr_workgroup_id_y 0
		.amdhsa_system_sgpr_workgroup_id_z 0
		.amdhsa_system_sgpr_workgroup_info 0
		.amdhsa_system_vgpr_workitem_id 0
		.amdhsa_next_free_vgpr 43
		.amdhsa_next_free_sgpr 40
		.amdhsa_accum_offset 44
		.amdhsa_reserve_vcc 1
		.amdhsa_reserve_flat_scratch 0
		.amdhsa_float_round_mode_32 0
		.amdhsa_float_round_mode_16_64 0
		.amdhsa_float_denorm_mode_32 3
		.amdhsa_float_denorm_mode_16_64 3
		.amdhsa_dx10_clamp 1
		.amdhsa_ieee_mode 1
		.amdhsa_fp16_overflow 0
		.amdhsa_tg_split 0
		.amdhsa_exception_fp_ieee_invalid_op 0
		.amdhsa_exception_fp_denorm_src 0
		.amdhsa_exception_fp_ieee_div_zero 0
		.amdhsa_exception_fp_ieee_overflow 0
		.amdhsa_exception_fp_ieee_underflow 0
		.amdhsa_exception_fp_ieee_inexact 0
		.amdhsa_exception_int_div_zero 0
	.end_amdhsa_kernel
	.section	.text._ZN7rocprim17ROCPRIM_400000_NS6detail17trampoline_kernelINS0_14default_configENS1_25partition_config_selectorILNS1_17partition_subalgoE1EyNS0_10empty_typeEbEEZZNS1_14partition_implILS5_1ELb0ES3_jN6thrust23THRUST_200600_302600_NS6detail15normal_iteratorINSA_10device_ptrIyEEEEPS6_NSA_18transform_iteratorI7is_evenIyESF_NSA_11use_defaultESK_EENS0_5tupleIJSF_NSA_16discard_iteratorISK_EEEEENSM_IJSG_SG_EEES6_PlJS6_EEE10hipError_tPvRmT3_T4_T5_T6_T7_T9_mT8_P12ihipStream_tbDpT10_ENKUlT_T0_E_clISt17integral_constantIbLb0EES1B_EEDaS16_S17_EUlS16_E_NS1_11comp_targetILNS1_3genE4ELNS1_11target_archE910ELNS1_3gpuE8ELNS1_3repE0EEENS1_30default_config_static_selectorELNS0_4arch9wavefront6targetE1EEEvT1_,"axG",@progbits,_ZN7rocprim17ROCPRIM_400000_NS6detail17trampoline_kernelINS0_14default_configENS1_25partition_config_selectorILNS1_17partition_subalgoE1EyNS0_10empty_typeEbEEZZNS1_14partition_implILS5_1ELb0ES3_jN6thrust23THRUST_200600_302600_NS6detail15normal_iteratorINSA_10device_ptrIyEEEEPS6_NSA_18transform_iteratorI7is_evenIyESF_NSA_11use_defaultESK_EENS0_5tupleIJSF_NSA_16discard_iteratorISK_EEEEENSM_IJSG_SG_EEES6_PlJS6_EEE10hipError_tPvRmT3_T4_T5_T6_T7_T9_mT8_P12ihipStream_tbDpT10_ENKUlT_T0_E_clISt17integral_constantIbLb0EES1B_EEDaS16_S17_EUlS16_E_NS1_11comp_targetILNS1_3genE4ELNS1_11target_archE910ELNS1_3gpuE8ELNS1_3repE0EEENS1_30default_config_static_selectorELNS0_4arch9wavefront6targetE1EEEvT1_,comdat
.Lfunc_end2909:
	.size	_ZN7rocprim17ROCPRIM_400000_NS6detail17trampoline_kernelINS0_14default_configENS1_25partition_config_selectorILNS1_17partition_subalgoE1EyNS0_10empty_typeEbEEZZNS1_14partition_implILS5_1ELb0ES3_jN6thrust23THRUST_200600_302600_NS6detail15normal_iteratorINSA_10device_ptrIyEEEEPS6_NSA_18transform_iteratorI7is_evenIyESF_NSA_11use_defaultESK_EENS0_5tupleIJSF_NSA_16discard_iteratorISK_EEEEENSM_IJSG_SG_EEES6_PlJS6_EEE10hipError_tPvRmT3_T4_T5_T6_T7_T9_mT8_P12ihipStream_tbDpT10_ENKUlT_T0_E_clISt17integral_constantIbLb0EES1B_EEDaS16_S17_EUlS16_E_NS1_11comp_targetILNS1_3genE4ELNS1_11target_archE910ELNS1_3gpuE8ELNS1_3repE0EEENS1_30default_config_static_selectorELNS0_4arch9wavefront6targetE1EEEvT1_, .Lfunc_end2909-_ZN7rocprim17ROCPRIM_400000_NS6detail17trampoline_kernelINS0_14default_configENS1_25partition_config_selectorILNS1_17partition_subalgoE1EyNS0_10empty_typeEbEEZZNS1_14partition_implILS5_1ELb0ES3_jN6thrust23THRUST_200600_302600_NS6detail15normal_iteratorINSA_10device_ptrIyEEEEPS6_NSA_18transform_iteratorI7is_evenIyESF_NSA_11use_defaultESK_EENS0_5tupleIJSF_NSA_16discard_iteratorISK_EEEEENSM_IJSG_SG_EEES6_PlJS6_EEE10hipError_tPvRmT3_T4_T5_T6_T7_T9_mT8_P12ihipStream_tbDpT10_ENKUlT_T0_E_clISt17integral_constantIbLb0EES1B_EEDaS16_S17_EUlS16_E_NS1_11comp_targetILNS1_3genE4ELNS1_11target_archE910ELNS1_3gpuE8ELNS1_3repE0EEENS1_30default_config_static_selectorELNS0_4arch9wavefront6targetE1EEEvT1_
                                        ; -- End function
	.section	.AMDGPU.csdata,"",@progbits
; Kernel info:
; codeLenInByte = 3972
; NumSgprs: 44
; NumVgprs: 43
; NumAgprs: 0
; TotalNumVgprs: 43
; ScratchSize: 0
; MemoryBound: 0
; FloatMode: 240
; IeeeMode: 1
; LDSByteSize: 6344 bytes/workgroup (compile time only)
; SGPRBlocks: 5
; VGPRBlocks: 5
; NumSGPRsForWavesPerEU: 44
; NumVGPRsForWavesPerEU: 43
; AccumOffset: 44
; Occupancy: 8
; WaveLimiterHint : 1
; COMPUTE_PGM_RSRC2:SCRATCH_EN: 0
; COMPUTE_PGM_RSRC2:USER_SGPR: 6
; COMPUTE_PGM_RSRC2:TRAP_HANDLER: 0
; COMPUTE_PGM_RSRC2:TGID_X_EN: 1
; COMPUTE_PGM_RSRC2:TGID_Y_EN: 0
; COMPUTE_PGM_RSRC2:TGID_Z_EN: 0
; COMPUTE_PGM_RSRC2:TIDIG_COMP_CNT: 0
; COMPUTE_PGM_RSRC3_GFX90A:ACCUM_OFFSET: 10
; COMPUTE_PGM_RSRC3_GFX90A:TG_SPLIT: 0
	.section	.text._ZN7rocprim17ROCPRIM_400000_NS6detail17trampoline_kernelINS0_14default_configENS1_25partition_config_selectorILNS1_17partition_subalgoE1EyNS0_10empty_typeEbEEZZNS1_14partition_implILS5_1ELb0ES3_jN6thrust23THRUST_200600_302600_NS6detail15normal_iteratorINSA_10device_ptrIyEEEEPS6_NSA_18transform_iteratorI7is_evenIyESF_NSA_11use_defaultESK_EENS0_5tupleIJSF_NSA_16discard_iteratorISK_EEEEENSM_IJSG_SG_EEES6_PlJS6_EEE10hipError_tPvRmT3_T4_T5_T6_T7_T9_mT8_P12ihipStream_tbDpT10_ENKUlT_T0_E_clISt17integral_constantIbLb0EES1B_EEDaS16_S17_EUlS16_E_NS1_11comp_targetILNS1_3genE3ELNS1_11target_archE908ELNS1_3gpuE7ELNS1_3repE0EEENS1_30default_config_static_selectorELNS0_4arch9wavefront6targetE1EEEvT1_,"axG",@progbits,_ZN7rocprim17ROCPRIM_400000_NS6detail17trampoline_kernelINS0_14default_configENS1_25partition_config_selectorILNS1_17partition_subalgoE1EyNS0_10empty_typeEbEEZZNS1_14partition_implILS5_1ELb0ES3_jN6thrust23THRUST_200600_302600_NS6detail15normal_iteratorINSA_10device_ptrIyEEEEPS6_NSA_18transform_iteratorI7is_evenIyESF_NSA_11use_defaultESK_EENS0_5tupleIJSF_NSA_16discard_iteratorISK_EEEEENSM_IJSG_SG_EEES6_PlJS6_EEE10hipError_tPvRmT3_T4_T5_T6_T7_T9_mT8_P12ihipStream_tbDpT10_ENKUlT_T0_E_clISt17integral_constantIbLb0EES1B_EEDaS16_S17_EUlS16_E_NS1_11comp_targetILNS1_3genE3ELNS1_11target_archE908ELNS1_3gpuE7ELNS1_3repE0EEENS1_30default_config_static_selectorELNS0_4arch9wavefront6targetE1EEEvT1_,comdat
	.protected	_ZN7rocprim17ROCPRIM_400000_NS6detail17trampoline_kernelINS0_14default_configENS1_25partition_config_selectorILNS1_17partition_subalgoE1EyNS0_10empty_typeEbEEZZNS1_14partition_implILS5_1ELb0ES3_jN6thrust23THRUST_200600_302600_NS6detail15normal_iteratorINSA_10device_ptrIyEEEEPS6_NSA_18transform_iteratorI7is_evenIyESF_NSA_11use_defaultESK_EENS0_5tupleIJSF_NSA_16discard_iteratorISK_EEEEENSM_IJSG_SG_EEES6_PlJS6_EEE10hipError_tPvRmT3_T4_T5_T6_T7_T9_mT8_P12ihipStream_tbDpT10_ENKUlT_T0_E_clISt17integral_constantIbLb0EES1B_EEDaS16_S17_EUlS16_E_NS1_11comp_targetILNS1_3genE3ELNS1_11target_archE908ELNS1_3gpuE7ELNS1_3repE0EEENS1_30default_config_static_selectorELNS0_4arch9wavefront6targetE1EEEvT1_ ; -- Begin function _ZN7rocprim17ROCPRIM_400000_NS6detail17trampoline_kernelINS0_14default_configENS1_25partition_config_selectorILNS1_17partition_subalgoE1EyNS0_10empty_typeEbEEZZNS1_14partition_implILS5_1ELb0ES3_jN6thrust23THRUST_200600_302600_NS6detail15normal_iteratorINSA_10device_ptrIyEEEEPS6_NSA_18transform_iteratorI7is_evenIyESF_NSA_11use_defaultESK_EENS0_5tupleIJSF_NSA_16discard_iteratorISK_EEEEENSM_IJSG_SG_EEES6_PlJS6_EEE10hipError_tPvRmT3_T4_T5_T6_T7_T9_mT8_P12ihipStream_tbDpT10_ENKUlT_T0_E_clISt17integral_constantIbLb0EES1B_EEDaS16_S17_EUlS16_E_NS1_11comp_targetILNS1_3genE3ELNS1_11target_archE908ELNS1_3gpuE7ELNS1_3repE0EEENS1_30default_config_static_selectorELNS0_4arch9wavefront6targetE1EEEvT1_
	.globl	_ZN7rocprim17ROCPRIM_400000_NS6detail17trampoline_kernelINS0_14default_configENS1_25partition_config_selectorILNS1_17partition_subalgoE1EyNS0_10empty_typeEbEEZZNS1_14partition_implILS5_1ELb0ES3_jN6thrust23THRUST_200600_302600_NS6detail15normal_iteratorINSA_10device_ptrIyEEEEPS6_NSA_18transform_iteratorI7is_evenIyESF_NSA_11use_defaultESK_EENS0_5tupleIJSF_NSA_16discard_iteratorISK_EEEEENSM_IJSG_SG_EEES6_PlJS6_EEE10hipError_tPvRmT3_T4_T5_T6_T7_T9_mT8_P12ihipStream_tbDpT10_ENKUlT_T0_E_clISt17integral_constantIbLb0EES1B_EEDaS16_S17_EUlS16_E_NS1_11comp_targetILNS1_3genE3ELNS1_11target_archE908ELNS1_3gpuE7ELNS1_3repE0EEENS1_30default_config_static_selectorELNS0_4arch9wavefront6targetE1EEEvT1_
	.p2align	8
	.type	_ZN7rocprim17ROCPRIM_400000_NS6detail17trampoline_kernelINS0_14default_configENS1_25partition_config_selectorILNS1_17partition_subalgoE1EyNS0_10empty_typeEbEEZZNS1_14partition_implILS5_1ELb0ES3_jN6thrust23THRUST_200600_302600_NS6detail15normal_iteratorINSA_10device_ptrIyEEEEPS6_NSA_18transform_iteratorI7is_evenIyESF_NSA_11use_defaultESK_EENS0_5tupleIJSF_NSA_16discard_iteratorISK_EEEEENSM_IJSG_SG_EEES6_PlJS6_EEE10hipError_tPvRmT3_T4_T5_T6_T7_T9_mT8_P12ihipStream_tbDpT10_ENKUlT_T0_E_clISt17integral_constantIbLb0EES1B_EEDaS16_S17_EUlS16_E_NS1_11comp_targetILNS1_3genE3ELNS1_11target_archE908ELNS1_3gpuE7ELNS1_3repE0EEENS1_30default_config_static_selectorELNS0_4arch9wavefront6targetE1EEEvT1_,@function
_ZN7rocprim17ROCPRIM_400000_NS6detail17trampoline_kernelINS0_14default_configENS1_25partition_config_selectorILNS1_17partition_subalgoE1EyNS0_10empty_typeEbEEZZNS1_14partition_implILS5_1ELb0ES3_jN6thrust23THRUST_200600_302600_NS6detail15normal_iteratorINSA_10device_ptrIyEEEEPS6_NSA_18transform_iteratorI7is_evenIyESF_NSA_11use_defaultESK_EENS0_5tupleIJSF_NSA_16discard_iteratorISK_EEEEENSM_IJSG_SG_EEES6_PlJS6_EEE10hipError_tPvRmT3_T4_T5_T6_T7_T9_mT8_P12ihipStream_tbDpT10_ENKUlT_T0_E_clISt17integral_constantIbLb0EES1B_EEDaS16_S17_EUlS16_E_NS1_11comp_targetILNS1_3genE3ELNS1_11target_archE908ELNS1_3gpuE7ELNS1_3repE0EEENS1_30default_config_static_selectorELNS0_4arch9wavefront6targetE1EEEvT1_: ; @_ZN7rocprim17ROCPRIM_400000_NS6detail17trampoline_kernelINS0_14default_configENS1_25partition_config_selectorILNS1_17partition_subalgoE1EyNS0_10empty_typeEbEEZZNS1_14partition_implILS5_1ELb0ES3_jN6thrust23THRUST_200600_302600_NS6detail15normal_iteratorINSA_10device_ptrIyEEEEPS6_NSA_18transform_iteratorI7is_evenIyESF_NSA_11use_defaultESK_EENS0_5tupleIJSF_NSA_16discard_iteratorISK_EEEEENSM_IJSG_SG_EEES6_PlJS6_EEE10hipError_tPvRmT3_T4_T5_T6_T7_T9_mT8_P12ihipStream_tbDpT10_ENKUlT_T0_E_clISt17integral_constantIbLb0EES1B_EEDaS16_S17_EUlS16_E_NS1_11comp_targetILNS1_3genE3ELNS1_11target_archE908ELNS1_3gpuE7ELNS1_3repE0EEENS1_30default_config_static_selectorELNS0_4arch9wavefront6targetE1EEEvT1_
; %bb.0:
	.section	.rodata,"a",@progbits
	.p2align	6, 0x0
	.amdhsa_kernel _ZN7rocprim17ROCPRIM_400000_NS6detail17trampoline_kernelINS0_14default_configENS1_25partition_config_selectorILNS1_17partition_subalgoE1EyNS0_10empty_typeEbEEZZNS1_14partition_implILS5_1ELb0ES3_jN6thrust23THRUST_200600_302600_NS6detail15normal_iteratorINSA_10device_ptrIyEEEEPS6_NSA_18transform_iteratorI7is_evenIyESF_NSA_11use_defaultESK_EENS0_5tupleIJSF_NSA_16discard_iteratorISK_EEEEENSM_IJSG_SG_EEES6_PlJS6_EEE10hipError_tPvRmT3_T4_T5_T6_T7_T9_mT8_P12ihipStream_tbDpT10_ENKUlT_T0_E_clISt17integral_constantIbLb0EES1B_EEDaS16_S17_EUlS16_E_NS1_11comp_targetILNS1_3genE3ELNS1_11target_archE908ELNS1_3gpuE7ELNS1_3repE0EEENS1_30default_config_static_selectorELNS0_4arch9wavefront6targetE1EEEvT1_
		.amdhsa_group_segment_fixed_size 0
		.amdhsa_private_segment_fixed_size 0
		.amdhsa_kernarg_size 136
		.amdhsa_user_sgpr_count 6
		.amdhsa_user_sgpr_private_segment_buffer 1
		.amdhsa_user_sgpr_dispatch_ptr 0
		.amdhsa_user_sgpr_queue_ptr 0
		.amdhsa_user_sgpr_kernarg_segment_ptr 1
		.amdhsa_user_sgpr_dispatch_id 0
		.amdhsa_user_sgpr_flat_scratch_init 0
		.amdhsa_user_sgpr_kernarg_preload_length 0
		.amdhsa_user_sgpr_kernarg_preload_offset 0
		.amdhsa_user_sgpr_private_segment_size 0
		.amdhsa_uses_dynamic_stack 0
		.amdhsa_system_sgpr_private_segment_wavefront_offset 0
		.amdhsa_system_sgpr_workgroup_id_x 1
		.amdhsa_system_sgpr_workgroup_id_y 0
		.amdhsa_system_sgpr_workgroup_id_z 0
		.amdhsa_system_sgpr_workgroup_info 0
		.amdhsa_system_vgpr_workitem_id 0
		.amdhsa_next_free_vgpr 1
		.amdhsa_next_free_sgpr 0
		.amdhsa_accum_offset 4
		.amdhsa_reserve_vcc 0
		.amdhsa_reserve_flat_scratch 0
		.amdhsa_float_round_mode_32 0
		.amdhsa_float_round_mode_16_64 0
		.amdhsa_float_denorm_mode_32 3
		.amdhsa_float_denorm_mode_16_64 3
		.amdhsa_dx10_clamp 1
		.amdhsa_ieee_mode 1
		.amdhsa_fp16_overflow 0
		.amdhsa_tg_split 0
		.amdhsa_exception_fp_ieee_invalid_op 0
		.amdhsa_exception_fp_denorm_src 0
		.amdhsa_exception_fp_ieee_div_zero 0
		.amdhsa_exception_fp_ieee_overflow 0
		.amdhsa_exception_fp_ieee_underflow 0
		.amdhsa_exception_fp_ieee_inexact 0
		.amdhsa_exception_int_div_zero 0
	.end_amdhsa_kernel
	.section	.text._ZN7rocprim17ROCPRIM_400000_NS6detail17trampoline_kernelINS0_14default_configENS1_25partition_config_selectorILNS1_17partition_subalgoE1EyNS0_10empty_typeEbEEZZNS1_14partition_implILS5_1ELb0ES3_jN6thrust23THRUST_200600_302600_NS6detail15normal_iteratorINSA_10device_ptrIyEEEEPS6_NSA_18transform_iteratorI7is_evenIyESF_NSA_11use_defaultESK_EENS0_5tupleIJSF_NSA_16discard_iteratorISK_EEEEENSM_IJSG_SG_EEES6_PlJS6_EEE10hipError_tPvRmT3_T4_T5_T6_T7_T9_mT8_P12ihipStream_tbDpT10_ENKUlT_T0_E_clISt17integral_constantIbLb0EES1B_EEDaS16_S17_EUlS16_E_NS1_11comp_targetILNS1_3genE3ELNS1_11target_archE908ELNS1_3gpuE7ELNS1_3repE0EEENS1_30default_config_static_selectorELNS0_4arch9wavefront6targetE1EEEvT1_,"axG",@progbits,_ZN7rocprim17ROCPRIM_400000_NS6detail17trampoline_kernelINS0_14default_configENS1_25partition_config_selectorILNS1_17partition_subalgoE1EyNS0_10empty_typeEbEEZZNS1_14partition_implILS5_1ELb0ES3_jN6thrust23THRUST_200600_302600_NS6detail15normal_iteratorINSA_10device_ptrIyEEEEPS6_NSA_18transform_iteratorI7is_evenIyESF_NSA_11use_defaultESK_EENS0_5tupleIJSF_NSA_16discard_iteratorISK_EEEEENSM_IJSG_SG_EEES6_PlJS6_EEE10hipError_tPvRmT3_T4_T5_T6_T7_T9_mT8_P12ihipStream_tbDpT10_ENKUlT_T0_E_clISt17integral_constantIbLb0EES1B_EEDaS16_S17_EUlS16_E_NS1_11comp_targetILNS1_3genE3ELNS1_11target_archE908ELNS1_3gpuE7ELNS1_3repE0EEENS1_30default_config_static_selectorELNS0_4arch9wavefront6targetE1EEEvT1_,comdat
.Lfunc_end2910:
	.size	_ZN7rocprim17ROCPRIM_400000_NS6detail17trampoline_kernelINS0_14default_configENS1_25partition_config_selectorILNS1_17partition_subalgoE1EyNS0_10empty_typeEbEEZZNS1_14partition_implILS5_1ELb0ES3_jN6thrust23THRUST_200600_302600_NS6detail15normal_iteratorINSA_10device_ptrIyEEEEPS6_NSA_18transform_iteratorI7is_evenIyESF_NSA_11use_defaultESK_EENS0_5tupleIJSF_NSA_16discard_iteratorISK_EEEEENSM_IJSG_SG_EEES6_PlJS6_EEE10hipError_tPvRmT3_T4_T5_T6_T7_T9_mT8_P12ihipStream_tbDpT10_ENKUlT_T0_E_clISt17integral_constantIbLb0EES1B_EEDaS16_S17_EUlS16_E_NS1_11comp_targetILNS1_3genE3ELNS1_11target_archE908ELNS1_3gpuE7ELNS1_3repE0EEENS1_30default_config_static_selectorELNS0_4arch9wavefront6targetE1EEEvT1_, .Lfunc_end2910-_ZN7rocprim17ROCPRIM_400000_NS6detail17trampoline_kernelINS0_14default_configENS1_25partition_config_selectorILNS1_17partition_subalgoE1EyNS0_10empty_typeEbEEZZNS1_14partition_implILS5_1ELb0ES3_jN6thrust23THRUST_200600_302600_NS6detail15normal_iteratorINSA_10device_ptrIyEEEEPS6_NSA_18transform_iteratorI7is_evenIyESF_NSA_11use_defaultESK_EENS0_5tupleIJSF_NSA_16discard_iteratorISK_EEEEENSM_IJSG_SG_EEES6_PlJS6_EEE10hipError_tPvRmT3_T4_T5_T6_T7_T9_mT8_P12ihipStream_tbDpT10_ENKUlT_T0_E_clISt17integral_constantIbLb0EES1B_EEDaS16_S17_EUlS16_E_NS1_11comp_targetILNS1_3genE3ELNS1_11target_archE908ELNS1_3gpuE7ELNS1_3repE0EEENS1_30default_config_static_selectorELNS0_4arch9wavefront6targetE1EEEvT1_
                                        ; -- End function
	.section	.AMDGPU.csdata,"",@progbits
; Kernel info:
; codeLenInByte = 0
; NumSgprs: 4
; NumVgprs: 0
; NumAgprs: 0
; TotalNumVgprs: 0
; ScratchSize: 0
; MemoryBound: 0
; FloatMode: 240
; IeeeMode: 1
; LDSByteSize: 0 bytes/workgroup (compile time only)
; SGPRBlocks: 0
; VGPRBlocks: 0
; NumSGPRsForWavesPerEU: 4
; NumVGPRsForWavesPerEU: 1
; AccumOffset: 4
; Occupancy: 8
; WaveLimiterHint : 0
; COMPUTE_PGM_RSRC2:SCRATCH_EN: 0
; COMPUTE_PGM_RSRC2:USER_SGPR: 6
; COMPUTE_PGM_RSRC2:TRAP_HANDLER: 0
; COMPUTE_PGM_RSRC2:TGID_X_EN: 1
; COMPUTE_PGM_RSRC2:TGID_Y_EN: 0
; COMPUTE_PGM_RSRC2:TGID_Z_EN: 0
; COMPUTE_PGM_RSRC2:TIDIG_COMP_CNT: 0
; COMPUTE_PGM_RSRC3_GFX90A:ACCUM_OFFSET: 0
; COMPUTE_PGM_RSRC3_GFX90A:TG_SPLIT: 0
	.section	.text._ZN7rocprim17ROCPRIM_400000_NS6detail17trampoline_kernelINS0_14default_configENS1_25partition_config_selectorILNS1_17partition_subalgoE1EyNS0_10empty_typeEbEEZZNS1_14partition_implILS5_1ELb0ES3_jN6thrust23THRUST_200600_302600_NS6detail15normal_iteratorINSA_10device_ptrIyEEEEPS6_NSA_18transform_iteratorI7is_evenIyESF_NSA_11use_defaultESK_EENS0_5tupleIJSF_NSA_16discard_iteratorISK_EEEEENSM_IJSG_SG_EEES6_PlJS6_EEE10hipError_tPvRmT3_T4_T5_T6_T7_T9_mT8_P12ihipStream_tbDpT10_ENKUlT_T0_E_clISt17integral_constantIbLb0EES1B_EEDaS16_S17_EUlS16_E_NS1_11comp_targetILNS1_3genE2ELNS1_11target_archE906ELNS1_3gpuE6ELNS1_3repE0EEENS1_30default_config_static_selectorELNS0_4arch9wavefront6targetE1EEEvT1_,"axG",@progbits,_ZN7rocprim17ROCPRIM_400000_NS6detail17trampoline_kernelINS0_14default_configENS1_25partition_config_selectorILNS1_17partition_subalgoE1EyNS0_10empty_typeEbEEZZNS1_14partition_implILS5_1ELb0ES3_jN6thrust23THRUST_200600_302600_NS6detail15normal_iteratorINSA_10device_ptrIyEEEEPS6_NSA_18transform_iteratorI7is_evenIyESF_NSA_11use_defaultESK_EENS0_5tupleIJSF_NSA_16discard_iteratorISK_EEEEENSM_IJSG_SG_EEES6_PlJS6_EEE10hipError_tPvRmT3_T4_T5_T6_T7_T9_mT8_P12ihipStream_tbDpT10_ENKUlT_T0_E_clISt17integral_constantIbLb0EES1B_EEDaS16_S17_EUlS16_E_NS1_11comp_targetILNS1_3genE2ELNS1_11target_archE906ELNS1_3gpuE6ELNS1_3repE0EEENS1_30default_config_static_selectorELNS0_4arch9wavefront6targetE1EEEvT1_,comdat
	.protected	_ZN7rocprim17ROCPRIM_400000_NS6detail17trampoline_kernelINS0_14default_configENS1_25partition_config_selectorILNS1_17partition_subalgoE1EyNS0_10empty_typeEbEEZZNS1_14partition_implILS5_1ELb0ES3_jN6thrust23THRUST_200600_302600_NS6detail15normal_iteratorINSA_10device_ptrIyEEEEPS6_NSA_18transform_iteratorI7is_evenIyESF_NSA_11use_defaultESK_EENS0_5tupleIJSF_NSA_16discard_iteratorISK_EEEEENSM_IJSG_SG_EEES6_PlJS6_EEE10hipError_tPvRmT3_T4_T5_T6_T7_T9_mT8_P12ihipStream_tbDpT10_ENKUlT_T0_E_clISt17integral_constantIbLb0EES1B_EEDaS16_S17_EUlS16_E_NS1_11comp_targetILNS1_3genE2ELNS1_11target_archE906ELNS1_3gpuE6ELNS1_3repE0EEENS1_30default_config_static_selectorELNS0_4arch9wavefront6targetE1EEEvT1_ ; -- Begin function _ZN7rocprim17ROCPRIM_400000_NS6detail17trampoline_kernelINS0_14default_configENS1_25partition_config_selectorILNS1_17partition_subalgoE1EyNS0_10empty_typeEbEEZZNS1_14partition_implILS5_1ELb0ES3_jN6thrust23THRUST_200600_302600_NS6detail15normal_iteratorINSA_10device_ptrIyEEEEPS6_NSA_18transform_iteratorI7is_evenIyESF_NSA_11use_defaultESK_EENS0_5tupleIJSF_NSA_16discard_iteratorISK_EEEEENSM_IJSG_SG_EEES6_PlJS6_EEE10hipError_tPvRmT3_T4_T5_T6_T7_T9_mT8_P12ihipStream_tbDpT10_ENKUlT_T0_E_clISt17integral_constantIbLb0EES1B_EEDaS16_S17_EUlS16_E_NS1_11comp_targetILNS1_3genE2ELNS1_11target_archE906ELNS1_3gpuE6ELNS1_3repE0EEENS1_30default_config_static_selectorELNS0_4arch9wavefront6targetE1EEEvT1_
	.globl	_ZN7rocprim17ROCPRIM_400000_NS6detail17trampoline_kernelINS0_14default_configENS1_25partition_config_selectorILNS1_17partition_subalgoE1EyNS0_10empty_typeEbEEZZNS1_14partition_implILS5_1ELb0ES3_jN6thrust23THRUST_200600_302600_NS6detail15normal_iteratorINSA_10device_ptrIyEEEEPS6_NSA_18transform_iteratorI7is_evenIyESF_NSA_11use_defaultESK_EENS0_5tupleIJSF_NSA_16discard_iteratorISK_EEEEENSM_IJSG_SG_EEES6_PlJS6_EEE10hipError_tPvRmT3_T4_T5_T6_T7_T9_mT8_P12ihipStream_tbDpT10_ENKUlT_T0_E_clISt17integral_constantIbLb0EES1B_EEDaS16_S17_EUlS16_E_NS1_11comp_targetILNS1_3genE2ELNS1_11target_archE906ELNS1_3gpuE6ELNS1_3repE0EEENS1_30default_config_static_selectorELNS0_4arch9wavefront6targetE1EEEvT1_
	.p2align	8
	.type	_ZN7rocprim17ROCPRIM_400000_NS6detail17trampoline_kernelINS0_14default_configENS1_25partition_config_selectorILNS1_17partition_subalgoE1EyNS0_10empty_typeEbEEZZNS1_14partition_implILS5_1ELb0ES3_jN6thrust23THRUST_200600_302600_NS6detail15normal_iteratorINSA_10device_ptrIyEEEEPS6_NSA_18transform_iteratorI7is_evenIyESF_NSA_11use_defaultESK_EENS0_5tupleIJSF_NSA_16discard_iteratorISK_EEEEENSM_IJSG_SG_EEES6_PlJS6_EEE10hipError_tPvRmT3_T4_T5_T6_T7_T9_mT8_P12ihipStream_tbDpT10_ENKUlT_T0_E_clISt17integral_constantIbLb0EES1B_EEDaS16_S17_EUlS16_E_NS1_11comp_targetILNS1_3genE2ELNS1_11target_archE906ELNS1_3gpuE6ELNS1_3repE0EEENS1_30default_config_static_selectorELNS0_4arch9wavefront6targetE1EEEvT1_,@function
_ZN7rocprim17ROCPRIM_400000_NS6detail17trampoline_kernelINS0_14default_configENS1_25partition_config_selectorILNS1_17partition_subalgoE1EyNS0_10empty_typeEbEEZZNS1_14partition_implILS5_1ELb0ES3_jN6thrust23THRUST_200600_302600_NS6detail15normal_iteratorINSA_10device_ptrIyEEEEPS6_NSA_18transform_iteratorI7is_evenIyESF_NSA_11use_defaultESK_EENS0_5tupleIJSF_NSA_16discard_iteratorISK_EEEEENSM_IJSG_SG_EEES6_PlJS6_EEE10hipError_tPvRmT3_T4_T5_T6_T7_T9_mT8_P12ihipStream_tbDpT10_ENKUlT_T0_E_clISt17integral_constantIbLb0EES1B_EEDaS16_S17_EUlS16_E_NS1_11comp_targetILNS1_3genE2ELNS1_11target_archE906ELNS1_3gpuE6ELNS1_3repE0EEENS1_30default_config_static_selectorELNS0_4arch9wavefront6targetE1EEEvT1_: ; @_ZN7rocprim17ROCPRIM_400000_NS6detail17trampoline_kernelINS0_14default_configENS1_25partition_config_selectorILNS1_17partition_subalgoE1EyNS0_10empty_typeEbEEZZNS1_14partition_implILS5_1ELb0ES3_jN6thrust23THRUST_200600_302600_NS6detail15normal_iteratorINSA_10device_ptrIyEEEEPS6_NSA_18transform_iteratorI7is_evenIyESF_NSA_11use_defaultESK_EENS0_5tupleIJSF_NSA_16discard_iteratorISK_EEEEENSM_IJSG_SG_EEES6_PlJS6_EEE10hipError_tPvRmT3_T4_T5_T6_T7_T9_mT8_P12ihipStream_tbDpT10_ENKUlT_T0_E_clISt17integral_constantIbLb0EES1B_EEDaS16_S17_EUlS16_E_NS1_11comp_targetILNS1_3genE2ELNS1_11target_archE906ELNS1_3gpuE6ELNS1_3repE0EEENS1_30default_config_static_selectorELNS0_4arch9wavefront6targetE1EEEvT1_
; %bb.0:
	.section	.rodata,"a",@progbits
	.p2align	6, 0x0
	.amdhsa_kernel _ZN7rocprim17ROCPRIM_400000_NS6detail17trampoline_kernelINS0_14default_configENS1_25partition_config_selectorILNS1_17partition_subalgoE1EyNS0_10empty_typeEbEEZZNS1_14partition_implILS5_1ELb0ES3_jN6thrust23THRUST_200600_302600_NS6detail15normal_iteratorINSA_10device_ptrIyEEEEPS6_NSA_18transform_iteratorI7is_evenIyESF_NSA_11use_defaultESK_EENS0_5tupleIJSF_NSA_16discard_iteratorISK_EEEEENSM_IJSG_SG_EEES6_PlJS6_EEE10hipError_tPvRmT3_T4_T5_T6_T7_T9_mT8_P12ihipStream_tbDpT10_ENKUlT_T0_E_clISt17integral_constantIbLb0EES1B_EEDaS16_S17_EUlS16_E_NS1_11comp_targetILNS1_3genE2ELNS1_11target_archE906ELNS1_3gpuE6ELNS1_3repE0EEENS1_30default_config_static_selectorELNS0_4arch9wavefront6targetE1EEEvT1_
		.amdhsa_group_segment_fixed_size 0
		.amdhsa_private_segment_fixed_size 0
		.amdhsa_kernarg_size 136
		.amdhsa_user_sgpr_count 6
		.amdhsa_user_sgpr_private_segment_buffer 1
		.amdhsa_user_sgpr_dispatch_ptr 0
		.amdhsa_user_sgpr_queue_ptr 0
		.amdhsa_user_sgpr_kernarg_segment_ptr 1
		.amdhsa_user_sgpr_dispatch_id 0
		.amdhsa_user_sgpr_flat_scratch_init 0
		.amdhsa_user_sgpr_kernarg_preload_length 0
		.amdhsa_user_sgpr_kernarg_preload_offset 0
		.amdhsa_user_sgpr_private_segment_size 0
		.amdhsa_uses_dynamic_stack 0
		.amdhsa_system_sgpr_private_segment_wavefront_offset 0
		.amdhsa_system_sgpr_workgroup_id_x 1
		.amdhsa_system_sgpr_workgroup_id_y 0
		.amdhsa_system_sgpr_workgroup_id_z 0
		.amdhsa_system_sgpr_workgroup_info 0
		.amdhsa_system_vgpr_workitem_id 0
		.amdhsa_next_free_vgpr 1
		.amdhsa_next_free_sgpr 0
		.amdhsa_accum_offset 4
		.amdhsa_reserve_vcc 0
		.amdhsa_reserve_flat_scratch 0
		.amdhsa_float_round_mode_32 0
		.amdhsa_float_round_mode_16_64 0
		.amdhsa_float_denorm_mode_32 3
		.amdhsa_float_denorm_mode_16_64 3
		.amdhsa_dx10_clamp 1
		.amdhsa_ieee_mode 1
		.amdhsa_fp16_overflow 0
		.amdhsa_tg_split 0
		.amdhsa_exception_fp_ieee_invalid_op 0
		.amdhsa_exception_fp_denorm_src 0
		.amdhsa_exception_fp_ieee_div_zero 0
		.amdhsa_exception_fp_ieee_overflow 0
		.amdhsa_exception_fp_ieee_underflow 0
		.amdhsa_exception_fp_ieee_inexact 0
		.amdhsa_exception_int_div_zero 0
	.end_amdhsa_kernel
	.section	.text._ZN7rocprim17ROCPRIM_400000_NS6detail17trampoline_kernelINS0_14default_configENS1_25partition_config_selectorILNS1_17partition_subalgoE1EyNS0_10empty_typeEbEEZZNS1_14partition_implILS5_1ELb0ES3_jN6thrust23THRUST_200600_302600_NS6detail15normal_iteratorINSA_10device_ptrIyEEEEPS6_NSA_18transform_iteratorI7is_evenIyESF_NSA_11use_defaultESK_EENS0_5tupleIJSF_NSA_16discard_iteratorISK_EEEEENSM_IJSG_SG_EEES6_PlJS6_EEE10hipError_tPvRmT3_T4_T5_T6_T7_T9_mT8_P12ihipStream_tbDpT10_ENKUlT_T0_E_clISt17integral_constantIbLb0EES1B_EEDaS16_S17_EUlS16_E_NS1_11comp_targetILNS1_3genE2ELNS1_11target_archE906ELNS1_3gpuE6ELNS1_3repE0EEENS1_30default_config_static_selectorELNS0_4arch9wavefront6targetE1EEEvT1_,"axG",@progbits,_ZN7rocprim17ROCPRIM_400000_NS6detail17trampoline_kernelINS0_14default_configENS1_25partition_config_selectorILNS1_17partition_subalgoE1EyNS0_10empty_typeEbEEZZNS1_14partition_implILS5_1ELb0ES3_jN6thrust23THRUST_200600_302600_NS6detail15normal_iteratorINSA_10device_ptrIyEEEEPS6_NSA_18transform_iteratorI7is_evenIyESF_NSA_11use_defaultESK_EENS0_5tupleIJSF_NSA_16discard_iteratorISK_EEEEENSM_IJSG_SG_EEES6_PlJS6_EEE10hipError_tPvRmT3_T4_T5_T6_T7_T9_mT8_P12ihipStream_tbDpT10_ENKUlT_T0_E_clISt17integral_constantIbLb0EES1B_EEDaS16_S17_EUlS16_E_NS1_11comp_targetILNS1_3genE2ELNS1_11target_archE906ELNS1_3gpuE6ELNS1_3repE0EEENS1_30default_config_static_selectorELNS0_4arch9wavefront6targetE1EEEvT1_,comdat
.Lfunc_end2911:
	.size	_ZN7rocprim17ROCPRIM_400000_NS6detail17trampoline_kernelINS0_14default_configENS1_25partition_config_selectorILNS1_17partition_subalgoE1EyNS0_10empty_typeEbEEZZNS1_14partition_implILS5_1ELb0ES3_jN6thrust23THRUST_200600_302600_NS6detail15normal_iteratorINSA_10device_ptrIyEEEEPS6_NSA_18transform_iteratorI7is_evenIyESF_NSA_11use_defaultESK_EENS0_5tupleIJSF_NSA_16discard_iteratorISK_EEEEENSM_IJSG_SG_EEES6_PlJS6_EEE10hipError_tPvRmT3_T4_T5_T6_T7_T9_mT8_P12ihipStream_tbDpT10_ENKUlT_T0_E_clISt17integral_constantIbLb0EES1B_EEDaS16_S17_EUlS16_E_NS1_11comp_targetILNS1_3genE2ELNS1_11target_archE906ELNS1_3gpuE6ELNS1_3repE0EEENS1_30default_config_static_selectorELNS0_4arch9wavefront6targetE1EEEvT1_, .Lfunc_end2911-_ZN7rocprim17ROCPRIM_400000_NS6detail17trampoline_kernelINS0_14default_configENS1_25partition_config_selectorILNS1_17partition_subalgoE1EyNS0_10empty_typeEbEEZZNS1_14partition_implILS5_1ELb0ES3_jN6thrust23THRUST_200600_302600_NS6detail15normal_iteratorINSA_10device_ptrIyEEEEPS6_NSA_18transform_iteratorI7is_evenIyESF_NSA_11use_defaultESK_EENS0_5tupleIJSF_NSA_16discard_iteratorISK_EEEEENSM_IJSG_SG_EEES6_PlJS6_EEE10hipError_tPvRmT3_T4_T5_T6_T7_T9_mT8_P12ihipStream_tbDpT10_ENKUlT_T0_E_clISt17integral_constantIbLb0EES1B_EEDaS16_S17_EUlS16_E_NS1_11comp_targetILNS1_3genE2ELNS1_11target_archE906ELNS1_3gpuE6ELNS1_3repE0EEENS1_30default_config_static_selectorELNS0_4arch9wavefront6targetE1EEEvT1_
                                        ; -- End function
	.section	.AMDGPU.csdata,"",@progbits
; Kernel info:
; codeLenInByte = 0
; NumSgprs: 4
; NumVgprs: 0
; NumAgprs: 0
; TotalNumVgprs: 0
; ScratchSize: 0
; MemoryBound: 0
; FloatMode: 240
; IeeeMode: 1
; LDSByteSize: 0 bytes/workgroup (compile time only)
; SGPRBlocks: 0
; VGPRBlocks: 0
; NumSGPRsForWavesPerEU: 4
; NumVGPRsForWavesPerEU: 1
; AccumOffset: 4
; Occupancy: 8
; WaveLimiterHint : 0
; COMPUTE_PGM_RSRC2:SCRATCH_EN: 0
; COMPUTE_PGM_RSRC2:USER_SGPR: 6
; COMPUTE_PGM_RSRC2:TRAP_HANDLER: 0
; COMPUTE_PGM_RSRC2:TGID_X_EN: 1
; COMPUTE_PGM_RSRC2:TGID_Y_EN: 0
; COMPUTE_PGM_RSRC2:TGID_Z_EN: 0
; COMPUTE_PGM_RSRC2:TIDIG_COMP_CNT: 0
; COMPUTE_PGM_RSRC3_GFX90A:ACCUM_OFFSET: 0
; COMPUTE_PGM_RSRC3_GFX90A:TG_SPLIT: 0
	.section	.text._ZN7rocprim17ROCPRIM_400000_NS6detail17trampoline_kernelINS0_14default_configENS1_25partition_config_selectorILNS1_17partition_subalgoE1EyNS0_10empty_typeEbEEZZNS1_14partition_implILS5_1ELb0ES3_jN6thrust23THRUST_200600_302600_NS6detail15normal_iteratorINSA_10device_ptrIyEEEEPS6_NSA_18transform_iteratorI7is_evenIyESF_NSA_11use_defaultESK_EENS0_5tupleIJSF_NSA_16discard_iteratorISK_EEEEENSM_IJSG_SG_EEES6_PlJS6_EEE10hipError_tPvRmT3_T4_T5_T6_T7_T9_mT8_P12ihipStream_tbDpT10_ENKUlT_T0_E_clISt17integral_constantIbLb0EES1B_EEDaS16_S17_EUlS16_E_NS1_11comp_targetILNS1_3genE10ELNS1_11target_archE1200ELNS1_3gpuE4ELNS1_3repE0EEENS1_30default_config_static_selectorELNS0_4arch9wavefront6targetE1EEEvT1_,"axG",@progbits,_ZN7rocprim17ROCPRIM_400000_NS6detail17trampoline_kernelINS0_14default_configENS1_25partition_config_selectorILNS1_17partition_subalgoE1EyNS0_10empty_typeEbEEZZNS1_14partition_implILS5_1ELb0ES3_jN6thrust23THRUST_200600_302600_NS6detail15normal_iteratorINSA_10device_ptrIyEEEEPS6_NSA_18transform_iteratorI7is_evenIyESF_NSA_11use_defaultESK_EENS0_5tupleIJSF_NSA_16discard_iteratorISK_EEEEENSM_IJSG_SG_EEES6_PlJS6_EEE10hipError_tPvRmT3_T4_T5_T6_T7_T9_mT8_P12ihipStream_tbDpT10_ENKUlT_T0_E_clISt17integral_constantIbLb0EES1B_EEDaS16_S17_EUlS16_E_NS1_11comp_targetILNS1_3genE10ELNS1_11target_archE1200ELNS1_3gpuE4ELNS1_3repE0EEENS1_30default_config_static_selectorELNS0_4arch9wavefront6targetE1EEEvT1_,comdat
	.protected	_ZN7rocprim17ROCPRIM_400000_NS6detail17trampoline_kernelINS0_14default_configENS1_25partition_config_selectorILNS1_17partition_subalgoE1EyNS0_10empty_typeEbEEZZNS1_14partition_implILS5_1ELb0ES3_jN6thrust23THRUST_200600_302600_NS6detail15normal_iteratorINSA_10device_ptrIyEEEEPS6_NSA_18transform_iteratorI7is_evenIyESF_NSA_11use_defaultESK_EENS0_5tupleIJSF_NSA_16discard_iteratorISK_EEEEENSM_IJSG_SG_EEES6_PlJS6_EEE10hipError_tPvRmT3_T4_T5_T6_T7_T9_mT8_P12ihipStream_tbDpT10_ENKUlT_T0_E_clISt17integral_constantIbLb0EES1B_EEDaS16_S17_EUlS16_E_NS1_11comp_targetILNS1_3genE10ELNS1_11target_archE1200ELNS1_3gpuE4ELNS1_3repE0EEENS1_30default_config_static_selectorELNS0_4arch9wavefront6targetE1EEEvT1_ ; -- Begin function _ZN7rocprim17ROCPRIM_400000_NS6detail17trampoline_kernelINS0_14default_configENS1_25partition_config_selectorILNS1_17partition_subalgoE1EyNS0_10empty_typeEbEEZZNS1_14partition_implILS5_1ELb0ES3_jN6thrust23THRUST_200600_302600_NS6detail15normal_iteratorINSA_10device_ptrIyEEEEPS6_NSA_18transform_iteratorI7is_evenIyESF_NSA_11use_defaultESK_EENS0_5tupleIJSF_NSA_16discard_iteratorISK_EEEEENSM_IJSG_SG_EEES6_PlJS6_EEE10hipError_tPvRmT3_T4_T5_T6_T7_T9_mT8_P12ihipStream_tbDpT10_ENKUlT_T0_E_clISt17integral_constantIbLb0EES1B_EEDaS16_S17_EUlS16_E_NS1_11comp_targetILNS1_3genE10ELNS1_11target_archE1200ELNS1_3gpuE4ELNS1_3repE0EEENS1_30default_config_static_selectorELNS0_4arch9wavefront6targetE1EEEvT1_
	.globl	_ZN7rocprim17ROCPRIM_400000_NS6detail17trampoline_kernelINS0_14default_configENS1_25partition_config_selectorILNS1_17partition_subalgoE1EyNS0_10empty_typeEbEEZZNS1_14partition_implILS5_1ELb0ES3_jN6thrust23THRUST_200600_302600_NS6detail15normal_iteratorINSA_10device_ptrIyEEEEPS6_NSA_18transform_iteratorI7is_evenIyESF_NSA_11use_defaultESK_EENS0_5tupleIJSF_NSA_16discard_iteratorISK_EEEEENSM_IJSG_SG_EEES6_PlJS6_EEE10hipError_tPvRmT3_T4_T5_T6_T7_T9_mT8_P12ihipStream_tbDpT10_ENKUlT_T0_E_clISt17integral_constantIbLb0EES1B_EEDaS16_S17_EUlS16_E_NS1_11comp_targetILNS1_3genE10ELNS1_11target_archE1200ELNS1_3gpuE4ELNS1_3repE0EEENS1_30default_config_static_selectorELNS0_4arch9wavefront6targetE1EEEvT1_
	.p2align	8
	.type	_ZN7rocprim17ROCPRIM_400000_NS6detail17trampoline_kernelINS0_14default_configENS1_25partition_config_selectorILNS1_17partition_subalgoE1EyNS0_10empty_typeEbEEZZNS1_14partition_implILS5_1ELb0ES3_jN6thrust23THRUST_200600_302600_NS6detail15normal_iteratorINSA_10device_ptrIyEEEEPS6_NSA_18transform_iteratorI7is_evenIyESF_NSA_11use_defaultESK_EENS0_5tupleIJSF_NSA_16discard_iteratorISK_EEEEENSM_IJSG_SG_EEES6_PlJS6_EEE10hipError_tPvRmT3_T4_T5_T6_T7_T9_mT8_P12ihipStream_tbDpT10_ENKUlT_T0_E_clISt17integral_constantIbLb0EES1B_EEDaS16_S17_EUlS16_E_NS1_11comp_targetILNS1_3genE10ELNS1_11target_archE1200ELNS1_3gpuE4ELNS1_3repE0EEENS1_30default_config_static_selectorELNS0_4arch9wavefront6targetE1EEEvT1_,@function
_ZN7rocprim17ROCPRIM_400000_NS6detail17trampoline_kernelINS0_14default_configENS1_25partition_config_selectorILNS1_17partition_subalgoE1EyNS0_10empty_typeEbEEZZNS1_14partition_implILS5_1ELb0ES3_jN6thrust23THRUST_200600_302600_NS6detail15normal_iteratorINSA_10device_ptrIyEEEEPS6_NSA_18transform_iteratorI7is_evenIyESF_NSA_11use_defaultESK_EENS0_5tupleIJSF_NSA_16discard_iteratorISK_EEEEENSM_IJSG_SG_EEES6_PlJS6_EEE10hipError_tPvRmT3_T4_T5_T6_T7_T9_mT8_P12ihipStream_tbDpT10_ENKUlT_T0_E_clISt17integral_constantIbLb0EES1B_EEDaS16_S17_EUlS16_E_NS1_11comp_targetILNS1_3genE10ELNS1_11target_archE1200ELNS1_3gpuE4ELNS1_3repE0EEENS1_30default_config_static_selectorELNS0_4arch9wavefront6targetE1EEEvT1_: ; @_ZN7rocprim17ROCPRIM_400000_NS6detail17trampoline_kernelINS0_14default_configENS1_25partition_config_selectorILNS1_17partition_subalgoE1EyNS0_10empty_typeEbEEZZNS1_14partition_implILS5_1ELb0ES3_jN6thrust23THRUST_200600_302600_NS6detail15normal_iteratorINSA_10device_ptrIyEEEEPS6_NSA_18transform_iteratorI7is_evenIyESF_NSA_11use_defaultESK_EENS0_5tupleIJSF_NSA_16discard_iteratorISK_EEEEENSM_IJSG_SG_EEES6_PlJS6_EEE10hipError_tPvRmT3_T4_T5_T6_T7_T9_mT8_P12ihipStream_tbDpT10_ENKUlT_T0_E_clISt17integral_constantIbLb0EES1B_EEDaS16_S17_EUlS16_E_NS1_11comp_targetILNS1_3genE10ELNS1_11target_archE1200ELNS1_3gpuE4ELNS1_3repE0EEENS1_30default_config_static_selectorELNS0_4arch9wavefront6targetE1EEEvT1_
; %bb.0:
	.section	.rodata,"a",@progbits
	.p2align	6, 0x0
	.amdhsa_kernel _ZN7rocprim17ROCPRIM_400000_NS6detail17trampoline_kernelINS0_14default_configENS1_25partition_config_selectorILNS1_17partition_subalgoE1EyNS0_10empty_typeEbEEZZNS1_14partition_implILS5_1ELb0ES3_jN6thrust23THRUST_200600_302600_NS6detail15normal_iteratorINSA_10device_ptrIyEEEEPS6_NSA_18transform_iteratorI7is_evenIyESF_NSA_11use_defaultESK_EENS0_5tupleIJSF_NSA_16discard_iteratorISK_EEEEENSM_IJSG_SG_EEES6_PlJS6_EEE10hipError_tPvRmT3_T4_T5_T6_T7_T9_mT8_P12ihipStream_tbDpT10_ENKUlT_T0_E_clISt17integral_constantIbLb0EES1B_EEDaS16_S17_EUlS16_E_NS1_11comp_targetILNS1_3genE10ELNS1_11target_archE1200ELNS1_3gpuE4ELNS1_3repE0EEENS1_30default_config_static_selectorELNS0_4arch9wavefront6targetE1EEEvT1_
		.amdhsa_group_segment_fixed_size 0
		.amdhsa_private_segment_fixed_size 0
		.amdhsa_kernarg_size 136
		.amdhsa_user_sgpr_count 6
		.amdhsa_user_sgpr_private_segment_buffer 1
		.amdhsa_user_sgpr_dispatch_ptr 0
		.amdhsa_user_sgpr_queue_ptr 0
		.amdhsa_user_sgpr_kernarg_segment_ptr 1
		.amdhsa_user_sgpr_dispatch_id 0
		.amdhsa_user_sgpr_flat_scratch_init 0
		.amdhsa_user_sgpr_kernarg_preload_length 0
		.amdhsa_user_sgpr_kernarg_preload_offset 0
		.amdhsa_user_sgpr_private_segment_size 0
		.amdhsa_uses_dynamic_stack 0
		.amdhsa_system_sgpr_private_segment_wavefront_offset 0
		.amdhsa_system_sgpr_workgroup_id_x 1
		.amdhsa_system_sgpr_workgroup_id_y 0
		.amdhsa_system_sgpr_workgroup_id_z 0
		.amdhsa_system_sgpr_workgroup_info 0
		.amdhsa_system_vgpr_workitem_id 0
		.amdhsa_next_free_vgpr 1
		.amdhsa_next_free_sgpr 0
		.amdhsa_accum_offset 4
		.amdhsa_reserve_vcc 0
		.amdhsa_reserve_flat_scratch 0
		.amdhsa_float_round_mode_32 0
		.amdhsa_float_round_mode_16_64 0
		.amdhsa_float_denorm_mode_32 3
		.amdhsa_float_denorm_mode_16_64 3
		.amdhsa_dx10_clamp 1
		.amdhsa_ieee_mode 1
		.amdhsa_fp16_overflow 0
		.amdhsa_tg_split 0
		.amdhsa_exception_fp_ieee_invalid_op 0
		.amdhsa_exception_fp_denorm_src 0
		.amdhsa_exception_fp_ieee_div_zero 0
		.amdhsa_exception_fp_ieee_overflow 0
		.amdhsa_exception_fp_ieee_underflow 0
		.amdhsa_exception_fp_ieee_inexact 0
		.amdhsa_exception_int_div_zero 0
	.end_amdhsa_kernel
	.section	.text._ZN7rocprim17ROCPRIM_400000_NS6detail17trampoline_kernelINS0_14default_configENS1_25partition_config_selectorILNS1_17partition_subalgoE1EyNS0_10empty_typeEbEEZZNS1_14partition_implILS5_1ELb0ES3_jN6thrust23THRUST_200600_302600_NS6detail15normal_iteratorINSA_10device_ptrIyEEEEPS6_NSA_18transform_iteratorI7is_evenIyESF_NSA_11use_defaultESK_EENS0_5tupleIJSF_NSA_16discard_iteratorISK_EEEEENSM_IJSG_SG_EEES6_PlJS6_EEE10hipError_tPvRmT3_T4_T5_T6_T7_T9_mT8_P12ihipStream_tbDpT10_ENKUlT_T0_E_clISt17integral_constantIbLb0EES1B_EEDaS16_S17_EUlS16_E_NS1_11comp_targetILNS1_3genE10ELNS1_11target_archE1200ELNS1_3gpuE4ELNS1_3repE0EEENS1_30default_config_static_selectorELNS0_4arch9wavefront6targetE1EEEvT1_,"axG",@progbits,_ZN7rocprim17ROCPRIM_400000_NS6detail17trampoline_kernelINS0_14default_configENS1_25partition_config_selectorILNS1_17partition_subalgoE1EyNS0_10empty_typeEbEEZZNS1_14partition_implILS5_1ELb0ES3_jN6thrust23THRUST_200600_302600_NS6detail15normal_iteratorINSA_10device_ptrIyEEEEPS6_NSA_18transform_iteratorI7is_evenIyESF_NSA_11use_defaultESK_EENS0_5tupleIJSF_NSA_16discard_iteratorISK_EEEEENSM_IJSG_SG_EEES6_PlJS6_EEE10hipError_tPvRmT3_T4_T5_T6_T7_T9_mT8_P12ihipStream_tbDpT10_ENKUlT_T0_E_clISt17integral_constantIbLb0EES1B_EEDaS16_S17_EUlS16_E_NS1_11comp_targetILNS1_3genE10ELNS1_11target_archE1200ELNS1_3gpuE4ELNS1_3repE0EEENS1_30default_config_static_selectorELNS0_4arch9wavefront6targetE1EEEvT1_,comdat
.Lfunc_end2912:
	.size	_ZN7rocprim17ROCPRIM_400000_NS6detail17trampoline_kernelINS0_14default_configENS1_25partition_config_selectorILNS1_17partition_subalgoE1EyNS0_10empty_typeEbEEZZNS1_14partition_implILS5_1ELb0ES3_jN6thrust23THRUST_200600_302600_NS6detail15normal_iteratorINSA_10device_ptrIyEEEEPS6_NSA_18transform_iteratorI7is_evenIyESF_NSA_11use_defaultESK_EENS0_5tupleIJSF_NSA_16discard_iteratorISK_EEEEENSM_IJSG_SG_EEES6_PlJS6_EEE10hipError_tPvRmT3_T4_T5_T6_T7_T9_mT8_P12ihipStream_tbDpT10_ENKUlT_T0_E_clISt17integral_constantIbLb0EES1B_EEDaS16_S17_EUlS16_E_NS1_11comp_targetILNS1_3genE10ELNS1_11target_archE1200ELNS1_3gpuE4ELNS1_3repE0EEENS1_30default_config_static_selectorELNS0_4arch9wavefront6targetE1EEEvT1_, .Lfunc_end2912-_ZN7rocprim17ROCPRIM_400000_NS6detail17trampoline_kernelINS0_14default_configENS1_25partition_config_selectorILNS1_17partition_subalgoE1EyNS0_10empty_typeEbEEZZNS1_14partition_implILS5_1ELb0ES3_jN6thrust23THRUST_200600_302600_NS6detail15normal_iteratorINSA_10device_ptrIyEEEEPS6_NSA_18transform_iteratorI7is_evenIyESF_NSA_11use_defaultESK_EENS0_5tupleIJSF_NSA_16discard_iteratorISK_EEEEENSM_IJSG_SG_EEES6_PlJS6_EEE10hipError_tPvRmT3_T4_T5_T6_T7_T9_mT8_P12ihipStream_tbDpT10_ENKUlT_T0_E_clISt17integral_constantIbLb0EES1B_EEDaS16_S17_EUlS16_E_NS1_11comp_targetILNS1_3genE10ELNS1_11target_archE1200ELNS1_3gpuE4ELNS1_3repE0EEENS1_30default_config_static_selectorELNS0_4arch9wavefront6targetE1EEEvT1_
                                        ; -- End function
	.section	.AMDGPU.csdata,"",@progbits
; Kernel info:
; codeLenInByte = 0
; NumSgprs: 4
; NumVgprs: 0
; NumAgprs: 0
; TotalNumVgprs: 0
; ScratchSize: 0
; MemoryBound: 0
; FloatMode: 240
; IeeeMode: 1
; LDSByteSize: 0 bytes/workgroup (compile time only)
; SGPRBlocks: 0
; VGPRBlocks: 0
; NumSGPRsForWavesPerEU: 4
; NumVGPRsForWavesPerEU: 1
; AccumOffset: 4
; Occupancy: 8
; WaveLimiterHint : 0
; COMPUTE_PGM_RSRC2:SCRATCH_EN: 0
; COMPUTE_PGM_RSRC2:USER_SGPR: 6
; COMPUTE_PGM_RSRC2:TRAP_HANDLER: 0
; COMPUTE_PGM_RSRC2:TGID_X_EN: 1
; COMPUTE_PGM_RSRC2:TGID_Y_EN: 0
; COMPUTE_PGM_RSRC2:TGID_Z_EN: 0
; COMPUTE_PGM_RSRC2:TIDIG_COMP_CNT: 0
; COMPUTE_PGM_RSRC3_GFX90A:ACCUM_OFFSET: 0
; COMPUTE_PGM_RSRC3_GFX90A:TG_SPLIT: 0
	.section	.text._ZN7rocprim17ROCPRIM_400000_NS6detail17trampoline_kernelINS0_14default_configENS1_25partition_config_selectorILNS1_17partition_subalgoE1EyNS0_10empty_typeEbEEZZNS1_14partition_implILS5_1ELb0ES3_jN6thrust23THRUST_200600_302600_NS6detail15normal_iteratorINSA_10device_ptrIyEEEEPS6_NSA_18transform_iteratorI7is_evenIyESF_NSA_11use_defaultESK_EENS0_5tupleIJSF_NSA_16discard_iteratorISK_EEEEENSM_IJSG_SG_EEES6_PlJS6_EEE10hipError_tPvRmT3_T4_T5_T6_T7_T9_mT8_P12ihipStream_tbDpT10_ENKUlT_T0_E_clISt17integral_constantIbLb0EES1B_EEDaS16_S17_EUlS16_E_NS1_11comp_targetILNS1_3genE9ELNS1_11target_archE1100ELNS1_3gpuE3ELNS1_3repE0EEENS1_30default_config_static_selectorELNS0_4arch9wavefront6targetE1EEEvT1_,"axG",@progbits,_ZN7rocprim17ROCPRIM_400000_NS6detail17trampoline_kernelINS0_14default_configENS1_25partition_config_selectorILNS1_17partition_subalgoE1EyNS0_10empty_typeEbEEZZNS1_14partition_implILS5_1ELb0ES3_jN6thrust23THRUST_200600_302600_NS6detail15normal_iteratorINSA_10device_ptrIyEEEEPS6_NSA_18transform_iteratorI7is_evenIyESF_NSA_11use_defaultESK_EENS0_5tupleIJSF_NSA_16discard_iteratorISK_EEEEENSM_IJSG_SG_EEES6_PlJS6_EEE10hipError_tPvRmT3_T4_T5_T6_T7_T9_mT8_P12ihipStream_tbDpT10_ENKUlT_T0_E_clISt17integral_constantIbLb0EES1B_EEDaS16_S17_EUlS16_E_NS1_11comp_targetILNS1_3genE9ELNS1_11target_archE1100ELNS1_3gpuE3ELNS1_3repE0EEENS1_30default_config_static_selectorELNS0_4arch9wavefront6targetE1EEEvT1_,comdat
	.protected	_ZN7rocprim17ROCPRIM_400000_NS6detail17trampoline_kernelINS0_14default_configENS1_25partition_config_selectorILNS1_17partition_subalgoE1EyNS0_10empty_typeEbEEZZNS1_14partition_implILS5_1ELb0ES3_jN6thrust23THRUST_200600_302600_NS6detail15normal_iteratorINSA_10device_ptrIyEEEEPS6_NSA_18transform_iteratorI7is_evenIyESF_NSA_11use_defaultESK_EENS0_5tupleIJSF_NSA_16discard_iteratorISK_EEEEENSM_IJSG_SG_EEES6_PlJS6_EEE10hipError_tPvRmT3_T4_T5_T6_T7_T9_mT8_P12ihipStream_tbDpT10_ENKUlT_T0_E_clISt17integral_constantIbLb0EES1B_EEDaS16_S17_EUlS16_E_NS1_11comp_targetILNS1_3genE9ELNS1_11target_archE1100ELNS1_3gpuE3ELNS1_3repE0EEENS1_30default_config_static_selectorELNS0_4arch9wavefront6targetE1EEEvT1_ ; -- Begin function _ZN7rocprim17ROCPRIM_400000_NS6detail17trampoline_kernelINS0_14default_configENS1_25partition_config_selectorILNS1_17partition_subalgoE1EyNS0_10empty_typeEbEEZZNS1_14partition_implILS5_1ELb0ES3_jN6thrust23THRUST_200600_302600_NS6detail15normal_iteratorINSA_10device_ptrIyEEEEPS6_NSA_18transform_iteratorI7is_evenIyESF_NSA_11use_defaultESK_EENS0_5tupleIJSF_NSA_16discard_iteratorISK_EEEEENSM_IJSG_SG_EEES6_PlJS6_EEE10hipError_tPvRmT3_T4_T5_T6_T7_T9_mT8_P12ihipStream_tbDpT10_ENKUlT_T0_E_clISt17integral_constantIbLb0EES1B_EEDaS16_S17_EUlS16_E_NS1_11comp_targetILNS1_3genE9ELNS1_11target_archE1100ELNS1_3gpuE3ELNS1_3repE0EEENS1_30default_config_static_selectorELNS0_4arch9wavefront6targetE1EEEvT1_
	.globl	_ZN7rocprim17ROCPRIM_400000_NS6detail17trampoline_kernelINS0_14default_configENS1_25partition_config_selectorILNS1_17partition_subalgoE1EyNS0_10empty_typeEbEEZZNS1_14partition_implILS5_1ELb0ES3_jN6thrust23THRUST_200600_302600_NS6detail15normal_iteratorINSA_10device_ptrIyEEEEPS6_NSA_18transform_iteratorI7is_evenIyESF_NSA_11use_defaultESK_EENS0_5tupleIJSF_NSA_16discard_iteratorISK_EEEEENSM_IJSG_SG_EEES6_PlJS6_EEE10hipError_tPvRmT3_T4_T5_T6_T7_T9_mT8_P12ihipStream_tbDpT10_ENKUlT_T0_E_clISt17integral_constantIbLb0EES1B_EEDaS16_S17_EUlS16_E_NS1_11comp_targetILNS1_3genE9ELNS1_11target_archE1100ELNS1_3gpuE3ELNS1_3repE0EEENS1_30default_config_static_selectorELNS0_4arch9wavefront6targetE1EEEvT1_
	.p2align	8
	.type	_ZN7rocprim17ROCPRIM_400000_NS6detail17trampoline_kernelINS0_14default_configENS1_25partition_config_selectorILNS1_17partition_subalgoE1EyNS0_10empty_typeEbEEZZNS1_14partition_implILS5_1ELb0ES3_jN6thrust23THRUST_200600_302600_NS6detail15normal_iteratorINSA_10device_ptrIyEEEEPS6_NSA_18transform_iteratorI7is_evenIyESF_NSA_11use_defaultESK_EENS0_5tupleIJSF_NSA_16discard_iteratorISK_EEEEENSM_IJSG_SG_EEES6_PlJS6_EEE10hipError_tPvRmT3_T4_T5_T6_T7_T9_mT8_P12ihipStream_tbDpT10_ENKUlT_T0_E_clISt17integral_constantIbLb0EES1B_EEDaS16_S17_EUlS16_E_NS1_11comp_targetILNS1_3genE9ELNS1_11target_archE1100ELNS1_3gpuE3ELNS1_3repE0EEENS1_30default_config_static_selectorELNS0_4arch9wavefront6targetE1EEEvT1_,@function
_ZN7rocprim17ROCPRIM_400000_NS6detail17trampoline_kernelINS0_14default_configENS1_25partition_config_selectorILNS1_17partition_subalgoE1EyNS0_10empty_typeEbEEZZNS1_14partition_implILS5_1ELb0ES3_jN6thrust23THRUST_200600_302600_NS6detail15normal_iteratorINSA_10device_ptrIyEEEEPS6_NSA_18transform_iteratorI7is_evenIyESF_NSA_11use_defaultESK_EENS0_5tupleIJSF_NSA_16discard_iteratorISK_EEEEENSM_IJSG_SG_EEES6_PlJS6_EEE10hipError_tPvRmT3_T4_T5_T6_T7_T9_mT8_P12ihipStream_tbDpT10_ENKUlT_T0_E_clISt17integral_constantIbLb0EES1B_EEDaS16_S17_EUlS16_E_NS1_11comp_targetILNS1_3genE9ELNS1_11target_archE1100ELNS1_3gpuE3ELNS1_3repE0EEENS1_30default_config_static_selectorELNS0_4arch9wavefront6targetE1EEEvT1_: ; @_ZN7rocprim17ROCPRIM_400000_NS6detail17trampoline_kernelINS0_14default_configENS1_25partition_config_selectorILNS1_17partition_subalgoE1EyNS0_10empty_typeEbEEZZNS1_14partition_implILS5_1ELb0ES3_jN6thrust23THRUST_200600_302600_NS6detail15normal_iteratorINSA_10device_ptrIyEEEEPS6_NSA_18transform_iteratorI7is_evenIyESF_NSA_11use_defaultESK_EENS0_5tupleIJSF_NSA_16discard_iteratorISK_EEEEENSM_IJSG_SG_EEES6_PlJS6_EEE10hipError_tPvRmT3_T4_T5_T6_T7_T9_mT8_P12ihipStream_tbDpT10_ENKUlT_T0_E_clISt17integral_constantIbLb0EES1B_EEDaS16_S17_EUlS16_E_NS1_11comp_targetILNS1_3genE9ELNS1_11target_archE1100ELNS1_3gpuE3ELNS1_3repE0EEENS1_30default_config_static_selectorELNS0_4arch9wavefront6targetE1EEEvT1_
; %bb.0:
	.section	.rodata,"a",@progbits
	.p2align	6, 0x0
	.amdhsa_kernel _ZN7rocprim17ROCPRIM_400000_NS6detail17trampoline_kernelINS0_14default_configENS1_25partition_config_selectorILNS1_17partition_subalgoE1EyNS0_10empty_typeEbEEZZNS1_14partition_implILS5_1ELb0ES3_jN6thrust23THRUST_200600_302600_NS6detail15normal_iteratorINSA_10device_ptrIyEEEEPS6_NSA_18transform_iteratorI7is_evenIyESF_NSA_11use_defaultESK_EENS0_5tupleIJSF_NSA_16discard_iteratorISK_EEEEENSM_IJSG_SG_EEES6_PlJS6_EEE10hipError_tPvRmT3_T4_T5_T6_T7_T9_mT8_P12ihipStream_tbDpT10_ENKUlT_T0_E_clISt17integral_constantIbLb0EES1B_EEDaS16_S17_EUlS16_E_NS1_11comp_targetILNS1_3genE9ELNS1_11target_archE1100ELNS1_3gpuE3ELNS1_3repE0EEENS1_30default_config_static_selectorELNS0_4arch9wavefront6targetE1EEEvT1_
		.amdhsa_group_segment_fixed_size 0
		.amdhsa_private_segment_fixed_size 0
		.amdhsa_kernarg_size 136
		.amdhsa_user_sgpr_count 6
		.amdhsa_user_sgpr_private_segment_buffer 1
		.amdhsa_user_sgpr_dispatch_ptr 0
		.amdhsa_user_sgpr_queue_ptr 0
		.amdhsa_user_sgpr_kernarg_segment_ptr 1
		.amdhsa_user_sgpr_dispatch_id 0
		.amdhsa_user_sgpr_flat_scratch_init 0
		.amdhsa_user_sgpr_kernarg_preload_length 0
		.amdhsa_user_sgpr_kernarg_preload_offset 0
		.amdhsa_user_sgpr_private_segment_size 0
		.amdhsa_uses_dynamic_stack 0
		.amdhsa_system_sgpr_private_segment_wavefront_offset 0
		.amdhsa_system_sgpr_workgroup_id_x 1
		.amdhsa_system_sgpr_workgroup_id_y 0
		.amdhsa_system_sgpr_workgroup_id_z 0
		.amdhsa_system_sgpr_workgroup_info 0
		.amdhsa_system_vgpr_workitem_id 0
		.amdhsa_next_free_vgpr 1
		.amdhsa_next_free_sgpr 0
		.amdhsa_accum_offset 4
		.amdhsa_reserve_vcc 0
		.amdhsa_reserve_flat_scratch 0
		.amdhsa_float_round_mode_32 0
		.amdhsa_float_round_mode_16_64 0
		.amdhsa_float_denorm_mode_32 3
		.amdhsa_float_denorm_mode_16_64 3
		.amdhsa_dx10_clamp 1
		.amdhsa_ieee_mode 1
		.amdhsa_fp16_overflow 0
		.amdhsa_tg_split 0
		.amdhsa_exception_fp_ieee_invalid_op 0
		.amdhsa_exception_fp_denorm_src 0
		.amdhsa_exception_fp_ieee_div_zero 0
		.amdhsa_exception_fp_ieee_overflow 0
		.amdhsa_exception_fp_ieee_underflow 0
		.amdhsa_exception_fp_ieee_inexact 0
		.amdhsa_exception_int_div_zero 0
	.end_amdhsa_kernel
	.section	.text._ZN7rocprim17ROCPRIM_400000_NS6detail17trampoline_kernelINS0_14default_configENS1_25partition_config_selectorILNS1_17partition_subalgoE1EyNS0_10empty_typeEbEEZZNS1_14partition_implILS5_1ELb0ES3_jN6thrust23THRUST_200600_302600_NS6detail15normal_iteratorINSA_10device_ptrIyEEEEPS6_NSA_18transform_iteratorI7is_evenIyESF_NSA_11use_defaultESK_EENS0_5tupleIJSF_NSA_16discard_iteratorISK_EEEEENSM_IJSG_SG_EEES6_PlJS6_EEE10hipError_tPvRmT3_T4_T5_T6_T7_T9_mT8_P12ihipStream_tbDpT10_ENKUlT_T0_E_clISt17integral_constantIbLb0EES1B_EEDaS16_S17_EUlS16_E_NS1_11comp_targetILNS1_3genE9ELNS1_11target_archE1100ELNS1_3gpuE3ELNS1_3repE0EEENS1_30default_config_static_selectorELNS0_4arch9wavefront6targetE1EEEvT1_,"axG",@progbits,_ZN7rocprim17ROCPRIM_400000_NS6detail17trampoline_kernelINS0_14default_configENS1_25partition_config_selectorILNS1_17partition_subalgoE1EyNS0_10empty_typeEbEEZZNS1_14partition_implILS5_1ELb0ES3_jN6thrust23THRUST_200600_302600_NS6detail15normal_iteratorINSA_10device_ptrIyEEEEPS6_NSA_18transform_iteratorI7is_evenIyESF_NSA_11use_defaultESK_EENS0_5tupleIJSF_NSA_16discard_iteratorISK_EEEEENSM_IJSG_SG_EEES6_PlJS6_EEE10hipError_tPvRmT3_T4_T5_T6_T7_T9_mT8_P12ihipStream_tbDpT10_ENKUlT_T0_E_clISt17integral_constantIbLb0EES1B_EEDaS16_S17_EUlS16_E_NS1_11comp_targetILNS1_3genE9ELNS1_11target_archE1100ELNS1_3gpuE3ELNS1_3repE0EEENS1_30default_config_static_selectorELNS0_4arch9wavefront6targetE1EEEvT1_,comdat
.Lfunc_end2913:
	.size	_ZN7rocprim17ROCPRIM_400000_NS6detail17trampoline_kernelINS0_14default_configENS1_25partition_config_selectorILNS1_17partition_subalgoE1EyNS0_10empty_typeEbEEZZNS1_14partition_implILS5_1ELb0ES3_jN6thrust23THRUST_200600_302600_NS6detail15normal_iteratorINSA_10device_ptrIyEEEEPS6_NSA_18transform_iteratorI7is_evenIyESF_NSA_11use_defaultESK_EENS0_5tupleIJSF_NSA_16discard_iteratorISK_EEEEENSM_IJSG_SG_EEES6_PlJS6_EEE10hipError_tPvRmT3_T4_T5_T6_T7_T9_mT8_P12ihipStream_tbDpT10_ENKUlT_T0_E_clISt17integral_constantIbLb0EES1B_EEDaS16_S17_EUlS16_E_NS1_11comp_targetILNS1_3genE9ELNS1_11target_archE1100ELNS1_3gpuE3ELNS1_3repE0EEENS1_30default_config_static_selectorELNS0_4arch9wavefront6targetE1EEEvT1_, .Lfunc_end2913-_ZN7rocprim17ROCPRIM_400000_NS6detail17trampoline_kernelINS0_14default_configENS1_25partition_config_selectorILNS1_17partition_subalgoE1EyNS0_10empty_typeEbEEZZNS1_14partition_implILS5_1ELb0ES3_jN6thrust23THRUST_200600_302600_NS6detail15normal_iteratorINSA_10device_ptrIyEEEEPS6_NSA_18transform_iteratorI7is_evenIyESF_NSA_11use_defaultESK_EENS0_5tupleIJSF_NSA_16discard_iteratorISK_EEEEENSM_IJSG_SG_EEES6_PlJS6_EEE10hipError_tPvRmT3_T4_T5_T6_T7_T9_mT8_P12ihipStream_tbDpT10_ENKUlT_T0_E_clISt17integral_constantIbLb0EES1B_EEDaS16_S17_EUlS16_E_NS1_11comp_targetILNS1_3genE9ELNS1_11target_archE1100ELNS1_3gpuE3ELNS1_3repE0EEENS1_30default_config_static_selectorELNS0_4arch9wavefront6targetE1EEEvT1_
                                        ; -- End function
	.section	.AMDGPU.csdata,"",@progbits
; Kernel info:
; codeLenInByte = 0
; NumSgprs: 4
; NumVgprs: 0
; NumAgprs: 0
; TotalNumVgprs: 0
; ScratchSize: 0
; MemoryBound: 0
; FloatMode: 240
; IeeeMode: 1
; LDSByteSize: 0 bytes/workgroup (compile time only)
; SGPRBlocks: 0
; VGPRBlocks: 0
; NumSGPRsForWavesPerEU: 4
; NumVGPRsForWavesPerEU: 1
; AccumOffset: 4
; Occupancy: 8
; WaveLimiterHint : 0
; COMPUTE_PGM_RSRC2:SCRATCH_EN: 0
; COMPUTE_PGM_RSRC2:USER_SGPR: 6
; COMPUTE_PGM_RSRC2:TRAP_HANDLER: 0
; COMPUTE_PGM_RSRC2:TGID_X_EN: 1
; COMPUTE_PGM_RSRC2:TGID_Y_EN: 0
; COMPUTE_PGM_RSRC2:TGID_Z_EN: 0
; COMPUTE_PGM_RSRC2:TIDIG_COMP_CNT: 0
; COMPUTE_PGM_RSRC3_GFX90A:ACCUM_OFFSET: 0
; COMPUTE_PGM_RSRC3_GFX90A:TG_SPLIT: 0
	.section	.text._ZN7rocprim17ROCPRIM_400000_NS6detail17trampoline_kernelINS0_14default_configENS1_25partition_config_selectorILNS1_17partition_subalgoE1EyNS0_10empty_typeEbEEZZNS1_14partition_implILS5_1ELb0ES3_jN6thrust23THRUST_200600_302600_NS6detail15normal_iteratorINSA_10device_ptrIyEEEEPS6_NSA_18transform_iteratorI7is_evenIyESF_NSA_11use_defaultESK_EENS0_5tupleIJSF_NSA_16discard_iteratorISK_EEEEENSM_IJSG_SG_EEES6_PlJS6_EEE10hipError_tPvRmT3_T4_T5_T6_T7_T9_mT8_P12ihipStream_tbDpT10_ENKUlT_T0_E_clISt17integral_constantIbLb0EES1B_EEDaS16_S17_EUlS16_E_NS1_11comp_targetILNS1_3genE8ELNS1_11target_archE1030ELNS1_3gpuE2ELNS1_3repE0EEENS1_30default_config_static_selectorELNS0_4arch9wavefront6targetE1EEEvT1_,"axG",@progbits,_ZN7rocprim17ROCPRIM_400000_NS6detail17trampoline_kernelINS0_14default_configENS1_25partition_config_selectorILNS1_17partition_subalgoE1EyNS0_10empty_typeEbEEZZNS1_14partition_implILS5_1ELb0ES3_jN6thrust23THRUST_200600_302600_NS6detail15normal_iteratorINSA_10device_ptrIyEEEEPS6_NSA_18transform_iteratorI7is_evenIyESF_NSA_11use_defaultESK_EENS0_5tupleIJSF_NSA_16discard_iteratorISK_EEEEENSM_IJSG_SG_EEES6_PlJS6_EEE10hipError_tPvRmT3_T4_T5_T6_T7_T9_mT8_P12ihipStream_tbDpT10_ENKUlT_T0_E_clISt17integral_constantIbLb0EES1B_EEDaS16_S17_EUlS16_E_NS1_11comp_targetILNS1_3genE8ELNS1_11target_archE1030ELNS1_3gpuE2ELNS1_3repE0EEENS1_30default_config_static_selectorELNS0_4arch9wavefront6targetE1EEEvT1_,comdat
	.protected	_ZN7rocprim17ROCPRIM_400000_NS6detail17trampoline_kernelINS0_14default_configENS1_25partition_config_selectorILNS1_17partition_subalgoE1EyNS0_10empty_typeEbEEZZNS1_14partition_implILS5_1ELb0ES3_jN6thrust23THRUST_200600_302600_NS6detail15normal_iteratorINSA_10device_ptrIyEEEEPS6_NSA_18transform_iteratorI7is_evenIyESF_NSA_11use_defaultESK_EENS0_5tupleIJSF_NSA_16discard_iteratorISK_EEEEENSM_IJSG_SG_EEES6_PlJS6_EEE10hipError_tPvRmT3_T4_T5_T6_T7_T9_mT8_P12ihipStream_tbDpT10_ENKUlT_T0_E_clISt17integral_constantIbLb0EES1B_EEDaS16_S17_EUlS16_E_NS1_11comp_targetILNS1_3genE8ELNS1_11target_archE1030ELNS1_3gpuE2ELNS1_3repE0EEENS1_30default_config_static_selectorELNS0_4arch9wavefront6targetE1EEEvT1_ ; -- Begin function _ZN7rocprim17ROCPRIM_400000_NS6detail17trampoline_kernelINS0_14default_configENS1_25partition_config_selectorILNS1_17partition_subalgoE1EyNS0_10empty_typeEbEEZZNS1_14partition_implILS5_1ELb0ES3_jN6thrust23THRUST_200600_302600_NS6detail15normal_iteratorINSA_10device_ptrIyEEEEPS6_NSA_18transform_iteratorI7is_evenIyESF_NSA_11use_defaultESK_EENS0_5tupleIJSF_NSA_16discard_iteratorISK_EEEEENSM_IJSG_SG_EEES6_PlJS6_EEE10hipError_tPvRmT3_T4_T5_T6_T7_T9_mT8_P12ihipStream_tbDpT10_ENKUlT_T0_E_clISt17integral_constantIbLb0EES1B_EEDaS16_S17_EUlS16_E_NS1_11comp_targetILNS1_3genE8ELNS1_11target_archE1030ELNS1_3gpuE2ELNS1_3repE0EEENS1_30default_config_static_selectorELNS0_4arch9wavefront6targetE1EEEvT1_
	.globl	_ZN7rocprim17ROCPRIM_400000_NS6detail17trampoline_kernelINS0_14default_configENS1_25partition_config_selectorILNS1_17partition_subalgoE1EyNS0_10empty_typeEbEEZZNS1_14partition_implILS5_1ELb0ES3_jN6thrust23THRUST_200600_302600_NS6detail15normal_iteratorINSA_10device_ptrIyEEEEPS6_NSA_18transform_iteratorI7is_evenIyESF_NSA_11use_defaultESK_EENS0_5tupleIJSF_NSA_16discard_iteratorISK_EEEEENSM_IJSG_SG_EEES6_PlJS6_EEE10hipError_tPvRmT3_T4_T5_T6_T7_T9_mT8_P12ihipStream_tbDpT10_ENKUlT_T0_E_clISt17integral_constantIbLb0EES1B_EEDaS16_S17_EUlS16_E_NS1_11comp_targetILNS1_3genE8ELNS1_11target_archE1030ELNS1_3gpuE2ELNS1_3repE0EEENS1_30default_config_static_selectorELNS0_4arch9wavefront6targetE1EEEvT1_
	.p2align	8
	.type	_ZN7rocprim17ROCPRIM_400000_NS6detail17trampoline_kernelINS0_14default_configENS1_25partition_config_selectorILNS1_17partition_subalgoE1EyNS0_10empty_typeEbEEZZNS1_14partition_implILS5_1ELb0ES3_jN6thrust23THRUST_200600_302600_NS6detail15normal_iteratorINSA_10device_ptrIyEEEEPS6_NSA_18transform_iteratorI7is_evenIyESF_NSA_11use_defaultESK_EENS0_5tupleIJSF_NSA_16discard_iteratorISK_EEEEENSM_IJSG_SG_EEES6_PlJS6_EEE10hipError_tPvRmT3_T4_T5_T6_T7_T9_mT8_P12ihipStream_tbDpT10_ENKUlT_T0_E_clISt17integral_constantIbLb0EES1B_EEDaS16_S17_EUlS16_E_NS1_11comp_targetILNS1_3genE8ELNS1_11target_archE1030ELNS1_3gpuE2ELNS1_3repE0EEENS1_30default_config_static_selectorELNS0_4arch9wavefront6targetE1EEEvT1_,@function
_ZN7rocprim17ROCPRIM_400000_NS6detail17trampoline_kernelINS0_14default_configENS1_25partition_config_selectorILNS1_17partition_subalgoE1EyNS0_10empty_typeEbEEZZNS1_14partition_implILS5_1ELb0ES3_jN6thrust23THRUST_200600_302600_NS6detail15normal_iteratorINSA_10device_ptrIyEEEEPS6_NSA_18transform_iteratorI7is_evenIyESF_NSA_11use_defaultESK_EENS0_5tupleIJSF_NSA_16discard_iteratorISK_EEEEENSM_IJSG_SG_EEES6_PlJS6_EEE10hipError_tPvRmT3_T4_T5_T6_T7_T9_mT8_P12ihipStream_tbDpT10_ENKUlT_T0_E_clISt17integral_constantIbLb0EES1B_EEDaS16_S17_EUlS16_E_NS1_11comp_targetILNS1_3genE8ELNS1_11target_archE1030ELNS1_3gpuE2ELNS1_3repE0EEENS1_30default_config_static_selectorELNS0_4arch9wavefront6targetE1EEEvT1_: ; @_ZN7rocprim17ROCPRIM_400000_NS6detail17trampoline_kernelINS0_14default_configENS1_25partition_config_selectorILNS1_17partition_subalgoE1EyNS0_10empty_typeEbEEZZNS1_14partition_implILS5_1ELb0ES3_jN6thrust23THRUST_200600_302600_NS6detail15normal_iteratorINSA_10device_ptrIyEEEEPS6_NSA_18transform_iteratorI7is_evenIyESF_NSA_11use_defaultESK_EENS0_5tupleIJSF_NSA_16discard_iteratorISK_EEEEENSM_IJSG_SG_EEES6_PlJS6_EEE10hipError_tPvRmT3_T4_T5_T6_T7_T9_mT8_P12ihipStream_tbDpT10_ENKUlT_T0_E_clISt17integral_constantIbLb0EES1B_EEDaS16_S17_EUlS16_E_NS1_11comp_targetILNS1_3genE8ELNS1_11target_archE1030ELNS1_3gpuE2ELNS1_3repE0EEENS1_30default_config_static_selectorELNS0_4arch9wavefront6targetE1EEEvT1_
; %bb.0:
	.section	.rodata,"a",@progbits
	.p2align	6, 0x0
	.amdhsa_kernel _ZN7rocprim17ROCPRIM_400000_NS6detail17trampoline_kernelINS0_14default_configENS1_25partition_config_selectorILNS1_17partition_subalgoE1EyNS0_10empty_typeEbEEZZNS1_14partition_implILS5_1ELb0ES3_jN6thrust23THRUST_200600_302600_NS6detail15normal_iteratorINSA_10device_ptrIyEEEEPS6_NSA_18transform_iteratorI7is_evenIyESF_NSA_11use_defaultESK_EENS0_5tupleIJSF_NSA_16discard_iteratorISK_EEEEENSM_IJSG_SG_EEES6_PlJS6_EEE10hipError_tPvRmT3_T4_T5_T6_T7_T9_mT8_P12ihipStream_tbDpT10_ENKUlT_T0_E_clISt17integral_constantIbLb0EES1B_EEDaS16_S17_EUlS16_E_NS1_11comp_targetILNS1_3genE8ELNS1_11target_archE1030ELNS1_3gpuE2ELNS1_3repE0EEENS1_30default_config_static_selectorELNS0_4arch9wavefront6targetE1EEEvT1_
		.amdhsa_group_segment_fixed_size 0
		.amdhsa_private_segment_fixed_size 0
		.amdhsa_kernarg_size 136
		.amdhsa_user_sgpr_count 6
		.amdhsa_user_sgpr_private_segment_buffer 1
		.amdhsa_user_sgpr_dispatch_ptr 0
		.amdhsa_user_sgpr_queue_ptr 0
		.amdhsa_user_sgpr_kernarg_segment_ptr 1
		.amdhsa_user_sgpr_dispatch_id 0
		.amdhsa_user_sgpr_flat_scratch_init 0
		.amdhsa_user_sgpr_kernarg_preload_length 0
		.amdhsa_user_sgpr_kernarg_preload_offset 0
		.amdhsa_user_sgpr_private_segment_size 0
		.amdhsa_uses_dynamic_stack 0
		.amdhsa_system_sgpr_private_segment_wavefront_offset 0
		.amdhsa_system_sgpr_workgroup_id_x 1
		.amdhsa_system_sgpr_workgroup_id_y 0
		.amdhsa_system_sgpr_workgroup_id_z 0
		.amdhsa_system_sgpr_workgroup_info 0
		.amdhsa_system_vgpr_workitem_id 0
		.amdhsa_next_free_vgpr 1
		.amdhsa_next_free_sgpr 0
		.amdhsa_accum_offset 4
		.amdhsa_reserve_vcc 0
		.amdhsa_reserve_flat_scratch 0
		.amdhsa_float_round_mode_32 0
		.amdhsa_float_round_mode_16_64 0
		.amdhsa_float_denorm_mode_32 3
		.amdhsa_float_denorm_mode_16_64 3
		.amdhsa_dx10_clamp 1
		.amdhsa_ieee_mode 1
		.amdhsa_fp16_overflow 0
		.amdhsa_tg_split 0
		.amdhsa_exception_fp_ieee_invalid_op 0
		.amdhsa_exception_fp_denorm_src 0
		.amdhsa_exception_fp_ieee_div_zero 0
		.amdhsa_exception_fp_ieee_overflow 0
		.amdhsa_exception_fp_ieee_underflow 0
		.amdhsa_exception_fp_ieee_inexact 0
		.amdhsa_exception_int_div_zero 0
	.end_amdhsa_kernel
	.section	.text._ZN7rocprim17ROCPRIM_400000_NS6detail17trampoline_kernelINS0_14default_configENS1_25partition_config_selectorILNS1_17partition_subalgoE1EyNS0_10empty_typeEbEEZZNS1_14partition_implILS5_1ELb0ES3_jN6thrust23THRUST_200600_302600_NS6detail15normal_iteratorINSA_10device_ptrIyEEEEPS6_NSA_18transform_iteratorI7is_evenIyESF_NSA_11use_defaultESK_EENS0_5tupleIJSF_NSA_16discard_iteratorISK_EEEEENSM_IJSG_SG_EEES6_PlJS6_EEE10hipError_tPvRmT3_T4_T5_T6_T7_T9_mT8_P12ihipStream_tbDpT10_ENKUlT_T0_E_clISt17integral_constantIbLb0EES1B_EEDaS16_S17_EUlS16_E_NS1_11comp_targetILNS1_3genE8ELNS1_11target_archE1030ELNS1_3gpuE2ELNS1_3repE0EEENS1_30default_config_static_selectorELNS0_4arch9wavefront6targetE1EEEvT1_,"axG",@progbits,_ZN7rocprim17ROCPRIM_400000_NS6detail17trampoline_kernelINS0_14default_configENS1_25partition_config_selectorILNS1_17partition_subalgoE1EyNS0_10empty_typeEbEEZZNS1_14partition_implILS5_1ELb0ES3_jN6thrust23THRUST_200600_302600_NS6detail15normal_iteratorINSA_10device_ptrIyEEEEPS6_NSA_18transform_iteratorI7is_evenIyESF_NSA_11use_defaultESK_EENS0_5tupleIJSF_NSA_16discard_iteratorISK_EEEEENSM_IJSG_SG_EEES6_PlJS6_EEE10hipError_tPvRmT3_T4_T5_T6_T7_T9_mT8_P12ihipStream_tbDpT10_ENKUlT_T0_E_clISt17integral_constantIbLb0EES1B_EEDaS16_S17_EUlS16_E_NS1_11comp_targetILNS1_3genE8ELNS1_11target_archE1030ELNS1_3gpuE2ELNS1_3repE0EEENS1_30default_config_static_selectorELNS0_4arch9wavefront6targetE1EEEvT1_,comdat
.Lfunc_end2914:
	.size	_ZN7rocprim17ROCPRIM_400000_NS6detail17trampoline_kernelINS0_14default_configENS1_25partition_config_selectorILNS1_17partition_subalgoE1EyNS0_10empty_typeEbEEZZNS1_14partition_implILS5_1ELb0ES3_jN6thrust23THRUST_200600_302600_NS6detail15normal_iteratorINSA_10device_ptrIyEEEEPS6_NSA_18transform_iteratorI7is_evenIyESF_NSA_11use_defaultESK_EENS0_5tupleIJSF_NSA_16discard_iteratorISK_EEEEENSM_IJSG_SG_EEES6_PlJS6_EEE10hipError_tPvRmT3_T4_T5_T6_T7_T9_mT8_P12ihipStream_tbDpT10_ENKUlT_T0_E_clISt17integral_constantIbLb0EES1B_EEDaS16_S17_EUlS16_E_NS1_11comp_targetILNS1_3genE8ELNS1_11target_archE1030ELNS1_3gpuE2ELNS1_3repE0EEENS1_30default_config_static_selectorELNS0_4arch9wavefront6targetE1EEEvT1_, .Lfunc_end2914-_ZN7rocprim17ROCPRIM_400000_NS6detail17trampoline_kernelINS0_14default_configENS1_25partition_config_selectorILNS1_17partition_subalgoE1EyNS0_10empty_typeEbEEZZNS1_14partition_implILS5_1ELb0ES3_jN6thrust23THRUST_200600_302600_NS6detail15normal_iteratorINSA_10device_ptrIyEEEEPS6_NSA_18transform_iteratorI7is_evenIyESF_NSA_11use_defaultESK_EENS0_5tupleIJSF_NSA_16discard_iteratorISK_EEEEENSM_IJSG_SG_EEES6_PlJS6_EEE10hipError_tPvRmT3_T4_T5_T6_T7_T9_mT8_P12ihipStream_tbDpT10_ENKUlT_T0_E_clISt17integral_constantIbLb0EES1B_EEDaS16_S17_EUlS16_E_NS1_11comp_targetILNS1_3genE8ELNS1_11target_archE1030ELNS1_3gpuE2ELNS1_3repE0EEENS1_30default_config_static_selectorELNS0_4arch9wavefront6targetE1EEEvT1_
                                        ; -- End function
	.section	.AMDGPU.csdata,"",@progbits
; Kernel info:
; codeLenInByte = 0
; NumSgprs: 4
; NumVgprs: 0
; NumAgprs: 0
; TotalNumVgprs: 0
; ScratchSize: 0
; MemoryBound: 0
; FloatMode: 240
; IeeeMode: 1
; LDSByteSize: 0 bytes/workgroup (compile time only)
; SGPRBlocks: 0
; VGPRBlocks: 0
; NumSGPRsForWavesPerEU: 4
; NumVGPRsForWavesPerEU: 1
; AccumOffset: 4
; Occupancy: 8
; WaveLimiterHint : 0
; COMPUTE_PGM_RSRC2:SCRATCH_EN: 0
; COMPUTE_PGM_RSRC2:USER_SGPR: 6
; COMPUTE_PGM_RSRC2:TRAP_HANDLER: 0
; COMPUTE_PGM_RSRC2:TGID_X_EN: 1
; COMPUTE_PGM_RSRC2:TGID_Y_EN: 0
; COMPUTE_PGM_RSRC2:TGID_Z_EN: 0
; COMPUTE_PGM_RSRC2:TIDIG_COMP_CNT: 0
; COMPUTE_PGM_RSRC3_GFX90A:ACCUM_OFFSET: 0
; COMPUTE_PGM_RSRC3_GFX90A:TG_SPLIT: 0
	.section	.text._ZN7rocprim17ROCPRIM_400000_NS6detail17trampoline_kernelINS0_14default_configENS1_25partition_config_selectorILNS1_17partition_subalgoE1EyNS0_10empty_typeEbEEZZNS1_14partition_implILS5_1ELb0ES3_jN6thrust23THRUST_200600_302600_NS6detail15normal_iteratorINSA_10device_ptrIyEEEEPS6_NSA_18transform_iteratorI7is_evenIyESF_NSA_11use_defaultESK_EENS0_5tupleIJSF_NSA_16discard_iteratorISK_EEEEENSM_IJSG_SG_EEES6_PlJS6_EEE10hipError_tPvRmT3_T4_T5_T6_T7_T9_mT8_P12ihipStream_tbDpT10_ENKUlT_T0_E_clISt17integral_constantIbLb1EES1B_EEDaS16_S17_EUlS16_E_NS1_11comp_targetILNS1_3genE0ELNS1_11target_archE4294967295ELNS1_3gpuE0ELNS1_3repE0EEENS1_30default_config_static_selectorELNS0_4arch9wavefront6targetE1EEEvT1_,"axG",@progbits,_ZN7rocprim17ROCPRIM_400000_NS6detail17trampoline_kernelINS0_14default_configENS1_25partition_config_selectorILNS1_17partition_subalgoE1EyNS0_10empty_typeEbEEZZNS1_14partition_implILS5_1ELb0ES3_jN6thrust23THRUST_200600_302600_NS6detail15normal_iteratorINSA_10device_ptrIyEEEEPS6_NSA_18transform_iteratorI7is_evenIyESF_NSA_11use_defaultESK_EENS0_5tupleIJSF_NSA_16discard_iteratorISK_EEEEENSM_IJSG_SG_EEES6_PlJS6_EEE10hipError_tPvRmT3_T4_T5_T6_T7_T9_mT8_P12ihipStream_tbDpT10_ENKUlT_T0_E_clISt17integral_constantIbLb1EES1B_EEDaS16_S17_EUlS16_E_NS1_11comp_targetILNS1_3genE0ELNS1_11target_archE4294967295ELNS1_3gpuE0ELNS1_3repE0EEENS1_30default_config_static_selectorELNS0_4arch9wavefront6targetE1EEEvT1_,comdat
	.protected	_ZN7rocprim17ROCPRIM_400000_NS6detail17trampoline_kernelINS0_14default_configENS1_25partition_config_selectorILNS1_17partition_subalgoE1EyNS0_10empty_typeEbEEZZNS1_14partition_implILS5_1ELb0ES3_jN6thrust23THRUST_200600_302600_NS6detail15normal_iteratorINSA_10device_ptrIyEEEEPS6_NSA_18transform_iteratorI7is_evenIyESF_NSA_11use_defaultESK_EENS0_5tupleIJSF_NSA_16discard_iteratorISK_EEEEENSM_IJSG_SG_EEES6_PlJS6_EEE10hipError_tPvRmT3_T4_T5_T6_T7_T9_mT8_P12ihipStream_tbDpT10_ENKUlT_T0_E_clISt17integral_constantIbLb1EES1B_EEDaS16_S17_EUlS16_E_NS1_11comp_targetILNS1_3genE0ELNS1_11target_archE4294967295ELNS1_3gpuE0ELNS1_3repE0EEENS1_30default_config_static_selectorELNS0_4arch9wavefront6targetE1EEEvT1_ ; -- Begin function _ZN7rocprim17ROCPRIM_400000_NS6detail17trampoline_kernelINS0_14default_configENS1_25partition_config_selectorILNS1_17partition_subalgoE1EyNS0_10empty_typeEbEEZZNS1_14partition_implILS5_1ELb0ES3_jN6thrust23THRUST_200600_302600_NS6detail15normal_iteratorINSA_10device_ptrIyEEEEPS6_NSA_18transform_iteratorI7is_evenIyESF_NSA_11use_defaultESK_EENS0_5tupleIJSF_NSA_16discard_iteratorISK_EEEEENSM_IJSG_SG_EEES6_PlJS6_EEE10hipError_tPvRmT3_T4_T5_T6_T7_T9_mT8_P12ihipStream_tbDpT10_ENKUlT_T0_E_clISt17integral_constantIbLb1EES1B_EEDaS16_S17_EUlS16_E_NS1_11comp_targetILNS1_3genE0ELNS1_11target_archE4294967295ELNS1_3gpuE0ELNS1_3repE0EEENS1_30default_config_static_selectorELNS0_4arch9wavefront6targetE1EEEvT1_
	.globl	_ZN7rocprim17ROCPRIM_400000_NS6detail17trampoline_kernelINS0_14default_configENS1_25partition_config_selectorILNS1_17partition_subalgoE1EyNS0_10empty_typeEbEEZZNS1_14partition_implILS5_1ELb0ES3_jN6thrust23THRUST_200600_302600_NS6detail15normal_iteratorINSA_10device_ptrIyEEEEPS6_NSA_18transform_iteratorI7is_evenIyESF_NSA_11use_defaultESK_EENS0_5tupleIJSF_NSA_16discard_iteratorISK_EEEEENSM_IJSG_SG_EEES6_PlJS6_EEE10hipError_tPvRmT3_T4_T5_T6_T7_T9_mT8_P12ihipStream_tbDpT10_ENKUlT_T0_E_clISt17integral_constantIbLb1EES1B_EEDaS16_S17_EUlS16_E_NS1_11comp_targetILNS1_3genE0ELNS1_11target_archE4294967295ELNS1_3gpuE0ELNS1_3repE0EEENS1_30default_config_static_selectorELNS0_4arch9wavefront6targetE1EEEvT1_
	.p2align	8
	.type	_ZN7rocprim17ROCPRIM_400000_NS6detail17trampoline_kernelINS0_14default_configENS1_25partition_config_selectorILNS1_17partition_subalgoE1EyNS0_10empty_typeEbEEZZNS1_14partition_implILS5_1ELb0ES3_jN6thrust23THRUST_200600_302600_NS6detail15normal_iteratorINSA_10device_ptrIyEEEEPS6_NSA_18transform_iteratorI7is_evenIyESF_NSA_11use_defaultESK_EENS0_5tupleIJSF_NSA_16discard_iteratorISK_EEEEENSM_IJSG_SG_EEES6_PlJS6_EEE10hipError_tPvRmT3_T4_T5_T6_T7_T9_mT8_P12ihipStream_tbDpT10_ENKUlT_T0_E_clISt17integral_constantIbLb1EES1B_EEDaS16_S17_EUlS16_E_NS1_11comp_targetILNS1_3genE0ELNS1_11target_archE4294967295ELNS1_3gpuE0ELNS1_3repE0EEENS1_30default_config_static_selectorELNS0_4arch9wavefront6targetE1EEEvT1_,@function
_ZN7rocprim17ROCPRIM_400000_NS6detail17trampoline_kernelINS0_14default_configENS1_25partition_config_selectorILNS1_17partition_subalgoE1EyNS0_10empty_typeEbEEZZNS1_14partition_implILS5_1ELb0ES3_jN6thrust23THRUST_200600_302600_NS6detail15normal_iteratorINSA_10device_ptrIyEEEEPS6_NSA_18transform_iteratorI7is_evenIyESF_NSA_11use_defaultESK_EENS0_5tupleIJSF_NSA_16discard_iteratorISK_EEEEENSM_IJSG_SG_EEES6_PlJS6_EEE10hipError_tPvRmT3_T4_T5_T6_T7_T9_mT8_P12ihipStream_tbDpT10_ENKUlT_T0_E_clISt17integral_constantIbLb1EES1B_EEDaS16_S17_EUlS16_E_NS1_11comp_targetILNS1_3genE0ELNS1_11target_archE4294967295ELNS1_3gpuE0ELNS1_3repE0EEENS1_30default_config_static_selectorELNS0_4arch9wavefront6targetE1EEEvT1_: ; @_ZN7rocprim17ROCPRIM_400000_NS6detail17trampoline_kernelINS0_14default_configENS1_25partition_config_selectorILNS1_17partition_subalgoE1EyNS0_10empty_typeEbEEZZNS1_14partition_implILS5_1ELb0ES3_jN6thrust23THRUST_200600_302600_NS6detail15normal_iteratorINSA_10device_ptrIyEEEEPS6_NSA_18transform_iteratorI7is_evenIyESF_NSA_11use_defaultESK_EENS0_5tupleIJSF_NSA_16discard_iteratorISK_EEEEENSM_IJSG_SG_EEES6_PlJS6_EEE10hipError_tPvRmT3_T4_T5_T6_T7_T9_mT8_P12ihipStream_tbDpT10_ENKUlT_T0_E_clISt17integral_constantIbLb1EES1B_EEDaS16_S17_EUlS16_E_NS1_11comp_targetILNS1_3genE0ELNS1_11target_archE4294967295ELNS1_3gpuE0ELNS1_3repE0EEENS1_30default_config_static_selectorELNS0_4arch9wavefront6targetE1EEEvT1_
; %bb.0:
	.section	.rodata,"a",@progbits
	.p2align	6, 0x0
	.amdhsa_kernel _ZN7rocprim17ROCPRIM_400000_NS6detail17trampoline_kernelINS0_14default_configENS1_25partition_config_selectorILNS1_17partition_subalgoE1EyNS0_10empty_typeEbEEZZNS1_14partition_implILS5_1ELb0ES3_jN6thrust23THRUST_200600_302600_NS6detail15normal_iteratorINSA_10device_ptrIyEEEEPS6_NSA_18transform_iteratorI7is_evenIyESF_NSA_11use_defaultESK_EENS0_5tupleIJSF_NSA_16discard_iteratorISK_EEEEENSM_IJSG_SG_EEES6_PlJS6_EEE10hipError_tPvRmT3_T4_T5_T6_T7_T9_mT8_P12ihipStream_tbDpT10_ENKUlT_T0_E_clISt17integral_constantIbLb1EES1B_EEDaS16_S17_EUlS16_E_NS1_11comp_targetILNS1_3genE0ELNS1_11target_archE4294967295ELNS1_3gpuE0ELNS1_3repE0EEENS1_30default_config_static_selectorELNS0_4arch9wavefront6targetE1EEEvT1_
		.amdhsa_group_segment_fixed_size 0
		.amdhsa_private_segment_fixed_size 0
		.amdhsa_kernarg_size 152
		.amdhsa_user_sgpr_count 6
		.amdhsa_user_sgpr_private_segment_buffer 1
		.amdhsa_user_sgpr_dispatch_ptr 0
		.amdhsa_user_sgpr_queue_ptr 0
		.amdhsa_user_sgpr_kernarg_segment_ptr 1
		.amdhsa_user_sgpr_dispatch_id 0
		.amdhsa_user_sgpr_flat_scratch_init 0
		.amdhsa_user_sgpr_kernarg_preload_length 0
		.amdhsa_user_sgpr_kernarg_preload_offset 0
		.amdhsa_user_sgpr_private_segment_size 0
		.amdhsa_uses_dynamic_stack 0
		.amdhsa_system_sgpr_private_segment_wavefront_offset 0
		.amdhsa_system_sgpr_workgroup_id_x 1
		.amdhsa_system_sgpr_workgroup_id_y 0
		.amdhsa_system_sgpr_workgroup_id_z 0
		.amdhsa_system_sgpr_workgroup_info 0
		.amdhsa_system_vgpr_workitem_id 0
		.amdhsa_next_free_vgpr 1
		.amdhsa_next_free_sgpr 0
		.amdhsa_accum_offset 4
		.amdhsa_reserve_vcc 0
		.amdhsa_reserve_flat_scratch 0
		.amdhsa_float_round_mode_32 0
		.amdhsa_float_round_mode_16_64 0
		.amdhsa_float_denorm_mode_32 3
		.amdhsa_float_denorm_mode_16_64 3
		.amdhsa_dx10_clamp 1
		.amdhsa_ieee_mode 1
		.amdhsa_fp16_overflow 0
		.amdhsa_tg_split 0
		.amdhsa_exception_fp_ieee_invalid_op 0
		.amdhsa_exception_fp_denorm_src 0
		.amdhsa_exception_fp_ieee_div_zero 0
		.amdhsa_exception_fp_ieee_overflow 0
		.amdhsa_exception_fp_ieee_underflow 0
		.amdhsa_exception_fp_ieee_inexact 0
		.amdhsa_exception_int_div_zero 0
	.end_amdhsa_kernel
	.section	.text._ZN7rocprim17ROCPRIM_400000_NS6detail17trampoline_kernelINS0_14default_configENS1_25partition_config_selectorILNS1_17partition_subalgoE1EyNS0_10empty_typeEbEEZZNS1_14partition_implILS5_1ELb0ES3_jN6thrust23THRUST_200600_302600_NS6detail15normal_iteratorINSA_10device_ptrIyEEEEPS6_NSA_18transform_iteratorI7is_evenIyESF_NSA_11use_defaultESK_EENS0_5tupleIJSF_NSA_16discard_iteratorISK_EEEEENSM_IJSG_SG_EEES6_PlJS6_EEE10hipError_tPvRmT3_T4_T5_T6_T7_T9_mT8_P12ihipStream_tbDpT10_ENKUlT_T0_E_clISt17integral_constantIbLb1EES1B_EEDaS16_S17_EUlS16_E_NS1_11comp_targetILNS1_3genE0ELNS1_11target_archE4294967295ELNS1_3gpuE0ELNS1_3repE0EEENS1_30default_config_static_selectorELNS0_4arch9wavefront6targetE1EEEvT1_,"axG",@progbits,_ZN7rocprim17ROCPRIM_400000_NS6detail17trampoline_kernelINS0_14default_configENS1_25partition_config_selectorILNS1_17partition_subalgoE1EyNS0_10empty_typeEbEEZZNS1_14partition_implILS5_1ELb0ES3_jN6thrust23THRUST_200600_302600_NS6detail15normal_iteratorINSA_10device_ptrIyEEEEPS6_NSA_18transform_iteratorI7is_evenIyESF_NSA_11use_defaultESK_EENS0_5tupleIJSF_NSA_16discard_iteratorISK_EEEEENSM_IJSG_SG_EEES6_PlJS6_EEE10hipError_tPvRmT3_T4_T5_T6_T7_T9_mT8_P12ihipStream_tbDpT10_ENKUlT_T0_E_clISt17integral_constantIbLb1EES1B_EEDaS16_S17_EUlS16_E_NS1_11comp_targetILNS1_3genE0ELNS1_11target_archE4294967295ELNS1_3gpuE0ELNS1_3repE0EEENS1_30default_config_static_selectorELNS0_4arch9wavefront6targetE1EEEvT1_,comdat
.Lfunc_end2915:
	.size	_ZN7rocprim17ROCPRIM_400000_NS6detail17trampoline_kernelINS0_14default_configENS1_25partition_config_selectorILNS1_17partition_subalgoE1EyNS0_10empty_typeEbEEZZNS1_14partition_implILS5_1ELb0ES3_jN6thrust23THRUST_200600_302600_NS6detail15normal_iteratorINSA_10device_ptrIyEEEEPS6_NSA_18transform_iteratorI7is_evenIyESF_NSA_11use_defaultESK_EENS0_5tupleIJSF_NSA_16discard_iteratorISK_EEEEENSM_IJSG_SG_EEES6_PlJS6_EEE10hipError_tPvRmT3_T4_T5_T6_T7_T9_mT8_P12ihipStream_tbDpT10_ENKUlT_T0_E_clISt17integral_constantIbLb1EES1B_EEDaS16_S17_EUlS16_E_NS1_11comp_targetILNS1_3genE0ELNS1_11target_archE4294967295ELNS1_3gpuE0ELNS1_3repE0EEENS1_30default_config_static_selectorELNS0_4arch9wavefront6targetE1EEEvT1_, .Lfunc_end2915-_ZN7rocprim17ROCPRIM_400000_NS6detail17trampoline_kernelINS0_14default_configENS1_25partition_config_selectorILNS1_17partition_subalgoE1EyNS0_10empty_typeEbEEZZNS1_14partition_implILS5_1ELb0ES3_jN6thrust23THRUST_200600_302600_NS6detail15normal_iteratorINSA_10device_ptrIyEEEEPS6_NSA_18transform_iteratorI7is_evenIyESF_NSA_11use_defaultESK_EENS0_5tupleIJSF_NSA_16discard_iteratorISK_EEEEENSM_IJSG_SG_EEES6_PlJS6_EEE10hipError_tPvRmT3_T4_T5_T6_T7_T9_mT8_P12ihipStream_tbDpT10_ENKUlT_T0_E_clISt17integral_constantIbLb1EES1B_EEDaS16_S17_EUlS16_E_NS1_11comp_targetILNS1_3genE0ELNS1_11target_archE4294967295ELNS1_3gpuE0ELNS1_3repE0EEENS1_30default_config_static_selectorELNS0_4arch9wavefront6targetE1EEEvT1_
                                        ; -- End function
	.section	.AMDGPU.csdata,"",@progbits
; Kernel info:
; codeLenInByte = 0
; NumSgprs: 4
; NumVgprs: 0
; NumAgprs: 0
; TotalNumVgprs: 0
; ScratchSize: 0
; MemoryBound: 0
; FloatMode: 240
; IeeeMode: 1
; LDSByteSize: 0 bytes/workgroup (compile time only)
; SGPRBlocks: 0
; VGPRBlocks: 0
; NumSGPRsForWavesPerEU: 4
; NumVGPRsForWavesPerEU: 1
; AccumOffset: 4
; Occupancy: 8
; WaveLimiterHint : 0
; COMPUTE_PGM_RSRC2:SCRATCH_EN: 0
; COMPUTE_PGM_RSRC2:USER_SGPR: 6
; COMPUTE_PGM_RSRC2:TRAP_HANDLER: 0
; COMPUTE_PGM_RSRC2:TGID_X_EN: 1
; COMPUTE_PGM_RSRC2:TGID_Y_EN: 0
; COMPUTE_PGM_RSRC2:TGID_Z_EN: 0
; COMPUTE_PGM_RSRC2:TIDIG_COMP_CNT: 0
; COMPUTE_PGM_RSRC3_GFX90A:ACCUM_OFFSET: 0
; COMPUTE_PGM_RSRC3_GFX90A:TG_SPLIT: 0
	.section	.text._ZN7rocprim17ROCPRIM_400000_NS6detail17trampoline_kernelINS0_14default_configENS1_25partition_config_selectorILNS1_17partition_subalgoE1EyNS0_10empty_typeEbEEZZNS1_14partition_implILS5_1ELb0ES3_jN6thrust23THRUST_200600_302600_NS6detail15normal_iteratorINSA_10device_ptrIyEEEEPS6_NSA_18transform_iteratorI7is_evenIyESF_NSA_11use_defaultESK_EENS0_5tupleIJSF_NSA_16discard_iteratorISK_EEEEENSM_IJSG_SG_EEES6_PlJS6_EEE10hipError_tPvRmT3_T4_T5_T6_T7_T9_mT8_P12ihipStream_tbDpT10_ENKUlT_T0_E_clISt17integral_constantIbLb1EES1B_EEDaS16_S17_EUlS16_E_NS1_11comp_targetILNS1_3genE5ELNS1_11target_archE942ELNS1_3gpuE9ELNS1_3repE0EEENS1_30default_config_static_selectorELNS0_4arch9wavefront6targetE1EEEvT1_,"axG",@progbits,_ZN7rocprim17ROCPRIM_400000_NS6detail17trampoline_kernelINS0_14default_configENS1_25partition_config_selectorILNS1_17partition_subalgoE1EyNS0_10empty_typeEbEEZZNS1_14partition_implILS5_1ELb0ES3_jN6thrust23THRUST_200600_302600_NS6detail15normal_iteratorINSA_10device_ptrIyEEEEPS6_NSA_18transform_iteratorI7is_evenIyESF_NSA_11use_defaultESK_EENS0_5tupleIJSF_NSA_16discard_iteratorISK_EEEEENSM_IJSG_SG_EEES6_PlJS6_EEE10hipError_tPvRmT3_T4_T5_T6_T7_T9_mT8_P12ihipStream_tbDpT10_ENKUlT_T0_E_clISt17integral_constantIbLb1EES1B_EEDaS16_S17_EUlS16_E_NS1_11comp_targetILNS1_3genE5ELNS1_11target_archE942ELNS1_3gpuE9ELNS1_3repE0EEENS1_30default_config_static_selectorELNS0_4arch9wavefront6targetE1EEEvT1_,comdat
	.protected	_ZN7rocprim17ROCPRIM_400000_NS6detail17trampoline_kernelINS0_14default_configENS1_25partition_config_selectorILNS1_17partition_subalgoE1EyNS0_10empty_typeEbEEZZNS1_14partition_implILS5_1ELb0ES3_jN6thrust23THRUST_200600_302600_NS6detail15normal_iteratorINSA_10device_ptrIyEEEEPS6_NSA_18transform_iteratorI7is_evenIyESF_NSA_11use_defaultESK_EENS0_5tupleIJSF_NSA_16discard_iteratorISK_EEEEENSM_IJSG_SG_EEES6_PlJS6_EEE10hipError_tPvRmT3_T4_T5_T6_T7_T9_mT8_P12ihipStream_tbDpT10_ENKUlT_T0_E_clISt17integral_constantIbLb1EES1B_EEDaS16_S17_EUlS16_E_NS1_11comp_targetILNS1_3genE5ELNS1_11target_archE942ELNS1_3gpuE9ELNS1_3repE0EEENS1_30default_config_static_selectorELNS0_4arch9wavefront6targetE1EEEvT1_ ; -- Begin function _ZN7rocprim17ROCPRIM_400000_NS6detail17trampoline_kernelINS0_14default_configENS1_25partition_config_selectorILNS1_17partition_subalgoE1EyNS0_10empty_typeEbEEZZNS1_14partition_implILS5_1ELb0ES3_jN6thrust23THRUST_200600_302600_NS6detail15normal_iteratorINSA_10device_ptrIyEEEEPS6_NSA_18transform_iteratorI7is_evenIyESF_NSA_11use_defaultESK_EENS0_5tupleIJSF_NSA_16discard_iteratorISK_EEEEENSM_IJSG_SG_EEES6_PlJS6_EEE10hipError_tPvRmT3_T4_T5_T6_T7_T9_mT8_P12ihipStream_tbDpT10_ENKUlT_T0_E_clISt17integral_constantIbLb1EES1B_EEDaS16_S17_EUlS16_E_NS1_11comp_targetILNS1_3genE5ELNS1_11target_archE942ELNS1_3gpuE9ELNS1_3repE0EEENS1_30default_config_static_selectorELNS0_4arch9wavefront6targetE1EEEvT1_
	.globl	_ZN7rocprim17ROCPRIM_400000_NS6detail17trampoline_kernelINS0_14default_configENS1_25partition_config_selectorILNS1_17partition_subalgoE1EyNS0_10empty_typeEbEEZZNS1_14partition_implILS5_1ELb0ES3_jN6thrust23THRUST_200600_302600_NS6detail15normal_iteratorINSA_10device_ptrIyEEEEPS6_NSA_18transform_iteratorI7is_evenIyESF_NSA_11use_defaultESK_EENS0_5tupleIJSF_NSA_16discard_iteratorISK_EEEEENSM_IJSG_SG_EEES6_PlJS6_EEE10hipError_tPvRmT3_T4_T5_T6_T7_T9_mT8_P12ihipStream_tbDpT10_ENKUlT_T0_E_clISt17integral_constantIbLb1EES1B_EEDaS16_S17_EUlS16_E_NS1_11comp_targetILNS1_3genE5ELNS1_11target_archE942ELNS1_3gpuE9ELNS1_3repE0EEENS1_30default_config_static_selectorELNS0_4arch9wavefront6targetE1EEEvT1_
	.p2align	8
	.type	_ZN7rocprim17ROCPRIM_400000_NS6detail17trampoline_kernelINS0_14default_configENS1_25partition_config_selectorILNS1_17partition_subalgoE1EyNS0_10empty_typeEbEEZZNS1_14partition_implILS5_1ELb0ES3_jN6thrust23THRUST_200600_302600_NS6detail15normal_iteratorINSA_10device_ptrIyEEEEPS6_NSA_18transform_iteratorI7is_evenIyESF_NSA_11use_defaultESK_EENS0_5tupleIJSF_NSA_16discard_iteratorISK_EEEEENSM_IJSG_SG_EEES6_PlJS6_EEE10hipError_tPvRmT3_T4_T5_T6_T7_T9_mT8_P12ihipStream_tbDpT10_ENKUlT_T0_E_clISt17integral_constantIbLb1EES1B_EEDaS16_S17_EUlS16_E_NS1_11comp_targetILNS1_3genE5ELNS1_11target_archE942ELNS1_3gpuE9ELNS1_3repE0EEENS1_30default_config_static_selectorELNS0_4arch9wavefront6targetE1EEEvT1_,@function
_ZN7rocprim17ROCPRIM_400000_NS6detail17trampoline_kernelINS0_14default_configENS1_25partition_config_selectorILNS1_17partition_subalgoE1EyNS0_10empty_typeEbEEZZNS1_14partition_implILS5_1ELb0ES3_jN6thrust23THRUST_200600_302600_NS6detail15normal_iteratorINSA_10device_ptrIyEEEEPS6_NSA_18transform_iteratorI7is_evenIyESF_NSA_11use_defaultESK_EENS0_5tupleIJSF_NSA_16discard_iteratorISK_EEEEENSM_IJSG_SG_EEES6_PlJS6_EEE10hipError_tPvRmT3_T4_T5_T6_T7_T9_mT8_P12ihipStream_tbDpT10_ENKUlT_T0_E_clISt17integral_constantIbLb1EES1B_EEDaS16_S17_EUlS16_E_NS1_11comp_targetILNS1_3genE5ELNS1_11target_archE942ELNS1_3gpuE9ELNS1_3repE0EEENS1_30default_config_static_selectorELNS0_4arch9wavefront6targetE1EEEvT1_: ; @_ZN7rocprim17ROCPRIM_400000_NS6detail17trampoline_kernelINS0_14default_configENS1_25partition_config_selectorILNS1_17partition_subalgoE1EyNS0_10empty_typeEbEEZZNS1_14partition_implILS5_1ELb0ES3_jN6thrust23THRUST_200600_302600_NS6detail15normal_iteratorINSA_10device_ptrIyEEEEPS6_NSA_18transform_iteratorI7is_evenIyESF_NSA_11use_defaultESK_EENS0_5tupleIJSF_NSA_16discard_iteratorISK_EEEEENSM_IJSG_SG_EEES6_PlJS6_EEE10hipError_tPvRmT3_T4_T5_T6_T7_T9_mT8_P12ihipStream_tbDpT10_ENKUlT_T0_E_clISt17integral_constantIbLb1EES1B_EEDaS16_S17_EUlS16_E_NS1_11comp_targetILNS1_3genE5ELNS1_11target_archE942ELNS1_3gpuE9ELNS1_3repE0EEENS1_30default_config_static_selectorELNS0_4arch9wavefront6targetE1EEEvT1_
; %bb.0:
	.section	.rodata,"a",@progbits
	.p2align	6, 0x0
	.amdhsa_kernel _ZN7rocprim17ROCPRIM_400000_NS6detail17trampoline_kernelINS0_14default_configENS1_25partition_config_selectorILNS1_17partition_subalgoE1EyNS0_10empty_typeEbEEZZNS1_14partition_implILS5_1ELb0ES3_jN6thrust23THRUST_200600_302600_NS6detail15normal_iteratorINSA_10device_ptrIyEEEEPS6_NSA_18transform_iteratorI7is_evenIyESF_NSA_11use_defaultESK_EENS0_5tupleIJSF_NSA_16discard_iteratorISK_EEEEENSM_IJSG_SG_EEES6_PlJS6_EEE10hipError_tPvRmT3_T4_T5_T6_T7_T9_mT8_P12ihipStream_tbDpT10_ENKUlT_T0_E_clISt17integral_constantIbLb1EES1B_EEDaS16_S17_EUlS16_E_NS1_11comp_targetILNS1_3genE5ELNS1_11target_archE942ELNS1_3gpuE9ELNS1_3repE0EEENS1_30default_config_static_selectorELNS0_4arch9wavefront6targetE1EEEvT1_
		.amdhsa_group_segment_fixed_size 0
		.amdhsa_private_segment_fixed_size 0
		.amdhsa_kernarg_size 152
		.amdhsa_user_sgpr_count 6
		.amdhsa_user_sgpr_private_segment_buffer 1
		.amdhsa_user_sgpr_dispatch_ptr 0
		.amdhsa_user_sgpr_queue_ptr 0
		.amdhsa_user_sgpr_kernarg_segment_ptr 1
		.amdhsa_user_sgpr_dispatch_id 0
		.amdhsa_user_sgpr_flat_scratch_init 0
		.amdhsa_user_sgpr_kernarg_preload_length 0
		.amdhsa_user_sgpr_kernarg_preload_offset 0
		.amdhsa_user_sgpr_private_segment_size 0
		.amdhsa_uses_dynamic_stack 0
		.amdhsa_system_sgpr_private_segment_wavefront_offset 0
		.amdhsa_system_sgpr_workgroup_id_x 1
		.amdhsa_system_sgpr_workgroup_id_y 0
		.amdhsa_system_sgpr_workgroup_id_z 0
		.amdhsa_system_sgpr_workgroup_info 0
		.amdhsa_system_vgpr_workitem_id 0
		.amdhsa_next_free_vgpr 1
		.amdhsa_next_free_sgpr 0
		.amdhsa_accum_offset 4
		.amdhsa_reserve_vcc 0
		.amdhsa_reserve_flat_scratch 0
		.amdhsa_float_round_mode_32 0
		.amdhsa_float_round_mode_16_64 0
		.amdhsa_float_denorm_mode_32 3
		.amdhsa_float_denorm_mode_16_64 3
		.amdhsa_dx10_clamp 1
		.amdhsa_ieee_mode 1
		.amdhsa_fp16_overflow 0
		.amdhsa_tg_split 0
		.amdhsa_exception_fp_ieee_invalid_op 0
		.amdhsa_exception_fp_denorm_src 0
		.amdhsa_exception_fp_ieee_div_zero 0
		.amdhsa_exception_fp_ieee_overflow 0
		.amdhsa_exception_fp_ieee_underflow 0
		.amdhsa_exception_fp_ieee_inexact 0
		.amdhsa_exception_int_div_zero 0
	.end_amdhsa_kernel
	.section	.text._ZN7rocprim17ROCPRIM_400000_NS6detail17trampoline_kernelINS0_14default_configENS1_25partition_config_selectorILNS1_17partition_subalgoE1EyNS0_10empty_typeEbEEZZNS1_14partition_implILS5_1ELb0ES3_jN6thrust23THRUST_200600_302600_NS6detail15normal_iteratorINSA_10device_ptrIyEEEEPS6_NSA_18transform_iteratorI7is_evenIyESF_NSA_11use_defaultESK_EENS0_5tupleIJSF_NSA_16discard_iteratorISK_EEEEENSM_IJSG_SG_EEES6_PlJS6_EEE10hipError_tPvRmT3_T4_T5_T6_T7_T9_mT8_P12ihipStream_tbDpT10_ENKUlT_T0_E_clISt17integral_constantIbLb1EES1B_EEDaS16_S17_EUlS16_E_NS1_11comp_targetILNS1_3genE5ELNS1_11target_archE942ELNS1_3gpuE9ELNS1_3repE0EEENS1_30default_config_static_selectorELNS0_4arch9wavefront6targetE1EEEvT1_,"axG",@progbits,_ZN7rocprim17ROCPRIM_400000_NS6detail17trampoline_kernelINS0_14default_configENS1_25partition_config_selectorILNS1_17partition_subalgoE1EyNS0_10empty_typeEbEEZZNS1_14partition_implILS5_1ELb0ES3_jN6thrust23THRUST_200600_302600_NS6detail15normal_iteratorINSA_10device_ptrIyEEEEPS6_NSA_18transform_iteratorI7is_evenIyESF_NSA_11use_defaultESK_EENS0_5tupleIJSF_NSA_16discard_iteratorISK_EEEEENSM_IJSG_SG_EEES6_PlJS6_EEE10hipError_tPvRmT3_T4_T5_T6_T7_T9_mT8_P12ihipStream_tbDpT10_ENKUlT_T0_E_clISt17integral_constantIbLb1EES1B_EEDaS16_S17_EUlS16_E_NS1_11comp_targetILNS1_3genE5ELNS1_11target_archE942ELNS1_3gpuE9ELNS1_3repE0EEENS1_30default_config_static_selectorELNS0_4arch9wavefront6targetE1EEEvT1_,comdat
.Lfunc_end2916:
	.size	_ZN7rocprim17ROCPRIM_400000_NS6detail17trampoline_kernelINS0_14default_configENS1_25partition_config_selectorILNS1_17partition_subalgoE1EyNS0_10empty_typeEbEEZZNS1_14partition_implILS5_1ELb0ES3_jN6thrust23THRUST_200600_302600_NS6detail15normal_iteratorINSA_10device_ptrIyEEEEPS6_NSA_18transform_iteratorI7is_evenIyESF_NSA_11use_defaultESK_EENS0_5tupleIJSF_NSA_16discard_iteratorISK_EEEEENSM_IJSG_SG_EEES6_PlJS6_EEE10hipError_tPvRmT3_T4_T5_T6_T7_T9_mT8_P12ihipStream_tbDpT10_ENKUlT_T0_E_clISt17integral_constantIbLb1EES1B_EEDaS16_S17_EUlS16_E_NS1_11comp_targetILNS1_3genE5ELNS1_11target_archE942ELNS1_3gpuE9ELNS1_3repE0EEENS1_30default_config_static_selectorELNS0_4arch9wavefront6targetE1EEEvT1_, .Lfunc_end2916-_ZN7rocprim17ROCPRIM_400000_NS6detail17trampoline_kernelINS0_14default_configENS1_25partition_config_selectorILNS1_17partition_subalgoE1EyNS0_10empty_typeEbEEZZNS1_14partition_implILS5_1ELb0ES3_jN6thrust23THRUST_200600_302600_NS6detail15normal_iteratorINSA_10device_ptrIyEEEEPS6_NSA_18transform_iteratorI7is_evenIyESF_NSA_11use_defaultESK_EENS0_5tupleIJSF_NSA_16discard_iteratorISK_EEEEENSM_IJSG_SG_EEES6_PlJS6_EEE10hipError_tPvRmT3_T4_T5_T6_T7_T9_mT8_P12ihipStream_tbDpT10_ENKUlT_T0_E_clISt17integral_constantIbLb1EES1B_EEDaS16_S17_EUlS16_E_NS1_11comp_targetILNS1_3genE5ELNS1_11target_archE942ELNS1_3gpuE9ELNS1_3repE0EEENS1_30default_config_static_selectorELNS0_4arch9wavefront6targetE1EEEvT1_
                                        ; -- End function
	.section	.AMDGPU.csdata,"",@progbits
; Kernel info:
; codeLenInByte = 0
; NumSgprs: 4
; NumVgprs: 0
; NumAgprs: 0
; TotalNumVgprs: 0
; ScratchSize: 0
; MemoryBound: 0
; FloatMode: 240
; IeeeMode: 1
; LDSByteSize: 0 bytes/workgroup (compile time only)
; SGPRBlocks: 0
; VGPRBlocks: 0
; NumSGPRsForWavesPerEU: 4
; NumVGPRsForWavesPerEU: 1
; AccumOffset: 4
; Occupancy: 8
; WaveLimiterHint : 0
; COMPUTE_PGM_RSRC2:SCRATCH_EN: 0
; COMPUTE_PGM_RSRC2:USER_SGPR: 6
; COMPUTE_PGM_RSRC2:TRAP_HANDLER: 0
; COMPUTE_PGM_RSRC2:TGID_X_EN: 1
; COMPUTE_PGM_RSRC2:TGID_Y_EN: 0
; COMPUTE_PGM_RSRC2:TGID_Z_EN: 0
; COMPUTE_PGM_RSRC2:TIDIG_COMP_CNT: 0
; COMPUTE_PGM_RSRC3_GFX90A:ACCUM_OFFSET: 0
; COMPUTE_PGM_RSRC3_GFX90A:TG_SPLIT: 0
	.section	.text._ZN7rocprim17ROCPRIM_400000_NS6detail17trampoline_kernelINS0_14default_configENS1_25partition_config_selectorILNS1_17partition_subalgoE1EyNS0_10empty_typeEbEEZZNS1_14partition_implILS5_1ELb0ES3_jN6thrust23THRUST_200600_302600_NS6detail15normal_iteratorINSA_10device_ptrIyEEEEPS6_NSA_18transform_iteratorI7is_evenIyESF_NSA_11use_defaultESK_EENS0_5tupleIJSF_NSA_16discard_iteratorISK_EEEEENSM_IJSG_SG_EEES6_PlJS6_EEE10hipError_tPvRmT3_T4_T5_T6_T7_T9_mT8_P12ihipStream_tbDpT10_ENKUlT_T0_E_clISt17integral_constantIbLb1EES1B_EEDaS16_S17_EUlS16_E_NS1_11comp_targetILNS1_3genE4ELNS1_11target_archE910ELNS1_3gpuE8ELNS1_3repE0EEENS1_30default_config_static_selectorELNS0_4arch9wavefront6targetE1EEEvT1_,"axG",@progbits,_ZN7rocprim17ROCPRIM_400000_NS6detail17trampoline_kernelINS0_14default_configENS1_25partition_config_selectorILNS1_17partition_subalgoE1EyNS0_10empty_typeEbEEZZNS1_14partition_implILS5_1ELb0ES3_jN6thrust23THRUST_200600_302600_NS6detail15normal_iteratorINSA_10device_ptrIyEEEEPS6_NSA_18transform_iteratorI7is_evenIyESF_NSA_11use_defaultESK_EENS0_5tupleIJSF_NSA_16discard_iteratorISK_EEEEENSM_IJSG_SG_EEES6_PlJS6_EEE10hipError_tPvRmT3_T4_T5_T6_T7_T9_mT8_P12ihipStream_tbDpT10_ENKUlT_T0_E_clISt17integral_constantIbLb1EES1B_EEDaS16_S17_EUlS16_E_NS1_11comp_targetILNS1_3genE4ELNS1_11target_archE910ELNS1_3gpuE8ELNS1_3repE0EEENS1_30default_config_static_selectorELNS0_4arch9wavefront6targetE1EEEvT1_,comdat
	.protected	_ZN7rocprim17ROCPRIM_400000_NS6detail17trampoline_kernelINS0_14default_configENS1_25partition_config_selectorILNS1_17partition_subalgoE1EyNS0_10empty_typeEbEEZZNS1_14partition_implILS5_1ELb0ES3_jN6thrust23THRUST_200600_302600_NS6detail15normal_iteratorINSA_10device_ptrIyEEEEPS6_NSA_18transform_iteratorI7is_evenIyESF_NSA_11use_defaultESK_EENS0_5tupleIJSF_NSA_16discard_iteratorISK_EEEEENSM_IJSG_SG_EEES6_PlJS6_EEE10hipError_tPvRmT3_T4_T5_T6_T7_T9_mT8_P12ihipStream_tbDpT10_ENKUlT_T0_E_clISt17integral_constantIbLb1EES1B_EEDaS16_S17_EUlS16_E_NS1_11comp_targetILNS1_3genE4ELNS1_11target_archE910ELNS1_3gpuE8ELNS1_3repE0EEENS1_30default_config_static_selectorELNS0_4arch9wavefront6targetE1EEEvT1_ ; -- Begin function _ZN7rocprim17ROCPRIM_400000_NS6detail17trampoline_kernelINS0_14default_configENS1_25partition_config_selectorILNS1_17partition_subalgoE1EyNS0_10empty_typeEbEEZZNS1_14partition_implILS5_1ELb0ES3_jN6thrust23THRUST_200600_302600_NS6detail15normal_iteratorINSA_10device_ptrIyEEEEPS6_NSA_18transform_iteratorI7is_evenIyESF_NSA_11use_defaultESK_EENS0_5tupleIJSF_NSA_16discard_iteratorISK_EEEEENSM_IJSG_SG_EEES6_PlJS6_EEE10hipError_tPvRmT3_T4_T5_T6_T7_T9_mT8_P12ihipStream_tbDpT10_ENKUlT_T0_E_clISt17integral_constantIbLb1EES1B_EEDaS16_S17_EUlS16_E_NS1_11comp_targetILNS1_3genE4ELNS1_11target_archE910ELNS1_3gpuE8ELNS1_3repE0EEENS1_30default_config_static_selectorELNS0_4arch9wavefront6targetE1EEEvT1_
	.globl	_ZN7rocprim17ROCPRIM_400000_NS6detail17trampoline_kernelINS0_14default_configENS1_25partition_config_selectorILNS1_17partition_subalgoE1EyNS0_10empty_typeEbEEZZNS1_14partition_implILS5_1ELb0ES3_jN6thrust23THRUST_200600_302600_NS6detail15normal_iteratorINSA_10device_ptrIyEEEEPS6_NSA_18transform_iteratorI7is_evenIyESF_NSA_11use_defaultESK_EENS0_5tupleIJSF_NSA_16discard_iteratorISK_EEEEENSM_IJSG_SG_EEES6_PlJS6_EEE10hipError_tPvRmT3_T4_T5_T6_T7_T9_mT8_P12ihipStream_tbDpT10_ENKUlT_T0_E_clISt17integral_constantIbLb1EES1B_EEDaS16_S17_EUlS16_E_NS1_11comp_targetILNS1_3genE4ELNS1_11target_archE910ELNS1_3gpuE8ELNS1_3repE0EEENS1_30default_config_static_selectorELNS0_4arch9wavefront6targetE1EEEvT1_
	.p2align	8
	.type	_ZN7rocprim17ROCPRIM_400000_NS6detail17trampoline_kernelINS0_14default_configENS1_25partition_config_selectorILNS1_17partition_subalgoE1EyNS0_10empty_typeEbEEZZNS1_14partition_implILS5_1ELb0ES3_jN6thrust23THRUST_200600_302600_NS6detail15normal_iteratorINSA_10device_ptrIyEEEEPS6_NSA_18transform_iteratorI7is_evenIyESF_NSA_11use_defaultESK_EENS0_5tupleIJSF_NSA_16discard_iteratorISK_EEEEENSM_IJSG_SG_EEES6_PlJS6_EEE10hipError_tPvRmT3_T4_T5_T6_T7_T9_mT8_P12ihipStream_tbDpT10_ENKUlT_T0_E_clISt17integral_constantIbLb1EES1B_EEDaS16_S17_EUlS16_E_NS1_11comp_targetILNS1_3genE4ELNS1_11target_archE910ELNS1_3gpuE8ELNS1_3repE0EEENS1_30default_config_static_selectorELNS0_4arch9wavefront6targetE1EEEvT1_,@function
_ZN7rocprim17ROCPRIM_400000_NS6detail17trampoline_kernelINS0_14default_configENS1_25partition_config_selectorILNS1_17partition_subalgoE1EyNS0_10empty_typeEbEEZZNS1_14partition_implILS5_1ELb0ES3_jN6thrust23THRUST_200600_302600_NS6detail15normal_iteratorINSA_10device_ptrIyEEEEPS6_NSA_18transform_iteratorI7is_evenIyESF_NSA_11use_defaultESK_EENS0_5tupleIJSF_NSA_16discard_iteratorISK_EEEEENSM_IJSG_SG_EEES6_PlJS6_EEE10hipError_tPvRmT3_T4_T5_T6_T7_T9_mT8_P12ihipStream_tbDpT10_ENKUlT_T0_E_clISt17integral_constantIbLb1EES1B_EEDaS16_S17_EUlS16_E_NS1_11comp_targetILNS1_3genE4ELNS1_11target_archE910ELNS1_3gpuE8ELNS1_3repE0EEENS1_30default_config_static_selectorELNS0_4arch9wavefront6targetE1EEEvT1_: ; @_ZN7rocprim17ROCPRIM_400000_NS6detail17trampoline_kernelINS0_14default_configENS1_25partition_config_selectorILNS1_17partition_subalgoE1EyNS0_10empty_typeEbEEZZNS1_14partition_implILS5_1ELb0ES3_jN6thrust23THRUST_200600_302600_NS6detail15normal_iteratorINSA_10device_ptrIyEEEEPS6_NSA_18transform_iteratorI7is_evenIyESF_NSA_11use_defaultESK_EENS0_5tupleIJSF_NSA_16discard_iteratorISK_EEEEENSM_IJSG_SG_EEES6_PlJS6_EEE10hipError_tPvRmT3_T4_T5_T6_T7_T9_mT8_P12ihipStream_tbDpT10_ENKUlT_T0_E_clISt17integral_constantIbLb1EES1B_EEDaS16_S17_EUlS16_E_NS1_11comp_targetILNS1_3genE4ELNS1_11target_archE910ELNS1_3gpuE8ELNS1_3repE0EEENS1_30default_config_static_selectorELNS0_4arch9wavefront6targetE1EEEvT1_
; %bb.0:
	s_load_dwordx2 s[6:7], s[4:5], 0x20
	s_load_dwordx2 s[18:19], s[4:5], 0x30
	;; [unrolled: 1-line block ×3, first 2 shown]
	s_load_dwordx4 s[20:23], s[4:5], 0x58
	s_load_dwordx2 s[24:25], s[4:5], 0x78
	v_cmp_eq_u32_e64 s[0:1], 0, v0
	s_and_saveexec_b64 s[8:9], s[0:1]
	s_cbranch_execz .LBB2917_4
; %bb.1:
	s_mov_b64 s[12:13], exec
	v_mbcnt_lo_u32_b32 v1, s12, 0
	v_mbcnt_hi_u32_b32 v1, s13, v1
	v_cmp_eq_u32_e32 vcc, 0, v1
                                        ; implicit-def: $vgpr2
	s_and_saveexec_b64 s[10:11], vcc
	s_cbranch_execz .LBB2917_3
; %bb.2:
	s_load_dwordx2 s[14:15], s[4:5], 0x88
	s_bcnt1_i32_b64 s12, s[12:13]
	v_mov_b32_e32 v2, 0
	v_mov_b32_e32 v3, s12
	s_waitcnt lgkmcnt(0)
	global_atomic_add v2, v2, v3, s[14:15] glc
.LBB2917_3:
	s_or_b64 exec, exec, s[10:11]
	s_waitcnt vmcnt(0)
	v_readfirstlane_b32 s10, v2
	v_add_u32_e32 v1, s10, v1
	v_mov_b32_e32 v2, 0
	ds_write_b32 v2, v1
.LBB2917_4:
	s_or_b64 exec, exec, s[8:9]
	v_mov_b32_e32 v1, 0
	s_load_dwordx4 s[8:11], s[4:5], 0x8
	s_load_dword s12, s[4:5], 0x80
	s_waitcnt lgkmcnt(0)
	s_barrier
	ds_read_b32 v4, v1
	s_waitcnt lgkmcnt(0)
	s_barrier
	global_load_dwordx2 v[10:11], v1, s[22:23]
	s_lshl_b64 s[4:5], s[10:11], 3
	v_mov_b32_e32 v3, s3
	s_add_u32 s13, s8, s4
	s_mul_i32 s3, s12, 0x300
	s_addc_u32 s14, s9, s5
	s_add_i32 s9, s3, s10
	s_sub_i32 s33, s2, s9
	s_add_i32 s15, s12, -1
	s_addk_i32 s33, 0x300
	v_mov_b32_e32 v2, s2
	s_add_u32 s2, s10, s3
	v_readfirstlane_b32 s36, v4
	s_addc_u32 s3, s11, 0
	s_cmp_eq_u32 s36, s15
	s_cselect_b64 s[22:23], -1, 0
	s_cmp_lg_u32 s36, s15
	s_mul_i32 s8, s36, 0x300
	s_mov_b32 s9, 0
	v_cmp_lt_u64_e32 vcc, s[2:3], v[2:3]
	s_cselect_b64 s[2:3], -1, 0
	s_or_b64 s[26:27], vcc, s[2:3]
	s_lshl_b64 s[8:9], s[8:9], 3
	s_add_u32 s12, s13, s8
	s_addc_u32 s13, s14, s9
	s_mov_b64 s[2:3], -1
	s_and_b64 vcc, exec, s[26:27]
	v_lshlrev_b32_e32 v1, 3, v0
	v_lshrrev_b32_e32 v12, 2, v0
	s_cbranch_vccz .LBB2917_6
; %bb.5:
	v_mov_b32_e32 v3, s13
	v_add_co_u32_e32 v2, vcc, s12, v1
	v_addc_co_u32_e32 v3, vcc, 0, v3, vcc
	v_add_co_u32_e32 v4, vcc, 0x1000, v2
	v_addc_co_u32_e32 v5, vcc, 0, v3, vcc
	flat_load_dwordx2 v[6:7], v[2:3]
	flat_load_dwordx2 v[8:9], v[2:3] offset:1536
	flat_load_dwordx2 v[14:15], v[2:3] offset:3072
	flat_load_dwordx2 v[16:17], v[4:5] offset:512
	v_add_u32_e32 v3, 0xc0, v0
	v_add_u32_e32 v4, 0x180, v0
	;; [unrolled: 1-line block ×3, first 2 shown]
	v_and_b32_e32 v2, 56, v12
	v_lshrrev_b32_e32 v3, 2, v3
	v_lshrrev_b32_e32 v4, 2, v4
	;; [unrolled: 1-line block ×3, first 2 shown]
	v_add_u32_e32 v2, v2, v1
	v_and_b32_e32 v3, 0x78, v3
	v_and_b32_e32 v4, 0xf8, v4
	;; [unrolled: 1-line block ×3, first 2 shown]
	v_add_u32_e32 v3, v3, v1
	v_add_u32_e32 v4, v4, v1
	;; [unrolled: 1-line block ×3, first 2 shown]
	s_mov_b64 s[2:3], 0
	s_waitcnt vmcnt(0) lgkmcnt(0)
	ds_write_b64 v2, v[6:7]
	ds_write_b64 v3, v[8:9] offset:1536
	ds_write_b64 v4, v[14:15] offset:3072
	;; [unrolled: 1-line block ×3, first 2 shown]
	s_waitcnt lgkmcnt(0)
	s_barrier
.LBB2917_6:
	s_andn2_b64 vcc, exec, s[2:3]
	v_cmp_gt_u32_e64 s[2:3], s33, v0
	s_cbranch_vccnz .LBB2917_16
; %bb.7:
                                        ; implicit-def: $vgpr2_vgpr3_vgpr4_vgpr5_vgpr6_vgpr7_vgpr8_vgpr9
	s_and_saveexec_b64 s[10:11], s[2:3]
	s_cbranch_execz .LBB2917_9
; %bb.8:
	v_mov_b32_e32 v3, s13
	v_add_co_u32_e32 v2, vcc, s12, v1
	v_addc_co_u32_e32 v3, vcc, 0, v3, vcc
	flat_load_dwordx2 v[2:3], v[2:3]
.LBB2917_9:
	s_or_b64 exec, exec, s[10:11]
	v_add_u32_e32 v13, 0xc0, v0
	v_cmp_gt_u32_e32 vcc, s33, v13
	s_and_saveexec_b64 s[2:3], vcc
	s_cbranch_execz .LBB2917_11
; %bb.10:
	v_mov_b32_e32 v5, s13
	v_add_co_u32_e32 v4, vcc, s12, v1
	v_addc_co_u32_e32 v5, vcc, 0, v5, vcc
	flat_load_dwordx2 v[4:5], v[4:5] offset:1536
.LBB2917_11:
	s_or_b64 exec, exec, s[2:3]
	v_add_u32_e32 v14, 0x180, v0
	v_cmp_gt_u32_e32 vcc, s33, v14
	s_and_saveexec_b64 s[2:3], vcc
	s_cbranch_execz .LBB2917_13
; %bb.12:
	v_mov_b32_e32 v7, s13
	v_add_co_u32_e32 v6, vcc, s12, v1
	v_addc_co_u32_e32 v7, vcc, 0, v7, vcc
	flat_load_dwordx2 v[6:7], v[6:7] offset:3072
.LBB2917_13:
	s_or_b64 exec, exec, s[2:3]
	v_add_u32_e32 v15, 0x240, v0
	v_cmp_gt_u32_e32 vcc, s33, v15
	s_and_saveexec_b64 s[2:3], vcc
	s_cbranch_execz .LBB2917_15
; %bb.14:
	v_lshlrev_b32_e32 v8, 3, v15
	v_mov_b32_e32 v9, s13
	v_add_co_u32_e32 v8, vcc, s12, v8
	v_addc_co_u32_e32 v9, vcc, 0, v9, vcc
	flat_load_dwordx2 v[8:9], v[8:9]
.LBB2917_15:
	s_or_b64 exec, exec, s[2:3]
	v_and_b32_e32 v12, 56, v12
	v_add_u32_e32 v12, v12, v1
	s_waitcnt vmcnt(0) lgkmcnt(0)
	ds_write_b64 v12, v[2:3]
	v_lshrrev_b32_e32 v2, 2, v13
	v_and_b32_e32 v2, 0x78, v2
	v_add_u32_e32 v2, v2, v1
	ds_write_b64 v2, v[4:5] offset:1536
	v_lshrrev_b32_e32 v2, 2, v14
	v_and_b32_e32 v2, 0xf8, v2
	v_add_u32_e32 v2, v2, v1
	ds_write_b64 v2, v[6:7] offset:3072
	;; [unrolled: 4-line block ×3, first 2 shown]
	s_waitcnt lgkmcnt(0)
	s_barrier
.LBB2917_16:
	v_lshlrev_b32_e32 v22, 2, v0
	v_lshrrev_b32_e32 v12, 3, v0
	v_add_lshl_u32 v2, v12, v22, 3
	ds_read2_b64 v[6:9], v2 offset1:1
	ds_read2_b64 v[2:5], v2 offset0:2 offset1:3
	s_add_u32 s2, s6, s4
	s_addc_u32 s3, s7, s5
	s_add_u32 s2, s2, s8
	s_addc_u32 s3, s3, s9
	s_mov_b64 s[4:5], -1
	s_and_b64 vcc, exec, s[26:27]
	v_lshrrev_b32_e32 v13, 5, v0
	s_waitcnt lgkmcnt(0)
	s_barrier
	s_cbranch_vccz .LBB2917_18
; %bb.17:
	global_load_dwordx2 v[14:15], v1, s[2:3]
	global_load_dwordx2 v[16:17], v1, s[2:3] offset:1536
	global_load_dwordx2 v[18:19], v1, s[2:3] offset:3072
	v_mov_b32_e32 v20, s3
	s_waitcnt vmcnt(2)
	v_add_co_u32_e32 v15, vcc, s2, v1
	s_waitcnt vmcnt(1)
	v_addc_co_u32_e32 v17, vcc, 0, v20, vcc
	v_add_co_u32_e32 v20, vcc, 0x1000, v15
	v_addc_co_u32_e32 v21, vcc, 0, v17, vcc
	global_load_dwordx2 v[20:21], v[20:21], off offset:512
	v_add_u32_e32 v17, 0xc0, v0
	s_waitcnt vmcnt(1)
	v_add_u32_e32 v19, 0x180, v0
	v_and_b32_e32 v15, 4, v13
	s_waitcnt vmcnt(0)
	v_add_u32_e32 v21, 0x240, v0
	v_lshrrev_b32_e32 v17, 5, v17
	v_lshrrev_b32_e32 v19, 5, v19
	v_add_u32_e32 v15, v15, v0
	v_lshrrev_b32_e32 v21, 5, v21
	v_and_b32_e32 v17, 12, v17
	v_and_b32_e32 v19, 28, v19
	;; [unrolled: 1-line block ×3, first 2 shown]
	v_add_u32_e32 v17, v17, v0
	v_add_u32_e32 v19, v19, v0
	;; [unrolled: 1-line block ×3, first 2 shown]
	s_mov_b64 s[4:5], 0
	v_xor_b32_e32 v14, -1, v14
	v_xor_b32_e32 v16, -1, v16
	;; [unrolled: 1-line block ×3, first 2 shown]
	v_and_b32_e32 v14, 1, v14
	v_and_b32_e32 v16, 1, v16
	;; [unrolled: 1-line block ×3, first 2 shown]
	ds_write_b8 v15, v14
	ds_write_b8 v17, v16 offset:192
	ds_write_b8 v19, v18 offset:384
	v_xor_b32_e32 v14, -1, v20
	v_and_b32_e32 v14, 1, v14
	ds_write_b8 v21, v14 offset:576
	s_waitcnt lgkmcnt(0)
	s_barrier
.LBB2917_18:
	s_andn2_b64 vcc, exec, s[4:5]
	s_cbranch_vccnz .LBB2917_28
; %bb.19:
	v_cmp_gt_u32_e32 vcc, s33, v0
	v_mov_b32_e32 v14, 0
	v_mov_b32_e32 v15, 0
	s_and_saveexec_b64 s[4:5], vcc
	s_cbranch_execz .LBB2917_21
; %bb.20:
	global_load_dwordx2 v[16:17], v1, s[2:3]
	s_waitcnt vmcnt(0)
	v_xor_b32_e32 v15, -1, v16
	v_and_b32_e32 v15, 1, v15
.LBB2917_21:
	s_or_b64 exec, exec, s[4:5]
	v_add_u32_e32 v16, 0xc0, v0
	v_cmp_gt_u32_e32 vcc, s33, v16
	s_and_saveexec_b64 s[4:5], vcc
	s_cbranch_execz .LBB2917_23
; %bb.22:
	global_load_dwordx2 v[18:19], v1, s[2:3] offset:1536
	s_waitcnt vmcnt(0)
	v_xor_b32_e32 v14, -1, v18
	v_and_b32_e32 v14, 1, v14
.LBB2917_23:
	s_or_b64 exec, exec, s[4:5]
	v_add_u32_e32 v18, 0x180, v0
	v_cmp_gt_u32_e32 vcc, s33, v18
	v_mov_b32_e32 v17, 0
	v_mov_b32_e32 v19, 0
	s_and_saveexec_b64 s[4:5], vcc
	s_cbranch_execz .LBB2917_25
; %bb.24:
	global_load_dwordx2 v[20:21], v1, s[2:3] offset:3072
	s_waitcnt vmcnt(0)
	v_xor_b32_e32 v19, -1, v20
	v_and_b32_e32 v19, 1, v19
.LBB2917_25:
	s_or_b64 exec, exec, s[4:5]
	v_add_u32_e32 v20, 0x240, v0
	v_cmp_gt_u32_e32 vcc, s33, v20
	s_and_saveexec_b64 s[4:5], vcc
	s_cbranch_execz .LBB2917_27
; %bb.26:
	v_lshlrev_b32_e32 v17, 3, v20
	global_load_dwordx2 v[24:25], v17, s[2:3]
	s_waitcnt vmcnt(0)
	v_xor_b32_e32 v17, -1, v24
	v_and_b32_e32 v17, 1, v17
.LBB2917_27:
	s_or_b64 exec, exec, s[4:5]
	v_and_b32_e32 v13, 4, v13
	v_add_u32_e32 v13, v13, v0
	ds_write_b8 v13, v15
	v_lshrrev_b32_e32 v13, 5, v16
	v_and_b32_e32 v13, 12, v13
	v_add_u32_e32 v13, v13, v0
	ds_write_b8 v13, v14 offset:192
	v_lshrrev_b32_e32 v13, 5, v18
	v_and_b32_e32 v13, 28, v13
	v_add_u32_e32 v13, v13, v0
	ds_write_b8 v13, v19 offset:384
	;; [unrolled: 4-line block ×3, first 2 shown]
	s_waitcnt lgkmcnt(0)
	s_barrier
.LBB2917_28:
	v_and_b32_e32 v12, 28, v12
	v_add_u32_e32 v12, v12, v22
	ds_read_b32 v24, v12
	s_cmp_lg_u32 s36, 0
	v_lshrrev_b32_e32 v27, 6, v0
	s_waitcnt lgkmcnt(0)
	s_barrier
	v_lshrrev_b32_e32 v23, 24, v24
	v_bfe_u32 v25, v24, 16, 8
	v_add_u32_sdwa v12, v24, v24 dst_sel:DWORD dst_unused:UNUSED_PAD src0_sel:BYTE_1 src1_sel:BYTE_0
	v_add3_u32 v28, v12, v25, v23
	v_mbcnt_lo_u32_b32 v12, -1, 0
	v_mbcnt_hi_u32_b32 v26, -1, v12
	v_and_b32_e32 v12, 15, v26
	v_cmp_eq_u32_e64 s[14:15], 0, v12
	v_cmp_lt_u32_e64 s[12:13], 1, v12
	v_cmp_lt_u32_e64 s[10:11], 3, v12
	;; [unrolled: 1-line block ×3, first 2 shown]
	v_and_b32_e32 v12, 16, v26
	v_cmp_eq_u32_e64 s[4:5], 0, v12
	v_and_b32_e32 v12, 0xc0, v0
	v_min_u32_e32 v12, 0x80, v12
	v_or_b32_e32 v12, 63, v12
	v_cmp_lt_u32_e64 s[2:3], 31, v26
	v_cmp_eq_u32_e64 s[6:7], v12, v0
	s_cbranch_scc0 .LBB2917_59
; %bb.29:
	v_mov_b32_dpp v12, v28 row_shr:1 row_mask:0xf bank_mask:0xf
	v_cndmask_b32_e64 v12, v12, 0, s[14:15]
	v_add_u32_e32 v12, v12, v28
	s_nop 1
	v_mov_b32_dpp v13, v12 row_shr:2 row_mask:0xf bank_mask:0xf
	v_cndmask_b32_e64 v13, 0, v13, s[12:13]
	v_add_u32_e32 v12, v12, v13
	s_nop 1
	v_mov_b32_dpp v13, v12 row_shr:4 row_mask:0xf bank_mask:0xf
	v_cndmask_b32_e64 v13, 0, v13, s[10:11]
	v_add_u32_e32 v12, v12, v13
	s_nop 1
	v_mov_b32_dpp v13, v12 row_shr:8 row_mask:0xf bank_mask:0xf
	v_cndmask_b32_e64 v13, 0, v13, s[8:9]
	v_add_u32_e32 v12, v12, v13
	s_nop 1
	v_mov_b32_dpp v13, v12 row_bcast:15 row_mask:0xf bank_mask:0xf
	v_cndmask_b32_e64 v13, v13, 0, s[4:5]
	v_add_u32_e32 v12, v12, v13
	s_nop 1
	v_mov_b32_dpp v13, v12 row_bcast:31 row_mask:0xf bank_mask:0xf
	v_cndmask_b32_e64 v13, 0, v13, s[2:3]
	v_add_u32_e32 v12, v12, v13
	s_and_saveexec_b64 s[16:17], s[6:7]
	s_cbranch_execz .LBB2917_31
; %bb.30:
	v_lshlrev_b32_e32 v13, 2, v27
	ds_write_b32 v13, v12
.LBB2917_31:
	s_or_b64 exec, exec, s[16:17]
	v_cmp_gt_u32_e32 vcc, 3, v0
	s_waitcnt lgkmcnt(0)
	s_barrier
	s_and_saveexec_b64 s[16:17], vcc
	s_cbranch_execz .LBB2917_33
; %bb.32:
	ds_read_b32 v13, v22
	v_and_b32_e32 v14, 3, v26
	v_cmp_ne_u32_e32 vcc, 0, v14
	s_waitcnt lgkmcnt(0)
	v_mov_b32_dpp v15, v13 row_shr:1 row_mask:0xf bank_mask:0xf
	v_cndmask_b32_e32 v15, 0, v15, vcc
	v_add_u32_e32 v13, v15, v13
	v_cmp_lt_u32_e32 vcc, 1, v14
	s_nop 0
	v_mov_b32_dpp v15, v13 row_shr:2 row_mask:0xf bank_mask:0xf
	v_cndmask_b32_e32 v14, 0, v15, vcc
	v_add_u32_e32 v13, v13, v14
	ds_write_b32 v22, v13
.LBB2917_33:
	s_or_b64 exec, exec, s[16:17]
	v_cmp_gt_u32_e32 vcc, 64, v0
	v_cmp_lt_u32_e64 s[16:17], 63, v0
	s_waitcnt lgkmcnt(0)
	s_barrier
	s_waitcnt lgkmcnt(0)
                                        ; implicit-def: $vgpr29
	s_and_saveexec_b64 s[28:29], s[16:17]
	s_cbranch_execz .LBB2917_35
; %bb.34:
	v_lshl_add_u32 v13, v27, 2, -4
	ds_read_b32 v29, v13
	s_waitcnt lgkmcnt(0)
	v_add_u32_e32 v12, v29, v12
.LBB2917_35:
	s_or_b64 exec, exec, s[28:29]
	v_add_u32_e32 v13, -1, v26
	v_and_b32_e32 v14, 64, v26
	v_cmp_lt_i32_e64 s[16:17], v13, v14
	v_cndmask_b32_e64 v13, v13, v26, s[16:17]
	v_lshlrev_b32_e32 v13, 2, v13
	ds_bpermute_b32 v30, v13, v12
	v_cmp_eq_u32_e64 s[16:17], 0, v26
	s_and_saveexec_b64 s[28:29], vcc
	s_cbranch_execz .LBB2917_58
; %bb.36:
	v_mov_b32_e32 v21, 0
	ds_read_b32 v12, v21 offset:8
	s_and_saveexec_b64 s[30:31], s[16:17]
	s_cbranch_execz .LBB2917_38
; %bb.37:
	s_add_i32 s34, s36, 64
	s_mov_b32 s35, 0
	s_lshl_b64 s[34:35], s[34:35], 3
	s_add_u32 s34, s24, s34
	v_mov_b32_e32 v13, 1
	s_addc_u32 s35, s25, s35
	s_waitcnt lgkmcnt(0)
	global_store_dwordx2 v21, v[12:13], s[34:35]
.LBB2917_38:
	s_or_b64 exec, exec, s[30:31]
	v_xad_u32 v14, v26, -1, s36
	v_add_u32_e32 v20, 64, v14
	v_lshlrev_b64 v[16:17], 3, v[20:21]
	v_mov_b32_e32 v13, s25
	v_add_co_u32_e32 v16, vcc, s24, v16
	v_addc_co_u32_e32 v17, vcc, v13, v17, vcc
	global_load_dwordx2 v[18:19], v[16:17], off glc
	s_waitcnt vmcnt(0)
	v_cmp_eq_u16_sdwa s[34:35], v19, v21 src0_sel:BYTE_0 src1_sel:DWORD
	s_and_saveexec_b64 s[30:31], s[34:35]
	s_cbranch_execz .LBB2917_44
; %bb.39:
	s_mov_b32 s37, 1
	s_mov_b64 s[34:35], 0
	v_mov_b32_e32 v13, 0
.LBB2917_40:                            ; =>This Loop Header: Depth=1
                                        ;     Child Loop BB2917_41 Depth 2
	s_max_u32 s38, s37, 1
.LBB2917_41:                            ;   Parent Loop BB2917_40 Depth=1
                                        ; =>  This Inner Loop Header: Depth=2
	s_add_i32 s38, s38, -1
	s_cmp_eq_u32 s38, 0
	s_sleep 1
	s_cbranch_scc0 .LBB2917_41
; %bb.42:                               ;   in Loop: Header=BB2917_40 Depth=1
	global_load_dwordx2 v[18:19], v[16:17], off glc
	s_cmp_lt_u32 s37, 32
	s_cselect_b64 s[38:39], -1, 0
	s_cmp_lg_u64 s[38:39], 0
	s_addc_u32 s37, s37, 0
	s_waitcnt vmcnt(0)
	v_cmp_ne_u16_sdwa s[38:39], v19, v13 src0_sel:BYTE_0 src1_sel:DWORD
	s_or_b64 s[34:35], s[38:39], s[34:35]
	s_andn2_b64 exec, exec, s[34:35]
	s_cbranch_execnz .LBB2917_40
; %bb.43:
	s_or_b64 exec, exec, s[34:35]
.LBB2917_44:
	s_or_b64 exec, exec, s[30:31]
	v_and_b32_e32 v32, 63, v26
	v_mov_b32_e32 v31, 2
	v_cmp_ne_u32_e32 vcc, 63, v32
	v_cmp_eq_u16_sdwa s[30:31], v19, v31 src0_sel:BYTE_0 src1_sel:DWORD
	v_lshlrev_b64 v[16:17], v26, -1
	v_addc_co_u32_e32 v20, vcc, 0, v26, vcc
	v_and_b32_e32 v13, s31, v17
	v_lshlrev_b32_e32 v33, 2, v20
	v_or_b32_e32 v13, 0x80000000, v13
	ds_bpermute_b32 v20, v33, v18
	v_and_b32_e32 v15, s30, v16
	v_ffbl_b32_e32 v13, v13
	v_add_u32_e32 v13, 32, v13
	v_ffbl_b32_e32 v15, v15
	v_min_u32_e32 v13, v15, v13
	v_cmp_lt_u32_e32 vcc, v32, v13
	s_waitcnt lgkmcnt(0)
	v_cndmask_b32_e32 v15, 0, v20, vcc
	v_cmp_gt_u32_e32 vcc, 62, v32
	v_add_u32_e32 v15, v15, v18
	v_cndmask_b32_e64 v18, 0, 1, vcc
	v_lshlrev_b32_e32 v18, 1, v18
	v_add_lshl_u32 v34, v18, v26, 2
	ds_bpermute_b32 v18, v34, v15
	v_add_u32_e32 v35, 2, v32
	v_cmp_le_u32_e32 vcc, v35, v13
	v_add_u32_e32 v37, 4, v32
	v_add_u32_e32 v39, 8, v32
	s_waitcnt lgkmcnt(0)
	v_cndmask_b32_e32 v18, 0, v18, vcc
	v_cmp_gt_u32_e32 vcc, 60, v32
	v_add_u32_e32 v15, v15, v18
	v_cndmask_b32_e64 v18, 0, 1, vcc
	v_lshlrev_b32_e32 v18, 2, v18
	v_add_lshl_u32 v36, v18, v26, 2
	ds_bpermute_b32 v18, v36, v15
	v_cmp_le_u32_e32 vcc, v37, v13
	v_add_u32_e32 v41, 16, v32
	v_add_u32_e32 v43, 32, v32
	s_waitcnt lgkmcnt(0)
	v_cndmask_b32_e32 v18, 0, v18, vcc
	v_cmp_gt_u32_e32 vcc, 56, v32
	v_add_u32_e32 v15, v15, v18
	v_cndmask_b32_e64 v18, 0, 1, vcc
	v_lshlrev_b32_e32 v18, 3, v18
	v_add_lshl_u32 v38, v18, v26, 2
	ds_bpermute_b32 v18, v38, v15
	v_cmp_le_u32_e32 vcc, v39, v13
	s_waitcnt lgkmcnt(0)
	v_cndmask_b32_e32 v18, 0, v18, vcc
	v_cmp_gt_u32_e32 vcc, 48, v32
	v_add_u32_e32 v15, v15, v18
	v_cndmask_b32_e64 v18, 0, 1, vcc
	v_lshlrev_b32_e32 v18, 4, v18
	v_add_lshl_u32 v40, v18, v26, 2
	ds_bpermute_b32 v18, v40, v15
	v_cmp_le_u32_e32 vcc, v41, v13
	;; [unrolled: 9-line block ×3, first 2 shown]
	s_waitcnt lgkmcnt(0)
	v_cndmask_b32_e32 v13, 0, v18, vcc
	v_add_u32_e32 v18, v15, v13
	v_mov_b32_e32 v15, 0
	s_branch .LBB2917_46
.LBB2917_45:                            ;   in Loop: Header=BB2917_46 Depth=1
	s_or_b64 exec, exec, s[30:31]
	v_cmp_eq_u16_sdwa s[30:31], v19, v31 src0_sel:BYTE_0 src1_sel:DWORD
	v_and_b32_e32 v20, s31, v17
	v_or_b32_e32 v20, 0x80000000, v20
	ds_bpermute_b32 v44, v33, v18
	v_and_b32_e32 v21, s30, v16
	v_ffbl_b32_e32 v20, v20
	v_add_u32_e32 v20, 32, v20
	v_ffbl_b32_e32 v21, v21
	v_min_u32_e32 v20, v21, v20
	v_cmp_lt_u32_e32 vcc, v32, v20
	s_waitcnt lgkmcnt(0)
	v_cndmask_b32_e32 v21, 0, v44, vcc
	v_add_u32_e32 v18, v21, v18
	ds_bpermute_b32 v21, v34, v18
	v_cmp_le_u32_e32 vcc, v35, v20
	v_subrev_u32_e32 v14, 64, v14
	s_waitcnt lgkmcnt(0)
	v_cndmask_b32_e32 v21, 0, v21, vcc
	v_add_u32_e32 v18, v18, v21
	ds_bpermute_b32 v21, v36, v18
	v_cmp_le_u32_e32 vcc, v37, v20
	s_waitcnt lgkmcnt(0)
	v_cndmask_b32_e32 v21, 0, v21, vcc
	v_add_u32_e32 v18, v18, v21
	ds_bpermute_b32 v21, v38, v18
	v_cmp_le_u32_e32 vcc, v39, v20
	;; [unrolled: 5-line block ×4, first 2 shown]
	s_waitcnt lgkmcnt(0)
	v_cndmask_b32_e32 v20, 0, v21, vcc
	v_add3_u32 v18, v20, v13, v18
.LBB2917_46:                            ; =>This Loop Header: Depth=1
                                        ;     Child Loop BB2917_49 Depth 2
                                        ;       Child Loop BB2917_50 Depth 3
	v_cmp_ne_u16_sdwa s[30:31], v19, v31 src0_sel:BYTE_0 src1_sel:DWORD
	v_cndmask_b32_e64 v13, 0, 1, s[30:31]
	;;#ASMSTART
	;;#ASMEND
	v_cmp_ne_u32_e32 vcc, 0, v13
	s_cmp_lg_u64 vcc, exec
	v_mov_b32_e32 v13, v18
	s_cbranch_scc1 .LBB2917_53
; %bb.47:                               ;   in Loop: Header=BB2917_46 Depth=1
	v_lshlrev_b64 v[18:19], 3, v[14:15]
	v_mov_b32_e32 v21, s25
	v_add_co_u32_e32 v20, vcc, s24, v18
	v_addc_co_u32_e32 v21, vcc, v21, v19, vcc
	global_load_dwordx2 v[18:19], v[20:21], off glc
	s_waitcnt vmcnt(0)
	v_cmp_eq_u16_sdwa s[34:35], v19, v15 src0_sel:BYTE_0 src1_sel:DWORD
	s_and_saveexec_b64 s[30:31], s[34:35]
	s_cbranch_execz .LBB2917_45
; %bb.48:                               ;   in Loop: Header=BB2917_46 Depth=1
	s_mov_b32 s37, 1
	s_mov_b64 s[34:35], 0
.LBB2917_49:                            ;   Parent Loop BB2917_46 Depth=1
                                        ; =>  This Loop Header: Depth=2
                                        ;       Child Loop BB2917_50 Depth 3
	s_max_u32 s38, s37, 1
.LBB2917_50:                            ;   Parent Loop BB2917_46 Depth=1
                                        ;     Parent Loop BB2917_49 Depth=2
                                        ; =>    This Inner Loop Header: Depth=3
	s_add_i32 s38, s38, -1
	s_cmp_eq_u32 s38, 0
	s_sleep 1
	s_cbranch_scc0 .LBB2917_50
; %bb.51:                               ;   in Loop: Header=BB2917_49 Depth=2
	global_load_dwordx2 v[18:19], v[20:21], off glc
	s_cmp_lt_u32 s37, 32
	s_cselect_b64 s[38:39], -1, 0
	s_cmp_lg_u64 s[38:39], 0
	s_addc_u32 s37, s37, 0
	s_waitcnt vmcnt(0)
	v_cmp_ne_u16_sdwa s[38:39], v19, v15 src0_sel:BYTE_0 src1_sel:DWORD
	s_or_b64 s[34:35], s[38:39], s[34:35]
	s_andn2_b64 exec, exec, s[34:35]
	s_cbranch_execnz .LBB2917_49
; %bb.52:                               ;   in Loop: Header=BB2917_46 Depth=1
	s_or_b64 exec, exec, s[34:35]
	s_branch .LBB2917_45
.LBB2917_53:                            ;   in Loop: Header=BB2917_46 Depth=1
                                        ; implicit-def: $vgpr18
                                        ; implicit-def: $vgpr19
	s_cbranch_execz .LBB2917_46
; %bb.54:
	s_and_saveexec_b64 s[30:31], s[16:17]
	s_cbranch_execz .LBB2917_56
; %bb.55:
	s_add_i32 s34, s36, 64
	s_mov_b32 s35, 0
	s_lshl_b64 s[34:35], s[34:35], 3
	s_add_u32 s34, s24, s34
	v_add_u32_e32 v14, v13, v12
	v_mov_b32_e32 v15, 2
	s_addc_u32 s35, s25, s35
	v_mov_b32_e32 v16, 0
	global_store_dwordx2 v16, v[14:15], s[34:35]
	ds_write_b64 v16, v[12:13] offset:6336
.LBB2917_56:
	s_or_b64 exec, exec, s[30:31]
	s_and_b64 exec, exec, s[0:1]
	s_cbranch_execz .LBB2917_58
; %bb.57:
	v_mov_b32_e32 v12, 0
	ds_write_b32 v12, v13 offset:8
.LBB2917_58:
	s_or_b64 exec, exec, s[28:29]
	v_mov_b32_e32 v12, 0
	s_waitcnt lgkmcnt(0)
	s_barrier
	ds_read_b32 v13, v12 offset:8
	v_cndmask_b32_e64 v14, v30, v29, s[16:17]
	v_cndmask_b32_e64 v14, v14, 0, s[0:1]
	s_waitcnt lgkmcnt(0)
	s_barrier
	v_add_u32_e32 v17, v13, v14
	ds_read_b64 v[12:13], v12 offset:6336
	v_add_u32_sdwa v18, v17, v24 dst_sel:DWORD dst_unused:UNUSED_PAD src0_sel:DWORD src1_sel:BYTE_0
	v_add_u32_sdwa v16, v18, v24 dst_sel:DWORD dst_unused:UNUSED_PAD src0_sel:DWORD src1_sel:BYTE_1
	v_add_u32_e32 v15, v16, v25
	s_waitcnt lgkmcnt(0)
	v_mov_b32_e32 v14, v13
	s_branch .LBB2917_69
.LBB2917_59:
                                        ; implicit-def: $vgpr14
                                        ; implicit-def: $vgpr12
                                        ; implicit-def: $vgpr15
                                        ; implicit-def: $vgpr16
                                        ; implicit-def: $vgpr18
                                        ; implicit-def: $vgpr17
	s_cbranch_execz .LBB2917_69
; %bb.60:
	s_nop 0
	v_mov_b32_dpp v12, v28 row_shr:1 row_mask:0xf bank_mask:0xf
	v_cndmask_b32_e64 v12, v12, 0, s[14:15]
	v_add_u32_e32 v12, v12, v28
	s_nop 1
	v_mov_b32_dpp v13, v12 row_shr:2 row_mask:0xf bank_mask:0xf
	v_cndmask_b32_e64 v13, 0, v13, s[12:13]
	v_add_u32_e32 v12, v12, v13
	;; [unrolled: 4-line block ×4, first 2 shown]
	s_nop 1
	v_mov_b32_dpp v13, v12 row_bcast:15 row_mask:0xf bank_mask:0xf
	v_cndmask_b32_e64 v13, v13, 0, s[4:5]
	v_add_u32_e32 v12, v12, v13
	s_nop 1
	v_mov_b32_dpp v13, v12 row_bcast:31 row_mask:0xf bank_mask:0xf
	v_cndmask_b32_e64 v13, 0, v13, s[2:3]
	v_add_u32_e32 v12, v12, v13
	s_and_saveexec_b64 s[2:3], s[6:7]
	s_cbranch_execz .LBB2917_62
; %bb.61:
	v_lshlrev_b32_e32 v13, 2, v27
	ds_write_b32 v13, v12
.LBB2917_62:
	s_or_b64 exec, exec, s[2:3]
	v_cmp_gt_u32_e32 vcc, 3, v0
	s_waitcnt lgkmcnt(0)
	s_barrier
	s_and_saveexec_b64 s[2:3], vcc
	s_cbranch_execz .LBB2917_64
; %bb.63:
	ds_read_b32 v13, v22
	v_and_b32_e32 v14, 3, v26
	v_cmp_ne_u32_e32 vcc, 0, v14
	s_waitcnt lgkmcnt(0)
	v_mov_b32_dpp v15, v13 row_shr:1 row_mask:0xf bank_mask:0xf
	v_cndmask_b32_e32 v15, 0, v15, vcc
	v_add_u32_e32 v13, v15, v13
	v_cmp_lt_u32_e32 vcc, 1, v14
	s_nop 0
	v_mov_b32_dpp v15, v13 row_shr:2 row_mask:0xf bank_mask:0xf
	v_cndmask_b32_e32 v14, 0, v15, vcc
	v_add_u32_e32 v13, v13, v14
	ds_write_b32 v22, v13
.LBB2917_64:
	s_or_b64 exec, exec, s[2:3]
	v_cmp_lt_u32_e32 vcc, 63, v0
	v_mov_b32_e32 v13, 0
	v_mov_b32_e32 v14, 0
	s_waitcnt lgkmcnt(0)
	s_barrier
	s_and_saveexec_b64 s[2:3], vcc
	s_cbranch_execz .LBB2917_66
; %bb.65:
	v_lshl_add_u32 v14, v27, 2, -4
	ds_read_b32 v14, v14
.LBB2917_66:
	s_or_b64 exec, exec, s[2:3]
	v_add_u32_e32 v15, -1, v26
	v_and_b32_e32 v16, 64, v26
	v_cmp_lt_i32_e32 vcc, v15, v16
	v_cndmask_b32_e32 v15, v15, v26, vcc
	s_waitcnt lgkmcnt(0)
	v_add_u32_e32 v12, v14, v12
	v_lshlrev_b32_e32 v15, 2, v15
	ds_bpermute_b32 v15, v15, v12
	ds_read_b32 v12, v13 offset:8
	s_and_saveexec_b64 s[2:3], s[0:1]
	s_cbranch_execz .LBB2917_68
; %bb.67:
	v_mov_b32_e32 v16, 0
	v_mov_b32_e32 v13, 2
	s_waitcnt lgkmcnt(0)
	global_store_dwordx2 v16, v[12:13], s[24:25] offset:512
.LBB2917_68:
	s_or_b64 exec, exec, s[2:3]
	v_cmp_eq_u32_e32 vcc, 0, v26
	s_waitcnt lgkmcnt(1)
	v_cndmask_b32_e32 v13, v15, v14, vcc
	v_cndmask_b32_e64 v17, v13, 0, s[0:1]
	v_add_u32_sdwa v18, v17, v24 dst_sel:DWORD dst_unused:UNUSED_PAD src0_sel:DWORD src1_sel:BYTE_0
	v_add_u32_sdwa v16, v18, v24 dst_sel:DWORD dst_unused:UNUSED_PAD src0_sel:DWORD src1_sel:BYTE_1
	v_mov_b32_e32 v14, 0
	v_add_u32_e32 v15, v16, v25
	s_waitcnt lgkmcnt(0)
	s_barrier
.LBB2917_69:
	v_add_u32_e32 v19, v12, v22
	v_sub_u32_e32 v17, v17, v14
	v_and_b32_e32 v21, 1, v24
	v_sub_u32_e32 v20, v19, v17
	v_cmp_eq_u32_e32 vcc, 1, v21
	v_cndmask_b32_e32 v17, v20, v17, vcc
	v_lshlrev_b32_e32 v17, 3, v17
	v_lshrrev_b32_e32 v13, 8, v24
	ds_write_b64 v17, v[6:7]
	v_sub_u32_e32 v6, v18, v14
	v_sub_u32_e32 v7, v19, v6
	v_and_b32_e32 v13, 1, v13
	v_add_u32_e32 v7, 1, v7
	v_cmp_eq_u32_e32 vcc, 1, v13
	v_cndmask_b32_e32 v6, v7, v6, vcc
	v_lshlrev_b32_e32 v6, 3, v6
	ds_write_b64 v6, v[8:9]
	v_sub_u32_e32 v6, v16, v14
	v_mov_b32_e32 v8, 1
	v_sub_u32_e32 v7, v19, v6
	v_and_b32_sdwa v8, v8, v24 dst_sel:DWORD dst_unused:UNUSED_PAD src0_sel:DWORD src1_sel:WORD_1
	v_add_u32_e32 v7, 2, v7
	v_cmp_eq_u32_e32 vcc, 1, v8
	v_cndmask_b32_e32 v6, v7, v6, vcc
	v_lshlrev_b32_e32 v6, 3, v6
	ds_write_b64 v6, v[2:3]
	v_sub_u32_e32 v2, v15, v14
	v_sub_u32_e32 v3, v19, v2
	v_and_b32_e32 v6, 1, v23
	v_add_u32_e32 v3, 3, v3
	v_cmp_eq_u32_e32 vcc, 1, v6
	v_cndmask_b32_e32 v2, v3, v2, vcc
	v_lshlrev_b32_e32 v2, 3, v2
	ds_write_b64 v2, v[4:5]
	s_waitcnt lgkmcnt(0)
	s_barrier
	ds_read2st64_b64 v[6:9], v1 offset1:3
	ds_read2st64_b64 v[2:5], v1 offset0:6 offset1:9
	v_add_u32_e32 v21, 0xc0, v0
	v_add_u32_e32 v20, 0x180, v0
	;; [unrolled: 1-line block ×3, first 2 shown]
	s_andn2_b64 vcc, exec, s[26:27]
	s_waitcnt vmcnt(0)
	v_lshlrev_b64 v[18:19], 3, v[10:11]
	s_cbranch_vccnz .LBB2917_75
; %bb.70:
	v_mov_b32_e32 v15, 0
	v_mov_b32_e32 v16, s19
	v_add_co_u32_e32 v22, vcc, s18, v18
	v_addc_co_u32_e32 v23, vcc, v16, v19, vcc
	v_lshlrev_b64 v[16:17], 3, v[14:15]
	v_add_co_u32_e32 v16, vcc, v22, v16
	v_addc_co_u32_e32 v17, vcc, v23, v17, vcc
	v_cmp_lt_u32_e32 vcc, v0, v12
	s_and_saveexec_b64 s[2:3], vcc
	s_cbranch_execnz .LBB2917_86
; %bb.71:
	s_or_b64 exec, exec, s[2:3]
	v_cmp_lt_u32_e32 vcc, v21, v12
	s_and_saveexec_b64 s[2:3], vcc
	s_cbranch_execnz .LBB2917_87
.LBB2917_72:
	s_or_b64 exec, exec, s[2:3]
	v_cmp_lt_u32_e32 vcc, v20, v12
	s_and_saveexec_b64 s[2:3], vcc
	s_cbranch_execz .LBB2917_74
.LBB2917_73:
	v_readfirstlane_b32 s4, v16
	v_readfirstlane_b32 s5, v17
	s_waitcnt lgkmcnt(0)
	s_nop 3
	global_store_dwordx2 v1, v[2:3], s[4:5] offset:3072
.LBB2917_74:
	s_or_b64 exec, exec, s[2:3]
	v_cmp_lt_u32_e64 s[2:3], v13, v12
	s_branch .LBB2917_81
.LBB2917_75:
	s_mov_b64 s[2:3], 0
                                        ; implicit-def: $vgpr16_vgpr17
	s_cbranch_execz .LBB2917_81
; %bb.76:
	v_mov_b32_e32 v15, 0
	v_mov_b32_e32 v16, s19
	v_add_co_u32_e32 v18, vcc, s18, v18
	v_addc_co_u32_e32 v19, vcc, v16, v19, vcc
	v_lshlrev_b64 v[16:17], 3, v[14:15]
	v_add_co_u32_e32 v16, vcc, v18, v16
	v_min_u32_e32 v22, s33, v12
	v_addc_co_u32_e32 v17, vcc, v19, v17, vcc
	v_cmp_gt_u32_e32 vcc, v22, v0
	s_and_saveexec_b64 s[2:3], vcc
	s_cbranch_execnz .LBB2917_88
; %bb.77:
	s_or_b64 exec, exec, s[2:3]
	v_cmp_lt_u32_e32 vcc, v21, v22
	s_and_saveexec_b64 s[2:3], vcc
	s_cbranch_execnz .LBB2917_89
.LBB2917_78:
	s_or_b64 exec, exec, s[2:3]
	v_cmp_lt_u32_e32 vcc, v20, v22
	s_and_saveexec_b64 s[2:3], vcc
	s_cbranch_execz .LBB2917_80
.LBB2917_79:
	v_readfirstlane_b32 s4, v16
	v_readfirstlane_b32 s5, v17
	s_waitcnt lgkmcnt(0)
	s_nop 3
	global_store_dwordx2 v1, v[2:3], s[4:5] offset:3072
.LBB2917_80:
	s_or_b64 exec, exec, s[2:3]
	v_cmp_lt_u32_e64 s[2:3], v13, v22
.LBB2917_81:
	s_and_saveexec_b64 s[4:5], s[2:3]
	s_cbranch_execnz .LBB2917_84
; %bb.82:
	s_or_b64 exec, exec, s[4:5]
	s_and_b64 s[0:1], s[0:1], s[22:23]
	s_and_saveexec_b64 s[2:3], s[0:1]
	s_cbranch_execnz .LBB2917_85
.LBB2917_83:
	s_endpgm
.LBB2917_84:
	v_lshlrev_b32_e32 v0, 3, v13
	v_readfirstlane_b32 s2, v16
	v_readfirstlane_b32 s3, v17
	s_waitcnt lgkmcnt(0)
	s_nop 3
	global_store_dwordx2 v0, v[4:5], s[2:3]
	s_or_b64 exec, exec, s[4:5]
	s_and_b64 s[0:1], s[0:1], s[22:23]
	s_and_saveexec_b64 s[2:3], s[0:1]
	s_cbranch_execz .LBB2917_83
.LBB2917_85:
	v_add_co_u32_e32 v0, vcc, v10, v12
	v_addc_co_u32_e32 v1, vcc, 0, v11, vcc
	v_add_co_u32_e32 v0, vcc, v0, v14
	s_waitcnt lgkmcnt(0)
	v_mov_b32_e32 v2, 0
	v_addc_co_u32_e32 v1, vcc, 0, v1, vcc
	global_store_dwordx2 v2, v[0:1], s[20:21]
	s_endpgm
.LBB2917_86:
	v_readfirstlane_b32 s4, v16
	v_readfirstlane_b32 s5, v17
	s_waitcnt lgkmcnt(1)
	s_nop 3
	global_store_dwordx2 v1, v[6:7], s[4:5]
	s_or_b64 exec, exec, s[2:3]
	v_cmp_lt_u32_e32 vcc, v21, v12
	s_and_saveexec_b64 s[2:3], vcc
	s_cbranch_execz .LBB2917_72
.LBB2917_87:
	v_readfirstlane_b32 s4, v16
	v_readfirstlane_b32 s5, v17
	s_waitcnt lgkmcnt(1)
	s_nop 3
	global_store_dwordx2 v1, v[8:9], s[4:5] offset:1536
	s_or_b64 exec, exec, s[2:3]
	v_cmp_lt_u32_e32 vcc, v20, v12
	s_and_saveexec_b64 s[2:3], vcc
	s_cbranch_execnz .LBB2917_73
	s_branch .LBB2917_74
.LBB2917_88:
	v_readfirstlane_b32 s4, v16
	v_readfirstlane_b32 s5, v17
	s_waitcnt lgkmcnt(1)
	s_nop 3
	global_store_dwordx2 v1, v[6:7], s[4:5]
	s_or_b64 exec, exec, s[2:3]
	v_cmp_lt_u32_e32 vcc, v21, v22
	s_and_saveexec_b64 s[2:3], vcc
	s_cbranch_execz .LBB2917_78
.LBB2917_89:
	v_readfirstlane_b32 s4, v16
	v_readfirstlane_b32 s5, v17
	s_waitcnt lgkmcnt(1)
	s_nop 3
	global_store_dwordx2 v1, v[8:9], s[4:5] offset:1536
	s_or_b64 exec, exec, s[2:3]
	v_cmp_lt_u32_e32 vcc, v20, v22
	s_and_saveexec_b64 s[2:3], vcc
	s_cbranch_execnz .LBB2917_79
	s_branch .LBB2917_80
	.section	.rodata,"a",@progbits
	.p2align	6, 0x0
	.amdhsa_kernel _ZN7rocprim17ROCPRIM_400000_NS6detail17trampoline_kernelINS0_14default_configENS1_25partition_config_selectorILNS1_17partition_subalgoE1EyNS0_10empty_typeEbEEZZNS1_14partition_implILS5_1ELb0ES3_jN6thrust23THRUST_200600_302600_NS6detail15normal_iteratorINSA_10device_ptrIyEEEEPS6_NSA_18transform_iteratorI7is_evenIyESF_NSA_11use_defaultESK_EENS0_5tupleIJSF_NSA_16discard_iteratorISK_EEEEENSM_IJSG_SG_EEES6_PlJS6_EEE10hipError_tPvRmT3_T4_T5_T6_T7_T9_mT8_P12ihipStream_tbDpT10_ENKUlT_T0_E_clISt17integral_constantIbLb1EES1B_EEDaS16_S17_EUlS16_E_NS1_11comp_targetILNS1_3genE4ELNS1_11target_archE910ELNS1_3gpuE8ELNS1_3repE0EEENS1_30default_config_static_selectorELNS0_4arch9wavefront6targetE1EEEvT1_
		.amdhsa_group_segment_fixed_size 6344
		.amdhsa_private_segment_fixed_size 0
		.amdhsa_kernarg_size 152
		.amdhsa_user_sgpr_count 6
		.amdhsa_user_sgpr_private_segment_buffer 1
		.amdhsa_user_sgpr_dispatch_ptr 0
		.amdhsa_user_sgpr_queue_ptr 0
		.amdhsa_user_sgpr_kernarg_segment_ptr 1
		.amdhsa_user_sgpr_dispatch_id 0
		.amdhsa_user_sgpr_flat_scratch_init 0
		.amdhsa_user_sgpr_kernarg_preload_length 0
		.amdhsa_user_sgpr_kernarg_preload_offset 0
		.amdhsa_user_sgpr_private_segment_size 0
		.amdhsa_uses_dynamic_stack 0
		.amdhsa_system_sgpr_private_segment_wavefront_offset 0
		.amdhsa_system_sgpr_workgroup_id_x 1
		.amdhsa_system_sgpr_workgroup_id_y 0
		.amdhsa_system_sgpr_workgroup_id_z 0
		.amdhsa_system_sgpr_workgroup_info 0
		.amdhsa_system_vgpr_workitem_id 0
		.amdhsa_next_free_vgpr 45
		.amdhsa_next_free_sgpr 40
		.amdhsa_accum_offset 48
		.amdhsa_reserve_vcc 1
		.amdhsa_reserve_flat_scratch 0
		.amdhsa_float_round_mode_32 0
		.amdhsa_float_round_mode_16_64 0
		.amdhsa_float_denorm_mode_32 3
		.amdhsa_float_denorm_mode_16_64 3
		.amdhsa_dx10_clamp 1
		.amdhsa_ieee_mode 1
		.amdhsa_fp16_overflow 0
		.amdhsa_tg_split 0
		.amdhsa_exception_fp_ieee_invalid_op 0
		.amdhsa_exception_fp_denorm_src 0
		.amdhsa_exception_fp_ieee_div_zero 0
		.amdhsa_exception_fp_ieee_overflow 0
		.amdhsa_exception_fp_ieee_underflow 0
		.amdhsa_exception_fp_ieee_inexact 0
		.amdhsa_exception_int_div_zero 0
	.end_amdhsa_kernel
	.section	.text._ZN7rocprim17ROCPRIM_400000_NS6detail17trampoline_kernelINS0_14default_configENS1_25partition_config_selectorILNS1_17partition_subalgoE1EyNS0_10empty_typeEbEEZZNS1_14partition_implILS5_1ELb0ES3_jN6thrust23THRUST_200600_302600_NS6detail15normal_iteratorINSA_10device_ptrIyEEEEPS6_NSA_18transform_iteratorI7is_evenIyESF_NSA_11use_defaultESK_EENS0_5tupleIJSF_NSA_16discard_iteratorISK_EEEEENSM_IJSG_SG_EEES6_PlJS6_EEE10hipError_tPvRmT3_T4_T5_T6_T7_T9_mT8_P12ihipStream_tbDpT10_ENKUlT_T0_E_clISt17integral_constantIbLb1EES1B_EEDaS16_S17_EUlS16_E_NS1_11comp_targetILNS1_3genE4ELNS1_11target_archE910ELNS1_3gpuE8ELNS1_3repE0EEENS1_30default_config_static_selectorELNS0_4arch9wavefront6targetE1EEEvT1_,"axG",@progbits,_ZN7rocprim17ROCPRIM_400000_NS6detail17trampoline_kernelINS0_14default_configENS1_25partition_config_selectorILNS1_17partition_subalgoE1EyNS0_10empty_typeEbEEZZNS1_14partition_implILS5_1ELb0ES3_jN6thrust23THRUST_200600_302600_NS6detail15normal_iteratorINSA_10device_ptrIyEEEEPS6_NSA_18transform_iteratorI7is_evenIyESF_NSA_11use_defaultESK_EENS0_5tupleIJSF_NSA_16discard_iteratorISK_EEEEENSM_IJSG_SG_EEES6_PlJS6_EEE10hipError_tPvRmT3_T4_T5_T6_T7_T9_mT8_P12ihipStream_tbDpT10_ENKUlT_T0_E_clISt17integral_constantIbLb1EES1B_EEDaS16_S17_EUlS16_E_NS1_11comp_targetILNS1_3genE4ELNS1_11target_archE910ELNS1_3gpuE8ELNS1_3repE0EEENS1_30default_config_static_selectorELNS0_4arch9wavefront6targetE1EEEvT1_,comdat
.Lfunc_end2917:
	.size	_ZN7rocprim17ROCPRIM_400000_NS6detail17trampoline_kernelINS0_14default_configENS1_25partition_config_selectorILNS1_17partition_subalgoE1EyNS0_10empty_typeEbEEZZNS1_14partition_implILS5_1ELb0ES3_jN6thrust23THRUST_200600_302600_NS6detail15normal_iteratorINSA_10device_ptrIyEEEEPS6_NSA_18transform_iteratorI7is_evenIyESF_NSA_11use_defaultESK_EENS0_5tupleIJSF_NSA_16discard_iteratorISK_EEEEENSM_IJSG_SG_EEES6_PlJS6_EEE10hipError_tPvRmT3_T4_T5_T6_T7_T9_mT8_P12ihipStream_tbDpT10_ENKUlT_T0_E_clISt17integral_constantIbLb1EES1B_EEDaS16_S17_EUlS16_E_NS1_11comp_targetILNS1_3genE4ELNS1_11target_archE910ELNS1_3gpuE8ELNS1_3repE0EEENS1_30default_config_static_selectorELNS0_4arch9wavefront6targetE1EEEvT1_, .Lfunc_end2917-_ZN7rocprim17ROCPRIM_400000_NS6detail17trampoline_kernelINS0_14default_configENS1_25partition_config_selectorILNS1_17partition_subalgoE1EyNS0_10empty_typeEbEEZZNS1_14partition_implILS5_1ELb0ES3_jN6thrust23THRUST_200600_302600_NS6detail15normal_iteratorINSA_10device_ptrIyEEEEPS6_NSA_18transform_iteratorI7is_evenIyESF_NSA_11use_defaultESK_EENS0_5tupleIJSF_NSA_16discard_iteratorISK_EEEEENSM_IJSG_SG_EEES6_PlJS6_EEE10hipError_tPvRmT3_T4_T5_T6_T7_T9_mT8_P12ihipStream_tbDpT10_ENKUlT_T0_E_clISt17integral_constantIbLb1EES1B_EEDaS16_S17_EUlS16_E_NS1_11comp_targetILNS1_3genE4ELNS1_11target_archE910ELNS1_3gpuE8ELNS1_3repE0EEENS1_30default_config_static_selectorELNS0_4arch9wavefront6targetE1EEEvT1_
                                        ; -- End function
	.section	.AMDGPU.csdata,"",@progbits
; Kernel info:
; codeLenInByte = 4180
; NumSgprs: 44
; NumVgprs: 45
; NumAgprs: 0
; TotalNumVgprs: 45
; ScratchSize: 0
; MemoryBound: 0
; FloatMode: 240
; IeeeMode: 1
; LDSByteSize: 6344 bytes/workgroup (compile time only)
; SGPRBlocks: 5
; VGPRBlocks: 5
; NumSGPRsForWavesPerEU: 44
; NumVGPRsForWavesPerEU: 45
; AccumOffset: 48
; Occupancy: 8
; WaveLimiterHint : 1
; COMPUTE_PGM_RSRC2:SCRATCH_EN: 0
; COMPUTE_PGM_RSRC2:USER_SGPR: 6
; COMPUTE_PGM_RSRC2:TRAP_HANDLER: 0
; COMPUTE_PGM_RSRC2:TGID_X_EN: 1
; COMPUTE_PGM_RSRC2:TGID_Y_EN: 0
; COMPUTE_PGM_RSRC2:TGID_Z_EN: 0
; COMPUTE_PGM_RSRC2:TIDIG_COMP_CNT: 0
; COMPUTE_PGM_RSRC3_GFX90A:ACCUM_OFFSET: 11
; COMPUTE_PGM_RSRC3_GFX90A:TG_SPLIT: 0
	.section	.text._ZN7rocprim17ROCPRIM_400000_NS6detail17trampoline_kernelINS0_14default_configENS1_25partition_config_selectorILNS1_17partition_subalgoE1EyNS0_10empty_typeEbEEZZNS1_14partition_implILS5_1ELb0ES3_jN6thrust23THRUST_200600_302600_NS6detail15normal_iteratorINSA_10device_ptrIyEEEEPS6_NSA_18transform_iteratorI7is_evenIyESF_NSA_11use_defaultESK_EENS0_5tupleIJSF_NSA_16discard_iteratorISK_EEEEENSM_IJSG_SG_EEES6_PlJS6_EEE10hipError_tPvRmT3_T4_T5_T6_T7_T9_mT8_P12ihipStream_tbDpT10_ENKUlT_T0_E_clISt17integral_constantIbLb1EES1B_EEDaS16_S17_EUlS16_E_NS1_11comp_targetILNS1_3genE3ELNS1_11target_archE908ELNS1_3gpuE7ELNS1_3repE0EEENS1_30default_config_static_selectorELNS0_4arch9wavefront6targetE1EEEvT1_,"axG",@progbits,_ZN7rocprim17ROCPRIM_400000_NS6detail17trampoline_kernelINS0_14default_configENS1_25partition_config_selectorILNS1_17partition_subalgoE1EyNS0_10empty_typeEbEEZZNS1_14partition_implILS5_1ELb0ES3_jN6thrust23THRUST_200600_302600_NS6detail15normal_iteratorINSA_10device_ptrIyEEEEPS6_NSA_18transform_iteratorI7is_evenIyESF_NSA_11use_defaultESK_EENS0_5tupleIJSF_NSA_16discard_iteratorISK_EEEEENSM_IJSG_SG_EEES6_PlJS6_EEE10hipError_tPvRmT3_T4_T5_T6_T7_T9_mT8_P12ihipStream_tbDpT10_ENKUlT_T0_E_clISt17integral_constantIbLb1EES1B_EEDaS16_S17_EUlS16_E_NS1_11comp_targetILNS1_3genE3ELNS1_11target_archE908ELNS1_3gpuE7ELNS1_3repE0EEENS1_30default_config_static_selectorELNS0_4arch9wavefront6targetE1EEEvT1_,comdat
	.protected	_ZN7rocprim17ROCPRIM_400000_NS6detail17trampoline_kernelINS0_14default_configENS1_25partition_config_selectorILNS1_17partition_subalgoE1EyNS0_10empty_typeEbEEZZNS1_14partition_implILS5_1ELb0ES3_jN6thrust23THRUST_200600_302600_NS6detail15normal_iteratorINSA_10device_ptrIyEEEEPS6_NSA_18transform_iteratorI7is_evenIyESF_NSA_11use_defaultESK_EENS0_5tupleIJSF_NSA_16discard_iteratorISK_EEEEENSM_IJSG_SG_EEES6_PlJS6_EEE10hipError_tPvRmT3_T4_T5_T6_T7_T9_mT8_P12ihipStream_tbDpT10_ENKUlT_T0_E_clISt17integral_constantIbLb1EES1B_EEDaS16_S17_EUlS16_E_NS1_11comp_targetILNS1_3genE3ELNS1_11target_archE908ELNS1_3gpuE7ELNS1_3repE0EEENS1_30default_config_static_selectorELNS0_4arch9wavefront6targetE1EEEvT1_ ; -- Begin function _ZN7rocprim17ROCPRIM_400000_NS6detail17trampoline_kernelINS0_14default_configENS1_25partition_config_selectorILNS1_17partition_subalgoE1EyNS0_10empty_typeEbEEZZNS1_14partition_implILS5_1ELb0ES3_jN6thrust23THRUST_200600_302600_NS6detail15normal_iteratorINSA_10device_ptrIyEEEEPS6_NSA_18transform_iteratorI7is_evenIyESF_NSA_11use_defaultESK_EENS0_5tupleIJSF_NSA_16discard_iteratorISK_EEEEENSM_IJSG_SG_EEES6_PlJS6_EEE10hipError_tPvRmT3_T4_T5_T6_T7_T9_mT8_P12ihipStream_tbDpT10_ENKUlT_T0_E_clISt17integral_constantIbLb1EES1B_EEDaS16_S17_EUlS16_E_NS1_11comp_targetILNS1_3genE3ELNS1_11target_archE908ELNS1_3gpuE7ELNS1_3repE0EEENS1_30default_config_static_selectorELNS0_4arch9wavefront6targetE1EEEvT1_
	.globl	_ZN7rocprim17ROCPRIM_400000_NS6detail17trampoline_kernelINS0_14default_configENS1_25partition_config_selectorILNS1_17partition_subalgoE1EyNS0_10empty_typeEbEEZZNS1_14partition_implILS5_1ELb0ES3_jN6thrust23THRUST_200600_302600_NS6detail15normal_iteratorINSA_10device_ptrIyEEEEPS6_NSA_18transform_iteratorI7is_evenIyESF_NSA_11use_defaultESK_EENS0_5tupleIJSF_NSA_16discard_iteratorISK_EEEEENSM_IJSG_SG_EEES6_PlJS6_EEE10hipError_tPvRmT3_T4_T5_T6_T7_T9_mT8_P12ihipStream_tbDpT10_ENKUlT_T0_E_clISt17integral_constantIbLb1EES1B_EEDaS16_S17_EUlS16_E_NS1_11comp_targetILNS1_3genE3ELNS1_11target_archE908ELNS1_3gpuE7ELNS1_3repE0EEENS1_30default_config_static_selectorELNS0_4arch9wavefront6targetE1EEEvT1_
	.p2align	8
	.type	_ZN7rocprim17ROCPRIM_400000_NS6detail17trampoline_kernelINS0_14default_configENS1_25partition_config_selectorILNS1_17partition_subalgoE1EyNS0_10empty_typeEbEEZZNS1_14partition_implILS5_1ELb0ES3_jN6thrust23THRUST_200600_302600_NS6detail15normal_iteratorINSA_10device_ptrIyEEEEPS6_NSA_18transform_iteratorI7is_evenIyESF_NSA_11use_defaultESK_EENS0_5tupleIJSF_NSA_16discard_iteratorISK_EEEEENSM_IJSG_SG_EEES6_PlJS6_EEE10hipError_tPvRmT3_T4_T5_T6_T7_T9_mT8_P12ihipStream_tbDpT10_ENKUlT_T0_E_clISt17integral_constantIbLb1EES1B_EEDaS16_S17_EUlS16_E_NS1_11comp_targetILNS1_3genE3ELNS1_11target_archE908ELNS1_3gpuE7ELNS1_3repE0EEENS1_30default_config_static_selectorELNS0_4arch9wavefront6targetE1EEEvT1_,@function
_ZN7rocprim17ROCPRIM_400000_NS6detail17trampoline_kernelINS0_14default_configENS1_25partition_config_selectorILNS1_17partition_subalgoE1EyNS0_10empty_typeEbEEZZNS1_14partition_implILS5_1ELb0ES3_jN6thrust23THRUST_200600_302600_NS6detail15normal_iteratorINSA_10device_ptrIyEEEEPS6_NSA_18transform_iteratorI7is_evenIyESF_NSA_11use_defaultESK_EENS0_5tupleIJSF_NSA_16discard_iteratorISK_EEEEENSM_IJSG_SG_EEES6_PlJS6_EEE10hipError_tPvRmT3_T4_T5_T6_T7_T9_mT8_P12ihipStream_tbDpT10_ENKUlT_T0_E_clISt17integral_constantIbLb1EES1B_EEDaS16_S17_EUlS16_E_NS1_11comp_targetILNS1_3genE3ELNS1_11target_archE908ELNS1_3gpuE7ELNS1_3repE0EEENS1_30default_config_static_selectorELNS0_4arch9wavefront6targetE1EEEvT1_: ; @_ZN7rocprim17ROCPRIM_400000_NS6detail17trampoline_kernelINS0_14default_configENS1_25partition_config_selectorILNS1_17partition_subalgoE1EyNS0_10empty_typeEbEEZZNS1_14partition_implILS5_1ELb0ES3_jN6thrust23THRUST_200600_302600_NS6detail15normal_iteratorINSA_10device_ptrIyEEEEPS6_NSA_18transform_iteratorI7is_evenIyESF_NSA_11use_defaultESK_EENS0_5tupleIJSF_NSA_16discard_iteratorISK_EEEEENSM_IJSG_SG_EEES6_PlJS6_EEE10hipError_tPvRmT3_T4_T5_T6_T7_T9_mT8_P12ihipStream_tbDpT10_ENKUlT_T0_E_clISt17integral_constantIbLb1EES1B_EEDaS16_S17_EUlS16_E_NS1_11comp_targetILNS1_3genE3ELNS1_11target_archE908ELNS1_3gpuE7ELNS1_3repE0EEENS1_30default_config_static_selectorELNS0_4arch9wavefront6targetE1EEEvT1_
; %bb.0:
	.section	.rodata,"a",@progbits
	.p2align	6, 0x0
	.amdhsa_kernel _ZN7rocprim17ROCPRIM_400000_NS6detail17trampoline_kernelINS0_14default_configENS1_25partition_config_selectorILNS1_17partition_subalgoE1EyNS0_10empty_typeEbEEZZNS1_14partition_implILS5_1ELb0ES3_jN6thrust23THRUST_200600_302600_NS6detail15normal_iteratorINSA_10device_ptrIyEEEEPS6_NSA_18transform_iteratorI7is_evenIyESF_NSA_11use_defaultESK_EENS0_5tupleIJSF_NSA_16discard_iteratorISK_EEEEENSM_IJSG_SG_EEES6_PlJS6_EEE10hipError_tPvRmT3_T4_T5_T6_T7_T9_mT8_P12ihipStream_tbDpT10_ENKUlT_T0_E_clISt17integral_constantIbLb1EES1B_EEDaS16_S17_EUlS16_E_NS1_11comp_targetILNS1_3genE3ELNS1_11target_archE908ELNS1_3gpuE7ELNS1_3repE0EEENS1_30default_config_static_selectorELNS0_4arch9wavefront6targetE1EEEvT1_
		.amdhsa_group_segment_fixed_size 0
		.amdhsa_private_segment_fixed_size 0
		.amdhsa_kernarg_size 152
		.amdhsa_user_sgpr_count 6
		.amdhsa_user_sgpr_private_segment_buffer 1
		.amdhsa_user_sgpr_dispatch_ptr 0
		.amdhsa_user_sgpr_queue_ptr 0
		.amdhsa_user_sgpr_kernarg_segment_ptr 1
		.amdhsa_user_sgpr_dispatch_id 0
		.amdhsa_user_sgpr_flat_scratch_init 0
		.amdhsa_user_sgpr_kernarg_preload_length 0
		.amdhsa_user_sgpr_kernarg_preload_offset 0
		.amdhsa_user_sgpr_private_segment_size 0
		.amdhsa_uses_dynamic_stack 0
		.amdhsa_system_sgpr_private_segment_wavefront_offset 0
		.amdhsa_system_sgpr_workgroup_id_x 1
		.amdhsa_system_sgpr_workgroup_id_y 0
		.amdhsa_system_sgpr_workgroup_id_z 0
		.amdhsa_system_sgpr_workgroup_info 0
		.amdhsa_system_vgpr_workitem_id 0
		.amdhsa_next_free_vgpr 1
		.amdhsa_next_free_sgpr 0
		.amdhsa_accum_offset 4
		.amdhsa_reserve_vcc 0
		.amdhsa_reserve_flat_scratch 0
		.amdhsa_float_round_mode_32 0
		.amdhsa_float_round_mode_16_64 0
		.amdhsa_float_denorm_mode_32 3
		.amdhsa_float_denorm_mode_16_64 3
		.amdhsa_dx10_clamp 1
		.amdhsa_ieee_mode 1
		.amdhsa_fp16_overflow 0
		.amdhsa_tg_split 0
		.amdhsa_exception_fp_ieee_invalid_op 0
		.amdhsa_exception_fp_denorm_src 0
		.amdhsa_exception_fp_ieee_div_zero 0
		.amdhsa_exception_fp_ieee_overflow 0
		.amdhsa_exception_fp_ieee_underflow 0
		.amdhsa_exception_fp_ieee_inexact 0
		.amdhsa_exception_int_div_zero 0
	.end_amdhsa_kernel
	.section	.text._ZN7rocprim17ROCPRIM_400000_NS6detail17trampoline_kernelINS0_14default_configENS1_25partition_config_selectorILNS1_17partition_subalgoE1EyNS0_10empty_typeEbEEZZNS1_14partition_implILS5_1ELb0ES3_jN6thrust23THRUST_200600_302600_NS6detail15normal_iteratorINSA_10device_ptrIyEEEEPS6_NSA_18transform_iteratorI7is_evenIyESF_NSA_11use_defaultESK_EENS0_5tupleIJSF_NSA_16discard_iteratorISK_EEEEENSM_IJSG_SG_EEES6_PlJS6_EEE10hipError_tPvRmT3_T4_T5_T6_T7_T9_mT8_P12ihipStream_tbDpT10_ENKUlT_T0_E_clISt17integral_constantIbLb1EES1B_EEDaS16_S17_EUlS16_E_NS1_11comp_targetILNS1_3genE3ELNS1_11target_archE908ELNS1_3gpuE7ELNS1_3repE0EEENS1_30default_config_static_selectorELNS0_4arch9wavefront6targetE1EEEvT1_,"axG",@progbits,_ZN7rocprim17ROCPRIM_400000_NS6detail17trampoline_kernelINS0_14default_configENS1_25partition_config_selectorILNS1_17partition_subalgoE1EyNS0_10empty_typeEbEEZZNS1_14partition_implILS5_1ELb0ES3_jN6thrust23THRUST_200600_302600_NS6detail15normal_iteratorINSA_10device_ptrIyEEEEPS6_NSA_18transform_iteratorI7is_evenIyESF_NSA_11use_defaultESK_EENS0_5tupleIJSF_NSA_16discard_iteratorISK_EEEEENSM_IJSG_SG_EEES6_PlJS6_EEE10hipError_tPvRmT3_T4_T5_T6_T7_T9_mT8_P12ihipStream_tbDpT10_ENKUlT_T0_E_clISt17integral_constantIbLb1EES1B_EEDaS16_S17_EUlS16_E_NS1_11comp_targetILNS1_3genE3ELNS1_11target_archE908ELNS1_3gpuE7ELNS1_3repE0EEENS1_30default_config_static_selectorELNS0_4arch9wavefront6targetE1EEEvT1_,comdat
.Lfunc_end2918:
	.size	_ZN7rocprim17ROCPRIM_400000_NS6detail17trampoline_kernelINS0_14default_configENS1_25partition_config_selectorILNS1_17partition_subalgoE1EyNS0_10empty_typeEbEEZZNS1_14partition_implILS5_1ELb0ES3_jN6thrust23THRUST_200600_302600_NS6detail15normal_iteratorINSA_10device_ptrIyEEEEPS6_NSA_18transform_iteratorI7is_evenIyESF_NSA_11use_defaultESK_EENS0_5tupleIJSF_NSA_16discard_iteratorISK_EEEEENSM_IJSG_SG_EEES6_PlJS6_EEE10hipError_tPvRmT3_T4_T5_T6_T7_T9_mT8_P12ihipStream_tbDpT10_ENKUlT_T0_E_clISt17integral_constantIbLb1EES1B_EEDaS16_S17_EUlS16_E_NS1_11comp_targetILNS1_3genE3ELNS1_11target_archE908ELNS1_3gpuE7ELNS1_3repE0EEENS1_30default_config_static_selectorELNS0_4arch9wavefront6targetE1EEEvT1_, .Lfunc_end2918-_ZN7rocprim17ROCPRIM_400000_NS6detail17trampoline_kernelINS0_14default_configENS1_25partition_config_selectorILNS1_17partition_subalgoE1EyNS0_10empty_typeEbEEZZNS1_14partition_implILS5_1ELb0ES3_jN6thrust23THRUST_200600_302600_NS6detail15normal_iteratorINSA_10device_ptrIyEEEEPS6_NSA_18transform_iteratorI7is_evenIyESF_NSA_11use_defaultESK_EENS0_5tupleIJSF_NSA_16discard_iteratorISK_EEEEENSM_IJSG_SG_EEES6_PlJS6_EEE10hipError_tPvRmT3_T4_T5_T6_T7_T9_mT8_P12ihipStream_tbDpT10_ENKUlT_T0_E_clISt17integral_constantIbLb1EES1B_EEDaS16_S17_EUlS16_E_NS1_11comp_targetILNS1_3genE3ELNS1_11target_archE908ELNS1_3gpuE7ELNS1_3repE0EEENS1_30default_config_static_selectorELNS0_4arch9wavefront6targetE1EEEvT1_
                                        ; -- End function
	.section	.AMDGPU.csdata,"",@progbits
; Kernel info:
; codeLenInByte = 0
; NumSgprs: 4
; NumVgprs: 0
; NumAgprs: 0
; TotalNumVgprs: 0
; ScratchSize: 0
; MemoryBound: 0
; FloatMode: 240
; IeeeMode: 1
; LDSByteSize: 0 bytes/workgroup (compile time only)
; SGPRBlocks: 0
; VGPRBlocks: 0
; NumSGPRsForWavesPerEU: 4
; NumVGPRsForWavesPerEU: 1
; AccumOffset: 4
; Occupancy: 8
; WaveLimiterHint : 0
; COMPUTE_PGM_RSRC2:SCRATCH_EN: 0
; COMPUTE_PGM_RSRC2:USER_SGPR: 6
; COMPUTE_PGM_RSRC2:TRAP_HANDLER: 0
; COMPUTE_PGM_RSRC2:TGID_X_EN: 1
; COMPUTE_PGM_RSRC2:TGID_Y_EN: 0
; COMPUTE_PGM_RSRC2:TGID_Z_EN: 0
; COMPUTE_PGM_RSRC2:TIDIG_COMP_CNT: 0
; COMPUTE_PGM_RSRC3_GFX90A:ACCUM_OFFSET: 0
; COMPUTE_PGM_RSRC3_GFX90A:TG_SPLIT: 0
	.section	.text._ZN7rocprim17ROCPRIM_400000_NS6detail17trampoline_kernelINS0_14default_configENS1_25partition_config_selectorILNS1_17partition_subalgoE1EyNS0_10empty_typeEbEEZZNS1_14partition_implILS5_1ELb0ES3_jN6thrust23THRUST_200600_302600_NS6detail15normal_iteratorINSA_10device_ptrIyEEEEPS6_NSA_18transform_iteratorI7is_evenIyESF_NSA_11use_defaultESK_EENS0_5tupleIJSF_NSA_16discard_iteratorISK_EEEEENSM_IJSG_SG_EEES6_PlJS6_EEE10hipError_tPvRmT3_T4_T5_T6_T7_T9_mT8_P12ihipStream_tbDpT10_ENKUlT_T0_E_clISt17integral_constantIbLb1EES1B_EEDaS16_S17_EUlS16_E_NS1_11comp_targetILNS1_3genE2ELNS1_11target_archE906ELNS1_3gpuE6ELNS1_3repE0EEENS1_30default_config_static_selectorELNS0_4arch9wavefront6targetE1EEEvT1_,"axG",@progbits,_ZN7rocprim17ROCPRIM_400000_NS6detail17trampoline_kernelINS0_14default_configENS1_25partition_config_selectorILNS1_17partition_subalgoE1EyNS0_10empty_typeEbEEZZNS1_14partition_implILS5_1ELb0ES3_jN6thrust23THRUST_200600_302600_NS6detail15normal_iteratorINSA_10device_ptrIyEEEEPS6_NSA_18transform_iteratorI7is_evenIyESF_NSA_11use_defaultESK_EENS0_5tupleIJSF_NSA_16discard_iteratorISK_EEEEENSM_IJSG_SG_EEES6_PlJS6_EEE10hipError_tPvRmT3_T4_T5_T6_T7_T9_mT8_P12ihipStream_tbDpT10_ENKUlT_T0_E_clISt17integral_constantIbLb1EES1B_EEDaS16_S17_EUlS16_E_NS1_11comp_targetILNS1_3genE2ELNS1_11target_archE906ELNS1_3gpuE6ELNS1_3repE0EEENS1_30default_config_static_selectorELNS0_4arch9wavefront6targetE1EEEvT1_,comdat
	.protected	_ZN7rocprim17ROCPRIM_400000_NS6detail17trampoline_kernelINS0_14default_configENS1_25partition_config_selectorILNS1_17partition_subalgoE1EyNS0_10empty_typeEbEEZZNS1_14partition_implILS5_1ELb0ES3_jN6thrust23THRUST_200600_302600_NS6detail15normal_iteratorINSA_10device_ptrIyEEEEPS6_NSA_18transform_iteratorI7is_evenIyESF_NSA_11use_defaultESK_EENS0_5tupleIJSF_NSA_16discard_iteratorISK_EEEEENSM_IJSG_SG_EEES6_PlJS6_EEE10hipError_tPvRmT3_T4_T5_T6_T7_T9_mT8_P12ihipStream_tbDpT10_ENKUlT_T0_E_clISt17integral_constantIbLb1EES1B_EEDaS16_S17_EUlS16_E_NS1_11comp_targetILNS1_3genE2ELNS1_11target_archE906ELNS1_3gpuE6ELNS1_3repE0EEENS1_30default_config_static_selectorELNS0_4arch9wavefront6targetE1EEEvT1_ ; -- Begin function _ZN7rocprim17ROCPRIM_400000_NS6detail17trampoline_kernelINS0_14default_configENS1_25partition_config_selectorILNS1_17partition_subalgoE1EyNS0_10empty_typeEbEEZZNS1_14partition_implILS5_1ELb0ES3_jN6thrust23THRUST_200600_302600_NS6detail15normal_iteratorINSA_10device_ptrIyEEEEPS6_NSA_18transform_iteratorI7is_evenIyESF_NSA_11use_defaultESK_EENS0_5tupleIJSF_NSA_16discard_iteratorISK_EEEEENSM_IJSG_SG_EEES6_PlJS6_EEE10hipError_tPvRmT3_T4_T5_T6_T7_T9_mT8_P12ihipStream_tbDpT10_ENKUlT_T0_E_clISt17integral_constantIbLb1EES1B_EEDaS16_S17_EUlS16_E_NS1_11comp_targetILNS1_3genE2ELNS1_11target_archE906ELNS1_3gpuE6ELNS1_3repE0EEENS1_30default_config_static_selectorELNS0_4arch9wavefront6targetE1EEEvT1_
	.globl	_ZN7rocprim17ROCPRIM_400000_NS6detail17trampoline_kernelINS0_14default_configENS1_25partition_config_selectorILNS1_17partition_subalgoE1EyNS0_10empty_typeEbEEZZNS1_14partition_implILS5_1ELb0ES3_jN6thrust23THRUST_200600_302600_NS6detail15normal_iteratorINSA_10device_ptrIyEEEEPS6_NSA_18transform_iteratorI7is_evenIyESF_NSA_11use_defaultESK_EENS0_5tupleIJSF_NSA_16discard_iteratorISK_EEEEENSM_IJSG_SG_EEES6_PlJS6_EEE10hipError_tPvRmT3_T4_T5_T6_T7_T9_mT8_P12ihipStream_tbDpT10_ENKUlT_T0_E_clISt17integral_constantIbLb1EES1B_EEDaS16_S17_EUlS16_E_NS1_11comp_targetILNS1_3genE2ELNS1_11target_archE906ELNS1_3gpuE6ELNS1_3repE0EEENS1_30default_config_static_selectorELNS0_4arch9wavefront6targetE1EEEvT1_
	.p2align	8
	.type	_ZN7rocprim17ROCPRIM_400000_NS6detail17trampoline_kernelINS0_14default_configENS1_25partition_config_selectorILNS1_17partition_subalgoE1EyNS0_10empty_typeEbEEZZNS1_14partition_implILS5_1ELb0ES3_jN6thrust23THRUST_200600_302600_NS6detail15normal_iteratorINSA_10device_ptrIyEEEEPS6_NSA_18transform_iteratorI7is_evenIyESF_NSA_11use_defaultESK_EENS0_5tupleIJSF_NSA_16discard_iteratorISK_EEEEENSM_IJSG_SG_EEES6_PlJS6_EEE10hipError_tPvRmT3_T4_T5_T6_T7_T9_mT8_P12ihipStream_tbDpT10_ENKUlT_T0_E_clISt17integral_constantIbLb1EES1B_EEDaS16_S17_EUlS16_E_NS1_11comp_targetILNS1_3genE2ELNS1_11target_archE906ELNS1_3gpuE6ELNS1_3repE0EEENS1_30default_config_static_selectorELNS0_4arch9wavefront6targetE1EEEvT1_,@function
_ZN7rocprim17ROCPRIM_400000_NS6detail17trampoline_kernelINS0_14default_configENS1_25partition_config_selectorILNS1_17partition_subalgoE1EyNS0_10empty_typeEbEEZZNS1_14partition_implILS5_1ELb0ES3_jN6thrust23THRUST_200600_302600_NS6detail15normal_iteratorINSA_10device_ptrIyEEEEPS6_NSA_18transform_iteratorI7is_evenIyESF_NSA_11use_defaultESK_EENS0_5tupleIJSF_NSA_16discard_iteratorISK_EEEEENSM_IJSG_SG_EEES6_PlJS6_EEE10hipError_tPvRmT3_T4_T5_T6_T7_T9_mT8_P12ihipStream_tbDpT10_ENKUlT_T0_E_clISt17integral_constantIbLb1EES1B_EEDaS16_S17_EUlS16_E_NS1_11comp_targetILNS1_3genE2ELNS1_11target_archE906ELNS1_3gpuE6ELNS1_3repE0EEENS1_30default_config_static_selectorELNS0_4arch9wavefront6targetE1EEEvT1_: ; @_ZN7rocprim17ROCPRIM_400000_NS6detail17trampoline_kernelINS0_14default_configENS1_25partition_config_selectorILNS1_17partition_subalgoE1EyNS0_10empty_typeEbEEZZNS1_14partition_implILS5_1ELb0ES3_jN6thrust23THRUST_200600_302600_NS6detail15normal_iteratorINSA_10device_ptrIyEEEEPS6_NSA_18transform_iteratorI7is_evenIyESF_NSA_11use_defaultESK_EENS0_5tupleIJSF_NSA_16discard_iteratorISK_EEEEENSM_IJSG_SG_EEES6_PlJS6_EEE10hipError_tPvRmT3_T4_T5_T6_T7_T9_mT8_P12ihipStream_tbDpT10_ENKUlT_T0_E_clISt17integral_constantIbLb1EES1B_EEDaS16_S17_EUlS16_E_NS1_11comp_targetILNS1_3genE2ELNS1_11target_archE906ELNS1_3gpuE6ELNS1_3repE0EEENS1_30default_config_static_selectorELNS0_4arch9wavefront6targetE1EEEvT1_
; %bb.0:
	.section	.rodata,"a",@progbits
	.p2align	6, 0x0
	.amdhsa_kernel _ZN7rocprim17ROCPRIM_400000_NS6detail17trampoline_kernelINS0_14default_configENS1_25partition_config_selectorILNS1_17partition_subalgoE1EyNS0_10empty_typeEbEEZZNS1_14partition_implILS5_1ELb0ES3_jN6thrust23THRUST_200600_302600_NS6detail15normal_iteratorINSA_10device_ptrIyEEEEPS6_NSA_18transform_iteratorI7is_evenIyESF_NSA_11use_defaultESK_EENS0_5tupleIJSF_NSA_16discard_iteratorISK_EEEEENSM_IJSG_SG_EEES6_PlJS6_EEE10hipError_tPvRmT3_T4_T5_T6_T7_T9_mT8_P12ihipStream_tbDpT10_ENKUlT_T0_E_clISt17integral_constantIbLb1EES1B_EEDaS16_S17_EUlS16_E_NS1_11comp_targetILNS1_3genE2ELNS1_11target_archE906ELNS1_3gpuE6ELNS1_3repE0EEENS1_30default_config_static_selectorELNS0_4arch9wavefront6targetE1EEEvT1_
		.amdhsa_group_segment_fixed_size 0
		.amdhsa_private_segment_fixed_size 0
		.amdhsa_kernarg_size 152
		.amdhsa_user_sgpr_count 6
		.amdhsa_user_sgpr_private_segment_buffer 1
		.amdhsa_user_sgpr_dispatch_ptr 0
		.amdhsa_user_sgpr_queue_ptr 0
		.amdhsa_user_sgpr_kernarg_segment_ptr 1
		.amdhsa_user_sgpr_dispatch_id 0
		.amdhsa_user_sgpr_flat_scratch_init 0
		.amdhsa_user_sgpr_kernarg_preload_length 0
		.amdhsa_user_sgpr_kernarg_preload_offset 0
		.amdhsa_user_sgpr_private_segment_size 0
		.amdhsa_uses_dynamic_stack 0
		.amdhsa_system_sgpr_private_segment_wavefront_offset 0
		.amdhsa_system_sgpr_workgroup_id_x 1
		.amdhsa_system_sgpr_workgroup_id_y 0
		.amdhsa_system_sgpr_workgroup_id_z 0
		.amdhsa_system_sgpr_workgroup_info 0
		.amdhsa_system_vgpr_workitem_id 0
		.amdhsa_next_free_vgpr 1
		.amdhsa_next_free_sgpr 0
		.amdhsa_accum_offset 4
		.amdhsa_reserve_vcc 0
		.amdhsa_reserve_flat_scratch 0
		.amdhsa_float_round_mode_32 0
		.amdhsa_float_round_mode_16_64 0
		.amdhsa_float_denorm_mode_32 3
		.amdhsa_float_denorm_mode_16_64 3
		.amdhsa_dx10_clamp 1
		.amdhsa_ieee_mode 1
		.amdhsa_fp16_overflow 0
		.amdhsa_tg_split 0
		.amdhsa_exception_fp_ieee_invalid_op 0
		.amdhsa_exception_fp_denorm_src 0
		.amdhsa_exception_fp_ieee_div_zero 0
		.amdhsa_exception_fp_ieee_overflow 0
		.amdhsa_exception_fp_ieee_underflow 0
		.amdhsa_exception_fp_ieee_inexact 0
		.amdhsa_exception_int_div_zero 0
	.end_amdhsa_kernel
	.section	.text._ZN7rocprim17ROCPRIM_400000_NS6detail17trampoline_kernelINS0_14default_configENS1_25partition_config_selectorILNS1_17partition_subalgoE1EyNS0_10empty_typeEbEEZZNS1_14partition_implILS5_1ELb0ES3_jN6thrust23THRUST_200600_302600_NS6detail15normal_iteratorINSA_10device_ptrIyEEEEPS6_NSA_18transform_iteratorI7is_evenIyESF_NSA_11use_defaultESK_EENS0_5tupleIJSF_NSA_16discard_iteratorISK_EEEEENSM_IJSG_SG_EEES6_PlJS6_EEE10hipError_tPvRmT3_T4_T5_T6_T7_T9_mT8_P12ihipStream_tbDpT10_ENKUlT_T0_E_clISt17integral_constantIbLb1EES1B_EEDaS16_S17_EUlS16_E_NS1_11comp_targetILNS1_3genE2ELNS1_11target_archE906ELNS1_3gpuE6ELNS1_3repE0EEENS1_30default_config_static_selectorELNS0_4arch9wavefront6targetE1EEEvT1_,"axG",@progbits,_ZN7rocprim17ROCPRIM_400000_NS6detail17trampoline_kernelINS0_14default_configENS1_25partition_config_selectorILNS1_17partition_subalgoE1EyNS0_10empty_typeEbEEZZNS1_14partition_implILS5_1ELb0ES3_jN6thrust23THRUST_200600_302600_NS6detail15normal_iteratorINSA_10device_ptrIyEEEEPS6_NSA_18transform_iteratorI7is_evenIyESF_NSA_11use_defaultESK_EENS0_5tupleIJSF_NSA_16discard_iteratorISK_EEEEENSM_IJSG_SG_EEES6_PlJS6_EEE10hipError_tPvRmT3_T4_T5_T6_T7_T9_mT8_P12ihipStream_tbDpT10_ENKUlT_T0_E_clISt17integral_constantIbLb1EES1B_EEDaS16_S17_EUlS16_E_NS1_11comp_targetILNS1_3genE2ELNS1_11target_archE906ELNS1_3gpuE6ELNS1_3repE0EEENS1_30default_config_static_selectorELNS0_4arch9wavefront6targetE1EEEvT1_,comdat
.Lfunc_end2919:
	.size	_ZN7rocprim17ROCPRIM_400000_NS6detail17trampoline_kernelINS0_14default_configENS1_25partition_config_selectorILNS1_17partition_subalgoE1EyNS0_10empty_typeEbEEZZNS1_14partition_implILS5_1ELb0ES3_jN6thrust23THRUST_200600_302600_NS6detail15normal_iteratorINSA_10device_ptrIyEEEEPS6_NSA_18transform_iteratorI7is_evenIyESF_NSA_11use_defaultESK_EENS0_5tupleIJSF_NSA_16discard_iteratorISK_EEEEENSM_IJSG_SG_EEES6_PlJS6_EEE10hipError_tPvRmT3_T4_T5_T6_T7_T9_mT8_P12ihipStream_tbDpT10_ENKUlT_T0_E_clISt17integral_constantIbLb1EES1B_EEDaS16_S17_EUlS16_E_NS1_11comp_targetILNS1_3genE2ELNS1_11target_archE906ELNS1_3gpuE6ELNS1_3repE0EEENS1_30default_config_static_selectorELNS0_4arch9wavefront6targetE1EEEvT1_, .Lfunc_end2919-_ZN7rocprim17ROCPRIM_400000_NS6detail17trampoline_kernelINS0_14default_configENS1_25partition_config_selectorILNS1_17partition_subalgoE1EyNS0_10empty_typeEbEEZZNS1_14partition_implILS5_1ELb0ES3_jN6thrust23THRUST_200600_302600_NS6detail15normal_iteratorINSA_10device_ptrIyEEEEPS6_NSA_18transform_iteratorI7is_evenIyESF_NSA_11use_defaultESK_EENS0_5tupleIJSF_NSA_16discard_iteratorISK_EEEEENSM_IJSG_SG_EEES6_PlJS6_EEE10hipError_tPvRmT3_T4_T5_T6_T7_T9_mT8_P12ihipStream_tbDpT10_ENKUlT_T0_E_clISt17integral_constantIbLb1EES1B_EEDaS16_S17_EUlS16_E_NS1_11comp_targetILNS1_3genE2ELNS1_11target_archE906ELNS1_3gpuE6ELNS1_3repE0EEENS1_30default_config_static_selectorELNS0_4arch9wavefront6targetE1EEEvT1_
                                        ; -- End function
	.section	.AMDGPU.csdata,"",@progbits
; Kernel info:
; codeLenInByte = 0
; NumSgprs: 4
; NumVgprs: 0
; NumAgprs: 0
; TotalNumVgprs: 0
; ScratchSize: 0
; MemoryBound: 0
; FloatMode: 240
; IeeeMode: 1
; LDSByteSize: 0 bytes/workgroup (compile time only)
; SGPRBlocks: 0
; VGPRBlocks: 0
; NumSGPRsForWavesPerEU: 4
; NumVGPRsForWavesPerEU: 1
; AccumOffset: 4
; Occupancy: 8
; WaveLimiterHint : 0
; COMPUTE_PGM_RSRC2:SCRATCH_EN: 0
; COMPUTE_PGM_RSRC2:USER_SGPR: 6
; COMPUTE_PGM_RSRC2:TRAP_HANDLER: 0
; COMPUTE_PGM_RSRC2:TGID_X_EN: 1
; COMPUTE_PGM_RSRC2:TGID_Y_EN: 0
; COMPUTE_PGM_RSRC2:TGID_Z_EN: 0
; COMPUTE_PGM_RSRC2:TIDIG_COMP_CNT: 0
; COMPUTE_PGM_RSRC3_GFX90A:ACCUM_OFFSET: 0
; COMPUTE_PGM_RSRC3_GFX90A:TG_SPLIT: 0
	.section	.text._ZN7rocprim17ROCPRIM_400000_NS6detail17trampoline_kernelINS0_14default_configENS1_25partition_config_selectorILNS1_17partition_subalgoE1EyNS0_10empty_typeEbEEZZNS1_14partition_implILS5_1ELb0ES3_jN6thrust23THRUST_200600_302600_NS6detail15normal_iteratorINSA_10device_ptrIyEEEEPS6_NSA_18transform_iteratorI7is_evenIyESF_NSA_11use_defaultESK_EENS0_5tupleIJSF_NSA_16discard_iteratorISK_EEEEENSM_IJSG_SG_EEES6_PlJS6_EEE10hipError_tPvRmT3_T4_T5_T6_T7_T9_mT8_P12ihipStream_tbDpT10_ENKUlT_T0_E_clISt17integral_constantIbLb1EES1B_EEDaS16_S17_EUlS16_E_NS1_11comp_targetILNS1_3genE10ELNS1_11target_archE1200ELNS1_3gpuE4ELNS1_3repE0EEENS1_30default_config_static_selectorELNS0_4arch9wavefront6targetE1EEEvT1_,"axG",@progbits,_ZN7rocprim17ROCPRIM_400000_NS6detail17trampoline_kernelINS0_14default_configENS1_25partition_config_selectorILNS1_17partition_subalgoE1EyNS0_10empty_typeEbEEZZNS1_14partition_implILS5_1ELb0ES3_jN6thrust23THRUST_200600_302600_NS6detail15normal_iteratorINSA_10device_ptrIyEEEEPS6_NSA_18transform_iteratorI7is_evenIyESF_NSA_11use_defaultESK_EENS0_5tupleIJSF_NSA_16discard_iteratorISK_EEEEENSM_IJSG_SG_EEES6_PlJS6_EEE10hipError_tPvRmT3_T4_T5_T6_T7_T9_mT8_P12ihipStream_tbDpT10_ENKUlT_T0_E_clISt17integral_constantIbLb1EES1B_EEDaS16_S17_EUlS16_E_NS1_11comp_targetILNS1_3genE10ELNS1_11target_archE1200ELNS1_3gpuE4ELNS1_3repE0EEENS1_30default_config_static_selectorELNS0_4arch9wavefront6targetE1EEEvT1_,comdat
	.protected	_ZN7rocprim17ROCPRIM_400000_NS6detail17trampoline_kernelINS0_14default_configENS1_25partition_config_selectorILNS1_17partition_subalgoE1EyNS0_10empty_typeEbEEZZNS1_14partition_implILS5_1ELb0ES3_jN6thrust23THRUST_200600_302600_NS6detail15normal_iteratorINSA_10device_ptrIyEEEEPS6_NSA_18transform_iteratorI7is_evenIyESF_NSA_11use_defaultESK_EENS0_5tupleIJSF_NSA_16discard_iteratorISK_EEEEENSM_IJSG_SG_EEES6_PlJS6_EEE10hipError_tPvRmT3_T4_T5_T6_T7_T9_mT8_P12ihipStream_tbDpT10_ENKUlT_T0_E_clISt17integral_constantIbLb1EES1B_EEDaS16_S17_EUlS16_E_NS1_11comp_targetILNS1_3genE10ELNS1_11target_archE1200ELNS1_3gpuE4ELNS1_3repE0EEENS1_30default_config_static_selectorELNS0_4arch9wavefront6targetE1EEEvT1_ ; -- Begin function _ZN7rocprim17ROCPRIM_400000_NS6detail17trampoline_kernelINS0_14default_configENS1_25partition_config_selectorILNS1_17partition_subalgoE1EyNS0_10empty_typeEbEEZZNS1_14partition_implILS5_1ELb0ES3_jN6thrust23THRUST_200600_302600_NS6detail15normal_iteratorINSA_10device_ptrIyEEEEPS6_NSA_18transform_iteratorI7is_evenIyESF_NSA_11use_defaultESK_EENS0_5tupleIJSF_NSA_16discard_iteratorISK_EEEEENSM_IJSG_SG_EEES6_PlJS6_EEE10hipError_tPvRmT3_T4_T5_T6_T7_T9_mT8_P12ihipStream_tbDpT10_ENKUlT_T0_E_clISt17integral_constantIbLb1EES1B_EEDaS16_S17_EUlS16_E_NS1_11comp_targetILNS1_3genE10ELNS1_11target_archE1200ELNS1_3gpuE4ELNS1_3repE0EEENS1_30default_config_static_selectorELNS0_4arch9wavefront6targetE1EEEvT1_
	.globl	_ZN7rocprim17ROCPRIM_400000_NS6detail17trampoline_kernelINS0_14default_configENS1_25partition_config_selectorILNS1_17partition_subalgoE1EyNS0_10empty_typeEbEEZZNS1_14partition_implILS5_1ELb0ES3_jN6thrust23THRUST_200600_302600_NS6detail15normal_iteratorINSA_10device_ptrIyEEEEPS6_NSA_18transform_iteratorI7is_evenIyESF_NSA_11use_defaultESK_EENS0_5tupleIJSF_NSA_16discard_iteratorISK_EEEEENSM_IJSG_SG_EEES6_PlJS6_EEE10hipError_tPvRmT3_T4_T5_T6_T7_T9_mT8_P12ihipStream_tbDpT10_ENKUlT_T0_E_clISt17integral_constantIbLb1EES1B_EEDaS16_S17_EUlS16_E_NS1_11comp_targetILNS1_3genE10ELNS1_11target_archE1200ELNS1_3gpuE4ELNS1_3repE0EEENS1_30default_config_static_selectorELNS0_4arch9wavefront6targetE1EEEvT1_
	.p2align	8
	.type	_ZN7rocprim17ROCPRIM_400000_NS6detail17trampoline_kernelINS0_14default_configENS1_25partition_config_selectorILNS1_17partition_subalgoE1EyNS0_10empty_typeEbEEZZNS1_14partition_implILS5_1ELb0ES3_jN6thrust23THRUST_200600_302600_NS6detail15normal_iteratorINSA_10device_ptrIyEEEEPS6_NSA_18transform_iteratorI7is_evenIyESF_NSA_11use_defaultESK_EENS0_5tupleIJSF_NSA_16discard_iteratorISK_EEEEENSM_IJSG_SG_EEES6_PlJS6_EEE10hipError_tPvRmT3_T4_T5_T6_T7_T9_mT8_P12ihipStream_tbDpT10_ENKUlT_T0_E_clISt17integral_constantIbLb1EES1B_EEDaS16_S17_EUlS16_E_NS1_11comp_targetILNS1_3genE10ELNS1_11target_archE1200ELNS1_3gpuE4ELNS1_3repE0EEENS1_30default_config_static_selectorELNS0_4arch9wavefront6targetE1EEEvT1_,@function
_ZN7rocprim17ROCPRIM_400000_NS6detail17trampoline_kernelINS0_14default_configENS1_25partition_config_selectorILNS1_17partition_subalgoE1EyNS0_10empty_typeEbEEZZNS1_14partition_implILS5_1ELb0ES3_jN6thrust23THRUST_200600_302600_NS6detail15normal_iteratorINSA_10device_ptrIyEEEEPS6_NSA_18transform_iteratorI7is_evenIyESF_NSA_11use_defaultESK_EENS0_5tupleIJSF_NSA_16discard_iteratorISK_EEEEENSM_IJSG_SG_EEES6_PlJS6_EEE10hipError_tPvRmT3_T4_T5_T6_T7_T9_mT8_P12ihipStream_tbDpT10_ENKUlT_T0_E_clISt17integral_constantIbLb1EES1B_EEDaS16_S17_EUlS16_E_NS1_11comp_targetILNS1_3genE10ELNS1_11target_archE1200ELNS1_3gpuE4ELNS1_3repE0EEENS1_30default_config_static_selectorELNS0_4arch9wavefront6targetE1EEEvT1_: ; @_ZN7rocprim17ROCPRIM_400000_NS6detail17trampoline_kernelINS0_14default_configENS1_25partition_config_selectorILNS1_17partition_subalgoE1EyNS0_10empty_typeEbEEZZNS1_14partition_implILS5_1ELb0ES3_jN6thrust23THRUST_200600_302600_NS6detail15normal_iteratorINSA_10device_ptrIyEEEEPS6_NSA_18transform_iteratorI7is_evenIyESF_NSA_11use_defaultESK_EENS0_5tupleIJSF_NSA_16discard_iteratorISK_EEEEENSM_IJSG_SG_EEES6_PlJS6_EEE10hipError_tPvRmT3_T4_T5_T6_T7_T9_mT8_P12ihipStream_tbDpT10_ENKUlT_T0_E_clISt17integral_constantIbLb1EES1B_EEDaS16_S17_EUlS16_E_NS1_11comp_targetILNS1_3genE10ELNS1_11target_archE1200ELNS1_3gpuE4ELNS1_3repE0EEENS1_30default_config_static_selectorELNS0_4arch9wavefront6targetE1EEEvT1_
; %bb.0:
	.section	.rodata,"a",@progbits
	.p2align	6, 0x0
	.amdhsa_kernel _ZN7rocprim17ROCPRIM_400000_NS6detail17trampoline_kernelINS0_14default_configENS1_25partition_config_selectorILNS1_17partition_subalgoE1EyNS0_10empty_typeEbEEZZNS1_14partition_implILS5_1ELb0ES3_jN6thrust23THRUST_200600_302600_NS6detail15normal_iteratorINSA_10device_ptrIyEEEEPS6_NSA_18transform_iteratorI7is_evenIyESF_NSA_11use_defaultESK_EENS0_5tupleIJSF_NSA_16discard_iteratorISK_EEEEENSM_IJSG_SG_EEES6_PlJS6_EEE10hipError_tPvRmT3_T4_T5_T6_T7_T9_mT8_P12ihipStream_tbDpT10_ENKUlT_T0_E_clISt17integral_constantIbLb1EES1B_EEDaS16_S17_EUlS16_E_NS1_11comp_targetILNS1_3genE10ELNS1_11target_archE1200ELNS1_3gpuE4ELNS1_3repE0EEENS1_30default_config_static_selectorELNS0_4arch9wavefront6targetE1EEEvT1_
		.amdhsa_group_segment_fixed_size 0
		.amdhsa_private_segment_fixed_size 0
		.amdhsa_kernarg_size 152
		.amdhsa_user_sgpr_count 6
		.amdhsa_user_sgpr_private_segment_buffer 1
		.amdhsa_user_sgpr_dispatch_ptr 0
		.amdhsa_user_sgpr_queue_ptr 0
		.amdhsa_user_sgpr_kernarg_segment_ptr 1
		.amdhsa_user_sgpr_dispatch_id 0
		.amdhsa_user_sgpr_flat_scratch_init 0
		.amdhsa_user_sgpr_kernarg_preload_length 0
		.amdhsa_user_sgpr_kernarg_preload_offset 0
		.amdhsa_user_sgpr_private_segment_size 0
		.amdhsa_uses_dynamic_stack 0
		.amdhsa_system_sgpr_private_segment_wavefront_offset 0
		.amdhsa_system_sgpr_workgroup_id_x 1
		.amdhsa_system_sgpr_workgroup_id_y 0
		.amdhsa_system_sgpr_workgroup_id_z 0
		.amdhsa_system_sgpr_workgroup_info 0
		.amdhsa_system_vgpr_workitem_id 0
		.amdhsa_next_free_vgpr 1
		.amdhsa_next_free_sgpr 0
		.amdhsa_accum_offset 4
		.amdhsa_reserve_vcc 0
		.amdhsa_reserve_flat_scratch 0
		.amdhsa_float_round_mode_32 0
		.amdhsa_float_round_mode_16_64 0
		.amdhsa_float_denorm_mode_32 3
		.amdhsa_float_denorm_mode_16_64 3
		.amdhsa_dx10_clamp 1
		.amdhsa_ieee_mode 1
		.amdhsa_fp16_overflow 0
		.amdhsa_tg_split 0
		.amdhsa_exception_fp_ieee_invalid_op 0
		.amdhsa_exception_fp_denorm_src 0
		.amdhsa_exception_fp_ieee_div_zero 0
		.amdhsa_exception_fp_ieee_overflow 0
		.amdhsa_exception_fp_ieee_underflow 0
		.amdhsa_exception_fp_ieee_inexact 0
		.amdhsa_exception_int_div_zero 0
	.end_amdhsa_kernel
	.section	.text._ZN7rocprim17ROCPRIM_400000_NS6detail17trampoline_kernelINS0_14default_configENS1_25partition_config_selectorILNS1_17partition_subalgoE1EyNS0_10empty_typeEbEEZZNS1_14partition_implILS5_1ELb0ES3_jN6thrust23THRUST_200600_302600_NS6detail15normal_iteratorINSA_10device_ptrIyEEEEPS6_NSA_18transform_iteratorI7is_evenIyESF_NSA_11use_defaultESK_EENS0_5tupleIJSF_NSA_16discard_iteratorISK_EEEEENSM_IJSG_SG_EEES6_PlJS6_EEE10hipError_tPvRmT3_T4_T5_T6_T7_T9_mT8_P12ihipStream_tbDpT10_ENKUlT_T0_E_clISt17integral_constantIbLb1EES1B_EEDaS16_S17_EUlS16_E_NS1_11comp_targetILNS1_3genE10ELNS1_11target_archE1200ELNS1_3gpuE4ELNS1_3repE0EEENS1_30default_config_static_selectorELNS0_4arch9wavefront6targetE1EEEvT1_,"axG",@progbits,_ZN7rocprim17ROCPRIM_400000_NS6detail17trampoline_kernelINS0_14default_configENS1_25partition_config_selectorILNS1_17partition_subalgoE1EyNS0_10empty_typeEbEEZZNS1_14partition_implILS5_1ELb0ES3_jN6thrust23THRUST_200600_302600_NS6detail15normal_iteratorINSA_10device_ptrIyEEEEPS6_NSA_18transform_iteratorI7is_evenIyESF_NSA_11use_defaultESK_EENS0_5tupleIJSF_NSA_16discard_iteratorISK_EEEEENSM_IJSG_SG_EEES6_PlJS6_EEE10hipError_tPvRmT3_T4_T5_T6_T7_T9_mT8_P12ihipStream_tbDpT10_ENKUlT_T0_E_clISt17integral_constantIbLb1EES1B_EEDaS16_S17_EUlS16_E_NS1_11comp_targetILNS1_3genE10ELNS1_11target_archE1200ELNS1_3gpuE4ELNS1_3repE0EEENS1_30default_config_static_selectorELNS0_4arch9wavefront6targetE1EEEvT1_,comdat
.Lfunc_end2920:
	.size	_ZN7rocprim17ROCPRIM_400000_NS6detail17trampoline_kernelINS0_14default_configENS1_25partition_config_selectorILNS1_17partition_subalgoE1EyNS0_10empty_typeEbEEZZNS1_14partition_implILS5_1ELb0ES3_jN6thrust23THRUST_200600_302600_NS6detail15normal_iteratorINSA_10device_ptrIyEEEEPS6_NSA_18transform_iteratorI7is_evenIyESF_NSA_11use_defaultESK_EENS0_5tupleIJSF_NSA_16discard_iteratorISK_EEEEENSM_IJSG_SG_EEES6_PlJS6_EEE10hipError_tPvRmT3_T4_T5_T6_T7_T9_mT8_P12ihipStream_tbDpT10_ENKUlT_T0_E_clISt17integral_constantIbLb1EES1B_EEDaS16_S17_EUlS16_E_NS1_11comp_targetILNS1_3genE10ELNS1_11target_archE1200ELNS1_3gpuE4ELNS1_3repE0EEENS1_30default_config_static_selectorELNS0_4arch9wavefront6targetE1EEEvT1_, .Lfunc_end2920-_ZN7rocprim17ROCPRIM_400000_NS6detail17trampoline_kernelINS0_14default_configENS1_25partition_config_selectorILNS1_17partition_subalgoE1EyNS0_10empty_typeEbEEZZNS1_14partition_implILS5_1ELb0ES3_jN6thrust23THRUST_200600_302600_NS6detail15normal_iteratorINSA_10device_ptrIyEEEEPS6_NSA_18transform_iteratorI7is_evenIyESF_NSA_11use_defaultESK_EENS0_5tupleIJSF_NSA_16discard_iteratorISK_EEEEENSM_IJSG_SG_EEES6_PlJS6_EEE10hipError_tPvRmT3_T4_T5_T6_T7_T9_mT8_P12ihipStream_tbDpT10_ENKUlT_T0_E_clISt17integral_constantIbLb1EES1B_EEDaS16_S17_EUlS16_E_NS1_11comp_targetILNS1_3genE10ELNS1_11target_archE1200ELNS1_3gpuE4ELNS1_3repE0EEENS1_30default_config_static_selectorELNS0_4arch9wavefront6targetE1EEEvT1_
                                        ; -- End function
	.section	.AMDGPU.csdata,"",@progbits
; Kernel info:
; codeLenInByte = 0
; NumSgprs: 4
; NumVgprs: 0
; NumAgprs: 0
; TotalNumVgprs: 0
; ScratchSize: 0
; MemoryBound: 0
; FloatMode: 240
; IeeeMode: 1
; LDSByteSize: 0 bytes/workgroup (compile time only)
; SGPRBlocks: 0
; VGPRBlocks: 0
; NumSGPRsForWavesPerEU: 4
; NumVGPRsForWavesPerEU: 1
; AccumOffset: 4
; Occupancy: 8
; WaveLimiterHint : 0
; COMPUTE_PGM_RSRC2:SCRATCH_EN: 0
; COMPUTE_PGM_RSRC2:USER_SGPR: 6
; COMPUTE_PGM_RSRC2:TRAP_HANDLER: 0
; COMPUTE_PGM_RSRC2:TGID_X_EN: 1
; COMPUTE_PGM_RSRC2:TGID_Y_EN: 0
; COMPUTE_PGM_RSRC2:TGID_Z_EN: 0
; COMPUTE_PGM_RSRC2:TIDIG_COMP_CNT: 0
; COMPUTE_PGM_RSRC3_GFX90A:ACCUM_OFFSET: 0
; COMPUTE_PGM_RSRC3_GFX90A:TG_SPLIT: 0
	.section	.text._ZN7rocprim17ROCPRIM_400000_NS6detail17trampoline_kernelINS0_14default_configENS1_25partition_config_selectorILNS1_17partition_subalgoE1EyNS0_10empty_typeEbEEZZNS1_14partition_implILS5_1ELb0ES3_jN6thrust23THRUST_200600_302600_NS6detail15normal_iteratorINSA_10device_ptrIyEEEEPS6_NSA_18transform_iteratorI7is_evenIyESF_NSA_11use_defaultESK_EENS0_5tupleIJSF_NSA_16discard_iteratorISK_EEEEENSM_IJSG_SG_EEES6_PlJS6_EEE10hipError_tPvRmT3_T4_T5_T6_T7_T9_mT8_P12ihipStream_tbDpT10_ENKUlT_T0_E_clISt17integral_constantIbLb1EES1B_EEDaS16_S17_EUlS16_E_NS1_11comp_targetILNS1_3genE9ELNS1_11target_archE1100ELNS1_3gpuE3ELNS1_3repE0EEENS1_30default_config_static_selectorELNS0_4arch9wavefront6targetE1EEEvT1_,"axG",@progbits,_ZN7rocprim17ROCPRIM_400000_NS6detail17trampoline_kernelINS0_14default_configENS1_25partition_config_selectorILNS1_17partition_subalgoE1EyNS0_10empty_typeEbEEZZNS1_14partition_implILS5_1ELb0ES3_jN6thrust23THRUST_200600_302600_NS6detail15normal_iteratorINSA_10device_ptrIyEEEEPS6_NSA_18transform_iteratorI7is_evenIyESF_NSA_11use_defaultESK_EENS0_5tupleIJSF_NSA_16discard_iteratorISK_EEEEENSM_IJSG_SG_EEES6_PlJS6_EEE10hipError_tPvRmT3_T4_T5_T6_T7_T9_mT8_P12ihipStream_tbDpT10_ENKUlT_T0_E_clISt17integral_constantIbLb1EES1B_EEDaS16_S17_EUlS16_E_NS1_11comp_targetILNS1_3genE9ELNS1_11target_archE1100ELNS1_3gpuE3ELNS1_3repE0EEENS1_30default_config_static_selectorELNS0_4arch9wavefront6targetE1EEEvT1_,comdat
	.protected	_ZN7rocprim17ROCPRIM_400000_NS6detail17trampoline_kernelINS0_14default_configENS1_25partition_config_selectorILNS1_17partition_subalgoE1EyNS0_10empty_typeEbEEZZNS1_14partition_implILS5_1ELb0ES3_jN6thrust23THRUST_200600_302600_NS6detail15normal_iteratorINSA_10device_ptrIyEEEEPS6_NSA_18transform_iteratorI7is_evenIyESF_NSA_11use_defaultESK_EENS0_5tupleIJSF_NSA_16discard_iteratorISK_EEEEENSM_IJSG_SG_EEES6_PlJS6_EEE10hipError_tPvRmT3_T4_T5_T6_T7_T9_mT8_P12ihipStream_tbDpT10_ENKUlT_T0_E_clISt17integral_constantIbLb1EES1B_EEDaS16_S17_EUlS16_E_NS1_11comp_targetILNS1_3genE9ELNS1_11target_archE1100ELNS1_3gpuE3ELNS1_3repE0EEENS1_30default_config_static_selectorELNS0_4arch9wavefront6targetE1EEEvT1_ ; -- Begin function _ZN7rocprim17ROCPRIM_400000_NS6detail17trampoline_kernelINS0_14default_configENS1_25partition_config_selectorILNS1_17partition_subalgoE1EyNS0_10empty_typeEbEEZZNS1_14partition_implILS5_1ELb0ES3_jN6thrust23THRUST_200600_302600_NS6detail15normal_iteratorINSA_10device_ptrIyEEEEPS6_NSA_18transform_iteratorI7is_evenIyESF_NSA_11use_defaultESK_EENS0_5tupleIJSF_NSA_16discard_iteratorISK_EEEEENSM_IJSG_SG_EEES6_PlJS6_EEE10hipError_tPvRmT3_T4_T5_T6_T7_T9_mT8_P12ihipStream_tbDpT10_ENKUlT_T0_E_clISt17integral_constantIbLb1EES1B_EEDaS16_S17_EUlS16_E_NS1_11comp_targetILNS1_3genE9ELNS1_11target_archE1100ELNS1_3gpuE3ELNS1_3repE0EEENS1_30default_config_static_selectorELNS0_4arch9wavefront6targetE1EEEvT1_
	.globl	_ZN7rocprim17ROCPRIM_400000_NS6detail17trampoline_kernelINS0_14default_configENS1_25partition_config_selectorILNS1_17partition_subalgoE1EyNS0_10empty_typeEbEEZZNS1_14partition_implILS5_1ELb0ES3_jN6thrust23THRUST_200600_302600_NS6detail15normal_iteratorINSA_10device_ptrIyEEEEPS6_NSA_18transform_iteratorI7is_evenIyESF_NSA_11use_defaultESK_EENS0_5tupleIJSF_NSA_16discard_iteratorISK_EEEEENSM_IJSG_SG_EEES6_PlJS6_EEE10hipError_tPvRmT3_T4_T5_T6_T7_T9_mT8_P12ihipStream_tbDpT10_ENKUlT_T0_E_clISt17integral_constantIbLb1EES1B_EEDaS16_S17_EUlS16_E_NS1_11comp_targetILNS1_3genE9ELNS1_11target_archE1100ELNS1_3gpuE3ELNS1_3repE0EEENS1_30default_config_static_selectorELNS0_4arch9wavefront6targetE1EEEvT1_
	.p2align	8
	.type	_ZN7rocprim17ROCPRIM_400000_NS6detail17trampoline_kernelINS0_14default_configENS1_25partition_config_selectorILNS1_17partition_subalgoE1EyNS0_10empty_typeEbEEZZNS1_14partition_implILS5_1ELb0ES3_jN6thrust23THRUST_200600_302600_NS6detail15normal_iteratorINSA_10device_ptrIyEEEEPS6_NSA_18transform_iteratorI7is_evenIyESF_NSA_11use_defaultESK_EENS0_5tupleIJSF_NSA_16discard_iteratorISK_EEEEENSM_IJSG_SG_EEES6_PlJS6_EEE10hipError_tPvRmT3_T4_T5_T6_T7_T9_mT8_P12ihipStream_tbDpT10_ENKUlT_T0_E_clISt17integral_constantIbLb1EES1B_EEDaS16_S17_EUlS16_E_NS1_11comp_targetILNS1_3genE9ELNS1_11target_archE1100ELNS1_3gpuE3ELNS1_3repE0EEENS1_30default_config_static_selectorELNS0_4arch9wavefront6targetE1EEEvT1_,@function
_ZN7rocprim17ROCPRIM_400000_NS6detail17trampoline_kernelINS0_14default_configENS1_25partition_config_selectorILNS1_17partition_subalgoE1EyNS0_10empty_typeEbEEZZNS1_14partition_implILS5_1ELb0ES3_jN6thrust23THRUST_200600_302600_NS6detail15normal_iteratorINSA_10device_ptrIyEEEEPS6_NSA_18transform_iteratorI7is_evenIyESF_NSA_11use_defaultESK_EENS0_5tupleIJSF_NSA_16discard_iteratorISK_EEEEENSM_IJSG_SG_EEES6_PlJS6_EEE10hipError_tPvRmT3_T4_T5_T6_T7_T9_mT8_P12ihipStream_tbDpT10_ENKUlT_T0_E_clISt17integral_constantIbLb1EES1B_EEDaS16_S17_EUlS16_E_NS1_11comp_targetILNS1_3genE9ELNS1_11target_archE1100ELNS1_3gpuE3ELNS1_3repE0EEENS1_30default_config_static_selectorELNS0_4arch9wavefront6targetE1EEEvT1_: ; @_ZN7rocprim17ROCPRIM_400000_NS6detail17trampoline_kernelINS0_14default_configENS1_25partition_config_selectorILNS1_17partition_subalgoE1EyNS0_10empty_typeEbEEZZNS1_14partition_implILS5_1ELb0ES3_jN6thrust23THRUST_200600_302600_NS6detail15normal_iteratorINSA_10device_ptrIyEEEEPS6_NSA_18transform_iteratorI7is_evenIyESF_NSA_11use_defaultESK_EENS0_5tupleIJSF_NSA_16discard_iteratorISK_EEEEENSM_IJSG_SG_EEES6_PlJS6_EEE10hipError_tPvRmT3_T4_T5_T6_T7_T9_mT8_P12ihipStream_tbDpT10_ENKUlT_T0_E_clISt17integral_constantIbLb1EES1B_EEDaS16_S17_EUlS16_E_NS1_11comp_targetILNS1_3genE9ELNS1_11target_archE1100ELNS1_3gpuE3ELNS1_3repE0EEENS1_30default_config_static_selectorELNS0_4arch9wavefront6targetE1EEEvT1_
; %bb.0:
	.section	.rodata,"a",@progbits
	.p2align	6, 0x0
	.amdhsa_kernel _ZN7rocprim17ROCPRIM_400000_NS6detail17trampoline_kernelINS0_14default_configENS1_25partition_config_selectorILNS1_17partition_subalgoE1EyNS0_10empty_typeEbEEZZNS1_14partition_implILS5_1ELb0ES3_jN6thrust23THRUST_200600_302600_NS6detail15normal_iteratorINSA_10device_ptrIyEEEEPS6_NSA_18transform_iteratorI7is_evenIyESF_NSA_11use_defaultESK_EENS0_5tupleIJSF_NSA_16discard_iteratorISK_EEEEENSM_IJSG_SG_EEES6_PlJS6_EEE10hipError_tPvRmT3_T4_T5_T6_T7_T9_mT8_P12ihipStream_tbDpT10_ENKUlT_T0_E_clISt17integral_constantIbLb1EES1B_EEDaS16_S17_EUlS16_E_NS1_11comp_targetILNS1_3genE9ELNS1_11target_archE1100ELNS1_3gpuE3ELNS1_3repE0EEENS1_30default_config_static_selectorELNS0_4arch9wavefront6targetE1EEEvT1_
		.amdhsa_group_segment_fixed_size 0
		.amdhsa_private_segment_fixed_size 0
		.amdhsa_kernarg_size 152
		.amdhsa_user_sgpr_count 6
		.amdhsa_user_sgpr_private_segment_buffer 1
		.amdhsa_user_sgpr_dispatch_ptr 0
		.amdhsa_user_sgpr_queue_ptr 0
		.amdhsa_user_sgpr_kernarg_segment_ptr 1
		.amdhsa_user_sgpr_dispatch_id 0
		.amdhsa_user_sgpr_flat_scratch_init 0
		.amdhsa_user_sgpr_kernarg_preload_length 0
		.amdhsa_user_sgpr_kernarg_preload_offset 0
		.amdhsa_user_sgpr_private_segment_size 0
		.amdhsa_uses_dynamic_stack 0
		.amdhsa_system_sgpr_private_segment_wavefront_offset 0
		.amdhsa_system_sgpr_workgroup_id_x 1
		.amdhsa_system_sgpr_workgroup_id_y 0
		.amdhsa_system_sgpr_workgroup_id_z 0
		.amdhsa_system_sgpr_workgroup_info 0
		.amdhsa_system_vgpr_workitem_id 0
		.amdhsa_next_free_vgpr 1
		.amdhsa_next_free_sgpr 0
		.amdhsa_accum_offset 4
		.amdhsa_reserve_vcc 0
		.amdhsa_reserve_flat_scratch 0
		.amdhsa_float_round_mode_32 0
		.amdhsa_float_round_mode_16_64 0
		.amdhsa_float_denorm_mode_32 3
		.amdhsa_float_denorm_mode_16_64 3
		.amdhsa_dx10_clamp 1
		.amdhsa_ieee_mode 1
		.amdhsa_fp16_overflow 0
		.amdhsa_tg_split 0
		.amdhsa_exception_fp_ieee_invalid_op 0
		.amdhsa_exception_fp_denorm_src 0
		.amdhsa_exception_fp_ieee_div_zero 0
		.amdhsa_exception_fp_ieee_overflow 0
		.amdhsa_exception_fp_ieee_underflow 0
		.amdhsa_exception_fp_ieee_inexact 0
		.amdhsa_exception_int_div_zero 0
	.end_amdhsa_kernel
	.section	.text._ZN7rocprim17ROCPRIM_400000_NS6detail17trampoline_kernelINS0_14default_configENS1_25partition_config_selectorILNS1_17partition_subalgoE1EyNS0_10empty_typeEbEEZZNS1_14partition_implILS5_1ELb0ES3_jN6thrust23THRUST_200600_302600_NS6detail15normal_iteratorINSA_10device_ptrIyEEEEPS6_NSA_18transform_iteratorI7is_evenIyESF_NSA_11use_defaultESK_EENS0_5tupleIJSF_NSA_16discard_iteratorISK_EEEEENSM_IJSG_SG_EEES6_PlJS6_EEE10hipError_tPvRmT3_T4_T5_T6_T7_T9_mT8_P12ihipStream_tbDpT10_ENKUlT_T0_E_clISt17integral_constantIbLb1EES1B_EEDaS16_S17_EUlS16_E_NS1_11comp_targetILNS1_3genE9ELNS1_11target_archE1100ELNS1_3gpuE3ELNS1_3repE0EEENS1_30default_config_static_selectorELNS0_4arch9wavefront6targetE1EEEvT1_,"axG",@progbits,_ZN7rocprim17ROCPRIM_400000_NS6detail17trampoline_kernelINS0_14default_configENS1_25partition_config_selectorILNS1_17partition_subalgoE1EyNS0_10empty_typeEbEEZZNS1_14partition_implILS5_1ELb0ES3_jN6thrust23THRUST_200600_302600_NS6detail15normal_iteratorINSA_10device_ptrIyEEEEPS6_NSA_18transform_iteratorI7is_evenIyESF_NSA_11use_defaultESK_EENS0_5tupleIJSF_NSA_16discard_iteratorISK_EEEEENSM_IJSG_SG_EEES6_PlJS6_EEE10hipError_tPvRmT3_T4_T5_T6_T7_T9_mT8_P12ihipStream_tbDpT10_ENKUlT_T0_E_clISt17integral_constantIbLb1EES1B_EEDaS16_S17_EUlS16_E_NS1_11comp_targetILNS1_3genE9ELNS1_11target_archE1100ELNS1_3gpuE3ELNS1_3repE0EEENS1_30default_config_static_selectorELNS0_4arch9wavefront6targetE1EEEvT1_,comdat
.Lfunc_end2921:
	.size	_ZN7rocprim17ROCPRIM_400000_NS6detail17trampoline_kernelINS0_14default_configENS1_25partition_config_selectorILNS1_17partition_subalgoE1EyNS0_10empty_typeEbEEZZNS1_14partition_implILS5_1ELb0ES3_jN6thrust23THRUST_200600_302600_NS6detail15normal_iteratorINSA_10device_ptrIyEEEEPS6_NSA_18transform_iteratorI7is_evenIyESF_NSA_11use_defaultESK_EENS0_5tupleIJSF_NSA_16discard_iteratorISK_EEEEENSM_IJSG_SG_EEES6_PlJS6_EEE10hipError_tPvRmT3_T4_T5_T6_T7_T9_mT8_P12ihipStream_tbDpT10_ENKUlT_T0_E_clISt17integral_constantIbLb1EES1B_EEDaS16_S17_EUlS16_E_NS1_11comp_targetILNS1_3genE9ELNS1_11target_archE1100ELNS1_3gpuE3ELNS1_3repE0EEENS1_30default_config_static_selectorELNS0_4arch9wavefront6targetE1EEEvT1_, .Lfunc_end2921-_ZN7rocprim17ROCPRIM_400000_NS6detail17trampoline_kernelINS0_14default_configENS1_25partition_config_selectorILNS1_17partition_subalgoE1EyNS0_10empty_typeEbEEZZNS1_14partition_implILS5_1ELb0ES3_jN6thrust23THRUST_200600_302600_NS6detail15normal_iteratorINSA_10device_ptrIyEEEEPS6_NSA_18transform_iteratorI7is_evenIyESF_NSA_11use_defaultESK_EENS0_5tupleIJSF_NSA_16discard_iteratorISK_EEEEENSM_IJSG_SG_EEES6_PlJS6_EEE10hipError_tPvRmT3_T4_T5_T6_T7_T9_mT8_P12ihipStream_tbDpT10_ENKUlT_T0_E_clISt17integral_constantIbLb1EES1B_EEDaS16_S17_EUlS16_E_NS1_11comp_targetILNS1_3genE9ELNS1_11target_archE1100ELNS1_3gpuE3ELNS1_3repE0EEENS1_30default_config_static_selectorELNS0_4arch9wavefront6targetE1EEEvT1_
                                        ; -- End function
	.section	.AMDGPU.csdata,"",@progbits
; Kernel info:
; codeLenInByte = 0
; NumSgprs: 4
; NumVgprs: 0
; NumAgprs: 0
; TotalNumVgprs: 0
; ScratchSize: 0
; MemoryBound: 0
; FloatMode: 240
; IeeeMode: 1
; LDSByteSize: 0 bytes/workgroup (compile time only)
; SGPRBlocks: 0
; VGPRBlocks: 0
; NumSGPRsForWavesPerEU: 4
; NumVGPRsForWavesPerEU: 1
; AccumOffset: 4
; Occupancy: 8
; WaveLimiterHint : 0
; COMPUTE_PGM_RSRC2:SCRATCH_EN: 0
; COMPUTE_PGM_RSRC2:USER_SGPR: 6
; COMPUTE_PGM_RSRC2:TRAP_HANDLER: 0
; COMPUTE_PGM_RSRC2:TGID_X_EN: 1
; COMPUTE_PGM_RSRC2:TGID_Y_EN: 0
; COMPUTE_PGM_RSRC2:TGID_Z_EN: 0
; COMPUTE_PGM_RSRC2:TIDIG_COMP_CNT: 0
; COMPUTE_PGM_RSRC3_GFX90A:ACCUM_OFFSET: 0
; COMPUTE_PGM_RSRC3_GFX90A:TG_SPLIT: 0
	.section	.text._ZN7rocprim17ROCPRIM_400000_NS6detail17trampoline_kernelINS0_14default_configENS1_25partition_config_selectorILNS1_17partition_subalgoE1EyNS0_10empty_typeEbEEZZNS1_14partition_implILS5_1ELb0ES3_jN6thrust23THRUST_200600_302600_NS6detail15normal_iteratorINSA_10device_ptrIyEEEEPS6_NSA_18transform_iteratorI7is_evenIyESF_NSA_11use_defaultESK_EENS0_5tupleIJSF_NSA_16discard_iteratorISK_EEEEENSM_IJSG_SG_EEES6_PlJS6_EEE10hipError_tPvRmT3_T4_T5_T6_T7_T9_mT8_P12ihipStream_tbDpT10_ENKUlT_T0_E_clISt17integral_constantIbLb1EES1B_EEDaS16_S17_EUlS16_E_NS1_11comp_targetILNS1_3genE8ELNS1_11target_archE1030ELNS1_3gpuE2ELNS1_3repE0EEENS1_30default_config_static_selectorELNS0_4arch9wavefront6targetE1EEEvT1_,"axG",@progbits,_ZN7rocprim17ROCPRIM_400000_NS6detail17trampoline_kernelINS0_14default_configENS1_25partition_config_selectorILNS1_17partition_subalgoE1EyNS0_10empty_typeEbEEZZNS1_14partition_implILS5_1ELb0ES3_jN6thrust23THRUST_200600_302600_NS6detail15normal_iteratorINSA_10device_ptrIyEEEEPS6_NSA_18transform_iteratorI7is_evenIyESF_NSA_11use_defaultESK_EENS0_5tupleIJSF_NSA_16discard_iteratorISK_EEEEENSM_IJSG_SG_EEES6_PlJS6_EEE10hipError_tPvRmT3_T4_T5_T6_T7_T9_mT8_P12ihipStream_tbDpT10_ENKUlT_T0_E_clISt17integral_constantIbLb1EES1B_EEDaS16_S17_EUlS16_E_NS1_11comp_targetILNS1_3genE8ELNS1_11target_archE1030ELNS1_3gpuE2ELNS1_3repE0EEENS1_30default_config_static_selectorELNS0_4arch9wavefront6targetE1EEEvT1_,comdat
	.protected	_ZN7rocprim17ROCPRIM_400000_NS6detail17trampoline_kernelINS0_14default_configENS1_25partition_config_selectorILNS1_17partition_subalgoE1EyNS0_10empty_typeEbEEZZNS1_14partition_implILS5_1ELb0ES3_jN6thrust23THRUST_200600_302600_NS6detail15normal_iteratorINSA_10device_ptrIyEEEEPS6_NSA_18transform_iteratorI7is_evenIyESF_NSA_11use_defaultESK_EENS0_5tupleIJSF_NSA_16discard_iteratorISK_EEEEENSM_IJSG_SG_EEES6_PlJS6_EEE10hipError_tPvRmT3_T4_T5_T6_T7_T9_mT8_P12ihipStream_tbDpT10_ENKUlT_T0_E_clISt17integral_constantIbLb1EES1B_EEDaS16_S17_EUlS16_E_NS1_11comp_targetILNS1_3genE8ELNS1_11target_archE1030ELNS1_3gpuE2ELNS1_3repE0EEENS1_30default_config_static_selectorELNS0_4arch9wavefront6targetE1EEEvT1_ ; -- Begin function _ZN7rocprim17ROCPRIM_400000_NS6detail17trampoline_kernelINS0_14default_configENS1_25partition_config_selectorILNS1_17partition_subalgoE1EyNS0_10empty_typeEbEEZZNS1_14partition_implILS5_1ELb0ES3_jN6thrust23THRUST_200600_302600_NS6detail15normal_iteratorINSA_10device_ptrIyEEEEPS6_NSA_18transform_iteratorI7is_evenIyESF_NSA_11use_defaultESK_EENS0_5tupleIJSF_NSA_16discard_iteratorISK_EEEEENSM_IJSG_SG_EEES6_PlJS6_EEE10hipError_tPvRmT3_T4_T5_T6_T7_T9_mT8_P12ihipStream_tbDpT10_ENKUlT_T0_E_clISt17integral_constantIbLb1EES1B_EEDaS16_S17_EUlS16_E_NS1_11comp_targetILNS1_3genE8ELNS1_11target_archE1030ELNS1_3gpuE2ELNS1_3repE0EEENS1_30default_config_static_selectorELNS0_4arch9wavefront6targetE1EEEvT1_
	.globl	_ZN7rocprim17ROCPRIM_400000_NS6detail17trampoline_kernelINS0_14default_configENS1_25partition_config_selectorILNS1_17partition_subalgoE1EyNS0_10empty_typeEbEEZZNS1_14partition_implILS5_1ELb0ES3_jN6thrust23THRUST_200600_302600_NS6detail15normal_iteratorINSA_10device_ptrIyEEEEPS6_NSA_18transform_iteratorI7is_evenIyESF_NSA_11use_defaultESK_EENS0_5tupleIJSF_NSA_16discard_iteratorISK_EEEEENSM_IJSG_SG_EEES6_PlJS6_EEE10hipError_tPvRmT3_T4_T5_T6_T7_T9_mT8_P12ihipStream_tbDpT10_ENKUlT_T0_E_clISt17integral_constantIbLb1EES1B_EEDaS16_S17_EUlS16_E_NS1_11comp_targetILNS1_3genE8ELNS1_11target_archE1030ELNS1_3gpuE2ELNS1_3repE0EEENS1_30default_config_static_selectorELNS0_4arch9wavefront6targetE1EEEvT1_
	.p2align	8
	.type	_ZN7rocprim17ROCPRIM_400000_NS6detail17trampoline_kernelINS0_14default_configENS1_25partition_config_selectorILNS1_17partition_subalgoE1EyNS0_10empty_typeEbEEZZNS1_14partition_implILS5_1ELb0ES3_jN6thrust23THRUST_200600_302600_NS6detail15normal_iteratorINSA_10device_ptrIyEEEEPS6_NSA_18transform_iteratorI7is_evenIyESF_NSA_11use_defaultESK_EENS0_5tupleIJSF_NSA_16discard_iteratorISK_EEEEENSM_IJSG_SG_EEES6_PlJS6_EEE10hipError_tPvRmT3_T4_T5_T6_T7_T9_mT8_P12ihipStream_tbDpT10_ENKUlT_T0_E_clISt17integral_constantIbLb1EES1B_EEDaS16_S17_EUlS16_E_NS1_11comp_targetILNS1_3genE8ELNS1_11target_archE1030ELNS1_3gpuE2ELNS1_3repE0EEENS1_30default_config_static_selectorELNS0_4arch9wavefront6targetE1EEEvT1_,@function
_ZN7rocprim17ROCPRIM_400000_NS6detail17trampoline_kernelINS0_14default_configENS1_25partition_config_selectorILNS1_17partition_subalgoE1EyNS0_10empty_typeEbEEZZNS1_14partition_implILS5_1ELb0ES3_jN6thrust23THRUST_200600_302600_NS6detail15normal_iteratorINSA_10device_ptrIyEEEEPS6_NSA_18transform_iteratorI7is_evenIyESF_NSA_11use_defaultESK_EENS0_5tupleIJSF_NSA_16discard_iteratorISK_EEEEENSM_IJSG_SG_EEES6_PlJS6_EEE10hipError_tPvRmT3_T4_T5_T6_T7_T9_mT8_P12ihipStream_tbDpT10_ENKUlT_T0_E_clISt17integral_constantIbLb1EES1B_EEDaS16_S17_EUlS16_E_NS1_11comp_targetILNS1_3genE8ELNS1_11target_archE1030ELNS1_3gpuE2ELNS1_3repE0EEENS1_30default_config_static_selectorELNS0_4arch9wavefront6targetE1EEEvT1_: ; @_ZN7rocprim17ROCPRIM_400000_NS6detail17trampoline_kernelINS0_14default_configENS1_25partition_config_selectorILNS1_17partition_subalgoE1EyNS0_10empty_typeEbEEZZNS1_14partition_implILS5_1ELb0ES3_jN6thrust23THRUST_200600_302600_NS6detail15normal_iteratorINSA_10device_ptrIyEEEEPS6_NSA_18transform_iteratorI7is_evenIyESF_NSA_11use_defaultESK_EENS0_5tupleIJSF_NSA_16discard_iteratorISK_EEEEENSM_IJSG_SG_EEES6_PlJS6_EEE10hipError_tPvRmT3_T4_T5_T6_T7_T9_mT8_P12ihipStream_tbDpT10_ENKUlT_T0_E_clISt17integral_constantIbLb1EES1B_EEDaS16_S17_EUlS16_E_NS1_11comp_targetILNS1_3genE8ELNS1_11target_archE1030ELNS1_3gpuE2ELNS1_3repE0EEENS1_30default_config_static_selectorELNS0_4arch9wavefront6targetE1EEEvT1_
; %bb.0:
	.section	.rodata,"a",@progbits
	.p2align	6, 0x0
	.amdhsa_kernel _ZN7rocprim17ROCPRIM_400000_NS6detail17trampoline_kernelINS0_14default_configENS1_25partition_config_selectorILNS1_17partition_subalgoE1EyNS0_10empty_typeEbEEZZNS1_14partition_implILS5_1ELb0ES3_jN6thrust23THRUST_200600_302600_NS6detail15normal_iteratorINSA_10device_ptrIyEEEEPS6_NSA_18transform_iteratorI7is_evenIyESF_NSA_11use_defaultESK_EENS0_5tupleIJSF_NSA_16discard_iteratorISK_EEEEENSM_IJSG_SG_EEES6_PlJS6_EEE10hipError_tPvRmT3_T4_T5_T6_T7_T9_mT8_P12ihipStream_tbDpT10_ENKUlT_T0_E_clISt17integral_constantIbLb1EES1B_EEDaS16_S17_EUlS16_E_NS1_11comp_targetILNS1_3genE8ELNS1_11target_archE1030ELNS1_3gpuE2ELNS1_3repE0EEENS1_30default_config_static_selectorELNS0_4arch9wavefront6targetE1EEEvT1_
		.amdhsa_group_segment_fixed_size 0
		.amdhsa_private_segment_fixed_size 0
		.amdhsa_kernarg_size 152
		.amdhsa_user_sgpr_count 6
		.amdhsa_user_sgpr_private_segment_buffer 1
		.amdhsa_user_sgpr_dispatch_ptr 0
		.amdhsa_user_sgpr_queue_ptr 0
		.amdhsa_user_sgpr_kernarg_segment_ptr 1
		.amdhsa_user_sgpr_dispatch_id 0
		.amdhsa_user_sgpr_flat_scratch_init 0
		.amdhsa_user_sgpr_kernarg_preload_length 0
		.amdhsa_user_sgpr_kernarg_preload_offset 0
		.amdhsa_user_sgpr_private_segment_size 0
		.amdhsa_uses_dynamic_stack 0
		.amdhsa_system_sgpr_private_segment_wavefront_offset 0
		.amdhsa_system_sgpr_workgroup_id_x 1
		.amdhsa_system_sgpr_workgroup_id_y 0
		.amdhsa_system_sgpr_workgroup_id_z 0
		.amdhsa_system_sgpr_workgroup_info 0
		.amdhsa_system_vgpr_workitem_id 0
		.amdhsa_next_free_vgpr 1
		.amdhsa_next_free_sgpr 0
		.amdhsa_accum_offset 4
		.amdhsa_reserve_vcc 0
		.amdhsa_reserve_flat_scratch 0
		.amdhsa_float_round_mode_32 0
		.amdhsa_float_round_mode_16_64 0
		.amdhsa_float_denorm_mode_32 3
		.amdhsa_float_denorm_mode_16_64 3
		.amdhsa_dx10_clamp 1
		.amdhsa_ieee_mode 1
		.amdhsa_fp16_overflow 0
		.amdhsa_tg_split 0
		.amdhsa_exception_fp_ieee_invalid_op 0
		.amdhsa_exception_fp_denorm_src 0
		.amdhsa_exception_fp_ieee_div_zero 0
		.amdhsa_exception_fp_ieee_overflow 0
		.amdhsa_exception_fp_ieee_underflow 0
		.amdhsa_exception_fp_ieee_inexact 0
		.amdhsa_exception_int_div_zero 0
	.end_amdhsa_kernel
	.section	.text._ZN7rocprim17ROCPRIM_400000_NS6detail17trampoline_kernelINS0_14default_configENS1_25partition_config_selectorILNS1_17partition_subalgoE1EyNS0_10empty_typeEbEEZZNS1_14partition_implILS5_1ELb0ES3_jN6thrust23THRUST_200600_302600_NS6detail15normal_iteratorINSA_10device_ptrIyEEEEPS6_NSA_18transform_iteratorI7is_evenIyESF_NSA_11use_defaultESK_EENS0_5tupleIJSF_NSA_16discard_iteratorISK_EEEEENSM_IJSG_SG_EEES6_PlJS6_EEE10hipError_tPvRmT3_T4_T5_T6_T7_T9_mT8_P12ihipStream_tbDpT10_ENKUlT_T0_E_clISt17integral_constantIbLb1EES1B_EEDaS16_S17_EUlS16_E_NS1_11comp_targetILNS1_3genE8ELNS1_11target_archE1030ELNS1_3gpuE2ELNS1_3repE0EEENS1_30default_config_static_selectorELNS0_4arch9wavefront6targetE1EEEvT1_,"axG",@progbits,_ZN7rocprim17ROCPRIM_400000_NS6detail17trampoline_kernelINS0_14default_configENS1_25partition_config_selectorILNS1_17partition_subalgoE1EyNS0_10empty_typeEbEEZZNS1_14partition_implILS5_1ELb0ES3_jN6thrust23THRUST_200600_302600_NS6detail15normal_iteratorINSA_10device_ptrIyEEEEPS6_NSA_18transform_iteratorI7is_evenIyESF_NSA_11use_defaultESK_EENS0_5tupleIJSF_NSA_16discard_iteratorISK_EEEEENSM_IJSG_SG_EEES6_PlJS6_EEE10hipError_tPvRmT3_T4_T5_T6_T7_T9_mT8_P12ihipStream_tbDpT10_ENKUlT_T0_E_clISt17integral_constantIbLb1EES1B_EEDaS16_S17_EUlS16_E_NS1_11comp_targetILNS1_3genE8ELNS1_11target_archE1030ELNS1_3gpuE2ELNS1_3repE0EEENS1_30default_config_static_selectorELNS0_4arch9wavefront6targetE1EEEvT1_,comdat
.Lfunc_end2922:
	.size	_ZN7rocprim17ROCPRIM_400000_NS6detail17trampoline_kernelINS0_14default_configENS1_25partition_config_selectorILNS1_17partition_subalgoE1EyNS0_10empty_typeEbEEZZNS1_14partition_implILS5_1ELb0ES3_jN6thrust23THRUST_200600_302600_NS6detail15normal_iteratorINSA_10device_ptrIyEEEEPS6_NSA_18transform_iteratorI7is_evenIyESF_NSA_11use_defaultESK_EENS0_5tupleIJSF_NSA_16discard_iteratorISK_EEEEENSM_IJSG_SG_EEES6_PlJS6_EEE10hipError_tPvRmT3_T4_T5_T6_T7_T9_mT8_P12ihipStream_tbDpT10_ENKUlT_T0_E_clISt17integral_constantIbLb1EES1B_EEDaS16_S17_EUlS16_E_NS1_11comp_targetILNS1_3genE8ELNS1_11target_archE1030ELNS1_3gpuE2ELNS1_3repE0EEENS1_30default_config_static_selectorELNS0_4arch9wavefront6targetE1EEEvT1_, .Lfunc_end2922-_ZN7rocprim17ROCPRIM_400000_NS6detail17trampoline_kernelINS0_14default_configENS1_25partition_config_selectorILNS1_17partition_subalgoE1EyNS0_10empty_typeEbEEZZNS1_14partition_implILS5_1ELb0ES3_jN6thrust23THRUST_200600_302600_NS6detail15normal_iteratorINSA_10device_ptrIyEEEEPS6_NSA_18transform_iteratorI7is_evenIyESF_NSA_11use_defaultESK_EENS0_5tupleIJSF_NSA_16discard_iteratorISK_EEEEENSM_IJSG_SG_EEES6_PlJS6_EEE10hipError_tPvRmT3_T4_T5_T6_T7_T9_mT8_P12ihipStream_tbDpT10_ENKUlT_T0_E_clISt17integral_constantIbLb1EES1B_EEDaS16_S17_EUlS16_E_NS1_11comp_targetILNS1_3genE8ELNS1_11target_archE1030ELNS1_3gpuE2ELNS1_3repE0EEENS1_30default_config_static_selectorELNS0_4arch9wavefront6targetE1EEEvT1_
                                        ; -- End function
	.section	.AMDGPU.csdata,"",@progbits
; Kernel info:
; codeLenInByte = 0
; NumSgprs: 4
; NumVgprs: 0
; NumAgprs: 0
; TotalNumVgprs: 0
; ScratchSize: 0
; MemoryBound: 0
; FloatMode: 240
; IeeeMode: 1
; LDSByteSize: 0 bytes/workgroup (compile time only)
; SGPRBlocks: 0
; VGPRBlocks: 0
; NumSGPRsForWavesPerEU: 4
; NumVGPRsForWavesPerEU: 1
; AccumOffset: 4
; Occupancy: 8
; WaveLimiterHint : 0
; COMPUTE_PGM_RSRC2:SCRATCH_EN: 0
; COMPUTE_PGM_RSRC2:USER_SGPR: 6
; COMPUTE_PGM_RSRC2:TRAP_HANDLER: 0
; COMPUTE_PGM_RSRC2:TGID_X_EN: 1
; COMPUTE_PGM_RSRC2:TGID_Y_EN: 0
; COMPUTE_PGM_RSRC2:TGID_Z_EN: 0
; COMPUTE_PGM_RSRC2:TIDIG_COMP_CNT: 0
; COMPUTE_PGM_RSRC3_GFX90A:ACCUM_OFFSET: 0
; COMPUTE_PGM_RSRC3_GFX90A:TG_SPLIT: 0
	.section	.text._ZN7rocprim17ROCPRIM_400000_NS6detail17trampoline_kernelINS0_14default_configENS1_25partition_config_selectorILNS1_17partition_subalgoE1EyNS0_10empty_typeEbEEZZNS1_14partition_implILS5_1ELb0ES3_jN6thrust23THRUST_200600_302600_NS6detail15normal_iteratorINSA_10device_ptrIyEEEEPS6_NSA_18transform_iteratorI7is_evenIyESF_NSA_11use_defaultESK_EENS0_5tupleIJSF_NSA_16discard_iteratorISK_EEEEENSM_IJSG_SG_EEES6_PlJS6_EEE10hipError_tPvRmT3_T4_T5_T6_T7_T9_mT8_P12ihipStream_tbDpT10_ENKUlT_T0_E_clISt17integral_constantIbLb1EES1A_IbLb0EEEEDaS16_S17_EUlS16_E_NS1_11comp_targetILNS1_3genE0ELNS1_11target_archE4294967295ELNS1_3gpuE0ELNS1_3repE0EEENS1_30default_config_static_selectorELNS0_4arch9wavefront6targetE1EEEvT1_,"axG",@progbits,_ZN7rocprim17ROCPRIM_400000_NS6detail17trampoline_kernelINS0_14default_configENS1_25partition_config_selectorILNS1_17partition_subalgoE1EyNS0_10empty_typeEbEEZZNS1_14partition_implILS5_1ELb0ES3_jN6thrust23THRUST_200600_302600_NS6detail15normal_iteratorINSA_10device_ptrIyEEEEPS6_NSA_18transform_iteratorI7is_evenIyESF_NSA_11use_defaultESK_EENS0_5tupleIJSF_NSA_16discard_iteratorISK_EEEEENSM_IJSG_SG_EEES6_PlJS6_EEE10hipError_tPvRmT3_T4_T5_T6_T7_T9_mT8_P12ihipStream_tbDpT10_ENKUlT_T0_E_clISt17integral_constantIbLb1EES1A_IbLb0EEEEDaS16_S17_EUlS16_E_NS1_11comp_targetILNS1_3genE0ELNS1_11target_archE4294967295ELNS1_3gpuE0ELNS1_3repE0EEENS1_30default_config_static_selectorELNS0_4arch9wavefront6targetE1EEEvT1_,comdat
	.protected	_ZN7rocprim17ROCPRIM_400000_NS6detail17trampoline_kernelINS0_14default_configENS1_25partition_config_selectorILNS1_17partition_subalgoE1EyNS0_10empty_typeEbEEZZNS1_14partition_implILS5_1ELb0ES3_jN6thrust23THRUST_200600_302600_NS6detail15normal_iteratorINSA_10device_ptrIyEEEEPS6_NSA_18transform_iteratorI7is_evenIyESF_NSA_11use_defaultESK_EENS0_5tupleIJSF_NSA_16discard_iteratorISK_EEEEENSM_IJSG_SG_EEES6_PlJS6_EEE10hipError_tPvRmT3_T4_T5_T6_T7_T9_mT8_P12ihipStream_tbDpT10_ENKUlT_T0_E_clISt17integral_constantIbLb1EES1A_IbLb0EEEEDaS16_S17_EUlS16_E_NS1_11comp_targetILNS1_3genE0ELNS1_11target_archE4294967295ELNS1_3gpuE0ELNS1_3repE0EEENS1_30default_config_static_selectorELNS0_4arch9wavefront6targetE1EEEvT1_ ; -- Begin function _ZN7rocprim17ROCPRIM_400000_NS6detail17trampoline_kernelINS0_14default_configENS1_25partition_config_selectorILNS1_17partition_subalgoE1EyNS0_10empty_typeEbEEZZNS1_14partition_implILS5_1ELb0ES3_jN6thrust23THRUST_200600_302600_NS6detail15normal_iteratorINSA_10device_ptrIyEEEEPS6_NSA_18transform_iteratorI7is_evenIyESF_NSA_11use_defaultESK_EENS0_5tupleIJSF_NSA_16discard_iteratorISK_EEEEENSM_IJSG_SG_EEES6_PlJS6_EEE10hipError_tPvRmT3_T4_T5_T6_T7_T9_mT8_P12ihipStream_tbDpT10_ENKUlT_T0_E_clISt17integral_constantIbLb1EES1A_IbLb0EEEEDaS16_S17_EUlS16_E_NS1_11comp_targetILNS1_3genE0ELNS1_11target_archE4294967295ELNS1_3gpuE0ELNS1_3repE0EEENS1_30default_config_static_selectorELNS0_4arch9wavefront6targetE1EEEvT1_
	.globl	_ZN7rocprim17ROCPRIM_400000_NS6detail17trampoline_kernelINS0_14default_configENS1_25partition_config_selectorILNS1_17partition_subalgoE1EyNS0_10empty_typeEbEEZZNS1_14partition_implILS5_1ELb0ES3_jN6thrust23THRUST_200600_302600_NS6detail15normal_iteratorINSA_10device_ptrIyEEEEPS6_NSA_18transform_iteratorI7is_evenIyESF_NSA_11use_defaultESK_EENS0_5tupleIJSF_NSA_16discard_iteratorISK_EEEEENSM_IJSG_SG_EEES6_PlJS6_EEE10hipError_tPvRmT3_T4_T5_T6_T7_T9_mT8_P12ihipStream_tbDpT10_ENKUlT_T0_E_clISt17integral_constantIbLb1EES1A_IbLb0EEEEDaS16_S17_EUlS16_E_NS1_11comp_targetILNS1_3genE0ELNS1_11target_archE4294967295ELNS1_3gpuE0ELNS1_3repE0EEENS1_30default_config_static_selectorELNS0_4arch9wavefront6targetE1EEEvT1_
	.p2align	8
	.type	_ZN7rocprim17ROCPRIM_400000_NS6detail17trampoline_kernelINS0_14default_configENS1_25partition_config_selectorILNS1_17partition_subalgoE1EyNS0_10empty_typeEbEEZZNS1_14partition_implILS5_1ELb0ES3_jN6thrust23THRUST_200600_302600_NS6detail15normal_iteratorINSA_10device_ptrIyEEEEPS6_NSA_18transform_iteratorI7is_evenIyESF_NSA_11use_defaultESK_EENS0_5tupleIJSF_NSA_16discard_iteratorISK_EEEEENSM_IJSG_SG_EEES6_PlJS6_EEE10hipError_tPvRmT3_T4_T5_T6_T7_T9_mT8_P12ihipStream_tbDpT10_ENKUlT_T0_E_clISt17integral_constantIbLb1EES1A_IbLb0EEEEDaS16_S17_EUlS16_E_NS1_11comp_targetILNS1_3genE0ELNS1_11target_archE4294967295ELNS1_3gpuE0ELNS1_3repE0EEENS1_30default_config_static_selectorELNS0_4arch9wavefront6targetE1EEEvT1_,@function
_ZN7rocprim17ROCPRIM_400000_NS6detail17trampoline_kernelINS0_14default_configENS1_25partition_config_selectorILNS1_17partition_subalgoE1EyNS0_10empty_typeEbEEZZNS1_14partition_implILS5_1ELb0ES3_jN6thrust23THRUST_200600_302600_NS6detail15normal_iteratorINSA_10device_ptrIyEEEEPS6_NSA_18transform_iteratorI7is_evenIyESF_NSA_11use_defaultESK_EENS0_5tupleIJSF_NSA_16discard_iteratorISK_EEEEENSM_IJSG_SG_EEES6_PlJS6_EEE10hipError_tPvRmT3_T4_T5_T6_T7_T9_mT8_P12ihipStream_tbDpT10_ENKUlT_T0_E_clISt17integral_constantIbLb1EES1A_IbLb0EEEEDaS16_S17_EUlS16_E_NS1_11comp_targetILNS1_3genE0ELNS1_11target_archE4294967295ELNS1_3gpuE0ELNS1_3repE0EEENS1_30default_config_static_selectorELNS0_4arch9wavefront6targetE1EEEvT1_: ; @_ZN7rocprim17ROCPRIM_400000_NS6detail17trampoline_kernelINS0_14default_configENS1_25partition_config_selectorILNS1_17partition_subalgoE1EyNS0_10empty_typeEbEEZZNS1_14partition_implILS5_1ELb0ES3_jN6thrust23THRUST_200600_302600_NS6detail15normal_iteratorINSA_10device_ptrIyEEEEPS6_NSA_18transform_iteratorI7is_evenIyESF_NSA_11use_defaultESK_EENS0_5tupleIJSF_NSA_16discard_iteratorISK_EEEEENSM_IJSG_SG_EEES6_PlJS6_EEE10hipError_tPvRmT3_T4_T5_T6_T7_T9_mT8_P12ihipStream_tbDpT10_ENKUlT_T0_E_clISt17integral_constantIbLb1EES1A_IbLb0EEEEDaS16_S17_EUlS16_E_NS1_11comp_targetILNS1_3genE0ELNS1_11target_archE4294967295ELNS1_3gpuE0ELNS1_3repE0EEENS1_30default_config_static_selectorELNS0_4arch9wavefront6targetE1EEEvT1_
; %bb.0:
	.section	.rodata,"a",@progbits
	.p2align	6, 0x0
	.amdhsa_kernel _ZN7rocprim17ROCPRIM_400000_NS6detail17trampoline_kernelINS0_14default_configENS1_25partition_config_selectorILNS1_17partition_subalgoE1EyNS0_10empty_typeEbEEZZNS1_14partition_implILS5_1ELb0ES3_jN6thrust23THRUST_200600_302600_NS6detail15normal_iteratorINSA_10device_ptrIyEEEEPS6_NSA_18transform_iteratorI7is_evenIyESF_NSA_11use_defaultESK_EENS0_5tupleIJSF_NSA_16discard_iteratorISK_EEEEENSM_IJSG_SG_EEES6_PlJS6_EEE10hipError_tPvRmT3_T4_T5_T6_T7_T9_mT8_P12ihipStream_tbDpT10_ENKUlT_T0_E_clISt17integral_constantIbLb1EES1A_IbLb0EEEEDaS16_S17_EUlS16_E_NS1_11comp_targetILNS1_3genE0ELNS1_11target_archE4294967295ELNS1_3gpuE0ELNS1_3repE0EEENS1_30default_config_static_selectorELNS0_4arch9wavefront6targetE1EEEvT1_
		.amdhsa_group_segment_fixed_size 0
		.amdhsa_private_segment_fixed_size 0
		.amdhsa_kernarg_size 136
		.amdhsa_user_sgpr_count 6
		.amdhsa_user_sgpr_private_segment_buffer 1
		.amdhsa_user_sgpr_dispatch_ptr 0
		.amdhsa_user_sgpr_queue_ptr 0
		.amdhsa_user_sgpr_kernarg_segment_ptr 1
		.amdhsa_user_sgpr_dispatch_id 0
		.amdhsa_user_sgpr_flat_scratch_init 0
		.amdhsa_user_sgpr_kernarg_preload_length 0
		.amdhsa_user_sgpr_kernarg_preload_offset 0
		.amdhsa_user_sgpr_private_segment_size 0
		.amdhsa_uses_dynamic_stack 0
		.amdhsa_system_sgpr_private_segment_wavefront_offset 0
		.amdhsa_system_sgpr_workgroup_id_x 1
		.amdhsa_system_sgpr_workgroup_id_y 0
		.amdhsa_system_sgpr_workgroup_id_z 0
		.amdhsa_system_sgpr_workgroup_info 0
		.amdhsa_system_vgpr_workitem_id 0
		.amdhsa_next_free_vgpr 1
		.amdhsa_next_free_sgpr 0
		.amdhsa_accum_offset 4
		.amdhsa_reserve_vcc 0
		.amdhsa_reserve_flat_scratch 0
		.amdhsa_float_round_mode_32 0
		.amdhsa_float_round_mode_16_64 0
		.amdhsa_float_denorm_mode_32 3
		.amdhsa_float_denorm_mode_16_64 3
		.amdhsa_dx10_clamp 1
		.amdhsa_ieee_mode 1
		.amdhsa_fp16_overflow 0
		.amdhsa_tg_split 0
		.amdhsa_exception_fp_ieee_invalid_op 0
		.amdhsa_exception_fp_denorm_src 0
		.amdhsa_exception_fp_ieee_div_zero 0
		.amdhsa_exception_fp_ieee_overflow 0
		.amdhsa_exception_fp_ieee_underflow 0
		.amdhsa_exception_fp_ieee_inexact 0
		.amdhsa_exception_int_div_zero 0
	.end_amdhsa_kernel
	.section	.text._ZN7rocprim17ROCPRIM_400000_NS6detail17trampoline_kernelINS0_14default_configENS1_25partition_config_selectorILNS1_17partition_subalgoE1EyNS0_10empty_typeEbEEZZNS1_14partition_implILS5_1ELb0ES3_jN6thrust23THRUST_200600_302600_NS6detail15normal_iteratorINSA_10device_ptrIyEEEEPS6_NSA_18transform_iteratorI7is_evenIyESF_NSA_11use_defaultESK_EENS0_5tupleIJSF_NSA_16discard_iteratorISK_EEEEENSM_IJSG_SG_EEES6_PlJS6_EEE10hipError_tPvRmT3_T4_T5_T6_T7_T9_mT8_P12ihipStream_tbDpT10_ENKUlT_T0_E_clISt17integral_constantIbLb1EES1A_IbLb0EEEEDaS16_S17_EUlS16_E_NS1_11comp_targetILNS1_3genE0ELNS1_11target_archE4294967295ELNS1_3gpuE0ELNS1_3repE0EEENS1_30default_config_static_selectorELNS0_4arch9wavefront6targetE1EEEvT1_,"axG",@progbits,_ZN7rocprim17ROCPRIM_400000_NS6detail17trampoline_kernelINS0_14default_configENS1_25partition_config_selectorILNS1_17partition_subalgoE1EyNS0_10empty_typeEbEEZZNS1_14partition_implILS5_1ELb0ES3_jN6thrust23THRUST_200600_302600_NS6detail15normal_iteratorINSA_10device_ptrIyEEEEPS6_NSA_18transform_iteratorI7is_evenIyESF_NSA_11use_defaultESK_EENS0_5tupleIJSF_NSA_16discard_iteratorISK_EEEEENSM_IJSG_SG_EEES6_PlJS6_EEE10hipError_tPvRmT3_T4_T5_T6_T7_T9_mT8_P12ihipStream_tbDpT10_ENKUlT_T0_E_clISt17integral_constantIbLb1EES1A_IbLb0EEEEDaS16_S17_EUlS16_E_NS1_11comp_targetILNS1_3genE0ELNS1_11target_archE4294967295ELNS1_3gpuE0ELNS1_3repE0EEENS1_30default_config_static_selectorELNS0_4arch9wavefront6targetE1EEEvT1_,comdat
.Lfunc_end2923:
	.size	_ZN7rocprim17ROCPRIM_400000_NS6detail17trampoline_kernelINS0_14default_configENS1_25partition_config_selectorILNS1_17partition_subalgoE1EyNS0_10empty_typeEbEEZZNS1_14partition_implILS5_1ELb0ES3_jN6thrust23THRUST_200600_302600_NS6detail15normal_iteratorINSA_10device_ptrIyEEEEPS6_NSA_18transform_iteratorI7is_evenIyESF_NSA_11use_defaultESK_EENS0_5tupleIJSF_NSA_16discard_iteratorISK_EEEEENSM_IJSG_SG_EEES6_PlJS6_EEE10hipError_tPvRmT3_T4_T5_T6_T7_T9_mT8_P12ihipStream_tbDpT10_ENKUlT_T0_E_clISt17integral_constantIbLb1EES1A_IbLb0EEEEDaS16_S17_EUlS16_E_NS1_11comp_targetILNS1_3genE0ELNS1_11target_archE4294967295ELNS1_3gpuE0ELNS1_3repE0EEENS1_30default_config_static_selectorELNS0_4arch9wavefront6targetE1EEEvT1_, .Lfunc_end2923-_ZN7rocprim17ROCPRIM_400000_NS6detail17trampoline_kernelINS0_14default_configENS1_25partition_config_selectorILNS1_17partition_subalgoE1EyNS0_10empty_typeEbEEZZNS1_14partition_implILS5_1ELb0ES3_jN6thrust23THRUST_200600_302600_NS6detail15normal_iteratorINSA_10device_ptrIyEEEEPS6_NSA_18transform_iteratorI7is_evenIyESF_NSA_11use_defaultESK_EENS0_5tupleIJSF_NSA_16discard_iteratorISK_EEEEENSM_IJSG_SG_EEES6_PlJS6_EEE10hipError_tPvRmT3_T4_T5_T6_T7_T9_mT8_P12ihipStream_tbDpT10_ENKUlT_T0_E_clISt17integral_constantIbLb1EES1A_IbLb0EEEEDaS16_S17_EUlS16_E_NS1_11comp_targetILNS1_3genE0ELNS1_11target_archE4294967295ELNS1_3gpuE0ELNS1_3repE0EEENS1_30default_config_static_selectorELNS0_4arch9wavefront6targetE1EEEvT1_
                                        ; -- End function
	.section	.AMDGPU.csdata,"",@progbits
; Kernel info:
; codeLenInByte = 0
; NumSgprs: 4
; NumVgprs: 0
; NumAgprs: 0
; TotalNumVgprs: 0
; ScratchSize: 0
; MemoryBound: 0
; FloatMode: 240
; IeeeMode: 1
; LDSByteSize: 0 bytes/workgroup (compile time only)
; SGPRBlocks: 0
; VGPRBlocks: 0
; NumSGPRsForWavesPerEU: 4
; NumVGPRsForWavesPerEU: 1
; AccumOffset: 4
; Occupancy: 8
; WaveLimiterHint : 0
; COMPUTE_PGM_RSRC2:SCRATCH_EN: 0
; COMPUTE_PGM_RSRC2:USER_SGPR: 6
; COMPUTE_PGM_RSRC2:TRAP_HANDLER: 0
; COMPUTE_PGM_RSRC2:TGID_X_EN: 1
; COMPUTE_PGM_RSRC2:TGID_Y_EN: 0
; COMPUTE_PGM_RSRC2:TGID_Z_EN: 0
; COMPUTE_PGM_RSRC2:TIDIG_COMP_CNT: 0
; COMPUTE_PGM_RSRC3_GFX90A:ACCUM_OFFSET: 0
; COMPUTE_PGM_RSRC3_GFX90A:TG_SPLIT: 0
	.section	.text._ZN7rocprim17ROCPRIM_400000_NS6detail17trampoline_kernelINS0_14default_configENS1_25partition_config_selectorILNS1_17partition_subalgoE1EyNS0_10empty_typeEbEEZZNS1_14partition_implILS5_1ELb0ES3_jN6thrust23THRUST_200600_302600_NS6detail15normal_iteratorINSA_10device_ptrIyEEEEPS6_NSA_18transform_iteratorI7is_evenIyESF_NSA_11use_defaultESK_EENS0_5tupleIJSF_NSA_16discard_iteratorISK_EEEEENSM_IJSG_SG_EEES6_PlJS6_EEE10hipError_tPvRmT3_T4_T5_T6_T7_T9_mT8_P12ihipStream_tbDpT10_ENKUlT_T0_E_clISt17integral_constantIbLb1EES1A_IbLb0EEEEDaS16_S17_EUlS16_E_NS1_11comp_targetILNS1_3genE5ELNS1_11target_archE942ELNS1_3gpuE9ELNS1_3repE0EEENS1_30default_config_static_selectorELNS0_4arch9wavefront6targetE1EEEvT1_,"axG",@progbits,_ZN7rocprim17ROCPRIM_400000_NS6detail17trampoline_kernelINS0_14default_configENS1_25partition_config_selectorILNS1_17partition_subalgoE1EyNS0_10empty_typeEbEEZZNS1_14partition_implILS5_1ELb0ES3_jN6thrust23THRUST_200600_302600_NS6detail15normal_iteratorINSA_10device_ptrIyEEEEPS6_NSA_18transform_iteratorI7is_evenIyESF_NSA_11use_defaultESK_EENS0_5tupleIJSF_NSA_16discard_iteratorISK_EEEEENSM_IJSG_SG_EEES6_PlJS6_EEE10hipError_tPvRmT3_T4_T5_T6_T7_T9_mT8_P12ihipStream_tbDpT10_ENKUlT_T0_E_clISt17integral_constantIbLb1EES1A_IbLb0EEEEDaS16_S17_EUlS16_E_NS1_11comp_targetILNS1_3genE5ELNS1_11target_archE942ELNS1_3gpuE9ELNS1_3repE0EEENS1_30default_config_static_selectorELNS0_4arch9wavefront6targetE1EEEvT1_,comdat
	.protected	_ZN7rocprim17ROCPRIM_400000_NS6detail17trampoline_kernelINS0_14default_configENS1_25partition_config_selectorILNS1_17partition_subalgoE1EyNS0_10empty_typeEbEEZZNS1_14partition_implILS5_1ELb0ES3_jN6thrust23THRUST_200600_302600_NS6detail15normal_iteratorINSA_10device_ptrIyEEEEPS6_NSA_18transform_iteratorI7is_evenIyESF_NSA_11use_defaultESK_EENS0_5tupleIJSF_NSA_16discard_iteratorISK_EEEEENSM_IJSG_SG_EEES6_PlJS6_EEE10hipError_tPvRmT3_T4_T5_T6_T7_T9_mT8_P12ihipStream_tbDpT10_ENKUlT_T0_E_clISt17integral_constantIbLb1EES1A_IbLb0EEEEDaS16_S17_EUlS16_E_NS1_11comp_targetILNS1_3genE5ELNS1_11target_archE942ELNS1_3gpuE9ELNS1_3repE0EEENS1_30default_config_static_selectorELNS0_4arch9wavefront6targetE1EEEvT1_ ; -- Begin function _ZN7rocprim17ROCPRIM_400000_NS6detail17trampoline_kernelINS0_14default_configENS1_25partition_config_selectorILNS1_17partition_subalgoE1EyNS0_10empty_typeEbEEZZNS1_14partition_implILS5_1ELb0ES3_jN6thrust23THRUST_200600_302600_NS6detail15normal_iteratorINSA_10device_ptrIyEEEEPS6_NSA_18transform_iteratorI7is_evenIyESF_NSA_11use_defaultESK_EENS0_5tupleIJSF_NSA_16discard_iteratorISK_EEEEENSM_IJSG_SG_EEES6_PlJS6_EEE10hipError_tPvRmT3_T4_T5_T6_T7_T9_mT8_P12ihipStream_tbDpT10_ENKUlT_T0_E_clISt17integral_constantIbLb1EES1A_IbLb0EEEEDaS16_S17_EUlS16_E_NS1_11comp_targetILNS1_3genE5ELNS1_11target_archE942ELNS1_3gpuE9ELNS1_3repE0EEENS1_30default_config_static_selectorELNS0_4arch9wavefront6targetE1EEEvT1_
	.globl	_ZN7rocprim17ROCPRIM_400000_NS6detail17trampoline_kernelINS0_14default_configENS1_25partition_config_selectorILNS1_17partition_subalgoE1EyNS0_10empty_typeEbEEZZNS1_14partition_implILS5_1ELb0ES3_jN6thrust23THRUST_200600_302600_NS6detail15normal_iteratorINSA_10device_ptrIyEEEEPS6_NSA_18transform_iteratorI7is_evenIyESF_NSA_11use_defaultESK_EENS0_5tupleIJSF_NSA_16discard_iteratorISK_EEEEENSM_IJSG_SG_EEES6_PlJS6_EEE10hipError_tPvRmT3_T4_T5_T6_T7_T9_mT8_P12ihipStream_tbDpT10_ENKUlT_T0_E_clISt17integral_constantIbLb1EES1A_IbLb0EEEEDaS16_S17_EUlS16_E_NS1_11comp_targetILNS1_3genE5ELNS1_11target_archE942ELNS1_3gpuE9ELNS1_3repE0EEENS1_30default_config_static_selectorELNS0_4arch9wavefront6targetE1EEEvT1_
	.p2align	8
	.type	_ZN7rocprim17ROCPRIM_400000_NS6detail17trampoline_kernelINS0_14default_configENS1_25partition_config_selectorILNS1_17partition_subalgoE1EyNS0_10empty_typeEbEEZZNS1_14partition_implILS5_1ELb0ES3_jN6thrust23THRUST_200600_302600_NS6detail15normal_iteratorINSA_10device_ptrIyEEEEPS6_NSA_18transform_iteratorI7is_evenIyESF_NSA_11use_defaultESK_EENS0_5tupleIJSF_NSA_16discard_iteratorISK_EEEEENSM_IJSG_SG_EEES6_PlJS6_EEE10hipError_tPvRmT3_T4_T5_T6_T7_T9_mT8_P12ihipStream_tbDpT10_ENKUlT_T0_E_clISt17integral_constantIbLb1EES1A_IbLb0EEEEDaS16_S17_EUlS16_E_NS1_11comp_targetILNS1_3genE5ELNS1_11target_archE942ELNS1_3gpuE9ELNS1_3repE0EEENS1_30default_config_static_selectorELNS0_4arch9wavefront6targetE1EEEvT1_,@function
_ZN7rocprim17ROCPRIM_400000_NS6detail17trampoline_kernelINS0_14default_configENS1_25partition_config_selectorILNS1_17partition_subalgoE1EyNS0_10empty_typeEbEEZZNS1_14partition_implILS5_1ELb0ES3_jN6thrust23THRUST_200600_302600_NS6detail15normal_iteratorINSA_10device_ptrIyEEEEPS6_NSA_18transform_iteratorI7is_evenIyESF_NSA_11use_defaultESK_EENS0_5tupleIJSF_NSA_16discard_iteratorISK_EEEEENSM_IJSG_SG_EEES6_PlJS6_EEE10hipError_tPvRmT3_T4_T5_T6_T7_T9_mT8_P12ihipStream_tbDpT10_ENKUlT_T0_E_clISt17integral_constantIbLb1EES1A_IbLb0EEEEDaS16_S17_EUlS16_E_NS1_11comp_targetILNS1_3genE5ELNS1_11target_archE942ELNS1_3gpuE9ELNS1_3repE0EEENS1_30default_config_static_selectorELNS0_4arch9wavefront6targetE1EEEvT1_: ; @_ZN7rocprim17ROCPRIM_400000_NS6detail17trampoline_kernelINS0_14default_configENS1_25partition_config_selectorILNS1_17partition_subalgoE1EyNS0_10empty_typeEbEEZZNS1_14partition_implILS5_1ELb0ES3_jN6thrust23THRUST_200600_302600_NS6detail15normal_iteratorINSA_10device_ptrIyEEEEPS6_NSA_18transform_iteratorI7is_evenIyESF_NSA_11use_defaultESK_EENS0_5tupleIJSF_NSA_16discard_iteratorISK_EEEEENSM_IJSG_SG_EEES6_PlJS6_EEE10hipError_tPvRmT3_T4_T5_T6_T7_T9_mT8_P12ihipStream_tbDpT10_ENKUlT_T0_E_clISt17integral_constantIbLb1EES1A_IbLb0EEEEDaS16_S17_EUlS16_E_NS1_11comp_targetILNS1_3genE5ELNS1_11target_archE942ELNS1_3gpuE9ELNS1_3repE0EEENS1_30default_config_static_selectorELNS0_4arch9wavefront6targetE1EEEvT1_
; %bb.0:
	.section	.rodata,"a",@progbits
	.p2align	6, 0x0
	.amdhsa_kernel _ZN7rocprim17ROCPRIM_400000_NS6detail17trampoline_kernelINS0_14default_configENS1_25partition_config_selectorILNS1_17partition_subalgoE1EyNS0_10empty_typeEbEEZZNS1_14partition_implILS5_1ELb0ES3_jN6thrust23THRUST_200600_302600_NS6detail15normal_iteratorINSA_10device_ptrIyEEEEPS6_NSA_18transform_iteratorI7is_evenIyESF_NSA_11use_defaultESK_EENS0_5tupleIJSF_NSA_16discard_iteratorISK_EEEEENSM_IJSG_SG_EEES6_PlJS6_EEE10hipError_tPvRmT3_T4_T5_T6_T7_T9_mT8_P12ihipStream_tbDpT10_ENKUlT_T0_E_clISt17integral_constantIbLb1EES1A_IbLb0EEEEDaS16_S17_EUlS16_E_NS1_11comp_targetILNS1_3genE5ELNS1_11target_archE942ELNS1_3gpuE9ELNS1_3repE0EEENS1_30default_config_static_selectorELNS0_4arch9wavefront6targetE1EEEvT1_
		.amdhsa_group_segment_fixed_size 0
		.amdhsa_private_segment_fixed_size 0
		.amdhsa_kernarg_size 136
		.amdhsa_user_sgpr_count 6
		.amdhsa_user_sgpr_private_segment_buffer 1
		.amdhsa_user_sgpr_dispatch_ptr 0
		.amdhsa_user_sgpr_queue_ptr 0
		.amdhsa_user_sgpr_kernarg_segment_ptr 1
		.amdhsa_user_sgpr_dispatch_id 0
		.amdhsa_user_sgpr_flat_scratch_init 0
		.amdhsa_user_sgpr_kernarg_preload_length 0
		.amdhsa_user_sgpr_kernarg_preload_offset 0
		.amdhsa_user_sgpr_private_segment_size 0
		.amdhsa_uses_dynamic_stack 0
		.amdhsa_system_sgpr_private_segment_wavefront_offset 0
		.amdhsa_system_sgpr_workgroup_id_x 1
		.amdhsa_system_sgpr_workgroup_id_y 0
		.amdhsa_system_sgpr_workgroup_id_z 0
		.amdhsa_system_sgpr_workgroup_info 0
		.amdhsa_system_vgpr_workitem_id 0
		.amdhsa_next_free_vgpr 1
		.amdhsa_next_free_sgpr 0
		.amdhsa_accum_offset 4
		.amdhsa_reserve_vcc 0
		.amdhsa_reserve_flat_scratch 0
		.amdhsa_float_round_mode_32 0
		.amdhsa_float_round_mode_16_64 0
		.amdhsa_float_denorm_mode_32 3
		.amdhsa_float_denorm_mode_16_64 3
		.amdhsa_dx10_clamp 1
		.amdhsa_ieee_mode 1
		.amdhsa_fp16_overflow 0
		.amdhsa_tg_split 0
		.amdhsa_exception_fp_ieee_invalid_op 0
		.amdhsa_exception_fp_denorm_src 0
		.amdhsa_exception_fp_ieee_div_zero 0
		.amdhsa_exception_fp_ieee_overflow 0
		.amdhsa_exception_fp_ieee_underflow 0
		.amdhsa_exception_fp_ieee_inexact 0
		.amdhsa_exception_int_div_zero 0
	.end_amdhsa_kernel
	.section	.text._ZN7rocprim17ROCPRIM_400000_NS6detail17trampoline_kernelINS0_14default_configENS1_25partition_config_selectorILNS1_17partition_subalgoE1EyNS0_10empty_typeEbEEZZNS1_14partition_implILS5_1ELb0ES3_jN6thrust23THRUST_200600_302600_NS6detail15normal_iteratorINSA_10device_ptrIyEEEEPS6_NSA_18transform_iteratorI7is_evenIyESF_NSA_11use_defaultESK_EENS0_5tupleIJSF_NSA_16discard_iteratorISK_EEEEENSM_IJSG_SG_EEES6_PlJS6_EEE10hipError_tPvRmT3_T4_T5_T6_T7_T9_mT8_P12ihipStream_tbDpT10_ENKUlT_T0_E_clISt17integral_constantIbLb1EES1A_IbLb0EEEEDaS16_S17_EUlS16_E_NS1_11comp_targetILNS1_3genE5ELNS1_11target_archE942ELNS1_3gpuE9ELNS1_3repE0EEENS1_30default_config_static_selectorELNS0_4arch9wavefront6targetE1EEEvT1_,"axG",@progbits,_ZN7rocprim17ROCPRIM_400000_NS6detail17trampoline_kernelINS0_14default_configENS1_25partition_config_selectorILNS1_17partition_subalgoE1EyNS0_10empty_typeEbEEZZNS1_14partition_implILS5_1ELb0ES3_jN6thrust23THRUST_200600_302600_NS6detail15normal_iteratorINSA_10device_ptrIyEEEEPS6_NSA_18transform_iteratorI7is_evenIyESF_NSA_11use_defaultESK_EENS0_5tupleIJSF_NSA_16discard_iteratorISK_EEEEENSM_IJSG_SG_EEES6_PlJS6_EEE10hipError_tPvRmT3_T4_T5_T6_T7_T9_mT8_P12ihipStream_tbDpT10_ENKUlT_T0_E_clISt17integral_constantIbLb1EES1A_IbLb0EEEEDaS16_S17_EUlS16_E_NS1_11comp_targetILNS1_3genE5ELNS1_11target_archE942ELNS1_3gpuE9ELNS1_3repE0EEENS1_30default_config_static_selectorELNS0_4arch9wavefront6targetE1EEEvT1_,comdat
.Lfunc_end2924:
	.size	_ZN7rocprim17ROCPRIM_400000_NS6detail17trampoline_kernelINS0_14default_configENS1_25partition_config_selectorILNS1_17partition_subalgoE1EyNS0_10empty_typeEbEEZZNS1_14partition_implILS5_1ELb0ES3_jN6thrust23THRUST_200600_302600_NS6detail15normal_iteratorINSA_10device_ptrIyEEEEPS6_NSA_18transform_iteratorI7is_evenIyESF_NSA_11use_defaultESK_EENS0_5tupleIJSF_NSA_16discard_iteratorISK_EEEEENSM_IJSG_SG_EEES6_PlJS6_EEE10hipError_tPvRmT3_T4_T5_T6_T7_T9_mT8_P12ihipStream_tbDpT10_ENKUlT_T0_E_clISt17integral_constantIbLb1EES1A_IbLb0EEEEDaS16_S17_EUlS16_E_NS1_11comp_targetILNS1_3genE5ELNS1_11target_archE942ELNS1_3gpuE9ELNS1_3repE0EEENS1_30default_config_static_selectorELNS0_4arch9wavefront6targetE1EEEvT1_, .Lfunc_end2924-_ZN7rocprim17ROCPRIM_400000_NS6detail17trampoline_kernelINS0_14default_configENS1_25partition_config_selectorILNS1_17partition_subalgoE1EyNS0_10empty_typeEbEEZZNS1_14partition_implILS5_1ELb0ES3_jN6thrust23THRUST_200600_302600_NS6detail15normal_iteratorINSA_10device_ptrIyEEEEPS6_NSA_18transform_iteratorI7is_evenIyESF_NSA_11use_defaultESK_EENS0_5tupleIJSF_NSA_16discard_iteratorISK_EEEEENSM_IJSG_SG_EEES6_PlJS6_EEE10hipError_tPvRmT3_T4_T5_T6_T7_T9_mT8_P12ihipStream_tbDpT10_ENKUlT_T0_E_clISt17integral_constantIbLb1EES1A_IbLb0EEEEDaS16_S17_EUlS16_E_NS1_11comp_targetILNS1_3genE5ELNS1_11target_archE942ELNS1_3gpuE9ELNS1_3repE0EEENS1_30default_config_static_selectorELNS0_4arch9wavefront6targetE1EEEvT1_
                                        ; -- End function
	.section	.AMDGPU.csdata,"",@progbits
; Kernel info:
; codeLenInByte = 0
; NumSgprs: 4
; NumVgprs: 0
; NumAgprs: 0
; TotalNumVgprs: 0
; ScratchSize: 0
; MemoryBound: 0
; FloatMode: 240
; IeeeMode: 1
; LDSByteSize: 0 bytes/workgroup (compile time only)
; SGPRBlocks: 0
; VGPRBlocks: 0
; NumSGPRsForWavesPerEU: 4
; NumVGPRsForWavesPerEU: 1
; AccumOffset: 4
; Occupancy: 8
; WaveLimiterHint : 0
; COMPUTE_PGM_RSRC2:SCRATCH_EN: 0
; COMPUTE_PGM_RSRC2:USER_SGPR: 6
; COMPUTE_PGM_RSRC2:TRAP_HANDLER: 0
; COMPUTE_PGM_RSRC2:TGID_X_EN: 1
; COMPUTE_PGM_RSRC2:TGID_Y_EN: 0
; COMPUTE_PGM_RSRC2:TGID_Z_EN: 0
; COMPUTE_PGM_RSRC2:TIDIG_COMP_CNT: 0
; COMPUTE_PGM_RSRC3_GFX90A:ACCUM_OFFSET: 0
; COMPUTE_PGM_RSRC3_GFX90A:TG_SPLIT: 0
	.section	.text._ZN7rocprim17ROCPRIM_400000_NS6detail17trampoline_kernelINS0_14default_configENS1_25partition_config_selectorILNS1_17partition_subalgoE1EyNS0_10empty_typeEbEEZZNS1_14partition_implILS5_1ELb0ES3_jN6thrust23THRUST_200600_302600_NS6detail15normal_iteratorINSA_10device_ptrIyEEEEPS6_NSA_18transform_iteratorI7is_evenIyESF_NSA_11use_defaultESK_EENS0_5tupleIJSF_NSA_16discard_iteratorISK_EEEEENSM_IJSG_SG_EEES6_PlJS6_EEE10hipError_tPvRmT3_T4_T5_T6_T7_T9_mT8_P12ihipStream_tbDpT10_ENKUlT_T0_E_clISt17integral_constantIbLb1EES1A_IbLb0EEEEDaS16_S17_EUlS16_E_NS1_11comp_targetILNS1_3genE4ELNS1_11target_archE910ELNS1_3gpuE8ELNS1_3repE0EEENS1_30default_config_static_selectorELNS0_4arch9wavefront6targetE1EEEvT1_,"axG",@progbits,_ZN7rocprim17ROCPRIM_400000_NS6detail17trampoline_kernelINS0_14default_configENS1_25partition_config_selectorILNS1_17partition_subalgoE1EyNS0_10empty_typeEbEEZZNS1_14partition_implILS5_1ELb0ES3_jN6thrust23THRUST_200600_302600_NS6detail15normal_iteratorINSA_10device_ptrIyEEEEPS6_NSA_18transform_iteratorI7is_evenIyESF_NSA_11use_defaultESK_EENS0_5tupleIJSF_NSA_16discard_iteratorISK_EEEEENSM_IJSG_SG_EEES6_PlJS6_EEE10hipError_tPvRmT3_T4_T5_T6_T7_T9_mT8_P12ihipStream_tbDpT10_ENKUlT_T0_E_clISt17integral_constantIbLb1EES1A_IbLb0EEEEDaS16_S17_EUlS16_E_NS1_11comp_targetILNS1_3genE4ELNS1_11target_archE910ELNS1_3gpuE8ELNS1_3repE0EEENS1_30default_config_static_selectorELNS0_4arch9wavefront6targetE1EEEvT1_,comdat
	.protected	_ZN7rocprim17ROCPRIM_400000_NS6detail17trampoline_kernelINS0_14default_configENS1_25partition_config_selectorILNS1_17partition_subalgoE1EyNS0_10empty_typeEbEEZZNS1_14partition_implILS5_1ELb0ES3_jN6thrust23THRUST_200600_302600_NS6detail15normal_iteratorINSA_10device_ptrIyEEEEPS6_NSA_18transform_iteratorI7is_evenIyESF_NSA_11use_defaultESK_EENS0_5tupleIJSF_NSA_16discard_iteratorISK_EEEEENSM_IJSG_SG_EEES6_PlJS6_EEE10hipError_tPvRmT3_T4_T5_T6_T7_T9_mT8_P12ihipStream_tbDpT10_ENKUlT_T0_E_clISt17integral_constantIbLb1EES1A_IbLb0EEEEDaS16_S17_EUlS16_E_NS1_11comp_targetILNS1_3genE4ELNS1_11target_archE910ELNS1_3gpuE8ELNS1_3repE0EEENS1_30default_config_static_selectorELNS0_4arch9wavefront6targetE1EEEvT1_ ; -- Begin function _ZN7rocprim17ROCPRIM_400000_NS6detail17trampoline_kernelINS0_14default_configENS1_25partition_config_selectorILNS1_17partition_subalgoE1EyNS0_10empty_typeEbEEZZNS1_14partition_implILS5_1ELb0ES3_jN6thrust23THRUST_200600_302600_NS6detail15normal_iteratorINSA_10device_ptrIyEEEEPS6_NSA_18transform_iteratorI7is_evenIyESF_NSA_11use_defaultESK_EENS0_5tupleIJSF_NSA_16discard_iteratorISK_EEEEENSM_IJSG_SG_EEES6_PlJS6_EEE10hipError_tPvRmT3_T4_T5_T6_T7_T9_mT8_P12ihipStream_tbDpT10_ENKUlT_T0_E_clISt17integral_constantIbLb1EES1A_IbLb0EEEEDaS16_S17_EUlS16_E_NS1_11comp_targetILNS1_3genE4ELNS1_11target_archE910ELNS1_3gpuE8ELNS1_3repE0EEENS1_30default_config_static_selectorELNS0_4arch9wavefront6targetE1EEEvT1_
	.globl	_ZN7rocprim17ROCPRIM_400000_NS6detail17trampoline_kernelINS0_14default_configENS1_25partition_config_selectorILNS1_17partition_subalgoE1EyNS0_10empty_typeEbEEZZNS1_14partition_implILS5_1ELb0ES3_jN6thrust23THRUST_200600_302600_NS6detail15normal_iteratorINSA_10device_ptrIyEEEEPS6_NSA_18transform_iteratorI7is_evenIyESF_NSA_11use_defaultESK_EENS0_5tupleIJSF_NSA_16discard_iteratorISK_EEEEENSM_IJSG_SG_EEES6_PlJS6_EEE10hipError_tPvRmT3_T4_T5_T6_T7_T9_mT8_P12ihipStream_tbDpT10_ENKUlT_T0_E_clISt17integral_constantIbLb1EES1A_IbLb0EEEEDaS16_S17_EUlS16_E_NS1_11comp_targetILNS1_3genE4ELNS1_11target_archE910ELNS1_3gpuE8ELNS1_3repE0EEENS1_30default_config_static_selectorELNS0_4arch9wavefront6targetE1EEEvT1_
	.p2align	8
	.type	_ZN7rocprim17ROCPRIM_400000_NS6detail17trampoline_kernelINS0_14default_configENS1_25partition_config_selectorILNS1_17partition_subalgoE1EyNS0_10empty_typeEbEEZZNS1_14partition_implILS5_1ELb0ES3_jN6thrust23THRUST_200600_302600_NS6detail15normal_iteratorINSA_10device_ptrIyEEEEPS6_NSA_18transform_iteratorI7is_evenIyESF_NSA_11use_defaultESK_EENS0_5tupleIJSF_NSA_16discard_iteratorISK_EEEEENSM_IJSG_SG_EEES6_PlJS6_EEE10hipError_tPvRmT3_T4_T5_T6_T7_T9_mT8_P12ihipStream_tbDpT10_ENKUlT_T0_E_clISt17integral_constantIbLb1EES1A_IbLb0EEEEDaS16_S17_EUlS16_E_NS1_11comp_targetILNS1_3genE4ELNS1_11target_archE910ELNS1_3gpuE8ELNS1_3repE0EEENS1_30default_config_static_selectorELNS0_4arch9wavefront6targetE1EEEvT1_,@function
_ZN7rocprim17ROCPRIM_400000_NS6detail17trampoline_kernelINS0_14default_configENS1_25partition_config_selectorILNS1_17partition_subalgoE1EyNS0_10empty_typeEbEEZZNS1_14partition_implILS5_1ELb0ES3_jN6thrust23THRUST_200600_302600_NS6detail15normal_iteratorINSA_10device_ptrIyEEEEPS6_NSA_18transform_iteratorI7is_evenIyESF_NSA_11use_defaultESK_EENS0_5tupleIJSF_NSA_16discard_iteratorISK_EEEEENSM_IJSG_SG_EEES6_PlJS6_EEE10hipError_tPvRmT3_T4_T5_T6_T7_T9_mT8_P12ihipStream_tbDpT10_ENKUlT_T0_E_clISt17integral_constantIbLb1EES1A_IbLb0EEEEDaS16_S17_EUlS16_E_NS1_11comp_targetILNS1_3genE4ELNS1_11target_archE910ELNS1_3gpuE8ELNS1_3repE0EEENS1_30default_config_static_selectorELNS0_4arch9wavefront6targetE1EEEvT1_: ; @_ZN7rocprim17ROCPRIM_400000_NS6detail17trampoline_kernelINS0_14default_configENS1_25partition_config_selectorILNS1_17partition_subalgoE1EyNS0_10empty_typeEbEEZZNS1_14partition_implILS5_1ELb0ES3_jN6thrust23THRUST_200600_302600_NS6detail15normal_iteratorINSA_10device_ptrIyEEEEPS6_NSA_18transform_iteratorI7is_evenIyESF_NSA_11use_defaultESK_EENS0_5tupleIJSF_NSA_16discard_iteratorISK_EEEEENSM_IJSG_SG_EEES6_PlJS6_EEE10hipError_tPvRmT3_T4_T5_T6_T7_T9_mT8_P12ihipStream_tbDpT10_ENKUlT_T0_E_clISt17integral_constantIbLb1EES1A_IbLb0EEEEDaS16_S17_EUlS16_E_NS1_11comp_targetILNS1_3genE4ELNS1_11target_archE910ELNS1_3gpuE8ELNS1_3repE0EEENS1_30default_config_static_selectorELNS0_4arch9wavefront6targetE1EEEvT1_
; %bb.0:
	s_load_dwordx2 s[0:1], s[4:5], 0x68
	s_load_dwordx4 s[12:15], s[4:5], 0x8
	s_load_dwordx2 s[2:3], s[4:5], 0x20
	s_load_dwordx4 s[20:23], s[4:5], 0x58
	s_mul_i32 s10, s6, 0x300
	s_waitcnt lgkmcnt(0)
	v_mov_b32_e32 v3, s1
	s_load_dword s1, s[4:5], 0x80
	s_lshl_b64 s[8:9], s[14:15], 3
	s_add_u32 s7, s12, s8
	s_addc_u32 s12, s13, s9
	v_mov_b32_e32 v2, s0
	s_waitcnt lgkmcnt(0)
	s_add_i32 s13, s1, -1
	s_mulk_i32 s1, 0x300
	s_add_i32 s11, s1, s14
	s_sub_i32 s33, s0, s11
	s_addk_i32 s33, 0x300
	s_add_u32 s0, s14, s1
	s_addc_u32 s1, s15, 0
	s_cmp_eq_u32 s6, s13
	s_load_dwordx2 s[22:23], s[22:23], 0x0
	s_cselect_b64 s[24:25], -1, 0
	s_cmp_lg_u32 s6, s13
	s_mov_b32 s11, 0
	v_cmp_lt_u64_e32 vcc, s[0:1], v[2:3]
	s_cselect_b64 s[0:1], -1, 0
	s_or_b64 s[26:27], s[0:1], vcc
	s_lshl_b64 s[10:11], s[10:11], 3
	s_add_u32 s7, s7, s10
	s_addc_u32 s14, s12, s11
	s_mov_b64 s[0:1], -1
	s_and_b64 vcc, exec, s[26:27]
	v_lshlrev_b32_e32 v1, 3, v0
	v_lshrrev_b32_e32 v10, 2, v0
	s_cbranch_vccz .LBB2925_2
; %bb.1:
	v_mov_b32_e32 v3, s14
	v_add_co_u32_e32 v2, vcc, s7, v1
	v_addc_co_u32_e32 v3, vcc, 0, v3, vcc
	v_add_co_u32_e32 v4, vcc, 0x1000, v2
	v_addc_co_u32_e32 v5, vcc, 0, v3, vcc
	flat_load_dwordx2 v[6:7], v[2:3]
	flat_load_dwordx2 v[8:9], v[2:3] offset:1536
	flat_load_dwordx2 v[12:13], v[2:3] offset:3072
	;; [unrolled: 1-line block ×3, first 2 shown]
	v_add_u32_e32 v3, 0xc0, v0
	v_add_u32_e32 v4, 0x180, v0
	;; [unrolled: 1-line block ×3, first 2 shown]
	v_and_b32_e32 v2, 56, v10
	v_lshrrev_b32_e32 v3, 2, v3
	v_lshrrev_b32_e32 v4, 2, v4
	;; [unrolled: 1-line block ×3, first 2 shown]
	v_add_u32_e32 v2, v2, v1
	v_and_b32_e32 v3, 0x78, v3
	v_and_b32_e32 v4, 0xf8, v4
	;; [unrolled: 1-line block ×3, first 2 shown]
	v_add_u32_e32 v3, v3, v1
	v_add_u32_e32 v4, v4, v1
	;; [unrolled: 1-line block ×3, first 2 shown]
	s_mov_b64 s[0:1], 0
	s_waitcnt vmcnt(0) lgkmcnt(0)
	ds_write_b64 v2, v[6:7]
	ds_write_b64 v3, v[8:9] offset:1536
	ds_write_b64 v4, v[12:13] offset:3072
	ds_write_b64 v5, v[14:15] offset:4608
	s_waitcnt lgkmcnt(0)
	s_barrier
.LBB2925_2:
	s_andn2_b64 vcc, exec, s[0:1]
	v_cmp_gt_u32_e64 s[0:1], s33, v0
	s_cbranch_vccnz .LBB2925_12
; %bb.3:
                                        ; implicit-def: $vgpr2_vgpr3_vgpr4_vgpr5_vgpr6_vgpr7_vgpr8_vgpr9
	s_and_saveexec_b64 s[12:13], s[0:1]
	s_cbranch_execz .LBB2925_5
; %bb.4:
	v_mov_b32_e32 v3, s14
	v_add_co_u32_e32 v2, vcc, s7, v1
	v_addc_co_u32_e32 v3, vcc, 0, v3, vcc
	flat_load_dwordx2 v[2:3], v[2:3]
.LBB2925_5:
	s_or_b64 exec, exec, s[12:13]
	v_add_u32_e32 v11, 0xc0, v0
	v_cmp_gt_u32_e32 vcc, s33, v11
	s_and_saveexec_b64 s[0:1], vcc
	s_cbranch_execz .LBB2925_7
; %bb.6:
	v_mov_b32_e32 v5, s14
	v_add_co_u32_e32 v4, vcc, s7, v1
	v_addc_co_u32_e32 v5, vcc, 0, v5, vcc
	flat_load_dwordx2 v[4:5], v[4:5] offset:1536
.LBB2925_7:
	s_or_b64 exec, exec, s[0:1]
	v_add_u32_e32 v12, 0x180, v0
	v_cmp_gt_u32_e32 vcc, s33, v12
	s_and_saveexec_b64 s[0:1], vcc
	s_cbranch_execz .LBB2925_9
; %bb.8:
	v_mov_b32_e32 v7, s14
	v_add_co_u32_e32 v6, vcc, s7, v1
	v_addc_co_u32_e32 v7, vcc, 0, v7, vcc
	flat_load_dwordx2 v[6:7], v[6:7] offset:3072
.LBB2925_9:
	s_or_b64 exec, exec, s[0:1]
	v_add_u32_e32 v13, 0x240, v0
	v_cmp_gt_u32_e32 vcc, s33, v13
	s_and_saveexec_b64 s[0:1], vcc
	s_cbranch_execz .LBB2925_11
; %bb.10:
	v_lshlrev_b32_e32 v8, 3, v13
	v_mov_b32_e32 v9, s14
	v_add_co_u32_e32 v8, vcc, s7, v8
	v_addc_co_u32_e32 v9, vcc, 0, v9, vcc
	flat_load_dwordx2 v[8:9], v[8:9]
.LBB2925_11:
	s_or_b64 exec, exec, s[0:1]
	v_and_b32_e32 v10, 56, v10
	v_add_u32_e32 v10, v10, v1
	s_waitcnt vmcnt(0) lgkmcnt(0)
	ds_write_b64 v10, v[2:3]
	v_lshrrev_b32_e32 v2, 2, v11
	v_and_b32_e32 v2, 0x78, v2
	v_add_u32_e32 v2, v2, v1
	ds_write_b64 v2, v[4:5] offset:1536
	v_lshrrev_b32_e32 v2, 2, v12
	v_and_b32_e32 v2, 0xf8, v2
	v_add_u32_e32 v2, v2, v1
	ds_write_b64 v2, v[6:7] offset:3072
	;; [unrolled: 4-line block ×3, first 2 shown]
	s_waitcnt lgkmcnt(0)
	s_barrier
.LBB2925_12:
	v_lshlrev_b32_e32 v20, 2, v0
	v_lshrrev_b32_e32 v10, 3, v0
	v_add_lshl_u32 v2, v10, v20, 3
	s_waitcnt lgkmcnt(0)
	ds_read2_b64 v[6:9], v2 offset1:1
	ds_read2_b64 v[2:5], v2 offset0:2 offset1:3
	s_add_u32 s0, s2, s8
	s_addc_u32 s1, s3, s9
	s_add_u32 s0, s0, s10
	s_addc_u32 s1, s1, s11
	s_mov_b64 s[2:3], -1
	s_and_b64 vcc, exec, s[26:27]
	v_lshrrev_b32_e32 v11, 5, v0
	s_waitcnt lgkmcnt(0)
	s_barrier
	s_cbranch_vccz .LBB2925_14
; %bb.13:
	global_load_dwordx2 v[12:13], v1, s[0:1]
	global_load_dwordx2 v[14:15], v1, s[0:1] offset:1536
	global_load_dwordx2 v[16:17], v1, s[0:1] offset:3072
	v_mov_b32_e32 v18, s1
	s_waitcnt vmcnt(2)
	v_add_co_u32_e32 v13, vcc, s0, v1
	s_waitcnt vmcnt(1)
	v_addc_co_u32_e32 v15, vcc, 0, v18, vcc
	v_add_co_u32_e32 v18, vcc, 0x1000, v13
	v_addc_co_u32_e32 v19, vcc, 0, v15, vcc
	global_load_dwordx2 v[18:19], v[18:19], off offset:512
	v_add_u32_e32 v15, 0xc0, v0
	s_waitcnt vmcnt(1)
	v_add_u32_e32 v17, 0x180, v0
	v_and_b32_e32 v13, 4, v11
	s_waitcnt vmcnt(0)
	v_add_u32_e32 v19, 0x240, v0
	v_lshrrev_b32_e32 v15, 5, v15
	v_lshrrev_b32_e32 v17, 5, v17
	v_add_u32_e32 v13, v13, v0
	v_lshrrev_b32_e32 v19, 5, v19
	v_and_b32_e32 v15, 12, v15
	v_and_b32_e32 v17, 28, v17
	;; [unrolled: 1-line block ×3, first 2 shown]
	v_add_u32_e32 v15, v15, v0
	v_add_u32_e32 v17, v17, v0
	;; [unrolled: 1-line block ×3, first 2 shown]
	s_mov_b64 s[2:3], 0
	v_xor_b32_e32 v12, -1, v12
	v_xor_b32_e32 v14, -1, v14
	;; [unrolled: 1-line block ×3, first 2 shown]
	v_and_b32_e32 v12, 1, v12
	v_and_b32_e32 v14, 1, v14
	;; [unrolled: 1-line block ×3, first 2 shown]
	ds_write_b8 v13, v12
	ds_write_b8 v15, v14 offset:192
	ds_write_b8 v17, v16 offset:384
	v_xor_b32_e32 v12, -1, v18
	v_and_b32_e32 v12, 1, v12
	ds_write_b8 v19, v12 offset:576
	s_waitcnt lgkmcnt(0)
	s_barrier
.LBB2925_14:
	s_load_dwordx2 s[28:29], s[4:5], 0x78
	s_andn2_b64 vcc, exec, s[2:3]
	s_cbranch_vccnz .LBB2925_24
; %bb.15:
	v_cmp_gt_u32_e32 vcc, s33, v0
	v_mov_b32_e32 v12, 0
	v_mov_b32_e32 v13, 0
	s_and_saveexec_b64 s[2:3], vcc
	s_cbranch_execz .LBB2925_17
; %bb.16:
	global_load_dwordx2 v[14:15], v1, s[0:1]
	s_waitcnt vmcnt(0)
	v_xor_b32_e32 v13, -1, v14
	v_and_b32_e32 v13, 1, v13
.LBB2925_17:
	s_or_b64 exec, exec, s[2:3]
	v_add_u32_e32 v14, 0xc0, v0
	v_cmp_gt_u32_e32 vcc, s33, v14
	s_and_saveexec_b64 s[2:3], vcc
	s_cbranch_execz .LBB2925_19
; %bb.18:
	global_load_dwordx2 v[16:17], v1, s[0:1] offset:1536
	s_waitcnt vmcnt(0)
	v_xor_b32_e32 v12, -1, v16
	v_and_b32_e32 v12, 1, v12
.LBB2925_19:
	s_or_b64 exec, exec, s[2:3]
	v_add_u32_e32 v16, 0x180, v0
	v_cmp_gt_u32_e32 vcc, s33, v16
	v_mov_b32_e32 v15, 0
	v_mov_b32_e32 v17, 0
	s_and_saveexec_b64 s[2:3], vcc
	s_cbranch_execz .LBB2925_21
; %bb.20:
	global_load_dwordx2 v[18:19], v1, s[0:1] offset:3072
	s_waitcnt vmcnt(0)
	v_xor_b32_e32 v17, -1, v18
	v_and_b32_e32 v17, 1, v17
.LBB2925_21:
	s_or_b64 exec, exec, s[2:3]
	v_add_u32_e32 v18, 0x240, v0
	v_cmp_gt_u32_e32 vcc, s33, v18
	s_and_saveexec_b64 s[2:3], vcc
	s_cbranch_execz .LBB2925_23
; %bb.22:
	v_lshlrev_b32_e32 v15, 3, v18
	global_load_dwordx2 v[22:23], v15, s[0:1]
	s_waitcnt vmcnt(0)
	v_xor_b32_e32 v15, -1, v22
	v_and_b32_e32 v15, 1, v15
.LBB2925_23:
	s_or_b64 exec, exec, s[2:3]
	v_and_b32_e32 v11, 4, v11
	v_add_u32_e32 v11, v11, v0
	ds_write_b8 v11, v13
	v_lshrrev_b32_e32 v11, 5, v14
	v_and_b32_e32 v11, 12, v11
	v_add_u32_e32 v11, v11, v0
	ds_write_b8 v11, v12 offset:192
	v_lshrrev_b32_e32 v11, 5, v16
	v_and_b32_e32 v11, 28, v11
	v_add_u32_e32 v11, v11, v0
	ds_write_b8 v11, v17 offset:384
	;; [unrolled: 4-line block ×3, first 2 shown]
	s_waitcnt lgkmcnt(0)
	s_barrier
.LBB2925_24:
	v_and_b32_e32 v10, 28, v10
	v_add_u32_e32 v10, v10, v20
	s_waitcnt lgkmcnt(0)
	ds_read_b32 v22, v10
	s_cmp_lg_u32 s6, 0
	v_lshrrev_b32_e32 v25, 6, v0
	s_waitcnt lgkmcnt(0)
	s_barrier
	v_lshrrev_b32_e32 v21, 24, v22
	v_bfe_u32 v23, v22, 16, 8
	v_add_u32_sdwa v10, v22, v22 dst_sel:DWORD dst_unused:UNUSED_PAD src0_sel:BYTE_1 src1_sel:BYTE_0
	v_add3_u32 v26, v10, v23, v21
	v_mbcnt_lo_u32_b32 v10, -1, 0
	v_mbcnt_hi_u32_b32 v24, -1, v10
	v_and_b32_e32 v10, 15, v24
	v_cmp_eq_u32_e64 s[14:15], 0, v10
	v_cmp_lt_u32_e64 s[12:13], 1, v10
	v_cmp_lt_u32_e64 s[10:11], 3, v10
	;; [unrolled: 1-line block ×3, first 2 shown]
	v_and_b32_e32 v10, 16, v24
	v_cmp_eq_u32_e64 s[2:3], 0, v10
	v_and_b32_e32 v10, 0xc0, v0
	v_min_u32_e32 v10, 0x80, v10
	v_or_b32_e32 v10, 63, v10
	v_cmp_lt_u32_e64 s[0:1], 31, v24
	v_cmp_eq_u32_e64 s[18:19], v10, v0
	s_cbranch_scc0 .LBB2925_55
; %bb.25:
	v_mov_b32_dpp v10, v26 row_shr:1 row_mask:0xf bank_mask:0xf
	v_cndmask_b32_e64 v10, v10, 0, s[14:15]
	v_add_u32_e32 v10, v10, v26
	s_nop 1
	v_mov_b32_dpp v11, v10 row_shr:2 row_mask:0xf bank_mask:0xf
	v_cndmask_b32_e64 v11, 0, v11, s[12:13]
	v_add_u32_e32 v10, v10, v11
	s_nop 1
	;; [unrolled: 4-line block ×4, first 2 shown]
	v_mov_b32_dpp v11, v10 row_bcast:15 row_mask:0xf bank_mask:0xf
	v_cndmask_b32_e64 v11, v11, 0, s[2:3]
	v_add_u32_e32 v10, v10, v11
	s_nop 1
	v_mov_b32_dpp v11, v10 row_bcast:31 row_mask:0xf bank_mask:0xf
	v_cndmask_b32_e64 v11, 0, v11, s[0:1]
	v_add_u32_e32 v10, v10, v11
	s_and_saveexec_b64 s[16:17], s[18:19]
	s_cbranch_execz .LBB2925_27
; %bb.26:
	v_lshlrev_b32_e32 v11, 2, v25
	ds_write_b32 v11, v10
.LBB2925_27:
	s_or_b64 exec, exec, s[16:17]
	v_cmp_gt_u32_e32 vcc, 3, v0
	s_waitcnt lgkmcnt(0)
	s_barrier
	s_and_saveexec_b64 s[16:17], vcc
	s_cbranch_execz .LBB2925_29
; %bb.28:
	ds_read_b32 v11, v20
	v_and_b32_e32 v12, 3, v24
	v_cmp_ne_u32_e32 vcc, 0, v12
	s_waitcnt lgkmcnt(0)
	v_mov_b32_dpp v13, v11 row_shr:1 row_mask:0xf bank_mask:0xf
	v_cndmask_b32_e32 v13, 0, v13, vcc
	v_add_u32_e32 v11, v13, v11
	v_cmp_lt_u32_e32 vcc, 1, v12
	s_nop 0
	v_mov_b32_dpp v13, v11 row_shr:2 row_mask:0xf bank_mask:0xf
	v_cndmask_b32_e32 v12, 0, v13, vcc
	v_add_u32_e32 v11, v11, v12
	ds_write_b32 v20, v11
.LBB2925_29:
	s_or_b64 exec, exec, s[16:17]
	v_cmp_gt_u32_e32 vcc, 64, v0
	v_cmp_lt_u32_e64 s[16:17], 63, v0
	s_waitcnt lgkmcnt(0)
	s_barrier
	s_waitcnt lgkmcnt(0)
                                        ; implicit-def: $vgpr27
	s_and_saveexec_b64 s[30:31], s[16:17]
	s_cbranch_execz .LBB2925_31
; %bb.30:
	v_lshl_add_u32 v11, v25, 2, -4
	ds_read_b32 v27, v11
	s_waitcnt lgkmcnt(0)
	v_add_u32_e32 v10, v27, v10
.LBB2925_31:
	s_or_b64 exec, exec, s[30:31]
	v_add_u32_e32 v11, -1, v24
	v_and_b32_e32 v12, 64, v24
	v_cmp_lt_i32_e64 s[16:17], v11, v12
	v_cndmask_b32_e64 v11, v11, v24, s[16:17]
	v_lshlrev_b32_e32 v11, 2, v11
	ds_bpermute_b32 v28, v11, v10
	v_cmp_eq_u32_e64 s[16:17], 0, v24
	s_and_saveexec_b64 s[30:31], vcc
	s_cbranch_execz .LBB2925_54
; %bb.32:
	v_mov_b32_e32 v19, 0
	ds_read_b32 v10, v19 offset:8
	s_and_saveexec_b64 s[34:35], s[16:17]
	s_cbranch_execz .LBB2925_34
; %bb.33:
	s_add_i32 s36, s6, 64
	s_mov_b32 s37, 0
	s_lshl_b64 s[36:37], s[36:37], 3
	s_add_u32 s36, s28, s36
	v_mov_b32_e32 v11, 1
	s_addc_u32 s37, s29, s37
	s_waitcnt lgkmcnt(0)
	global_store_dwordx2 v19, v[10:11], s[36:37]
.LBB2925_34:
	s_or_b64 exec, exec, s[34:35]
	v_xad_u32 v12, v24, -1, s6
	v_add_u32_e32 v18, 64, v12
	v_lshlrev_b64 v[14:15], 3, v[18:19]
	v_mov_b32_e32 v11, s29
	v_add_co_u32_e32 v14, vcc, s28, v14
	v_addc_co_u32_e32 v15, vcc, v11, v15, vcc
	global_load_dwordx2 v[16:17], v[14:15], off glc
	s_waitcnt vmcnt(0)
	v_cmp_eq_u16_sdwa s[36:37], v17, v19 src0_sel:BYTE_0 src1_sel:DWORD
	s_and_saveexec_b64 s[34:35], s[36:37]
	s_cbranch_execz .LBB2925_40
; %bb.35:
	s_mov_b32 s7, 1
	s_mov_b64 s[36:37], 0
	v_mov_b32_e32 v11, 0
.LBB2925_36:                            ; =>This Loop Header: Depth=1
                                        ;     Child Loop BB2925_37 Depth 2
	s_max_u32 s38, s7, 1
.LBB2925_37:                            ;   Parent Loop BB2925_36 Depth=1
                                        ; =>  This Inner Loop Header: Depth=2
	s_add_i32 s38, s38, -1
	s_cmp_eq_u32 s38, 0
	s_sleep 1
	s_cbranch_scc0 .LBB2925_37
; %bb.38:                               ;   in Loop: Header=BB2925_36 Depth=1
	global_load_dwordx2 v[16:17], v[14:15], off glc
	s_cmp_lt_u32 s7, 32
	s_cselect_b64 s[38:39], -1, 0
	s_cmp_lg_u64 s[38:39], 0
	s_addc_u32 s7, s7, 0
	s_waitcnt vmcnt(0)
	v_cmp_ne_u16_sdwa s[38:39], v17, v11 src0_sel:BYTE_0 src1_sel:DWORD
	s_or_b64 s[36:37], s[38:39], s[36:37]
	s_andn2_b64 exec, exec, s[36:37]
	s_cbranch_execnz .LBB2925_36
; %bb.39:
	s_or_b64 exec, exec, s[36:37]
.LBB2925_40:
	s_or_b64 exec, exec, s[34:35]
	v_and_b32_e32 v30, 63, v24
	v_mov_b32_e32 v29, 2
	v_cmp_ne_u32_e32 vcc, 63, v30
	v_cmp_eq_u16_sdwa s[34:35], v17, v29 src0_sel:BYTE_0 src1_sel:DWORD
	v_lshlrev_b64 v[14:15], v24, -1
	v_addc_co_u32_e32 v18, vcc, 0, v24, vcc
	v_and_b32_e32 v11, s35, v15
	v_lshlrev_b32_e32 v31, 2, v18
	v_or_b32_e32 v11, 0x80000000, v11
	ds_bpermute_b32 v18, v31, v16
	v_and_b32_e32 v13, s34, v14
	v_ffbl_b32_e32 v11, v11
	v_add_u32_e32 v11, 32, v11
	v_ffbl_b32_e32 v13, v13
	v_min_u32_e32 v11, v13, v11
	v_cmp_lt_u32_e32 vcc, v30, v11
	s_waitcnt lgkmcnt(0)
	v_cndmask_b32_e32 v13, 0, v18, vcc
	v_cmp_gt_u32_e32 vcc, 62, v30
	v_add_u32_e32 v13, v13, v16
	v_cndmask_b32_e64 v16, 0, 1, vcc
	v_lshlrev_b32_e32 v16, 1, v16
	v_add_lshl_u32 v32, v16, v24, 2
	ds_bpermute_b32 v16, v32, v13
	v_add_u32_e32 v33, 2, v30
	v_cmp_le_u32_e32 vcc, v33, v11
	v_add_u32_e32 v35, 4, v30
	v_add_u32_e32 v37, 8, v30
	s_waitcnt lgkmcnt(0)
	v_cndmask_b32_e32 v16, 0, v16, vcc
	v_cmp_gt_u32_e32 vcc, 60, v30
	v_add_u32_e32 v13, v13, v16
	v_cndmask_b32_e64 v16, 0, 1, vcc
	v_lshlrev_b32_e32 v16, 2, v16
	v_add_lshl_u32 v34, v16, v24, 2
	ds_bpermute_b32 v16, v34, v13
	v_cmp_le_u32_e32 vcc, v35, v11
	v_add_u32_e32 v39, 16, v30
	v_add_u32_e32 v41, 32, v30
	s_waitcnt lgkmcnt(0)
	v_cndmask_b32_e32 v16, 0, v16, vcc
	v_cmp_gt_u32_e32 vcc, 56, v30
	v_add_u32_e32 v13, v13, v16
	v_cndmask_b32_e64 v16, 0, 1, vcc
	v_lshlrev_b32_e32 v16, 3, v16
	v_add_lshl_u32 v36, v16, v24, 2
	ds_bpermute_b32 v16, v36, v13
	v_cmp_le_u32_e32 vcc, v37, v11
	s_waitcnt lgkmcnt(0)
	v_cndmask_b32_e32 v16, 0, v16, vcc
	v_cmp_gt_u32_e32 vcc, 48, v30
	v_add_u32_e32 v13, v13, v16
	v_cndmask_b32_e64 v16, 0, 1, vcc
	v_lshlrev_b32_e32 v16, 4, v16
	v_add_lshl_u32 v38, v16, v24, 2
	ds_bpermute_b32 v16, v38, v13
	v_cmp_le_u32_e32 vcc, v39, v11
	;; [unrolled: 9-line block ×3, first 2 shown]
	s_waitcnt lgkmcnt(0)
	v_cndmask_b32_e32 v11, 0, v16, vcc
	v_add_u32_e32 v16, v13, v11
	v_mov_b32_e32 v13, 0
	s_branch .LBB2925_42
.LBB2925_41:                            ;   in Loop: Header=BB2925_42 Depth=1
	s_or_b64 exec, exec, s[34:35]
	v_cmp_eq_u16_sdwa s[34:35], v17, v29 src0_sel:BYTE_0 src1_sel:DWORD
	v_and_b32_e32 v18, s35, v15
	v_or_b32_e32 v18, 0x80000000, v18
	ds_bpermute_b32 v42, v31, v16
	v_and_b32_e32 v19, s34, v14
	v_ffbl_b32_e32 v18, v18
	v_add_u32_e32 v18, 32, v18
	v_ffbl_b32_e32 v19, v19
	v_min_u32_e32 v18, v19, v18
	v_cmp_lt_u32_e32 vcc, v30, v18
	s_waitcnt lgkmcnt(0)
	v_cndmask_b32_e32 v19, 0, v42, vcc
	v_add_u32_e32 v16, v19, v16
	ds_bpermute_b32 v19, v32, v16
	v_cmp_le_u32_e32 vcc, v33, v18
	v_subrev_u32_e32 v12, 64, v12
	s_waitcnt lgkmcnt(0)
	v_cndmask_b32_e32 v19, 0, v19, vcc
	v_add_u32_e32 v16, v16, v19
	ds_bpermute_b32 v19, v34, v16
	v_cmp_le_u32_e32 vcc, v35, v18
	s_waitcnt lgkmcnt(0)
	v_cndmask_b32_e32 v19, 0, v19, vcc
	v_add_u32_e32 v16, v16, v19
	ds_bpermute_b32 v19, v36, v16
	v_cmp_le_u32_e32 vcc, v37, v18
	;; [unrolled: 5-line block ×4, first 2 shown]
	s_waitcnt lgkmcnt(0)
	v_cndmask_b32_e32 v18, 0, v19, vcc
	v_add3_u32 v16, v18, v11, v16
.LBB2925_42:                            ; =>This Loop Header: Depth=1
                                        ;     Child Loop BB2925_45 Depth 2
                                        ;       Child Loop BB2925_46 Depth 3
	v_cmp_ne_u16_sdwa s[34:35], v17, v29 src0_sel:BYTE_0 src1_sel:DWORD
	v_cndmask_b32_e64 v11, 0, 1, s[34:35]
	;;#ASMSTART
	;;#ASMEND
	v_cmp_ne_u32_e32 vcc, 0, v11
	s_cmp_lg_u64 vcc, exec
	v_mov_b32_e32 v11, v16
	s_cbranch_scc1 .LBB2925_49
; %bb.43:                               ;   in Loop: Header=BB2925_42 Depth=1
	v_lshlrev_b64 v[16:17], 3, v[12:13]
	v_mov_b32_e32 v19, s29
	v_add_co_u32_e32 v18, vcc, s28, v16
	v_addc_co_u32_e32 v19, vcc, v19, v17, vcc
	global_load_dwordx2 v[16:17], v[18:19], off glc
	s_waitcnt vmcnt(0)
	v_cmp_eq_u16_sdwa s[36:37], v17, v13 src0_sel:BYTE_0 src1_sel:DWORD
	s_and_saveexec_b64 s[34:35], s[36:37]
	s_cbranch_execz .LBB2925_41
; %bb.44:                               ;   in Loop: Header=BB2925_42 Depth=1
	s_mov_b32 s7, 1
	s_mov_b64 s[36:37], 0
.LBB2925_45:                            ;   Parent Loop BB2925_42 Depth=1
                                        ; =>  This Loop Header: Depth=2
                                        ;       Child Loop BB2925_46 Depth 3
	s_max_u32 s38, s7, 1
.LBB2925_46:                            ;   Parent Loop BB2925_42 Depth=1
                                        ;     Parent Loop BB2925_45 Depth=2
                                        ; =>    This Inner Loop Header: Depth=3
	s_add_i32 s38, s38, -1
	s_cmp_eq_u32 s38, 0
	s_sleep 1
	s_cbranch_scc0 .LBB2925_46
; %bb.47:                               ;   in Loop: Header=BB2925_45 Depth=2
	global_load_dwordx2 v[16:17], v[18:19], off glc
	s_cmp_lt_u32 s7, 32
	s_cselect_b64 s[38:39], -1, 0
	s_cmp_lg_u64 s[38:39], 0
	s_addc_u32 s7, s7, 0
	s_waitcnt vmcnt(0)
	v_cmp_ne_u16_sdwa s[38:39], v17, v13 src0_sel:BYTE_0 src1_sel:DWORD
	s_or_b64 s[36:37], s[38:39], s[36:37]
	s_andn2_b64 exec, exec, s[36:37]
	s_cbranch_execnz .LBB2925_45
; %bb.48:                               ;   in Loop: Header=BB2925_42 Depth=1
	s_or_b64 exec, exec, s[36:37]
	s_branch .LBB2925_41
.LBB2925_49:                            ;   in Loop: Header=BB2925_42 Depth=1
                                        ; implicit-def: $vgpr16
                                        ; implicit-def: $vgpr17
	s_cbranch_execz .LBB2925_42
; %bb.50:
	s_and_saveexec_b64 s[34:35], s[16:17]
	s_cbranch_execz .LBB2925_52
; %bb.51:
	s_add_i32 s6, s6, 64
	s_mov_b32 s7, 0
	s_lshl_b64 s[6:7], s[6:7], 3
	s_add_u32 s6, s28, s6
	v_add_u32_e32 v12, v11, v10
	v_mov_b32_e32 v13, 2
	s_addc_u32 s7, s29, s7
	v_mov_b32_e32 v14, 0
	global_store_dwordx2 v14, v[12:13], s[6:7]
	ds_write_b64 v14, v[10:11] offset:6336
.LBB2925_52:
	s_or_b64 exec, exec, s[34:35]
	v_cmp_eq_u32_e32 vcc, 0, v0
	s_and_b64 exec, exec, vcc
	s_cbranch_execz .LBB2925_54
; %bb.53:
	v_mov_b32_e32 v10, 0
	ds_write_b32 v10, v11 offset:8
.LBB2925_54:
	s_or_b64 exec, exec, s[30:31]
	v_mov_b32_e32 v10, 0
	s_waitcnt lgkmcnt(0)
	s_barrier
	ds_read_b32 v11, v10 offset:8
	v_cndmask_b32_e64 v12, v28, v27, s[16:17]
	v_cmp_ne_u32_e32 vcc, 0, v0
	v_cndmask_b32_e32 v12, 0, v12, vcc
	s_waitcnt lgkmcnt(0)
	v_add_u32_e32 v15, v11, v12
	s_barrier
	ds_read_b64 v[10:11], v10 offset:6336
	v_add_u32_sdwa v16, v15, v22 dst_sel:DWORD dst_unused:UNUSED_PAD src0_sel:DWORD src1_sel:BYTE_0
	v_add_u32_sdwa v14, v16, v22 dst_sel:DWORD dst_unused:UNUSED_PAD src0_sel:DWORD src1_sel:BYTE_1
	v_add_u32_e32 v13, v14, v23
	s_waitcnt lgkmcnt(0)
	v_mov_b32_e32 v12, v11
	s_load_dwordx2 s[4:5], s[4:5], 0x30
	s_branch .LBB2925_65
.LBB2925_55:
                                        ; implicit-def: $vgpr12
                                        ; implicit-def: $vgpr10
                                        ; implicit-def: $vgpr13
                                        ; implicit-def: $vgpr14
                                        ; implicit-def: $vgpr16
                                        ; implicit-def: $vgpr15
	s_load_dwordx2 s[4:5], s[4:5], 0x30
	s_cbranch_execz .LBB2925_65
; %bb.56:
	v_mov_b32_dpp v10, v26 row_shr:1 row_mask:0xf bank_mask:0xf
	v_cndmask_b32_e64 v10, v10, 0, s[14:15]
	v_add_u32_e32 v10, v10, v26
	s_nop 1
	v_mov_b32_dpp v11, v10 row_shr:2 row_mask:0xf bank_mask:0xf
	v_cndmask_b32_e64 v11, 0, v11, s[12:13]
	v_add_u32_e32 v10, v10, v11
	s_nop 1
	;; [unrolled: 4-line block ×4, first 2 shown]
	v_mov_b32_dpp v11, v10 row_bcast:15 row_mask:0xf bank_mask:0xf
	v_cndmask_b32_e64 v11, v11, 0, s[2:3]
	v_add_u32_e32 v10, v10, v11
	s_nop 1
	v_mov_b32_dpp v11, v10 row_bcast:31 row_mask:0xf bank_mask:0xf
	v_cndmask_b32_e64 v11, 0, v11, s[0:1]
	v_add_u32_e32 v10, v10, v11
	s_and_saveexec_b64 s[0:1], s[18:19]
	s_cbranch_execz .LBB2925_58
; %bb.57:
	v_lshlrev_b32_e32 v11, 2, v25
	ds_write_b32 v11, v10
.LBB2925_58:
	s_or_b64 exec, exec, s[0:1]
	v_cmp_gt_u32_e32 vcc, 3, v0
	s_waitcnt lgkmcnt(0)
	s_barrier
	s_and_saveexec_b64 s[0:1], vcc
	s_cbranch_execz .LBB2925_60
; %bb.59:
	ds_read_b32 v11, v20
	v_and_b32_e32 v12, 3, v24
	v_cmp_ne_u32_e32 vcc, 0, v12
	s_waitcnt lgkmcnt(0)
	v_mov_b32_dpp v13, v11 row_shr:1 row_mask:0xf bank_mask:0xf
	v_cndmask_b32_e32 v13, 0, v13, vcc
	v_add_u32_e32 v11, v13, v11
	v_cmp_lt_u32_e32 vcc, 1, v12
	s_nop 0
	v_mov_b32_dpp v13, v11 row_shr:2 row_mask:0xf bank_mask:0xf
	v_cndmask_b32_e32 v12, 0, v13, vcc
	v_add_u32_e32 v11, v11, v12
	ds_write_b32 v20, v11
.LBB2925_60:
	s_or_b64 exec, exec, s[0:1]
	v_cmp_lt_u32_e32 vcc, 63, v0
	v_mov_b32_e32 v11, 0
	v_mov_b32_e32 v12, 0
	s_waitcnt lgkmcnt(0)
	s_barrier
	s_and_saveexec_b64 s[0:1], vcc
	s_cbranch_execz .LBB2925_62
; %bb.61:
	v_lshl_add_u32 v12, v25, 2, -4
	ds_read_b32 v12, v12
.LBB2925_62:
	s_or_b64 exec, exec, s[0:1]
	v_add_u32_e32 v13, -1, v24
	v_and_b32_e32 v14, 64, v24
	v_cmp_lt_i32_e32 vcc, v13, v14
	v_cndmask_b32_e32 v13, v13, v24, vcc
	s_waitcnt lgkmcnt(0)
	v_add_u32_e32 v10, v12, v10
	v_lshlrev_b32_e32 v13, 2, v13
	ds_bpermute_b32 v13, v13, v10
	ds_read_b32 v10, v11 offset:8
	v_cmp_eq_u32_e32 vcc, 0, v0
	s_and_saveexec_b64 s[0:1], vcc
	s_cbranch_execz .LBB2925_64
; %bb.63:
	v_mov_b32_e32 v14, 0
	v_mov_b32_e32 v11, 2
	s_waitcnt lgkmcnt(0)
	global_store_dwordx2 v14, v[10:11], s[28:29] offset:512
.LBB2925_64:
	s_or_b64 exec, exec, s[0:1]
	v_cmp_eq_u32_e64 s[0:1], 0, v24
	s_waitcnt lgkmcnt(1)
	v_cndmask_b32_e64 v11, v13, v12, s[0:1]
	v_cndmask_b32_e64 v15, v11, 0, vcc
	v_add_u32_sdwa v16, v15, v22 dst_sel:DWORD dst_unused:UNUSED_PAD src0_sel:DWORD src1_sel:BYTE_0
	v_add_u32_sdwa v14, v16, v22 dst_sel:DWORD dst_unused:UNUSED_PAD src0_sel:DWORD src1_sel:BYTE_1
	v_mov_b32_e32 v12, 0
	v_add_u32_e32 v13, v14, v23
	s_waitcnt lgkmcnt(0)
	s_barrier
.LBB2925_65:
	v_add_u32_e32 v17, v10, v20
	v_sub_u32_e32 v15, v15, v12
	v_and_b32_e32 v19, 1, v22
	v_sub_u32_e32 v18, v17, v15
	v_cmp_eq_u32_e32 vcc, 1, v19
	v_cndmask_b32_e32 v15, v18, v15, vcc
	v_lshlrev_b32_e32 v15, 3, v15
	v_lshrrev_b32_e32 v11, 8, v22
	ds_write_b64 v15, v[6:7]
	v_sub_u32_e32 v6, v16, v12
	v_sub_u32_e32 v7, v17, v6
	v_and_b32_e32 v11, 1, v11
	v_add_u32_e32 v7, 1, v7
	v_cmp_eq_u32_e32 vcc, 1, v11
	v_cndmask_b32_e32 v6, v7, v6, vcc
	v_lshlrev_b32_e32 v6, 3, v6
	ds_write_b64 v6, v[8:9]
	v_sub_u32_e32 v6, v14, v12
	v_mov_b32_e32 v8, 1
	v_sub_u32_e32 v7, v17, v6
	v_and_b32_sdwa v8, v8, v22 dst_sel:DWORD dst_unused:UNUSED_PAD src0_sel:DWORD src1_sel:WORD_1
	v_add_u32_e32 v7, 2, v7
	v_cmp_eq_u32_e32 vcc, 1, v8
	v_cndmask_b32_e32 v6, v7, v6, vcc
	v_lshlrev_b32_e32 v6, 3, v6
	ds_write_b64 v6, v[2:3]
	v_sub_u32_e32 v2, v13, v12
	v_sub_u32_e32 v3, v17, v2
	v_and_b32_e32 v6, 1, v21
	v_add_u32_e32 v3, 3, v3
	v_cmp_eq_u32_e32 vcc, 1, v6
	v_cndmask_b32_e32 v2, v3, v2, vcc
	v_lshlrev_b32_e32 v2, 3, v2
	ds_write_b64 v2, v[4:5]
	s_waitcnt lgkmcnt(0)
	s_barrier
	ds_read2st64_b64 v[6:9], v1 offset1:3
	ds_read2st64_b64 v[2:5], v1 offset0:6 offset1:9
	v_add_u32_e32 v17, 0xc0, v0
	v_add_u32_e32 v16, 0x180, v0
	s_andn2_b64 vcc, exec, s[26:27]
	v_add_u32_e32 v11, 0x240, v0
	s_cbranch_vccnz .LBB2925_71
; %bb.66:
	s_lshl_b64 s[0:1], s[22:23], 3
	v_mov_b32_e32 v13, 0
	s_add_u32 s0, s4, s0
	s_addc_u32 s1, s5, s1
	v_lshlrev_b64 v[14:15], 3, v[12:13]
	v_mov_b32_e32 v13, s1
	v_add_co_u32_e32 v14, vcc, s0, v14
	v_addc_co_u32_e32 v15, vcc, v13, v15, vcc
	v_cmp_lt_u32_e32 vcc, v0, v10
	s_and_saveexec_b64 s[0:1], vcc
	s_cbranch_execnz .LBB2925_82
; %bb.67:
	s_or_b64 exec, exec, s[0:1]
	v_cmp_lt_u32_e32 vcc, v17, v10
	s_and_saveexec_b64 s[0:1], vcc
	s_cbranch_execnz .LBB2925_83
.LBB2925_68:
	s_or_b64 exec, exec, s[0:1]
	v_cmp_lt_u32_e32 vcc, v16, v10
	s_and_saveexec_b64 s[0:1], vcc
	s_cbranch_execz .LBB2925_70
.LBB2925_69:
	v_readfirstlane_b32 s2, v14
	v_readfirstlane_b32 s3, v15
	s_waitcnt lgkmcnt(0)
	s_nop 3
	global_store_dwordx2 v1, v[2:3], s[2:3] offset:3072
.LBB2925_70:
	s_or_b64 exec, exec, s[0:1]
	v_cmp_lt_u32_e64 s[0:1], v11, v10
	s_branch .LBB2925_77
.LBB2925_71:
	s_mov_b64 s[0:1], 0
                                        ; implicit-def: $vgpr14_vgpr15
	s_cbranch_execz .LBB2925_77
; %bb.72:
	s_lshl_b64 s[0:1], s[22:23], 3
	v_mov_b32_e32 v13, 0
	s_add_u32 s0, s4, s0
	s_addc_u32 s1, s5, s1
	v_lshlrev_b64 v[14:15], 3, v[12:13]
	v_mov_b32_e32 v13, s1
	v_add_co_u32_e32 v14, vcc, s0, v14
	v_min_u32_e32 v18, s33, v10
	v_addc_co_u32_e32 v15, vcc, v13, v15, vcc
	v_cmp_gt_u32_e32 vcc, v18, v0
	s_and_saveexec_b64 s[0:1], vcc
	s_cbranch_execnz .LBB2925_84
; %bb.73:
	s_or_b64 exec, exec, s[0:1]
	v_cmp_lt_u32_e32 vcc, v17, v18
	s_and_saveexec_b64 s[0:1], vcc
	s_cbranch_execnz .LBB2925_85
.LBB2925_74:
	s_or_b64 exec, exec, s[0:1]
	v_cmp_lt_u32_e32 vcc, v16, v18
	s_and_saveexec_b64 s[0:1], vcc
	s_cbranch_execz .LBB2925_76
.LBB2925_75:
	v_readfirstlane_b32 s2, v14
	v_readfirstlane_b32 s3, v15
	s_waitcnt lgkmcnt(0)
	s_nop 3
	global_store_dwordx2 v1, v[2:3], s[2:3] offset:3072
.LBB2925_76:
	s_or_b64 exec, exec, s[0:1]
	v_cmp_lt_u32_e64 s[0:1], v11, v18
.LBB2925_77:
	s_and_saveexec_b64 s[2:3], s[0:1]
	s_cbranch_execz .LBB2925_79
; %bb.78:
	v_lshlrev_b32_e32 v1, 3, v11
	v_readfirstlane_b32 s0, v14
	v_readfirstlane_b32 s1, v15
	s_waitcnt lgkmcnt(0)
	s_nop 3
	global_store_dwordx2 v1, v[4:5], s[0:1]
.LBB2925_79:
	s_or_b64 exec, exec, s[2:3]
	v_cmp_eq_u32_e32 vcc, 0, v0
	s_and_b64 s[0:1], vcc, s[24:25]
	s_and_saveexec_b64 s[2:3], s[0:1]
	s_cbranch_execz .LBB2925_81
; %bb.80:
	v_mov_b32_e32 v0, s23
	v_add_co_u32_e32 v1, vcc, s22, v10
	s_waitcnt lgkmcnt(0)
	v_addc_co_u32_e32 v3, vcc, 0, v0, vcc
	v_add_co_u32_e32 v0, vcc, v1, v12
	v_mov_b32_e32 v2, 0
	v_addc_co_u32_e32 v1, vcc, 0, v3, vcc
	global_store_dwordx2 v2, v[0:1], s[20:21]
.LBB2925_81:
	s_endpgm
.LBB2925_82:
	v_readfirstlane_b32 s2, v14
	v_readfirstlane_b32 s3, v15
	s_waitcnt lgkmcnt(1)
	s_nop 3
	global_store_dwordx2 v1, v[6:7], s[2:3]
	s_or_b64 exec, exec, s[0:1]
	v_cmp_lt_u32_e32 vcc, v17, v10
	s_and_saveexec_b64 s[0:1], vcc
	s_cbranch_execz .LBB2925_68
.LBB2925_83:
	v_readfirstlane_b32 s2, v14
	v_readfirstlane_b32 s3, v15
	s_waitcnt lgkmcnt(1)
	s_nop 3
	global_store_dwordx2 v1, v[8:9], s[2:3] offset:1536
	s_or_b64 exec, exec, s[0:1]
	v_cmp_lt_u32_e32 vcc, v16, v10
	s_and_saveexec_b64 s[0:1], vcc
	s_cbranch_execnz .LBB2925_69
	s_branch .LBB2925_70
.LBB2925_84:
	v_readfirstlane_b32 s2, v14
	v_readfirstlane_b32 s3, v15
	s_waitcnt lgkmcnt(1)
	s_nop 3
	global_store_dwordx2 v1, v[6:7], s[2:3]
	s_or_b64 exec, exec, s[0:1]
	v_cmp_lt_u32_e32 vcc, v17, v18
	s_and_saveexec_b64 s[0:1], vcc
	s_cbranch_execz .LBB2925_74
.LBB2925_85:
	v_readfirstlane_b32 s2, v14
	v_readfirstlane_b32 s3, v15
	s_waitcnt lgkmcnt(1)
	s_nop 3
	global_store_dwordx2 v1, v[8:9], s[2:3] offset:1536
	s_or_b64 exec, exec, s[0:1]
	v_cmp_lt_u32_e32 vcc, v16, v18
	s_and_saveexec_b64 s[0:1], vcc
	s_cbranch_execnz .LBB2925_75
	s_branch .LBB2925_76
	.section	.rodata,"a",@progbits
	.p2align	6, 0x0
	.amdhsa_kernel _ZN7rocprim17ROCPRIM_400000_NS6detail17trampoline_kernelINS0_14default_configENS1_25partition_config_selectorILNS1_17partition_subalgoE1EyNS0_10empty_typeEbEEZZNS1_14partition_implILS5_1ELb0ES3_jN6thrust23THRUST_200600_302600_NS6detail15normal_iteratorINSA_10device_ptrIyEEEEPS6_NSA_18transform_iteratorI7is_evenIyESF_NSA_11use_defaultESK_EENS0_5tupleIJSF_NSA_16discard_iteratorISK_EEEEENSM_IJSG_SG_EEES6_PlJS6_EEE10hipError_tPvRmT3_T4_T5_T6_T7_T9_mT8_P12ihipStream_tbDpT10_ENKUlT_T0_E_clISt17integral_constantIbLb1EES1A_IbLb0EEEEDaS16_S17_EUlS16_E_NS1_11comp_targetILNS1_3genE4ELNS1_11target_archE910ELNS1_3gpuE8ELNS1_3repE0EEENS1_30default_config_static_selectorELNS0_4arch9wavefront6targetE1EEEvT1_
		.amdhsa_group_segment_fixed_size 6344
		.amdhsa_private_segment_fixed_size 0
		.amdhsa_kernarg_size 136
		.amdhsa_user_sgpr_count 6
		.amdhsa_user_sgpr_private_segment_buffer 1
		.amdhsa_user_sgpr_dispatch_ptr 0
		.amdhsa_user_sgpr_queue_ptr 0
		.amdhsa_user_sgpr_kernarg_segment_ptr 1
		.amdhsa_user_sgpr_dispatch_id 0
		.amdhsa_user_sgpr_flat_scratch_init 0
		.amdhsa_user_sgpr_kernarg_preload_length 0
		.amdhsa_user_sgpr_kernarg_preload_offset 0
		.amdhsa_user_sgpr_private_segment_size 0
		.amdhsa_uses_dynamic_stack 0
		.amdhsa_system_sgpr_private_segment_wavefront_offset 0
		.amdhsa_system_sgpr_workgroup_id_x 1
		.amdhsa_system_sgpr_workgroup_id_y 0
		.amdhsa_system_sgpr_workgroup_id_z 0
		.amdhsa_system_sgpr_workgroup_info 0
		.amdhsa_system_vgpr_workitem_id 0
		.amdhsa_next_free_vgpr 43
		.amdhsa_next_free_sgpr 40
		.amdhsa_accum_offset 44
		.amdhsa_reserve_vcc 1
		.amdhsa_reserve_flat_scratch 0
		.amdhsa_float_round_mode_32 0
		.amdhsa_float_round_mode_16_64 0
		.amdhsa_float_denorm_mode_32 3
		.amdhsa_float_denorm_mode_16_64 3
		.amdhsa_dx10_clamp 1
		.amdhsa_ieee_mode 1
		.amdhsa_fp16_overflow 0
		.amdhsa_tg_split 0
		.amdhsa_exception_fp_ieee_invalid_op 0
		.amdhsa_exception_fp_denorm_src 0
		.amdhsa_exception_fp_ieee_div_zero 0
		.amdhsa_exception_fp_ieee_overflow 0
		.amdhsa_exception_fp_ieee_underflow 0
		.amdhsa_exception_fp_ieee_inexact 0
		.amdhsa_exception_int_div_zero 0
	.end_amdhsa_kernel
	.section	.text._ZN7rocprim17ROCPRIM_400000_NS6detail17trampoline_kernelINS0_14default_configENS1_25partition_config_selectorILNS1_17partition_subalgoE1EyNS0_10empty_typeEbEEZZNS1_14partition_implILS5_1ELb0ES3_jN6thrust23THRUST_200600_302600_NS6detail15normal_iteratorINSA_10device_ptrIyEEEEPS6_NSA_18transform_iteratorI7is_evenIyESF_NSA_11use_defaultESK_EENS0_5tupleIJSF_NSA_16discard_iteratorISK_EEEEENSM_IJSG_SG_EEES6_PlJS6_EEE10hipError_tPvRmT3_T4_T5_T6_T7_T9_mT8_P12ihipStream_tbDpT10_ENKUlT_T0_E_clISt17integral_constantIbLb1EES1A_IbLb0EEEEDaS16_S17_EUlS16_E_NS1_11comp_targetILNS1_3genE4ELNS1_11target_archE910ELNS1_3gpuE8ELNS1_3repE0EEENS1_30default_config_static_selectorELNS0_4arch9wavefront6targetE1EEEvT1_,"axG",@progbits,_ZN7rocprim17ROCPRIM_400000_NS6detail17trampoline_kernelINS0_14default_configENS1_25partition_config_selectorILNS1_17partition_subalgoE1EyNS0_10empty_typeEbEEZZNS1_14partition_implILS5_1ELb0ES3_jN6thrust23THRUST_200600_302600_NS6detail15normal_iteratorINSA_10device_ptrIyEEEEPS6_NSA_18transform_iteratorI7is_evenIyESF_NSA_11use_defaultESK_EENS0_5tupleIJSF_NSA_16discard_iteratorISK_EEEEENSM_IJSG_SG_EEES6_PlJS6_EEE10hipError_tPvRmT3_T4_T5_T6_T7_T9_mT8_P12ihipStream_tbDpT10_ENKUlT_T0_E_clISt17integral_constantIbLb1EES1A_IbLb0EEEEDaS16_S17_EUlS16_E_NS1_11comp_targetILNS1_3genE4ELNS1_11target_archE910ELNS1_3gpuE8ELNS1_3repE0EEENS1_30default_config_static_selectorELNS0_4arch9wavefront6targetE1EEEvT1_,comdat
.Lfunc_end2925:
	.size	_ZN7rocprim17ROCPRIM_400000_NS6detail17trampoline_kernelINS0_14default_configENS1_25partition_config_selectorILNS1_17partition_subalgoE1EyNS0_10empty_typeEbEEZZNS1_14partition_implILS5_1ELb0ES3_jN6thrust23THRUST_200600_302600_NS6detail15normal_iteratorINSA_10device_ptrIyEEEEPS6_NSA_18transform_iteratorI7is_evenIyESF_NSA_11use_defaultESK_EENS0_5tupleIJSF_NSA_16discard_iteratorISK_EEEEENSM_IJSG_SG_EEES6_PlJS6_EEE10hipError_tPvRmT3_T4_T5_T6_T7_T9_mT8_P12ihipStream_tbDpT10_ENKUlT_T0_E_clISt17integral_constantIbLb1EES1A_IbLb0EEEEDaS16_S17_EUlS16_E_NS1_11comp_targetILNS1_3genE4ELNS1_11target_archE910ELNS1_3gpuE8ELNS1_3repE0EEENS1_30default_config_static_selectorELNS0_4arch9wavefront6targetE1EEEvT1_, .Lfunc_end2925-_ZN7rocprim17ROCPRIM_400000_NS6detail17trampoline_kernelINS0_14default_configENS1_25partition_config_selectorILNS1_17partition_subalgoE1EyNS0_10empty_typeEbEEZZNS1_14partition_implILS5_1ELb0ES3_jN6thrust23THRUST_200600_302600_NS6detail15normal_iteratorINSA_10device_ptrIyEEEEPS6_NSA_18transform_iteratorI7is_evenIyESF_NSA_11use_defaultESK_EENS0_5tupleIJSF_NSA_16discard_iteratorISK_EEEEENSM_IJSG_SG_EEES6_PlJS6_EEE10hipError_tPvRmT3_T4_T5_T6_T7_T9_mT8_P12ihipStream_tbDpT10_ENKUlT_T0_E_clISt17integral_constantIbLb1EES1A_IbLb0EEEEDaS16_S17_EUlS16_E_NS1_11comp_targetILNS1_3genE4ELNS1_11target_archE910ELNS1_3gpuE8ELNS1_3repE0EEENS1_30default_config_static_selectorELNS0_4arch9wavefront6targetE1EEEvT1_
                                        ; -- End function
	.section	.AMDGPU.csdata,"",@progbits
; Kernel info:
; codeLenInByte = 4052
; NumSgprs: 44
; NumVgprs: 43
; NumAgprs: 0
; TotalNumVgprs: 43
; ScratchSize: 0
; MemoryBound: 0
; FloatMode: 240
; IeeeMode: 1
; LDSByteSize: 6344 bytes/workgroup (compile time only)
; SGPRBlocks: 5
; VGPRBlocks: 5
; NumSGPRsForWavesPerEU: 44
; NumVGPRsForWavesPerEU: 43
; AccumOffset: 44
; Occupancy: 8
; WaveLimiterHint : 1
; COMPUTE_PGM_RSRC2:SCRATCH_EN: 0
; COMPUTE_PGM_RSRC2:USER_SGPR: 6
; COMPUTE_PGM_RSRC2:TRAP_HANDLER: 0
; COMPUTE_PGM_RSRC2:TGID_X_EN: 1
; COMPUTE_PGM_RSRC2:TGID_Y_EN: 0
; COMPUTE_PGM_RSRC2:TGID_Z_EN: 0
; COMPUTE_PGM_RSRC2:TIDIG_COMP_CNT: 0
; COMPUTE_PGM_RSRC3_GFX90A:ACCUM_OFFSET: 10
; COMPUTE_PGM_RSRC3_GFX90A:TG_SPLIT: 0
	.section	.text._ZN7rocprim17ROCPRIM_400000_NS6detail17trampoline_kernelINS0_14default_configENS1_25partition_config_selectorILNS1_17partition_subalgoE1EyNS0_10empty_typeEbEEZZNS1_14partition_implILS5_1ELb0ES3_jN6thrust23THRUST_200600_302600_NS6detail15normal_iteratorINSA_10device_ptrIyEEEEPS6_NSA_18transform_iteratorI7is_evenIyESF_NSA_11use_defaultESK_EENS0_5tupleIJSF_NSA_16discard_iteratorISK_EEEEENSM_IJSG_SG_EEES6_PlJS6_EEE10hipError_tPvRmT3_T4_T5_T6_T7_T9_mT8_P12ihipStream_tbDpT10_ENKUlT_T0_E_clISt17integral_constantIbLb1EES1A_IbLb0EEEEDaS16_S17_EUlS16_E_NS1_11comp_targetILNS1_3genE3ELNS1_11target_archE908ELNS1_3gpuE7ELNS1_3repE0EEENS1_30default_config_static_selectorELNS0_4arch9wavefront6targetE1EEEvT1_,"axG",@progbits,_ZN7rocprim17ROCPRIM_400000_NS6detail17trampoline_kernelINS0_14default_configENS1_25partition_config_selectorILNS1_17partition_subalgoE1EyNS0_10empty_typeEbEEZZNS1_14partition_implILS5_1ELb0ES3_jN6thrust23THRUST_200600_302600_NS6detail15normal_iteratorINSA_10device_ptrIyEEEEPS6_NSA_18transform_iteratorI7is_evenIyESF_NSA_11use_defaultESK_EENS0_5tupleIJSF_NSA_16discard_iteratorISK_EEEEENSM_IJSG_SG_EEES6_PlJS6_EEE10hipError_tPvRmT3_T4_T5_T6_T7_T9_mT8_P12ihipStream_tbDpT10_ENKUlT_T0_E_clISt17integral_constantIbLb1EES1A_IbLb0EEEEDaS16_S17_EUlS16_E_NS1_11comp_targetILNS1_3genE3ELNS1_11target_archE908ELNS1_3gpuE7ELNS1_3repE0EEENS1_30default_config_static_selectorELNS0_4arch9wavefront6targetE1EEEvT1_,comdat
	.protected	_ZN7rocprim17ROCPRIM_400000_NS6detail17trampoline_kernelINS0_14default_configENS1_25partition_config_selectorILNS1_17partition_subalgoE1EyNS0_10empty_typeEbEEZZNS1_14partition_implILS5_1ELb0ES3_jN6thrust23THRUST_200600_302600_NS6detail15normal_iteratorINSA_10device_ptrIyEEEEPS6_NSA_18transform_iteratorI7is_evenIyESF_NSA_11use_defaultESK_EENS0_5tupleIJSF_NSA_16discard_iteratorISK_EEEEENSM_IJSG_SG_EEES6_PlJS6_EEE10hipError_tPvRmT3_T4_T5_T6_T7_T9_mT8_P12ihipStream_tbDpT10_ENKUlT_T0_E_clISt17integral_constantIbLb1EES1A_IbLb0EEEEDaS16_S17_EUlS16_E_NS1_11comp_targetILNS1_3genE3ELNS1_11target_archE908ELNS1_3gpuE7ELNS1_3repE0EEENS1_30default_config_static_selectorELNS0_4arch9wavefront6targetE1EEEvT1_ ; -- Begin function _ZN7rocprim17ROCPRIM_400000_NS6detail17trampoline_kernelINS0_14default_configENS1_25partition_config_selectorILNS1_17partition_subalgoE1EyNS0_10empty_typeEbEEZZNS1_14partition_implILS5_1ELb0ES3_jN6thrust23THRUST_200600_302600_NS6detail15normal_iteratorINSA_10device_ptrIyEEEEPS6_NSA_18transform_iteratorI7is_evenIyESF_NSA_11use_defaultESK_EENS0_5tupleIJSF_NSA_16discard_iteratorISK_EEEEENSM_IJSG_SG_EEES6_PlJS6_EEE10hipError_tPvRmT3_T4_T5_T6_T7_T9_mT8_P12ihipStream_tbDpT10_ENKUlT_T0_E_clISt17integral_constantIbLb1EES1A_IbLb0EEEEDaS16_S17_EUlS16_E_NS1_11comp_targetILNS1_3genE3ELNS1_11target_archE908ELNS1_3gpuE7ELNS1_3repE0EEENS1_30default_config_static_selectorELNS0_4arch9wavefront6targetE1EEEvT1_
	.globl	_ZN7rocprim17ROCPRIM_400000_NS6detail17trampoline_kernelINS0_14default_configENS1_25partition_config_selectorILNS1_17partition_subalgoE1EyNS0_10empty_typeEbEEZZNS1_14partition_implILS5_1ELb0ES3_jN6thrust23THRUST_200600_302600_NS6detail15normal_iteratorINSA_10device_ptrIyEEEEPS6_NSA_18transform_iteratorI7is_evenIyESF_NSA_11use_defaultESK_EENS0_5tupleIJSF_NSA_16discard_iteratorISK_EEEEENSM_IJSG_SG_EEES6_PlJS6_EEE10hipError_tPvRmT3_T4_T5_T6_T7_T9_mT8_P12ihipStream_tbDpT10_ENKUlT_T0_E_clISt17integral_constantIbLb1EES1A_IbLb0EEEEDaS16_S17_EUlS16_E_NS1_11comp_targetILNS1_3genE3ELNS1_11target_archE908ELNS1_3gpuE7ELNS1_3repE0EEENS1_30default_config_static_selectorELNS0_4arch9wavefront6targetE1EEEvT1_
	.p2align	8
	.type	_ZN7rocprim17ROCPRIM_400000_NS6detail17trampoline_kernelINS0_14default_configENS1_25partition_config_selectorILNS1_17partition_subalgoE1EyNS0_10empty_typeEbEEZZNS1_14partition_implILS5_1ELb0ES3_jN6thrust23THRUST_200600_302600_NS6detail15normal_iteratorINSA_10device_ptrIyEEEEPS6_NSA_18transform_iteratorI7is_evenIyESF_NSA_11use_defaultESK_EENS0_5tupleIJSF_NSA_16discard_iteratorISK_EEEEENSM_IJSG_SG_EEES6_PlJS6_EEE10hipError_tPvRmT3_T4_T5_T6_T7_T9_mT8_P12ihipStream_tbDpT10_ENKUlT_T0_E_clISt17integral_constantIbLb1EES1A_IbLb0EEEEDaS16_S17_EUlS16_E_NS1_11comp_targetILNS1_3genE3ELNS1_11target_archE908ELNS1_3gpuE7ELNS1_3repE0EEENS1_30default_config_static_selectorELNS0_4arch9wavefront6targetE1EEEvT1_,@function
_ZN7rocprim17ROCPRIM_400000_NS6detail17trampoline_kernelINS0_14default_configENS1_25partition_config_selectorILNS1_17partition_subalgoE1EyNS0_10empty_typeEbEEZZNS1_14partition_implILS5_1ELb0ES3_jN6thrust23THRUST_200600_302600_NS6detail15normal_iteratorINSA_10device_ptrIyEEEEPS6_NSA_18transform_iteratorI7is_evenIyESF_NSA_11use_defaultESK_EENS0_5tupleIJSF_NSA_16discard_iteratorISK_EEEEENSM_IJSG_SG_EEES6_PlJS6_EEE10hipError_tPvRmT3_T4_T5_T6_T7_T9_mT8_P12ihipStream_tbDpT10_ENKUlT_T0_E_clISt17integral_constantIbLb1EES1A_IbLb0EEEEDaS16_S17_EUlS16_E_NS1_11comp_targetILNS1_3genE3ELNS1_11target_archE908ELNS1_3gpuE7ELNS1_3repE0EEENS1_30default_config_static_selectorELNS0_4arch9wavefront6targetE1EEEvT1_: ; @_ZN7rocprim17ROCPRIM_400000_NS6detail17trampoline_kernelINS0_14default_configENS1_25partition_config_selectorILNS1_17partition_subalgoE1EyNS0_10empty_typeEbEEZZNS1_14partition_implILS5_1ELb0ES3_jN6thrust23THRUST_200600_302600_NS6detail15normal_iteratorINSA_10device_ptrIyEEEEPS6_NSA_18transform_iteratorI7is_evenIyESF_NSA_11use_defaultESK_EENS0_5tupleIJSF_NSA_16discard_iteratorISK_EEEEENSM_IJSG_SG_EEES6_PlJS6_EEE10hipError_tPvRmT3_T4_T5_T6_T7_T9_mT8_P12ihipStream_tbDpT10_ENKUlT_T0_E_clISt17integral_constantIbLb1EES1A_IbLb0EEEEDaS16_S17_EUlS16_E_NS1_11comp_targetILNS1_3genE3ELNS1_11target_archE908ELNS1_3gpuE7ELNS1_3repE0EEENS1_30default_config_static_selectorELNS0_4arch9wavefront6targetE1EEEvT1_
; %bb.0:
	.section	.rodata,"a",@progbits
	.p2align	6, 0x0
	.amdhsa_kernel _ZN7rocprim17ROCPRIM_400000_NS6detail17trampoline_kernelINS0_14default_configENS1_25partition_config_selectorILNS1_17partition_subalgoE1EyNS0_10empty_typeEbEEZZNS1_14partition_implILS5_1ELb0ES3_jN6thrust23THRUST_200600_302600_NS6detail15normal_iteratorINSA_10device_ptrIyEEEEPS6_NSA_18transform_iteratorI7is_evenIyESF_NSA_11use_defaultESK_EENS0_5tupleIJSF_NSA_16discard_iteratorISK_EEEEENSM_IJSG_SG_EEES6_PlJS6_EEE10hipError_tPvRmT3_T4_T5_T6_T7_T9_mT8_P12ihipStream_tbDpT10_ENKUlT_T0_E_clISt17integral_constantIbLb1EES1A_IbLb0EEEEDaS16_S17_EUlS16_E_NS1_11comp_targetILNS1_3genE3ELNS1_11target_archE908ELNS1_3gpuE7ELNS1_3repE0EEENS1_30default_config_static_selectorELNS0_4arch9wavefront6targetE1EEEvT1_
		.amdhsa_group_segment_fixed_size 0
		.amdhsa_private_segment_fixed_size 0
		.amdhsa_kernarg_size 136
		.amdhsa_user_sgpr_count 6
		.amdhsa_user_sgpr_private_segment_buffer 1
		.amdhsa_user_sgpr_dispatch_ptr 0
		.amdhsa_user_sgpr_queue_ptr 0
		.amdhsa_user_sgpr_kernarg_segment_ptr 1
		.amdhsa_user_sgpr_dispatch_id 0
		.amdhsa_user_sgpr_flat_scratch_init 0
		.amdhsa_user_sgpr_kernarg_preload_length 0
		.amdhsa_user_sgpr_kernarg_preload_offset 0
		.amdhsa_user_sgpr_private_segment_size 0
		.amdhsa_uses_dynamic_stack 0
		.amdhsa_system_sgpr_private_segment_wavefront_offset 0
		.amdhsa_system_sgpr_workgroup_id_x 1
		.amdhsa_system_sgpr_workgroup_id_y 0
		.amdhsa_system_sgpr_workgroup_id_z 0
		.amdhsa_system_sgpr_workgroup_info 0
		.amdhsa_system_vgpr_workitem_id 0
		.amdhsa_next_free_vgpr 1
		.amdhsa_next_free_sgpr 0
		.amdhsa_accum_offset 4
		.amdhsa_reserve_vcc 0
		.amdhsa_reserve_flat_scratch 0
		.amdhsa_float_round_mode_32 0
		.amdhsa_float_round_mode_16_64 0
		.amdhsa_float_denorm_mode_32 3
		.amdhsa_float_denorm_mode_16_64 3
		.amdhsa_dx10_clamp 1
		.amdhsa_ieee_mode 1
		.amdhsa_fp16_overflow 0
		.amdhsa_tg_split 0
		.amdhsa_exception_fp_ieee_invalid_op 0
		.amdhsa_exception_fp_denorm_src 0
		.amdhsa_exception_fp_ieee_div_zero 0
		.amdhsa_exception_fp_ieee_overflow 0
		.amdhsa_exception_fp_ieee_underflow 0
		.amdhsa_exception_fp_ieee_inexact 0
		.amdhsa_exception_int_div_zero 0
	.end_amdhsa_kernel
	.section	.text._ZN7rocprim17ROCPRIM_400000_NS6detail17trampoline_kernelINS0_14default_configENS1_25partition_config_selectorILNS1_17partition_subalgoE1EyNS0_10empty_typeEbEEZZNS1_14partition_implILS5_1ELb0ES3_jN6thrust23THRUST_200600_302600_NS6detail15normal_iteratorINSA_10device_ptrIyEEEEPS6_NSA_18transform_iteratorI7is_evenIyESF_NSA_11use_defaultESK_EENS0_5tupleIJSF_NSA_16discard_iteratorISK_EEEEENSM_IJSG_SG_EEES6_PlJS6_EEE10hipError_tPvRmT3_T4_T5_T6_T7_T9_mT8_P12ihipStream_tbDpT10_ENKUlT_T0_E_clISt17integral_constantIbLb1EES1A_IbLb0EEEEDaS16_S17_EUlS16_E_NS1_11comp_targetILNS1_3genE3ELNS1_11target_archE908ELNS1_3gpuE7ELNS1_3repE0EEENS1_30default_config_static_selectorELNS0_4arch9wavefront6targetE1EEEvT1_,"axG",@progbits,_ZN7rocprim17ROCPRIM_400000_NS6detail17trampoline_kernelINS0_14default_configENS1_25partition_config_selectorILNS1_17partition_subalgoE1EyNS0_10empty_typeEbEEZZNS1_14partition_implILS5_1ELb0ES3_jN6thrust23THRUST_200600_302600_NS6detail15normal_iteratorINSA_10device_ptrIyEEEEPS6_NSA_18transform_iteratorI7is_evenIyESF_NSA_11use_defaultESK_EENS0_5tupleIJSF_NSA_16discard_iteratorISK_EEEEENSM_IJSG_SG_EEES6_PlJS6_EEE10hipError_tPvRmT3_T4_T5_T6_T7_T9_mT8_P12ihipStream_tbDpT10_ENKUlT_T0_E_clISt17integral_constantIbLb1EES1A_IbLb0EEEEDaS16_S17_EUlS16_E_NS1_11comp_targetILNS1_3genE3ELNS1_11target_archE908ELNS1_3gpuE7ELNS1_3repE0EEENS1_30default_config_static_selectorELNS0_4arch9wavefront6targetE1EEEvT1_,comdat
.Lfunc_end2926:
	.size	_ZN7rocprim17ROCPRIM_400000_NS6detail17trampoline_kernelINS0_14default_configENS1_25partition_config_selectorILNS1_17partition_subalgoE1EyNS0_10empty_typeEbEEZZNS1_14partition_implILS5_1ELb0ES3_jN6thrust23THRUST_200600_302600_NS6detail15normal_iteratorINSA_10device_ptrIyEEEEPS6_NSA_18transform_iteratorI7is_evenIyESF_NSA_11use_defaultESK_EENS0_5tupleIJSF_NSA_16discard_iteratorISK_EEEEENSM_IJSG_SG_EEES6_PlJS6_EEE10hipError_tPvRmT3_T4_T5_T6_T7_T9_mT8_P12ihipStream_tbDpT10_ENKUlT_T0_E_clISt17integral_constantIbLb1EES1A_IbLb0EEEEDaS16_S17_EUlS16_E_NS1_11comp_targetILNS1_3genE3ELNS1_11target_archE908ELNS1_3gpuE7ELNS1_3repE0EEENS1_30default_config_static_selectorELNS0_4arch9wavefront6targetE1EEEvT1_, .Lfunc_end2926-_ZN7rocprim17ROCPRIM_400000_NS6detail17trampoline_kernelINS0_14default_configENS1_25partition_config_selectorILNS1_17partition_subalgoE1EyNS0_10empty_typeEbEEZZNS1_14partition_implILS5_1ELb0ES3_jN6thrust23THRUST_200600_302600_NS6detail15normal_iteratorINSA_10device_ptrIyEEEEPS6_NSA_18transform_iteratorI7is_evenIyESF_NSA_11use_defaultESK_EENS0_5tupleIJSF_NSA_16discard_iteratorISK_EEEEENSM_IJSG_SG_EEES6_PlJS6_EEE10hipError_tPvRmT3_T4_T5_T6_T7_T9_mT8_P12ihipStream_tbDpT10_ENKUlT_T0_E_clISt17integral_constantIbLb1EES1A_IbLb0EEEEDaS16_S17_EUlS16_E_NS1_11comp_targetILNS1_3genE3ELNS1_11target_archE908ELNS1_3gpuE7ELNS1_3repE0EEENS1_30default_config_static_selectorELNS0_4arch9wavefront6targetE1EEEvT1_
                                        ; -- End function
	.section	.AMDGPU.csdata,"",@progbits
; Kernel info:
; codeLenInByte = 0
; NumSgprs: 4
; NumVgprs: 0
; NumAgprs: 0
; TotalNumVgprs: 0
; ScratchSize: 0
; MemoryBound: 0
; FloatMode: 240
; IeeeMode: 1
; LDSByteSize: 0 bytes/workgroup (compile time only)
; SGPRBlocks: 0
; VGPRBlocks: 0
; NumSGPRsForWavesPerEU: 4
; NumVGPRsForWavesPerEU: 1
; AccumOffset: 4
; Occupancy: 8
; WaveLimiterHint : 0
; COMPUTE_PGM_RSRC2:SCRATCH_EN: 0
; COMPUTE_PGM_RSRC2:USER_SGPR: 6
; COMPUTE_PGM_RSRC2:TRAP_HANDLER: 0
; COMPUTE_PGM_RSRC2:TGID_X_EN: 1
; COMPUTE_PGM_RSRC2:TGID_Y_EN: 0
; COMPUTE_PGM_RSRC2:TGID_Z_EN: 0
; COMPUTE_PGM_RSRC2:TIDIG_COMP_CNT: 0
; COMPUTE_PGM_RSRC3_GFX90A:ACCUM_OFFSET: 0
; COMPUTE_PGM_RSRC3_GFX90A:TG_SPLIT: 0
	.section	.text._ZN7rocprim17ROCPRIM_400000_NS6detail17trampoline_kernelINS0_14default_configENS1_25partition_config_selectorILNS1_17partition_subalgoE1EyNS0_10empty_typeEbEEZZNS1_14partition_implILS5_1ELb0ES3_jN6thrust23THRUST_200600_302600_NS6detail15normal_iteratorINSA_10device_ptrIyEEEEPS6_NSA_18transform_iteratorI7is_evenIyESF_NSA_11use_defaultESK_EENS0_5tupleIJSF_NSA_16discard_iteratorISK_EEEEENSM_IJSG_SG_EEES6_PlJS6_EEE10hipError_tPvRmT3_T4_T5_T6_T7_T9_mT8_P12ihipStream_tbDpT10_ENKUlT_T0_E_clISt17integral_constantIbLb1EES1A_IbLb0EEEEDaS16_S17_EUlS16_E_NS1_11comp_targetILNS1_3genE2ELNS1_11target_archE906ELNS1_3gpuE6ELNS1_3repE0EEENS1_30default_config_static_selectorELNS0_4arch9wavefront6targetE1EEEvT1_,"axG",@progbits,_ZN7rocprim17ROCPRIM_400000_NS6detail17trampoline_kernelINS0_14default_configENS1_25partition_config_selectorILNS1_17partition_subalgoE1EyNS0_10empty_typeEbEEZZNS1_14partition_implILS5_1ELb0ES3_jN6thrust23THRUST_200600_302600_NS6detail15normal_iteratorINSA_10device_ptrIyEEEEPS6_NSA_18transform_iteratorI7is_evenIyESF_NSA_11use_defaultESK_EENS0_5tupleIJSF_NSA_16discard_iteratorISK_EEEEENSM_IJSG_SG_EEES6_PlJS6_EEE10hipError_tPvRmT3_T4_T5_T6_T7_T9_mT8_P12ihipStream_tbDpT10_ENKUlT_T0_E_clISt17integral_constantIbLb1EES1A_IbLb0EEEEDaS16_S17_EUlS16_E_NS1_11comp_targetILNS1_3genE2ELNS1_11target_archE906ELNS1_3gpuE6ELNS1_3repE0EEENS1_30default_config_static_selectorELNS0_4arch9wavefront6targetE1EEEvT1_,comdat
	.protected	_ZN7rocprim17ROCPRIM_400000_NS6detail17trampoline_kernelINS0_14default_configENS1_25partition_config_selectorILNS1_17partition_subalgoE1EyNS0_10empty_typeEbEEZZNS1_14partition_implILS5_1ELb0ES3_jN6thrust23THRUST_200600_302600_NS6detail15normal_iteratorINSA_10device_ptrIyEEEEPS6_NSA_18transform_iteratorI7is_evenIyESF_NSA_11use_defaultESK_EENS0_5tupleIJSF_NSA_16discard_iteratorISK_EEEEENSM_IJSG_SG_EEES6_PlJS6_EEE10hipError_tPvRmT3_T4_T5_T6_T7_T9_mT8_P12ihipStream_tbDpT10_ENKUlT_T0_E_clISt17integral_constantIbLb1EES1A_IbLb0EEEEDaS16_S17_EUlS16_E_NS1_11comp_targetILNS1_3genE2ELNS1_11target_archE906ELNS1_3gpuE6ELNS1_3repE0EEENS1_30default_config_static_selectorELNS0_4arch9wavefront6targetE1EEEvT1_ ; -- Begin function _ZN7rocprim17ROCPRIM_400000_NS6detail17trampoline_kernelINS0_14default_configENS1_25partition_config_selectorILNS1_17partition_subalgoE1EyNS0_10empty_typeEbEEZZNS1_14partition_implILS5_1ELb0ES3_jN6thrust23THRUST_200600_302600_NS6detail15normal_iteratorINSA_10device_ptrIyEEEEPS6_NSA_18transform_iteratorI7is_evenIyESF_NSA_11use_defaultESK_EENS0_5tupleIJSF_NSA_16discard_iteratorISK_EEEEENSM_IJSG_SG_EEES6_PlJS6_EEE10hipError_tPvRmT3_T4_T5_T6_T7_T9_mT8_P12ihipStream_tbDpT10_ENKUlT_T0_E_clISt17integral_constantIbLb1EES1A_IbLb0EEEEDaS16_S17_EUlS16_E_NS1_11comp_targetILNS1_3genE2ELNS1_11target_archE906ELNS1_3gpuE6ELNS1_3repE0EEENS1_30default_config_static_selectorELNS0_4arch9wavefront6targetE1EEEvT1_
	.globl	_ZN7rocprim17ROCPRIM_400000_NS6detail17trampoline_kernelINS0_14default_configENS1_25partition_config_selectorILNS1_17partition_subalgoE1EyNS0_10empty_typeEbEEZZNS1_14partition_implILS5_1ELb0ES3_jN6thrust23THRUST_200600_302600_NS6detail15normal_iteratorINSA_10device_ptrIyEEEEPS6_NSA_18transform_iteratorI7is_evenIyESF_NSA_11use_defaultESK_EENS0_5tupleIJSF_NSA_16discard_iteratorISK_EEEEENSM_IJSG_SG_EEES6_PlJS6_EEE10hipError_tPvRmT3_T4_T5_T6_T7_T9_mT8_P12ihipStream_tbDpT10_ENKUlT_T0_E_clISt17integral_constantIbLb1EES1A_IbLb0EEEEDaS16_S17_EUlS16_E_NS1_11comp_targetILNS1_3genE2ELNS1_11target_archE906ELNS1_3gpuE6ELNS1_3repE0EEENS1_30default_config_static_selectorELNS0_4arch9wavefront6targetE1EEEvT1_
	.p2align	8
	.type	_ZN7rocprim17ROCPRIM_400000_NS6detail17trampoline_kernelINS0_14default_configENS1_25partition_config_selectorILNS1_17partition_subalgoE1EyNS0_10empty_typeEbEEZZNS1_14partition_implILS5_1ELb0ES3_jN6thrust23THRUST_200600_302600_NS6detail15normal_iteratorINSA_10device_ptrIyEEEEPS6_NSA_18transform_iteratorI7is_evenIyESF_NSA_11use_defaultESK_EENS0_5tupleIJSF_NSA_16discard_iteratorISK_EEEEENSM_IJSG_SG_EEES6_PlJS6_EEE10hipError_tPvRmT3_T4_T5_T6_T7_T9_mT8_P12ihipStream_tbDpT10_ENKUlT_T0_E_clISt17integral_constantIbLb1EES1A_IbLb0EEEEDaS16_S17_EUlS16_E_NS1_11comp_targetILNS1_3genE2ELNS1_11target_archE906ELNS1_3gpuE6ELNS1_3repE0EEENS1_30default_config_static_selectorELNS0_4arch9wavefront6targetE1EEEvT1_,@function
_ZN7rocprim17ROCPRIM_400000_NS6detail17trampoline_kernelINS0_14default_configENS1_25partition_config_selectorILNS1_17partition_subalgoE1EyNS0_10empty_typeEbEEZZNS1_14partition_implILS5_1ELb0ES3_jN6thrust23THRUST_200600_302600_NS6detail15normal_iteratorINSA_10device_ptrIyEEEEPS6_NSA_18transform_iteratorI7is_evenIyESF_NSA_11use_defaultESK_EENS0_5tupleIJSF_NSA_16discard_iteratorISK_EEEEENSM_IJSG_SG_EEES6_PlJS6_EEE10hipError_tPvRmT3_T4_T5_T6_T7_T9_mT8_P12ihipStream_tbDpT10_ENKUlT_T0_E_clISt17integral_constantIbLb1EES1A_IbLb0EEEEDaS16_S17_EUlS16_E_NS1_11comp_targetILNS1_3genE2ELNS1_11target_archE906ELNS1_3gpuE6ELNS1_3repE0EEENS1_30default_config_static_selectorELNS0_4arch9wavefront6targetE1EEEvT1_: ; @_ZN7rocprim17ROCPRIM_400000_NS6detail17trampoline_kernelINS0_14default_configENS1_25partition_config_selectorILNS1_17partition_subalgoE1EyNS0_10empty_typeEbEEZZNS1_14partition_implILS5_1ELb0ES3_jN6thrust23THRUST_200600_302600_NS6detail15normal_iteratorINSA_10device_ptrIyEEEEPS6_NSA_18transform_iteratorI7is_evenIyESF_NSA_11use_defaultESK_EENS0_5tupleIJSF_NSA_16discard_iteratorISK_EEEEENSM_IJSG_SG_EEES6_PlJS6_EEE10hipError_tPvRmT3_T4_T5_T6_T7_T9_mT8_P12ihipStream_tbDpT10_ENKUlT_T0_E_clISt17integral_constantIbLb1EES1A_IbLb0EEEEDaS16_S17_EUlS16_E_NS1_11comp_targetILNS1_3genE2ELNS1_11target_archE906ELNS1_3gpuE6ELNS1_3repE0EEENS1_30default_config_static_selectorELNS0_4arch9wavefront6targetE1EEEvT1_
; %bb.0:
	.section	.rodata,"a",@progbits
	.p2align	6, 0x0
	.amdhsa_kernel _ZN7rocprim17ROCPRIM_400000_NS6detail17trampoline_kernelINS0_14default_configENS1_25partition_config_selectorILNS1_17partition_subalgoE1EyNS0_10empty_typeEbEEZZNS1_14partition_implILS5_1ELb0ES3_jN6thrust23THRUST_200600_302600_NS6detail15normal_iteratorINSA_10device_ptrIyEEEEPS6_NSA_18transform_iteratorI7is_evenIyESF_NSA_11use_defaultESK_EENS0_5tupleIJSF_NSA_16discard_iteratorISK_EEEEENSM_IJSG_SG_EEES6_PlJS6_EEE10hipError_tPvRmT3_T4_T5_T6_T7_T9_mT8_P12ihipStream_tbDpT10_ENKUlT_T0_E_clISt17integral_constantIbLb1EES1A_IbLb0EEEEDaS16_S17_EUlS16_E_NS1_11comp_targetILNS1_3genE2ELNS1_11target_archE906ELNS1_3gpuE6ELNS1_3repE0EEENS1_30default_config_static_selectorELNS0_4arch9wavefront6targetE1EEEvT1_
		.amdhsa_group_segment_fixed_size 0
		.amdhsa_private_segment_fixed_size 0
		.amdhsa_kernarg_size 136
		.amdhsa_user_sgpr_count 6
		.amdhsa_user_sgpr_private_segment_buffer 1
		.amdhsa_user_sgpr_dispatch_ptr 0
		.amdhsa_user_sgpr_queue_ptr 0
		.amdhsa_user_sgpr_kernarg_segment_ptr 1
		.amdhsa_user_sgpr_dispatch_id 0
		.amdhsa_user_sgpr_flat_scratch_init 0
		.amdhsa_user_sgpr_kernarg_preload_length 0
		.amdhsa_user_sgpr_kernarg_preload_offset 0
		.amdhsa_user_sgpr_private_segment_size 0
		.amdhsa_uses_dynamic_stack 0
		.amdhsa_system_sgpr_private_segment_wavefront_offset 0
		.amdhsa_system_sgpr_workgroup_id_x 1
		.amdhsa_system_sgpr_workgroup_id_y 0
		.amdhsa_system_sgpr_workgroup_id_z 0
		.amdhsa_system_sgpr_workgroup_info 0
		.amdhsa_system_vgpr_workitem_id 0
		.amdhsa_next_free_vgpr 1
		.amdhsa_next_free_sgpr 0
		.amdhsa_accum_offset 4
		.amdhsa_reserve_vcc 0
		.amdhsa_reserve_flat_scratch 0
		.amdhsa_float_round_mode_32 0
		.amdhsa_float_round_mode_16_64 0
		.amdhsa_float_denorm_mode_32 3
		.amdhsa_float_denorm_mode_16_64 3
		.amdhsa_dx10_clamp 1
		.amdhsa_ieee_mode 1
		.amdhsa_fp16_overflow 0
		.amdhsa_tg_split 0
		.amdhsa_exception_fp_ieee_invalid_op 0
		.amdhsa_exception_fp_denorm_src 0
		.amdhsa_exception_fp_ieee_div_zero 0
		.amdhsa_exception_fp_ieee_overflow 0
		.amdhsa_exception_fp_ieee_underflow 0
		.amdhsa_exception_fp_ieee_inexact 0
		.amdhsa_exception_int_div_zero 0
	.end_amdhsa_kernel
	.section	.text._ZN7rocprim17ROCPRIM_400000_NS6detail17trampoline_kernelINS0_14default_configENS1_25partition_config_selectorILNS1_17partition_subalgoE1EyNS0_10empty_typeEbEEZZNS1_14partition_implILS5_1ELb0ES3_jN6thrust23THRUST_200600_302600_NS6detail15normal_iteratorINSA_10device_ptrIyEEEEPS6_NSA_18transform_iteratorI7is_evenIyESF_NSA_11use_defaultESK_EENS0_5tupleIJSF_NSA_16discard_iteratorISK_EEEEENSM_IJSG_SG_EEES6_PlJS6_EEE10hipError_tPvRmT3_T4_T5_T6_T7_T9_mT8_P12ihipStream_tbDpT10_ENKUlT_T0_E_clISt17integral_constantIbLb1EES1A_IbLb0EEEEDaS16_S17_EUlS16_E_NS1_11comp_targetILNS1_3genE2ELNS1_11target_archE906ELNS1_3gpuE6ELNS1_3repE0EEENS1_30default_config_static_selectorELNS0_4arch9wavefront6targetE1EEEvT1_,"axG",@progbits,_ZN7rocprim17ROCPRIM_400000_NS6detail17trampoline_kernelINS0_14default_configENS1_25partition_config_selectorILNS1_17partition_subalgoE1EyNS0_10empty_typeEbEEZZNS1_14partition_implILS5_1ELb0ES3_jN6thrust23THRUST_200600_302600_NS6detail15normal_iteratorINSA_10device_ptrIyEEEEPS6_NSA_18transform_iteratorI7is_evenIyESF_NSA_11use_defaultESK_EENS0_5tupleIJSF_NSA_16discard_iteratorISK_EEEEENSM_IJSG_SG_EEES6_PlJS6_EEE10hipError_tPvRmT3_T4_T5_T6_T7_T9_mT8_P12ihipStream_tbDpT10_ENKUlT_T0_E_clISt17integral_constantIbLb1EES1A_IbLb0EEEEDaS16_S17_EUlS16_E_NS1_11comp_targetILNS1_3genE2ELNS1_11target_archE906ELNS1_3gpuE6ELNS1_3repE0EEENS1_30default_config_static_selectorELNS0_4arch9wavefront6targetE1EEEvT1_,comdat
.Lfunc_end2927:
	.size	_ZN7rocprim17ROCPRIM_400000_NS6detail17trampoline_kernelINS0_14default_configENS1_25partition_config_selectorILNS1_17partition_subalgoE1EyNS0_10empty_typeEbEEZZNS1_14partition_implILS5_1ELb0ES3_jN6thrust23THRUST_200600_302600_NS6detail15normal_iteratorINSA_10device_ptrIyEEEEPS6_NSA_18transform_iteratorI7is_evenIyESF_NSA_11use_defaultESK_EENS0_5tupleIJSF_NSA_16discard_iteratorISK_EEEEENSM_IJSG_SG_EEES6_PlJS6_EEE10hipError_tPvRmT3_T4_T5_T6_T7_T9_mT8_P12ihipStream_tbDpT10_ENKUlT_T0_E_clISt17integral_constantIbLb1EES1A_IbLb0EEEEDaS16_S17_EUlS16_E_NS1_11comp_targetILNS1_3genE2ELNS1_11target_archE906ELNS1_3gpuE6ELNS1_3repE0EEENS1_30default_config_static_selectorELNS0_4arch9wavefront6targetE1EEEvT1_, .Lfunc_end2927-_ZN7rocprim17ROCPRIM_400000_NS6detail17trampoline_kernelINS0_14default_configENS1_25partition_config_selectorILNS1_17partition_subalgoE1EyNS0_10empty_typeEbEEZZNS1_14partition_implILS5_1ELb0ES3_jN6thrust23THRUST_200600_302600_NS6detail15normal_iteratorINSA_10device_ptrIyEEEEPS6_NSA_18transform_iteratorI7is_evenIyESF_NSA_11use_defaultESK_EENS0_5tupleIJSF_NSA_16discard_iteratorISK_EEEEENSM_IJSG_SG_EEES6_PlJS6_EEE10hipError_tPvRmT3_T4_T5_T6_T7_T9_mT8_P12ihipStream_tbDpT10_ENKUlT_T0_E_clISt17integral_constantIbLb1EES1A_IbLb0EEEEDaS16_S17_EUlS16_E_NS1_11comp_targetILNS1_3genE2ELNS1_11target_archE906ELNS1_3gpuE6ELNS1_3repE0EEENS1_30default_config_static_selectorELNS0_4arch9wavefront6targetE1EEEvT1_
                                        ; -- End function
	.section	.AMDGPU.csdata,"",@progbits
; Kernel info:
; codeLenInByte = 0
; NumSgprs: 4
; NumVgprs: 0
; NumAgprs: 0
; TotalNumVgprs: 0
; ScratchSize: 0
; MemoryBound: 0
; FloatMode: 240
; IeeeMode: 1
; LDSByteSize: 0 bytes/workgroup (compile time only)
; SGPRBlocks: 0
; VGPRBlocks: 0
; NumSGPRsForWavesPerEU: 4
; NumVGPRsForWavesPerEU: 1
; AccumOffset: 4
; Occupancy: 8
; WaveLimiterHint : 0
; COMPUTE_PGM_RSRC2:SCRATCH_EN: 0
; COMPUTE_PGM_RSRC2:USER_SGPR: 6
; COMPUTE_PGM_RSRC2:TRAP_HANDLER: 0
; COMPUTE_PGM_RSRC2:TGID_X_EN: 1
; COMPUTE_PGM_RSRC2:TGID_Y_EN: 0
; COMPUTE_PGM_RSRC2:TGID_Z_EN: 0
; COMPUTE_PGM_RSRC2:TIDIG_COMP_CNT: 0
; COMPUTE_PGM_RSRC3_GFX90A:ACCUM_OFFSET: 0
; COMPUTE_PGM_RSRC3_GFX90A:TG_SPLIT: 0
	.section	.text._ZN7rocprim17ROCPRIM_400000_NS6detail17trampoline_kernelINS0_14default_configENS1_25partition_config_selectorILNS1_17partition_subalgoE1EyNS0_10empty_typeEbEEZZNS1_14partition_implILS5_1ELb0ES3_jN6thrust23THRUST_200600_302600_NS6detail15normal_iteratorINSA_10device_ptrIyEEEEPS6_NSA_18transform_iteratorI7is_evenIyESF_NSA_11use_defaultESK_EENS0_5tupleIJSF_NSA_16discard_iteratorISK_EEEEENSM_IJSG_SG_EEES6_PlJS6_EEE10hipError_tPvRmT3_T4_T5_T6_T7_T9_mT8_P12ihipStream_tbDpT10_ENKUlT_T0_E_clISt17integral_constantIbLb1EES1A_IbLb0EEEEDaS16_S17_EUlS16_E_NS1_11comp_targetILNS1_3genE10ELNS1_11target_archE1200ELNS1_3gpuE4ELNS1_3repE0EEENS1_30default_config_static_selectorELNS0_4arch9wavefront6targetE1EEEvT1_,"axG",@progbits,_ZN7rocprim17ROCPRIM_400000_NS6detail17trampoline_kernelINS0_14default_configENS1_25partition_config_selectorILNS1_17partition_subalgoE1EyNS0_10empty_typeEbEEZZNS1_14partition_implILS5_1ELb0ES3_jN6thrust23THRUST_200600_302600_NS6detail15normal_iteratorINSA_10device_ptrIyEEEEPS6_NSA_18transform_iteratorI7is_evenIyESF_NSA_11use_defaultESK_EENS0_5tupleIJSF_NSA_16discard_iteratorISK_EEEEENSM_IJSG_SG_EEES6_PlJS6_EEE10hipError_tPvRmT3_T4_T5_T6_T7_T9_mT8_P12ihipStream_tbDpT10_ENKUlT_T0_E_clISt17integral_constantIbLb1EES1A_IbLb0EEEEDaS16_S17_EUlS16_E_NS1_11comp_targetILNS1_3genE10ELNS1_11target_archE1200ELNS1_3gpuE4ELNS1_3repE0EEENS1_30default_config_static_selectorELNS0_4arch9wavefront6targetE1EEEvT1_,comdat
	.protected	_ZN7rocprim17ROCPRIM_400000_NS6detail17trampoline_kernelINS0_14default_configENS1_25partition_config_selectorILNS1_17partition_subalgoE1EyNS0_10empty_typeEbEEZZNS1_14partition_implILS5_1ELb0ES3_jN6thrust23THRUST_200600_302600_NS6detail15normal_iteratorINSA_10device_ptrIyEEEEPS6_NSA_18transform_iteratorI7is_evenIyESF_NSA_11use_defaultESK_EENS0_5tupleIJSF_NSA_16discard_iteratorISK_EEEEENSM_IJSG_SG_EEES6_PlJS6_EEE10hipError_tPvRmT3_T4_T5_T6_T7_T9_mT8_P12ihipStream_tbDpT10_ENKUlT_T0_E_clISt17integral_constantIbLb1EES1A_IbLb0EEEEDaS16_S17_EUlS16_E_NS1_11comp_targetILNS1_3genE10ELNS1_11target_archE1200ELNS1_3gpuE4ELNS1_3repE0EEENS1_30default_config_static_selectorELNS0_4arch9wavefront6targetE1EEEvT1_ ; -- Begin function _ZN7rocprim17ROCPRIM_400000_NS6detail17trampoline_kernelINS0_14default_configENS1_25partition_config_selectorILNS1_17partition_subalgoE1EyNS0_10empty_typeEbEEZZNS1_14partition_implILS5_1ELb0ES3_jN6thrust23THRUST_200600_302600_NS6detail15normal_iteratorINSA_10device_ptrIyEEEEPS6_NSA_18transform_iteratorI7is_evenIyESF_NSA_11use_defaultESK_EENS0_5tupleIJSF_NSA_16discard_iteratorISK_EEEEENSM_IJSG_SG_EEES6_PlJS6_EEE10hipError_tPvRmT3_T4_T5_T6_T7_T9_mT8_P12ihipStream_tbDpT10_ENKUlT_T0_E_clISt17integral_constantIbLb1EES1A_IbLb0EEEEDaS16_S17_EUlS16_E_NS1_11comp_targetILNS1_3genE10ELNS1_11target_archE1200ELNS1_3gpuE4ELNS1_3repE0EEENS1_30default_config_static_selectorELNS0_4arch9wavefront6targetE1EEEvT1_
	.globl	_ZN7rocprim17ROCPRIM_400000_NS6detail17trampoline_kernelINS0_14default_configENS1_25partition_config_selectorILNS1_17partition_subalgoE1EyNS0_10empty_typeEbEEZZNS1_14partition_implILS5_1ELb0ES3_jN6thrust23THRUST_200600_302600_NS6detail15normal_iteratorINSA_10device_ptrIyEEEEPS6_NSA_18transform_iteratorI7is_evenIyESF_NSA_11use_defaultESK_EENS0_5tupleIJSF_NSA_16discard_iteratorISK_EEEEENSM_IJSG_SG_EEES6_PlJS6_EEE10hipError_tPvRmT3_T4_T5_T6_T7_T9_mT8_P12ihipStream_tbDpT10_ENKUlT_T0_E_clISt17integral_constantIbLb1EES1A_IbLb0EEEEDaS16_S17_EUlS16_E_NS1_11comp_targetILNS1_3genE10ELNS1_11target_archE1200ELNS1_3gpuE4ELNS1_3repE0EEENS1_30default_config_static_selectorELNS0_4arch9wavefront6targetE1EEEvT1_
	.p2align	8
	.type	_ZN7rocprim17ROCPRIM_400000_NS6detail17trampoline_kernelINS0_14default_configENS1_25partition_config_selectorILNS1_17partition_subalgoE1EyNS0_10empty_typeEbEEZZNS1_14partition_implILS5_1ELb0ES3_jN6thrust23THRUST_200600_302600_NS6detail15normal_iteratorINSA_10device_ptrIyEEEEPS6_NSA_18transform_iteratorI7is_evenIyESF_NSA_11use_defaultESK_EENS0_5tupleIJSF_NSA_16discard_iteratorISK_EEEEENSM_IJSG_SG_EEES6_PlJS6_EEE10hipError_tPvRmT3_T4_T5_T6_T7_T9_mT8_P12ihipStream_tbDpT10_ENKUlT_T0_E_clISt17integral_constantIbLb1EES1A_IbLb0EEEEDaS16_S17_EUlS16_E_NS1_11comp_targetILNS1_3genE10ELNS1_11target_archE1200ELNS1_3gpuE4ELNS1_3repE0EEENS1_30default_config_static_selectorELNS0_4arch9wavefront6targetE1EEEvT1_,@function
_ZN7rocprim17ROCPRIM_400000_NS6detail17trampoline_kernelINS0_14default_configENS1_25partition_config_selectorILNS1_17partition_subalgoE1EyNS0_10empty_typeEbEEZZNS1_14partition_implILS5_1ELb0ES3_jN6thrust23THRUST_200600_302600_NS6detail15normal_iteratorINSA_10device_ptrIyEEEEPS6_NSA_18transform_iteratorI7is_evenIyESF_NSA_11use_defaultESK_EENS0_5tupleIJSF_NSA_16discard_iteratorISK_EEEEENSM_IJSG_SG_EEES6_PlJS6_EEE10hipError_tPvRmT3_T4_T5_T6_T7_T9_mT8_P12ihipStream_tbDpT10_ENKUlT_T0_E_clISt17integral_constantIbLb1EES1A_IbLb0EEEEDaS16_S17_EUlS16_E_NS1_11comp_targetILNS1_3genE10ELNS1_11target_archE1200ELNS1_3gpuE4ELNS1_3repE0EEENS1_30default_config_static_selectorELNS0_4arch9wavefront6targetE1EEEvT1_: ; @_ZN7rocprim17ROCPRIM_400000_NS6detail17trampoline_kernelINS0_14default_configENS1_25partition_config_selectorILNS1_17partition_subalgoE1EyNS0_10empty_typeEbEEZZNS1_14partition_implILS5_1ELb0ES3_jN6thrust23THRUST_200600_302600_NS6detail15normal_iteratorINSA_10device_ptrIyEEEEPS6_NSA_18transform_iteratorI7is_evenIyESF_NSA_11use_defaultESK_EENS0_5tupleIJSF_NSA_16discard_iteratorISK_EEEEENSM_IJSG_SG_EEES6_PlJS6_EEE10hipError_tPvRmT3_T4_T5_T6_T7_T9_mT8_P12ihipStream_tbDpT10_ENKUlT_T0_E_clISt17integral_constantIbLb1EES1A_IbLb0EEEEDaS16_S17_EUlS16_E_NS1_11comp_targetILNS1_3genE10ELNS1_11target_archE1200ELNS1_3gpuE4ELNS1_3repE0EEENS1_30default_config_static_selectorELNS0_4arch9wavefront6targetE1EEEvT1_
; %bb.0:
	.section	.rodata,"a",@progbits
	.p2align	6, 0x0
	.amdhsa_kernel _ZN7rocprim17ROCPRIM_400000_NS6detail17trampoline_kernelINS0_14default_configENS1_25partition_config_selectorILNS1_17partition_subalgoE1EyNS0_10empty_typeEbEEZZNS1_14partition_implILS5_1ELb0ES3_jN6thrust23THRUST_200600_302600_NS6detail15normal_iteratorINSA_10device_ptrIyEEEEPS6_NSA_18transform_iteratorI7is_evenIyESF_NSA_11use_defaultESK_EENS0_5tupleIJSF_NSA_16discard_iteratorISK_EEEEENSM_IJSG_SG_EEES6_PlJS6_EEE10hipError_tPvRmT3_T4_T5_T6_T7_T9_mT8_P12ihipStream_tbDpT10_ENKUlT_T0_E_clISt17integral_constantIbLb1EES1A_IbLb0EEEEDaS16_S17_EUlS16_E_NS1_11comp_targetILNS1_3genE10ELNS1_11target_archE1200ELNS1_3gpuE4ELNS1_3repE0EEENS1_30default_config_static_selectorELNS0_4arch9wavefront6targetE1EEEvT1_
		.amdhsa_group_segment_fixed_size 0
		.amdhsa_private_segment_fixed_size 0
		.amdhsa_kernarg_size 136
		.amdhsa_user_sgpr_count 6
		.amdhsa_user_sgpr_private_segment_buffer 1
		.amdhsa_user_sgpr_dispatch_ptr 0
		.amdhsa_user_sgpr_queue_ptr 0
		.amdhsa_user_sgpr_kernarg_segment_ptr 1
		.amdhsa_user_sgpr_dispatch_id 0
		.amdhsa_user_sgpr_flat_scratch_init 0
		.amdhsa_user_sgpr_kernarg_preload_length 0
		.amdhsa_user_sgpr_kernarg_preload_offset 0
		.amdhsa_user_sgpr_private_segment_size 0
		.amdhsa_uses_dynamic_stack 0
		.amdhsa_system_sgpr_private_segment_wavefront_offset 0
		.amdhsa_system_sgpr_workgroup_id_x 1
		.amdhsa_system_sgpr_workgroup_id_y 0
		.amdhsa_system_sgpr_workgroup_id_z 0
		.amdhsa_system_sgpr_workgroup_info 0
		.amdhsa_system_vgpr_workitem_id 0
		.amdhsa_next_free_vgpr 1
		.amdhsa_next_free_sgpr 0
		.amdhsa_accum_offset 4
		.amdhsa_reserve_vcc 0
		.amdhsa_reserve_flat_scratch 0
		.amdhsa_float_round_mode_32 0
		.amdhsa_float_round_mode_16_64 0
		.amdhsa_float_denorm_mode_32 3
		.amdhsa_float_denorm_mode_16_64 3
		.amdhsa_dx10_clamp 1
		.amdhsa_ieee_mode 1
		.amdhsa_fp16_overflow 0
		.amdhsa_tg_split 0
		.amdhsa_exception_fp_ieee_invalid_op 0
		.amdhsa_exception_fp_denorm_src 0
		.amdhsa_exception_fp_ieee_div_zero 0
		.amdhsa_exception_fp_ieee_overflow 0
		.amdhsa_exception_fp_ieee_underflow 0
		.amdhsa_exception_fp_ieee_inexact 0
		.amdhsa_exception_int_div_zero 0
	.end_amdhsa_kernel
	.section	.text._ZN7rocprim17ROCPRIM_400000_NS6detail17trampoline_kernelINS0_14default_configENS1_25partition_config_selectorILNS1_17partition_subalgoE1EyNS0_10empty_typeEbEEZZNS1_14partition_implILS5_1ELb0ES3_jN6thrust23THRUST_200600_302600_NS6detail15normal_iteratorINSA_10device_ptrIyEEEEPS6_NSA_18transform_iteratorI7is_evenIyESF_NSA_11use_defaultESK_EENS0_5tupleIJSF_NSA_16discard_iteratorISK_EEEEENSM_IJSG_SG_EEES6_PlJS6_EEE10hipError_tPvRmT3_T4_T5_T6_T7_T9_mT8_P12ihipStream_tbDpT10_ENKUlT_T0_E_clISt17integral_constantIbLb1EES1A_IbLb0EEEEDaS16_S17_EUlS16_E_NS1_11comp_targetILNS1_3genE10ELNS1_11target_archE1200ELNS1_3gpuE4ELNS1_3repE0EEENS1_30default_config_static_selectorELNS0_4arch9wavefront6targetE1EEEvT1_,"axG",@progbits,_ZN7rocprim17ROCPRIM_400000_NS6detail17trampoline_kernelINS0_14default_configENS1_25partition_config_selectorILNS1_17partition_subalgoE1EyNS0_10empty_typeEbEEZZNS1_14partition_implILS5_1ELb0ES3_jN6thrust23THRUST_200600_302600_NS6detail15normal_iteratorINSA_10device_ptrIyEEEEPS6_NSA_18transform_iteratorI7is_evenIyESF_NSA_11use_defaultESK_EENS0_5tupleIJSF_NSA_16discard_iteratorISK_EEEEENSM_IJSG_SG_EEES6_PlJS6_EEE10hipError_tPvRmT3_T4_T5_T6_T7_T9_mT8_P12ihipStream_tbDpT10_ENKUlT_T0_E_clISt17integral_constantIbLb1EES1A_IbLb0EEEEDaS16_S17_EUlS16_E_NS1_11comp_targetILNS1_3genE10ELNS1_11target_archE1200ELNS1_3gpuE4ELNS1_3repE0EEENS1_30default_config_static_selectorELNS0_4arch9wavefront6targetE1EEEvT1_,comdat
.Lfunc_end2928:
	.size	_ZN7rocprim17ROCPRIM_400000_NS6detail17trampoline_kernelINS0_14default_configENS1_25partition_config_selectorILNS1_17partition_subalgoE1EyNS0_10empty_typeEbEEZZNS1_14partition_implILS5_1ELb0ES3_jN6thrust23THRUST_200600_302600_NS6detail15normal_iteratorINSA_10device_ptrIyEEEEPS6_NSA_18transform_iteratorI7is_evenIyESF_NSA_11use_defaultESK_EENS0_5tupleIJSF_NSA_16discard_iteratorISK_EEEEENSM_IJSG_SG_EEES6_PlJS6_EEE10hipError_tPvRmT3_T4_T5_T6_T7_T9_mT8_P12ihipStream_tbDpT10_ENKUlT_T0_E_clISt17integral_constantIbLb1EES1A_IbLb0EEEEDaS16_S17_EUlS16_E_NS1_11comp_targetILNS1_3genE10ELNS1_11target_archE1200ELNS1_3gpuE4ELNS1_3repE0EEENS1_30default_config_static_selectorELNS0_4arch9wavefront6targetE1EEEvT1_, .Lfunc_end2928-_ZN7rocprim17ROCPRIM_400000_NS6detail17trampoline_kernelINS0_14default_configENS1_25partition_config_selectorILNS1_17partition_subalgoE1EyNS0_10empty_typeEbEEZZNS1_14partition_implILS5_1ELb0ES3_jN6thrust23THRUST_200600_302600_NS6detail15normal_iteratorINSA_10device_ptrIyEEEEPS6_NSA_18transform_iteratorI7is_evenIyESF_NSA_11use_defaultESK_EENS0_5tupleIJSF_NSA_16discard_iteratorISK_EEEEENSM_IJSG_SG_EEES6_PlJS6_EEE10hipError_tPvRmT3_T4_T5_T6_T7_T9_mT8_P12ihipStream_tbDpT10_ENKUlT_T0_E_clISt17integral_constantIbLb1EES1A_IbLb0EEEEDaS16_S17_EUlS16_E_NS1_11comp_targetILNS1_3genE10ELNS1_11target_archE1200ELNS1_3gpuE4ELNS1_3repE0EEENS1_30default_config_static_selectorELNS0_4arch9wavefront6targetE1EEEvT1_
                                        ; -- End function
	.section	.AMDGPU.csdata,"",@progbits
; Kernel info:
; codeLenInByte = 0
; NumSgprs: 4
; NumVgprs: 0
; NumAgprs: 0
; TotalNumVgprs: 0
; ScratchSize: 0
; MemoryBound: 0
; FloatMode: 240
; IeeeMode: 1
; LDSByteSize: 0 bytes/workgroup (compile time only)
; SGPRBlocks: 0
; VGPRBlocks: 0
; NumSGPRsForWavesPerEU: 4
; NumVGPRsForWavesPerEU: 1
; AccumOffset: 4
; Occupancy: 8
; WaveLimiterHint : 0
; COMPUTE_PGM_RSRC2:SCRATCH_EN: 0
; COMPUTE_PGM_RSRC2:USER_SGPR: 6
; COMPUTE_PGM_RSRC2:TRAP_HANDLER: 0
; COMPUTE_PGM_RSRC2:TGID_X_EN: 1
; COMPUTE_PGM_RSRC2:TGID_Y_EN: 0
; COMPUTE_PGM_RSRC2:TGID_Z_EN: 0
; COMPUTE_PGM_RSRC2:TIDIG_COMP_CNT: 0
; COMPUTE_PGM_RSRC3_GFX90A:ACCUM_OFFSET: 0
; COMPUTE_PGM_RSRC3_GFX90A:TG_SPLIT: 0
	.section	.text._ZN7rocprim17ROCPRIM_400000_NS6detail17trampoline_kernelINS0_14default_configENS1_25partition_config_selectorILNS1_17partition_subalgoE1EyNS0_10empty_typeEbEEZZNS1_14partition_implILS5_1ELb0ES3_jN6thrust23THRUST_200600_302600_NS6detail15normal_iteratorINSA_10device_ptrIyEEEEPS6_NSA_18transform_iteratorI7is_evenIyESF_NSA_11use_defaultESK_EENS0_5tupleIJSF_NSA_16discard_iteratorISK_EEEEENSM_IJSG_SG_EEES6_PlJS6_EEE10hipError_tPvRmT3_T4_T5_T6_T7_T9_mT8_P12ihipStream_tbDpT10_ENKUlT_T0_E_clISt17integral_constantIbLb1EES1A_IbLb0EEEEDaS16_S17_EUlS16_E_NS1_11comp_targetILNS1_3genE9ELNS1_11target_archE1100ELNS1_3gpuE3ELNS1_3repE0EEENS1_30default_config_static_selectorELNS0_4arch9wavefront6targetE1EEEvT1_,"axG",@progbits,_ZN7rocprim17ROCPRIM_400000_NS6detail17trampoline_kernelINS0_14default_configENS1_25partition_config_selectorILNS1_17partition_subalgoE1EyNS0_10empty_typeEbEEZZNS1_14partition_implILS5_1ELb0ES3_jN6thrust23THRUST_200600_302600_NS6detail15normal_iteratorINSA_10device_ptrIyEEEEPS6_NSA_18transform_iteratorI7is_evenIyESF_NSA_11use_defaultESK_EENS0_5tupleIJSF_NSA_16discard_iteratorISK_EEEEENSM_IJSG_SG_EEES6_PlJS6_EEE10hipError_tPvRmT3_T4_T5_T6_T7_T9_mT8_P12ihipStream_tbDpT10_ENKUlT_T0_E_clISt17integral_constantIbLb1EES1A_IbLb0EEEEDaS16_S17_EUlS16_E_NS1_11comp_targetILNS1_3genE9ELNS1_11target_archE1100ELNS1_3gpuE3ELNS1_3repE0EEENS1_30default_config_static_selectorELNS0_4arch9wavefront6targetE1EEEvT1_,comdat
	.protected	_ZN7rocprim17ROCPRIM_400000_NS6detail17trampoline_kernelINS0_14default_configENS1_25partition_config_selectorILNS1_17partition_subalgoE1EyNS0_10empty_typeEbEEZZNS1_14partition_implILS5_1ELb0ES3_jN6thrust23THRUST_200600_302600_NS6detail15normal_iteratorINSA_10device_ptrIyEEEEPS6_NSA_18transform_iteratorI7is_evenIyESF_NSA_11use_defaultESK_EENS0_5tupleIJSF_NSA_16discard_iteratorISK_EEEEENSM_IJSG_SG_EEES6_PlJS6_EEE10hipError_tPvRmT3_T4_T5_T6_T7_T9_mT8_P12ihipStream_tbDpT10_ENKUlT_T0_E_clISt17integral_constantIbLb1EES1A_IbLb0EEEEDaS16_S17_EUlS16_E_NS1_11comp_targetILNS1_3genE9ELNS1_11target_archE1100ELNS1_3gpuE3ELNS1_3repE0EEENS1_30default_config_static_selectorELNS0_4arch9wavefront6targetE1EEEvT1_ ; -- Begin function _ZN7rocprim17ROCPRIM_400000_NS6detail17trampoline_kernelINS0_14default_configENS1_25partition_config_selectorILNS1_17partition_subalgoE1EyNS0_10empty_typeEbEEZZNS1_14partition_implILS5_1ELb0ES3_jN6thrust23THRUST_200600_302600_NS6detail15normal_iteratorINSA_10device_ptrIyEEEEPS6_NSA_18transform_iteratorI7is_evenIyESF_NSA_11use_defaultESK_EENS0_5tupleIJSF_NSA_16discard_iteratorISK_EEEEENSM_IJSG_SG_EEES6_PlJS6_EEE10hipError_tPvRmT3_T4_T5_T6_T7_T9_mT8_P12ihipStream_tbDpT10_ENKUlT_T0_E_clISt17integral_constantIbLb1EES1A_IbLb0EEEEDaS16_S17_EUlS16_E_NS1_11comp_targetILNS1_3genE9ELNS1_11target_archE1100ELNS1_3gpuE3ELNS1_3repE0EEENS1_30default_config_static_selectorELNS0_4arch9wavefront6targetE1EEEvT1_
	.globl	_ZN7rocprim17ROCPRIM_400000_NS6detail17trampoline_kernelINS0_14default_configENS1_25partition_config_selectorILNS1_17partition_subalgoE1EyNS0_10empty_typeEbEEZZNS1_14partition_implILS5_1ELb0ES3_jN6thrust23THRUST_200600_302600_NS6detail15normal_iteratorINSA_10device_ptrIyEEEEPS6_NSA_18transform_iteratorI7is_evenIyESF_NSA_11use_defaultESK_EENS0_5tupleIJSF_NSA_16discard_iteratorISK_EEEEENSM_IJSG_SG_EEES6_PlJS6_EEE10hipError_tPvRmT3_T4_T5_T6_T7_T9_mT8_P12ihipStream_tbDpT10_ENKUlT_T0_E_clISt17integral_constantIbLb1EES1A_IbLb0EEEEDaS16_S17_EUlS16_E_NS1_11comp_targetILNS1_3genE9ELNS1_11target_archE1100ELNS1_3gpuE3ELNS1_3repE0EEENS1_30default_config_static_selectorELNS0_4arch9wavefront6targetE1EEEvT1_
	.p2align	8
	.type	_ZN7rocprim17ROCPRIM_400000_NS6detail17trampoline_kernelINS0_14default_configENS1_25partition_config_selectorILNS1_17partition_subalgoE1EyNS0_10empty_typeEbEEZZNS1_14partition_implILS5_1ELb0ES3_jN6thrust23THRUST_200600_302600_NS6detail15normal_iteratorINSA_10device_ptrIyEEEEPS6_NSA_18transform_iteratorI7is_evenIyESF_NSA_11use_defaultESK_EENS0_5tupleIJSF_NSA_16discard_iteratorISK_EEEEENSM_IJSG_SG_EEES6_PlJS6_EEE10hipError_tPvRmT3_T4_T5_T6_T7_T9_mT8_P12ihipStream_tbDpT10_ENKUlT_T0_E_clISt17integral_constantIbLb1EES1A_IbLb0EEEEDaS16_S17_EUlS16_E_NS1_11comp_targetILNS1_3genE9ELNS1_11target_archE1100ELNS1_3gpuE3ELNS1_3repE0EEENS1_30default_config_static_selectorELNS0_4arch9wavefront6targetE1EEEvT1_,@function
_ZN7rocprim17ROCPRIM_400000_NS6detail17trampoline_kernelINS0_14default_configENS1_25partition_config_selectorILNS1_17partition_subalgoE1EyNS0_10empty_typeEbEEZZNS1_14partition_implILS5_1ELb0ES3_jN6thrust23THRUST_200600_302600_NS6detail15normal_iteratorINSA_10device_ptrIyEEEEPS6_NSA_18transform_iteratorI7is_evenIyESF_NSA_11use_defaultESK_EENS0_5tupleIJSF_NSA_16discard_iteratorISK_EEEEENSM_IJSG_SG_EEES6_PlJS6_EEE10hipError_tPvRmT3_T4_T5_T6_T7_T9_mT8_P12ihipStream_tbDpT10_ENKUlT_T0_E_clISt17integral_constantIbLb1EES1A_IbLb0EEEEDaS16_S17_EUlS16_E_NS1_11comp_targetILNS1_3genE9ELNS1_11target_archE1100ELNS1_3gpuE3ELNS1_3repE0EEENS1_30default_config_static_selectorELNS0_4arch9wavefront6targetE1EEEvT1_: ; @_ZN7rocprim17ROCPRIM_400000_NS6detail17trampoline_kernelINS0_14default_configENS1_25partition_config_selectorILNS1_17partition_subalgoE1EyNS0_10empty_typeEbEEZZNS1_14partition_implILS5_1ELb0ES3_jN6thrust23THRUST_200600_302600_NS6detail15normal_iteratorINSA_10device_ptrIyEEEEPS6_NSA_18transform_iteratorI7is_evenIyESF_NSA_11use_defaultESK_EENS0_5tupleIJSF_NSA_16discard_iteratorISK_EEEEENSM_IJSG_SG_EEES6_PlJS6_EEE10hipError_tPvRmT3_T4_T5_T6_T7_T9_mT8_P12ihipStream_tbDpT10_ENKUlT_T0_E_clISt17integral_constantIbLb1EES1A_IbLb0EEEEDaS16_S17_EUlS16_E_NS1_11comp_targetILNS1_3genE9ELNS1_11target_archE1100ELNS1_3gpuE3ELNS1_3repE0EEENS1_30default_config_static_selectorELNS0_4arch9wavefront6targetE1EEEvT1_
; %bb.0:
	.section	.rodata,"a",@progbits
	.p2align	6, 0x0
	.amdhsa_kernel _ZN7rocprim17ROCPRIM_400000_NS6detail17trampoline_kernelINS0_14default_configENS1_25partition_config_selectorILNS1_17partition_subalgoE1EyNS0_10empty_typeEbEEZZNS1_14partition_implILS5_1ELb0ES3_jN6thrust23THRUST_200600_302600_NS6detail15normal_iteratorINSA_10device_ptrIyEEEEPS6_NSA_18transform_iteratorI7is_evenIyESF_NSA_11use_defaultESK_EENS0_5tupleIJSF_NSA_16discard_iteratorISK_EEEEENSM_IJSG_SG_EEES6_PlJS6_EEE10hipError_tPvRmT3_T4_T5_T6_T7_T9_mT8_P12ihipStream_tbDpT10_ENKUlT_T0_E_clISt17integral_constantIbLb1EES1A_IbLb0EEEEDaS16_S17_EUlS16_E_NS1_11comp_targetILNS1_3genE9ELNS1_11target_archE1100ELNS1_3gpuE3ELNS1_3repE0EEENS1_30default_config_static_selectorELNS0_4arch9wavefront6targetE1EEEvT1_
		.amdhsa_group_segment_fixed_size 0
		.amdhsa_private_segment_fixed_size 0
		.amdhsa_kernarg_size 136
		.amdhsa_user_sgpr_count 6
		.amdhsa_user_sgpr_private_segment_buffer 1
		.amdhsa_user_sgpr_dispatch_ptr 0
		.amdhsa_user_sgpr_queue_ptr 0
		.amdhsa_user_sgpr_kernarg_segment_ptr 1
		.amdhsa_user_sgpr_dispatch_id 0
		.amdhsa_user_sgpr_flat_scratch_init 0
		.amdhsa_user_sgpr_kernarg_preload_length 0
		.amdhsa_user_sgpr_kernarg_preload_offset 0
		.amdhsa_user_sgpr_private_segment_size 0
		.amdhsa_uses_dynamic_stack 0
		.amdhsa_system_sgpr_private_segment_wavefront_offset 0
		.amdhsa_system_sgpr_workgroup_id_x 1
		.amdhsa_system_sgpr_workgroup_id_y 0
		.amdhsa_system_sgpr_workgroup_id_z 0
		.amdhsa_system_sgpr_workgroup_info 0
		.amdhsa_system_vgpr_workitem_id 0
		.amdhsa_next_free_vgpr 1
		.amdhsa_next_free_sgpr 0
		.amdhsa_accum_offset 4
		.amdhsa_reserve_vcc 0
		.amdhsa_reserve_flat_scratch 0
		.amdhsa_float_round_mode_32 0
		.amdhsa_float_round_mode_16_64 0
		.amdhsa_float_denorm_mode_32 3
		.amdhsa_float_denorm_mode_16_64 3
		.amdhsa_dx10_clamp 1
		.amdhsa_ieee_mode 1
		.amdhsa_fp16_overflow 0
		.amdhsa_tg_split 0
		.amdhsa_exception_fp_ieee_invalid_op 0
		.amdhsa_exception_fp_denorm_src 0
		.amdhsa_exception_fp_ieee_div_zero 0
		.amdhsa_exception_fp_ieee_overflow 0
		.amdhsa_exception_fp_ieee_underflow 0
		.amdhsa_exception_fp_ieee_inexact 0
		.amdhsa_exception_int_div_zero 0
	.end_amdhsa_kernel
	.section	.text._ZN7rocprim17ROCPRIM_400000_NS6detail17trampoline_kernelINS0_14default_configENS1_25partition_config_selectorILNS1_17partition_subalgoE1EyNS0_10empty_typeEbEEZZNS1_14partition_implILS5_1ELb0ES3_jN6thrust23THRUST_200600_302600_NS6detail15normal_iteratorINSA_10device_ptrIyEEEEPS6_NSA_18transform_iteratorI7is_evenIyESF_NSA_11use_defaultESK_EENS0_5tupleIJSF_NSA_16discard_iteratorISK_EEEEENSM_IJSG_SG_EEES6_PlJS6_EEE10hipError_tPvRmT3_T4_T5_T6_T7_T9_mT8_P12ihipStream_tbDpT10_ENKUlT_T0_E_clISt17integral_constantIbLb1EES1A_IbLb0EEEEDaS16_S17_EUlS16_E_NS1_11comp_targetILNS1_3genE9ELNS1_11target_archE1100ELNS1_3gpuE3ELNS1_3repE0EEENS1_30default_config_static_selectorELNS0_4arch9wavefront6targetE1EEEvT1_,"axG",@progbits,_ZN7rocprim17ROCPRIM_400000_NS6detail17trampoline_kernelINS0_14default_configENS1_25partition_config_selectorILNS1_17partition_subalgoE1EyNS0_10empty_typeEbEEZZNS1_14partition_implILS5_1ELb0ES3_jN6thrust23THRUST_200600_302600_NS6detail15normal_iteratorINSA_10device_ptrIyEEEEPS6_NSA_18transform_iteratorI7is_evenIyESF_NSA_11use_defaultESK_EENS0_5tupleIJSF_NSA_16discard_iteratorISK_EEEEENSM_IJSG_SG_EEES6_PlJS6_EEE10hipError_tPvRmT3_T4_T5_T6_T7_T9_mT8_P12ihipStream_tbDpT10_ENKUlT_T0_E_clISt17integral_constantIbLb1EES1A_IbLb0EEEEDaS16_S17_EUlS16_E_NS1_11comp_targetILNS1_3genE9ELNS1_11target_archE1100ELNS1_3gpuE3ELNS1_3repE0EEENS1_30default_config_static_selectorELNS0_4arch9wavefront6targetE1EEEvT1_,comdat
.Lfunc_end2929:
	.size	_ZN7rocprim17ROCPRIM_400000_NS6detail17trampoline_kernelINS0_14default_configENS1_25partition_config_selectorILNS1_17partition_subalgoE1EyNS0_10empty_typeEbEEZZNS1_14partition_implILS5_1ELb0ES3_jN6thrust23THRUST_200600_302600_NS6detail15normal_iteratorINSA_10device_ptrIyEEEEPS6_NSA_18transform_iteratorI7is_evenIyESF_NSA_11use_defaultESK_EENS0_5tupleIJSF_NSA_16discard_iteratorISK_EEEEENSM_IJSG_SG_EEES6_PlJS6_EEE10hipError_tPvRmT3_T4_T5_T6_T7_T9_mT8_P12ihipStream_tbDpT10_ENKUlT_T0_E_clISt17integral_constantIbLb1EES1A_IbLb0EEEEDaS16_S17_EUlS16_E_NS1_11comp_targetILNS1_3genE9ELNS1_11target_archE1100ELNS1_3gpuE3ELNS1_3repE0EEENS1_30default_config_static_selectorELNS0_4arch9wavefront6targetE1EEEvT1_, .Lfunc_end2929-_ZN7rocprim17ROCPRIM_400000_NS6detail17trampoline_kernelINS0_14default_configENS1_25partition_config_selectorILNS1_17partition_subalgoE1EyNS0_10empty_typeEbEEZZNS1_14partition_implILS5_1ELb0ES3_jN6thrust23THRUST_200600_302600_NS6detail15normal_iteratorINSA_10device_ptrIyEEEEPS6_NSA_18transform_iteratorI7is_evenIyESF_NSA_11use_defaultESK_EENS0_5tupleIJSF_NSA_16discard_iteratorISK_EEEEENSM_IJSG_SG_EEES6_PlJS6_EEE10hipError_tPvRmT3_T4_T5_T6_T7_T9_mT8_P12ihipStream_tbDpT10_ENKUlT_T0_E_clISt17integral_constantIbLb1EES1A_IbLb0EEEEDaS16_S17_EUlS16_E_NS1_11comp_targetILNS1_3genE9ELNS1_11target_archE1100ELNS1_3gpuE3ELNS1_3repE0EEENS1_30default_config_static_selectorELNS0_4arch9wavefront6targetE1EEEvT1_
                                        ; -- End function
	.section	.AMDGPU.csdata,"",@progbits
; Kernel info:
; codeLenInByte = 0
; NumSgprs: 4
; NumVgprs: 0
; NumAgprs: 0
; TotalNumVgprs: 0
; ScratchSize: 0
; MemoryBound: 0
; FloatMode: 240
; IeeeMode: 1
; LDSByteSize: 0 bytes/workgroup (compile time only)
; SGPRBlocks: 0
; VGPRBlocks: 0
; NumSGPRsForWavesPerEU: 4
; NumVGPRsForWavesPerEU: 1
; AccumOffset: 4
; Occupancy: 8
; WaveLimiterHint : 0
; COMPUTE_PGM_RSRC2:SCRATCH_EN: 0
; COMPUTE_PGM_RSRC2:USER_SGPR: 6
; COMPUTE_PGM_RSRC2:TRAP_HANDLER: 0
; COMPUTE_PGM_RSRC2:TGID_X_EN: 1
; COMPUTE_PGM_RSRC2:TGID_Y_EN: 0
; COMPUTE_PGM_RSRC2:TGID_Z_EN: 0
; COMPUTE_PGM_RSRC2:TIDIG_COMP_CNT: 0
; COMPUTE_PGM_RSRC3_GFX90A:ACCUM_OFFSET: 0
; COMPUTE_PGM_RSRC3_GFX90A:TG_SPLIT: 0
	.section	.text._ZN7rocprim17ROCPRIM_400000_NS6detail17trampoline_kernelINS0_14default_configENS1_25partition_config_selectorILNS1_17partition_subalgoE1EyNS0_10empty_typeEbEEZZNS1_14partition_implILS5_1ELb0ES3_jN6thrust23THRUST_200600_302600_NS6detail15normal_iteratorINSA_10device_ptrIyEEEEPS6_NSA_18transform_iteratorI7is_evenIyESF_NSA_11use_defaultESK_EENS0_5tupleIJSF_NSA_16discard_iteratorISK_EEEEENSM_IJSG_SG_EEES6_PlJS6_EEE10hipError_tPvRmT3_T4_T5_T6_T7_T9_mT8_P12ihipStream_tbDpT10_ENKUlT_T0_E_clISt17integral_constantIbLb1EES1A_IbLb0EEEEDaS16_S17_EUlS16_E_NS1_11comp_targetILNS1_3genE8ELNS1_11target_archE1030ELNS1_3gpuE2ELNS1_3repE0EEENS1_30default_config_static_selectorELNS0_4arch9wavefront6targetE1EEEvT1_,"axG",@progbits,_ZN7rocprim17ROCPRIM_400000_NS6detail17trampoline_kernelINS0_14default_configENS1_25partition_config_selectorILNS1_17partition_subalgoE1EyNS0_10empty_typeEbEEZZNS1_14partition_implILS5_1ELb0ES3_jN6thrust23THRUST_200600_302600_NS6detail15normal_iteratorINSA_10device_ptrIyEEEEPS6_NSA_18transform_iteratorI7is_evenIyESF_NSA_11use_defaultESK_EENS0_5tupleIJSF_NSA_16discard_iteratorISK_EEEEENSM_IJSG_SG_EEES6_PlJS6_EEE10hipError_tPvRmT3_T4_T5_T6_T7_T9_mT8_P12ihipStream_tbDpT10_ENKUlT_T0_E_clISt17integral_constantIbLb1EES1A_IbLb0EEEEDaS16_S17_EUlS16_E_NS1_11comp_targetILNS1_3genE8ELNS1_11target_archE1030ELNS1_3gpuE2ELNS1_3repE0EEENS1_30default_config_static_selectorELNS0_4arch9wavefront6targetE1EEEvT1_,comdat
	.protected	_ZN7rocprim17ROCPRIM_400000_NS6detail17trampoline_kernelINS0_14default_configENS1_25partition_config_selectorILNS1_17partition_subalgoE1EyNS0_10empty_typeEbEEZZNS1_14partition_implILS5_1ELb0ES3_jN6thrust23THRUST_200600_302600_NS6detail15normal_iteratorINSA_10device_ptrIyEEEEPS6_NSA_18transform_iteratorI7is_evenIyESF_NSA_11use_defaultESK_EENS0_5tupleIJSF_NSA_16discard_iteratorISK_EEEEENSM_IJSG_SG_EEES6_PlJS6_EEE10hipError_tPvRmT3_T4_T5_T6_T7_T9_mT8_P12ihipStream_tbDpT10_ENKUlT_T0_E_clISt17integral_constantIbLb1EES1A_IbLb0EEEEDaS16_S17_EUlS16_E_NS1_11comp_targetILNS1_3genE8ELNS1_11target_archE1030ELNS1_3gpuE2ELNS1_3repE0EEENS1_30default_config_static_selectorELNS0_4arch9wavefront6targetE1EEEvT1_ ; -- Begin function _ZN7rocprim17ROCPRIM_400000_NS6detail17trampoline_kernelINS0_14default_configENS1_25partition_config_selectorILNS1_17partition_subalgoE1EyNS0_10empty_typeEbEEZZNS1_14partition_implILS5_1ELb0ES3_jN6thrust23THRUST_200600_302600_NS6detail15normal_iteratorINSA_10device_ptrIyEEEEPS6_NSA_18transform_iteratorI7is_evenIyESF_NSA_11use_defaultESK_EENS0_5tupleIJSF_NSA_16discard_iteratorISK_EEEEENSM_IJSG_SG_EEES6_PlJS6_EEE10hipError_tPvRmT3_T4_T5_T6_T7_T9_mT8_P12ihipStream_tbDpT10_ENKUlT_T0_E_clISt17integral_constantIbLb1EES1A_IbLb0EEEEDaS16_S17_EUlS16_E_NS1_11comp_targetILNS1_3genE8ELNS1_11target_archE1030ELNS1_3gpuE2ELNS1_3repE0EEENS1_30default_config_static_selectorELNS0_4arch9wavefront6targetE1EEEvT1_
	.globl	_ZN7rocprim17ROCPRIM_400000_NS6detail17trampoline_kernelINS0_14default_configENS1_25partition_config_selectorILNS1_17partition_subalgoE1EyNS0_10empty_typeEbEEZZNS1_14partition_implILS5_1ELb0ES3_jN6thrust23THRUST_200600_302600_NS6detail15normal_iteratorINSA_10device_ptrIyEEEEPS6_NSA_18transform_iteratorI7is_evenIyESF_NSA_11use_defaultESK_EENS0_5tupleIJSF_NSA_16discard_iteratorISK_EEEEENSM_IJSG_SG_EEES6_PlJS6_EEE10hipError_tPvRmT3_T4_T5_T6_T7_T9_mT8_P12ihipStream_tbDpT10_ENKUlT_T0_E_clISt17integral_constantIbLb1EES1A_IbLb0EEEEDaS16_S17_EUlS16_E_NS1_11comp_targetILNS1_3genE8ELNS1_11target_archE1030ELNS1_3gpuE2ELNS1_3repE0EEENS1_30default_config_static_selectorELNS0_4arch9wavefront6targetE1EEEvT1_
	.p2align	8
	.type	_ZN7rocprim17ROCPRIM_400000_NS6detail17trampoline_kernelINS0_14default_configENS1_25partition_config_selectorILNS1_17partition_subalgoE1EyNS0_10empty_typeEbEEZZNS1_14partition_implILS5_1ELb0ES3_jN6thrust23THRUST_200600_302600_NS6detail15normal_iteratorINSA_10device_ptrIyEEEEPS6_NSA_18transform_iteratorI7is_evenIyESF_NSA_11use_defaultESK_EENS0_5tupleIJSF_NSA_16discard_iteratorISK_EEEEENSM_IJSG_SG_EEES6_PlJS6_EEE10hipError_tPvRmT3_T4_T5_T6_T7_T9_mT8_P12ihipStream_tbDpT10_ENKUlT_T0_E_clISt17integral_constantIbLb1EES1A_IbLb0EEEEDaS16_S17_EUlS16_E_NS1_11comp_targetILNS1_3genE8ELNS1_11target_archE1030ELNS1_3gpuE2ELNS1_3repE0EEENS1_30default_config_static_selectorELNS0_4arch9wavefront6targetE1EEEvT1_,@function
_ZN7rocprim17ROCPRIM_400000_NS6detail17trampoline_kernelINS0_14default_configENS1_25partition_config_selectorILNS1_17partition_subalgoE1EyNS0_10empty_typeEbEEZZNS1_14partition_implILS5_1ELb0ES3_jN6thrust23THRUST_200600_302600_NS6detail15normal_iteratorINSA_10device_ptrIyEEEEPS6_NSA_18transform_iteratorI7is_evenIyESF_NSA_11use_defaultESK_EENS0_5tupleIJSF_NSA_16discard_iteratorISK_EEEEENSM_IJSG_SG_EEES6_PlJS6_EEE10hipError_tPvRmT3_T4_T5_T6_T7_T9_mT8_P12ihipStream_tbDpT10_ENKUlT_T0_E_clISt17integral_constantIbLb1EES1A_IbLb0EEEEDaS16_S17_EUlS16_E_NS1_11comp_targetILNS1_3genE8ELNS1_11target_archE1030ELNS1_3gpuE2ELNS1_3repE0EEENS1_30default_config_static_selectorELNS0_4arch9wavefront6targetE1EEEvT1_: ; @_ZN7rocprim17ROCPRIM_400000_NS6detail17trampoline_kernelINS0_14default_configENS1_25partition_config_selectorILNS1_17partition_subalgoE1EyNS0_10empty_typeEbEEZZNS1_14partition_implILS5_1ELb0ES3_jN6thrust23THRUST_200600_302600_NS6detail15normal_iteratorINSA_10device_ptrIyEEEEPS6_NSA_18transform_iteratorI7is_evenIyESF_NSA_11use_defaultESK_EENS0_5tupleIJSF_NSA_16discard_iteratorISK_EEEEENSM_IJSG_SG_EEES6_PlJS6_EEE10hipError_tPvRmT3_T4_T5_T6_T7_T9_mT8_P12ihipStream_tbDpT10_ENKUlT_T0_E_clISt17integral_constantIbLb1EES1A_IbLb0EEEEDaS16_S17_EUlS16_E_NS1_11comp_targetILNS1_3genE8ELNS1_11target_archE1030ELNS1_3gpuE2ELNS1_3repE0EEENS1_30default_config_static_selectorELNS0_4arch9wavefront6targetE1EEEvT1_
; %bb.0:
	.section	.rodata,"a",@progbits
	.p2align	6, 0x0
	.amdhsa_kernel _ZN7rocprim17ROCPRIM_400000_NS6detail17trampoline_kernelINS0_14default_configENS1_25partition_config_selectorILNS1_17partition_subalgoE1EyNS0_10empty_typeEbEEZZNS1_14partition_implILS5_1ELb0ES3_jN6thrust23THRUST_200600_302600_NS6detail15normal_iteratorINSA_10device_ptrIyEEEEPS6_NSA_18transform_iteratorI7is_evenIyESF_NSA_11use_defaultESK_EENS0_5tupleIJSF_NSA_16discard_iteratorISK_EEEEENSM_IJSG_SG_EEES6_PlJS6_EEE10hipError_tPvRmT3_T4_T5_T6_T7_T9_mT8_P12ihipStream_tbDpT10_ENKUlT_T0_E_clISt17integral_constantIbLb1EES1A_IbLb0EEEEDaS16_S17_EUlS16_E_NS1_11comp_targetILNS1_3genE8ELNS1_11target_archE1030ELNS1_3gpuE2ELNS1_3repE0EEENS1_30default_config_static_selectorELNS0_4arch9wavefront6targetE1EEEvT1_
		.amdhsa_group_segment_fixed_size 0
		.amdhsa_private_segment_fixed_size 0
		.amdhsa_kernarg_size 136
		.amdhsa_user_sgpr_count 6
		.amdhsa_user_sgpr_private_segment_buffer 1
		.amdhsa_user_sgpr_dispatch_ptr 0
		.amdhsa_user_sgpr_queue_ptr 0
		.amdhsa_user_sgpr_kernarg_segment_ptr 1
		.amdhsa_user_sgpr_dispatch_id 0
		.amdhsa_user_sgpr_flat_scratch_init 0
		.amdhsa_user_sgpr_kernarg_preload_length 0
		.amdhsa_user_sgpr_kernarg_preload_offset 0
		.amdhsa_user_sgpr_private_segment_size 0
		.amdhsa_uses_dynamic_stack 0
		.amdhsa_system_sgpr_private_segment_wavefront_offset 0
		.amdhsa_system_sgpr_workgroup_id_x 1
		.amdhsa_system_sgpr_workgroup_id_y 0
		.amdhsa_system_sgpr_workgroup_id_z 0
		.amdhsa_system_sgpr_workgroup_info 0
		.amdhsa_system_vgpr_workitem_id 0
		.amdhsa_next_free_vgpr 1
		.amdhsa_next_free_sgpr 0
		.amdhsa_accum_offset 4
		.amdhsa_reserve_vcc 0
		.amdhsa_reserve_flat_scratch 0
		.amdhsa_float_round_mode_32 0
		.amdhsa_float_round_mode_16_64 0
		.amdhsa_float_denorm_mode_32 3
		.amdhsa_float_denorm_mode_16_64 3
		.amdhsa_dx10_clamp 1
		.amdhsa_ieee_mode 1
		.amdhsa_fp16_overflow 0
		.amdhsa_tg_split 0
		.amdhsa_exception_fp_ieee_invalid_op 0
		.amdhsa_exception_fp_denorm_src 0
		.amdhsa_exception_fp_ieee_div_zero 0
		.amdhsa_exception_fp_ieee_overflow 0
		.amdhsa_exception_fp_ieee_underflow 0
		.amdhsa_exception_fp_ieee_inexact 0
		.amdhsa_exception_int_div_zero 0
	.end_amdhsa_kernel
	.section	.text._ZN7rocprim17ROCPRIM_400000_NS6detail17trampoline_kernelINS0_14default_configENS1_25partition_config_selectorILNS1_17partition_subalgoE1EyNS0_10empty_typeEbEEZZNS1_14partition_implILS5_1ELb0ES3_jN6thrust23THRUST_200600_302600_NS6detail15normal_iteratorINSA_10device_ptrIyEEEEPS6_NSA_18transform_iteratorI7is_evenIyESF_NSA_11use_defaultESK_EENS0_5tupleIJSF_NSA_16discard_iteratorISK_EEEEENSM_IJSG_SG_EEES6_PlJS6_EEE10hipError_tPvRmT3_T4_T5_T6_T7_T9_mT8_P12ihipStream_tbDpT10_ENKUlT_T0_E_clISt17integral_constantIbLb1EES1A_IbLb0EEEEDaS16_S17_EUlS16_E_NS1_11comp_targetILNS1_3genE8ELNS1_11target_archE1030ELNS1_3gpuE2ELNS1_3repE0EEENS1_30default_config_static_selectorELNS0_4arch9wavefront6targetE1EEEvT1_,"axG",@progbits,_ZN7rocprim17ROCPRIM_400000_NS6detail17trampoline_kernelINS0_14default_configENS1_25partition_config_selectorILNS1_17partition_subalgoE1EyNS0_10empty_typeEbEEZZNS1_14partition_implILS5_1ELb0ES3_jN6thrust23THRUST_200600_302600_NS6detail15normal_iteratorINSA_10device_ptrIyEEEEPS6_NSA_18transform_iteratorI7is_evenIyESF_NSA_11use_defaultESK_EENS0_5tupleIJSF_NSA_16discard_iteratorISK_EEEEENSM_IJSG_SG_EEES6_PlJS6_EEE10hipError_tPvRmT3_T4_T5_T6_T7_T9_mT8_P12ihipStream_tbDpT10_ENKUlT_T0_E_clISt17integral_constantIbLb1EES1A_IbLb0EEEEDaS16_S17_EUlS16_E_NS1_11comp_targetILNS1_3genE8ELNS1_11target_archE1030ELNS1_3gpuE2ELNS1_3repE0EEENS1_30default_config_static_selectorELNS0_4arch9wavefront6targetE1EEEvT1_,comdat
.Lfunc_end2930:
	.size	_ZN7rocprim17ROCPRIM_400000_NS6detail17trampoline_kernelINS0_14default_configENS1_25partition_config_selectorILNS1_17partition_subalgoE1EyNS0_10empty_typeEbEEZZNS1_14partition_implILS5_1ELb0ES3_jN6thrust23THRUST_200600_302600_NS6detail15normal_iteratorINSA_10device_ptrIyEEEEPS6_NSA_18transform_iteratorI7is_evenIyESF_NSA_11use_defaultESK_EENS0_5tupleIJSF_NSA_16discard_iteratorISK_EEEEENSM_IJSG_SG_EEES6_PlJS6_EEE10hipError_tPvRmT3_T4_T5_T6_T7_T9_mT8_P12ihipStream_tbDpT10_ENKUlT_T0_E_clISt17integral_constantIbLb1EES1A_IbLb0EEEEDaS16_S17_EUlS16_E_NS1_11comp_targetILNS1_3genE8ELNS1_11target_archE1030ELNS1_3gpuE2ELNS1_3repE0EEENS1_30default_config_static_selectorELNS0_4arch9wavefront6targetE1EEEvT1_, .Lfunc_end2930-_ZN7rocprim17ROCPRIM_400000_NS6detail17trampoline_kernelINS0_14default_configENS1_25partition_config_selectorILNS1_17partition_subalgoE1EyNS0_10empty_typeEbEEZZNS1_14partition_implILS5_1ELb0ES3_jN6thrust23THRUST_200600_302600_NS6detail15normal_iteratorINSA_10device_ptrIyEEEEPS6_NSA_18transform_iteratorI7is_evenIyESF_NSA_11use_defaultESK_EENS0_5tupleIJSF_NSA_16discard_iteratorISK_EEEEENSM_IJSG_SG_EEES6_PlJS6_EEE10hipError_tPvRmT3_T4_T5_T6_T7_T9_mT8_P12ihipStream_tbDpT10_ENKUlT_T0_E_clISt17integral_constantIbLb1EES1A_IbLb0EEEEDaS16_S17_EUlS16_E_NS1_11comp_targetILNS1_3genE8ELNS1_11target_archE1030ELNS1_3gpuE2ELNS1_3repE0EEENS1_30default_config_static_selectorELNS0_4arch9wavefront6targetE1EEEvT1_
                                        ; -- End function
	.section	.AMDGPU.csdata,"",@progbits
; Kernel info:
; codeLenInByte = 0
; NumSgprs: 4
; NumVgprs: 0
; NumAgprs: 0
; TotalNumVgprs: 0
; ScratchSize: 0
; MemoryBound: 0
; FloatMode: 240
; IeeeMode: 1
; LDSByteSize: 0 bytes/workgroup (compile time only)
; SGPRBlocks: 0
; VGPRBlocks: 0
; NumSGPRsForWavesPerEU: 4
; NumVGPRsForWavesPerEU: 1
; AccumOffset: 4
; Occupancy: 8
; WaveLimiterHint : 0
; COMPUTE_PGM_RSRC2:SCRATCH_EN: 0
; COMPUTE_PGM_RSRC2:USER_SGPR: 6
; COMPUTE_PGM_RSRC2:TRAP_HANDLER: 0
; COMPUTE_PGM_RSRC2:TGID_X_EN: 1
; COMPUTE_PGM_RSRC2:TGID_Y_EN: 0
; COMPUTE_PGM_RSRC2:TGID_Z_EN: 0
; COMPUTE_PGM_RSRC2:TIDIG_COMP_CNT: 0
; COMPUTE_PGM_RSRC3_GFX90A:ACCUM_OFFSET: 0
; COMPUTE_PGM_RSRC3_GFX90A:TG_SPLIT: 0
	.section	.text._ZN7rocprim17ROCPRIM_400000_NS6detail17trampoline_kernelINS0_14default_configENS1_25partition_config_selectorILNS1_17partition_subalgoE1EyNS0_10empty_typeEbEEZZNS1_14partition_implILS5_1ELb0ES3_jN6thrust23THRUST_200600_302600_NS6detail15normal_iteratorINSA_10device_ptrIyEEEEPS6_NSA_18transform_iteratorI7is_evenIyESF_NSA_11use_defaultESK_EENS0_5tupleIJSF_NSA_16discard_iteratorISK_EEEEENSM_IJSG_SG_EEES6_PlJS6_EEE10hipError_tPvRmT3_T4_T5_T6_T7_T9_mT8_P12ihipStream_tbDpT10_ENKUlT_T0_E_clISt17integral_constantIbLb0EES1A_IbLb1EEEEDaS16_S17_EUlS16_E_NS1_11comp_targetILNS1_3genE0ELNS1_11target_archE4294967295ELNS1_3gpuE0ELNS1_3repE0EEENS1_30default_config_static_selectorELNS0_4arch9wavefront6targetE1EEEvT1_,"axG",@progbits,_ZN7rocprim17ROCPRIM_400000_NS6detail17trampoline_kernelINS0_14default_configENS1_25partition_config_selectorILNS1_17partition_subalgoE1EyNS0_10empty_typeEbEEZZNS1_14partition_implILS5_1ELb0ES3_jN6thrust23THRUST_200600_302600_NS6detail15normal_iteratorINSA_10device_ptrIyEEEEPS6_NSA_18transform_iteratorI7is_evenIyESF_NSA_11use_defaultESK_EENS0_5tupleIJSF_NSA_16discard_iteratorISK_EEEEENSM_IJSG_SG_EEES6_PlJS6_EEE10hipError_tPvRmT3_T4_T5_T6_T7_T9_mT8_P12ihipStream_tbDpT10_ENKUlT_T0_E_clISt17integral_constantIbLb0EES1A_IbLb1EEEEDaS16_S17_EUlS16_E_NS1_11comp_targetILNS1_3genE0ELNS1_11target_archE4294967295ELNS1_3gpuE0ELNS1_3repE0EEENS1_30default_config_static_selectorELNS0_4arch9wavefront6targetE1EEEvT1_,comdat
	.protected	_ZN7rocprim17ROCPRIM_400000_NS6detail17trampoline_kernelINS0_14default_configENS1_25partition_config_selectorILNS1_17partition_subalgoE1EyNS0_10empty_typeEbEEZZNS1_14partition_implILS5_1ELb0ES3_jN6thrust23THRUST_200600_302600_NS6detail15normal_iteratorINSA_10device_ptrIyEEEEPS6_NSA_18transform_iteratorI7is_evenIyESF_NSA_11use_defaultESK_EENS0_5tupleIJSF_NSA_16discard_iteratorISK_EEEEENSM_IJSG_SG_EEES6_PlJS6_EEE10hipError_tPvRmT3_T4_T5_T6_T7_T9_mT8_P12ihipStream_tbDpT10_ENKUlT_T0_E_clISt17integral_constantIbLb0EES1A_IbLb1EEEEDaS16_S17_EUlS16_E_NS1_11comp_targetILNS1_3genE0ELNS1_11target_archE4294967295ELNS1_3gpuE0ELNS1_3repE0EEENS1_30default_config_static_selectorELNS0_4arch9wavefront6targetE1EEEvT1_ ; -- Begin function _ZN7rocprim17ROCPRIM_400000_NS6detail17trampoline_kernelINS0_14default_configENS1_25partition_config_selectorILNS1_17partition_subalgoE1EyNS0_10empty_typeEbEEZZNS1_14partition_implILS5_1ELb0ES3_jN6thrust23THRUST_200600_302600_NS6detail15normal_iteratorINSA_10device_ptrIyEEEEPS6_NSA_18transform_iteratorI7is_evenIyESF_NSA_11use_defaultESK_EENS0_5tupleIJSF_NSA_16discard_iteratorISK_EEEEENSM_IJSG_SG_EEES6_PlJS6_EEE10hipError_tPvRmT3_T4_T5_T6_T7_T9_mT8_P12ihipStream_tbDpT10_ENKUlT_T0_E_clISt17integral_constantIbLb0EES1A_IbLb1EEEEDaS16_S17_EUlS16_E_NS1_11comp_targetILNS1_3genE0ELNS1_11target_archE4294967295ELNS1_3gpuE0ELNS1_3repE0EEENS1_30default_config_static_selectorELNS0_4arch9wavefront6targetE1EEEvT1_
	.globl	_ZN7rocprim17ROCPRIM_400000_NS6detail17trampoline_kernelINS0_14default_configENS1_25partition_config_selectorILNS1_17partition_subalgoE1EyNS0_10empty_typeEbEEZZNS1_14partition_implILS5_1ELb0ES3_jN6thrust23THRUST_200600_302600_NS6detail15normal_iteratorINSA_10device_ptrIyEEEEPS6_NSA_18transform_iteratorI7is_evenIyESF_NSA_11use_defaultESK_EENS0_5tupleIJSF_NSA_16discard_iteratorISK_EEEEENSM_IJSG_SG_EEES6_PlJS6_EEE10hipError_tPvRmT3_T4_T5_T6_T7_T9_mT8_P12ihipStream_tbDpT10_ENKUlT_T0_E_clISt17integral_constantIbLb0EES1A_IbLb1EEEEDaS16_S17_EUlS16_E_NS1_11comp_targetILNS1_3genE0ELNS1_11target_archE4294967295ELNS1_3gpuE0ELNS1_3repE0EEENS1_30default_config_static_selectorELNS0_4arch9wavefront6targetE1EEEvT1_
	.p2align	8
	.type	_ZN7rocprim17ROCPRIM_400000_NS6detail17trampoline_kernelINS0_14default_configENS1_25partition_config_selectorILNS1_17partition_subalgoE1EyNS0_10empty_typeEbEEZZNS1_14partition_implILS5_1ELb0ES3_jN6thrust23THRUST_200600_302600_NS6detail15normal_iteratorINSA_10device_ptrIyEEEEPS6_NSA_18transform_iteratorI7is_evenIyESF_NSA_11use_defaultESK_EENS0_5tupleIJSF_NSA_16discard_iteratorISK_EEEEENSM_IJSG_SG_EEES6_PlJS6_EEE10hipError_tPvRmT3_T4_T5_T6_T7_T9_mT8_P12ihipStream_tbDpT10_ENKUlT_T0_E_clISt17integral_constantIbLb0EES1A_IbLb1EEEEDaS16_S17_EUlS16_E_NS1_11comp_targetILNS1_3genE0ELNS1_11target_archE4294967295ELNS1_3gpuE0ELNS1_3repE0EEENS1_30default_config_static_selectorELNS0_4arch9wavefront6targetE1EEEvT1_,@function
_ZN7rocprim17ROCPRIM_400000_NS6detail17trampoline_kernelINS0_14default_configENS1_25partition_config_selectorILNS1_17partition_subalgoE1EyNS0_10empty_typeEbEEZZNS1_14partition_implILS5_1ELb0ES3_jN6thrust23THRUST_200600_302600_NS6detail15normal_iteratorINSA_10device_ptrIyEEEEPS6_NSA_18transform_iteratorI7is_evenIyESF_NSA_11use_defaultESK_EENS0_5tupleIJSF_NSA_16discard_iteratorISK_EEEEENSM_IJSG_SG_EEES6_PlJS6_EEE10hipError_tPvRmT3_T4_T5_T6_T7_T9_mT8_P12ihipStream_tbDpT10_ENKUlT_T0_E_clISt17integral_constantIbLb0EES1A_IbLb1EEEEDaS16_S17_EUlS16_E_NS1_11comp_targetILNS1_3genE0ELNS1_11target_archE4294967295ELNS1_3gpuE0ELNS1_3repE0EEENS1_30default_config_static_selectorELNS0_4arch9wavefront6targetE1EEEvT1_: ; @_ZN7rocprim17ROCPRIM_400000_NS6detail17trampoline_kernelINS0_14default_configENS1_25partition_config_selectorILNS1_17partition_subalgoE1EyNS0_10empty_typeEbEEZZNS1_14partition_implILS5_1ELb0ES3_jN6thrust23THRUST_200600_302600_NS6detail15normal_iteratorINSA_10device_ptrIyEEEEPS6_NSA_18transform_iteratorI7is_evenIyESF_NSA_11use_defaultESK_EENS0_5tupleIJSF_NSA_16discard_iteratorISK_EEEEENSM_IJSG_SG_EEES6_PlJS6_EEE10hipError_tPvRmT3_T4_T5_T6_T7_T9_mT8_P12ihipStream_tbDpT10_ENKUlT_T0_E_clISt17integral_constantIbLb0EES1A_IbLb1EEEEDaS16_S17_EUlS16_E_NS1_11comp_targetILNS1_3genE0ELNS1_11target_archE4294967295ELNS1_3gpuE0ELNS1_3repE0EEENS1_30default_config_static_selectorELNS0_4arch9wavefront6targetE1EEEvT1_
; %bb.0:
	.section	.rodata,"a",@progbits
	.p2align	6, 0x0
	.amdhsa_kernel _ZN7rocprim17ROCPRIM_400000_NS6detail17trampoline_kernelINS0_14default_configENS1_25partition_config_selectorILNS1_17partition_subalgoE1EyNS0_10empty_typeEbEEZZNS1_14partition_implILS5_1ELb0ES3_jN6thrust23THRUST_200600_302600_NS6detail15normal_iteratorINSA_10device_ptrIyEEEEPS6_NSA_18transform_iteratorI7is_evenIyESF_NSA_11use_defaultESK_EENS0_5tupleIJSF_NSA_16discard_iteratorISK_EEEEENSM_IJSG_SG_EEES6_PlJS6_EEE10hipError_tPvRmT3_T4_T5_T6_T7_T9_mT8_P12ihipStream_tbDpT10_ENKUlT_T0_E_clISt17integral_constantIbLb0EES1A_IbLb1EEEEDaS16_S17_EUlS16_E_NS1_11comp_targetILNS1_3genE0ELNS1_11target_archE4294967295ELNS1_3gpuE0ELNS1_3repE0EEENS1_30default_config_static_selectorELNS0_4arch9wavefront6targetE1EEEvT1_
		.amdhsa_group_segment_fixed_size 0
		.amdhsa_private_segment_fixed_size 0
		.amdhsa_kernarg_size 152
		.amdhsa_user_sgpr_count 6
		.amdhsa_user_sgpr_private_segment_buffer 1
		.amdhsa_user_sgpr_dispatch_ptr 0
		.amdhsa_user_sgpr_queue_ptr 0
		.amdhsa_user_sgpr_kernarg_segment_ptr 1
		.amdhsa_user_sgpr_dispatch_id 0
		.amdhsa_user_sgpr_flat_scratch_init 0
		.amdhsa_user_sgpr_kernarg_preload_length 0
		.amdhsa_user_sgpr_kernarg_preload_offset 0
		.amdhsa_user_sgpr_private_segment_size 0
		.amdhsa_uses_dynamic_stack 0
		.amdhsa_system_sgpr_private_segment_wavefront_offset 0
		.amdhsa_system_sgpr_workgroup_id_x 1
		.amdhsa_system_sgpr_workgroup_id_y 0
		.amdhsa_system_sgpr_workgroup_id_z 0
		.amdhsa_system_sgpr_workgroup_info 0
		.amdhsa_system_vgpr_workitem_id 0
		.amdhsa_next_free_vgpr 1
		.amdhsa_next_free_sgpr 0
		.amdhsa_accum_offset 4
		.amdhsa_reserve_vcc 0
		.amdhsa_reserve_flat_scratch 0
		.amdhsa_float_round_mode_32 0
		.amdhsa_float_round_mode_16_64 0
		.amdhsa_float_denorm_mode_32 3
		.amdhsa_float_denorm_mode_16_64 3
		.amdhsa_dx10_clamp 1
		.amdhsa_ieee_mode 1
		.amdhsa_fp16_overflow 0
		.amdhsa_tg_split 0
		.amdhsa_exception_fp_ieee_invalid_op 0
		.amdhsa_exception_fp_denorm_src 0
		.amdhsa_exception_fp_ieee_div_zero 0
		.amdhsa_exception_fp_ieee_overflow 0
		.amdhsa_exception_fp_ieee_underflow 0
		.amdhsa_exception_fp_ieee_inexact 0
		.amdhsa_exception_int_div_zero 0
	.end_amdhsa_kernel
	.section	.text._ZN7rocprim17ROCPRIM_400000_NS6detail17trampoline_kernelINS0_14default_configENS1_25partition_config_selectorILNS1_17partition_subalgoE1EyNS0_10empty_typeEbEEZZNS1_14partition_implILS5_1ELb0ES3_jN6thrust23THRUST_200600_302600_NS6detail15normal_iteratorINSA_10device_ptrIyEEEEPS6_NSA_18transform_iteratorI7is_evenIyESF_NSA_11use_defaultESK_EENS0_5tupleIJSF_NSA_16discard_iteratorISK_EEEEENSM_IJSG_SG_EEES6_PlJS6_EEE10hipError_tPvRmT3_T4_T5_T6_T7_T9_mT8_P12ihipStream_tbDpT10_ENKUlT_T0_E_clISt17integral_constantIbLb0EES1A_IbLb1EEEEDaS16_S17_EUlS16_E_NS1_11comp_targetILNS1_3genE0ELNS1_11target_archE4294967295ELNS1_3gpuE0ELNS1_3repE0EEENS1_30default_config_static_selectorELNS0_4arch9wavefront6targetE1EEEvT1_,"axG",@progbits,_ZN7rocprim17ROCPRIM_400000_NS6detail17trampoline_kernelINS0_14default_configENS1_25partition_config_selectorILNS1_17partition_subalgoE1EyNS0_10empty_typeEbEEZZNS1_14partition_implILS5_1ELb0ES3_jN6thrust23THRUST_200600_302600_NS6detail15normal_iteratorINSA_10device_ptrIyEEEEPS6_NSA_18transform_iteratorI7is_evenIyESF_NSA_11use_defaultESK_EENS0_5tupleIJSF_NSA_16discard_iteratorISK_EEEEENSM_IJSG_SG_EEES6_PlJS6_EEE10hipError_tPvRmT3_T4_T5_T6_T7_T9_mT8_P12ihipStream_tbDpT10_ENKUlT_T0_E_clISt17integral_constantIbLb0EES1A_IbLb1EEEEDaS16_S17_EUlS16_E_NS1_11comp_targetILNS1_3genE0ELNS1_11target_archE4294967295ELNS1_3gpuE0ELNS1_3repE0EEENS1_30default_config_static_selectorELNS0_4arch9wavefront6targetE1EEEvT1_,comdat
.Lfunc_end2931:
	.size	_ZN7rocprim17ROCPRIM_400000_NS6detail17trampoline_kernelINS0_14default_configENS1_25partition_config_selectorILNS1_17partition_subalgoE1EyNS0_10empty_typeEbEEZZNS1_14partition_implILS5_1ELb0ES3_jN6thrust23THRUST_200600_302600_NS6detail15normal_iteratorINSA_10device_ptrIyEEEEPS6_NSA_18transform_iteratorI7is_evenIyESF_NSA_11use_defaultESK_EENS0_5tupleIJSF_NSA_16discard_iteratorISK_EEEEENSM_IJSG_SG_EEES6_PlJS6_EEE10hipError_tPvRmT3_T4_T5_T6_T7_T9_mT8_P12ihipStream_tbDpT10_ENKUlT_T0_E_clISt17integral_constantIbLb0EES1A_IbLb1EEEEDaS16_S17_EUlS16_E_NS1_11comp_targetILNS1_3genE0ELNS1_11target_archE4294967295ELNS1_3gpuE0ELNS1_3repE0EEENS1_30default_config_static_selectorELNS0_4arch9wavefront6targetE1EEEvT1_, .Lfunc_end2931-_ZN7rocprim17ROCPRIM_400000_NS6detail17trampoline_kernelINS0_14default_configENS1_25partition_config_selectorILNS1_17partition_subalgoE1EyNS0_10empty_typeEbEEZZNS1_14partition_implILS5_1ELb0ES3_jN6thrust23THRUST_200600_302600_NS6detail15normal_iteratorINSA_10device_ptrIyEEEEPS6_NSA_18transform_iteratorI7is_evenIyESF_NSA_11use_defaultESK_EENS0_5tupleIJSF_NSA_16discard_iteratorISK_EEEEENSM_IJSG_SG_EEES6_PlJS6_EEE10hipError_tPvRmT3_T4_T5_T6_T7_T9_mT8_P12ihipStream_tbDpT10_ENKUlT_T0_E_clISt17integral_constantIbLb0EES1A_IbLb1EEEEDaS16_S17_EUlS16_E_NS1_11comp_targetILNS1_3genE0ELNS1_11target_archE4294967295ELNS1_3gpuE0ELNS1_3repE0EEENS1_30default_config_static_selectorELNS0_4arch9wavefront6targetE1EEEvT1_
                                        ; -- End function
	.section	.AMDGPU.csdata,"",@progbits
; Kernel info:
; codeLenInByte = 0
; NumSgprs: 4
; NumVgprs: 0
; NumAgprs: 0
; TotalNumVgprs: 0
; ScratchSize: 0
; MemoryBound: 0
; FloatMode: 240
; IeeeMode: 1
; LDSByteSize: 0 bytes/workgroup (compile time only)
; SGPRBlocks: 0
; VGPRBlocks: 0
; NumSGPRsForWavesPerEU: 4
; NumVGPRsForWavesPerEU: 1
; AccumOffset: 4
; Occupancy: 8
; WaveLimiterHint : 0
; COMPUTE_PGM_RSRC2:SCRATCH_EN: 0
; COMPUTE_PGM_RSRC2:USER_SGPR: 6
; COMPUTE_PGM_RSRC2:TRAP_HANDLER: 0
; COMPUTE_PGM_RSRC2:TGID_X_EN: 1
; COMPUTE_PGM_RSRC2:TGID_Y_EN: 0
; COMPUTE_PGM_RSRC2:TGID_Z_EN: 0
; COMPUTE_PGM_RSRC2:TIDIG_COMP_CNT: 0
; COMPUTE_PGM_RSRC3_GFX90A:ACCUM_OFFSET: 0
; COMPUTE_PGM_RSRC3_GFX90A:TG_SPLIT: 0
	.section	.text._ZN7rocprim17ROCPRIM_400000_NS6detail17trampoline_kernelINS0_14default_configENS1_25partition_config_selectorILNS1_17partition_subalgoE1EyNS0_10empty_typeEbEEZZNS1_14partition_implILS5_1ELb0ES3_jN6thrust23THRUST_200600_302600_NS6detail15normal_iteratorINSA_10device_ptrIyEEEEPS6_NSA_18transform_iteratorI7is_evenIyESF_NSA_11use_defaultESK_EENS0_5tupleIJSF_NSA_16discard_iteratorISK_EEEEENSM_IJSG_SG_EEES6_PlJS6_EEE10hipError_tPvRmT3_T4_T5_T6_T7_T9_mT8_P12ihipStream_tbDpT10_ENKUlT_T0_E_clISt17integral_constantIbLb0EES1A_IbLb1EEEEDaS16_S17_EUlS16_E_NS1_11comp_targetILNS1_3genE5ELNS1_11target_archE942ELNS1_3gpuE9ELNS1_3repE0EEENS1_30default_config_static_selectorELNS0_4arch9wavefront6targetE1EEEvT1_,"axG",@progbits,_ZN7rocprim17ROCPRIM_400000_NS6detail17trampoline_kernelINS0_14default_configENS1_25partition_config_selectorILNS1_17partition_subalgoE1EyNS0_10empty_typeEbEEZZNS1_14partition_implILS5_1ELb0ES3_jN6thrust23THRUST_200600_302600_NS6detail15normal_iteratorINSA_10device_ptrIyEEEEPS6_NSA_18transform_iteratorI7is_evenIyESF_NSA_11use_defaultESK_EENS0_5tupleIJSF_NSA_16discard_iteratorISK_EEEEENSM_IJSG_SG_EEES6_PlJS6_EEE10hipError_tPvRmT3_T4_T5_T6_T7_T9_mT8_P12ihipStream_tbDpT10_ENKUlT_T0_E_clISt17integral_constantIbLb0EES1A_IbLb1EEEEDaS16_S17_EUlS16_E_NS1_11comp_targetILNS1_3genE5ELNS1_11target_archE942ELNS1_3gpuE9ELNS1_3repE0EEENS1_30default_config_static_selectorELNS0_4arch9wavefront6targetE1EEEvT1_,comdat
	.protected	_ZN7rocprim17ROCPRIM_400000_NS6detail17trampoline_kernelINS0_14default_configENS1_25partition_config_selectorILNS1_17partition_subalgoE1EyNS0_10empty_typeEbEEZZNS1_14partition_implILS5_1ELb0ES3_jN6thrust23THRUST_200600_302600_NS6detail15normal_iteratorINSA_10device_ptrIyEEEEPS6_NSA_18transform_iteratorI7is_evenIyESF_NSA_11use_defaultESK_EENS0_5tupleIJSF_NSA_16discard_iteratorISK_EEEEENSM_IJSG_SG_EEES6_PlJS6_EEE10hipError_tPvRmT3_T4_T5_T6_T7_T9_mT8_P12ihipStream_tbDpT10_ENKUlT_T0_E_clISt17integral_constantIbLb0EES1A_IbLb1EEEEDaS16_S17_EUlS16_E_NS1_11comp_targetILNS1_3genE5ELNS1_11target_archE942ELNS1_3gpuE9ELNS1_3repE0EEENS1_30default_config_static_selectorELNS0_4arch9wavefront6targetE1EEEvT1_ ; -- Begin function _ZN7rocprim17ROCPRIM_400000_NS6detail17trampoline_kernelINS0_14default_configENS1_25partition_config_selectorILNS1_17partition_subalgoE1EyNS0_10empty_typeEbEEZZNS1_14partition_implILS5_1ELb0ES3_jN6thrust23THRUST_200600_302600_NS6detail15normal_iteratorINSA_10device_ptrIyEEEEPS6_NSA_18transform_iteratorI7is_evenIyESF_NSA_11use_defaultESK_EENS0_5tupleIJSF_NSA_16discard_iteratorISK_EEEEENSM_IJSG_SG_EEES6_PlJS6_EEE10hipError_tPvRmT3_T4_T5_T6_T7_T9_mT8_P12ihipStream_tbDpT10_ENKUlT_T0_E_clISt17integral_constantIbLb0EES1A_IbLb1EEEEDaS16_S17_EUlS16_E_NS1_11comp_targetILNS1_3genE5ELNS1_11target_archE942ELNS1_3gpuE9ELNS1_3repE0EEENS1_30default_config_static_selectorELNS0_4arch9wavefront6targetE1EEEvT1_
	.globl	_ZN7rocprim17ROCPRIM_400000_NS6detail17trampoline_kernelINS0_14default_configENS1_25partition_config_selectorILNS1_17partition_subalgoE1EyNS0_10empty_typeEbEEZZNS1_14partition_implILS5_1ELb0ES3_jN6thrust23THRUST_200600_302600_NS6detail15normal_iteratorINSA_10device_ptrIyEEEEPS6_NSA_18transform_iteratorI7is_evenIyESF_NSA_11use_defaultESK_EENS0_5tupleIJSF_NSA_16discard_iteratorISK_EEEEENSM_IJSG_SG_EEES6_PlJS6_EEE10hipError_tPvRmT3_T4_T5_T6_T7_T9_mT8_P12ihipStream_tbDpT10_ENKUlT_T0_E_clISt17integral_constantIbLb0EES1A_IbLb1EEEEDaS16_S17_EUlS16_E_NS1_11comp_targetILNS1_3genE5ELNS1_11target_archE942ELNS1_3gpuE9ELNS1_3repE0EEENS1_30default_config_static_selectorELNS0_4arch9wavefront6targetE1EEEvT1_
	.p2align	8
	.type	_ZN7rocprim17ROCPRIM_400000_NS6detail17trampoline_kernelINS0_14default_configENS1_25partition_config_selectorILNS1_17partition_subalgoE1EyNS0_10empty_typeEbEEZZNS1_14partition_implILS5_1ELb0ES3_jN6thrust23THRUST_200600_302600_NS6detail15normal_iteratorINSA_10device_ptrIyEEEEPS6_NSA_18transform_iteratorI7is_evenIyESF_NSA_11use_defaultESK_EENS0_5tupleIJSF_NSA_16discard_iteratorISK_EEEEENSM_IJSG_SG_EEES6_PlJS6_EEE10hipError_tPvRmT3_T4_T5_T6_T7_T9_mT8_P12ihipStream_tbDpT10_ENKUlT_T0_E_clISt17integral_constantIbLb0EES1A_IbLb1EEEEDaS16_S17_EUlS16_E_NS1_11comp_targetILNS1_3genE5ELNS1_11target_archE942ELNS1_3gpuE9ELNS1_3repE0EEENS1_30default_config_static_selectorELNS0_4arch9wavefront6targetE1EEEvT1_,@function
_ZN7rocprim17ROCPRIM_400000_NS6detail17trampoline_kernelINS0_14default_configENS1_25partition_config_selectorILNS1_17partition_subalgoE1EyNS0_10empty_typeEbEEZZNS1_14partition_implILS5_1ELb0ES3_jN6thrust23THRUST_200600_302600_NS6detail15normal_iteratorINSA_10device_ptrIyEEEEPS6_NSA_18transform_iteratorI7is_evenIyESF_NSA_11use_defaultESK_EENS0_5tupleIJSF_NSA_16discard_iteratorISK_EEEEENSM_IJSG_SG_EEES6_PlJS6_EEE10hipError_tPvRmT3_T4_T5_T6_T7_T9_mT8_P12ihipStream_tbDpT10_ENKUlT_T0_E_clISt17integral_constantIbLb0EES1A_IbLb1EEEEDaS16_S17_EUlS16_E_NS1_11comp_targetILNS1_3genE5ELNS1_11target_archE942ELNS1_3gpuE9ELNS1_3repE0EEENS1_30default_config_static_selectorELNS0_4arch9wavefront6targetE1EEEvT1_: ; @_ZN7rocprim17ROCPRIM_400000_NS6detail17trampoline_kernelINS0_14default_configENS1_25partition_config_selectorILNS1_17partition_subalgoE1EyNS0_10empty_typeEbEEZZNS1_14partition_implILS5_1ELb0ES3_jN6thrust23THRUST_200600_302600_NS6detail15normal_iteratorINSA_10device_ptrIyEEEEPS6_NSA_18transform_iteratorI7is_evenIyESF_NSA_11use_defaultESK_EENS0_5tupleIJSF_NSA_16discard_iteratorISK_EEEEENSM_IJSG_SG_EEES6_PlJS6_EEE10hipError_tPvRmT3_T4_T5_T6_T7_T9_mT8_P12ihipStream_tbDpT10_ENKUlT_T0_E_clISt17integral_constantIbLb0EES1A_IbLb1EEEEDaS16_S17_EUlS16_E_NS1_11comp_targetILNS1_3genE5ELNS1_11target_archE942ELNS1_3gpuE9ELNS1_3repE0EEENS1_30default_config_static_selectorELNS0_4arch9wavefront6targetE1EEEvT1_
; %bb.0:
	.section	.rodata,"a",@progbits
	.p2align	6, 0x0
	.amdhsa_kernel _ZN7rocprim17ROCPRIM_400000_NS6detail17trampoline_kernelINS0_14default_configENS1_25partition_config_selectorILNS1_17partition_subalgoE1EyNS0_10empty_typeEbEEZZNS1_14partition_implILS5_1ELb0ES3_jN6thrust23THRUST_200600_302600_NS6detail15normal_iteratorINSA_10device_ptrIyEEEEPS6_NSA_18transform_iteratorI7is_evenIyESF_NSA_11use_defaultESK_EENS0_5tupleIJSF_NSA_16discard_iteratorISK_EEEEENSM_IJSG_SG_EEES6_PlJS6_EEE10hipError_tPvRmT3_T4_T5_T6_T7_T9_mT8_P12ihipStream_tbDpT10_ENKUlT_T0_E_clISt17integral_constantIbLb0EES1A_IbLb1EEEEDaS16_S17_EUlS16_E_NS1_11comp_targetILNS1_3genE5ELNS1_11target_archE942ELNS1_3gpuE9ELNS1_3repE0EEENS1_30default_config_static_selectorELNS0_4arch9wavefront6targetE1EEEvT1_
		.amdhsa_group_segment_fixed_size 0
		.amdhsa_private_segment_fixed_size 0
		.amdhsa_kernarg_size 152
		.amdhsa_user_sgpr_count 6
		.amdhsa_user_sgpr_private_segment_buffer 1
		.amdhsa_user_sgpr_dispatch_ptr 0
		.amdhsa_user_sgpr_queue_ptr 0
		.amdhsa_user_sgpr_kernarg_segment_ptr 1
		.amdhsa_user_sgpr_dispatch_id 0
		.amdhsa_user_sgpr_flat_scratch_init 0
		.amdhsa_user_sgpr_kernarg_preload_length 0
		.amdhsa_user_sgpr_kernarg_preload_offset 0
		.amdhsa_user_sgpr_private_segment_size 0
		.amdhsa_uses_dynamic_stack 0
		.amdhsa_system_sgpr_private_segment_wavefront_offset 0
		.amdhsa_system_sgpr_workgroup_id_x 1
		.amdhsa_system_sgpr_workgroup_id_y 0
		.amdhsa_system_sgpr_workgroup_id_z 0
		.amdhsa_system_sgpr_workgroup_info 0
		.amdhsa_system_vgpr_workitem_id 0
		.amdhsa_next_free_vgpr 1
		.amdhsa_next_free_sgpr 0
		.amdhsa_accum_offset 4
		.amdhsa_reserve_vcc 0
		.amdhsa_reserve_flat_scratch 0
		.amdhsa_float_round_mode_32 0
		.amdhsa_float_round_mode_16_64 0
		.amdhsa_float_denorm_mode_32 3
		.amdhsa_float_denorm_mode_16_64 3
		.amdhsa_dx10_clamp 1
		.amdhsa_ieee_mode 1
		.amdhsa_fp16_overflow 0
		.amdhsa_tg_split 0
		.amdhsa_exception_fp_ieee_invalid_op 0
		.amdhsa_exception_fp_denorm_src 0
		.amdhsa_exception_fp_ieee_div_zero 0
		.amdhsa_exception_fp_ieee_overflow 0
		.amdhsa_exception_fp_ieee_underflow 0
		.amdhsa_exception_fp_ieee_inexact 0
		.amdhsa_exception_int_div_zero 0
	.end_amdhsa_kernel
	.section	.text._ZN7rocprim17ROCPRIM_400000_NS6detail17trampoline_kernelINS0_14default_configENS1_25partition_config_selectorILNS1_17partition_subalgoE1EyNS0_10empty_typeEbEEZZNS1_14partition_implILS5_1ELb0ES3_jN6thrust23THRUST_200600_302600_NS6detail15normal_iteratorINSA_10device_ptrIyEEEEPS6_NSA_18transform_iteratorI7is_evenIyESF_NSA_11use_defaultESK_EENS0_5tupleIJSF_NSA_16discard_iteratorISK_EEEEENSM_IJSG_SG_EEES6_PlJS6_EEE10hipError_tPvRmT3_T4_T5_T6_T7_T9_mT8_P12ihipStream_tbDpT10_ENKUlT_T0_E_clISt17integral_constantIbLb0EES1A_IbLb1EEEEDaS16_S17_EUlS16_E_NS1_11comp_targetILNS1_3genE5ELNS1_11target_archE942ELNS1_3gpuE9ELNS1_3repE0EEENS1_30default_config_static_selectorELNS0_4arch9wavefront6targetE1EEEvT1_,"axG",@progbits,_ZN7rocprim17ROCPRIM_400000_NS6detail17trampoline_kernelINS0_14default_configENS1_25partition_config_selectorILNS1_17partition_subalgoE1EyNS0_10empty_typeEbEEZZNS1_14partition_implILS5_1ELb0ES3_jN6thrust23THRUST_200600_302600_NS6detail15normal_iteratorINSA_10device_ptrIyEEEEPS6_NSA_18transform_iteratorI7is_evenIyESF_NSA_11use_defaultESK_EENS0_5tupleIJSF_NSA_16discard_iteratorISK_EEEEENSM_IJSG_SG_EEES6_PlJS6_EEE10hipError_tPvRmT3_T4_T5_T6_T7_T9_mT8_P12ihipStream_tbDpT10_ENKUlT_T0_E_clISt17integral_constantIbLb0EES1A_IbLb1EEEEDaS16_S17_EUlS16_E_NS1_11comp_targetILNS1_3genE5ELNS1_11target_archE942ELNS1_3gpuE9ELNS1_3repE0EEENS1_30default_config_static_selectorELNS0_4arch9wavefront6targetE1EEEvT1_,comdat
.Lfunc_end2932:
	.size	_ZN7rocprim17ROCPRIM_400000_NS6detail17trampoline_kernelINS0_14default_configENS1_25partition_config_selectorILNS1_17partition_subalgoE1EyNS0_10empty_typeEbEEZZNS1_14partition_implILS5_1ELb0ES3_jN6thrust23THRUST_200600_302600_NS6detail15normal_iteratorINSA_10device_ptrIyEEEEPS6_NSA_18transform_iteratorI7is_evenIyESF_NSA_11use_defaultESK_EENS0_5tupleIJSF_NSA_16discard_iteratorISK_EEEEENSM_IJSG_SG_EEES6_PlJS6_EEE10hipError_tPvRmT3_T4_T5_T6_T7_T9_mT8_P12ihipStream_tbDpT10_ENKUlT_T0_E_clISt17integral_constantIbLb0EES1A_IbLb1EEEEDaS16_S17_EUlS16_E_NS1_11comp_targetILNS1_3genE5ELNS1_11target_archE942ELNS1_3gpuE9ELNS1_3repE0EEENS1_30default_config_static_selectorELNS0_4arch9wavefront6targetE1EEEvT1_, .Lfunc_end2932-_ZN7rocprim17ROCPRIM_400000_NS6detail17trampoline_kernelINS0_14default_configENS1_25partition_config_selectorILNS1_17partition_subalgoE1EyNS0_10empty_typeEbEEZZNS1_14partition_implILS5_1ELb0ES3_jN6thrust23THRUST_200600_302600_NS6detail15normal_iteratorINSA_10device_ptrIyEEEEPS6_NSA_18transform_iteratorI7is_evenIyESF_NSA_11use_defaultESK_EENS0_5tupleIJSF_NSA_16discard_iteratorISK_EEEEENSM_IJSG_SG_EEES6_PlJS6_EEE10hipError_tPvRmT3_T4_T5_T6_T7_T9_mT8_P12ihipStream_tbDpT10_ENKUlT_T0_E_clISt17integral_constantIbLb0EES1A_IbLb1EEEEDaS16_S17_EUlS16_E_NS1_11comp_targetILNS1_3genE5ELNS1_11target_archE942ELNS1_3gpuE9ELNS1_3repE0EEENS1_30default_config_static_selectorELNS0_4arch9wavefront6targetE1EEEvT1_
                                        ; -- End function
	.section	.AMDGPU.csdata,"",@progbits
; Kernel info:
; codeLenInByte = 0
; NumSgprs: 4
; NumVgprs: 0
; NumAgprs: 0
; TotalNumVgprs: 0
; ScratchSize: 0
; MemoryBound: 0
; FloatMode: 240
; IeeeMode: 1
; LDSByteSize: 0 bytes/workgroup (compile time only)
; SGPRBlocks: 0
; VGPRBlocks: 0
; NumSGPRsForWavesPerEU: 4
; NumVGPRsForWavesPerEU: 1
; AccumOffset: 4
; Occupancy: 8
; WaveLimiterHint : 0
; COMPUTE_PGM_RSRC2:SCRATCH_EN: 0
; COMPUTE_PGM_RSRC2:USER_SGPR: 6
; COMPUTE_PGM_RSRC2:TRAP_HANDLER: 0
; COMPUTE_PGM_RSRC2:TGID_X_EN: 1
; COMPUTE_PGM_RSRC2:TGID_Y_EN: 0
; COMPUTE_PGM_RSRC2:TGID_Z_EN: 0
; COMPUTE_PGM_RSRC2:TIDIG_COMP_CNT: 0
; COMPUTE_PGM_RSRC3_GFX90A:ACCUM_OFFSET: 0
; COMPUTE_PGM_RSRC3_GFX90A:TG_SPLIT: 0
	.section	.text._ZN7rocprim17ROCPRIM_400000_NS6detail17trampoline_kernelINS0_14default_configENS1_25partition_config_selectorILNS1_17partition_subalgoE1EyNS0_10empty_typeEbEEZZNS1_14partition_implILS5_1ELb0ES3_jN6thrust23THRUST_200600_302600_NS6detail15normal_iteratorINSA_10device_ptrIyEEEEPS6_NSA_18transform_iteratorI7is_evenIyESF_NSA_11use_defaultESK_EENS0_5tupleIJSF_NSA_16discard_iteratorISK_EEEEENSM_IJSG_SG_EEES6_PlJS6_EEE10hipError_tPvRmT3_T4_T5_T6_T7_T9_mT8_P12ihipStream_tbDpT10_ENKUlT_T0_E_clISt17integral_constantIbLb0EES1A_IbLb1EEEEDaS16_S17_EUlS16_E_NS1_11comp_targetILNS1_3genE4ELNS1_11target_archE910ELNS1_3gpuE8ELNS1_3repE0EEENS1_30default_config_static_selectorELNS0_4arch9wavefront6targetE1EEEvT1_,"axG",@progbits,_ZN7rocprim17ROCPRIM_400000_NS6detail17trampoline_kernelINS0_14default_configENS1_25partition_config_selectorILNS1_17partition_subalgoE1EyNS0_10empty_typeEbEEZZNS1_14partition_implILS5_1ELb0ES3_jN6thrust23THRUST_200600_302600_NS6detail15normal_iteratorINSA_10device_ptrIyEEEEPS6_NSA_18transform_iteratorI7is_evenIyESF_NSA_11use_defaultESK_EENS0_5tupleIJSF_NSA_16discard_iteratorISK_EEEEENSM_IJSG_SG_EEES6_PlJS6_EEE10hipError_tPvRmT3_T4_T5_T6_T7_T9_mT8_P12ihipStream_tbDpT10_ENKUlT_T0_E_clISt17integral_constantIbLb0EES1A_IbLb1EEEEDaS16_S17_EUlS16_E_NS1_11comp_targetILNS1_3genE4ELNS1_11target_archE910ELNS1_3gpuE8ELNS1_3repE0EEENS1_30default_config_static_selectorELNS0_4arch9wavefront6targetE1EEEvT1_,comdat
	.protected	_ZN7rocprim17ROCPRIM_400000_NS6detail17trampoline_kernelINS0_14default_configENS1_25partition_config_selectorILNS1_17partition_subalgoE1EyNS0_10empty_typeEbEEZZNS1_14partition_implILS5_1ELb0ES3_jN6thrust23THRUST_200600_302600_NS6detail15normal_iteratorINSA_10device_ptrIyEEEEPS6_NSA_18transform_iteratorI7is_evenIyESF_NSA_11use_defaultESK_EENS0_5tupleIJSF_NSA_16discard_iteratorISK_EEEEENSM_IJSG_SG_EEES6_PlJS6_EEE10hipError_tPvRmT3_T4_T5_T6_T7_T9_mT8_P12ihipStream_tbDpT10_ENKUlT_T0_E_clISt17integral_constantIbLb0EES1A_IbLb1EEEEDaS16_S17_EUlS16_E_NS1_11comp_targetILNS1_3genE4ELNS1_11target_archE910ELNS1_3gpuE8ELNS1_3repE0EEENS1_30default_config_static_selectorELNS0_4arch9wavefront6targetE1EEEvT1_ ; -- Begin function _ZN7rocprim17ROCPRIM_400000_NS6detail17trampoline_kernelINS0_14default_configENS1_25partition_config_selectorILNS1_17partition_subalgoE1EyNS0_10empty_typeEbEEZZNS1_14partition_implILS5_1ELb0ES3_jN6thrust23THRUST_200600_302600_NS6detail15normal_iteratorINSA_10device_ptrIyEEEEPS6_NSA_18transform_iteratorI7is_evenIyESF_NSA_11use_defaultESK_EENS0_5tupleIJSF_NSA_16discard_iteratorISK_EEEEENSM_IJSG_SG_EEES6_PlJS6_EEE10hipError_tPvRmT3_T4_T5_T6_T7_T9_mT8_P12ihipStream_tbDpT10_ENKUlT_T0_E_clISt17integral_constantIbLb0EES1A_IbLb1EEEEDaS16_S17_EUlS16_E_NS1_11comp_targetILNS1_3genE4ELNS1_11target_archE910ELNS1_3gpuE8ELNS1_3repE0EEENS1_30default_config_static_selectorELNS0_4arch9wavefront6targetE1EEEvT1_
	.globl	_ZN7rocprim17ROCPRIM_400000_NS6detail17trampoline_kernelINS0_14default_configENS1_25partition_config_selectorILNS1_17partition_subalgoE1EyNS0_10empty_typeEbEEZZNS1_14partition_implILS5_1ELb0ES3_jN6thrust23THRUST_200600_302600_NS6detail15normal_iteratorINSA_10device_ptrIyEEEEPS6_NSA_18transform_iteratorI7is_evenIyESF_NSA_11use_defaultESK_EENS0_5tupleIJSF_NSA_16discard_iteratorISK_EEEEENSM_IJSG_SG_EEES6_PlJS6_EEE10hipError_tPvRmT3_T4_T5_T6_T7_T9_mT8_P12ihipStream_tbDpT10_ENKUlT_T0_E_clISt17integral_constantIbLb0EES1A_IbLb1EEEEDaS16_S17_EUlS16_E_NS1_11comp_targetILNS1_3genE4ELNS1_11target_archE910ELNS1_3gpuE8ELNS1_3repE0EEENS1_30default_config_static_selectorELNS0_4arch9wavefront6targetE1EEEvT1_
	.p2align	8
	.type	_ZN7rocprim17ROCPRIM_400000_NS6detail17trampoline_kernelINS0_14default_configENS1_25partition_config_selectorILNS1_17partition_subalgoE1EyNS0_10empty_typeEbEEZZNS1_14partition_implILS5_1ELb0ES3_jN6thrust23THRUST_200600_302600_NS6detail15normal_iteratorINSA_10device_ptrIyEEEEPS6_NSA_18transform_iteratorI7is_evenIyESF_NSA_11use_defaultESK_EENS0_5tupleIJSF_NSA_16discard_iteratorISK_EEEEENSM_IJSG_SG_EEES6_PlJS6_EEE10hipError_tPvRmT3_T4_T5_T6_T7_T9_mT8_P12ihipStream_tbDpT10_ENKUlT_T0_E_clISt17integral_constantIbLb0EES1A_IbLb1EEEEDaS16_S17_EUlS16_E_NS1_11comp_targetILNS1_3genE4ELNS1_11target_archE910ELNS1_3gpuE8ELNS1_3repE0EEENS1_30default_config_static_selectorELNS0_4arch9wavefront6targetE1EEEvT1_,@function
_ZN7rocprim17ROCPRIM_400000_NS6detail17trampoline_kernelINS0_14default_configENS1_25partition_config_selectorILNS1_17partition_subalgoE1EyNS0_10empty_typeEbEEZZNS1_14partition_implILS5_1ELb0ES3_jN6thrust23THRUST_200600_302600_NS6detail15normal_iteratorINSA_10device_ptrIyEEEEPS6_NSA_18transform_iteratorI7is_evenIyESF_NSA_11use_defaultESK_EENS0_5tupleIJSF_NSA_16discard_iteratorISK_EEEEENSM_IJSG_SG_EEES6_PlJS6_EEE10hipError_tPvRmT3_T4_T5_T6_T7_T9_mT8_P12ihipStream_tbDpT10_ENKUlT_T0_E_clISt17integral_constantIbLb0EES1A_IbLb1EEEEDaS16_S17_EUlS16_E_NS1_11comp_targetILNS1_3genE4ELNS1_11target_archE910ELNS1_3gpuE8ELNS1_3repE0EEENS1_30default_config_static_selectorELNS0_4arch9wavefront6targetE1EEEvT1_: ; @_ZN7rocprim17ROCPRIM_400000_NS6detail17trampoline_kernelINS0_14default_configENS1_25partition_config_selectorILNS1_17partition_subalgoE1EyNS0_10empty_typeEbEEZZNS1_14partition_implILS5_1ELb0ES3_jN6thrust23THRUST_200600_302600_NS6detail15normal_iteratorINSA_10device_ptrIyEEEEPS6_NSA_18transform_iteratorI7is_evenIyESF_NSA_11use_defaultESK_EENS0_5tupleIJSF_NSA_16discard_iteratorISK_EEEEENSM_IJSG_SG_EEES6_PlJS6_EEE10hipError_tPvRmT3_T4_T5_T6_T7_T9_mT8_P12ihipStream_tbDpT10_ENKUlT_T0_E_clISt17integral_constantIbLb0EES1A_IbLb1EEEEDaS16_S17_EUlS16_E_NS1_11comp_targetILNS1_3genE4ELNS1_11target_archE910ELNS1_3gpuE8ELNS1_3repE0EEENS1_30default_config_static_selectorELNS0_4arch9wavefront6targetE1EEEvT1_
; %bb.0:
	s_load_dwordx2 s[6:7], s[4:5], 0x20
	s_load_dwordx2 s[18:19], s[4:5], 0x30
	;; [unrolled: 1-line block ×3, first 2 shown]
	s_load_dwordx4 s[20:23], s[4:5], 0x58
	s_load_dwordx2 s[24:25], s[4:5], 0x78
	v_cmp_eq_u32_e64 s[0:1], 0, v0
	s_and_saveexec_b64 s[8:9], s[0:1]
	s_cbranch_execz .LBB2933_4
; %bb.1:
	s_mov_b64 s[12:13], exec
	v_mbcnt_lo_u32_b32 v1, s12, 0
	v_mbcnt_hi_u32_b32 v1, s13, v1
	v_cmp_eq_u32_e32 vcc, 0, v1
                                        ; implicit-def: $vgpr2
	s_and_saveexec_b64 s[10:11], vcc
	s_cbranch_execz .LBB2933_3
; %bb.2:
	s_load_dwordx2 s[14:15], s[4:5], 0x88
	s_bcnt1_i32_b64 s12, s[12:13]
	v_mov_b32_e32 v2, 0
	v_mov_b32_e32 v3, s12
	s_waitcnt lgkmcnt(0)
	global_atomic_add v2, v2, v3, s[14:15] glc
.LBB2933_3:
	s_or_b64 exec, exec, s[10:11]
	s_waitcnt vmcnt(0)
	v_readfirstlane_b32 s10, v2
	v_add_u32_e32 v1, s10, v1
	v_mov_b32_e32 v2, 0
	ds_write_b32 v2, v1
.LBB2933_4:
	s_or_b64 exec, exec, s[8:9]
	v_mov_b32_e32 v1, 0
	s_load_dwordx4 s[8:11], s[4:5], 0x8
	s_load_dword s12, s[4:5], 0x80
	s_waitcnt lgkmcnt(0)
	s_barrier
	ds_read_b32 v4, v1
	s_waitcnt lgkmcnt(0)
	s_barrier
	global_load_dwordx2 v[10:11], v1, s[22:23]
	s_lshl_b64 s[4:5], s[10:11], 3
	v_mov_b32_e32 v3, s3
	s_add_u32 s13, s8, s4
	s_mul_i32 s3, s12, 0x300
	s_addc_u32 s14, s9, s5
	s_add_i32 s9, s3, s10
	s_sub_i32 s33, s2, s9
	s_add_i32 s15, s12, -1
	s_addk_i32 s33, 0x300
	v_mov_b32_e32 v2, s2
	s_add_u32 s2, s10, s3
	v_readfirstlane_b32 s36, v4
	s_addc_u32 s3, s11, 0
	s_cmp_eq_u32 s36, s15
	s_cselect_b64 s[22:23], -1, 0
	s_cmp_lg_u32 s36, s15
	s_mul_i32 s8, s36, 0x300
	s_mov_b32 s9, 0
	v_cmp_lt_u64_e32 vcc, s[2:3], v[2:3]
	s_cselect_b64 s[2:3], -1, 0
	s_or_b64 s[26:27], vcc, s[2:3]
	s_lshl_b64 s[8:9], s[8:9], 3
	s_add_u32 s12, s13, s8
	s_addc_u32 s13, s14, s9
	s_mov_b64 s[2:3], -1
	s_and_b64 vcc, exec, s[26:27]
	v_lshlrev_b32_e32 v1, 3, v0
	v_lshrrev_b32_e32 v12, 2, v0
	s_cbranch_vccz .LBB2933_6
; %bb.5:
	v_mov_b32_e32 v3, s13
	v_add_co_u32_e32 v2, vcc, s12, v1
	v_addc_co_u32_e32 v3, vcc, 0, v3, vcc
	v_add_co_u32_e32 v4, vcc, 0x1000, v2
	v_addc_co_u32_e32 v5, vcc, 0, v3, vcc
	flat_load_dwordx2 v[6:7], v[2:3]
	flat_load_dwordx2 v[8:9], v[2:3] offset:1536
	flat_load_dwordx2 v[14:15], v[2:3] offset:3072
	;; [unrolled: 1-line block ×3, first 2 shown]
	v_add_u32_e32 v3, 0xc0, v0
	v_add_u32_e32 v4, 0x180, v0
	;; [unrolled: 1-line block ×3, first 2 shown]
	v_and_b32_e32 v2, 56, v12
	v_lshrrev_b32_e32 v3, 2, v3
	v_lshrrev_b32_e32 v4, 2, v4
	;; [unrolled: 1-line block ×3, first 2 shown]
	v_add_u32_e32 v2, v2, v1
	v_and_b32_e32 v3, 0x78, v3
	v_and_b32_e32 v4, 0xf8, v4
	;; [unrolled: 1-line block ×3, first 2 shown]
	v_add_u32_e32 v3, v3, v1
	v_add_u32_e32 v4, v4, v1
	;; [unrolled: 1-line block ×3, first 2 shown]
	s_mov_b64 s[2:3], 0
	s_waitcnt vmcnt(0) lgkmcnt(0)
	ds_write_b64 v2, v[6:7]
	ds_write_b64 v3, v[8:9] offset:1536
	ds_write_b64 v4, v[14:15] offset:3072
	;; [unrolled: 1-line block ×3, first 2 shown]
	s_waitcnt lgkmcnt(0)
	s_barrier
.LBB2933_6:
	s_andn2_b64 vcc, exec, s[2:3]
	v_cmp_gt_u32_e64 s[2:3], s33, v0
	s_cbranch_vccnz .LBB2933_16
; %bb.7:
                                        ; implicit-def: $vgpr2_vgpr3_vgpr4_vgpr5_vgpr6_vgpr7_vgpr8_vgpr9
	s_and_saveexec_b64 s[10:11], s[2:3]
	s_cbranch_execz .LBB2933_9
; %bb.8:
	v_mov_b32_e32 v3, s13
	v_add_co_u32_e32 v2, vcc, s12, v1
	v_addc_co_u32_e32 v3, vcc, 0, v3, vcc
	flat_load_dwordx2 v[2:3], v[2:3]
.LBB2933_9:
	s_or_b64 exec, exec, s[10:11]
	v_add_u32_e32 v13, 0xc0, v0
	v_cmp_gt_u32_e32 vcc, s33, v13
	s_and_saveexec_b64 s[2:3], vcc
	s_cbranch_execz .LBB2933_11
; %bb.10:
	v_mov_b32_e32 v5, s13
	v_add_co_u32_e32 v4, vcc, s12, v1
	v_addc_co_u32_e32 v5, vcc, 0, v5, vcc
	flat_load_dwordx2 v[4:5], v[4:5] offset:1536
.LBB2933_11:
	s_or_b64 exec, exec, s[2:3]
	v_add_u32_e32 v14, 0x180, v0
	v_cmp_gt_u32_e32 vcc, s33, v14
	s_and_saveexec_b64 s[2:3], vcc
	s_cbranch_execz .LBB2933_13
; %bb.12:
	v_mov_b32_e32 v7, s13
	v_add_co_u32_e32 v6, vcc, s12, v1
	v_addc_co_u32_e32 v7, vcc, 0, v7, vcc
	flat_load_dwordx2 v[6:7], v[6:7] offset:3072
.LBB2933_13:
	s_or_b64 exec, exec, s[2:3]
	v_add_u32_e32 v15, 0x240, v0
	v_cmp_gt_u32_e32 vcc, s33, v15
	s_and_saveexec_b64 s[2:3], vcc
	s_cbranch_execz .LBB2933_15
; %bb.14:
	v_lshlrev_b32_e32 v8, 3, v15
	v_mov_b32_e32 v9, s13
	v_add_co_u32_e32 v8, vcc, s12, v8
	v_addc_co_u32_e32 v9, vcc, 0, v9, vcc
	flat_load_dwordx2 v[8:9], v[8:9]
.LBB2933_15:
	s_or_b64 exec, exec, s[2:3]
	v_and_b32_e32 v12, 56, v12
	v_add_u32_e32 v12, v12, v1
	s_waitcnt vmcnt(0) lgkmcnt(0)
	ds_write_b64 v12, v[2:3]
	v_lshrrev_b32_e32 v2, 2, v13
	v_and_b32_e32 v2, 0x78, v2
	v_add_u32_e32 v2, v2, v1
	ds_write_b64 v2, v[4:5] offset:1536
	v_lshrrev_b32_e32 v2, 2, v14
	v_and_b32_e32 v2, 0xf8, v2
	v_add_u32_e32 v2, v2, v1
	ds_write_b64 v2, v[6:7] offset:3072
	;; [unrolled: 4-line block ×3, first 2 shown]
	s_waitcnt lgkmcnt(0)
	s_barrier
.LBB2933_16:
	v_lshlrev_b32_e32 v22, 2, v0
	v_lshrrev_b32_e32 v12, 3, v0
	v_add_lshl_u32 v2, v12, v22, 3
	ds_read2_b64 v[6:9], v2 offset1:1
	ds_read2_b64 v[2:5], v2 offset0:2 offset1:3
	s_add_u32 s2, s6, s4
	s_addc_u32 s3, s7, s5
	s_add_u32 s2, s2, s8
	s_addc_u32 s3, s3, s9
	s_mov_b64 s[4:5], -1
	s_and_b64 vcc, exec, s[26:27]
	v_lshrrev_b32_e32 v13, 5, v0
	s_waitcnt lgkmcnt(0)
	s_barrier
	s_cbranch_vccz .LBB2933_18
; %bb.17:
	global_load_dwordx2 v[14:15], v1, s[2:3]
	global_load_dwordx2 v[16:17], v1, s[2:3] offset:1536
	global_load_dwordx2 v[18:19], v1, s[2:3] offset:3072
	v_mov_b32_e32 v20, s3
	s_waitcnt vmcnt(2)
	v_add_co_u32_e32 v15, vcc, s2, v1
	s_waitcnt vmcnt(1)
	v_addc_co_u32_e32 v17, vcc, 0, v20, vcc
	v_add_co_u32_e32 v20, vcc, 0x1000, v15
	v_addc_co_u32_e32 v21, vcc, 0, v17, vcc
	global_load_dwordx2 v[20:21], v[20:21], off offset:512
	v_add_u32_e32 v17, 0xc0, v0
	s_waitcnt vmcnt(1)
	v_add_u32_e32 v19, 0x180, v0
	v_and_b32_e32 v15, 4, v13
	s_waitcnt vmcnt(0)
	v_add_u32_e32 v21, 0x240, v0
	v_lshrrev_b32_e32 v17, 5, v17
	v_lshrrev_b32_e32 v19, 5, v19
	v_add_u32_e32 v15, v15, v0
	v_lshrrev_b32_e32 v21, 5, v21
	v_and_b32_e32 v17, 12, v17
	v_and_b32_e32 v19, 28, v19
	;; [unrolled: 1-line block ×3, first 2 shown]
	v_add_u32_e32 v17, v17, v0
	v_add_u32_e32 v19, v19, v0
	;; [unrolled: 1-line block ×3, first 2 shown]
	s_mov_b64 s[4:5], 0
	v_xor_b32_e32 v14, -1, v14
	v_xor_b32_e32 v16, -1, v16
	;; [unrolled: 1-line block ×3, first 2 shown]
	v_and_b32_e32 v14, 1, v14
	v_and_b32_e32 v16, 1, v16
	;; [unrolled: 1-line block ×3, first 2 shown]
	ds_write_b8 v15, v14
	ds_write_b8 v17, v16 offset:192
	ds_write_b8 v19, v18 offset:384
	v_xor_b32_e32 v14, -1, v20
	v_and_b32_e32 v14, 1, v14
	ds_write_b8 v21, v14 offset:576
	s_waitcnt lgkmcnt(0)
	s_barrier
.LBB2933_18:
	s_andn2_b64 vcc, exec, s[4:5]
	s_cbranch_vccnz .LBB2933_28
; %bb.19:
	v_cmp_gt_u32_e32 vcc, s33, v0
	v_mov_b32_e32 v14, 0
	v_mov_b32_e32 v15, 0
	s_and_saveexec_b64 s[4:5], vcc
	s_cbranch_execz .LBB2933_21
; %bb.20:
	global_load_dwordx2 v[16:17], v1, s[2:3]
	s_waitcnt vmcnt(0)
	v_xor_b32_e32 v15, -1, v16
	v_and_b32_e32 v15, 1, v15
.LBB2933_21:
	s_or_b64 exec, exec, s[4:5]
	v_add_u32_e32 v16, 0xc0, v0
	v_cmp_gt_u32_e32 vcc, s33, v16
	s_and_saveexec_b64 s[4:5], vcc
	s_cbranch_execz .LBB2933_23
; %bb.22:
	global_load_dwordx2 v[18:19], v1, s[2:3] offset:1536
	s_waitcnt vmcnt(0)
	v_xor_b32_e32 v14, -1, v18
	v_and_b32_e32 v14, 1, v14
.LBB2933_23:
	s_or_b64 exec, exec, s[4:5]
	v_add_u32_e32 v18, 0x180, v0
	v_cmp_gt_u32_e32 vcc, s33, v18
	v_mov_b32_e32 v17, 0
	v_mov_b32_e32 v19, 0
	s_and_saveexec_b64 s[4:5], vcc
	s_cbranch_execz .LBB2933_25
; %bb.24:
	global_load_dwordx2 v[20:21], v1, s[2:3] offset:3072
	s_waitcnt vmcnt(0)
	v_xor_b32_e32 v19, -1, v20
	v_and_b32_e32 v19, 1, v19
.LBB2933_25:
	s_or_b64 exec, exec, s[4:5]
	v_add_u32_e32 v20, 0x240, v0
	v_cmp_gt_u32_e32 vcc, s33, v20
	s_and_saveexec_b64 s[4:5], vcc
	s_cbranch_execz .LBB2933_27
; %bb.26:
	v_lshlrev_b32_e32 v17, 3, v20
	global_load_dwordx2 v[24:25], v17, s[2:3]
	s_waitcnt vmcnt(0)
	v_xor_b32_e32 v17, -1, v24
	v_and_b32_e32 v17, 1, v17
.LBB2933_27:
	s_or_b64 exec, exec, s[4:5]
	v_and_b32_e32 v13, 4, v13
	v_add_u32_e32 v13, v13, v0
	ds_write_b8 v13, v15
	v_lshrrev_b32_e32 v13, 5, v16
	v_and_b32_e32 v13, 12, v13
	v_add_u32_e32 v13, v13, v0
	ds_write_b8 v13, v14 offset:192
	v_lshrrev_b32_e32 v13, 5, v18
	v_and_b32_e32 v13, 28, v13
	v_add_u32_e32 v13, v13, v0
	ds_write_b8 v13, v19 offset:384
	;; [unrolled: 4-line block ×3, first 2 shown]
	s_waitcnt lgkmcnt(0)
	s_barrier
.LBB2933_28:
	v_and_b32_e32 v12, 28, v12
	v_add_u32_e32 v12, v12, v22
	ds_read_b32 v24, v12
	s_cmp_lg_u32 s36, 0
	v_lshrrev_b32_e32 v27, 6, v0
	s_waitcnt lgkmcnt(0)
	s_barrier
	v_lshrrev_b32_e32 v23, 24, v24
	v_bfe_u32 v25, v24, 16, 8
	v_add_u32_sdwa v12, v24, v24 dst_sel:DWORD dst_unused:UNUSED_PAD src0_sel:BYTE_1 src1_sel:BYTE_0
	v_add3_u32 v28, v12, v25, v23
	v_mbcnt_lo_u32_b32 v12, -1, 0
	v_mbcnt_hi_u32_b32 v26, -1, v12
	v_and_b32_e32 v12, 15, v26
	v_cmp_eq_u32_e64 s[14:15], 0, v12
	v_cmp_lt_u32_e64 s[12:13], 1, v12
	v_cmp_lt_u32_e64 s[10:11], 3, v12
	v_cmp_lt_u32_e64 s[8:9], 7, v12
	v_and_b32_e32 v12, 16, v26
	v_cmp_eq_u32_e64 s[4:5], 0, v12
	v_and_b32_e32 v12, 0xc0, v0
	v_min_u32_e32 v12, 0x80, v12
	v_or_b32_e32 v12, 63, v12
	v_cmp_lt_u32_e64 s[2:3], 31, v26
	v_cmp_eq_u32_e64 s[6:7], v12, v0
	s_cbranch_scc0 .LBB2933_55
; %bb.29:
	v_mov_b32_dpp v12, v28 row_shr:1 row_mask:0xf bank_mask:0xf
	v_cndmask_b32_e64 v12, v12, 0, s[14:15]
	v_add_u32_e32 v12, v12, v28
	s_nop 1
	v_mov_b32_dpp v13, v12 row_shr:2 row_mask:0xf bank_mask:0xf
	v_cndmask_b32_e64 v13, 0, v13, s[12:13]
	v_add_u32_e32 v12, v12, v13
	s_nop 1
	;; [unrolled: 4-line block ×4, first 2 shown]
	v_mov_b32_dpp v13, v12 row_bcast:15 row_mask:0xf bank_mask:0xf
	v_cndmask_b32_e64 v13, v13, 0, s[4:5]
	v_add_u32_e32 v12, v12, v13
	s_nop 1
	v_mov_b32_dpp v13, v12 row_bcast:31 row_mask:0xf bank_mask:0xf
	v_cndmask_b32_e64 v13, 0, v13, s[2:3]
	v_add_u32_e32 v12, v12, v13
	s_and_saveexec_b64 s[16:17], s[6:7]
	s_cbranch_execz .LBB2933_31
; %bb.30:
	v_lshlrev_b32_e32 v13, 2, v27
	ds_write_b32 v13, v12
.LBB2933_31:
	s_or_b64 exec, exec, s[16:17]
	v_cmp_gt_u32_e32 vcc, 3, v0
	s_waitcnt lgkmcnt(0)
	s_barrier
	s_and_saveexec_b64 s[16:17], vcc
	s_cbranch_execz .LBB2933_33
; %bb.32:
	ds_read_b32 v13, v22
	v_and_b32_e32 v14, 3, v26
	v_cmp_ne_u32_e32 vcc, 0, v14
	s_waitcnt lgkmcnt(0)
	v_mov_b32_dpp v15, v13 row_shr:1 row_mask:0xf bank_mask:0xf
	v_cndmask_b32_e32 v15, 0, v15, vcc
	v_add_u32_e32 v13, v15, v13
	v_cmp_lt_u32_e32 vcc, 1, v14
	s_nop 0
	v_mov_b32_dpp v15, v13 row_shr:2 row_mask:0xf bank_mask:0xf
	v_cndmask_b32_e32 v14, 0, v15, vcc
	v_add_u32_e32 v13, v13, v14
	ds_write_b32 v22, v13
.LBB2933_33:
	s_or_b64 exec, exec, s[16:17]
	v_cmp_gt_u32_e32 vcc, 64, v0
	v_cmp_lt_u32_e64 s[16:17], 63, v0
	s_waitcnt lgkmcnt(0)
	s_barrier
	s_waitcnt lgkmcnt(0)
                                        ; implicit-def: $vgpr29
	s_and_saveexec_b64 s[28:29], s[16:17]
	s_cbranch_execz .LBB2933_35
; %bb.34:
	v_lshl_add_u32 v13, v27, 2, -4
	ds_read_b32 v29, v13
	s_waitcnt lgkmcnt(0)
	v_add_u32_e32 v12, v29, v12
.LBB2933_35:
	s_or_b64 exec, exec, s[28:29]
	v_add_u32_e32 v13, -1, v26
	v_and_b32_e32 v14, 64, v26
	v_cmp_lt_i32_e64 s[16:17], v13, v14
	v_cndmask_b32_e64 v13, v13, v26, s[16:17]
	v_lshlrev_b32_e32 v13, 2, v13
	ds_bpermute_b32 v30, v13, v12
	v_cmp_eq_u32_e64 s[16:17], 0, v26
	s_and_saveexec_b64 s[28:29], vcc
	s_cbranch_execz .LBB2933_54
; %bb.36:
	v_mov_b32_e32 v19, 0
	ds_read_b32 v12, v19 offset:8
	s_and_saveexec_b64 s[30:31], s[16:17]
	s_cbranch_execz .LBB2933_38
; %bb.37:
	s_add_i32 s34, s36, 64
	s_mov_b32 s35, 0
	s_lshl_b64 s[34:35], s[34:35], 3
	s_add_u32 s34, s24, s34
	v_mov_b32_e32 v13, 1
	s_addc_u32 s35, s25, s35
	s_waitcnt lgkmcnt(0)
	global_store_dwordx2 v19, v[12:13], s[34:35]
.LBB2933_38:
	s_or_b64 exec, exec, s[30:31]
	v_xad_u32 v14, v26, -1, s36
	v_add_u32_e32 v18, 64, v14
	v_lshlrev_b64 v[16:17], 3, v[18:19]
	v_mov_b32_e32 v13, s25
	v_add_co_u32_e32 v20, vcc, s24, v16
	v_addc_co_u32_e32 v21, vcc, v13, v17, vcc
	global_load_dwordx2 v[16:17], v[20:21], off glc
	s_waitcnt vmcnt(0)
	v_cmp_eq_u16_sdwa s[34:35], v17, v19 src0_sel:BYTE_0 src1_sel:DWORD
	s_and_saveexec_b64 s[30:31], s[34:35]
	s_cbranch_execz .LBB2933_42
; %bb.39:
	s_mov_b64 s[34:35], 0
	v_mov_b32_e32 v13, 0
.LBB2933_40:                            ; =>This Inner Loop Header: Depth=1
	global_load_dwordx2 v[16:17], v[20:21], off glc
	s_waitcnt vmcnt(0)
	v_cmp_ne_u16_sdwa s[38:39], v17, v13 src0_sel:BYTE_0 src1_sel:DWORD
	s_or_b64 s[34:35], s[38:39], s[34:35]
	s_andn2_b64 exec, exec, s[34:35]
	s_cbranch_execnz .LBB2933_40
; %bb.41:
	s_or_b64 exec, exec, s[34:35]
.LBB2933_42:
	s_or_b64 exec, exec, s[30:31]
	v_and_b32_e32 v32, 63, v26
	v_mov_b32_e32 v31, 2
	v_cmp_ne_u32_e32 vcc, 63, v32
	v_cmp_eq_u16_sdwa s[30:31], v17, v31 src0_sel:BYTE_0 src1_sel:DWORD
	v_lshlrev_b64 v[18:19], v26, -1
	v_addc_co_u32_e32 v20, vcc, 0, v26, vcc
	v_and_b32_e32 v13, s31, v19
	v_lshlrev_b32_e32 v33, 2, v20
	v_or_b32_e32 v13, 0x80000000, v13
	ds_bpermute_b32 v20, v33, v16
	v_and_b32_e32 v15, s30, v18
	v_ffbl_b32_e32 v13, v13
	v_add_u32_e32 v13, 32, v13
	v_ffbl_b32_e32 v15, v15
	v_min_u32_e32 v13, v15, v13
	v_cmp_lt_u32_e32 vcc, v32, v13
	s_waitcnt lgkmcnt(0)
	v_cndmask_b32_e32 v15, 0, v20, vcc
	v_cmp_gt_u32_e32 vcc, 62, v32
	v_add_u32_e32 v15, v15, v16
	v_cndmask_b32_e64 v16, 0, 1, vcc
	v_lshlrev_b32_e32 v16, 1, v16
	v_add_lshl_u32 v34, v16, v26, 2
	ds_bpermute_b32 v16, v34, v15
	v_add_u32_e32 v35, 2, v32
	v_cmp_le_u32_e32 vcc, v35, v13
	v_add_u32_e32 v37, 4, v32
	v_add_u32_e32 v39, 8, v32
	s_waitcnt lgkmcnt(0)
	v_cndmask_b32_e32 v16, 0, v16, vcc
	v_cmp_gt_u32_e32 vcc, 60, v32
	v_add_u32_e32 v15, v15, v16
	v_cndmask_b32_e64 v16, 0, 1, vcc
	v_lshlrev_b32_e32 v16, 2, v16
	v_add_lshl_u32 v36, v16, v26, 2
	ds_bpermute_b32 v16, v36, v15
	v_cmp_le_u32_e32 vcc, v37, v13
	v_add_u32_e32 v41, 16, v32
	v_add_u32_e32 v43, 32, v32
	s_waitcnt lgkmcnt(0)
	v_cndmask_b32_e32 v16, 0, v16, vcc
	v_cmp_gt_u32_e32 vcc, 56, v32
	v_add_u32_e32 v15, v15, v16
	v_cndmask_b32_e64 v16, 0, 1, vcc
	v_lshlrev_b32_e32 v16, 3, v16
	v_add_lshl_u32 v38, v16, v26, 2
	ds_bpermute_b32 v16, v38, v15
	v_cmp_le_u32_e32 vcc, v39, v13
	s_waitcnt lgkmcnt(0)
	v_cndmask_b32_e32 v16, 0, v16, vcc
	v_cmp_gt_u32_e32 vcc, 48, v32
	v_add_u32_e32 v15, v15, v16
	v_cndmask_b32_e64 v16, 0, 1, vcc
	v_lshlrev_b32_e32 v16, 4, v16
	v_add_lshl_u32 v40, v16, v26, 2
	ds_bpermute_b32 v16, v40, v15
	v_cmp_le_u32_e32 vcc, v41, v13
	;; [unrolled: 9-line block ×3, first 2 shown]
	s_waitcnt lgkmcnt(0)
	v_cndmask_b32_e32 v13, 0, v16, vcc
	v_add_u32_e32 v16, v15, v13
	v_mov_b32_e32 v15, 0
	s_branch .LBB2933_44
.LBB2933_43:                            ;   in Loop: Header=BB2933_44 Depth=1
	s_or_b64 exec, exec, s[30:31]
	v_cmp_eq_u16_sdwa s[30:31], v17, v31 src0_sel:BYTE_0 src1_sel:DWORD
	v_and_b32_e32 v20, s31, v19
	v_or_b32_e32 v20, 0x80000000, v20
	ds_bpermute_b32 v44, v33, v16
	v_and_b32_e32 v21, s30, v18
	v_ffbl_b32_e32 v20, v20
	v_add_u32_e32 v20, 32, v20
	v_ffbl_b32_e32 v21, v21
	v_min_u32_e32 v20, v21, v20
	v_cmp_lt_u32_e32 vcc, v32, v20
	s_waitcnt lgkmcnt(0)
	v_cndmask_b32_e32 v21, 0, v44, vcc
	v_add_u32_e32 v16, v21, v16
	ds_bpermute_b32 v21, v34, v16
	v_cmp_le_u32_e32 vcc, v35, v20
	v_subrev_u32_e32 v14, 64, v14
	s_waitcnt lgkmcnt(0)
	v_cndmask_b32_e32 v21, 0, v21, vcc
	v_add_u32_e32 v16, v16, v21
	ds_bpermute_b32 v21, v36, v16
	v_cmp_le_u32_e32 vcc, v37, v20
	s_waitcnt lgkmcnt(0)
	v_cndmask_b32_e32 v21, 0, v21, vcc
	v_add_u32_e32 v16, v16, v21
	ds_bpermute_b32 v21, v38, v16
	v_cmp_le_u32_e32 vcc, v39, v20
	;; [unrolled: 5-line block ×4, first 2 shown]
	s_waitcnt lgkmcnt(0)
	v_cndmask_b32_e32 v20, 0, v21, vcc
	v_add3_u32 v16, v20, v13, v16
.LBB2933_44:                            ; =>This Loop Header: Depth=1
                                        ;     Child Loop BB2933_47 Depth 2
	v_cmp_ne_u16_sdwa s[30:31], v17, v31 src0_sel:BYTE_0 src1_sel:DWORD
	v_cndmask_b32_e64 v13, 0, 1, s[30:31]
	;;#ASMSTART
	;;#ASMEND
	v_cmp_ne_u32_e32 vcc, 0, v13
	s_cmp_lg_u64 vcc, exec
	v_mov_b32_e32 v13, v16
	s_cbranch_scc1 .LBB2933_49
; %bb.45:                               ;   in Loop: Header=BB2933_44 Depth=1
	v_lshlrev_b64 v[16:17], 3, v[14:15]
	v_mov_b32_e32 v21, s25
	v_add_co_u32_e32 v20, vcc, s24, v16
	v_addc_co_u32_e32 v21, vcc, v21, v17, vcc
	global_load_dwordx2 v[16:17], v[20:21], off glc
	s_waitcnt vmcnt(0)
	v_cmp_eq_u16_sdwa s[34:35], v17, v15 src0_sel:BYTE_0 src1_sel:DWORD
	s_and_saveexec_b64 s[30:31], s[34:35]
	s_cbranch_execz .LBB2933_43
; %bb.46:                               ;   in Loop: Header=BB2933_44 Depth=1
	s_mov_b64 s[34:35], 0
.LBB2933_47:                            ;   Parent Loop BB2933_44 Depth=1
                                        ; =>  This Inner Loop Header: Depth=2
	global_load_dwordx2 v[16:17], v[20:21], off glc
	s_waitcnt vmcnt(0)
	v_cmp_ne_u16_sdwa s[38:39], v17, v15 src0_sel:BYTE_0 src1_sel:DWORD
	s_or_b64 s[34:35], s[38:39], s[34:35]
	s_andn2_b64 exec, exec, s[34:35]
	s_cbranch_execnz .LBB2933_47
; %bb.48:                               ;   in Loop: Header=BB2933_44 Depth=1
	s_or_b64 exec, exec, s[34:35]
	s_branch .LBB2933_43
.LBB2933_49:                            ;   in Loop: Header=BB2933_44 Depth=1
                                        ; implicit-def: $vgpr16
                                        ; implicit-def: $vgpr17
	s_cbranch_execz .LBB2933_44
; %bb.50:
	s_and_saveexec_b64 s[30:31], s[16:17]
	s_cbranch_execz .LBB2933_52
; %bb.51:
	s_add_i32 s34, s36, 64
	s_mov_b32 s35, 0
	s_lshl_b64 s[34:35], s[34:35], 3
	s_add_u32 s34, s24, s34
	v_add_u32_e32 v14, v13, v12
	v_mov_b32_e32 v15, 2
	s_addc_u32 s35, s25, s35
	v_mov_b32_e32 v16, 0
	global_store_dwordx2 v16, v[14:15], s[34:35]
	ds_write_b64 v16, v[12:13] offset:6336
.LBB2933_52:
	s_or_b64 exec, exec, s[30:31]
	s_and_b64 exec, exec, s[0:1]
	s_cbranch_execz .LBB2933_54
; %bb.53:
	v_mov_b32_e32 v12, 0
	ds_write_b32 v12, v13 offset:8
.LBB2933_54:
	s_or_b64 exec, exec, s[28:29]
	v_mov_b32_e32 v12, 0
	s_waitcnt lgkmcnt(0)
	s_barrier
	ds_read_b32 v13, v12 offset:8
	v_cndmask_b32_e64 v14, v30, v29, s[16:17]
	v_cndmask_b32_e64 v14, v14, 0, s[0:1]
	s_waitcnt lgkmcnt(0)
	s_barrier
	v_add_u32_e32 v17, v13, v14
	ds_read_b64 v[12:13], v12 offset:6336
	v_add_u32_sdwa v18, v17, v24 dst_sel:DWORD dst_unused:UNUSED_PAD src0_sel:DWORD src1_sel:BYTE_0
	v_add_u32_sdwa v16, v18, v24 dst_sel:DWORD dst_unused:UNUSED_PAD src0_sel:DWORD src1_sel:BYTE_1
	v_add_u32_e32 v15, v16, v25
	s_waitcnt lgkmcnt(0)
	v_mov_b32_e32 v14, v13
	s_branch .LBB2933_65
.LBB2933_55:
                                        ; implicit-def: $vgpr14
                                        ; implicit-def: $vgpr12
                                        ; implicit-def: $vgpr15
                                        ; implicit-def: $vgpr16
                                        ; implicit-def: $vgpr18
                                        ; implicit-def: $vgpr17
	s_cbranch_execz .LBB2933_65
; %bb.56:
	s_nop 0
	v_mov_b32_dpp v12, v28 row_shr:1 row_mask:0xf bank_mask:0xf
	v_cndmask_b32_e64 v12, v12, 0, s[14:15]
	v_add_u32_e32 v12, v12, v28
	s_nop 1
	v_mov_b32_dpp v13, v12 row_shr:2 row_mask:0xf bank_mask:0xf
	v_cndmask_b32_e64 v13, 0, v13, s[12:13]
	v_add_u32_e32 v12, v12, v13
	s_nop 1
	v_mov_b32_dpp v13, v12 row_shr:4 row_mask:0xf bank_mask:0xf
	v_cndmask_b32_e64 v13, 0, v13, s[10:11]
	v_add_u32_e32 v12, v12, v13
	s_nop 1
	v_mov_b32_dpp v13, v12 row_shr:8 row_mask:0xf bank_mask:0xf
	v_cndmask_b32_e64 v13, 0, v13, s[8:9]
	v_add_u32_e32 v12, v12, v13
	s_nop 1
	v_mov_b32_dpp v13, v12 row_bcast:15 row_mask:0xf bank_mask:0xf
	v_cndmask_b32_e64 v13, v13, 0, s[4:5]
	v_add_u32_e32 v12, v12, v13
	s_nop 1
	v_mov_b32_dpp v13, v12 row_bcast:31 row_mask:0xf bank_mask:0xf
	v_cndmask_b32_e64 v13, 0, v13, s[2:3]
	v_add_u32_e32 v12, v12, v13
	s_and_saveexec_b64 s[2:3], s[6:7]
	s_cbranch_execz .LBB2933_58
; %bb.57:
	v_lshlrev_b32_e32 v13, 2, v27
	ds_write_b32 v13, v12
.LBB2933_58:
	s_or_b64 exec, exec, s[2:3]
	v_cmp_gt_u32_e32 vcc, 3, v0
	s_waitcnt lgkmcnt(0)
	s_barrier
	s_and_saveexec_b64 s[2:3], vcc
	s_cbranch_execz .LBB2933_60
; %bb.59:
	ds_read_b32 v13, v22
	v_and_b32_e32 v14, 3, v26
	v_cmp_ne_u32_e32 vcc, 0, v14
	s_waitcnt lgkmcnt(0)
	v_mov_b32_dpp v15, v13 row_shr:1 row_mask:0xf bank_mask:0xf
	v_cndmask_b32_e32 v15, 0, v15, vcc
	v_add_u32_e32 v13, v15, v13
	v_cmp_lt_u32_e32 vcc, 1, v14
	s_nop 0
	v_mov_b32_dpp v15, v13 row_shr:2 row_mask:0xf bank_mask:0xf
	v_cndmask_b32_e32 v14, 0, v15, vcc
	v_add_u32_e32 v13, v13, v14
	ds_write_b32 v22, v13
.LBB2933_60:
	s_or_b64 exec, exec, s[2:3]
	v_cmp_lt_u32_e32 vcc, 63, v0
	v_mov_b32_e32 v13, 0
	v_mov_b32_e32 v14, 0
	s_waitcnt lgkmcnt(0)
	s_barrier
	s_and_saveexec_b64 s[2:3], vcc
	s_cbranch_execz .LBB2933_62
; %bb.61:
	v_lshl_add_u32 v14, v27, 2, -4
	ds_read_b32 v14, v14
.LBB2933_62:
	s_or_b64 exec, exec, s[2:3]
	v_add_u32_e32 v15, -1, v26
	v_and_b32_e32 v16, 64, v26
	v_cmp_lt_i32_e32 vcc, v15, v16
	v_cndmask_b32_e32 v15, v15, v26, vcc
	s_waitcnt lgkmcnt(0)
	v_add_u32_e32 v12, v14, v12
	v_lshlrev_b32_e32 v15, 2, v15
	ds_bpermute_b32 v15, v15, v12
	ds_read_b32 v12, v13 offset:8
	s_and_saveexec_b64 s[2:3], s[0:1]
	s_cbranch_execz .LBB2933_64
; %bb.63:
	v_mov_b32_e32 v16, 0
	v_mov_b32_e32 v13, 2
	s_waitcnt lgkmcnt(0)
	global_store_dwordx2 v16, v[12:13], s[24:25] offset:512
.LBB2933_64:
	s_or_b64 exec, exec, s[2:3]
	v_cmp_eq_u32_e32 vcc, 0, v26
	s_waitcnt lgkmcnt(1)
	v_cndmask_b32_e32 v13, v15, v14, vcc
	v_cndmask_b32_e64 v17, v13, 0, s[0:1]
	v_add_u32_sdwa v18, v17, v24 dst_sel:DWORD dst_unused:UNUSED_PAD src0_sel:DWORD src1_sel:BYTE_0
	v_add_u32_sdwa v16, v18, v24 dst_sel:DWORD dst_unused:UNUSED_PAD src0_sel:DWORD src1_sel:BYTE_1
	v_mov_b32_e32 v14, 0
	v_add_u32_e32 v15, v16, v25
	s_waitcnt lgkmcnt(0)
	s_barrier
.LBB2933_65:
	v_add_u32_e32 v19, v12, v22
	v_sub_u32_e32 v17, v17, v14
	v_and_b32_e32 v21, 1, v24
	v_sub_u32_e32 v20, v19, v17
	v_cmp_eq_u32_e32 vcc, 1, v21
	v_cndmask_b32_e32 v17, v20, v17, vcc
	v_lshlrev_b32_e32 v17, 3, v17
	v_lshrrev_b32_e32 v13, 8, v24
	ds_write_b64 v17, v[6:7]
	v_sub_u32_e32 v6, v18, v14
	v_sub_u32_e32 v7, v19, v6
	v_and_b32_e32 v13, 1, v13
	v_add_u32_e32 v7, 1, v7
	v_cmp_eq_u32_e32 vcc, 1, v13
	v_cndmask_b32_e32 v6, v7, v6, vcc
	v_lshlrev_b32_e32 v6, 3, v6
	ds_write_b64 v6, v[8:9]
	v_sub_u32_e32 v6, v16, v14
	v_mov_b32_e32 v8, 1
	v_sub_u32_e32 v7, v19, v6
	v_and_b32_sdwa v8, v8, v24 dst_sel:DWORD dst_unused:UNUSED_PAD src0_sel:DWORD src1_sel:WORD_1
	v_add_u32_e32 v7, 2, v7
	v_cmp_eq_u32_e32 vcc, 1, v8
	v_cndmask_b32_e32 v6, v7, v6, vcc
	v_lshlrev_b32_e32 v6, 3, v6
	ds_write_b64 v6, v[2:3]
	v_sub_u32_e32 v2, v15, v14
	v_sub_u32_e32 v3, v19, v2
	v_and_b32_e32 v6, 1, v23
	v_add_u32_e32 v3, 3, v3
	v_cmp_eq_u32_e32 vcc, 1, v6
	v_cndmask_b32_e32 v2, v3, v2, vcc
	v_lshlrev_b32_e32 v2, 3, v2
	ds_write_b64 v2, v[4:5]
	s_waitcnt lgkmcnt(0)
	s_barrier
	ds_read2st64_b64 v[6:9], v1 offset1:3
	ds_read2st64_b64 v[2:5], v1 offset0:6 offset1:9
	v_add_u32_e32 v21, 0xc0, v0
	v_add_u32_e32 v20, 0x180, v0
	;; [unrolled: 1-line block ×3, first 2 shown]
	s_andn2_b64 vcc, exec, s[26:27]
	s_waitcnt vmcnt(0)
	v_lshlrev_b64 v[18:19], 3, v[10:11]
	s_cbranch_vccnz .LBB2933_71
; %bb.66:
	v_mov_b32_e32 v15, 0
	v_mov_b32_e32 v16, s19
	v_add_co_u32_e32 v22, vcc, s18, v18
	v_addc_co_u32_e32 v23, vcc, v16, v19, vcc
	v_lshlrev_b64 v[16:17], 3, v[14:15]
	v_add_co_u32_e32 v16, vcc, v22, v16
	v_addc_co_u32_e32 v17, vcc, v23, v17, vcc
	v_cmp_lt_u32_e32 vcc, v0, v12
	s_and_saveexec_b64 s[2:3], vcc
	s_cbranch_execnz .LBB2933_82
; %bb.67:
	s_or_b64 exec, exec, s[2:3]
	v_cmp_lt_u32_e32 vcc, v21, v12
	s_and_saveexec_b64 s[2:3], vcc
	s_cbranch_execnz .LBB2933_83
.LBB2933_68:
	s_or_b64 exec, exec, s[2:3]
	v_cmp_lt_u32_e32 vcc, v20, v12
	s_and_saveexec_b64 s[2:3], vcc
	s_cbranch_execz .LBB2933_70
.LBB2933_69:
	v_readfirstlane_b32 s4, v16
	v_readfirstlane_b32 s5, v17
	s_waitcnt lgkmcnt(0)
	s_nop 3
	global_store_dwordx2 v1, v[2:3], s[4:5] offset:3072
.LBB2933_70:
	s_or_b64 exec, exec, s[2:3]
	v_cmp_lt_u32_e64 s[2:3], v13, v12
	s_branch .LBB2933_77
.LBB2933_71:
	s_mov_b64 s[2:3], 0
                                        ; implicit-def: $vgpr16_vgpr17
	s_cbranch_execz .LBB2933_77
; %bb.72:
	v_mov_b32_e32 v15, 0
	v_mov_b32_e32 v16, s19
	v_add_co_u32_e32 v18, vcc, s18, v18
	v_addc_co_u32_e32 v19, vcc, v16, v19, vcc
	v_lshlrev_b64 v[16:17], 3, v[14:15]
	v_add_co_u32_e32 v16, vcc, v18, v16
	v_min_u32_e32 v22, s33, v12
	v_addc_co_u32_e32 v17, vcc, v19, v17, vcc
	v_cmp_gt_u32_e32 vcc, v22, v0
	s_and_saveexec_b64 s[2:3], vcc
	s_cbranch_execnz .LBB2933_84
; %bb.73:
	s_or_b64 exec, exec, s[2:3]
	v_cmp_lt_u32_e32 vcc, v21, v22
	s_and_saveexec_b64 s[2:3], vcc
	s_cbranch_execnz .LBB2933_85
.LBB2933_74:
	s_or_b64 exec, exec, s[2:3]
	v_cmp_lt_u32_e32 vcc, v20, v22
	s_and_saveexec_b64 s[2:3], vcc
	s_cbranch_execz .LBB2933_76
.LBB2933_75:
	v_readfirstlane_b32 s4, v16
	v_readfirstlane_b32 s5, v17
	s_waitcnt lgkmcnt(0)
	s_nop 3
	global_store_dwordx2 v1, v[2:3], s[4:5] offset:3072
.LBB2933_76:
	s_or_b64 exec, exec, s[2:3]
	v_cmp_lt_u32_e64 s[2:3], v13, v22
.LBB2933_77:
	s_and_saveexec_b64 s[4:5], s[2:3]
	s_cbranch_execnz .LBB2933_80
; %bb.78:
	s_or_b64 exec, exec, s[4:5]
	s_and_b64 s[0:1], s[0:1], s[22:23]
	s_and_saveexec_b64 s[2:3], s[0:1]
	s_cbranch_execnz .LBB2933_81
.LBB2933_79:
	s_endpgm
.LBB2933_80:
	v_lshlrev_b32_e32 v0, 3, v13
	v_readfirstlane_b32 s2, v16
	v_readfirstlane_b32 s3, v17
	s_waitcnt lgkmcnt(0)
	s_nop 3
	global_store_dwordx2 v0, v[4:5], s[2:3]
	s_or_b64 exec, exec, s[4:5]
	s_and_b64 s[0:1], s[0:1], s[22:23]
	s_and_saveexec_b64 s[2:3], s[0:1]
	s_cbranch_execz .LBB2933_79
.LBB2933_81:
	v_add_co_u32_e32 v0, vcc, v10, v12
	v_addc_co_u32_e32 v1, vcc, 0, v11, vcc
	v_add_co_u32_e32 v0, vcc, v0, v14
	s_waitcnt lgkmcnt(0)
	v_mov_b32_e32 v2, 0
	v_addc_co_u32_e32 v1, vcc, 0, v1, vcc
	global_store_dwordx2 v2, v[0:1], s[20:21]
	s_endpgm
.LBB2933_82:
	v_readfirstlane_b32 s4, v16
	v_readfirstlane_b32 s5, v17
	s_waitcnt lgkmcnt(1)
	s_nop 3
	global_store_dwordx2 v1, v[6:7], s[4:5]
	s_or_b64 exec, exec, s[2:3]
	v_cmp_lt_u32_e32 vcc, v21, v12
	s_and_saveexec_b64 s[2:3], vcc
	s_cbranch_execz .LBB2933_68
.LBB2933_83:
	v_readfirstlane_b32 s4, v16
	v_readfirstlane_b32 s5, v17
	s_waitcnt lgkmcnt(1)
	s_nop 3
	global_store_dwordx2 v1, v[8:9], s[4:5] offset:1536
	s_or_b64 exec, exec, s[2:3]
	v_cmp_lt_u32_e32 vcc, v20, v12
	s_and_saveexec_b64 s[2:3], vcc
	s_cbranch_execnz .LBB2933_69
	s_branch .LBB2933_70
.LBB2933_84:
	v_readfirstlane_b32 s4, v16
	v_readfirstlane_b32 s5, v17
	s_waitcnt lgkmcnt(1)
	s_nop 3
	global_store_dwordx2 v1, v[6:7], s[4:5]
	s_or_b64 exec, exec, s[2:3]
	v_cmp_lt_u32_e32 vcc, v21, v22
	s_and_saveexec_b64 s[2:3], vcc
	s_cbranch_execz .LBB2933_74
.LBB2933_85:
	v_readfirstlane_b32 s4, v16
	v_readfirstlane_b32 s5, v17
	s_waitcnt lgkmcnt(1)
	s_nop 3
	global_store_dwordx2 v1, v[8:9], s[4:5] offset:1536
	s_or_b64 exec, exec, s[2:3]
	v_cmp_lt_u32_e32 vcc, v20, v22
	s_and_saveexec_b64 s[2:3], vcc
	s_cbranch_execnz .LBB2933_75
	s_branch .LBB2933_76
	.section	.rodata,"a",@progbits
	.p2align	6, 0x0
	.amdhsa_kernel _ZN7rocprim17ROCPRIM_400000_NS6detail17trampoline_kernelINS0_14default_configENS1_25partition_config_selectorILNS1_17partition_subalgoE1EyNS0_10empty_typeEbEEZZNS1_14partition_implILS5_1ELb0ES3_jN6thrust23THRUST_200600_302600_NS6detail15normal_iteratorINSA_10device_ptrIyEEEEPS6_NSA_18transform_iteratorI7is_evenIyESF_NSA_11use_defaultESK_EENS0_5tupleIJSF_NSA_16discard_iteratorISK_EEEEENSM_IJSG_SG_EEES6_PlJS6_EEE10hipError_tPvRmT3_T4_T5_T6_T7_T9_mT8_P12ihipStream_tbDpT10_ENKUlT_T0_E_clISt17integral_constantIbLb0EES1A_IbLb1EEEEDaS16_S17_EUlS16_E_NS1_11comp_targetILNS1_3genE4ELNS1_11target_archE910ELNS1_3gpuE8ELNS1_3repE0EEENS1_30default_config_static_selectorELNS0_4arch9wavefront6targetE1EEEvT1_
		.amdhsa_group_segment_fixed_size 6344
		.amdhsa_private_segment_fixed_size 0
		.amdhsa_kernarg_size 152
		.amdhsa_user_sgpr_count 6
		.amdhsa_user_sgpr_private_segment_buffer 1
		.amdhsa_user_sgpr_dispatch_ptr 0
		.amdhsa_user_sgpr_queue_ptr 0
		.amdhsa_user_sgpr_kernarg_segment_ptr 1
		.amdhsa_user_sgpr_dispatch_id 0
		.amdhsa_user_sgpr_flat_scratch_init 0
		.amdhsa_user_sgpr_kernarg_preload_length 0
		.amdhsa_user_sgpr_kernarg_preload_offset 0
		.amdhsa_user_sgpr_private_segment_size 0
		.amdhsa_uses_dynamic_stack 0
		.amdhsa_system_sgpr_private_segment_wavefront_offset 0
		.amdhsa_system_sgpr_workgroup_id_x 1
		.amdhsa_system_sgpr_workgroup_id_y 0
		.amdhsa_system_sgpr_workgroup_id_z 0
		.amdhsa_system_sgpr_workgroup_info 0
		.amdhsa_system_vgpr_workitem_id 0
		.amdhsa_next_free_vgpr 45
		.amdhsa_next_free_sgpr 40
		.amdhsa_accum_offset 48
		.amdhsa_reserve_vcc 1
		.amdhsa_reserve_flat_scratch 0
		.amdhsa_float_round_mode_32 0
		.amdhsa_float_round_mode_16_64 0
		.amdhsa_float_denorm_mode_32 3
		.amdhsa_float_denorm_mode_16_64 3
		.amdhsa_dx10_clamp 1
		.amdhsa_ieee_mode 1
		.amdhsa_fp16_overflow 0
		.amdhsa_tg_split 0
		.amdhsa_exception_fp_ieee_invalid_op 0
		.amdhsa_exception_fp_denorm_src 0
		.amdhsa_exception_fp_ieee_div_zero 0
		.amdhsa_exception_fp_ieee_overflow 0
		.amdhsa_exception_fp_ieee_underflow 0
		.amdhsa_exception_fp_ieee_inexact 0
		.amdhsa_exception_int_div_zero 0
	.end_amdhsa_kernel
	.section	.text._ZN7rocprim17ROCPRIM_400000_NS6detail17trampoline_kernelINS0_14default_configENS1_25partition_config_selectorILNS1_17partition_subalgoE1EyNS0_10empty_typeEbEEZZNS1_14partition_implILS5_1ELb0ES3_jN6thrust23THRUST_200600_302600_NS6detail15normal_iteratorINSA_10device_ptrIyEEEEPS6_NSA_18transform_iteratorI7is_evenIyESF_NSA_11use_defaultESK_EENS0_5tupleIJSF_NSA_16discard_iteratorISK_EEEEENSM_IJSG_SG_EEES6_PlJS6_EEE10hipError_tPvRmT3_T4_T5_T6_T7_T9_mT8_P12ihipStream_tbDpT10_ENKUlT_T0_E_clISt17integral_constantIbLb0EES1A_IbLb1EEEEDaS16_S17_EUlS16_E_NS1_11comp_targetILNS1_3genE4ELNS1_11target_archE910ELNS1_3gpuE8ELNS1_3repE0EEENS1_30default_config_static_selectorELNS0_4arch9wavefront6targetE1EEEvT1_,"axG",@progbits,_ZN7rocprim17ROCPRIM_400000_NS6detail17trampoline_kernelINS0_14default_configENS1_25partition_config_selectorILNS1_17partition_subalgoE1EyNS0_10empty_typeEbEEZZNS1_14partition_implILS5_1ELb0ES3_jN6thrust23THRUST_200600_302600_NS6detail15normal_iteratorINSA_10device_ptrIyEEEEPS6_NSA_18transform_iteratorI7is_evenIyESF_NSA_11use_defaultESK_EENS0_5tupleIJSF_NSA_16discard_iteratorISK_EEEEENSM_IJSG_SG_EEES6_PlJS6_EEE10hipError_tPvRmT3_T4_T5_T6_T7_T9_mT8_P12ihipStream_tbDpT10_ENKUlT_T0_E_clISt17integral_constantIbLb0EES1A_IbLb1EEEEDaS16_S17_EUlS16_E_NS1_11comp_targetILNS1_3genE4ELNS1_11target_archE910ELNS1_3gpuE8ELNS1_3repE0EEENS1_30default_config_static_selectorELNS0_4arch9wavefront6targetE1EEEvT1_,comdat
.Lfunc_end2933:
	.size	_ZN7rocprim17ROCPRIM_400000_NS6detail17trampoline_kernelINS0_14default_configENS1_25partition_config_selectorILNS1_17partition_subalgoE1EyNS0_10empty_typeEbEEZZNS1_14partition_implILS5_1ELb0ES3_jN6thrust23THRUST_200600_302600_NS6detail15normal_iteratorINSA_10device_ptrIyEEEEPS6_NSA_18transform_iteratorI7is_evenIyESF_NSA_11use_defaultESK_EENS0_5tupleIJSF_NSA_16discard_iteratorISK_EEEEENSM_IJSG_SG_EEES6_PlJS6_EEE10hipError_tPvRmT3_T4_T5_T6_T7_T9_mT8_P12ihipStream_tbDpT10_ENKUlT_T0_E_clISt17integral_constantIbLb0EES1A_IbLb1EEEEDaS16_S17_EUlS16_E_NS1_11comp_targetILNS1_3genE4ELNS1_11target_archE910ELNS1_3gpuE8ELNS1_3repE0EEENS1_30default_config_static_selectorELNS0_4arch9wavefront6targetE1EEEvT1_, .Lfunc_end2933-_ZN7rocprim17ROCPRIM_400000_NS6detail17trampoline_kernelINS0_14default_configENS1_25partition_config_selectorILNS1_17partition_subalgoE1EyNS0_10empty_typeEbEEZZNS1_14partition_implILS5_1ELb0ES3_jN6thrust23THRUST_200600_302600_NS6detail15normal_iteratorINSA_10device_ptrIyEEEEPS6_NSA_18transform_iteratorI7is_evenIyESF_NSA_11use_defaultESK_EENS0_5tupleIJSF_NSA_16discard_iteratorISK_EEEEENSM_IJSG_SG_EEES6_PlJS6_EEE10hipError_tPvRmT3_T4_T5_T6_T7_T9_mT8_P12ihipStream_tbDpT10_ENKUlT_T0_E_clISt17integral_constantIbLb0EES1A_IbLb1EEEEDaS16_S17_EUlS16_E_NS1_11comp_targetILNS1_3genE4ELNS1_11target_archE910ELNS1_3gpuE8ELNS1_3repE0EEENS1_30default_config_static_selectorELNS0_4arch9wavefront6targetE1EEEvT1_
                                        ; -- End function
	.section	.AMDGPU.csdata,"",@progbits
; Kernel info:
; codeLenInByte = 4100
; NumSgprs: 44
; NumVgprs: 45
; NumAgprs: 0
; TotalNumVgprs: 45
; ScratchSize: 0
; MemoryBound: 0
; FloatMode: 240
; IeeeMode: 1
; LDSByteSize: 6344 bytes/workgroup (compile time only)
; SGPRBlocks: 5
; VGPRBlocks: 5
; NumSGPRsForWavesPerEU: 44
; NumVGPRsForWavesPerEU: 45
; AccumOffset: 48
; Occupancy: 8
; WaveLimiterHint : 1
; COMPUTE_PGM_RSRC2:SCRATCH_EN: 0
; COMPUTE_PGM_RSRC2:USER_SGPR: 6
; COMPUTE_PGM_RSRC2:TRAP_HANDLER: 0
; COMPUTE_PGM_RSRC2:TGID_X_EN: 1
; COMPUTE_PGM_RSRC2:TGID_Y_EN: 0
; COMPUTE_PGM_RSRC2:TGID_Z_EN: 0
; COMPUTE_PGM_RSRC2:TIDIG_COMP_CNT: 0
; COMPUTE_PGM_RSRC3_GFX90A:ACCUM_OFFSET: 11
; COMPUTE_PGM_RSRC3_GFX90A:TG_SPLIT: 0
	.section	.text._ZN7rocprim17ROCPRIM_400000_NS6detail17trampoline_kernelINS0_14default_configENS1_25partition_config_selectorILNS1_17partition_subalgoE1EyNS0_10empty_typeEbEEZZNS1_14partition_implILS5_1ELb0ES3_jN6thrust23THRUST_200600_302600_NS6detail15normal_iteratorINSA_10device_ptrIyEEEEPS6_NSA_18transform_iteratorI7is_evenIyESF_NSA_11use_defaultESK_EENS0_5tupleIJSF_NSA_16discard_iteratorISK_EEEEENSM_IJSG_SG_EEES6_PlJS6_EEE10hipError_tPvRmT3_T4_T5_T6_T7_T9_mT8_P12ihipStream_tbDpT10_ENKUlT_T0_E_clISt17integral_constantIbLb0EES1A_IbLb1EEEEDaS16_S17_EUlS16_E_NS1_11comp_targetILNS1_3genE3ELNS1_11target_archE908ELNS1_3gpuE7ELNS1_3repE0EEENS1_30default_config_static_selectorELNS0_4arch9wavefront6targetE1EEEvT1_,"axG",@progbits,_ZN7rocprim17ROCPRIM_400000_NS6detail17trampoline_kernelINS0_14default_configENS1_25partition_config_selectorILNS1_17partition_subalgoE1EyNS0_10empty_typeEbEEZZNS1_14partition_implILS5_1ELb0ES3_jN6thrust23THRUST_200600_302600_NS6detail15normal_iteratorINSA_10device_ptrIyEEEEPS6_NSA_18transform_iteratorI7is_evenIyESF_NSA_11use_defaultESK_EENS0_5tupleIJSF_NSA_16discard_iteratorISK_EEEEENSM_IJSG_SG_EEES6_PlJS6_EEE10hipError_tPvRmT3_T4_T5_T6_T7_T9_mT8_P12ihipStream_tbDpT10_ENKUlT_T0_E_clISt17integral_constantIbLb0EES1A_IbLb1EEEEDaS16_S17_EUlS16_E_NS1_11comp_targetILNS1_3genE3ELNS1_11target_archE908ELNS1_3gpuE7ELNS1_3repE0EEENS1_30default_config_static_selectorELNS0_4arch9wavefront6targetE1EEEvT1_,comdat
	.protected	_ZN7rocprim17ROCPRIM_400000_NS6detail17trampoline_kernelINS0_14default_configENS1_25partition_config_selectorILNS1_17partition_subalgoE1EyNS0_10empty_typeEbEEZZNS1_14partition_implILS5_1ELb0ES3_jN6thrust23THRUST_200600_302600_NS6detail15normal_iteratorINSA_10device_ptrIyEEEEPS6_NSA_18transform_iteratorI7is_evenIyESF_NSA_11use_defaultESK_EENS0_5tupleIJSF_NSA_16discard_iteratorISK_EEEEENSM_IJSG_SG_EEES6_PlJS6_EEE10hipError_tPvRmT3_T4_T5_T6_T7_T9_mT8_P12ihipStream_tbDpT10_ENKUlT_T0_E_clISt17integral_constantIbLb0EES1A_IbLb1EEEEDaS16_S17_EUlS16_E_NS1_11comp_targetILNS1_3genE3ELNS1_11target_archE908ELNS1_3gpuE7ELNS1_3repE0EEENS1_30default_config_static_selectorELNS0_4arch9wavefront6targetE1EEEvT1_ ; -- Begin function _ZN7rocprim17ROCPRIM_400000_NS6detail17trampoline_kernelINS0_14default_configENS1_25partition_config_selectorILNS1_17partition_subalgoE1EyNS0_10empty_typeEbEEZZNS1_14partition_implILS5_1ELb0ES3_jN6thrust23THRUST_200600_302600_NS6detail15normal_iteratorINSA_10device_ptrIyEEEEPS6_NSA_18transform_iteratorI7is_evenIyESF_NSA_11use_defaultESK_EENS0_5tupleIJSF_NSA_16discard_iteratorISK_EEEEENSM_IJSG_SG_EEES6_PlJS6_EEE10hipError_tPvRmT3_T4_T5_T6_T7_T9_mT8_P12ihipStream_tbDpT10_ENKUlT_T0_E_clISt17integral_constantIbLb0EES1A_IbLb1EEEEDaS16_S17_EUlS16_E_NS1_11comp_targetILNS1_3genE3ELNS1_11target_archE908ELNS1_3gpuE7ELNS1_3repE0EEENS1_30default_config_static_selectorELNS0_4arch9wavefront6targetE1EEEvT1_
	.globl	_ZN7rocprim17ROCPRIM_400000_NS6detail17trampoline_kernelINS0_14default_configENS1_25partition_config_selectorILNS1_17partition_subalgoE1EyNS0_10empty_typeEbEEZZNS1_14partition_implILS5_1ELb0ES3_jN6thrust23THRUST_200600_302600_NS6detail15normal_iteratorINSA_10device_ptrIyEEEEPS6_NSA_18transform_iteratorI7is_evenIyESF_NSA_11use_defaultESK_EENS0_5tupleIJSF_NSA_16discard_iteratorISK_EEEEENSM_IJSG_SG_EEES6_PlJS6_EEE10hipError_tPvRmT3_T4_T5_T6_T7_T9_mT8_P12ihipStream_tbDpT10_ENKUlT_T0_E_clISt17integral_constantIbLb0EES1A_IbLb1EEEEDaS16_S17_EUlS16_E_NS1_11comp_targetILNS1_3genE3ELNS1_11target_archE908ELNS1_3gpuE7ELNS1_3repE0EEENS1_30default_config_static_selectorELNS0_4arch9wavefront6targetE1EEEvT1_
	.p2align	8
	.type	_ZN7rocprim17ROCPRIM_400000_NS6detail17trampoline_kernelINS0_14default_configENS1_25partition_config_selectorILNS1_17partition_subalgoE1EyNS0_10empty_typeEbEEZZNS1_14partition_implILS5_1ELb0ES3_jN6thrust23THRUST_200600_302600_NS6detail15normal_iteratorINSA_10device_ptrIyEEEEPS6_NSA_18transform_iteratorI7is_evenIyESF_NSA_11use_defaultESK_EENS0_5tupleIJSF_NSA_16discard_iteratorISK_EEEEENSM_IJSG_SG_EEES6_PlJS6_EEE10hipError_tPvRmT3_T4_T5_T6_T7_T9_mT8_P12ihipStream_tbDpT10_ENKUlT_T0_E_clISt17integral_constantIbLb0EES1A_IbLb1EEEEDaS16_S17_EUlS16_E_NS1_11comp_targetILNS1_3genE3ELNS1_11target_archE908ELNS1_3gpuE7ELNS1_3repE0EEENS1_30default_config_static_selectorELNS0_4arch9wavefront6targetE1EEEvT1_,@function
_ZN7rocprim17ROCPRIM_400000_NS6detail17trampoline_kernelINS0_14default_configENS1_25partition_config_selectorILNS1_17partition_subalgoE1EyNS0_10empty_typeEbEEZZNS1_14partition_implILS5_1ELb0ES3_jN6thrust23THRUST_200600_302600_NS6detail15normal_iteratorINSA_10device_ptrIyEEEEPS6_NSA_18transform_iteratorI7is_evenIyESF_NSA_11use_defaultESK_EENS0_5tupleIJSF_NSA_16discard_iteratorISK_EEEEENSM_IJSG_SG_EEES6_PlJS6_EEE10hipError_tPvRmT3_T4_T5_T6_T7_T9_mT8_P12ihipStream_tbDpT10_ENKUlT_T0_E_clISt17integral_constantIbLb0EES1A_IbLb1EEEEDaS16_S17_EUlS16_E_NS1_11comp_targetILNS1_3genE3ELNS1_11target_archE908ELNS1_3gpuE7ELNS1_3repE0EEENS1_30default_config_static_selectorELNS0_4arch9wavefront6targetE1EEEvT1_: ; @_ZN7rocprim17ROCPRIM_400000_NS6detail17trampoline_kernelINS0_14default_configENS1_25partition_config_selectorILNS1_17partition_subalgoE1EyNS0_10empty_typeEbEEZZNS1_14partition_implILS5_1ELb0ES3_jN6thrust23THRUST_200600_302600_NS6detail15normal_iteratorINSA_10device_ptrIyEEEEPS6_NSA_18transform_iteratorI7is_evenIyESF_NSA_11use_defaultESK_EENS0_5tupleIJSF_NSA_16discard_iteratorISK_EEEEENSM_IJSG_SG_EEES6_PlJS6_EEE10hipError_tPvRmT3_T4_T5_T6_T7_T9_mT8_P12ihipStream_tbDpT10_ENKUlT_T0_E_clISt17integral_constantIbLb0EES1A_IbLb1EEEEDaS16_S17_EUlS16_E_NS1_11comp_targetILNS1_3genE3ELNS1_11target_archE908ELNS1_3gpuE7ELNS1_3repE0EEENS1_30default_config_static_selectorELNS0_4arch9wavefront6targetE1EEEvT1_
; %bb.0:
	.section	.rodata,"a",@progbits
	.p2align	6, 0x0
	.amdhsa_kernel _ZN7rocprim17ROCPRIM_400000_NS6detail17trampoline_kernelINS0_14default_configENS1_25partition_config_selectorILNS1_17partition_subalgoE1EyNS0_10empty_typeEbEEZZNS1_14partition_implILS5_1ELb0ES3_jN6thrust23THRUST_200600_302600_NS6detail15normal_iteratorINSA_10device_ptrIyEEEEPS6_NSA_18transform_iteratorI7is_evenIyESF_NSA_11use_defaultESK_EENS0_5tupleIJSF_NSA_16discard_iteratorISK_EEEEENSM_IJSG_SG_EEES6_PlJS6_EEE10hipError_tPvRmT3_T4_T5_T6_T7_T9_mT8_P12ihipStream_tbDpT10_ENKUlT_T0_E_clISt17integral_constantIbLb0EES1A_IbLb1EEEEDaS16_S17_EUlS16_E_NS1_11comp_targetILNS1_3genE3ELNS1_11target_archE908ELNS1_3gpuE7ELNS1_3repE0EEENS1_30default_config_static_selectorELNS0_4arch9wavefront6targetE1EEEvT1_
		.amdhsa_group_segment_fixed_size 0
		.amdhsa_private_segment_fixed_size 0
		.amdhsa_kernarg_size 152
		.amdhsa_user_sgpr_count 6
		.amdhsa_user_sgpr_private_segment_buffer 1
		.amdhsa_user_sgpr_dispatch_ptr 0
		.amdhsa_user_sgpr_queue_ptr 0
		.amdhsa_user_sgpr_kernarg_segment_ptr 1
		.amdhsa_user_sgpr_dispatch_id 0
		.amdhsa_user_sgpr_flat_scratch_init 0
		.amdhsa_user_sgpr_kernarg_preload_length 0
		.amdhsa_user_sgpr_kernarg_preload_offset 0
		.amdhsa_user_sgpr_private_segment_size 0
		.amdhsa_uses_dynamic_stack 0
		.amdhsa_system_sgpr_private_segment_wavefront_offset 0
		.amdhsa_system_sgpr_workgroup_id_x 1
		.amdhsa_system_sgpr_workgroup_id_y 0
		.amdhsa_system_sgpr_workgroup_id_z 0
		.amdhsa_system_sgpr_workgroup_info 0
		.amdhsa_system_vgpr_workitem_id 0
		.amdhsa_next_free_vgpr 1
		.amdhsa_next_free_sgpr 0
		.amdhsa_accum_offset 4
		.amdhsa_reserve_vcc 0
		.amdhsa_reserve_flat_scratch 0
		.amdhsa_float_round_mode_32 0
		.amdhsa_float_round_mode_16_64 0
		.amdhsa_float_denorm_mode_32 3
		.amdhsa_float_denorm_mode_16_64 3
		.amdhsa_dx10_clamp 1
		.amdhsa_ieee_mode 1
		.amdhsa_fp16_overflow 0
		.amdhsa_tg_split 0
		.amdhsa_exception_fp_ieee_invalid_op 0
		.amdhsa_exception_fp_denorm_src 0
		.amdhsa_exception_fp_ieee_div_zero 0
		.amdhsa_exception_fp_ieee_overflow 0
		.amdhsa_exception_fp_ieee_underflow 0
		.amdhsa_exception_fp_ieee_inexact 0
		.amdhsa_exception_int_div_zero 0
	.end_amdhsa_kernel
	.section	.text._ZN7rocprim17ROCPRIM_400000_NS6detail17trampoline_kernelINS0_14default_configENS1_25partition_config_selectorILNS1_17partition_subalgoE1EyNS0_10empty_typeEbEEZZNS1_14partition_implILS5_1ELb0ES3_jN6thrust23THRUST_200600_302600_NS6detail15normal_iteratorINSA_10device_ptrIyEEEEPS6_NSA_18transform_iteratorI7is_evenIyESF_NSA_11use_defaultESK_EENS0_5tupleIJSF_NSA_16discard_iteratorISK_EEEEENSM_IJSG_SG_EEES6_PlJS6_EEE10hipError_tPvRmT3_T4_T5_T6_T7_T9_mT8_P12ihipStream_tbDpT10_ENKUlT_T0_E_clISt17integral_constantIbLb0EES1A_IbLb1EEEEDaS16_S17_EUlS16_E_NS1_11comp_targetILNS1_3genE3ELNS1_11target_archE908ELNS1_3gpuE7ELNS1_3repE0EEENS1_30default_config_static_selectorELNS0_4arch9wavefront6targetE1EEEvT1_,"axG",@progbits,_ZN7rocprim17ROCPRIM_400000_NS6detail17trampoline_kernelINS0_14default_configENS1_25partition_config_selectorILNS1_17partition_subalgoE1EyNS0_10empty_typeEbEEZZNS1_14partition_implILS5_1ELb0ES3_jN6thrust23THRUST_200600_302600_NS6detail15normal_iteratorINSA_10device_ptrIyEEEEPS6_NSA_18transform_iteratorI7is_evenIyESF_NSA_11use_defaultESK_EENS0_5tupleIJSF_NSA_16discard_iteratorISK_EEEEENSM_IJSG_SG_EEES6_PlJS6_EEE10hipError_tPvRmT3_T4_T5_T6_T7_T9_mT8_P12ihipStream_tbDpT10_ENKUlT_T0_E_clISt17integral_constantIbLb0EES1A_IbLb1EEEEDaS16_S17_EUlS16_E_NS1_11comp_targetILNS1_3genE3ELNS1_11target_archE908ELNS1_3gpuE7ELNS1_3repE0EEENS1_30default_config_static_selectorELNS0_4arch9wavefront6targetE1EEEvT1_,comdat
.Lfunc_end2934:
	.size	_ZN7rocprim17ROCPRIM_400000_NS6detail17trampoline_kernelINS0_14default_configENS1_25partition_config_selectorILNS1_17partition_subalgoE1EyNS0_10empty_typeEbEEZZNS1_14partition_implILS5_1ELb0ES3_jN6thrust23THRUST_200600_302600_NS6detail15normal_iteratorINSA_10device_ptrIyEEEEPS6_NSA_18transform_iteratorI7is_evenIyESF_NSA_11use_defaultESK_EENS0_5tupleIJSF_NSA_16discard_iteratorISK_EEEEENSM_IJSG_SG_EEES6_PlJS6_EEE10hipError_tPvRmT3_T4_T5_T6_T7_T9_mT8_P12ihipStream_tbDpT10_ENKUlT_T0_E_clISt17integral_constantIbLb0EES1A_IbLb1EEEEDaS16_S17_EUlS16_E_NS1_11comp_targetILNS1_3genE3ELNS1_11target_archE908ELNS1_3gpuE7ELNS1_3repE0EEENS1_30default_config_static_selectorELNS0_4arch9wavefront6targetE1EEEvT1_, .Lfunc_end2934-_ZN7rocprim17ROCPRIM_400000_NS6detail17trampoline_kernelINS0_14default_configENS1_25partition_config_selectorILNS1_17partition_subalgoE1EyNS0_10empty_typeEbEEZZNS1_14partition_implILS5_1ELb0ES3_jN6thrust23THRUST_200600_302600_NS6detail15normal_iteratorINSA_10device_ptrIyEEEEPS6_NSA_18transform_iteratorI7is_evenIyESF_NSA_11use_defaultESK_EENS0_5tupleIJSF_NSA_16discard_iteratorISK_EEEEENSM_IJSG_SG_EEES6_PlJS6_EEE10hipError_tPvRmT3_T4_T5_T6_T7_T9_mT8_P12ihipStream_tbDpT10_ENKUlT_T0_E_clISt17integral_constantIbLb0EES1A_IbLb1EEEEDaS16_S17_EUlS16_E_NS1_11comp_targetILNS1_3genE3ELNS1_11target_archE908ELNS1_3gpuE7ELNS1_3repE0EEENS1_30default_config_static_selectorELNS0_4arch9wavefront6targetE1EEEvT1_
                                        ; -- End function
	.section	.AMDGPU.csdata,"",@progbits
; Kernel info:
; codeLenInByte = 0
; NumSgprs: 4
; NumVgprs: 0
; NumAgprs: 0
; TotalNumVgprs: 0
; ScratchSize: 0
; MemoryBound: 0
; FloatMode: 240
; IeeeMode: 1
; LDSByteSize: 0 bytes/workgroup (compile time only)
; SGPRBlocks: 0
; VGPRBlocks: 0
; NumSGPRsForWavesPerEU: 4
; NumVGPRsForWavesPerEU: 1
; AccumOffset: 4
; Occupancy: 8
; WaveLimiterHint : 0
; COMPUTE_PGM_RSRC2:SCRATCH_EN: 0
; COMPUTE_PGM_RSRC2:USER_SGPR: 6
; COMPUTE_PGM_RSRC2:TRAP_HANDLER: 0
; COMPUTE_PGM_RSRC2:TGID_X_EN: 1
; COMPUTE_PGM_RSRC2:TGID_Y_EN: 0
; COMPUTE_PGM_RSRC2:TGID_Z_EN: 0
; COMPUTE_PGM_RSRC2:TIDIG_COMP_CNT: 0
; COMPUTE_PGM_RSRC3_GFX90A:ACCUM_OFFSET: 0
; COMPUTE_PGM_RSRC3_GFX90A:TG_SPLIT: 0
	.section	.text._ZN7rocprim17ROCPRIM_400000_NS6detail17trampoline_kernelINS0_14default_configENS1_25partition_config_selectorILNS1_17partition_subalgoE1EyNS0_10empty_typeEbEEZZNS1_14partition_implILS5_1ELb0ES3_jN6thrust23THRUST_200600_302600_NS6detail15normal_iteratorINSA_10device_ptrIyEEEEPS6_NSA_18transform_iteratorI7is_evenIyESF_NSA_11use_defaultESK_EENS0_5tupleIJSF_NSA_16discard_iteratorISK_EEEEENSM_IJSG_SG_EEES6_PlJS6_EEE10hipError_tPvRmT3_T4_T5_T6_T7_T9_mT8_P12ihipStream_tbDpT10_ENKUlT_T0_E_clISt17integral_constantIbLb0EES1A_IbLb1EEEEDaS16_S17_EUlS16_E_NS1_11comp_targetILNS1_3genE2ELNS1_11target_archE906ELNS1_3gpuE6ELNS1_3repE0EEENS1_30default_config_static_selectorELNS0_4arch9wavefront6targetE1EEEvT1_,"axG",@progbits,_ZN7rocprim17ROCPRIM_400000_NS6detail17trampoline_kernelINS0_14default_configENS1_25partition_config_selectorILNS1_17partition_subalgoE1EyNS0_10empty_typeEbEEZZNS1_14partition_implILS5_1ELb0ES3_jN6thrust23THRUST_200600_302600_NS6detail15normal_iteratorINSA_10device_ptrIyEEEEPS6_NSA_18transform_iteratorI7is_evenIyESF_NSA_11use_defaultESK_EENS0_5tupleIJSF_NSA_16discard_iteratorISK_EEEEENSM_IJSG_SG_EEES6_PlJS6_EEE10hipError_tPvRmT3_T4_T5_T6_T7_T9_mT8_P12ihipStream_tbDpT10_ENKUlT_T0_E_clISt17integral_constantIbLb0EES1A_IbLb1EEEEDaS16_S17_EUlS16_E_NS1_11comp_targetILNS1_3genE2ELNS1_11target_archE906ELNS1_3gpuE6ELNS1_3repE0EEENS1_30default_config_static_selectorELNS0_4arch9wavefront6targetE1EEEvT1_,comdat
	.protected	_ZN7rocprim17ROCPRIM_400000_NS6detail17trampoline_kernelINS0_14default_configENS1_25partition_config_selectorILNS1_17partition_subalgoE1EyNS0_10empty_typeEbEEZZNS1_14partition_implILS5_1ELb0ES3_jN6thrust23THRUST_200600_302600_NS6detail15normal_iteratorINSA_10device_ptrIyEEEEPS6_NSA_18transform_iteratorI7is_evenIyESF_NSA_11use_defaultESK_EENS0_5tupleIJSF_NSA_16discard_iteratorISK_EEEEENSM_IJSG_SG_EEES6_PlJS6_EEE10hipError_tPvRmT3_T4_T5_T6_T7_T9_mT8_P12ihipStream_tbDpT10_ENKUlT_T0_E_clISt17integral_constantIbLb0EES1A_IbLb1EEEEDaS16_S17_EUlS16_E_NS1_11comp_targetILNS1_3genE2ELNS1_11target_archE906ELNS1_3gpuE6ELNS1_3repE0EEENS1_30default_config_static_selectorELNS0_4arch9wavefront6targetE1EEEvT1_ ; -- Begin function _ZN7rocprim17ROCPRIM_400000_NS6detail17trampoline_kernelINS0_14default_configENS1_25partition_config_selectorILNS1_17partition_subalgoE1EyNS0_10empty_typeEbEEZZNS1_14partition_implILS5_1ELb0ES3_jN6thrust23THRUST_200600_302600_NS6detail15normal_iteratorINSA_10device_ptrIyEEEEPS6_NSA_18transform_iteratorI7is_evenIyESF_NSA_11use_defaultESK_EENS0_5tupleIJSF_NSA_16discard_iteratorISK_EEEEENSM_IJSG_SG_EEES6_PlJS6_EEE10hipError_tPvRmT3_T4_T5_T6_T7_T9_mT8_P12ihipStream_tbDpT10_ENKUlT_T0_E_clISt17integral_constantIbLb0EES1A_IbLb1EEEEDaS16_S17_EUlS16_E_NS1_11comp_targetILNS1_3genE2ELNS1_11target_archE906ELNS1_3gpuE6ELNS1_3repE0EEENS1_30default_config_static_selectorELNS0_4arch9wavefront6targetE1EEEvT1_
	.globl	_ZN7rocprim17ROCPRIM_400000_NS6detail17trampoline_kernelINS0_14default_configENS1_25partition_config_selectorILNS1_17partition_subalgoE1EyNS0_10empty_typeEbEEZZNS1_14partition_implILS5_1ELb0ES3_jN6thrust23THRUST_200600_302600_NS6detail15normal_iteratorINSA_10device_ptrIyEEEEPS6_NSA_18transform_iteratorI7is_evenIyESF_NSA_11use_defaultESK_EENS0_5tupleIJSF_NSA_16discard_iteratorISK_EEEEENSM_IJSG_SG_EEES6_PlJS6_EEE10hipError_tPvRmT3_T4_T5_T6_T7_T9_mT8_P12ihipStream_tbDpT10_ENKUlT_T0_E_clISt17integral_constantIbLb0EES1A_IbLb1EEEEDaS16_S17_EUlS16_E_NS1_11comp_targetILNS1_3genE2ELNS1_11target_archE906ELNS1_3gpuE6ELNS1_3repE0EEENS1_30default_config_static_selectorELNS0_4arch9wavefront6targetE1EEEvT1_
	.p2align	8
	.type	_ZN7rocprim17ROCPRIM_400000_NS6detail17trampoline_kernelINS0_14default_configENS1_25partition_config_selectorILNS1_17partition_subalgoE1EyNS0_10empty_typeEbEEZZNS1_14partition_implILS5_1ELb0ES3_jN6thrust23THRUST_200600_302600_NS6detail15normal_iteratorINSA_10device_ptrIyEEEEPS6_NSA_18transform_iteratorI7is_evenIyESF_NSA_11use_defaultESK_EENS0_5tupleIJSF_NSA_16discard_iteratorISK_EEEEENSM_IJSG_SG_EEES6_PlJS6_EEE10hipError_tPvRmT3_T4_T5_T6_T7_T9_mT8_P12ihipStream_tbDpT10_ENKUlT_T0_E_clISt17integral_constantIbLb0EES1A_IbLb1EEEEDaS16_S17_EUlS16_E_NS1_11comp_targetILNS1_3genE2ELNS1_11target_archE906ELNS1_3gpuE6ELNS1_3repE0EEENS1_30default_config_static_selectorELNS0_4arch9wavefront6targetE1EEEvT1_,@function
_ZN7rocprim17ROCPRIM_400000_NS6detail17trampoline_kernelINS0_14default_configENS1_25partition_config_selectorILNS1_17partition_subalgoE1EyNS0_10empty_typeEbEEZZNS1_14partition_implILS5_1ELb0ES3_jN6thrust23THRUST_200600_302600_NS6detail15normal_iteratorINSA_10device_ptrIyEEEEPS6_NSA_18transform_iteratorI7is_evenIyESF_NSA_11use_defaultESK_EENS0_5tupleIJSF_NSA_16discard_iteratorISK_EEEEENSM_IJSG_SG_EEES6_PlJS6_EEE10hipError_tPvRmT3_T4_T5_T6_T7_T9_mT8_P12ihipStream_tbDpT10_ENKUlT_T0_E_clISt17integral_constantIbLb0EES1A_IbLb1EEEEDaS16_S17_EUlS16_E_NS1_11comp_targetILNS1_3genE2ELNS1_11target_archE906ELNS1_3gpuE6ELNS1_3repE0EEENS1_30default_config_static_selectorELNS0_4arch9wavefront6targetE1EEEvT1_: ; @_ZN7rocprim17ROCPRIM_400000_NS6detail17trampoline_kernelINS0_14default_configENS1_25partition_config_selectorILNS1_17partition_subalgoE1EyNS0_10empty_typeEbEEZZNS1_14partition_implILS5_1ELb0ES3_jN6thrust23THRUST_200600_302600_NS6detail15normal_iteratorINSA_10device_ptrIyEEEEPS6_NSA_18transform_iteratorI7is_evenIyESF_NSA_11use_defaultESK_EENS0_5tupleIJSF_NSA_16discard_iteratorISK_EEEEENSM_IJSG_SG_EEES6_PlJS6_EEE10hipError_tPvRmT3_T4_T5_T6_T7_T9_mT8_P12ihipStream_tbDpT10_ENKUlT_T0_E_clISt17integral_constantIbLb0EES1A_IbLb1EEEEDaS16_S17_EUlS16_E_NS1_11comp_targetILNS1_3genE2ELNS1_11target_archE906ELNS1_3gpuE6ELNS1_3repE0EEENS1_30default_config_static_selectorELNS0_4arch9wavefront6targetE1EEEvT1_
; %bb.0:
	.section	.rodata,"a",@progbits
	.p2align	6, 0x0
	.amdhsa_kernel _ZN7rocprim17ROCPRIM_400000_NS6detail17trampoline_kernelINS0_14default_configENS1_25partition_config_selectorILNS1_17partition_subalgoE1EyNS0_10empty_typeEbEEZZNS1_14partition_implILS5_1ELb0ES3_jN6thrust23THRUST_200600_302600_NS6detail15normal_iteratorINSA_10device_ptrIyEEEEPS6_NSA_18transform_iteratorI7is_evenIyESF_NSA_11use_defaultESK_EENS0_5tupleIJSF_NSA_16discard_iteratorISK_EEEEENSM_IJSG_SG_EEES6_PlJS6_EEE10hipError_tPvRmT3_T4_T5_T6_T7_T9_mT8_P12ihipStream_tbDpT10_ENKUlT_T0_E_clISt17integral_constantIbLb0EES1A_IbLb1EEEEDaS16_S17_EUlS16_E_NS1_11comp_targetILNS1_3genE2ELNS1_11target_archE906ELNS1_3gpuE6ELNS1_3repE0EEENS1_30default_config_static_selectorELNS0_4arch9wavefront6targetE1EEEvT1_
		.amdhsa_group_segment_fixed_size 0
		.amdhsa_private_segment_fixed_size 0
		.amdhsa_kernarg_size 152
		.amdhsa_user_sgpr_count 6
		.amdhsa_user_sgpr_private_segment_buffer 1
		.amdhsa_user_sgpr_dispatch_ptr 0
		.amdhsa_user_sgpr_queue_ptr 0
		.amdhsa_user_sgpr_kernarg_segment_ptr 1
		.amdhsa_user_sgpr_dispatch_id 0
		.amdhsa_user_sgpr_flat_scratch_init 0
		.amdhsa_user_sgpr_kernarg_preload_length 0
		.amdhsa_user_sgpr_kernarg_preload_offset 0
		.amdhsa_user_sgpr_private_segment_size 0
		.amdhsa_uses_dynamic_stack 0
		.amdhsa_system_sgpr_private_segment_wavefront_offset 0
		.amdhsa_system_sgpr_workgroup_id_x 1
		.amdhsa_system_sgpr_workgroup_id_y 0
		.amdhsa_system_sgpr_workgroup_id_z 0
		.amdhsa_system_sgpr_workgroup_info 0
		.amdhsa_system_vgpr_workitem_id 0
		.amdhsa_next_free_vgpr 1
		.amdhsa_next_free_sgpr 0
		.amdhsa_accum_offset 4
		.amdhsa_reserve_vcc 0
		.amdhsa_reserve_flat_scratch 0
		.amdhsa_float_round_mode_32 0
		.amdhsa_float_round_mode_16_64 0
		.amdhsa_float_denorm_mode_32 3
		.amdhsa_float_denorm_mode_16_64 3
		.amdhsa_dx10_clamp 1
		.amdhsa_ieee_mode 1
		.amdhsa_fp16_overflow 0
		.amdhsa_tg_split 0
		.amdhsa_exception_fp_ieee_invalid_op 0
		.amdhsa_exception_fp_denorm_src 0
		.amdhsa_exception_fp_ieee_div_zero 0
		.amdhsa_exception_fp_ieee_overflow 0
		.amdhsa_exception_fp_ieee_underflow 0
		.amdhsa_exception_fp_ieee_inexact 0
		.amdhsa_exception_int_div_zero 0
	.end_amdhsa_kernel
	.section	.text._ZN7rocprim17ROCPRIM_400000_NS6detail17trampoline_kernelINS0_14default_configENS1_25partition_config_selectorILNS1_17partition_subalgoE1EyNS0_10empty_typeEbEEZZNS1_14partition_implILS5_1ELb0ES3_jN6thrust23THRUST_200600_302600_NS6detail15normal_iteratorINSA_10device_ptrIyEEEEPS6_NSA_18transform_iteratorI7is_evenIyESF_NSA_11use_defaultESK_EENS0_5tupleIJSF_NSA_16discard_iteratorISK_EEEEENSM_IJSG_SG_EEES6_PlJS6_EEE10hipError_tPvRmT3_T4_T5_T6_T7_T9_mT8_P12ihipStream_tbDpT10_ENKUlT_T0_E_clISt17integral_constantIbLb0EES1A_IbLb1EEEEDaS16_S17_EUlS16_E_NS1_11comp_targetILNS1_3genE2ELNS1_11target_archE906ELNS1_3gpuE6ELNS1_3repE0EEENS1_30default_config_static_selectorELNS0_4arch9wavefront6targetE1EEEvT1_,"axG",@progbits,_ZN7rocprim17ROCPRIM_400000_NS6detail17trampoline_kernelINS0_14default_configENS1_25partition_config_selectorILNS1_17partition_subalgoE1EyNS0_10empty_typeEbEEZZNS1_14partition_implILS5_1ELb0ES3_jN6thrust23THRUST_200600_302600_NS6detail15normal_iteratorINSA_10device_ptrIyEEEEPS6_NSA_18transform_iteratorI7is_evenIyESF_NSA_11use_defaultESK_EENS0_5tupleIJSF_NSA_16discard_iteratorISK_EEEEENSM_IJSG_SG_EEES6_PlJS6_EEE10hipError_tPvRmT3_T4_T5_T6_T7_T9_mT8_P12ihipStream_tbDpT10_ENKUlT_T0_E_clISt17integral_constantIbLb0EES1A_IbLb1EEEEDaS16_S17_EUlS16_E_NS1_11comp_targetILNS1_3genE2ELNS1_11target_archE906ELNS1_3gpuE6ELNS1_3repE0EEENS1_30default_config_static_selectorELNS0_4arch9wavefront6targetE1EEEvT1_,comdat
.Lfunc_end2935:
	.size	_ZN7rocprim17ROCPRIM_400000_NS6detail17trampoline_kernelINS0_14default_configENS1_25partition_config_selectorILNS1_17partition_subalgoE1EyNS0_10empty_typeEbEEZZNS1_14partition_implILS5_1ELb0ES3_jN6thrust23THRUST_200600_302600_NS6detail15normal_iteratorINSA_10device_ptrIyEEEEPS6_NSA_18transform_iteratorI7is_evenIyESF_NSA_11use_defaultESK_EENS0_5tupleIJSF_NSA_16discard_iteratorISK_EEEEENSM_IJSG_SG_EEES6_PlJS6_EEE10hipError_tPvRmT3_T4_T5_T6_T7_T9_mT8_P12ihipStream_tbDpT10_ENKUlT_T0_E_clISt17integral_constantIbLb0EES1A_IbLb1EEEEDaS16_S17_EUlS16_E_NS1_11comp_targetILNS1_3genE2ELNS1_11target_archE906ELNS1_3gpuE6ELNS1_3repE0EEENS1_30default_config_static_selectorELNS0_4arch9wavefront6targetE1EEEvT1_, .Lfunc_end2935-_ZN7rocprim17ROCPRIM_400000_NS6detail17trampoline_kernelINS0_14default_configENS1_25partition_config_selectorILNS1_17partition_subalgoE1EyNS0_10empty_typeEbEEZZNS1_14partition_implILS5_1ELb0ES3_jN6thrust23THRUST_200600_302600_NS6detail15normal_iteratorINSA_10device_ptrIyEEEEPS6_NSA_18transform_iteratorI7is_evenIyESF_NSA_11use_defaultESK_EENS0_5tupleIJSF_NSA_16discard_iteratorISK_EEEEENSM_IJSG_SG_EEES6_PlJS6_EEE10hipError_tPvRmT3_T4_T5_T6_T7_T9_mT8_P12ihipStream_tbDpT10_ENKUlT_T0_E_clISt17integral_constantIbLb0EES1A_IbLb1EEEEDaS16_S17_EUlS16_E_NS1_11comp_targetILNS1_3genE2ELNS1_11target_archE906ELNS1_3gpuE6ELNS1_3repE0EEENS1_30default_config_static_selectorELNS0_4arch9wavefront6targetE1EEEvT1_
                                        ; -- End function
	.section	.AMDGPU.csdata,"",@progbits
; Kernel info:
; codeLenInByte = 0
; NumSgprs: 4
; NumVgprs: 0
; NumAgprs: 0
; TotalNumVgprs: 0
; ScratchSize: 0
; MemoryBound: 0
; FloatMode: 240
; IeeeMode: 1
; LDSByteSize: 0 bytes/workgroup (compile time only)
; SGPRBlocks: 0
; VGPRBlocks: 0
; NumSGPRsForWavesPerEU: 4
; NumVGPRsForWavesPerEU: 1
; AccumOffset: 4
; Occupancy: 8
; WaveLimiterHint : 0
; COMPUTE_PGM_RSRC2:SCRATCH_EN: 0
; COMPUTE_PGM_RSRC2:USER_SGPR: 6
; COMPUTE_PGM_RSRC2:TRAP_HANDLER: 0
; COMPUTE_PGM_RSRC2:TGID_X_EN: 1
; COMPUTE_PGM_RSRC2:TGID_Y_EN: 0
; COMPUTE_PGM_RSRC2:TGID_Z_EN: 0
; COMPUTE_PGM_RSRC2:TIDIG_COMP_CNT: 0
; COMPUTE_PGM_RSRC3_GFX90A:ACCUM_OFFSET: 0
; COMPUTE_PGM_RSRC3_GFX90A:TG_SPLIT: 0
	.section	.text._ZN7rocprim17ROCPRIM_400000_NS6detail17trampoline_kernelINS0_14default_configENS1_25partition_config_selectorILNS1_17partition_subalgoE1EyNS0_10empty_typeEbEEZZNS1_14partition_implILS5_1ELb0ES3_jN6thrust23THRUST_200600_302600_NS6detail15normal_iteratorINSA_10device_ptrIyEEEEPS6_NSA_18transform_iteratorI7is_evenIyESF_NSA_11use_defaultESK_EENS0_5tupleIJSF_NSA_16discard_iteratorISK_EEEEENSM_IJSG_SG_EEES6_PlJS6_EEE10hipError_tPvRmT3_T4_T5_T6_T7_T9_mT8_P12ihipStream_tbDpT10_ENKUlT_T0_E_clISt17integral_constantIbLb0EES1A_IbLb1EEEEDaS16_S17_EUlS16_E_NS1_11comp_targetILNS1_3genE10ELNS1_11target_archE1200ELNS1_3gpuE4ELNS1_3repE0EEENS1_30default_config_static_selectorELNS0_4arch9wavefront6targetE1EEEvT1_,"axG",@progbits,_ZN7rocprim17ROCPRIM_400000_NS6detail17trampoline_kernelINS0_14default_configENS1_25partition_config_selectorILNS1_17partition_subalgoE1EyNS0_10empty_typeEbEEZZNS1_14partition_implILS5_1ELb0ES3_jN6thrust23THRUST_200600_302600_NS6detail15normal_iteratorINSA_10device_ptrIyEEEEPS6_NSA_18transform_iteratorI7is_evenIyESF_NSA_11use_defaultESK_EENS0_5tupleIJSF_NSA_16discard_iteratorISK_EEEEENSM_IJSG_SG_EEES6_PlJS6_EEE10hipError_tPvRmT3_T4_T5_T6_T7_T9_mT8_P12ihipStream_tbDpT10_ENKUlT_T0_E_clISt17integral_constantIbLb0EES1A_IbLb1EEEEDaS16_S17_EUlS16_E_NS1_11comp_targetILNS1_3genE10ELNS1_11target_archE1200ELNS1_3gpuE4ELNS1_3repE0EEENS1_30default_config_static_selectorELNS0_4arch9wavefront6targetE1EEEvT1_,comdat
	.protected	_ZN7rocprim17ROCPRIM_400000_NS6detail17trampoline_kernelINS0_14default_configENS1_25partition_config_selectorILNS1_17partition_subalgoE1EyNS0_10empty_typeEbEEZZNS1_14partition_implILS5_1ELb0ES3_jN6thrust23THRUST_200600_302600_NS6detail15normal_iteratorINSA_10device_ptrIyEEEEPS6_NSA_18transform_iteratorI7is_evenIyESF_NSA_11use_defaultESK_EENS0_5tupleIJSF_NSA_16discard_iteratorISK_EEEEENSM_IJSG_SG_EEES6_PlJS6_EEE10hipError_tPvRmT3_T4_T5_T6_T7_T9_mT8_P12ihipStream_tbDpT10_ENKUlT_T0_E_clISt17integral_constantIbLb0EES1A_IbLb1EEEEDaS16_S17_EUlS16_E_NS1_11comp_targetILNS1_3genE10ELNS1_11target_archE1200ELNS1_3gpuE4ELNS1_3repE0EEENS1_30default_config_static_selectorELNS0_4arch9wavefront6targetE1EEEvT1_ ; -- Begin function _ZN7rocprim17ROCPRIM_400000_NS6detail17trampoline_kernelINS0_14default_configENS1_25partition_config_selectorILNS1_17partition_subalgoE1EyNS0_10empty_typeEbEEZZNS1_14partition_implILS5_1ELb0ES3_jN6thrust23THRUST_200600_302600_NS6detail15normal_iteratorINSA_10device_ptrIyEEEEPS6_NSA_18transform_iteratorI7is_evenIyESF_NSA_11use_defaultESK_EENS0_5tupleIJSF_NSA_16discard_iteratorISK_EEEEENSM_IJSG_SG_EEES6_PlJS6_EEE10hipError_tPvRmT3_T4_T5_T6_T7_T9_mT8_P12ihipStream_tbDpT10_ENKUlT_T0_E_clISt17integral_constantIbLb0EES1A_IbLb1EEEEDaS16_S17_EUlS16_E_NS1_11comp_targetILNS1_3genE10ELNS1_11target_archE1200ELNS1_3gpuE4ELNS1_3repE0EEENS1_30default_config_static_selectorELNS0_4arch9wavefront6targetE1EEEvT1_
	.globl	_ZN7rocprim17ROCPRIM_400000_NS6detail17trampoline_kernelINS0_14default_configENS1_25partition_config_selectorILNS1_17partition_subalgoE1EyNS0_10empty_typeEbEEZZNS1_14partition_implILS5_1ELb0ES3_jN6thrust23THRUST_200600_302600_NS6detail15normal_iteratorINSA_10device_ptrIyEEEEPS6_NSA_18transform_iteratorI7is_evenIyESF_NSA_11use_defaultESK_EENS0_5tupleIJSF_NSA_16discard_iteratorISK_EEEEENSM_IJSG_SG_EEES6_PlJS6_EEE10hipError_tPvRmT3_T4_T5_T6_T7_T9_mT8_P12ihipStream_tbDpT10_ENKUlT_T0_E_clISt17integral_constantIbLb0EES1A_IbLb1EEEEDaS16_S17_EUlS16_E_NS1_11comp_targetILNS1_3genE10ELNS1_11target_archE1200ELNS1_3gpuE4ELNS1_3repE0EEENS1_30default_config_static_selectorELNS0_4arch9wavefront6targetE1EEEvT1_
	.p2align	8
	.type	_ZN7rocprim17ROCPRIM_400000_NS6detail17trampoline_kernelINS0_14default_configENS1_25partition_config_selectorILNS1_17partition_subalgoE1EyNS0_10empty_typeEbEEZZNS1_14partition_implILS5_1ELb0ES3_jN6thrust23THRUST_200600_302600_NS6detail15normal_iteratorINSA_10device_ptrIyEEEEPS6_NSA_18transform_iteratorI7is_evenIyESF_NSA_11use_defaultESK_EENS0_5tupleIJSF_NSA_16discard_iteratorISK_EEEEENSM_IJSG_SG_EEES6_PlJS6_EEE10hipError_tPvRmT3_T4_T5_T6_T7_T9_mT8_P12ihipStream_tbDpT10_ENKUlT_T0_E_clISt17integral_constantIbLb0EES1A_IbLb1EEEEDaS16_S17_EUlS16_E_NS1_11comp_targetILNS1_3genE10ELNS1_11target_archE1200ELNS1_3gpuE4ELNS1_3repE0EEENS1_30default_config_static_selectorELNS0_4arch9wavefront6targetE1EEEvT1_,@function
_ZN7rocprim17ROCPRIM_400000_NS6detail17trampoline_kernelINS0_14default_configENS1_25partition_config_selectorILNS1_17partition_subalgoE1EyNS0_10empty_typeEbEEZZNS1_14partition_implILS5_1ELb0ES3_jN6thrust23THRUST_200600_302600_NS6detail15normal_iteratorINSA_10device_ptrIyEEEEPS6_NSA_18transform_iteratorI7is_evenIyESF_NSA_11use_defaultESK_EENS0_5tupleIJSF_NSA_16discard_iteratorISK_EEEEENSM_IJSG_SG_EEES6_PlJS6_EEE10hipError_tPvRmT3_T4_T5_T6_T7_T9_mT8_P12ihipStream_tbDpT10_ENKUlT_T0_E_clISt17integral_constantIbLb0EES1A_IbLb1EEEEDaS16_S17_EUlS16_E_NS1_11comp_targetILNS1_3genE10ELNS1_11target_archE1200ELNS1_3gpuE4ELNS1_3repE0EEENS1_30default_config_static_selectorELNS0_4arch9wavefront6targetE1EEEvT1_: ; @_ZN7rocprim17ROCPRIM_400000_NS6detail17trampoline_kernelINS0_14default_configENS1_25partition_config_selectorILNS1_17partition_subalgoE1EyNS0_10empty_typeEbEEZZNS1_14partition_implILS5_1ELb0ES3_jN6thrust23THRUST_200600_302600_NS6detail15normal_iteratorINSA_10device_ptrIyEEEEPS6_NSA_18transform_iteratorI7is_evenIyESF_NSA_11use_defaultESK_EENS0_5tupleIJSF_NSA_16discard_iteratorISK_EEEEENSM_IJSG_SG_EEES6_PlJS6_EEE10hipError_tPvRmT3_T4_T5_T6_T7_T9_mT8_P12ihipStream_tbDpT10_ENKUlT_T0_E_clISt17integral_constantIbLb0EES1A_IbLb1EEEEDaS16_S17_EUlS16_E_NS1_11comp_targetILNS1_3genE10ELNS1_11target_archE1200ELNS1_3gpuE4ELNS1_3repE0EEENS1_30default_config_static_selectorELNS0_4arch9wavefront6targetE1EEEvT1_
; %bb.0:
	.section	.rodata,"a",@progbits
	.p2align	6, 0x0
	.amdhsa_kernel _ZN7rocprim17ROCPRIM_400000_NS6detail17trampoline_kernelINS0_14default_configENS1_25partition_config_selectorILNS1_17partition_subalgoE1EyNS0_10empty_typeEbEEZZNS1_14partition_implILS5_1ELb0ES3_jN6thrust23THRUST_200600_302600_NS6detail15normal_iteratorINSA_10device_ptrIyEEEEPS6_NSA_18transform_iteratorI7is_evenIyESF_NSA_11use_defaultESK_EENS0_5tupleIJSF_NSA_16discard_iteratorISK_EEEEENSM_IJSG_SG_EEES6_PlJS6_EEE10hipError_tPvRmT3_T4_T5_T6_T7_T9_mT8_P12ihipStream_tbDpT10_ENKUlT_T0_E_clISt17integral_constantIbLb0EES1A_IbLb1EEEEDaS16_S17_EUlS16_E_NS1_11comp_targetILNS1_3genE10ELNS1_11target_archE1200ELNS1_3gpuE4ELNS1_3repE0EEENS1_30default_config_static_selectorELNS0_4arch9wavefront6targetE1EEEvT1_
		.amdhsa_group_segment_fixed_size 0
		.amdhsa_private_segment_fixed_size 0
		.amdhsa_kernarg_size 152
		.amdhsa_user_sgpr_count 6
		.amdhsa_user_sgpr_private_segment_buffer 1
		.amdhsa_user_sgpr_dispatch_ptr 0
		.amdhsa_user_sgpr_queue_ptr 0
		.amdhsa_user_sgpr_kernarg_segment_ptr 1
		.amdhsa_user_sgpr_dispatch_id 0
		.amdhsa_user_sgpr_flat_scratch_init 0
		.amdhsa_user_sgpr_kernarg_preload_length 0
		.amdhsa_user_sgpr_kernarg_preload_offset 0
		.amdhsa_user_sgpr_private_segment_size 0
		.amdhsa_uses_dynamic_stack 0
		.amdhsa_system_sgpr_private_segment_wavefront_offset 0
		.amdhsa_system_sgpr_workgroup_id_x 1
		.amdhsa_system_sgpr_workgroup_id_y 0
		.amdhsa_system_sgpr_workgroup_id_z 0
		.amdhsa_system_sgpr_workgroup_info 0
		.amdhsa_system_vgpr_workitem_id 0
		.amdhsa_next_free_vgpr 1
		.amdhsa_next_free_sgpr 0
		.amdhsa_accum_offset 4
		.amdhsa_reserve_vcc 0
		.amdhsa_reserve_flat_scratch 0
		.amdhsa_float_round_mode_32 0
		.amdhsa_float_round_mode_16_64 0
		.amdhsa_float_denorm_mode_32 3
		.amdhsa_float_denorm_mode_16_64 3
		.amdhsa_dx10_clamp 1
		.amdhsa_ieee_mode 1
		.amdhsa_fp16_overflow 0
		.amdhsa_tg_split 0
		.amdhsa_exception_fp_ieee_invalid_op 0
		.amdhsa_exception_fp_denorm_src 0
		.amdhsa_exception_fp_ieee_div_zero 0
		.amdhsa_exception_fp_ieee_overflow 0
		.amdhsa_exception_fp_ieee_underflow 0
		.amdhsa_exception_fp_ieee_inexact 0
		.amdhsa_exception_int_div_zero 0
	.end_amdhsa_kernel
	.section	.text._ZN7rocprim17ROCPRIM_400000_NS6detail17trampoline_kernelINS0_14default_configENS1_25partition_config_selectorILNS1_17partition_subalgoE1EyNS0_10empty_typeEbEEZZNS1_14partition_implILS5_1ELb0ES3_jN6thrust23THRUST_200600_302600_NS6detail15normal_iteratorINSA_10device_ptrIyEEEEPS6_NSA_18transform_iteratorI7is_evenIyESF_NSA_11use_defaultESK_EENS0_5tupleIJSF_NSA_16discard_iteratorISK_EEEEENSM_IJSG_SG_EEES6_PlJS6_EEE10hipError_tPvRmT3_T4_T5_T6_T7_T9_mT8_P12ihipStream_tbDpT10_ENKUlT_T0_E_clISt17integral_constantIbLb0EES1A_IbLb1EEEEDaS16_S17_EUlS16_E_NS1_11comp_targetILNS1_3genE10ELNS1_11target_archE1200ELNS1_3gpuE4ELNS1_3repE0EEENS1_30default_config_static_selectorELNS0_4arch9wavefront6targetE1EEEvT1_,"axG",@progbits,_ZN7rocprim17ROCPRIM_400000_NS6detail17trampoline_kernelINS0_14default_configENS1_25partition_config_selectorILNS1_17partition_subalgoE1EyNS0_10empty_typeEbEEZZNS1_14partition_implILS5_1ELb0ES3_jN6thrust23THRUST_200600_302600_NS6detail15normal_iteratorINSA_10device_ptrIyEEEEPS6_NSA_18transform_iteratorI7is_evenIyESF_NSA_11use_defaultESK_EENS0_5tupleIJSF_NSA_16discard_iteratorISK_EEEEENSM_IJSG_SG_EEES6_PlJS6_EEE10hipError_tPvRmT3_T4_T5_T6_T7_T9_mT8_P12ihipStream_tbDpT10_ENKUlT_T0_E_clISt17integral_constantIbLb0EES1A_IbLb1EEEEDaS16_S17_EUlS16_E_NS1_11comp_targetILNS1_3genE10ELNS1_11target_archE1200ELNS1_3gpuE4ELNS1_3repE0EEENS1_30default_config_static_selectorELNS0_4arch9wavefront6targetE1EEEvT1_,comdat
.Lfunc_end2936:
	.size	_ZN7rocprim17ROCPRIM_400000_NS6detail17trampoline_kernelINS0_14default_configENS1_25partition_config_selectorILNS1_17partition_subalgoE1EyNS0_10empty_typeEbEEZZNS1_14partition_implILS5_1ELb0ES3_jN6thrust23THRUST_200600_302600_NS6detail15normal_iteratorINSA_10device_ptrIyEEEEPS6_NSA_18transform_iteratorI7is_evenIyESF_NSA_11use_defaultESK_EENS0_5tupleIJSF_NSA_16discard_iteratorISK_EEEEENSM_IJSG_SG_EEES6_PlJS6_EEE10hipError_tPvRmT3_T4_T5_T6_T7_T9_mT8_P12ihipStream_tbDpT10_ENKUlT_T0_E_clISt17integral_constantIbLb0EES1A_IbLb1EEEEDaS16_S17_EUlS16_E_NS1_11comp_targetILNS1_3genE10ELNS1_11target_archE1200ELNS1_3gpuE4ELNS1_3repE0EEENS1_30default_config_static_selectorELNS0_4arch9wavefront6targetE1EEEvT1_, .Lfunc_end2936-_ZN7rocprim17ROCPRIM_400000_NS6detail17trampoline_kernelINS0_14default_configENS1_25partition_config_selectorILNS1_17partition_subalgoE1EyNS0_10empty_typeEbEEZZNS1_14partition_implILS5_1ELb0ES3_jN6thrust23THRUST_200600_302600_NS6detail15normal_iteratorINSA_10device_ptrIyEEEEPS6_NSA_18transform_iteratorI7is_evenIyESF_NSA_11use_defaultESK_EENS0_5tupleIJSF_NSA_16discard_iteratorISK_EEEEENSM_IJSG_SG_EEES6_PlJS6_EEE10hipError_tPvRmT3_T4_T5_T6_T7_T9_mT8_P12ihipStream_tbDpT10_ENKUlT_T0_E_clISt17integral_constantIbLb0EES1A_IbLb1EEEEDaS16_S17_EUlS16_E_NS1_11comp_targetILNS1_3genE10ELNS1_11target_archE1200ELNS1_3gpuE4ELNS1_3repE0EEENS1_30default_config_static_selectorELNS0_4arch9wavefront6targetE1EEEvT1_
                                        ; -- End function
	.section	.AMDGPU.csdata,"",@progbits
; Kernel info:
; codeLenInByte = 0
; NumSgprs: 4
; NumVgprs: 0
; NumAgprs: 0
; TotalNumVgprs: 0
; ScratchSize: 0
; MemoryBound: 0
; FloatMode: 240
; IeeeMode: 1
; LDSByteSize: 0 bytes/workgroup (compile time only)
; SGPRBlocks: 0
; VGPRBlocks: 0
; NumSGPRsForWavesPerEU: 4
; NumVGPRsForWavesPerEU: 1
; AccumOffset: 4
; Occupancy: 8
; WaveLimiterHint : 0
; COMPUTE_PGM_RSRC2:SCRATCH_EN: 0
; COMPUTE_PGM_RSRC2:USER_SGPR: 6
; COMPUTE_PGM_RSRC2:TRAP_HANDLER: 0
; COMPUTE_PGM_RSRC2:TGID_X_EN: 1
; COMPUTE_PGM_RSRC2:TGID_Y_EN: 0
; COMPUTE_PGM_RSRC2:TGID_Z_EN: 0
; COMPUTE_PGM_RSRC2:TIDIG_COMP_CNT: 0
; COMPUTE_PGM_RSRC3_GFX90A:ACCUM_OFFSET: 0
; COMPUTE_PGM_RSRC3_GFX90A:TG_SPLIT: 0
	.section	.text._ZN7rocprim17ROCPRIM_400000_NS6detail17trampoline_kernelINS0_14default_configENS1_25partition_config_selectorILNS1_17partition_subalgoE1EyNS0_10empty_typeEbEEZZNS1_14partition_implILS5_1ELb0ES3_jN6thrust23THRUST_200600_302600_NS6detail15normal_iteratorINSA_10device_ptrIyEEEEPS6_NSA_18transform_iteratorI7is_evenIyESF_NSA_11use_defaultESK_EENS0_5tupleIJSF_NSA_16discard_iteratorISK_EEEEENSM_IJSG_SG_EEES6_PlJS6_EEE10hipError_tPvRmT3_T4_T5_T6_T7_T9_mT8_P12ihipStream_tbDpT10_ENKUlT_T0_E_clISt17integral_constantIbLb0EES1A_IbLb1EEEEDaS16_S17_EUlS16_E_NS1_11comp_targetILNS1_3genE9ELNS1_11target_archE1100ELNS1_3gpuE3ELNS1_3repE0EEENS1_30default_config_static_selectorELNS0_4arch9wavefront6targetE1EEEvT1_,"axG",@progbits,_ZN7rocprim17ROCPRIM_400000_NS6detail17trampoline_kernelINS0_14default_configENS1_25partition_config_selectorILNS1_17partition_subalgoE1EyNS0_10empty_typeEbEEZZNS1_14partition_implILS5_1ELb0ES3_jN6thrust23THRUST_200600_302600_NS6detail15normal_iteratorINSA_10device_ptrIyEEEEPS6_NSA_18transform_iteratorI7is_evenIyESF_NSA_11use_defaultESK_EENS0_5tupleIJSF_NSA_16discard_iteratorISK_EEEEENSM_IJSG_SG_EEES6_PlJS6_EEE10hipError_tPvRmT3_T4_T5_T6_T7_T9_mT8_P12ihipStream_tbDpT10_ENKUlT_T0_E_clISt17integral_constantIbLb0EES1A_IbLb1EEEEDaS16_S17_EUlS16_E_NS1_11comp_targetILNS1_3genE9ELNS1_11target_archE1100ELNS1_3gpuE3ELNS1_3repE0EEENS1_30default_config_static_selectorELNS0_4arch9wavefront6targetE1EEEvT1_,comdat
	.protected	_ZN7rocprim17ROCPRIM_400000_NS6detail17trampoline_kernelINS0_14default_configENS1_25partition_config_selectorILNS1_17partition_subalgoE1EyNS0_10empty_typeEbEEZZNS1_14partition_implILS5_1ELb0ES3_jN6thrust23THRUST_200600_302600_NS6detail15normal_iteratorINSA_10device_ptrIyEEEEPS6_NSA_18transform_iteratorI7is_evenIyESF_NSA_11use_defaultESK_EENS0_5tupleIJSF_NSA_16discard_iteratorISK_EEEEENSM_IJSG_SG_EEES6_PlJS6_EEE10hipError_tPvRmT3_T4_T5_T6_T7_T9_mT8_P12ihipStream_tbDpT10_ENKUlT_T0_E_clISt17integral_constantIbLb0EES1A_IbLb1EEEEDaS16_S17_EUlS16_E_NS1_11comp_targetILNS1_3genE9ELNS1_11target_archE1100ELNS1_3gpuE3ELNS1_3repE0EEENS1_30default_config_static_selectorELNS0_4arch9wavefront6targetE1EEEvT1_ ; -- Begin function _ZN7rocprim17ROCPRIM_400000_NS6detail17trampoline_kernelINS0_14default_configENS1_25partition_config_selectorILNS1_17partition_subalgoE1EyNS0_10empty_typeEbEEZZNS1_14partition_implILS5_1ELb0ES3_jN6thrust23THRUST_200600_302600_NS6detail15normal_iteratorINSA_10device_ptrIyEEEEPS6_NSA_18transform_iteratorI7is_evenIyESF_NSA_11use_defaultESK_EENS0_5tupleIJSF_NSA_16discard_iteratorISK_EEEEENSM_IJSG_SG_EEES6_PlJS6_EEE10hipError_tPvRmT3_T4_T5_T6_T7_T9_mT8_P12ihipStream_tbDpT10_ENKUlT_T0_E_clISt17integral_constantIbLb0EES1A_IbLb1EEEEDaS16_S17_EUlS16_E_NS1_11comp_targetILNS1_3genE9ELNS1_11target_archE1100ELNS1_3gpuE3ELNS1_3repE0EEENS1_30default_config_static_selectorELNS0_4arch9wavefront6targetE1EEEvT1_
	.globl	_ZN7rocprim17ROCPRIM_400000_NS6detail17trampoline_kernelINS0_14default_configENS1_25partition_config_selectorILNS1_17partition_subalgoE1EyNS0_10empty_typeEbEEZZNS1_14partition_implILS5_1ELb0ES3_jN6thrust23THRUST_200600_302600_NS6detail15normal_iteratorINSA_10device_ptrIyEEEEPS6_NSA_18transform_iteratorI7is_evenIyESF_NSA_11use_defaultESK_EENS0_5tupleIJSF_NSA_16discard_iteratorISK_EEEEENSM_IJSG_SG_EEES6_PlJS6_EEE10hipError_tPvRmT3_T4_T5_T6_T7_T9_mT8_P12ihipStream_tbDpT10_ENKUlT_T0_E_clISt17integral_constantIbLb0EES1A_IbLb1EEEEDaS16_S17_EUlS16_E_NS1_11comp_targetILNS1_3genE9ELNS1_11target_archE1100ELNS1_3gpuE3ELNS1_3repE0EEENS1_30default_config_static_selectorELNS0_4arch9wavefront6targetE1EEEvT1_
	.p2align	8
	.type	_ZN7rocprim17ROCPRIM_400000_NS6detail17trampoline_kernelINS0_14default_configENS1_25partition_config_selectorILNS1_17partition_subalgoE1EyNS0_10empty_typeEbEEZZNS1_14partition_implILS5_1ELb0ES3_jN6thrust23THRUST_200600_302600_NS6detail15normal_iteratorINSA_10device_ptrIyEEEEPS6_NSA_18transform_iteratorI7is_evenIyESF_NSA_11use_defaultESK_EENS0_5tupleIJSF_NSA_16discard_iteratorISK_EEEEENSM_IJSG_SG_EEES6_PlJS6_EEE10hipError_tPvRmT3_T4_T5_T6_T7_T9_mT8_P12ihipStream_tbDpT10_ENKUlT_T0_E_clISt17integral_constantIbLb0EES1A_IbLb1EEEEDaS16_S17_EUlS16_E_NS1_11comp_targetILNS1_3genE9ELNS1_11target_archE1100ELNS1_3gpuE3ELNS1_3repE0EEENS1_30default_config_static_selectorELNS0_4arch9wavefront6targetE1EEEvT1_,@function
_ZN7rocprim17ROCPRIM_400000_NS6detail17trampoline_kernelINS0_14default_configENS1_25partition_config_selectorILNS1_17partition_subalgoE1EyNS0_10empty_typeEbEEZZNS1_14partition_implILS5_1ELb0ES3_jN6thrust23THRUST_200600_302600_NS6detail15normal_iteratorINSA_10device_ptrIyEEEEPS6_NSA_18transform_iteratorI7is_evenIyESF_NSA_11use_defaultESK_EENS0_5tupleIJSF_NSA_16discard_iteratorISK_EEEEENSM_IJSG_SG_EEES6_PlJS6_EEE10hipError_tPvRmT3_T4_T5_T6_T7_T9_mT8_P12ihipStream_tbDpT10_ENKUlT_T0_E_clISt17integral_constantIbLb0EES1A_IbLb1EEEEDaS16_S17_EUlS16_E_NS1_11comp_targetILNS1_3genE9ELNS1_11target_archE1100ELNS1_3gpuE3ELNS1_3repE0EEENS1_30default_config_static_selectorELNS0_4arch9wavefront6targetE1EEEvT1_: ; @_ZN7rocprim17ROCPRIM_400000_NS6detail17trampoline_kernelINS0_14default_configENS1_25partition_config_selectorILNS1_17partition_subalgoE1EyNS0_10empty_typeEbEEZZNS1_14partition_implILS5_1ELb0ES3_jN6thrust23THRUST_200600_302600_NS6detail15normal_iteratorINSA_10device_ptrIyEEEEPS6_NSA_18transform_iteratorI7is_evenIyESF_NSA_11use_defaultESK_EENS0_5tupleIJSF_NSA_16discard_iteratorISK_EEEEENSM_IJSG_SG_EEES6_PlJS6_EEE10hipError_tPvRmT3_T4_T5_T6_T7_T9_mT8_P12ihipStream_tbDpT10_ENKUlT_T0_E_clISt17integral_constantIbLb0EES1A_IbLb1EEEEDaS16_S17_EUlS16_E_NS1_11comp_targetILNS1_3genE9ELNS1_11target_archE1100ELNS1_3gpuE3ELNS1_3repE0EEENS1_30default_config_static_selectorELNS0_4arch9wavefront6targetE1EEEvT1_
; %bb.0:
	.section	.rodata,"a",@progbits
	.p2align	6, 0x0
	.amdhsa_kernel _ZN7rocprim17ROCPRIM_400000_NS6detail17trampoline_kernelINS0_14default_configENS1_25partition_config_selectorILNS1_17partition_subalgoE1EyNS0_10empty_typeEbEEZZNS1_14partition_implILS5_1ELb0ES3_jN6thrust23THRUST_200600_302600_NS6detail15normal_iteratorINSA_10device_ptrIyEEEEPS6_NSA_18transform_iteratorI7is_evenIyESF_NSA_11use_defaultESK_EENS0_5tupleIJSF_NSA_16discard_iteratorISK_EEEEENSM_IJSG_SG_EEES6_PlJS6_EEE10hipError_tPvRmT3_T4_T5_T6_T7_T9_mT8_P12ihipStream_tbDpT10_ENKUlT_T0_E_clISt17integral_constantIbLb0EES1A_IbLb1EEEEDaS16_S17_EUlS16_E_NS1_11comp_targetILNS1_3genE9ELNS1_11target_archE1100ELNS1_3gpuE3ELNS1_3repE0EEENS1_30default_config_static_selectorELNS0_4arch9wavefront6targetE1EEEvT1_
		.amdhsa_group_segment_fixed_size 0
		.amdhsa_private_segment_fixed_size 0
		.amdhsa_kernarg_size 152
		.amdhsa_user_sgpr_count 6
		.amdhsa_user_sgpr_private_segment_buffer 1
		.amdhsa_user_sgpr_dispatch_ptr 0
		.amdhsa_user_sgpr_queue_ptr 0
		.amdhsa_user_sgpr_kernarg_segment_ptr 1
		.amdhsa_user_sgpr_dispatch_id 0
		.amdhsa_user_sgpr_flat_scratch_init 0
		.amdhsa_user_sgpr_kernarg_preload_length 0
		.amdhsa_user_sgpr_kernarg_preload_offset 0
		.amdhsa_user_sgpr_private_segment_size 0
		.amdhsa_uses_dynamic_stack 0
		.amdhsa_system_sgpr_private_segment_wavefront_offset 0
		.amdhsa_system_sgpr_workgroup_id_x 1
		.amdhsa_system_sgpr_workgroup_id_y 0
		.amdhsa_system_sgpr_workgroup_id_z 0
		.amdhsa_system_sgpr_workgroup_info 0
		.amdhsa_system_vgpr_workitem_id 0
		.amdhsa_next_free_vgpr 1
		.amdhsa_next_free_sgpr 0
		.amdhsa_accum_offset 4
		.amdhsa_reserve_vcc 0
		.amdhsa_reserve_flat_scratch 0
		.amdhsa_float_round_mode_32 0
		.amdhsa_float_round_mode_16_64 0
		.amdhsa_float_denorm_mode_32 3
		.amdhsa_float_denorm_mode_16_64 3
		.amdhsa_dx10_clamp 1
		.amdhsa_ieee_mode 1
		.amdhsa_fp16_overflow 0
		.amdhsa_tg_split 0
		.amdhsa_exception_fp_ieee_invalid_op 0
		.amdhsa_exception_fp_denorm_src 0
		.amdhsa_exception_fp_ieee_div_zero 0
		.amdhsa_exception_fp_ieee_overflow 0
		.amdhsa_exception_fp_ieee_underflow 0
		.amdhsa_exception_fp_ieee_inexact 0
		.amdhsa_exception_int_div_zero 0
	.end_amdhsa_kernel
	.section	.text._ZN7rocprim17ROCPRIM_400000_NS6detail17trampoline_kernelINS0_14default_configENS1_25partition_config_selectorILNS1_17partition_subalgoE1EyNS0_10empty_typeEbEEZZNS1_14partition_implILS5_1ELb0ES3_jN6thrust23THRUST_200600_302600_NS6detail15normal_iteratorINSA_10device_ptrIyEEEEPS6_NSA_18transform_iteratorI7is_evenIyESF_NSA_11use_defaultESK_EENS0_5tupleIJSF_NSA_16discard_iteratorISK_EEEEENSM_IJSG_SG_EEES6_PlJS6_EEE10hipError_tPvRmT3_T4_T5_T6_T7_T9_mT8_P12ihipStream_tbDpT10_ENKUlT_T0_E_clISt17integral_constantIbLb0EES1A_IbLb1EEEEDaS16_S17_EUlS16_E_NS1_11comp_targetILNS1_3genE9ELNS1_11target_archE1100ELNS1_3gpuE3ELNS1_3repE0EEENS1_30default_config_static_selectorELNS0_4arch9wavefront6targetE1EEEvT1_,"axG",@progbits,_ZN7rocprim17ROCPRIM_400000_NS6detail17trampoline_kernelINS0_14default_configENS1_25partition_config_selectorILNS1_17partition_subalgoE1EyNS0_10empty_typeEbEEZZNS1_14partition_implILS5_1ELb0ES3_jN6thrust23THRUST_200600_302600_NS6detail15normal_iteratorINSA_10device_ptrIyEEEEPS6_NSA_18transform_iteratorI7is_evenIyESF_NSA_11use_defaultESK_EENS0_5tupleIJSF_NSA_16discard_iteratorISK_EEEEENSM_IJSG_SG_EEES6_PlJS6_EEE10hipError_tPvRmT3_T4_T5_T6_T7_T9_mT8_P12ihipStream_tbDpT10_ENKUlT_T0_E_clISt17integral_constantIbLb0EES1A_IbLb1EEEEDaS16_S17_EUlS16_E_NS1_11comp_targetILNS1_3genE9ELNS1_11target_archE1100ELNS1_3gpuE3ELNS1_3repE0EEENS1_30default_config_static_selectorELNS0_4arch9wavefront6targetE1EEEvT1_,comdat
.Lfunc_end2937:
	.size	_ZN7rocprim17ROCPRIM_400000_NS6detail17trampoline_kernelINS0_14default_configENS1_25partition_config_selectorILNS1_17partition_subalgoE1EyNS0_10empty_typeEbEEZZNS1_14partition_implILS5_1ELb0ES3_jN6thrust23THRUST_200600_302600_NS6detail15normal_iteratorINSA_10device_ptrIyEEEEPS6_NSA_18transform_iteratorI7is_evenIyESF_NSA_11use_defaultESK_EENS0_5tupleIJSF_NSA_16discard_iteratorISK_EEEEENSM_IJSG_SG_EEES6_PlJS6_EEE10hipError_tPvRmT3_T4_T5_T6_T7_T9_mT8_P12ihipStream_tbDpT10_ENKUlT_T0_E_clISt17integral_constantIbLb0EES1A_IbLb1EEEEDaS16_S17_EUlS16_E_NS1_11comp_targetILNS1_3genE9ELNS1_11target_archE1100ELNS1_3gpuE3ELNS1_3repE0EEENS1_30default_config_static_selectorELNS0_4arch9wavefront6targetE1EEEvT1_, .Lfunc_end2937-_ZN7rocprim17ROCPRIM_400000_NS6detail17trampoline_kernelINS0_14default_configENS1_25partition_config_selectorILNS1_17partition_subalgoE1EyNS0_10empty_typeEbEEZZNS1_14partition_implILS5_1ELb0ES3_jN6thrust23THRUST_200600_302600_NS6detail15normal_iteratorINSA_10device_ptrIyEEEEPS6_NSA_18transform_iteratorI7is_evenIyESF_NSA_11use_defaultESK_EENS0_5tupleIJSF_NSA_16discard_iteratorISK_EEEEENSM_IJSG_SG_EEES6_PlJS6_EEE10hipError_tPvRmT3_T4_T5_T6_T7_T9_mT8_P12ihipStream_tbDpT10_ENKUlT_T0_E_clISt17integral_constantIbLb0EES1A_IbLb1EEEEDaS16_S17_EUlS16_E_NS1_11comp_targetILNS1_3genE9ELNS1_11target_archE1100ELNS1_3gpuE3ELNS1_3repE0EEENS1_30default_config_static_selectorELNS0_4arch9wavefront6targetE1EEEvT1_
                                        ; -- End function
	.section	.AMDGPU.csdata,"",@progbits
; Kernel info:
; codeLenInByte = 0
; NumSgprs: 4
; NumVgprs: 0
; NumAgprs: 0
; TotalNumVgprs: 0
; ScratchSize: 0
; MemoryBound: 0
; FloatMode: 240
; IeeeMode: 1
; LDSByteSize: 0 bytes/workgroup (compile time only)
; SGPRBlocks: 0
; VGPRBlocks: 0
; NumSGPRsForWavesPerEU: 4
; NumVGPRsForWavesPerEU: 1
; AccumOffset: 4
; Occupancy: 8
; WaveLimiterHint : 0
; COMPUTE_PGM_RSRC2:SCRATCH_EN: 0
; COMPUTE_PGM_RSRC2:USER_SGPR: 6
; COMPUTE_PGM_RSRC2:TRAP_HANDLER: 0
; COMPUTE_PGM_RSRC2:TGID_X_EN: 1
; COMPUTE_PGM_RSRC2:TGID_Y_EN: 0
; COMPUTE_PGM_RSRC2:TGID_Z_EN: 0
; COMPUTE_PGM_RSRC2:TIDIG_COMP_CNT: 0
; COMPUTE_PGM_RSRC3_GFX90A:ACCUM_OFFSET: 0
; COMPUTE_PGM_RSRC3_GFX90A:TG_SPLIT: 0
	.section	.text._ZN7rocprim17ROCPRIM_400000_NS6detail17trampoline_kernelINS0_14default_configENS1_25partition_config_selectorILNS1_17partition_subalgoE1EyNS0_10empty_typeEbEEZZNS1_14partition_implILS5_1ELb0ES3_jN6thrust23THRUST_200600_302600_NS6detail15normal_iteratorINSA_10device_ptrIyEEEEPS6_NSA_18transform_iteratorI7is_evenIyESF_NSA_11use_defaultESK_EENS0_5tupleIJSF_NSA_16discard_iteratorISK_EEEEENSM_IJSG_SG_EEES6_PlJS6_EEE10hipError_tPvRmT3_T4_T5_T6_T7_T9_mT8_P12ihipStream_tbDpT10_ENKUlT_T0_E_clISt17integral_constantIbLb0EES1A_IbLb1EEEEDaS16_S17_EUlS16_E_NS1_11comp_targetILNS1_3genE8ELNS1_11target_archE1030ELNS1_3gpuE2ELNS1_3repE0EEENS1_30default_config_static_selectorELNS0_4arch9wavefront6targetE1EEEvT1_,"axG",@progbits,_ZN7rocprim17ROCPRIM_400000_NS6detail17trampoline_kernelINS0_14default_configENS1_25partition_config_selectorILNS1_17partition_subalgoE1EyNS0_10empty_typeEbEEZZNS1_14partition_implILS5_1ELb0ES3_jN6thrust23THRUST_200600_302600_NS6detail15normal_iteratorINSA_10device_ptrIyEEEEPS6_NSA_18transform_iteratorI7is_evenIyESF_NSA_11use_defaultESK_EENS0_5tupleIJSF_NSA_16discard_iteratorISK_EEEEENSM_IJSG_SG_EEES6_PlJS6_EEE10hipError_tPvRmT3_T4_T5_T6_T7_T9_mT8_P12ihipStream_tbDpT10_ENKUlT_T0_E_clISt17integral_constantIbLb0EES1A_IbLb1EEEEDaS16_S17_EUlS16_E_NS1_11comp_targetILNS1_3genE8ELNS1_11target_archE1030ELNS1_3gpuE2ELNS1_3repE0EEENS1_30default_config_static_selectorELNS0_4arch9wavefront6targetE1EEEvT1_,comdat
	.protected	_ZN7rocprim17ROCPRIM_400000_NS6detail17trampoline_kernelINS0_14default_configENS1_25partition_config_selectorILNS1_17partition_subalgoE1EyNS0_10empty_typeEbEEZZNS1_14partition_implILS5_1ELb0ES3_jN6thrust23THRUST_200600_302600_NS6detail15normal_iteratorINSA_10device_ptrIyEEEEPS6_NSA_18transform_iteratorI7is_evenIyESF_NSA_11use_defaultESK_EENS0_5tupleIJSF_NSA_16discard_iteratorISK_EEEEENSM_IJSG_SG_EEES6_PlJS6_EEE10hipError_tPvRmT3_T4_T5_T6_T7_T9_mT8_P12ihipStream_tbDpT10_ENKUlT_T0_E_clISt17integral_constantIbLb0EES1A_IbLb1EEEEDaS16_S17_EUlS16_E_NS1_11comp_targetILNS1_3genE8ELNS1_11target_archE1030ELNS1_3gpuE2ELNS1_3repE0EEENS1_30default_config_static_selectorELNS0_4arch9wavefront6targetE1EEEvT1_ ; -- Begin function _ZN7rocprim17ROCPRIM_400000_NS6detail17trampoline_kernelINS0_14default_configENS1_25partition_config_selectorILNS1_17partition_subalgoE1EyNS0_10empty_typeEbEEZZNS1_14partition_implILS5_1ELb0ES3_jN6thrust23THRUST_200600_302600_NS6detail15normal_iteratorINSA_10device_ptrIyEEEEPS6_NSA_18transform_iteratorI7is_evenIyESF_NSA_11use_defaultESK_EENS0_5tupleIJSF_NSA_16discard_iteratorISK_EEEEENSM_IJSG_SG_EEES6_PlJS6_EEE10hipError_tPvRmT3_T4_T5_T6_T7_T9_mT8_P12ihipStream_tbDpT10_ENKUlT_T0_E_clISt17integral_constantIbLb0EES1A_IbLb1EEEEDaS16_S17_EUlS16_E_NS1_11comp_targetILNS1_3genE8ELNS1_11target_archE1030ELNS1_3gpuE2ELNS1_3repE0EEENS1_30default_config_static_selectorELNS0_4arch9wavefront6targetE1EEEvT1_
	.globl	_ZN7rocprim17ROCPRIM_400000_NS6detail17trampoline_kernelINS0_14default_configENS1_25partition_config_selectorILNS1_17partition_subalgoE1EyNS0_10empty_typeEbEEZZNS1_14partition_implILS5_1ELb0ES3_jN6thrust23THRUST_200600_302600_NS6detail15normal_iteratorINSA_10device_ptrIyEEEEPS6_NSA_18transform_iteratorI7is_evenIyESF_NSA_11use_defaultESK_EENS0_5tupleIJSF_NSA_16discard_iteratorISK_EEEEENSM_IJSG_SG_EEES6_PlJS6_EEE10hipError_tPvRmT3_T4_T5_T6_T7_T9_mT8_P12ihipStream_tbDpT10_ENKUlT_T0_E_clISt17integral_constantIbLb0EES1A_IbLb1EEEEDaS16_S17_EUlS16_E_NS1_11comp_targetILNS1_3genE8ELNS1_11target_archE1030ELNS1_3gpuE2ELNS1_3repE0EEENS1_30default_config_static_selectorELNS0_4arch9wavefront6targetE1EEEvT1_
	.p2align	8
	.type	_ZN7rocprim17ROCPRIM_400000_NS6detail17trampoline_kernelINS0_14default_configENS1_25partition_config_selectorILNS1_17partition_subalgoE1EyNS0_10empty_typeEbEEZZNS1_14partition_implILS5_1ELb0ES3_jN6thrust23THRUST_200600_302600_NS6detail15normal_iteratorINSA_10device_ptrIyEEEEPS6_NSA_18transform_iteratorI7is_evenIyESF_NSA_11use_defaultESK_EENS0_5tupleIJSF_NSA_16discard_iteratorISK_EEEEENSM_IJSG_SG_EEES6_PlJS6_EEE10hipError_tPvRmT3_T4_T5_T6_T7_T9_mT8_P12ihipStream_tbDpT10_ENKUlT_T0_E_clISt17integral_constantIbLb0EES1A_IbLb1EEEEDaS16_S17_EUlS16_E_NS1_11comp_targetILNS1_3genE8ELNS1_11target_archE1030ELNS1_3gpuE2ELNS1_3repE0EEENS1_30default_config_static_selectorELNS0_4arch9wavefront6targetE1EEEvT1_,@function
_ZN7rocprim17ROCPRIM_400000_NS6detail17trampoline_kernelINS0_14default_configENS1_25partition_config_selectorILNS1_17partition_subalgoE1EyNS0_10empty_typeEbEEZZNS1_14partition_implILS5_1ELb0ES3_jN6thrust23THRUST_200600_302600_NS6detail15normal_iteratorINSA_10device_ptrIyEEEEPS6_NSA_18transform_iteratorI7is_evenIyESF_NSA_11use_defaultESK_EENS0_5tupleIJSF_NSA_16discard_iteratorISK_EEEEENSM_IJSG_SG_EEES6_PlJS6_EEE10hipError_tPvRmT3_T4_T5_T6_T7_T9_mT8_P12ihipStream_tbDpT10_ENKUlT_T0_E_clISt17integral_constantIbLb0EES1A_IbLb1EEEEDaS16_S17_EUlS16_E_NS1_11comp_targetILNS1_3genE8ELNS1_11target_archE1030ELNS1_3gpuE2ELNS1_3repE0EEENS1_30default_config_static_selectorELNS0_4arch9wavefront6targetE1EEEvT1_: ; @_ZN7rocprim17ROCPRIM_400000_NS6detail17trampoline_kernelINS0_14default_configENS1_25partition_config_selectorILNS1_17partition_subalgoE1EyNS0_10empty_typeEbEEZZNS1_14partition_implILS5_1ELb0ES3_jN6thrust23THRUST_200600_302600_NS6detail15normal_iteratorINSA_10device_ptrIyEEEEPS6_NSA_18transform_iteratorI7is_evenIyESF_NSA_11use_defaultESK_EENS0_5tupleIJSF_NSA_16discard_iteratorISK_EEEEENSM_IJSG_SG_EEES6_PlJS6_EEE10hipError_tPvRmT3_T4_T5_T6_T7_T9_mT8_P12ihipStream_tbDpT10_ENKUlT_T0_E_clISt17integral_constantIbLb0EES1A_IbLb1EEEEDaS16_S17_EUlS16_E_NS1_11comp_targetILNS1_3genE8ELNS1_11target_archE1030ELNS1_3gpuE2ELNS1_3repE0EEENS1_30default_config_static_selectorELNS0_4arch9wavefront6targetE1EEEvT1_
; %bb.0:
	.section	.rodata,"a",@progbits
	.p2align	6, 0x0
	.amdhsa_kernel _ZN7rocprim17ROCPRIM_400000_NS6detail17trampoline_kernelINS0_14default_configENS1_25partition_config_selectorILNS1_17partition_subalgoE1EyNS0_10empty_typeEbEEZZNS1_14partition_implILS5_1ELb0ES3_jN6thrust23THRUST_200600_302600_NS6detail15normal_iteratorINSA_10device_ptrIyEEEEPS6_NSA_18transform_iteratorI7is_evenIyESF_NSA_11use_defaultESK_EENS0_5tupleIJSF_NSA_16discard_iteratorISK_EEEEENSM_IJSG_SG_EEES6_PlJS6_EEE10hipError_tPvRmT3_T4_T5_T6_T7_T9_mT8_P12ihipStream_tbDpT10_ENKUlT_T0_E_clISt17integral_constantIbLb0EES1A_IbLb1EEEEDaS16_S17_EUlS16_E_NS1_11comp_targetILNS1_3genE8ELNS1_11target_archE1030ELNS1_3gpuE2ELNS1_3repE0EEENS1_30default_config_static_selectorELNS0_4arch9wavefront6targetE1EEEvT1_
		.amdhsa_group_segment_fixed_size 0
		.amdhsa_private_segment_fixed_size 0
		.amdhsa_kernarg_size 152
		.amdhsa_user_sgpr_count 6
		.amdhsa_user_sgpr_private_segment_buffer 1
		.amdhsa_user_sgpr_dispatch_ptr 0
		.amdhsa_user_sgpr_queue_ptr 0
		.amdhsa_user_sgpr_kernarg_segment_ptr 1
		.amdhsa_user_sgpr_dispatch_id 0
		.amdhsa_user_sgpr_flat_scratch_init 0
		.amdhsa_user_sgpr_kernarg_preload_length 0
		.amdhsa_user_sgpr_kernarg_preload_offset 0
		.amdhsa_user_sgpr_private_segment_size 0
		.amdhsa_uses_dynamic_stack 0
		.amdhsa_system_sgpr_private_segment_wavefront_offset 0
		.amdhsa_system_sgpr_workgroup_id_x 1
		.amdhsa_system_sgpr_workgroup_id_y 0
		.amdhsa_system_sgpr_workgroup_id_z 0
		.amdhsa_system_sgpr_workgroup_info 0
		.amdhsa_system_vgpr_workitem_id 0
		.amdhsa_next_free_vgpr 1
		.amdhsa_next_free_sgpr 0
		.amdhsa_accum_offset 4
		.amdhsa_reserve_vcc 0
		.amdhsa_reserve_flat_scratch 0
		.amdhsa_float_round_mode_32 0
		.amdhsa_float_round_mode_16_64 0
		.amdhsa_float_denorm_mode_32 3
		.amdhsa_float_denorm_mode_16_64 3
		.amdhsa_dx10_clamp 1
		.amdhsa_ieee_mode 1
		.amdhsa_fp16_overflow 0
		.amdhsa_tg_split 0
		.amdhsa_exception_fp_ieee_invalid_op 0
		.amdhsa_exception_fp_denorm_src 0
		.amdhsa_exception_fp_ieee_div_zero 0
		.amdhsa_exception_fp_ieee_overflow 0
		.amdhsa_exception_fp_ieee_underflow 0
		.amdhsa_exception_fp_ieee_inexact 0
		.amdhsa_exception_int_div_zero 0
	.end_amdhsa_kernel
	.section	.text._ZN7rocprim17ROCPRIM_400000_NS6detail17trampoline_kernelINS0_14default_configENS1_25partition_config_selectorILNS1_17partition_subalgoE1EyNS0_10empty_typeEbEEZZNS1_14partition_implILS5_1ELb0ES3_jN6thrust23THRUST_200600_302600_NS6detail15normal_iteratorINSA_10device_ptrIyEEEEPS6_NSA_18transform_iteratorI7is_evenIyESF_NSA_11use_defaultESK_EENS0_5tupleIJSF_NSA_16discard_iteratorISK_EEEEENSM_IJSG_SG_EEES6_PlJS6_EEE10hipError_tPvRmT3_T4_T5_T6_T7_T9_mT8_P12ihipStream_tbDpT10_ENKUlT_T0_E_clISt17integral_constantIbLb0EES1A_IbLb1EEEEDaS16_S17_EUlS16_E_NS1_11comp_targetILNS1_3genE8ELNS1_11target_archE1030ELNS1_3gpuE2ELNS1_3repE0EEENS1_30default_config_static_selectorELNS0_4arch9wavefront6targetE1EEEvT1_,"axG",@progbits,_ZN7rocprim17ROCPRIM_400000_NS6detail17trampoline_kernelINS0_14default_configENS1_25partition_config_selectorILNS1_17partition_subalgoE1EyNS0_10empty_typeEbEEZZNS1_14partition_implILS5_1ELb0ES3_jN6thrust23THRUST_200600_302600_NS6detail15normal_iteratorINSA_10device_ptrIyEEEEPS6_NSA_18transform_iteratorI7is_evenIyESF_NSA_11use_defaultESK_EENS0_5tupleIJSF_NSA_16discard_iteratorISK_EEEEENSM_IJSG_SG_EEES6_PlJS6_EEE10hipError_tPvRmT3_T4_T5_T6_T7_T9_mT8_P12ihipStream_tbDpT10_ENKUlT_T0_E_clISt17integral_constantIbLb0EES1A_IbLb1EEEEDaS16_S17_EUlS16_E_NS1_11comp_targetILNS1_3genE8ELNS1_11target_archE1030ELNS1_3gpuE2ELNS1_3repE0EEENS1_30default_config_static_selectorELNS0_4arch9wavefront6targetE1EEEvT1_,comdat
.Lfunc_end2938:
	.size	_ZN7rocprim17ROCPRIM_400000_NS6detail17trampoline_kernelINS0_14default_configENS1_25partition_config_selectorILNS1_17partition_subalgoE1EyNS0_10empty_typeEbEEZZNS1_14partition_implILS5_1ELb0ES3_jN6thrust23THRUST_200600_302600_NS6detail15normal_iteratorINSA_10device_ptrIyEEEEPS6_NSA_18transform_iteratorI7is_evenIyESF_NSA_11use_defaultESK_EENS0_5tupleIJSF_NSA_16discard_iteratorISK_EEEEENSM_IJSG_SG_EEES6_PlJS6_EEE10hipError_tPvRmT3_T4_T5_T6_T7_T9_mT8_P12ihipStream_tbDpT10_ENKUlT_T0_E_clISt17integral_constantIbLb0EES1A_IbLb1EEEEDaS16_S17_EUlS16_E_NS1_11comp_targetILNS1_3genE8ELNS1_11target_archE1030ELNS1_3gpuE2ELNS1_3repE0EEENS1_30default_config_static_selectorELNS0_4arch9wavefront6targetE1EEEvT1_, .Lfunc_end2938-_ZN7rocprim17ROCPRIM_400000_NS6detail17trampoline_kernelINS0_14default_configENS1_25partition_config_selectorILNS1_17partition_subalgoE1EyNS0_10empty_typeEbEEZZNS1_14partition_implILS5_1ELb0ES3_jN6thrust23THRUST_200600_302600_NS6detail15normal_iteratorINSA_10device_ptrIyEEEEPS6_NSA_18transform_iteratorI7is_evenIyESF_NSA_11use_defaultESK_EENS0_5tupleIJSF_NSA_16discard_iteratorISK_EEEEENSM_IJSG_SG_EEES6_PlJS6_EEE10hipError_tPvRmT3_T4_T5_T6_T7_T9_mT8_P12ihipStream_tbDpT10_ENKUlT_T0_E_clISt17integral_constantIbLb0EES1A_IbLb1EEEEDaS16_S17_EUlS16_E_NS1_11comp_targetILNS1_3genE8ELNS1_11target_archE1030ELNS1_3gpuE2ELNS1_3repE0EEENS1_30default_config_static_selectorELNS0_4arch9wavefront6targetE1EEEvT1_
                                        ; -- End function
	.section	.AMDGPU.csdata,"",@progbits
; Kernel info:
; codeLenInByte = 0
; NumSgprs: 4
; NumVgprs: 0
; NumAgprs: 0
; TotalNumVgprs: 0
; ScratchSize: 0
; MemoryBound: 0
; FloatMode: 240
; IeeeMode: 1
; LDSByteSize: 0 bytes/workgroup (compile time only)
; SGPRBlocks: 0
; VGPRBlocks: 0
; NumSGPRsForWavesPerEU: 4
; NumVGPRsForWavesPerEU: 1
; AccumOffset: 4
; Occupancy: 8
; WaveLimiterHint : 0
; COMPUTE_PGM_RSRC2:SCRATCH_EN: 0
; COMPUTE_PGM_RSRC2:USER_SGPR: 6
; COMPUTE_PGM_RSRC2:TRAP_HANDLER: 0
; COMPUTE_PGM_RSRC2:TGID_X_EN: 1
; COMPUTE_PGM_RSRC2:TGID_Y_EN: 0
; COMPUTE_PGM_RSRC2:TGID_Z_EN: 0
; COMPUTE_PGM_RSRC2:TIDIG_COMP_CNT: 0
; COMPUTE_PGM_RSRC3_GFX90A:ACCUM_OFFSET: 0
; COMPUTE_PGM_RSRC3_GFX90A:TG_SPLIT: 0
	.section	.text._ZN7rocprim17ROCPRIM_400000_NS6detail17trampoline_kernelINS0_14default_configENS1_25partition_config_selectorILNS1_17partition_subalgoE1EyNS0_10empty_typeEbEEZZNS1_14partition_implILS5_1ELb0ES3_jN6thrust23THRUST_200600_302600_NS6detail15normal_iteratorINSA_10device_ptrIyEEEEPS6_NSA_18transform_iteratorI7is_evenIyESF_NSA_11use_defaultESK_EENS0_5tupleIJNSA_16discard_iteratorISK_EESF_EEENSM_IJSG_SG_EEES6_PlJS6_EEE10hipError_tPvRmT3_T4_T5_T6_T7_T9_mT8_P12ihipStream_tbDpT10_ENKUlT_T0_E_clISt17integral_constantIbLb0EES1B_EEDaS16_S17_EUlS16_E_NS1_11comp_targetILNS1_3genE0ELNS1_11target_archE4294967295ELNS1_3gpuE0ELNS1_3repE0EEENS1_30default_config_static_selectorELNS0_4arch9wavefront6targetE1EEEvT1_,"axG",@progbits,_ZN7rocprim17ROCPRIM_400000_NS6detail17trampoline_kernelINS0_14default_configENS1_25partition_config_selectorILNS1_17partition_subalgoE1EyNS0_10empty_typeEbEEZZNS1_14partition_implILS5_1ELb0ES3_jN6thrust23THRUST_200600_302600_NS6detail15normal_iteratorINSA_10device_ptrIyEEEEPS6_NSA_18transform_iteratorI7is_evenIyESF_NSA_11use_defaultESK_EENS0_5tupleIJNSA_16discard_iteratorISK_EESF_EEENSM_IJSG_SG_EEES6_PlJS6_EEE10hipError_tPvRmT3_T4_T5_T6_T7_T9_mT8_P12ihipStream_tbDpT10_ENKUlT_T0_E_clISt17integral_constantIbLb0EES1B_EEDaS16_S17_EUlS16_E_NS1_11comp_targetILNS1_3genE0ELNS1_11target_archE4294967295ELNS1_3gpuE0ELNS1_3repE0EEENS1_30default_config_static_selectorELNS0_4arch9wavefront6targetE1EEEvT1_,comdat
	.protected	_ZN7rocprim17ROCPRIM_400000_NS6detail17trampoline_kernelINS0_14default_configENS1_25partition_config_selectorILNS1_17partition_subalgoE1EyNS0_10empty_typeEbEEZZNS1_14partition_implILS5_1ELb0ES3_jN6thrust23THRUST_200600_302600_NS6detail15normal_iteratorINSA_10device_ptrIyEEEEPS6_NSA_18transform_iteratorI7is_evenIyESF_NSA_11use_defaultESK_EENS0_5tupleIJNSA_16discard_iteratorISK_EESF_EEENSM_IJSG_SG_EEES6_PlJS6_EEE10hipError_tPvRmT3_T4_T5_T6_T7_T9_mT8_P12ihipStream_tbDpT10_ENKUlT_T0_E_clISt17integral_constantIbLb0EES1B_EEDaS16_S17_EUlS16_E_NS1_11comp_targetILNS1_3genE0ELNS1_11target_archE4294967295ELNS1_3gpuE0ELNS1_3repE0EEENS1_30default_config_static_selectorELNS0_4arch9wavefront6targetE1EEEvT1_ ; -- Begin function _ZN7rocprim17ROCPRIM_400000_NS6detail17trampoline_kernelINS0_14default_configENS1_25partition_config_selectorILNS1_17partition_subalgoE1EyNS0_10empty_typeEbEEZZNS1_14partition_implILS5_1ELb0ES3_jN6thrust23THRUST_200600_302600_NS6detail15normal_iteratorINSA_10device_ptrIyEEEEPS6_NSA_18transform_iteratorI7is_evenIyESF_NSA_11use_defaultESK_EENS0_5tupleIJNSA_16discard_iteratorISK_EESF_EEENSM_IJSG_SG_EEES6_PlJS6_EEE10hipError_tPvRmT3_T4_T5_T6_T7_T9_mT8_P12ihipStream_tbDpT10_ENKUlT_T0_E_clISt17integral_constantIbLb0EES1B_EEDaS16_S17_EUlS16_E_NS1_11comp_targetILNS1_3genE0ELNS1_11target_archE4294967295ELNS1_3gpuE0ELNS1_3repE0EEENS1_30default_config_static_selectorELNS0_4arch9wavefront6targetE1EEEvT1_
	.globl	_ZN7rocprim17ROCPRIM_400000_NS6detail17trampoline_kernelINS0_14default_configENS1_25partition_config_selectorILNS1_17partition_subalgoE1EyNS0_10empty_typeEbEEZZNS1_14partition_implILS5_1ELb0ES3_jN6thrust23THRUST_200600_302600_NS6detail15normal_iteratorINSA_10device_ptrIyEEEEPS6_NSA_18transform_iteratorI7is_evenIyESF_NSA_11use_defaultESK_EENS0_5tupleIJNSA_16discard_iteratorISK_EESF_EEENSM_IJSG_SG_EEES6_PlJS6_EEE10hipError_tPvRmT3_T4_T5_T6_T7_T9_mT8_P12ihipStream_tbDpT10_ENKUlT_T0_E_clISt17integral_constantIbLb0EES1B_EEDaS16_S17_EUlS16_E_NS1_11comp_targetILNS1_3genE0ELNS1_11target_archE4294967295ELNS1_3gpuE0ELNS1_3repE0EEENS1_30default_config_static_selectorELNS0_4arch9wavefront6targetE1EEEvT1_
	.p2align	8
	.type	_ZN7rocprim17ROCPRIM_400000_NS6detail17trampoline_kernelINS0_14default_configENS1_25partition_config_selectorILNS1_17partition_subalgoE1EyNS0_10empty_typeEbEEZZNS1_14partition_implILS5_1ELb0ES3_jN6thrust23THRUST_200600_302600_NS6detail15normal_iteratorINSA_10device_ptrIyEEEEPS6_NSA_18transform_iteratorI7is_evenIyESF_NSA_11use_defaultESK_EENS0_5tupleIJNSA_16discard_iteratorISK_EESF_EEENSM_IJSG_SG_EEES6_PlJS6_EEE10hipError_tPvRmT3_T4_T5_T6_T7_T9_mT8_P12ihipStream_tbDpT10_ENKUlT_T0_E_clISt17integral_constantIbLb0EES1B_EEDaS16_S17_EUlS16_E_NS1_11comp_targetILNS1_3genE0ELNS1_11target_archE4294967295ELNS1_3gpuE0ELNS1_3repE0EEENS1_30default_config_static_selectorELNS0_4arch9wavefront6targetE1EEEvT1_,@function
_ZN7rocprim17ROCPRIM_400000_NS6detail17trampoline_kernelINS0_14default_configENS1_25partition_config_selectorILNS1_17partition_subalgoE1EyNS0_10empty_typeEbEEZZNS1_14partition_implILS5_1ELb0ES3_jN6thrust23THRUST_200600_302600_NS6detail15normal_iteratorINSA_10device_ptrIyEEEEPS6_NSA_18transform_iteratorI7is_evenIyESF_NSA_11use_defaultESK_EENS0_5tupleIJNSA_16discard_iteratorISK_EESF_EEENSM_IJSG_SG_EEES6_PlJS6_EEE10hipError_tPvRmT3_T4_T5_T6_T7_T9_mT8_P12ihipStream_tbDpT10_ENKUlT_T0_E_clISt17integral_constantIbLb0EES1B_EEDaS16_S17_EUlS16_E_NS1_11comp_targetILNS1_3genE0ELNS1_11target_archE4294967295ELNS1_3gpuE0ELNS1_3repE0EEENS1_30default_config_static_selectorELNS0_4arch9wavefront6targetE1EEEvT1_: ; @_ZN7rocprim17ROCPRIM_400000_NS6detail17trampoline_kernelINS0_14default_configENS1_25partition_config_selectorILNS1_17partition_subalgoE1EyNS0_10empty_typeEbEEZZNS1_14partition_implILS5_1ELb0ES3_jN6thrust23THRUST_200600_302600_NS6detail15normal_iteratorINSA_10device_ptrIyEEEEPS6_NSA_18transform_iteratorI7is_evenIyESF_NSA_11use_defaultESK_EENS0_5tupleIJNSA_16discard_iteratorISK_EESF_EEENSM_IJSG_SG_EEES6_PlJS6_EEE10hipError_tPvRmT3_T4_T5_T6_T7_T9_mT8_P12ihipStream_tbDpT10_ENKUlT_T0_E_clISt17integral_constantIbLb0EES1B_EEDaS16_S17_EUlS16_E_NS1_11comp_targetILNS1_3genE0ELNS1_11target_archE4294967295ELNS1_3gpuE0ELNS1_3repE0EEENS1_30default_config_static_selectorELNS0_4arch9wavefront6targetE1EEEvT1_
; %bb.0:
	.section	.rodata,"a",@progbits
	.p2align	6, 0x0
	.amdhsa_kernel _ZN7rocprim17ROCPRIM_400000_NS6detail17trampoline_kernelINS0_14default_configENS1_25partition_config_selectorILNS1_17partition_subalgoE1EyNS0_10empty_typeEbEEZZNS1_14partition_implILS5_1ELb0ES3_jN6thrust23THRUST_200600_302600_NS6detail15normal_iteratorINSA_10device_ptrIyEEEEPS6_NSA_18transform_iteratorI7is_evenIyESF_NSA_11use_defaultESK_EENS0_5tupleIJNSA_16discard_iteratorISK_EESF_EEENSM_IJSG_SG_EEES6_PlJS6_EEE10hipError_tPvRmT3_T4_T5_T6_T7_T9_mT8_P12ihipStream_tbDpT10_ENKUlT_T0_E_clISt17integral_constantIbLb0EES1B_EEDaS16_S17_EUlS16_E_NS1_11comp_targetILNS1_3genE0ELNS1_11target_archE4294967295ELNS1_3gpuE0ELNS1_3repE0EEENS1_30default_config_static_selectorELNS0_4arch9wavefront6targetE1EEEvT1_
		.amdhsa_group_segment_fixed_size 0
		.amdhsa_private_segment_fixed_size 0
		.amdhsa_kernarg_size 136
		.amdhsa_user_sgpr_count 6
		.amdhsa_user_sgpr_private_segment_buffer 1
		.amdhsa_user_sgpr_dispatch_ptr 0
		.amdhsa_user_sgpr_queue_ptr 0
		.amdhsa_user_sgpr_kernarg_segment_ptr 1
		.amdhsa_user_sgpr_dispatch_id 0
		.amdhsa_user_sgpr_flat_scratch_init 0
		.amdhsa_user_sgpr_kernarg_preload_length 0
		.amdhsa_user_sgpr_kernarg_preload_offset 0
		.amdhsa_user_sgpr_private_segment_size 0
		.amdhsa_uses_dynamic_stack 0
		.amdhsa_system_sgpr_private_segment_wavefront_offset 0
		.amdhsa_system_sgpr_workgroup_id_x 1
		.amdhsa_system_sgpr_workgroup_id_y 0
		.amdhsa_system_sgpr_workgroup_id_z 0
		.amdhsa_system_sgpr_workgroup_info 0
		.amdhsa_system_vgpr_workitem_id 0
		.amdhsa_next_free_vgpr 1
		.amdhsa_next_free_sgpr 0
		.amdhsa_accum_offset 4
		.amdhsa_reserve_vcc 0
		.amdhsa_reserve_flat_scratch 0
		.amdhsa_float_round_mode_32 0
		.amdhsa_float_round_mode_16_64 0
		.amdhsa_float_denorm_mode_32 3
		.amdhsa_float_denorm_mode_16_64 3
		.amdhsa_dx10_clamp 1
		.amdhsa_ieee_mode 1
		.amdhsa_fp16_overflow 0
		.amdhsa_tg_split 0
		.amdhsa_exception_fp_ieee_invalid_op 0
		.amdhsa_exception_fp_denorm_src 0
		.amdhsa_exception_fp_ieee_div_zero 0
		.amdhsa_exception_fp_ieee_overflow 0
		.amdhsa_exception_fp_ieee_underflow 0
		.amdhsa_exception_fp_ieee_inexact 0
		.amdhsa_exception_int_div_zero 0
	.end_amdhsa_kernel
	.section	.text._ZN7rocprim17ROCPRIM_400000_NS6detail17trampoline_kernelINS0_14default_configENS1_25partition_config_selectorILNS1_17partition_subalgoE1EyNS0_10empty_typeEbEEZZNS1_14partition_implILS5_1ELb0ES3_jN6thrust23THRUST_200600_302600_NS6detail15normal_iteratorINSA_10device_ptrIyEEEEPS6_NSA_18transform_iteratorI7is_evenIyESF_NSA_11use_defaultESK_EENS0_5tupleIJNSA_16discard_iteratorISK_EESF_EEENSM_IJSG_SG_EEES6_PlJS6_EEE10hipError_tPvRmT3_T4_T5_T6_T7_T9_mT8_P12ihipStream_tbDpT10_ENKUlT_T0_E_clISt17integral_constantIbLb0EES1B_EEDaS16_S17_EUlS16_E_NS1_11comp_targetILNS1_3genE0ELNS1_11target_archE4294967295ELNS1_3gpuE0ELNS1_3repE0EEENS1_30default_config_static_selectorELNS0_4arch9wavefront6targetE1EEEvT1_,"axG",@progbits,_ZN7rocprim17ROCPRIM_400000_NS6detail17trampoline_kernelINS0_14default_configENS1_25partition_config_selectorILNS1_17partition_subalgoE1EyNS0_10empty_typeEbEEZZNS1_14partition_implILS5_1ELb0ES3_jN6thrust23THRUST_200600_302600_NS6detail15normal_iteratorINSA_10device_ptrIyEEEEPS6_NSA_18transform_iteratorI7is_evenIyESF_NSA_11use_defaultESK_EENS0_5tupleIJNSA_16discard_iteratorISK_EESF_EEENSM_IJSG_SG_EEES6_PlJS6_EEE10hipError_tPvRmT3_T4_T5_T6_T7_T9_mT8_P12ihipStream_tbDpT10_ENKUlT_T0_E_clISt17integral_constantIbLb0EES1B_EEDaS16_S17_EUlS16_E_NS1_11comp_targetILNS1_3genE0ELNS1_11target_archE4294967295ELNS1_3gpuE0ELNS1_3repE0EEENS1_30default_config_static_selectorELNS0_4arch9wavefront6targetE1EEEvT1_,comdat
.Lfunc_end2939:
	.size	_ZN7rocprim17ROCPRIM_400000_NS6detail17trampoline_kernelINS0_14default_configENS1_25partition_config_selectorILNS1_17partition_subalgoE1EyNS0_10empty_typeEbEEZZNS1_14partition_implILS5_1ELb0ES3_jN6thrust23THRUST_200600_302600_NS6detail15normal_iteratorINSA_10device_ptrIyEEEEPS6_NSA_18transform_iteratorI7is_evenIyESF_NSA_11use_defaultESK_EENS0_5tupleIJNSA_16discard_iteratorISK_EESF_EEENSM_IJSG_SG_EEES6_PlJS6_EEE10hipError_tPvRmT3_T4_T5_T6_T7_T9_mT8_P12ihipStream_tbDpT10_ENKUlT_T0_E_clISt17integral_constantIbLb0EES1B_EEDaS16_S17_EUlS16_E_NS1_11comp_targetILNS1_3genE0ELNS1_11target_archE4294967295ELNS1_3gpuE0ELNS1_3repE0EEENS1_30default_config_static_selectorELNS0_4arch9wavefront6targetE1EEEvT1_, .Lfunc_end2939-_ZN7rocprim17ROCPRIM_400000_NS6detail17trampoline_kernelINS0_14default_configENS1_25partition_config_selectorILNS1_17partition_subalgoE1EyNS0_10empty_typeEbEEZZNS1_14partition_implILS5_1ELb0ES3_jN6thrust23THRUST_200600_302600_NS6detail15normal_iteratorINSA_10device_ptrIyEEEEPS6_NSA_18transform_iteratorI7is_evenIyESF_NSA_11use_defaultESK_EENS0_5tupleIJNSA_16discard_iteratorISK_EESF_EEENSM_IJSG_SG_EEES6_PlJS6_EEE10hipError_tPvRmT3_T4_T5_T6_T7_T9_mT8_P12ihipStream_tbDpT10_ENKUlT_T0_E_clISt17integral_constantIbLb0EES1B_EEDaS16_S17_EUlS16_E_NS1_11comp_targetILNS1_3genE0ELNS1_11target_archE4294967295ELNS1_3gpuE0ELNS1_3repE0EEENS1_30default_config_static_selectorELNS0_4arch9wavefront6targetE1EEEvT1_
                                        ; -- End function
	.section	.AMDGPU.csdata,"",@progbits
; Kernel info:
; codeLenInByte = 0
; NumSgprs: 4
; NumVgprs: 0
; NumAgprs: 0
; TotalNumVgprs: 0
; ScratchSize: 0
; MemoryBound: 0
; FloatMode: 240
; IeeeMode: 1
; LDSByteSize: 0 bytes/workgroup (compile time only)
; SGPRBlocks: 0
; VGPRBlocks: 0
; NumSGPRsForWavesPerEU: 4
; NumVGPRsForWavesPerEU: 1
; AccumOffset: 4
; Occupancy: 8
; WaveLimiterHint : 0
; COMPUTE_PGM_RSRC2:SCRATCH_EN: 0
; COMPUTE_PGM_RSRC2:USER_SGPR: 6
; COMPUTE_PGM_RSRC2:TRAP_HANDLER: 0
; COMPUTE_PGM_RSRC2:TGID_X_EN: 1
; COMPUTE_PGM_RSRC2:TGID_Y_EN: 0
; COMPUTE_PGM_RSRC2:TGID_Z_EN: 0
; COMPUTE_PGM_RSRC2:TIDIG_COMP_CNT: 0
; COMPUTE_PGM_RSRC3_GFX90A:ACCUM_OFFSET: 0
; COMPUTE_PGM_RSRC3_GFX90A:TG_SPLIT: 0
	.section	.text._ZN7rocprim17ROCPRIM_400000_NS6detail17trampoline_kernelINS0_14default_configENS1_25partition_config_selectorILNS1_17partition_subalgoE1EyNS0_10empty_typeEbEEZZNS1_14partition_implILS5_1ELb0ES3_jN6thrust23THRUST_200600_302600_NS6detail15normal_iteratorINSA_10device_ptrIyEEEEPS6_NSA_18transform_iteratorI7is_evenIyESF_NSA_11use_defaultESK_EENS0_5tupleIJNSA_16discard_iteratorISK_EESF_EEENSM_IJSG_SG_EEES6_PlJS6_EEE10hipError_tPvRmT3_T4_T5_T6_T7_T9_mT8_P12ihipStream_tbDpT10_ENKUlT_T0_E_clISt17integral_constantIbLb0EES1B_EEDaS16_S17_EUlS16_E_NS1_11comp_targetILNS1_3genE5ELNS1_11target_archE942ELNS1_3gpuE9ELNS1_3repE0EEENS1_30default_config_static_selectorELNS0_4arch9wavefront6targetE1EEEvT1_,"axG",@progbits,_ZN7rocprim17ROCPRIM_400000_NS6detail17trampoline_kernelINS0_14default_configENS1_25partition_config_selectorILNS1_17partition_subalgoE1EyNS0_10empty_typeEbEEZZNS1_14partition_implILS5_1ELb0ES3_jN6thrust23THRUST_200600_302600_NS6detail15normal_iteratorINSA_10device_ptrIyEEEEPS6_NSA_18transform_iteratorI7is_evenIyESF_NSA_11use_defaultESK_EENS0_5tupleIJNSA_16discard_iteratorISK_EESF_EEENSM_IJSG_SG_EEES6_PlJS6_EEE10hipError_tPvRmT3_T4_T5_T6_T7_T9_mT8_P12ihipStream_tbDpT10_ENKUlT_T0_E_clISt17integral_constantIbLb0EES1B_EEDaS16_S17_EUlS16_E_NS1_11comp_targetILNS1_3genE5ELNS1_11target_archE942ELNS1_3gpuE9ELNS1_3repE0EEENS1_30default_config_static_selectorELNS0_4arch9wavefront6targetE1EEEvT1_,comdat
	.protected	_ZN7rocprim17ROCPRIM_400000_NS6detail17trampoline_kernelINS0_14default_configENS1_25partition_config_selectorILNS1_17partition_subalgoE1EyNS0_10empty_typeEbEEZZNS1_14partition_implILS5_1ELb0ES3_jN6thrust23THRUST_200600_302600_NS6detail15normal_iteratorINSA_10device_ptrIyEEEEPS6_NSA_18transform_iteratorI7is_evenIyESF_NSA_11use_defaultESK_EENS0_5tupleIJNSA_16discard_iteratorISK_EESF_EEENSM_IJSG_SG_EEES6_PlJS6_EEE10hipError_tPvRmT3_T4_T5_T6_T7_T9_mT8_P12ihipStream_tbDpT10_ENKUlT_T0_E_clISt17integral_constantIbLb0EES1B_EEDaS16_S17_EUlS16_E_NS1_11comp_targetILNS1_3genE5ELNS1_11target_archE942ELNS1_3gpuE9ELNS1_3repE0EEENS1_30default_config_static_selectorELNS0_4arch9wavefront6targetE1EEEvT1_ ; -- Begin function _ZN7rocprim17ROCPRIM_400000_NS6detail17trampoline_kernelINS0_14default_configENS1_25partition_config_selectorILNS1_17partition_subalgoE1EyNS0_10empty_typeEbEEZZNS1_14partition_implILS5_1ELb0ES3_jN6thrust23THRUST_200600_302600_NS6detail15normal_iteratorINSA_10device_ptrIyEEEEPS6_NSA_18transform_iteratorI7is_evenIyESF_NSA_11use_defaultESK_EENS0_5tupleIJNSA_16discard_iteratorISK_EESF_EEENSM_IJSG_SG_EEES6_PlJS6_EEE10hipError_tPvRmT3_T4_T5_T6_T7_T9_mT8_P12ihipStream_tbDpT10_ENKUlT_T0_E_clISt17integral_constantIbLb0EES1B_EEDaS16_S17_EUlS16_E_NS1_11comp_targetILNS1_3genE5ELNS1_11target_archE942ELNS1_3gpuE9ELNS1_3repE0EEENS1_30default_config_static_selectorELNS0_4arch9wavefront6targetE1EEEvT1_
	.globl	_ZN7rocprim17ROCPRIM_400000_NS6detail17trampoline_kernelINS0_14default_configENS1_25partition_config_selectorILNS1_17partition_subalgoE1EyNS0_10empty_typeEbEEZZNS1_14partition_implILS5_1ELb0ES3_jN6thrust23THRUST_200600_302600_NS6detail15normal_iteratorINSA_10device_ptrIyEEEEPS6_NSA_18transform_iteratorI7is_evenIyESF_NSA_11use_defaultESK_EENS0_5tupleIJNSA_16discard_iteratorISK_EESF_EEENSM_IJSG_SG_EEES6_PlJS6_EEE10hipError_tPvRmT3_T4_T5_T6_T7_T9_mT8_P12ihipStream_tbDpT10_ENKUlT_T0_E_clISt17integral_constantIbLb0EES1B_EEDaS16_S17_EUlS16_E_NS1_11comp_targetILNS1_3genE5ELNS1_11target_archE942ELNS1_3gpuE9ELNS1_3repE0EEENS1_30default_config_static_selectorELNS0_4arch9wavefront6targetE1EEEvT1_
	.p2align	8
	.type	_ZN7rocprim17ROCPRIM_400000_NS6detail17trampoline_kernelINS0_14default_configENS1_25partition_config_selectorILNS1_17partition_subalgoE1EyNS0_10empty_typeEbEEZZNS1_14partition_implILS5_1ELb0ES3_jN6thrust23THRUST_200600_302600_NS6detail15normal_iteratorINSA_10device_ptrIyEEEEPS6_NSA_18transform_iteratorI7is_evenIyESF_NSA_11use_defaultESK_EENS0_5tupleIJNSA_16discard_iteratorISK_EESF_EEENSM_IJSG_SG_EEES6_PlJS6_EEE10hipError_tPvRmT3_T4_T5_T6_T7_T9_mT8_P12ihipStream_tbDpT10_ENKUlT_T0_E_clISt17integral_constantIbLb0EES1B_EEDaS16_S17_EUlS16_E_NS1_11comp_targetILNS1_3genE5ELNS1_11target_archE942ELNS1_3gpuE9ELNS1_3repE0EEENS1_30default_config_static_selectorELNS0_4arch9wavefront6targetE1EEEvT1_,@function
_ZN7rocprim17ROCPRIM_400000_NS6detail17trampoline_kernelINS0_14default_configENS1_25partition_config_selectorILNS1_17partition_subalgoE1EyNS0_10empty_typeEbEEZZNS1_14partition_implILS5_1ELb0ES3_jN6thrust23THRUST_200600_302600_NS6detail15normal_iteratorINSA_10device_ptrIyEEEEPS6_NSA_18transform_iteratorI7is_evenIyESF_NSA_11use_defaultESK_EENS0_5tupleIJNSA_16discard_iteratorISK_EESF_EEENSM_IJSG_SG_EEES6_PlJS6_EEE10hipError_tPvRmT3_T4_T5_T6_T7_T9_mT8_P12ihipStream_tbDpT10_ENKUlT_T0_E_clISt17integral_constantIbLb0EES1B_EEDaS16_S17_EUlS16_E_NS1_11comp_targetILNS1_3genE5ELNS1_11target_archE942ELNS1_3gpuE9ELNS1_3repE0EEENS1_30default_config_static_selectorELNS0_4arch9wavefront6targetE1EEEvT1_: ; @_ZN7rocprim17ROCPRIM_400000_NS6detail17trampoline_kernelINS0_14default_configENS1_25partition_config_selectorILNS1_17partition_subalgoE1EyNS0_10empty_typeEbEEZZNS1_14partition_implILS5_1ELb0ES3_jN6thrust23THRUST_200600_302600_NS6detail15normal_iteratorINSA_10device_ptrIyEEEEPS6_NSA_18transform_iteratorI7is_evenIyESF_NSA_11use_defaultESK_EENS0_5tupleIJNSA_16discard_iteratorISK_EESF_EEENSM_IJSG_SG_EEES6_PlJS6_EEE10hipError_tPvRmT3_T4_T5_T6_T7_T9_mT8_P12ihipStream_tbDpT10_ENKUlT_T0_E_clISt17integral_constantIbLb0EES1B_EEDaS16_S17_EUlS16_E_NS1_11comp_targetILNS1_3genE5ELNS1_11target_archE942ELNS1_3gpuE9ELNS1_3repE0EEENS1_30default_config_static_selectorELNS0_4arch9wavefront6targetE1EEEvT1_
; %bb.0:
	.section	.rodata,"a",@progbits
	.p2align	6, 0x0
	.amdhsa_kernel _ZN7rocprim17ROCPRIM_400000_NS6detail17trampoline_kernelINS0_14default_configENS1_25partition_config_selectorILNS1_17partition_subalgoE1EyNS0_10empty_typeEbEEZZNS1_14partition_implILS5_1ELb0ES3_jN6thrust23THRUST_200600_302600_NS6detail15normal_iteratorINSA_10device_ptrIyEEEEPS6_NSA_18transform_iteratorI7is_evenIyESF_NSA_11use_defaultESK_EENS0_5tupleIJNSA_16discard_iteratorISK_EESF_EEENSM_IJSG_SG_EEES6_PlJS6_EEE10hipError_tPvRmT3_T4_T5_T6_T7_T9_mT8_P12ihipStream_tbDpT10_ENKUlT_T0_E_clISt17integral_constantIbLb0EES1B_EEDaS16_S17_EUlS16_E_NS1_11comp_targetILNS1_3genE5ELNS1_11target_archE942ELNS1_3gpuE9ELNS1_3repE0EEENS1_30default_config_static_selectorELNS0_4arch9wavefront6targetE1EEEvT1_
		.amdhsa_group_segment_fixed_size 0
		.amdhsa_private_segment_fixed_size 0
		.amdhsa_kernarg_size 136
		.amdhsa_user_sgpr_count 6
		.amdhsa_user_sgpr_private_segment_buffer 1
		.amdhsa_user_sgpr_dispatch_ptr 0
		.amdhsa_user_sgpr_queue_ptr 0
		.amdhsa_user_sgpr_kernarg_segment_ptr 1
		.amdhsa_user_sgpr_dispatch_id 0
		.amdhsa_user_sgpr_flat_scratch_init 0
		.amdhsa_user_sgpr_kernarg_preload_length 0
		.amdhsa_user_sgpr_kernarg_preload_offset 0
		.amdhsa_user_sgpr_private_segment_size 0
		.amdhsa_uses_dynamic_stack 0
		.amdhsa_system_sgpr_private_segment_wavefront_offset 0
		.amdhsa_system_sgpr_workgroup_id_x 1
		.amdhsa_system_sgpr_workgroup_id_y 0
		.amdhsa_system_sgpr_workgroup_id_z 0
		.amdhsa_system_sgpr_workgroup_info 0
		.amdhsa_system_vgpr_workitem_id 0
		.amdhsa_next_free_vgpr 1
		.amdhsa_next_free_sgpr 0
		.amdhsa_accum_offset 4
		.amdhsa_reserve_vcc 0
		.amdhsa_reserve_flat_scratch 0
		.amdhsa_float_round_mode_32 0
		.amdhsa_float_round_mode_16_64 0
		.amdhsa_float_denorm_mode_32 3
		.amdhsa_float_denorm_mode_16_64 3
		.amdhsa_dx10_clamp 1
		.amdhsa_ieee_mode 1
		.amdhsa_fp16_overflow 0
		.amdhsa_tg_split 0
		.amdhsa_exception_fp_ieee_invalid_op 0
		.amdhsa_exception_fp_denorm_src 0
		.amdhsa_exception_fp_ieee_div_zero 0
		.amdhsa_exception_fp_ieee_overflow 0
		.amdhsa_exception_fp_ieee_underflow 0
		.amdhsa_exception_fp_ieee_inexact 0
		.amdhsa_exception_int_div_zero 0
	.end_amdhsa_kernel
	.section	.text._ZN7rocprim17ROCPRIM_400000_NS6detail17trampoline_kernelINS0_14default_configENS1_25partition_config_selectorILNS1_17partition_subalgoE1EyNS0_10empty_typeEbEEZZNS1_14partition_implILS5_1ELb0ES3_jN6thrust23THRUST_200600_302600_NS6detail15normal_iteratorINSA_10device_ptrIyEEEEPS6_NSA_18transform_iteratorI7is_evenIyESF_NSA_11use_defaultESK_EENS0_5tupleIJNSA_16discard_iteratorISK_EESF_EEENSM_IJSG_SG_EEES6_PlJS6_EEE10hipError_tPvRmT3_T4_T5_T6_T7_T9_mT8_P12ihipStream_tbDpT10_ENKUlT_T0_E_clISt17integral_constantIbLb0EES1B_EEDaS16_S17_EUlS16_E_NS1_11comp_targetILNS1_3genE5ELNS1_11target_archE942ELNS1_3gpuE9ELNS1_3repE0EEENS1_30default_config_static_selectorELNS0_4arch9wavefront6targetE1EEEvT1_,"axG",@progbits,_ZN7rocprim17ROCPRIM_400000_NS6detail17trampoline_kernelINS0_14default_configENS1_25partition_config_selectorILNS1_17partition_subalgoE1EyNS0_10empty_typeEbEEZZNS1_14partition_implILS5_1ELb0ES3_jN6thrust23THRUST_200600_302600_NS6detail15normal_iteratorINSA_10device_ptrIyEEEEPS6_NSA_18transform_iteratorI7is_evenIyESF_NSA_11use_defaultESK_EENS0_5tupleIJNSA_16discard_iteratorISK_EESF_EEENSM_IJSG_SG_EEES6_PlJS6_EEE10hipError_tPvRmT3_T4_T5_T6_T7_T9_mT8_P12ihipStream_tbDpT10_ENKUlT_T0_E_clISt17integral_constantIbLb0EES1B_EEDaS16_S17_EUlS16_E_NS1_11comp_targetILNS1_3genE5ELNS1_11target_archE942ELNS1_3gpuE9ELNS1_3repE0EEENS1_30default_config_static_selectorELNS0_4arch9wavefront6targetE1EEEvT1_,comdat
.Lfunc_end2940:
	.size	_ZN7rocprim17ROCPRIM_400000_NS6detail17trampoline_kernelINS0_14default_configENS1_25partition_config_selectorILNS1_17partition_subalgoE1EyNS0_10empty_typeEbEEZZNS1_14partition_implILS5_1ELb0ES3_jN6thrust23THRUST_200600_302600_NS6detail15normal_iteratorINSA_10device_ptrIyEEEEPS6_NSA_18transform_iteratorI7is_evenIyESF_NSA_11use_defaultESK_EENS0_5tupleIJNSA_16discard_iteratorISK_EESF_EEENSM_IJSG_SG_EEES6_PlJS6_EEE10hipError_tPvRmT3_T4_T5_T6_T7_T9_mT8_P12ihipStream_tbDpT10_ENKUlT_T0_E_clISt17integral_constantIbLb0EES1B_EEDaS16_S17_EUlS16_E_NS1_11comp_targetILNS1_3genE5ELNS1_11target_archE942ELNS1_3gpuE9ELNS1_3repE0EEENS1_30default_config_static_selectorELNS0_4arch9wavefront6targetE1EEEvT1_, .Lfunc_end2940-_ZN7rocprim17ROCPRIM_400000_NS6detail17trampoline_kernelINS0_14default_configENS1_25partition_config_selectorILNS1_17partition_subalgoE1EyNS0_10empty_typeEbEEZZNS1_14partition_implILS5_1ELb0ES3_jN6thrust23THRUST_200600_302600_NS6detail15normal_iteratorINSA_10device_ptrIyEEEEPS6_NSA_18transform_iteratorI7is_evenIyESF_NSA_11use_defaultESK_EENS0_5tupleIJNSA_16discard_iteratorISK_EESF_EEENSM_IJSG_SG_EEES6_PlJS6_EEE10hipError_tPvRmT3_T4_T5_T6_T7_T9_mT8_P12ihipStream_tbDpT10_ENKUlT_T0_E_clISt17integral_constantIbLb0EES1B_EEDaS16_S17_EUlS16_E_NS1_11comp_targetILNS1_3genE5ELNS1_11target_archE942ELNS1_3gpuE9ELNS1_3repE0EEENS1_30default_config_static_selectorELNS0_4arch9wavefront6targetE1EEEvT1_
                                        ; -- End function
	.section	.AMDGPU.csdata,"",@progbits
; Kernel info:
; codeLenInByte = 0
; NumSgprs: 4
; NumVgprs: 0
; NumAgprs: 0
; TotalNumVgprs: 0
; ScratchSize: 0
; MemoryBound: 0
; FloatMode: 240
; IeeeMode: 1
; LDSByteSize: 0 bytes/workgroup (compile time only)
; SGPRBlocks: 0
; VGPRBlocks: 0
; NumSGPRsForWavesPerEU: 4
; NumVGPRsForWavesPerEU: 1
; AccumOffset: 4
; Occupancy: 8
; WaveLimiterHint : 0
; COMPUTE_PGM_RSRC2:SCRATCH_EN: 0
; COMPUTE_PGM_RSRC2:USER_SGPR: 6
; COMPUTE_PGM_RSRC2:TRAP_HANDLER: 0
; COMPUTE_PGM_RSRC2:TGID_X_EN: 1
; COMPUTE_PGM_RSRC2:TGID_Y_EN: 0
; COMPUTE_PGM_RSRC2:TGID_Z_EN: 0
; COMPUTE_PGM_RSRC2:TIDIG_COMP_CNT: 0
; COMPUTE_PGM_RSRC3_GFX90A:ACCUM_OFFSET: 0
; COMPUTE_PGM_RSRC3_GFX90A:TG_SPLIT: 0
	.section	.text._ZN7rocprim17ROCPRIM_400000_NS6detail17trampoline_kernelINS0_14default_configENS1_25partition_config_selectorILNS1_17partition_subalgoE1EyNS0_10empty_typeEbEEZZNS1_14partition_implILS5_1ELb0ES3_jN6thrust23THRUST_200600_302600_NS6detail15normal_iteratorINSA_10device_ptrIyEEEEPS6_NSA_18transform_iteratorI7is_evenIyESF_NSA_11use_defaultESK_EENS0_5tupleIJNSA_16discard_iteratorISK_EESF_EEENSM_IJSG_SG_EEES6_PlJS6_EEE10hipError_tPvRmT3_T4_T5_T6_T7_T9_mT8_P12ihipStream_tbDpT10_ENKUlT_T0_E_clISt17integral_constantIbLb0EES1B_EEDaS16_S17_EUlS16_E_NS1_11comp_targetILNS1_3genE4ELNS1_11target_archE910ELNS1_3gpuE8ELNS1_3repE0EEENS1_30default_config_static_selectorELNS0_4arch9wavefront6targetE1EEEvT1_,"axG",@progbits,_ZN7rocprim17ROCPRIM_400000_NS6detail17trampoline_kernelINS0_14default_configENS1_25partition_config_selectorILNS1_17partition_subalgoE1EyNS0_10empty_typeEbEEZZNS1_14partition_implILS5_1ELb0ES3_jN6thrust23THRUST_200600_302600_NS6detail15normal_iteratorINSA_10device_ptrIyEEEEPS6_NSA_18transform_iteratorI7is_evenIyESF_NSA_11use_defaultESK_EENS0_5tupleIJNSA_16discard_iteratorISK_EESF_EEENSM_IJSG_SG_EEES6_PlJS6_EEE10hipError_tPvRmT3_T4_T5_T6_T7_T9_mT8_P12ihipStream_tbDpT10_ENKUlT_T0_E_clISt17integral_constantIbLb0EES1B_EEDaS16_S17_EUlS16_E_NS1_11comp_targetILNS1_3genE4ELNS1_11target_archE910ELNS1_3gpuE8ELNS1_3repE0EEENS1_30default_config_static_selectorELNS0_4arch9wavefront6targetE1EEEvT1_,comdat
	.protected	_ZN7rocprim17ROCPRIM_400000_NS6detail17trampoline_kernelINS0_14default_configENS1_25partition_config_selectorILNS1_17partition_subalgoE1EyNS0_10empty_typeEbEEZZNS1_14partition_implILS5_1ELb0ES3_jN6thrust23THRUST_200600_302600_NS6detail15normal_iteratorINSA_10device_ptrIyEEEEPS6_NSA_18transform_iteratorI7is_evenIyESF_NSA_11use_defaultESK_EENS0_5tupleIJNSA_16discard_iteratorISK_EESF_EEENSM_IJSG_SG_EEES6_PlJS6_EEE10hipError_tPvRmT3_T4_T5_T6_T7_T9_mT8_P12ihipStream_tbDpT10_ENKUlT_T0_E_clISt17integral_constantIbLb0EES1B_EEDaS16_S17_EUlS16_E_NS1_11comp_targetILNS1_3genE4ELNS1_11target_archE910ELNS1_3gpuE8ELNS1_3repE0EEENS1_30default_config_static_selectorELNS0_4arch9wavefront6targetE1EEEvT1_ ; -- Begin function _ZN7rocprim17ROCPRIM_400000_NS6detail17trampoline_kernelINS0_14default_configENS1_25partition_config_selectorILNS1_17partition_subalgoE1EyNS0_10empty_typeEbEEZZNS1_14partition_implILS5_1ELb0ES3_jN6thrust23THRUST_200600_302600_NS6detail15normal_iteratorINSA_10device_ptrIyEEEEPS6_NSA_18transform_iteratorI7is_evenIyESF_NSA_11use_defaultESK_EENS0_5tupleIJNSA_16discard_iteratorISK_EESF_EEENSM_IJSG_SG_EEES6_PlJS6_EEE10hipError_tPvRmT3_T4_T5_T6_T7_T9_mT8_P12ihipStream_tbDpT10_ENKUlT_T0_E_clISt17integral_constantIbLb0EES1B_EEDaS16_S17_EUlS16_E_NS1_11comp_targetILNS1_3genE4ELNS1_11target_archE910ELNS1_3gpuE8ELNS1_3repE0EEENS1_30default_config_static_selectorELNS0_4arch9wavefront6targetE1EEEvT1_
	.globl	_ZN7rocprim17ROCPRIM_400000_NS6detail17trampoline_kernelINS0_14default_configENS1_25partition_config_selectorILNS1_17partition_subalgoE1EyNS0_10empty_typeEbEEZZNS1_14partition_implILS5_1ELb0ES3_jN6thrust23THRUST_200600_302600_NS6detail15normal_iteratorINSA_10device_ptrIyEEEEPS6_NSA_18transform_iteratorI7is_evenIyESF_NSA_11use_defaultESK_EENS0_5tupleIJNSA_16discard_iteratorISK_EESF_EEENSM_IJSG_SG_EEES6_PlJS6_EEE10hipError_tPvRmT3_T4_T5_T6_T7_T9_mT8_P12ihipStream_tbDpT10_ENKUlT_T0_E_clISt17integral_constantIbLb0EES1B_EEDaS16_S17_EUlS16_E_NS1_11comp_targetILNS1_3genE4ELNS1_11target_archE910ELNS1_3gpuE8ELNS1_3repE0EEENS1_30default_config_static_selectorELNS0_4arch9wavefront6targetE1EEEvT1_
	.p2align	8
	.type	_ZN7rocprim17ROCPRIM_400000_NS6detail17trampoline_kernelINS0_14default_configENS1_25partition_config_selectorILNS1_17partition_subalgoE1EyNS0_10empty_typeEbEEZZNS1_14partition_implILS5_1ELb0ES3_jN6thrust23THRUST_200600_302600_NS6detail15normal_iteratorINSA_10device_ptrIyEEEEPS6_NSA_18transform_iteratorI7is_evenIyESF_NSA_11use_defaultESK_EENS0_5tupleIJNSA_16discard_iteratorISK_EESF_EEENSM_IJSG_SG_EEES6_PlJS6_EEE10hipError_tPvRmT3_T4_T5_T6_T7_T9_mT8_P12ihipStream_tbDpT10_ENKUlT_T0_E_clISt17integral_constantIbLb0EES1B_EEDaS16_S17_EUlS16_E_NS1_11comp_targetILNS1_3genE4ELNS1_11target_archE910ELNS1_3gpuE8ELNS1_3repE0EEENS1_30default_config_static_selectorELNS0_4arch9wavefront6targetE1EEEvT1_,@function
_ZN7rocprim17ROCPRIM_400000_NS6detail17trampoline_kernelINS0_14default_configENS1_25partition_config_selectorILNS1_17partition_subalgoE1EyNS0_10empty_typeEbEEZZNS1_14partition_implILS5_1ELb0ES3_jN6thrust23THRUST_200600_302600_NS6detail15normal_iteratorINSA_10device_ptrIyEEEEPS6_NSA_18transform_iteratorI7is_evenIyESF_NSA_11use_defaultESK_EENS0_5tupleIJNSA_16discard_iteratorISK_EESF_EEENSM_IJSG_SG_EEES6_PlJS6_EEE10hipError_tPvRmT3_T4_T5_T6_T7_T9_mT8_P12ihipStream_tbDpT10_ENKUlT_T0_E_clISt17integral_constantIbLb0EES1B_EEDaS16_S17_EUlS16_E_NS1_11comp_targetILNS1_3genE4ELNS1_11target_archE910ELNS1_3gpuE8ELNS1_3repE0EEENS1_30default_config_static_selectorELNS0_4arch9wavefront6targetE1EEEvT1_: ; @_ZN7rocprim17ROCPRIM_400000_NS6detail17trampoline_kernelINS0_14default_configENS1_25partition_config_selectorILNS1_17partition_subalgoE1EyNS0_10empty_typeEbEEZZNS1_14partition_implILS5_1ELb0ES3_jN6thrust23THRUST_200600_302600_NS6detail15normal_iteratorINSA_10device_ptrIyEEEEPS6_NSA_18transform_iteratorI7is_evenIyESF_NSA_11use_defaultESK_EENS0_5tupleIJNSA_16discard_iteratorISK_EESF_EEENSM_IJSG_SG_EEES6_PlJS6_EEE10hipError_tPvRmT3_T4_T5_T6_T7_T9_mT8_P12ihipStream_tbDpT10_ENKUlT_T0_E_clISt17integral_constantIbLb0EES1B_EEDaS16_S17_EUlS16_E_NS1_11comp_targetILNS1_3genE4ELNS1_11target_archE910ELNS1_3gpuE8ELNS1_3repE0EEENS1_30default_config_static_selectorELNS0_4arch9wavefront6targetE1EEEvT1_
; %bb.0:
	s_load_dwordx2 s[0:1], s[4:5], 0x68
	s_load_dwordx4 s[24:27], s[4:5], 0x8
	s_load_dwordx2 s[2:3], s[4:5], 0x20
	s_load_dwordx4 s[20:23], s[4:5], 0x58
	s_mul_i32 s10, s6, 0x300
	s_waitcnt lgkmcnt(0)
	v_mov_b32_e32 v3, s1
	s_load_dword s1, s[4:5], 0x80
	s_lshl_b64 s[8:9], s[26:27], 3
	s_add_u32 s7, s24, s8
	s_addc_u32 s12, s25, s9
	v_mov_b32_e32 v2, s0
	s_waitcnt lgkmcnt(0)
	s_add_i32 s13, s1, -1
	s_mulk_i32 s1, 0x300
	s_add_i32 s11, s1, s26
	s_sub_i32 s33, s0, s11
	s_addk_i32 s33, 0x300
	s_add_u32 s0, s26, s1
	s_addc_u32 s1, s27, 0
	s_cmp_eq_u32 s6, s13
	s_load_dwordx2 s[28:29], s[22:23], 0x0
	s_cselect_b64 s[22:23], -1, 0
	s_cmp_lg_u32 s6, s13
	s_mov_b32 s11, 0
	v_cmp_lt_u64_e32 vcc, s[0:1], v[2:3]
	s_cselect_b64 s[0:1], -1, 0
	s_or_b64 s[24:25], s[0:1], vcc
	s_lshl_b64 s[30:31], s[10:11], 3
	s_add_u32 s7, s7, s30
	s_addc_u32 s12, s12, s31
	s_mov_b64 s[0:1], -1
	s_and_b64 vcc, exec, s[24:25]
	v_lshlrev_b32_e32 v20, 3, v0
	v_lshrrev_b32_e32 v1, 2, v0
	s_cbranch_vccz .LBB2941_2
; %bb.1:
	v_mov_b32_e32 v3, s12
	v_add_co_u32_e32 v2, vcc, s7, v20
	v_addc_co_u32_e32 v3, vcc, 0, v3, vcc
	v_add_co_u32_e32 v4, vcc, 0x1000, v2
	v_addc_co_u32_e32 v5, vcc, 0, v3, vcc
	flat_load_dwordx2 v[6:7], v[2:3]
	flat_load_dwordx2 v[8:9], v[2:3] offset:1536
	flat_load_dwordx2 v[10:11], v[2:3] offset:3072
	;; [unrolled: 1-line block ×3, first 2 shown]
	v_add_u32_e32 v3, 0xc0, v0
	v_add_u32_e32 v4, 0x180, v0
	;; [unrolled: 1-line block ×3, first 2 shown]
	v_and_b32_e32 v2, 56, v1
	v_lshrrev_b32_e32 v3, 2, v3
	v_lshrrev_b32_e32 v4, 2, v4
	;; [unrolled: 1-line block ×3, first 2 shown]
	v_add_u32_e32 v2, v2, v20
	v_and_b32_e32 v3, 0x78, v3
	v_and_b32_e32 v4, 0xf8, v4
	;; [unrolled: 1-line block ×3, first 2 shown]
	v_add_u32_e32 v3, v3, v20
	v_add_u32_e32 v4, v4, v20
	;; [unrolled: 1-line block ×3, first 2 shown]
	s_mov_b64 s[0:1], 0
	s_waitcnt vmcnt(0) lgkmcnt(0)
	ds_write_b64 v2, v[6:7]
	ds_write_b64 v3, v[8:9] offset:1536
	ds_write_b64 v4, v[10:11] offset:3072
	ds_write_b64 v5, v[12:13] offset:4608
	s_waitcnt lgkmcnt(0)
	s_barrier
.LBB2941_2:
	s_andn2_b64 vcc, exec, s[0:1]
	v_cmp_gt_u32_e64 s[0:1], s33, v0
	s_cbranch_vccnz .LBB2941_12
; %bb.3:
                                        ; implicit-def: $vgpr2_vgpr3_vgpr4_vgpr5_vgpr6_vgpr7_vgpr8_vgpr9
	s_and_saveexec_b64 s[10:11], s[0:1]
	s_cbranch_execz .LBB2941_5
; %bb.4:
	v_mov_b32_e32 v3, s12
	v_add_co_u32_e32 v2, vcc, s7, v20
	v_addc_co_u32_e32 v3, vcc, 0, v3, vcc
	flat_load_dwordx2 v[2:3], v[2:3]
.LBB2941_5:
	s_or_b64 exec, exec, s[10:11]
	v_add_u32_e32 v10, 0xc0, v0
	v_cmp_gt_u32_e32 vcc, s33, v10
	s_and_saveexec_b64 s[0:1], vcc
	s_cbranch_execz .LBB2941_7
; %bb.6:
	v_mov_b32_e32 v5, s12
	v_add_co_u32_e32 v4, vcc, s7, v20
	v_addc_co_u32_e32 v5, vcc, 0, v5, vcc
	flat_load_dwordx2 v[4:5], v[4:5] offset:1536
.LBB2941_7:
	s_or_b64 exec, exec, s[0:1]
	v_add_u32_e32 v11, 0x180, v0
	v_cmp_gt_u32_e32 vcc, s33, v11
	s_and_saveexec_b64 s[0:1], vcc
	s_cbranch_execz .LBB2941_9
; %bb.8:
	v_mov_b32_e32 v7, s12
	v_add_co_u32_e32 v6, vcc, s7, v20
	v_addc_co_u32_e32 v7, vcc, 0, v7, vcc
	flat_load_dwordx2 v[6:7], v[6:7] offset:3072
.LBB2941_9:
	s_or_b64 exec, exec, s[0:1]
	v_add_u32_e32 v12, 0x240, v0
	v_cmp_gt_u32_e32 vcc, s33, v12
	s_and_saveexec_b64 s[0:1], vcc
	s_cbranch_execz .LBB2941_11
; %bb.10:
	v_lshlrev_b32_e32 v8, 3, v12
	v_mov_b32_e32 v9, s12
	v_add_co_u32_e32 v8, vcc, s7, v8
	v_addc_co_u32_e32 v9, vcc, 0, v9, vcc
	flat_load_dwordx2 v[8:9], v[8:9]
.LBB2941_11:
	s_or_b64 exec, exec, s[0:1]
	v_and_b32_e32 v1, 56, v1
	v_add_u32_e32 v1, v1, v20
	s_waitcnt vmcnt(0) lgkmcnt(0)
	ds_write_b64 v1, v[2:3]
	v_lshrrev_b32_e32 v1, 2, v10
	v_and_b32_e32 v1, 0x78, v1
	v_add_u32_e32 v1, v1, v20
	ds_write_b64 v1, v[4:5] offset:1536
	v_lshrrev_b32_e32 v1, 2, v11
	v_and_b32_e32 v1, 0xf8, v1
	v_add_u32_e32 v1, v1, v20
	ds_write_b64 v1, v[6:7] offset:3072
	;; [unrolled: 4-line block ×3, first 2 shown]
	s_waitcnt lgkmcnt(0)
	s_barrier
.LBB2941_12:
	v_lshlrev_b32_e32 v1, 2, v0
	v_lshrrev_b32_e32 v10, 3, v0
	v_add_lshl_u32 v2, v10, v1, 3
	s_waitcnt lgkmcnt(0)
	ds_read2_b64 v[6:9], v2 offset1:1
	ds_read2_b64 v[2:5], v2 offset0:2 offset1:3
	s_add_u32 s0, s2, s8
	s_addc_u32 s1, s3, s9
	s_add_u32 s0, s0, s30
	s_addc_u32 s1, s1, s31
	s_mov_b64 s[2:3], -1
	s_and_b64 vcc, exec, s[24:25]
	v_lshrrev_b32_e32 v11, 5, v0
	s_waitcnt lgkmcnt(0)
	s_barrier
	s_cbranch_vccz .LBB2941_14
; %bb.13:
	global_load_dwordx2 v[12:13], v20, s[0:1]
	global_load_dwordx2 v[14:15], v20, s[0:1] offset:1536
	global_load_dwordx2 v[16:17], v20, s[0:1] offset:3072
	v_mov_b32_e32 v18, s1
	s_waitcnt vmcnt(2)
	v_add_co_u32_e32 v13, vcc, s0, v20
	s_waitcnt vmcnt(1)
	v_addc_co_u32_e32 v15, vcc, 0, v18, vcc
	v_add_co_u32_e32 v18, vcc, 0x1000, v13
	v_addc_co_u32_e32 v19, vcc, 0, v15, vcc
	global_load_dwordx2 v[18:19], v[18:19], off offset:512
	v_add_u32_e32 v15, 0xc0, v0
	s_waitcnt vmcnt(1)
	v_add_u32_e32 v17, 0x180, v0
	v_and_b32_e32 v13, 4, v11
	s_waitcnt vmcnt(0)
	v_add_u32_e32 v19, 0x240, v0
	v_lshrrev_b32_e32 v15, 5, v15
	v_lshrrev_b32_e32 v17, 5, v17
	v_add_u32_e32 v13, v13, v0
	v_lshrrev_b32_e32 v19, 5, v19
	v_and_b32_e32 v15, 12, v15
	v_and_b32_e32 v17, 28, v17
	;; [unrolled: 1-line block ×3, first 2 shown]
	v_add_u32_e32 v15, v15, v0
	v_add_u32_e32 v17, v17, v0
	;; [unrolled: 1-line block ×3, first 2 shown]
	s_mov_b64 s[2:3], 0
	v_xor_b32_e32 v12, -1, v12
	v_xor_b32_e32 v14, -1, v14
	;; [unrolled: 1-line block ×3, first 2 shown]
	v_and_b32_e32 v12, 1, v12
	v_and_b32_e32 v14, 1, v14
	;; [unrolled: 1-line block ×3, first 2 shown]
	ds_write_b8 v13, v12
	ds_write_b8 v15, v14 offset:192
	ds_write_b8 v17, v16 offset:384
	v_xor_b32_e32 v12, -1, v18
	v_and_b32_e32 v12, 1, v12
	ds_write_b8 v19, v12 offset:576
	s_waitcnt lgkmcnt(0)
	s_barrier
.LBB2941_14:
	s_load_dwordx2 s[34:35], s[4:5], 0x78
	s_andn2_b64 vcc, exec, s[2:3]
	s_cbranch_vccnz .LBB2941_24
; %bb.15:
	v_cmp_gt_u32_e32 vcc, s33, v0
	v_mov_b32_e32 v12, 0
	v_mov_b32_e32 v13, 0
	s_and_saveexec_b64 s[2:3], vcc
	s_cbranch_execz .LBB2941_17
; %bb.16:
	global_load_dwordx2 v[14:15], v20, s[0:1]
	s_waitcnt vmcnt(0)
	v_xor_b32_e32 v13, -1, v14
	v_and_b32_e32 v13, 1, v13
.LBB2941_17:
	s_or_b64 exec, exec, s[2:3]
	v_add_u32_e32 v14, 0xc0, v0
	v_cmp_gt_u32_e32 vcc, s33, v14
	s_and_saveexec_b64 s[2:3], vcc
	s_cbranch_execz .LBB2941_19
; %bb.18:
	global_load_dwordx2 v[16:17], v20, s[0:1] offset:1536
	s_waitcnt vmcnt(0)
	v_xor_b32_e32 v12, -1, v16
	v_and_b32_e32 v12, 1, v12
.LBB2941_19:
	s_or_b64 exec, exec, s[2:3]
	v_add_u32_e32 v16, 0x180, v0
	v_cmp_gt_u32_e32 vcc, s33, v16
	v_mov_b32_e32 v15, 0
	v_mov_b32_e32 v17, 0
	s_and_saveexec_b64 s[2:3], vcc
	s_cbranch_execz .LBB2941_21
; %bb.20:
	global_load_dwordx2 v[18:19], v20, s[0:1] offset:3072
	s_waitcnt vmcnt(0)
	v_xor_b32_e32 v17, -1, v18
	v_and_b32_e32 v17, 1, v17
.LBB2941_21:
	s_or_b64 exec, exec, s[2:3]
	v_add_u32_e32 v18, 0x240, v0
	v_cmp_gt_u32_e32 vcc, s33, v18
	s_and_saveexec_b64 s[2:3], vcc
	s_cbranch_execz .LBB2941_23
; %bb.22:
	v_lshlrev_b32_e32 v15, 3, v18
	global_load_dwordx2 v[22:23], v15, s[0:1]
	s_waitcnt vmcnt(0)
	v_xor_b32_e32 v15, -1, v22
	v_and_b32_e32 v15, 1, v15
.LBB2941_23:
	s_or_b64 exec, exec, s[2:3]
	v_and_b32_e32 v11, 4, v11
	v_add_u32_e32 v11, v11, v0
	ds_write_b8 v11, v13
	v_lshrrev_b32_e32 v11, 5, v14
	v_and_b32_e32 v11, 12, v11
	v_add_u32_e32 v11, v11, v0
	ds_write_b8 v11, v12 offset:192
	v_lshrrev_b32_e32 v11, 5, v16
	v_and_b32_e32 v11, 28, v11
	v_add_u32_e32 v11, v11, v0
	ds_write_b8 v11, v17 offset:384
	;; [unrolled: 4-line block ×3, first 2 shown]
	s_waitcnt lgkmcnt(0)
	s_barrier
.LBB2941_24:
	v_and_b32_e32 v10, 28, v10
	v_add_u32_e32 v10, v10, v1
	s_waitcnt lgkmcnt(0)
	ds_read_b32 v22, v10
	s_cmp_lg_u32 s6, 0
	v_lshrrev_b32_e32 v25, 6, v0
	s_waitcnt lgkmcnt(0)
	s_barrier
	v_lshrrev_b32_e32 v21, 24, v22
	v_bfe_u32 v23, v22, 16, 8
	v_add_u32_sdwa v10, v22, v22 dst_sel:DWORD dst_unused:UNUSED_PAD src0_sel:BYTE_1 src1_sel:BYTE_0
	v_add3_u32 v26, v10, v23, v21
	v_mbcnt_lo_u32_b32 v10, -1, 0
	v_mbcnt_hi_u32_b32 v24, -1, v10
	v_and_b32_e32 v10, 15, v24
	v_cmp_eq_u32_e64 s[14:15], 0, v10
	v_cmp_lt_u32_e64 s[12:13], 1, v10
	v_cmp_lt_u32_e64 s[10:11], 3, v10
	;; [unrolled: 1-line block ×3, first 2 shown]
	v_and_b32_e32 v10, 16, v24
	v_cmp_eq_u32_e64 s[2:3], 0, v10
	v_and_b32_e32 v10, 0xc0, v0
	v_min_u32_e32 v10, 0x80, v10
	v_or_b32_e32 v10, 63, v10
	v_cmp_lt_u32_e64 s[0:1], 31, v24
	v_cmp_eq_u32_e64 s[18:19], v10, v0
	s_cbranch_scc0 .LBB2941_51
; %bb.25:
	v_mov_b32_dpp v10, v26 row_shr:1 row_mask:0xf bank_mask:0xf
	v_cndmask_b32_e64 v10, v10, 0, s[14:15]
	v_add_u32_e32 v10, v10, v26
	s_nop 1
	v_mov_b32_dpp v11, v10 row_shr:2 row_mask:0xf bank_mask:0xf
	v_cndmask_b32_e64 v11, 0, v11, s[12:13]
	v_add_u32_e32 v10, v10, v11
	s_nop 1
	;; [unrolled: 4-line block ×4, first 2 shown]
	v_mov_b32_dpp v11, v10 row_bcast:15 row_mask:0xf bank_mask:0xf
	v_cndmask_b32_e64 v11, v11, 0, s[2:3]
	v_add_u32_e32 v10, v10, v11
	s_nop 1
	v_mov_b32_dpp v11, v10 row_bcast:31 row_mask:0xf bank_mask:0xf
	v_cndmask_b32_e64 v11, 0, v11, s[0:1]
	v_add_u32_e32 v10, v10, v11
	s_and_saveexec_b64 s[16:17], s[18:19]
	s_cbranch_execz .LBB2941_27
; %bb.26:
	v_lshlrev_b32_e32 v11, 2, v25
	ds_write_b32 v11, v10
.LBB2941_27:
	s_or_b64 exec, exec, s[16:17]
	v_cmp_gt_u32_e32 vcc, 3, v0
	s_waitcnt lgkmcnt(0)
	s_barrier
	s_and_saveexec_b64 s[16:17], vcc
	s_cbranch_execz .LBB2941_29
; %bb.28:
	ds_read_b32 v11, v1
	v_and_b32_e32 v12, 3, v24
	v_cmp_ne_u32_e32 vcc, 0, v12
	s_waitcnt lgkmcnt(0)
	v_mov_b32_dpp v13, v11 row_shr:1 row_mask:0xf bank_mask:0xf
	v_cndmask_b32_e32 v13, 0, v13, vcc
	v_add_u32_e32 v11, v13, v11
	v_cmp_lt_u32_e32 vcc, 1, v12
	s_nop 0
	v_mov_b32_dpp v13, v11 row_shr:2 row_mask:0xf bank_mask:0xf
	v_cndmask_b32_e32 v12, 0, v13, vcc
	v_add_u32_e32 v11, v11, v12
	ds_write_b32 v1, v11
.LBB2941_29:
	s_or_b64 exec, exec, s[16:17]
	v_cmp_gt_u32_e32 vcc, 64, v0
	v_cmp_lt_u32_e64 s[16:17], 63, v0
	s_waitcnt lgkmcnt(0)
	s_barrier
	s_waitcnt lgkmcnt(0)
                                        ; implicit-def: $vgpr27
	s_and_saveexec_b64 s[36:37], s[16:17]
	s_cbranch_execz .LBB2941_31
; %bb.30:
	v_lshl_add_u32 v11, v25, 2, -4
	ds_read_b32 v27, v11
	s_waitcnt lgkmcnt(0)
	v_add_u32_e32 v10, v27, v10
.LBB2941_31:
	s_or_b64 exec, exec, s[36:37]
	v_add_u32_e32 v11, -1, v24
	v_and_b32_e32 v12, 64, v24
	v_cmp_lt_i32_e64 s[16:17], v11, v12
	v_cndmask_b32_e64 v11, v11, v24, s[16:17]
	v_lshlrev_b32_e32 v11, 2, v11
	ds_bpermute_b32 v28, v11, v10
	v_cmp_eq_u32_e64 s[16:17], 0, v24
	s_and_saveexec_b64 s[36:37], vcc
	s_cbranch_execz .LBB2941_50
; %bb.32:
	v_mov_b32_e32 v17, 0
	ds_read_b32 v10, v17 offset:8
	s_and_saveexec_b64 s[38:39], s[16:17]
	s_cbranch_execz .LBB2941_34
; %bb.33:
	s_add_i32 s40, s6, 64
	s_mov_b32 s41, 0
	s_lshl_b64 s[40:41], s[40:41], 3
	s_add_u32 s40, s34, s40
	v_mov_b32_e32 v11, 1
	s_addc_u32 s41, s35, s41
	s_waitcnt lgkmcnt(0)
	global_store_dwordx2 v17, v[10:11], s[40:41]
.LBB2941_34:
	s_or_b64 exec, exec, s[38:39]
	v_xad_u32 v12, v24, -1, s6
	v_add_u32_e32 v16, 64, v12
	v_lshlrev_b64 v[14:15], 3, v[16:17]
	v_mov_b32_e32 v11, s35
	v_add_co_u32_e32 v18, vcc, s34, v14
	v_addc_co_u32_e32 v19, vcc, v11, v15, vcc
	global_load_dwordx2 v[14:15], v[18:19], off glc
	s_waitcnt vmcnt(0)
	v_cmp_eq_u16_sdwa s[40:41], v15, v17 src0_sel:BYTE_0 src1_sel:DWORD
	s_and_saveexec_b64 s[38:39], s[40:41]
	s_cbranch_execz .LBB2941_38
; %bb.35:
	s_mov_b64 s[40:41], 0
	v_mov_b32_e32 v11, 0
.LBB2941_36:                            ; =>This Inner Loop Header: Depth=1
	global_load_dwordx2 v[14:15], v[18:19], off glc
	s_waitcnt vmcnt(0)
	v_cmp_ne_u16_sdwa s[42:43], v15, v11 src0_sel:BYTE_0 src1_sel:DWORD
	s_or_b64 s[40:41], s[42:43], s[40:41]
	s_andn2_b64 exec, exec, s[40:41]
	s_cbranch_execnz .LBB2941_36
; %bb.37:
	s_or_b64 exec, exec, s[40:41]
.LBB2941_38:
	s_or_b64 exec, exec, s[38:39]
	v_and_b32_e32 v30, 63, v24
	v_mov_b32_e32 v29, 2
	v_cmp_ne_u32_e32 vcc, 63, v30
	v_cmp_eq_u16_sdwa s[38:39], v15, v29 src0_sel:BYTE_0 src1_sel:DWORD
	v_lshlrev_b64 v[16:17], v24, -1
	v_addc_co_u32_e32 v18, vcc, 0, v24, vcc
	v_and_b32_e32 v11, s39, v17
	v_lshlrev_b32_e32 v31, 2, v18
	v_or_b32_e32 v11, 0x80000000, v11
	ds_bpermute_b32 v18, v31, v14
	v_and_b32_e32 v13, s38, v16
	v_ffbl_b32_e32 v11, v11
	v_add_u32_e32 v11, 32, v11
	v_ffbl_b32_e32 v13, v13
	v_min_u32_e32 v11, v13, v11
	v_cmp_lt_u32_e32 vcc, v30, v11
	s_waitcnt lgkmcnt(0)
	v_cndmask_b32_e32 v13, 0, v18, vcc
	v_cmp_gt_u32_e32 vcc, 62, v30
	v_add_u32_e32 v13, v13, v14
	v_cndmask_b32_e64 v14, 0, 1, vcc
	v_lshlrev_b32_e32 v14, 1, v14
	v_add_lshl_u32 v32, v14, v24, 2
	ds_bpermute_b32 v14, v32, v13
	v_add_u32_e32 v33, 2, v30
	v_cmp_le_u32_e32 vcc, v33, v11
	v_add_u32_e32 v35, 4, v30
	v_add_u32_e32 v37, 8, v30
	s_waitcnt lgkmcnt(0)
	v_cndmask_b32_e32 v14, 0, v14, vcc
	v_cmp_gt_u32_e32 vcc, 60, v30
	v_add_u32_e32 v13, v13, v14
	v_cndmask_b32_e64 v14, 0, 1, vcc
	v_lshlrev_b32_e32 v14, 2, v14
	v_add_lshl_u32 v34, v14, v24, 2
	ds_bpermute_b32 v14, v34, v13
	v_cmp_le_u32_e32 vcc, v35, v11
	v_add_u32_e32 v39, 16, v30
	v_add_u32_e32 v41, 32, v30
	s_waitcnt lgkmcnt(0)
	v_cndmask_b32_e32 v14, 0, v14, vcc
	v_cmp_gt_u32_e32 vcc, 56, v30
	v_add_u32_e32 v13, v13, v14
	v_cndmask_b32_e64 v14, 0, 1, vcc
	v_lshlrev_b32_e32 v14, 3, v14
	v_add_lshl_u32 v36, v14, v24, 2
	ds_bpermute_b32 v14, v36, v13
	v_cmp_le_u32_e32 vcc, v37, v11
	s_waitcnt lgkmcnt(0)
	v_cndmask_b32_e32 v14, 0, v14, vcc
	v_cmp_gt_u32_e32 vcc, 48, v30
	v_add_u32_e32 v13, v13, v14
	v_cndmask_b32_e64 v14, 0, 1, vcc
	v_lshlrev_b32_e32 v14, 4, v14
	v_add_lshl_u32 v38, v14, v24, 2
	ds_bpermute_b32 v14, v38, v13
	v_cmp_le_u32_e32 vcc, v39, v11
	;; [unrolled: 9-line block ×3, first 2 shown]
	s_waitcnt lgkmcnt(0)
	v_cndmask_b32_e32 v11, 0, v14, vcc
	v_add_u32_e32 v14, v13, v11
	v_mov_b32_e32 v13, 0
	s_branch .LBB2941_40
.LBB2941_39:                            ;   in Loop: Header=BB2941_40 Depth=1
	s_or_b64 exec, exec, s[38:39]
	v_cmp_eq_u16_sdwa s[38:39], v15, v29 src0_sel:BYTE_0 src1_sel:DWORD
	v_and_b32_e32 v18, s39, v17
	v_or_b32_e32 v18, 0x80000000, v18
	ds_bpermute_b32 v42, v31, v14
	v_and_b32_e32 v19, s38, v16
	v_ffbl_b32_e32 v18, v18
	v_add_u32_e32 v18, 32, v18
	v_ffbl_b32_e32 v19, v19
	v_min_u32_e32 v18, v19, v18
	v_cmp_lt_u32_e32 vcc, v30, v18
	s_waitcnt lgkmcnt(0)
	v_cndmask_b32_e32 v19, 0, v42, vcc
	v_add_u32_e32 v14, v19, v14
	ds_bpermute_b32 v19, v32, v14
	v_cmp_le_u32_e32 vcc, v33, v18
	v_subrev_u32_e32 v12, 64, v12
	s_waitcnt lgkmcnt(0)
	v_cndmask_b32_e32 v19, 0, v19, vcc
	v_add_u32_e32 v14, v14, v19
	ds_bpermute_b32 v19, v34, v14
	v_cmp_le_u32_e32 vcc, v35, v18
	s_waitcnt lgkmcnt(0)
	v_cndmask_b32_e32 v19, 0, v19, vcc
	v_add_u32_e32 v14, v14, v19
	ds_bpermute_b32 v19, v36, v14
	v_cmp_le_u32_e32 vcc, v37, v18
	;; [unrolled: 5-line block ×4, first 2 shown]
	s_waitcnt lgkmcnt(0)
	v_cndmask_b32_e32 v18, 0, v19, vcc
	v_add3_u32 v14, v18, v11, v14
.LBB2941_40:                            ; =>This Loop Header: Depth=1
                                        ;     Child Loop BB2941_43 Depth 2
	v_cmp_ne_u16_sdwa s[38:39], v15, v29 src0_sel:BYTE_0 src1_sel:DWORD
	v_cndmask_b32_e64 v11, 0, 1, s[38:39]
	;;#ASMSTART
	;;#ASMEND
	v_cmp_ne_u32_e32 vcc, 0, v11
	s_cmp_lg_u64 vcc, exec
	v_mov_b32_e32 v11, v14
	s_cbranch_scc1 .LBB2941_45
; %bb.41:                               ;   in Loop: Header=BB2941_40 Depth=1
	v_lshlrev_b64 v[14:15], 3, v[12:13]
	v_mov_b32_e32 v19, s35
	v_add_co_u32_e32 v18, vcc, s34, v14
	v_addc_co_u32_e32 v19, vcc, v19, v15, vcc
	global_load_dwordx2 v[14:15], v[18:19], off glc
	s_waitcnt vmcnt(0)
	v_cmp_eq_u16_sdwa s[40:41], v15, v13 src0_sel:BYTE_0 src1_sel:DWORD
	s_and_saveexec_b64 s[38:39], s[40:41]
	s_cbranch_execz .LBB2941_39
; %bb.42:                               ;   in Loop: Header=BB2941_40 Depth=1
	s_mov_b64 s[40:41], 0
.LBB2941_43:                            ;   Parent Loop BB2941_40 Depth=1
                                        ; =>  This Inner Loop Header: Depth=2
	global_load_dwordx2 v[14:15], v[18:19], off glc
	s_waitcnt vmcnt(0)
	v_cmp_ne_u16_sdwa s[42:43], v15, v13 src0_sel:BYTE_0 src1_sel:DWORD
	s_or_b64 s[40:41], s[42:43], s[40:41]
	s_andn2_b64 exec, exec, s[40:41]
	s_cbranch_execnz .LBB2941_43
; %bb.44:                               ;   in Loop: Header=BB2941_40 Depth=1
	s_or_b64 exec, exec, s[40:41]
	s_branch .LBB2941_39
.LBB2941_45:                            ;   in Loop: Header=BB2941_40 Depth=1
                                        ; implicit-def: $vgpr14
                                        ; implicit-def: $vgpr15
	s_cbranch_execz .LBB2941_40
; %bb.46:
	s_and_saveexec_b64 s[38:39], s[16:17]
	s_cbranch_execz .LBB2941_48
; %bb.47:
	s_add_i32 s6, s6, 64
	s_mov_b32 s7, 0
	s_lshl_b64 s[6:7], s[6:7], 3
	s_add_u32 s6, s34, s6
	v_add_u32_e32 v12, v11, v10
	v_mov_b32_e32 v13, 2
	s_addc_u32 s7, s35, s7
	v_mov_b32_e32 v14, 0
	global_store_dwordx2 v14, v[12:13], s[6:7]
	ds_write_b64 v14, v[10:11] offset:6336
.LBB2941_48:
	s_or_b64 exec, exec, s[38:39]
	v_cmp_eq_u32_e32 vcc, 0, v0
	s_and_b64 exec, exec, vcc
	s_cbranch_execz .LBB2941_50
; %bb.49:
	v_mov_b32_e32 v10, 0
	ds_write_b32 v10, v11 offset:8
.LBB2941_50:
	s_or_b64 exec, exec, s[36:37]
	v_mov_b32_e32 v10, 0
	s_waitcnt lgkmcnt(0)
	s_barrier
	ds_read_b32 v11, v10 offset:8
	v_cndmask_b32_e64 v12, v28, v27, s[16:17]
	v_cmp_ne_u32_e32 vcc, 0, v0
	v_cndmask_b32_e32 v12, 0, v12, vcc
	s_waitcnt lgkmcnt(0)
	v_add_u32_e32 v14, v11, v12
	s_barrier
	ds_read_b64 v[10:11], v10 offset:6336
	v_add_u32_sdwa v15, v14, v22 dst_sel:DWORD dst_unused:UNUSED_PAD src0_sel:DWORD src1_sel:BYTE_0
	v_add_u32_sdwa v13, v15, v22 dst_sel:DWORD dst_unused:UNUSED_PAD src0_sel:DWORD src1_sel:BYTE_1
	v_add_u32_e32 v12, v13, v23
	s_load_dwordx2 s[4:5], s[4:5], 0x40
	s_branch .LBB2941_61
.LBB2941_51:
                                        ; implicit-def: $vgpr11
                                        ; implicit-def: $vgpr12
                                        ; implicit-def: $vgpr13
                                        ; implicit-def: $vgpr15
                                        ; implicit-def: $vgpr14
	s_load_dwordx2 s[4:5], s[4:5], 0x40
	s_cbranch_execz .LBB2941_61
; %bb.52:
	s_waitcnt lgkmcnt(0)
	v_mov_b32_dpp v10, v26 row_shr:1 row_mask:0xf bank_mask:0xf
	v_cndmask_b32_e64 v10, v10, 0, s[14:15]
	v_add_u32_e32 v10, v10, v26
	s_nop 1
	v_mov_b32_dpp v11, v10 row_shr:2 row_mask:0xf bank_mask:0xf
	v_cndmask_b32_e64 v11, 0, v11, s[12:13]
	v_add_u32_e32 v10, v10, v11
	s_nop 1
	;; [unrolled: 4-line block ×4, first 2 shown]
	v_mov_b32_dpp v11, v10 row_bcast:15 row_mask:0xf bank_mask:0xf
	v_cndmask_b32_e64 v11, v11, 0, s[2:3]
	v_add_u32_e32 v10, v10, v11
	s_nop 1
	v_mov_b32_dpp v11, v10 row_bcast:31 row_mask:0xf bank_mask:0xf
	v_cndmask_b32_e64 v11, 0, v11, s[0:1]
	v_add_u32_e32 v10, v10, v11
	s_and_saveexec_b64 s[0:1], s[18:19]
	s_cbranch_execz .LBB2941_54
; %bb.53:
	v_lshlrev_b32_e32 v11, 2, v25
	ds_write_b32 v11, v10
.LBB2941_54:
	s_or_b64 exec, exec, s[0:1]
	v_cmp_gt_u32_e32 vcc, 3, v0
	s_waitcnt lgkmcnt(0)
	s_barrier
	s_and_saveexec_b64 s[0:1], vcc
	s_cbranch_execz .LBB2941_56
; %bb.55:
	ds_read_b32 v11, v1
	v_and_b32_e32 v12, 3, v24
	v_cmp_ne_u32_e32 vcc, 0, v12
	s_waitcnt lgkmcnt(0)
	v_mov_b32_dpp v13, v11 row_shr:1 row_mask:0xf bank_mask:0xf
	v_cndmask_b32_e32 v13, 0, v13, vcc
	v_add_u32_e32 v11, v13, v11
	v_cmp_lt_u32_e32 vcc, 1, v12
	s_nop 0
	v_mov_b32_dpp v13, v11 row_shr:2 row_mask:0xf bank_mask:0xf
	v_cndmask_b32_e32 v12, 0, v13, vcc
	v_add_u32_e32 v11, v11, v12
	ds_write_b32 v1, v11
.LBB2941_56:
	s_or_b64 exec, exec, s[0:1]
	v_cmp_lt_u32_e32 vcc, 63, v0
	v_mov_b32_e32 v11, 0
	v_mov_b32_e32 v12, 0
	s_waitcnt lgkmcnt(0)
	s_barrier
	s_and_saveexec_b64 s[0:1], vcc
	s_cbranch_execz .LBB2941_58
; %bb.57:
	v_lshl_add_u32 v12, v25, 2, -4
	ds_read_b32 v12, v12
.LBB2941_58:
	s_or_b64 exec, exec, s[0:1]
	v_add_u32_e32 v13, -1, v24
	v_and_b32_e32 v14, 64, v24
	v_cmp_lt_i32_e32 vcc, v13, v14
	v_cndmask_b32_e32 v13, v13, v24, vcc
	s_waitcnt lgkmcnt(0)
	v_add_u32_e32 v10, v12, v10
	v_lshlrev_b32_e32 v13, 2, v13
	ds_bpermute_b32 v13, v13, v10
	ds_read_b32 v10, v11 offset:8
	v_cmp_eq_u32_e32 vcc, 0, v0
	s_and_saveexec_b64 s[0:1], vcc
	s_cbranch_execz .LBB2941_60
; %bb.59:
	v_mov_b32_e32 v14, 0
	v_mov_b32_e32 v11, 2
	s_waitcnt lgkmcnt(0)
	global_store_dwordx2 v14, v[10:11], s[34:35] offset:512
.LBB2941_60:
	s_or_b64 exec, exec, s[0:1]
	v_cmp_eq_u32_e64 s[0:1], 0, v24
	s_waitcnt lgkmcnt(1)
	v_cndmask_b32_e64 v12, v13, v12, s[0:1]
	v_cndmask_b32_e64 v14, v12, 0, vcc
	v_add_u32_sdwa v15, v14, v22 dst_sel:DWORD dst_unused:UNUSED_PAD src0_sel:DWORD src1_sel:BYTE_0
	v_add_u32_sdwa v13, v15, v22 dst_sel:DWORD dst_unused:UNUSED_PAD src0_sel:DWORD src1_sel:BYTE_1
	v_mov_b32_e32 v11, 0
	v_add_u32_e32 v12, v13, v23
	s_waitcnt lgkmcnt(0)
	s_barrier
.LBB2941_61:
	s_waitcnt lgkmcnt(0)
	v_add_u32_e32 v1, v10, v1
	v_sub_u32_e32 v14, v14, v11
	v_and_b32_e32 v18, 1, v22
	v_sub_u32_e32 v17, v1, v14
	v_cmp_eq_u32_e32 vcc, 1, v18
	v_cndmask_b32_e32 v14, v17, v14, vcc
	v_lshlrev_b32_e32 v14, 3, v14
	v_lshrrev_b32_e32 v16, 8, v22
	ds_write_b64 v14, v[6:7]
	v_sub_u32_e32 v6, v15, v11
	v_sub_u32_e32 v7, v1, v6
	v_and_b32_e32 v14, 1, v16
	v_add_u32_e32 v7, 1, v7
	v_cmp_eq_u32_e32 vcc, 1, v14
	v_cndmask_b32_e32 v6, v7, v6, vcc
	v_lshlrev_b32_e32 v6, 3, v6
	ds_write_b64 v6, v[8:9]
	v_sub_u32_e32 v6, v13, v11
	v_mov_b32_e32 v8, 1
	v_sub_u32_e32 v7, v1, v6
	v_and_b32_sdwa v8, v8, v22 dst_sel:DWORD dst_unused:UNUSED_PAD src0_sel:DWORD src1_sel:WORD_1
	v_add_u32_e32 v7, 2, v7
	v_cmp_eq_u32_e32 vcc, 1, v8
	v_cndmask_b32_e32 v6, v7, v6, vcc
	v_lshlrev_b32_e32 v6, 3, v6
	ds_write_b64 v6, v[2:3]
	v_sub_u32_e32 v2, v12, v11
	v_sub_u32_e32 v1, v1, v2
	v_and_b32_e32 v3, 1, v21
	v_add_u32_e32 v1, 3, v1
	v_cmp_eq_u32_e32 vcc, 1, v3
	v_cndmask_b32_e32 v1, v1, v2, vcc
	v_lshlrev_b32_e32 v1, 3, v1
	ds_write_b64 v1, v[4:5]
	v_mov_b32_e32 v1, s29
	v_add_co_u32_e32 v12, vcc, s28, v10
	v_addc_co_u32_e32 v1, vcc, 0, v1, vcc
	v_add_co_u32_e32 v12, vcc, v12, v11
	v_addc_co_u32_e32 v13, vcc, 0, v1, vcc
	v_mov_b32_e32 v1, s27
	v_sub_co_u32_e32 v18, vcc, s26, v12
	v_subb_co_u32_e32 v19, vcc, v1, v13, vcc
	v_lshlrev_b64 v[18:19], 3, v[18:19]
	s_waitcnt lgkmcnt(0)
	s_barrier
	ds_read2st64_b64 v[6:9], v20 offset1:3
	ds_read2st64_b64 v[2:5], v20 offset0:6 offset1:9
	v_mov_b32_e32 v1, s5
	v_add_co_u32_e32 v11, vcc, s4, v18
	v_addc_co_u32_e32 v1, vcc, v1, v19, vcc
	v_mov_b32_e32 v18, s31
	v_add_co_u32_e32 v14, vcc, s30, v11
	v_addc_co_u32_e32 v1, vcc, v1, v18, vcc
	v_add_u32_e32 v17, 0xc0, v0
	v_add_u32_e32 v16, 0x180, v0
	;; [unrolled: 1-line block ×3, first 2 shown]
	s_andn2_b64 vcc, exec, s[24:25]
	v_cmp_ge_u32_e64 s[0:1], v0, v10
	s_cbranch_vccnz .LBB2941_67
; %bb.62:
	s_and_saveexec_b64 s[2:3], s[0:1]
	s_cbranch_execnz .LBB2941_80
; %bb.63:
	s_or_b64 exec, exec, s[2:3]
	v_cmp_ge_u32_e32 vcc, v17, v10
	s_and_saveexec_b64 s[0:1], vcc
	s_cbranch_execnz .LBB2941_81
.LBB2941_64:
	s_or_b64 exec, exec, s[0:1]
	v_cmp_ge_u32_e32 vcc, v16, v10
	s_and_saveexec_b64 s[0:1], vcc
	s_cbranch_execz .LBB2941_66
.LBB2941_65:
	v_readfirstlane_b32 s2, v14
	v_readfirstlane_b32 s3, v1
	s_waitcnt lgkmcnt(0)
	s_nop 3
	global_store_dwordx2 v20, v[2:3], s[2:3] offset:3072
.LBB2941_66:
	s_or_b64 exec, exec, s[0:1]
	v_cmp_ge_u32_e64 s[0:1], v15, v10
	s_branch .LBB2941_75
.LBB2941_67:
	s_mov_b64 s[0:1], 0
	s_cbranch_execz .LBB2941_75
; %bb.68:
	v_cmp_gt_u32_e32 vcc, s33, v0
	v_cmp_ge_u32_e64 s[0:1], v0, v10
	s_and_b64 s[2:3], vcc, s[0:1]
	s_and_saveexec_b64 s[0:1], s[2:3]
	s_cbranch_execz .LBB2941_70
; %bb.69:
	v_readfirstlane_b32 s2, v14
	v_readfirstlane_b32 s3, v1
	s_waitcnt lgkmcnt(1)
	s_nop 3
	global_store_dwordx2 v20, v[6:7], s[2:3]
.LBB2941_70:
	s_or_b64 exec, exec, s[0:1]
	v_cmp_gt_u32_e32 vcc, s33, v17
	v_cmp_ge_u32_e64 s[0:1], v17, v10
	s_and_b64 s[2:3], vcc, s[0:1]
	s_and_saveexec_b64 s[0:1], s[2:3]
	s_cbranch_execz .LBB2941_72
; %bb.71:
	v_readfirstlane_b32 s2, v14
	v_readfirstlane_b32 s3, v1
	s_waitcnt lgkmcnt(1)
	s_nop 3
	global_store_dwordx2 v20, v[8:9], s[2:3] offset:1536
.LBB2941_72:
	s_or_b64 exec, exec, s[0:1]
	v_cmp_gt_u32_e32 vcc, s33, v16
	v_cmp_ge_u32_e64 s[0:1], v16, v10
	s_and_b64 s[2:3], vcc, s[0:1]
	s_and_saveexec_b64 s[0:1], s[2:3]
	s_cbranch_execz .LBB2941_74
; %bb.73:
	v_readfirstlane_b32 s2, v14
	v_readfirstlane_b32 s3, v1
	s_waitcnt lgkmcnt(0)
	s_nop 3
	global_store_dwordx2 v20, v[2:3], s[2:3] offset:3072
.LBB2941_74:
	s_or_b64 exec, exec, s[0:1]
	v_cmp_gt_u32_e32 vcc, s33, v15
	v_cmp_ge_u32_e64 s[0:1], v15, v10
	s_and_b64 s[0:1], vcc, s[0:1]
.LBB2941_75:
	s_and_saveexec_b64 s[2:3], s[0:1]
	s_cbranch_execz .LBB2941_77
; %bb.76:
	s_waitcnt lgkmcnt(0)
	v_lshlrev_b32_e32 v2, 3, v15
	v_readfirstlane_b32 s0, v14
	v_readfirstlane_b32 s1, v1
	s_nop 4
	global_store_dwordx2 v2, v[4:5], s[0:1]
.LBB2941_77:
	s_or_b64 exec, exec, s[2:3]
	v_cmp_eq_u32_e32 vcc, 0, v0
	s_and_b64 s[0:1], vcc, s[22:23]
	s_and_saveexec_b64 s[2:3], s[0:1]
	s_cbranch_execz .LBB2941_79
; %bb.78:
	v_mov_b32_e32 v0, 0
	global_store_dwordx2 v0, v[12:13], s[20:21]
.LBB2941_79:
	s_endpgm
.LBB2941_80:
	v_readfirstlane_b32 s0, v14
	v_readfirstlane_b32 s1, v1
	s_waitcnt lgkmcnt(1)
	s_nop 3
	global_store_dwordx2 v20, v[6:7], s[0:1]
	s_or_b64 exec, exec, s[2:3]
	v_cmp_ge_u32_e32 vcc, v17, v10
	s_and_saveexec_b64 s[0:1], vcc
	s_cbranch_execz .LBB2941_64
.LBB2941_81:
	v_readfirstlane_b32 s2, v14
	v_readfirstlane_b32 s3, v1
	s_waitcnt lgkmcnt(1)
	s_nop 3
	global_store_dwordx2 v20, v[8:9], s[2:3] offset:1536
	s_or_b64 exec, exec, s[0:1]
	v_cmp_ge_u32_e32 vcc, v16, v10
	s_and_saveexec_b64 s[0:1], vcc
	s_cbranch_execnz .LBB2941_65
	s_branch .LBB2941_66
	.section	.rodata,"a",@progbits
	.p2align	6, 0x0
	.amdhsa_kernel _ZN7rocprim17ROCPRIM_400000_NS6detail17trampoline_kernelINS0_14default_configENS1_25partition_config_selectorILNS1_17partition_subalgoE1EyNS0_10empty_typeEbEEZZNS1_14partition_implILS5_1ELb0ES3_jN6thrust23THRUST_200600_302600_NS6detail15normal_iteratorINSA_10device_ptrIyEEEEPS6_NSA_18transform_iteratorI7is_evenIyESF_NSA_11use_defaultESK_EENS0_5tupleIJNSA_16discard_iteratorISK_EESF_EEENSM_IJSG_SG_EEES6_PlJS6_EEE10hipError_tPvRmT3_T4_T5_T6_T7_T9_mT8_P12ihipStream_tbDpT10_ENKUlT_T0_E_clISt17integral_constantIbLb0EES1B_EEDaS16_S17_EUlS16_E_NS1_11comp_targetILNS1_3genE4ELNS1_11target_archE910ELNS1_3gpuE8ELNS1_3repE0EEENS1_30default_config_static_selectorELNS0_4arch9wavefront6targetE1EEEvT1_
		.amdhsa_group_segment_fixed_size 6344
		.amdhsa_private_segment_fixed_size 0
		.amdhsa_kernarg_size 136
		.amdhsa_user_sgpr_count 6
		.amdhsa_user_sgpr_private_segment_buffer 1
		.amdhsa_user_sgpr_dispatch_ptr 0
		.amdhsa_user_sgpr_queue_ptr 0
		.amdhsa_user_sgpr_kernarg_segment_ptr 1
		.amdhsa_user_sgpr_dispatch_id 0
		.amdhsa_user_sgpr_flat_scratch_init 0
		.amdhsa_user_sgpr_kernarg_preload_length 0
		.amdhsa_user_sgpr_kernarg_preload_offset 0
		.amdhsa_user_sgpr_private_segment_size 0
		.amdhsa_uses_dynamic_stack 0
		.amdhsa_system_sgpr_private_segment_wavefront_offset 0
		.amdhsa_system_sgpr_workgroup_id_x 1
		.amdhsa_system_sgpr_workgroup_id_y 0
		.amdhsa_system_sgpr_workgroup_id_z 0
		.amdhsa_system_sgpr_workgroup_info 0
		.amdhsa_system_vgpr_workitem_id 0
		.amdhsa_next_free_vgpr 43
		.amdhsa_next_free_sgpr 44
		.amdhsa_accum_offset 44
		.amdhsa_reserve_vcc 1
		.amdhsa_reserve_flat_scratch 0
		.amdhsa_float_round_mode_32 0
		.amdhsa_float_round_mode_16_64 0
		.amdhsa_float_denorm_mode_32 3
		.amdhsa_float_denorm_mode_16_64 3
		.amdhsa_dx10_clamp 1
		.amdhsa_ieee_mode 1
		.amdhsa_fp16_overflow 0
		.amdhsa_tg_split 0
		.amdhsa_exception_fp_ieee_invalid_op 0
		.amdhsa_exception_fp_denorm_src 0
		.amdhsa_exception_fp_ieee_div_zero 0
		.amdhsa_exception_fp_ieee_overflow 0
		.amdhsa_exception_fp_ieee_underflow 0
		.amdhsa_exception_fp_ieee_inexact 0
		.amdhsa_exception_int_div_zero 0
	.end_amdhsa_kernel
	.section	.text._ZN7rocprim17ROCPRIM_400000_NS6detail17trampoline_kernelINS0_14default_configENS1_25partition_config_selectorILNS1_17partition_subalgoE1EyNS0_10empty_typeEbEEZZNS1_14partition_implILS5_1ELb0ES3_jN6thrust23THRUST_200600_302600_NS6detail15normal_iteratorINSA_10device_ptrIyEEEEPS6_NSA_18transform_iteratorI7is_evenIyESF_NSA_11use_defaultESK_EENS0_5tupleIJNSA_16discard_iteratorISK_EESF_EEENSM_IJSG_SG_EEES6_PlJS6_EEE10hipError_tPvRmT3_T4_T5_T6_T7_T9_mT8_P12ihipStream_tbDpT10_ENKUlT_T0_E_clISt17integral_constantIbLb0EES1B_EEDaS16_S17_EUlS16_E_NS1_11comp_targetILNS1_3genE4ELNS1_11target_archE910ELNS1_3gpuE8ELNS1_3repE0EEENS1_30default_config_static_selectorELNS0_4arch9wavefront6targetE1EEEvT1_,"axG",@progbits,_ZN7rocprim17ROCPRIM_400000_NS6detail17trampoline_kernelINS0_14default_configENS1_25partition_config_selectorILNS1_17partition_subalgoE1EyNS0_10empty_typeEbEEZZNS1_14partition_implILS5_1ELb0ES3_jN6thrust23THRUST_200600_302600_NS6detail15normal_iteratorINSA_10device_ptrIyEEEEPS6_NSA_18transform_iteratorI7is_evenIyESF_NSA_11use_defaultESK_EENS0_5tupleIJNSA_16discard_iteratorISK_EESF_EEENSM_IJSG_SG_EEES6_PlJS6_EEE10hipError_tPvRmT3_T4_T5_T6_T7_T9_mT8_P12ihipStream_tbDpT10_ENKUlT_T0_E_clISt17integral_constantIbLb0EES1B_EEDaS16_S17_EUlS16_E_NS1_11comp_targetILNS1_3genE4ELNS1_11target_archE910ELNS1_3gpuE8ELNS1_3repE0EEENS1_30default_config_static_selectorELNS0_4arch9wavefront6targetE1EEEvT1_,comdat
.Lfunc_end2941:
	.size	_ZN7rocprim17ROCPRIM_400000_NS6detail17trampoline_kernelINS0_14default_configENS1_25partition_config_selectorILNS1_17partition_subalgoE1EyNS0_10empty_typeEbEEZZNS1_14partition_implILS5_1ELb0ES3_jN6thrust23THRUST_200600_302600_NS6detail15normal_iteratorINSA_10device_ptrIyEEEEPS6_NSA_18transform_iteratorI7is_evenIyESF_NSA_11use_defaultESK_EENS0_5tupleIJNSA_16discard_iteratorISK_EESF_EEENSM_IJSG_SG_EEES6_PlJS6_EEE10hipError_tPvRmT3_T4_T5_T6_T7_T9_mT8_P12ihipStream_tbDpT10_ENKUlT_T0_E_clISt17integral_constantIbLb0EES1B_EEDaS16_S17_EUlS16_E_NS1_11comp_targetILNS1_3genE4ELNS1_11target_archE910ELNS1_3gpuE8ELNS1_3repE0EEENS1_30default_config_static_selectorELNS0_4arch9wavefront6targetE1EEEvT1_, .Lfunc_end2941-_ZN7rocprim17ROCPRIM_400000_NS6detail17trampoline_kernelINS0_14default_configENS1_25partition_config_selectorILNS1_17partition_subalgoE1EyNS0_10empty_typeEbEEZZNS1_14partition_implILS5_1ELb0ES3_jN6thrust23THRUST_200600_302600_NS6detail15normal_iteratorINSA_10device_ptrIyEEEEPS6_NSA_18transform_iteratorI7is_evenIyESF_NSA_11use_defaultESK_EENS0_5tupleIJNSA_16discard_iteratorISK_EESF_EEENSM_IJSG_SG_EEES6_PlJS6_EEE10hipError_tPvRmT3_T4_T5_T6_T7_T9_mT8_P12ihipStream_tbDpT10_ENKUlT_T0_E_clISt17integral_constantIbLb0EES1B_EEDaS16_S17_EUlS16_E_NS1_11comp_targetILNS1_3genE4ELNS1_11target_archE910ELNS1_3gpuE8ELNS1_3repE0EEENS1_30default_config_static_selectorELNS0_4arch9wavefront6targetE1EEEvT1_
                                        ; -- End function
	.section	.AMDGPU.csdata,"",@progbits
; Kernel info:
; codeLenInByte = 3948
; NumSgprs: 48
; NumVgprs: 43
; NumAgprs: 0
; TotalNumVgprs: 43
; ScratchSize: 0
; MemoryBound: 0
; FloatMode: 240
; IeeeMode: 1
; LDSByteSize: 6344 bytes/workgroup (compile time only)
; SGPRBlocks: 5
; VGPRBlocks: 5
; NumSGPRsForWavesPerEU: 48
; NumVGPRsForWavesPerEU: 43
; AccumOffset: 44
; Occupancy: 8
; WaveLimiterHint : 1
; COMPUTE_PGM_RSRC2:SCRATCH_EN: 0
; COMPUTE_PGM_RSRC2:USER_SGPR: 6
; COMPUTE_PGM_RSRC2:TRAP_HANDLER: 0
; COMPUTE_PGM_RSRC2:TGID_X_EN: 1
; COMPUTE_PGM_RSRC2:TGID_Y_EN: 0
; COMPUTE_PGM_RSRC2:TGID_Z_EN: 0
; COMPUTE_PGM_RSRC2:TIDIG_COMP_CNT: 0
; COMPUTE_PGM_RSRC3_GFX90A:ACCUM_OFFSET: 10
; COMPUTE_PGM_RSRC3_GFX90A:TG_SPLIT: 0
	.section	.text._ZN7rocprim17ROCPRIM_400000_NS6detail17trampoline_kernelINS0_14default_configENS1_25partition_config_selectorILNS1_17partition_subalgoE1EyNS0_10empty_typeEbEEZZNS1_14partition_implILS5_1ELb0ES3_jN6thrust23THRUST_200600_302600_NS6detail15normal_iteratorINSA_10device_ptrIyEEEEPS6_NSA_18transform_iteratorI7is_evenIyESF_NSA_11use_defaultESK_EENS0_5tupleIJNSA_16discard_iteratorISK_EESF_EEENSM_IJSG_SG_EEES6_PlJS6_EEE10hipError_tPvRmT3_T4_T5_T6_T7_T9_mT8_P12ihipStream_tbDpT10_ENKUlT_T0_E_clISt17integral_constantIbLb0EES1B_EEDaS16_S17_EUlS16_E_NS1_11comp_targetILNS1_3genE3ELNS1_11target_archE908ELNS1_3gpuE7ELNS1_3repE0EEENS1_30default_config_static_selectorELNS0_4arch9wavefront6targetE1EEEvT1_,"axG",@progbits,_ZN7rocprim17ROCPRIM_400000_NS6detail17trampoline_kernelINS0_14default_configENS1_25partition_config_selectorILNS1_17partition_subalgoE1EyNS0_10empty_typeEbEEZZNS1_14partition_implILS5_1ELb0ES3_jN6thrust23THRUST_200600_302600_NS6detail15normal_iteratorINSA_10device_ptrIyEEEEPS6_NSA_18transform_iteratorI7is_evenIyESF_NSA_11use_defaultESK_EENS0_5tupleIJNSA_16discard_iteratorISK_EESF_EEENSM_IJSG_SG_EEES6_PlJS6_EEE10hipError_tPvRmT3_T4_T5_T6_T7_T9_mT8_P12ihipStream_tbDpT10_ENKUlT_T0_E_clISt17integral_constantIbLb0EES1B_EEDaS16_S17_EUlS16_E_NS1_11comp_targetILNS1_3genE3ELNS1_11target_archE908ELNS1_3gpuE7ELNS1_3repE0EEENS1_30default_config_static_selectorELNS0_4arch9wavefront6targetE1EEEvT1_,comdat
	.protected	_ZN7rocprim17ROCPRIM_400000_NS6detail17trampoline_kernelINS0_14default_configENS1_25partition_config_selectorILNS1_17partition_subalgoE1EyNS0_10empty_typeEbEEZZNS1_14partition_implILS5_1ELb0ES3_jN6thrust23THRUST_200600_302600_NS6detail15normal_iteratorINSA_10device_ptrIyEEEEPS6_NSA_18transform_iteratorI7is_evenIyESF_NSA_11use_defaultESK_EENS0_5tupleIJNSA_16discard_iteratorISK_EESF_EEENSM_IJSG_SG_EEES6_PlJS6_EEE10hipError_tPvRmT3_T4_T5_T6_T7_T9_mT8_P12ihipStream_tbDpT10_ENKUlT_T0_E_clISt17integral_constantIbLb0EES1B_EEDaS16_S17_EUlS16_E_NS1_11comp_targetILNS1_3genE3ELNS1_11target_archE908ELNS1_3gpuE7ELNS1_3repE0EEENS1_30default_config_static_selectorELNS0_4arch9wavefront6targetE1EEEvT1_ ; -- Begin function _ZN7rocprim17ROCPRIM_400000_NS6detail17trampoline_kernelINS0_14default_configENS1_25partition_config_selectorILNS1_17partition_subalgoE1EyNS0_10empty_typeEbEEZZNS1_14partition_implILS5_1ELb0ES3_jN6thrust23THRUST_200600_302600_NS6detail15normal_iteratorINSA_10device_ptrIyEEEEPS6_NSA_18transform_iteratorI7is_evenIyESF_NSA_11use_defaultESK_EENS0_5tupleIJNSA_16discard_iteratorISK_EESF_EEENSM_IJSG_SG_EEES6_PlJS6_EEE10hipError_tPvRmT3_T4_T5_T6_T7_T9_mT8_P12ihipStream_tbDpT10_ENKUlT_T0_E_clISt17integral_constantIbLb0EES1B_EEDaS16_S17_EUlS16_E_NS1_11comp_targetILNS1_3genE3ELNS1_11target_archE908ELNS1_3gpuE7ELNS1_3repE0EEENS1_30default_config_static_selectorELNS0_4arch9wavefront6targetE1EEEvT1_
	.globl	_ZN7rocprim17ROCPRIM_400000_NS6detail17trampoline_kernelINS0_14default_configENS1_25partition_config_selectorILNS1_17partition_subalgoE1EyNS0_10empty_typeEbEEZZNS1_14partition_implILS5_1ELb0ES3_jN6thrust23THRUST_200600_302600_NS6detail15normal_iteratorINSA_10device_ptrIyEEEEPS6_NSA_18transform_iteratorI7is_evenIyESF_NSA_11use_defaultESK_EENS0_5tupleIJNSA_16discard_iteratorISK_EESF_EEENSM_IJSG_SG_EEES6_PlJS6_EEE10hipError_tPvRmT3_T4_T5_T6_T7_T9_mT8_P12ihipStream_tbDpT10_ENKUlT_T0_E_clISt17integral_constantIbLb0EES1B_EEDaS16_S17_EUlS16_E_NS1_11comp_targetILNS1_3genE3ELNS1_11target_archE908ELNS1_3gpuE7ELNS1_3repE0EEENS1_30default_config_static_selectorELNS0_4arch9wavefront6targetE1EEEvT1_
	.p2align	8
	.type	_ZN7rocprim17ROCPRIM_400000_NS6detail17trampoline_kernelINS0_14default_configENS1_25partition_config_selectorILNS1_17partition_subalgoE1EyNS0_10empty_typeEbEEZZNS1_14partition_implILS5_1ELb0ES3_jN6thrust23THRUST_200600_302600_NS6detail15normal_iteratorINSA_10device_ptrIyEEEEPS6_NSA_18transform_iteratorI7is_evenIyESF_NSA_11use_defaultESK_EENS0_5tupleIJNSA_16discard_iteratorISK_EESF_EEENSM_IJSG_SG_EEES6_PlJS6_EEE10hipError_tPvRmT3_T4_T5_T6_T7_T9_mT8_P12ihipStream_tbDpT10_ENKUlT_T0_E_clISt17integral_constantIbLb0EES1B_EEDaS16_S17_EUlS16_E_NS1_11comp_targetILNS1_3genE3ELNS1_11target_archE908ELNS1_3gpuE7ELNS1_3repE0EEENS1_30default_config_static_selectorELNS0_4arch9wavefront6targetE1EEEvT1_,@function
_ZN7rocprim17ROCPRIM_400000_NS6detail17trampoline_kernelINS0_14default_configENS1_25partition_config_selectorILNS1_17partition_subalgoE1EyNS0_10empty_typeEbEEZZNS1_14partition_implILS5_1ELb0ES3_jN6thrust23THRUST_200600_302600_NS6detail15normal_iteratorINSA_10device_ptrIyEEEEPS6_NSA_18transform_iteratorI7is_evenIyESF_NSA_11use_defaultESK_EENS0_5tupleIJNSA_16discard_iteratorISK_EESF_EEENSM_IJSG_SG_EEES6_PlJS6_EEE10hipError_tPvRmT3_T4_T5_T6_T7_T9_mT8_P12ihipStream_tbDpT10_ENKUlT_T0_E_clISt17integral_constantIbLb0EES1B_EEDaS16_S17_EUlS16_E_NS1_11comp_targetILNS1_3genE3ELNS1_11target_archE908ELNS1_3gpuE7ELNS1_3repE0EEENS1_30default_config_static_selectorELNS0_4arch9wavefront6targetE1EEEvT1_: ; @_ZN7rocprim17ROCPRIM_400000_NS6detail17trampoline_kernelINS0_14default_configENS1_25partition_config_selectorILNS1_17partition_subalgoE1EyNS0_10empty_typeEbEEZZNS1_14partition_implILS5_1ELb0ES3_jN6thrust23THRUST_200600_302600_NS6detail15normal_iteratorINSA_10device_ptrIyEEEEPS6_NSA_18transform_iteratorI7is_evenIyESF_NSA_11use_defaultESK_EENS0_5tupleIJNSA_16discard_iteratorISK_EESF_EEENSM_IJSG_SG_EEES6_PlJS6_EEE10hipError_tPvRmT3_T4_T5_T6_T7_T9_mT8_P12ihipStream_tbDpT10_ENKUlT_T0_E_clISt17integral_constantIbLb0EES1B_EEDaS16_S17_EUlS16_E_NS1_11comp_targetILNS1_3genE3ELNS1_11target_archE908ELNS1_3gpuE7ELNS1_3repE0EEENS1_30default_config_static_selectorELNS0_4arch9wavefront6targetE1EEEvT1_
; %bb.0:
	.section	.rodata,"a",@progbits
	.p2align	6, 0x0
	.amdhsa_kernel _ZN7rocprim17ROCPRIM_400000_NS6detail17trampoline_kernelINS0_14default_configENS1_25partition_config_selectorILNS1_17partition_subalgoE1EyNS0_10empty_typeEbEEZZNS1_14partition_implILS5_1ELb0ES3_jN6thrust23THRUST_200600_302600_NS6detail15normal_iteratorINSA_10device_ptrIyEEEEPS6_NSA_18transform_iteratorI7is_evenIyESF_NSA_11use_defaultESK_EENS0_5tupleIJNSA_16discard_iteratorISK_EESF_EEENSM_IJSG_SG_EEES6_PlJS6_EEE10hipError_tPvRmT3_T4_T5_T6_T7_T9_mT8_P12ihipStream_tbDpT10_ENKUlT_T0_E_clISt17integral_constantIbLb0EES1B_EEDaS16_S17_EUlS16_E_NS1_11comp_targetILNS1_3genE3ELNS1_11target_archE908ELNS1_3gpuE7ELNS1_3repE0EEENS1_30default_config_static_selectorELNS0_4arch9wavefront6targetE1EEEvT1_
		.amdhsa_group_segment_fixed_size 0
		.amdhsa_private_segment_fixed_size 0
		.amdhsa_kernarg_size 136
		.amdhsa_user_sgpr_count 6
		.amdhsa_user_sgpr_private_segment_buffer 1
		.amdhsa_user_sgpr_dispatch_ptr 0
		.amdhsa_user_sgpr_queue_ptr 0
		.amdhsa_user_sgpr_kernarg_segment_ptr 1
		.amdhsa_user_sgpr_dispatch_id 0
		.amdhsa_user_sgpr_flat_scratch_init 0
		.amdhsa_user_sgpr_kernarg_preload_length 0
		.amdhsa_user_sgpr_kernarg_preload_offset 0
		.amdhsa_user_sgpr_private_segment_size 0
		.amdhsa_uses_dynamic_stack 0
		.amdhsa_system_sgpr_private_segment_wavefront_offset 0
		.amdhsa_system_sgpr_workgroup_id_x 1
		.amdhsa_system_sgpr_workgroup_id_y 0
		.amdhsa_system_sgpr_workgroup_id_z 0
		.amdhsa_system_sgpr_workgroup_info 0
		.amdhsa_system_vgpr_workitem_id 0
		.amdhsa_next_free_vgpr 1
		.amdhsa_next_free_sgpr 0
		.amdhsa_accum_offset 4
		.amdhsa_reserve_vcc 0
		.amdhsa_reserve_flat_scratch 0
		.amdhsa_float_round_mode_32 0
		.amdhsa_float_round_mode_16_64 0
		.amdhsa_float_denorm_mode_32 3
		.amdhsa_float_denorm_mode_16_64 3
		.amdhsa_dx10_clamp 1
		.amdhsa_ieee_mode 1
		.amdhsa_fp16_overflow 0
		.amdhsa_tg_split 0
		.amdhsa_exception_fp_ieee_invalid_op 0
		.amdhsa_exception_fp_denorm_src 0
		.amdhsa_exception_fp_ieee_div_zero 0
		.amdhsa_exception_fp_ieee_overflow 0
		.amdhsa_exception_fp_ieee_underflow 0
		.amdhsa_exception_fp_ieee_inexact 0
		.amdhsa_exception_int_div_zero 0
	.end_amdhsa_kernel
	.section	.text._ZN7rocprim17ROCPRIM_400000_NS6detail17trampoline_kernelINS0_14default_configENS1_25partition_config_selectorILNS1_17partition_subalgoE1EyNS0_10empty_typeEbEEZZNS1_14partition_implILS5_1ELb0ES3_jN6thrust23THRUST_200600_302600_NS6detail15normal_iteratorINSA_10device_ptrIyEEEEPS6_NSA_18transform_iteratorI7is_evenIyESF_NSA_11use_defaultESK_EENS0_5tupleIJNSA_16discard_iteratorISK_EESF_EEENSM_IJSG_SG_EEES6_PlJS6_EEE10hipError_tPvRmT3_T4_T5_T6_T7_T9_mT8_P12ihipStream_tbDpT10_ENKUlT_T0_E_clISt17integral_constantIbLb0EES1B_EEDaS16_S17_EUlS16_E_NS1_11comp_targetILNS1_3genE3ELNS1_11target_archE908ELNS1_3gpuE7ELNS1_3repE0EEENS1_30default_config_static_selectorELNS0_4arch9wavefront6targetE1EEEvT1_,"axG",@progbits,_ZN7rocprim17ROCPRIM_400000_NS6detail17trampoline_kernelINS0_14default_configENS1_25partition_config_selectorILNS1_17partition_subalgoE1EyNS0_10empty_typeEbEEZZNS1_14partition_implILS5_1ELb0ES3_jN6thrust23THRUST_200600_302600_NS6detail15normal_iteratorINSA_10device_ptrIyEEEEPS6_NSA_18transform_iteratorI7is_evenIyESF_NSA_11use_defaultESK_EENS0_5tupleIJNSA_16discard_iteratorISK_EESF_EEENSM_IJSG_SG_EEES6_PlJS6_EEE10hipError_tPvRmT3_T4_T5_T6_T7_T9_mT8_P12ihipStream_tbDpT10_ENKUlT_T0_E_clISt17integral_constantIbLb0EES1B_EEDaS16_S17_EUlS16_E_NS1_11comp_targetILNS1_3genE3ELNS1_11target_archE908ELNS1_3gpuE7ELNS1_3repE0EEENS1_30default_config_static_selectorELNS0_4arch9wavefront6targetE1EEEvT1_,comdat
.Lfunc_end2942:
	.size	_ZN7rocprim17ROCPRIM_400000_NS6detail17trampoline_kernelINS0_14default_configENS1_25partition_config_selectorILNS1_17partition_subalgoE1EyNS0_10empty_typeEbEEZZNS1_14partition_implILS5_1ELb0ES3_jN6thrust23THRUST_200600_302600_NS6detail15normal_iteratorINSA_10device_ptrIyEEEEPS6_NSA_18transform_iteratorI7is_evenIyESF_NSA_11use_defaultESK_EENS0_5tupleIJNSA_16discard_iteratorISK_EESF_EEENSM_IJSG_SG_EEES6_PlJS6_EEE10hipError_tPvRmT3_T4_T5_T6_T7_T9_mT8_P12ihipStream_tbDpT10_ENKUlT_T0_E_clISt17integral_constantIbLb0EES1B_EEDaS16_S17_EUlS16_E_NS1_11comp_targetILNS1_3genE3ELNS1_11target_archE908ELNS1_3gpuE7ELNS1_3repE0EEENS1_30default_config_static_selectorELNS0_4arch9wavefront6targetE1EEEvT1_, .Lfunc_end2942-_ZN7rocprim17ROCPRIM_400000_NS6detail17trampoline_kernelINS0_14default_configENS1_25partition_config_selectorILNS1_17partition_subalgoE1EyNS0_10empty_typeEbEEZZNS1_14partition_implILS5_1ELb0ES3_jN6thrust23THRUST_200600_302600_NS6detail15normal_iteratorINSA_10device_ptrIyEEEEPS6_NSA_18transform_iteratorI7is_evenIyESF_NSA_11use_defaultESK_EENS0_5tupleIJNSA_16discard_iteratorISK_EESF_EEENSM_IJSG_SG_EEES6_PlJS6_EEE10hipError_tPvRmT3_T4_T5_T6_T7_T9_mT8_P12ihipStream_tbDpT10_ENKUlT_T0_E_clISt17integral_constantIbLb0EES1B_EEDaS16_S17_EUlS16_E_NS1_11comp_targetILNS1_3genE3ELNS1_11target_archE908ELNS1_3gpuE7ELNS1_3repE0EEENS1_30default_config_static_selectorELNS0_4arch9wavefront6targetE1EEEvT1_
                                        ; -- End function
	.section	.AMDGPU.csdata,"",@progbits
; Kernel info:
; codeLenInByte = 0
; NumSgprs: 4
; NumVgprs: 0
; NumAgprs: 0
; TotalNumVgprs: 0
; ScratchSize: 0
; MemoryBound: 0
; FloatMode: 240
; IeeeMode: 1
; LDSByteSize: 0 bytes/workgroup (compile time only)
; SGPRBlocks: 0
; VGPRBlocks: 0
; NumSGPRsForWavesPerEU: 4
; NumVGPRsForWavesPerEU: 1
; AccumOffset: 4
; Occupancy: 8
; WaveLimiterHint : 0
; COMPUTE_PGM_RSRC2:SCRATCH_EN: 0
; COMPUTE_PGM_RSRC2:USER_SGPR: 6
; COMPUTE_PGM_RSRC2:TRAP_HANDLER: 0
; COMPUTE_PGM_RSRC2:TGID_X_EN: 1
; COMPUTE_PGM_RSRC2:TGID_Y_EN: 0
; COMPUTE_PGM_RSRC2:TGID_Z_EN: 0
; COMPUTE_PGM_RSRC2:TIDIG_COMP_CNT: 0
; COMPUTE_PGM_RSRC3_GFX90A:ACCUM_OFFSET: 0
; COMPUTE_PGM_RSRC3_GFX90A:TG_SPLIT: 0
	.section	.text._ZN7rocprim17ROCPRIM_400000_NS6detail17trampoline_kernelINS0_14default_configENS1_25partition_config_selectorILNS1_17partition_subalgoE1EyNS0_10empty_typeEbEEZZNS1_14partition_implILS5_1ELb0ES3_jN6thrust23THRUST_200600_302600_NS6detail15normal_iteratorINSA_10device_ptrIyEEEEPS6_NSA_18transform_iteratorI7is_evenIyESF_NSA_11use_defaultESK_EENS0_5tupleIJNSA_16discard_iteratorISK_EESF_EEENSM_IJSG_SG_EEES6_PlJS6_EEE10hipError_tPvRmT3_T4_T5_T6_T7_T9_mT8_P12ihipStream_tbDpT10_ENKUlT_T0_E_clISt17integral_constantIbLb0EES1B_EEDaS16_S17_EUlS16_E_NS1_11comp_targetILNS1_3genE2ELNS1_11target_archE906ELNS1_3gpuE6ELNS1_3repE0EEENS1_30default_config_static_selectorELNS0_4arch9wavefront6targetE1EEEvT1_,"axG",@progbits,_ZN7rocprim17ROCPRIM_400000_NS6detail17trampoline_kernelINS0_14default_configENS1_25partition_config_selectorILNS1_17partition_subalgoE1EyNS0_10empty_typeEbEEZZNS1_14partition_implILS5_1ELb0ES3_jN6thrust23THRUST_200600_302600_NS6detail15normal_iteratorINSA_10device_ptrIyEEEEPS6_NSA_18transform_iteratorI7is_evenIyESF_NSA_11use_defaultESK_EENS0_5tupleIJNSA_16discard_iteratorISK_EESF_EEENSM_IJSG_SG_EEES6_PlJS6_EEE10hipError_tPvRmT3_T4_T5_T6_T7_T9_mT8_P12ihipStream_tbDpT10_ENKUlT_T0_E_clISt17integral_constantIbLb0EES1B_EEDaS16_S17_EUlS16_E_NS1_11comp_targetILNS1_3genE2ELNS1_11target_archE906ELNS1_3gpuE6ELNS1_3repE0EEENS1_30default_config_static_selectorELNS0_4arch9wavefront6targetE1EEEvT1_,comdat
	.protected	_ZN7rocprim17ROCPRIM_400000_NS6detail17trampoline_kernelINS0_14default_configENS1_25partition_config_selectorILNS1_17partition_subalgoE1EyNS0_10empty_typeEbEEZZNS1_14partition_implILS5_1ELb0ES3_jN6thrust23THRUST_200600_302600_NS6detail15normal_iteratorINSA_10device_ptrIyEEEEPS6_NSA_18transform_iteratorI7is_evenIyESF_NSA_11use_defaultESK_EENS0_5tupleIJNSA_16discard_iteratorISK_EESF_EEENSM_IJSG_SG_EEES6_PlJS6_EEE10hipError_tPvRmT3_T4_T5_T6_T7_T9_mT8_P12ihipStream_tbDpT10_ENKUlT_T0_E_clISt17integral_constantIbLb0EES1B_EEDaS16_S17_EUlS16_E_NS1_11comp_targetILNS1_3genE2ELNS1_11target_archE906ELNS1_3gpuE6ELNS1_3repE0EEENS1_30default_config_static_selectorELNS0_4arch9wavefront6targetE1EEEvT1_ ; -- Begin function _ZN7rocprim17ROCPRIM_400000_NS6detail17trampoline_kernelINS0_14default_configENS1_25partition_config_selectorILNS1_17partition_subalgoE1EyNS0_10empty_typeEbEEZZNS1_14partition_implILS5_1ELb0ES3_jN6thrust23THRUST_200600_302600_NS6detail15normal_iteratorINSA_10device_ptrIyEEEEPS6_NSA_18transform_iteratorI7is_evenIyESF_NSA_11use_defaultESK_EENS0_5tupleIJNSA_16discard_iteratorISK_EESF_EEENSM_IJSG_SG_EEES6_PlJS6_EEE10hipError_tPvRmT3_T4_T5_T6_T7_T9_mT8_P12ihipStream_tbDpT10_ENKUlT_T0_E_clISt17integral_constantIbLb0EES1B_EEDaS16_S17_EUlS16_E_NS1_11comp_targetILNS1_3genE2ELNS1_11target_archE906ELNS1_3gpuE6ELNS1_3repE0EEENS1_30default_config_static_selectorELNS0_4arch9wavefront6targetE1EEEvT1_
	.globl	_ZN7rocprim17ROCPRIM_400000_NS6detail17trampoline_kernelINS0_14default_configENS1_25partition_config_selectorILNS1_17partition_subalgoE1EyNS0_10empty_typeEbEEZZNS1_14partition_implILS5_1ELb0ES3_jN6thrust23THRUST_200600_302600_NS6detail15normal_iteratorINSA_10device_ptrIyEEEEPS6_NSA_18transform_iteratorI7is_evenIyESF_NSA_11use_defaultESK_EENS0_5tupleIJNSA_16discard_iteratorISK_EESF_EEENSM_IJSG_SG_EEES6_PlJS6_EEE10hipError_tPvRmT3_T4_T5_T6_T7_T9_mT8_P12ihipStream_tbDpT10_ENKUlT_T0_E_clISt17integral_constantIbLb0EES1B_EEDaS16_S17_EUlS16_E_NS1_11comp_targetILNS1_3genE2ELNS1_11target_archE906ELNS1_3gpuE6ELNS1_3repE0EEENS1_30default_config_static_selectorELNS0_4arch9wavefront6targetE1EEEvT1_
	.p2align	8
	.type	_ZN7rocprim17ROCPRIM_400000_NS6detail17trampoline_kernelINS0_14default_configENS1_25partition_config_selectorILNS1_17partition_subalgoE1EyNS0_10empty_typeEbEEZZNS1_14partition_implILS5_1ELb0ES3_jN6thrust23THRUST_200600_302600_NS6detail15normal_iteratorINSA_10device_ptrIyEEEEPS6_NSA_18transform_iteratorI7is_evenIyESF_NSA_11use_defaultESK_EENS0_5tupleIJNSA_16discard_iteratorISK_EESF_EEENSM_IJSG_SG_EEES6_PlJS6_EEE10hipError_tPvRmT3_T4_T5_T6_T7_T9_mT8_P12ihipStream_tbDpT10_ENKUlT_T0_E_clISt17integral_constantIbLb0EES1B_EEDaS16_S17_EUlS16_E_NS1_11comp_targetILNS1_3genE2ELNS1_11target_archE906ELNS1_3gpuE6ELNS1_3repE0EEENS1_30default_config_static_selectorELNS0_4arch9wavefront6targetE1EEEvT1_,@function
_ZN7rocprim17ROCPRIM_400000_NS6detail17trampoline_kernelINS0_14default_configENS1_25partition_config_selectorILNS1_17partition_subalgoE1EyNS0_10empty_typeEbEEZZNS1_14partition_implILS5_1ELb0ES3_jN6thrust23THRUST_200600_302600_NS6detail15normal_iteratorINSA_10device_ptrIyEEEEPS6_NSA_18transform_iteratorI7is_evenIyESF_NSA_11use_defaultESK_EENS0_5tupleIJNSA_16discard_iteratorISK_EESF_EEENSM_IJSG_SG_EEES6_PlJS6_EEE10hipError_tPvRmT3_T4_T5_T6_T7_T9_mT8_P12ihipStream_tbDpT10_ENKUlT_T0_E_clISt17integral_constantIbLb0EES1B_EEDaS16_S17_EUlS16_E_NS1_11comp_targetILNS1_3genE2ELNS1_11target_archE906ELNS1_3gpuE6ELNS1_3repE0EEENS1_30default_config_static_selectorELNS0_4arch9wavefront6targetE1EEEvT1_: ; @_ZN7rocprim17ROCPRIM_400000_NS6detail17trampoline_kernelINS0_14default_configENS1_25partition_config_selectorILNS1_17partition_subalgoE1EyNS0_10empty_typeEbEEZZNS1_14partition_implILS5_1ELb0ES3_jN6thrust23THRUST_200600_302600_NS6detail15normal_iteratorINSA_10device_ptrIyEEEEPS6_NSA_18transform_iteratorI7is_evenIyESF_NSA_11use_defaultESK_EENS0_5tupleIJNSA_16discard_iteratorISK_EESF_EEENSM_IJSG_SG_EEES6_PlJS6_EEE10hipError_tPvRmT3_T4_T5_T6_T7_T9_mT8_P12ihipStream_tbDpT10_ENKUlT_T0_E_clISt17integral_constantIbLb0EES1B_EEDaS16_S17_EUlS16_E_NS1_11comp_targetILNS1_3genE2ELNS1_11target_archE906ELNS1_3gpuE6ELNS1_3repE0EEENS1_30default_config_static_selectorELNS0_4arch9wavefront6targetE1EEEvT1_
; %bb.0:
	.section	.rodata,"a",@progbits
	.p2align	6, 0x0
	.amdhsa_kernel _ZN7rocprim17ROCPRIM_400000_NS6detail17trampoline_kernelINS0_14default_configENS1_25partition_config_selectorILNS1_17partition_subalgoE1EyNS0_10empty_typeEbEEZZNS1_14partition_implILS5_1ELb0ES3_jN6thrust23THRUST_200600_302600_NS6detail15normal_iteratorINSA_10device_ptrIyEEEEPS6_NSA_18transform_iteratorI7is_evenIyESF_NSA_11use_defaultESK_EENS0_5tupleIJNSA_16discard_iteratorISK_EESF_EEENSM_IJSG_SG_EEES6_PlJS6_EEE10hipError_tPvRmT3_T4_T5_T6_T7_T9_mT8_P12ihipStream_tbDpT10_ENKUlT_T0_E_clISt17integral_constantIbLb0EES1B_EEDaS16_S17_EUlS16_E_NS1_11comp_targetILNS1_3genE2ELNS1_11target_archE906ELNS1_3gpuE6ELNS1_3repE0EEENS1_30default_config_static_selectorELNS0_4arch9wavefront6targetE1EEEvT1_
		.amdhsa_group_segment_fixed_size 0
		.amdhsa_private_segment_fixed_size 0
		.amdhsa_kernarg_size 136
		.amdhsa_user_sgpr_count 6
		.amdhsa_user_sgpr_private_segment_buffer 1
		.amdhsa_user_sgpr_dispatch_ptr 0
		.amdhsa_user_sgpr_queue_ptr 0
		.amdhsa_user_sgpr_kernarg_segment_ptr 1
		.amdhsa_user_sgpr_dispatch_id 0
		.amdhsa_user_sgpr_flat_scratch_init 0
		.amdhsa_user_sgpr_kernarg_preload_length 0
		.amdhsa_user_sgpr_kernarg_preload_offset 0
		.amdhsa_user_sgpr_private_segment_size 0
		.amdhsa_uses_dynamic_stack 0
		.amdhsa_system_sgpr_private_segment_wavefront_offset 0
		.amdhsa_system_sgpr_workgroup_id_x 1
		.amdhsa_system_sgpr_workgroup_id_y 0
		.amdhsa_system_sgpr_workgroup_id_z 0
		.amdhsa_system_sgpr_workgroup_info 0
		.amdhsa_system_vgpr_workitem_id 0
		.amdhsa_next_free_vgpr 1
		.amdhsa_next_free_sgpr 0
		.amdhsa_accum_offset 4
		.amdhsa_reserve_vcc 0
		.amdhsa_reserve_flat_scratch 0
		.amdhsa_float_round_mode_32 0
		.amdhsa_float_round_mode_16_64 0
		.amdhsa_float_denorm_mode_32 3
		.amdhsa_float_denorm_mode_16_64 3
		.amdhsa_dx10_clamp 1
		.amdhsa_ieee_mode 1
		.amdhsa_fp16_overflow 0
		.amdhsa_tg_split 0
		.amdhsa_exception_fp_ieee_invalid_op 0
		.amdhsa_exception_fp_denorm_src 0
		.amdhsa_exception_fp_ieee_div_zero 0
		.amdhsa_exception_fp_ieee_overflow 0
		.amdhsa_exception_fp_ieee_underflow 0
		.amdhsa_exception_fp_ieee_inexact 0
		.amdhsa_exception_int_div_zero 0
	.end_amdhsa_kernel
	.section	.text._ZN7rocprim17ROCPRIM_400000_NS6detail17trampoline_kernelINS0_14default_configENS1_25partition_config_selectorILNS1_17partition_subalgoE1EyNS0_10empty_typeEbEEZZNS1_14partition_implILS5_1ELb0ES3_jN6thrust23THRUST_200600_302600_NS6detail15normal_iteratorINSA_10device_ptrIyEEEEPS6_NSA_18transform_iteratorI7is_evenIyESF_NSA_11use_defaultESK_EENS0_5tupleIJNSA_16discard_iteratorISK_EESF_EEENSM_IJSG_SG_EEES6_PlJS6_EEE10hipError_tPvRmT3_T4_T5_T6_T7_T9_mT8_P12ihipStream_tbDpT10_ENKUlT_T0_E_clISt17integral_constantIbLb0EES1B_EEDaS16_S17_EUlS16_E_NS1_11comp_targetILNS1_3genE2ELNS1_11target_archE906ELNS1_3gpuE6ELNS1_3repE0EEENS1_30default_config_static_selectorELNS0_4arch9wavefront6targetE1EEEvT1_,"axG",@progbits,_ZN7rocprim17ROCPRIM_400000_NS6detail17trampoline_kernelINS0_14default_configENS1_25partition_config_selectorILNS1_17partition_subalgoE1EyNS0_10empty_typeEbEEZZNS1_14partition_implILS5_1ELb0ES3_jN6thrust23THRUST_200600_302600_NS6detail15normal_iteratorINSA_10device_ptrIyEEEEPS6_NSA_18transform_iteratorI7is_evenIyESF_NSA_11use_defaultESK_EENS0_5tupleIJNSA_16discard_iteratorISK_EESF_EEENSM_IJSG_SG_EEES6_PlJS6_EEE10hipError_tPvRmT3_T4_T5_T6_T7_T9_mT8_P12ihipStream_tbDpT10_ENKUlT_T0_E_clISt17integral_constantIbLb0EES1B_EEDaS16_S17_EUlS16_E_NS1_11comp_targetILNS1_3genE2ELNS1_11target_archE906ELNS1_3gpuE6ELNS1_3repE0EEENS1_30default_config_static_selectorELNS0_4arch9wavefront6targetE1EEEvT1_,comdat
.Lfunc_end2943:
	.size	_ZN7rocprim17ROCPRIM_400000_NS6detail17trampoline_kernelINS0_14default_configENS1_25partition_config_selectorILNS1_17partition_subalgoE1EyNS0_10empty_typeEbEEZZNS1_14partition_implILS5_1ELb0ES3_jN6thrust23THRUST_200600_302600_NS6detail15normal_iteratorINSA_10device_ptrIyEEEEPS6_NSA_18transform_iteratorI7is_evenIyESF_NSA_11use_defaultESK_EENS0_5tupleIJNSA_16discard_iteratorISK_EESF_EEENSM_IJSG_SG_EEES6_PlJS6_EEE10hipError_tPvRmT3_T4_T5_T6_T7_T9_mT8_P12ihipStream_tbDpT10_ENKUlT_T0_E_clISt17integral_constantIbLb0EES1B_EEDaS16_S17_EUlS16_E_NS1_11comp_targetILNS1_3genE2ELNS1_11target_archE906ELNS1_3gpuE6ELNS1_3repE0EEENS1_30default_config_static_selectorELNS0_4arch9wavefront6targetE1EEEvT1_, .Lfunc_end2943-_ZN7rocprim17ROCPRIM_400000_NS6detail17trampoline_kernelINS0_14default_configENS1_25partition_config_selectorILNS1_17partition_subalgoE1EyNS0_10empty_typeEbEEZZNS1_14partition_implILS5_1ELb0ES3_jN6thrust23THRUST_200600_302600_NS6detail15normal_iteratorINSA_10device_ptrIyEEEEPS6_NSA_18transform_iteratorI7is_evenIyESF_NSA_11use_defaultESK_EENS0_5tupleIJNSA_16discard_iteratorISK_EESF_EEENSM_IJSG_SG_EEES6_PlJS6_EEE10hipError_tPvRmT3_T4_T5_T6_T7_T9_mT8_P12ihipStream_tbDpT10_ENKUlT_T0_E_clISt17integral_constantIbLb0EES1B_EEDaS16_S17_EUlS16_E_NS1_11comp_targetILNS1_3genE2ELNS1_11target_archE906ELNS1_3gpuE6ELNS1_3repE0EEENS1_30default_config_static_selectorELNS0_4arch9wavefront6targetE1EEEvT1_
                                        ; -- End function
	.section	.AMDGPU.csdata,"",@progbits
; Kernel info:
; codeLenInByte = 0
; NumSgprs: 4
; NumVgprs: 0
; NumAgprs: 0
; TotalNumVgprs: 0
; ScratchSize: 0
; MemoryBound: 0
; FloatMode: 240
; IeeeMode: 1
; LDSByteSize: 0 bytes/workgroup (compile time only)
; SGPRBlocks: 0
; VGPRBlocks: 0
; NumSGPRsForWavesPerEU: 4
; NumVGPRsForWavesPerEU: 1
; AccumOffset: 4
; Occupancy: 8
; WaveLimiterHint : 0
; COMPUTE_PGM_RSRC2:SCRATCH_EN: 0
; COMPUTE_PGM_RSRC2:USER_SGPR: 6
; COMPUTE_PGM_RSRC2:TRAP_HANDLER: 0
; COMPUTE_PGM_RSRC2:TGID_X_EN: 1
; COMPUTE_PGM_RSRC2:TGID_Y_EN: 0
; COMPUTE_PGM_RSRC2:TGID_Z_EN: 0
; COMPUTE_PGM_RSRC2:TIDIG_COMP_CNT: 0
; COMPUTE_PGM_RSRC3_GFX90A:ACCUM_OFFSET: 0
; COMPUTE_PGM_RSRC3_GFX90A:TG_SPLIT: 0
	.section	.text._ZN7rocprim17ROCPRIM_400000_NS6detail17trampoline_kernelINS0_14default_configENS1_25partition_config_selectorILNS1_17partition_subalgoE1EyNS0_10empty_typeEbEEZZNS1_14partition_implILS5_1ELb0ES3_jN6thrust23THRUST_200600_302600_NS6detail15normal_iteratorINSA_10device_ptrIyEEEEPS6_NSA_18transform_iteratorI7is_evenIyESF_NSA_11use_defaultESK_EENS0_5tupleIJNSA_16discard_iteratorISK_EESF_EEENSM_IJSG_SG_EEES6_PlJS6_EEE10hipError_tPvRmT3_T4_T5_T6_T7_T9_mT8_P12ihipStream_tbDpT10_ENKUlT_T0_E_clISt17integral_constantIbLb0EES1B_EEDaS16_S17_EUlS16_E_NS1_11comp_targetILNS1_3genE10ELNS1_11target_archE1200ELNS1_3gpuE4ELNS1_3repE0EEENS1_30default_config_static_selectorELNS0_4arch9wavefront6targetE1EEEvT1_,"axG",@progbits,_ZN7rocprim17ROCPRIM_400000_NS6detail17trampoline_kernelINS0_14default_configENS1_25partition_config_selectorILNS1_17partition_subalgoE1EyNS0_10empty_typeEbEEZZNS1_14partition_implILS5_1ELb0ES3_jN6thrust23THRUST_200600_302600_NS6detail15normal_iteratorINSA_10device_ptrIyEEEEPS6_NSA_18transform_iteratorI7is_evenIyESF_NSA_11use_defaultESK_EENS0_5tupleIJNSA_16discard_iteratorISK_EESF_EEENSM_IJSG_SG_EEES6_PlJS6_EEE10hipError_tPvRmT3_T4_T5_T6_T7_T9_mT8_P12ihipStream_tbDpT10_ENKUlT_T0_E_clISt17integral_constantIbLb0EES1B_EEDaS16_S17_EUlS16_E_NS1_11comp_targetILNS1_3genE10ELNS1_11target_archE1200ELNS1_3gpuE4ELNS1_3repE0EEENS1_30default_config_static_selectorELNS0_4arch9wavefront6targetE1EEEvT1_,comdat
	.protected	_ZN7rocprim17ROCPRIM_400000_NS6detail17trampoline_kernelINS0_14default_configENS1_25partition_config_selectorILNS1_17partition_subalgoE1EyNS0_10empty_typeEbEEZZNS1_14partition_implILS5_1ELb0ES3_jN6thrust23THRUST_200600_302600_NS6detail15normal_iteratorINSA_10device_ptrIyEEEEPS6_NSA_18transform_iteratorI7is_evenIyESF_NSA_11use_defaultESK_EENS0_5tupleIJNSA_16discard_iteratorISK_EESF_EEENSM_IJSG_SG_EEES6_PlJS6_EEE10hipError_tPvRmT3_T4_T5_T6_T7_T9_mT8_P12ihipStream_tbDpT10_ENKUlT_T0_E_clISt17integral_constantIbLb0EES1B_EEDaS16_S17_EUlS16_E_NS1_11comp_targetILNS1_3genE10ELNS1_11target_archE1200ELNS1_3gpuE4ELNS1_3repE0EEENS1_30default_config_static_selectorELNS0_4arch9wavefront6targetE1EEEvT1_ ; -- Begin function _ZN7rocprim17ROCPRIM_400000_NS6detail17trampoline_kernelINS0_14default_configENS1_25partition_config_selectorILNS1_17partition_subalgoE1EyNS0_10empty_typeEbEEZZNS1_14partition_implILS5_1ELb0ES3_jN6thrust23THRUST_200600_302600_NS6detail15normal_iteratorINSA_10device_ptrIyEEEEPS6_NSA_18transform_iteratorI7is_evenIyESF_NSA_11use_defaultESK_EENS0_5tupleIJNSA_16discard_iteratorISK_EESF_EEENSM_IJSG_SG_EEES6_PlJS6_EEE10hipError_tPvRmT3_T4_T5_T6_T7_T9_mT8_P12ihipStream_tbDpT10_ENKUlT_T0_E_clISt17integral_constantIbLb0EES1B_EEDaS16_S17_EUlS16_E_NS1_11comp_targetILNS1_3genE10ELNS1_11target_archE1200ELNS1_3gpuE4ELNS1_3repE0EEENS1_30default_config_static_selectorELNS0_4arch9wavefront6targetE1EEEvT1_
	.globl	_ZN7rocprim17ROCPRIM_400000_NS6detail17trampoline_kernelINS0_14default_configENS1_25partition_config_selectorILNS1_17partition_subalgoE1EyNS0_10empty_typeEbEEZZNS1_14partition_implILS5_1ELb0ES3_jN6thrust23THRUST_200600_302600_NS6detail15normal_iteratorINSA_10device_ptrIyEEEEPS6_NSA_18transform_iteratorI7is_evenIyESF_NSA_11use_defaultESK_EENS0_5tupleIJNSA_16discard_iteratorISK_EESF_EEENSM_IJSG_SG_EEES6_PlJS6_EEE10hipError_tPvRmT3_T4_T5_T6_T7_T9_mT8_P12ihipStream_tbDpT10_ENKUlT_T0_E_clISt17integral_constantIbLb0EES1B_EEDaS16_S17_EUlS16_E_NS1_11comp_targetILNS1_3genE10ELNS1_11target_archE1200ELNS1_3gpuE4ELNS1_3repE0EEENS1_30default_config_static_selectorELNS0_4arch9wavefront6targetE1EEEvT1_
	.p2align	8
	.type	_ZN7rocprim17ROCPRIM_400000_NS6detail17trampoline_kernelINS0_14default_configENS1_25partition_config_selectorILNS1_17partition_subalgoE1EyNS0_10empty_typeEbEEZZNS1_14partition_implILS5_1ELb0ES3_jN6thrust23THRUST_200600_302600_NS6detail15normal_iteratorINSA_10device_ptrIyEEEEPS6_NSA_18transform_iteratorI7is_evenIyESF_NSA_11use_defaultESK_EENS0_5tupleIJNSA_16discard_iteratorISK_EESF_EEENSM_IJSG_SG_EEES6_PlJS6_EEE10hipError_tPvRmT3_T4_T5_T6_T7_T9_mT8_P12ihipStream_tbDpT10_ENKUlT_T0_E_clISt17integral_constantIbLb0EES1B_EEDaS16_S17_EUlS16_E_NS1_11comp_targetILNS1_3genE10ELNS1_11target_archE1200ELNS1_3gpuE4ELNS1_3repE0EEENS1_30default_config_static_selectorELNS0_4arch9wavefront6targetE1EEEvT1_,@function
_ZN7rocprim17ROCPRIM_400000_NS6detail17trampoline_kernelINS0_14default_configENS1_25partition_config_selectorILNS1_17partition_subalgoE1EyNS0_10empty_typeEbEEZZNS1_14partition_implILS5_1ELb0ES3_jN6thrust23THRUST_200600_302600_NS6detail15normal_iteratorINSA_10device_ptrIyEEEEPS6_NSA_18transform_iteratorI7is_evenIyESF_NSA_11use_defaultESK_EENS0_5tupleIJNSA_16discard_iteratorISK_EESF_EEENSM_IJSG_SG_EEES6_PlJS6_EEE10hipError_tPvRmT3_T4_T5_T6_T7_T9_mT8_P12ihipStream_tbDpT10_ENKUlT_T0_E_clISt17integral_constantIbLb0EES1B_EEDaS16_S17_EUlS16_E_NS1_11comp_targetILNS1_3genE10ELNS1_11target_archE1200ELNS1_3gpuE4ELNS1_3repE0EEENS1_30default_config_static_selectorELNS0_4arch9wavefront6targetE1EEEvT1_: ; @_ZN7rocprim17ROCPRIM_400000_NS6detail17trampoline_kernelINS0_14default_configENS1_25partition_config_selectorILNS1_17partition_subalgoE1EyNS0_10empty_typeEbEEZZNS1_14partition_implILS5_1ELb0ES3_jN6thrust23THRUST_200600_302600_NS6detail15normal_iteratorINSA_10device_ptrIyEEEEPS6_NSA_18transform_iteratorI7is_evenIyESF_NSA_11use_defaultESK_EENS0_5tupleIJNSA_16discard_iteratorISK_EESF_EEENSM_IJSG_SG_EEES6_PlJS6_EEE10hipError_tPvRmT3_T4_T5_T6_T7_T9_mT8_P12ihipStream_tbDpT10_ENKUlT_T0_E_clISt17integral_constantIbLb0EES1B_EEDaS16_S17_EUlS16_E_NS1_11comp_targetILNS1_3genE10ELNS1_11target_archE1200ELNS1_3gpuE4ELNS1_3repE0EEENS1_30default_config_static_selectorELNS0_4arch9wavefront6targetE1EEEvT1_
; %bb.0:
	.section	.rodata,"a",@progbits
	.p2align	6, 0x0
	.amdhsa_kernel _ZN7rocprim17ROCPRIM_400000_NS6detail17trampoline_kernelINS0_14default_configENS1_25partition_config_selectorILNS1_17partition_subalgoE1EyNS0_10empty_typeEbEEZZNS1_14partition_implILS5_1ELb0ES3_jN6thrust23THRUST_200600_302600_NS6detail15normal_iteratorINSA_10device_ptrIyEEEEPS6_NSA_18transform_iteratorI7is_evenIyESF_NSA_11use_defaultESK_EENS0_5tupleIJNSA_16discard_iteratorISK_EESF_EEENSM_IJSG_SG_EEES6_PlJS6_EEE10hipError_tPvRmT3_T4_T5_T6_T7_T9_mT8_P12ihipStream_tbDpT10_ENKUlT_T0_E_clISt17integral_constantIbLb0EES1B_EEDaS16_S17_EUlS16_E_NS1_11comp_targetILNS1_3genE10ELNS1_11target_archE1200ELNS1_3gpuE4ELNS1_3repE0EEENS1_30default_config_static_selectorELNS0_4arch9wavefront6targetE1EEEvT1_
		.amdhsa_group_segment_fixed_size 0
		.amdhsa_private_segment_fixed_size 0
		.amdhsa_kernarg_size 136
		.amdhsa_user_sgpr_count 6
		.amdhsa_user_sgpr_private_segment_buffer 1
		.amdhsa_user_sgpr_dispatch_ptr 0
		.amdhsa_user_sgpr_queue_ptr 0
		.amdhsa_user_sgpr_kernarg_segment_ptr 1
		.amdhsa_user_sgpr_dispatch_id 0
		.amdhsa_user_sgpr_flat_scratch_init 0
		.amdhsa_user_sgpr_kernarg_preload_length 0
		.amdhsa_user_sgpr_kernarg_preload_offset 0
		.amdhsa_user_sgpr_private_segment_size 0
		.amdhsa_uses_dynamic_stack 0
		.amdhsa_system_sgpr_private_segment_wavefront_offset 0
		.amdhsa_system_sgpr_workgroup_id_x 1
		.amdhsa_system_sgpr_workgroup_id_y 0
		.amdhsa_system_sgpr_workgroup_id_z 0
		.amdhsa_system_sgpr_workgroup_info 0
		.amdhsa_system_vgpr_workitem_id 0
		.amdhsa_next_free_vgpr 1
		.amdhsa_next_free_sgpr 0
		.amdhsa_accum_offset 4
		.amdhsa_reserve_vcc 0
		.amdhsa_reserve_flat_scratch 0
		.amdhsa_float_round_mode_32 0
		.amdhsa_float_round_mode_16_64 0
		.amdhsa_float_denorm_mode_32 3
		.amdhsa_float_denorm_mode_16_64 3
		.amdhsa_dx10_clamp 1
		.amdhsa_ieee_mode 1
		.amdhsa_fp16_overflow 0
		.amdhsa_tg_split 0
		.amdhsa_exception_fp_ieee_invalid_op 0
		.amdhsa_exception_fp_denorm_src 0
		.amdhsa_exception_fp_ieee_div_zero 0
		.amdhsa_exception_fp_ieee_overflow 0
		.amdhsa_exception_fp_ieee_underflow 0
		.amdhsa_exception_fp_ieee_inexact 0
		.amdhsa_exception_int_div_zero 0
	.end_amdhsa_kernel
	.section	.text._ZN7rocprim17ROCPRIM_400000_NS6detail17trampoline_kernelINS0_14default_configENS1_25partition_config_selectorILNS1_17partition_subalgoE1EyNS0_10empty_typeEbEEZZNS1_14partition_implILS5_1ELb0ES3_jN6thrust23THRUST_200600_302600_NS6detail15normal_iteratorINSA_10device_ptrIyEEEEPS6_NSA_18transform_iteratorI7is_evenIyESF_NSA_11use_defaultESK_EENS0_5tupleIJNSA_16discard_iteratorISK_EESF_EEENSM_IJSG_SG_EEES6_PlJS6_EEE10hipError_tPvRmT3_T4_T5_T6_T7_T9_mT8_P12ihipStream_tbDpT10_ENKUlT_T0_E_clISt17integral_constantIbLb0EES1B_EEDaS16_S17_EUlS16_E_NS1_11comp_targetILNS1_3genE10ELNS1_11target_archE1200ELNS1_3gpuE4ELNS1_3repE0EEENS1_30default_config_static_selectorELNS0_4arch9wavefront6targetE1EEEvT1_,"axG",@progbits,_ZN7rocprim17ROCPRIM_400000_NS6detail17trampoline_kernelINS0_14default_configENS1_25partition_config_selectorILNS1_17partition_subalgoE1EyNS0_10empty_typeEbEEZZNS1_14partition_implILS5_1ELb0ES3_jN6thrust23THRUST_200600_302600_NS6detail15normal_iteratorINSA_10device_ptrIyEEEEPS6_NSA_18transform_iteratorI7is_evenIyESF_NSA_11use_defaultESK_EENS0_5tupleIJNSA_16discard_iteratorISK_EESF_EEENSM_IJSG_SG_EEES6_PlJS6_EEE10hipError_tPvRmT3_T4_T5_T6_T7_T9_mT8_P12ihipStream_tbDpT10_ENKUlT_T0_E_clISt17integral_constantIbLb0EES1B_EEDaS16_S17_EUlS16_E_NS1_11comp_targetILNS1_3genE10ELNS1_11target_archE1200ELNS1_3gpuE4ELNS1_3repE0EEENS1_30default_config_static_selectorELNS0_4arch9wavefront6targetE1EEEvT1_,comdat
.Lfunc_end2944:
	.size	_ZN7rocprim17ROCPRIM_400000_NS6detail17trampoline_kernelINS0_14default_configENS1_25partition_config_selectorILNS1_17partition_subalgoE1EyNS0_10empty_typeEbEEZZNS1_14partition_implILS5_1ELb0ES3_jN6thrust23THRUST_200600_302600_NS6detail15normal_iteratorINSA_10device_ptrIyEEEEPS6_NSA_18transform_iteratorI7is_evenIyESF_NSA_11use_defaultESK_EENS0_5tupleIJNSA_16discard_iteratorISK_EESF_EEENSM_IJSG_SG_EEES6_PlJS6_EEE10hipError_tPvRmT3_T4_T5_T6_T7_T9_mT8_P12ihipStream_tbDpT10_ENKUlT_T0_E_clISt17integral_constantIbLb0EES1B_EEDaS16_S17_EUlS16_E_NS1_11comp_targetILNS1_3genE10ELNS1_11target_archE1200ELNS1_3gpuE4ELNS1_3repE0EEENS1_30default_config_static_selectorELNS0_4arch9wavefront6targetE1EEEvT1_, .Lfunc_end2944-_ZN7rocprim17ROCPRIM_400000_NS6detail17trampoline_kernelINS0_14default_configENS1_25partition_config_selectorILNS1_17partition_subalgoE1EyNS0_10empty_typeEbEEZZNS1_14partition_implILS5_1ELb0ES3_jN6thrust23THRUST_200600_302600_NS6detail15normal_iteratorINSA_10device_ptrIyEEEEPS6_NSA_18transform_iteratorI7is_evenIyESF_NSA_11use_defaultESK_EENS0_5tupleIJNSA_16discard_iteratorISK_EESF_EEENSM_IJSG_SG_EEES6_PlJS6_EEE10hipError_tPvRmT3_T4_T5_T6_T7_T9_mT8_P12ihipStream_tbDpT10_ENKUlT_T0_E_clISt17integral_constantIbLb0EES1B_EEDaS16_S17_EUlS16_E_NS1_11comp_targetILNS1_3genE10ELNS1_11target_archE1200ELNS1_3gpuE4ELNS1_3repE0EEENS1_30default_config_static_selectorELNS0_4arch9wavefront6targetE1EEEvT1_
                                        ; -- End function
	.section	.AMDGPU.csdata,"",@progbits
; Kernel info:
; codeLenInByte = 0
; NumSgprs: 4
; NumVgprs: 0
; NumAgprs: 0
; TotalNumVgprs: 0
; ScratchSize: 0
; MemoryBound: 0
; FloatMode: 240
; IeeeMode: 1
; LDSByteSize: 0 bytes/workgroup (compile time only)
; SGPRBlocks: 0
; VGPRBlocks: 0
; NumSGPRsForWavesPerEU: 4
; NumVGPRsForWavesPerEU: 1
; AccumOffset: 4
; Occupancy: 8
; WaveLimiterHint : 0
; COMPUTE_PGM_RSRC2:SCRATCH_EN: 0
; COMPUTE_PGM_RSRC2:USER_SGPR: 6
; COMPUTE_PGM_RSRC2:TRAP_HANDLER: 0
; COMPUTE_PGM_RSRC2:TGID_X_EN: 1
; COMPUTE_PGM_RSRC2:TGID_Y_EN: 0
; COMPUTE_PGM_RSRC2:TGID_Z_EN: 0
; COMPUTE_PGM_RSRC2:TIDIG_COMP_CNT: 0
; COMPUTE_PGM_RSRC3_GFX90A:ACCUM_OFFSET: 0
; COMPUTE_PGM_RSRC3_GFX90A:TG_SPLIT: 0
	.section	.text._ZN7rocprim17ROCPRIM_400000_NS6detail17trampoline_kernelINS0_14default_configENS1_25partition_config_selectorILNS1_17partition_subalgoE1EyNS0_10empty_typeEbEEZZNS1_14partition_implILS5_1ELb0ES3_jN6thrust23THRUST_200600_302600_NS6detail15normal_iteratorINSA_10device_ptrIyEEEEPS6_NSA_18transform_iteratorI7is_evenIyESF_NSA_11use_defaultESK_EENS0_5tupleIJNSA_16discard_iteratorISK_EESF_EEENSM_IJSG_SG_EEES6_PlJS6_EEE10hipError_tPvRmT3_T4_T5_T6_T7_T9_mT8_P12ihipStream_tbDpT10_ENKUlT_T0_E_clISt17integral_constantIbLb0EES1B_EEDaS16_S17_EUlS16_E_NS1_11comp_targetILNS1_3genE9ELNS1_11target_archE1100ELNS1_3gpuE3ELNS1_3repE0EEENS1_30default_config_static_selectorELNS0_4arch9wavefront6targetE1EEEvT1_,"axG",@progbits,_ZN7rocprim17ROCPRIM_400000_NS6detail17trampoline_kernelINS0_14default_configENS1_25partition_config_selectorILNS1_17partition_subalgoE1EyNS0_10empty_typeEbEEZZNS1_14partition_implILS5_1ELb0ES3_jN6thrust23THRUST_200600_302600_NS6detail15normal_iteratorINSA_10device_ptrIyEEEEPS6_NSA_18transform_iteratorI7is_evenIyESF_NSA_11use_defaultESK_EENS0_5tupleIJNSA_16discard_iteratorISK_EESF_EEENSM_IJSG_SG_EEES6_PlJS6_EEE10hipError_tPvRmT3_T4_T5_T6_T7_T9_mT8_P12ihipStream_tbDpT10_ENKUlT_T0_E_clISt17integral_constantIbLb0EES1B_EEDaS16_S17_EUlS16_E_NS1_11comp_targetILNS1_3genE9ELNS1_11target_archE1100ELNS1_3gpuE3ELNS1_3repE0EEENS1_30default_config_static_selectorELNS0_4arch9wavefront6targetE1EEEvT1_,comdat
	.protected	_ZN7rocprim17ROCPRIM_400000_NS6detail17trampoline_kernelINS0_14default_configENS1_25partition_config_selectorILNS1_17partition_subalgoE1EyNS0_10empty_typeEbEEZZNS1_14partition_implILS5_1ELb0ES3_jN6thrust23THRUST_200600_302600_NS6detail15normal_iteratorINSA_10device_ptrIyEEEEPS6_NSA_18transform_iteratorI7is_evenIyESF_NSA_11use_defaultESK_EENS0_5tupleIJNSA_16discard_iteratorISK_EESF_EEENSM_IJSG_SG_EEES6_PlJS6_EEE10hipError_tPvRmT3_T4_T5_T6_T7_T9_mT8_P12ihipStream_tbDpT10_ENKUlT_T0_E_clISt17integral_constantIbLb0EES1B_EEDaS16_S17_EUlS16_E_NS1_11comp_targetILNS1_3genE9ELNS1_11target_archE1100ELNS1_3gpuE3ELNS1_3repE0EEENS1_30default_config_static_selectorELNS0_4arch9wavefront6targetE1EEEvT1_ ; -- Begin function _ZN7rocprim17ROCPRIM_400000_NS6detail17trampoline_kernelINS0_14default_configENS1_25partition_config_selectorILNS1_17partition_subalgoE1EyNS0_10empty_typeEbEEZZNS1_14partition_implILS5_1ELb0ES3_jN6thrust23THRUST_200600_302600_NS6detail15normal_iteratorINSA_10device_ptrIyEEEEPS6_NSA_18transform_iteratorI7is_evenIyESF_NSA_11use_defaultESK_EENS0_5tupleIJNSA_16discard_iteratorISK_EESF_EEENSM_IJSG_SG_EEES6_PlJS6_EEE10hipError_tPvRmT3_T4_T5_T6_T7_T9_mT8_P12ihipStream_tbDpT10_ENKUlT_T0_E_clISt17integral_constantIbLb0EES1B_EEDaS16_S17_EUlS16_E_NS1_11comp_targetILNS1_3genE9ELNS1_11target_archE1100ELNS1_3gpuE3ELNS1_3repE0EEENS1_30default_config_static_selectorELNS0_4arch9wavefront6targetE1EEEvT1_
	.globl	_ZN7rocprim17ROCPRIM_400000_NS6detail17trampoline_kernelINS0_14default_configENS1_25partition_config_selectorILNS1_17partition_subalgoE1EyNS0_10empty_typeEbEEZZNS1_14partition_implILS5_1ELb0ES3_jN6thrust23THRUST_200600_302600_NS6detail15normal_iteratorINSA_10device_ptrIyEEEEPS6_NSA_18transform_iteratorI7is_evenIyESF_NSA_11use_defaultESK_EENS0_5tupleIJNSA_16discard_iteratorISK_EESF_EEENSM_IJSG_SG_EEES6_PlJS6_EEE10hipError_tPvRmT3_T4_T5_T6_T7_T9_mT8_P12ihipStream_tbDpT10_ENKUlT_T0_E_clISt17integral_constantIbLb0EES1B_EEDaS16_S17_EUlS16_E_NS1_11comp_targetILNS1_3genE9ELNS1_11target_archE1100ELNS1_3gpuE3ELNS1_3repE0EEENS1_30default_config_static_selectorELNS0_4arch9wavefront6targetE1EEEvT1_
	.p2align	8
	.type	_ZN7rocprim17ROCPRIM_400000_NS6detail17trampoline_kernelINS0_14default_configENS1_25partition_config_selectorILNS1_17partition_subalgoE1EyNS0_10empty_typeEbEEZZNS1_14partition_implILS5_1ELb0ES3_jN6thrust23THRUST_200600_302600_NS6detail15normal_iteratorINSA_10device_ptrIyEEEEPS6_NSA_18transform_iteratorI7is_evenIyESF_NSA_11use_defaultESK_EENS0_5tupleIJNSA_16discard_iteratorISK_EESF_EEENSM_IJSG_SG_EEES6_PlJS6_EEE10hipError_tPvRmT3_T4_T5_T6_T7_T9_mT8_P12ihipStream_tbDpT10_ENKUlT_T0_E_clISt17integral_constantIbLb0EES1B_EEDaS16_S17_EUlS16_E_NS1_11comp_targetILNS1_3genE9ELNS1_11target_archE1100ELNS1_3gpuE3ELNS1_3repE0EEENS1_30default_config_static_selectorELNS0_4arch9wavefront6targetE1EEEvT1_,@function
_ZN7rocprim17ROCPRIM_400000_NS6detail17trampoline_kernelINS0_14default_configENS1_25partition_config_selectorILNS1_17partition_subalgoE1EyNS0_10empty_typeEbEEZZNS1_14partition_implILS5_1ELb0ES3_jN6thrust23THRUST_200600_302600_NS6detail15normal_iteratorINSA_10device_ptrIyEEEEPS6_NSA_18transform_iteratorI7is_evenIyESF_NSA_11use_defaultESK_EENS0_5tupleIJNSA_16discard_iteratorISK_EESF_EEENSM_IJSG_SG_EEES6_PlJS6_EEE10hipError_tPvRmT3_T4_T5_T6_T7_T9_mT8_P12ihipStream_tbDpT10_ENKUlT_T0_E_clISt17integral_constantIbLb0EES1B_EEDaS16_S17_EUlS16_E_NS1_11comp_targetILNS1_3genE9ELNS1_11target_archE1100ELNS1_3gpuE3ELNS1_3repE0EEENS1_30default_config_static_selectorELNS0_4arch9wavefront6targetE1EEEvT1_: ; @_ZN7rocprim17ROCPRIM_400000_NS6detail17trampoline_kernelINS0_14default_configENS1_25partition_config_selectorILNS1_17partition_subalgoE1EyNS0_10empty_typeEbEEZZNS1_14partition_implILS5_1ELb0ES3_jN6thrust23THRUST_200600_302600_NS6detail15normal_iteratorINSA_10device_ptrIyEEEEPS6_NSA_18transform_iteratorI7is_evenIyESF_NSA_11use_defaultESK_EENS0_5tupleIJNSA_16discard_iteratorISK_EESF_EEENSM_IJSG_SG_EEES6_PlJS6_EEE10hipError_tPvRmT3_T4_T5_T6_T7_T9_mT8_P12ihipStream_tbDpT10_ENKUlT_T0_E_clISt17integral_constantIbLb0EES1B_EEDaS16_S17_EUlS16_E_NS1_11comp_targetILNS1_3genE9ELNS1_11target_archE1100ELNS1_3gpuE3ELNS1_3repE0EEENS1_30default_config_static_selectorELNS0_4arch9wavefront6targetE1EEEvT1_
; %bb.0:
	.section	.rodata,"a",@progbits
	.p2align	6, 0x0
	.amdhsa_kernel _ZN7rocprim17ROCPRIM_400000_NS6detail17trampoline_kernelINS0_14default_configENS1_25partition_config_selectorILNS1_17partition_subalgoE1EyNS0_10empty_typeEbEEZZNS1_14partition_implILS5_1ELb0ES3_jN6thrust23THRUST_200600_302600_NS6detail15normal_iteratorINSA_10device_ptrIyEEEEPS6_NSA_18transform_iteratorI7is_evenIyESF_NSA_11use_defaultESK_EENS0_5tupleIJNSA_16discard_iteratorISK_EESF_EEENSM_IJSG_SG_EEES6_PlJS6_EEE10hipError_tPvRmT3_T4_T5_T6_T7_T9_mT8_P12ihipStream_tbDpT10_ENKUlT_T0_E_clISt17integral_constantIbLb0EES1B_EEDaS16_S17_EUlS16_E_NS1_11comp_targetILNS1_3genE9ELNS1_11target_archE1100ELNS1_3gpuE3ELNS1_3repE0EEENS1_30default_config_static_selectorELNS0_4arch9wavefront6targetE1EEEvT1_
		.amdhsa_group_segment_fixed_size 0
		.amdhsa_private_segment_fixed_size 0
		.amdhsa_kernarg_size 136
		.amdhsa_user_sgpr_count 6
		.amdhsa_user_sgpr_private_segment_buffer 1
		.amdhsa_user_sgpr_dispatch_ptr 0
		.amdhsa_user_sgpr_queue_ptr 0
		.amdhsa_user_sgpr_kernarg_segment_ptr 1
		.amdhsa_user_sgpr_dispatch_id 0
		.amdhsa_user_sgpr_flat_scratch_init 0
		.amdhsa_user_sgpr_kernarg_preload_length 0
		.amdhsa_user_sgpr_kernarg_preload_offset 0
		.amdhsa_user_sgpr_private_segment_size 0
		.amdhsa_uses_dynamic_stack 0
		.amdhsa_system_sgpr_private_segment_wavefront_offset 0
		.amdhsa_system_sgpr_workgroup_id_x 1
		.amdhsa_system_sgpr_workgroup_id_y 0
		.amdhsa_system_sgpr_workgroup_id_z 0
		.amdhsa_system_sgpr_workgroup_info 0
		.amdhsa_system_vgpr_workitem_id 0
		.amdhsa_next_free_vgpr 1
		.amdhsa_next_free_sgpr 0
		.amdhsa_accum_offset 4
		.amdhsa_reserve_vcc 0
		.amdhsa_reserve_flat_scratch 0
		.amdhsa_float_round_mode_32 0
		.amdhsa_float_round_mode_16_64 0
		.amdhsa_float_denorm_mode_32 3
		.amdhsa_float_denorm_mode_16_64 3
		.amdhsa_dx10_clamp 1
		.amdhsa_ieee_mode 1
		.amdhsa_fp16_overflow 0
		.amdhsa_tg_split 0
		.amdhsa_exception_fp_ieee_invalid_op 0
		.amdhsa_exception_fp_denorm_src 0
		.amdhsa_exception_fp_ieee_div_zero 0
		.amdhsa_exception_fp_ieee_overflow 0
		.amdhsa_exception_fp_ieee_underflow 0
		.amdhsa_exception_fp_ieee_inexact 0
		.amdhsa_exception_int_div_zero 0
	.end_amdhsa_kernel
	.section	.text._ZN7rocprim17ROCPRIM_400000_NS6detail17trampoline_kernelINS0_14default_configENS1_25partition_config_selectorILNS1_17partition_subalgoE1EyNS0_10empty_typeEbEEZZNS1_14partition_implILS5_1ELb0ES3_jN6thrust23THRUST_200600_302600_NS6detail15normal_iteratorINSA_10device_ptrIyEEEEPS6_NSA_18transform_iteratorI7is_evenIyESF_NSA_11use_defaultESK_EENS0_5tupleIJNSA_16discard_iteratorISK_EESF_EEENSM_IJSG_SG_EEES6_PlJS6_EEE10hipError_tPvRmT3_T4_T5_T6_T7_T9_mT8_P12ihipStream_tbDpT10_ENKUlT_T0_E_clISt17integral_constantIbLb0EES1B_EEDaS16_S17_EUlS16_E_NS1_11comp_targetILNS1_3genE9ELNS1_11target_archE1100ELNS1_3gpuE3ELNS1_3repE0EEENS1_30default_config_static_selectorELNS0_4arch9wavefront6targetE1EEEvT1_,"axG",@progbits,_ZN7rocprim17ROCPRIM_400000_NS6detail17trampoline_kernelINS0_14default_configENS1_25partition_config_selectorILNS1_17partition_subalgoE1EyNS0_10empty_typeEbEEZZNS1_14partition_implILS5_1ELb0ES3_jN6thrust23THRUST_200600_302600_NS6detail15normal_iteratorINSA_10device_ptrIyEEEEPS6_NSA_18transform_iteratorI7is_evenIyESF_NSA_11use_defaultESK_EENS0_5tupleIJNSA_16discard_iteratorISK_EESF_EEENSM_IJSG_SG_EEES6_PlJS6_EEE10hipError_tPvRmT3_T4_T5_T6_T7_T9_mT8_P12ihipStream_tbDpT10_ENKUlT_T0_E_clISt17integral_constantIbLb0EES1B_EEDaS16_S17_EUlS16_E_NS1_11comp_targetILNS1_3genE9ELNS1_11target_archE1100ELNS1_3gpuE3ELNS1_3repE0EEENS1_30default_config_static_selectorELNS0_4arch9wavefront6targetE1EEEvT1_,comdat
.Lfunc_end2945:
	.size	_ZN7rocprim17ROCPRIM_400000_NS6detail17trampoline_kernelINS0_14default_configENS1_25partition_config_selectorILNS1_17partition_subalgoE1EyNS0_10empty_typeEbEEZZNS1_14partition_implILS5_1ELb0ES3_jN6thrust23THRUST_200600_302600_NS6detail15normal_iteratorINSA_10device_ptrIyEEEEPS6_NSA_18transform_iteratorI7is_evenIyESF_NSA_11use_defaultESK_EENS0_5tupleIJNSA_16discard_iteratorISK_EESF_EEENSM_IJSG_SG_EEES6_PlJS6_EEE10hipError_tPvRmT3_T4_T5_T6_T7_T9_mT8_P12ihipStream_tbDpT10_ENKUlT_T0_E_clISt17integral_constantIbLb0EES1B_EEDaS16_S17_EUlS16_E_NS1_11comp_targetILNS1_3genE9ELNS1_11target_archE1100ELNS1_3gpuE3ELNS1_3repE0EEENS1_30default_config_static_selectorELNS0_4arch9wavefront6targetE1EEEvT1_, .Lfunc_end2945-_ZN7rocprim17ROCPRIM_400000_NS6detail17trampoline_kernelINS0_14default_configENS1_25partition_config_selectorILNS1_17partition_subalgoE1EyNS0_10empty_typeEbEEZZNS1_14partition_implILS5_1ELb0ES3_jN6thrust23THRUST_200600_302600_NS6detail15normal_iteratorINSA_10device_ptrIyEEEEPS6_NSA_18transform_iteratorI7is_evenIyESF_NSA_11use_defaultESK_EENS0_5tupleIJNSA_16discard_iteratorISK_EESF_EEENSM_IJSG_SG_EEES6_PlJS6_EEE10hipError_tPvRmT3_T4_T5_T6_T7_T9_mT8_P12ihipStream_tbDpT10_ENKUlT_T0_E_clISt17integral_constantIbLb0EES1B_EEDaS16_S17_EUlS16_E_NS1_11comp_targetILNS1_3genE9ELNS1_11target_archE1100ELNS1_3gpuE3ELNS1_3repE0EEENS1_30default_config_static_selectorELNS0_4arch9wavefront6targetE1EEEvT1_
                                        ; -- End function
	.section	.AMDGPU.csdata,"",@progbits
; Kernel info:
; codeLenInByte = 0
; NumSgprs: 4
; NumVgprs: 0
; NumAgprs: 0
; TotalNumVgprs: 0
; ScratchSize: 0
; MemoryBound: 0
; FloatMode: 240
; IeeeMode: 1
; LDSByteSize: 0 bytes/workgroup (compile time only)
; SGPRBlocks: 0
; VGPRBlocks: 0
; NumSGPRsForWavesPerEU: 4
; NumVGPRsForWavesPerEU: 1
; AccumOffset: 4
; Occupancy: 8
; WaveLimiterHint : 0
; COMPUTE_PGM_RSRC2:SCRATCH_EN: 0
; COMPUTE_PGM_RSRC2:USER_SGPR: 6
; COMPUTE_PGM_RSRC2:TRAP_HANDLER: 0
; COMPUTE_PGM_RSRC2:TGID_X_EN: 1
; COMPUTE_PGM_RSRC2:TGID_Y_EN: 0
; COMPUTE_PGM_RSRC2:TGID_Z_EN: 0
; COMPUTE_PGM_RSRC2:TIDIG_COMP_CNT: 0
; COMPUTE_PGM_RSRC3_GFX90A:ACCUM_OFFSET: 0
; COMPUTE_PGM_RSRC3_GFX90A:TG_SPLIT: 0
	.section	.text._ZN7rocprim17ROCPRIM_400000_NS6detail17trampoline_kernelINS0_14default_configENS1_25partition_config_selectorILNS1_17partition_subalgoE1EyNS0_10empty_typeEbEEZZNS1_14partition_implILS5_1ELb0ES3_jN6thrust23THRUST_200600_302600_NS6detail15normal_iteratorINSA_10device_ptrIyEEEEPS6_NSA_18transform_iteratorI7is_evenIyESF_NSA_11use_defaultESK_EENS0_5tupleIJNSA_16discard_iteratorISK_EESF_EEENSM_IJSG_SG_EEES6_PlJS6_EEE10hipError_tPvRmT3_T4_T5_T6_T7_T9_mT8_P12ihipStream_tbDpT10_ENKUlT_T0_E_clISt17integral_constantIbLb0EES1B_EEDaS16_S17_EUlS16_E_NS1_11comp_targetILNS1_3genE8ELNS1_11target_archE1030ELNS1_3gpuE2ELNS1_3repE0EEENS1_30default_config_static_selectorELNS0_4arch9wavefront6targetE1EEEvT1_,"axG",@progbits,_ZN7rocprim17ROCPRIM_400000_NS6detail17trampoline_kernelINS0_14default_configENS1_25partition_config_selectorILNS1_17partition_subalgoE1EyNS0_10empty_typeEbEEZZNS1_14partition_implILS5_1ELb0ES3_jN6thrust23THRUST_200600_302600_NS6detail15normal_iteratorINSA_10device_ptrIyEEEEPS6_NSA_18transform_iteratorI7is_evenIyESF_NSA_11use_defaultESK_EENS0_5tupleIJNSA_16discard_iteratorISK_EESF_EEENSM_IJSG_SG_EEES6_PlJS6_EEE10hipError_tPvRmT3_T4_T5_T6_T7_T9_mT8_P12ihipStream_tbDpT10_ENKUlT_T0_E_clISt17integral_constantIbLb0EES1B_EEDaS16_S17_EUlS16_E_NS1_11comp_targetILNS1_3genE8ELNS1_11target_archE1030ELNS1_3gpuE2ELNS1_3repE0EEENS1_30default_config_static_selectorELNS0_4arch9wavefront6targetE1EEEvT1_,comdat
	.protected	_ZN7rocprim17ROCPRIM_400000_NS6detail17trampoline_kernelINS0_14default_configENS1_25partition_config_selectorILNS1_17partition_subalgoE1EyNS0_10empty_typeEbEEZZNS1_14partition_implILS5_1ELb0ES3_jN6thrust23THRUST_200600_302600_NS6detail15normal_iteratorINSA_10device_ptrIyEEEEPS6_NSA_18transform_iteratorI7is_evenIyESF_NSA_11use_defaultESK_EENS0_5tupleIJNSA_16discard_iteratorISK_EESF_EEENSM_IJSG_SG_EEES6_PlJS6_EEE10hipError_tPvRmT3_T4_T5_T6_T7_T9_mT8_P12ihipStream_tbDpT10_ENKUlT_T0_E_clISt17integral_constantIbLb0EES1B_EEDaS16_S17_EUlS16_E_NS1_11comp_targetILNS1_3genE8ELNS1_11target_archE1030ELNS1_3gpuE2ELNS1_3repE0EEENS1_30default_config_static_selectorELNS0_4arch9wavefront6targetE1EEEvT1_ ; -- Begin function _ZN7rocprim17ROCPRIM_400000_NS6detail17trampoline_kernelINS0_14default_configENS1_25partition_config_selectorILNS1_17partition_subalgoE1EyNS0_10empty_typeEbEEZZNS1_14partition_implILS5_1ELb0ES3_jN6thrust23THRUST_200600_302600_NS6detail15normal_iteratorINSA_10device_ptrIyEEEEPS6_NSA_18transform_iteratorI7is_evenIyESF_NSA_11use_defaultESK_EENS0_5tupleIJNSA_16discard_iteratorISK_EESF_EEENSM_IJSG_SG_EEES6_PlJS6_EEE10hipError_tPvRmT3_T4_T5_T6_T7_T9_mT8_P12ihipStream_tbDpT10_ENKUlT_T0_E_clISt17integral_constantIbLb0EES1B_EEDaS16_S17_EUlS16_E_NS1_11comp_targetILNS1_3genE8ELNS1_11target_archE1030ELNS1_3gpuE2ELNS1_3repE0EEENS1_30default_config_static_selectorELNS0_4arch9wavefront6targetE1EEEvT1_
	.globl	_ZN7rocprim17ROCPRIM_400000_NS6detail17trampoline_kernelINS0_14default_configENS1_25partition_config_selectorILNS1_17partition_subalgoE1EyNS0_10empty_typeEbEEZZNS1_14partition_implILS5_1ELb0ES3_jN6thrust23THRUST_200600_302600_NS6detail15normal_iteratorINSA_10device_ptrIyEEEEPS6_NSA_18transform_iteratorI7is_evenIyESF_NSA_11use_defaultESK_EENS0_5tupleIJNSA_16discard_iteratorISK_EESF_EEENSM_IJSG_SG_EEES6_PlJS6_EEE10hipError_tPvRmT3_T4_T5_T6_T7_T9_mT8_P12ihipStream_tbDpT10_ENKUlT_T0_E_clISt17integral_constantIbLb0EES1B_EEDaS16_S17_EUlS16_E_NS1_11comp_targetILNS1_3genE8ELNS1_11target_archE1030ELNS1_3gpuE2ELNS1_3repE0EEENS1_30default_config_static_selectorELNS0_4arch9wavefront6targetE1EEEvT1_
	.p2align	8
	.type	_ZN7rocprim17ROCPRIM_400000_NS6detail17trampoline_kernelINS0_14default_configENS1_25partition_config_selectorILNS1_17partition_subalgoE1EyNS0_10empty_typeEbEEZZNS1_14partition_implILS5_1ELb0ES3_jN6thrust23THRUST_200600_302600_NS6detail15normal_iteratorINSA_10device_ptrIyEEEEPS6_NSA_18transform_iteratorI7is_evenIyESF_NSA_11use_defaultESK_EENS0_5tupleIJNSA_16discard_iteratorISK_EESF_EEENSM_IJSG_SG_EEES6_PlJS6_EEE10hipError_tPvRmT3_T4_T5_T6_T7_T9_mT8_P12ihipStream_tbDpT10_ENKUlT_T0_E_clISt17integral_constantIbLb0EES1B_EEDaS16_S17_EUlS16_E_NS1_11comp_targetILNS1_3genE8ELNS1_11target_archE1030ELNS1_3gpuE2ELNS1_3repE0EEENS1_30default_config_static_selectorELNS0_4arch9wavefront6targetE1EEEvT1_,@function
_ZN7rocprim17ROCPRIM_400000_NS6detail17trampoline_kernelINS0_14default_configENS1_25partition_config_selectorILNS1_17partition_subalgoE1EyNS0_10empty_typeEbEEZZNS1_14partition_implILS5_1ELb0ES3_jN6thrust23THRUST_200600_302600_NS6detail15normal_iteratorINSA_10device_ptrIyEEEEPS6_NSA_18transform_iteratorI7is_evenIyESF_NSA_11use_defaultESK_EENS0_5tupleIJNSA_16discard_iteratorISK_EESF_EEENSM_IJSG_SG_EEES6_PlJS6_EEE10hipError_tPvRmT3_T4_T5_T6_T7_T9_mT8_P12ihipStream_tbDpT10_ENKUlT_T0_E_clISt17integral_constantIbLb0EES1B_EEDaS16_S17_EUlS16_E_NS1_11comp_targetILNS1_3genE8ELNS1_11target_archE1030ELNS1_3gpuE2ELNS1_3repE0EEENS1_30default_config_static_selectorELNS0_4arch9wavefront6targetE1EEEvT1_: ; @_ZN7rocprim17ROCPRIM_400000_NS6detail17trampoline_kernelINS0_14default_configENS1_25partition_config_selectorILNS1_17partition_subalgoE1EyNS0_10empty_typeEbEEZZNS1_14partition_implILS5_1ELb0ES3_jN6thrust23THRUST_200600_302600_NS6detail15normal_iteratorINSA_10device_ptrIyEEEEPS6_NSA_18transform_iteratorI7is_evenIyESF_NSA_11use_defaultESK_EENS0_5tupleIJNSA_16discard_iteratorISK_EESF_EEENSM_IJSG_SG_EEES6_PlJS6_EEE10hipError_tPvRmT3_T4_T5_T6_T7_T9_mT8_P12ihipStream_tbDpT10_ENKUlT_T0_E_clISt17integral_constantIbLb0EES1B_EEDaS16_S17_EUlS16_E_NS1_11comp_targetILNS1_3genE8ELNS1_11target_archE1030ELNS1_3gpuE2ELNS1_3repE0EEENS1_30default_config_static_selectorELNS0_4arch9wavefront6targetE1EEEvT1_
; %bb.0:
	.section	.rodata,"a",@progbits
	.p2align	6, 0x0
	.amdhsa_kernel _ZN7rocprim17ROCPRIM_400000_NS6detail17trampoline_kernelINS0_14default_configENS1_25partition_config_selectorILNS1_17partition_subalgoE1EyNS0_10empty_typeEbEEZZNS1_14partition_implILS5_1ELb0ES3_jN6thrust23THRUST_200600_302600_NS6detail15normal_iteratorINSA_10device_ptrIyEEEEPS6_NSA_18transform_iteratorI7is_evenIyESF_NSA_11use_defaultESK_EENS0_5tupleIJNSA_16discard_iteratorISK_EESF_EEENSM_IJSG_SG_EEES6_PlJS6_EEE10hipError_tPvRmT3_T4_T5_T6_T7_T9_mT8_P12ihipStream_tbDpT10_ENKUlT_T0_E_clISt17integral_constantIbLb0EES1B_EEDaS16_S17_EUlS16_E_NS1_11comp_targetILNS1_3genE8ELNS1_11target_archE1030ELNS1_3gpuE2ELNS1_3repE0EEENS1_30default_config_static_selectorELNS0_4arch9wavefront6targetE1EEEvT1_
		.amdhsa_group_segment_fixed_size 0
		.amdhsa_private_segment_fixed_size 0
		.amdhsa_kernarg_size 136
		.amdhsa_user_sgpr_count 6
		.amdhsa_user_sgpr_private_segment_buffer 1
		.amdhsa_user_sgpr_dispatch_ptr 0
		.amdhsa_user_sgpr_queue_ptr 0
		.amdhsa_user_sgpr_kernarg_segment_ptr 1
		.amdhsa_user_sgpr_dispatch_id 0
		.amdhsa_user_sgpr_flat_scratch_init 0
		.amdhsa_user_sgpr_kernarg_preload_length 0
		.amdhsa_user_sgpr_kernarg_preload_offset 0
		.amdhsa_user_sgpr_private_segment_size 0
		.amdhsa_uses_dynamic_stack 0
		.amdhsa_system_sgpr_private_segment_wavefront_offset 0
		.amdhsa_system_sgpr_workgroup_id_x 1
		.amdhsa_system_sgpr_workgroup_id_y 0
		.amdhsa_system_sgpr_workgroup_id_z 0
		.amdhsa_system_sgpr_workgroup_info 0
		.amdhsa_system_vgpr_workitem_id 0
		.amdhsa_next_free_vgpr 1
		.amdhsa_next_free_sgpr 0
		.amdhsa_accum_offset 4
		.amdhsa_reserve_vcc 0
		.amdhsa_reserve_flat_scratch 0
		.amdhsa_float_round_mode_32 0
		.amdhsa_float_round_mode_16_64 0
		.amdhsa_float_denorm_mode_32 3
		.amdhsa_float_denorm_mode_16_64 3
		.amdhsa_dx10_clamp 1
		.amdhsa_ieee_mode 1
		.amdhsa_fp16_overflow 0
		.amdhsa_tg_split 0
		.amdhsa_exception_fp_ieee_invalid_op 0
		.amdhsa_exception_fp_denorm_src 0
		.amdhsa_exception_fp_ieee_div_zero 0
		.amdhsa_exception_fp_ieee_overflow 0
		.amdhsa_exception_fp_ieee_underflow 0
		.amdhsa_exception_fp_ieee_inexact 0
		.amdhsa_exception_int_div_zero 0
	.end_amdhsa_kernel
	.section	.text._ZN7rocprim17ROCPRIM_400000_NS6detail17trampoline_kernelINS0_14default_configENS1_25partition_config_selectorILNS1_17partition_subalgoE1EyNS0_10empty_typeEbEEZZNS1_14partition_implILS5_1ELb0ES3_jN6thrust23THRUST_200600_302600_NS6detail15normal_iteratorINSA_10device_ptrIyEEEEPS6_NSA_18transform_iteratorI7is_evenIyESF_NSA_11use_defaultESK_EENS0_5tupleIJNSA_16discard_iteratorISK_EESF_EEENSM_IJSG_SG_EEES6_PlJS6_EEE10hipError_tPvRmT3_T4_T5_T6_T7_T9_mT8_P12ihipStream_tbDpT10_ENKUlT_T0_E_clISt17integral_constantIbLb0EES1B_EEDaS16_S17_EUlS16_E_NS1_11comp_targetILNS1_3genE8ELNS1_11target_archE1030ELNS1_3gpuE2ELNS1_3repE0EEENS1_30default_config_static_selectorELNS0_4arch9wavefront6targetE1EEEvT1_,"axG",@progbits,_ZN7rocprim17ROCPRIM_400000_NS6detail17trampoline_kernelINS0_14default_configENS1_25partition_config_selectorILNS1_17partition_subalgoE1EyNS0_10empty_typeEbEEZZNS1_14partition_implILS5_1ELb0ES3_jN6thrust23THRUST_200600_302600_NS6detail15normal_iteratorINSA_10device_ptrIyEEEEPS6_NSA_18transform_iteratorI7is_evenIyESF_NSA_11use_defaultESK_EENS0_5tupleIJNSA_16discard_iteratorISK_EESF_EEENSM_IJSG_SG_EEES6_PlJS6_EEE10hipError_tPvRmT3_T4_T5_T6_T7_T9_mT8_P12ihipStream_tbDpT10_ENKUlT_T0_E_clISt17integral_constantIbLb0EES1B_EEDaS16_S17_EUlS16_E_NS1_11comp_targetILNS1_3genE8ELNS1_11target_archE1030ELNS1_3gpuE2ELNS1_3repE0EEENS1_30default_config_static_selectorELNS0_4arch9wavefront6targetE1EEEvT1_,comdat
.Lfunc_end2946:
	.size	_ZN7rocprim17ROCPRIM_400000_NS6detail17trampoline_kernelINS0_14default_configENS1_25partition_config_selectorILNS1_17partition_subalgoE1EyNS0_10empty_typeEbEEZZNS1_14partition_implILS5_1ELb0ES3_jN6thrust23THRUST_200600_302600_NS6detail15normal_iteratorINSA_10device_ptrIyEEEEPS6_NSA_18transform_iteratorI7is_evenIyESF_NSA_11use_defaultESK_EENS0_5tupleIJNSA_16discard_iteratorISK_EESF_EEENSM_IJSG_SG_EEES6_PlJS6_EEE10hipError_tPvRmT3_T4_T5_T6_T7_T9_mT8_P12ihipStream_tbDpT10_ENKUlT_T0_E_clISt17integral_constantIbLb0EES1B_EEDaS16_S17_EUlS16_E_NS1_11comp_targetILNS1_3genE8ELNS1_11target_archE1030ELNS1_3gpuE2ELNS1_3repE0EEENS1_30default_config_static_selectorELNS0_4arch9wavefront6targetE1EEEvT1_, .Lfunc_end2946-_ZN7rocprim17ROCPRIM_400000_NS6detail17trampoline_kernelINS0_14default_configENS1_25partition_config_selectorILNS1_17partition_subalgoE1EyNS0_10empty_typeEbEEZZNS1_14partition_implILS5_1ELb0ES3_jN6thrust23THRUST_200600_302600_NS6detail15normal_iteratorINSA_10device_ptrIyEEEEPS6_NSA_18transform_iteratorI7is_evenIyESF_NSA_11use_defaultESK_EENS0_5tupleIJNSA_16discard_iteratorISK_EESF_EEENSM_IJSG_SG_EEES6_PlJS6_EEE10hipError_tPvRmT3_T4_T5_T6_T7_T9_mT8_P12ihipStream_tbDpT10_ENKUlT_T0_E_clISt17integral_constantIbLb0EES1B_EEDaS16_S17_EUlS16_E_NS1_11comp_targetILNS1_3genE8ELNS1_11target_archE1030ELNS1_3gpuE2ELNS1_3repE0EEENS1_30default_config_static_selectorELNS0_4arch9wavefront6targetE1EEEvT1_
                                        ; -- End function
	.section	.AMDGPU.csdata,"",@progbits
; Kernel info:
; codeLenInByte = 0
; NumSgprs: 4
; NumVgprs: 0
; NumAgprs: 0
; TotalNumVgprs: 0
; ScratchSize: 0
; MemoryBound: 0
; FloatMode: 240
; IeeeMode: 1
; LDSByteSize: 0 bytes/workgroup (compile time only)
; SGPRBlocks: 0
; VGPRBlocks: 0
; NumSGPRsForWavesPerEU: 4
; NumVGPRsForWavesPerEU: 1
; AccumOffset: 4
; Occupancy: 8
; WaveLimiterHint : 0
; COMPUTE_PGM_RSRC2:SCRATCH_EN: 0
; COMPUTE_PGM_RSRC2:USER_SGPR: 6
; COMPUTE_PGM_RSRC2:TRAP_HANDLER: 0
; COMPUTE_PGM_RSRC2:TGID_X_EN: 1
; COMPUTE_PGM_RSRC2:TGID_Y_EN: 0
; COMPUTE_PGM_RSRC2:TGID_Z_EN: 0
; COMPUTE_PGM_RSRC2:TIDIG_COMP_CNT: 0
; COMPUTE_PGM_RSRC3_GFX90A:ACCUM_OFFSET: 0
; COMPUTE_PGM_RSRC3_GFX90A:TG_SPLIT: 0
	.section	.text._ZN7rocprim17ROCPRIM_400000_NS6detail17trampoline_kernelINS0_14default_configENS1_25partition_config_selectorILNS1_17partition_subalgoE1EyNS0_10empty_typeEbEEZZNS1_14partition_implILS5_1ELb0ES3_jN6thrust23THRUST_200600_302600_NS6detail15normal_iteratorINSA_10device_ptrIyEEEEPS6_NSA_18transform_iteratorI7is_evenIyESF_NSA_11use_defaultESK_EENS0_5tupleIJNSA_16discard_iteratorISK_EESF_EEENSM_IJSG_SG_EEES6_PlJS6_EEE10hipError_tPvRmT3_T4_T5_T6_T7_T9_mT8_P12ihipStream_tbDpT10_ENKUlT_T0_E_clISt17integral_constantIbLb1EES1B_EEDaS16_S17_EUlS16_E_NS1_11comp_targetILNS1_3genE0ELNS1_11target_archE4294967295ELNS1_3gpuE0ELNS1_3repE0EEENS1_30default_config_static_selectorELNS0_4arch9wavefront6targetE1EEEvT1_,"axG",@progbits,_ZN7rocprim17ROCPRIM_400000_NS6detail17trampoline_kernelINS0_14default_configENS1_25partition_config_selectorILNS1_17partition_subalgoE1EyNS0_10empty_typeEbEEZZNS1_14partition_implILS5_1ELb0ES3_jN6thrust23THRUST_200600_302600_NS6detail15normal_iteratorINSA_10device_ptrIyEEEEPS6_NSA_18transform_iteratorI7is_evenIyESF_NSA_11use_defaultESK_EENS0_5tupleIJNSA_16discard_iteratorISK_EESF_EEENSM_IJSG_SG_EEES6_PlJS6_EEE10hipError_tPvRmT3_T4_T5_T6_T7_T9_mT8_P12ihipStream_tbDpT10_ENKUlT_T0_E_clISt17integral_constantIbLb1EES1B_EEDaS16_S17_EUlS16_E_NS1_11comp_targetILNS1_3genE0ELNS1_11target_archE4294967295ELNS1_3gpuE0ELNS1_3repE0EEENS1_30default_config_static_selectorELNS0_4arch9wavefront6targetE1EEEvT1_,comdat
	.protected	_ZN7rocprim17ROCPRIM_400000_NS6detail17trampoline_kernelINS0_14default_configENS1_25partition_config_selectorILNS1_17partition_subalgoE1EyNS0_10empty_typeEbEEZZNS1_14partition_implILS5_1ELb0ES3_jN6thrust23THRUST_200600_302600_NS6detail15normal_iteratorINSA_10device_ptrIyEEEEPS6_NSA_18transform_iteratorI7is_evenIyESF_NSA_11use_defaultESK_EENS0_5tupleIJNSA_16discard_iteratorISK_EESF_EEENSM_IJSG_SG_EEES6_PlJS6_EEE10hipError_tPvRmT3_T4_T5_T6_T7_T9_mT8_P12ihipStream_tbDpT10_ENKUlT_T0_E_clISt17integral_constantIbLb1EES1B_EEDaS16_S17_EUlS16_E_NS1_11comp_targetILNS1_3genE0ELNS1_11target_archE4294967295ELNS1_3gpuE0ELNS1_3repE0EEENS1_30default_config_static_selectorELNS0_4arch9wavefront6targetE1EEEvT1_ ; -- Begin function _ZN7rocprim17ROCPRIM_400000_NS6detail17trampoline_kernelINS0_14default_configENS1_25partition_config_selectorILNS1_17partition_subalgoE1EyNS0_10empty_typeEbEEZZNS1_14partition_implILS5_1ELb0ES3_jN6thrust23THRUST_200600_302600_NS6detail15normal_iteratorINSA_10device_ptrIyEEEEPS6_NSA_18transform_iteratorI7is_evenIyESF_NSA_11use_defaultESK_EENS0_5tupleIJNSA_16discard_iteratorISK_EESF_EEENSM_IJSG_SG_EEES6_PlJS6_EEE10hipError_tPvRmT3_T4_T5_T6_T7_T9_mT8_P12ihipStream_tbDpT10_ENKUlT_T0_E_clISt17integral_constantIbLb1EES1B_EEDaS16_S17_EUlS16_E_NS1_11comp_targetILNS1_3genE0ELNS1_11target_archE4294967295ELNS1_3gpuE0ELNS1_3repE0EEENS1_30default_config_static_selectorELNS0_4arch9wavefront6targetE1EEEvT1_
	.globl	_ZN7rocprim17ROCPRIM_400000_NS6detail17trampoline_kernelINS0_14default_configENS1_25partition_config_selectorILNS1_17partition_subalgoE1EyNS0_10empty_typeEbEEZZNS1_14partition_implILS5_1ELb0ES3_jN6thrust23THRUST_200600_302600_NS6detail15normal_iteratorINSA_10device_ptrIyEEEEPS6_NSA_18transform_iteratorI7is_evenIyESF_NSA_11use_defaultESK_EENS0_5tupleIJNSA_16discard_iteratorISK_EESF_EEENSM_IJSG_SG_EEES6_PlJS6_EEE10hipError_tPvRmT3_T4_T5_T6_T7_T9_mT8_P12ihipStream_tbDpT10_ENKUlT_T0_E_clISt17integral_constantIbLb1EES1B_EEDaS16_S17_EUlS16_E_NS1_11comp_targetILNS1_3genE0ELNS1_11target_archE4294967295ELNS1_3gpuE0ELNS1_3repE0EEENS1_30default_config_static_selectorELNS0_4arch9wavefront6targetE1EEEvT1_
	.p2align	8
	.type	_ZN7rocprim17ROCPRIM_400000_NS6detail17trampoline_kernelINS0_14default_configENS1_25partition_config_selectorILNS1_17partition_subalgoE1EyNS0_10empty_typeEbEEZZNS1_14partition_implILS5_1ELb0ES3_jN6thrust23THRUST_200600_302600_NS6detail15normal_iteratorINSA_10device_ptrIyEEEEPS6_NSA_18transform_iteratorI7is_evenIyESF_NSA_11use_defaultESK_EENS0_5tupleIJNSA_16discard_iteratorISK_EESF_EEENSM_IJSG_SG_EEES6_PlJS6_EEE10hipError_tPvRmT3_T4_T5_T6_T7_T9_mT8_P12ihipStream_tbDpT10_ENKUlT_T0_E_clISt17integral_constantIbLb1EES1B_EEDaS16_S17_EUlS16_E_NS1_11comp_targetILNS1_3genE0ELNS1_11target_archE4294967295ELNS1_3gpuE0ELNS1_3repE0EEENS1_30default_config_static_selectorELNS0_4arch9wavefront6targetE1EEEvT1_,@function
_ZN7rocprim17ROCPRIM_400000_NS6detail17trampoline_kernelINS0_14default_configENS1_25partition_config_selectorILNS1_17partition_subalgoE1EyNS0_10empty_typeEbEEZZNS1_14partition_implILS5_1ELb0ES3_jN6thrust23THRUST_200600_302600_NS6detail15normal_iteratorINSA_10device_ptrIyEEEEPS6_NSA_18transform_iteratorI7is_evenIyESF_NSA_11use_defaultESK_EENS0_5tupleIJNSA_16discard_iteratorISK_EESF_EEENSM_IJSG_SG_EEES6_PlJS6_EEE10hipError_tPvRmT3_T4_T5_T6_T7_T9_mT8_P12ihipStream_tbDpT10_ENKUlT_T0_E_clISt17integral_constantIbLb1EES1B_EEDaS16_S17_EUlS16_E_NS1_11comp_targetILNS1_3genE0ELNS1_11target_archE4294967295ELNS1_3gpuE0ELNS1_3repE0EEENS1_30default_config_static_selectorELNS0_4arch9wavefront6targetE1EEEvT1_: ; @_ZN7rocprim17ROCPRIM_400000_NS6detail17trampoline_kernelINS0_14default_configENS1_25partition_config_selectorILNS1_17partition_subalgoE1EyNS0_10empty_typeEbEEZZNS1_14partition_implILS5_1ELb0ES3_jN6thrust23THRUST_200600_302600_NS6detail15normal_iteratorINSA_10device_ptrIyEEEEPS6_NSA_18transform_iteratorI7is_evenIyESF_NSA_11use_defaultESK_EENS0_5tupleIJNSA_16discard_iteratorISK_EESF_EEENSM_IJSG_SG_EEES6_PlJS6_EEE10hipError_tPvRmT3_T4_T5_T6_T7_T9_mT8_P12ihipStream_tbDpT10_ENKUlT_T0_E_clISt17integral_constantIbLb1EES1B_EEDaS16_S17_EUlS16_E_NS1_11comp_targetILNS1_3genE0ELNS1_11target_archE4294967295ELNS1_3gpuE0ELNS1_3repE0EEENS1_30default_config_static_selectorELNS0_4arch9wavefront6targetE1EEEvT1_
; %bb.0:
	.section	.rodata,"a",@progbits
	.p2align	6, 0x0
	.amdhsa_kernel _ZN7rocprim17ROCPRIM_400000_NS6detail17trampoline_kernelINS0_14default_configENS1_25partition_config_selectorILNS1_17partition_subalgoE1EyNS0_10empty_typeEbEEZZNS1_14partition_implILS5_1ELb0ES3_jN6thrust23THRUST_200600_302600_NS6detail15normal_iteratorINSA_10device_ptrIyEEEEPS6_NSA_18transform_iteratorI7is_evenIyESF_NSA_11use_defaultESK_EENS0_5tupleIJNSA_16discard_iteratorISK_EESF_EEENSM_IJSG_SG_EEES6_PlJS6_EEE10hipError_tPvRmT3_T4_T5_T6_T7_T9_mT8_P12ihipStream_tbDpT10_ENKUlT_T0_E_clISt17integral_constantIbLb1EES1B_EEDaS16_S17_EUlS16_E_NS1_11comp_targetILNS1_3genE0ELNS1_11target_archE4294967295ELNS1_3gpuE0ELNS1_3repE0EEENS1_30default_config_static_selectorELNS0_4arch9wavefront6targetE1EEEvT1_
		.amdhsa_group_segment_fixed_size 0
		.amdhsa_private_segment_fixed_size 0
		.amdhsa_kernarg_size 152
		.amdhsa_user_sgpr_count 6
		.amdhsa_user_sgpr_private_segment_buffer 1
		.amdhsa_user_sgpr_dispatch_ptr 0
		.amdhsa_user_sgpr_queue_ptr 0
		.amdhsa_user_sgpr_kernarg_segment_ptr 1
		.amdhsa_user_sgpr_dispatch_id 0
		.amdhsa_user_sgpr_flat_scratch_init 0
		.amdhsa_user_sgpr_kernarg_preload_length 0
		.amdhsa_user_sgpr_kernarg_preload_offset 0
		.amdhsa_user_sgpr_private_segment_size 0
		.amdhsa_uses_dynamic_stack 0
		.amdhsa_system_sgpr_private_segment_wavefront_offset 0
		.amdhsa_system_sgpr_workgroup_id_x 1
		.amdhsa_system_sgpr_workgroup_id_y 0
		.amdhsa_system_sgpr_workgroup_id_z 0
		.amdhsa_system_sgpr_workgroup_info 0
		.amdhsa_system_vgpr_workitem_id 0
		.amdhsa_next_free_vgpr 1
		.amdhsa_next_free_sgpr 0
		.amdhsa_accum_offset 4
		.amdhsa_reserve_vcc 0
		.amdhsa_reserve_flat_scratch 0
		.amdhsa_float_round_mode_32 0
		.amdhsa_float_round_mode_16_64 0
		.amdhsa_float_denorm_mode_32 3
		.amdhsa_float_denorm_mode_16_64 3
		.amdhsa_dx10_clamp 1
		.amdhsa_ieee_mode 1
		.amdhsa_fp16_overflow 0
		.amdhsa_tg_split 0
		.amdhsa_exception_fp_ieee_invalid_op 0
		.amdhsa_exception_fp_denorm_src 0
		.amdhsa_exception_fp_ieee_div_zero 0
		.amdhsa_exception_fp_ieee_overflow 0
		.amdhsa_exception_fp_ieee_underflow 0
		.amdhsa_exception_fp_ieee_inexact 0
		.amdhsa_exception_int_div_zero 0
	.end_amdhsa_kernel
	.section	.text._ZN7rocprim17ROCPRIM_400000_NS6detail17trampoline_kernelINS0_14default_configENS1_25partition_config_selectorILNS1_17partition_subalgoE1EyNS0_10empty_typeEbEEZZNS1_14partition_implILS5_1ELb0ES3_jN6thrust23THRUST_200600_302600_NS6detail15normal_iteratorINSA_10device_ptrIyEEEEPS6_NSA_18transform_iteratorI7is_evenIyESF_NSA_11use_defaultESK_EENS0_5tupleIJNSA_16discard_iteratorISK_EESF_EEENSM_IJSG_SG_EEES6_PlJS6_EEE10hipError_tPvRmT3_T4_T5_T6_T7_T9_mT8_P12ihipStream_tbDpT10_ENKUlT_T0_E_clISt17integral_constantIbLb1EES1B_EEDaS16_S17_EUlS16_E_NS1_11comp_targetILNS1_3genE0ELNS1_11target_archE4294967295ELNS1_3gpuE0ELNS1_3repE0EEENS1_30default_config_static_selectorELNS0_4arch9wavefront6targetE1EEEvT1_,"axG",@progbits,_ZN7rocprim17ROCPRIM_400000_NS6detail17trampoline_kernelINS0_14default_configENS1_25partition_config_selectorILNS1_17partition_subalgoE1EyNS0_10empty_typeEbEEZZNS1_14partition_implILS5_1ELb0ES3_jN6thrust23THRUST_200600_302600_NS6detail15normal_iteratorINSA_10device_ptrIyEEEEPS6_NSA_18transform_iteratorI7is_evenIyESF_NSA_11use_defaultESK_EENS0_5tupleIJNSA_16discard_iteratorISK_EESF_EEENSM_IJSG_SG_EEES6_PlJS6_EEE10hipError_tPvRmT3_T4_T5_T6_T7_T9_mT8_P12ihipStream_tbDpT10_ENKUlT_T0_E_clISt17integral_constantIbLb1EES1B_EEDaS16_S17_EUlS16_E_NS1_11comp_targetILNS1_3genE0ELNS1_11target_archE4294967295ELNS1_3gpuE0ELNS1_3repE0EEENS1_30default_config_static_selectorELNS0_4arch9wavefront6targetE1EEEvT1_,comdat
.Lfunc_end2947:
	.size	_ZN7rocprim17ROCPRIM_400000_NS6detail17trampoline_kernelINS0_14default_configENS1_25partition_config_selectorILNS1_17partition_subalgoE1EyNS0_10empty_typeEbEEZZNS1_14partition_implILS5_1ELb0ES3_jN6thrust23THRUST_200600_302600_NS6detail15normal_iteratorINSA_10device_ptrIyEEEEPS6_NSA_18transform_iteratorI7is_evenIyESF_NSA_11use_defaultESK_EENS0_5tupleIJNSA_16discard_iteratorISK_EESF_EEENSM_IJSG_SG_EEES6_PlJS6_EEE10hipError_tPvRmT3_T4_T5_T6_T7_T9_mT8_P12ihipStream_tbDpT10_ENKUlT_T0_E_clISt17integral_constantIbLb1EES1B_EEDaS16_S17_EUlS16_E_NS1_11comp_targetILNS1_3genE0ELNS1_11target_archE4294967295ELNS1_3gpuE0ELNS1_3repE0EEENS1_30default_config_static_selectorELNS0_4arch9wavefront6targetE1EEEvT1_, .Lfunc_end2947-_ZN7rocprim17ROCPRIM_400000_NS6detail17trampoline_kernelINS0_14default_configENS1_25partition_config_selectorILNS1_17partition_subalgoE1EyNS0_10empty_typeEbEEZZNS1_14partition_implILS5_1ELb0ES3_jN6thrust23THRUST_200600_302600_NS6detail15normal_iteratorINSA_10device_ptrIyEEEEPS6_NSA_18transform_iteratorI7is_evenIyESF_NSA_11use_defaultESK_EENS0_5tupleIJNSA_16discard_iteratorISK_EESF_EEENSM_IJSG_SG_EEES6_PlJS6_EEE10hipError_tPvRmT3_T4_T5_T6_T7_T9_mT8_P12ihipStream_tbDpT10_ENKUlT_T0_E_clISt17integral_constantIbLb1EES1B_EEDaS16_S17_EUlS16_E_NS1_11comp_targetILNS1_3genE0ELNS1_11target_archE4294967295ELNS1_3gpuE0ELNS1_3repE0EEENS1_30default_config_static_selectorELNS0_4arch9wavefront6targetE1EEEvT1_
                                        ; -- End function
	.section	.AMDGPU.csdata,"",@progbits
; Kernel info:
; codeLenInByte = 0
; NumSgprs: 4
; NumVgprs: 0
; NumAgprs: 0
; TotalNumVgprs: 0
; ScratchSize: 0
; MemoryBound: 0
; FloatMode: 240
; IeeeMode: 1
; LDSByteSize: 0 bytes/workgroup (compile time only)
; SGPRBlocks: 0
; VGPRBlocks: 0
; NumSGPRsForWavesPerEU: 4
; NumVGPRsForWavesPerEU: 1
; AccumOffset: 4
; Occupancy: 8
; WaveLimiterHint : 0
; COMPUTE_PGM_RSRC2:SCRATCH_EN: 0
; COMPUTE_PGM_RSRC2:USER_SGPR: 6
; COMPUTE_PGM_RSRC2:TRAP_HANDLER: 0
; COMPUTE_PGM_RSRC2:TGID_X_EN: 1
; COMPUTE_PGM_RSRC2:TGID_Y_EN: 0
; COMPUTE_PGM_RSRC2:TGID_Z_EN: 0
; COMPUTE_PGM_RSRC2:TIDIG_COMP_CNT: 0
; COMPUTE_PGM_RSRC3_GFX90A:ACCUM_OFFSET: 0
; COMPUTE_PGM_RSRC3_GFX90A:TG_SPLIT: 0
	.section	.text._ZN7rocprim17ROCPRIM_400000_NS6detail17trampoline_kernelINS0_14default_configENS1_25partition_config_selectorILNS1_17partition_subalgoE1EyNS0_10empty_typeEbEEZZNS1_14partition_implILS5_1ELb0ES3_jN6thrust23THRUST_200600_302600_NS6detail15normal_iteratorINSA_10device_ptrIyEEEEPS6_NSA_18transform_iteratorI7is_evenIyESF_NSA_11use_defaultESK_EENS0_5tupleIJNSA_16discard_iteratorISK_EESF_EEENSM_IJSG_SG_EEES6_PlJS6_EEE10hipError_tPvRmT3_T4_T5_T6_T7_T9_mT8_P12ihipStream_tbDpT10_ENKUlT_T0_E_clISt17integral_constantIbLb1EES1B_EEDaS16_S17_EUlS16_E_NS1_11comp_targetILNS1_3genE5ELNS1_11target_archE942ELNS1_3gpuE9ELNS1_3repE0EEENS1_30default_config_static_selectorELNS0_4arch9wavefront6targetE1EEEvT1_,"axG",@progbits,_ZN7rocprim17ROCPRIM_400000_NS6detail17trampoline_kernelINS0_14default_configENS1_25partition_config_selectorILNS1_17partition_subalgoE1EyNS0_10empty_typeEbEEZZNS1_14partition_implILS5_1ELb0ES3_jN6thrust23THRUST_200600_302600_NS6detail15normal_iteratorINSA_10device_ptrIyEEEEPS6_NSA_18transform_iteratorI7is_evenIyESF_NSA_11use_defaultESK_EENS0_5tupleIJNSA_16discard_iteratorISK_EESF_EEENSM_IJSG_SG_EEES6_PlJS6_EEE10hipError_tPvRmT3_T4_T5_T6_T7_T9_mT8_P12ihipStream_tbDpT10_ENKUlT_T0_E_clISt17integral_constantIbLb1EES1B_EEDaS16_S17_EUlS16_E_NS1_11comp_targetILNS1_3genE5ELNS1_11target_archE942ELNS1_3gpuE9ELNS1_3repE0EEENS1_30default_config_static_selectorELNS0_4arch9wavefront6targetE1EEEvT1_,comdat
	.protected	_ZN7rocprim17ROCPRIM_400000_NS6detail17trampoline_kernelINS0_14default_configENS1_25partition_config_selectorILNS1_17partition_subalgoE1EyNS0_10empty_typeEbEEZZNS1_14partition_implILS5_1ELb0ES3_jN6thrust23THRUST_200600_302600_NS6detail15normal_iteratorINSA_10device_ptrIyEEEEPS6_NSA_18transform_iteratorI7is_evenIyESF_NSA_11use_defaultESK_EENS0_5tupleIJNSA_16discard_iteratorISK_EESF_EEENSM_IJSG_SG_EEES6_PlJS6_EEE10hipError_tPvRmT3_T4_T5_T6_T7_T9_mT8_P12ihipStream_tbDpT10_ENKUlT_T0_E_clISt17integral_constantIbLb1EES1B_EEDaS16_S17_EUlS16_E_NS1_11comp_targetILNS1_3genE5ELNS1_11target_archE942ELNS1_3gpuE9ELNS1_3repE0EEENS1_30default_config_static_selectorELNS0_4arch9wavefront6targetE1EEEvT1_ ; -- Begin function _ZN7rocprim17ROCPRIM_400000_NS6detail17trampoline_kernelINS0_14default_configENS1_25partition_config_selectorILNS1_17partition_subalgoE1EyNS0_10empty_typeEbEEZZNS1_14partition_implILS5_1ELb0ES3_jN6thrust23THRUST_200600_302600_NS6detail15normal_iteratorINSA_10device_ptrIyEEEEPS6_NSA_18transform_iteratorI7is_evenIyESF_NSA_11use_defaultESK_EENS0_5tupleIJNSA_16discard_iteratorISK_EESF_EEENSM_IJSG_SG_EEES6_PlJS6_EEE10hipError_tPvRmT3_T4_T5_T6_T7_T9_mT8_P12ihipStream_tbDpT10_ENKUlT_T0_E_clISt17integral_constantIbLb1EES1B_EEDaS16_S17_EUlS16_E_NS1_11comp_targetILNS1_3genE5ELNS1_11target_archE942ELNS1_3gpuE9ELNS1_3repE0EEENS1_30default_config_static_selectorELNS0_4arch9wavefront6targetE1EEEvT1_
	.globl	_ZN7rocprim17ROCPRIM_400000_NS6detail17trampoline_kernelINS0_14default_configENS1_25partition_config_selectorILNS1_17partition_subalgoE1EyNS0_10empty_typeEbEEZZNS1_14partition_implILS5_1ELb0ES3_jN6thrust23THRUST_200600_302600_NS6detail15normal_iteratorINSA_10device_ptrIyEEEEPS6_NSA_18transform_iteratorI7is_evenIyESF_NSA_11use_defaultESK_EENS0_5tupleIJNSA_16discard_iteratorISK_EESF_EEENSM_IJSG_SG_EEES6_PlJS6_EEE10hipError_tPvRmT3_T4_T5_T6_T7_T9_mT8_P12ihipStream_tbDpT10_ENKUlT_T0_E_clISt17integral_constantIbLb1EES1B_EEDaS16_S17_EUlS16_E_NS1_11comp_targetILNS1_3genE5ELNS1_11target_archE942ELNS1_3gpuE9ELNS1_3repE0EEENS1_30default_config_static_selectorELNS0_4arch9wavefront6targetE1EEEvT1_
	.p2align	8
	.type	_ZN7rocprim17ROCPRIM_400000_NS6detail17trampoline_kernelINS0_14default_configENS1_25partition_config_selectorILNS1_17partition_subalgoE1EyNS0_10empty_typeEbEEZZNS1_14partition_implILS5_1ELb0ES3_jN6thrust23THRUST_200600_302600_NS6detail15normal_iteratorINSA_10device_ptrIyEEEEPS6_NSA_18transform_iteratorI7is_evenIyESF_NSA_11use_defaultESK_EENS0_5tupleIJNSA_16discard_iteratorISK_EESF_EEENSM_IJSG_SG_EEES6_PlJS6_EEE10hipError_tPvRmT3_T4_T5_T6_T7_T9_mT8_P12ihipStream_tbDpT10_ENKUlT_T0_E_clISt17integral_constantIbLb1EES1B_EEDaS16_S17_EUlS16_E_NS1_11comp_targetILNS1_3genE5ELNS1_11target_archE942ELNS1_3gpuE9ELNS1_3repE0EEENS1_30default_config_static_selectorELNS0_4arch9wavefront6targetE1EEEvT1_,@function
_ZN7rocprim17ROCPRIM_400000_NS6detail17trampoline_kernelINS0_14default_configENS1_25partition_config_selectorILNS1_17partition_subalgoE1EyNS0_10empty_typeEbEEZZNS1_14partition_implILS5_1ELb0ES3_jN6thrust23THRUST_200600_302600_NS6detail15normal_iteratorINSA_10device_ptrIyEEEEPS6_NSA_18transform_iteratorI7is_evenIyESF_NSA_11use_defaultESK_EENS0_5tupleIJNSA_16discard_iteratorISK_EESF_EEENSM_IJSG_SG_EEES6_PlJS6_EEE10hipError_tPvRmT3_T4_T5_T6_T7_T9_mT8_P12ihipStream_tbDpT10_ENKUlT_T0_E_clISt17integral_constantIbLb1EES1B_EEDaS16_S17_EUlS16_E_NS1_11comp_targetILNS1_3genE5ELNS1_11target_archE942ELNS1_3gpuE9ELNS1_3repE0EEENS1_30default_config_static_selectorELNS0_4arch9wavefront6targetE1EEEvT1_: ; @_ZN7rocprim17ROCPRIM_400000_NS6detail17trampoline_kernelINS0_14default_configENS1_25partition_config_selectorILNS1_17partition_subalgoE1EyNS0_10empty_typeEbEEZZNS1_14partition_implILS5_1ELb0ES3_jN6thrust23THRUST_200600_302600_NS6detail15normal_iteratorINSA_10device_ptrIyEEEEPS6_NSA_18transform_iteratorI7is_evenIyESF_NSA_11use_defaultESK_EENS0_5tupleIJNSA_16discard_iteratorISK_EESF_EEENSM_IJSG_SG_EEES6_PlJS6_EEE10hipError_tPvRmT3_T4_T5_T6_T7_T9_mT8_P12ihipStream_tbDpT10_ENKUlT_T0_E_clISt17integral_constantIbLb1EES1B_EEDaS16_S17_EUlS16_E_NS1_11comp_targetILNS1_3genE5ELNS1_11target_archE942ELNS1_3gpuE9ELNS1_3repE0EEENS1_30default_config_static_selectorELNS0_4arch9wavefront6targetE1EEEvT1_
; %bb.0:
	.section	.rodata,"a",@progbits
	.p2align	6, 0x0
	.amdhsa_kernel _ZN7rocprim17ROCPRIM_400000_NS6detail17trampoline_kernelINS0_14default_configENS1_25partition_config_selectorILNS1_17partition_subalgoE1EyNS0_10empty_typeEbEEZZNS1_14partition_implILS5_1ELb0ES3_jN6thrust23THRUST_200600_302600_NS6detail15normal_iteratorINSA_10device_ptrIyEEEEPS6_NSA_18transform_iteratorI7is_evenIyESF_NSA_11use_defaultESK_EENS0_5tupleIJNSA_16discard_iteratorISK_EESF_EEENSM_IJSG_SG_EEES6_PlJS6_EEE10hipError_tPvRmT3_T4_T5_T6_T7_T9_mT8_P12ihipStream_tbDpT10_ENKUlT_T0_E_clISt17integral_constantIbLb1EES1B_EEDaS16_S17_EUlS16_E_NS1_11comp_targetILNS1_3genE5ELNS1_11target_archE942ELNS1_3gpuE9ELNS1_3repE0EEENS1_30default_config_static_selectorELNS0_4arch9wavefront6targetE1EEEvT1_
		.amdhsa_group_segment_fixed_size 0
		.amdhsa_private_segment_fixed_size 0
		.amdhsa_kernarg_size 152
		.amdhsa_user_sgpr_count 6
		.amdhsa_user_sgpr_private_segment_buffer 1
		.amdhsa_user_sgpr_dispatch_ptr 0
		.amdhsa_user_sgpr_queue_ptr 0
		.amdhsa_user_sgpr_kernarg_segment_ptr 1
		.amdhsa_user_sgpr_dispatch_id 0
		.amdhsa_user_sgpr_flat_scratch_init 0
		.amdhsa_user_sgpr_kernarg_preload_length 0
		.amdhsa_user_sgpr_kernarg_preload_offset 0
		.amdhsa_user_sgpr_private_segment_size 0
		.amdhsa_uses_dynamic_stack 0
		.amdhsa_system_sgpr_private_segment_wavefront_offset 0
		.amdhsa_system_sgpr_workgroup_id_x 1
		.amdhsa_system_sgpr_workgroup_id_y 0
		.amdhsa_system_sgpr_workgroup_id_z 0
		.amdhsa_system_sgpr_workgroup_info 0
		.amdhsa_system_vgpr_workitem_id 0
		.amdhsa_next_free_vgpr 1
		.amdhsa_next_free_sgpr 0
		.amdhsa_accum_offset 4
		.amdhsa_reserve_vcc 0
		.amdhsa_reserve_flat_scratch 0
		.amdhsa_float_round_mode_32 0
		.amdhsa_float_round_mode_16_64 0
		.amdhsa_float_denorm_mode_32 3
		.amdhsa_float_denorm_mode_16_64 3
		.amdhsa_dx10_clamp 1
		.amdhsa_ieee_mode 1
		.amdhsa_fp16_overflow 0
		.amdhsa_tg_split 0
		.amdhsa_exception_fp_ieee_invalid_op 0
		.amdhsa_exception_fp_denorm_src 0
		.amdhsa_exception_fp_ieee_div_zero 0
		.amdhsa_exception_fp_ieee_overflow 0
		.amdhsa_exception_fp_ieee_underflow 0
		.amdhsa_exception_fp_ieee_inexact 0
		.amdhsa_exception_int_div_zero 0
	.end_amdhsa_kernel
	.section	.text._ZN7rocprim17ROCPRIM_400000_NS6detail17trampoline_kernelINS0_14default_configENS1_25partition_config_selectorILNS1_17partition_subalgoE1EyNS0_10empty_typeEbEEZZNS1_14partition_implILS5_1ELb0ES3_jN6thrust23THRUST_200600_302600_NS6detail15normal_iteratorINSA_10device_ptrIyEEEEPS6_NSA_18transform_iteratorI7is_evenIyESF_NSA_11use_defaultESK_EENS0_5tupleIJNSA_16discard_iteratorISK_EESF_EEENSM_IJSG_SG_EEES6_PlJS6_EEE10hipError_tPvRmT3_T4_T5_T6_T7_T9_mT8_P12ihipStream_tbDpT10_ENKUlT_T0_E_clISt17integral_constantIbLb1EES1B_EEDaS16_S17_EUlS16_E_NS1_11comp_targetILNS1_3genE5ELNS1_11target_archE942ELNS1_3gpuE9ELNS1_3repE0EEENS1_30default_config_static_selectorELNS0_4arch9wavefront6targetE1EEEvT1_,"axG",@progbits,_ZN7rocprim17ROCPRIM_400000_NS6detail17trampoline_kernelINS0_14default_configENS1_25partition_config_selectorILNS1_17partition_subalgoE1EyNS0_10empty_typeEbEEZZNS1_14partition_implILS5_1ELb0ES3_jN6thrust23THRUST_200600_302600_NS6detail15normal_iteratorINSA_10device_ptrIyEEEEPS6_NSA_18transform_iteratorI7is_evenIyESF_NSA_11use_defaultESK_EENS0_5tupleIJNSA_16discard_iteratorISK_EESF_EEENSM_IJSG_SG_EEES6_PlJS6_EEE10hipError_tPvRmT3_T4_T5_T6_T7_T9_mT8_P12ihipStream_tbDpT10_ENKUlT_T0_E_clISt17integral_constantIbLb1EES1B_EEDaS16_S17_EUlS16_E_NS1_11comp_targetILNS1_3genE5ELNS1_11target_archE942ELNS1_3gpuE9ELNS1_3repE0EEENS1_30default_config_static_selectorELNS0_4arch9wavefront6targetE1EEEvT1_,comdat
.Lfunc_end2948:
	.size	_ZN7rocprim17ROCPRIM_400000_NS6detail17trampoline_kernelINS0_14default_configENS1_25partition_config_selectorILNS1_17partition_subalgoE1EyNS0_10empty_typeEbEEZZNS1_14partition_implILS5_1ELb0ES3_jN6thrust23THRUST_200600_302600_NS6detail15normal_iteratorINSA_10device_ptrIyEEEEPS6_NSA_18transform_iteratorI7is_evenIyESF_NSA_11use_defaultESK_EENS0_5tupleIJNSA_16discard_iteratorISK_EESF_EEENSM_IJSG_SG_EEES6_PlJS6_EEE10hipError_tPvRmT3_T4_T5_T6_T7_T9_mT8_P12ihipStream_tbDpT10_ENKUlT_T0_E_clISt17integral_constantIbLb1EES1B_EEDaS16_S17_EUlS16_E_NS1_11comp_targetILNS1_3genE5ELNS1_11target_archE942ELNS1_3gpuE9ELNS1_3repE0EEENS1_30default_config_static_selectorELNS0_4arch9wavefront6targetE1EEEvT1_, .Lfunc_end2948-_ZN7rocprim17ROCPRIM_400000_NS6detail17trampoline_kernelINS0_14default_configENS1_25partition_config_selectorILNS1_17partition_subalgoE1EyNS0_10empty_typeEbEEZZNS1_14partition_implILS5_1ELb0ES3_jN6thrust23THRUST_200600_302600_NS6detail15normal_iteratorINSA_10device_ptrIyEEEEPS6_NSA_18transform_iteratorI7is_evenIyESF_NSA_11use_defaultESK_EENS0_5tupleIJNSA_16discard_iteratorISK_EESF_EEENSM_IJSG_SG_EEES6_PlJS6_EEE10hipError_tPvRmT3_T4_T5_T6_T7_T9_mT8_P12ihipStream_tbDpT10_ENKUlT_T0_E_clISt17integral_constantIbLb1EES1B_EEDaS16_S17_EUlS16_E_NS1_11comp_targetILNS1_3genE5ELNS1_11target_archE942ELNS1_3gpuE9ELNS1_3repE0EEENS1_30default_config_static_selectorELNS0_4arch9wavefront6targetE1EEEvT1_
                                        ; -- End function
	.section	.AMDGPU.csdata,"",@progbits
; Kernel info:
; codeLenInByte = 0
; NumSgprs: 4
; NumVgprs: 0
; NumAgprs: 0
; TotalNumVgprs: 0
; ScratchSize: 0
; MemoryBound: 0
; FloatMode: 240
; IeeeMode: 1
; LDSByteSize: 0 bytes/workgroup (compile time only)
; SGPRBlocks: 0
; VGPRBlocks: 0
; NumSGPRsForWavesPerEU: 4
; NumVGPRsForWavesPerEU: 1
; AccumOffset: 4
; Occupancy: 8
; WaveLimiterHint : 0
; COMPUTE_PGM_RSRC2:SCRATCH_EN: 0
; COMPUTE_PGM_RSRC2:USER_SGPR: 6
; COMPUTE_PGM_RSRC2:TRAP_HANDLER: 0
; COMPUTE_PGM_RSRC2:TGID_X_EN: 1
; COMPUTE_PGM_RSRC2:TGID_Y_EN: 0
; COMPUTE_PGM_RSRC2:TGID_Z_EN: 0
; COMPUTE_PGM_RSRC2:TIDIG_COMP_CNT: 0
; COMPUTE_PGM_RSRC3_GFX90A:ACCUM_OFFSET: 0
; COMPUTE_PGM_RSRC3_GFX90A:TG_SPLIT: 0
	.section	.text._ZN7rocprim17ROCPRIM_400000_NS6detail17trampoline_kernelINS0_14default_configENS1_25partition_config_selectorILNS1_17partition_subalgoE1EyNS0_10empty_typeEbEEZZNS1_14partition_implILS5_1ELb0ES3_jN6thrust23THRUST_200600_302600_NS6detail15normal_iteratorINSA_10device_ptrIyEEEEPS6_NSA_18transform_iteratorI7is_evenIyESF_NSA_11use_defaultESK_EENS0_5tupleIJNSA_16discard_iteratorISK_EESF_EEENSM_IJSG_SG_EEES6_PlJS6_EEE10hipError_tPvRmT3_T4_T5_T6_T7_T9_mT8_P12ihipStream_tbDpT10_ENKUlT_T0_E_clISt17integral_constantIbLb1EES1B_EEDaS16_S17_EUlS16_E_NS1_11comp_targetILNS1_3genE4ELNS1_11target_archE910ELNS1_3gpuE8ELNS1_3repE0EEENS1_30default_config_static_selectorELNS0_4arch9wavefront6targetE1EEEvT1_,"axG",@progbits,_ZN7rocprim17ROCPRIM_400000_NS6detail17trampoline_kernelINS0_14default_configENS1_25partition_config_selectorILNS1_17partition_subalgoE1EyNS0_10empty_typeEbEEZZNS1_14partition_implILS5_1ELb0ES3_jN6thrust23THRUST_200600_302600_NS6detail15normal_iteratorINSA_10device_ptrIyEEEEPS6_NSA_18transform_iteratorI7is_evenIyESF_NSA_11use_defaultESK_EENS0_5tupleIJNSA_16discard_iteratorISK_EESF_EEENSM_IJSG_SG_EEES6_PlJS6_EEE10hipError_tPvRmT3_T4_T5_T6_T7_T9_mT8_P12ihipStream_tbDpT10_ENKUlT_T0_E_clISt17integral_constantIbLb1EES1B_EEDaS16_S17_EUlS16_E_NS1_11comp_targetILNS1_3genE4ELNS1_11target_archE910ELNS1_3gpuE8ELNS1_3repE0EEENS1_30default_config_static_selectorELNS0_4arch9wavefront6targetE1EEEvT1_,comdat
	.protected	_ZN7rocprim17ROCPRIM_400000_NS6detail17trampoline_kernelINS0_14default_configENS1_25partition_config_selectorILNS1_17partition_subalgoE1EyNS0_10empty_typeEbEEZZNS1_14partition_implILS5_1ELb0ES3_jN6thrust23THRUST_200600_302600_NS6detail15normal_iteratorINSA_10device_ptrIyEEEEPS6_NSA_18transform_iteratorI7is_evenIyESF_NSA_11use_defaultESK_EENS0_5tupleIJNSA_16discard_iteratorISK_EESF_EEENSM_IJSG_SG_EEES6_PlJS6_EEE10hipError_tPvRmT3_T4_T5_T6_T7_T9_mT8_P12ihipStream_tbDpT10_ENKUlT_T0_E_clISt17integral_constantIbLb1EES1B_EEDaS16_S17_EUlS16_E_NS1_11comp_targetILNS1_3genE4ELNS1_11target_archE910ELNS1_3gpuE8ELNS1_3repE0EEENS1_30default_config_static_selectorELNS0_4arch9wavefront6targetE1EEEvT1_ ; -- Begin function _ZN7rocprim17ROCPRIM_400000_NS6detail17trampoline_kernelINS0_14default_configENS1_25partition_config_selectorILNS1_17partition_subalgoE1EyNS0_10empty_typeEbEEZZNS1_14partition_implILS5_1ELb0ES3_jN6thrust23THRUST_200600_302600_NS6detail15normal_iteratorINSA_10device_ptrIyEEEEPS6_NSA_18transform_iteratorI7is_evenIyESF_NSA_11use_defaultESK_EENS0_5tupleIJNSA_16discard_iteratorISK_EESF_EEENSM_IJSG_SG_EEES6_PlJS6_EEE10hipError_tPvRmT3_T4_T5_T6_T7_T9_mT8_P12ihipStream_tbDpT10_ENKUlT_T0_E_clISt17integral_constantIbLb1EES1B_EEDaS16_S17_EUlS16_E_NS1_11comp_targetILNS1_3genE4ELNS1_11target_archE910ELNS1_3gpuE8ELNS1_3repE0EEENS1_30default_config_static_selectorELNS0_4arch9wavefront6targetE1EEEvT1_
	.globl	_ZN7rocprim17ROCPRIM_400000_NS6detail17trampoline_kernelINS0_14default_configENS1_25partition_config_selectorILNS1_17partition_subalgoE1EyNS0_10empty_typeEbEEZZNS1_14partition_implILS5_1ELb0ES3_jN6thrust23THRUST_200600_302600_NS6detail15normal_iteratorINSA_10device_ptrIyEEEEPS6_NSA_18transform_iteratorI7is_evenIyESF_NSA_11use_defaultESK_EENS0_5tupleIJNSA_16discard_iteratorISK_EESF_EEENSM_IJSG_SG_EEES6_PlJS6_EEE10hipError_tPvRmT3_T4_T5_T6_T7_T9_mT8_P12ihipStream_tbDpT10_ENKUlT_T0_E_clISt17integral_constantIbLb1EES1B_EEDaS16_S17_EUlS16_E_NS1_11comp_targetILNS1_3genE4ELNS1_11target_archE910ELNS1_3gpuE8ELNS1_3repE0EEENS1_30default_config_static_selectorELNS0_4arch9wavefront6targetE1EEEvT1_
	.p2align	8
	.type	_ZN7rocprim17ROCPRIM_400000_NS6detail17trampoline_kernelINS0_14default_configENS1_25partition_config_selectorILNS1_17partition_subalgoE1EyNS0_10empty_typeEbEEZZNS1_14partition_implILS5_1ELb0ES3_jN6thrust23THRUST_200600_302600_NS6detail15normal_iteratorINSA_10device_ptrIyEEEEPS6_NSA_18transform_iteratorI7is_evenIyESF_NSA_11use_defaultESK_EENS0_5tupleIJNSA_16discard_iteratorISK_EESF_EEENSM_IJSG_SG_EEES6_PlJS6_EEE10hipError_tPvRmT3_T4_T5_T6_T7_T9_mT8_P12ihipStream_tbDpT10_ENKUlT_T0_E_clISt17integral_constantIbLb1EES1B_EEDaS16_S17_EUlS16_E_NS1_11comp_targetILNS1_3genE4ELNS1_11target_archE910ELNS1_3gpuE8ELNS1_3repE0EEENS1_30default_config_static_selectorELNS0_4arch9wavefront6targetE1EEEvT1_,@function
_ZN7rocprim17ROCPRIM_400000_NS6detail17trampoline_kernelINS0_14default_configENS1_25partition_config_selectorILNS1_17partition_subalgoE1EyNS0_10empty_typeEbEEZZNS1_14partition_implILS5_1ELb0ES3_jN6thrust23THRUST_200600_302600_NS6detail15normal_iteratorINSA_10device_ptrIyEEEEPS6_NSA_18transform_iteratorI7is_evenIyESF_NSA_11use_defaultESK_EENS0_5tupleIJNSA_16discard_iteratorISK_EESF_EEENSM_IJSG_SG_EEES6_PlJS6_EEE10hipError_tPvRmT3_T4_T5_T6_T7_T9_mT8_P12ihipStream_tbDpT10_ENKUlT_T0_E_clISt17integral_constantIbLb1EES1B_EEDaS16_S17_EUlS16_E_NS1_11comp_targetILNS1_3genE4ELNS1_11target_archE910ELNS1_3gpuE8ELNS1_3repE0EEENS1_30default_config_static_selectorELNS0_4arch9wavefront6targetE1EEEvT1_: ; @_ZN7rocprim17ROCPRIM_400000_NS6detail17trampoline_kernelINS0_14default_configENS1_25partition_config_selectorILNS1_17partition_subalgoE1EyNS0_10empty_typeEbEEZZNS1_14partition_implILS5_1ELb0ES3_jN6thrust23THRUST_200600_302600_NS6detail15normal_iteratorINSA_10device_ptrIyEEEEPS6_NSA_18transform_iteratorI7is_evenIyESF_NSA_11use_defaultESK_EENS0_5tupleIJNSA_16discard_iteratorISK_EESF_EEENSM_IJSG_SG_EEES6_PlJS6_EEE10hipError_tPvRmT3_T4_T5_T6_T7_T9_mT8_P12ihipStream_tbDpT10_ENKUlT_T0_E_clISt17integral_constantIbLb1EES1B_EEDaS16_S17_EUlS16_E_NS1_11comp_targetILNS1_3genE4ELNS1_11target_archE910ELNS1_3gpuE8ELNS1_3repE0EEENS1_30default_config_static_selectorELNS0_4arch9wavefront6targetE1EEEvT1_
; %bb.0:
	s_load_dwordx2 s[6:7], s[4:5], 0x20
	s_load_dwordx2 s[24:25], s[4:5], 0x40
	;; [unrolled: 1-line block ×3, first 2 shown]
	s_load_dwordx4 s[20:23], s[4:5], 0x58
	s_load_dwordx2 s[28:29], s[4:5], 0x78
	v_cmp_eq_u32_e64 s[0:1], 0, v0
	s_and_saveexec_b64 s[8:9], s[0:1]
	s_cbranch_execz .LBB2949_4
; %bb.1:
	s_mov_b64 s[12:13], exec
	v_mbcnt_lo_u32_b32 v1, s12, 0
	v_mbcnt_hi_u32_b32 v1, s13, v1
	v_cmp_eq_u32_e32 vcc, 0, v1
                                        ; implicit-def: $vgpr2
	s_and_saveexec_b64 s[10:11], vcc
	s_cbranch_execz .LBB2949_3
; %bb.2:
	s_load_dwordx2 s[14:15], s[4:5], 0x88
	s_bcnt1_i32_b64 s12, s[12:13]
	v_mov_b32_e32 v2, 0
	v_mov_b32_e32 v3, s12
	s_waitcnt lgkmcnt(0)
	global_atomic_add v2, v2, v3, s[14:15] glc
.LBB2949_3:
	s_or_b64 exec, exec, s[10:11]
	s_waitcnt vmcnt(0)
	v_readfirstlane_b32 s10, v2
	v_add_u32_e32 v1, s10, v1
	v_mov_b32_e32 v2, 0
	ds_write_b32 v2, v1
.LBB2949_4:
	s_or_b64 exec, exec, s[8:9]
	v_mov_b32_e32 v3, 0
	s_load_dwordx4 s[16:19], s[4:5], 0x8
	s_load_dword s8, s[4:5], 0x80
	s_waitcnt lgkmcnt(0)
	s_barrier
	ds_read_b32 v1, v3
	s_waitcnt lgkmcnt(0)
	s_barrier
	global_load_dwordx2 v[10:11], v3, s[22:23]
	v_mov_b32_e32 v5, s3
	s_lshl_b64 s[4:5], s[18:19], 3
	s_movk_i32 s3, 0x300
	s_add_u32 s9, s16, s4
	v_mul_lo_u32 v2, v1, s3
	s_mul_i32 s3, s8, 0x300
	s_addc_u32 s10, s17, s5
	s_add_i32 s11, s8, -1
	s_add_i32 s8, s3, s18
	s_sub_i32 s33, s2, s8
	s_addk_i32 s33, 0x300
	v_mov_b32_e32 v4, s2
	s_add_u32 s2, s18, s3
	v_readfirstlane_b32 s38, v1
	s_addc_u32 s3, s19, 0
	s_cmp_eq_u32 s38, s11
	s_cselect_b64 s[22:23], -1, 0
	s_cmp_lg_u32 s38, s11
	v_cmp_lt_u64_e32 vcc, s[2:3], v[4:5]
	s_cselect_b64 s[2:3], -1, 0
	v_lshlrev_b64 v[12:13], 3, v[2:3]
	s_or_b64 s[26:27], vcc, s[2:3]
	v_mov_b32_e32 v1, s10
	v_add_co_u32_e32 v14, vcc, s9, v12
	v_addc_co_u32_e32 v15, vcc, v1, v13, vcc
	s_mov_b64 s[2:3], -1
	s_and_b64 vcc, exec, s[26:27]
	v_lshlrev_b32_e32 v24, 3, v0
	v_lshrrev_b32_e32 v1, 2, v0
	s_cbranch_vccz .LBB2949_6
; %bb.5:
	v_add_co_u32_e32 v2, vcc, v14, v24
	v_addc_co_u32_e32 v3, vcc, 0, v15, vcc
	v_add_co_u32_e32 v4, vcc, 0x1000, v2
	v_addc_co_u32_e32 v5, vcc, 0, v3, vcc
	flat_load_dwordx2 v[6:7], v[2:3]
	flat_load_dwordx2 v[8:9], v[2:3] offset:1536
	flat_load_dwordx2 v[16:17], v[2:3] offset:3072
	;; [unrolled: 1-line block ×3, first 2 shown]
	v_add_u32_e32 v3, 0xc0, v0
	v_add_u32_e32 v4, 0x180, v0
	;; [unrolled: 1-line block ×3, first 2 shown]
	v_and_b32_e32 v2, 56, v1
	v_lshrrev_b32_e32 v3, 2, v3
	v_lshrrev_b32_e32 v4, 2, v4
	;; [unrolled: 1-line block ×3, first 2 shown]
	v_add_u32_e32 v2, v2, v24
	v_and_b32_e32 v3, 0x78, v3
	v_and_b32_e32 v4, 0xf8, v4
	;; [unrolled: 1-line block ×3, first 2 shown]
	v_add_u32_e32 v3, v3, v24
	v_add_u32_e32 v4, v4, v24
	;; [unrolled: 1-line block ×3, first 2 shown]
	s_mov_b64 s[2:3], 0
	s_waitcnt vmcnt(0) lgkmcnt(0)
	ds_write_b64 v2, v[6:7]
	ds_write_b64 v3, v[8:9] offset:1536
	ds_write_b64 v4, v[16:17] offset:3072
	;; [unrolled: 1-line block ×3, first 2 shown]
	s_waitcnt lgkmcnt(0)
	s_barrier
.LBB2949_6:
	s_andn2_b64 vcc, exec, s[2:3]
	v_cmp_gt_u32_e64 s[2:3], s33, v0
	s_cbranch_vccnz .LBB2949_16
; %bb.7:
                                        ; implicit-def: $vgpr2_vgpr3_vgpr4_vgpr5_vgpr6_vgpr7_vgpr8_vgpr9
	s_and_saveexec_b64 s[8:9], s[2:3]
	s_cbranch_execz .LBB2949_9
; %bb.8:
	v_add_co_u32_e32 v2, vcc, v14, v24
	v_addc_co_u32_e32 v3, vcc, 0, v15, vcc
	flat_load_dwordx2 v[2:3], v[2:3]
.LBB2949_9:
	s_or_b64 exec, exec, s[8:9]
	v_add_u32_e32 v16, 0xc0, v0
	v_cmp_gt_u32_e32 vcc, s33, v16
	s_and_saveexec_b64 s[2:3], vcc
	s_cbranch_execz .LBB2949_11
; %bb.10:
	v_add_co_u32_e32 v4, vcc, v14, v24
	v_addc_co_u32_e32 v5, vcc, 0, v15, vcc
	flat_load_dwordx2 v[4:5], v[4:5] offset:1536
.LBB2949_11:
	s_or_b64 exec, exec, s[2:3]
	v_add_u32_e32 v17, 0x180, v0
	v_cmp_gt_u32_e32 vcc, s33, v17
	s_and_saveexec_b64 s[2:3], vcc
	s_cbranch_execz .LBB2949_13
; %bb.12:
	v_add_co_u32_e32 v6, vcc, v14, v24
	v_addc_co_u32_e32 v7, vcc, 0, v15, vcc
	flat_load_dwordx2 v[6:7], v[6:7] offset:3072
.LBB2949_13:
	s_or_b64 exec, exec, s[2:3]
	v_add_u32_e32 v18, 0x240, v0
	v_cmp_gt_u32_e32 vcc, s33, v18
	s_and_saveexec_b64 s[2:3], vcc
	s_cbranch_execz .LBB2949_15
; %bb.14:
	v_lshlrev_b32_e32 v8, 3, v18
	v_add_co_u32_e32 v8, vcc, v14, v8
	v_addc_co_u32_e32 v9, vcc, 0, v15, vcc
	flat_load_dwordx2 v[8:9], v[8:9]
.LBB2949_15:
	s_or_b64 exec, exec, s[2:3]
	v_and_b32_e32 v1, 56, v1
	v_add_u32_e32 v1, v1, v24
	s_waitcnt vmcnt(0) lgkmcnt(0)
	ds_write_b64 v1, v[2:3]
	v_lshrrev_b32_e32 v1, 2, v16
	v_and_b32_e32 v1, 0x78, v1
	v_add_u32_e32 v1, v1, v24
	ds_write_b64 v1, v[4:5] offset:1536
	v_lshrrev_b32_e32 v1, 2, v17
	v_and_b32_e32 v1, 0xf8, v1
	v_add_u32_e32 v1, v1, v24
	ds_write_b64 v1, v[6:7] offset:3072
	v_lshrrev_b32_e32 v1, 2, v18
	v_and_b32_e32 v1, 0xf8, v1
	v_add_u32_e32 v1, v1, v24
	ds_write_b64 v1, v[8:9] offset:4608
	s_waitcnt lgkmcnt(0)
	s_barrier
.LBB2949_16:
	v_lshlrev_b32_e32 v25, 2, v0
	v_lshrrev_b32_e32 v15, 3, v0
	v_add_lshl_u32 v1, v15, v25, 3
	s_add_u32 s2, s6, s4
	ds_read2_b64 v[6:9], v1 offset1:1
	ds_read2_b64 v[2:5], v1 offset0:2 offset1:3
	s_addc_u32 s3, s7, s5
	v_mov_b32_e32 v1, s3
	v_add_co_u32_e32 v14, vcc, s2, v12
	v_addc_co_u32_e32 v1, vcc, v1, v13, vcc
	s_mov_b64 s[2:3], -1
	s_and_b64 vcc, exec, s[26:27]
	v_lshrrev_b32_e32 v16, 5, v0
	s_waitcnt lgkmcnt(0)
	s_barrier
	s_cbranch_vccz .LBB2949_18
; %bb.17:
	v_add_co_u32_e32 v17, vcc, v14, v24
	v_addc_co_u32_e32 v27, vcc, 0, v1, vcc
	v_add_co_u32_e32 v26, vcc, 0x1000, v17
	v_readfirstlane_b32 s2, v14
	v_readfirstlane_b32 s3, v1
	v_addc_co_u32_e32 v27, vcc, 0, v27, vcc
	s_nop 3
	global_load_dwordx2 v[18:19], v24, s[2:3]
	global_load_dwordx2 v[20:21], v24, s[2:3] offset:1536
	global_load_dwordx2 v[22:23], v24, s[2:3] offset:3072
	s_waitcnt vmcnt(2)
	v_add_u32_e32 v19, 0xc0, v0
	global_load_dwordx2 v[26:27], v[26:27], off offset:512
	s_waitcnt vmcnt(2)
	v_add_u32_e32 v21, 0x180, v0
	s_waitcnt vmcnt(1)
	v_add_u32_e32 v23, 0x240, v0
	v_and_b32_e32 v17, 4, v16
	v_lshrrev_b32_e32 v19, 5, v19
	v_lshrrev_b32_e32 v21, 5, v21
	;; [unrolled: 1-line block ×3, first 2 shown]
	v_add_u32_e32 v17, v17, v0
	v_and_b32_e32 v19, 12, v19
	v_and_b32_e32 v21, 28, v21
	;; [unrolled: 1-line block ×3, first 2 shown]
	v_add_u32_e32 v19, v19, v0
	v_add_u32_e32 v21, v21, v0
	v_add_u32_e32 v23, v23, v0
	s_mov_b64 s[2:3], 0
	v_xor_b32_e32 v18, -1, v18
	v_xor_b32_e32 v20, -1, v20
	;; [unrolled: 1-line block ×3, first 2 shown]
	v_and_b32_e32 v18, 1, v18
	s_waitcnt vmcnt(0)
	v_xor_b32_e32 v26, -1, v26
	v_and_b32_e32 v20, 1, v20
	v_and_b32_e32 v22, 1, v22
	ds_write_b8 v17, v18
	ds_write_b8 v19, v20 offset:192
	ds_write_b8 v21, v22 offset:384
	v_and_b32_e32 v17, 1, v26
	ds_write_b8 v23, v17 offset:576
	s_waitcnt lgkmcnt(0)
	s_barrier
.LBB2949_18:
	s_andn2_b64 vcc, exec, s[2:3]
	s_cbranch_vccnz .LBB2949_28
; %bb.19:
	v_cmp_gt_u32_e32 vcc, s33, v0
	v_mov_b32_e32 v17, 0
	v_mov_b32_e32 v18, 0
	s_and_saveexec_b64 s[2:3], vcc
	s_cbranch_execz .LBB2949_21
; %bb.20:
	v_readfirstlane_b32 s4, v14
	v_readfirstlane_b32 s5, v1
	s_nop 4
	global_load_dwordx2 v[18:19], v24, s[4:5]
	s_waitcnt vmcnt(0)
	v_xor_b32_e32 v18, -1, v18
	v_and_b32_e32 v18, 1, v18
.LBB2949_21:
	s_or_b64 exec, exec, s[2:3]
	v_add_u32_e32 v19, 0xc0, v0
	v_cmp_gt_u32_e32 vcc, s33, v19
	s_and_saveexec_b64 s[2:3], vcc
	s_cbranch_execz .LBB2949_23
; %bb.22:
	v_readfirstlane_b32 s4, v14
	v_readfirstlane_b32 s5, v1
	s_nop 4
	global_load_dwordx2 v[20:21], v24, s[4:5] offset:1536
	s_waitcnt vmcnt(0)
	v_xor_b32_e32 v17, -1, v20
	v_and_b32_e32 v17, 1, v17
.LBB2949_23:
	s_or_b64 exec, exec, s[2:3]
	v_add_u32_e32 v20, 0x180, v0
	v_cmp_gt_u32_e32 vcc, s33, v20
	v_mov_b32_e32 v21, 0
	v_mov_b32_e32 v22, 0
	s_and_saveexec_b64 s[2:3], vcc
	s_cbranch_execz .LBB2949_25
; %bb.24:
	v_readfirstlane_b32 s4, v14
	v_readfirstlane_b32 s5, v1
	s_nop 4
	global_load_dwordx2 v[22:23], v24, s[4:5] offset:3072
	s_waitcnt vmcnt(0)
	v_xor_b32_e32 v22, -1, v22
	v_and_b32_e32 v22, 1, v22
.LBB2949_25:
	s_or_b64 exec, exec, s[2:3]
	v_add_u32_e32 v23, 0x240, v0
	v_cmp_gt_u32_e32 vcc, s33, v23
	s_and_saveexec_b64 s[2:3], vcc
	s_cbranch_execz .LBB2949_27
; %bb.26:
	v_lshlrev_b32_e32 v21, 3, v23
	v_readfirstlane_b32 s4, v14
	v_readfirstlane_b32 s5, v1
	s_nop 4
	global_load_dwordx2 v[26:27], v21, s[4:5]
	s_waitcnt vmcnt(0)
	v_xor_b32_e32 v1, -1, v26
	v_and_b32_e32 v21, 1, v1
.LBB2949_27:
	s_or_b64 exec, exec, s[2:3]
	v_and_b32_e32 v1, 4, v16
	v_add_u32_e32 v1, v1, v0
	ds_write_b8 v1, v18
	v_lshrrev_b32_e32 v1, 5, v19
	v_and_b32_e32 v1, 12, v1
	v_add_u32_e32 v1, v1, v0
	ds_write_b8 v1, v17 offset:192
	v_lshrrev_b32_e32 v1, 5, v20
	v_and_b32_e32 v1, 28, v1
	v_add_u32_e32 v1, v1, v0
	ds_write_b8 v1, v22 offset:384
	;; [unrolled: 4-line block ×3, first 2 shown]
	s_waitcnt lgkmcnt(0)
	s_barrier
.LBB2949_28:
	v_and_b32_e32 v1, 28, v15
	v_add_u32_e32 v1, v1, v25
	ds_read_b32 v26, v1
	s_cmp_lg_u32 s38, 0
	v_lshrrev_b32_e32 v29, 6, v0
	s_waitcnt lgkmcnt(0)
	s_barrier
	v_lshrrev_b32_e32 v1, 24, v26
	v_bfe_u32 v27, v26, 16, 8
	v_add_u32_sdwa v14, v26, v26 dst_sel:DWORD dst_unused:UNUSED_PAD src0_sel:BYTE_1 src1_sel:BYTE_0
	v_add3_u32 v30, v14, v27, v1
	v_mbcnt_lo_u32_b32 v14, -1, 0
	v_mbcnt_hi_u32_b32 v28, -1, v14
	v_and_b32_e32 v14, 15, v28
	v_cmp_eq_u32_e64 s[14:15], 0, v14
	v_cmp_lt_u32_e64 s[12:13], 1, v14
	v_cmp_lt_u32_e64 s[10:11], 3, v14
	;; [unrolled: 1-line block ×3, first 2 shown]
	v_and_b32_e32 v14, 16, v28
	v_cmp_eq_u32_e64 s[4:5], 0, v14
	v_and_b32_e32 v14, 0xc0, v0
	v_min_u32_e32 v14, 0x80, v14
	v_or_b32_e32 v14, 63, v14
	v_cmp_lt_u32_e64 s[2:3], 31, v28
	v_cmp_eq_u32_e64 s[6:7], v14, v0
	s_cbranch_scc0 .LBB2949_59
; %bb.29:
	v_mov_b32_dpp v14, v30 row_shr:1 row_mask:0xf bank_mask:0xf
	v_cndmask_b32_e64 v14, v14, 0, s[14:15]
	v_add_u32_e32 v14, v14, v30
	s_nop 1
	v_mov_b32_dpp v15, v14 row_shr:2 row_mask:0xf bank_mask:0xf
	v_cndmask_b32_e64 v15, 0, v15, s[12:13]
	v_add_u32_e32 v14, v14, v15
	s_nop 1
	;; [unrolled: 4-line block ×4, first 2 shown]
	v_mov_b32_dpp v15, v14 row_bcast:15 row_mask:0xf bank_mask:0xf
	v_cndmask_b32_e64 v15, v15, 0, s[4:5]
	v_add_u32_e32 v14, v14, v15
	s_nop 1
	v_mov_b32_dpp v15, v14 row_bcast:31 row_mask:0xf bank_mask:0xf
	v_cndmask_b32_e64 v15, 0, v15, s[2:3]
	v_add_u32_e32 v14, v14, v15
	s_and_saveexec_b64 s[16:17], s[6:7]
	s_cbranch_execz .LBB2949_31
; %bb.30:
	v_lshlrev_b32_e32 v15, 2, v29
	ds_write_b32 v15, v14
.LBB2949_31:
	s_or_b64 exec, exec, s[16:17]
	v_cmp_gt_u32_e32 vcc, 3, v0
	s_waitcnt lgkmcnt(0)
	s_barrier
	s_and_saveexec_b64 s[16:17], vcc
	s_cbranch_execz .LBB2949_33
; %bb.32:
	ds_read_b32 v15, v25
	v_and_b32_e32 v16, 3, v28
	v_cmp_ne_u32_e32 vcc, 0, v16
	s_waitcnt lgkmcnt(0)
	v_mov_b32_dpp v17, v15 row_shr:1 row_mask:0xf bank_mask:0xf
	v_cndmask_b32_e32 v17, 0, v17, vcc
	v_add_u32_e32 v15, v17, v15
	v_cmp_lt_u32_e32 vcc, 1, v16
	s_nop 0
	v_mov_b32_dpp v17, v15 row_shr:2 row_mask:0xf bank_mask:0xf
	v_cndmask_b32_e32 v16, 0, v17, vcc
	v_add_u32_e32 v15, v15, v16
	ds_write_b32 v25, v15
.LBB2949_33:
	s_or_b64 exec, exec, s[16:17]
	v_cmp_gt_u32_e32 vcc, 64, v0
	v_cmp_lt_u32_e64 s[16:17], 63, v0
	s_waitcnt lgkmcnt(0)
	s_barrier
	s_waitcnt lgkmcnt(0)
                                        ; implicit-def: $vgpr31
	s_and_saveexec_b64 s[30:31], s[16:17]
	s_cbranch_execz .LBB2949_35
; %bb.34:
	v_lshl_add_u32 v15, v29, 2, -4
	ds_read_b32 v31, v15
	s_waitcnt lgkmcnt(0)
	v_add_u32_e32 v14, v31, v14
.LBB2949_35:
	s_or_b64 exec, exec, s[30:31]
	v_add_u32_e32 v15, -1, v28
	v_and_b32_e32 v16, 64, v28
	v_cmp_lt_i32_e64 s[16:17], v15, v16
	v_cndmask_b32_e64 v15, v15, v28, s[16:17]
	v_lshlrev_b32_e32 v15, 2, v15
	ds_bpermute_b32 v32, v15, v14
	v_cmp_eq_u32_e64 s[16:17], 0, v28
	s_and_saveexec_b64 s[30:31], vcc
	s_cbranch_execz .LBB2949_58
; %bb.36:
	v_mov_b32_e32 v23, 0
	ds_read_b32 v14, v23 offset:8
	s_and_saveexec_b64 s[34:35], s[16:17]
	s_cbranch_execz .LBB2949_38
; %bb.37:
	s_add_i32 s36, s38, 64
	s_mov_b32 s37, 0
	s_lshl_b64 s[36:37], s[36:37], 3
	s_add_u32 s36, s28, s36
	v_mov_b32_e32 v15, 1
	s_addc_u32 s37, s29, s37
	s_waitcnt lgkmcnt(0)
	global_store_dwordx2 v23, v[14:15], s[36:37]
.LBB2949_38:
	s_or_b64 exec, exec, s[34:35]
	v_xad_u32 v16, v28, -1, s38
	v_add_u32_e32 v22, 64, v16
	v_lshlrev_b64 v[18:19], 3, v[22:23]
	v_mov_b32_e32 v15, s29
	v_add_co_u32_e32 v18, vcc, s28, v18
	v_addc_co_u32_e32 v19, vcc, v15, v19, vcc
	global_load_dwordx2 v[20:21], v[18:19], off glc
	s_waitcnt vmcnt(0)
	v_cmp_eq_u16_sdwa s[36:37], v21, v23 src0_sel:BYTE_0 src1_sel:DWORD
	s_and_saveexec_b64 s[34:35], s[36:37]
	s_cbranch_execz .LBB2949_44
; %bb.39:
	s_mov_b32 s39, 1
	s_mov_b64 s[36:37], 0
	v_mov_b32_e32 v15, 0
.LBB2949_40:                            ; =>This Loop Header: Depth=1
                                        ;     Child Loop BB2949_41 Depth 2
	s_max_u32 s40, s39, 1
.LBB2949_41:                            ;   Parent Loop BB2949_40 Depth=1
                                        ; =>  This Inner Loop Header: Depth=2
	s_add_i32 s40, s40, -1
	s_cmp_eq_u32 s40, 0
	s_sleep 1
	s_cbranch_scc0 .LBB2949_41
; %bb.42:                               ;   in Loop: Header=BB2949_40 Depth=1
	global_load_dwordx2 v[20:21], v[18:19], off glc
	s_cmp_lt_u32 s39, 32
	s_cselect_b64 s[40:41], -1, 0
	s_cmp_lg_u64 s[40:41], 0
	s_addc_u32 s39, s39, 0
	s_waitcnt vmcnt(0)
	v_cmp_ne_u16_sdwa s[40:41], v21, v15 src0_sel:BYTE_0 src1_sel:DWORD
	s_or_b64 s[36:37], s[40:41], s[36:37]
	s_andn2_b64 exec, exec, s[36:37]
	s_cbranch_execnz .LBB2949_40
; %bb.43:
	s_or_b64 exec, exec, s[36:37]
.LBB2949_44:
	s_or_b64 exec, exec, s[34:35]
	v_and_b32_e32 v34, 63, v28
	v_mov_b32_e32 v33, 2
	v_cmp_ne_u32_e32 vcc, 63, v34
	v_cmp_eq_u16_sdwa s[34:35], v21, v33 src0_sel:BYTE_0 src1_sel:DWORD
	v_lshlrev_b64 v[18:19], v28, -1
	v_addc_co_u32_e32 v22, vcc, 0, v28, vcc
	v_and_b32_e32 v15, s35, v19
	v_lshlrev_b32_e32 v35, 2, v22
	v_or_b32_e32 v15, 0x80000000, v15
	ds_bpermute_b32 v22, v35, v20
	v_and_b32_e32 v17, s34, v18
	v_ffbl_b32_e32 v15, v15
	v_add_u32_e32 v15, 32, v15
	v_ffbl_b32_e32 v17, v17
	v_min_u32_e32 v15, v17, v15
	v_cmp_lt_u32_e32 vcc, v34, v15
	s_waitcnt lgkmcnt(0)
	v_cndmask_b32_e32 v17, 0, v22, vcc
	v_cmp_gt_u32_e32 vcc, 62, v34
	v_add_u32_e32 v17, v17, v20
	v_cndmask_b32_e64 v20, 0, 1, vcc
	v_lshlrev_b32_e32 v20, 1, v20
	v_add_lshl_u32 v36, v20, v28, 2
	ds_bpermute_b32 v20, v36, v17
	v_add_u32_e32 v37, 2, v34
	v_cmp_le_u32_e32 vcc, v37, v15
	v_add_u32_e32 v39, 4, v34
	v_add_u32_e32 v41, 8, v34
	s_waitcnt lgkmcnt(0)
	v_cndmask_b32_e32 v20, 0, v20, vcc
	v_cmp_gt_u32_e32 vcc, 60, v34
	v_add_u32_e32 v17, v17, v20
	v_cndmask_b32_e64 v20, 0, 1, vcc
	v_lshlrev_b32_e32 v20, 2, v20
	v_add_lshl_u32 v38, v20, v28, 2
	ds_bpermute_b32 v20, v38, v17
	v_cmp_le_u32_e32 vcc, v39, v15
	v_add_u32_e32 v43, 16, v34
	v_add_u32_e32 v45, 32, v34
	s_waitcnt lgkmcnt(0)
	v_cndmask_b32_e32 v20, 0, v20, vcc
	v_cmp_gt_u32_e32 vcc, 56, v34
	v_add_u32_e32 v17, v17, v20
	v_cndmask_b32_e64 v20, 0, 1, vcc
	v_lshlrev_b32_e32 v20, 3, v20
	v_add_lshl_u32 v40, v20, v28, 2
	ds_bpermute_b32 v20, v40, v17
	v_cmp_le_u32_e32 vcc, v41, v15
	s_waitcnt lgkmcnt(0)
	v_cndmask_b32_e32 v20, 0, v20, vcc
	v_cmp_gt_u32_e32 vcc, 48, v34
	v_add_u32_e32 v17, v17, v20
	v_cndmask_b32_e64 v20, 0, 1, vcc
	v_lshlrev_b32_e32 v20, 4, v20
	v_add_lshl_u32 v42, v20, v28, 2
	ds_bpermute_b32 v20, v42, v17
	v_cmp_le_u32_e32 vcc, v43, v15
	;; [unrolled: 9-line block ×3, first 2 shown]
	s_waitcnt lgkmcnt(0)
	v_cndmask_b32_e32 v15, 0, v20, vcc
	v_add_u32_e32 v20, v17, v15
	v_mov_b32_e32 v17, 0
	s_branch .LBB2949_46
.LBB2949_45:                            ;   in Loop: Header=BB2949_46 Depth=1
	s_or_b64 exec, exec, s[34:35]
	v_cmp_eq_u16_sdwa s[34:35], v21, v33 src0_sel:BYTE_0 src1_sel:DWORD
	v_and_b32_e32 v22, s35, v19
	v_or_b32_e32 v22, 0x80000000, v22
	ds_bpermute_b32 v46, v35, v20
	v_and_b32_e32 v23, s34, v18
	v_ffbl_b32_e32 v22, v22
	v_add_u32_e32 v22, 32, v22
	v_ffbl_b32_e32 v23, v23
	v_min_u32_e32 v22, v23, v22
	v_cmp_lt_u32_e32 vcc, v34, v22
	s_waitcnt lgkmcnt(0)
	v_cndmask_b32_e32 v23, 0, v46, vcc
	v_add_u32_e32 v20, v23, v20
	ds_bpermute_b32 v23, v36, v20
	v_cmp_le_u32_e32 vcc, v37, v22
	v_subrev_u32_e32 v16, 64, v16
	s_waitcnt lgkmcnt(0)
	v_cndmask_b32_e32 v23, 0, v23, vcc
	v_add_u32_e32 v20, v20, v23
	ds_bpermute_b32 v23, v38, v20
	v_cmp_le_u32_e32 vcc, v39, v22
	s_waitcnt lgkmcnt(0)
	v_cndmask_b32_e32 v23, 0, v23, vcc
	v_add_u32_e32 v20, v20, v23
	ds_bpermute_b32 v23, v40, v20
	v_cmp_le_u32_e32 vcc, v41, v22
	;; [unrolled: 5-line block ×4, first 2 shown]
	s_waitcnt lgkmcnt(0)
	v_cndmask_b32_e32 v22, 0, v23, vcc
	v_add3_u32 v20, v22, v15, v20
.LBB2949_46:                            ; =>This Loop Header: Depth=1
                                        ;     Child Loop BB2949_49 Depth 2
                                        ;       Child Loop BB2949_50 Depth 3
	v_cmp_ne_u16_sdwa s[34:35], v21, v33 src0_sel:BYTE_0 src1_sel:DWORD
	v_cndmask_b32_e64 v15, 0, 1, s[34:35]
	;;#ASMSTART
	;;#ASMEND
	v_cmp_ne_u32_e32 vcc, 0, v15
	s_cmp_lg_u64 vcc, exec
	v_mov_b32_e32 v15, v20
	s_cbranch_scc1 .LBB2949_53
; %bb.47:                               ;   in Loop: Header=BB2949_46 Depth=1
	v_lshlrev_b64 v[20:21], 3, v[16:17]
	v_mov_b32_e32 v23, s29
	v_add_co_u32_e32 v22, vcc, s28, v20
	v_addc_co_u32_e32 v23, vcc, v23, v21, vcc
	global_load_dwordx2 v[20:21], v[22:23], off glc
	s_waitcnt vmcnt(0)
	v_cmp_eq_u16_sdwa s[36:37], v21, v17 src0_sel:BYTE_0 src1_sel:DWORD
	s_and_saveexec_b64 s[34:35], s[36:37]
	s_cbranch_execz .LBB2949_45
; %bb.48:                               ;   in Loop: Header=BB2949_46 Depth=1
	s_mov_b32 s39, 1
	s_mov_b64 s[36:37], 0
.LBB2949_49:                            ;   Parent Loop BB2949_46 Depth=1
                                        ; =>  This Loop Header: Depth=2
                                        ;       Child Loop BB2949_50 Depth 3
	s_max_u32 s40, s39, 1
.LBB2949_50:                            ;   Parent Loop BB2949_46 Depth=1
                                        ;     Parent Loop BB2949_49 Depth=2
                                        ; =>    This Inner Loop Header: Depth=3
	s_add_i32 s40, s40, -1
	s_cmp_eq_u32 s40, 0
	s_sleep 1
	s_cbranch_scc0 .LBB2949_50
; %bb.51:                               ;   in Loop: Header=BB2949_49 Depth=2
	global_load_dwordx2 v[20:21], v[22:23], off glc
	s_cmp_lt_u32 s39, 32
	s_cselect_b64 s[40:41], -1, 0
	s_cmp_lg_u64 s[40:41], 0
	s_addc_u32 s39, s39, 0
	s_waitcnt vmcnt(0)
	v_cmp_ne_u16_sdwa s[40:41], v21, v17 src0_sel:BYTE_0 src1_sel:DWORD
	s_or_b64 s[36:37], s[40:41], s[36:37]
	s_andn2_b64 exec, exec, s[36:37]
	s_cbranch_execnz .LBB2949_49
; %bb.52:                               ;   in Loop: Header=BB2949_46 Depth=1
	s_or_b64 exec, exec, s[36:37]
	s_branch .LBB2949_45
.LBB2949_53:                            ;   in Loop: Header=BB2949_46 Depth=1
                                        ; implicit-def: $vgpr20
                                        ; implicit-def: $vgpr21
	s_cbranch_execz .LBB2949_46
; %bb.54:
	s_and_saveexec_b64 s[34:35], s[16:17]
	s_cbranch_execz .LBB2949_56
; %bb.55:
	s_add_i32 s36, s38, 64
	s_mov_b32 s37, 0
	s_lshl_b64 s[36:37], s[36:37], 3
	s_add_u32 s36, s28, s36
	v_add_u32_e32 v16, v15, v14
	v_mov_b32_e32 v17, 2
	s_addc_u32 s37, s29, s37
	v_mov_b32_e32 v18, 0
	global_store_dwordx2 v18, v[16:17], s[36:37]
	ds_write_b64 v18, v[14:15] offset:6336
.LBB2949_56:
	s_or_b64 exec, exec, s[34:35]
	s_and_b64 exec, exec, s[0:1]
	s_cbranch_execz .LBB2949_58
; %bb.57:
	v_mov_b32_e32 v14, 0
	ds_write_b32 v14, v15 offset:8
.LBB2949_58:
	s_or_b64 exec, exec, s[30:31]
	v_mov_b32_e32 v14, 0
	s_waitcnt lgkmcnt(0)
	s_barrier
	ds_read_b32 v15, v14 offset:8
	v_cndmask_b32_e64 v16, v32, v31, s[16:17]
	v_cndmask_b32_e64 v16, v16, 0, s[0:1]
	s_waitcnt lgkmcnt(0)
	s_barrier
	v_add_u32_e32 v18, v15, v16
	ds_read_b64 v[14:15], v14 offset:6336
	v_add_u32_sdwa v19, v18, v26 dst_sel:DWORD dst_unused:UNUSED_PAD src0_sel:DWORD src1_sel:BYTE_0
	v_add_u32_sdwa v17, v19, v26 dst_sel:DWORD dst_unused:UNUSED_PAD src0_sel:DWORD src1_sel:BYTE_1
	v_add_u32_e32 v16, v17, v27
	s_branch .LBB2949_69
.LBB2949_59:
                                        ; implicit-def: $vgpr15
                                        ; implicit-def: $vgpr16
                                        ; implicit-def: $vgpr17
                                        ; implicit-def: $vgpr19
                                        ; implicit-def: $vgpr18
	s_cbranch_execz .LBB2949_69
; %bb.60:
	s_waitcnt lgkmcnt(0)
	v_mov_b32_dpp v14, v30 row_shr:1 row_mask:0xf bank_mask:0xf
	v_cndmask_b32_e64 v14, v14, 0, s[14:15]
	v_add_u32_e32 v14, v14, v30
	s_nop 1
	v_mov_b32_dpp v15, v14 row_shr:2 row_mask:0xf bank_mask:0xf
	v_cndmask_b32_e64 v15, 0, v15, s[12:13]
	v_add_u32_e32 v14, v14, v15
	s_nop 1
	;; [unrolled: 4-line block ×4, first 2 shown]
	v_mov_b32_dpp v15, v14 row_bcast:15 row_mask:0xf bank_mask:0xf
	v_cndmask_b32_e64 v15, v15, 0, s[4:5]
	v_add_u32_e32 v14, v14, v15
	s_nop 1
	v_mov_b32_dpp v15, v14 row_bcast:31 row_mask:0xf bank_mask:0xf
	v_cndmask_b32_e64 v15, 0, v15, s[2:3]
	v_add_u32_e32 v14, v14, v15
	s_and_saveexec_b64 s[2:3], s[6:7]
	s_cbranch_execz .LBB2949_62
; %bb.61:
	v_lshlrev_b32_e32 v15, 2, v29
	ds_write_b32 v15, v14
.LBB2949_62:
	s_or_b64 exec, exec, s[2:3]
	v_cmp_gt_u32_e32 vcc, 3, v0
	s_waitcnt lgkmcnt(0)
	s_barrier
	s_and_saveexec_b64 s[2:3], vcc
	s_cbranch_execz .LBB2949_64
; %bb.63:
	ds_read_b32 v15, v25
	v_and_b32_e32 v16, 3, v28
	v_cmp_ne_u32_e32 vcc, 0, v16
	s_waitcnt lgkmcnt(0)
	v_mov_b32_dpp v17, v15 row_shr:1 row_mask:0xf bank_mask:0xf
	v_cndmask_b32_e32 v17, 0, v17, vcc
	v_add_u32_e32 v15, v17, v15
	v_cmp_lt_u32_e32 vcc, 1, v16
	s_nop 0
	v_mov_b32_dpp v17, v15 row_shr:2 row_mask:0xf bank_mask:0xf
	v_cndmask_b32_e32 v16, 0, v17, vcc
	v_add_u32_e32 v15, v15, v16
	ds_write_b32 v25, v15
.LBB2949_64:
	s_or_b64 exec, exec, s[2:3]
	v_cmp_lt_u32_e32 vcc, 63, v0
	v_mov_b32_e32 v15, 0
	v_mov_b32_e32 v16, 0
	s_waitcnt lgkmcnt(0)
	s_barrier
	s_and_saveexec_b64 s[2:3], vcc
	s_cbranch_execz .LBB2949_66
; %bb.65:
	v_lshl_add_u32 v16, v29, 2, -4
	ds_read_b32 v16, v16
.LBB2949_66:
	s_or_b64 exec, exec, s[2:3]
	v_add_u32_e32 v17, -1, v28
	v_and_b32_e32 v18, 64, v28
	v_cmp_lt_i32_e32 vcc, v17, v18
	v_cndmask_b32_e32 v17, v17, v28, vcc
	s_waitcnt lgkmcnt(0)
	v_add_u32_e32 v14, v16, v14
	v_lshlrev_b32_e32 v17, 2, v17
	ds_bpermute_b32 v17, v17, v14
	ds_read_b32 v14, v15 offset:8
	s_and_saveexec_b64 s[2:3], s[0:1]
	s_cbranch_execz .LBB2949_68
; %bb.67:
	v_mov_b32_e32 v18, 0
	v_mov_b32_e32 v15, 2
	s_waitcnt lgkmcnt(0)
	global_store_dwordx2 v18, v[14:15], s[28:29] offset:512
.LBB2949_68:
	s_or_b64 exec, exec, s[2:3]
	v_cmp_eq_u32_e32 vcc, 0, v28
	s_waitcnt lgkmcnt(1)
	v_cndmask_b32_e32 v16, v17, v16, vcc
	v_cndmask_b32_e64 v18, v16, 0, s[0:1]
	v_add_u32_sdwa v19, v18, v26 dst_sel:DWORD dst_unused:UNUSED_PAD src0_sel:DWORD src1_sel:BYTE_0
	v_add_u32_sdwa v17, v19, v26 dst_sel:DWORD dst_unused:UNUSED_PAD src0_sel:DWORD src1_sel:BYTE_1
	v_mov_b32_e32 v15, 0
	v_add_u32_e32 v16, v17, v27
	s_waitcnt lgkmcnt(0)
	s_barrier
.LBB2949_69:
	s_waitcnt lgkmcnt(0)
	v_add_u32_e32 v21, v14, v25
	v_sub_u32_e32 v18, v18, v15
	v_and_b32_e32 v23, 1, v26
	v_sub_u32_e32 v22, v21, v18
	v_cmp_eq_u32_e32 vcc, 1, v23
	v_cndmask_b32_e32 v18, v22, v18, vcc
	v_lshlrev_b32_e32 v18, 3, v18
	v_lshrrev_b32_e32 v20, 8, v26
	ds_write_b64 v18, v[6:7]
	v_sub_u32_e32 v6, v19, v15
	v_sub_u32_e32 v7, v21, v6
	v_and_b32_e32 v18, 1, v20
	v_add_u32_e32 v7, 1, v7
	v_cmp_eq_u32_e32 vcc, 1, v18
	v_cndmask_b32_e32 v6, v7, v6, vcc
	v_lshlrev_b32_e32 v6, 3, v6
	ds_write_b64 v6, v[8:9]
	v_sub_u32_e32 v6, v17, v15
	v_mov_b32_e32 v8, 1
	v_sub_u32_e32 v7, v21, v6
	v_and_b32_sdwa v8, v8, v26 dst_sel:DWORD dst_unused:UNUSED_PAD src0_sel:DWORD src1_sel:WORD_1
	v_add_u32_e32 v7, 2, v7
	v_cmp_eq_u32_e32 vcc, 1, v8
	v_cndmask_b32_e32 v6, v7, v6, vcc
	v_lshlrev_b32_e32 v6, 3, v6
	ds_write_b64 v6, v[2:3]
	v_sub_u32_e32 v2, v16, v15
	v_sub_u32_e32 v3, v21, v2
	v_and_b32_e32 v1, 1, v1
	v_add_u32_e32 v3, 3, v3
	v_cmp_eq_u32_e32 vcc, 1, v1
	v_cndmask_b32_e32 v1, v3, v2, vcc
	v_lshlrev_b32_e32 v1, 3, v1
	ds_write_b64 v1, v[4:5]
	s_waitcnt vmcnt(0)
	v_add_co_u32_e32 v1, vcc, v10, v14
	v_addc_co_u32_e32 v11, vcc, 0, v11, vcc
	v_add_co_u32_e32 v10, vcc, v1, v15
	v_addc_co_u32_e32 v11, vcc, 0, v11, vcc
	v_mov_b32_e32 v1, s19
	v_sub_co_u32_e32 v20, vcc, s18, v10
	v_subb_co_u32_e32 v21, vcc, v1, v11, vcc
	v_lshlrev_b64 v[20:21], 3, v[20:21]
	s_waitcnt lgkmcnt(0)
	s_barrier
	ds_read2st64_b64 v[6:9], v24 offset1:3
	ds_read2st64_b64 v[2:5], v24 offset0:6 offset1:9
	v_mov_b32_e32 v1, s25
	v_add_co_u32_e32 v15, vcc, s24, v20
	v_addc_co_u32_e32 v1, vcc, v1, v21, vcc
	v_add_co_u32_e32 v12, vcc, v15, v12
	v_addc_co_u32_e32 v1, vcc, v1, v13, vcc
	v_add_u32_e32 v18, 0xc0, v0
	v_add_u32_e32 v17, 0x180, v0
	;; [unrolled: 1-line block ×3, first 2 shown]
	s_andn2_b64 vcc, exec, s[26:27]
	v_cmp_ge_u32_e64 s[2:3], v0, v14
	s_cbranch_vccnz .LBB2949_75
; %bb.70:
	s_and_saveexec_b64 s[4:5], s[2:3]
	s_cbranch_execnz .LBB2949_88
; %bb.71:
	s_or_b64 exec, exec, s[4:5]
	v_cmp_ge_u32_e32 vcc, v18, v14
	s_and_saveexec_b64 s[2:3], vcc
	s_cbranch_execnz .LBB2949_89
.LBB2949_72:
	s_or_b64 exec, exec, s[2:3]
	v_cmp_ge_u32_e32 vcc, v17, v14
	s_and_saveexec_b64 s[2:3], vcc
	s_cbranch_execz .LBB2949_74
.LBB2949_73:
	v_readfirstlane_b32 s4, v12
	v_readfirstlane_b32 s5, v1
	s_waitcnt lgkmcnt(0)
	s_nop 3
	global_store_dwordx2 v24, v[2:3], s[4:5] offset:3072
.LBB2949_74:
	s_or_b64 exec, exec, s[2:3]
	v_cmp_ge_u32_e64 s[2:3], v16, v14
	s_branch .LBB2949_83
.LBB2949_75:
	s_mov_b64 s[2:3], 0
	s_cbranch_execz .LBB2949_83
; %bb.76:
	v_cmp_gt_u32_e32 vcc, s33, v0
	v_cmp_ge_u32_e64 s[2:3], v0, v14
	s_and_b64 s[4:5], vcc, s[2:3]
	s_and_saveexec_b64 s[2:3], s[4:5]
	s_cbranch_execz .LBB2949_78
; %bb.77:
	v_readfirstlane_b32 s4, v12
	v_readfirstlane_b32 s5, v1
	s_waitcnt lgkmcnt(1)
	s_nop 3
	global_store_dwordx2 v24, v[6:7], s[4:5]
.LBB2949_78:
	s_or_b64 exec, exec, s[2:3]
	v_cmp_gt_u32_e32 vcc, s33, v18
	v_cmp_ge_u32_e64 s[2:3], v18, v14
	s_and_b64 s[4:5], vcc, s[2:3]
	s_and_saveexec_b64 s[2:3], s[4:5]
	s_cbranch_execz .LBB2949_80
; %bb.79:
	v_readfirstlane_b32 s4, v12
	v_readfirstlane_b32 s5, v1
	s_waitcnt lgkmcnt(1)
	s_nop 3
	global_store_dwordx2 v24, v[8:9], s[4:5] offset:1536
.LBB2949_80:
	s_or_b64 exec, exec, s[2:3]
	v_cmp_gt_u32_e32 vcc, s33, v17
	v_cmp_ge_u32_e64 s[2:3], v17, v14
	s_and_b64 s[4:5], vcc, s[2:3]
	s_and_saveexec_b64 s[2:3], s[4:5]
	s_cbranch_execz .LBB2949_82
; %bb.81:
	v_readfirstlane_b32 s4, v12
	v_readfirstlane_b32 s5, v1
	s_waitcnt lgkmcnt(0)
	s_nop 3
	global_store_dwordx2 v24, v[2:3], s[4:5] offset:3072
.LBB2949_82:
	s_or_b64 exec, exec, s[2:3]
	v_cmp_gt_u32_e32 vcc, s33, v16
	v_cmp_ge_u32_e64 s[2:3], v16, v14
	s_and_b64 s[2:3], vcc, s[2:3]
.LBB2949_83:
	s_and_saveexec_b64 s[4:5], s[2:3]
	s_cbranch_execnz .LBB2949_86
; %bb.84:
	s_or_b64 exec, exec, s[4:5]
	s_and_b64 s[0:1], s[0:1], s[22:23]
	s_and_saveexec_b64 s[2:3], s[0:1]
	s_cbranch_execnz .LBB2949_87
.LBB2949_85:
	s_endpgm
.LBB2949_86:
	v_lshlrev_b32_e32 v0, 3, v16
	v_readfirstlane_b32 s2, v12
	v_readfirstlane_b32 s3, v1
	s_waitcnt lgkmcnt(0)
	s_nop 3
	global_store_dwordx2 v0, v[4:5], s[2:3]
	s_or_b64 exec, exec, s[4:5]
	s_and_b64 s[0:1], s[0:1], s[22:23]
	s_and_saveexec_b64 s[2:3], s[0:1]
	s_cbranch_execz .LBB2949_85
.LBB2949_87:
	v_mov_b32_e32 v0, 0
	global_store_dwordx2 v0, v[10:11], s[20:21]
	s_endpgm
.LBB2949_88:
	v_readfirstlane_b32 s2, v12
	v_readfirstlane_b32 s3, v1
	s_waitcnt lgkmcnt(1)
	s_nop 3
	global_store_dwordx2 v24, v[6:7], s[2:3]
	s_or_b64 exec, exec, s[4:5]
	v_cmp_ge_u32_e32 vcc, v18, v14
	s_and_saveexec_b64 s[2:3], vcc
	s_cbranch_execz .LBB2949_72
.LBB2949_89:
	v_readfirstlane_b32 s4, v12
	v_readfirstlane_b32 s5, v1
	s_waitcnt lgkmcnt(1)
	s_nop 3
	global_store_dwordx2 v24, v[8:9], s[4:5] offset:1536
	s_or_b64 exec, exec, s[2:3]
	v_cmp_ge_u32_e32 vcc, v17, v14
	s_and_saveexec_b64 s[2:3], vcc
	s_cbranch_execnz .LBB2949_73
	s_branch .LBB2949_74
	.section	.rodata,"a",@progbits
	.p2align	6, 0x0
	.amdhsa_kernel _ZN7rocprim17ROCPRIM_400000_NS6detail17trampoline_kernelINS0_14default_configENS1_25partition_config_selectorILNS1_17partition_subalgoE1EyNS0_10empty_typeEbEEZZNS1_14partition_implILS5_1ELb0ES3_jN6thrust23THRUST_200600_302600_NS6detail15normal_iteratorINSA_10device_ptrIyEEEEPS6_NSA_18transform_iteratorI7is_evenIyESF_NSA_11use_defaultESK_EENS0_5tupleIJNSA_16discard_iteratorISK_EESF_EEENSM_IJSG_SG_EEES6_PlJS6_EEE10hipError_tPvRmT3_T4_T5_T6_T7_T9_mT8_P12ihipStream_tbDpT10_ENKUlT_T0_E_clISt17integral_constantIbLb1EES1B_EEDaS16_S17_EUlS16_E_NS1_11comp_targetILNS1_3genE4ELNS1_11target_archE910ELNS1_3gpuE8ELNS1_3repE0EEENS1_30default_config_static_selectorELNS0_4arch9wavefront6targetE1EEEvT1_
		.amdhsa_group_segment_fixed_size 6344
		.amdhsa_private_segment_fixed_size 0
		.amdhsa_kernarg_size 152
		.amdhsa_user_sgpr_count 6
		.amdhsa_user_sgpr_private_segment_buffer 1
		.amdhsa_user_sgpr_dispatch_ptr 0
		.amdhsa_user_sgpr_queue_ptr 0
		.amdhsa_user_sgpr_kernarg_segment_ptr 1
		.amdhsa_user_sgpr_dispatch_id 0
		.amdhsa_user_sgpr_flat_scratch_init 0
		.amdhsa_user_sgpr_kernarg_preload_length 0
		.amdhsa_user_sgpr_kernarg_preload_offset 0
		.amdhsa_user_sgpr_private_segment_size 0
		.amdhsa_uses_dynamic_stack 0
		.amdhsa_system_sgpr_private_segment_wavefront_offset 0
		.amdhsa_system_sgpr_workgroup_id_x 1
		.amdhsa_system_sgpr_workgroup_id_y 0
		.amdhsa_system_sgpr_workgroup_id_z 0
		.amdhsa_system_sgpr_workgroup_info 0
		.amdhsa_system_vgpr_workitem_id 0
		.amdhsa_next_free_vgpr 47
		.amdhsa_next_free_sgpr 42
		.amdhsa_accum_offset 48
		.amdhsa_reserve_vcc 1
		.amdhsa_reserve_flat_scratch 0
		.amdhsa_float_round_mode_32 0
		.amdhsa_float_round_mode_16_64 0
		.amdhsa_float_denorm_mode_32 3
		.amdhsa_float_denorm_mode_16_64 3
		.amdhsa_dx10_clamp 1
		.amdhsa_ieee_mode 1
		.amdhsa_fp16_overflow 0
		.amdhsa_tg_split 0
		.amdhsa_exception_fp_ieee_invalid_op 0
		.amdhsa_exception_fp_denorm_src 0
		.amdhsa_exception_fp_ieee_div_zero 0
		.amdhsa_exception_fp_ieee_overflow 0
		.amdhsa_exception_fp_ieee_underflow 0
		.amdhsa_exception_fp_ieee_inexact 0
		.amdhsa_exception_int_div_zero 0
	.end_amdhsa_kernel
	.section	.text._ZN7rocprim17ROCPRIM_400000_NS6detail17trampoline_kernelINS0_14default_configENS1_25partition_config_selectorILNS1_17partition_subalgoE1EyNS0_10empty_typeEbEEZZNS1_14partition_implILS5_1ELb0ES3_jN6thrust23THRUST_200600_302600_NS6detail15normal_iteratorINSA_10device_ptrIyEEEEPS6_NSA_18transform_iteratorI7is_evenIyESF_NSA_11use_defaultESK_EENS0_5tupleIJNSA_16discard_iteratorISK_EESF_EEENSM_IJSG_SG_EEES6_PlJS6_EEE10hipError_tPvRmT3_T4_T5_T6_T7_T9_mT8_P12ihipStream_tbDpT10_ENKUlT_T0_E_clISt17integral_constantIbLb1EES1B_EEDaS16_S17_EUlS16_E_NS1_11comp_targetILNS1_3genE4ELNS1_11target_archE910ELNS1_3gpuE8ELNS1_3repE0EEENS1_30default_config_static_selectorELNS0_4arch9wavefront6targetE1EEEvT1_,"axG",@progbits,_ZN7rocprim17ROCPRIM_400000_NS6detail17trampoline_kernelINS0_14default_configENS1_25partition_config_selectorILNS1_17partition_subalgoE1EyNS0_10empty_typeEbEEZZNS1_14partition_implILS5_1ELb0ES3_jN6thrust23THRUST_200600_302600_NS6detail15normal_iteratorINSA_10device_ptrIyEEEEPS6_NSA_18transform_iteratorI7is_evenIyESF_NSA_11use_defaultESK_EENS0_5tupleIJNSA_16discard_iteratorISK_EESF_EEENSM_IJSG_SG_EEES6_PlJS6_EEE10hipError_tPvRmT3_T4_T5_T6_T7_T9_mT8_P12ihipStream_tbDpT10_ENKUlT_T0_E_clISt17integral_constantIbLb1EES1B_EEDaS16_S17_EUlS16_E_NS1_11comp_targetILNS1_3genE4ELNS1_11target_archE910ELNS1_3gpuE8ELNS1_3repE0EEENS1_30default_config_static_selectorELNS0_4arch9wavefront6targetE1EEEvT1_,comdat
.Lfunc_end2949:
	.size	_ZN7rocprim17ROCPRIM_400000_NS6detail17trampoline_kernelINS0_14default_configENS1_25partition_config_selectorILNS1_17partition_subalgoE1EyNS0_10empty_typeEbEEZZNS1_14partition_implILS5_1ELb0ES3_jN6thrust23THRUST_200600_302600_NS6detail15normal_iteratorINSA_10device_ptrIyEEEEPS6_NSA_18transform_iteratorI7is_evenIyESF_NSA_11use_defaultESK_EENS0_5tupleIJNSA_16discard_iteratorISK_EESF_EEENSM_IJSG_SG_EEES6_PlJS6_EEE10hipError_tPvRmT3_T4_T5_T6_T7_T9_mT8_P12ihipStream_tbDpT10_ENKUlT_T0_E_clISt17integral_constantIbLb1EES1B_EEDaS16_S17_EUlS16_E_NS1_11comp_targetILNS1_3genE4ELNS1_11target_archE910ELNS1_3gpuE8ELNS1_3repE0EEENS1_30default_config_static_selectorELNS0_4arch9wavefront6targetE1EEEvT1_, .Lfunc_end2949-_ZN7rocprim17ROCPRIM_400000_NS6detail17trampoline_kernelINS0_14default_configENS1_25partition_config_selectorILNS1_17partition_subalgoE1EyNS0_10empty_typeEbEEZZNS1_14partition_implILS5_1ELb0ES3_jN6thrust23THRUST_200600_302600_NS6detail15normal_iteratorINSA_10device_ptrIyEEEEPS6_NSA_18transform_iteratorI7is_evenIyESF_NSA_11use_defaultESK_EENS0_5tupleIJNSA_16discard_iteratorISK_EESF_EEENSM_IJSG_SG_EEES6_PlJS6_EEE10hipError_tPvRmT3_T4_T5_T6_T7_T9_mT8_P12ihipStream_tbDpT10_ENKUlT_T0_E_clISt17integral_constantIbLb1EES1B_EEDaS16_S17_EUlS16_E_NS1_11comp_targetILNS1_3genE4ELNS1_11target_archE910ELNS1_3gpuE8ELNS1_3repE0EEENS1_30default_config_static_selectorELNS0_4arch9wavefront6targetE1EEEvT1_
                                        ; -- End function
	.section	.AMDGPU.csdata,"",@progbits
; Kernel info:
; codeLenInByte = 4196
; NumSgprs: 46
; NumVgprs: 47
; NumAgprs: 0
; TotalNumVgprs: 47
; ScratchSize: 0
; MemoryBound: 0
; FloatMode: 240
; IeeeMode: 1
; LDSByteSize: 6344 bytes/workgroup (compile time only)
; SGPRBlocks: 5
; VGPRBlocks: 5
; NumSGPRsForWavesPerEU: 46
; NumVGPRsForWavesPerEU: 47
; AccumOffset: 48
; Occupancy: 8
; WaveLimiterHint : 1
; COMPUTE_PGM_RSRC2:SCRATCH_EN: 0
; COMPUTE_PGM_RSRC2:USER_SGPR: 6
; COMPUTE_PGM_RSRC2:TRAP_HANDLER: 0
; COMPUTE_PGM_RSRC2:TGID_X_EN: 1
; COMPUTE_PGM_RSRC2:TGID_Y_EN: 0
; COMPUTE_PGM_RSRC2:TGID_Z_EN: 0
; COMPUTE_PGM_RSRC2:TIDIG_COMP_CNT: 0
; COMPUTE_PGM_RSRC3_GFX90A:ACCUM_OFFSET: 11
; COMPUTE_PGM_RSRC3_GFX90A:TG_SPLIT: 0
	.section	.text._ZN7rocprim17ROCPRIM_400000_NS6detail17trampoline_kernelINS0_14default_configENS1_25partition_config_selectorILNS1_17partition_subalgoE1EyNS0_10empty_typeEbEEZZNS1_14partition_implILS5_1ELb0ES3_jN6thrust23THRUST_200600_302600_NS6detail15normal_iteratorINSA_10device_ptrIyEEEEPS6_NSA_18transform_iteratorI7is_evenIyESF_NSA_11use_defaultESK_EENS0_5tupleIJNSA_16discard_iteratorISK_EESF_EEENSM_IJSG_SG_EEES6_PlJS6_EEE10hipError_tPvRmT3_T4_T5_T6_T7_T9_mT8_P12ihipStream_tbDpT10_ENKUlT_T0_E_clISt17integral_constantIbLb1EES1B_EEDaS16_S17_EUlS16_E_NS1_11comp_targetILNS1_3genE3ELNS1_11target_archE908ELNS1_3gpuE7ELNS1_3repE0EEENS1_30default_config_static_selectorELNS0_4arch9wavefront6targetE1EEEvT1_,"axG",@progbits,_ZN7rocprim17ROCPRIM_400000_NS6detail17trampoline_kernelINS0_14default_configENS1_25partition_config_selectorILNS1_17partition_subalgoE1EyNS0_10empty_typeEbEEZZNS1_14partition_implILS5_1ELb0ES3_jN6thrust23THRUST_200600_302600_NS6detail15normal_iteratorINSA_10device_ptrIyEEEEPS6_NSA_18transform_iteratorI7is_evenIyESF_NSA_11use_defaultESK_EENS0_5tupleIJNSA_16discard_iteratorISK_EESF_EEENSM_IJSG_SG_EEES6_PlJS6_EEE10hipError_tPvRmT3_T4_T5_T6_T7_T9_mT8_P12ihipStream_tbDpT10_ENKUlT_T0_E_clISt17integral_constantIbLb1EES1B_EEDaS16_S17_EUlS16_E_NS1_11comp_targetILNS1_3genE3ELNS1_11target_archE908ELNS1_3gpuE7ELNS1_3repE0EEENS1_30default_config_static_selectorELNS0_4arch9wavefront6targetE1EEEvT1_,comdat
	.protected	_ZN7rocprim17ROCPRIM_400000_NS6detail17trampoline_kernelINS0_14default_configENS1_25partition_config_selectorILNS1_17partition_subalgoE1EyNS0_10empty_typeEbEEZZNS1_14partition_implILS5_1ELb0ES3_jN6thrust23THRUST_200600_302600_NS6detail15normal_iteratorINSA_10device_ptrIyEEEEPS6_NSA_18transform_iteratorI7is_evenIyESF_NSA_11use_defaultESK_EENS0_5tupleIJNSA_16discard_iteratorISK_EESF_EEENSM_IJSG_SG_EEES6_PlJS6_EEE10hipError_tPvRmT3_T4_T5_T6_T7_T9_mT8_P12ihipStream_tbDpT10_ENKUlT_T0_E_clISt17integral_constantIbLb1EES1B_EEDaS16_S17_EUlS16_E_NS1_11comp_targetILNS1_3genE3ELNS1_11target_archE908ELNS1_3gpuE7ELNS1_3repE0EEENS1_30default_config_static_selectorELNS0_4arch9wavefront6targetE1EEEvT1_ ; -- Begin function _ZN7rocprim17ROCPRIM_400000_NS6detail17trampoline_kernelINS0_14default_configENS1_25partition_config_selectorILNS1_17partition_subalgoE1EyNS0_10empty_typeEbEEZZNS1_14partition_implILS5_1ELb0ES3_jN6thrust23THRUST_200600_302600_NS6detail15normal_iteratorINSA_10device_ptrIyEEEEPS6_NSA_18transform_iteratorI7is_evenIyESF_NSA_11use_defaultESK_EENS0_5tupleIJNSA_16discard_iteratorISK_EESF_EEENSM_IJSG_SG_EEES6_PlJS6_EEE10hipError_tPvRmT3_T4_T5_T6_T7_T9_mT8_P12ihipStream_tbDpT10_ENKUlT_T0_E_clISt17integral_constantIbLb1EES1B_EEDaS16_S17_EUlS16_E_NS1_11comp_targetILNS1_3genE3ELNS1_11target_archE908ELNS1_3gpuE7ELNS1_3repE0EEENS1_30default_config_static_selectorELNS0_4arch9wavefront6targetE1EEEvT1_
	.globl	_ZN7rocprim17ROCPRIM_400000_NS6detail17trampoline_kernelINS0_14default_configENS1_25partition_config_selectorILNS1_17partition_subalgoE1EyNS0_10empty_typeEbEEZZNS1_14partition_implILS5_1ELb0ES3_jN6thrust23THRUST_200600_302600_NS6detail15normal_iteratorINSA_10device_ptrIyEEEEPS6_NSA_18transform_iteratorI7is_evenIyESF_NSA_11use_defaultESK_EENS0_5tupleIJNSA_16discard_iteratorISK_EESF_EEENSM_IJSG_SG_EEES6_PlJS6_EEE10hipError_tPvRmT3_T4_T5_T6_T7_T9_mT8_P12ihipStream_tbDpT10_ENKUlT_T0_E_clISt17integral_constantIbLb1EES1B_EEDaS16_S17_EUlS16_E_NS1_11comp_targetILNS1_3genE3ELNS1_11target_archE908ELNS1_3gpuE7ELNS1_3repE0EEENS1_30default_config_static_selectorELNS0_4arch9wavefront6targetE1EEEvT1_
	.p2align	8
	.type	_ZN7rocprim17ROCPRIM_400000_NS6detail17trampoline_kernelINS0_14default_configENS1_25partition_config_selectorILNS1_17partition_subalgoE1EyNS0_10empty_typeEbEEZZNS1_14partition_implILS5_1ELb0ES3_jN6thrust23THRUST_200600_302600_NS6detail15normal_iteratorINSA_10device_ptrIyEEEEPS6_NSA_18transform_iteratorI7is_evenIyESF_NSA_11use_defaultESK_EENS0_5tupleIJNSA_16discard_iteratorISK_EESF_EEENSM_IJSG_SG_EEES6_PlJS6_EEE10hipError_tPvRmT3_T4_T5_T6_T7_T9_mT8_P12ihipStream_tbDpT10_ENKUlT_T0_E_clISt17integral_constantIbLb1EES1B_EEDaS16_S17_EUlS16_E_NS1_11comp_targetILNS1_3genE3ELNS1_11target_archE908ELNS1_3gpuE7ELNS1_3repE0EEENS1_30default_config_static_selectorELNS0_4arch9wavefront6targetE1EEEvT1_,@function
_ZN7rocprim17ROCPRIM_400000_NS6detail17trampoline_kernelINS0_14default_configENS1_25partition_config_selectorILNS1_17partition_subalgoE1EyNS0_10empty_typeEbEEZZNS1_14partition_implILS5_1ELb0ES3_jN6thrust23THRUST_200600_302600_NS6detail15normal_iteratorINSA_10device_ptrIyEEEEPS6_NSA_18transform_iteratorI7is_evenIyESF_NSA_11use_defaultESK_EENS0_5tupleIJNSA_16discard_iteratorISK_EESF_EEENSM_IJSG_SG_EEES6_PlJS6_EEE10hipError_tPvRmT3_T4_T5_T6_T7_T9_mT8_P12ihipStream_tbDpT10_ENKUlT_T0_E_clISt17integral_constantIbLb1EES1B_EEDaS16_S17_EUlS16_E_NS1_11comp_targetILNS1_3genE3ELNS1_11target_archE908ELNS1_3gpuE7ELNS1_3repE0EEENS1_30default_config_static_selectorELNS0_4arch9wavefront6targetE1EEEvT1_: ; @_ZN7rocprim17ROCPRIM_400000_NS6detail17trampoline_kernelINS0_14default_configENS1_25partition_config_selectorILNS1_17partition_subalgoE1EyNS0_10empty_typeEbEEZZNS1_14partition_implILS5_1ELb0ES3_jN6thrust23THRUST_200600_302600_NS6detail15normal_iteratorINSA_10device_ptrIyEEEEPS6_NSA_18transform_iteratorI7is_evenIyESF_NSA_11use_defaultESK_EENS0_5tupleIJNSA_16discard_iteratorISK_EESF_EEENSM_IJSG_SG_EEES6_PlJS6_EEE10hipError_tPvRmT3_T4_T5_T6_T7_T9_mT8_P12ihipStream_tbDpT10_ENKUlT_T0_E_clISt17integral_constantIbLb1EES1B_EEDaS16_S17_EUlS16_E_NS1_11comp_targetILNS1_3genE3ELNS1_11target_archE908ELNS1_3gpuE7ELNS1_3repE0EEENS1_30default_config_static_selectorELNS0_4arch9wavefront6targetE1EEEvT1_
; %bb.0:
	.section	.rodata,"a",@progbits
	.p2align	6, 0x0
	.amdhsa_kernel _ZN7rocprim17ROCPRIM_400000_NS6detail17trampoline_kernelINS0_14default_configENS1_25partition_config_selectorILNS1_17partition_subalgoE1EyNS0_10empty_typeEbEEZZNS1_14partition_implILS5_1ELb0ES3_jN6thrust23THRUST_200600_302600_NS6detail15normal_iteratorINSA_10device_ptrIyEEEEPS6_NSA_18transform_iteratorI7is_evenIyESF_NSA_11use_defaultESK_EENS0_5tupleIJNSA_16discard_iteratorISK_EESF_EEENSM_IJSG_SG_EEES6_PlJS6_EEE10hipError_tPvRmT3_T4_T5_T6_T7_T9_mT8_P12ihipStream_tbDpT10_ENKUlT_T0_E_clISt17integral_constantIbLb1EES1B_EEDaS16_S17_EUlS16_E_NS1_11comp_targetILNS1_3genE3ELNS1_11target_archE908ELNS1_3gpuE7ELNS1_3repE0EEENS1_30default_config_static_selectorELNS0_4arch9wavefront6targetE1EEEvT1_
		.amdhsa_group_segment_fixed_size 0
		.amdhsa_private_segment_fixed_size 0
		.amdhsa_kernarg_size 152
		.amdhsa_user_sgpr_count 6
		.amdhsa_user_sgpr_private_segment_buffer 1
		.amdhsa_user_sgpr_dispatch_ptr 0
		.amdhsa_user_sgpr_queue_ptr 0
		.amdhsa_user_sgpr_kernarg_segment_ptr 1
		.amdhsa_user_sgpr_dispatch_id 0
		.amdhsa_user_sgpr_flat_scratch_init 0
		.amdhsa_user_sgpr_kernarg_preload_length 0
		.amdhsa_user_sgpr_kernarg_preload_offset 0
		.amdhsa_user_sgpr_private_segment_size 0
		.amdhsa_uses_dynamic_stack 0
		.amdhsa_system_sgpr_private_segment_wavefront_offset 0
		.amdhsa_system_sgpr_workgroup_id_x 1
		.amdhsa_system_sgpr_workgroup_id_y 0
		.amdhsa_system_sgpr_workgroup_id_z 0
		.amdhsa_system_sgpr_workgroup_info 0
		.amdhsa_system_vgpr_workitem_id 0
		.amdhsa_next_free_vgpr 1
		.amdhsa_next_free_sgpr 0
		.amdhsa_accum_offset 4
		.amdhsa_reserve_vcc 0
		.amdhsa_reserve_flat_scratch 0
		.amdhsa_float_round_mode_32 0
		.amdhsa_float_round_mode_16_64 0
		.amdhsa_float_denorm_mode_32 3
		.amdhsa_float_denorm_mode_16_64 3
		.amdhsa_dx10_clamp 1
		.amdhsa_ieee_mode 1
		.amdhsa_fp16_overflow 0
		.amdhsa_tg_split 0
		.amdhsa_exception_fp_ieee_invalid_op 0
		.amdhsa_exception_fp_denorm_src 0
		.amdhsa_exception_fp_ieee_div_zero 0
		.amdhsa_exception_fp_ieee_overflow 0
		.amdhsa_exception_fp_ieee_underflow 0
		.amdhsa_exception_fp_ieee_inexact 0
		.amdhsa_exception_int_div_zero 0
	.end_amdhsa_kernel
	.section	.text._ZN7rocprim17ROCPRIM_400000_NS6detail17trampoline_kernelINS0_14default_configENS1_25partition_config_selectorILNS1_17partition_subalgoE1EyNS0_10empty_typeEbEEZZNS1_14partition_implILS5_1ELb0ES3_jN6thrust23THRUST_200600_302600_NS6detail15normal_iteratorINSA_10device_ptrIyEEEEPS6_NSA_18transform_iteratorI7is_evenIyESF_NSA_11use_defaultESK_EENS0_5tupleIJNSA_16discard_iteratorISK_EESF_EEENSM_IJSG_SG_EEES6_PlJS6_EEE10hipError_tPvRmT3_T4_T5_T6_T7_T9_mT8_P12ihipStream_tbDpT10_ENKUlT_T0_E_clISt17integral_constantIbLb1EES1B_EEDaS16_S17_EUlS16_E_NS1_11comp_targetILNS1_3genE3ELNS1_11target_archE908ELNS1_3gpuE7ELNS1_3repE0EEENS1_30default_config_static_selectorELNS0_4arch9wavefront6targetE1EEEvT1_,"axG",@progbits,_ZN7rocprim17ROCPRIM_400000_NS6detail17trampoline_kernelINS0_14default_configENS1_25partition_config_selectorILNS1_17partition_subalgoE1EyNS0_10empty_typeEbEEZZNS1_14partition_implILS5_1ELb0ES3_jN6thrust23THRUST_200600_302600_NS6detail15normal_iteratorINSA_10device_ptrIyEEEEPS6_NSA_18transform_iteratorI7is_evenIyESF_NSA_11use_defaultESK_EENS0_5tupleIJNSA_16discard_iteratorISK_EESF_EEENSM_IJSG_SG_EEES6_PlJS6_EEE10hipError_tPvRmT3_T4_T5_T6_T7_T9_mT8_P12ihipStream_tbDpT10_ENKUlT_T0_E_clISt17integral_constantIbLb1EES1B_EEDaS16_S17_EUlS16_E_NS1_11comp_targetILNS1_3genE3ELNS1_11target_archE908ELNS1_3gpuE7ELNS1_3repE0EEENS1_30default_config_static_selectorELNS0_4arch9wavefront6targetE1EEEvT1_,comdat
.Lfunc_end2950:
	.size	_ZN7rocprim17ROCPRIM_400000_NS6detail17trampoline_kernelINS0_14default_configENS1_25partition_config_selectorILNS1_17partition_subalgoE1EyNS0_10empty_typeEbEEZZNS1_14partition_implILS5_1ELb0ES3_jN6thrust23THRUST_200600_302600_NS6detail15normal_iteratorINSA_10device_ptrIyEEEEPS6_NSA_18transform_iteratorI7is_evenIyESF_NSA_11use_defaultESK_EENS0_5tupleIJNSA_16discard_iteratorISK_EESF_EEENSM_IJSG_SG_EEES6_PlJS6_EEE10hipError_tPvRmT3_T4_T5_T6_T7_T9_mT8_P12ihipStream_tbDpT10_ENKUlT_T0_E_clISt17integral_constantIbLb1EES1B_EEDaS16_S17_EUlS16_E_NS1_11comp_targetILNS1_3genE3ELNS1_11target_archE908ELNS1_3gpuE7ELNS1_3repE0EEENS1_30default_config_static_selectorELNS0_4arch9wavefront6targetE1EEEvT1_, .Lfunc_end2950-_ZN7rocprim17ROCPRIM_400000_NS6detail17trampoline_kernelINS0_14default_configENS1_25partition_config_selectorILNS1_17partition_subalgoE1EyNS0_10empty_typeEbEEZZNS1_14partition_implILS5_1ELb0ES3_jN6thrust23THRUST_200600_302600_NS6detail15normal_iteratorINSA_10device_ptrIyEEEEPS6_NSA_18transform_iteratorI7is_evenIyESF_NSA_11use_defaultESK_EENS0_5tupleIJNSA_16discard_iteratorISK_EESF_EEENSM_IJSG_SG_EEES6_PlJS6_EEE10hipError_tPvRmT3_T4_T5_T6_T7_T9_mT8_P12ihipStream_tbDpT10_ENKUlT_T0_E_clISt17integral_constantIbLb1EES1B_EEDaS16_S17_EUlS16_E_NS1_11comp_targetILNS1_3genE3ELNS1_11target_archE908ELNS1_3gpuE7ELNS1_3repE0EEENS1_30default_config_static_selectorELNS0_4arch9wavefront6targetE1EEEvT1_
                                        ; -- End function
	.section	.AMDGPU.csdata,"",@progbits
; Kernel info:
; codeLenInByte = 0
; NumSgprs: 4
; NumVgprs: 0
; NumAgprs: 0
; TotalNumVgprs: 0
; ScratchSize: 0
; MemoryBound: 0
; FloatMode: 240
; IeeeMode: 1
; LDSByteSize: 0 bytes/workgroup (compile time only)
; SGPRBlocks: 0
; VGPRBlocks: 0
; NumSGPRsForWavesPerEU: 4
; NumVGPRsForWavesPerEU: 1
; AccumOffset: 4
; Occupancy: 8
; WaveLimiterHint : 0
; COMPUTE_PGM_RSRC2:SCRATCH_EN: 0
; COMPUTE_PGM_RSRC2:USER_SGPR: 6
; COMPUTE_PGM_RSRC2:TRAP_HANDLER: 0
; COMPUTE_PGM_RSRC2:TGID_X_EN: 1
; COMPUTE_PGM_RSRC2:TGID_Y_EN: 0
; COMPUTE_PGM_RSRC2:TGID_Z_EN: 0
; COMPUTE_PGM_RSRC2:TIDIG_COMP_CNT: 0
; COMPUTE_PGM_RSRC3_GFX90A:ACCUM_OFFSET: 0
; COMPUTE_PGM_RSRC3_GFX90A:TG_SPLIT: 0
	.section	.text._ZN7rocprim17ROCPRIM_400000_NS6detail17trampoline_kernelINS0_14default_configENS1_25partition_config_selectorILNS1_17partition_subalgoE1EyNS0_10empty_typeEbEEZZNS1_14partition_implILS5_1ELb0ES3_jN6thrust23THRUST_200600_302600_NS6detail15normal_iteratorINSA_10device_ptrIyEEEEPS6_NSA_18transform_iteratorI7is_evenIyESF_NSA_11use_defaultESK_EENS0_5tupleIJNSA_16discard_iteratorISK_EESF_EEENSM_IJSG_SG_EEES6_PlJS6_EEE10hipError_tPvRmT3_T4_T5_T6_T7_T9_mT8_P12ihipStream_tbDpT10_ENKUlT_T0_E_clISt17integral_constantIbLb1EES1B_EEDaS16_S17_EUlS16_E_NS1_11comp_targetILNS1_3genE2ELNS1_11target_archE906ELNS1_3gpuE6ELNS1_3repE0EEENS1_30default_config_static_selectorELNS0_4arch9wavefront6targetE1EEEvT1_,"axG",@progbits,_ZN7rocprim17ROCPRIM_400000_NS6detail17trampoline_kernelINS0_14default_configENS1_25partition_config_selectorILNS1_17partition_subalgoE1EyNS0_10empty_typeEbEEZZNS1_14partition_implILS5_1ELb0ES3_jN6thrust23THRUST_200600_302600_NS6detail15normal_iteratorINSA_10device_ptrIyEEEEPS6_NSA_18transform_iteratorI7is_evenIyESF_NSA_11use_defaultESK_EENS0_5tupleIJNSA_16discard_iteratorISK_EESF_EEENSM_IJSG_SG_EEES6_PlJS6_EEE10hipError_tPvRmT3_T4_T5_T6_T7_T9_mT8_P12ihipStream_tbDpT10_ENKUlT_T0_E_clISt17integral_constantIbLb1EES1B_EEDaS16_S17_EUlS16_E_NS1_11comp_targetILNS1_3genE2ELNS1_11target_archE906ELNS1_3gpuE6ELNS1_3repE0EEENS1_30default_config_static_selectorELNS0_4arch9wavefront6targetE1EEEvT1_,comdat
	.protected	_ZN7rocprim17ROCPRIM_400000_NS6detail17trampoline_kernelINS0_14default_configENS1_25partition_config_selectorILNS1_17partition_subalgoE1EyNS0_10empty_typeEbEEZZNS1_14partition_implILS5_1ELb0ES3_jN6thrust23THRUST_200600_302600_NS6detail15normal_iteratorINSA_10device_ptrIyEEEEPS6_NSA_18transform_iteratorI7is_evenIyESF_NSA_11use_defaultESK_EENS0_5tupleIJNSA_16discard_iteratorISK_EESF_EEENSM_IJSG_SG_EEES6_PlJS6_EEE10hipError_tPvRmT3_T4_T5_T6_T7_T9_mT8_P12ihipStream_tbDpT10_ENKUlT_T0_E_clISt17integral_constantIbLb1EES1B_EEDaS16_S17_EUlS16_E_NS1_11comp_targetILNS1_3genE2ELNS1_11target_archE906ELNS1_3gpuE6ELNS1_3repE0EEENS1_30default_config_static_selectorELNS0_4arch9wavefront6targetE1EEEvT1_ ; -- Begin function _ZN7rocprim17ROCPRIM_400000_NS6detail17trampoline_kernelINS0_14default_configENS1_25partition_config_selectorILNS1_17partition_subalgoE1EyNS0_10empty_typeEbEEZZNS1_14partition_implILS5_1ELb0ES3_jN6thrust23THRUST_200600_302600_NS6detail15normal_iteratorINSA_10device_ptrIyEEEEPS6_NSA_18transform_iteratorI7is_evenIyESF_NSA_11use_defaultESK_EENS0_5tupleIJNSA_16discard_iteratorISK_EESF_EEENSM_IJSG_SG_EEES6_PlJS6_EEE10hipError_tPvRmT3_T4_T5_T6_T7_T9_mT8_P12ihipStream_tbDpT10_ENKUlT_T0_E_clISt17integral_constantIbLb1EES1B_EEDaS16_S17_EUlS16_E_NS1_11comp_targetILNS1_3genE2ELNS1_11target_archE906ELNS1_3gpuE6ELNS1_3repE0EEENS1_30default_config_static_selectorELNS0_4arch9wavefront6targetE1EEEvT1_
	.globl	_ZN7rocprim17ROCPRIM_400000_NS6detail17trampoline_kernelINS0_14default_configENS1_25partition_config_selectorILNS1_17partition_subalgoE1EyNS0_10empty_typeEbEEZZNS1_14partition_implILS5_1ELb0ES3_jN6thrust23THRUST_200600_302600_NS6detail15normal_iteratorINSA_10device_ptrIyEEEEPS6_NSA_18transform_iteratorI7is_evenIyESF_NSA_11use_defaultESK_EENS0_5tupleIJNSA_16discard_iteratorISK_EESF_EEENSM_IJSG_SG_EEES6_PlJS6_EEE10hipError_tPvRmT3_T4_T5_T6_T7_T9_mT8_P12ihipStream_tbDpT10_ENKUlT_T0_E_clISt17integral_constantIbLb1EES1B_EEDaS16_S17_EUlS16_E_NS1_11comp_targetILNS1_3genE2ELNS1_11target_archE906ELNS1_3gpuE6ELNS1_3repE0EEENS1_30default_config_static_selectorELNS0_4arch9wavefront6targetE1EEEvT1_
	.p2align	8
	.type	_ZN7rocprim17ROCPRIM_400000_NS6detail17trampoline_kernelINS0_14default_configENS1_25partition_config_selectorILNS1_17partition_subalgoE1EyNS0_10empty_typeEbEEZZNS1_14partition_implILS5_1ELb0ES3_jN6thrust23THRUST_200600_302600_NS6detail15normal_iteratorINSA_10device_ptrIyEEEEPS6_NSA_18transform_iteratorI7is_evenIyESF_NSA_11use_defaultESK_EENS0_5tupleIJNSA_16discard_iteratorISK_EESF_EEENSM_IJSG_SG_EEES6_PlJS6_EEE10hipError_tPvRmT3_T4_T5_T6_T7_T9_mT8_P12ihipStream_tbDpT10_ENKUlT_T0_E_clISt17integral_constantIbLb1EES1B_EEDaS16_S17_EUlS16_E_NS1_11comp_targetILNS1_3genE2ELNS1_11target_archE906ELNS1_3gpuE6ELNS1_3repE0EEENS1_30default_config_static_selectorELNS0_4arch9wavefront6targetE1EEEvT1_,@function
_ZN7rocprim17ROCPRIM_400000_NS6detail17trampoline_kernelINS0_14default_configENS1_25partition_config_selectorILNS1_17partition_subalgoE1EyNS0_10empty_typeEbEEZZNS1_14partition_implILS5_1ELb0ES3_jN6thrust23THRUST_200600_302600_NS6detail15normal_iteratorINSA_10device_ptrIyEEEEPS6_NSA_18transform_iteratorI7is_evenIyESF_NSA_11use_defaultESK_EENS0_5tupleIJNSA_16discard_iteratorISK_EESF_EEENSM_IJSG_SG_EEES6_PlJS6_EEE10hipError_tPvRmT3_T4_T5_T6_T7_T9_mT8_P12ihipStream_tbDpT10_ENKUlT_T0_E_clISt17integral_constantIbLb1EES1B_EEDaS16_S17_EUlS16_E_NS1_11comp_targetILNS1_3genE2ELNS1_11target_archE906ELNS1_3gpuE6ELNS1_3repE0EEENS1_30default_config_static_selectorELNS0_4arch9wavefront6targetE1EEEvT1_: ; @_ZN7rocprim17ROCPRIM_400000_NS6detail17trampoline_kernelINS0_14default_configENS1_25partition_config_selectorILNS1_17partition_subalgoE1EyNS0_10empty_typeEbEEZZNS1_14partition_implILS5_1ELb0ES3_jN6thrust23THRUST_200600_302600_NS6detail15normal_iteratorINSA_10device_ptrIyEEEEPS6_NSA_18transform_iteratorI7is_evenIyESF_NSA_11use_defaultESK_EENS0_5tupleIJNSA_16discard_iteratorISK_EESF_EEENSM_IJSG_SG_EEES6_PlJS6_EEE10hipError_tPvRmT3_T4_T5_T6_T7_T9_mT8_P12ihipStream_tbDpT10_ENKUlT_T0_E_clISt17integral_constantIbLb1EES1B_EEDaS16_S17_EUlS16_E_NS1_11comp_targetILNS1_3genE2ELNS1_11target_archE906ELNS1_3gpuE6ELNS1_3repE0EEENS1_30default_config_static_selectorELNS0_4arch9wavefront6targetE1EEEvT1_
; %bb.0:
	.section	.rodata,"a",@progbits
	.p2align	6, 0x0
	.amdhsa_kernel _ZN7rocprim17ROCPRIM_400000_NS6detail17trampoline_kernelINS0_14default_configENS1_25partition_config_selectorILNS1_17partition_subalgoE1EyNS0_10empty_typeEbEEZZNS1_14partition_implILS5_1ELb0ES3_jN6thrust23THRUST_200600_302600_NS6detail15normal_iteratorINSA_10device_ptrIyEEEEPS6_NSA_18transform_iteratorI7is_evenIyESF_NSA_11use_defaultESK_EENS0_5tupleIJNSA_16discard_iteratorISK_EESF_EEENSM_IJSG_SG_EEES6_PlJS6_EEE10hipError_tPvRmT3_T4_T5_T6_T7_T9_mT8_P12ihipStream_tbDpT10_ENKUlT_T0_E_clISt17integral_constantIbLb1EES1B_EEDaS16_S17_EUlS16_E_NS1_11comp_targetILNS1_3genE2ELNS1_11target_archE906ELNS1_3gpuE6ELNS1_3repE0EEENS1_30default_config_static_selectorELNS0_4arch9wavefront6targetE1EEEvT1_
		.amdhsa_group_segment_fixed_size 0
		.amdhsa_private_segment_fixed_size 0
		.amdhsa_kernarg_size 152
		.amdhsa_user_sgpr_count 6
		.amdhsa_user_sgpr_private_segment_buffer 1
		.amdhsa_user_sgpr_dispatch_ptr 0
		.amdhsa_user_sgpr_queue_ptr 0
		.amdhsa_user_sgpr_kernarg_segment_ptr 1
		.amdhsa_user_sgpr_dispatch_id 0
		.amdhsa_user_sgpr_flat_scratch_init 0
		.amdhsa_user_sgpr_kernarg_preload_length 0
		.amdhsa_user_sgpr_kernarg_preload_offset 0
		.amdhsa_user_sgpr_private_segment_size 0
		.amdhsa_uses_dynamic_stack 0
		.amdhsa_system_sgpr_private_segment_wavefront_offset 0
		.amdhsa_system_sgpr_workgroup_id_x 1
		.amdhsa_system_sgpr_workgroup_id_y 0
		.amdhsa_system_sgpr_workgroup_id_z 0
		.amdhsa_system_sgpr_workgroup_info 0
		.amdhsa_system_vgpr_workitem_id 0
		.amdhsa_next_free_vgpr 1
		.amdhsa_next_free_sgpr 0
		.amdhsa_accum_offset 4
		.amdhsa_reserve_vcc 0
		.amdhsa_reserve_flat_scratch 0
		.amdhsa_float_round_mode_32 0
		.amdhsa_float_round_mode_16_64 0
		.amdhsa_float_denorm_mode_32 3
		.amdhsa_float_denorm_mode_16_64 3
		.amdhsa_dx10_clamp 1
		.amdhsa_ieee_mode 1
		.amdhsa_fp16_overflow 0
		.amdhsa_tg_split 0
		.amdhsa_exception_fp_ieee_invalid_op 0
		.amdhsa_exception_fp_denorm_src 0
		.amdhsa_exception_fp_ieee_div_zero 0
		.amdhsa_exception_fp_ieee_overflow 0
		.amdhsa_exception_fp_ieee_underflow 0
		.amdhsa_exception_fp_ieee_inexact 0
		.amdhsa_exception_int_div_zero 0
	.end_amdhsa_kernel
	.section	.text._ZN7rocprim17ROCPRIM_400000_NS6detail17trampoline_kernelINS0_14default_configENS1_25partition_config_selectorILNS1_17partition_subalgoE1EyNS0_10empty_typeEbEEZZNS1_14partition_implILS5_1ELb0ES3_jN6thrust23THRUST_200600_302600_NS6detail15normal_iteratorINSA_10device_ptrIyEEEEPS6_NSA_18transform_iteratorI7is_evenIyESF_NSA_11use_defaultESK_EENS0_5tupleIJNSA_16discard_iteratorISK_EESF_EEENSM_IJSG_SG_EEES6_PlJS6_EEE10hipError_tPvRmT3_T4_T5_T6_T7_T9_mT8_P12ihipStream_tbDpT10_ENKUlT_T0_E_clISt17integral_constantIbLb1EES1B_EEDaS16_S17_EUlS16_E_NS1_11comp_targetILNS1_3genE2ELNS1_11target_archE906ELNS1_3gpuE6ELNS1_3repE0EEENS1_30default_config_static_selectorELNS0_4arch9wavefront6targetE1EEEvT1_,"axG",@progbits,_ZN7rocprim17ROCPRIM_400000_NS6detail17trampoline_kernelINS0_14default_configENS1_25partition_config_selectorILNS1_17partition_subalgoE1EyNS0_10empty_typeEbEEZZNS1_14partition_implILS5_1ELb0ES3_jN6thrust23THRUST_200600_302600_NS6detail15normal_iteratorINSA_10device_ptrIyEEEEPS6_NSA_18transform_iteratorI7is_evenIyESF_NSA_11use_defaultESK_EENS0_5tupleIJNSA_16discard_iteratorISK_EESF_EEENSM_IJSG_SG_EEES6_PlJS6_EEE10hipError_tPvRmT3_T4_T5_T6_T7_T9_mT8_P12ihipStream_tbDpT10_ENKUlT_T0_E_clISt17integral_constantIbLb1EES1B_EEDaS16_S17_EUlS16_E_NS1_11comp_targetILNS1_3genE2ELNS1_11target_archE906ELNS1_3gpuE6ELNS1_3repE0EEENS1_30default_config_static_selectorELNS0_4arch9wavefront6targetE1EEEvT1_,comdat
.Lfunc_end2951:
	.size	_ZN7rocprim17ROCPRIM_400000_NS6detail17trampoline_kernelINS0_14default_configENS1_25partition_config_selectorILNS1_17partition_subalgoE1EyNS0_10empty_typeEbEEZZNS1_14partition_implILS5_1ELb0ES3_jN6thrust23THRUST_200600_302600_NS6detail15normal_iteratorINSA_10device_ptrIyEEEEPS6_NSA_18transform_iteratorI7is_evenIyESF_NSA_11use_defaultESK_EENS0_5tupleIJNSA_16discard_iteratorISK_EESF_EEENSM_IJSG_SG_EEES6_PlJS6_EEE10hipError_tPvRmT3_T4_T5_T6_T7_T9_mT8_P12ihipStream_tbDpT10_ENKUlT_T0_E_clISt17integral_constantIbLb1EES1B_EEDaS16_S17_EUlS16_E_NS1_11comp_targetILNS1_3genE2ELNS1_11target_archE906ELNS1_3gpuE6ELNS1_3repE0EEENS1_30default_config_static_selectorELNS0_4arch9wavefront6targetE1EEEvT1_, .Lfunc_end2951-_ZN7rocprim17ROCPRIM_400000_NS6detail17trampoline_kernelINS0_14default_configENS1_25partition_config_selectorILNS1_17partition_subalgoE1EyNS0_10empty_typeEbEEZZNS1_14partition_implILS5_1ELb0ES3_jN6thrust23THRUST_200600_302600_NS6detail15normal_iteratorINSA_10device_ptrIyEEEEPS6_NSA_18transform_iteratorI7is_evenIyESF_NSA_11use_defaultESK_EENS0_5tupleIJNSA_16discard_iteratorISK_EESF_EEENSM_IJSG_SG_EEES6_PlJS6_EEE10hipError_tPvRmT3_T4_T5_T6_T7_T9_mT8_P12ihipStream_tbDpT10_ENKUlT_T0_E_clISt17integral_constantIbLb1EES1B_EEDaS16_S17_EUlS16_E_NS1_11comp_targetILNS1_3genE2ELNS1_11target_archE906ELNS1_3gpuE6ELNS1_3repE0EEENS1_30default_config_static_selectorELNS0_4arch9wavefront6targetE1EEEvT1_
                                        ; -- End function
	.section	.AMDGPU.csdata,"",@progbits
; Kernel info:
; codeLenInByte = 0
; NumSgprs: 4
; NumVgprs: 0
; NumAgprs: 0
; TotalNumVgprs: 0
; ScratchSize: 0
; MemoryBound: 0
; FloatMode: 240
; IeeeMode: 1
; LDSByteSize: 0 bytes/workgroup (compile time only)
; SGPRBlocks: 0
; VGPRBlocks: 0
; NumSGPRsForWavesPerEU: 4
; NumVGPRsForWavesPerEU: 1
; AccumOffset: 4
; Occupancy: 8
; WaveLimiterHint : 0
; COMPUTE_PGM_RSRC2:SCRATCH_EN: 0
; COMPUTE_PGM_RSRC2:USER_SGPR: 6
; COMPUTE_PGM_RSRC2:TRAP_HANDLER: 0
; COMPUTE_PGM_RSRC2:TGID_X_EN: 1
; COMPUTE_PGM_RSRC2:TGID_Y_EN: 0
; COMPUTE_PGM_RSRC2:TGID_Z_EN: 0
; COMPUTE_PGM_RSRC2:TIDIG_COMP_CNT: 0
; COMPUTE_PGM_RSRC3_GFX90A:ACCUM_OFFSET: 0
; COMPUTE_PGM_RSRC3_GFX90A:TG_SPLIT: 0
	.section	.text._ZN7rocprim17ROCPRIM_400000_NS6detail17trampoline_kernelINS0_14default_configENS1_25partition_config_selectorILNS1_17partition_subalgoE1EyNS0_10empty_typeEbEEZZNS1_14partition_implILS5_1ELb0ES3_jN6thrust23THRUST_200600_302600_NS6detail15normal_iteratorINSA_10device_ptrIyEEEEPS6_NSA_18transform_iteratorI7is_evenIyESF_NSA_11use_defaultESK_EENS0_5tupleIJNSA_16discard_iteratorISK_EESF_EEENSM_IJSG_SG_EEES6_PlJS6_EEE10hipError_tPvRmT3_T4_T5_T6_T7_T9_mT8_P12ihipStream_tbDpT10_ENKUlT_T0_E_clISt17integral_constantIbLb1EES1B_EEDaS16_S17_EUlS16_E_NS1_11comp_targetILNS1_3genE10ELNS1_11target_archE1200ELNS1_3gpuE4ELNS1_3repE0EEENS1_30default_config_static_selectorELNS0_4arch9wavefront6targetE1EEEvT1_,"axG",@progbits,_ZN7rocprim17ROCPRIM_400000_NS6detail17trampoline_kernelINS0_14default_configENS1_25partition_config_selectorILNS1_17partition_subalgoE1EyNS0_10empty_typeEbEEZZNS1_14partition_implILS5_1ELb0ES3_jN6thrust23THRUST_200600_302600_NS6detail15normal_iteratorINSA_10device_ptrIyEEEEPS6_NSA_18transform_iteratorI7is_evenIyESF_NSA_11use_defaultESK_EENS0_5tupleIJNSA_16discard_iteratorISK_EESF_EEENSM_IJSG_SG_EEES6_PlJS6_EEE10hipError_tPvRmT3_T4_T5_T6_T7_T9_mT8_P12ihipStream_tbDpT10_ENKUlT_T0_E_clISt17integral_constantIbLb1EES1B_EEDaS16_S17_EUlS16_E_NS1_11comp_targetILNS1_3genE10ELNS1_11target_archE1200ELNS1_3gpuE4ELNS1_3repE0EEENS1_30default_config_static_selectorELNS0_4arch9wavefront6targetE1EEEvT1_,comdat
	.protected	_ZN7rocprim17ROCPRIM_400000_NS6detail17trampoline_kernelINS0_14default_configENS1_25partition_config_selectorILNS1_17partition_subalgoE1EyNS0_10empty_typeEbEEZZNS1_14partition_implILS5_1ELb0ES3_jN6thrust23THRUST_200600_302600_NS6detail15normal_iteratorINSA_10device_ptrIyEEEEPS6_NSA_18transform_iteratorI7is_evenIyESF_NSA_11use_defaultESK_EENS0_5tupleIJNSA_16discard_iteratorISK_EESF_EEENSM_IJSG_SG_EEES6_PlJS6_EEE10hipError_tPvRmT3_T4_T5_T6_T7_T9_mT8_P12ihipStream_tbDpT10_ENKUlT_T0_E_clISt17integral_constantIbLb1EES1B_EEDaS16_S17_EUlS16_E_NS1_11comp_targetILNS1_3genE10ELNS1_11target_archE1200ELNS1_3gpuE4ELNS1_3repE0EEENS1_30default_config_static_selectorELNS0_4arch9wavefront6targetE1EEEvT1_ ; -- Begin function _ZN7rocprim17ROCPRIM_400000_NS6detail17trampoline_kernelINS0_14default_configENS1_25partition_config_selectorILNS1_17partition_subalgoE1EyNS0_10empty_typeEbEEZZNS1_14partition_implILS5_1ELb0ES3_jN6thrust23THRUST_200600_302600_NS6detail15normal_iteratorINSA_10device_ptrIyEEEEPS6_NSA_18transform_iteratorI7is_evenIyESF_NSA_11use_defaultESK_EENS0_5tupleIJNSA_16discard_iteratorISK_EESF_EEENSM_IJSG_SG_EEES6_PlJS6_EEE10hipError_tPvRmT3_T4_T5_T6_T7_T9_mT8_P12ihipStream_tbDpT10_ENKUlT_T0_E_clISt17integral_constantIbLb1EES1B_EEDaS16_S17_EUlS16_E_NS1_11comp_targetILNS1_3genE10ELNS1_11target_archE1200ELNS1_3gpuE4ELNS1_3repE0EEENS1_30default_config_static_selectorELNS0_4arch9wavefront6targetE1EEEvT1_
	.globl	_ZN7rocprim17ROCPRIM_400000_NS6detail17trampoline_kernelINS0_14default_configENS1_25partition_config_selectorILNS1_17partition_subalgoE1EyNS0_10empty_typeEbEEZZNS1_14partition_implILS5_1ELb0ES3_jN6thrust23THRUST_200600_302600_NS6detail15normal_iteratorINSA_10device_ptrIyEEEEPS6_NSA_18transform_iteratorI7is_evenIyESF_NSA_11use_defaultESK_EENS0_5tupleIJNSA_16discard_iteratorISK_EESF_EEENSM_IJSG_SG_EEES6_PlJS6_EEE10hipError_tPvRmT3_T4_T5_T6_T7_T9_mT8_P12ihipStream_tbDpT10_ENKUlT_T0_E_clISt17integral_constantIbLb1EES1B_EEDaS16_S17_EUlS16_E_NS1_11comp_targetILNS1_3genE10ELNS1_11target_archE1200ELNS1_3gpuE4ELNS1_3repE0EEENS1_30default_config_static_selectorELNS0_4arch9wavefront6targetE1EEEvT1_
	.p2align	8
	.type	_ZN7rocprim17ROCPRIM_400000_NS6detail17trampoline_kernelINS0_14default_configENS1_25partition_config_selectorILNS1_17partition_subalgoE1EyNS0_10empty_typeEbEEZZNS1_14partition_implILS5_1ELb0ES3_jN6thrust23THRUST_200600_302600_NS6detail15normal_iteratorINSA_10device_ptrIyEEEEPS6_NSA_18transform_iteratorI7is_evenIyESF_NSA_11use_defaultESK_EENS0_5tupleIJNSA_16discard_iteratorISK_EESF_EEENSM_IJSG_SG_EEES6_PlJS6_EEE10hipError_tPvRmT3_T4_T5_T6_T7_T9_mT8_P12ihipStream_tbDpT10_ENKUlT_T0_E_clISt17integral_constantIbLb1EES1B_EEDaS16_S17_EUlS16_E_NS1_11comp_targetILNS1_3genE10ELNS1_11target_archE1200ELNS1_3gpuE4ELNS1_3repE0EEENS1_30default_config_static_selectorELNS0_4arch9wavefront6targetE1EEEvT1_,@function
_ZN7rocprim17ROCPRIM_400000_NS6detail17trampoline_kernelINS0_14default_configENS1_25partition_config_selectorILNS1_17partition_subalgoE1EyNS0_10empty_typeEbEEZZNS1_14partition_implILS5_1ELb0ES3_jN6thrust23THRUST_200600_302600_NS6detail15normal_iteratorINSA_10device_ptrIyEEEEPS6_NSA_18transform_iteratorI7is_evenIyESF_NSA_11use_defaultESK_EENS0_5tupleIJNSA_16discard_iteratorISK_EESF_EEENSM_IJSG_SG_EEES6_PlJS6_EEE10hipError_tPvRmT3_T4_T5_T6_T7_T9_mT8_P12ihipStream_tbDpT10_ENKUlT_T0_E_clISt17integral_constantIbLb1EES1B_EEDaS16_S17_EUlS16_E_NS1_11comp_targetILNS1_3genE10ELNS1_11target_archE1200ELNS1_3gpuE4ELNS1_3repE0EEENS1_30default_config_static_selectorELNS0_4arch9wavefront6targetE1EEEvT1_: ; @_ZN7rocprim17ROCPRIM_400000_NS6detail17trampoline_kernelINS0_14default_configENS1_25partition_config_selectorILNS1_17partition_subalgoE1EyNS0_10empty_typeEbEEZZNS1_14partition_implILS5_1ELb0ES3_jN6thrust23THRUST_200600_302600_NS6detail15normal_iteratorINSA_10device_ptrIyEEEEPS6_NSA_18transform_iteratorI7is_evenIyESF_NSA_11use_defaultESK_EENS0_5tupleIJNSA_16discard_iteratorISK_EESF_EEENSM_IJSG_SG_EEES6_PlJS6_EEE10hipError_tPvRmT3_T4_T5_T6_T7_T9_mT8_P12ihipStream_tbDpT10_ENKUlT_T0_E_clISt17integral_constantIbLb1EES1B_EEDaS16_S17_EUlS16_E_NS1_11comp_targetILNS1_3genE10ELNS1_11target_archE1200ELNS1_3gpuE4ELNS1_3repE0EEENS1_30default_config_static_selectorELNS0_4arch9wavefront6targetE1EEEvT1_
; %bb.0:
	.section	.rodata,"a",@progbits
	.p2align	6, 0x0
	.amdhsa_kernel _ZN7rocprim17ROCPRIM_400000_NS6detail17trampoline_kernelINS0_14default_configENS1_25partition_config_selectorILNS1_17partition_subalgoE1EyNS0_10empty_typeEbEEZZNS1_14partition_implILS5_1ELb0ES3_jN6thrust23THRUST_200600_302600_NS6detail15normal_iteratorINSA_10device_ptrIyEEEEPS6_NSA_18transform_iteratorI7is_evenIyESF_NSA_11use_defaultESK_EENS0_5tupleIJNSA_16discard_iteratorISK_EESF_EEENSM_IJSG_SG_EEES6_PlJS6_EEE10hipError_tPvRmT3_T4_T5_T6_T7_T9_mT8_P12ihipStream_tbDpT10_ENKUlT_T0_E_clISt17integral_constantIbLb1EES1B_EEDaS16_S17_EUlS16_E_NS1_11comp_targetILNS1_3genE10ELNS1_11target_archE1200ELNS1_3gpuE4ELNS1_3repE0EEENS1_30default_config_static_selectorELNS0_4arch9wavefront6targetE1EEEvT1_
		.amdhsa_group_segment_fixed_size 0
		.amdhsa_private_segment_fixed_size 0
		.amdhsa_kernarg_size 152
		.amdhsa_user_sgpr_count 6
		.amdhsa_user_sgpr_private_segment_buffer 1
		.amdhsa_user_sgpr_dispatch_ptr 0
		.amdhsa_user_sgpr_queue_ptr 0
		.amdhsa_user_sgpr_kernarg_segment_ptr 1
		.amdhsa_user_sgpr_dispatch_id 0
		.amdhsa_user_sgpr_flat_scratch_init 0
		.amdhsa_user_sgpr_kernarg_preload_length 0
		.amdhsa_user_sgpr_kernarg_preload_offset 0
		.amdhsa_user_sgpr_private_segment_size 0
		.amdhsa_uses_dynamic_stack 0
		.amdhsa_system_sgpr_private_segment_wavefront_offset 0
		.amdhsa_system_sgpr_workgroup_id_x 1
		.amdhsa_system_sgpr_workgroup_id_y 0
		.amdhsa_system_sgpr_workgroup_id_z 0
		.amdhsa_system_sgpr_workgroup_info 0
		.amdhsa_system_vgpr_workitem_id 0
		.amdhsa_next_free_vgpr 1
		.amdhsa_next_free_sgpr 0
		.amdhsa_accum_offset 4
		.amdhsa_reserve_vcc 0
		.amdhsa_reserve_flat_scratch 0
		.amdhsa_float_round_mode_32 0
		.amdhsa_float_round_mode_16_64 0
		.amdhsa_float_denorm_mode_32 3
		.amdhsa_float_denorm_mode_16_64 3
		.amdhsa_dx10_clamp 1
		.amdhsa_ieee_mode 1
		.amdhsa_fp16_overflow 0
		.amdhsa_tg_split 0
		.amdhsa_exception_fp_ieee_invalid_op 0
		.amdhsa_exception_fp_denorm_src 0
		.amdhsa_exception_fp_ieee_div_zero 0
		.amdhsa_exception_fp_ieee_overflow 0
		.amdhsa_exception_fp_ieee_underflow 0
		.amdhsa_exception_fp_ieee_inexact 0
		.amdhsa_exception_int_div_zero 0
	.end_amdhsa_kernel
	.section	.text._ZN7rocprim17ROCPRIM_400000_NS6detail17trampoline_kernelINS0_14default_configENS1_25partition_config_selectorILNS1_17partition_subalgoE1EyNS0_10empty_typeEbEEZZNS1_14partition_implILS5_1ELb0ES3_jN6thrust23THRUST_200600_302600_NS6detail15normal_iteratorINSA_10device_ptrIyEEEEPS6_NSA_18transform_iteratorI7is_evenIyESF_NSA_11use_defaultESK_EENS0_5tupleIJNSA_16discard_iteratorISK_EESF_EEENSM_IJSG_SG_EEES6_PlJS6_EEE10hipError_tPvRmT3_T4_T5_T6_T7_T9_mT8_P12ihipStream_tbDpT10_ENKUlT_T0_E_clISt17integral_constantIbLb1EES1B_EEDaS16_S17_EUlS16_E_NS1_11comp_targetILNS1_3genE10ELNS1_11target_archE1200ELNS1_3gpuE4ELNS1_3repE0EEENS1_30default_config_static_selectorELNS0_4arch9wavefront6targetE1EEEvT1_,"axG",@progbits,_ZN7rocprim17ROCPRIM_400000_NS6detail17trampoline_kernelINS0_14default_configENS1_25partition_config_selectorILNS1_17partition_subalgoE1EyNS0_10empty_typeEbEEZZNS1_14partition_implILS5_1ELb0ES3_jN6thrust23THRUST_200600_302600_NS6detail15normal_iteratorINSA_10device_ptrIyEEEEPS6_NSA_18transform_iteratorI7is_evenIyESF_NSA_11use_defaultESK_EENS0_5tupleIJNSA_16discard_iteratorISK_EESF_EEENSM_IJSG_SG_EEES6_PlJS6_EEE10hipError_tPvRmT3_T4_T5_T6_T7_T9_mT8_P12ihipStream_tbDpT10_ENKUlT_T0_E_clISt17integral_constantIbLb1EES1B_EEDaS16_S17_EUlS16_E_NS1_11comp_targetILNS1_3genE10ELNS1_11target_archE1200ELNS1_3gpuE4ELNS1_3repE0EEENS1_30default_config_static_selectorELNS0_4arch9wavefront6targetE1EEEvT1_,comdat
.Lfunc_end2952:
	.size	_ZN7rocprim17ROCPRIM_400000_NS6detail17trampoline_kernelINS0_14default_configENS1_25partition_config_selectorILNS1_17partition_subalgoE1EyNS0_10empty_typeEbEEZZNS1_14partition_implILS5_1ELb0ES3_jN6thrust23THRUST_200600_302600_NS6detail15normal_iteratorINSA_10device_ptrIyEEEEPS6_NSA_18transform_iteratorI7is_evenIyESF_NSA_11use_defaultESK_EENS0_5tupleIJNSA_16discard_iteratorISK_EESF_EEENSM_IJSG_SG_EEES6_PlJS6_EEE10hipError_tPvRmT3_T4_T5_T6_T7_T9_mT8_P12ihipStream_tbDpT10_ENKUlT_T0_E_clISt17integral_constantIbLb1EES1B_EEDaS16_S17_EUlS16_E_NS1_11comp_targetILNS1_3genE10ELNS1_11target_archE1200ELNS1_3gpuE4ELNS1_3repE0EEENS1_30default_config_static_selectorELNS0_4arch9wavefront6targetE1EEEvT1_, .Lfunc_end2952-_ZN7rocprim17ROCPRIM_400000_NS6detail17trampoline_kernelINS0_14default_configENS1_25partition_config_selectorILNS1_17partition_subalgoE1EyNS0_10empty_typeEbEEZZNS1_14partition_implILS5_1ELb0ES3_jN6thrust23THRUST_200600_302600_NS6detail15normal_iteratorINSA_10device_ptrIyEEEEPS6_NSA_18transform_iteratorI7is_evenIyESF_NSA_11use_defaultESK_EENS0_5tupleIJNSA_16discard_iteratorISK_EESF_EEENSM_IJSG_SG_EEES6_PlJS6_EEE10hipError_tPvRmT3_T4_T5_T6_T7_T9_mT8_P12ihipStream_tbDpT10_ENKUlT_T0_E_clISt17integral_constantIbLb1EES1B_EEDaS16_S17_EUlS16_E_NS1_11comp_targetILNS1_3genE10ELNS1_11target_archE1200ELNS1_3gpuE4ELNS1_3repE0EEENS1_30default_config_static_selectorELNS0_4arch9wavefront6targetE1EEEvT1_
                                        ; -- End function
	.section	.AMDGPU.csdata,"",@progbits
; Kernel info:
; codeLenInByte = 0
; NumSgprs: 4
; NumVgprs: 0
; NumAgprs: 0
; TotalNumVgprs: 0
; ScratchSize: 0
; MemoryBound: 0
; FloatMode: 240
; IeeeMode: 1
; LDSByteSize: 0 bytes/workgroup (compile time only)
; SGPRBlocks: 0
; VGPRBlocks: 0
; NumSGPRsForWavesPerEU: 4
; NumVGPRsForWavesPerEU: 1
; AccumOffset: 4
; Occupancy: 8
; WaveLimiterHint : 0
; COMPUTE_PGM_RSRC2:SCRATCH_EN: 0
; COMPUTE_PGM_RSRC2:USER_SGPR: 6
; COMPUTE_PGM_RSRC2:TRAP_HANDLER: 0
; COMPUTE_PGM_RSRC2:TGID_X_EN: 1
; COMPUTE_PGM_RSRC2:TGID_Y_EN: 0
; COMPUTE_PGM_RSRC2:TGID_Z_EN: 0
; COMPUTE_PGM_RSRC2:TIDIG_COMP_CNT: 0
; COMPUTE_PGM_RSRC3_GFX90A:ACCUM_OFFSET: 0
; COMPUTE_PGM_RSRC3_GFX90A:TG_SPLIT: 0
	.section	.text._ZN7rocprim17ROCPRIM_400000_NS6detail17trampoline_kernelINS0_14default_configENS1_25partition_config_selectorILNS1_17partition_subalgoE1EyNS0_10empty_typeEbEEZZNS1_14partition_implILS5_1ELb0ES3_jN6thrust23THRUST_200600_302600_NS6detail15normal_iteratorINSA_10device_ptrIyEEEEPS6_NSA_18transform_iteratorI7is_evenIyESF_NSA_11use_defaultESK_EENS0_5tupleIJNSA_16discard_iteratorISK_EESF_EEENSM_IJSG_SG_EEES6_PlJS6_EEE10hipError_tPvRmT3_T4_T5_T6_T7_T9_mT8_P12ihipStream_tbDpT10_ENKUlT_T0_E_clISt17integral_constantIbLb1EES1B_EEDaS16_S17_EUlS16_E_NS1_11comp_targetILNS1_3genE9ELNS1_11target_archE1100ELNS1_3gpuE3ELNS1_3repE0EEENS1_30default_config_static_selectorELNS0_4arch9wavefront6targetE1EEEvT1_,"axG",@progbits,_ZN7rocprim17ROCPRIM_400000_NS6detail17trampoline_kernelINS0_14default_configENS1_25partition_config_selectorILNS1_17partition_subalgoE1EyNS0_10empty_typeEbEEZZNS1_14partition_implILS5_1ELb0ES3_jN6thrust23THRUST_200600_302600_NS6detail15normal_iteratorINSA_10device_ptrIyEEEEPS6_NSA_18transform_iteratorI7is_evenIyESF_NSA_11use_defaultESK_EENS0_5tupleIJNSA_16discard_iteratorISK_EESF_EEENSM_IJSG_SG_EEES6_PlJS6_EEE10hipError_tPvRmT3_T4_T5_T6_T7_T9_mT8_P12ihipStream_tbDpT10_ENKUlT_T0_E_clISt17integral_constantIbLb1EES1B_EEDaS16_S17_EUlS16_E_NS1_11comp_targetILNS1_3genE9ELNS1_11target_archE1100ELNS1_3gpuE3ELNS1_3repE0EEENS1_30default_config_static_selectorELNS0_4arch9wavefront6targetE1EEEvT1_,comdat
	.protected	_ZN7rocprim17ROCPRIM_400000_NS6detail17trampoline_kernelINS0_14default_configENS1_25partition_config_selectorILNS1_17partition_subalgoE1EyNS0_10empty_typeEbEEZZNS1_14partition_implILS5_1ELb0ES3_jN6thrust23THRUST_200600_302600_NS6detail15normal_iteratorINSA_10device_ptrIyEEEEPS6_NSA_18transform_iteratorI7is_evenIyESF_NSA_11use_defaultESK_EENS0_5tupleIJNSA_16discard_iteratorISK_EESF_EEENSM_IJSG_SG_EEES6_PlJS6_EEE10hipError_tPvRmT3_T4_T5_T6_T7_T9_mT8_P12ihipStream_tbDpT10_ENKUlT_T0_E_clISt17integral_constantIbLb1EES1B_EEDaS16_S17_EUlS16_E_NS1_11comp_targetILNS1_3genE9ELNS1_11target_archE1100ELNS1_3gpuE3ELNS1_3repE0EEENS1_30default_config_static_selectorELNS0_4arch9wavefront6targetE1EEEvT1_ ; -- Begin function _ZN7rocprim17ROCPRIM_400000_NS6detail17trampoline_kernelINS0_14default_configENS1_25partition_config_selectorILNS1_17partition_subalgoE1EyNS0_10empty_typeEbEEZZNS1_14partition_implILS5_1ELb0ES3_jN6thrust23THRUST_200600_302600_NS6detail15normal_iteratorINSA_10device_ptrIyEEEEPS6_NSA_18transform_iteratorI7is_evenIyESF_NSA_11use_defaultESK_EENS0_5tupleIJNSA_16discard_iteratorISK_EESF_EEENSM_IJSG_SG_EEES6_PlJS6_EEE10hipError_tPvRmT3_T4_T5_T6_T7_T9_mT8_P12ihipStream_tbDpT10_ENKUlT_T0_E_clISt17integral_constantIbLb1EES1B_EEDaS16_S17_EUlS16_E_NS1_11comp_targetILNS1_3genE9ELNS1_11target_archE1100ELNS1_3gpuE3ELNS1_3repE0EEENS1_30default_config_static_selectorELNS0_4arch9wavefront6targetE1EEEvT1_
	.globl	_ZN7rocprim17ROCPRIM_400000_NS6detail17trampoline_kernelINS0_14default_configENS1_25partition_config_selectorILNS1_17partition_subalgoE1EyNS0_10empty_typeEbEEZZNS1_14partition_implILS5_1ELb0ES3_jN6thrust23THRUST_200600_302600_NS6detail15normal_iteratorINSA_10device_ptrIyEEEEPS6_NSA_18transform_iteratorI7is_evenIyESF_NSA_11use_defaultESK_EENS0_5tupleIJNSA_16discard_iteratorISK_EESF_EEENSM_IJSG_SG_EEES6_PlJS6_EEE10hipError_tPvRmT3_T4_T5_T6_T7_T9_mT8_P12ihipStream_tbDpT10_ENKUlT_T0_E_clISt17integral_constantIbLb1EES1B_EEDaS16_S17_EUlS16_E_NS1_11comp_targetILNS1_3genE9ELNS1_11target_archE1100ELNS1_3gpuE3ELNS1_3repE0EEENS1_30default_config_static_selectorELNS0_4arch9wavefront6targetE1EEEvT1_
	.p2align	8
	.type	_ZN7rocprim17ROCPRIM_400000_NS6detail17trampoline_kernelINS0_14default_configENS1_25partition_config_selectorILNS1_17partition_subalgoE1EyNS0_10empty_typeEbEEZZNS1_14partition_implILS5_1ELb0ES3_jN6thrust23THRUST_200600_302600_NS6detail15normal_iteratorINSA_10device_ptrIyEEEEPS6_NSA_18transform_iteratorI7is_evenIyESF_NSA_11use_defaultESK_EENS0_5tupleIJNSA_16discard_iteratorISK_EESF_EEENSM_IJSG_SG_EEES6_PlJS6_EEE10hipError_tPvRmT3_T4_T5_T6_T7_T9_mT8_P12ihipStream_tbDpT10_ENKUlT_T0_E_clISt17integral_constantIbLb1EES1B_EEDaS16_S17_EUlS16_E_NS1_11comp_targetILNS1_3genE9ELNS1_11target_archE1100ELNS1_3gpuE3ELNS1_3repE0EEENS1_30default_config_static_selectorELNS0_4arch9wavefront6targetE1EEEvT1_,@function
_ZN7rocprim17ROCPRIM_400000_NS6detail17trampoline_kernelINS0_14default_configENS1_25partition_config_selectorILNS1_17partition_subalgoE1EyNS0_10empty_typeEbEEZZNS1_14partition_implILS5_1ELb0ES3_jN6thrust23THRUST_200600_302600_NS6detail15normal_iteratorINSA_10device_ptrIyEEEEPS6_NSA_18transform_iteratorI7is_evenIyESF_NSA_11use_defaultESK_EENS0_5tupleIJNSA_16discard_iteratorISK_EESF_EEENSM_IJSG_SG_EEES6_PlJS6_EEE10hipError_tPvRmT3_T4_T5_T6_T7_T9_mT8_P12ihipStream_tbDpT10_ENKUlT_T0_E_clISt17integral_constantIbLb1EES1B_EEDaS16_S17_EUlS16_E_NS1_11comp_targetILNS1_3genE9ELNS1_11target_archE1100ELNS1_3gpuE3ELNS1_3repE0EEENS1_30default_config_static_selectorELNS0_4arch9wavefront6targetE1EEEvT1_: ; @_ZN7rocprim17ROCPRIM_400000_NS6detail17trampoline_kernelINS0_14default_configENS1_25partition_config_selectorILNS1_17partition_subalgoE1EyNS0_10empty_typeEbEEZZNS1_14partition_implILS5_1ELb0ES3_jN6thrust23THRUST_200600_302600_NS6detail15normal_iteratorINSA_10device_ptrIyEEEEPS6_NSA_18transform_iteratorI7is_evenIyESF_NSA_11use_defaultESK_EENS0_5tupleIJNSA_16discard_iteratorISK_EESF_EEENSM_IJSG_SG_EEES6_PlJS6_EEE10hipError_tPvRmT3_T4_T5_T6_T7_T9_mT8_P12ihipStream_tbDpT10_ENKUlT_T0_E_clISt17integral_constantIbLb1EES1B_EEDaS16_S17_EUlS16_E_NS1_11comp_targetILNS1_3genE9ELNS1_11target_archE1100ELNS1_3gpuE3ELNS1_3repE0EEENS1_30default_config_static_selectorELNS0_4arch9wavefront6targetE1EEEvT1_
; %bb.0:
	.section	.rodata,"a",@progbits
	.p2align	6, 0x0
	.amdhsa_kernel _ZN7rocprim17ROCPRIM_400000_NS6detail17trampoline_kernelINS0_14default_configENS1_25partition_config_selectorILNS1_17partition_subalgoE1EyNS0_10empty_typeEbEEZZNS1_14partition_implILS5_1ELb0ES3_jN6thrust23THRUST_200600_302600_NS6detail15normal_iteratorINSA_10device_ptrIyEEEEPS6_NSA_18transform_iteratorI7is_evenIyESF_NSA_11use_defaultESK_EENS0_5tupleIJNSA_16discard_iteratorISK_EESF_EEENSM_IJSG_SG_EEES6_PlJS6_EEE10hipError_tPvRmT3_T4_T5_T6_T7_T9_mT8_P12ihipStream_tbDpT10_ENKUlT_T0_E_clISt17integral_constantIbLb1EES1B_EEDaS16_S17_EUlS16_E_NS1_11comp_targetILNS1_3genE9ELNS1_11target_archE1100ELNS1_3gpuE3ELNS1_3repE0EEENS1_30default_config_static_selectorELNS0_4arch9wavefront6targetE1EEEvT1_
		.amdhsa_group_segment_fixed_size 0
		.amdhsa_private_segment_fixed_size 0
		.amdhsa_kernarg_size 152
		.amdhsa_user_sgpr_count 6
		.amdhsa_user_sgpr_private_segment_buffer 1
		.amdhsa_user_sgpr_dispatch_ptr 0
		.amdhsa_user_sgpr_queue_ptr 0
		.amdhsa_user_sgpr_kernarg_segment_ptr 1
		.amdhsa_user_sgpr_dispatch_id 0
		.amdhsa_user_sgpr_flat_scratch_init 0
		.amdhsa_user_sgpr_kernarg_preload_length 0
		.amdhsa_user_sgpr_kernarg_preload_offset 0
		.amdhsa_user_sgpr_private_segment_size 0
		.amdhsa_uses_dynamic_stack 0
		.amdhsa_system_sgpr_private_segment_wavefront_offset 0
		.amdhsa_system_sgpr_workgroup_id_x 1
		.amdhsa_system_sgpr_workgroup_id_y 0
		.amdhsa_system_sgpr_workgroup_id_z 0
		.amdhsa_system_sgpr_workgroup_info 0
		.amdhsa_system_vgpr_workitem_id 0
		.amdhsa_next_free_vgpr 1
		.amdhsa_next_free_sgpr 0
		.amdhsa_accum_offset 4
		.amdhsa_reserve_vcc 0
		.amdhsa_reserve_flat_scratch 0
		.amdhsa_float_round_mode_32 0
		.amdhsa_float_round_mode_16_64 0
		.amdhsa_float_denorm_mode_32 3
		.amdhsa_float_denorm_mode_16_64 3
		.amdhsa_dx10_clamp 1
		.amdhsa_ieee_mode 1
		.amdhsa_fp16_overflow 0
		.amdhsa_tg_split 0
		.amdhsa_exception_fp_ieee_invalid_op 0
		.amdhsa_exception_fp_denorm_src 0
		.amdhsa_exception_fp_ieee_div_zero 0
		.amdhsa_exception_fp_ieee_overflow 0
		.amdhsa_exception_fp_ieee_underflow 0
		.amdhsa_exception_fp_ieee_inexact 0
		.amdhsa_exception_int_div_zero 0
	.end_amdhsa_kernel
	.section	.text._ZN7rocprim17ROCPRIM_400000_NS6detail17trampoline_kernelINS0_14default_configENS1_25partition_config_selectorILNS1_17partition_subalgoE1EyNS0_10empty_typeEbEEZZNS1_14partition_implILS5_1ELb0ES3_jN6thrust23THRUST_200600_302600_NS6detail15normal_iteratorINSA_10device_ptrIyEEEEPS6_NSA_18transform_iteratorI7is_evenIyESF_NSA_11use_defaultESK_EENS0_5tupleIJNSA_16discard_iteratorISK_EESF_EEENSM_IJSG_SG_EEES6_PlJS6_EEE10hipError_tPvRmT3_T4_T5_T6_T7_T9_mT8_P12ihipStream_tbDpT10_ENKUlT_T0_E_clISt17integral_constantIbLb1EES1B_EEDaS16_S17_EUlS16_E_NS1_11comp_targetILNS1_3genE9ELNS1_11target_archE1100ELNS1_3gpuE3ELNS1_3repE0EEENS1_30default_config_static_selectorELNS0_4arch9wavefront6targetE1EEEvT1_,"axG",@progbits,_ZN7rocprim17ROCPRIM_400000_NS6detail17trampoline_kernelINS0_14default_configENS1_25partition_config_selectorILNS1_17partition_subalgoE1EyNS0_10empty_typeEbEEZZNS1_14partition_implILS5_1ELb0ES3_jN6thrust23THRUST_200600_302600_NS6detail15normal_iteratorINSA_10device_ptrIyEEEEPS6_NSA_18transform_iteratorI7is_evenIyESF_NSA_11use_defaultESK_EENS0_5tupleIJNSA_16discard_iteratorISK_EESF_EEENSM_IJSG_SG_EEES6_PlJS6_EEE10hipError_tPvRmT3_T4_T5_T6_T7_T9_mT8_P12ihipStream_tbDpT10_ENKUlT_T0_E_clISt17integral_constantIbLb1EES1B_EEDaS16_S17_EUlS16_E_NS1_11comp_targetILNS1_3genE9ELNS1_11target_archE1100ELNS1_3gpuE3ELNS1_3repE0EEENS1_30default_config_static_selectorELNS0_4arch9wavefront6targetE1EEEvT1_,comdat
.Lfunc_end2953:
	.size	_ZN7rocprim17ROCPRIM_400000_NS6detail17trampoline_kernelINS0_14default_configENS1_25partition_config_selectorILNS1_17partition_subalgoE1EyNS0_10empty_typeEbEEZZNS1_14partition_implILS5_1ELb0ES3_jN6thrust23THRUST_200600_302600_NS6detail15normal_iteratorINSA_10device_ptrIyEEEEPS6_NSA_18transform_iteratorI7is_evenIyESF_NSA_11use_defaultESK_EENS0_5tupleIJNSA_16discard_iteratorISK_EESF_EEENSM_IJSG_SG_EEES6_PlJS6_EEE10hipError_tPvRmT3_T4_T5_T6_T7_T9_mT8_P12ihipStream_tbDpT10_ENKUlT_T0_E_clISt17integral_constantIbLb1EES1B_EEDaS16_S17_EUlS16_E_NS1_11comp_targetILNS1_3genE9ELNS1_11target_archE1100ELNS1_3gpuE3ELNS1_3repE0EEENS1_30default_config_static_selectorELNS0_4arch9wavefront6targetE1EEEvT1_, .Lfunc_end2953-_ZN7rocprim17ROCPRIM_400000_NS6detail17trampoline_kernelINS0_14default_configENS1_25partition_config_selectorILNS1_17partition_subalgoE1EyNS0_10empty_typeEbEEZZNS1_14partition_implILS5_1ELb0ES3_jN6thrust23THRUST_200600_302600_NS6detail15normal_iteratorINSA_10device_ptrIyEEEEPS6_NSA_18transform_iteratorI7is_evenIyESF_NSA_11use_defaultESK_EENS0_5tupleIJNSA_16discard_iteratorISK_EESF_EEENSM_IJSG_SG_EEES6_PlJS6_EEE10hipError_tPvRmT3_T4_T5_T6_T7_T9_mT8_P12ihipStream_tbDpT10_ENKUlT_T0_E_clISt17integral_constantIbLb1EES1B_EEDaS16_S17_EUlS16_E_NS1_11comp_targetILNS1_3genE9ELNS1_11target_archE1100ELNS1_3gpuE3ELNS1_3repE0EEENS1_30default_config_static_selectorELNS0_4arch9wavefront6targetE1EEEvT1_
                                        ; -- End function
	.section	.AMDGPU.csdata,"",@progbits
; Kernel info:
; codeLenInByte = 0
; NumSgprs: 4
; NumVgprs: 0
; NumAgprs: 0
; TotalNumVgprs: 0
; ScratchSize: 0
; MemoryBound: 0
; FloatMode: 240
; IeeeMode: 1
; LDSByteSize: 0 bytes/workgroup (compile time only)
; SGPRBlocks: 0
; VGPRBlocks: 0
; NumSGPRsForWavesPerEU: 4
; NumVGPRsForWavesPerEU: 1
; AccumOffset: 4
; Occupancy: 8
; WaveLimiterHint : 0
; COMPUTE_PGM_RSRC2:SCRATCH_EN: 0
; COMPUTE_PGM_RSRC2:USER_SGPR: 6
; COMPUTE_PGM_RSRC2:TRAP_HANDLER: 0
; COMPUTE_PGM_RSRC2:TGID_X_EN: 1
; COMPUTE_PGM_RSRC2:TGID_Y_EN: 0
; COMPUTE_PGM_RSRC2:TGID_Z_EN: 0
; COMPUTE_PGM_RSRC2:TIDIG_COMP_CNT: 0
; COMPUTE_PGM_RSRC3_GFX90A:ACCUM_OFFSET: 0
; COMPUTE_PGM_RSRC3_GFX90A:TG_SPLIT: 0
	.section	.text._ZN7rocprim17ROCPRIM_400000_NS6detail17trampoline_kernelINS0_14default_configENS1_25partition_config_selectorILNS1_17partition_subalgoE1EyNS0_10empty_typeEbEEZZNS1_14partition_implILS5_1ELb0ES3_jN6thrust23THRUST_200600_302600_NS6detail15normal_iteratorINSA_10device_ptrIyEEEEPS6_NSA_18transform_iteratorI7is_evenIyESF_NSA_11use_defaultESK_EENS0_5tupleIJNSA_16discard_iteratorISK_EESF_EEENSM_IJSG_SG_EEES6_PlJS6_EEE10hipError_tPvRmT3_T4_T5_T6_T7_T9_mT8_P12ihipStream_tbDpT10_ENKUlT_T0_E_clISt17integral_constantIbLb1EES1B_EEDaS16_S17_EUlS16_E_NS1_11comp_targetILNS1_3genE8ELNS1_11target_archE1030ELNS1_3gpuE2ELNS1_3repE0EEENS1_30default_config_static_selectorELNS0_4arch9wavefront6targetE1EEEvT1_,"axG",@progbits,_ZN7rocprim17ROCPRIM_400000_NS6detail17trampoline_kernelINS0_14default_configENS1_25partition_config_selectorILNS1_17partition_subalgoE1EyNS0_10empty_typeEbEEZZNS1_14partition_implILS5_1ELb0ES3_jN6thrust23THRUST_200600_302600_NS6detail15normal_iteratorINSA_10device_ptrIyEEEEPS6_NSA_18transform_iteratorI7is_evenIyESF_NSA_11use_defaultESK_EENS0_5tupleIJNSA_16discard_iteratorISK_EESF_EEENSM_IJSG_SG_EEES6_PlJS6_EEE10hipError_tPvRmT3_T4_T5_T6_T7_T9_mT8_P12ihipStream_tbDpT10_ENKUlT_T0_E_clISt17integral_constantIbLb1EES1B_EEDaS16_S17_EUlS16_E_NS1_11comp_targetILNS1_3genE8ELNS1_11target_archE1030ELNS1_3gpuE2ELNS1_3repE0EEENS1_30default_config_static_selectorELNS0_4arch9wavefront6targetE1EEEvT1_,comdat
	.protected	_ZN7rocprim17ROCPRIM_400000_NS6detail17trampoline_kernelINS0_14default_configENS1_25partition_config_selectorILNS1_17partition_subalgoE1EyNS0_10empty_typeEbEEZZNS1_14partition_implILS5_1ELb0ES3_jN6thrust23THRUST_200600_302600_NS6detail15normal_iteratorINSA_10device_ptrIyEEEEPS6_NSA_18transform_iteratorI7is_evenIyESF_NSA_11use_defaultESK_EENS0_5tupleIJNSA_16discard_iteratorISK_EESF_EEENSM_IJSG_SG_EEES6_PlJS6_EEE10hipError_tPvRmT3_T4_T5_T6_T7_T9_mT8_P12ihipStream_tbDpT10_ENKUlT_T0_E_clISt17integral_constantIbLb1EES1B_EEDaS16_S17_EUlS16_E_NS1_11comp_targetILNS1_3genE8ELNS1_11target_archE1030ELNS1_3gpuE2ELNS1_3repE0EEENS1_30default_config_static_selectorELNS0_4arch9wavefront6targetE1EEEvT1_ ; -- Begin function _ZN7rocprim17ROCPRIM_400000_NS6detail17trampoline_kernelINS0_14default_configENS1_25partition_config_selectorILNS1_17partition_subalgoE1EyNS0_10empty_typeEbEEZZNS1_14partition_implILS5_1ELb0ES3_jN6thrust23THRUST_200600_302600_NS6detail15normal_iteratorINSA_10device_ptrIyEEEEPS6_NSA_18transform_iteratorI7is_evenIyESF_NSA_11use_defaultESK_EENS0_5tupleIJNSA_16discard_iteratorISK_EESF_EEENSM_IJSG_SG_EEES6_PlJS6_EEE10hipError_tPvRmT3_T4_T5_T6_T7_T9_mT8_P12ihipStream_tbDpT10_ENKUlT_T0_E_clISt17integral_constantIbLb1EES1B_EEDaS16_S17_EUlS16_E_NS1_11comp_targetILNS1_3genE8ELNS1_11target_archE1030ELNS1_3gpuE2ELNS1_3repE0EEENS1_30default_config_static_selectorELNS0_4arch9wavefront6targetE1EEEvT1_
	.globl	_ZN7rocprim17ROCPRIM_400000_NS6detail17trampoline_kernelINS0_14default_configENS1_25partition_config_selectorILNS1_17partition_subalgoE1EyNS0_10empty_typeEbEEZZNS1_14partition_implILS5_1ELb0ES3_jN6thrust23THRUST_200600_302600_NS6detail15normal_iteratorINSA_10device_ptrIyEEEEPS6_NSA_18transform_iteratorI7is_evenIyESF_NSA_11use_defaultESK_EENS0_5tupleIJNSA_16discard_iteratorISK_EESF_EEENSM_IJSG_SG_EEES6_PlJS6_EEE10hipError_tPvRmT3_T4_T5_T6_T7_T9_mT8_P12ihipStream_tbDpT10_ENKUlT_T0_E_clISt17integral_constantIbLb1EES1B_EEDaS16_S17_EUlS16_E_NS1_11comp_targetILNS1_3genE8ELNS1_11target_archE1030ELNS1_3gpuE2ELNS1_3repE0EEENS1_30default_config_static_selectorELNS0_4arch9wavefront6targetE1EEEvT1_
	.p2align	8
	.type	_ZN7rocprim17ROCPRIM_400000_NS6detail17trampoline_kernelINS0_14default_configENS1_25partition_config_selectorILNS1_17partition_subalgoE1EyNS0_10empty_typeEbEEZZNS1_14partition_implILS5_1ELb0ES3_jN6thrust23THRUST_200600_302600_NS6detail15normal_iteratorINSA_10device_ptrIyEEEEPS6_NSA_18transform_iteratorI7is_evenIyESF_NSA_11use_defaultESK_EENS0_5tupleIJNSA_16discard_iteratorISK_EESF_EEENSM_IJSG_SG_EEES6_PlJS6_EEE10hipError_tPvRmT3_T4_T5_T6_T7_T9_mT8_P12ihipStream_tbDpT10_ENKUlT_T0_E_clISt17integral_constantIbLb1EES1B_EEDaS16_S17_EUlS16_E_NS1_11comp_targetILNS1_3genE8ELNS1_11target_archE1030ELNS1_3gpuE2ELNS1_3repE0EEENS1_30default_config_static_selectorELNS0_4arch9wavefront6targetE1EEEvT1_,@function
_ZN7rocprim17ROCPRIM_400000_NS6detail17trampoline_kernelINS0_14default_configENS1_25partition_config_selectorILNS1_17partition_subalgoE1EyNS0_10empty_typeEbEEZZNS1_14partition_implILS5_1ELb0ES3_jN6thrust23THRUST_200600_302600_NS6detail15normal_iteratorINSA_10device_ptrIyEEEEPS6_NSA_18transform_iteratorI7is_evenIyESF_NSA_11use_defaultESK_EENS0_5tupleIJNSA_16discard_iteratorISK_EESF_EEENSM_IJSG_SG_EEES6_PlJS6_EEE10hipError_tPvRmT3_T4_T5_T6_T7_T9_mT8_P12ihipStream_tbDpT10_ENKUlT_T0_E_clISt17integral_constantIbLb1EES1B_EEDaS16_S17_EUlS16_E_NS1_11comp_targetILNS1_3genE8ELNS1_11target_archE1030ELNS1_3gpuE2ELNS1_3repE0EEENS1_30default_config_static_selectorELNS0_4arch9wavefront6targetE1EEEvT1_: ; @_ZN7rocprim17ROCPRIM_400000_NS6detail17trampoline_kernelINS0_14default_configENS1_25partition_config_selectorILNS1_17partition_subalgoE1EyNS0_10empty_typeEbEEZZNS1_14partition_implILS5_1ELb0ES3_jN6thrust23THRUST_200600_302600_NS6detail15normal_iteratorINSA_10device_ptrIyEEEEPS6_NSA_18transform_iteratorI7is_evenIyESF_NSA_11use_defaultESK_EENS0_5tupleIJNSA_16discard_iteratorISK_EESF_EEENSM_IJSG_SG_EEES6_PlJS6_EEE10hipError_tPvRmT3_T4_T5_T6_T7_T9_mT8_P12ihipStream_tbDpT10_ENKUlT_T0_E_clISt17integral_constantIbLb1EES1B_EEDaS16_S17_EUlS16_E_NS1_11comp_targetILNS1_3genE8ELNS1_11target_archE1030ELNS1_3gpuE2ELNS1_3repE0EEENS1_30default_config_static_selectorELNS0_4arch9wavefront6targetE1EEEvT1_
; %bb.0:
	.section	.rodata,"a",@progbits
	.p2align	6, 0x0
	.amdhsa_kernel _ZN7rocprim17ROCPRIM_400000_NS6detail17trampoline_kernelINS0_14default_configENS1_25partition_config_selectorILNS1_17partition_subalgoE1EyNS0_10empty_typeEbEEZZNS1_14partition_implILS5_1ELb0ES3_jN6thrust23THRUST_200600_302600_NS6detail15normal_iteratorINSA_10device_ptrIyEEEEPS6_NSA_18transform_iteratorI7is_evenIyESF_NSA_11use_defaultESK_EENS0_5tupleIJNSA_16discard_iteratorISK_EESF_EEENSM_IJSG_SG_EEES6_PlJS6_EEE10hipError_tPvRmT3_T4_T5_T6_T7_T9_mT8_P12ihipStream_tbDpT10_ENKUlT_T0_E_clISt17integral_constantIbLb1EES1B_EEDaS16_S17_EUlS16_E_NS1_11comp_targetILNS1_3genE8ELNS1_11target_archE1030ELNS1_3gpuE2ELNS1_3repE0EEENS1_30default_config_static_selectorELNS0_4arch9wavefront6targetE1EEEvT1_
		.amdhsa_group_segment_fixed_size 0
		.amdhsa_private_segment_fixed_size 0
		.amdhsa_kernarg_size 152
		.amdhsa_user_sgpr_count 6
		.amdhsa_user_sgpr_private_segment_buffer 1
		.amdhsa_user_sgpr_dispatch_ptr 0
		.amdhsa_user_sgpr_queue_ptr 0
		.amdhsa_user_sgpr_kernarg_segment_ptr 1
		.amdhsa_user_sgpr_dispatch_id 0
		.amdhsa_user_sgpr_flat_scratch_init 0
		.amdhsa_user_sgpr_kernarg_preload_length 0
		.amdhsa_user_sgpr_kernarg_preload_offset 0
		.amdhsa_user_sgpr_private_segment_size 0
		.amdhsa_uses_dynamic_stack 0
		.amdhsa_system_sgpr_private_segment_wavefront_offset 0
		.amdhsa_system_sgpr_workgroup_id_x 1
		.amdhsa_system_sgpr_workgroup_id_y 0
		.amdhsa_system_sgpr_workgroup_id_z 0
		.amdhsa_system_sgpr_workgroup_info 0
		.amdhsa_system_vgpr_workitem_id 0
		.amdhsa_next_free_vgpr 1
		.amdhsa_next_free_sgpr 0
		.amdhsa_accum_offset 4
		.amdhsa_reserve_vcc 0
		.amdhsa_reserve_flat_scratch 0
		.amdhsa_float_round_mode_32 0
		.amdhsa_float_round_mode_16_64 0
		.amdhsa_float_denorm_mode_32 3
		.amdhsa_float_denorm_mode_16_64 3
		.amdhsa_dx10_clamp 1
		.amdhsa_ieee_mode 1
		.amdhsa_fp16_overflow 0
		.amdhsa_tg_split 0
		.amdhsa_exception_fp_ieee_invalid_op 0
		.amdhsa_exception_fp_denorm_src 0
		.amdhsa_exception_fp_ieee_div_zero 0
		.amdhsa_exception_fp_ieee_overflow 0
		.amdhsa_exception_fp_ieee_underflow 0
		.amdhsa_exception_fp_ieee_inexact 0
		.amdhsa_exception_int_div_zero 0
	.end_amdhsa_kernel
	.section	.text._ZN7rocprim17ROCPRIM_400000_NS6detail17trampoline_kernelINS0_14default_configENS1_25partition_config_selectorILNS1_17partition_subalgoE1EyNS0_10empty_typeEbEEZZNS1_14partition_implILS5_1ELb0ES3_jN6thrust23THRUST_200600_302600_NS6detail15normal_iteratorINSA_10device_ptrIyEEEEPS6_NSA_18transform_iteratorI7is_evenIyESF_NSA_11use_defaultESK_EENS0_5tupleIJNSA_16discard_iteratorISK_EESF_EEENSM_IJSG_SG_EEES6_PlJS6_EEE10hipError_tPvRmT3_T4_T5_T6_T7_T9_mT8_P12ihipStream_tbDpT10_ENKUlT_T0_E_clISt17integral_constantIbLb1EES1B_EEDaS16_S17_EUlS16_E_NS1_11comp_targetILNS1_3genE8ELNS1_11target_archE1030ELNS1_3gpuE2ELNS1_3repE0EEENS1_30default_config_static_selectorELNS0_4arch9wavefront6targetE1EEEvT1_,"axG",@progbits,_ZN7rocprim17ROCPRIM_400000_NS6detail17trampoline_kernelINS0_14default_configENS1_25partition_config_selectorILNS1_17partition_subalgoE1EyNS0_10empty_typeEbEEZZNS1_14partition_implILS5_1ELb0ES3_jN6thrust23THRUST_200600_302600_NS6detail15normal_iteratorINSA_10device_ptrIyEEEEPS6_NSA_18transform_iteratorI7is_evenIyESF_NSA_11use_defaultESK_EENS0_5tupleIJNSA_16discard_iteratorISK_EESF_EEENSM_IJSG_SG_EEES6_PlJS6_EEE10hipError_tPvRmT3_T4_T5_T6_T7_T9_mT8_P12ihipStream_tbDpT10_ENKUlT_T0_E_clISt17integral_constantIbLb1EES1B_EEDaS16_S17_EUlS16_E_NS1_11comp_targetILNS1_3genE8ELNS1_11target_archE1030ELNS1_3gpuE2ELNS1_3repE0EEENS1_30default_config_static_selectorELNS0_4arch9wavefront6targetE1EEEvT1_,comdat
.Lfunc_end2954:
	.size	_ZN7rocprim17ROCPRIM_400000_NS6detail17trampoline_kernelINS0_14default_configENS1_25partition_config_selectorILNS1_17partition_subalgoE1EyNS0_10empty_typeEbEEZZNS1_14partition_implILS5_1ELb0ES3_jN6thrust23THRUST_200600_302600_NS6detail15normal_iteratorINSA_10device_ptrIyEEEEPS6_NSA_18transform_iteratorI7is_evenIyESF_NSA_11use_defaultESK_EENS0_5tupleIJNSA_16discard_iteratorISK_EESF_EEENSM_IJSG_SG_EEES6_PlJS6_EEE10hipError_tPvRmT3_T4_T5_T6_T7_T9_mT8_P12ihipStream_tbDpT10_ENKUlT_T0_E_clISt17integral_constantIbLb1EES1B_EEDaS16_S17_EUlS16_E_NS1_11comp_targetILNS1_3genE8ELNS1_11target_archE1030ELNS1_3gpuE2ELNS1_3repE0EEENS1_30default_config_static_selectorELNS0_4arch9wavefront6targetE1EEEvT1_, .Lfunc_end2954-_ZN7rocprim17ROCPRIM_400000_NS6detail17trampoline_kernelINS0_14default_configENS1_25partition_config_selectorILNS1_17partition_subalgoE1EyNS0_10empty_typeEbEEZZNS1_14partition_implILS5_1ELb0ES3_jN6thrust23THRUST_200600_302600_NS6detail15normal_iteratorINSA_10device_ptrIyEEEEPS6_NSA_18transform_iteratorI7is_evenIyESF_NSA_11use_defaultESK_EENS0_5tupleIJNSA_16discard_iteratorISK_EESF_EEENSM_IJSG_SG_EEES6_PlJS6_EEE10hipError_tPvRmT3_T4_T5_T6_T7_T9_mT8_P12ihipStream_tbDpT10_ENKUlT_T0_E_clISt17integral_constantIbLb1EES1B_EEDaS16_S17_EUlS16_E_NS1_11comp_targetILNS1_3genE8ELNS1_11target_archE1030ELNS1_3gpuE2ELNS1_3repE0EEENS1_30default_config_static_selectorELNS0_4arch9wavefront6targetE1EEEvT1_
                                        ; -- End function
	.section	.AMDGPU.csdata,"",@progbits
; Kernel info:
; codeLenInByte = 0
; NumSgprs: 4
; NumVgprs: 0
; NumAgprs: 0
; TotalNumVgprs: 0
; ScratchSize: 0
; MemoryBound: 0
; FloatMode: 240
; IeeeMode: 1
; LDSByteSize: 0 bytes/workgroup (compile time only)
; SGPRBlocks: 0
; VGPRBlocks: 0
; NumSGPRsForWavesPerEU: 4
; NumVGPRsForWavesPerEU: 1
; AccumOffset: 4
; Occupancy: 8
; WaveLimiterHint : 0
; COMPUTE_PGM_RSRC2:SCRATCH_EN: 0
; COMPUTE_PGM_RSRC2:USER_SGPR: 6
; COMPUTE_PGM_RSRC2:TRAP_HANDLER: 0
; COMPUTE_PGM_RSRC2:TGID_X_EN: 1
; COMPUTE_PGM_RSRC2:TGID_Y_EN: 0
; COMPUTE_PGM_RSRC2:TGID_Z_EN: 0
; COMPUTE_PGM_RSRC2:TIDIG_COMP_CNT: 0
; COMPUTE_PGM_RSRC3_GFX90A:ACCUM_OFFSET: 0
; COMPUTE_PGM_RSRC3_GFX90A:TG_SPLIT: 0
	.section	.text._ZN7rocprim17ROCPRIM_400000_NS6detail17trampoline_kernelINS0_14default_configENS1_25partition_config_selectorILNS1_17partition_subalgoE1EyNS0_10empty_typeEbEEZZNS1_14partition_implILS5_1ELb0ES3_jN6thrust23THRUST_200600_302600_NS6detail15normal_iteratorINSA_10device_ptrIyEEEEPS6_NSA_18transform_iteratorI7is_evenIyESF_NSA_11use_defaultESK_EENS0_5tupleIJNSA_16discard_iteratorISK_EESF_EEENSM_IJSG_SG_EEES6_PlJS6_EEE10hipError_tPvRmT3_T4_T5_T6_T7_T9_mT8_P12ihipStream_tbDpT10_ENKUlT_T0_E_clISt17integral_constantIbLb1EES1A_IbLb0EEEEDaS16_S17_EUlS16_E_NS1_11comp_targetILNS1_3genE0ELNS1_11target_archE4294967295ELNS1_3gpuE0ELNS1_3repE0EEENS1_30default_config_static_selectorELNS0_4arch9wavefront6targetE1EEEvT1_,"axG",@progbits,_ZN7rocprim17ROCPRIM_400000_NS6detail17trampoline_kernelINS0_14default_configENS1_25partition_config_selectorILNS1_17partition_subalgoE1EyNS0_10empty_typeEbEEZZNS1_14partition_implILS5_1ELb0ES3_jN6thrust23THRUST_200600_302600_NS6detail15normal_iteratorINSA_10device_ptrIyEEEEPS6_NSA_18transform_iteratorI7is_evenIyESF_NSA_11use_defaultESK_EENS0_5tupleIJNSA_16discard_iteratorISK_EESF_EEENSM_IJSG_SG_EEES6_PlJS6_EEE10hipError_tPvRmT3_T4_T5_T6_T7_T9_mT8_P12ihipStream_tbDpT10_ENKUlT_T0_E_clISt17integral_constantIbLb1EES1A_IbLb0EEEEDaS16_S17_EUlS16_E_NS1_11comp_targetILNS1_3genE0ELNS1_11target_archE4294967295ELNS1_3gpuE0ELNS1_3repE0EEENS1_30default_config_static_selectorELNS0_4arch9wavefront6targetE1EEEvT1_,comdat
	.protected	_ZN7rocprim17ROCPRIM_400000_NS6detail17trampoline_kernelINS0_14default_configENS1_25partition_config_selectorILNS1_17partition_subalgoE1EyNS0_10empty_typeEbEEZZNS1_14partition_implILS5_1ELb0ES3_jN6thrust23THRUST_200600_302600_NS6detail15normal_iteratorINSA_10device_ptrIyEEEEPS6_NSA_18transform_iteratorI7is_evenIyESF_NSA_11use_defaultESK_EENS0_5tupleIJNSA_16discard_iteratorISK_EESF_EEENSM_IJSG_SG_EEES6_PlJS6_EEE10hipError_tPvRmT3_T4_T5_T6_T7_T9_mT8_P12ihipStream_tbDpT10_ENKUlT_T0_E_clISt17integral_constantIbLb1EES1A_IbLb0EEEEDaS16_S17_EUlS16_E_NS1_11comp_targetILNS1_3genE0ELNS1_11target_archE4294967295ELNS1_3gpuE0ELNS1_3repE0EEENS1_30default_config_static_selectorELNS0_4arch9wavefront6targetE1EEEvT1_ ; -- Begin function _ZN7rocprim17ROCPRIM_400000_NS6detail17trampoline_kernelINS0_14default_configENS1_25partition_config_selectorILNS1_17partition_subalgoE1EyNS0_10empty_typeEbEEZZNS1_14partition_implILS5_1ELb0ES3_jN6thrust23THRUST_200600_302600_NS6detail15normal_iteratorINSA_10device_ptrIyEEEEPS6_NSA_18transform_iteratorI7is_evenIyESF_NSA_11use_defaultESK_EENS0_5tupleIJNSA_16discard_iteratorISK_EESF_EEENSM_IJSG_SG_EEES6_PlJS6_EEE10hipError_tPvRmT3_T4_T5_T6_T7_T9_mT8_P12ihipStream_tbDpT10_ENKUlT_T0_E_clISt17integral_constantIbLb1EES1A_IbLb0EEEEDaS16_S17_EUlS16_E_NS1_11comp_targetILNS1_3genE0ELNS1_11target_archE4294967295ELNS1_3gpuE0ELNS1_3repE0EEENS1_30default_config_static_selectorELNS0_4arch9wavefront6targetE1EEEvT1_
	.globl	_ZN7rocprim17ROCPRIM_400000_NS6detail17trampoline_kernelINS0_14default_configENS1_25partition_config_selectorILNS1_17partition_subalgoE1EyNS0_10empty_typeEbEEZZNS1_14partition_implILS5_1ELb0ES3_jN6thrust23THRUST_200600_302600_NS6detail15normal_iteratorINSA_10device_ptrIyEEEEPS6_NSA_18transform_iteratorI7is_evenIyESF_NSA_11use_defaultESK_EENS0_5tupleIJNSA_16discard_iteratorISK_EESF_EEENSM_IJSG_SG_EEES6_PlJS6_EEE10hipError_tPvRmT3_T4_T5_T6_T7_T9_mT8_P12ihipStream_tbDpT10_ENKUlT_T0_E_clISt17integral_constantIbLb1EES1A_IbLb0EEEEDaS16_S17_EUlS16_E_NS1_11comp_targetILNS1_3genE0ELNS1_11target_archE4294967295ELNS1_3gpuE0ELNS1_3repE0EEENS1_30default_config_static_selectorELNS0_4arch9wavefront6targetE1EEEvT1_
	.p2align	8
	.type	_ZN7rocprim17ROCPRIM_400000_NS6detail17trampoline_kernelINS0_14default_configENS1_25partition_config_selectorILNS1_17partition_subalgoE1EyNS0_10empty_typeEbEEZZNS1_14partition_implILS5_1ELb0ES3_jN6thrust23THRUST_200600_302600_NS6detail15normal_iteratorINSA_10device_ptrIyEEEEPS6_NSA_18transform_iteratorI7is_evenIyESF_NSA_11use_defaultESK_EENS0_5tupleIJNSA_16discard_iteratorISK_EESF_EEENSM_IJSG_SG_EEES6_PlJS6_EEE10hipError_tPvRmT3_T4_T5_T6_T7_T9_mT8_P12ihipStream_tbDpT10_ENKUlT_T0_E_clISt17integral_constantIbLb1EES1A_IbLb0EEEEDaS16_S17_EUlS16_E_NS1_11comp_targetILNS1_3genE0ELNS1_11target_archE4294967295ELNS1_3gpuE0ELNS1_3repE0EEENS1_30default_config_static_selectorELNS0_4arch9wavefront6targetE1EEEvT1_,@function
_ZN7rocprim17ROCPRIM_400000_NS6detail17trampoline_kernelINS0_14default_configENS1_25partition_config_selectorILNS1_17partition_subalgoE1EyNS0_10empty_typeEbEEZZNS1_14partition_implILS5_1ELb0ES3_jN6thrust23THRUST_200600_302600_NS6detail15normal_iteratorINSA_10device_ptrIyEEEEPS6_NSA_18transform_iteratorI7is_evenIyESF_NSA_11use_defaultESK_EENS0_5tupleIJNSA_16discard_iteratorISK_EESF_EEENSM_IJSG_SG_EEES6_PlJS6_EEE10hipError_tPvRmT3_T4_T5_T6_T7_T9_mT8_P12ihipStream_tbDpT10_ENKUlT_T0_E_clISt17integral_constantIbLb1EES1A_IbLb0EEEEDaS16_S17_EUlS16_E_NS1_11comp_targetILNS1_3genE0ELNS1_11target_archE4294967295ELNS1_3gpuE0ELNS1_3repE0EEENS1_30default_config_static_selectorELNS0_4arch9wavefront6targetE1EEEvT1_: ; @_ZN7rocprim17ROCPRIM_400000_NS6detail17trampoline_kernelINS0_14default_configENS1_25partition_config_selectorILNS1_17partition_subalgoE1EyNS0_10empty_typeEbEEZZNS1_14partition_implILS5_1ELb0ES3_jN6thrust23THRUST_200600_302600_NS6detail15normal_iteratorINSA_10device_ptrIyEEEEPS6_NSA_18transform_iteratorI7is_evenIyESF_NSA_11use_defaultESK_EENS0_5tupleIJNSA_16discard_iteratorISK_EESF_EEENSM_IJSG_SG_EEES6_PlJS6_EEE10hipError_tPvRmT3_T4_T5_T6_T7_T9_mT8_P12ihipStream_tbDpT10_ENKUlT_T0_E_clISt17integral_constantIbLb1EES1A_IbLb0EEEEDaS16_S17_EUlS16_E_NS1_11comp_targetILNS1_3genE0ELNS1_11target_archE4294967295ELNS1_3gpuE0ELNS1_3repE0EEENS1_30default_config_static_selectorELNS0_4arch9wavefront6targetE1EEEvT1_
; %bb.0:
	.section	.rodata,"a",@progbits
	.p2align	6, 0x0
	.amdhsa_kernel _ZN7rocprim17ROCPRIM_400000_NS6detail17trampoline_kernelINS0_14default_configENS1_25partition_config_selectorILNS1_17partition_subalgoE1EyNS0_10empty_typeEbEEZZNS1_14partition_implILS5_1ELb0ES3_jN6thrust23THRUST_200600_302600_NS6detail15normal_iteratorINSA_10device_ptrIyEEEEPS6_NSA_18transform_iteratorI7is_evenIyESF_NSA_11use_defaultESK_EENS0_5tupleIJNSA_16discard_iteratorISK_EESF_EEENSM_IJSG_SG_EEES6_PlJS6_EEE10hipError_tPvRmT3_T4_T5_T6_T7_T9_mT8_P12ihipStream_tbDpT10_ENKUlT_T0_E_clISt17integral_constantIbLb1EES1A_IbLb0EEEEDaS16_S17_EUlS16_E_NS1_11comp_targetILNS1_3genE0ELNS1_11target_archE4294967295ELNS1_3gpuE0ELNS1_3repE0EEENS1_30default_config_static_selectorELNS0_4arch9wavefront6targetE1EEEvT1_
		.amdhsa_group_segment_fixed_size 0
		.amdhsa_private_segment_fixed_size 0
		.amdhsa_kernarg_size 136
		.amdhsa_user_sgpr_count 6
		.amdhsa_user_sgpr_private_segment_buffer 1
		.amdhsa_user_sgpr_dispatch_ptr 0
		.amdhsa_user_sgpr_queue_ptr 0
		.amdhsa_user_sgpr_kernarg_segment_ptr 1
		.amdhsa_user_sgpr_dispatch_id 0
		.amdhsa_user_sgpr_flat_scratch_init 0
		.amdhsa_user_sgpr_kernarg_preload_length 0
		.amdhsa_user_sgpr_kernarg_preload_offset 0
		.amdhsa_user_sgpr_private_segment_size 0
		.amdhsa_uses_dynamic_stack 0
		.amdhsa_system_sgpr_private_segment_wavefront_offset 0
		.amdhsa_system_sgpr_workgroup_id_x 1
		.amdhsa_system_sgpr_workgroup_id_y 0
		.amdhsa_system_sgpr_workgroup_id_z 0
		.amdhsa_system_sgpr_workgroup_info 0
		.amdhsa_system_vgpr_workitem_id 0
		.amdhsa_next_free_vgpr 1
		.amdhsa_next_free_sgpr 0
		.amdhsa_accum_offset 4
		.amdhsa_reserve_vcc 0
		.amdhsa_reserve_flat_scratch 0
		.amdhsa_float_round_mode_32 0
		.amdhsa_float_round_mode_16_64 0
		.amdhsa_float_denorm_mode_32 3
		.amdhsa_float_denorm_mode_16_64 3
		.amdhsa_dx10_clamp 1
		.amdhsa_ieee_mode 1
		.amdhsa_fp16_overflow 0
		.amdhsa_tg_split 0
		.amdhsa_exception_fp_ieee_invalid_op 0
		.amdhsa_exception_fp_denorm_src 0
		.amdhsa_exception_fp_ieee_div_zero 0
		.amdhsa_exception_fp_ieee_overflow 0
		.amdhsa_exception_fp_ieee_underflow 0
		.amdhsa_exception_fp_ieee_inexact 0
		.amdhsa_exception_int_div_zero 0
	.end_amdhsa_kernel
	.section	.text._ZN7rocprim17ROCPRIM_400000_NS6detail17trampoline_kernelINS0_14default_configENS1_25partition_config_selectorILNS1_17partition_subalgoE1EyNS0_10empty_typeEbEEZZNS1_14partition_implILS5_1ELb0ES3_jN6thrust23THRUST_200600_302600_NS6detail15normal_iteratorINSA_10device_ptrIyEEEEPS6_NSA_18transform_iteratorI7is_evenIyESF_NSA_11use_defaultESK_EENS0_5tupleIJNSA_16discard_iteratorISK_EESF_EEENSM_IJSG_SG_EEES6_PlJS6_EEE10hipError_tPvRmT3_T4_T5_T6_T7_T9_mT8_P12ihipStream_tbDpT10_ENKUlT_T0_E_clISt17integral_constantIbLb1EES1A_IbLb0EEEEDaS16_S17_EUlS16_E_NS1_11comp_targetILNS1_3genE0ELNS1_11target_archE4294967295ELNS1_3gpuE0ELNS1_3repE0EEENS1_30default_config_static_selectorELNS0_4arch9wavefront6targetE1EEEvT1_,"axG",@progbits,_ZN7rocprim17ROCPRIM_400000_NS6detail17trampoline_kernelINS0_14default_configENS1_25partition_config_selectorILNS1_17partition_subalgoE1EyNS0_10empty_typeEbEEZZNS1_14partition_implILS5_1ELb0ES3_jN6thrust23THRUST_200600_302600_NS6detail15normal_iteratorINSA_10device_ptrIyEEEEPS6_NSA_18transform_iteratorI7is_evenIyESF_NSA_11use_defaultESK_EENS0_5tupleIJNSA_16discard_iteratorISK_EESF_EEENSM_IJSG_SG_EEES6_PlJS6_EEE10hipError_tPvRmT3_T4_T5_T6_T7_T9_mT8_P12ihipStream_tbDpT10_ENKUlT_T0_E_clISt17integral_constantIbLb1EES1A_IbLb0EEEEDaS16_S17_EUlS16_E_NS1_11comp_targetILNS1_3genE0ELNS1_11target_archE4294967295ELNS1_3gpuE0ELNS1_3repE0EEENS1_30default_config_static_selectorELNS0_4arch9wavefront6targetE1EEEvT1_,comdat
.Lfunc_end2955:
	.size	_ZN7rocprim17ROCPRIM_400000_NS6detail17trampoline_kernelINS0_14default_configENS1_25partition_config_selectorILNS1_17partition_subalgoE1EyNS0_10empty_typeEbEEZZNS1_14partition_implILS5_1ELb0ES3_jN6thrust23THRUST_200600_302600_NS6detail15normal_iteratorINSA_10device_ptrIyEEEEPS6_NSA_18transform_iteratorI7is_evenIyESF_NSA_11use_defaultESK_EENS0_5tupleIJNSA_16discard_iteratorISK_EESF_EEENSM_IJSG_SG_EEES6_PlJS6_EEE10hipError_tPvRmT3_T4_T5_T6_T7_T9_mT8_P12ihipStream_tbDpT10_ENKUlT_T0_E_clISt17integral_constantIbLb1EES1A_IbLb0EEEEDaS16_S17_EUlS16_E_NS1_11comp_targetILNS1_3genE0ELNS1_11target_archE4294967295ELNS1_3gpuE0ELNS1_3repE0EEENS1_30default_config_static_selectorELNS0_4arch9wavefront6targetE1EEEvT1_, .Lfunc_end2955-_ZN7rocprim17ROCPRIM_400000_NS6detail17trampoline_kernelINS0_14default_configENS1_25partition_config_selectorILNS1_17partition_subalgoE1EyNS0_10empty_typeEbEEZZNS1_14partition_implILS5_1ELb0ES3_jN6thrust23THRUST_200600_302600_NS6detail15normal_iteratorINSA_10device_ptrIyEEEEPS6_NSA_18transform_iteratorI7is_evenIyESF_NSA_11use_defaultESK_EENS0_5tupleIJNSA_16discard_iteratorISK_EESF_EEENSM_IJSG_SG_EEES6_PlJS6_EEE10hipError_tPvRmT3_T4_T5_T6_T7_T9_mT8_P12ihipStream_tbDpT10_ENKUlT_T0_E_clISt17integral_constantIbLb1EES1A_IbLb0EEEEDaS16_S17_EUlS16_E_NS1_11comp_targetILNS1_3genE0ELNS1_11target_archE4294967295ELNS1_3gpuE0ELNS1_3repE0EEENS1_30default_config_static_selectorELNS0_4arch9wavefront6targetE1EEEvT1_
                                        ; -- End function
	.section	.AMDGPU.csdata,"",@progbits
; Kernel info:
; codeLenInByte = 0
; NumSgprs: 4
; NumVgprs: 0
; NumAgprs: 0
; TotalNumVgprs: 0
; ScratchSize: 0
; MemoryBound: 0
; FloatMode: 240
; IeeeMode: 1
; LDSByteSize: 0 bytes/workgroup (compile time only)
; SGPRBlocks: 0
; VGPRBlocks: 0
; NumSGPRsForWavesPerEU: 4
; NumVGPRsForWavesPerEU: 1
; AccumOffset: 4
; Occupancy: 8
; WaveLimiterHint : 0
; COMPUTE_PGM_RSRC2:SCRATCH_EN: 0
; COMPUTE_PGM_RSRC2:USER_SGPR: 6
; COMPUTE_PGM_RSRC2:TRAP_HANDLER: 0
; COMPUTE_PGM_RSRC2:TGID_X_EN: 1
; COMPUTE_PGM_RSRC2:TGID_Y_EN: 0
; COMPUTE_PGM_RSRC2:TGID_Z_EN: 0
; COMPUTE_PGM_RSRC2:TIDIG_COMP_CNT: 0
; COMPUTE_PGM_RSRC3_GFX90A:ACCUM_OFFSET: 0
; COMPUTE_PGM_RSRC3_GFX90A:TG_SPLIT: 0
	.section	.text._ZN7rocprim17ROCPRIM_400000_NS6detail17trampoline_kernelINS0_14default_configENS1_25partition_config_selectorILNS1_17partition_subalgoE1EyNS0_10empty_typeEbEEZZNS1_14partition_implILS5_1ELb0ES3_jN6thrust23THRUST_200600_302600_NS6detail15normal_iteratorINSA_10device_ptrIyEEEEPS6_NSA_18transform_iteratorI7is_evenIyESF_NSA_11use_defaultESK_EENS0_5tupleIJNSA_16discard_iteratorISK_EESF_EEENSM_IJSG_SG_EEES6_PlJS6_EEE10hipError_tPvRmT3_T4_T5_T6_T7_T9_mT8_P12ihipStream_tbDpT10_ENKUlT_T0_E_clISt17integral_constantIbLb1EES1A_IbLb0EEEEDaS16_S17_EUlS16_E_NS1_11comp_targetILNS1_3genE5ELNS1_11target_archE942ELNS1_3gpuE9ELNS1_3repE0EEENS1_30default_config_static_selectorELNS0_4arch9wavefront6targetE1EEEvT1_,"axG",@progbits,_ZN7rocprim17ROCPRIM_400000_NS6detail17trampoline_kernelINS0_14default_configENS1_25partition_config_selectorILNS1_17partition_subalgoE1EyNS0_10empty_typeEbEEZZNS1_14partition_implILS5_1ELb0ES3_jN6thrust23THRUST_200600_302600_NS6detail15normal_iteratorINSA_10device_ptrIyEEEEPS6_NSA_18transform_iteratorI7is_evenIyESF_NSA_11use_defaultESK_EENS0_5tupleIJNSA_16discard_iteratorISK_EESF_EEENSM_IJSG_SG_EEES6_PlJS6_EEE10hipError_tPvRmT3_T4_T5_T6_T7_T9_mT8_P12ihipStream_tbDpT10_ENKUlT_T0_E_clISt17integral_constantIbLb1EES1A_IbLb0EEEEDaS16_S17_EUlS16_E_NS1_11comp_targetILNS1_3genE5ELNS1_11target_archE942ELNS1_3gpuE9ELNS1_3repE0EEENS1_30default_config_static_selectorELNS0_4arch9wavefront6targetE1EEEvT1_,comdat
	.protected	_ZN7rocprim17ROCPRIM_400000_NS6detail17trampoline_kernelINS0_14default_configENS1_25partition_config_selectorILNS1_17partition_subalgoE1EyNS0_10empty_typeEbEEZZNS1_14partition_implILS5_1ELb0ES3_jN6thrust23THRUST_200600_302600_NS6detail15normal_iteratorINSA_10device_ptrIyEEEEPS6_NSA_18transform_iteratorI7is_evenIyESF_NSA_11use_defaultESK_EENS0_5tupleIJNSA_16discard_iteratorISK_EESF_EEENSM_IJSG_SG_EEES6_PlJS6_EEE10hipError_tPvRmT3_T4_T5_T6_T7_T9_mT8_P12ihipStream_tbDpT10_ENKUlT_T0_E_clISt17integral_constantIbLb1EES1A_IbLb0EEEEDaS16_S17_EUlS16_E_NS1_11comp_targetILNS1_3genE5ELNS1_11target_archE942ELNS1_3gpuE9ELNS1_3repE0EEENS1_30default_config_static_selectorELNS0_4arch9wavefront6targetE1EEEvT1_ ; -- Begin function _ZN7rocprim17ROCPRIM_400000_NS6detail17trampoline_kernelINS0_14default_configENS1_25partition_config_selectorILNS1_17partition_subalgoE1EyNS0_10empty_typeEbEEZZNS1_14partition_implILS5_1ELb0ES3_jN6thrust23THRUST_200600_302600_NS6detail15normal_iteratorINSA_10device_ptrIyEEEEPS6_NSA_18transform_iteratorI7is_evenIyESF_NSA_11use_defaultESK_EENS0_5tupleIJNSA_16discard_iteratorISK_EESF_EEENSM_IJSG_SG_EEES6_PlJS6_EEE10hipError_tPvRmT3_T4_T5_T6_T7_T9_mT8_P12ihipStream_tbDpT10_ENKUlT_T0_E_clISt17integral_constantIbLb1EES1A_IbLb0EEEEDaS16_S17_EUlS16_E_NS1_11comp_targetILNS1_3genE5ELNS1_11target_archE942ELNS1_3gpuE9ELNS1_3repE0EEENS1_30default_config_static_selectorELNS0_4arch9wavefront6targetE1EEEvT1_
	.globl	_ZN7rocprim17ROCPRIM_400000_NS6detail17trampoline_kernelINS0_14default_configENS1_25partition_config_selectorILNS1_17partition_subalgoE1EyNS0_10empty_typeEbEEZZNS1_14partition_implILS5_1ELb0ES3_jN6thrust23THRUST_200600_302600_NS6detail15normal_iteratorINSA_10device_ptrIyEEEEPS6_NSA_18transform_iteratorI7is_evenIyESF_NSA_11use_defaultESK_EENS0_5tupleIJNSA_16discard_iteratorISK_EESF_EEENSM_IJSG_SG_EEES6_PlJS6_EEE10hipError_tPvRmT3_T4_T5_T6_T7_T9_mT8_P12ihipStream_tbDpT10_ENKUlT_T0_E_clISt17integral_constantIbLb1EES1A_IbLb0EEEEDaS16_S17_EUlS16_E_NS1_11comp_targetILNS1_3genE5ELNS1_11target_archE942ELNS1_3gpuE9ELNS1_3repE0EEENS1_30default_config_static_selectorELNS0_4arch9wavefront6targetE1EEEvT1_
	.p2align	8
	.type	_ZN7rocprim17ROCPRIM_400000_NS6detail17trampoline_kernelINS0_14default_configENS1_25partition_config_selectorILNS1_17partition_subalgoE1EyNS0_10empty_typeEbEEZZNS1_14partition_implILS5_1ELb0ES3_jN6thrust23THRUST_200600_302600_NS6detail15normal_iteratorINSA_10device_ptrIyEEEEPS6_NSA_18transform_iteratorI7is_evenIyESF_NSA_11use_defaultESK_EENS0_5tupleIJNSA_16discard_iteratorISK_EESF_EEENSM_IJSG_SG_EEES6_PlJS6_EEE10hipError_tPvRmT3_T4_T5_T6_T7_T9_mT8_P12ihipStream_tbDpT10_ENKUlT_T0_E_clISt17integral_constantIbLb1EES1A_IbLb0EEEEDaS16_S17_EUlS16_E_NS1_11comp_targetILNS1_3genE5ELNS1_11target_archE942ELNS1_3gpuE9ELNS1_3repE0EEENS1_30default_config_static_selectorELNS0_4arch9wavefront6targetE1EEEvT1_,@function
_ZN7rocprim17ROCPRIM_400000_NS6detail17trampoline_kernelINS0_14default_configENS1_25partition_config_selectorILNS1_17partition_subalgoE1EyNS0_10empty_typeEbEEZZNS1_14partition_implILS5_1ELb0ES3_jN6thrust23THRUST_200600_302600_NS6detail15normal_iteratorINSA_10device_ptrIyEEEEPS6_NSA_18transform_iteratorI7is_evenIyESF_NSA_11use_defaultESK_EENS0_5tupleIJNSA_16discard_iteratorISK_EESF_EEENSM_IJSG_SG_EEES6_PlJS6_EEE10hipError_tPvRmT3_T4_T5_T6_T7_T9_mT8_P12ihipStream_tbDpT10_ENKUlT_T0_E_clISt17integral_constantIbLb1EES1A_IbLb0EEEEDaS16_S17_EUlS16_E_NS1_11comp_targetILNS1_3genE5ELNS1_11target_archE942ELNS1_3gpuE9ELNS1_3repE0EEENS1_30default_config_static_selectorELNS0_4arch9wavefront6targetE1EEEvT1_: ; @_ZN7rocprim17ROCPRIM_400000_NS6detail17trampoline_kernelINS0_14default_configENS1_25partition_config_selectorILNS1_17partition_subalgoE1EyNS0_10empty_typeEbEEZZNS1_14partition_implILS5_1ELb0ES3_jN6thrust23THRUST_200600_302600_NS6detail15normal_iteratorINSA_10device_ptrIyEEEEPS6_NSA_18transform_iteratorI7is_evenIyESF_NSA_11use_defaultESK_EENS0_5tupleIJNSA_16discard_iteratorISK_EESF_EEENSM_IJSG_SG_EEES6_PlJS6_EEE10hipError_tPvRmT3_T4_T5_T6_T7_T9_mT8_P12ihipStream_tbDpT10_ENKUlT_T0_E_clISt17integral_constantIbLb1EES1A_IbLb0EEEEDaS16_S17_EUlS16_E_NS1_11comp_targetILNS1_3genE5ELNS1_11target_archE942ELNS1_3gpuE9ELNS1_3repE0EEENS1_30default_config_static_selectorELNS0_4arch9wavefront6targetE1EEEvT1_
; %bb.0:
	.section	.rodata,"a",@progbits
	.p2align	6, 0x0
	.amdhsa_kernel _ZN7rocprim17ROCPRIM_400000_NS6detail17trampoline_kernelINS0_14default_configENS1_25partition_config_selectorILNS1_17partition_subalgoE1EyNS0_10empty_typeEbEEZZNS1_14partition_implILS5_1ELb0ES3_jN6thrust23THRUST_200600_302600_NS6detail15normal_iteratorINSA_10device_ptrIyEEEEPS6_NSA_18transform_iteratorI7is_evenIyESF_NSA_11use_defaultESK_EENS0_5tupleIJNSA_16discard_iteratorISK_EESF_EEENSM_IJSG_SG_EEES6_PlJS6_EEE10hipError_tPvRmT3_T4_T5_T6_T7_T9_mT8_P12ihipStream_tbDpT10_ENKUlT_T0_E_clISt17integral_constantIbLb1EES1A_IbLb0EEEEDaS16_S17_EUlS16_E_NS1_11comp_targetILNS1_3genE5ELNS1_11target_archE942ELNS1_3gpuE9ELNS1_3repE0EEENS1_30default_config_static_selectorELNS0_4arch9wavefront6targetE1EEEvT1_
		.amdhsa_group_segment_fixed_size 0
		.amdhsa_private_segment_fixed_size 0
		.amdhsa_kernarg_size 136
		.amdhsa_user_sgpr_count 6
		.amdhsa_user_sgpr_private_segment_buffer 1
		.amdhsa_user_sgpr_dispatch_ptr 0
		.amdhsa_user_sgpr_queue_ptr 0
		.amdhsa_user_sgpr_kernarg_segment_ptr 1
		.amdhsa_user_sgpr_dispatch_id 0
		.amdhsa_user_sgpr_flat_scratch_init 0
		.amdhsa_user_sgpr_kernarg_preload_length 0
		.amdhsa_user_sgpr_kernarg_preload_offset 0
		.amdhsa_user_sgpr_private_segment_size 0
		.amdhsa_uses_dynamic_stack 0
		.amdhsa_system_sgpr_private_segment_wavefront_offset 0
		.amdhsa_system_sgpr_workgroup_id_x 1
		.amdhsa_system_sgpr_workgroup_id_y 0
		.amdhsa_system_sgpr_workgroup_id_z 0
		.amdhsa_system_sgpr_workgroup_info 0
		.amdhsa_system_vgpr_workitem_id 0
		.amdhsa_next_free_vgpr 1
		.amdhsa_next_free_sgpr 0
		.amdhsa_accum_offset 4
		.amdhsa_reserve_vcc 0
		.amdhsa_reserve_flat_scratch 0
		.amdhsa_float_round_mode_32 0
		.amdhsa_float_round_mode_16_64 0
		.amdhsa_float_denorm_mode_32 3
		.amdhsa_float_denorm_mode_16_64 3
		.amdhsa_dx10_clamp 1
		.amdhsa_ieee_mode 1
		.amdhsa_fp16_overflow 0
		.amdhsa_tg_split 0
		.amdhsa_exception_fp_ieee_invalid_op 0
		.amdhsa_exception_fp_denorm_src 0
		.amdhsa_exception_fp_ieee_div_zero 0
		.amdhsa_exception_fp_ieee_overflow 0
		.amdhsa_exception_fp_ieee_underflow 0
		.amdhsa_exception_fp_ieee_inexact 0
		.amdhsa_exception_int_div_zero 0
	.end_amdhsa_kernel
	.section	.text._ZN7rocprim17ROCPRIM_400000_NS6detail17trampoline_kernelINS0_14default_configENS1_25partition_config_selectorILNS1_17partition_subalgoE1EyNS0_10empty_typeEbEEZZNS1_14partition_implILS5_1ELb0ES3_jN6thrust23THRUST_200600_302600_NS6detail15normal_iteratorINSA_10device_ptrIyEEEEPS6_NSA_18transform_iteratorI7is_evenIyESF_NSA_11use_defaultESK_EENS0_5tupleIJNSA_16discard_iteratorISK_EESF_EEENSM_IJSG_SG_EEES6_PlJS6_EEE10hipError_tPvRmT3_T4_T5_T6_T7_T9_mT8_P12ihipStream_tbDpT10_ENKUlT_T0_E_clISt17integral_constantIbLb1EES1A_IbLb0EEEEDaS16_S17_EUlS16_E_NS1_11comp_targetILNS1_3genE5ELNS1_11target_archE942ELNS1_3gpuE9ELNS1_3repE0EEENS1_30default_config_static_selectorELNS0_4arch9wavefront6targetE1EEEvT1_,"axG",@progbits,_ZN7rocprim17ROCPRIM_400000_NS6detail17trampoline_kernelINS0_14default_configENS1_25partition_config_selectorILNS1_17partition_subalgoE1EyNS0_10empty_typeEbEEZZNS1_14partition_implILS5_1ELb0ES3_jN6thrust23THRUST_200600_302600_NS6detail15normal_iteratorINSA_10device_ptrIyEEEEPS6_NSA_18transform_iteratorI7is_evenIyESF_NSA_11use_defaultESK_EENS0_5tupleIJNSA_16discard_iteratorISK_EESF_EEENSM_IJSG_SG_EEES6_PlJS6_EEE10hipError_tPvRmT3_T4_T5_T6_T7_T9_mT8_P12ihipStream_tbDpT10_ENKUlT_T0_E_clISt17integral_constantIbLb1EES1A_IbLb0EEEEDaS16_S17_EUlS16_E_NS1_11comp_targetILNS1_3genE5ELNS1_11target_archE942ELNS1_3gpuE9ELNS1_3repE0EEENS1_30default_config_static_selectorELNS0_4arch9wavefront6targetE1EEEvT1_,comdat
.Lfunc_end2956:
	.size	_ZN7rocprim17ROCPRIM_400000_NS6detail17trampoline_kernelINS0_14default_configENS1_25partition_config_selectorILNS1_17partition_subalgoE1EyNS0_10empty_typeEbEEZZNS1_14partition_implILS5_1ELb0ES3_jN6thrust23THRUST_200600_302600_NS6detail15normal_iteratorINSA_10device_ptrIyEEEEPS6_NSA_18transform_iteratorI7is_evenIyESF_NSA_11use_defaultESK_EENS0_5tupleIJNSA_16discard_iteratorISK_EESF_EEENSM_IJSG_SG_EEES6_PlJS6_EEE10hipError_tPvRmT3_T4_T5_T6_T7_T9_mT8_P12ihipStream_tbDpT10_ENKUlT_T0_E_clISt17integral_constantIbLb1EES1A_IbLb0EEEEDaS16_S17_EUlS16_E_NS1_11comp_targetILNS1_3genE5ELNS1_11target_archE942ELNS1_3gpuE9ELNS1_3repE0EEENS1_30default_config_static_selectorELNS0_4arch9wavefront6targetE1EEEvT1_, .Lfunc_end2956-_ZN7rocprim17ROCPRIM_400000_NS6detail17trampoline_kernelINS0_14default_configENS1_25partition_config_selectorILNS1_17partition_subalgoE1EyNS0_10empty_typeEbEEZZNS1_14partition_implILS5_1ELb0ES3_jN6thrust23THRUST_200600_302600_NS6detail15normal_iteratorINSA_10device_ptrIyEEEEPS6_NSA_18transform_iteratorI7is_evenIyESF_NSA_11use_defaultESK_EENS0_5tupleIJNSA_16discard_iteratorISK_EESF_EEENSM_IJSG_SG_EEES6_PlJS6_EEE10hipError_tPvRmT3_T4_T5_T6_T7_T9_mT8_P12ihipStream_tbDpT10_ENKUlT_T0_E_clISt17integral_constantIbLb1EES1A_IbLb0EEEEDaS16_S17_EUlS16_E_NS1_11comp_targetILNS1_3genE5ELNS1_11target_archE942ELNS1_3gpuE9ELNS1_3repE0EEENS1_30default_config_static_selectorELNS0_4arch9wavefront6targetE1EEEvT1_
                                        ; -- End function
	.section	.AMDGPU.csdata,"",@progbits
; Kernel info:
; codeLenInByte = 0
; NumSgprs: 4
; NumVgprs: 0
; NumAgprs: 0
; TotalNumVgprs: 0
; ScratchSize: 0
; MemoryBound: 0
; FloatMode: 240
; IeeeMode: 1
; LDSByteSize: 0 bytes/workgroup (compile time only)
; SGPRBlocks: 0
; VGPRBlocks: 0
; NumSGPRsForWavesPerEU: 4
; NumVGPRsForWavesPerEU: 1
; AccumOffset: 4
; Occupancy: 8
; WaveLimiterHint : 0
; COMPUTE_PGM_RSRC2:SCRATCH_EN: 0
; COMPUTE_PGM_RSRC2:USER_SGPR: 6
; COMPUTE_PGM_RSRC2:TRAP_HANDLER: 0
; COMPUTE_PGM_RSRC2:TGID_X_EN: 1
; COMPUTE_PGM_RSRC2:TGID_Y_EN: 0
; COMPUTE_PGM_RSRC2:TGID_Z_EN: 0
; COMPUTE_PGM_RSRC2:TIDIG_COMP_CNT: 0
; COMPUTE_PGM_RSRC3_GFX90A:ACCUM_OFFSET: 0
; COMPUTE_PGM_RSRC3_GFX90A:TG_SPLIT: 0
	.section	.text._ZN7rocprim17ROCPRIM_400000_NS6detail17trampoline_kernelINS0_14default_configENS1_25partition_config_selectorILNS1_17partition_subalgoE1EyNS0_10empty_typeEbEEZZNS1_14partition_implILS5_1ELb0ES3_jN6thrust23THRUST_200600_302600_NS6detail15normal_iteratorINSA_10device_ptrIyEEEEPS6_NSA_18transform_iteratorI7is_evenIyESF_NSA_11use_defaultESK_EENS0_5tupleIJNSA_16discard_iteratorISK_EESF_EEENSM_IJSG_SG_EEES6_PlJS6_EEE10hipError_tPvRmT3_T4_T5_T6_T7_T9_mT8_P12ihipStream_tbDpT10_ENKUlT_T0_E_clISt17integral_constantIbLb1EES1A_IbLb0EEEEDaS16_S17_EUlS16_E_NS1_11comp_targetILNS1_3genE4ELNS1_11target_archE910ELNS1_3gpuE8ELNS1_3repE0EEENS1_30default_config_static_selectorELNS0_4arch9wavefront6targetE1EEEvT1_,"axG",@progbits,_ZN7rocprim17ROCPRIM_400000_NS6detail17trampoline_kernelINS0_14default_configENS1_25partition_config_selectorILNS1_17partition_subalgoE1EyNS0_10empty_typeEbEEZZNS1_14partition_implILS5_1ELb0ES3_jN6thrust23THRUST_200600_302600_NS6detail15normal_iteratorINSA_10device_ptrIyEEEEPS6_NSA_18transform_iteratorI7is_evenIyESF_NSA_11use_defaultESK_EENS0_5tupleIJNSA_16discard_iteratorISK_EESF_EEENSM_IJSG_SG_EEES6_PlJS6_EEE10hipError_tPvRmT3_T4_T5_T6_T7_T9_mT8_P12ihipStream_tbDpT10_ENKUlT_T0_E_clISt17integral_constantIbLb1EES1A_IbLb0EEEEDaS16_S17_EUlS16_E_NS1_11comp_targetILNS1_3genE4ELNS1_11target_archE910ELNS1_3gpuE8ELNS1_3repE0EEENS1_30default_config_static_selectorELNS0_4arch9wavefront6targetE1EEEvT1_,comdat
	.protected	_ZN7rocprim17ROCPRIM_400000_NS6detail17trampoline_kernelINS0_14default_configENS1_25partition_config_selectorILNS1_17partition_subalgoE1EyNS0_10empty_typeEbEEZZNS1_14partition_implILS5_1ELb0ES3_jN6thrust23THRUST_200600_302600_NS6detail15normal_iteratorINSA_10device_ptrIyEEEEPS6_NSA_18transform_iteratorI7is_evenIyESF_NSA_11use_defaultESK_EENS0_5tupleIJNSA_16discard_iteratorISK_EESF_EEENSM_IJSG_SG_EEES6_PlJS6_EEE10hipError_tPvRmT3_T4_T5_T6_T7_T9_mT8_P12ihipStream_tbDpT10_ENKUlT_T0_E_clISt17integral_constantIbLb1EES1A_IbLb0EEEEDaS16_S17_EUlS16_E_NS1_11comp_targetILNS1_3genE4ELNS1_11target_archE910ELNS1_3gpuE8ELNS1_3repE0EEENS1_30default_config_static_selectorELNS0_4arch9wavefront6targetE1EEEvT1_ ; -- Begin function _ZN7rocprim17ROCPRIM_400000_NS6detail17trampoline_kernelINS0_14default_configENS1_25partition_config_selectorILNS1_17partition_subalgoE1EyNS0_10empty_typeEbEEZZNS1_14partition_implILS5_1ELb0ES3_jN6thrust23THRUST_200600_302600_NS6detail15normal_iteratorINSA_10device_ptrIyEEEEPS6_NSA_18transform_iteratorI7is_evenIyESF_NSA_11use_defaultESK_EENS0_5tupleIJNSA_16discard_iteratorISK_EESF_EEENSM_IJSG_SG_EEES6_PlJS6_EEE10hipError_tPvRmT3_T4_T5_T6_T7_T9_mT8_P12ihipStream_tbDpT10_ENKUlT_T0_E_clISt17integral_constantIbLb1EES1A_IbLb0EEEEDaS16_S17_EUlS16_E_NS1_11comp_targetILNS1_3genE4ELNS1_11target_archE910ELNS1_3gpuE8ELNS1_3repE0EEENS1_30default_config_static_selectorELNS0_4arch9wavefront6targetE1EEEvT1_
	.globl	_ZN7rocprim17ROCPRIM_400000_NS6detail17trampoline_kernelINS0_14default_configENS1_25partition_config_selectorILNS1_17partition_subalgoE1EyNS0_10empty_typeEbEEZZNS1_14partition_implILS5_1ELb0ES3_jN6thrust23THRUST_200600_302600_NS6detail15normal_iteratorINSA_10device_ptrIyEEEEPS6_NSA_18transform_iteratorI7is_evenIyESF_NSA_11use_defaultESK_EENS0_5tupleIJNSA_16discard_iteratorISK_EESF_EEENSM_IJSG_SG_EEES6_PlJS6_EEE10hipError_tPvRmT3_T4_T5_T6_T7_T9_mT8_P12ihipStream_tbDpT10_ENKUlT_T0_E_clISt17integral_constantIbLb1EES1A_IbLb0EEEEDaS16_S17_EUlS16_E_NS1_11comp_targetILNS1_3genE4ELNS1_11target_archE910ELNS1_3gpuE8ELNS1_3repE0EEENS1_30default_config_static_selectorELNS0_4arch9wavefront6targetE1EEEvT1_
	.p2align	8
	.type	_ZN7rocprim17ROCPRIM_400000_NS6detail17trampoline_kernelINS0_14default_configENS1_25partition_config_selectorILNS1_17partition_subalgoE1EyNS0_10empty_typeEbEEZZNS1_14partition_implILS5_1ELb0ES3_jN6thrust23THRUST_200600_302600_NS6detail15normal_iteratorINSA_10device_ptrIyEEEEPS6_NSA_18transform_iteratorI7is_evenIyESF_NSA_11use_defaultESK_EENS0_5tupleIJNSA_16discard_iteratorISK_EESF_EEENSM_IJSG_SG_EEES6_PlJS6_EEE10hipError_tPvRmT3_T4_T5_T6_T7_T9_mT8_P12ihipStream_tbDpT10_ENKUlT_T0_E_clISt17integral_constantIbLb1EES1A_IbLb0EEEEDaS16_S17_EUlS16_E_NS1_11comp_targetILNS1_3genE4ELNS1_11target_archE910ELNS1_3gpuE8ELNS1_3repE0EEENS1_30default_config_static_selectorELNS0_4arch9wavefront6targetE1EEEvT1_,@function
_ZN7rocprim17ROCPRIM_400000_NS6detail17trampoline_kernelINS0_14default_configENS1_25partition_config_selectorILNS1_17partition_subalgoE1EyNS0_10empty_typeEbEEZZNS1_14partition_implILS5_1ELb0ES3_jN6thrust23THRUST_200600_302600_NS6detail15normal_iteratorINSA_10device_ptrIyEEEEPS6_NSA_18transform_iteratorI7is_evenIyESF_NSA_11use_defaultESK_EENS0_5tupleIJNSA_16discard_iteratorISK_EESF_EEENSM_IJSG_SG_EEES6_PlJS6_EEE10hipError_tPvRmT3_T4_T5_T6_T7_T9_mT8_P12ihipStream_tbDpT10_ENKUlT_T0_E_clISt17integral_constantIbLb1EES1A_IbLb0EEEEDaS16_S17_EUlS16_E_NS1_11comp_targetILNS1_3genE4ELNS1_11target_archE910ELNS1_3gpuE8ELNS1_3repE0EEENS1_30default_config_static_selectorELNS0_4arch9wavefront6targetE1EEEvT1_: ; @_ZN7rocprim17ROCPRIM_400000_NS6detail17trampoline_kernelINS0_14default_configENS1_25partition_config_selectorILNS1_17partition_subalgoE1EyNS0_10empty_typeEbEEZZNS1_14partition_implILS5_1ELb0ES3_jN6thrust23THRUST_200600_302600_NS6detail15normal_iteratorINSA_10device_ptrIyEEEEPS6_NSA_18transform_iteratorI7is_evenIyESF_NSA_11use_defaultESK_EENS0_5tupleIJNSA_16discard_iteratorISK_EESF_EEENSM_IJSG_SG_EEES6_PlJS6_EEE10hipError_tPvRmT3_T4_T5_T6_T7_T9_mT8_P12ihipStream_tbDpT10_ENKUlT_T0_E_clISt17integral_constantIbLb1EES1A_IbLb0EEEEDaS16_S17_EUlS16_E_NS1_11comp_targetILNS1_3genE4ELNS1_11target_archE910ELNS1_3gpuE8ELNS1_3repE0EEENS1_30default_config_static_selectorELNS0_4arch9wavefront6targetE1EEEvT1_
; %bb.0:
	s_load_dwordx2 s[0:1], s[4:5], 0x68
	s_load_dwordx4 s[24:27], s[4:5], 0x8
	s_load_dwordx2 s[2:3], s[4:5], 0x20
	s_load_dwordx4 s[20:23], s[4:5], 0x58
	s_mul_i32 s10, s6, 0x300
	s_waitcnt lgkmcnt(0)
	v_mov_b32_e32 v3, s1
	s_load_dword s1, s[4:5], 0x80
	s_lshl_b64 s[8:9], s[26:27], 3
	s_add_u32 s7, s24, s8
	s_addc_u32 s12, s25, s9
	v_mov_b32_e32 v2, s0
	s_waitcnt lgkmcnt(0)
	s_add_i32 s13, s1, -1
	s_mulk_i32 s1, 0x300
	s_add_i32 s11, s1, s26
	s_sub_i32 s33, s0, s11
	s_addk_i32 s33, 0x300
	s_add_u32 s0, s26, s1
	s_addc_u32 s1, s27, 0
	s_cmp_eq_u32 s6, s13
	s_load_dwordx2 s[28:29], s[22:23], 0x0
	s_cselect_b64 s[22:23], -1, 0
	s_cmp_lg_u32 s6, s13
	s_mov_b32 s11, 0
	v_cmp_lt_u64_e32 vcc, s[0:1], v[2:3]
	s_cselect_b64 s[0:1], -1, 0
	s_or_b64 s[24:25], s[0:1], vcc
	s_lshl_b64 s[30:31], s[10:11], 3
	s_add_u32 s7, s7, s30
	s_addc_u32 s12, s12, s31
	s_mov_b64 s[0:1], -1
	s_and_b64 vcc, exec, s[24:25]
	v_lshlrev_b32_e32 v20, 3, v0
	v_lshrrev_b32_e32 v1, 2, v0
	s_cbranch_vccz .LBB2957_2
; %bb.1:
	v_mov_b32_e32 v3, s12
	v_add_co_u32_e32 v2, vcc, s7, v20
	v_addc_co_u32_e32 v3, vcc, 0, v3, vcc
	v_add_co_u32_e32 v4, vcc, 0x1000, v2
	v_addc_co_u32_e32 v5, vcc, 0, v3, vcc
	flat_load_dwordx2 v[6:7], v[2:3]
	flat_load_dwordx2 v[8:9], v[2:3] offset:1536
	flat_load_dwordx2 v[10:11], v[2:3] offset:3072
	;; [unrolled: 1-line block ×3, first 2 shown]
	v_add_u32_e32 v3, 0xc0, v0
	v_add_u32_e32 v4, 0x180, v0
	;; [unrolled: 1-line block ×3, first 2 shown]
	v_and_b32_e32 v2, 56, v1
	v_lshrrev_b32_e32 v3, 2, v3
	v_lshrrev_b32_e32 v4, 2, v4
	;; [unrolled: 1-line block ×3, first 2 shown]
	v_add_u32_e32 v2, v2, v20
	v_and_b32_e32 v3, 0x78, v3
	v_and_b32_e32 v4, 0xf8, v4
	;; [unrolled: 1-line block ×3, first 2 shown]
	v_add_u32_e32 v3, v3, v20
	v_add_u32_e32 v4, v4, v20
	;; [unrolled: 1-line block ×3, first 2 shown]
	s_mov_b64 s[0:1], 0
	s_waitcnt vmcnt(0) lgkmcnt(0)
	ds_write_b64 v2, v[6:7]
	ds_write_b64 v3, v[8:9] offset:1536
	ds_write_b64 v4, v[10:11] offset:3072
	;; [unrolled: 1-line block ×3, first 2 shown]
	s_waitcnt lgkmcnt(0)
	s_barrier
.LBB2957_2:
	s_andn2_b64 vcc, exec, s[0:1]
	v_cmp_gt_u32_e64 s[0:1], s33, v0
	s_cbranch_vccnz .LBB2957_12
; %bb.3:
                                        ; implicit-def: $vgpr2_vgpr3_vgpr4_vgpr5_vgpr6_vgpr7_vgpr8_vgpr9
	s_and_saveexec_b64 s[10:11], s[0:1]
	s_cbranch_execz .LBB2957_5
; %bb.4:
	v_mov_b32_e32 v3, s12
	v_add_co_u32_e32 v2, vcc, s7, v20
	v_addc_co_u32_e32 v3, vcc, 0, v3, vcc
	flat_load_dwordx2 v[2:3], v[2:3]
.LBB2957_5:
	s_or_b64 exec, exec, s[10:11]
	v_add_u32_e32 v10, 0xc0, v0
	v_cmp_gt_u32_e32 vcc, s33, v10
	s_and_saveexec_b64 s[0:1], vcc
	s_cbranch_execz .LBB2957_7
; %bb.6:
	v_mov_b32_e32 v5, s12
	v_add_co_u32_e32 v4, vcc, s7, v20
	v_addc_co_u32_e32 v5, vcc, 0, v5, vcc
	flat_load_dwordx2 v[4:5], v[4:5] offset:1536
.LBB2957_7:
	s_or_b64 exec, exec, s[0:1]
	v_add_u32_e32 v11, 0x180, v0
	v_cmp_gt_u32_e32 vcc, s33, v11
	s_and_saveexec_b64 s[0:1], vcc
	s_cbranch_execz .LBB2957_9
; %bb.8:
	v_mov_b32_e32 v7, s12
	v_add_co_u32_e32 v6, vcc, s7, v20
	v_addc_co_u32_e32 v7, vcc, 0, v7, vcc
	flat_load_dwordx2 v[6:7], v[6:7] offset:3072
.LBB2957_9:
	s_or_b64 exec, exec, s[0:1]
	v_add_u32_e32 v12, 0x240, v0
	v_cmp_gt_u32_e32 vcc, s33, v12
	s_and_saveexec_b64 s[0:1], vcc
	s_cbranch_execz .LBB2957_11
; %bb.10:
	v_lshlrev_b32_e32 v8, 3, v12
	v_mov_b32_e32 v9, s12
	v_add_co_u32_e32 v8, vcc, s7, v8
	v_addc_co_u32_e32 v9, vcc, 0, v9, vcc
	flat_load_dwordx2 v[8:9], v[8:9]
.LBB2957_11:
	s_or_b64 exec, exec, s[0:1]
	v_and_b32_e32 v1, 56, v1
	v_add_u32_e32 v1, v1, v20
	s_waitcnt vmcnt(0) lgkmcnt(0)
	ds_write_b64 v1, v[2:3]
	v_lshrrev_b32_e32 v1, 2, v10
	v_and_b32_e32 v1, 0x78, v1
	v_add_u32_e32 v1, v1, v20
	ds_write_b64 v1, v[4:5] offset:1536
	v_lshrrev_b32_e32 v1, 2, v11
	v_and_b32_e32 v1, 0xf8, v1
	v_add_u32_e32 v1, v1, v20
	ds_write_b64 v1, v[6:7] offset:3072
	;; [unrolled: 4-line block ×3, first 2 shown]
	s_waitcnt lgkmcnt(0)
	s_barrier
.LBB2957_12:
	v_lshlrev_b32_e32 v1, 2, v0
	v_lshrrev_b32_e32 v10, 3, v0
	v_add_lshl_u32 v2, v10, v1, 3
	s_waitcnt lgkmcnt(0)
	ds_read2_b64 v[6:9], v2 offset1:1
	ds_read2_b64 v[2:5], v2 offset0:2 offset1:3
	s_add_u32 s0, s2, s8
	s_addc_u32 s1, s3, s9
	s_add_u32 s0, s0, s30
	s_addc_u32 s1, s1, s31
	s_mov_b64 s[2:3], -1
	s_and_b64 vcc, exec, s[24:25]
	v_lshrrev_b32_e32 v11, 5, v0
	s_waitcnt lgkmcnt(0)
	s_barrier
	s_cbranch_vccz .LBB2957_14
; %bb.13:
	global_load_dwordx2 v[12:13], v20, s[0:1]
	global_load_dwordx2 v[14:15], v20, s[0:1] offset:1536
	global_load_dwordx2 v[16:17], v20, s[0:1] offset:3072
	v_mov_b32_e32 v18, s1
	s_waitcnt vmcnt(2)
	v_add_co_u32_e32 v13, vcc, s0, v20
	s_waitcnt vmcnt(1)
	v_addc_co_u32_e32 v15, vcc, 0, v18, vcc
	v_add_co_u32_e32 v18, vcc, 0x1000, v13
	v_addc_co_u32_e32 v19, vcc, 0, v15, vcc
	global_load_dwordx2 v[18:19], v[18:19], off offset:512
	v_add_u32_e32 v15, 0xc0, v0
	s_waitcnt vmcnt(1)
	v_add_u32_e32 v17, 0x180, v0
	v_and_b32_e32 v13, 4, v11
	s_waitcnt vmcnt(0)
	v_add_u32_e32 v19, 0x240, v0
	v_lshrrev_b32_e32 v15, 5, v15
	v_lshrrev_b32_e32 v17, 5, v17
	v_add_u32_e32 v13, v13, v0
	v_lshrrev_b32_e32 v19, 5, v19
	v_and_b32_e32 v15, 12, v15
	v_and_b32_e32 v17, 28, v17
	v_and_b32_e32 v19, 28, v19
	v_add_u32_e32 v15, v15, v0
	v_add_u32_e32 v17, v17, v0
	;; [unrolled: 1-line block ×3, first 2 shown]
	s_mov_b64 s[2:3], 0
	v_xor_b32_e32 v12, -1, v12
	v_xor_b32_e32 v14, -1, v14
	;; [unrolled: 1-line block ×3, first 2 shown]
	v_and_b32_e32 v12, 1, v12
	v_and_b32_e32 v14, 1, v14
	v_and_b32_e32 v16, 1, v16
	ds_write_b8 v13, v12
	ds_write_b8 v15, v14 offset:192
	ds_write_b8 v17, v16 offset:384
	v_xor_b32_e32 v12, -1, v18
	v_and_b32_e32 v12, 1, v12
	ds_write_b8 v19, v12 offset:576
	s_waitcnt lgkmcnt(0)
	s_barrier
.LBB2957_14:
	s_load_dwordx2 s[34:35], s[4:5], 0x78
	s_andn2_b64 vcc, exec, s[2:3]
	s_cbranch_vccnz .LBB2957_24
; %bb.15:
	v_cmp_gt_u32_e32 vcc, s33, v0
	v_mov_b32_e32 v12, 0
	v_mov_b32_e32 v13, 0
	s_and_saveexec_b64 s[2:3], vcc
	s_cbranch_execz .LBB2957_17
; %bb.16:
	global_load_dwordx2 v[14:15], v20, s[0:1]
	s_waitcnt vmcnt(0)
	v_xor_b32_e32 v13, -1, v14
	v_and_b32_e32 v13, 1, v13
.LBB2957_17:
	s_or_b64 exec, exec, s[2:3]
	v_add_u32_e32 v14, 0xc0, v0
	v_cmp_gt_u32_e32 vcc, s33, v14
	s_and_saveexec_b64 s[2:3], vcc
	s_cbranch_execz .LBB2957_19
; %bb.18:
	global_load_dwordx2 v[16:17], v20, s[0:1] offset:1536
	s_waitcnt vmcnt(0)
	v_xor_b32_e32 v12, -1, v16
	v_and_b32_e32 v12, 1, v12
.LBB2957_19:
	s_or_b64 exec, exec, s[2:3]
	v_add_u32_e32 v16, 0x180, v0
	v_cmp_gt_u32_e32 vcc, s33, v16
	v_mov_b32_e32 v15, 0
	v_mov_b32_e32 v17, 0
	s_and_saveexec_b64 s[2:3], vcc
	s_cbranch_execz .LBB2957_21
; %bb.20:
	global_load_dwordx2 v[18:19], v20, s[0:1] offset:3072
	s_waitcnt vmcnt(0)
	v_xor_b32_e32 v17, -1, v18
	v_and_b32_e32 v17, 1, v17
.LBB2957_21:
	s_or_b64 exec, exec, s[2:3]
	v_add_u32_e32 v18, 0x240, v0
	v_cmp_gt_u32_e32 vcc, s33, v18
	s_and_saveexec_b64 s[2:3], vcc
	s_cbranch_execz .LBB2957_23
; %bb.22:
	v_lshlrev_b32_e32 v15, 3, v18
	global_load_dwordx2 v[22:23], v15, s[0:1]
	s_waitcnt vmcnt(0)
	v_xor_b32_e32 v15, -1, v22
	v_and_b32_e32 v15, 1, v15
.LBB2957_23:
	s_or_b64 exec, exec, s[2:3]
	v_and_b32_e32 v11, 4, v11
	v_add_u32_e32 v11, v11, v0
	ds_write_b8 v11, v13
	v_lshrrev_b32_e32 v11, 5, v14
	v_and_b32_e32 v11, 12, v11
	v_add_u32_e32 v11, v11, v0
	ds_write_b8 v11, v12 offset:192
	v_lshrrev_b32_e32 v11, 5, v16
	v_and_b32_e32 v11, 28, v11
	v_add_u32_e32 v11, v11, v0
	ds_write_b8 v11, v17 offset:384
	;; [unrolled: 4-line block ×3, first 2 shown]
	s_waitcnt lgkmcnt(0)
	s_barrier
.LBB2957_24:
	v_and_b32_e32 v10, 28, v10
	v_add_u32_e32 v10, v10, v1
	s_waitcnt lgkmcnt(0)
	ds_read_b32 v22, v10
	s_cmp_lg_u32 s6, 0
	v_lshrrev_b32_e32 v25, 6, v0
	s_waitcnt lgkmcnt(0)
	s_barrier
	v_lshrrev_b32_e32 v21, 24, v22
	v_bfe_u32 v23, v22, 16, 8
	v_add_u32_sdwa v10, v22, v22 dst_sel:DWORD dst_unused:UNUSED_PAD src0_sel:BYTE_1 src1_sel:BYTE_0
	v_add3_u32 v26, v10, v23, v21
	v_mbcnt_lo_u32_b32 v10, -1, 0
	v_mbcnt_hi_u32_b32 v24, -1, v10
	v_and_b32_e32 v10, 15, v24
	v_cmp_eq_u32_e64 s[14:15], 0, v10
	v_cmp_lt_u32_e64 s[12:13], 1, v10
	v_cmp_lt_u32_e64 s[10:11], 3, v10
	;; [unrolled: 1-line block ×3, first 2 shown]
	v_and_b32_e32 v10, 16, v24
	v_cmp_eq_u32_e64 s[2:3], 0, v10
	v_and_b32_e32 v10, 0xc0, v0
	v_min_u32_e32 v10, 0x80, v10
	v_or_b32_e32 v10, 63, v10
	v_cmp_lt_u32_e64 s[0:1], 31, v24
	v_cmp_eq_u32_e64 s[18:19], v10, v0
	s_cbranch_scc0 .LBB2957_55
; %bb.25:
	v_mov_b32_dpp v10, v26 row_shr:1 row_mask:0xf bank_mask:0xf
	v_cndmask_b32_e64 v10, v10, 0, s[14:15]
	v_add_u32_e32 v10, v10, v26
	s_nop 1
	v_mov_b32_dpp v11, v10 row_shr:2 row_mask:0xf bank_mask:0xf
	v_cndmask_b32_e64 v11, 0, v11, s[12:13]
	v_add_u32_e32 v10, v10, v11
	s_nop 1
	;; [unrolled: 4-line block ×4, first 2 shown]
	v_mov_b32_dpp v11, v10 row_bcast:15 row_mask:0xf bank_mask:0xf
	v_cndmask_b32_e64 v11, v11, 0, s[2:3]
	v_add_u32_e32 v10, v10, v11
	s_nop 1
	v_mov_b32_dpp v11, v10 row_bcast:31 row_mask:0xf bank_mask:0xf
	v_cndmask_b32_e64 v11, 0, v11, s[0:1]
	v_add_u32_e32 v10, v10, v11
	s_and_saveexec_b64 s[16:17], s[18:19]
	s_cbranch_execz .LBB2957_27
; %bb.26:
	v_lshlrev_b32_e32 v11, 2, v25
	ds_write_b32 v11, v10
.LBB2957_27:
	s_or_b64 exec, exec, s[16:17]
	v_cmp_gt_u32_e32 vcc, 3, v0
	s_waitcnt lgkmcnt(0)
	s_barrier
	s_and_saveexec_b64 s[16:17], vcc
	s_cbranch_execz .LBB2957_29
; %bb.28:
	ds_read_b32 v11, v1
	v_and_b32_e32 v12, 3, v24
	v_cmp_ne_u32_e32 vcc, 0, v12
	s_waitcnt lgkmcnt(0)
	v_mov_b32_dpp v13, v11 row_shr:1 row_mask:0xf bank_mask:0xf
	v_cndmask_b32_e32 v13, 0, v13, vcc
	v_add_u32_e32 v11, v13, v11
	v_cmp_lt_u32_e32 vcc, 1, v12
	s_nop 0
	v_mov_b32_dpp v13, v11 row_shr:2 row_mask:0xf bank_mask:0xf
	v_cndmask_b32_e32 v12, 0, v13, vcc
	v_add_u32_e32 v11, v11, v12
	ds_write_b32 v1, v11
.LBB2957_29:
	s_or_b64 exec, exec, s[16:17]
	v_cmp_gt_u32_e32 vcc, 64, v0
	v_cmp_lt_u32_e64 s[16:17], 63, v0
	s_waitcnt lgkmcnt(0)
	s_barrier
	s_waitcnt lgkmcnt(0)
                                        ; implicit-def: $vgpr27
	s_and_saveexec_b64 s[36:37], s[16:17]
	s_cbranch_execz .LBB2957_31
; %bb.30:
	v_lshl_add_u32 v11, v25, 2, -4
	ds_read_b32 v27, v11
	s_waitcnt lgkmcnt(0)
	v_add_u32_e32 v10, v27, v10
.LBB2957_31:
	s_or_b64 exec, exec, s[36:37]
	v_add_u32_e32 v11, -1, v24
	v_and_b32_e32 v12, 64, v24
	v_cmp_lt_i32_e64 s[16:17], v11, v12
	v_cndmask_b32_e64 v11, v11, v24, s[16:17]
	v_lshlrev_b32_e32 v11, 2, v11
	ds_bpermute_b32 v28, v11, v10
	v_cmp_eq_u32_e64 s[16:17], 0, v24
	s_and_saveexec_b64 s[36:37], vcc
	s_cbranch_execz .LBB2957_54
; %bb.32:
	v_mov_b32_e32 v19, 0
	ds_read_b32 v10, v19 offset:8
	s_and_saveexec_b64 s[38:39], s[16:17]
	s_cbranch_execz .LBB2957_34
; %bb.33:
	s_add_i32 s40, s6, 64
	s_mov_b32 s41, 0
	s_lshl_b64 s[40:41], s[40:41], 3
	s_add_u32 s40, s34, s40
	v_mov_b32_e32 v11, 1
	s_addc_u32 s41, s35, s41
	s_waitcnt lgkmcnt(0)
	global_store_dwordx2 v19, v[10:11], s[40:41]
.LBB2957_34:
	s_or_b64 exec, exec, s[38:39]
	v_xad_u32 v12, v24, -1, s6
	v_add_u32_e32 v18, 64, v12
	v_lshlrev_b64 v[14:15], 3, v[18:19]
	v_mov_b32_e32 v11, s35
	v_add_co_u32_e32 v14, vcc, s34, v14
	v_addc_co_u32_e32 v15, vcc, v11, v15, vcc
	global_load_dwordx2 v[16:17], v[14:15], off glc
	s_waitcnt vmcnt(0)
	v_cmp_eq_u16_sdwa s[40:41], v17, v19 src0_sel:BYTE_0 src1_sel:DWORD
	s_and_saveexec_b64 s[38:39], s[40:41]
	s_cbranch_execz .LBB2957_40
; %bb.35:
	s_mov_b32 s7, 1
	s_mov_b64 s[40:41], 0
	v_mov_b32_e32 v11, 0
.LBB2957_36:                            ; =>This Loop Header: Depth=1
                                        ;     Child Loop BB2957_37 Depth 2
	s_max_u32 s42, s7, 1
.LBB2957_37:                            ;   Parent Loop BB2957_36 Depth=1
                                        ; =>  This Inner Loop Header: Depth=2
	s_add_i32 s42, s42, -1
	s_cmp_eq_u32 s42, 0
	s_sleep 1
	s_cbranch_scc0 .LBB2957_37
; %bb.38:                               ;   in Loop: Header=BB2957_36 Depth=1
	global_load_dwordx2 v[16:17], v[14:15], off glc
	s_cmp_lt_u32 s7, 32
	s_cselect_b64 s[42:43], -1, 0
	s_cmp_lg_u64 s[42:43], 0
	s_addc_u32 s7, s7, 0
	s_waitcnt vmcnt(0)
	v_cmp_ne_u16_sdwa s[42:43], v17, v11 src0_sel:BYTE_0 src1_sel:DWORD
	s_or_b64 s[40:41], s[42:43], s[40:41]
	s_andn2_b64 exec, exec, s[40:41]
	s_cbranch_execnz .LBB2957_36
; %bb.39:
	s_or_b64 exec, exec, s[40:41]
.LBB2957_40:
	s_or_b64 exec, exec, s[38:39]
	v_and_b32_e32 v30, 63, v24
	v_mov_b32_e32 v29, 2
	v_cmp_ne_u32_e32 vcc, 63, v30
	v_cmp_eq_u16_sdwa s[38:39], v17, v29 src0_sel:BYTE_0 src1_sel:DWORD
	v_lshlrev_b64 v[14:15], v24, -1
	v_addc_co_u32_e32 v18, vcc, 0, v24, vcc
	v_and_b32_e32 v11, s39, v15
	v_lshlrev_b32_e32 v31, 2, v18
	v_or_b32_e32 v11, 0x80000000, v11
	ds_bpermute_b32 v18, v31, v16
	v_and_b32_e32 v13, s38, v14
	v_ffbl_b32_e32 v11, v11
	v_add_u32_e32 v11, 32, v11
	v_ffbl_b32_e32 v13, v13
	v_min_u32_e32 v11, v13, v11
	v_cmp_lt_u32_e32 vcc, v30, v11
	s_waitcnt lgkmcnt(0)
	v_cndmask_b32_e32 v13, 0, v18, vcc
	v_cmp_gt_u32_e32 vcc, 62, v30
	v_add_u32_e32 v13, v13, v16
	v_cndmask_b32_e64 v16, 0, 1, vcc
	v_lshlrev_b32_e32 v16, 1, v16
	v_add_lshl_u32 v32, v16, v24, 2
	ds_bpermute_b32 v16, v32, v13
	v_add_u32_e32 v33, 2, v30
	v_cmp_le_u32_e32 vcc, v33, v11
	v_add_u32_e32 v35, 4, v30
	v_add_u32_e32 v37, 8, v30
	s_waitcnt lgkmcnt(0)
	v_cndmask_b32_e32 v16, 0, v16, vcc
	v_cmp_gt_u32_e32 vcc, 60, v30
	v_add_u32_e32 v13, v13, v16
	v_cndmask_b32_e64 v16, 0, 1, vcc
	v_lshlrev_b32_e32 v16, 2, v16
	v_add_lshl_u32 v34, v16, v24, 2
	ds_bpermute_b32 v16, v34, v13
	v_cmp_le_u32_e32 vcc, v35, v11
	v_add_u32_e32 v39, 16, v30
	v_add_u32_e32 v41, 32, v30
	s_waitcnt lgkmcnt(0)
	v_cndmask_b32_e32 v16, 0, v16, vcc
	v_cmp_gt_u32_e32 vcc, 56, v30
	v_add_u32_e32 v13, v13, v16
	v_cndmask_b32_e64 v16, 0, 1, vcc
	v_lshlrev_b32_e32 v16, 3, v16
	v_add_lshl_u32 v36, v16, v24, 2
	ds_bpermute_b32 v16, v36, v13
	v_cmp_le_u32_e32 vcc, v37, v11
	s_waitcnt lgkmcnt(0)
	v_cndmask_b32_e32 v16, 0, v16, vcc
	v_cmp_gt_u32_e32 vcc, 48, v30
	v_add_u32_e32 v13, v13, v16
	v_cndmask_b32_e64 v16, 0, 1, vcc
	v_lshlrev_b32_e32 v16, 4, v16
	v_add_lshl_u32 v38, v16, v24, 2
	ds_bpermute_b32 v16, v38, v13
	v_cmp_le_u32_e32 vcc, v39, v11
	;; [unrolled: 9-line block ×3, first 2 shown]
	s_waitcnt lgkmcnt(0)
	v_cndmask_b32_e32 v11, 0, v16, vcc
	v_add_u32_e32 v16, v13, v11
	v_mov_b32_e32 v13, 0
	s_branch .LBB2957_42
.LBB2957_41:                            ;   in Loop: Header=BB2957_42 Depth=1
	s_or_b64 exec, exec, s[38:39]
	v_cmp_eq_u16_sdwa s[38:39], v17, v29 src0_sel:BYTE_0 src1_sel:DWORD
	v_and_b32_e32 v18, s39, v15
	v_or_b32_e32 v18, 0x80000000, v18
	ds_bpermute_b32 v42, v31, v16
	v_and_b32_e32 v19, s38, v14
	v_ffbl_b32_e32 v18, v18
	v_add_u32_e32 v18, 32, v18
	v_ffbl_b32_e32 v19, v19
	v_min_u32_e32 v18, v19, v18
	v_cmp_lt_u32_e32 vcc, v30, v18
	s_waitcnt lgkmcnt(0)
	v_cndmask_b32_e32 v19, 0, v42, vcc
	v_add_u32_e32 v16, v19, v16
	ds_bpermute_b32 v19, v32, v16
	v_cmp_le_u32_e32 vcc, v33, v18
	v_subrev_u32_e32 v12, 64, v12
	s_waitcnt lgkmcnt(0)
	v_cndmask_b32_e32 v19, 0, v19, vcc
	v_add_u32_e32 v16, v16, v19
	ds_bpermute_b32 v19, v34, v16
	v_cmp_le_u32_e32 vcc, v35, v18
	s_waitcnt lgkmcnt(0)
	v_cndmask_b32_e32 v19, 0, v19, vcc
	v_add_u32_e32 v16, v16, v19
	ds_bpermute_b32 v19, v36, v16
	v_cmp_le_u32_e32 vcc, v37, v18
	;; [unrolled: 5-line block ×4, first 2 shown]
	s_waitcnt lgkmcnt(0)
	v_cndmask_b32_e32 v18, 0, v19, vcc
	v_add3_u32 v16, v18, v11, v16
.LBB2957_42:                            ; =>This Loop Header: Depth=1
                                        ;     Child Loop BB2957_45 Depth 2
                                        ;       Child Loop BB2957_46 Depth 3
	v_cmp_ne_u16_sdwa s[38:39], v17, v29 src0_sel:BYTE_0 src1_sel:DWORD
	v_cndmask_b32_e64 v11, 0, 1, s[38:39]
	;;#ASMSTART
	;;#ASMEND
	v_cmp_ne_u32_e32 vcc, 0, v11
	s_cmp_lg_u64 vcc, exec
	v_mov_b32_e32 v11, v16
	s_cbranch_scc1 .LBB2957_49
; %bb.43:                               ;   in Loop: Header=BB2957_42 Depth=1
	v_lshlrev_b64 v[16:17], 3, v[12:13]
	v_mov_b32_e32 v19, s35
	v_add_co_u32_e32 v18, vcc, s34, v16
	v_addc_co_u32_e32 v19, vcc, v19, v17, vcc
	global_load_dwordx2 v[16:17], v[18:19], off glc
	s_waitcnt vmcnt(0)
	v_cmp_eq_u16_sdwa s[40:41], v17, v13 src0_sel:BYTE_0 src1_sel:DWORD
	s_and_saveexec_b64 s[38:39], s[40:41]
	s_cbranch_execz .LBB2957_41
; %bb.44:                               ;   in Loop: Header=BB2957_42 Depth=1
	s_mov_b32 s7, 1
	s_mov_b64 s[40:41], 0
.LBB2957_45:                            ;   Parent Loop BB2957_42 Depth=1
                                        ; =>  This Loop Header: Depth=2
                                        ;       Child Loop BB2957_46 Depth 3
	s_max_u32 s42, s7, 1
.LBB2957_46:                            ;   Parent Loop BB2957_42 Depth=1
                                        ;     Parent Loop BB2957_45 Depth=2
                                        ; =>    This Inner Loop Header: Depth=3
	s_add_i32 s42, s42, -1
	s_cmp_eq_u32 s42, 0
	s_sleep 1
	s_cbranch_scc0 .LBB2957_46
; %bb.47:                               ;   in Loop: Header=BB2957_45 Depth=2
	global_load_dwordx2 v[16:17], v[18:19], off glc
	s_cmp_lt_u32 s7, 32
	s_cselect_b64 s[42:43], -1, 0
	s_cmp_lg_u64 s[42:43], 0
	s_addc_u32 s7, s7, 0
	s_waitcnt vmcnt(0)
	v_cmp_ne_u16_sdwa s[42:43], v17, v13 src0_sel:BYTE_0 src1_sel:DWORD
	s_or_b64 s[40:41], s[42:43], s[40:41]
	s_andn2_b64 exec, exec, s[40:41]
	s_cbranch_execnz .LBB2957_45
; %bb.48:                               ;   in Loop: Header=BB2957_42 Depth=1
	s_or_b64 exec, exec, s[40:41]
	s_branch .LBB2957_41
.LBB2957_49:                            ;   in Loop: Header=BB2957_42 Depth=1
                                        ; implicit-def: $vgpr16
                                        ; implicit-def: $vgpr17
	s_cbranch_execz .LBB2957_42
; %bb.50:
	s_and_saveexec_b64 s[38:39], s[16:17]
	s_cbranch_execz .LBB2957_52
; %bb.51:
	s_add_i32 s6, s6, 64
	s_mov_b32 s7, 0
	s_lshl_b64 s[6:7], s[6:7], 3
	s_add_u32 s6, s34, s6
	v_add_u32_e32 v12, v11, v10
	v_mov_b32_e32 v13, 2
	s_addc_u32 s7, s35, s7
	v_mov_b32_e32 v14, 0
	global_store_dwordx2 v14, v[12:13], s[6:7]
	ds_write_b64 v14, v[10:11] offset:6336
.LBB2957_52:
	s_or_b64 exec, exec, s[38:39]
	v_cmp_eq_u32_e32 vcc, 0, v0
	s_and_b64 exec, exec, vcc
	s_cbranch_execz .LBB2957_54
; %bb.53:
	v_mov_b32_e32 v10, 0
	ds_write_b32 v10, v11 offset:8
.LBB2957_54:
	s_or_b64 exec, exec, s[36:37]
	v_mov_b32_e32 v10, 0
	s_waitcnt lgkmcnt(0)
	s_barrier
	ds_read_b32 v11, v10 offset:8
	v_cndmask_b32_e64 v12, v28, v27, s[16:17]
	v_cmp_ne_u32_e32 vcc, 0, v0
	v_cndmask_b32_e32 v12, 0, v12, vcc
	s_waitcnt lgkmcnt(0)
	v_add_u32_e32 v14, v11, v12
	s_barrier
	ds_read_b64 v[10:11], v10 offset:6336
	v_add_u32_sdwa v15, v14, v22 dst_sel:DWORD dst_unused:UNUSED_PAD src0_sel:DWORD src1_sel:BYTE_0
	v_add_u32_sdwa v13, v15, v22 dst_sel:DWORD dst_unused:UNUSED_PAD src0_sel:DWORD src1_sel:BYTE_1
	v_add_u32_e32 v12, v13, v23
	s_load_dwordx2 s[4:5], s[4:5], 0x40
	s_branch .LBB2957_65
.LBB2957_55:
                                        ; implicit-def: $vgpr11
                                        ; implicit-def: $vgpr12
                                        ; implicit-def: $vgpr13
                                        ; implicit-def: $vgpr15
                                        ; implicit-def: $vgpr14
	s_load_dwordx2 s[4:5], s[4:5], 0x40
	s_cbranch_execz .LBB2957_65
; %bb.56:
	s_waitcnt lgkmcnt(0)
	v_mov_b32_dpp v10, v26 row_shr:1 row_mask:0xf bank_mask:0xf
	v_cndmask_b32_e64 v10, v10, 0, s[14:15]
	v_add_u32_e32 v10, v10, v26
	s_nop 1
	v_mov_b32_dpp v11, v10 row_shr:2 row_mask:0xf bank_mask:0xf
	v_cndmask_b32_e64 v11, 0, v11, s[12:13]
	v_add_u32_e32 v10, v10, v11
	s_nop 1
	;; [unrolled: 4-line block ×4, first 2 shown]
	v_mov_b32_dpp v11, v10 row_bcast:15 row_mask:0xf bank_mask:0xf
	v_cndmask_b32_e64 v11, v11, 0, s[2:3]
	v_add_u32_e32 v10, v10, v11
	s_nop 1
	v_mov_b32_dpp v11, v10 row_bcast:31 row_mask:0xf bank_mask:0xf
	v_cndmask_b32_e64 v11, 0, v11, s[0:1]
	v_add_u32_e32 v10, v10, v11
	s_and_saveexec_b64 s[0:1], s[18:19]
	s_cbranch_execz .LBB2957_58
; %bb.57:
	v_lshlrev_b32_e32 v11, 2, v25
	ds_write_b32 v11, v10
.LBB2957_58:
	s_or_b64 exec, exec, s[0:1]
	v_cmp_gt_u32_e32 vcc, 3, v0
	s_waitcnt lgkmcnt(0)
	s_barrier
	s_and_saveexec_b64 s[0:1], vcc
	s_cbranch_execz .LBB2957_60
; %bb.59:
	ds_read_b32 v11, v1
	v_and_b32_e32 v12, 3, v24
	v_cmp_ne_u32_e32 vcc, 0, v12
	s_waitcnt lgkmcnt(0)
	v_mov_b32_dpp v13, v11 row_shr:1 row_mask:0xf bank_mask:0xf
	v_cndmask_b32_e32 v13, 0, v13, vcc
	v_add_u32_e32 v11, v13, v11
	v_cmp_lt_u32_e32 vcc, 1, v12
	s_nop 0
	v_mov_b32_dpp v13, v11 row_shr:2 row_mask:0xf bank_mask:0xf
	v_cndmask_b32_e32 v12, 0, v13, vcc
	v_add_u32_e32 v11, v11, v12
	ds_write_b32 v1, v11
.LBB2957_60:
	s_or_b64 exec, exec, s[0:1]
	v_cmp_lt_u32_e32 vcc, 63, v0
	v_mov_b32_e32 v11, 0
	v_mov_b32_e32 v12, 0
	s_waitcnt lgkmcnt(0)
	s_barrier
	s_and_saveexec_b64 s[0:1], vcc
	s_cbranch_execz .LBB2957_62
; %bb.61:
	v_lshl_add_u32 v12, v25, 2, -4
	ds_read_b32 v12, v12
.LBB2957_62:
	s_or_b64 exec, exec, s[0:1]
	v_add_u32_e32 v13, -1, v24
	v_and_b32_e32 v14, 64, v24
	v_cmp_lt_i32_e32 vcc, v13, v14
	v_cndmask_b32_e32 v13, v13, v24, vcc
	s_waitcnt lgkmcnt(0)
	v_add_u32_e32 v10, v12, v10
	v_lshlrev_b32_e32 v13, 2, v13
	ds_bpermute_b32 v13, v13, v10
	ds_read_b32 v10, v11 offset:8
	v_cmp_eq_u32_e32 vcc, 0, v0
	s_and_saveexec_b64 s[0:1], vcc
	s_cbranch_execz .LBB2957_64
; %bb.63:
	v_mov_b32_e32 v14, 0
	v_mov_b32_e32 v11, 2
	s_waitcnt lgkmcnt(0)
	global_store_dwordx2 v14, v[10:11], s[34:35] offset:512
.LBB2957_64:
	s_or_b64 exec, exec, s[0:1]
	v_cmp_eq_u32_e64 s[0:1], 0, v24
	s_waitcnt lgkmcnt(1)
	v_cndmask_b32_e64 v12, v13, v12, s[0:1]
	v_cndmask_b32_e64 v14, v12, 0, vcc
	v_add_u32_sdwa v15, v14, v22 dst_sel:DWORD dst_unused:UNUSED_PAD src0_sel:DWORD src1_sel:BYTE_0
	v_add_u32_sdwa v13, v15, v22 dst_sel:DWORD dst_unused:UNUSED_PAD src0_sel:DWORD src1_sel:BYTE_1
	v_mov_b32_e32 v11, 0
	v_add_u32_e32 v12, v13, v23
	s_waitcnt lgkmcnt(0)
	s_barrier
.LBB2957_65:
	s_waitcnt lgkmcnt(0)
	v_add_u32_e32 v1, v10, v1
	v_sub_u32_e32 v14, v14, v11
	v_and_b32_e32 v18, 1, v22
	v_sub_u32_e32 v17, v1, v14
	v_cmp_eq_u32_e32 vcc, 1, v18
	v_cndmask_b32_e32 v14, v17, v14, vcc
	v_lshlrev_b32_e32 v14, 3, v14
	v_lshrrev_b32_e32 v16, 8, v22
	ds_write_b64 v14, v[6:7]
	v_sub_u32_e32 v6, v15, v11
	v_sub_u32_e32 v7, v1, v6
	v_and_b32_e32 v14, 1, v16
	v_add_u32_e32 v7, 1, v7
	v_cmp_eq_u32_e32 vcc, 1, v14
	v_cndmask_b32_e32 v6, v7, v6, vcc
	v_lshlrev_b32_e32 v6, 3, v6
	ds_write_b64 v6, v[8:9]
	v_sub_u32_e32 v6, v13, v11
	v_mov_b32_e32 v8, 1
	v_sub_u32_e32 v7, v1, v6
	v_and_b32_sdwa v8, v8, v22 dst_sel:DWORD dst_unused:UNUSED_PAD src0_sel:DWORD src1_sel:WORD_1
	v_add_u32_e32 v7, 2, v7
	v_cmp_eq_u32_e32 vcc, 1, v8
	v_cndmask_b32_e32 v6, v7, v6, vcc
	v_lshlrev_b32_e32 v6, 3, v6
	ds_write_b64 v6, v[2:3]
	v_sub_u32_e32 v2, v12, v11
	v_sub_u32_e32 v1, v1, v2
	v_and_b32_e32 v3, 1, v21
	v_add_u32_e32 v1, 3, v1
	v_cmp_eq_u32_e32 vcc, 1, v3
	v_cndmask_b32_e32 v1, v1, v2, vcc
	v_lshlrev_b32_e32 v1, 3, v1
	ds_write_b64 v1, v[4:5]
	v_mov_b32_e32 v1, s29
	v_add_co_u32_e32 v12, vcc, s28, v10
	v_addc_co_u32_e32 v1, vcc, 0, v1, vcc
	v_add_co_u32_e32 v12, vcc, v12, v11
	v_addc_co_u32_e32 v13, vcc, 0, v1, vcc
	v_mov_b32_e32 v1, s27
	v_sub_co_u32_e32 v18, vcc, s26, v12
	v_subb_co_u32_e32 v19, vcc, v1, v13, vcc
	v_lshlrev_b64 v[18:19], 3, v[18:19]
	s_waitcnt lgkmcnt(0)
	s_barrier
	ds_read2st64_b64 v[6:9], v20 offset1:3
	ds_read2st64_b64 v[2:5], v20 offset0:6 offset1:9
	v_mov_b32_e32 v1, s5
	v_add_co_u32_e32 v11, vcc, s4, v18
	v_addc_co_u32_e32 v1, vcc, v1, v19, vcc
	v_mov_b32_e32 v18, s31
	v_add_co_u32_e32 v14, vcc, s30, v11
	v_addc_co_u32_e32 v1, vcc, v1, v18, vcc
	v_add_u32_e32 v17, 0xc0, v0
	v_add_u32_e32 v16, 0x180, v0
	;; [unrolled: 1-line block ×3, first 2 shown]
	s_andn2_b64 vcc, exec, s[24:25]
	v_cmp_ge_u32_e64 s[0:1], v0, v10
	s_cbranch_vccnz .LBB2957_71
; %bb.66:
	s_and_saveexec_b64 s[2:3], s[0:1]
	s_cbranch_execnz .LBB2957_84
; %bb.67:
	s_or_b64 exec, exec, s[2:3]
	v_cmp_ge_u32_e32 vcc, v17, v10
	s_and_saveexec_b64 s[0:1], vcc
	s_cbranch_execnz .LBB2957_85
.LBB2957_68:
	s_or_b64 exec, exec, s[0:1]
	v_cmp_ge_u32_e32 vcc, v16, v10
	s_and_saveexec_b64 s[0:1], vcc
	s_cbranch_execz .LBB2957_70
.LBB2957_69:
	v_readfirstlane_b32 s2, v14
	v_readfirstlane_b32 s3, v1
	s_waitcnt lgkmcnt(0)
	s_nop 3
	global_store_dwordx2 v20, v[2:3], s[2:3] offset:3072
.LBB2957_70:
	s_or_b64 exec, exec, s[0:1]
	v_cmp_ge_u32_e64 s[0:1], v15, v10
	s_branch .LBB2957_79
.LBB2957_71:
	s_mov_b64 s[0:1], 0
	s_cbranch_execz .LBB2957_79
; %bb.72:
	v_cmp_gt_u32_e32 vcc, s33, v0
	v_cmp_ge_u32_e64 s[0:1], v0, v10
	s_and_b64 s[2:3], vcc, s[0:1]
	s_and_saveexec_b64 s[0:1], s[2:3]
	s_cbranch_execz .LBB2957_74
; %bb.73:
	v_readfirstlane_b32 s2, v14
	v_readfirstlane_b32 s3, v1
	s_waitcnt lgkmcnt(1)
	s_nop 3
	global_store_dwordx2 v20, v[6:7], s[2:3]
.LBB2957_74:
	s_or_b64 exec, exec, s[0:1]
	v_cmp_gt_u32_e32 vcc, s33, v17
	v_cmp_ge_u32_e64 s[0:1], v17, v10
	s_and_b64 s[2:3], vcc, s[0:1]
	s_and_saveexec_b64 s[0:1], s[2:3]
	s_cbranch_execz .LBB2957_76
; %bb.75:
	v_readfirstlane_b32 s2, v14
	v_readfirstlane_b32 s3, v1
	s_waitcnt lgkmcnt(1)
	s_nop 3
	global_store_dwordx2 v20, v[8:9], s[2:3] offset:1536
.LBB2957_76:
	s_or_b64 exec, exec, s[0:1]
	v_cmp_gt_u32_e32 vcc, s33, v16
	v_cmp_ge_u32_e64 s[0:1], v16, v10
	s_and_b64 s[2:3], vcc, s[0:1]
	s_and_saveexec_b64 s[0:1], s[2:3]
	s_cbranch_execz .LBB2957_78
; %bb.77:
	v_readfirstlane_b32 s2, v14
	v_readfirstlane_b32 s3, v1
	s_waitcnt lgkmcnt(0)
	s_nop 3
	global_store_dwordx2 v20, v[2:3], s[2:3] offset:3072
.LBB2957_78:
	s_or_b64 exec, exec, s[0:1]
	v_cmp_gt_u32_e32 vcc, s33, v15
	v_cmp_ge_u32_e64 s[0:1], v15, v10
	s_and_b64 s[0:1], vcc, s[0:1]
.LBB2957_79:
	s_and_saveexec_b64 s[2:3], s[0:1]
	s_cbranch_execz .LBB2957_81
; %bb.80:
	s_waitcnt lgkmcnt(0)
	v_lshlrev_b32_e32 v2, 3, v15
	v_readfirstlane_b32 s0, v14
	v_readfirstlane_b32 s1, v1
	s_nop 4
	global_store_dwordx2 v2, v[4:5], s[0:1]
.LBB2957_81:
	s_or_b64 exec, exec, s[2:3]
	v_cmp_eq_u32_e32 vcc, 0, v0
	s_and_b64 s[0:1], vcc, s[22:23]
	s_and_saveexec_b64 s[2:3], s[0:1]
	s_cbranch_execz .LBB2957_83
; %bb.82:
	v_mov_b32_e32 v0, 0
	global_store_dwordx2 v0, v[12:13], s[20:21]
.LBB2957_83:
	s_endpgm
.LBB2957_84:
	v_readfirstlane_b32 s0, v14
	v_readfirstlane_b32 s1, v1
	s_waitcnt lgkmcnt(1)
	s_nop 3
	global_store_dwordx2 v20, v[6:7], s[0:1]
	s_or_b64 exec, exec, s[2:3]
	v_cmp_ge_u32_e32 vcc, v17, v10
	s_and_saveexec_b64 s[0:1], vcc
	s_cbranch_execz .LBB2957_68
.LBB2957_85:
	v_readfirstlane_b32 s2, v14
	v_readfirstlane_b32 s3, v1
	s_waitcnt lgkmcnt(1)
	s_nop 3
	global_store_dwordx2 v20, v[8:9], s[2:3] offset:1536
	s_or_b64 exec, exec, s[0:1]
	v_cmp_ge_u32_e32 vcc, v16, v10
	s_and_saveexec_b64 s[0:1], vcc
	s_cbranch_execnz .LBB2957_69
	s_branch .LBB2957_70
	.section	.rodata,"a",@progbits
	.p2align	6, 0x0
	.amdhsa_kernel _ZN7rocprim17ROCPRIM_400000_NS6detail17trampoline_kernelINS0_14default_configENS1_25partition_config_selectorILNS1_17partition_subalgoE1EyNS0_10empty_typeEbEEZZNS1_14partition_implILS5_1ELb0ES3_jN6thrust23THRUST_200600_302600_NS6detail15normal_iteratorINSA_10device_ptrIyEEEEPS6_NSA_18transform_iteratorI7is_evenIyESF_NSA_11use_defaultESK_EENS0_5tupleIJNSA_16discard_iteratorISK_EESF_EEENSM_IJSG_SG_EEES6_PlJS6_EEE10hipError_tPvRmT3_T4_T5_T6_T7_T9_mT8_P12ihipStream_tbDpT10_ENKUlT_T0_E_clISt17integral_constantIbLb1EES1A_IbLb0EEEEDaS16_S17_EUlS16_E_NS1_11comp_targetILNS1_3genE4ELNS1_11target_archE910ELNS1_3gpuE8ELNS1_3repE0EEENS1_30default_config_static_selectorELNS0_4arch9wavefront6targetE1EEEvT1_
		.amdhsa_group_segment_fixed_size 6344
		.amdhsa_private_segment_fixed_size 0
		.amdhsa_kernarg_size 136
		.amdhsa_user_sgpr_count 6
		.amdhsa_user_sgpr_private_segment_buffer 1
		.amdhsa_user_sgpr_dispatch_ptr 0
		.amdhsa_user_sgpr_queue_ptr 0
		.amdhsa_user_sgpr_kernarg_segment_ptr 1
		.amdhsa_user_sgpr_dispatch_id 0
		.amdhsa_user_sgpr_flat_scratch_init 0
		.amdhsa_user_sgpr_kernarg_preload_length 0
		.amdhsa_user_sgpr_kernarg_preload_offset 0
		.amdhsa_user_sgpr_private_segment_size 0
		.amdhsa_uses_dynamic_stack 0
		.amdhsa_system_sgpr_private_segment_wavefront_offset 0
		.amdhsa_system_sgpr_workgroup_id_x 1
		.amdhsa_system_sgpr_workgroup_id_y 0
		.amdhsa_system_sgpr_workgroup_id_z 0
		.amdhsa_system_sgpr_workgroup_info 0
		.amdhsa_system_vgpr_workitem_id 0
		.amdhsa_next_free_vgpr 43
		.amdhsa_next_free_sgpr 44
		.amdhsa_accum_offset 44
		.amdhsa_reserve_vcc 1
		.amdhsa_reserve_flat_scratch 0
		.amdhsa_float_round_mode_32 0
		.amdhsa_float_round_mode_16_64 0
		.amdhsa_float_denorm_mode_32 3
		.amdhsa_float_denorm_mode_16_64 3
		.amdhsa_dx10_clamp 1
		.amdhsa_ieee_mode 1
		.amdhsa_fp16_overflow 0
		.amdhsa_tg_split 0
		.amdhsa_exception_fp_ieee_invalid_op 0
		.amdhsa_exception_fp_denorm_src 0
		.amdhsa_exception_fp_ieee_div_zero 0
		.amdhsa_exception_fp_ieee_overflow 0
		.amdhsa_exception_fp_ieee_underflow 0
		.amdhsa_exception_fp_ieee_inexact 0
		.amdhsa_exception_int_div_zero 0
	.end_amdhsa_kernel
	.section	.text._ZN7rocprim17ROCPRIM_400000_NS6detail17trampoline_kernelINS0_14default_configENS1_25partition_config_selectorILNS1_17partition_subalgoE1EyNS0_10empty_typeEbEEZZNS1_14partition_implILS5_1ELb0ES3_jN6thrust23THRUST_200600_302600_NS6detail15normal_iteratorINSA_10device_ptrIyEEEEPS6_NSA_18transform_iteratorI7is_evenIyESF_NSA_11use_defaultESK_EENS0_5tupleIJNSA_16discard_iteratorISK_EESF_EEENSM_IJSG_SG_EEES6_PlJS6_EEE10hipError_tPvRmT3_T4_T5_T6_T7_T9_mT8_P12ihipStream_tbDpT10_ENKUlT_T0_E_clISt17integral_constantIbLb1EES1A_IbLb0EEEEDaS16_S17_EUlS16_E_NS1_11comp_targetILNS1_3genE4ELNS1_11target_archE910ELNS1_3gpuE8ELNS1_3repE0EEENS1_30default_config_static_selectorELNS0_4arch9wavefront6targetE1EEEvT1_,"axG",@progbits,_ZN7rocprim17ROCPRIM_400000_NS6detail17trampoline_kernelINS0_14default_configENS1_25partition_config_selectorILNS1_17partition_subalgoE1EyNS0_10empty_typeEbEEZZNS1_14partition_implILS5_1ELb0ES3_jN6thrust23THRUST_200600_302600_NS6detail15normal_iteratorINSA_10device_ptrIyEEEEPS6_NSA_18transform_iteratorI7is_evenIyESF_NSA_11use_defaultESK_EENS0_5tupleIJNSA_16discard_iteratorISK_EESF_EEENSM_IJSG_SG_EEES6_PlJS6_EEE10hipError_tPvRmT3_T4_T5_T6_T7_T9_mT8_P12ihipStream_tbDpT10_ENKUlT_T0_E_clISt17integral_constantIbLb1EES1A_IbLb0EEEEDaS16_S17_EUlS16_E_NS1_11comp_targetILNS1_3genE4ELNS1_11target_archE910ELNS1_3gpuE8ELNS1_3repE0EEENS1_30default_config_static_selectorELNS0_4arch9wavefront6targetE1EEEvT1_,comdat
.Lfunc_end2957:
	.size	_ZN7rocprim17ROCPRIM_400000_NS6detail17trampoline_kernelINS0_14default_configENS1_25partition_config_selectorILNS1_17partition_subalgoE1EyNS0_10empty_typeEbEEZZNS1_14partition_implILS5_1ELb0ES3_jN6thrust23THRUST_200600_302600_NS6detail15normal_iteratorINSA_10device_ptrIyEEEEPS6_NSA_18transform_iteratorI7is_evenIyESF_NSA_11use_defaultESK_EENS0_5tupleIJNSA_16discard_iteratorISK_EESF_EEENSM_IJSG_SG_EEES6_PlJS6_EEE10hipError_tPvRmT3_T4_T5_T6_T7_T9_mT8_P12ihipStream_tbDpT10_ENKUlT_T0_E_clISt17integral_constantIbLb1EES1A_IbLb0EEEEDaS16_S17_EUlS16_E_NS1_11comp_targetILNS1_3genE4ELNS1_11target_archE910ELNS1_3gpuE8ELNS1_3repE0EEENS1_30default_config_static_selectorELNS0_4arch9wavefront6targetE1EEEvT1_, .Lfunc_end2957-_ZN7rocprim17ROCPRIM_400000_NS6detail17trampoline_kernelINS0_14default_configENS1_25partition_config_selectorILNS1_17partition_subalgoE1EyNS0_10empty_typeEbEEZZNS1_14partition_implILS5_1ELb0ES3_jN6thrust23THRUST_200600_302600_NS6detail15normal_iteratorINSA_10device_ptrIyEEEEPS6_NSA_18transform_iteratorI7is_evenIyESF_NSA_11use_defaultESK_EENS0_5tupleIJNSA_16discard_iteratorISK_EESF_EEENSM_IJSG_SG_EEES6_PlJS6_EEE10hipError_tPvRmT3_T4_T5_T6_T7_T9_mT8_P12ihipStream_tbDpT10_ENKUlT_T0_E_clISt17integral_constantIbLb1EES1A_IbLb0EEEEDaS16_S17_EUlS16_E_NS1_11comp_targetILNS1_3genE4ELNS1_11target_archE910ELNS1_3gpuE8ELNS1_3repE0EEENS1_30default_config_static_selectorELNS0_4arch9wavefront6targetE1EEEvT1_
                                        ; -- End function
	.section	.AMDGPU.csdata,"",@progbits
; Kernel info:
; codeLenInByte = 4028
; NumSgprs: 48
; NumVgprs: 43
; NumAgprs: 0
; TotalNumVgprs: 43
; ScratchSize: 0
; MemoryBound: 0
; FloatMode: 240
; IeeeMode: 1
; LDSByteSize: 6344 bytes/workgroup (compile time only)
; SGPRBlocks: 5
; VGPRBlocks: 5
; NumSGPRsForWavesPerEU: 48
; NumVGPRsForWavesPerEU: 43
; AccumOffset: 44
; Occupancy: 8
; WaveLimiterHint : 1
; COMPUTE_PGM_RSRC2:SCRATCH_EN: 0
; COMPUTE_PGM_RSRC2:USER_SGPR: 6
; COMPUTE_PGM_RSRC2:TRAP_HANDLER: 0
; COMPUTE_PGM_RSRC2:TGID_X_EN: 1
; COMPUTE_PGM_RSRC2:TGID_Y_EN: 0
; COMPUTE_PGM_RSRC2:TGID_Z_EN: 0
; COMPUTE_PGM_RSRC2:TIDIG_COMP_CNT: 0
; COMPUTE_PGM_RSRC3_GFX90A:ACCUM_OFFSET: 10
; COMPUTE_PGM_RSRC3_GFX90A:TG_SPLIT: 0
	.section	.text._ZN7rocprim17ROCPRIM_400000_NS6detail17trampoline_kernelINS0_14default_configENS1_25partition_config_selectorILNS1_17partition_subalgoE1EyNS0_10empty_typeEbEEZZNS1_14partition_implILS5_1ELb0ES3_jN6thrust23THRUST_200600_302600_NS6detail15normal_iteratorINSA_10device_ptrIyEEEEPS6_NSA_18transform_iteratorI7is_evenIyESF_NSA_11use_defaultESK_EENS0_5tupleIJNSA_16discard_iteratorISK_EESF_EEENSM_IJSG_SG_EEES6_PlJS6_EEE10hipError_tPvRmT3_T4_T5_T6_T7_T9_mT8_P12ihipStream_tbDpT10_ENKUlT_T0_E_clISt17integral_constantIbLb1EES1A_IbLb0EEEEDaS16_S17_EUlS16_E_NS1_11comp_targetILNS1_3genE3ELNS1_11target_archE908ELNS1_3gpuE7ELNS1_3repE0EEENS1_30default_config_static_selectorELNS0_4arch9wavefront6targetE1EEEvT1_,"axG",@progbits,_ZN7rocprim17ROCPRIM_400000_NS6detail17trampoline_kernelINS0_14default_configENS1_25partition_config_selectorILNS1_17partition_subalgoE1EyNS0_10empty_typeEbEEZZNS1_14partition_implILS5_1ELb0ES3_jN6thrust23THRUST_200600_302600_NS6detail15normal_iteratorINSA_10device_ptrIyEEEEPS6_NSA_18transform_iteratorI7is_evenIyESF_NSA_11use_defaultESK_EENS0_5tupleIJNSA_16discard_iteratorISK_EESF_EEENSM_IJSG_SG_EEES6_PlJS6_EEE10hipError_tPvRmT3_T4_T5_T6_T7_T9_mT8_P12ihipStream_tbDpT10_ENKUlT_T0_E_clISt17integral_constantIbLb1EES1A_IbLb0EEEEDaS16_S17_EUlS16_E_NS1_11comp_targetILNS1_3genE3ELNS1_11target_archE908ELNS1_3gpuE7ELNS1_3repE0EEENS1_30default_config_static_selectorELNS0_4arch9wavefront6targetE1EEEvT1_,comdat
	.protected	_ZN7rocprim17ROCPRIM_400000_NS6detail17trampoline_kernelINS0_14default_configENS1_25partition_config_selectorILNS1_17partition_subalgoE1EyNS0_10empty_typeEbEEZZNS1_14partition_implILS5_1ELb0ES3_jN6thrust23THRUST_200600_302600_NS6detail15normal_iteratorINSA_10device_ptrIyEEEEPS6_NSA_18transform_iteratorI7is_evenIyESF_NSA_11use_defaultESK_EENS0_5tupleIJNSA_16discard_iteratorISK_EESF_EEENSM_IJSG_SG_EEES6_PlJS6_EEE10hipError_tPvRmT3_T4_T5_T6_T7_T9_mT8_P12ihipStream_tbDpT10_ENKUlT_T0_E_clISt17integral_constantIbLb1EES1A_IbLb0EEEEDaS16_S17_EUlS16_E_NS1_11comp_targetILNS1_3genE3ELNS1_11target_archE908ELNS1_3gpuE7ELNS1_3repE0EEENS1_30default_config_static_selectorELNS0_4arch9wavefront6targetE1EEEvT1_ ; -- Begin function _ZN7rocprim17ROCPRIM_400000_NS6detail17trampoline_kernelINS0_14default_configENS1_25partition_config_selectorILNS1_17partition_subalgoE1EyNS0_10empty_typeEbEEZZNS1_14partition_implILS5_1ELb0ES3_jN6thrust23THRUST_200600_302600_NS6detail15normal_iteratorINSA_10device_ptrIyEEEEPS6_NSA_18transform_iteratorI7is_evenIyESF_NSA_11use_defaultESK_EENS0_5tupleIJNSA_16discard_iteratorISK_EESF_EEENSM_IJSG_SG_EEES6_PlJS6_EEE10hipError_tPvRmT3_T4_T5_T6_T7_T9_mT8_P12ihipStream_tbDpT10_ENKUlT_T0_E_clISt17integral_constantIbLb1EES1A_IbLb0EEEEDaS16_S17_EUlS16_E_NS1_11comp_targetILNS1_3genE3ELNS1_11target_archE908ELNS1_3gpuE7ELNS1_3repE0EEENS1_30default_config_static_selectorELNS0_4arch9wavefront6targetE1EEEvT1_
	.globl	_ZN7rocprim17ROCPRIM_400000_NS6detail17trampoline_kernelINS0_14default_configENS1_25partition_config_selectorILNS1_17partition_subalgoE1EyNS0_10empty_typeEbEEZZNS1_14partition_implILS5_1ELb0ES3_jN6thrust23THRUST_200600_302600_NS6detail15normal_iteratorINSA_10device_ptrIyEEEEPS6_NSA_18transform_iteratorI7is_evenIyESF_NSA_11use_defaultESK_EENS0_5tupleIJNSA_16discard_iteratorISK_EESF_EEENSM_IJSG_SG_EEES6_PlJS6_EEE10hipError_tPvRmT3_T4_T5_T6_T7_T9_mT8_P12ihipStream_tbDpT10_ENKUlT_T0_E_clISt17integral_constantIbLb1EES1A_IbLb0EEEEDaS16_S17_EUlS16_E_NS1_11comp_targetILNS1_3genE3ELNS1_11target_archE908ELNS1_3gpuE7ELNS1_3repE0EEENS1_30default_config_static_selectorELNS0_4arch9wavefront6targetE1EEEvT1_
	.p2align	8
	.type	_ZN7rocprim17ROCPRIM_400000_NS6detail17trampoline_kernelINS0_14default_configENS1_25partition_config_selectorILNS1_17partition_subalgoE1EyNS0_10empty_typeEbEEZZNS1_14partition_implILS5_1ELb0ES3_jN6thrust23THRUST_200600_302600_NS6detail15normal_iteratorINSA_10device_ptrIyEEEEPS6_NSA_18transform_iteratorI7is_evenIyESF_NSA_11use_defaultESK_EENS0_5tupleIJNSA_16discard_iteratorISK_EESF_EEENSM_IJSG_SG_EEES6_PlJS6_EEE10hipError_tPvRmT3_T4_T5_T6_T7_T9_mT8_P12ihipStream_tbDpT10_ENKUlT_T0_E_clISt17integral_constantIbLb1EES1A_IbLb0EEEEDaS16_S17_EUlS16_E_NS1_11comp_targetILNS1_3genE3ELNS1_11target_archE908ELNS1_3gpuE7ELNS1_3repE0EEENS1_30default_config_static_selectorELNS0_4arch9wavefront6targetE1EEEvT1_,@function
_ZN7rocprim17ROCPRIM_400000_NS6detail17trampoline_kernelINS0_14default_configENS1_25partition_config_selectorILNS1_17partition_subalgoE1EyNS0_10empty_typeEbEEZZNS1_14partition_implILS5_1ELb0ES3_jN6thrust23THRUST_200600_302600_NS6detail15normal_iteratorINSA_10device_ptrIyEEEEPS6_NSA_18transform_iteratorI7is_evenIyESF_NSA_11use_defaultESK_EENS0_5tupleIJNSA_16discard_iteratorISK_EESF_EEENSM_IJSG_SG_EEES6_PlJS6_EEE10hipError_tPvRmT3_T4_T5_T6_T7_T9_mT8_P12ihipStream_tbDpT10_ENKUlT_T0_E_clISt17integral_constantIbLb1EES1A_IbLb0EEEEDaS16_S17_EUlS16_E_NS1_11comp_targetILNS1_3genE3ELNS1_11target_archE908ELNS1_3gpuE7ELNS1_3repE0EEENS1_30default_config_static_selectorELNS0_4arch9wavefront6targetE1EEEvT1_: ; @_ZN7rocprim17ROCPRIM_400000_NS6detail17trampoline_kernelINS0_14default_configENS1_25partition_config_selectorILNS1_17partition_subalgoE1EyNS0_10empty_typeEbEEZZNS1_14partition_implILS5_1ELb0ES3_jN6thrust23THRUST_200600_302600_NS6detail15normal_iteratorINSA_10device_ptrIyEEEEPS6_NSA_18transform_iteratorI7is_evenIyESF_NSA_11use_defaultESK_EENS0_5tupleIJNSA_16discard_iteratorISK_EESF_EEENSM_IJSG_SG_EEES6_PlJS6_EEE10hipError_tPvRmT3_T4_T5_T6_T7_T9_mT8_P12ihipStream_tbDpT10_ENKUlT_T0_E_clISt17integral_constantIbLb1EES1A_IbLb0EEEEDaS16_S17_EUlS16_E_NS1_11comp_targetILNS1_3genE3ELNS1_11target_archE908ELNS1_3gpuE7ELNS1_3repE0EEENS1_30default_config_static_selectorELNS0_4arch9wavefront6targetE1EEEvT1_
; %bb.0:
	.section	.rodata,"a",@progbits
	.p2align	6, 0x0
	.amdhsa_kernel _ZN7rocprim17ROCPRIM_400000_NS6detail17trampoline_kernelINS0_14default_configENS1_25partition_config_selectorILNS1_17partition_subalgoE1EyNS0_10empty_typeEbEEZZNS1_14partition_implILS5_1ELb0ES3_jN6thrust23THRUST_200600_302600_NS6detail15normal_iteratorINSA_10device_ptrIyEEEEPS6_NSA_18transform_iteratorI7is_evenIyESF_NSA_11use_defaultESK_EENS0_5tupleIJNSA_16discard_iteratorISK_EESF_EEENSM_IJSG_SG_EEES6_PlJS6_EEE10hipError_tPvRmT3_T4_T5_T6_T7_T9_mT8_P12ihipStream_tbDpT10_ENKUlT_T0_E_clISt17integral_constantIbLb1EES1A_IbLb0EEEEDaS16_S17_EUlS16_E_NS1_11comp_targetILNS1_3genE3ELNS1_11target_archE908ELNS1_3gpuE7ELNS1_3repE0EEENS1_30default_config_static_selectorELNS0_4arch9wavefront6targetE1EEEvT1_
		.amdhsa_group_segment_fixed_size 0
		.amdhsa_private_segment_fixed_size 0
		.amdhsa_kernarg_size 136
		.amdhsa_user_sgpr_count 6
		.amdhsa_user_sgpr_private_segment_buffer 1
		.amdhsa_user_sgpr_dispatch_ptr 0
		.amdhsa_user_sgpr_queue_ptr 0
		.amdhsa_user_sgpr_kernarg_segment_ptr 1
		.amdhsa_user_sgpr_dispatch_id 0
		.amdhsa_user_sgpr_flat_scratch_init 0
		.amdhsa_user_sgpr_kernarg_preload_length 0
		.amdhsa_user_sgpr_kernarg_preload_offset 0
		.amdhsa_user_sgpr_private_segment_size 0
		.amdhsa_uses_dynamic_stack 0
		.amdhsa_system_sgpr_private_segment_wavefront_offset 0
		.amdhsa_system_sgpr_workgroup_id_x 1
		.amdhsa_system_sgpr_workgroup_id_y 0
		.amdhsa_system_sgpr_workgroup_id_z 0
		.amdhsa_system_sgpr_workgroup_info 0
		.amdhsa_system_vgpr_workitem_id 0
		.amdhsa_next_free_vgpr 1
		.amdhsa_next_free_sgpr 0
		.amdhsa_accum_offset 4
		.amdhsa_reserve_vcc 0
		.amdhsa_reserve_flat_scratch 0
		.amdhsa_float_round_mode_32 0
		.amdhsa_float_round_mode_16_64 0
		.amdhsa_float_denorm_mode_32 3
		.amdhsa_float_denorm_mode_16_64 3
		.amdhsa_dx10_clamp 1
		.amdhsa_ieee_mode 1
		.amdhsa_fp16_overflow 0
		.amdhsa_tg_split 0
		.amdhsa_exception_fp_ieee_invalid_op 0
		.amdhsa_exception_fp_denorm_src 0
		.amdhsa_exception_fp_ieee_div_zero 0
		.amdhsa_exception_fp_ieee_overflow 0
		.amdhsa_exception_fp_ieee_underflow 0
		.amdhsa_exception_fp_ieee_inexact 0
		.amdhsa_exception_int_div_zero 0
	.end_amdhsa_kernel
	.section	.text._ZN7rocprim17ROCPRIM_400000_NS6detail17trampoline_kernelINS0_14default_configENS1_25partition_config_selectorILNS1_17partition_subalgoE1EyNS0_10empty_typeEbEEZZNS1_14partition_implILS5_1ELb0ES3_jN6thrust23THRUST_200600_302600_NS6detail15normal_iteratorINSA_10device_ptrIyEEEEPS6_NSA_18transform_iteratorI7is_evenIyESF_NSA_11use_defaultESK_EENS0_5tupleIJNSA_16discard_iteratorISK_EESF_EEENSM_IJSG_SG_EEES6_PlJS6_EEE10hipError_tPvRmT3_T4_T5_T6_T7_T9_mT8_P12ihipStream_tbDpT10_ENKUlT_T0_E_clISt17integral_constantIbLb1EES1A_IbLb0EEEEDaS16_S17_EUlS16_E_NS1_11comp_targetILNS1_3genE3ELNS1_11target_archE908ELNS1_3gpuE7ELNS1_3repE0EEENS1_30default_config_static_selectorELNS0_4arch9wavefront6targetE1EEEvT1_,"axG",@progbits,_ZN7rocprim17ROCPRIM_400000_NS6detail17trampoline_kernelINS0_14default_configENS1_25partition_config_selectorILNS1_17partition_subalgoE1EyNS0_10empty_typeEbEEZZNS1_14partition_implILS5_1ELb0ES3_jN6thrust23THRUST_200600_302600_NS6detail15normal_iteratorINSA_10device_ptrIyEEEEPS6_NSA_18transform_iteratorI7is_evenIyESF_NSA_11use_defaultESK_EENS0_5tupleIJNSA_16discard_iteratorISK_EESF_EEENSM_IJSG_SG_EEES6_PlJS6_EEE10hipError_tPvRmT3_T4_T5_T6_T7_T9_mT8_P12ihipStream_tbDpT10_ENKUlT_T0_E_clISt17integral_constantIbLb1EES1A_IbLb0EEEEDaS16_S17_EUlS16_E_NS1_11comp_targetILNS1_3genE3ELNS1_11target_archE908ELNS1_3gpuE7ELNS1_3repE0EEENS1_30default_config_static_selectorELNS0_4arch9wavefront6targetE1EEEvT1_,comdat
.Lfunc_end2958:
	.size	_ZN7rocprim17ROCPRIM_400000_NS6detail17trampoline_kernelINS0_14default_configENS1_25partition_config_selectorILNS1_17partition_subalgoE1EyNS0_10empty_typeEbEEZZNS1_14partition_implILS5_1ELb0ES3_jN6thrust23THRUST_200600_302600_NS6detail15normal_iteratorINSA_10device_ptrIyEEEEPS6_NSA_18transform_iteratorI7is_evenIyESF_NSA_11use_defaultESK_EENS0_5tupleIJNSA_16discard_iteratorISK_EESF_EEENSM_IJSG_SG_EEES6_PlJS6_EEE10hipError_tPvRmT3_T4_T5_T6_T7_T9_mT8_P12ihipStream_tbDpT10_ENKUlT_T0_E_clISt17integral_constantIbLb1EES1A_IbLb0EEEEDaS16_S17_EUlS16_E_NS1_11comp_targetILNS1_3genE3ELNS1_11target_archE908ELNS1_3gpuE7ELNS1_3repE0EEENS1_30default_config_static_selectorELNS0_4arch9wavefront6targetE1EEEvT1_, .Lfunc_end2958-_ZN7rocprim17ROCPRIM_400000_NS6detail17trampoline_kernelINS0_14default_configENS1_25partition_config_selectorILNS1_17partition_subalgoE1EyNS0_10empty_typeEbEEZZNS1_14partition_implILS5_1ELb0ES3_jN6thrust23THRUST_200600_302600_NS6detail15normal_iteratorINSA_10device_ptrIyEEEEPS6_NSA_18transform_iteratorI7is_evenIyESF_NSA_11use_defaultESK_EENS0_5tupleIJNSA_16discard_iteratorISK_EESF_EEENSM_IJSG_SG_EEES6_PlJS6_EEE10hipError_tPvRmT3_T4_T5_T6_T7_T9_mT8_P12ihipStream_tbDpT10_ENKUlT_T0_E_clISt17integral_constantIbLb1EES1A_IbLb0EEEEDaS16_S17_EUlS16_E_NS1_11comp_targetILNS1_3genE3ELNS1_11target_archE908ELNS1_3gpuE7ELNS1_3repE0EEENS1_30default_config_static_selectorELNS0_4arch9wavefront6targetE1EEEvT1_
                                        ; -- End function
	.section	.AMDGPU.csdata,"",@progbits
; Kernel info:
; codeLenInByte = 0
; NumSgprs: 4
; NumVgprs: 0
; NumAgprs: 0
; TotalNumVgprs: 0
; ScratchSize: 0
; MemoryBound: 0
; FloatMode: 240
; IeeeMode: 1
; LDSByteSize: 0 bytes/workgroup (compile time only)
; SGPRBlocks: 0
; VGPRBlocks: 0
; NumSGPRsForWavesPerEU: 4
; NumVGPRsForWavesPerEU: 1
; AccumOffset: 4
; Occupancy: 8
; WaveLimiterHint : 0
; COMPUTE_PGM_RSRC2:SCRATCH_EN: 0
; COMPUTE_PGM_RSRC2:USER_SGPR: 6
; COMPUTE_PGM_RSRC2:TRAP_HANDLER: 0
; COMPUTE_PGM_RSRC2:TGID_X_EN: 1
; COMPUTE_PGM_RSRC2:TGID_Y_EN: 0
; COMPUTE_PGM_RSRC2:TGID_Z_EN: 0
; COMPUTE_PGM_RSRC2:TIDIG_COMP_CNT: 0
; COMPUTE_PGM_RSRC3_GFX90A:ACCUM_OFFSET: 0
; COMPUTE_PGM_RSRC3_GFX90A:TG_SPLIT: 0
	.section	.text._ZN7rocprim17ROCPRIM_400000_NS6detail17trampoline_kernelINS0_14default_configENS1_25partition_config_selectorILNS1_17partition_subalgoE1EyNS0_10empty_typeEbEEZZNS1_14partition_implILS5_1ELb0ES3_jN6thrust23THRUST_200600_302600_NS6detail15normal_iteratorINSA_10device_ptrIyEEEEPS6_NSA_18transform_iteratorI7is_evenIyESF_NSA_11use_defaultESK_EENS0_5tupleIJNSA_16discard_iteratorISK_EESF_EEENSM_IJSG_SG_EEES6_PlJS6_EEE10hipError_tPvRmT3_T4_T5_T6_T7_T9_mT8_P12ihipStream_tbDpT10_ENKUlT_T0_E_clISt17integral_constantIbLb1EES1A_IbLb0EEEEDaS16_S17_EUlS16_E_NS1_11comp_targetILNS1_3genE2ELNS1_11target_archE906ELNS1_3gpuE6ELNS1_3repE0EEENS1_30default_config_static_selectorELNS0_4arch9wavefront6targetE1EEEvT1_,"axG",@progbits,_ZN7rocprim17ROCPRIM_400000_NS6detail17trampoline_kernelINS0_14default_configENS1_25partition_config_selectorILNS1_17partition_subalgoE1EyNS0_10empty_typeEbEEZZNS1_14partition_implILS5_1ELb0ES3_jN6thrust23THRUST_200600_302600_NS6detail15normal_iteratorINSA_10device_ptrIyEEEEPS6_NSA_18transform_iteratorI7is_evenIyESF_NSA_11use_defaultESK_EENS0_5tupleIJNSA_16discard_iteratorISK_EESF_EEENSM_IJSG_SG_EEES6_PlJS6_EEE10hipError_tPvRmT3_T4_T5_T6_T7_T9_mT8_P12ihipStream_tbDpT10_ENKUlT_T0_E_clISt17integral_constantIbLb1EES1A_IbLb0EEEEDaS16_S17_EUlS16_E_NS1_11comp_targetILNS1_3genE2ELNS1_11target_archE906ELNS1_3gpuE6ELNS1_3repE0EEENS1_30default_config_static_selectorELNS0_4arch9wavefront6targetE1EEEvT1_,comdat
	.protected	_ZN7rocprim17ROCPRIM_400000_NS6detail17trampoline_kernelINS0_14default_configENS1_25partition_config_selectorILNS1_17partition_subalgoE1EyNS0_10empty_typeEbEEZZNS1_14partition_implILS5_1ELb0ES3_jN6thrust23THRUST_200600_302600_NS6detail15normal_iteratorINSA_10device_ptrIyEEEEPS6_NSA_18transform_iteratorI7is_evenIyESF_NSA_11use_defaultESK_EENS0_5tupleIJNSA_16discard_iteratorISK_EESF_EEENSM_IJSG_SG_EEES6_PlJS6_EEE10hipError_tPvRmT3_T4_T5_T6_T7_T9_mT8_P12ihipStream_tbDpT10_ENKUlT_T0_E_clISt17integral_constantIbLb1EES1A_IbLb0EEEEDaS16_S17_EUlS16_E_NS1_11comp_targetILNS1_3genE2ELNS1_11target_archE906ELNS1_3gpuE6ELNS1_3repE0EEENS1_30default_config_static_selectorELNS0_4arch9wavefront6targetE1EEEvT1_ ; -- Begin function _ZN7rocprim17ROCPRIM_400000_NS6detail17trampoline_kernelINS0_14default_configENS1_25partition_config_selectorILNS1_17partition_subalgoE1EyNS0_10empty_typeEbEEZZNS1_14partition_implILS5_1ELb0ES3_jN6thrust23THRUST_200600_302600_NS6detail15normal_iteratorINSA_10device_ptrIyEEEEPS6_NSA_18transform_iteratorI7is_evenIyESF_NSA_11use_defaultESK_EENS0_5tupleIJNSA_16discard_iteratorISK_EESF_EEENSM_IJSG_SG_EEES6_PlJS6_EEE10hipError_tPvRmT3_T4_T5_T6_T7_T9_mT8_P12ihipStream_tbDpT10_ENKUlT_T0_E_clISt17integral_constantIbLb1EES1A_IbLb0EEEEDaS16_S17_EUlS16_E_NS1_11comp_targetILNS1_3genE2ELNS1_11target_archE906ELNS1_3gpuE6ELNS1_3repE0EEENS1_30default_config_static_selectorELNS0_4arch9wavefront6targetE1EEEvT1_
	.globl	_ZN7rocprim17ROCPRIM_400000_NS6detail17trampoline_kernelINS0_14default_configENS1_25partition_config_selectorILNS1_17partition_subalgoE1EyNS0_10empty_typeEbEEZZNS1_14partition_implILS5_1ELb0ES3_jN6thrust23THRUST_200600_302600_NS6detail15normal_iteratorINSA_10device_ptrIyEEEEPS6_NSA_18transform_iteratorI7is_evenIyESF_NSA_11use_defaultESK_EENS0_5tupleIJNSA_16discard_iteratorISK_EESF_EEENSM_IJSG_SG_EEES6_PlJS6_EEE10hipError_tPvRmT3_T4_T5_T6_T7_T9_mT8_P12ihipStream_tbDpT10_ENKUlT_T0_E_clISt17integral_constantIbLb1EES1A_IbLb0EEEEDaS16_S17_EUlS16_E_NS1_11comp_targetILNS1_3genE2ELNS1_11target_archE906ELNS1_3gpuE6ELNS1_3repE0EEENS1_30default_config_static_selectorELNS0_4arch9wavefront6targetE1EEEvT1_
	.p2align	8
	.type	_ZN7rocprim17ROCPRIM_400000_NS6detail17trampoline_kernelINS0_14default_configENS1_25partition_config_selectorILNS1_17partition_subalgoE1EyNS0_10empty_typeEbEEZZNS1_14partition_implILS5_1ELb0ES3_jN6thrust23THRUST_200600_302600_NS6detail15normal_iteratorINSA_10device_ptrIyEEEEPS6_NSA_18transform_iteratorI7is_evenIyESF_NSA_11use_defaultESK_EENS0_5tupleIJNSA_16discard_iteratorISK_EESF_EEENSM_IJSG_SG_EEES6_PlJS6_EEE10hipError_tPvRmT3_T4_T5_T6_T7_T9_mT8_P12ihipStream_tbDpT10_ENKUlT_T0_E_clISt17integral_constantIbLb1EES1A_IbLb0EEEEDaS16_S17_EUlS16_E_NS1_11comp_targetILNS1_3genE2ELNS1_11target_archE906ELNS1_3gpuE6ELNS1_3repE0EEENS1_30default_config_static_selectorELNS0_4arch9wavefront6targetE1EEEvT1_,@function
_ZN7rocprim17ROCPRIM_400000_NS6detail17trampoline_kernelINS0_14default_configENS1_25partition_config_selectorILNS1_17partition_subalgoE1EyNS0_10empty_typeEbEEZZNS1_14partition_implILS5_1ELb0ES3_jN6thrust23THRUST_200600_302600_NS6detail15normal_iteratorINSA_10device_ptrIyEEEEPS6_NSA_18transform_iteratorI7is_evenIyESF_NSA_11use_defaultESK_EENS0_5tupleIJNSA_16discard_iteratorISK_EESF_EEENSM_IJSG_SG_EEES6_PlJS6_EEE10hipError_tPvRmT3_T4_T5_T6_T7_T9_mT8_P12ihipStream_tbDpT10_ENKUlT_T0_E_clISt17integral_constantIbLb1EES1A_IbLb0EEEEDaS16_S17_EUlS16_E_NS1_11comp_targetILNS1_3genE2ELNS1_11target_archE906ELNS1_3gpuE6ELNS1_3repE0EEENS1_30default_config_static_selectorELNS0_4arch9wavefront6targetE1EEEvT1_: ; @_ZN7rocprim17ROCPRIM_400000_NS6detail17trampoline_kernelINS0_14default_configENS1_25partition_config_selectorILNS1_17partition_subalgoE1EyNS0_10empty_typeEbEEZZNS1_14partition_implILS5_1ELb0ES3_jN6thrust23THRUST_200600_302600_NS6detail15normal_iteratorINSA_10device_ptrIyEEEEPS6_NSA_18transform_iteratorI7is_evenIyESF_NSA_11use_defaultESK_EENS0_5tupleIJNSA_16discard_iteratorISK_EESF_EEENSM_IJSG_SG_EEES6_PlJS6_EEE10hipError_tPvRmT3_T4_T5_T6_T7_T9_mT8_P12ihipStream_tbDpT10_ENKUlT_T0_E_clISt17integral_constantIbLb1EES1A_IbLb0EEEEDaS16_S17_EUlS16_E_NS1_11comp_targetILNS1_3genE2ELNS1_11target_archE906ELNS1_3gpuE6ELNS1_3repE0EEENS1_30default_config_static_selectorELNS0_4arch9wavefront6targetE1EEEvT1_
; %bb.0:
	.section	.rodata,"a",@progbits
	.p2align	6, 0x0
	.amdhsa_kernel _ZN7rocprim17ROCPRIM_400000_NS6detail17trampoline_kernelINS0_14default_configENS1_25partition_config_selectorILNS1_17partition_subalgoE1EyNS0_10empty_typeEbEEZZNS1_14partition_implILS5_1ELb0ES3_jN6thrust23THRUST_200600_302600_NS6detail15normal_iteratorINSA_10device_ptrIyEEEEPS6_NSA_18transform_iteratorI7is_evenIyESF_NSA_11use_defaultESK_EENS0_5tupleIJNSA_16discard_iteratorISK_EESF_EEENSM_IJSG_SG_EEES6_PlJS6_EEE10hipError_tPvRmT3_T4_T5_T6_T7_T9_mT8_P12ihipStream_tbDpT10_ENKUlT_T0_E_clISt17integral_constantIbLb1EES1A_IbLb0EEEEDaS16_S17_EUlS16_E_NS1_11comp_targetILNS1_3genE2ELNS1_11target_archE906ELNS1_3gpuE6ELNS1_3repE0EEENS1_30default_config_static_selectorELNS0_4arch9wavefront6targetE1EEEvT1_
		.amdhsa_group_segment_fixed_size 0
		.amdhsa_private_segment_fixed_size 0
		.amdhsa_kernarg_size 136
		.amdhsa_user_sgpr_count 6
		.amdhsa_user_sgpr_private_segment_buffer 1
		.amdhsa_user_sgpr_dispatch_ptr 0
		.amdhsa_user_sgpr_queue_ptr 0
		.amdhsa_user_sgpr_kernarg_segment_ptr 1
		.amdhsa_user_sgpr_dispatch_id 0
		.amdhsa_user_sgpr_flat_scratch_init 0
		.amdhsa_user_sgpr_kernarg_preload_length 0
		.amdhsa_user_sgpr_kernarg_preload_offset 0
		.amdhsa_user_sgpr_private_segment_size 0
		.amdhsa_uses_dynamic_stack 0
		.amdhsa_system_sgpr_private_segment_wavefront_offset 0
		.amdhsa_system_sgpr_workgroup_id_x 1
		.amdhsa_system_sgpr_workgroup_id_y 0
		.amdhsa_system_sgpr_workgroup_id_z 0
		.amdhsa_system_sgpr_workgroup_info 0
		.amdhsa_system_vgpr_workitem_id 0
		.amdhsa_next_free_vgpr 1
		.amdhsa_next_free_sgpr 0
		.amdhsa_accum_offset 4
		.amdhsa_reserve_vcc 0
		.amdhsa_reserve_flat_scratch 0
		.amdhsa_float_round_mode_32 0
		.amdhsa_float_round_mode_16_64 0
		.amdhsa_float_denorm_mode_32 3
		.amdhsa_float_denorm_mode_16_64 3
		.amdhsa_dx10_clamp 1
		.amdhsa_ieee_mode 1
		.amdhsa_fp16_overflow 0
		.amdhsa_tg_split 0
		.amdhsa_exception_fp_ieee_invalid_op 0
		.amdhsa_exception_fp_denorm_src 0
		.amdhsa_exception_fp_ieee_div_zero 0
		.amdhsa_exception_fp_ieee_overflow 0
		.amdhsa_exception_fp_ieee_underflow 0
		.amdhsa_exception_fp_ieee_inexact 0
		.amdhsa_exception_int_div_zero 0
	.end_amdhsa_kernel
	.section	.text._ZN7rocprim17ROCPRIM_400000_NS6detail17trampoline_kernelINS0_14default_configENS1_25partition_config_selectorILNS1_17partition_subalgoE1EyNS0_10empty_typeEbEEZZNS1_14partition_implILS5_1ELb0ES3_jN6thrust23THRUST_200600_302600_NS6detail15normal_iteratorINSA_10device_ptrIyEEEEPS6_NSA_18transform_iteratorI7is_evenIyESF_NSA_11use_defaultESK_EENS0_5tupleIJNSA_16discard_iteratorISK_EESF_EEENSM_IJSG_SG_EEES6_PlJS6_EEE10hipError_tPvRmT3_T4_T5_T6_T7_T9_mT8_P12ihipStream_tbDpT10_ENKUlT_T0_E_clISt17integral_constantIbLb1EES1A_IbLb0EEEEDaS16_S17_EUlS16_E_NS1_11comp_targetILNS1_3genE2ELNS1_11target_archE906ELNS1_3gpuE6ELNS1_3repE0EEENS1_30default_config_static_selectorELNS0_4arch9wavefront6targetE1EEEvT1_,"axG",@progbits,_ZN7rocprim17ROCPRIM_400000_NS6detail17trampoline_kernelINS0_14default_configENS1_25partition_config_selectorILNS1_17partition_subalgoE1EyNS0_10empty_typeEbEEZZNS1_14partition_implILS5_1ELb0ES3_jN6thrust23THRUST_200600_302600_NS6detail15normal_iteratorINSA_10device_ptrIyEEEEPS6_NSA_18transform_iteratorI7is_evenIyESF_NSA_11use_defaultESK_EENS0_5tupleIJNSA_16discard_iteratorISK_EESF_EEENSM_IJSG_SG_EEES6_PlJS6_EEE10hipError_tPvRmT3_T4_T5_T6_T7_T9_mT8_P12ihipStream_tbDpT10_ENKUlT_T0_E_clISt17integral_constantIbLb1EES1A_IbLb0EEEEDaS16_S17_EUlS16_E_NS1_11comp_targetILNS1_3genE2ELNS1_11target_archE906ELNS1_3gpuE6ELNS1_3repE0EEENS1_30default_config_static_selectorELNS0_4arch9wavefront6targetE1EEEvT1_,comdat
.Lfunc_end2959:
	.size	_ZN7rocprim17ROCPRIM_400000_NS6detail17trampoline_kernelINS0_14default_configENS1_25partition_config_selectorILNS1_17partition_subalgoE1EyNS0_10empty_typeEbEEZZNS1_14partition_implILS5_1ELb0ES3_jN6thrust23THRUST_200600_302600_NS6detail15normal_iteratorINSA_10device_ptrIyEEEEPS6_NSA_18transform_iteratorI7is_evenIyESF_NSA_11use_defaultESK_EENS0_5tupleIJNSA_16discard_iteratorISK_EESF_EEENSM_IJSG_SG_EEES6_PlJS6_EEE10hipError_tPvRmT3_T4_T5_T6_T7_T9_mT8_P12ihipStream_tbDpT10_ENKUlT_T0_E_clISt17integral_constantIbLb1EES1A_IbLb0EEEEDaS16_S17_EUlS16_E_NS1_11comp_targetILNS1_3genE2ELNS1_11target_archE906ELNS1_3gpuE6ELNS1_3repE0EEENS1_30default_config_static_selectorELNS0_4arch9wavefront6targetE1EEEvT1_, .Lfunc_end2959-_ZN7rocprim17ROCPRIM_400000_NS6detail17trampoline_kernelINS0_14default_configENS1_25partition_config_selectorILNS1_17partition_subalgoE1EyNS0_10empty_typeEbEEZZNS1_14partition_implILS5_1ELb0ES3_jN6thrust23THRUST_200600_302600_NS6detail15normal_iteratorINSA_10device_ptrIyEEEEPS6_NSA_18transform_iteratorI7is_evenIyESF_NSA_11use_defaultESK_EENS0_5tupleIJNSA_16discard_iteratorISK_EESF_EEENSM_IJSG_SG_EEES6_PlJS6_EEE10hipError_tPvRmT3_T4_T5_T6_T7_T9_mT8_P12ihipStream_tbDpT10_ENKUlT_T0_E_clISt17integral_constantIbLb1EES1A_IbLb0EEEEDaS16_S17_EUlS16_E_NS1_11comp_targetILNS1_3genE2ELNS1_11target_archE906ELNS1_3gpuE6ELNS1_3repE0EEENS1_30default_config_static_selectorELNS0_4arch9wavefront6targetE1EEEvT1_
                                        ; -- End function
	.section	.AMDGPU.csdata,"",@progbits
; Kernel info:
; codeLenInByte = 0
; NumSgprs: 4
; NumVgprs: 0
; NumAgprs: 0
; TotalNumVgprs: 0
; ScratchSize: 0
; MemoryBound: 0
; FloatMode: 240
; IeeeMode: 1
; LDSByteSize: 0 bytes/workgroup (compile time only)
; SGPRBlocks: 0
; VGPRBlocks: 0
; NumSGPRsForWavesPerEU: 4
; NumVGPRsForWavesPerEU: 1
; AccumOffset: 4
; Occupancy: 8
; WaveLimiterHint : 0
; COMPUTE_PGM_RSRC2:SCRATCH_EN: 0
; COMPUTE_PGM_RSRC2:USER_SGPR: 6
; COMPUTE_PGM_RSRC2:TRAP_HANDLER: 0
; COMPUTE_PGM_RSRC2:TGID_X_EN: 1
; COMPUTE_PGM_RSRC2:TGID_Y_EN: 0
; COMPUTE_PGM_RSRC2:TGID_Z_EN: 0
; COMPUTE_PGM_RSRC2:TIDIG_COMP_CNT: 0
; COMPUTE_PGM_RSRC3_GFX90A:ACCUM_OFFSET: 0
; COMPUTE_PGM_RSRC3_GFX90A:TG_SPLIT: 0
	.section	.text._ZN7rocprim17ROCPRIM_400000_NS6detail17trampoline_kernelINS0_14default_configENS1_25partition_config_selectorILNS1_17partition_subalgoE1EyNS0_10empty_typeEbEEZZNS1_14partition_implILS5_1ELb0ES3_jN6thrust23THRUST_200600_302600_NS6detail15normal_iteratorINSA_10device_ptrIyEEEEPS6_NSA_18transform_iteratorI7is_evenIyESF_NSA_11use_defaultESK_EENS0_5tupleIJNSA_16discard_iteratorISK_EESF_EEENSM_IJSG_SG_EEES6_PlJS6_EEE10hipError_tPvRmT3_T4_T5_T6_T7_T9_mT8_P12ihipStream_tbDpT10_ENKUlT_T0_E_clISt17integral_constantIbLb1EES1A_IbLb0EEEEDaS16_S17_EUlS16_E_NS1_11comp_targetILNS1_3genE10ELNS1_11target_archE1200ELNS1_3gpuE4ELNS1_3repE0EEENS1_30default_config_static_selectorELNS0_4arch9wavefront6targetE1EEEvT1_,"axG",@progbits,_ZN7rocprim17ROCPRIM_400000_NS6detail17trampoline_kernelINS0_14default_configENS1_25partition_config_selectorILNS1_17partition_subalgoE1EyNS0_10empty_typeEbEEZZNS1_14partition_implILS5_1ELb0ES3_jN6thrust23THRUST_200600_302600_NS6detail15normal_iteratorINSA_10device_ptrIyEEEEPS6_NSA_18transform_iteratorI7is_evenIyESF_NSA_11use_defaultESK_EENS0_5tupleIJNSA_16discard_iteratorISK_EESF_EEENSM_IJSG_SG_EEES6_PlJS6_EEE10hipError_tPvRmT3_T4_T5_T6_T7_T9_mT8_P12ihipStream_tbDpT10_ENKUlT_T0_E_clISt17integral_constantIbLb1EES1A_IbLb0EEEEDaS16_S17_EUlS16_E_NS1_11comp_targetILNS1_3genE10ELNS1_11target_archE1200ELNS1_3gpuE4ELNS1_3repE0EEENS1_30default_config_static_selectorELNS0_4arch9wavefront6targetE1EEEvT1_,comdat
	.protected	_ZN7rocprim17ROCPRIM_400000_NS6detail17trampoline_kernelINS0_14default_configENS1_25partition_config_selectorILNS1_17partition_subalgoE1EyNS0_10empty_typeEbEEZZNS1_14partition_implILS5_1ELb0ES3_jN6thrust23THRUST_200600_302600_NS6detail15normal_iteratorINSA_10device_ptrIyEEEEPS6_NSA_18transform_iteratorI7is_evenIyESF_NSA_11use_defaultESK_EENS0_5tupleIJNSA_16discard_iteratorISK_EESF_EEENSM_IJSG_SG_EEES6_PlJS6_EEE10hipError_tPvRmT3_T4_T5_T6_T7_T9_mT8_P12ihipStream_tbDpT10_ENKUlT_T0_E_clISt17integral_constantIbLb1EES1A_IbLb0EEEEDaS16_S17_EUlS16_E_NS1_11comp_targetILNS1_3genE10ELNS1_11target_archE1200ELNS1_3gpuE4ELNS1_3repE0EEENS1_30default_config_static_selectorELNS0_4arch9wavefront6targetE1EEEvT1_ ; -- Begin function _ZN7rocprim17ROCPRIM_400000_NS6detail17trampoline_kernelINS0_14default_configENS1_25partition_config_selectorILNS1_17partition_subalgoE1EyNS0_10empty_typeEbEEZZNS1_14partition_implILS5_1ELb0ES3_jN6thrust23THRUST_200600_302600_NS6detail15normal_iteratorINSA_10device_ptrIyEEEEPS6_NSA_18transform_iteratorI7is_evenIyESF_NSA_11use_defaultESK_EENS0_5tupleIJNSA_16discard_iteratorISK_EESF_EEENSM_IJSG_SG_EEES6_PlJS6_EEE10hipError_tPvRmT3_T4_T5_T6_T7_T9_mT8_P12ihipStream_tbDpT10_ENKUlT_T0_E_clISt17integral_constantIbLb1EES1A_IbLb0EEEEDaS16_S17_EUlS16_E_NS1_11comp_targetILNS1_3genE10ELNS1_11target_archE1200ELNS1_3gpuE4ELNS1_3repE0EEENS1_30default_config_static_selectorELNS0_4arch9wavefront6targetE1EEEvT1_
	.globl	_ZN7rocprim17ROCPRIM_400000_NS6detail17trampoline_kernelINS0_14default_configENS1_25partition_config_selectorILNS1_17partition_subalgoE1EyNS0_10empty_typeEbEEZZNS1_14partition_implILS5_1ELb0ES3_jN6thrust23THRUST_200600_302600_NS6detail15normal_iteratorINSA_10device_ptrIyEEEEPS6_NSA_18transform_iteratorI7is_evenIyESF_NSA_11use_defaultESK_EENS0_5tupleIJNSA_16discard_iteratorISK_EESF_EEENSM_IJSG_SG_EEES6_PlJS6_EEE10hipError_tPvRmT3_T4_T5_T6_T7_T9_mT8_P12ihipStream_tbDpT10_ENKUlT_T0_E_clISt17integral_constantIbLb1EES1A_IbLb0EEEEDaS16_S17_EUlS16_E_NS1_11comp_targetILNS1_3genE10ELNS1_11target_archE1200ELNS1_3gpuE4ELNS1_3repE0EEENS1_30default_config_static_selectorELNS0_4arch9wavefront6targetE1EEEvT1_
	.p2align	8
	.type	_ZN7rocprim17ROCPRIM_400000_NS6detail17trampoline_kernelINS0_14default_configENS1_25partition_config_selectorILNS1_17partition_subalgoE1EyNS0_10empty_typeEbEEZZNS1_14partition_implILS5_1ELb0ES3_jN6thrust23THRUST_200600_302600_NS6detail15normal_iteratorINSA_10device_ptrIyEEEEPS6_NSA_18transform_iteratorI7is_evenIyESF_NSA_11use_defaultESK_EENS0_5tupleIJNSA_16discard_iteratorISK_EESF_EEENSM_IJSG_SG_EEES6_PlJS6_EEE10hipError_tPvRmT3_T4_T5_T6_T7_T9_mT8_P12ihipStream_tbDpT10_ENKUlT_T0_E_clISt17integral_constantIbLb1EES1A_IbLb0EEEEDaS16_S17_EUlS16_E_NS1_11comp_targetILNS1_3genE10ELNS1_11target_archE1200ELNS1_3gpuE4ELNS1_3repE0EEENS1_30default_config_static_selectorELNS0_4arch9wavefront6targetE1EEEvT1_,@function
_ZN7rocprim17ROCPRIM_400000_NS6detail17trampoline_kernelINS0_14default_configENS1_25partition_config_selectorILNS1_17partition_subalgoE1EyNS0_10empty_typeEbEEZZNS1_14partition_implILS5_1ELb0ES3_jN6thrust23THRUST_200600_302600_NS6detail15normal_iteratorINSA_10device_ptrIyEEEEPS6_NSA_18transform_iteratorI7is_evenIyESF_NSA_11use_defaultESK_EENS0_5tupleIJNSA_16discard_iteratorISK_EESF_EEENSM_IJSG_SG_EEES6_PlJS6_EEE10hipError_tPvRmT3_T4_T5_T6_T7_T9_mT8_P12ihipStream_tbDpT10_ENKUlT_T0_E_clISt17integral_constantIbLb1EES1A_IbLb0EEEEDaS16_S17_EUlS16_E_NS1_11comp_targetILNS1_3genE10ELNS1_11target_archE1200ELNS1_3gpuE4ELNS1_3repE0EEENS1_30default_config_static_selectorELNS0_4arch9wavefront6targetE1EEEvT1_: ; @_ZN7rocprim17ROCPRIM_400000_NS6detail17trampoline_kernelINS0_14default_configENS1_25partition_config_selectorILNS1_17partition_subalgoE1EyNS0_10empty_typeEbEEZZNS1_14partition_implILS5_1ELb0ES3_jN6thrust23THRUST_200600_302600_NS6detail15normal_iteratorINSA_10device_ptrIyEEEEPS6_NSA_18transform_iteratorI7is_evenIyESF_NSA_11use_defaultESK_EENS0_5tupleIJNSA_16discard_iteratorISK_EESF_EEENSM_IJSG_SG_EEES6_PlJS6_EEE10hipError_tPvRmT3_T4_T5_T6_T7_T9_mT8_P12ihipStream_tbDpT10_ENKUlT_T0_E_clISt17integral_constantIbLb1EES1A_IbLb0EEEEDaS16_S17_EUlS16_E_NS1_11comp_targetILNS1_3genE10ELNS1_11target_archE1200ELNS1_3gpuE4ELNS1_3repE0EEENS1_30default_config_static_selectorELNS0_4arch9wavefront6targetE1EEEvT1_
; %bb.0:
	.section	.rodata,"a",@progbits
	.p2align	6, 0x0
	.amdhsa_kernel _ZN7rocprim17ROCPRIM_400000_NS6detail17trampoline_kernelINS0_14default_configENS1_25partition_config_selectorILNS1_17partition_subalgoE1EyNS0_10empty_typeEbEEZZNS1_14partition_implILS5_1ELb0ES3_jN6thrust23THRUST_200600_302600_NS6detail15normal_iteratorINSA_10device_ptrIyEEEEPS6_NSA_18transform_iteratorI7is_evenIyESF_NSA_11use_defaultESK_EENS0_5tupleIJNSA_16discard_iteratorISK_EESF_EEENSM_IJSG_SG_EEES6_PlJS6_EEE10hipError_tPvRmT3_T4_T5_T6_T7_T9_mT8_P12ihipStream_tbDpT10_ENKUlT_T0_E_clISt17integral_constantIbLb1EES1A_IbLb0EEEEDaS16_S17_EUlS16_E_NS1_11comp_targetILNS1_3genE10ELNS1_11target_archE1200ELNS1_3gpuE4ELNS1_3repE0EEENS1_30default_config_static_selectorELNS0_4arch9wavefront6targetE1EEEvT1_
		.amdhsa_group_segment_fixed_size 0
		.amdhsa_private_segment_fixed_size 0
		.amdhsa_kernarg_size 136
		.amdhsa_user_sgpr_count 6
		.amdhsa_user_sgpr_private_segment_buffer 1
		.amdhsa_user_sgpr_dispatch_ptr 0
		.amdhsa_user_sgpr_queue_ptr 0
		.amdhsa_user_sgpr_kernarg_segment_ptr 1
		.amdhsa_user_sgpr_dispatch_id 0
		.amdhsa_user_sgpr_flat_scratch_init 0
		.amdhsa_user_sgpr_kernarg_preload_length 0
		.amdhsa_user_sgpr_kernarg_preload_offset 0
		.amdhsa_user_sgpr_private_segment_size 0
		.amdhsa_uses_dynamic_stack 0
		.amdhsa_system_sgpr_private_segment_wavefront_offset 0
		.amdhsa_system_sgpr_workgroup_id_x 1
		.amdhsa_system_sgpr_workgroup_id_y 0
		.amdhsa_system_sgpr_workgroup_id_z 0
		.amdhsa_system_sgpr_workgroup_info 0
		.amdhsa_system_vgpr_workitem_id 0
		.amdhsa_next_free_vgpr 1
		.amdhsa_next_free_sgpr 0
		.amdhsa_accum_offset 4
		.amdhsa_reserve_vcc 0
		.amdhsa_reserve_flat_scratch 0
		.amdhsa_float_round_mode_32 0
		.amdhsa_float_round_mode_16_64 0
		.amdhsa_float_denorm_mode_32 3
		.amdhsa_float_denorm_mode_16_64 3
		.amdhsa_dx10_clamp 1
		.amdhsa_ieee_mode 1
		.amdhsa_fp16_overflow 0
		.amdhsa_tg_split 0
		.amdhsa_exception_fp_ieee_invalid_op 0
		.amdhsa_exception_fp_denorm_src 0
		.amdhsa_exception_fp_ieee_div_zero 0
		.amdhsa_exception_fp_ieee_overflow 0
		.amdhsa_exception_fp_ieee_underflow 0
		.amdhsa_exception_fp_ieee_inexact 0
		.amdhsa_exception_int_div_zero 0
	.end_amdhsa_kernel
	.section	.text._ZN7rocprim17ROCPRIM_400000_NS6detail17trampoline_kernelINS0_14default_configENS1_25partition_config_selectorILNS1_17partition_subalgoE1EyNS0_10empty_typeEbEEZZNS1_14partition_implILS5_1ELb0ES3_jN6thrust23THRUST_200600_302600_NS6detail15normal_iteratorINSA_10device_ptrIyEEEEPS6_NSA_18transform_iteratorI7is_evenIyESF_NSA_11use_defaultESK_EENS0_5tupleIJNSA_16discard_iteratorISK_EESF_EEENSM_IJSG_SG_EEES6_PlJS6_EEE10hipError_tPvRmT3_T4_T5_T6_T7_T9_mT8_P12ihipStream_tbDpT10_ENKUlT_T0_E_clISt17integral_constantIbLb1EES1A_IbLb0EEEEDaS16_S17_EUlS16_E_NS1_11comp_targetILNS1_3genE10ELNS1_11target_archE1200ELNS1_3gpuE4ELNS1_3repE0EEENS1_30default_config_static_selectorELNS0_4arch9wavefront6targetE1EEEvT1_,"axG",@progbits,_ZN7rocprim17ROCPRIM_400000_NS6detail17trampoline_kernelINS0_14default_configENS1_25partition_config_selectorILNS1_17partition_subalgoE1EyNS0_10empty_typeEbEEZZNS1_14partition_implILS5_1ELb0ES3_jN6thrust23THRUST_200600_302600_NS6detail15normal_iteratorINSA_10device_ptrIyEEEEPS6_NSA_18transform_iteratorI7is_evenIyESF_NSA_11use_defaultESK_EENS0_5tupleIJNSA_16discard_iteratorISK_EESF_EEENSM_IJSG_SG_EEES6_PlJS6_EEE10hipError_tPvRmT3_T4_T5_T6_T7_T9_mT8_P12ihipStream_tbDpT10_ENKUlT_T0_E_clISt17integral_constantIbLb1EES1A_IbLb0EEEEDaS16_S17_EUlS16_E_NS1_11comp_targetILNS1_3genE10ELNS1_11target_archE1200ELNS1_3gpuE4ELNS1_3repE0EEENS1_30default_config_static_selectorELNS0_4arch9wavefront6targetE1EEEvT1_,comdat
.Lfunc_end2960:
	.size	_ZN7rocprim17ROCPRIM_400000_NS6detail17trampoline_kernelINS0_14default_configENS1_25partition_config_selectorILNS1_17partition_subalgoE1EyNS0_10empty_typeEbEEZZNS1_14partition_implILS5_1ELb0ES3_jN6thrust23THRUST_200600_302600_NS6detail15normal_iteratorINSA_10device_ptrIyEEEEPS6_NSA_18transform_iteratorI7is_evenIyESF_NSA_11use_defaultESK_EENS0_5tupleIJNSA_16discard_iteratorISK_EESF_EEENSM_IJSG_SG_EEES6_PlJS6_EEE10hipError_tPvRmT3_T4_T5_T6_T7_T9_mT8_P12ihipStream_tbDpT10_ENKUlT_T0_E_clISt17integral_constantIbLb1EES1A_IbLb0EEEEDaS16_S17_EUlS16_E_NS1_11comp_targetILNS1_3genE10ELNS1_11target_archE1200ELNS1_3gpuE4ELNS1_3repE0EEENS1_30default_config_static_selectorELNS0_4arch9wavefront6targetE1EEEvT1_, .Lfunc_end2960-_ZN7rocprim17ROCPRIM_400000_NS6detail17trampoline_kernelINS0_14default_configENS1_25partition_config_selectorILNS1_17partition_subalgoE1EyNS0_10empty_typeEbEEZZNS1_14partition_implILS5_1ELb0ES3_jN6thrust23THRUST_200600_302600_NS6detail15normal_iteratorINSA_10device_ptrIyEEEEPS6_NSA_18transform_iteratorI7is_evenIyESF_NSA_11use_defaultESK_EENS0_5tupleIJNSA_16discard_iteratorISK_EESF_EEENSM_IJSG_SG_EEES6_PlJS6_EEE10hipError_tPvRmT3_T4_T5_T6_T7_T9_mT8_P12ihipStream_tbDpT10_ENKUlT_T0_E_clISt17integral_constantIbLb1EES1A_IbLb0EEEEDaS16_S17_EUlS16_E_NS1_11comp_targetILNS1_3genE10ELNS1_11target_archE1200ELNS1_3gpuE4ELNS1_3repE0EEENS1_30default_config_static_selectorELNS0_4arch9wavefront6targetE1EEEvT1_
                                        ; -- End function
	.section	.AMDGPU.csdata,"",@progbits
; Kernel info:
; codeLenInByte = 0
; NumSgprs: 4
; NumVgprs: 0
; NumAgprs: 0
; TotalNumVgprs: 0
; ScratchSize: 0
; MemoryBound: 0
; FloatMode: 240
; IeeeMode: 1
; LDSByteSize: 0 bytes/workgroup (compile time only)
; SGPRBlocks: 0
; VGPRBlocks: 0
; NumSGPRsForWavesPerEU: 4
; NumVGPRsForWavesPerEU: 1
; AccumOffset: 4
; Occupancy: 8
; WaveLimiterHint : 0
; COMPUTE_PGM_RSRC2:SCRATCH_EN: 0
; COMPUTE_PGM_RSRC2:USER_SGPR: 6
; COMPUTE_PGM_RSRC2:TRAP_HANDLER: 0
; COMPUTE_PGM_RSRC2:TGID_X_EN: 1
; COMPUTE_PGM_RSRC2:TGID_Y_EN: 0
; COMPUTE_PGM_RSRC2:TGID_Z_EN: 0
; COMPUTE_PGM_RSRC2:TIDIG_COMP_CNT: 0
; COMPUTE_PGM_RSRC3_GFX90A:ACCUM_OFFSET: 0
; COMPUTE_PGM_RSRC3_GFX90A:TG_SPLIT: 0
	.section	.text._ZN7rocprim17ROCPRIM_400000_NS6detail17trampoline_kernelINS0_14default_configENS1_25partition_config_selectorILNS1_17partition_subalgoE1EyNS0_10empty_typeEbEEZZNS1_14partition_implILS5_1ELb0ES3_jN6thrust23THRUST_200600_302600_NS6detail15normal_iteratorINSA_10device_ptrIyEEEEPS6_NSA_18transform_iteratorI7is_evenIyESF_NSA_11use_defaultESK_EENS0_5tupleIJNSA_16discard_iteratorISK_EESF_EEENSM_IJSG_SG_EEES6_PlJS6_EEE10hipError_tPvRmT3_T4_T5_T6_T7_T9_mT8_P12ihipStream_tbDpT10_ENKUlT_T0_E_clISt17integral_constantIbLb1EES1A_IbLb0EEEEDaS16_S17_EUlS16_E_NS1_11comp_targetILNS1_3genE9ELNS1_11target_archE1100ELNS1_3gpuE3ELNS1_3repE0EEENS1_30default_config_static_selectorELNS0_4arch9wavefront6targetE1EEEvT1_,"axG",@progbits,_ZN7rocprim17ROCPRIM_400000_NS6detail17trampoline_kernelINS0_14default_configENS1_25partition_config_selectorILNS1_17partition_subalgoE1EyNS0_10empty_typeEbEEZZNS1_14partition_implILS5_1ELb0ES3_jN6thrust23THRUST_200600_302600_NS6detail15normal_iteratorINSA_10device_ptrIyEEEEPS6_NSA_18transform_iteratorI7is_evenIyESF_NSA_11use_defaultESK_EENS0_5tupleIJNSA_16discard_iteratorISK_EESF_EEENSM_IJSG_SG_EEES6_PlJS6_EEE10hipError_tPvRmT3_T4_T5_T6_T7_T9_mT8_P12ihipStream_tbDpT10_ENKUlT_T0_E_clISt17integral_constantIbLb1EES1A_IbLb0EEEEDaS16_S17_EUlS16_E_NS1_11comp_targetILNS1_3genE9ELNS1_11target_archE1100ELNS1_3gpuE3ELNS1_3repE0EEENS1_30default_config_static_selectorELNS0_4arch9wavefront6targetE1EEEvT1_,comdat
	.protected	_ZN7rocprim17ROCPRIM_400000_NS6detail17trampoline_kernelINS0_14default_configENS1_25partition_config_selectorILNS1_17partition_subalgoE1EyNS0_10empty_typeEbEEZZNS1_14partition_implILS5_1ELb0ES3_jN6thrust23THRUST_200600_302600_NS6detail15normal_iteratorINSA_10device_ptrIyEEEEPS6_NSA_18transform_iteratorI7is_evenIyESF_NSA_11use_defaultESK_EENS0_5tupleIJNSA_16discard_iteratorISK_EESF_EEENSM_IJSG_SG_EEES6_PlJS6_EEE10hipError_tPvRmT3_T4_T5_T6_T7_T9_mT8_P12ihipStream_tbDpT10_ENKUlT_T0_E_clISt17integral_constantIbLb1EES1A_IbLb0EEEEDaS16_S17_EUlS16_E_NS1_11comp_targetILNS1_3genE9ELNS1_11target_archE1100ELNS1_3gpuE3ELNS1_3repE0EEENS1_30default_config_static_selectorELNS0_4arch9wavefront6targetE1EEEvT1_ ; -- Begin function _ZN7rocprim17ROCPRIM_400000_NS6detail17trampoline_kernelINS0_14default_configENS1_25partition_config_selectorILNS1_17partition_subalgoE1EyNS0_10empty_typeEbEEZZNS1_14partition_implILS5_1ELb0ES3_jN6thrust23THRUST_200600_302600_NS6detail15normal_iteratorINSA_10device_ptrIyEEEEPS6_NSA_18transform_iteratorI7is_evenIyESF_NSA_11use_defaultESK_EENS0_5tupleIJNSA_16discard_iteratorISK_EESF_EEENSM_IJSG_SG_EEES6_PlJS6_EEE10hipError_tPvRmT3_T4_T5_T6_T7_T9_mT8_P12ihipStream_tbDpT10_ENKUlT_T0_E_clISt17integral_constantIbLb1EES1A_IbLb0EEEEDaS16_S17_EUlS16_E_NS1_11comp_targetILNS1_3genE9ELNS1_11target_archE1100ELNS1_3gpuE3ELNS1_3repE0EEENS1_30default_config_static_selectorELNS0_4arch9wavefront6targetE1EEEvT1_
	.globl	_ZN7rocprim17ROCPRIM_400000_NS6detail17trampoline_kernelINS0_14default_configENS1_25partition_config_selectorILNS1_17partition_subalgoE1EyNS0_10empty_typeEbEEZZNS1_14partition_implILS5_1ELb0ES3_jN6thrust23THRUST_200600_302600_NS6detail15normal_iteratorINSA_10device_ptrIyEEEEPS6_NSA_18transform_iteratorI7is_evenIyESF_NSA_11use_defaultESK_EENS0_5tupleIJNSA_16discard_iteratorISK_EESF_EEENSM_IJSG_SG_EEES6_PlJS6_EEE10hipError_tPvRmT3_T4_T5_T6_T7_T9_mT8_P12ihipStream_tbDpT10_ENKUlT_T0_E_clISt17integral_constantIbLb1EES1A_IbLb0EEEEDaS16_S17_EUlS16_E_NS1_11comp_targetILNS1_3genE9ELNS1_11target_archE1100ELNS1_3gpuE3ELNS1_3repE0EEENS1_30default_config_static_selectorELNS0_4arch9wavefront6targetE1EEEvT1_
	.p2align	8
	.type	_ZN7rocprim17ROCPRIM_400000_NS6detail17trampoline_kernelINS0_14default_configENS1_25partition_config_selectorILNS1_17partition_subalgoE1EyNS0_10empty_typeEbEEZZNS1_14partition_implILS5_1ELb0ES3_jN6thrust23THRUST_200600_302600_NS6detail15normal_iteratorINSA_10device_ptrIyEEEEPS6_NSA_18transform_iteratorI7is_evenIyESF_NSA_11use_defaultESK_EENS0_5tupleIJNSA_16discard_iteratorISK_EESF_EEENSM_IJSG_SG_EEES6_PlJS6_EEE10hipError_tPvRmT3_T4_T5_T6_T7_T9_mT8_P12ihipStream_tbDpT10_ENKUlT_T0_E_clISt17integral_constantIbLb1EES1A_IbLb0EEEEDaS16_S17_EUlS16_E_NS1_11comp_targetILNS1_3genE9ELNS1_11target_archE1100ELNS1_3gpuE3ELNS1_3repE0EEENS1_30default_config_static_selectorELNS0_4arch9wavefront6targetE1EEEvT1_,@function
_ZN7rocprim17ROCPRIM_400000_NS6detail17trampoline_kernelINS0_14default_configENS1_25partition_config_selectorILNS1_17partition_subalgoE1EyNS0_10empty_typeEbEEZZNS1_14partition_implILS5_1ELb0ES3_jN6thrust23THRUST_200600_302600_NS6detail15normal_iteratorINSA_10device_ptrIyEEEEPS6_NSA_18transform_iteratorI7is_evenIyESF_NSA_11use_defaultESK_EENS0_5tupleIJNSA_16discard_iteratorISK_EESF_EEENSM_IJSG_SG_EEES6_PlJS6_EEE10hipError_tPvRmT3_T4_T5_T6_T7_T9_mT8_P12ihipStream_tbDpT10_ENKUlT_T0_E_clISt17integral_constantIbLb1EES1A_IbLb0EEEEDaS16_S17_EUlS16_E_NS1_11comp_targetILNS1_3genE9ELNS1_11target_archE1100ELNS1_3gpuE3ELNS1_3repE0EEENS1_30default_config_static_selectorELNS0_4arch9wavefront6targetE1EEEvT1_: ; @_ZN7rocprim17ROCPRIM_400000_NS6detail17trampoline_kernelINS0_14default_configENS1_25partition_config_selectorILNS1_17partition_subalgoE1EyNS0_10empty_typeEbEEZZNS1_14partition_implILS5_1ELb0ES3_jN6thrust23THRUST_200600_302600_NS6detail15normal_iteratorINSA_10device_ptrIyEEEEPS6_NSA_18transform_iteratorI7is_evenIyESF_NSA_11use_defaultESK_EENS0_5tupleIJNSA_16discard_iteratorISK_EESF_EEENSM_IJSG_SG_EEES6_PlJS6_EEE10hipError_tPvRmT3_T4_T5_T6_T7_T9_mT8_P12ihipStream_tbDpT10_ENKUlT_T0_E_clISt17integral_constantIbLb1EES1A_IbLb0EEEEDaS16_S17_EUlS16_E_NS1_11comp_targetILNS1_3genE9ELNS1_11target_archE1100ELNS1_3gpuE3ELNS1_3repE0EEENS1_30default_config_static_selectorELNS0_4arch9wavefront6targetE1EEEvT1_
; %bb.0:
	.section	.rodata,"a",@progbits
	.p2align	6, 0x0
	.amdhsa_kernel _ZN7rocprim17ROCPRIM_400000_NS6detail17trampoline_kernelINS0_14default_configENS1_25partition_config_selectorILNS1_17partition_subalgoE1EyNS0_10empty_typeEbEEZZNS1_14partition_implILS5_1ELb0ES3_jN6thrust23THRUST_200600_302600_NS6detail15normal_iteratorINSA_10device_ptrIyEEEEPS6_NSA_18transform_iteratorI7is_evenIyESF_NSA_11use_defaultESK_EENS0_5tupleIJNSA_16discard_iteratorISK_EESF_EEENSM_IJSG_SG_EEES6_PlJS6_EEE10hipError_tPvRmT3_T4_T5_T6_T7_T9_mT8_P12ihipStream_tbDpT10_ENKUlT_T0_E_clISt17integral_constantIbLb1EES1A_IbLb0EEEEDaS16_S17_EUlS16_E_NS1_11comp_targetILNS1_3genE9ELNS1_11target_archE1100ELNS1_3gpuE3ELNS1_3repE0EEENS1_30default_config_static_selectorELNS0_4arch9wavefront6targetE1EEEvT1_
		.amdhsa_group_segment_fixed_size 0
		.amdhsa_private_segment_fixed_size 0
		.amdhsa_kernarg_size 136
		.amdhsa_user_sgpr_count 6
		.amdhsa_user_sgpr_private_segment_buffer 1
		.amdhsa_user_sgpr_dispatch_ptr 0
		.amdhsa_user_sgpr_queue_ptr 0
		.amdhsa_user_sgpr_kernarg_segment_ptr 1
		.amdhsa_user_sgpr_dispatch_id 0
		.amdhsa_user_sgpr_flat_scratch_init 0
		.amdhsa_user_sgpr_kernarg_preload_length 0
		.amdhsa_user_sgpr_kernarg_preload_offset 0
		.amdhsa_user_sgpr_private_segment_size 0
		.amdhsa_uses_dynamic_stack 0
		.amdhsa_system_sgpr_private_segment_wavefront_offset 0
		.amdhsa_system_sgpr_workgroup_id_x 1
		.amdhsa_system_sgpr_workgroup_id_y 0
		.amdhsa_system_sgpr_workgroup_id_z 0
		.amdhsa_system_sgpr_workgroup_info 0
		.amdhsa_system_vgpr_workitem_id 0
		.amdhsa_next_free_vgpr 1
		.amdhsa_next_free_sgpr 0
		.amdhsa_accum_offset 4
		.amdhsa_reserve_vcc 0
		.amdhsa_reserve_flat_scratch 0
		.amdhsa_float_round_mode_32 0
		.amdhsa_float_round_mode_16_64 0
		.amdhsa_float_denorm_mode_32 3
		.amdhsa_float_denorm_mode_16_64 3
		.amdhsa_dx10_clamp 1
		.amdhsa_ieee_mode 1
		.amdhsa_fp16_overflow 0
		.amdhsa_tg_split 0
		.amdhsa_exception_fp_ieee_invalid_op 0
		.amdhsa_exception_fp_denorm_src 0
		.amdhsa_exception_fp_ieee_div_zero 0
		.amdhsa_exception_fp_ieee_overflow 0
		.amdhsa_exception_fp_ieee_underflow 0
		.amdhsa_exception_fp_ieee_inexact 0
		.amdhsa_exception_int_div_zero 0
	.end_amdhsa_kernel
	.section	.text._ZN7rocprim17ROCPRIM_400000_NS6detail17trampoline_kernelINS0_14default_configENS1_25partition_config_selectorILNS1_17partition_subalgoE1EyNS0_10empty_typeEbEEZZNS1_14partition_implILS5_1ELb0ES3_jN6thrust23THRUST_200600_302600_NS6detail15normal_iteratorINSA_10device_ptrIyEEEEPS6_NSA_18transform_iteratorI7is_evenIyESF_NSA_11use_defaultESK_EENS0_5tupleIJNSA_16discard_iteratorISK_EESF_EEENSM_IJSG_SG_EEES6_PlJS6_EEE10hipError_tPvRmT3_T4_T5_T6_T7_T9_mT8_P12ihipStream_tbDpT10_ENKUlT_T0_E_clISt17integral_constantIbLb1EES1A_IbLb0EEEEDaS16_S17_EUlS16_E_NS1_11comp_targetILNS1_3genE9ELNS1_11target_archE1100ELNS1_3gpuE3ELNS1_3repE0EEENS1_30default_config_static_selectorELNS0_4arch9wavefront6targetE1EEEvT1_,"axG",@progbits,_ZN7rocprim17ROCPRIM_400000_NS6detail17trampoline_kernelINS0_14default_configENS1_25partition_config_selectorILNS1_17partition_subalgoE1EyNS0_10empty_typeEbEEZZNS1_14partition_implILS5_1ELb0ES3_jN6thrust23THRUST_200600_302600_NS6detail15normal_iteratorINSA_10device_ptrIyEEEEPS6_NSA_18transform_iteratorI7is_evenIyESF_NSA_11use_defaultESK_EENS0_5tupleIJNSA_16discard_iteratorISK_EESF_EEENSM_IJSG_SG_EEES6_PlJS6_EEE10hipError_tPvRmT3_T4_T5_T6_T7_T9_mT8_P12ihipStream_tbDpT10_ENKUlT_T0_E_clISt17integral_constantIbLb1EES1A_IbLb0EEEEDaS16_S17_EUlS16_E_NS1_11comp_targetILNS1_3genE9ELNS1_11target_archE1100ELNS1_3gpuE3ELNS1_3repE0EEENS1_30default_config_static_selectorELNS0_4arch9wavefront6targetE1EEEvT1_,comdat
.Lfunc_end2961:
	.size	_ZN7rocprim17ROCPRIM_400000_NS6detail17trampoline_kernelINS0_14default_configENS1_25partition_config_selectorILNS1_17partition_subalgoE1EyNS0_10empty_typeEbEEZZNS1_14partition_implILS5_1ELb0ES3_jN6thrust23THRUST_200600_302600_NS6detail15normal_iteratorINSA_10device_ptrIyEEEEPS6_NSA_18transform_iteratorI7is_evenIyESF_NSA_11use_defaultESK_EENS0_5tupleIJNSA_16discard_iteratorISK_EESF_EEENSM_IJSG_SG_EEES6_PlJS6_EEE10hipError_tPvRmT3_T4_T5_T6_T7_T9_mT8_P12ihipStream_tbDpT10_ENKUlT_T0_E_clISt17integral_constantIbLb1EES1A_IbLb0EEEEDaS16_S17_EUlS16_E_NS1_11comp_targetILNS1_3genE9ELNS1_11target_archE1100ELNS1_3gpuE3ELNS1_3repE0EEENS1_30default_config_static_selectorELNS0_4arch9wavefront6targetE1EEEvT1_, .Lfunc_end2961-_ZN7rocprim17ROCPRIM_400000_NS6detail17trampoline_kernelINS0_14default_configENS1_25partition_config_selectorILNS1_17partition_subalgoE1EyNS0_10empty_typeEbEEZZNS1_14partition_implILS5_1ELb0ES3_jN6thrust23THRUST_200600_302600_NS6detail15normal_iteratorINSA_10device_ptrIyEEEEPS6_NSA_18transform_iteratorI7is_evenIyESF_NSA_11use_defaultESK_EENS0_5tupleIJNSA_16discard_iteratorISK_EESF_EEENSM_IJSG_SG_EEES6_PlJS6_EEE10hipError_tPvRmT3_T4_T5_T6_T7_T9_mT8_P12ihipStream_tbDpT10_ENKUlT_T0_E_clISt17integral_constantIbLb1EES1A_IbLb0EEEEDaS16_S17_EUlS16_E_NS1_11comp_targetILNS1_3genE9ELNS1_11target_archE1100ELNS1_3gpuE3ELNS1_3repE0EEENS1_30default_config_static_selectorELNS0_4arch9wavefront6targetE1EEEvT1_
                                        ; -- End function
	.section	.AMDGPU.csdata,"",@progbits
; Kernel info:
; codeLenInByte = 0
; NumSgprs: 4
; NumVgprs: 0
; NumAgprs: 0
; TotalNumVgprs: 0
; ScratchSize: 0
; MemoryBound: 0
; FloatMode: 240
; IeeeMode: 1
; LDSByteSize: 0 bytes/workgroup (compile time only)
; SGPRBlocks: 0
; VGPRBlocks: 0
; NumSGPRsForWavesPerEU: 4
; NumVGPRsForWavesPerEU: 1
; AccumOffset: 4
; Occupancy: 8
; WaveLimiterHint : 0
; COMPUTE_PGM_RSRC2:SCRATCH_EN: 0
; COMPUTE_PGM_RSRC2:USER_SGPR: 6
; COMPUTE_PGM_RSRC2:TRAP_HANDLER: 0
; COMPUTE_PGM_RSRC2:TGID_X_EN: 1
; COMPUTE_PGM_RSRC2:TGID_Y_EN: 0
; COMPUTE_PGM_RSRC2:TGID_Z_EN: 0
; COMPUTE_PGM_RSRC2:TIDIG_COMP_CNT: 0
; COMPUTE_PGM_RSRC3_GFX90A:ACCUM_OFFSET: 0
; COMPUTE_PGM_RSRC3_GFX90A:TG_SPLIT: 0
	.section	.text._ZN7rocprim17ROCPRIM_400000_NS6detail17trampoline_kernelINS0_14default_configENS1_25partition_config_selectorILNS1_17partition_subalgoE1EyNS0_10empty_typeEbEEZZNS1_14partition_implILS5_1ELb0ES3_jN6thrust23THRUST_200600_302600_NS6detail15normal_iteratorINSA_10device_ptrIyEEEEPS6_NSA_18transform_iteratorI7is_evenIyESF_NSA_11use_defaultESK_EENS0_5tupleIJNSA_16discard_iteratorISK_EESF_EEENSM_IJSG_SG_EEES6_PlJS6_EEE10hipError_tPvRmT3_T4_T5_T6_T7_T9_mT8_P12ihipStream_tbDpT10_ENKUlT_T0_E_clISt17integral_constantIbLb1EES1A_IbLb0EEEEDaS16_S17_EUlS16_E_NS1_11comp_targetILNS1_3genE8ELNS1_11target_archE1030ELNS1_3gpuE2ELNS1_3repE0EEENS1_30default_config_static_selectorELNS0_4arch9wavefront6targetE1EEEvT1_,"axG",@progbits,_ZN7rocprim17ROCPRIM_400000_NS6detail17trampoline_kernelINS0_14default_configENS1_25partition_config_selectorILNS1_17partition_subalgoE1EyNS0_10empty_typeEbEEZZNS1_14partition_implILS5_1ELb0ES3_jN6thrust23THRUST_200600_302600_NS6detail15normal_iteratorINSA_10device_ptrIyEEEEPS6_NSA_18transform_iteratorI7is_evenIyESF_NSA_11use_defaultESK_EENS0_5tupleIJNSA_16discard_iteratorISK_EESF_EEENSM_IJSG_SG_EEES6_PlJS6_EEE10hipError_tPvRmT3_T4_T5_T6_T7_T9_mT8_P12ihipStream_tbDpT10_ENKUlT_T0_E_clISt17integral_constantIbLb1EES1A_IbLb0EEEEDaS16_S17_EUlS16_E_NS1_11comp_targetILNS1_3genE8ELNS1_11target_archE1030ELNS1_3gpuE2ELNS1_3repE0EEENS1_30default_config_static_selectorELNS0_4arch9wavefront6targetE1EEEvT1_,comdat
	.protected	_ZN7rocprim17ROCPRIM_400000_NS6detail17trampoline_kernelINS0_14default_configENS1_25partition_config_selectorILNS1_17partition_subalgoE1EyNS0_10empty_typeEbEEZZNS1_14partition_implILS5_1ELb0ES3_jN6thrust23THRUST_200600_302600_NS6detail15normal_iteratorINSA_10device_ptrIyEEEEPS6_NSA_18transform_iteratorI7is_evenIyESF_NSA_11use_defaultESK_EENS0_5tupleIJNSA_16discard_iteratorISK_EESF_EEENSM_IJSG_SG_EEES6_PlJS6_EEE10hipError_tPvRmT3_T4_T5_T6_T7_T9_mT8_P12ihipStream_tbDpT10_ENKUlT_T0_E_clISt17integral_constantIbLb1EES1A_IbLb0EEEEDaS16_S17_EUlS16_E_NS1_11comp_targetILNS1_3genE8ELNS1_11target_archE1030ELNS1_3gpuE2ELNS1_3repE0EEENS1_30default_config_static_selectorELNS0_4arch9wavefront6targetE1EEEvT1_ ; -- Begin function _ZN7rocprim17ROCPRIM_400000_NS6detail17trampoline_kernelINS0_14default_configENS1_25partition_config_selectorILNS1_17partition_subalgoE1EyNS0_10empty_typeEbEEZZNS1_14partition_implILS5_1ELb0ES3_jN6thrust23THRUST_200600_302600_NS6detail15normal_iteratorINSA_10device_ptrIyEEEEPS6_NSA_18transform_iteratorI7is_evenIyESF_NSA_11use_defaultESK_EENS0_5tupleIJNSA_16discard_iteratorISK_EESF_EEENSM_IJSG_SG_EEES6_PlJS6_EEE10hipError_tPvRmT3_T4_T5_T6_T7_T9_mT8_P12ihipStream_tbDpT10_ENKUlT_T0_E_clISt17integral_constantIbLb1EES1A_IbLb0EEEEDaS16_S17_EUlS16_E_NS1_11comp_targetILNS1_3genE8ELNS1_11target_archE1030ELNS1_3gpuE2ELNS1_3repE0EEENS1_30default_config_static_selectorELNS0_4arch9wavefront6targetE1EEEvT1_
	.globl	_ZN7rocprim17ROCPRIM_400000_NS6detail17trampoline_kernelINS0_14default_configENS1_25partition_config_selectorILNS1_17partition_subalgoE1EyNS0_10empty_typeEbEEZZNS1_14partition_implILS5_1ELb0ES3_jN6thrust23THRUST_200600_302600_NS6detail15normal_iteratorINSA_10device_ptrIyEEEEPS6_NSA_18transform_iteratorI7is_evenIyESF_NSA_11use_defaultESK_EENS0_5tupleIJNSA_16discard_iteratorISK_EESF_EEENSM_IJSG_SG_EEES6_PlJS6_EEE10hipError_tPvRmT3_T4_T5_T6_T7_T9_mT8_P12ihipStream_tbDpT10_ENKUlT_T0_E_clISt17integral_constantIbLb1EES1A_IbLb0EEEEDaS16_S17_EUlS16_E_NS1_11comp_targetILNS1_3genE8ELNS1_11target_archE1030ELNS1_3gpuE2ELNS1_3repE0EEENS1_30default_config_static_selectorELNS0_4arch9wavefront6targetE1EEEvT1_
	.p2align	8
	.type	_ZN7rocprim17ROCPRIM_400000_NS6detail17trampoline_kernelINS0_14default_configENS1_25partition_config_selectorILNS1_17partition_subalgoE1EyNS0_10empty_typeEbEEZZNS1_14partition_implILS5_1ELb0ES3_jN6thrust23THRUST_200600_302600_NS6detail15normal_iteratorINSA_10device_ptrIyEEEEPS6_NSA_18transform_iteratorI7is_evenIyESF_NSA_11use_defaultESK_EENS0_5tupleIJNSA_16discard_iteratorISK_EESF_EEENSM_IJSG_SG_EEES6_PlJS6_EEE10hipError_tPvRmT3_T4_T5_T6_T7_T9_mT8_P12ihipStream_tbDpT10_ENKUlT_T0_E_clISt17integral_constantIbLb1EES1A_IbLb0EEEEDaS16_S17_EUlS16_E_NS1_11comp_targetILNS1_3genE8ELNS1_11target_archE1030ELNS1_3gpuE2ELNS1_3repE0EEENS1_30default_config_static_selectorELNS0_4arch9wavefront6targetE1EEEvT1_,@function
_ZN7rocprim17ROCPRIM_400000_NS6detail17trampoline_kernelINS0_14default_configENS1_25partition_config_selectorILNS1_17partition_subalgoE1EyNS0_10empty_typeEbEEZZNS1_14partition_implILS5_1ELb0ES3_jN6thrust23THRUST_200600_302600_NS6detail15normal_iteratorINSA_10device_ptrIyEEEEPS6_NSA_18transform_iteratorI7is_evenIyESF_NSA_11use_defaultESK_EENS0_5tupleIJNSA_16discard_iteratorISK_EESF_EEENSM_IJSG_SG_EEES6_PlJS6_EEE10hipError_tPvRmT3_T4_T5_T6_T7_T9_mT8_P12ihipStream_tbDpT10_ENKUlT_T0_E_clISt17integral_constantIbLb1EES1A_IbLb0EEEEDaS16_S17_EUlS16_E_NS1_11comp_targetILNS1_3genE8ELNS1_11target_archE1030ELNS1_3gpuE2ELNS1_3repE0EEENS1_30default_config_static_selectorELNS0_4arch9wavefront6targetE1EEEvT1_: ; @_ZN7rocprim17ROCPRIM_400000_NS6detail17trampoline_kernelINS0_14default_configENS1_25partition_config_selectorILNS1_17partition_subalgoE1EyNS0_10empty_typeEbEEZZNS1_14partition_implILS5_1ELb0ES3_jN6thrust23THRUST_200600_302600_NS6detail15normal_iteratorINSA_10device_ptrIyEEEEPS6_NSA_18transform_iteratorI7is_evenIyESF_NSA_11use_defaultESK_EENS0_5tupleIJNSA_16discard_iteratorISK_EESF_EEENSM_IJSG_SG_EEES6_PlJS6_EEE10hipError_tPvRmT3_T4_T5_T6_T7_T9_mT8_P12ihipStream_tbDpT10_ENKUlT_T0_E_clISt17integral_constantIbLb1EES1A_IbLb0EEEEDaS16_S17_EUlS16_E_NS1_11comp_targetILNS1_3genE8ELNS1_11target_archE1030ELNS1_3gpuE2ELNS1_3repE0EEENS1_30default_config_static_selectorELNS0_4arch9wavefront6targetE1EEEvT1_
; %bb.0:
	.section	.rodata,"a",@progbits
	.p2align	6, 0x0
	.amdhsa_kernel _ZN7rocprim17ROCPRIM_400000_NS6detail17trampoline_kernelINS0_14default_configENS1_25partition_config_selectorILNS1_17partition_subalgoE1EyNS0_10empty_typeEbEEZZNS1_14partition_implILS5_1ELb0ES3_jN6thrust23THRUST_200600_302600_NS6detail15normal_iteratorINSA_10device_ptrIyEEEEPS6_NSA_18transform_iteratorI7is_evenIyESF_NSA_11use_defaultESK_EENS0_5tupleIJNSA_16discard_iteratorISK_EESF_EEENSM_IJSG_SG_EEES6_PlJS6_EEE10hipError_tPvRmT3_T4_T5_T6_T7_T9_mT8_P12ihipStream_tbDpT10_ENKUlT_T0_E_clISt17integral_constantIbLb1EES1A_IbLb0EEEEDaS16_S17_EUlS16_E_NS1_11comp_targetILNS1_3genE8ELNS1_11target_archE1030ELNS1_3gpuE2ELNS1_3repE0EEENS1_30default_config_static_selectorELNS0_4arch9wavefront6targetE1EEEvT1_
		.amdhsa_group_segment_fixed_size 0
		.amdhsa_private_segment_fixed_size 0
		.amdhsa_kernarg_size 136
		.amdhsa_user_sgpr_count 6
		.amdhsa_user_sgpr_private_segment_buffer 1
		.amdhsa_user_sgpr_dispatch_ptr 0
		.amdhsa_user_sgpr_queue_ptr 0
		.amdhsa_user_sgpr_kernarg_segment_ptr 1
		.amdhsa_user_sgpr_dispatch_id 0
		.amdhsa_user_sgpr_flat_scratch_init 0
		.amdhsa_user_sgpr_kernarg_preload_length 0
		.amdhsa_user_sgpr_kernarg_preload_offset 0
		.amdhsa_user_sgpr_private_segment_size 0
		.amdhsa_uses_dynamic_stack 0
		.amdhsa_system_sgpr_private_segment_wavefront_offset 0
		.amdhsa_system_sgpr_workgroup_id_x 1
		.amdhsa_system_sgpr_workgroup_id_y 0
		.amdhsa_system_sgpr_workgroup_id_z 0
		.amdhsa_system_sgpr_workgroup_info 0
		.amdhsa_system_vgpr_workitem_id 0
		.amdhsa_next_free_vgpr 1
		.amdhsa_next_free_sgpr 0
		.amdhsa_accum_offset 4
		.amdhsa_reserve_vcc 0
		.amdhsa_reserve_flat_scratch 0
		.amdhsa_float_round_mode_32 0
		.amdhsa_float_round_mode_16_64 0
		.amdhsa_float_denorm_mode_32 3
		.amdhsa_float_denorm_mode_16_64 3
		.amdhsa_dx10_clamp 1
		.amdhsa_ieee_mode 1
		.amdhsa_fp16_overflow 0
		.amdhsa_tg_split 0
		.amdhsa_exception_fp_ieee_invalid_op 0
		.amdhsa_exception_fp_denorm_src 0
		.amdhsa_exception_fp_ieee_div_zero 0
		.amdhsa_exception_fp_ieee_overflow 0
		.amdhsa_exception_fp_ieee_underflow 0
		.amdhsa_exception_fp_ieee_inexact 0
		.amdhsa_exception_int_div_zero 0
	.end_amdhsa_kernel
	.section	.text._ZN7rocprim17ROCPRIM_400000_NS6detail17trampoline_kernelINS0_14default_configENS1_25partition_config_selectorILNS1_17partition_subalgoE1EyNS0_10empty_typeEbEEZZNS1_14partition_implILS5_1ELb0ES3_jN6thrust23THRUST_200600_302600_NS6detail15normal_iteratorINSA_10device_ptrIyEEEEPS6_NSA_18transform_iteratorI7is_evenIyESF_NSA_11use_defaultESK_EENS0_5tupleIJNSA_16discard_iteratorISK_EESF_EEENSM_IJSG_SG_EEES6_PlJS6_EEE10hipError_tPvRmT3_T4_T5_T6_T7_T9_mT8_P12ihipStream_tbDpT10_ENKUlT_T0_E_clISt17integral_constantIbLb1EES1A_IbLb0EEEEDaS16_S17_EUlS16_E_NS1_11comp_targetILNS1_3genE8ELNS1_11target_archE1030ELNS1_3gpuE2ELNS1_3repE0EEENS1_30default_config_static_selectorELNS0_4arch9wavefront6targetE1EEEvT1_,"axG",@progbits,_ZN7rocprim17ROCPRIM_400000_NS6detail17trampoline_kernelINS0_14default_configENS1_25partition_config_selectorILNS1_17partition_subalgoE1EyNS0_10empty_typeEbEEZZNS1_14partition_implILS5_1ELb0ES3_jN6thrust23THRUST_200600_302600_NS6detail15normal_iteratorINSA_10device_ptrIyEEEEPS6_NSA_18transform_iteratorI7is_evenIyESF_NSA_11use_defaultESK_EENS0_5tupleIJNSA_16discard_iteratorISK_EESF_EEENSM_IJSG_SG_EEES6_PlJS6_EEE10hipError_tPvRmT3_T4_T5_T6_T7_T9_mT8_P12ihipStream_tbDpT10_ENKUlT_T0_E_clISt17integral_constantIbLb1EES1A_IbLb0EEEEDaS16_S17_EUlS16_E_NS1_11comp_targetILNS1_3genE8ELNS1_11target_archE1030ELNS1_3gpuE2ELNS1_3repE0EEENS1_30default_config_static_selectorELNS0_4arch9wavefront6targetE1EEEvT1_,comdat
.Lfunc_end2962:
	.size	_ZN7rocprim17ROCPRIM_400000_NS6detail17trampoline_kernelINS0_14default_configENS1_25partition_config_selectorILNS1_17partition_subalgoE1EyNS0_10empty_typeEbEEZZNS1_14partition_implILS5_1ELb0ES3_jN6thrust23THRUST_200600_302600_NS6detail15normal_iteratorINSA_10device_ptrIyEEEEPS6_NSA_18transform_iteratorI7is_evenIyESF_NSA_11use_defaultESK_EENS0_5tupleIJNSA_16discard_iteratorISK_EESF_EEENSM_IJSG_SG_EEES6_PlJS6_EEE10hipError_tPvRmT3_T4_T5_T6_T7_T9_mT8_P12ihipStream_tbDpT10_ENKUlT_T0_E_clISt17integral_constantIbLb1EES1A_IbLb0EEEEDaS16_S17_EUlS16_E_NS1_11comp_targetILNS1_3genE8ELNS1_11target_archE1030ELNS1_3gpuE2ELNS1_3repE0EEENS1_30default_config_static_selectorELNS0_4arch9wavefront6targetE1EEEvT1_, .Lfunc_end2962-_ZN7rocprim17ROCPRIM_400000_NS6detail17trampoline_kernelINS0_14default_configENS1_25partition_config_selectorILNS1_17partition_subalgoE1EyNS0_10empty_typeEbEEZZNS1_14partition_implILS5_1ELb0ES3_jN6thrust23THRUST_200600_302600_NS6detail15normal_iteratorINSA_10device_ptrIyEEEEPS6_NSA_18transform_iteratorI7is_evenIyESF_NSA_11use_defaultESK_EENS0_5tupleIJNSA_16discard_iteratorISK_EESF_EEENSM_IJSG_SG_EEES6_PlJS6_EEE10hipError_tPvRmT3_T4_T5_T6_T7_T9_mT8_P12ihipStream_tbDpT10_ENKUlT_T0_E_clISt17integral_constantIbLb1EES1A_IbLb0EEEEDaS16_S17_EUlS16_E_NS1_11comp_targetILNS1_3genE8ELNS1_11target_archE1030ELNS1_3gpuE2ELNS1_3repE0EEENS1_30default_config_static_selectorELNS0_4arch9wavefront6targetE1EEEvT1_
                                        ; -- End function
	.section	.AMDGPU.csdata,"",@progbits
; Kernel info:
; codeLenInByte = 0
; NumSgprs: 4
; NumVgprs: 0
; NumAgprs: 0
; TotalNumVgprs: 0
; ScratchSize: 0
; MemoryBound: 0
; FloatMode: 240
; IeeeMode: 1
; LDSByteSize: 0 bytes/workgroup (compile time only)
; SGPRBlocks: 0
; VGPRBlocks: 0
; NumSGPRsForWavesPerEU: 4
; NumVGPRsForWavesPerEU: 1
; AccumOffset: 4
; Occupancy: 8
; WaveLimiterHint : 0
; COMPUTE_PGM_RSRC2:SCRATCH_EN: 0
; COMPUTE_PGM_RSRC2:USER_SGPR: 6
; COMPUTE_PGM_RSRC2:TRAP_HANDLER: 0
; COMPUTE_PGM_RSRC2:TGID_X_EN: 1
; COMPUTE_PGM_RSRC2:TGID_Y_EN: 0
; COMPUTE_PGM_RSRC2:TGID_Z_EN: 0
; COMPUTE_PGM_RSRC2:TIDIG_COMP_CNT: 0
; COMPUTE_PGM_RSRC3_GFX90A:ACCUM_OFFSET: 0
; COMPUTE_PGM_RSRC3_GFX90A:TG_SPLIT: 0
	.section	.text._ZN7rocprim17ROCPRIM_400000_NS6detail17trampoline_kernelINS0_14default_configENS1_25partition_config_selectorILNS1_17partition_subalgoE1EyNS0_10empty_typeEbEEZZNS1_14partition_implILS5_1ELb0ES3_jN6thrust23THRUST_200600_302600_NS6detail15normal_iteratorINSA_10device_ptrIyEEEEPS6_NSA_18transform_iteratorI7is_evenIyESF_NSA_11use_defaultESK_EENS0_5tupleIJNSA_16discard_iteratorISK_EESF_EEENSM_IJSG_SG_EEES6_PlJS6_EEE10hipError_tPvRmT3_T4_T5_T6_T7_T9_mT8_P12ihipStream_tbDpT10_ENKUlT_T0_E_clISt17integral_constantIbLb0EES1A_IbLb1EEEEDaS16_S17_EUlS16_E_NS1_11comp_targetILNS1_3genE0ELNS1_11target_archE4294967295ELNS1_3gpuE0ELNS1_3repE0EEENS1_30default_config_static_selectorELNS0_4arch9wavefront6targetE1EEEvT1_,"axG",@progbits,_ZN7rocprim17ROCPRIM_400000_NS6detail17trampoline_kernelINS0_14default_configENS1_25partition_config_selectorILNS1_17partition_subalgoE1EyNS0_10empty_typeEbEEZZNS1_14partition_implILS5_1ELb0ES3_jN6thrust23THRUST_200600_302600_NS6detail15normal_iteratorINSA_10device_ptrIyEEEEPS6_NSA_18transform_iteratorI7is_evenIyESF_NSA_11use_defaultESK_EENS0_5tupleIJNSA_16discard_iteratorISK_EESF_EEENSM_IJSG_SG_EEES6_PlJS6_EEE10hipError_tPvRmT3_T4_T5_T6_T7_T9_mT8_P12ihipStream_tbDpT10_ENKUlT_T0_E_clISt17integral_constantIbLb0EES1A_IbLb1EEEEDaS16_S17_EUlS16_E_NS1_11comp_targetILNS1_3genE0ELNS1_11target_archE4294967295ELNS1_3gpuE0ELNS1_3repE0EEENS1_30default_config_static_selectorELNS0_4arch9wavefront6targetE1EEEvT1_,comdat
	.protected	_ZN7rocprim17ROCPRIM_400000_NS6detail17trampoline_kernelINS0_14default_configENS1_25partition_config_selectorILNS1_17partition_subalgoE1EyNS0_10empty_typeEbEEZZNS1_14partition_implILS5_1ELb0ES3_jN6thrust23THRUST_200600_302600_NS6detail15normal_iteratorINSA_10device_ptrIyEEEEPS6_NSA_18transform_iteratorI7is_evenIyESF_NSA_11use_defaultESK_EENS0_5tupleIJNSA_16discard_iteratorISK_EESF_EEENSM_IJSG_SG_EEES6_PlJS6_EEE10hipError_tPvRmT3_T4_T5_T6_T7_T9_mT8_P12ihipStream_tbDpT10_ENKUlT_T0_E_clISt17integral_constantIbLb0EES1A_IbLb1EEEEDaS16_S17_EUlS16_E_NS1_11comp_targetILNS1_3genE0ELNS1_11target_archE4294967295ELNS1_3gpuE0ELNS1_3repE0EEENS1_30default_config_static_selectorELNS0_4arch9wavefront6targetE1EEEvT1_ ; -- Begin function _ZN7rocprim17ROCPRIM_400000_NS6detail17trampoline_kernelINS0_14default_configENS1_25partition_config_selectorILNS1_17partition_subalgoE1EyNS0_10empty_typeEbEEZZNS1_14partition_implILS5_1ELb0ES3_jN6thrust23THRUST_200600_302600_NS6detail15normal_iteratorINSA_10device_ptrIyEEEEPS6_NSA_18transform_iteratorI7is_evenIyESF_NSA_11use_defaultESK_EENS0_5tupleIJNSA_16discard_iteratorISK_EESF_EEENSM_IJSG_SG_EEES6_PlJS6_EEE10hipError_tPvRmT3_T4_T5_T6_T7_T9_mT8_P12ihipStream_tbDpT10_ENKUlT_T0_E_clISt17integral_constantIbLb0EES1A_IbLb1EEEEDaS16_S17_EUlS16_E_NS1_11comp_targetILNS1_3genE0ELNS1_11target_archE4294967295ELNS1_3gpuE0ELNS1_3repE0EEENS1_30default_config_static_selectorELNS0_4arch9wavefront6targetE1EEEvT1_
	.globl	_ZN7rocprim17ROCPRIM_400000_NS6detail17trampoline_kernelINS0_14default_configENS1_25partition_config_selectorILNS1_17partition_subalgoE1EyNS0_10empty_typeEbEEZZNS1_14partition_implILS5_1ELb0ES3_jN6thrust23THRUST_200600_302600_NS6detail15normal_iteratorINSA_10device_ptrIyEEEEPS6_NSA_18transform_iteratorI7is_evenIyESF_NSA_11use_defaultESK_EENS0_5tupleIJNSA_16discard_iteratorISK_EESF_EEENSM_IJSG_SG_EEES6_PlJS6_EEE10hipError_tPvRmT3_T4_T5_T6_T7_T9_mT8_P12ihipStream_tbDpT10_ENKUlT_T0_E_clISt17integral_constantIbLb0EES1A_IbLb1EEEEDaS16_S17_EUlS16_E_NS1_11comp_targetILNS1_3genE0ELNS1_11target_archE4294967295ELNS1_3gpuE0ELNS1_3repE0EEENS1_30default_config_static_selectorELNS0_4arch9wavefront6targetE1EEEvT1_
	.p2align	8
	.type	_ZN7rocprim17ROCPRIM_400000_NS6detail17trampoline_kernelINS0_14default_configENS1_25partition_config_selectorILNS1_17partition_subalgoE1EyNS0_10empty_typeEbEEZZNS1_14partition_implILS5_1ELb0ES3_jN6thrust23THRUST_200600_302600_NS6detail15normal_iteratorINSA_10device_ptrIyEEEEPS6_NSA_18transform_iteratorI7is_evenIyESF_NSA_11use_defaultESK_EENS0_5tupleIJNSA_16discard_iteratorISK_EESF_EEENSM_IJSG_SG_EEES6_PlJS6_EEE10hipError_tPvRmT3_T4_T5_T6_T7_T9_mT8_P12ihipStream_tbDpT10_ENKUlT_T0_E_clISt17integral_constantIbLb0EES1A_IbLb1EEEEDaS16_S17_EUlS16_E_NS1_11comp_targetILNS1_3genE0ELNS1_11target_archE4294967295ELNS1_3gpuE0ELNS1_3repE0EEENS1_30default_config_static_selectorELNS0_4arch9wavefront6targetE1EEEvT1_,@function
_ZN7rocprim17ROCPRIM_400000_NS6detail17trampoline_kernelINS0_14default_configENS1_25partition_config_selectorILNS1_17partition_subalgoE1EyNS0_10empty_typeEbEEZZNS1_14partition_implILS5_1ELb0ES3_jN6thrust23THRUST_200600_302600_NS6detail15normal_iteratorINSA_10device_ptrIyEEEEPS6_NSA_18transform_iteratorI7is_evenIyESF_NSA_11use_defaultESK_EENS0_5tupleIJNSA_16discard_iteratorISK_EESF_EEENSM_IJSG_SG_EEES6_PlJS6_EEE10hipError_tPvRmT3_T4_T5_T6_T7_T9_mT8_P12ihipStream_tbDpT10_ENKUlT_T0_E_clISt17integral_constantIbLb0EES1A_IbLb1EEEEDaS16_S17_EUlS16_E_NS1_11comp_targetILNS1_3genE0ELNS1_11target_archE4294967295ELNS1_3gpuE0ELNS1_3repE0EEENS1_30default_config_static_selectorELNS0_4arch9wavefront6targetE1EEEvT1_: ; @_ZN7rocprim17ROCPRIM_400000_NS6detail17trampoline_kernelINS0_14default_configENS1_25partition_config_selectorILNS1_17partition_subalgoE1EyNS0_10empty_typeEbEEZZNS1_14partition_implILS5_1ELb0ES3_jN6thrust23THRUST_200600_302600_NS6detail15normal_iteratorINSA_10device_ptrIyEEEEPS6_NSA_18transform_iteratorI7is_evenIyESF_NSA_11use_defaultESK_EENS0_5tupleIJNSA_16discard_iteratorISK_EESF_EEENSM_IJSG_SG_EEES6_PlJS6_EEE10hipError_tPvRmT3_T4_T5_T6_T7_T9_mT8_P12ihipStream_tbDpT10_ENKUlT_T0_E_clISt17integral_constantIbLb0EES1A_IbLb1EEEEDaS16_S17_EUlS16_E_NS1_11comp_targetILNS1_3genE0ELNS1_11target_archE4294967295ELNS1_3gpuE0ELNS1_3repE0EEENS1_30default_config_static_selectorELNS0_4arch9wavefront6targetE1EEEvT1_
; %bb.0:
	.section	.rodata,"a",@progbits
	.p2align	6, 0x0
	.amdhsa_kernel _ZN7rocprim17ROCPRIM_400000_NS6detail17trampoline_kernelINS0_14default_configENS1_25partition_config_selectorILNS1_17partition_subalgoE1EyNS0_10empty_typeEbEEZZNS1_14partition_implILS5_1ELb0ES3_jN6thrust23THRUST_200600_302600_NS6detail15normal_iteratorINSA_10device_ptrIyEEEEPS6_NSA_18transform_iteratorI7is_evenIyESF_NSA_11use_defaultESK_EENS0_5tupleIJNSA_16discard_iteratorISK_EESF_EEENSM_IJSG_SG_EEES6_PlJS6_EEE10hipError_tPvRmT3_T4_T5_T6_T7_T9_mT8_P12ihipStream_tbDpT10_ENKUlT_T0_E_clISt17integral_constantIbLb0EES1A_IbLb1EEEEDaS16_S17_EUlS16_E_NS1_11comp_targetILNS1_3genE0ELNS1_11target_archE4294967295ELNS1_3gpuE0ELNS1_3repE0EEENS1_30default_config_static_selectorELNS0_4arch9wavefront6targetE1EEEvT1_
		.amdhsa_group_segment_fixed_size 0
		.amdhsa_private_segment_fixed_size 0
		.amdhsa_kernarg_size 152
		.amdhsa_user_sgpr_count 6
		.amdhsa_user_sgpr_private_segment_buffer 1
		.amdhsa_user_sgpr_dispatch_ptr 0
		.amdhsa_user_sgpr_queue_ptr 0
		.amdhsa_user_sgpr_kernarg_segment_ptr 1
		.amdhsa_user_sgpr_dispatch_id 0
		.amdhsa_user_sgpr_flat_scratch_init 0
		.amdhsa_user_sgpr_kernarg_preload_length 0
		.amdhsa_user_sgpr_kernarg_preload_offset 0
		.amdhsa_user_sgpr_private_segment_size 0
		.amdhsa_uses_dynamic_stack 0
		.amdhsa_system_sgpr_private_segment_wavefront_offset 0
		.amdhsa_system_sgpr_workgroup_id_x 1
		.amdhsa_system_sgpr_workgroup_id_y 0
		.amdhsa_system_sgpr_workgroup_id_z 0
		.amdhsa_system_sgpr_workgroup_info 0
		.amdhsa_system_vgpr_workitem_id 0
		.amdhsa_next_free_vgpr 1
		.amdhsa_next_free_sgpr 0
		.amdhsa_accum_offset 4
		.amdhsa_reserve_vcc 0
		.amdhsa_reserve_flat_scratch 0
		.amdhsa_float_round_mode_32 0
		.amdhsa_float_round_mode_16_64 0
		.amdhsa_float_denorm_mode_32 3
		.amdhsa_float_denorm_mode_16_64 3
		.amdhsa_dx10_clamp 1
		.amdhsa_ieee_mode 1
		.amdhsa_fp16_overflow 0
		.amdhsa_tg_split 0
		.amdhsa_exception_fp_ieee_invalid_op 0
		.amdhsa_exception_fp_denorm_src 0
		.amdhsa_exception_fp_ieee_div_zero 0
		.amdhsa_exception_fp_ieee_overflow 0
		.amdhsa_exception_fp_ieee_underflow 0
		.amdhsa_exception_fp_ieee_inexact 0
		.amdhsa_exception_int_div_zero 0
	.end_amdhsa_kernel
	.section	.text._ZN7rocprim17ROCPRIM_400000_NS6detail17trampoline_kernelINS0_14default_configENS1_25partition_config_selectorILNS1_17partition_subalgoE1EyNS0_10empty_typeEbEEZZNS1_14partition_implILS5_1ELb0ES3_jN6thrust23THRUST_200600_302600_NS6detail15normal_iteratorINSA_10device_ptrIyEEEEPS6_NSA_18transform_iteratorI7is_evenIyESF_NSA_11use_defaultESK_EENS0_5tupleIJNSA_16discard_iteratorISK_EESF_EEENSM_IJSG_SG_EEES6_PlJS6_EEE10hipError_tPvRmT3_T4_T5_T6_T7_T9_mT8_P12ihipStream_tbDpT10_ENKUlT_T0_E_clISt17integral_constantIbLb0EES1A_IbLb1EEEEDaS16_S17_EUlS16_E_NS1_11comp_targetILNS1_3genE0ELNS1_11target_archE4294967295ELNS1_3gpuE0ELNS1_3repE0EEENS1_30default_config_static_selectorELNS0_4arch9wavefront6targetE1EEEvT1_,"axG",@progbits,_ZN7rocprim17ROCPRIM_400000_NS6detail17trampoline_kernelINS0_14default_configENS1_25partition_config_selectorILNS1_17partition_subalgoE1EyNS0_10empty_typeEbEEZZNS1_14partition_implILS5_1ELb0ES3_jN6thrust23THRUST_200600_302600_NS6detail15normal_iteratorINSA_10device_ptrIyEEEEPS6_NSA_18transform_iteratorI7is_evenIyESF_NSA_11use_defaultESK_EENS0_5tupleIJNSA_16discard_iteratorISK_EESF_EEENSM_IJSG_SG_EEES6_PlJS6_EEE10hipError_tPvRmT3_T4_T5_T6_T7_T9_mT8_P12ihipStream_tbDpT10_ENKUlT_T0_E_clISt17integral_constantIbLb0EES1A_IbLb1EEEEDaS16_S17_EUlS16_E_NS1_11comp_targetILNS1_3genE0ELNS1_11target_archE4294967295ELNS1_3gpuE0ELNS1_3repE0EEENS1_30default_config_static_selectorELNS0_4arch9wavefront6targetE1EEEvT1_,comdat
.Lfunc_end2963:
	.size	_ZN7rocprim17ROCPRIM_400000_NS6detail17trampoline_kernelINS0_14default_configENS1_25partition_config_selectorILNS1_17partition_subalgoE1EyNS0_10empty_typeEbEEZZNS1_14partition_implILS5_1ELb0ES3_jN6thrust23THRUST_200600_302600_NS6detail15normal_iteratorINSA_10device_ptrIyEEEEPS6_NSA_18transform_iteratorI7is_evenIyESF_NSA_11use_defaultESK_EENS0_5tupleIJNSA_16discard_iteratorISK_EESF_EEENSM_IJSG_SG_EEES6_PlJS6_EEE10hipError_tPvRmT3_T4_T5_T6_T7_T9_mT8_P12ihipStream_tbDpT10_ENKUlT_T0_E_clISt17integral_constantIbLb0EES1A_IbLb1EEEEDaS16_S17_EUlS16_E_NS1_11comp_targetILNS1_3genE0ELNS1_11target_archE4294967295ELNS1_3gpuE0ELNS1_3repE0EEENS1_30default_config_static_selectorELNS0_4arch9wavefront6targetE1EEEvT1_, .Lfunc_end2963-_ZN7rocprim17ROCPRIM_400000_NS6detail17trampoline_kernelINS0_14default_configENS1_25partition_config_selectorILNS1_17partition_subalgoE1EyNS0_10empty_typeEbEEZZNS1_14partition_implILS5_1ELb0ES3_jN6thrust23THRUST_200600_302600_NS6detail15normal_iteratorINSA_10device_ptrIyEEEEPS6_NSA_18transform_iteratorI7is_evenIyESF_NSA_11use_defaultESK_EENS0_5tupleIJNSA_16discard_iteratorISK_EESF_EEENSM_IJSG_SG_EEES6_PlJS6_EEE10hipError_tPvRmT3_T4_T5_T6_T7_T9_mT8_P12ihipStream_tbDpT10_ENKUlT_T0_E_clISt17integral_constantIbLb0EES1A_IbLb1EEEEDaS16_S17_EUlS16_E_NS1_11comp_targetILNS1_3genE0ELNS1_11target_archE4294967295ELNS1_3gpuE0ELNS1_3repE0EEENS1_30default_config_static_selectorELNS0_4arch9wavefront6targetE1EEEvT1_
                                        ; -- End function
	.section	.AMDGPU.csdata,"",@progbits
; Kernel info:
; codeLenInByte = 0
; NumSgprs: 4
; NumVgprs: 0
; NumAgprs: 0
; TotalNumVgprs: 0
; ScratchSize: 0
; MemoryBound: 0
; FloatMode: 240
; IeeeMode: 1
; LDSByteSize: 0 bytes/workgroup (compile time only)
; SGPRBlocks: 0
; VGPRBlocks: 0
; NumSGPRsForWavesPerEU: 4
; NumVGPRsForWavesPerEU: 1
; AccumOffset: 4
; Occupancy: 8
; WaveLimiterHint : 0
; COMPUTE_PGM_RSRC2:SCRATCH_EN: 0
; COMPUTE_PGM_RSRC2:USER_SGPR: 6
; COMPUTE_PGM_RSRC2:TRAP_HANDLER: 0
; COMPUTE_PGM_RSRC2:TGID_X_EN: 1
; COMPUTE_PGM_RSRC2:TGID_Y_EN: 0
; COMPUTE_PGM_RSRC2:TGID_Z_EN: 0
; COMPUTE_PGM_RSRC2:TIDIG_COMP_CNT: 0
; COMPUTE_PGM_RSRC3_GFX90A:ACCUM_OFFSET: 0
; COMPUTE_PGM_RSRC3_GFX90A:TG_SPLIT: 0
	.section	.text._ZN7rocprim17ROCPRIM_400000_NS6detail17trampoline_kernelINS0_14default_configENS1_25partition_config_selectorILNS1_17partition_subalgoE1EyNS0_10empty_typeEbEEZZNS1_14partition_implILS5_1ELb0ES3_jN6thrust23THRUST_200600_302600_NS6detail15normal_iteratorINSA_10device_ptrIyEEEEPS6_NSA_18transform_iteratorI7is_evenIyESF_NSA_11use_defaultESK_EENS0_5tupleIJNSA_16discard_iteratorISK_EESF_EEENSM_IJSG_SG_EEES6_PlJS6_EEE10hipError_tPvRmT3_T4_T5_T6_T7_T9_mT8_P12ihipStream_tbDpT10_ENKUlT_T0_E_clISt17integral_constantIbLb0EES1A_IbLb1EEEEDaS16_S17_EUlS16_E_NS1_11comp_targetILNS1_3genE5ELNS1_11target_archE942ELNS1_3gpuE9ELNS1_3repE0EEENS1_30default_config_static_selectorELNS0_4arch9wavefront6targetE1EEEvT1_,"axG",@progbits,_ZN7rocprim17ROCPRIM_400000_NS6detail17trampoline_kernelINS0_14default_configENS1_25partition_config_selectorILNS1_17partition_subalgoE1EyNS0_10empty_typeEbEEZZNS1_14partition_implILS5_1ELb0ES3_jN6thrust23THRUST_200600_302600_NS6detail15normal_iteratorINSA_10device_ptrIyEEEEPS6_NSA_18transform_iteratorI7is_evenIyESF_NSA_11use_defaultESK_EENS0_5tupleIJNSA_16discard_iteratorISK_EESF_EEENSM_IJSG_SG_EEES6_PlJS6_EEE10hipError_tPvRmT3_T4_T5_T6_T7_T9_mT8_P12ihipStream_tbDpT10_ENKUlT_T0_E_clISt17integral_constantIbLb0EES1A_IbLb1EEEEDaS16_S17_EUlS16_E_NS1_11comp_targetILNS1_3genE5ELNS1_11target_archE942ELNS1_3gpuE9ELNS1_3repE0EEENS1_30default_config_static_selectorELNS0_4arch9wavefront6targetE1EEEvT1_,comdat
	.protected	_ZN7rocprim17ROCPRIM_400000_NS6detail17trampoline_kernelINS0_14default_configENS1_25partition_config_selectorILNS1_17partition_subalgoE1EyNS0_10empty_typeEbEEZZNS1_14partition_implILS5_1ELb0ES3_jN6thrust23THRUST_200600_302600_NS6detail15normal_iteratorINSA_10device_ptrIyEEEEPS6_NSA_18transform_iteratorI7is_evenIyESF_NSA_11use_defaultESK_EENS0_5tupleIJNSA_16discard_iteratorISK_EESF_EEENSM_IJSG_SG_EEES6_PlJS6_EEE10hipError_tPvRmT3_T4_T5_T6_T7_T9_mT8_P12ihipStream_tbDpT10_ENKUlT_T0_E_clISt17integral_constantIbLb0EES1A_IbLb1EEEEDaS16_S17_EUlS16_E_NS1_11comp_targetILNS1_3genE5ELNS1_11target_archE942ELNS1_3gpuE9ELNS1_3repE0EEENS1_30default_config_static_selectorELNS0_4arch9wavefront6targetE1EEEvT1_ ; -- Begin function _ZN7rocprim17ROCPRIM_400000_NS6detail17trampoline_kernelINS0_14default_configENS1_25partition_config_selectorILNS1_17partition_subalgoE1EyNS0_10empty_typeEbEEZZNS1_14partition_implILS5_1ELb0ES3_jN6thrust23THRUST_200600_302600_NS6detail15normal_iteratorINSA_10device_ptrIyEEEEPS6_NSA_18transform_iteratorI7is_evenIyESF_NSA_11use_defaultESK_EENS0_5tupleIJNSA_16discard_iteratorISK_EESF_EEENSM_IJSG_SG_EEES6_PlJS6_EEE10hipError_tPvRmT3_T4_T5_T6_T7_T9_mT8_P12ihipStream_tbDpT10_ENKUlT_T0_E_clISt17integral_constantIbLb0EES1A_IbLb1EEEEDaS16_S17_EUlS16_E_NS1_11comp_targetILNS1_3genE5ELNS1_11target_archE942ELNS1_3gpuE9ELNS1_3repE0EEENS1_30default_config_static_selectorELNS0_4arch9wavefront6targetE1EEEvT1_
	.globl	_ZN7rocprim17ROCPRIM_400000_NS6detail17trampoline_kernelINS0_14default_configENS1_25partition_config_selectorILNS1_17partition_subalgoE1EyNS0_10empty_typeEbEEZZNS1_14partition_implILS5_1ELb0ES3_jN6thrust23THRUST_200600_302600_NS6detail15normal_iteratorINSA_10device_ptrIyEEEEPS6_NSA_18transform_iteratorI7is_evenIyESF_NSA_11use_defaultESK_EENS0_5tupleIJNSA_16discard_iteratorISK_EESF_EEENSM_IJSG_SG_EEES6_PlJS6_EEE10hipError_tPvRmT3_T4_T5_T6_T7_T9_mT8_P12ihipStream_tbDpT10_ENKUlT_T0_E_clISt17integral_constantIbLb0EES1A_IbLb1EEEEDaS16_S17_EUlS16_E_NS1_11comp_targetILNS1_3genE5ELNS1_11target_archE942ELNS1_3gpuE9ELNS1_3repE0EEENS1_30default_config_static_selectorELNS0_4arch9wavefront6targetE1EEEvT1_
	.p2align	8
	.type	_ZN7rocprim17ROCPRIM_400000_NS6detail17trampoline_kernelINS0_14default_configENS1_25partition_config_selectorILNS1_17partition_subalgoE1EyNS0_10empty_typeEbEEZZNS1_14partition_implILS5_1ELb0ES3_jN6thrust23THRUST_200600_302600_NS6detail15normal_iteratorINSA_10device_ptrIyEEEEPS6_NSA_18transform_iteratorI7is_evenIyESF_NSA_11use_defaultESK_EENS0_5tupleIJNSA_16discard_iteratorISK_EESF_EEENSM_IJSG_SG_EEES6_PlJS6_EEE10hipError_tPvRmT3_T4_T5_T6_T7_T9_mT8_P12ihipStream_tbDpT10_ENKUlT_T0_E_clISt17integral_constantIbLb0EES1A_IbLb1EEEEDaS16_S17_EUlS16_E_NS1_11comp_targetILNS1_3genE5ELNS1_11target_archE942ELNS1_3gpuE9ELNS1_3repE0EEENS1_30default_config_static_selectorELNS0_4arch9wavefront6targetE1EEEvT1_,@function
_ZN7rocprim17ROCPRIM_400000_NS6detail17trampoline_kernelINS0_14default_configENS1_25partition_config_selectorILNS1_17partition_subalgoE1EyNS0_10empty_typeEbEEZZNS1_14partition_implILS5_1ELb0ES3_jN6thrust23THRUST_200600_302600_NS6detail15normal_iteratorINSA_10device_ptrIyEEEEPS6_NSA_18transform_iteratorI7is_evenIyESF_NSA_11use_defaultESK_EENS0_5tupleIJNSA_16discard_iteratorISK_EESF_EEENSM_IJSG_SG_EEES6_PlJS6_EEE10hipError_tPvRmT3_T4_T5_T6_T7_T9_mT8_P12ihipStream_tbDpT10_ENKUlT_T0_E_clISt17integral_constantIbLb0EES1A_IbLb1EEEEDaS16_S17_EUlS16_E_NS1_11comp_targetILNS1_3genE5ELNS1_11target_archE942ELNS1_3gpuE9ELNS1_3repE0EEENS1_30default_config_static_selectorELNS0_4arch9wavefront6targetE1EEEvT1_: ; @_ZN7rocprim17ROCPRIM_400000_NS6detail17trampoline_kernelINS0_14default_configENS1_25partition_config_selectorILNS1_17partition_subalgoE1EyNS0_10empty_typeEbEEZZNS1_14partition_implILS5_1ELb0ES3_jN6thrust23THRUST_200600_302600_NS6detail15normal_iteratorINSA_10device_ptrIyEEEEPS6_NSA_18transform_iteratorI7is_evenIyESF_NSA_11use_defaultESK_EENS0_5tupleIJNSA_16discard_iteratorISK_EESF_EEENSM_IJSG_SG_EEES6_PlJS6_EEE10hipError_tPvRmT3_T4_T5_T6_T7_T9_mT8_P12ihipStream_tbDpT10_ENKUlT_T0_E_clISt17integral_constantIbLb0EES1A_IbLb1EEEEDaS16_S17_EUlS16_E_NS1_11comp_targetILNS1_3genE5ELNS1_11target_archE942ELNS1_3gpuE9ELNS1_3repE0EEENS1_30default_config_static_selectorELNS0_4arch9wavefront6targetE1EEEvT1_
; %bb.0:
	.section	.rodata,"a",@progbits
	.p2align	6, 0x0
	.amdhsa_kernel _ZN7rocprim17ROCPRIM_400000_NS6detail17trampoline_kernelINS0_14default_configENS1_25partition_config_selectorILNS1_17partition_subalgoE1EyNS0_10empty_typeEbEEZZNS1_14partition_implILS5_1ELb0ES3_jN6thrust23THRUST_200600_302600_NS6detail15normal_iteratorINSA_10device_ptrIyEEEEPS6_NSA_18transform_iteratorI7is_evenIyESF_NSA_11use_defaultESK_EENS0_5tupleIJNSA_16discard_iteratorISK_EESF_EEENSM_IJSG_SG_EEES6_PlJS6_EEE10hipError_tPvRmT3_T4_T5_T6_T7_T9_mT8_P12ihipStream_tbDpT10_ENKUlT_T0_E_clISt17integral_constantIbLb0EES1A_IbLb1EEEEDaS16_S17_EUlS16_E_NS1_11comp_targetILNS1_3genE5ELNS1_11target_archE942ELNS1_3gpuE9ELNS1_3repE0EEENS1_30default_config_static_selectorELNS0_4arch9wavefront6targetE1EEEvT1_
		.amdhsa_group_segment_fixed_size 0
		.amdhsa_private_segment_fixed_size 0
		.amdhsa_kernarg_size 152
		.amdhsa_user_sgpr_count 6
		.amdhsa_user_sgpr_private_segment_buffer 1
		.amdhsa_user_sgpr_dispatch_ptr 0
		.amdhsa_user_sgpr_queue_ptr 0
		.amdhsa_user_sgpr_kernarg_segment_ptr 1
		.amdhsa_user_sgpr_dispatch_id 0
		.amdhsa_user_sgpr_flat_scratch_init 0
		.amdhsa_user_sgpr_kernarg_preload_length 0
		.amdhsa_user_sgpr_kernarg_preload_offset 0
		.amdhsa_user_sgpr_private_segment_size 0
		.amdhsa_uses_dynamic_stack 0
		.amdhsa_system_sgpr_private_segment_wavefront_offset 0
		.amdhsa_system_sgpr_workgroup_id_x 1
		.amdhsa_system_sgpr_workgroup_id_y 0
		.amdhsa_system_sgpr_workgroup_id_z 0
		.amdhsa_system_sgpr_workgroup_info 0
		.amdhsa_system_vgpr_workitem_id 0
		.amdhsa_next_free_vgpr 1
		.amdhsa_next_free_sgpr 0
		.amdhsa_accum_offset 4
		.amdhsa_reserve_vcc 0
		.amdhsa_reserve_flat_scratch 0
		.amdhsa_float_round_mode_32 0
		.amdhsa_float_round_mode_16_64 0
		.amdhsa_float_denorm_mode_32 3
		.amdhsa_float_denorm_mode_16_64 3
		.amdhsa_dx10_clamp 1
		.amdhsa_ieee_mode 1
		.amdhsa_fp16_overflow 0
		.amdhsa_tg_split 0
		.amdhsa_exception_fp_ieee_invalid_op 0
		.amdhsa_exception_fp_denorm_src 0
		.amdhsa_exception_fp_ieee_div_zero 0
		.amdhsa_exception_fp_ieee_overflow 0
		.amdhsa_exception_fp_ieee_underflow 0
		.amdhsa_exception_fp_ieee_inexact 0
		.amdhsa_exception_int_div_zero 0
	.end_amdhsa_kernel
	.section	.text._ZN7rocprim17ROCPRIM_400000_NS6detail17trampoline_kernelINS0_14default_configENS1_25partition_config_selectorILNS1_17partition_subalgoE1EyNS0_10empty_typeEbEEZZNS1_14partition_implILS5_1ELb0ES3_jN6thrust23THRUST_200600_302600_NS6detail15normal_iteratorINSA_10device_ptrIyEEEEPS6_NSA_18transform_iteratorI7is_evenIyESF_NSA_11use_defaultESK_EENS0_5tupleIJNSA_16discard_iteratorISK_EESF_EEENSM_IJSG_SG_EEES6_PlJS6_EEE10hipError_tPvRmT3_T4_T5_T6_T7_T9_mT8_P12ihipStream_tbDpT10_ENKUlT_T0_E_clISt17integral_constantIbLb0EES1A_IbLb1EEEEDaS16_S17_EUlS16_E_NS1_11comp_targetILNS1_3genE5ELNS1_11target_archE942ELNS1_3gpuE9ELNS1_3repE0EEENS1_30default_config_static_selectorELNS0_4arch9wavefront6targetE1EEEvT1_,"axG",@progbits,_ZN7rocprim17ROCPRIM_400000_NS6detail17trampoline_kernelINS0_14default_configENS1_25partition_config_selectorILNS1_17partition_subalgoE1EyNS0_10empty_typeEbEEZZNS1_14partition_implILS5_1ELb0ES3_jN6thrust23THRUST_200600_302600_NS6detail15normal_iteratorINSA_10device_ptrIyEEEEPS6_NSA_18transform_iteratorI7is_evenIyESF_NSA_11use_defaultESK_EENS0_5tupleIJNSA_16discard_iteratorISK_EESF_EEENSM_IJSG_SG_EEES6_PlJS6_EEE10hipError_tPvRmT3_T4_T5_T6_T7_T9_mT8_P12ihipStream_tbDpT10_ENKUlT_T0_E_clISt17integral_constantIbLb0EES1A_IbLb1EEEEDaS16_S17_EUlS16_E_NS1_11comp_targetILNS1_3genE5ELNS1_11target_archE942ELNS1_3gpuE9ELNS1_3repE0EEENS1_30default_config_static_selectorELNS0_4arch9wavefront6targetE1EEEvT1_,comdat
.Lfunc_end2964:
	.size	_ZN7rocprim17ROCPRIM_400000_NS6detail17trampoline_kernelINS0_14default_configENS1_25partition_config_selectorILNS1_17partition_subalgoE1EyNS0_10empty_typeEbEEZZNS1_14partition_implILS5_1ELb0ES3_jN6thrust23THRUST_200600_302600_NS6detail15normal_iteratorINSA_10device_ptrIyEEEEPS6_NSA_18transform_iteratorI7is_evenIyESF_NSA_11use_defaultESK_EENS0_5tupleIJNSA_16discard_iteratorISK_EESF_EEENSM_IJSG_SG_EEES6_PlJS6_EEE10hipError_tPvRmT3_T4_T5_T6_T7_T9_mT8_P12ihipStream_tbDpT10_ENKUlT_T0_E_clISt17integral_constantIbLb0EES1A_IbLb1EEEEDaS16_S17_EUlS16_E_NS1_11comp_targetILNS1_3genE5ELNS1_11target_archE942ELNS1_3gpuE9ELNS1_3repE0EEENS1_30default_config_static_selectorELNS0_4arch9wavefront6targetE1EEEvT1_, .Lfunc_end2964-_ZN7rocprim17ROCPRIM_400000_NS6detail17trampoline_kernelINS0_14default_configENS1_25partition_config_selectorILNS1_17partition_subalgoE1EyNS0_10empty_typeEbEEZZNS1_14partition_implILS5_1ELb0ES3_jN6thrust23THRUST_200600_302600_NS6detail15normal_iteratorINSA_10device_ptrIyEEEEPS6_NSA_18transform_iteratorI7is_evenIyESF_NSA_11use_defaultESK_EENS0_5tupleIJNSA_16discard_iteratorISK_EESF_EEENSM_IJSG_SG_EEES6_PlJS6_EEE10hipError_tPvRmT3_T4_T5_T6_T7_T9_mT8_P12ihipStream_tbDpT10_ENKUlT_T0_E_clISt17integral_constantIbLb0EES1A_IbLb1EEEEDaS16_S17_EUlS16_E_NS1_11comp_targetILNS1_3genE5ELNS1_11target_archE942ELNS1_3gpuE9ELNS1_3repE0EEENS1_30default_config_static_selectorELNS0_4arch9wavefront6targetE1EEEvT1_
                                        ; -- End function
	.section	.AMDGPU.csdata,"",@progbits
; Kernel info:
; codeLenInByte = 0
; NumSgprs: 4
; NumVgprs: 0
; NumAgprs: 0
; TotalNumVgprs: 0
; ScratchSize: 0
; MemoryBound: 0
; FloatMode: 240
; IeeeMode: 1
; LDSByteSize: 0 bytes/workgroup (compile time only)
; SGPRBlocks: 0
; VGPRBlocks: 0
; NumSGPRsForWavesPerEU: 4
; NumVGPRsForWavesPerEU: 1
; AccumOffset: 4
; Occupancy: 8
; WaveLimiterHint : 0
; COMPUTE_PGM_RSRC2:SCRATCH_EN: 0
; COMPUTE_PGM_RSRC2:USER_SGPR: 6
; COMPUTE_PGM_RSRC2:TRAP_HANDLER: 0
; COMPUTE_PGM_RSRC2:TGID_X_EN: 1
; COMPUTE_PGM_RSRC2:TGID_Y_EN: 0
; COMPUTE_PGM_RSRC2:TGID_Z_EN: 0
; COMPUTE_PGM_RSRC2:TIDIG_COMP_CNT: 0
; COMPUTE_PGM_RSRC3_GFX90A:ACCUM_OFFSET: 0
; COMPUTE_PGM_RSRC3_GFX90A:TG_SPLIT: 0
	.section	.text._ZN7rocprim17ROCPRIM_400000_NS6detail17trampoline_kernelINS0_14default_configENS1_25partition_config_selectorILNS1_17partition_subalgoE1EyNS0_10empty_typeEbEEZZNS1_14partition_implILS5_1ELb0ES3_jN6thrust23THRUST_200600_302600_NS6detail15normal_iteratorINSA_10device_ptrIyEEEEPS6_NSA_18transform_iteratorI7is_evenIyESF_NSA_11use_defaultESK_EENS0_5tupleIJNSA_16discard_iteratorISK_EESF_EEENSM_IJSG_SG_EEES6_PlJS6_EEE10hipError_tPvRmT3_T4_T5_T6_T7_T9_mT8_P12ihipStream_tbDpT10_ENKUlT_T0_E_clISt17integral_constantIbLb0EES1A_IbLb1EEEEDaS16_S17_EUlS16_E_NS1_11comp_targetILNS1_3genE4ELNS1_11target_archE910ELNS1_3gpuE8ELNS1_3repE0EEENS1_30default_config_static_selectorELNS0_4arch9wavefront6targetE1EEEvT1_,"axG",@progbits,_ZN7rocprim17ROCPRIM_400000_NS6detail17trampoline_kernelINS0_14default_configENS1_25partition_config_selectorILNS1_17partition_subalgoE1EyNS0_10empty_typeEbEEZZNS1_14partition_implILS5_1ELb0ES3_jN6thrust23THRUST_200600_302600_NS6detail15normal_iteratorINSA_10device_ptrIyEEEEPS6_NSA_18transform_iteratorI7is_evenIyESF_NSA_11use_defaultESK_EENS0_5tupleIJNSA_16discard_iteratorISK_EESF_EEENSM_IJSG_SG_EEES6_PlJS6_EEE10hipError_tPvRmT3_T4_T5_T6_T7_T9_mT8_P12ihipStream_tbDpT10_ENKUlT_T0_E_clISt17integral_constantIbLb0EES1A_IbLb1EEEEDaS16_S17_EUlS16_E_NS1_11comp_targetILNS1_3genE4ELNS1_11target_archE910ELNS1_3gpuE8ELNS1_3repE0EEENS1_30default_config_static_selectorELNS0_4arch9wavefront6targetE1EEEvT1_,comdat
	.protected	_ZN7rocprim17ROCPRIM_400000_NS6detail17trampoline_kernelINS0_14default_configENS1_25partition_config_selectorILNS1_17partition_subalgoE1EyNS0_10empty_typeEbEEZZNS1_14partition_implILS5_1ELb0ES3_jN6thrust23THRUST_200600_302600_NS6detail15normal_iteratorINSA_10device_ptrIyEEEEPS6_NSA_18transform_iteratorI7is_evenIyESF_NSA_11use_defaultESK_EENS0_5tupleIJNSA_16discard_iteratorISK_EESF_EEENSM_IJSG_SG_EEES6_PlJS6_EEE10hipError_tPvRmT3_T4_T5_T6_T7_T9_mT8_P12ihipStream_tbDpT10_ENKUlT_T0_E_clISt17integral_constantIbLb0EES1A_IbLb1EEEEDaS16_S17_EUlS16_E_NS1_11comp_targetILNS1_3genE4ELNS1_11target_archE910ELNS1_3gpuE8ELNS1_3repE0EEENS1_30default_config_static_selectorELNS0_4arch9wavefront6targetE1EEEvT1_ ; -- Begin function _ZN7rocprim17ROCPRIM_400000_NS6detail17trampoline_kernelINS0_14default_configENS1_25partition_config_selectorILNS1_17partition_subalgoE1EyNS0_10empty_typeEbEEZZNS1_14partition_implILS5_1ELb0ES3_jN6thrust23THRUST_200600_302600_NS6detail15normal_iteratorINSA_10device_ptrIyEEEEPS6_NSA_18transform_iteratorI7is_evenIyESF_NSA_11use_defaultESK_EENS0_5tupleIJNSA_16discard_iteratorISK_EESF_EEENSM_IJSG_SG_EEES6_PlJS6_EEE10hipError_tPvRmT3_T4_T5_T6_T7_T9_mT8_P12ihipStream_tbDpT10_ENKUlT_T0_E_clISt17integral_constantIbLb0EES1A_IbLb1EEEEDaS16_S17_EUlS16_E_NS1_11comp_targetILNS1_3genE4ELNS1_11target_archE910ELNS1_3gpuE8ELNS1_3repE0EEENS1_30default_config_static_selectorELNS0_4arch9wavefront6targetE1EEEvT1_
	.globl	_ZN7rocprim17ROCPRIM_400000_NS6detail17trampoline_kernelINS0_14default_configENS1_25partition_config_selectorILNS1_17partition_subalgoE1EyNS0_10empty_typeEbEEZZNS1_14partition_implILS5_1ELb0ES3_jN6thrust23THRUST_200600_302600_NS6detail15normal_iteratorINSA_10device_ptrIyEEEEPS6_NSA_18transform_iteratorI7is_evenIyESF_NSA_11use_defaultESK_EENS0_5tupleIJNSA_16discard_iteratorISK_EESF_EEENSM_IJSG_SG_EEES6_PlJS6_EEE10hipError_tPvRmT3_T4_T5_T6_T7_T9_mT8_P12ihipStream_tbDpT10_ENKUlT_T0_E_clISt17integral_constantIbLb0EES1A_IbLb1EEEEDaS16_S17_EUlS16_E_NS1_11comp_targetILNS1_3genE4ELNS1_11target_archE910ELNS1_3gpuE8ELNS1_3repE0EEENS1_30default_config_static_selectorELNS0_4arch9wavefront6targetE1EEEvT1_
	.p2align	8
	.type	_ZN7rocprim17ROCPRIM_400000_NS6detail17trampoline_kernelINS0_14default_configENS1_25partition_config_selectorILNS1_17partition_subalgoE1EyNS0_10empty_typeEbEEZZNS1_14partition_implILS5_1ELb0ES3_jN6thrust23THRUST_200600_302600_NS6detail15normal_iteratorINSA_10device_ptrIyEEEEPS6_NSA_18transform_iteratorI7is_evenIyESF_NSA_11use_defaultESK_EENS0_5tupleIJNSA_16discard_iteratorISK_EESF_EEENSM_IJSG_SG_EEES6_PlJS6_EEE10hipError_tPvRmT3_T4_T5_T6_T7_T9_mT8_P12ihipStream_tbDpT10_ENKUlT_T0_E_clISt17integral_constantIbLb0EES1A_IbLb1EEEEDaS16_S17_EUlS16_E_NS1_11comp_targetILNS1_3genE4ELNS1_11target_archE910ELNS1_3gpuE8ELNS1_3repE0EEENS1_30default_config_static_selectorELNS0_4arch9wavefront6targetE1EEEvT1_,@function
_ZN7rocprim17ROCPRIM_400000_NS6detail17trampoline_kernelINS0_14default_configENS1_25partition_config_selectorILNS1_17partition_subalgoE1EyNS0_10empty_typeEbEEZZNS1_14partition_implILS5_1ELb0ES3_jN6thrust23THRUST_200600_302600_NS6detail15normal_iteratorINSA_10device_ptrIyEEEEPS6_NSA_18transform_iteratorI7is_evenIyESF_NSA_11use_defaultESK_EENS0_5tupleIJNSA_16discard_iteratorISK_EESF_EEENSM_IJSG_SG_EEES6_PlJS6_EEE10hipError_tPvRmT3_T4_T5_T6_T7_T9_mT8_P12ihipStream_tbDpT10_ENKUlT_T0_E_clISt17integral_constantIbLb0EES1A_IbLb1EEEEDaS16_S17_EUlS16_E_NS1_11comp_targetILNS1_3genE4ELNS1_11target_archE910ELNS1_3gpuE8ELNS1_3repE0EEENS1_30default_config_static_selectorELNS0_4arch9wavefront6targetE1EEEvT1_: ; @_ZN7rocprim17ROCPRIM_400000_NS6detail17trampoline_kernelINS0_14default_configENS1_25partition_config_selectorILNS1_17partition_subalgoE1EyNS0_10empty_typeEbEEZZNS1_14partition_implILS5_1ELb0ES3_jN6thrust23THRUST_200600_302600_NS6detail15normal_iteratorINSA_10device_ptrIyEEEEPS6_NSA_18transform_iteratorI7is_evenIyESF_NSA_11use_defaultESK_EENS0_5tupleIJNSA_16discard_iteratorISK_EESF_EEENSM_IJSG_SG_EEES6_PlJS6_EEE10hipError_tPvRmT3_T4_T5_T6_T7_T9_mT8_P12ihipStream_tbDpT10_ENKUlT_T0_E_clISt17integral_constantIbLb0EES1A_IbLb1EEEEDaS16_S17_EUlS16_E_NS1_11comp_targetILNS1_3genE4ELNS1_11target_archE910ELNS1_3gpuE8ELNS1_3repE0EEENS1_30default_config_static_selectorELNS0_4arch9wavefront6targetE1EEEvT1_
; %bb.0:
	s_load_dwordx2 s[6:7], s[4:5], 0x20
	s_load_dwordx2 s[24:25], s[4:5], 0x40
	;; [unrolled: 1-line block ×3, first 2 shown]
	s_load_dwordx4 s[20:23], s[4:5], 0x58
	s_load_dwordx2 s[28:29], s[4:5], 0x78
	v_cmp_eq_u32_e64 s[0:1], 0, v0
	s_and_saveexec_b64 s[8:9], s[0:1]
	s_cbranch_execz .LBB2965_4
; %bb.1:
	s_mov_b64 s[12:13], exec
	v_mbcnt_lo_u32_b32 v1, s12, 0
	v_mbcnt_hi_u32_b32 v1, s13, v1
	v_cmp_eq_u32_e32 vcc, 0, v1
                                        ; implicit-def: $vgpr2
	s_and_saveexec_b64 s[10:11], vcc
	s_cbranch_execz .LBB2965_3
; %bb.2:
	s_load_dwordx2 s[14:15], s[4:5], 0x88
	s_bcnt1_i32_b64 s12, s[12:13]
	v_mov_b32_e32 v2, 0
	v_mov_b32_e32 v3, s12
	s_waitcnt lgkmcnt(0)
	global_atomic_add v2, v2, v3, s[14:15] glc
.LBB2965_3:
	s_or_b64 exec, exec, s[10:11]
	s_waitcnt vmcnt(0)
	v_readfirstlane_b32 s10, v2
	v_add_u32_e32 v1, s10, v1
	v_mov_b32_e32 v2, 0
	ds_write_b32 v2, v1
.LBB2965_4:
	s_or_b64 exec, exec, s[8:9]
	v_mov_b32_e32 v3, 0
	s_load_dwordx4 s[16:19], s[4:5], 0x8
	s_load_dword s8, s[4:5], 0x80
	s_waitcnt lgkmcnt(0)
	s_barrier
	ds_read_b32 v1, v3
	s_waitcnt lgkmcnt(0)
	s_barrier
	global_load_dwordx2 v[10:11], v3, s[22:23]
	v_mov_b32_e32 v5, s3
	s_lshl_b64 s[4:5], s[18:19], 3
	s_movk_i32 s3, 0x300
	s_add_u32 s9, s16, s4
	v_mul_lo_u32 v2, v1, s3
	s_mul_i32 s3, s8, 0x300
	s_addc_u32 s10, s17, s5
	s_add_i32 s11, s8, -1
	s_add_i32 s8, s3, s18
	s_sub_i32 s33, s2, s8
	s_addk_i32 s33, 0x300
	v_mov_b32_e32 v4, s2
	s_add_u32 s2, s18, s3
	v_readfirstlane_b32 s38, v1
	s_addc_u32 s3, s19, 0
	s_cmp_eq_u32 s38, s11
	s_cselect_b64 s[22:23], -1, 0
	s_cmp_lg_u32 s38, s11
	v_cmp_lt_u64_e32 vcc, s[2:3], v[4:5]
	s_cselect_b64 s[2:3], -1, 0
	v_lshlrev_b64 v[12:13], 3, v[2:3]
	s_or_b64 s[26:27], vcc, s[2:3]
	v_mov_b32_e32 v1, s10
	v_add_co_u32_e32 v14, vcc, s9, v12
	v_addc_co_u32_e32 v15, vcc, v1, v13, vcc
	s_mov_b64 s[2:3], -1
	s_and_b64 vcc, exec, s[26:27]
	v_lshlrev_b32_e32 v24, 3, v0
	v_lshrrev_b32_e32 v1, 2, v0
	s_cbranch_vccz .LBB2965_6
; %bb.5:
	v_add_co_u32_e32 v2, vcc, v14, v24
	v_addc_co_u32_e32 v3, vcc, 0, v15, vcc
	v_add_co_u32_e32 v4, vcc, 0x1000, v2
	v_addc_co_u32_e32 v5, vcc, 0, v3, vcc
	flat_load_dwordx2 v[6:7], v[2:3]
	flat_load_dwordx2 v[8:9], v[2:3] offset:1536
	flat_load_dwordx2 v[16:17], v[2:3] offset:3072
	;; [unrolled: 1-line block ×3, first 2 shown]
	v_add_u32_e32 v3, 0xc0, v0
	v_add_u32_e32 v4, 0x180, v0
	;; [unrolled: 1-line block ×3, first 2 shown]
	v_and_b32_e32 v2, 56, v1
	v_lshrrev_b32_e32 v3, 2, v3
	v_lshrrev_b32_e32 v4, 2, v4
	;; [unrolled: 1-line block ×3, first 2 shown]
	v_add_u32_e32 v2, v2, v24
	v_and_b32_e32 v3, 0x78, v3
	v_and_b32_e32 v4, 0xf8, v4
	;; [unrolled: 1-line block ×3, first 2 shown]
	v_add_u32_e32 v3, v3, v24
	v_add_u32_e32 v4, v4, v24
	;; [unrolled: 1-line block ×3, first 2 shown]
	s_mov_b64 s[2:3], 0
	s_waitcnt vmcnt(0) lgkmcnt(0)
	ds_write_b64 v2, v[6:7]
	ds_write_b64 v3, v[8:9] offset:1536
	ds_write_b64 v4, v[16:17] offset:3072
	;; [unrolled: 1-line block ×3, first 2 shown]
	s_waitcnt lgkmcnt(0)
	s_barrier
.LBB2965_6:
	s_andn2_b64 vcc, exec, s[2:3]
	v_cmp_gt_u32_e64 s[2:3], s33, v0
	s_cbranch_vccnz .LBB2965_16
; %bb.7:
                                        ; implicit-def: $vgpr2_vgpr3_vgpr4_vgpr5_vgpr6_vgpr7_vgpr8_vgpr9
	s_and_saveexec_b64 s[8:9], s[2:3]
	s_cbranch_execz .LBB2965_9
; %bb.8:
	v_add_co_u32_e32 v2, vcc, v14, v24
	v_addc_co_u32_e32 v3, vcc, 0, v15, vcc
	flat_load_dwordx2 v[2:3], v[2:3]
.LBB2965_9:
	s_or_b64 exec, exec, s[8:9]
	v_add_u32_e32 v16, 0xc0, v0
	v_cmp_gt_u32_e32 vcc, s33, v16
	s_and_saveexec_b64 s[2:3], vcc
	s_cbranch_execz .LBB2965_11
; %bb.10:
	v_add_co_u32_e32 v4, vcc, v14, v24
	v_addc_co_u32_e32 v5, vcc, 0, v15, vcc
	flat_load_dwordx2 v[4:5], v[4:5] offset:1536
.LBB2965_11:
	s_or_b64 exec, exec, s[2:3]
	v_add_u32_e32 v17, 0x180, v0
	v_cmp_gt_u32_e32 vcc, s33, v17
	s_and_saveexec_b64 s[2:3], vcc
	s_cbranch_execz .LBB2965_13
; %bb.12:
	v_add_co_u32_e32 v6, vcc, v14, v24
	v_addc_co_u32_e32 v7, vcc, 0, v15, vcc
	flat_load_dwordx2 v[6:7], v[6:7] offset:3072
.LBB2965_13:
	s_or_b64 exec, exec, s[2:3]
	v_add_u32_e32 v18, 0x240, v0
	v_cmp_gt_u32_e32 vcc, s33, v18
	s_and_saveexec_b64 s[2:3], vcc
	s_cbranch_execz .LBB2965_15
; %bb.14:
	v_lshlrev_b32_e32 v8, 3, v18
	v_add_co_u32_e32 v8, vcc, v14, v8
	v_addc_co_u32_e32 v9, vcc, 0, v15, vcc
	flat_load_dwordx2 v[8:9], v[8:9]
.LBB2965_15:
	s_or_b64 exec, exec, s[2:3]
	v_and_b32_e32 v1, 56, v1
	v_add_u32_e32 v1, v1, v24
	s_waitcnt vmcnt(0) lgkmcnt(0)
	ds_write_b64 v1, v[2:3]
	v_lshrrev_b32_e32 v1, 2, v16
	v_and_b32_e32 v1, 0x78, v1
	v_add_u32_e32 v1, v1, v24
	ds_write_b64 v1, v[4:5] offset:1536
	v_lshrrev_b32_e32 v1, 2, v17
	v_and_b32_e32 v1, 0xf8, v1
	v_add_u32_e32 v1, v1, v24
	ds_write_b64 v1, v[6:7] offset:3072
	;; [unrolled: 4-line block ×3, first 2 shown]
	s_waitcnt lgkmcnt(0)
	s_barrier
.LBB2965_16:
	v_lshlrev_b32_e32 v25, 2, v0
	v_lshrrev_b32_e32 v15, 3, v0
	v_add_lshl_u32 v1, v15, v25, 3
	s_add_u32 s2, s6, s4
	ds_read2_b64 v[6:9], v1 offset1:1
	ds_read2_b64 v[2:5], v1 offset0:2 offset1:3
	s_addc_u32 s3, s7, s5
	v_mov_b32_e32 v1, s3
	v_add_co_u32_e32 v14, vcc, s2, v12
	v_addc_co_u32_e32 v1, vcc, v1, v13, vcc
	s_mov_b64 s[2:3], -1
	s_and_b64 vcc, exec, s[26:27]
	v_lshrrev_b32_e32 v16, 5, v0
	s_waitcnt lgkmcnt(0)
	s_barrier
	s_cbranch_vccz .LBB2965_18
; %bb.17:
	v_add_co_u32_e32 v17, vcc, v14, v24
	v_addc_co_u32_e32 v27, vcc, 0, v1, vcc
	v_add_co_u32_e32 v26, vcc, 0x1000, v17
	v_readfirstlane_b32 s2, v14
	v_readfirstlane_b32 s3, v1
	v_addc_co_u32_e32 v27, vcc, 0, v27, vcc
	s_nop 3
	global_load_dwordx2 v[18:19], v24, s[2:3]
	global_load_dwordx2 v[20:21], v24, s[2:3] offset:1536
	global_load_dwordx2 v[22:23], v24, s[2:3] offset:3072
	s_waitcnt vmcnt(2)
	v_add_u32_e32 v19, 0xc0, v0
	global_load_dwordx2 v[26:27], v[26:27], off offset:512
	s_waitcnt vmcnt(2)
	v_add_u32_e32 v21, 0x180, v0
	s_waitcnt vmcnt(1)
	v_add_u32_e32 v23, 0x240, v0
	v_and_b32_e32 v17, 4, v16
	v_lshrrev_b32_e32 v19, 5, v19
	v_lshrrev_b32_e32 v21, 5, v21
	;; [unrolled: 1-line block ×3, first 2 shown]
	v_add_u32_e32 v17, v17, v0
	v_and_b32_e32 v19, 12, v19
	v_and_b32_e32 v21, 28, v21
	;; [unrolled: 1-line block ×3, first 2 shown]
	v_add_u32_e32 v19, v19, v0
	v_add_u32_e32 v21, v21, v0
	;; [unrolled: 1-line block ×3, first 2 shown]
	s_mov_b64 s[2:3], 0
	v_xor_b32_e32 v18, -1, v18
	v_xor_b32_e32 v20, -1, v20
	;; [unrolled: 1-line block ×3, first 2 shown]
	v_and_b32_e32 v18, 1, v18
	s_waitcnt vmcnt(0)
	v_xor_b32_e32 v26, -1, v26
	v_and_b32_e32 v20, 1, v20
	v_and_b32_e32 v22, 1, v22
	ds_write_b8 v17, v18
	ds_write_b8 v19, v20 offset:192
	ds_write_b8 v21, v22 offset:384
	v_and_b32_e32 v17, 1, v26
	ds_write_b8 v23, v17 offset:576
	s_waitcnt lgkmcnt(0)
	s_barrier
.LBB2965_18:
	s_andn2_b64 vcc, exec, s[2:3]
	s_cbranch_vccnz .LBB2965_28
; %bb.19:
	v_cmp_gt_u32_e32 vcc, s33, v0
	v_mov_b32_e32 v17, 0
	v_mov_b32_e32 v18, 0
	s_and_saveexec_b64 s[2:3], vcc
	s_cbranch_execz .LBB2965_21
; %bb.20:
	v_readfirstlane_b32 s4, v14
	v_readfirstlane_b32 s5, v1
	s_nop 4
	global_load_dwordx2 v[18:19], v24, s[4:5]
	s_waitcnt vmcnt(0)
	v_xor_b32_e32 v18, -1, v18
	v_and_b32_e32 v18, 1, v18
.LBB2965_21:
	s_or_b64 exec, exec, s[2:3]
	v_add_u32_e32 v19, 0xc0, v0
	v_cmp_gt_u32_e32 vcc, s33, v19
	s_and_saveexec_b64 s[2:3], vcc
	s_cbranch_execz .LBB2965_23
; %bb.22:
	v_readfirstlane_b32 s4, v14
	v_readfirstlane_b32 s5, v1
	s_nop 4
	global_load_dwordx2 v[20:21], v24, s[4:5] offset:1536
	s_waitcnt vmcnt(0)
	v_xor_b32_e32 v17, -1, v20
	v_and_b32_e32 v17, 1, v17
.LBB2965_23:
	s_or_b64 exec, exec, s[2:3]
	v_add_u32_e32 v20, 0x180, v0
	v_cmp_gt_u32_e32 vcc, s33, v20
	v_mov_b32_e32 v21, 0
	v_mov_b32_e32 v22, 0
	s_and_saveexec_b64 s[2:3], vcc
	s_cbranch_execz .LBB2965_25
; %bb.24:
	v_readfirstlane_b32 s4, v14
	v_readfirstlane_b32 s5, v1
	s_nop 4
	global_load_dwordx2 v[22:23], v24, s[4:5] offset:3072
	s_waitcnt vmcnt(0)
	v_xor_b32_e32 v22, -1, v22
	v_and_b32_e32 v22, 1, v22
.LBB2965_25:
	s_or_b64 exec, exec, s[2:3]
	v_add_u32_e32 v23, 0x240, v0
	v_cmp_gt_u32_e32 vcc, s33, v23
	s_and_saveexec_b64 s[2:3], vcc
	s_cbranch_execz .LBB2965_27
; %bb.26:
	v_lshlrev_b32_e32 v21, 3, v23
	v_readfirstlane_b32 s4, v14
	v_readfirstlane_b32 s5, v1
	s_nop 4
	global_load_dwordx2 v[26:27], v21, s[4:5]
	s_waitcnt vmcnt(0)
	v_xor_b32_e32 v1, -1, v26
	v_and_b32_e32 v21, 1, v1
.LBB2965_27:
	s_or_b64 exec, exec, s[2:3]
	v_and_b32_e32 v1, 4, v16
	v_add_u32_e32 v1, v1, v0
	ds_write_b8 v1, v18
	v_lshrrev_b32_e32 v1, 5, v19
	v_and_b32_e32 v1, 12, v1
	v_add_u32_e32 v1, v1, v0
	ds_write_b8 v1, v17 offset:192
	v_lshrrev_b32_e32 v1, 5, v20
	v_and_b32_e32 v1, 28, v1
	v_add_u32_e32 v1, v1, v0
	ds_write_b8 v1, v22 offset:384
	;; [unrolled: 4-line block ×3, first 2 shown]
	s_waitcnt lgkmcnt(0)
	s_barrier
.LBB2965_28:
	v_and_b32_e32 v1, 28, v15
	v_add_u32_e32 v1, v1, v25
	ds_read_b32 v26, v1
	s_cmp_lg_u32 s38, 0
	v_lshrrev_b32_e32 v29, 6, v0
	s_waitcnt lgkmcnt(0)
	s_barrier
	v_lshrrev_b32_e32 v1, 24, v26
	v_bfe_u32 v27, v26, 16, 8
	v_add_u32_sdwa v14, v26, v26 dst_sel:DWORD dst_unused:UNUSED_PAD src0_sel:BYTE_1 src1_sel:BYTE_0
	v_add3_u32 v30, v14, v27, v1
	v_mbcnt_lo_u32_b32 v14, -1, 0
	v_mbcnt_hi_u32_b32 v28, -1, v14
	v_and_b32_e32 v14, 15, v28
	v_cmp_eq_u32_e64 s[14:15], 0, v14
	v_cmp_lt_u32_e64 s[12:13], 1, v14
	v_cmp_lt_u32_e64 s[10:11], 3, v14
	v_cmp_lt_u32_e64 s[8:9], 7, v14
	v_and_b32_e32 v14, 16, v28
	v_cmp_eq_u32_e64 s[4:5], 0, v14
	v_and_b32_e32 v14, 0xc0, v0
	v_min_u32_e32 v14, 0x80, v14
	v_or_b32_e32 v14, 63, v14
	v_cmp_lt_u32_e64 s[2:3], 31, v28
	v_cmp_eq_u32_e64 s[6:7], v14, v0
	s_cbranch_scc0 .LBB2965_55
; %bb.29:
	v_mov_b32_dpp v14, v30 row_shr:1 row_mask:0xf bank_mask:0xf
	v_cndmask_b32_e64 v14, v14, 0, s[14:15]
	v_add_u32_e32 v14, v14, v30
	s_nop 1
	v_mov_b32_dpp v15, v14 row_shr:2 row_mask:0xf bank_mask:0xf
	v_cndmask_b32_e64 v15, 0, v15, s[12:13]
	v_add_u32_e32 v14, v14, v15
	s_nop 1
	v_mov_b32_dpp v15, v14 row_shr:4 row_mask:0xf bank_mask:0xf
	v_cndmask_b32_e64 v15, 0, v15, s[10:11]
	v_add_u32_e32 v14, v14, v15
	s_nop 1
	v_mov_b32_dpp v15, v14 row_shr:8 row_mask:0xf bank_mask:0xf
	v_cndmask_b32_e64 v15, 0, v15, s[8:9]
	v_add_u32_e32 v14, v14, v15
	s_nop 1
	v_mov_b32_dpp v15, v14 row_bcast:15 row_mask:0xf bank_mask:0xf
	v_cndmask_b32_e64 v15, v15, 0, s[4:5]
	v_add_u32_e32 v14, v14, v15
	s_nop 1
	v_mov_b32_dpp v15, v14 row_bcast:31 row_mask:0xf bank_mask:0xf
	v_cndmask_b32_e64 v15, 0, v15, s[2:3]
	v_add_u32_e32 v14, v14, v15
	s_and_saveexec_b64 s[16:17], s[6:7]
	s_cbranch_execz .LBB2965_31
; %bb.30:
	v_lshlrev_b32_e32 v15, 2, v29
	ds_write_b32 v15, v14
.LBB2965_31:
	s_or_b64 exec, exec, s[16:17]
	v_cmp_gt_u32_e32 vcc, 3, v0
	s_waitcnt lgkmcnt(0)
	s_barrier
	s_and_saveexec_b64 s[16:17], vcc
	s_cbranch_execz .LBB2965_33
; %bb.32:
	ds_read_b32 v15, v25
	v_and_b32_e32 v16, 3, v28
	v_cmp_ne_u32_e32 vcc, 0, v16
	s_waitcnt lgkmcnt(0)
	v_mov_b32_dpp v17, v15 row_shr:1 row_mask:0xf bank_mask:0xf
	v_cndmask_b32_e32 v17, 0, v17, vcc
	v_add_u32_e32 v15, v17, v15
	v_cmp_lt_u32_e32 vcc, 1, v16
	s_nop 0
	v_mov_b32_dpp v17, v15 row_shr:2 row_mask:0xf bank_mask:0xf
	v_cndmask_b32_e32 v16, 0, v17, vcc
	v_add_u32_e32 v15, v15, v16
	ds_write_b32 v25, v15
.LBB2965_33:
	s_or_b64 exec, exec, s[16:17]
	v_cmp_gt_u32_e32 vcc, 64, v0
	v_cmp_lt_u32_e64 s[16:17], 63, v0
	s_waitcnt lgkmcnt(0)
	s_barrier
	s_waitcnt lgkmcnt(0)
                                        ; implicit-def: $vgpr31
	s_and_saveexec_b64 s[30:31], s[16:17]
	s_cbranch_execz .LBB2965_35
; %bb.34:
	v_lshl_add_u32 v15, v29, 2, -4
	ds_read_b32 v31, v15
	s_waitcnt lgkmcnt(0)
	v_add_u32_e32 v14, v31, v14
.LBB2965_35:
	s_or_b64 exec, exec, s[30:31]
	v_add_u32_e32 v15, -1, v28
	v_and_b32_e32 v16, 64, v28
	v_cmp_lt_i32_e64 s[16:17], v15, v16
	v_cndmask_b32_e64 v15, v15, v28, s[16:17]
	v_lshlrev_b32_e32 v15, 2, v15
	ds_bpermute_b32 v32, v15, v14
	v_cmp_eq_u32_e64 s[16:17], 0, v28
	s_and_saveexec_b64 s[30:31], vcc
	s_cbranch_execz .LBB2965_54
; %bb.36:
	v_mov_b32_e32 v21, 0
	ds_read_b32 v14, v21 offset:8
	s_and_saveexec_b64 s[34:35], s[16:17]
	s_cbranch_execz .LBB2965_38
; %bb.37:
	s_add_i32 s36, s38, 64
	s_mov_b32 s37, 0
	s_lshl_b64 s[36:37], s[36:37], 3
	s_add_u32 s36, s28, s36
	v_mov_b32_e32 v15, 1
	s_addc_u32 s37, s29, s37
	s_waitcnt lgkmcnt(0)
	global_store_dwordx2 v21, v[14:15], s[36:37]
.LBB2965_38:
	s_or_b64 exec, exec, s[34:35]
	v_xad_u32 v16, v28, -1, s38
	v_add_u32_e32 v20, 64, v16
	v_lshlrev_b64 v[18:19], 3, v[20:21]
	v_mov_b32_e32 v15, s29
	v_add_co_u32_e32 v22, vcc, s28, v18
	v_addc_co_u32_e32 v23, vcc, v15, v19, vcc
	global_load_dwordx2 v[18:19], v[22:23], off glc
	s_waitcnt vmcnt(0)
	v_cmp_eq_u16_sdwa s[36:37], v19, v21 src0_sel:BYTE_0 src1_sel:DWORD
	s_and_saveexec_b64 s[34:35], s[36:37]
	s_cbranch_execz .LBB2965_42
; %bb.39:
	s_mov_b64 s[36:37], 0
	v_mov_b32_e32 v15, 0
.LBB2965_40:                            ; =>This Inner Loop Header: Depth=1
	global_load_dwordx2 v[18:19], v[22:23], off glc
	s_waitcnt vmcnt(0)
	v_cmp_ne_u16_sdwa s[40:41], v19, v15 src0_sel:BYTE_0 src1_sel:DWORD
	s_or_b64 s[36:37], s[40:41], s[36:37]
	s_andn2_b64 exec, exec, s[36:37]
	s_cbranch_execnz .LBB2965_40
; %bb.41:
	s_or_b64 exec, exec, s[36:37]
.LBB2965_42:
	s_or_b64 exec, exec, s[34:35]
	v_and_b32_e32 v34, 63, v28
	v_mov_b32_e32 v33, 2
	v_cmp_ne_u32_e32 vcc, 63, v34
	v_cmp_eq_u16_sdwa s[34:35], v19, v33 src0_sel:BYTE_0 src1_sel:DWORD
	v_lshlrev_b64 v[20:21], v28, -1
	v_addc_co_u32_e32 v22, vcc, 0, v28, vcc
	v_and_b32_e32 v15, s35, v21
	v_lshlrev_b32_e32 v35, 2, v22
	v_or_b32_e32 v15, 0x80000000, v15
	ds_bpermute_b32 v22, v35, v18
	v_and_b32_e32 v17, s34, v20
	v_ffbl_b32_e32 v15, v15
	v_add_u32_e32 v15, 32, v15
	v_ffbl_b32_e32 v17, v17
	v_min_u32_e32 v15, v17, v15
	v_cmp_lt_u32_e32 vcc, v34, v15
	s_waitcnt lgkmcnt(0)
	v_cndmask_b32_e32 v17, 0, v22, vcc
	v_cmp_gt_u32_e32 vcc, 62, v34
	v_add_u32_e32 v17, v17, v18
	v_cndmask_b32_e64 v18, 0, 1, vcc
	v_lshlrev_b32_e32 v18, 1, v18
	v_add_lshl_u32 v36, v18, v28, 2
	ds_bpermute_b32 v18, v36, v17
	v_add_u32_e32 v37, 2, v34
	v_cmp_le_u32_e32 vcc, v37, v15
	v_add_u32_e32 v39, 4, v34
	v_add_u32_e32 v41, 8, v34
	s_waitcnt lgkmcnt(0)
	v_cndmask_b32_e32 v18, 0, v18, vcc
	v_cmp_gt_u32_e32 vcc, 60, v34
	v_add_u32_e32 v17, v17, v18
	v_cndmask_b32_e64 v18, 0, 1, vcc
	v_lshlrev_b32_e32 v18, 2, v18
	v_add_lshl_u32 v38, v18, v28, 2
	ds_bpermute_b32 v18, v38, v17
	v_cmp_le_u32_e32 vcc, v39, v15
	v_add_u32_e32 v43, 16, v34
	v_add_u32_e32 v45, 32, v34
	s_waitcnt lgkmcnt(0)
	v_cndmask_b32_e32 v18, 0, v18, vcc
	v_cmp_gt_u32_e32 vcc, 56, v34
	v_add_u32_e32 v17, v17, v18
	v_cndmask_b32_e64 v18, 0, 1, vcc
	v_lshlrev_b32_e32 v18, 3, v18
	v_add_lshl_u32 v40, v18, v28, 2
	ds_bpermute_b32 v18, v40, v17
	v_cmp_le_u32_e32 vcc, v41, v15
	s_waitcnt lgkmcnt(0)
	v_cndmask_b32_e32 v18, 0, v18, vcc
	v_cmp_gt_u32_e32 vcc, 48, v34
	v_add_u32_e32 v17, v17, v18
	v_cndmask_b32_e64 v18, 0, 1, vcc
	v_lshlrev_b32_e32 v18, 4, v18
	v_add_lshl_u32 v42, v18, v28, 2
	ds_bpermute_b32 v18, v42, v17
	v_cmp_le_u32_e32 vcc, v43, v15
	;; [unrolled: 9-line block ×3, first 2 shown]
	s_waitcnt lgkmcnt(0)
	v_cndmask_b32_e32 v15, 0, v18, vcc
	v_add_u32_e32 v18, v17, v15
	v_mov_b32_e32 v17, 0
	s_branch .LBB2965_44
.LBB2965_43:                            ;   in Loop: Header=BB2965_44 Depth=1
	s_or_b64 exec, exec, s[34:35]
	v_cmp_eq_u16_sdwa s[34:35], v19, v33 src0_sel:BYTE_0 src1_sel:DWORD
	v_and_b32_e32 v22, s35, v21
	v_or_b32_e32 v22, 0x80000000, v22
	ds_bpermute_b32 v46, v35, v18
	v_and_b32_e32 v23, s34, v20
	v_ffbl_b32_e32 v22, v22
	v_add_u32_e32 v22, 32, v22
	v_ffbl_b32_e32 v23, v23
	v_min_u32_e32 v22, v23, v22
	v_cmp_lt_u32_e32 vcc, v34, v22
	s_waitcnt lgkmcnt(0)
	v_cndmask_b32_e32 v23, 0, v46, vcc
	v_add_u32_e32 v18, v23, v18
	ds_bpermute_b32 v23, v36, v18
	v_cmp_le_u32_e32 vcc, v37, v22
	v_subrev_u32_e32 v16, 64, v16
	s_waitcnt lgkmcnt(0)
	v_cndmask_b32_e32 v23, 0, v23, vcc
	v_add_u32_e32 v18, v18, v23
	ds_bpermute_b32 v23, v38, v18
	v_cmp_le_u32_e32 vcc, v39, v22
	s_waitcnt lgkmcnt(0)
	v_cndmask_b32_e32 v23, 0, v23, vcc
	v_add_u32_e32 v18, v18, v23
	ds_bpermute_b32 v23, v40, v18
	v_cmp_le_u32_e32 vcc, v41, v22
	;; [unrolled: 5-line block ×4, first 2 shown]
	s_waitcnt lgkmcnt(0)
	v_cndmask_b32_e32 v22, 0, v23, vcc
	v_add3_u32 v18, v22, v15, v18
.LBB2965_44:                            ; =>This Loop Header: Depth=1
                                        ;     Child Loop BB2965_47 Depth 2
	v_cmp_ne_u16_sdwa s[34:35], v19, v33 src0_sel:BYTE_0 src1_sel:DWORD
	v_cndmask_b32_e64 v15, 0, 1, s[34:35]
	;;#ASMSTART
	;;#ASMEND
	v_cmp_ne_u32_e32 vcc, 0, v15
	s_cmp_lg_u64 vcc, exec
	v_mov_b32_e32 v15, v18
	s_cbranch_scc1 .LBB2965_49
; %bb.45:                               ;   in Loop: Header=BB2965_44 Depth=1
	v_lshlrev_b64 v[18:19], 3, v[16:17]
	v_mov_b32_e32 v23, s29
	v_add_co_u32_e32 v22, vcc, s28, v18
	v_addc_co_u32_e32 v23, vcc, v23, v19, vcc
	global_load_dwordx2 v[18:19], v[22:23], off glc
	s_waitcnt vmcnt(0)
	v_cmp_eq_u16_sdwa s[36:37], v19, v17 src0_sel:BYTE_0 src1_sel:DWORD
	s_and_saveexec_b64 s[34:35], s[36:37]
	s_cbranch_execz .LBB2965_43
; %bb.46:                               ;   in Loop: Header=BB2965_44 Depth=1
	s_mov_b64 s[36:37], 0
.LBB2965_47:                            ;   Parent Loop BB2965_44 Depth=1
                                        ; =>  This Inner Loop Header: Depth=2
	global_load_dwordx2 v[18:19], v[22:23], off glc
	s_waitcnt vmcnt(0)
	v_cmp_ne_u16_sdwa s[40:41], v19, v17 src0_sel:BYTE_0 src1_sel:DWORD
	s_or_b64 s[36:37], s[40:41], s[36:37]
	s_andn2_b64 exec, exec, s[36:37]
	s_cbranch_execnz .LBB2965_47
; %bb.48:                               ;   in Loop: Header=BB2965_44 Depth=1
	s_or_b64 exec, exec, s[36:37]
	s_branch .LBB2965_43
.LBB2965_49:                            ;   in Loop: Header=BB2965_44 Depth=1
                                        ; implicit-def: $vgpr18
                                        ; implicit-def: $vgpr19
	s_cbranch_execz .LBB2965_44
; %bb.50:
	s_and_saveexec_b64 s[34:35], s[16:17]
	s_cbranch_execz .LBB2965_52
; %bb.51:
	s_add_i32 s36, s38, 64
	s_mov_b32 s37, 0
	s_lshl_b64 s[36:37], s[36:37], 3
	s_add_u32 s36, s28, s36
	v_add_u32_e32 v16, v15, v14
	v_mov_b32_e32 v17, 2
	s_addc_u32 s37, s29, s37
	v_mov_b32_e32 v18, 0
	global_store_dwordx2 v18, v[16:17], s[36:37]
	ds_write_b64 v18, v[14:15] offset:6336
.LBB2965_52:
	s_or_b64 exec, exec, s[34:35]
	s_and_b64 exec, exec, s[0:1]
	s_cbranch_execz .LBB2965_54
; %bb.53:
	v_mov_b32_e32 v14, 0
	ds_write_b32 v14, v15 offset:8
.LBB2965_54:
	s_or_b64 exec, exec, s[30:31]
	v_mov_b32_e32 v14, 0
	s_waitcnt lgkmcnt(0)
	s_barrier
	ds_read_b32 v15, v14 offset:8
	v_cndmask_b32_e64 v16, v32, v31, s[16:17]
	v_cndmask_b32_e64 v16, v16, 0, s[0:1]
	s_waitcnt lgkmcnt(0)
	s_barrier
	v_add_u32_e32 v18, v15, v16
	ds_read_b64 v[14:15], v14 offset:6336
	v_add_u32_sdwa v19, v18, v26 dst_sel:DWORD dst_unused:UNUSED_PAD src0_sel:DWORD src1_sel:BYTE_0
	v_add_u32_sdwa v17, v19, v26 dst_sel:DWORD dst_unused:UNUSED_PAD src0_sel:DWORD src1_sel:BYTE_1
	v_add_u32_e32 v16, v17, v27
	s_branch .LBB2965_65
.LBB2965_55:
                                        ; implicit-def: $vgpr15
                                        ; implicit-def: $vgpr16
                                        ; implicit-def: $vgpr17
                                        ; implicit-def: $vgpr19
                                        ; implicit-def: $vgpr18
	s_cbranch_execz .LBB2965_65
; %bb.56:
	s_waitcnt lgkmcnt(0)
	v_mov_b32_dpp v14, v30 row_shr:1 row_mask:0xf bank_mask:0xf
	v_cndmask_b32_e64 v14, v14, 0, s[14:15]
	v_add_u32_e32 v14, v14, v30
	s_nop 1
	v_mov_b32_dpp v15, v14 row_shr:2 row_mask:0xf bank_mask:0xf
	v_cndmask_b32_e64 v15, 0, v15, s[12:13]
	v_add_u32_e32 v14, v14, v15
	s_nop 1
	;; [unrolled: 4-line block ×4, first 2 shown]
	v_mov_b32_dpp v15, v14 row_bcast:15 row_mask:0xf bank_mask:0xf
	v_cndmask_b32_e64 v15, v15, 0, s[4:5]
	v_add_u32_e32 v14, v14, v15
	s_nop 1
	v_mov_b32_dpp v15, v14 row_bcast:31 row_mask:0xf bank_mask:0xf
	v_cndmask_b32_e64 v15, 0, v15, s[2:3]
	v_add_u32_e32 v14, v14, v15
	s_and_saveexec_b64 s[2:3], s[6:7]
	s_cbranch_execz .LBB2965_58
; %bb.57:
	v_lshlrev_b32_e32 v15, 2, v29
	ds_write_b32 v15, v14
.LBB2965_58:
	s_or_b64 exec, exec, s[2:3]
	v_cmp_gt_u32_e32 vcc, 3, v0
	s_waitcnt lgkmcnt(0)
	s_barrier
	s_and_saveexec_b64 s[2:3], vcc
	s_cbranch_execz .LBB2965_60
; %bb.59:
	ds_read_b32 v15, v25
	v_and_b32_e32 v16, 3, v28
	v_cmp_ne_u32_e32 vcc, 0, v16
	s_waitcnt lgkmcnt(0)
	v_mov_b32_dpp v17, v15 row_shr:1 row_mask:0xf bank_mask:0xf
	v_cndmask_b32_e32 v17, 0, v17, vcc
	v_add_u32_e32 v15, v17, v15
	v_cmp_lt_u32_e32 vcc, 1, v16
	s_nop 0
	v_mov_b32_dpp v17, v15 row_shr:2 row_mask:0xf bank_mask:0xf
	v_cndmask_b32_e32 v16, 0, v17, vcc
	v_add_u32_e32 v15, v15, v16
	ds_write_b32 v25, v15
.LBB2965_60:
	s_or_b64 exec, exec, s[2:3]
	v_cmp_lt_u32_e32 vcc, 63, v0
	v_mov_b32_e32 v15, 0
	v_mov_b32_e32 v16, 0
	s_waitcnt lgkmcnt(0)
	s_barrier
	s_and_saveexec_b64 s[2:3], vcc
	s_cbranch_execz .LBB2965_62
; %bb.61:
	v_lshl_add_u32 v16, v29, 2, -4
	ds_read_b32 v16, v16
.LBB2965_62:
	s_or_b64 exec, exec, s[2:3]
	v_add_u32_e32 v17, -1, v28
	v_and_b32_e32 v18, 64, v28
	v_cmp_lt_i32_e32 vcc, v17, v18
	v_cndmask_b32_e32 v17, v17, v28, vcc
	s_waitcnt lgkmcnt(0)
	v_add_u32_e32 v14, v16, v14
	v_lshlrev_b32_e32 v17, 2, v17
	ds_bpermute_b32 v17, v17, v14
	ds_read_b32 v14, v15 offset:8
	s_and_saveexec_b64 s[2:3], s[0:1]
	s_cbranch_execz .LBB2965_64
; %bb.63:
	v_mov_b32_e32 v18, 0
	v_mov_b32_e32 v15, 2
	s_waitcnt lgkmcnt(0)
	global_store_dwordx2 v18, v[14:15], s[28:29] offset:512
.LBB2965_64:
	s_or_b64 exec, exec, s[2:3]
	v_cmp_eq_u32_e32 vcc, 0, v28
	s_waitcnt lgkmcnt(1)
	v_cndmask_b32_e32 v16, v17, v16, vcc
	v_cndmask_b32_e64 v18, v16, 0, s[0:1]
	v_add_u32_sdwa v19, v18, v26 dst_sel:DWORD dst_unused:UNUSED_PAD src0_sel:DWORD src1_sel:BYTE_0
	v_add_u32_sdwa v17, v19, v26 dst_sel:DWORD dst_unused:UNUSED_PAD src0_sel:DWORD src1_sel:BYTE_1
	v_mov_b32_e32 v15, 0
	v_add_u32_e32 v16, v17, v27
	s_waitcnt lgkmcnt(0)
	s_barrier
.LBB2965_65:
	s_waitcnt lgkmcnt(0)
	v_add_u32_e32 v21, v14, v25
	v_sub_u32_e32 v18, v18, v15
	v_and_b32_e32 v23, 1, v26
	v_sub_u32_e32 v22, v21, v18
	v_cmp_eq_u32_e32 vcc, 1, v23
	v_cndmask_b32_e32 v18, v22, v18, vcc
	v_lshlrev_b32_e32 v18, 3, v18
	v_lshrrev_b32_e32 v20, 8, v26
	ds_write_b64 v18, v[6:7]
	v_sub_u32_e32 v6, v19, v15
	v_sub_u32_e32 v7, v21, v6
	v_and_b32_e32 v18, 1, v20
	v_add_u32_e32 v7, 1, v7
	v_cmp_eq_u32_e32 vcc, 1, v18
	v_cndmask_b32_e32 v6, v7, v6, vcc
	v_lshlrev_b32_e32 v6, 3, v6
	ds_write_b64 v6, v[8:9]
	v_sub_u32_e32 v6, v17, v15
	v_mov_b32_e32 v8, 1
	v_sub_u32_e32 v7, v21, v6
	v_and_b32_sdwa v8, v8, v26 dst_sel:DWORD dst_unused:UNUSED_PAD src0_sel:DWORD src1_sel:WORD_1
	v_add_u32_e32 v7, 2, v7
	v_cmp_eq_u32_e32 vcc, 1, v8
	v_cndmask_b32_e32 v6, v7, v6, vcc
	v_lshlrev_b32_e32 v6, 3, v6
	ds_write_b64 v6, v[2:3]
	v_sub_u32_e32 v2, v16, v15
	v_sub_u32_e32 v3, v21, v2
	v_and_b32_e32 v1, 1, v1
	v_add_u32_e32 v3, 3, v3
	v_cmp_eq_u32_e32 vcc, 1, v1
	v_cndmask_b32_e32 v1, v3, v2, vcc
	v_lshlrev_b32_e32 v1, 3, v1
	ds_write_b64 v1, v[4:5]
	s_waitcnt vmcnt(0)
	v_add_co_u32_e32 v1, vcc, v10, v14
	v_addc_co_u32_e32 v11, vcc, 0, v11, vcc
	v_add_co_u32_e32 v10, vcc, v1, v15
	v_addc_co_u32_e32 v11, vcc, 0, v11, vcc
	v_mov_b32_e32 v1, s19
	v_sub_co_u32_e32 v20, vcc, s18, v10
	v_subb_co_u32_e32 v21, vcc, v1, v11, vcc
	v_lshlrev_b64 v[20:21], 3, v[20:21]
	s_waitcnt lgkmcnt(0)
	s_barrier
	ds_read2st64_b64 v[6:9], v24 offset1:3
	ds_read2st64_b64 v[2:5], v24 offset0:6 offset1:9
	v_mov_b32_e32 v1, s25
	v_add_co_u32_e32 v15, vcc, s24, v20
	v_addc_co_u32_e32 v1, vcc, v1, v21, vcc
	v_add_co_u32_e32 v12, vcc, v15, v12
	v_addc_co_u32_e32 v1, vcc, v1, v13, vcc
	v_add_u32_e32 v18, 0xc0, v0
	v_add_u32_e32 v17, 0x180, v0
	;; [unrolled: 1-line block ×3, first 2 shown]
	s_andn2_b64 vcc, exec, s[26:27]
	v_cmp_ge_u32_e64 s[2:3], v0, v14
	s_cbranch_vccnz .LBB2965_71
; %bb.66:
	s_and_saveexec_b64 s[4:5], s[2:3]
	s_cbranch_execnz .LBB2965_84
; %bb.67:
	s_or_b64 exec, exec, s[4:5]
	v_cmp_ge_u32_e32 vcc, v18, v14
	s_and_saveexec_b64 s[2:3], vcc
	s_cbranch_execnz .LBB2965_85
.LBB2965_68:
	s_or_b64 exec, exec, s[2:3]
	v_cmp_ge_u32_e32 vcc, v17, v14
	s_and_saveexec_b64 s[2:3], vcc
	s_cbranch_execz .LBB2965_70
.LBB2965_69:
	v_readfirstlane_b32 s4, v12
	v_readfirstlane_b32 s5, v1
	s_waitcnt lgkmcnt(0)
	s_nop 3
	global_store_dwordx2 v24, v[2:3], s[4:5] offset:3072
.LBB2965_70:
	s_or_b64 exec, exec, s[2:3]
	v_cmp_ge_u32_e64 s[2:3], v16, v14
	s_branch .LBB2965_79
.LBB2965_71:
	s_mov_b64 s[2:3], 0
	s_cbranch_execz .LBB2965_79
; %bb.72:
	v_cmp_gt_u32_e32 vcc, s33, v0
	v_cmp_ge_u32_e64 s[2:3], v0, v14
	s_and_b64 s[4:5], vcc, s[2:3]
	s_and_saveexec_b64 s[2:3], s[4:5]
	s_cbranch_execz .LBB2965_74
; %bb.73:
	v_readfirstlane_b32 s4, v12
	v_readfirstlane_b32 s5, v1
	s_waitcnt lgkmcnt(1)
	s_nop 3
	global_store_dwordx2 v24, v[6:7], s[4:5]
.LBB2965_74:
	s_or_b64 exec, exec, s[2:3]
	v_cmp_gt_u32_e32 vcc, s33, v18
	v_cmp_ge_u32_e64 s[2:3], v18, v14
	s_and_b64 s[4:5], vcc, s[2:3]
	s_and_saveexec_b64 s[2:3], s[4:5]
	s_cbranch_execz .LBB2965_76
; %bb.75:
	v_readfirstlane_b32 s4, v12
	v_readfirstlane_b32 s5, v1
	s_waitcnt lgkmcnt(1)
	s_nop 3
	global_store_dwordx2 v24, v[8:9], s[4:5] offset:1536
.LBB2965_76:
	s_or_b64 exec, exec, s[2:3]
	v_cmp_gt_u32_e32 vcc, s33, v17
	v_cmp_ge_u32_e64 s[2:3], v17, v14
	s_and_b64 s[4:5], vcc, s[2:3]
	s_and_saveexec_b64 s[2:3], s[4:5]
	s_cbranch_execz .LBB2965_78
; %bb.77:
	v_readfirstlane_b32 s4, v12
	v_readfirstlane_b32 s5, v1
	s_waitcnt lgkmcnt(0)
	s_nop 3
	global_store_dwordx2 v24, v[2:3], s[4:5] offset:3072
.LBB2965_78:
	s_or_b64 exec, exec, s[2:3]
	v_cmp_gt_u32_e32 vcc, s33, v16
	v_cmp_ge_u32_e64 s[2:3], v16, v14
	s_and_b64 s[2:3], vcc, s[2:3]
.LBB2965_79:
	s_and_saveexec_b64 s[4:5], s[2:3]
	s_cbranch_execnz .LBB2965_82
; %bb.80:
	s_or_b64 exec, exec, s[4:5]
	s_and_b64 s[0:1], s[0:1], s[22:23]
	s_and_saveexec_b64 s[2:3], s[0:1]
	s_cbranch_execnz .LBB2965_83
.LBB2965_81:
	s_endpgm
.LBB2965_82:
	v_lshlrev_b32_e32 v0, 3, v16
	v_readfirstlane_b32 s2, v12
	v_readfirstlane_b32 s3, v1
	s_waitcnt lgkmcnt(0)
	s_nop 3
	global_store_dwordx2 v0, v[4:5], s[2:3]
	s_or_b64 exec, exec, s[4:5]
	s_and_b64 s[0:1], s[0:1], s[22:23]
	s_and_saveexec_b64 s[2:3], s[0:1]
	s_cbranch_execz .LBB2965_81
.LBB2965_83:
	v_mov_b32_e32 v0, 0
	global_store_dwordx2 v0, v[10:11], s[20:21]
	s_endpgm
.LBB2965_84:
	v_readfirstlane_b32 s2, v12
	v_readfirstlane_b32 s3, v1
	s_waitcnt lgkmcnt(1)
	s_nop 3
	global_store_dwordx2 v24, v[6:7], s[2:3]
	s_or_b64 exec, exec, s[4:5]
	v_cmp_ge_u32_e32 vcc, v18, v14
	s_and_saveexec_b64 s[2:3], vcc
	s_cbranch_execz .LBB2965_68
.LBB2965_85:
	v_readfirstlane_b32 s4, v12
	v_readfirstlane_b32 s5, v1
	s_waitcnt lgkmcnt(1)
	s_nop 3
	global_store_dwordx2 v24, v[8:9], s[4:5] offset:1536
	s_or_b64 exec, exec, s[2:3]
	v_cmp_ge_u32_e32 vcc, v17, v14
	s_and_saveexec_b64 s[2:3], vcc
	s_cbranch_execnz .LBB2965_69
	s_branch .LBB2965_70
	.section	.rodata,"a",@progbits
	.p2align	6, 0x0
	.amdhsa_kernel _ZN7rocprim17ROCPRIM_400000_NS6detail17trampoline_kernelINS0_14default_configENS1_25partition_config_selectorILNS1_17partition_subalgoE1EyNS0_10empty_typeEbEEZZNS1_14partition_implILS5_1ELb0ES3_jN6thrust23THRUST_200600_302600_NS6detail15normal_iteratorINSA_10device_ptrIyEEEEPS6_NSA_18transform_iteratorI7is_evenIyESF_NSA_11use_defaultESK_EENS0_5tupleIJNSA_16discard_iteratorISK_EESF_EEENSM_IJSG_SG_EEES6_PlJS6_EEE10hipError_tPvRmT3_T4_T5_T6_T7_T9_mT8_P12ihipStream_tbDpT10_ENKUlT_T0_E_clISt17integral_constantIbLb0EES1A_IbLb1EEEEDaS16_S17_EUlS16_E_NS1_11comp_targetILNS1_3genE4ELNS1_11target_archE910ELNS1_3gpuE8ELNS1_3repE0EEENS1_30default_config_static_selectorELNS0_4arch9wavefront6targetE1EEEvT1_
		.amdhsa_group_segment_fixed_size 6344
		.amdhsa_private_segment_fixed_size 0
		.amdhsa_kernarg_size 152
		.amdhsa_user_sgpr_count 6
		.amdhsa_user_sgpr_private_segment_buffer 1
		.amdhsa_user_sgpr_dispatch_ptr 0
		.amdhsa_user_sgpr_queue_ptr 0
		.amdhsa_user_sgpr_kernarg_segment_ptr 1
		.amdhsa_user_sgpr_dispatch_id 0
		.amdhsa_user_sgpr_flat_scratch_init 0
		.amdhsa_user_sgpr_kernarg_preload_length 0
		.amdhsa_user_sgpr_kernarg_preload_offset 0
		.amdhsa_user_sgpr_private_segment_size 0
		.amdhsa_uses_dynamic_stack 0
		.amdhsa_system_sgpr_private_segment_wavefront_offset 0
		.amdhsa_system_sgpr_workgroup_id_x 1
		.amdhsa_system_sgpr_workgroup_id_y 0
		.amdhsa_system_sgpr_workgroup_id_z 0
		.amdhsa_system_sgpr_workgroup_info 0
		.amdhsa_system_vgpr_workitem_id 0
		.amdhsa_next_free_vgpr 47
		.amdhsa_next_free_sgpr 42
		.amdhsa_accum_offset 48
		.amdhsa_reserve_vcc 1
		.amdhsa_reserve_flat_scratch 0
		.amdhsa_float_round_mode_32 0
		.amdhsa_float_round_mode_16_64 0
		.amdhsa_float_denorm_mode_32 3
		.amdhsa_float_denorm_mode_16_64 3
		.amdhsa_dx10_clamp 1
		.amdhsa_ieee_mode 1
		.amdhsa_fp16_overflow 0
		.amdhsa_tg_split 0
		.amdhsa_exception_fp_ieee_invalid_op 0
		.amdhsa_exception_fp_denorm_src 0
		.amdhsa_exception_fp_ieee_div_zero 0
		.amdhsa_exception_fp_ieee_overflow 0
		.amdhsa_exception_fp_ieee_underflow 0
		.amdhsa_exception_fp_ieee_inexact 0
		.amdhsa_exception_int_div_zero 0
	.end_amdhsa_kernel
	.section	.text._ZN7rocprim17ROCPRIM_400000_NS6detail17trampoline_kernelINS0_14default_configENS1_25partition_config_selectorILNS1_17partition_subalgoE1EyNS0_10empty_typeEbEEZZNS1_14partition_implILS5_1ELb0ES3_jN6thrust23THRUST_200600_302600_NS6detail15normal_iteratorINSA_10device_ptrIyEEEEPS6_NSA_18transform_iteratorI7is_evenIyESF_NSA_11use_defaultESK_EENS0_5tupleIJNSA_16discard_iteratorISK_EESF_EEENSM_IJSG_SG_EEES6_PlJS6_EEE10hipError_tPvRmT3_T4_T5_T6_T7_T9_mT8_P12ihipStream_tbDpT10_ENKUlT_T0_E_clISt17integral_constantIbLb0EES1A_IbLb1EEEEDaS16_S17_EUlS16_E_NS1_11comp_targetILNS1_3genE4ELNS1_11target_archE910ELNS1_3gpuE8ELNS1_3repE0EEENS1_30default_config_static_selectorELNS0_4arch9wavefront6targetE1EEEvT1_,"axG",@progbits,_ZN7rocprim17ROCPRIM_400000_NS6detail17trampoline_kernelINS0_14default_configENS1_25partition_config_selectorILNS1_17partition_subalgoE1EyNS0_10empty_typeEbEEZZNS1_14partition_implILS5_1ELb0ES3_jN6thrust23THRUST_200600_302600_NS6detail15normal_iteratorINSA_10device_ptrIyEEEEPS6_NSA_18transform_iteratorI7is_evenIyESF_NSA_11use_defaultESK_EENS0_5tupleIJNSA_16discard_iteratorISK_EESF_EEENSM_IJSG_SG_EEES6_PlJS6_EEE10hipError_tPvRmT3_T4_T5_T6_T7_T9_mT8_P12ihipStream_tbDpT10_ENKUlT_T0_E_clISt17integral_constantIbLb0EES1A_IbLb1EEEEDaS16_S17_EUlS16_E_NS1_11comp_targetILNS1_3genE4ELNS1_11target_archE910ELNS1_3gpuE8ELNS1_3repE0EEENS1_30default_config_static_selectorELNS0_4arch9wavefront6targetE1EEEvT1_,comdat
.Lfunc_end2965:
	.size	_ZN7rocprim17ROCPRIM_400000_NS6detail17trampoline_kernelINS0_14default_configENS1_25partition_config_selectorILNS1_17partition_subalgoE1EyNS0_10empty_typeEbEEZZNS1_14partition_implILS5_1ELb0ES3_jN6thrust23THRUST_200600_302600_NS6detail15normal_iteratorINSA_10device_ptrIyEEEEPS6_NSA_18transform_iteratorI7is_evenIyESF_NSA_11use_defaultESK_EENS0_5tupleIJNSA_16discard_iteratorISK_EESF_EEENSM_IJSG_SG_EEES6_PlJS6_EEE10hipError_tPvRmT3_T4_T5_T6_T7_T9_mT8_P12ihipStream_tbDpT10_ENKUlT_T0_E_clISt17integral_constantIbLb0EES1A_IbLb1EEEEDaS16_S17_EUlS16_E_NS1_11comp_targetILNS1_3genE4ELNS1_11target_archE910ELNS1_3gpuE8ELNS1_3repE0EEENS1_30default_config_static_selectorELNS0_4arch9wavefront6targetE1EEEvT1_, .Lfunc_end2965-_ZN7rocprim17ROCPRIM_400000_NS6detail17trampoline_kernelINS0_14default_configENS1_25partition_config_selectorILNS1_17partition_subalgoE1EyNS0_10empty_typeEbEEZZNS1_14partition_implILS5_1ELb0ES3_jN6thrust23THRUST_200600_302600_NS6detail15normal_iteratorINSA_10device_ptrIyEEEEPS6_NSA_18transform_iteratorI7is_evenIyESF_NSA_11use_defaultESK_EENS0_5tupleIJNSA_16discard_iteratorISK_EESF_EEENSM_IJSG_SG_EEES6_PlJS6_EEE10hipError_tPvRmT3_T4_T5_T6_T7_T9_mT8_P12ihipStream_tbDpT10_ENKUlT_T0_E_clISt17integral_constantIbLb0EES1A_IbLb1EEEEDaS16_S17_EUlS16_E_NS1_11comp_targetILNS1_3genE4ELNS1_11target_archE910ELNS1_3gpuE8ELNS1_3repE0EEENS1_30default_config_static_selectorELNS0_4arch9wavefront6targetE1EEEvT1_
                                        ; -- End function
	.section	.AMDGPU.csdata,"",@progbits
; Kernel info:
; codeLenInByte = 4116
; NumSgprs: 46
; NumVgprs: 47
; NumAgprs: 0
; TotalNumVgprs: 47
; ScratchSize: 0
; MemoryBound: 0
; FloatMode: 240
; IeeeMode: 1
; LDSByteSize: 6344 bytes/workgroup (compile time only)
; SGPRBlocks: 5
; VGPRBlocks: 5
; NumSGPRsForWavesPerEU: 46
; NumVGPRsForWavesPerEU: 47
; AccumOffset: 48
; Occupancy: 8
; WaveLimiterHint : 1
; COMPUTE_PGM_RSRC2:SCRATCH_EN: 0
; COMPUTE_PGM_RSRC2:USER_SGPR: 6
; COMPUTE_PGM_RSRC2:TRAP_HANDLER: 0
; COMPUTE_PGM_RSRC2:TGID_X_EN: 1
; COMPUTE_PGM_RSRC2:TGID_Y_EN: 0
; COMPUTE_PGM_RSRC2:TGID_Z_EN: 0
; COMPUTE_PGM_RSRC2:TIDIG_COMP_CNT: 0
; COMPUTE_PGM_RSRC3_GFX90A:ACCUM_OFFSET: 11
; COMPUTE_PGM_RSRC3_GFX90A:TG_SPLIT: 0
	.section	.text._ZN7rocprim17ROCPRIM_400000_NS6detail17trampoline_kernelINS0_14default_configENS1_25partition_config_selectorILNS1_17partition_subalgoE1EyNS0_10empty_typeEbEEZZNS1_14partition_implILS5_1ELb0ES3_jN6thrust23THRUST_200600_302600_NS6detail15normal_iteratorINSA_10device_ptrIyEEEEPS6_NSA_18transform_iteratorI7is_evenIyESF_NSA_11use_defaultESK_EENS0_5tupleIJNSA_16discard_iteratorISK_EESF_EEENSM_IJSG_SG_EEES6_PlJS6_EEE10hipError_tPvRmT3_T4_T5_T6_T7_T9_mT8_P12ihipStream_tbDpT10_ENKUlT_T0_E_clISt17integral_constantIbLb0EES1A_IbLb1EEEEDaS16_S17_EUlS16_E_NS1_11comp_targetILNS1_3genE3ELNS1_11target_archE908ELNS1_3gpuE7ELNS1_3repE0EEENS1_30default_config_static_selectorELNS0_4arch9wavefront6targetE1EEEvT1_,"axG",@progbits,_ZN7rocprim17ROCPRIM_400000_NS6detail17trampoline_kernelINS0_14default_configENS1_25partition_config_selectorILNS1_17partition_subalgoE1EyNS0_10empty_typeEbEEZZNS1_14partition_implILS5_1ELb0ES3_jN6thrust23THRUST_200600_302600_NS6detail15normal_iteratorINSA_10device_ptrIyEEEEPS6_NSA_18transform_iteratorI7is_evenIyESF_NSA_11use_defaultESK_EENS0_5tupleIJNSA_16discard_iteratorISK_EESF_EEENSM_IJSG_SG_EEES6_PlJS6_EEE10hipError_tPvRmT3_T4_T5_T6_T7_T9_mT8_P12ihipStream_tbDpT10_ENKUlT_T0_E_clISt17integral_constantIbLb0EES1A_IbLb1EEEEDaS16_S17_EUlS16_E_NS1_11comp_targetILNS1_3genE3ELNS1_11target_archE908ELNS1_3gpuE7ELNS1_3repE0EEENS1_30default_config_static_selectorELNS0_4arch9wavefront6targetE1EEEvT1_,comdat
	.protected	_ZN7rocprim17ROCPRIM_400000_NS6detail17trampoline_kernelINS0_14default_configENS1_25partition_config_selectorILNS1_17partition_subalgoE1EyNS0_10empty_typeEbEEZZNS1_14partition_implILS5_1ELb0ES3_jN6thrust23THRUST_200600_302600_NS6detail15normal_iteratorINSA_10device_ptrIyEEEEPS6_NSA_18transform_iteratorI7is_evenIyESF_NSA_11use_defaultESK_EENS0_5tupleIJNSA_16discard_iteratorISK_EESF_EEENSM_IJSG_SG_EEES6_PlJS6_EEE10hipError_tPvRmT3_T4_T5_T6_T7_T9_mT8_P12ihipStream_tbDpT10_ENKUlT_T0_E_clISt17integral_constantIbLb0EES1A_IbLb1EEEEDaS16_S17_EUlS16_E_NS1_11comp_targetILNS1_3genE3ELNS1_11target_archE908ELNS1_3gpuE7ELNS1_3repE0EEENS1_30default_config_static_selectorELNS0_4arch9wavefront6targetE1EEEvT1_ ; -- Begin function _ZN7rocprim17ROCPRIM_400000_NS6detail17trampoline_kernelINS0_14default_configENS1_25partition_config_selectorILNS1_17partition_subalgoE1EyNS0_10empty_typeEbEEZZNS1_14partition_implILS5_1ELb0ES3_jN6thrust23THRUST_200600_302600_NS6detail15normal_iteratorINSA_10device_ptrIyEEEEPS6_NSA_18transform_iteratorI7is_evenIyESF_NSA_11use_defaultESK_EENS0_5tupleIJNSA_16discard_iteratorISK_EESF_EEENSM_IJSG_SG_EEES6_PlJS6_EEE10hipError_tPvRmT3_T4_T5_T6_T7_T9_mT8_P12ihipStream_tbDpT10_ENKUlT_T0_E_clISt17integral_constantIbLb0EES1A_IbLb1EEEEDaS16_S17_EUlS16_E_NS1_11comp_targetILNS1_3genE3ELNS1_11target_archE908ELNS1_3gpuE7ELNS1_3repE0EEENS1_30default_config_static_selectorELNS0_4arch9wavefront6targetE1EEEvT1_
	.globl	_ZN7rocprim17ROCPRIM_400000_NS6detail17trampoline_kernelINS0_14default_configENS1_25partition_config_selectorILNS1_17partition_subalgoE1EyNS0_10empty_typeEbEEZZNS1_14partition_implILS5_1ELb0ES3_jN6thrust23THRUST_200600_302600_NS6detail15normal_iteratorINSA_10device_ptrIyEEEEPS6_NSA_18transform_iteratorI7is_evenIyESF_NSA_11use_defaultESK_EENS0_5tupleIJNSA_16discard_iteratorISK_EESF_EEENSM_IJSG_SG_EEES6_PlJS6_EEE10hipError_tPvRmT3_T4_T5_T6_T7_T9_mT8_P12ihipStream_tbDpT10_ENKUlT_T0_E_clISt17integral_constantIbLb0EES1A_IbLb1EEEEDaS16_S17_EUlS16_E_NS1_11comp_targetILNS1_3genE3ELNS1_11target_archE908ELNS1_3gpuE7ELNS1_3repE0EEENS1_30default_config_static_selectorELNS0_4arch9wavefront6targetE1EEEvT1_
	.p2align	8
	.type	_ZN7rocprim17ROCPRIM_400000_NS6detail17trampoline_kernelINS0_14default_configENS1_25partition_config_selectorILNS1_17partition_subalgoE1EyNS0_10empty_typeEbEEZZNS1_14partition_implILS5_1ELb0ES3_jN6thrust23THRUST_200600_302600_NS6detail15normal_iteratorINSA_10device_ptrIyEEEEPS6_NSA_18transform_iteratorI7is_evenIyESF_NSA_11use_defaultESK_EENS0_5tupleIJNSA_16discard_iteratorISK_EESF_EEENSM_IJSG_SG_EEES6_PlJS6_EEE10hipError_tPvRmT3_T4_T5_T6_T7_T9_mT8_P12ihipStream_tbDpT10_ENKUlT_T0_E_clISt17integral_constantIbLb0EES1A_IbLb1EEEEDaS16_S17_EUlS16_E_NS1_11comp_targetILNS1_3genE3ELNS1_11target_archE908ELNS1_3gpuE7ELNS1_3repE0EEENS1_30default_config_static_selectorELNS0_4arch9wavefront6targetE1EEEvT1_,@function
_ZN7rocprim17ROCPRIM_400000_NS6detail17trampoline_kernelINS0_14default_configENS1_25partition_config_selectorILNS1_17partition_subalgoE1EyNS0_10empty_typeEbEEZZNS1_14partition_implILS5_1ELb0ES3_jN6thrust23THRUST_200600_302600_NS6detail15normal_iteratorINSA_10device_ptrIyEEEEPS6_NSA_18transform_iteratorI7is_evenIyESF_NSA_11use_defaultESK_EENS0_5tupleIJNSA_16discard_iteratorISK_EESF_EEENSM_IJSG_SG_EEES6_PlJS6_EEE10hipError_tPvRmT3_T4_T5_T6_T7_T9_mT8_P12ihipStream_tbDpT10_ENKUlT_T0_E_clISt17integral_constantIbLb0EES1A_IbLb1EEEEDaS16_S17_EUlS16_E_NS1_11comp_targetILNS1_3genE3ELNS1_11target_archE908ELNS1_3gpuE7ELNS1_3repE0EEENS1_30default_config_static_selectorELNS0_4arch9wavefront6targetE1EEEvT1_: ; @_ZN7rocprim17ROCPRIM_400000_NS6detail17trampoline_kernelINS0_14default_configENS1_25partition_config_selectorILNS1_17partition_subalgoE1EyNS0_10empty_typeEbEEZZNS1_14partition_implILS5_1ELb0ES3_jN6thrust23THRUST_200600_302600_NS6detail15normal_iteratorINSA_10device_ptrIyEEEEPS6_NSA_18transform_iteratorI7is_evenIyESF_NSA_11use_defaultESK_EENS0_5tupleIJNSA_16discard_iteratorISK_EESF_EEENSM_IJSG_SG_EEES6_PlJS6_EEE10hipError_tPvRmT3_T4_T5_T6_T7_T9_mT8_P12ihipStream_tbDpT10_ENKUlT_T0_E_clISt17integral_constantIbLb0EES1A_IbLb1EEEEDaS16_S17_EUlS16_E_NS1_11comp_targetILNS1_3genE3ELNS1_11target_archE908ELNS1_3gpuE7ELNS1_3repE0EEENS1_30default_config_static_selectorELNS0_4arch9wavefront6targetE1EEEvT1_
; %bb.0:
	.section	.rodata,"a",@progbits
	.p2align	6, 0x0
	.amdhsa_kernel _ZN7rocprim17ROCPRIM_400000_NS6detail17trampoline_kernelINS0_14default_configENS1_25partition_config_selectorILNS1_17partition_subalgoE1EyNS0_10empty_typeEbEEZZNS1_14partition_implILS5_1ELb0ES3_jN6thrust23THRUST_200600_302600_NS6detail15normal_iteratorINSA_10device_ptrIyEEEEPS6_NSA_18transform_iteratorI7is_evenIyESF_NSA_11use_defaultESK_EENS0_5tupleIJNSA_16discard_iteratorISK_EESF_EEENSM_IJSG_SG_EEES6_PlJS6_EEE10hipError_tPvRmT3_T4_T5_T6_T7_T9_mT8_P12ihipStream_tbDpT10_ENKUlT_T0_E_clISt17integral_constantIbLb0EES1A_IbLb1EEEEDaS16_S17_EUlS16_E_NS1_11comp_targetILNS1_3genE3ELNS1_11target_archE908ELNS1_3gpuE7ELNS1_3repE0EEENS1_30default_config_static_selectorELNS0_4arch9wavefront6targetE1EEEvT1_
		.amdhsa_group_segment_fixed_size 0
		.amdhsa_private_segment_fixed_size 0
		.amdhsa_kernarg_size 152
		.amdhsa_user_sgpr_count 6
		.amdhsa_user_sgpr_private_segment_buffer 1
		.amdhsa_user_sgpr_dispatch_ptr 0
		.amdhsa_user_sgpr_queue_ptr 0
		.amdhsa_user_sgpr_kernarg_segment_ptr 1
		.amdhsa_user_sgpr_dispatch_id 0
		.amdhsa_user_sgpr_flat_scratch_init 0
		.amdhsa_user_sgpr_kernarg_preload_length 0
		.amdhsa_user_sgpr_kernarg_preload_offset 0
		.amdhsa_user_sgpr_private_segment_size 0
		.amdhsa_uses_dynamic_stack 0
		.amdhsa_system_sgpr_private_segment_wavefront_offset 0
		.amdhsa_system_sgpr_workgroup_id_x 1
		.amdhsa_system_sgpr_workgroup_id_y 0
		.amdhsa_system_sgpr_workgroup_id_z 0
		.amdhsa_system_sgpr_workgroup_info 0
		.amdhsa_system_vgpr_workitem_id 0
		.amdhsa_next_free_vgpr 1
		.amdhsa_next_free_sgpr 0
		.amdhsa_accum_offset 4
		.amdhsa_reserve_vcc 0
		.amdhsa_reserve_flat_scratch 0
		.amdhsa_float_round_mode_32 0
		.amdhsa_float_round_mode_16_64 0
		.amdhsa_float_denorm_mode_32 3
		.amdhsa_float_denorm_mode_16_64 3
		.amdhsa_dx10_clamp 1
		.amdhsa_ieee_mode 1
		.amdhsa_fp16_overflow 0
		.amdhsa_tg_split 0
		.amdhsa_exception_fp_ieee_invalid_op 0
		.amdhsa_exception_fp_denorm_src 0
		.amdhsa_exception_fp_ieee_div_zero 0
		.amdhsa_exception_fp_ieee_overflow 0
		.amdhsa_exception_fp_ieee_underflow 0
		.amdhsa_exception_fp_ieee_inexact 0
		.amdhsa_exception_int_div_zero 0
	.end_amdhsa_kernel
	.section	.text._ZN7rocprim17ROCPRIM_400000_NS6detail17trampoline_kernelINS0_14default_configENS1_25partition_config_selectorILNS1_17partition_subalgoE1EyNS0_10empty_typeEbEEZZNS1_14partition_implILS5_1ELb0ES3_jN6thrust23THRUST_200600_302600_NS6detail15normal_iteratorINSA_10device_ptrIyEEEEPS6_NSA_18transform_iteratorI7is_evenIyESF_NSA_11use_defaultESK_EENS0_5tupleIJNSA_16discard_iteratorISK_EESF_EEENSM_IJSG_SG_EEES6_PlJS6_EEE10hipError_tPvRmT3_T4_T5_T6_T7_T9_mT8_P12ihipStream_tbDpT10_ENKUlT_T0_E_clISt17integral_constantIbLb0EES1A_IbLb1EEEEDaS16_S17_EUlS16_E_NS1_11comp_targetILNS1_3genE3ELNS1_11target_archE908ELNS1_3gpuE7ELNS1_3repE0EEENS1_30default_config_static_selectorELNS0_4arch9wavefront6targetE1EEEvT1_,"axG",@progbits,_ZN7rocprim17ROCPRIM_400000_NS6detail17trampoline_kernelINS0_14default_configENS1_25partition_config_selectorILNS1_17partition_subalgoE1EyNS0_10empty_typeEbEEZZNS1_14partition_implILS5_1ELb0ES3_jN6thrust23THRUST_200600_302600_NS6detail15normal_iteratorINSA_10device_ptrIyEEEEPS6_NSA_18transform_iteratorI7is_evenIyESF_NSA_11use_defaultESK_EENS0_5tupleIJNSA_16discard_iteratorISK_EESF_EEENSM_IJSG_SG_EEES6_PlJS6_EEE10hipError_tPvRmT3_T4_T5_T6_T7_T9_mT8_P12ihipStream_tbDpT10_ENKUlT_T0_E_clISt17integral_constantIbLb0EES1A_IbLb1EEEEDaS16_S17_EUlS16_E_NS1_11comp_targetILNS1_3genE3ELNS1_11target_archE908ELNS1_3gpuE7ELNS1_3repE0EEENS1_30default_config_static_selectorELNS0_4arch9wavefront6targetE1EEEvT1_,comdat
.Lfunc_end2966:
	.size	_ZN7rocprim17ROCPRIM_400000_NS6detail17trampoline_kernelINS0_14default_configENS1_25partition_config_selectorILNS1_17partition_subalgoE1EyNS0_10empty_typeEbEEZZNS1_14partition_implILS5_1ELb0ES3_jN6thrust23THRUST_200600_302600_NS6detail15normal_iteratorINSA_10device_ptrIyEEEEPS6_NSA_18transform_iteratorI7is_evenIyESF_NSA_11use_defaultESK_EENS0_5tupleIJNSA_16discard_iteratorISK_EESF_EEENSM_IJSG_SG_EEES6_PlJS6_EEE10hipError_tPvRmT3_T4_T5_T6_T7_T9_mT8_P12ihipStream_tbDpT10_ENKUlT_T0_E_clISt17integral_constantIbLb0EES1A_IbLb1EEEEDaS16_S17_EUlS16_E_NS1_11comp_targetILNS1_3genE3ELNS1_11target_archE908ELNS1_3gpuE7ELNS1_3repE0EEENS1_30default_config_static_selectorELNS0_4arch9wavefront6targetE1EEEvT1_, .Lfunc_end2966-_ZN7rocprim17ROCPRIM_400000_NS6detail17trampoline_kernelINS0_14default_configENS1_25partition_config_selectorILNS1_17partition_subalgoE1EyNS0_10empty_typeEbEEZZNS1_14partition_implILS5_1ELb0ES3_jN6thrust23THRUST_200600_302600_NS6detail15normal_iteratorINSA_10device_ptrIyEEEEPS6_NSA_18transform_iteratorI7is_evenIyESF_NSA_11use_defaultESK_EENS0_5tupleIJNSA_16discard_iteratorISK_EESF_EEENSM_IJSG_SG_EEES6_PlJS6_EEE10hipError_tPvRmT3_T4_T5_T6_T7_T9_mT8_P12ihipStream_tbDpT10_ENKUlT_T0_E_clISt17integral_constantIbLb0EES1A_IbLb1EEEEDaS16_S17_EUlS16_E_NS1_11comp_targetILNS1_3genE3ELNS1_11target_archE908ELNS1_3gpuE7ELNS1_3repE0EEENS1_30default_config_static_selectorELNS0_4arch9wavefront6targetE1EEEvT1_
                                        ; -- End function
	.section	.AMDGPU.csdata,"",@progbits
; Kernel info:
; codeLenInByte = 0
; NumSgprs: 4
; NumVgprs: 0
; NumAgprs: 0
; TotalNumVgprs: 0
; ScratchSize: 0
; MemoryBound: 0
; FloatMode: 240
; IeeeMode: 1
; LDSByteSize: 0 bytes/workgroup (compile time only)
; SGPRBlocks: 0
; VGPRBlocks: 0
; NumSGPRsForWavesPerEU: 4
; NumVGPRsForWavesPerEU: 1
; AccumOffset: 4
; Occupancy: 8
; WaveLimiterHint : 0
; COMPUTE_PGM_RSRC2:SCRATCH_EN: 0
; COMPUTE_PGM_RSRC2:USER_SGPR: 6
; COMPUTE_PGM_RSRC2:TRAP_HANDLER: 0
; COMPUTE_PGM_RSRC2:TGID_X_EN: 1
; COMPUTE_PGM_RSRC2:TGID_Y_EN: 0
; COMPUTE_PGM_RSRC2:TGID_Z_EN: 0
; COMPUTE_PGM_RSRC2:TIDIG_COMP_CNT: 0
; COMPUTE_PGM_RSRC3_GFX90A:ACCUM_OFFSET: 0
; COMPUTE_PGM_RSRC3_GFX90A:TG_SPLIT: 0
	.section	.text._ZN7rocprim17ROCPRIM_400000_NS6detail17trampoline_kernelINS0_14default_configENS1_25partition_config_selectorILNS1_17partition_subalgoE1EyNS0_10empty_typeEbEEZZNS1_14partition_implILS5_1ELb0ES3_jN6thrust23THRUST_200600_302600_NS6detail15normal_iteratorINSA_10device_ptrIyEEEEPS6_NSA_18transform_iteratorI7is_evenIyESF_NSA_11use_defaultESK_EENS0_5tupleIJNSA_16discard_iteratorISK_EESF_EEENSM_IJSG_SG_EEES6_PlJS6_EEE10hipError_tPvRmT3_T4_T5_T6_T7_T9_mT8_P12ihipStream_tbDpT10_ENKUlT_T0_E_clISt17integral_constantIbLb0EES1A_IbLb1EEEEDaS16_S17_EUlS16_E_NS1_11comp_targetILNS1_3genE2ELNS1_11target_archE906ELNS1_3gpuE6ELNS1_3repE0EEENS1_30default_config_static_selectorELNS0_4arch9wavefront6targetE1EEEvT1_,"axG",@progbits,_ZN7rocprim17ROCPRIM_400000_NS6detail17trampoline_kernelINS0_14default_configENS1_25partition_config_selectorILNS1_17partition_subalgoE1EyNS0_10empty_typeEbEEZZNS1_14partition_implILS5_1ELb0ES3_jN6thrust23THRUST_200600_302600_NS6detail15normal_iteratorINSA_10device_ptrIyEEEEPS6_NSA_18transform_iteratorI7is_evenIyESF_NSA_11use_defaultESK_EENS0_5tupleIJNSA_16discard_iteratorISK_EESF_EEENSM_IJSG_SG_EEES6_PlJS6_EEE10hipError_tPvRmT3_T4_T5_T6_T7_T9_mT8_P12ihipStream_tbDpT10_ENKUlT_T0_E_clISt17integral_constantIbLb0EES1A_IbLb1EEEEDaS16_S17_EUlS16_E_NS1_11comp_targetILNS1_3genE2ELNS1_11target_archE906ELNS1_3gpuE6ELNS1_3repE0EEENS1_30default_config_static_selectorELNS0_4arch9wavefront6targetE1EEEvT1_,comdat
	.protected	_ZN7rocprim17ROCPRIM_400000_NS6detail17trampoline_kernelINS0_14default_configENS1_25partition_config_selectorILNS1_17partition_subalgoE1EyNS0_10empty_typeEbEEZZNS1_14partition_implILS5_1ELb0ES3_jN6thrust23THRUST_200600_302600_NS6detail15normal_iteratorINSA_10device_ptrIyEEEEPS6_NSA_18transform_iteratorI7is_evenIyESF_NSA_11use_defaultESK_EENS0_5tupleIJNSA_16discard_iteratorISK_EESF_EEENSM_IJSG_SG_EEES6_PlJS6_EEE10hipError_tPvRmT3_T4_T5_T6_T7_T9_mT8_P12ihipStream_tbDpT10_ENKUlT_T0_E_clISt17integral_constantIbLb0EES1A_IbLb1EEEEDaS16_S17_EUlS16_E_NS1_11comp_targetILNS1_3genE2ELNS1_11target_archE906ELNS1_3gpuE6ELNS1_3repE0EEENS1_30default_config_static_selectorELNS0_4arch9wavefront6targetE1EEEvT1_ ; -- Begin function _ZN7rocprim17ROCPRIM_400000_NS6detail17trampoline_kernelINS0_14default_configENS1_25partition_config_selectorILNS1_17partition_subalgoE1EyNS0_10empty_typeEbEEZZNS1_14partition_implILS5_1ELb0ES3_jN6thrust23THRUST_200600_302600_NS6detail15normal_iteratorINSA_10device_ptrIyEEEEPS6_NSA_18transform_iteratorI7is_evenIyESF_NSA_11use_defaultESK_EENS0_5tupleIJNSA_16discard_iteratorISK_EESF_EEENSM_IJSG_SG_EEES6_PlJS6_EEE10hipError_tPvRmT3_T4_T5_T6_T7_T9_mT8_P12ihipStream_tbDpT10_ENKUlT_T0_E_clISt17integral_constantIbLb0EES1A_IbLb1EEEEDaS16_S17_EUlS16_E_NS1_11comp_targetILNS1_3genE2ELNS1_11target_archE906ELNS1_3gpuE6ELNS1_3repE0EEENS1_30default_config_static_selectorELNS0_4arch9wavefront6targetE1EEEvT1_
	.globl	_ZN7rocprim17ROCPRIM_400000_NS6detail17trampoline_kernelINS0_14default_configENS1_25partition_config_selectorILNS1_17partition_subalgoE1EyNS0_10empty_typeEbEEZZNS1_14partition_implILS5_1ELb0ES3_jN6thrust23THRUST_200600_302600_NS6detail15normal_iteratorINSA_10device_ptrIyEEEEPS6_NSA_18transform_iteratorI7is_evenIyESF_NSA_11use_defaultESK_EENS0_5tupleIJNSA_16discard_iteratorISK_EESF_EEENSM_IJSG_SG_EEES6_PlJS6_EEE10hipError_tPvRmT3_T4_T5_T6_T7_T9_mT8_P12ihipStream_tbDpT10_ENKUlT_T0_E_clISt17integral_constantIbLb0EES1A_IbLb1EEEEDaS16_S17_EUlS16_E_NS1_11comp_targetILNS1_3genE2ELNS1_11target_archE906ELNS1_3gpuE6ELNS1_3repE0EEENS1_30default_config_static_selectorELNS0_4arch9wavefront6targetE1EEEvT1_
	.p2align	8
	.type	_ZN7rocprim17ROCPRIM_400000_NS6detail17trampoline_kernelINS0_14default_configENS1_25partition_config_selectorILNS1_17partition_subalgoE1EyNS0_10empty_typeEbEEZZNS1_14partition_implILS5_1ELb0ES3_jN6thrust23THRUST_200600_302600_NS6detail15normal_iteratorINSA_10device_ptrIyEEEEPS6_NSA_18transform_iteratorI7is_evenIyESF_NSA_11use_defaultESK_EENS0_5tupleIJNSA_16discard_iteratorISK_EESF_EEENSM_IJSG_SG_EEES6_PlJS6_EEE10hipError_tPvRmT3_T4_T5_T6_T7_T9_mT8_P12ihipStream_tbDpT10_ENKUlT_T0_E_clISt17integral_constantIbLb0EES1A_IbLb1EEEEDaS16_S17_EUlS16_E_NS1_11comp_targetILNS1_3genE2ELNS1_11target_archE906ELNS1_3gpuE6ELNS1_3repE0EEENS1_30default_config_static_selectorELNS0_4arch9wavefront6targetE1EEEvT1_,@function
_ZN7rocprim17ROCPRIM_400000_NS6detail17trampoline_kernelINS0_14default_configENS1_25partition_config_selectorILNS1_17partition_subalgoE1EyNS0_10empty_typeEbEEZZNS1_14partition_implILS5_1ELb0ES3_jN6thrust23THRUST_200600_302600_NS6detail15normal_iteratorINSA_10device_ptrIyEEEEPS6_NSA_18transform_iteratorI7is_evenIyESF_NSA_11use_defaultESK_EENS0_5tupleIJNSA_16discard_iteratorISK_EESF_EEENSM_IJSG_SG_EEES6_PlJS6_EEE10hipError_tPvRmT3_T4_T5_T6_T7_T9_mT8_P12ihipStream_tbDpT10_ENKUlT_T0_E_clISt17integral_constantIbLb0EES1A_IbLb1EEEEDaS16_S17_EUlS16_E_NS1_11comp_targetILNS1_3genE2ELNS1_11target_archE906ELNS1_3gpuE6ELNS1_3repE0EEENS1_30default_config_static_selectorELNS0_4arch9wavefront6targetE1EEEvT1_: ; @_ZN7rocprim17ROCPRIM_400000_NS6detail17trampoline_kernelINS0_14default_configENS1_25partition_config_selectorILNS1_17partition_subalgoE1EyNS0_10empty_typeEbEEZZNS1_14partition_implILS5_1ELb0ES3_jN6thrust23THRUST_200600_302600_NS6detail15normal_iteratorINSA_10device_ptrIyEEEEPS6_NSA_18transform_iteratorI7is_evenIyESF_NSA_11use_defaultESK_EENS0_5tupleIJNSA_16discard_iteratorISK_EESF_EEENSM_IJSG_SG_EEES6_PlJS6_EEE10hipError_tPvRmT3_T4_T5_T6_T7_T9_mT8_P12ihipStream_tbDpT10_ENKUlT_T0_E_clISt17integral_constantIbLb0EES1A_IbLb1EEEEDaS16_S17_EUlS16_E_NS1_11comp_targetILNS1_3genE2ELNS1_11target_archE906ELNS1_3gpuE6ELNS1_3repE0EEENS1_30default_config_static_selectorELNS0_4arch9wavefront6targetE1EEEvT1_
; %bb.0:
	.section	.rodata,"a",@progbits
	.p2align	6, 0x0
	.amdhsa_kernel _ZN7rocprim17ROCPRIM_400000_NS6detail17trampoline_kernelINS0_14default_configENS1_25partition_config_selectorILNS1_17partition_subalgoE1EyNS0_10empty_typeEbEEZZNS1_14partition_implILS5_1ELb0ES3_jN6thrust23THRUST_200600_302600_NS6detail15normal_iteratorINSA_10device_ptrIyEEEEPS6_NSA_18transform_iteratorI7is_evenIyESF_NSA_11use_defaultESK_EENS0_5tupleIJNSA_16discard_iteratorISK_EESF_EEENSM_IJSG_SG_EEES6_PlJS6_EEE10hipError_tPvRmT3_T4_T5_T6_T7_T9_mT8_P12ihipStream_tbDpT10_ENKUlT_T0_E_clISt17integral_constantIbLb0EES1A_IbLb1EEEEDaS16_S17_EUlS16_E_NS1_11comp_targetILNS1_3genE2ELNS1_11target_archE906ELNS1_3gpuE6ELNS1_3repE0EEENS1_30default_config_static_selectorELNS0_4arch9wavefront6targetE1EEEvT1_
		.amdhsa_group_segment_fixed_size 0
		.amdhsa_private_segment_fixed_size 0
		.amdhsa_kernarg_size 152
		.amdhsa_user_sgpr_count 6
		.amdhsa_user_sgpr_private_segment_buffer 1
		.amdhsa_user_sgpr_dispatch_ptr 0
		.amdhsa_user_sgpr_queue_ptr 0
		.amdhsa_user_sgpr_kernarg_segment_ptr 1
		.amdhsa_user_sgpr_dispatch_id 0
		.amdhsa_user_sgpr_flat_scratch_init 0
		.amdhsa_user_sgpr_kernarg_preload_length 0
		.amdhsa_user_sgpr_kernarg_preload_offset 0
		.amdhsa_user_sgpr_private_segment_size 0
		.amdhsa_uses_dynamic_stack 0
		.amdhsa_system_sgpr_private_segment_wavefront_offset 0
		.amdhsa_system_sgpr_workgroup_id_x 1
		.amdhsa_system_sgpr_workgroup_id_y 0
		.amdhsa_system_sgpr_workgroup_id_z 0
		.amdhsa_system_sgpr_workgroup_info 0
		.amdhsa_system_vgpr_workitem_id 0
		.amdhsa_next_free_vgpr 1
		.amdhsa_next_free_sgpr 0
		.amdhsa_accum_offset 4
		.amdhsa_reserve_vcc 0
		.amdhsa_reserve_flat_scratch 0
		.amdhsa_float_round_mode_32 0
		.amdhsa_float_round_mode_16_64 0
		.amdhsa_float_denorm_mode_32 3
		.amdhsa_float_denorm_mode_16_64 3
		.amdhsa_dx10_clamp 1
		.amdhsa_ieee_mode 1
		.amdhsa_fp16_overflow 0
		.amdhsa_tg_split 0
		.amdhsa_exception_fp_ieee_invalid_op 0
		.amdhsa_exception_fp_denorm_src 0
		.amdhsa_exception_fp_ieee_div_zero 0
		.amdhsa_exception_fp_ieee_overflow 0
		.amdhsa_exception_fp_ieee_underflow 0
		.amdhsa_exception_fp_ieee_inexact 0
		.amdhsa_exception_int_div_zero 0
	.end_amdhsa_kernel
	.section	.text._ZN7rocprim17ROCPRIM_400000_NS6detail17trampoline_kernelINS0_14default_configENS1_25partition_config_selectorILNS1_17partition_subalgoE1EyNS0_10empty_typeEbEEZZNS1_14partition_implILS5_1ELb0ES3_jN6thrust23THRUST_200600_302600_NS6detail15normal_iteratorINSA_10device_ptrIyEEEEPS6_NSA_18transform_iteratorI7is_evenIyESF_NSA_11use_defaultESK_EENS0_5tupleIJNSA_16discard_iteratorISK_EESF_EEENSM_IJSG_SG_EEES6_PlJS6_EEE10hipError_tPvRmT3_T4_T5_T6_T7_T9_mT8_P12ihipStream_tbDpT10_ENKUlT_T0_E_clISt17integral_constantIbLb0EES1A_IbLb1EEEEDaS16_S17_EUlS16_E_NS1_11comp_targetILNS1_3genE2ELNS1_11target_archE906ELNS1_3gpuE6ELNS1_3repE0EEENS1_30default_config_static_selectorELNS0_4arch9wavefront6targetE1EEEvT1_,"axG",@progbits,_ZN7rocprim17ROCPRIM_400000_NS6detail17trampoline_kernelINS0_14default_configENS1_25partition_config_selectorILNS1_17partition_subalgoE1EyNS0_10empty_typeEbEEZZNS1_14partition_implILS5_1ELb0ES3_jN6thrust23THRUST_200600_302600_NS6detail15normal_iteratorINSA_10device_ptrIyEEEEPS6_NSA_18transform_iteratorI7is_evenIyESF_NSA_11use_defaultESK_EENS0_5tupleIJNSA_16discard_iteratorISK_EESF_EEENSM_IJSG_SG_EEES6_PlJS6_EEE10hipError_tPvRmT3_T4_T5_T6_T7_T9_mT8_P12ihipStream_tbDpT10_ENKUlT_T0_E_clISt17integral_constantIbLb0EES1A_IbLb1EEEEDaS16_S17_EUlS16_E_NS1_11comp_targetILNS1_3genE2ELNS1_11target_archE906ELNS1_3gpuE6ELNS1_3repE0EEENS1_30default_config_static_selectorELNS0_4arch9wavefront6targetE1EEEvT1_,comdat
.Lfunc_end2967:
	.size	_ZN7rocprim17ROCPRIM_400000_NS6detail17trampoline_kernelINS0_14default_configENS1_25partition_config_selectorILNS1_17partition_subalgoE1EyNS0_10empty_typeEbEEZZNS1_14partition_implILS5_1ELb0ES3_jN6thrust23THRUST_200600_302600_NS6detail15normal_iteratorINSA_10device_ptrIyEEEEPS6_NSA_18transform_iteratorI7is_evenIyESF_NSA_11use_defaultESK_EENS0_5tupleIJNSA_16discard_iteratorISK_EESF_EEENSM_IJSG_SG_EEES6_PlJS6_EEE10hipError_tPvRmT3_T4_T5_T6_T7_T9_mT8_P12ihipStream_tbDpT10_ENKUlT_T0_E_clISt17integral_constantIbLb0EES1A_IbLb1EEEEDaS16_S17_EUlS16_E_NS1_11comp_targetILNS1_3genE2ELNS1_11target_archE906ELNS1_3gpuE6ELNS1_3repE0EEENS1_30default_config_static_selectorELNS0_4arch9wavefront6targetE1EEEvT1_, .Lfunc_end2967-_ZN7rocprim17ROCPRIM_400000_NS6detail17trampoline_kernelINS0_14default_configENS1_25partition_config_selectorILNS1_17partition_subalgoE1EyNS0_10empty_typeEbEEZZNS1_14partition_implILS5_1ELb0ES3_jN6thrust23THRUST_200600_302600_NS6detail15normal_iteratorINSA_10device_ptrIyEEEEPS6_NSA_18transform_iteratorI7is_evenIyESF_NSA_11use_defaultESK_EENS0_5tupleIJNSA_16discard_iteratorISK_EESF_EEENSM_IJSG_SG_EEES6_PlJS6_EEE10hipError_tPvRmT3_T4_T5_T6_T7_T9_mT8_P12ihipStream_tbDpT10_ENKUlT_T0_E_clISt17integral_constantIbLb0EES1A_IbLb1EEEEDaS16_S17_EUlS16_E_NS1_11comp_targetILNS1_3genE2ELNS1_11target_archE906ELNS1_3gpuE6ELNS1_3repE0EEENS1_30default_config_static_selectorELNS0_4arch9wavefront6targetE1EEEvT1_
                                        ; -- End function
	.section	.AMDGPU.csdata,"",@progbits
; Kernel info:
; codeLenInByte = 0
; NumSgprs: 4
; NumVgprs: 0
; NumAgprs: 0
; TotalNumVgprs: 0
; ScratchSize: 0
; MemoryBound: 0
; FloatMode: 240
; IeeeMode: 1
; LDSByteSize: 0 bytes/workgroup (compile time only)
; SGPRBlocks: 0
; VGPRBlocks: 0
; NumSGPRsForWavesPerEU: 4
; NumVGPRsForWavesPerEU: 1
; AccumOffset: 4
; Occupancy: 8
; WaveLimiterHint : 0
; COMPUTE_PGM_RSRC2:SCRATCH_EN: 0
; COMPUTE_PGM_RSRC2:USER_SGPR: 6
; COMPUTE_PGM_RSRC2:TRAP_HANDLER: 0
; COMPUTE_PGM_RSRC2:TGID_X_EN: 1
; COMPUTE_PGM_RSRC2:TGID_Y_EN: 0
; COMPUTE_PGM_RSRC2:TGID_Z_EN: 0
; COMPUTE_PGM_RSRC2:TIDIG_COMP_CNT: 0
; COMPUTE_PGM_RSRC3_GFX90A:ACCUM_OFFSET: 0
; COMPUTE_PGM_RSRC3_GFX90A:TG_SPLIT: 0
	.section	.text._ZN7rocprim17ROCPRIM_400000_NS6detail17trampoline_kernelINS0_14default_configENS1_25partition_config_selectorILNS1_17partition_subalgoE1EyNS0_10empty_typeEbEEZZNS1_14partition_implILS5_1ELb0ES3_jN6thrust23THRUST_200600_302600_NS6detail15normal_iteratorINSA_10device_ptrIyEEEEPS6_NSA_18transform_iteratorI7is_evenIyESF_NSA_11use_defaultESK_EENS0_5tupleIJNSA_16discard_iteratorISK_EESF_EEENSM_IJSG_SG_EEES6_PlJS6_EEE10hipError_tPvRmT3_T4_T5_T6_T7_T9_mT8_P12ihipStream_tbDpT10_ENKUlT_T0_E_clISt17integral_constantIbLb0EES1A_IbLb1EEEEDaS16_S17_EUlS16_E_NS1_11comp_targetILNS1_3genE10ELNS1_11target_archE1200ELNS1_3gpuE4ELNS1_3repE0EEENS1_30default_config_static_selectorELNS0_4arch9wavefront6targetE1EEEvT1_,"axG",@progbits,_ZN7rocprim17ROCPRIM_400000_NS6detail17trampoline_kernelINS0_14default_configENS1_25partition_config_selectorILNS1_17partition_subalgoE1EyNS0_10empty_typeEbEEZZNS1_14partition_implILS5_1ELb0ES3_jN6thrust23THRUST_200600_302600_NS6detail15normal_iteratorINSA_10device_ptrIyEEEEPS6_NSA_18transform_iteratorI7is_evenIyESF_NSA_11use_defaultESK_EENS0_5tupleIJNSA_16discard_iteratorISK_EESF_EEENSM_IJSG_SG_EEES6_PlJS6_EEE10hipError_tPvRmT3_T4_T5_T6_T7_T9_mT8_P12ihipStream_tbDpT10_ENKUlT_T0_E_clISt17integral_constantIbLb0EES1A_IbLb1EEEEDaS16_S17_EUlS16_E_NS1_11comp_targetILNS1_3genE10ELNS1_11target_archE1200ELNS1_3gpuE4ELNS1_3repE0EEENS1_30default_config_static_selectorELNS0_4arch9wavefront6targetE1EEEvT1_,comdat
	.protected	_ZN7rocprim17ROCPRIM_400000_NS6detail17trampoline_kernelINS0_14default_configENS1_25partition_config_selectorILNS1_17partition_subalgoE1EyNS0_10empty_typeEbEEZZNS1_14partition_implILS5_1ELb0ES3_jN6thrust23THRUST_200600_302600_NS6detail15normal_iteratorINSA_10device_ptrIyEEEEPS6_NSA_18transform_iteratorI7is_evenIyESF_NSA_11use_defaultESK_EENS0_5tupleIJNSA_16discard_iteratorISK_EESF_EEENSM_IJSG_SG_EEES6_PlJS6_EEE10hipError_tPvRmT3_T4_T5_T6_T7_T9_mT8_P12ihipStream_tbDpT10_ENKUlT_T0_E_clISt17integral_constantIbLb0EES1A_IbLb1EEEEDaS16_S17_EUlS16_E_NS1_11comp_targetILNS1_3genE10ELNS1_11target_archE1200ELNS1_3gpuE4ELNS1_3repE0EEENS1_30default_config_static_selectorELNS0_4arch9wavefront6targetE1EEEvT1_ ; -- Begin function _ZN7rocprim17ROCPRIM_400000_NS6detail17trampoline_kernelINS0_14default_configENS1_25partition_config_selectorILNS1_17partition_subalgoE1EyNS0_10empty_typeEbEEZZNS1_14partition_implILS5_1ELb0ES3_jN6thrust23THRUST_200600_302600_NS6detail15normal_iteratorINSA_10device_ptrIyEEEEPS6_NSA_18transform_iteratorI7is_evenIyESF_NSA_11use_defaultESK_EENS0_5tupleIJNSA_16discard_iteratorISK_EESF_EEENSM_IJSG_SG_EEES6_PlJS6_EEE10hipError_tPvRmT3_T4_T5_T6_T7_T9_mT8_P12ihipStream_tbDpT10_ENKUlT_T0_E_clISt17integral_constantIbLb0EES1A_IbLb1EEEEDaS16_S17_EUlS16_E_NS1_11comp_targetILNS1_3genE10ELNS1_11target_archE1200ELNS1_3gpuE4ELNS1_3repE0EEENS1_30default_config_static_selectorELNS0_4arch9wavefront6targetE1EEEvT1_
	.globl	_ZN7rocprim17ROCPRIM_400000_NS6detail17trampoline_kernelINS0_14default_configENS1_25partition_config_selectorILNS1_17partition_subalgoE1EyNS0_10empty_typeEbEEZZNS1_14partition_implILS5_1ELb0ES3_jN6thrust23THRUST_200600_302600_NS6detail15normal_iteratorINSA_10device_ptrIyEEEEPS6_NSA_18transform_iteratorI7is_evenIyESF_NSA_11use_defaultESK_EENS0_5tupleIJNSA_16discard_iteratorISK_EESF_EEENSM_IJSG_SG_EEES6_PlJS6_EEE10hipError_tPvRmT3_T4_T5_T6_T7_T9_mT8_P12ihipStream_tbDpT10_ENKUlT_T0_E_clISt17integral_constantIbLb0EES1A_IbLb1EEEEDaS16_S17_EUlS16_E_NS1_11comp_targetILNS1_3genE10ELNS1_11target_archE1200ELNS1_3gpuE4ELNS1_3repE0EEENS1_30default_config_static_selectorELNS0_4arch9wavefront6targetE1EEEvT1_
	.p2align	8
	.type	_ZN7rocprim17ROCPRIM_400000_NS6detail17trampoline_kernelINS0_14default_configENS1_25partition_config_selectorILNS1_17partition_subalgoE1EyNS0_10empty_typeEbEEZZNS1_14partition_implILS5_1ELb0ES3_jN6thrust23THRUST_200600_302600_NS6detail15normal_iteratorINSA_10device_ptrIyEEEEPS6_NSA_18transform_iteratorI7is_evenIyESF_NSA_11use_defaultESK_EENS0_5tupleIJNSA_16discard_iteratorISK_EESF_EEENSM_IJSG_SG_EEES6_PlJS6_EEE10hipError_tPvRmT3_T4_T5_T6_T7_T9_mT8_P12ihipStream_tbDpT10_ENKUlT_T0_E_clISt17integral_constantIbLb0EES1A_IbLb1EEEEDaS16_S17_EUlS16_E_NS1_11comp_targetILNS1_3genE10ELNS1_11target_archE1200ELNS1_3gpuE4ELNS1_3repE0EEENS1_30default_config_static_selectorELNS0_4arch9wavefront6targetE1EEEvT1_,@function
_ZN7rocprim17ROCPRIM_400000_NS6detail17trampoline_kernelINS0_14default_configENS1_25partition_config_selectorILNS1_17partition_subalgoE1EyNS0_10empty_typeEbEEZZNS1_14partition_implILS5_1ELb0ES3_jN6thrust23THRUST_200600_302600_NS6detail15normal_iteratorINSA_10device_ptrIyEEEEPS6_NSA_18transform_iteratorI7is_evenIyESF_NSA_11use_defaultESK_EENS0_5tupleIJNSA_16discard_iteratorISK_EESF_EEENSM_IJSG_SG_EEES6_PlJS6_EEE10hipError_tPvRmT3_T4_T5_T6_T7_T9_mT8_P12ihipStream_tbDpT10_ENKUlT_T0_E_clISt17integral_constantIbLb0EES1A_IbLb1EEEEDaS16_S17_EUlS16_E_NS1_11comp_targetILNS1_3genE10ELNS1_11target_archE1200ELNS1_3gpuE4ELNS1_3repE0EEENS1_30default_config_static_selectorELNS0_4arch9wavefront6targetE1EEEvT1_: ; @_ZN7rocprim17ROCPRIM_400000_NS6detail17trampoline_kernelINS0_14default_configENS1_25partition_config_selectorILNS1_17partition_subalgoE1EyNS0_10empty_typeEbEEZZNS1_14partition_implILS5_1ELb0ES3_jN6thrust23THRUST_200600_302600_NS6detail15normal_iteratorINSA_10device_ptrIyEEEEPS6_NSA_18transform_iteratorI7is_evenIyESF_NSA_11use_defaultESK_EENS0_5tupleIJNSA_16discard_iteratorISK_EESF_EEENSM_IJSG_SG_EEES6_PlJS6_EEE10hipError_tPvRmT3_T4_T5_T6_T7_T9_mT8_P12ihipStream_tbDpT10_ENKUlT_T0_E_clISt17integral_constantIbLb0EES1A_IbLb1EEEEDaS16_S17_EUlS16_E_NS1_11comp_targetILNS1_3genE10ELNS1_11target_archE1200ELNS1_3gpuE4ELNS1_3repE0EEENS1_30default_config_static_selectorELNS0_4arch9wavefront6targetE1EEEvT1_
; %bb.0:
	.section	.rodata,"a",@progbits
	.p2align	6, 0x0
	.amdhsa_kernel _ZN7rocprim17ROCPRIM_400000_NS6detail17trampoline_kernelINS0_14default_configENS1_25partition_config_selectorILNS1_17partition_subalgoE1EyNS0_10empty_typeEbEEZZNS1_14partition_implILS5_1ELb0ES3_jN6thrust23THRUST_200600_302600_NS6detail15normal_iteratorINSA_10device_ptrIyEEEEPS6_NSA_18transform_iteratorI7is_evenIyESF_NSA_11use_defaultESK_EENS0_5tupleIJNSA_16discard_iteratorISK_EESF_EEENSM_IJSG_SG_EEES6_PlJS6_EEE10hipError_tPvRmT3_T4_T5_T6_T7_T9_mT8_P12ihipStream_tbDpT10_ENKUlT_T0_E_clISt17integral_constantIbLb0EES1A_IbLb1EEEEDaS16_S17_EUlS16_E_NS1_11comp_targetILNS1_3genE10ELNS1_11target_archE1200ELNS1_3gpuE4ELNS1_3repE0EEENS1_30default_config_static_selectorELNS0_4arch9wavefront6targetE1EEEvT1_
		.amdhsa_group_segment_fixed_size 0
		.amdhsa_private_segment_fixed_size 0
		.amdhsa_kernarg_size 152
		.amdhsa_user_sgpr_count 6
		.amdhsa_user_sgpr_private_segment_buffer 1
		.amdhsa_user_sgpr_dispatch_ptr 0
		.amdhsa_user_sgpr_queue_ptr 0
		.amdhsa_user_sgpr_kernarg_segment_ptr 1
		.amdhsa_user_sgpr_dispatch_id 0
		.amdhsa_user_sgpr_flat_scratch_init 0
		.amdhsa_user_sgpr_kernarg_preload_length 0
		.amdhsa_user_sgpr_kernarg_preload_offset 0
		.amdhsa_user_sgpr_private_segment_size 0
		.amdhsa_uses_dynamic_stack 0
		.amdhsa_system_sgpr_private_segment_wavefront_offset 0
		.amdhsa_system_sgpr_workgroup_id_x 1
		.amdhsa_system_sgpr_workgroup_id_y 0
		.amdhsa_system_sgpr_workgroup_id_z 0
		.amdhsa_system_sgpr_workgroup_info 0
		.amdhsa_system_vgpr_workitem_id 0
		.amdhsa_next_free_vgpr 1
		.amdhsa_next_free_sgpr 0
		.amdhsa_accum_offset 4
		.amdhsa_reserve_vcc 0
		.amdhsa_reserve_flat_scratch 0
		.amdhsa_float_round_mode_32 0
		.amdhsa_float_round_mode_16_64 0
		.amdhsa_float_denorm_mode_32 3
		.amdhsa_float_denorm_mode_16_64 3
		.amdhsa_dx10_clamp 1
		.amdhsa_ieee_mode 1
		.amdhsa_fp16_overflow 0
		.amdhsa_tg_split 0
		.amdhsa_exception_fp_ieee_invalid_op 0
		.amdhsa_exception_fp_denorm_src 0
		.amdhsa_exception_fp_ieee_div_zero 0
		.amdhsa_exception_fp_ieee_overflow 0
		.amdhsa_exception_fp_ieee_underflow 0
		.amdhsa_exception_fp_ieee_inexact 0
		.amdhsa_exception_int_div_zero 0
	.end_amdhsa_kernel
	.section	.text._ZN7rocprim17ROCPRIM_400000_NS6detail17trampoline_kernelINS0_14default_configENS1_25partition_config_selectorILNS1_17partition_subalgoE1EyNS0_10empty_typeEbEEZZNS1_14partition_implILS5_1ELb0ES3_jN6thrust23THRUST_200600_302600_NS6detail15normal_iteratorINSA_10device_ptrIyEEEEPS6_NSA_18transform_iteratorI7is_evenIyESF_NSA_11use_defaultESK_EENS0_5tupleIJNSA_16discard_iteratorISK_EESF_EEENSM_IJSG_SG_EEES6_PlJS6_EEE10hipError_tPvRmT3_T4_T5_T6_T7_T9_mT8_P12ihipStream_tbDpT10_ENKUlT_T0_E_clISt17integral_constantIbLb0EES1A_IbLb1EEEEDaS16_S17_EUlS16_E_NS1_11comp_targetILNS1_3genE10ELNS1_11target_archE1200ELNS1_3gpuE4ELNS1_3repE0EEENS1_30default_config_static_selectorELNS0_4arch9wavefront6targetE1EEEvT1_,"axG",@progbits,_ZN7rocprim17ROCPRIM_400000_NS6detail17trampoline_kernelINS0_14default_configENS1_25partition_config_selectorILNS1_17partition_subalgoE1EyNS0_10empty_typeEbEEZZNS1_14partition_implILS5_1ELb0ES3_jN6thrust23THRUST_200600_302600_NS6detail15normal_iteratorINSA_10device_ptrIyEEEEPS6_NSA_18transform_iteratorI7is_evenIyESF_NSA_11use_defaultESK_EENS0_5tupleIJNSA_16discard_iteratorISK_EESF_EEENSM_IJSG_SG_EEES6_PlJS6_EEE10hipError_tPvRmT3_T4_T5_T6_T7_T9_mT8_P12ihipStream_tbDpT10_ENKUlT_T0_E_clISt17integral_constantIbLb0EES1A_IbLb1EEEEDaS16_S17_EUlS16_E_NS1_11comp_targetILNS1_3genE10ELNS1_11target_archE1200ELNS1_3gpuE4ELNS1_3repE0EEENS1_30default_config_static_selectorELNS0_4arch9wavefront6targetE1EEEvT1_,comdat
.Lfunc_end2968:
	.size	_ZN7rocprim17ROCPRIM_400000_NS6detail17trampoline_kernelINS0_14default_configENS1_25partition_config_selectorILNS1_17partition_subalgoE1EyNS0_10empty_typeEbEEZZNS1_14partition_implILS5_1ELb0ES3_jN6thrust23THRUST_200600_302600_NS6detail15normal_iteratorINSA_10device_ptrIyEEEEPS6_NSA_18transform_iteratorI7is_evenIyESF_NSA_11use_defaultESK_EENS0_5tupleIJNSA_16discard_iteratorISK_EESF_EEENSM_IJSG_SG_EEES6_PlJS6_EEE10hipError_tPvRmT3_T4_T5_T6_T7_T9_mT8_P12ihipStream_tbDpT10_ENKUlT_T0_E_clISt17integral_constantIbLb0EES1A_IbLb1EEEEDaS16_S17_EUlS16_E_NS1_11comp_targetILNS1_3genE10ELNS1_11target_archE1200ELNS1_3gpuE4ELNS1_3repE0EEENS1_30default_config_static_selectorELNS0_4arch9wavefront6targetE1EEEvT1_, .Lfunc_end2968-_ZN7rocprim17ROCPRIM_400000_NS6detail17trampoline_kernelINS0_14default_configENS1_25partition_config_selectorILNS1_17partition_subalgoE1EyNS0_10empty_typeEbEEZZNS1_14partition_implILS5_1ELb0ES3_jN6thrust23THRUST_200600_302600_NS6detail15normal_iteratorINSA_10device_ptrIyEEEEPS6_NSA_18transform_iteratorI7is_evenIyESF_NSA_11use_defaultESK_EENS0_5tupleIJNSA_16discard_iteratorISK_EESF_EEENSM_IJSG_SG_EEES6_PlJS6_EEE10hipError_tPvRmT3_T4_T5_T6_T7_T9_mT8_P12ihipStream_tbDpT10_ENKUlT_T0_E_clISt17integral_constantIbLb0EES1A_IbLb1EEEEDaS16_S17_EUlS16_E_NS1_11comp_targetILNS1_3genE10ELNS1_11target_archE1200ELNS1_3gpuE4ELNS1_3repE0EEENS1_30default_config_static_selectorELNS0_4arch9wavefront6targetE1EEEvT1_
                                        ; -- End function
	.section	.AMDGPU.csdata,"",@progbits
; Kernel info:
; codeLenInByte = 0
; NumSgprs: 4
; NumVgprs: 0
; NumAgprs: 0
; TotalNumVgprs: 0
; ScratchSize: 0
; MemoryBound: 0
; FloatMode: 240
; IeeeMode: 1
; LDSByteSize: 0 bytes/workgroup (compile time only)
; SGPRBlocks: 0
; VGPRBlocks: 0
; NumSGPRsForWavesPerEU: 4
; NumVGPRsForWavesPerEU: 1
; AccumOffset: 4
; Occupancy: 8
; WaveLimiterHint : 0
; COMPUTE_PGM_RSRC2:SCRATCH_EN: 0
; COMPUTE_PGM_RSRC2:USER_SGPR: 6
; COMPUTE_PGM_RSRC2:TRAP_HANDLER: 0
; COMPUTE_PGM_RSRC2:TGID_X_EN: 1
; COMPUTE_PGM_RSRC2:TGID_Y_EN: 0
; COMPUTE_PGM_RSRC2:TGID_Z_EN: 0
; COMPUTE_PGM_RSRC2:TIDIG_COMP_CNT: 0
; COMPUTE_PGM_RSRC3_GFX90A:ACCUM_OFFSET: 0
; COMPUTE_PGM_RSRC3_GFX90A:TG_SPLIT: 0
	.section	.text._ZN7rocprim17ROCPRIM_400000_NS6detail17trampoline_kernelINS0_14default_configENS1_25partition_config_selectorILNS1_17partition_subalgoE1EyNS0_10empty_typeEbEEZZNS1_14partition_implILS5_1ELb0ES3_jN6thrust23THRUST_200600_302600_NS6detail15normal_iteratorINSA_10device_ptrIyEEEEPS6_NSA_18transform_iteratorI7is_evenIyESF_NSA_11use_defaultESK_EENS0_5tupleIJNSA_16discard_iteratorISK_EESF_EEENSM_IJSG_SG_EEES6_PlJS6_EEE10hipError_tPvRmT3_T4_T5_T6_T7_T9_mT8_P12ihipStream_tbDpT10_ENKUlT_T0_E_clISt17integral_constantIbLb0EES1A_IbLb1EEEEDaS16_S17_EUlS16_E_NS1_11comp_targetILNS1_3genE9ELNS1_11target_archE1100ELNS1_3gpuE3ELNS1_3repE0EEENS1_30default_config_static_selectorELNS0_4arch9wavefront6targetE1EEEvT1_,"axG",@progbits,_ZN7rocprim17ROCPRIM_400000_NS6detail17trampoline_kernelINS0_14default_configENS1_25partition_config_selectorILNS1_17partition_subalgoE1EyNS0_10empty_typeEbEEZZNS1_14partition_implILS5_1ELb0ES3_jN6thrust23THRUST_200600_302600_NS6detail15normal_iteratorINSA_10device_ptrIyEEEEPS6_NSA_18transform_iteratorI7is_evenIyESF_NSA_11use_defaultESK_EENS0_5tupleIJNSA_16discard_iteratorISK_EESF_EEENSM_IJSG_SG_EEES6_PlJS6_EEE10hipError_tPvRmT3_T4_T5_T6_T7_T9_mT8_P12ihipStream_tbDpT10_ENKUlT_T0_E_clISt17integral_constantIbLb0EES1A_IbLb1EEEEDaS16_S17_EUlS16_E_NS1_11comp_targetILNS1_3genE9ELNS1_11target_archE1100ELNS1_3gpuE3ELNS1_3repE0EEENS1_30default_config_static_selectorELNS0_4arch9wavefront6targetE1EEEvT1_,comdat
	.protected	_ZN7rocprim17ROCPRIM_400000_NS6detail17trampoline_kernelINS0_14default_configENS1_25partition_config_selectorILNS1_17partition_subalgoE1EyNS0_10empty_typeEbEEZZNS1_14partition_implILS5_1ELb0ES3_jN6thrust23THRUST_200600_302600_NS6detail15normal_iteratorINSA_10device_ptrIyEEEEPS6_NSA_18transform_iteratorI7is_evenIyESF_NSA_11use_defaultESK_EENS0_5tupleIJNSA_16discard_iteratorISK_EESF_EEENSM_IJSG_SG_EEES6_PlJS6_EEE10hipError_tPvRmT3_T4_T5_T6_T7_T9_mT8_P12ihipStream_tbDpT10_ENKUlT_T0_E_clISt17integral_constantIbLb0EES1A_IbLb1EEEEDaS16_S17_EUlS16_E_NS1_11comp_targetILNS1_3genE9ELNS1_11target_archE1100ELNS1_3gpuE3ELNS1_3repE0EEENS1_30default_config_static_selectorELNS0_4arch9wavefront6targetE1EEEvT1_ ; -- Begin function _ZN7rocprim17ROCPRIM_400000_NS6detail17trampoline_kernelINS0_14default_configENS1_25partition_config_selectorILNS1_17partition_subalgoE1EyNS0_10empty_typeEbEEZZNS1_14partition_implILS5_1ELb0ES3_jN6thrust23THRUST_200600_302600_NS6detail15normal_iteratorINSA_10device_ptrIyEEEEPS6_NSA_18transform_iteratorI7is_evenIyESF_NSA_11use_defaultESK_EENS0_5tupleIJNSA_16discard_iteratorISK_EESF_EEENSM_IJSG_SG_EEES6_PlJS6_EEE10hipError_tPvRmT3_T4_T5_T6_T7_T9_mT8_P12ihipStream_tbDpT10_ENKUlT_T0_E_clISt17integral_constantIbLb0EES1A_IbLb1EEEEDaS16_S17_EUlS16_E_NS1_11comp_targetILNS1_3genE9ELNS1_11target_archE1100ELNS1_3gpuE3ELNS1_3repE0EEENS1_30default_config_static_selectorELNS0_4arch9wavefront6targetE1EEEvT1_
	.globl	_ZN7rocprim17ROCPRIM_400000_NS6detail17trampoline_kernelINS0_14default_configENS1_25partition_config_selectorILNS1_17partition_subalgoE1EyNS0_10empty_typeEbEEZZNS1_14partition_implILS5_1ELb0ES3_jN6thrust23THRUST_200600_302600_NS6detail15normal_iteratorINSA_10device_ptrIyEEEEPS6_NSA_18transform_iteratorI7is_evenIyESF_NSA_11use_defaultESK_EENS0_5tupleIJNSA_16discard_iteratorISK_EESF_EEENSM_IJSG_SG_EEES6_PlJS6_EEE10hipError_tPvRmT3_T4_T5_T6_T7_T9_mT8_P12ihipStream_tbDpT10_ENKUlT_T0_E_clISt17integral_constantIbLb0EES1A_IbLb1EEEEDaS16_S17_EUlS16_E_NS1_11comp_targetILNS1_3genE9ELNS1_11target_archE1100ELNS1_3gpuE3ELNS1_3repE0EEENS1_30default_config_static_selectorELNS0_4arch9wavefront6targetE1EEEvT1_
	.p2align	8
	.type	_ZN7rocprim17ROCPRIM_400000_NS6detail17trampoline_kernelINS0_14default_configENS1_25partition_config_selectorILNS1_17partition_subalgoE1EyNS0_10empty_typeEbEEZZNS1_14partition_implILS5_1ELb0ES3_jN6thrust23THRUST_200600_302600_NS6detail15normal_iteratorINSA_10device_ptrIyEEEEPS6_NSA_18transform_iteratorI7is_evenIyESF_NSA_11use_defaultESK_EENS0_5tupleIJNSA_16discard_iteratorISK_EESF_EEENSM_IJSG_SG_EEES6_PlJS6_EEE10hipError_tPvRmT3_T4_T5_T6_T7_T9_mT8_P12ihipStream_tbDpT10_ENKUlT_T0_E_clISt17integral_constantIbLb0EES1A_IbLb1EEEEDaS16_S17_EUlS16_E_NS1_11comp_targetILNS1_3genE9ELNS1_11target_archE1100ELNS1_3gpuE3ELNS1_3repE0EEENS1_30default_config_static_selectorELNS0_4arch9wavefront6targetE1EEEvT1_,@function
_ZN7rocprim17ROCPRIM_400000_NS6detail17trampoline_kernelINS0_14default_configENS1_25partition_config_selectorILNS1_17partition_subalgoE1EyNS0_10empty_typeEbEEZZNS1_14partition_implILS5_1ELb0ES3_jN6thrust23THRUST_200600_302600_NS6detail15normal_iteratorINSA_10device_ptrIyEEEEPS6_NSA_18transform_iteratorI7is_evenIyESF_NSA_11use_defaultESK_EENS0_5tupleIJNSA_16discard_iteratorISK_EESF_EEENSM_IJSG_SG_EEES6_PlJS6_EEE10hipError_tPvRmT3_T4_T5_T6_T7_T9_mT8_P12ihipStream_tbDpT10_ENKUlT_T0_E_clISt17integral_constantIbLb0EES1A_IbLb1EEEEDaS16_S17_EUlS16_E_NS1_11comp_targetILNS1_3genE9ELNS1_11target_archE1100ELNS1_3gpuE3ELNS1_3repE0EEENS1_30default_config_static_selectorELNS0_4arch9wavefront6targetE1EEEvT1_: ; @_ZN7rocprim17ROCPRIM_400000_NS6detail17trampoline_kernelINS0_14default_configENS1_25partition_config_selectorILNS1_17partition_subalgoE1EyNS0_10empty_typeEbEEZZNS1_14partition_implILS5_1ELb0ES3_jN6thrust23THRUST_200600_302600_NS6detail15normal_iteratorINSA_10device_ptrIyEEEEPS6_NSA_18transform_iteratorI7is_evenIyESF_NSA_11use_defaultESK_EENS0_5tupleIJNSA_16discard_iteratorISK_EESF_EEENSM_IJSG_SG_EEES6_PlJS6_EEE10hipError_tPvRmT3_T4_T5_T6_T7_T9_mT8_P12ihipStream_tbDpT10_ENKUlT_T0_E_clISt17integral_constantIbLb0EES1A_IbLb1EEEEDaS16_S17_EUlS16_E_NS1_11comp_targetILNS1_3genE9ELNS1_11target_archE1100ELNS1_3gpuE3ELNS1_3repE0EEENS1_30default_config_static_selectorELNS0_4arch9wavefront6targetE1EEEvT1_
; %bb.0:
	.section	.rodata,"a",@progbits
	.p2align	6, 0x0
	.amdhsa_kernel _ZN7rocprim17ROCPRIM_400000_NS6detail17trampoline_kernelINS0_14default_configENS1_25partition_config_selectorILNS1_17partition_subalgoE1EyNS0_10empty_typeEbEEZZNS1_14partition_implILS5_1ELb0ES3_jN6thrust23THRUST_200600_302600_NS6detail15normal_iteratorINSA_10device_ptrIyEEEEPS6_NSA_18transform_iteratorI7is_evenIyESF_NSA_11use_defaultESK_EENS0_5tupleIJNSA_16discard_iteratorISK_EESF_EEENSM_IJSG_SG_EEES6_PlJS6_EEE10hipError_tPvRmT3_T4_T5_T6_T7_T9_mT8_P12ihipStream_tbDpT10_ENKUlT_T0_E_clISt17integral_constantIbLb0EES1A_IbLb1EEEEDaS16_S17_EUlS16_E_NS1_11comp_targetILNS1_3genE9ELNS1_11target_archE1100ELNS1_3gpuE3ELNS1_3repE0EEENS1_30default_config_static_selectorELNS0_4arch9wavefront6targetE1EEEvT1_
		.amdhsa_group_segment_fixed_size 0
		.amdhsa_private_segment_fixed_size 0
		.amdhsa_kernarg_size 152
		.amdhsa_user_sgpr_count 6
		.amdhsa_user_sgpr_private_segment_buffer 1
		.amdhsa_user_sgpr_dispatch_ptr 0
		.amdhsa_user_sgpr_queue_ptr 0
		.amdhsa_user_sgpr_kernarg_segment_ptr 1
		.amdhsa_user_sgpr_dispatch_id 0
		.amdhsa_user_sgpr_flat_scratch_init 0
		.amdhsa_user_sgpr_kernarg_preload_length 0
		.amdhsa_user_sgpr_kernarg_preload_offset 0
		.amdhsa_user_sgpr_private_segment_size 0
		.amdhsa_uses_dynamic_stack 0
		.amdhsa_system_sgpr_private_segment_wavefront_offset 0
		.amdhsa_system_sgpr_workgroup_id_x 1
		.amdhsa_system_sgpr_workgroup_id_y 0
		.amdhsa_system_sgpr_workgroup_id_z 0
		.amdhsa_system_sgpr_workgroup_info 0
		.amdhsa_system_vgpr_workitem_id 0
		.amdhsa_next_free_vgpr 1
		.amdhsa_next_free_sgpr 0
		.amdhsa_accum_offset 4
		.amdhsa_reserve_vcc 0
		.amdhsa_reserve_flat_scratch 0
		.amdhsa_float_round_mode_32 0
		.amdhsa_float_round_mode_16_64 0
		.amdhsa_float_denorm_mode_32 3
		.amdhsa_float_denorm_mode_16_64 3
		.amdhsa_dx10_clamp 1
		.amdhsa_ieee_mode 1
		.amdhsa_fp16_overflow 0
		.amdhsa_tg_split 0
		.amdhsa_exception_fp_ieee_invalid_op 0
		.amdhsa_exception_fp_denorm_src 0
		.amdhsa_exception_fp_ieee_div_zero 0
		.amdhsa_exception_fp_ieee_overflow 0
		.amdhsa_exception_fp_ieee_underflow 0
		.amdhsa_exception_fp_ieee_inexact 0
		.amdhsa_exception_int_div_zero 0
	.end_amdhsa_kernel
	.section	.text._ZN7rocprim17ROCPRIM_400000_NS6detail17trampoline_kernelINS0_14default_configENS1_25partition_config_selectorILNS1_17partition_subalgoE1EyNS0_10empty_typeEbEEZZNS1_14partition_implILS5_1ELb0ES3_jN6thrust23THRUST_200600_302600_NS6detail15normal_iteratorINSA_10device_ptrIyEEEEPS6_NSA_18transform_iteratorI7is_evenIyESF_NSA_11use_defaultESK_EENS0_5tupleIJNSA_16discard_iteratorISK_EESF_EEENSM_IJSG_SG_EEES6_PlJS6_EEE10hipError_tPvRmT3_T4_T5_T6_T7_T9_mT8_P12ihipStream_tbDpT10_ENKUlT_T0_E_clISt17integral_constantIbLb0EES1A_IbLb1EEEEDaS16_S17_EUlS16_E_NS1_11comp_targetILNS1_3genE9ELNS1_11target_archE1100ELNS1_3gpuE3ELNS1_3repE0EEENS1_30default_config_static_selectorELNS0_4arch9wavefront6targetE1EEEvT1_,"axG",@progbits,_ZN7rocprim17ROCPRIM_400000_NS6detail17trampoline_kernelINS0_14default_configENS1_25partition_config_selectorILNS1_17partition_subalgoE1EyNS0_10empty_typeEbEEZZNS1_14partition_implILS5_1ELb0ES3_jN6thrust23THRUST_200600_302600_NS6detail15normal_iteratorINSA_10device_ptrIyEEEEPS6_NSA_18transform_iteratorI7is_evenIyESF_NSA_11use_defaultESK_EENS0_5tupleIJNSA_16discard_iteratorISK_EESF_EEENSM_IJSG_SG_EEES6_PlJS6_EEE10hipError_tPvRmT3_T4_T5_T6_T7_T9_mT8_P12ihipStream_tbDpT10_ENKUlT_T0_E_clISt17integral_constantIbLb0EES1A_IbLb1EEEEDaS16_S17_EUlS16_E_NS1_11comp_targetILNS1_3genE9ELNS1_11target_archE1100ELNS1_3gpuE3ELNS1_3repE0EEENS1_30default_config_static_selectorELNS0_4arch9wavefront6targetE1EEEvT1_,comdat
.Lfunc_end2969:
	.size	_ZN7rocprim17ROCPRIM_400000_NS6detail17trampoline_kernelINS0_14default_configENS1_25partition_config_selectorILNS1_17partition_subalgoE1EyNS0_10empty_typeEbEEZZNS1_14partition_implILS5_1ELb0ES3_jN6thrust23THRUST_200600_302600_NS6detail15normal_iteratorINSA_10device_ptrIyEEEEPS6_NSA_18transform_iteratorI7is_evenIyESF_NSA_11use_defaultESK_EENS0_5tupleIJNSA_16discard_iteratorISK_EESF_EEENSM_IJSG_SG_EEES6_PlJS6_EEE10hipError_tPvRmT3_T4_T5_T6_T7_T9_mT8_P12ihipStream_tbDpT10_ENKUlT_T0_E_clISt17integral_constantIbLb0EES1A_IbLb1EEEEDaS16_S17_EUlS16_E_NS1_11comp_targetILNS1_3genE9ELNS1_11target_archE1100ELNS1_3gpuE3ELNS1_3repE0EEENS1_30default_config_static_selectorELNS0_4arch9wavefront6targetE1EEEvT1_, .Lfunc_end2969-_ZN7rocprim17ROCPRIM_400000_NS6detail17trampoline_kernelINS0_14default_configENS1_25partition_config_selectorILNS1_17partition_subalgoE1EyNS0_10empty_typeEbEEZZNS1_14partition_implILS5_1ELb0ES3_jN6thrust23THRUST_200600_302600_NS6detail15normal_iteratorINSA_10device_ptrIyEEEEPS6_NSA_18transform_iteratorI7is_evenIyESF_NSA_11use_defaultESK_EENS0_5tupleIJNSA_16discard_iteratorISK_EESF_EEENSM_IJSG_SG_EEES6_PlJS6_EEE10hipError_tPvRmT3_T4_T5_T6_T7_T9_mT8_P12ihipStream_tbDpT10_ENKUlT_T0_E_clISt17integral_constantIbLb0EES1A_IbLb1EEEEDaS16_S17_EUlS16_E_NS1_11comp_targetILNS1_3genE9ELNS1_11target_archE1100ELNS1_3gpuE3ELNS1_3repE0EEENS1_30default_config_static_selectorELNS0_4arch9wavefront6targetE1EEEvT1_
                                        ; -- End function
	.section	.AMDGPU.csdata,"",@progbits
; Kernel info:
; codeLenInByte = 0
; NumSgprs: 4
; NumVgprs: 0
; NumAgprs: 0
; TotalNumVgprs: 0
; ScratchSize: 0
; MemoryBound: 0
; FloatMode: 240
; IeeeMode: 1
; LDSByteSize: 0 bytes/workgroup (compile time only)
; SGPRBlocks: 0
; VGPRBlocks: 0
; NumSGPRsForWavesPerEU: 4
; NumVGPRsForWavesPerEU: 1
; AccumOffset: 4
; Occupancy: 8
; WaveLimiterHint : 0
; COMPUTE_PGM_RSRC2:SCRATCH_EN: 0
; COMPUTE_PGM_RSRC2:USER_SGPR: 6
; COMPUTE_PGM_RSRC2:TRAP_HANDLER: 0
; COMPUTE_PGM_RSRC2:TGID_X_EN: 1
; COMPUTE_PGM_RSRC2:TGID_Y_EN: 0
; COMPUTE_PGM_RSRC2:TGID_Z_EN: 0
; COMPUTE_PGM_RSRC2:TIDIG_COMP_CNT: 0
; COMPUTE_PGM_RSRC3_GFX90A:ACCUM_OFFSET: 0
; COMPUTE_PGM_RSRC3_GFX90A:TG_SPLIT: 0
	.section	.text._ZN7rocprim17ROCPRIM_400000_NS6detail17trampoline_kernelINS0_14default_configENS1_25partition_config_selectorILNS1_17partition_subalgoE1EyNS0_10empty_typeEbEEZZNS1_14partition_implILS5_1ELb0ES3_jN6thrust23THRUST_200600_302600_NS6detail15normal_iteratorINSA_10device_ptrIyEEEEPS6_NSA_18transform_iteratorI7is_evenIyESF_NSA_11use_defaultESK_EENS0_5tupleIJNSA_16discard_iteratorISK_EESF_EEENSM_IJSG_SG_EEES6_PlJS6_EEE10hipError_tPvRmT3_T4_T5_T6_T7_T9_mT8_P12ihipStream_tbDpT10_ENKUlT_T0_E_clISt17integral_constantIbLb0EES1A_IbLb1EEEEDaS16_S17_EUlS16_E_NS1_11comp_targetILNS1_3genE8ELNS1_11target_archE1030ELNS1_3gpuE2ELNS1_3repE0EEENS1_30default_config_static_selectorELNS0_4arch9wavefront6targetE1EEEvT1_,"axG",@progbits,_ZN7rocprim17ROCPRIM_400000_NS6detail17trampoline_kernelINS0_14default_configENS1_25partition_config_selectorILNS1_17partition_subalgoE1EyNS0_10empty_typeEbEEZZNS1_14partition_implILS5_1ELb0ES3_jN6thrust23THRUST_200600_302600_NS6detail15normal_iteratorINSA_10device_ptrIyEEEEPS6_NSA_18transform_iteratorI7is_evenIyESF_NSA_11use_defaultESK_EENS0_5tupleIJNSA_16discard_iteratorISK_EESF_EEENSM_IJSG_SG_EEES6_PlJS6_EEE10hipError_tPvRmT3_T4_T5_T6_T7_T9_mT8_P12ihipStream_tbDpT10_ENKUlT_T0_E_clISt17integral_constantIbLb0EES1A_IbLb1EEEEDaS16_S17_EUlS16_E_NS1_11comp_targetILNS1_3genE8ELNS1_11target_archE1030ELNS1_3gpuE2ELNS1_3repE0EEENS1_30default_config_static_selectorELNS0_4arch9wavefront6targetE1EEEvT1_,comdat
	.protected	_ZN7rocprim17ROCPRIM_400000_NS6detail17trampoline_kernelINS0_14default_configENS1_25partition_config_selectorILNS1_17partition_subalgoE1EyNS0_10empty_typeEbEEZZNS1_14partition_implILS5_1ELb0ES3_jN6thrust23THRUST_200600_302600_NS6detail15normal_iteratorINSA_10device_ptrIyEEEEPS6_NSA_18transform_iteratorI7is_evenIyESF_NSA_11use_defaultESK_EENS0_5tupleIJNSA_16discard_iteratorISK_EESF_EEENSM_IJSG_SG_EEES6_PlJS6_EEE10hipError_tPvRmT3_T4_T5_T6_T7_T9_mT8_P12ihipStream_tbDpT10_ENKUlT_T0_E_clISt17integral_constantIbLb0EES1A_IbLb1EEEEDaS16_S17_EUlS16_E_NS1_11comp_targetILNS1_3genE8ELNS1_11target_archE1030ELNS1_3gpuE2ELNS1_3repE0EEENS1_30default_config_static_selectorELNS0_4arch9wavefront6targetE1EEEvT1_ ; -- Begin function _ZN7rocprim17ROCPRIM_400000_NS6detail17trampoline_kernelINS0_14default_configENS1_25partition_config_selectorILNS1_17partition_subalgoE1EyNS0_10empty_typeEbEEZZNS1_14partition_implILS5_1ELb0ES3_jN6thrust23THRUST_200600_302600_NS6detail15normal_iteratorINSA_10device_ptrIyEEEEPS6_NSA_18transform_iteratorI7is_evenIyESF_NSA_11use_defaultESK_EENS0_5tupleIJNSA_16discard_iteratorISK_EESF_EEENSM_IJSG_SG_EEES6_PlJS6_EEE10hipError_tPvRmT3_T4_T5_T6_T7_T9_mT8_P12ihipStream_tbDpT10_ENKUlT_T0_E_clISt17integral_constantIbLb0EES1A_IbLb1EEEEDaS16_S17_EUlS16_E_NS1_11comp_targetILNS1_3genE8ELNS1_11target_archE1030ELNS1_3gpuE2ELNS1_3repE0EEENS1_30default_config_static_selectorELNS0_4arch9wavefront6targetE1EEEvT1_
	.globl	_ZN7rocprim17ROCPRIM_400000_NS6detail17trampoline_kernelINS0_14default_configENS1_25partition_config_selectorILNS1_17partition_subalgoE1EyNS0_10empty_typeEbEEZZNS1_14partition_implILS5_1ELb0ES3_jN6thrust23THRUST_200600_302600_NS6detail15normal_iteratorINSA_10device_ptrIyEEEEPS6_NSA_18transform_iteratorI7is_evenIyESF_NSA_11use_defaultESK_EENS0_5tupleIJNSA_16discard_iteratorISK_EESF_EEENSM_IJSG_SG_EEES6_PlJS6_EEE10hipError_tPvRmT3_T4_T5_T6_T7_T9_mT8_P12ihipStream_tbDpT10_ENKUlT_T0_E_clISt17integral_constantIbLb0EES1A_IbLb1EEEEDaS16_S17_EUlS16_E_NS1_11comp_targetILNS1_3genE8ELNS1_11target_archE1030ELNS1_3gpuE2ELNS1_3repE0EEENS1_30default_config_static_selectorELNS0_4arch9wavefront6targetE1EEEvT1_
	.p2align	8
	.type	_ZN7rocprim17ROCPRIM_400000_NS6detail17trampoline_kernelINS0_14default_configENS1_25partition_config_selectorILNS1_17partition_subalgoE1EyNS0_10empty_typeEbEEZZNS1_14partition_implILS5_1ELb0ES3_jN6thrust23THRUST_200600_302600_NS6detail15normal_iteratorINSA_10device_ptrIyEEEEPS6_NSA_18transform_iteratorI7is_evenIyESF_NSA_11use_defaultESK_EENS0_5tupleIJNSA_16discard_iteratorISK_EESF_EEENSM_IJSG_SG_EEES6_PlJS6_EEE10hipError_tPvRmT3_T4_T5_T6_T7_T9_mT8_P12ihipStream_tbDpT10_ENKUlT_T0_E_clISt17integral_constantIbLb0EES1A_IbLb1EEEEDaS16_S17_EUlS16_E_NS1_11comp_targetILNS1_3genE8ELNS1_11target_archE1030ELNS1_3gpuE2ELNS1_3repE0EEENS1_30default_config_static_selectorELNS0_4arch9wavefront6targetE1EEEvT1_,@function
_ZN7rocprim17ROCPRIM_400000_NS6detail17trampoline_kernelINS0_14default_configENS1_25partition_config_selectorILNS1_17partition_subalgoE1EyNS0_10empty_typeEbEEZZNS1_14partition_implILS5_1ELb0ES3_jN6thrust23THRUST_200600_302600_NS6detail15normal_iteratorINSA_10device_ptrIyEEEEPS6_NSA_18transform_iteratorI7is_evenIyESF_NSA_11use_defaultESK_EENS0_5tupleIJNSA_16discard_iteratorISK_EESF_EEENSM_IJSG_SG_EEES6_PlJS6_EEE10hipError_tPvRmT3_T4_T5_T6_T7_T9_mT8_P12ihipStream_tbDpT10_ENKUlT_T0_E_clISt17integral_constantIbLb0EES1A_IbLb1EEEEDaS16_S17_EUlS16_E_NS1_11comp_targetILNS1_3genE8ELNS1_11target_archE1030ELNS1_3gpuE2ELNS1_3repE0EEENS1_30default_config_static_selectorELNS0_4arch9wavefront6targetE1EEEvT1_: ; @_ZN7rocprim17ROCPRIM_400000_NS6detail17trampoline_kernelINS0_14default_configENS1_25partition_config_selectorILNS1_17partition_subalgoE1EyNS0_10empty_typeEbEEZZNS1_14partition_implILS5_1ELb0ES3_jN6thrust23THRUST_200600_302600_NS6detail15normal_iteratorINSA_10device_ptrIyEEEEPS6_NSA_18transform_iteratorI7is_evenIyESF_NSA_11use_defaultESK_EENS0_5tupleIJNSA_16discard_iteratorISK_EESF_EEENSM_IJSG_SG_EEES6_PlJS6_EEE10hipError_tPvRmT3_T4_T5_T6_T7_T9_mT8_P12ihipStream_tbDpT10_ENKUlT_T0_E_clISt17integral_constantIbLb0EES1A_IbLb1EEEEDaS16_S17_EUlS16_E_NS1_11comp_targetILNS1_3genE8ELNS1_11target_archE1030ELNS1_3gpuE2ELNS1_3repE0EEENS1_30default_config_static_selectorELNS0_4arch9wavefront6targetE1EEEvT1_
; %bb.0:
	.section	.rodata,"a",@progbits
	.p2align	6, 0x0
	.amdhsa_kernel _ZN7rocprim17ROCPRIM_400000_NS6detail17trampoline_kernelINS0_14default_configENS1_25partition_config_selectorILNS1_17partition_subalgoE1EyNS0_10empty_typeEbEEZZNS1_14partition_implILS5_1ELb0ES3_jN6thrust23THRUST_200600_302600_NS6detail15normal_iteratorINSA_10device_ptrIyEEEEPS6_NSA_18transform_iteratorI7is_evenIyESF_NSA_11use_defaultESK_EENS0_5tupleIJNSA_16discard_iteratorISK_EESF_EEENSM_IJSG_SG_EEES6_PlJS6_EEE10hipError_tPvRmT3_T4_T5_T6_T7_T9_mT8_P12ihipStream_tbDpT10_ENKUlT_T0_E_clISt17integral_constantIbLb0EES1A_IbLb1EEEEDaS16_S17_EUlS16_E_NS1_11comp_targetILNS1_3genE8ELNS1_11target_archE1030ELNS1_3gpuE2ELNS1_3repE0EEENS1_30default_config_static_selectorELNS0_4arch9wavefront6targetE1EEEvT1_
		.amdhsa_group_segment_fixed_size 0
		.amdhsa_private_segment_fixed_size 0
		.amdhsa_kernarg_size 152
		.amdhsa_user_sgpr_count 6
		.amdhsa_user_sgpr_private_segment_buffer 1
		.amdhsa_user_sgpr_dispatch_ptr 0
		.amdhsa_user_sgpr_queue_ptr 0
		.amdhsa_user_sgpr_kernarg_segment_ptr 1
		.amdhsa_user_sgpr_dispatch_id 0
		.amdhsa_user_sgpr_flat_scratch_init 0
		.amdhsa_user_sgpr_kernarg_preload_length 0
		.amdhsa_user_sgpr_kernarg_preload_offset 0
		.amdhsa_user_sgpr_private_segment_size 0
		.amdhsa_uses_dynamic_stack 0
		.amdhsa_system_sgpr_private_segment_wavefront_offset 0
		.amdhsa_system_sgpr_workgroup_id_x 1
		.amdhsa_system_sgpr_workgroup_id_y 0
		.amdhsa_system_sgpr_workgroup_id_z 0
		.amdhsa_system_sgpr_workgroup_info 0
		.amdhsa_system_vgpr_workitem_id 0
		.amdhsa_next_free_vgpr 1
		.amdhsa_next_free_sgpr 0
		.amdhsa_accum_offset 4
		.amdhsa_reserve_vcc 0
		.amdhsa_reserve_flat_scratch 0
		.amdhsa_float_round_mode_32 0
		.amdhsa_float_round_mode_16_64 0
		.amdhsa_float_denorm_mode_32 3
		.amdhsa_float_denorm_mode_16_64 3
		.amdhsa_dx10_clamp 1
		.amdhsa_ieee_mode 1
		.amdhsa_fp16_overflow 0
		.amdhsa_tg_split 0
		.amdhsa_exception_fp_ieee_invalid_op 0
		.amdhsa_exception_fp_denorm_src 0
		.amdhsa_exception_fp_ieee_div_zero 0
		.amdhsa_exception_fp_ieee_overflow 0
		.amdhsa_exception_fp_ieee_underflow 0
		.amdhsa_exception_fp_ieee_inexact 0
		.amdhsa_exception_int_div_zero 0
	.end_amdhsa_kernel
	.section	.text._ZN7rocprim17ROCPRIM_400000_NS6detail17trampoline_kernelINS0_14default_configENS1_25partition_config_selectorILNS1_17partition_subalgoE1EyNS0_10empty_typeEbEEZZNS1_14partition_implILS5_1ELb0ES3_jN6thrust23THRUST_200600_302600_NS6detail15normal_iteratorINSA_10device_ptrIyEEEEPS6_NSA_18transform_iteratorI7is_evenIyESF_NSA_11use_defaultESK_EENS0_5tupleIJNSA_16discard_iteratorISK_EESF_EEENSM_IJSG_SG_EEES6_PlJS6_EEE10hipError_tPvRmT3_T4_T5_T6_T7_T9_mT8_P12ihipStream_tbDpT10_ENKUlT_T0_E_clISt17integral_constantIbLb0EES1A_IbLb1EEEEDaS16_S17_EUlS16_E_NS1_11comp_targetILNS1_3genE8ELNS1_11target_archE1030ELNS1_3gpuE2ELNS1_3repE0EEENS1_30default_config_static_selectorELNS0_4arch9wavefront6targetE1EEEvT1_,"axG",@progbits,_ZN7rocprim17ROCPRIM_400000_NS6detail17trampoline_kernelINS0_14default_configENS1_25partition_config_selectorILNS1_17partition_subalgoE1EyNS0_10empty_typeEbEEZZNS1_14partition_implILS5_1ELb0ES3_jN6thrust23THRUST_200600_302600_NS6detail15normal_iteratorINSA_10device_ptrIyEEEEPS6_NSA_18transform_iteratorI7is_evenIyESF_NSA_11use_defaultESK_EENS0_5tupleIJNSA_16discard_iteratorISK_EESF_EEENSM_IJSG_SG_EEES6_PlJS6_EEE10hipError_tPvRmT3_T4_T5_T6_T7_T9_mT8_P12ihipStream_tbDpT10_ENKUlT_T0_E_clISt17integral_constantIbLb0EES1A_IbLb1EEEEDaS16_S17_EUlS16_E_NS1_11comp_targetILNS1_3genE8ELNS1_11target_archE1030ELNS1_3gpuE2ELNS1_3repE0EEENS1_30default_config_static_selectorELNS0_4arch9wavefront6targetE1EEEvT1_,comdat
.Lfunc_end2970:
	.size	_ZN7rocprim17ROCPRIM_400000_NS6detail17trampoline_kernelINS0_14default_configENS1_25partition_config_selectorILNS1_17partition_subalgoE1EyNS0_10empty_typeEbEEZZNS1_14partition_implILS5_1ELb0ES3_jN6thrust23THRUST_200600_302600_NS6detail15normal_iteratorINSA_10device_ptrIyEEEEPS6_NSA_18transform_iteratorI7is_evenIyESF_NSA_11use_defaultESK_EENS0_5tupleIJNSA_16discard_iteratorISK_EESF_EEENSM_IJSG_SG_EEES6_PlJS6_EEE10hipError_tPvRmT3_T4_T5_T6_T7_T9_mT8_P12ihipStream_tbDpT10_ENKUlT_T0_E_clISt17integral_constantIbLb0EES1A_IbLb1EEEEDaS16_S17_EUlS16_E_NS1_11comp_targetILNS1_3genE8ELNS1_11target_archE1030ELNS1_3gpuE2ELNS1_3repE0EEENS1_30default_config_static_selectorELNS0_4arch9wavefront6targetE1EEEvT1_, .Lfunc_end2970-_ZN7rocprim17ROCPRIM_400000_NS6detail17trampoline_kernelINS0_14default_configENS1_25partition_config_selectorILNS1_17partition_subalgoE1EyNS0_10empty_typeEbEEZZNS1_14partition_implILS5_1ELb0ES3_jN6thrust23THRUST_200600_302600_NS6detail15normal_iteratorINSA_10device_ptrIyEEEEPS6_NSA_18transform_iteratorI7is_evenIyESF_NSA_11use_defaultESK_EENS0_5tupleIJNSA_16discard_iteratorISK_EESF_EEENSM_IJSG_SG_EEES6_PlJS6_EEE10hipError_tPvRmT3_T4_T5_T6_T7_T9_mT8_P12ihipStream_tbDpT10_ENKUlT_T0_E_clISt17integral_constantIbLb0EES1A_IbLb1EEEEDaS16_S17_EUlS16_E_NS1_11comp_targetILNS1_3genE8ELNS1_11target_archE1030ELNS1_3gpuE2ELNS1_3repE0EEENS1_30default_config_static_selectorELNS0_4arch9wavefront6targetE1EEEvT1_
                                        ; -- End function
	.section	.AMDGPU.csdata,"",@progbits
; Kernel info:
; codeLenInByte = 0
; NumSgprs: 4
; NumVgprs: 0
; NumAgprs: 0
; TotalNumVgprs: 0
; ScratchSize: 0
; MemoryBound: 0
; FloatMode: 240
; IeeeMode: 1
; LDSByteSize: 0 bytes/workgroup (compile time only)
; SGPRBlocks: 0
; VGPRBlocks: 0
; NumSGPRsForWavesPerEU: 4
; NumVGPRsForWavesPerEU: 1
; AccumOffset: 4
; Occupancy: 8
; WaveLimiterHint : 0
; COMPUTE_PGM_RSRC2:SCRATCH_EN: 0
; COMPUTE_PGM_RSRC2:USER_SGPR: 6
; COMPUTE_PGM_RSRC2:TRAP_HANDLER: 0
; COMPUTE_PGM_RSRC2:TGID_X_EN: 1
; COMPUTE_PGM_RSRC2:TGID_Y_EN: 0
; COMPUTE_PGM_RSRC2:TGID_Z_EN: 0
; COMPUTE_PGM_RSRC2:TIDIG_COMP_CNT: 0
; COMPUTE_PGM_RSRC3_GFX90A:ACCUM_OFFSET: 0
; COMPUTE_PGM_RSRC3_GFX90A:TG_SPLIT: 0
	.section	.text._ZN7rocprim17ROCPRIM_400000_NS6detail17trampoline_kernelINS0_14default_configENS1_25partition_config_selectorILNS1_17partition_subalgoE1EjNS0_10empty_typeEbEEZZNS1_14partition_implILS5_1ELb0ES3_jN6thrust23THRUST_200600_302600_NS6detail15normal_iteratorINSA_10device_ptrIjEEEEPS6_NSA_18transform_iteratorI7is_evenIjESF_NSA_11use_defaultESK_EENS0_5tupleIJNSA_16discard_iteratorISK_EESO_EEENSM_IJSG_SG_EEES6_PlJS6_EEE10hipError_tPvRmT3_T4_T5_T6_T7_T9_mT8_P12ihipStream_tbDpT10_ENKUlT_T0_E_clISt17integral_constantIbLb0EES1B_EEDaS16_S17_EUlS16_E_NS1_11comp_targetILNS1_3genE0ELNS1_11target_archE4294967295ELNS1_3gpuE0ELNS1_3repE0EEENS1_30default_config_static_selectorELNS0_4arch9wavefront6targetE1EEEvT1_,"axG",@progbits,_ZN7rocprim17ROCPRIM_400000_NS6detail17trampoline_kernelINS0_14default_configENS1_25partition_config_selectorILNS1_17partition_subalgoE1EjNS0_10empty_typeEbEEZZNS1_14partition_implILS5_1ELb0ES3_jN6thrust23THRUST_200600_302600_NS6detail15normal_iteratorINSA_10device_ptrIjEEEEPS6_NSA_18transform_iteratorI7is_evenIjESF_NSA_11use_defaultESK_EENS0_5tupleIJNSA_16discard_iteratorISK_EESO_EEENSM_IJSG_SG_EEES6_PlJS6_EEE10hipError_tPvRmT3_T4_T5_T6_T7_T9_mT8_P12ihipStream_tbDpT10_ENKUlT_T0_E_clISt17integral_constantIbLb0EES1B_EEDaS16_S17_EUlS16_E_NS1_11comp_targetILNS1_3genE0ELNS1_11target_archE4294967295ELNS1_3gpuE0ELNS1_3repE0EEENS1_30default_config_static_selectorELNS0_4arch9wavefront6targetE1EEEvT1_,comdat
	.protected	_ZN7rocprim17ROCPRIM_400000_NS6detail17trampoline_kernelINS0_14default_configENS1_25partition_config_selectorILNS1_17partition_subalgoE1EjNS0_10empty_typeEbEEZZNS1_14partition_implILS5_1ELb0ES3_jN6thrust23THRUST_200600_302600_NS6detail15normal_iteratorINSA_10device_ptrIjEEEEPS6_NSA_18transform_iteratorI7is_evenIjESF_NSA_11use_defaultESK_EENS0_5tupleIJNSA_16discard_iteratorISK_EESO_EEENSM_IJSG_SG_EEES6_PlJS6_EEE10hipError_tPvRmT3_T4_T5_T6_T7_T9_mT8_P12ihipStream_tbDpT10_ENKUlT_T0_E_clISt17integral_constantIbLb0EES1B_EEDaS16_S17_EUlS16_E_NS1_11comp_targetILNS1_3genE0ELNS1_11target_archE4294967295ELNS1_3gpuE0ELNS1_3repE0EEENS1_30default_config_static_selectorELNS0_4arch9wavefront6targetE1EEEvT1_ ; -- Begin function _ZN7rocprim17ROCPRIM_400000_NS6detail17trampoline_kernelINS0_14default_configENS1_25partition_config_selectorILNS1_17partition_subalgoE1EjNS0_10empty_typeEbEEZZNS1_14partition_implILS5_1ELb0ES3_jN6thrust23THRUST_200600_302600_NS6detail15normal_iteratorINSA_10device_ptrIjEEEEPS6_NSA_18transform_iteratorI7is_evenIjESF_NSA_11use_defaultESK_EENS0_5tupleIJNSA_16discard_iteratorISK_EESO_EEENSM_IJSG_SG_EEES6_PlJS6_EEE10hipError_tPvRmT3_T4_T5_T6_T7_T9_mT8_P12ihipStream_tbDpT10_ENKUlT_T0_E_clISt17integral_constantIbLb0EES1B_EEDaS16_S17_EUlS16_E_NS1_11comp_targetILNS1_3genE0ELNS1_11target_archE4294967295ELNS1_3gpuE0ELNS1_3repE0EEENS1_30default_config_static_selectorELNS0_4arch9wavefront6targetE1EEEvT1_
	.globl	_ZN7rocprim17ROCPRIM_400000_NS6detail17trampoline_kernelINS0_14default_configENS1_25partition_config_selectorILNS1_17partition_subalgoE1EjNS0_10empty_typeEbEEZZNS1_14partition_implILS5_1ELb0ES3_jN6thrust23THRUST_200600_302600_NS6detail15normal_iteratorINSA_10device_ptrIjEEEEPS6_NSA_18transform_iteratorI7is_evenIjESF_NSA_11use_defaultESK_EENS0_5tupleIJNSA_16discard_iteratorISK_EESO_EEENSM_IJSG_SG_EEES6_PlJS6_EEE10hipError_tPvRmT3_T4_T5_T6_T7_T9_mT8_P12ihipStream_tbDpT10_ENKUlT_T0_E_clISt17integral_constantIbLb0EES1B_EEDaS16_S17_EUlS16_E_NS1_11comp_targetILNS1_3genE0ELNS1_11target_archE4294967295ELNS1_3gpuE0ELNS1_3repE0EEENS1_30default_config_static_selectorELNS0_4arch9wavefront6targetE1EEEvT1_
	.p2align	8
	.type	_ZN7rocprim17ROCPRIM_400000_NS6detail17trampoline_kernelINS0_14default_configENS1_25partition_config_selectorILNS1_17partition_subalgoE1EjNS0_10empty_typeEbEEZZNS1_14partition_implILS5_1ELb0ES3_jN6thrust23THRUST_200600_302600_NS6detail15normal_iteratorINSA_10device_ptrIjEEEEPS6_NSA_18transform_iteratorI7is_evenIjESF_NSA_11use_defaultESK_EENS0_5tupleIJNSA_16discard_iteratorISK_EESO_EEENSM_IJSG_SG_EEES6_PlJS6_EEE10hipError_tPvRmT3_T4_T5_T6_T7_T9_mT8_P12ihipStream_tbDpT10_ENKUlT_T0_E_clISt17integral_constantIbLb0EES1B_EEDaS16_S17_EUlS16_E_NS1_11comp_targetILNS1_3genE0ELNS1_11target_archE4294967295ELNS1_3gpuE0ELNS1_3repE0EEENS1_30default_config_static_selectorELNS0_4arch9wavefront6targetE1EEEvT1_,@function
_ZN7rocprim17ROCPRIM_400000_NS6detail17trampoline_kernelINS0_14default_configENS1_25partition_config_selectorILNS1_17partition_subalgoE1EjNS0_10empty_typeEbEEZZNS1_14partition_implILS5_1ELb0ES3_jN6thrust23THRUST_200600_302600_NS6detail15normal_iteratorINSA_10device_ptrIjEEEEPS6_NSA_18transform_iteratorI7is_evenIjESF_NSA_11use_defaultESK_EENS0_5tupleIJNSA_16discard_iteratorISK_EESO_EEENSM_IJSG_SG_EEES6_PlJS6_EEE10hipError_tPvRmT3_T4_T5_T6_T7_T9_mT8_P12ihipStream_tbDpT10_ENKUlT_T0_E_clISt17integral_constantIbLb0EES1B_EEDaS16_S17_EUlS16_E_NS1_11comp_targetILNS1_3genE0ELNS1_11target_archE4294967295ELNS1_3gpuE0ELNS1_3repE0EEENS1_30default_config_static_selectorELNS0_4arch9wavefront6targetE1EEEvT1_: ; @_ZN7rocprim17ROCPRIM_400000_NS6detail17trampoline_kernelINS0_14default_configENS1_25partition_config_selectorILNS1_17partition_subalgoE1EjNS0_10empty_typeEbEEZZNS1_14partition_implILS5_1ELb0ES3_jN6thrust23THRUST_200600_302600_NS6detail15normal_iteratorINSA_10device_ptrIjEEEEPS6_NSA_18transform_iteratorI7is_evenIjESF_NSA_11use_defaultESK_EENS0_5tupleIJNSA_16discard_iteratorISK_EESO_EEENSM_IJSG_SG_EEES6_PlJS6_EEE10hipError_tPvRmT3_T4_T5_T6_T7_T9_mT8_P12ihipStream_tbDpT10_ENKUlT_T0_E_clISt17integral_constantIbLb0EES1B_EEDaS16_S17_EUlS16_E_NS1_11comp_targetILNS1_3genE0ELNS1_11target_archE4294967295ELNS1_3gpuE0ELNS1_3repE0EEENS1_30default_config_static_selectorELNS0_4arch9wavefront6targetE1EEEvT1_
; %bb.0:
	.section	.rodata,"a",@progbits
	.p2align	6, 0x0
	.amdhsa_kernel _ZN7rocprim17ROCPRIM_400000_NS6detail17trampoline_kernelINS0_14default_configENS1_25partition_config_selectorILNS1_17partition_subalgoE1EjNS0_10empty_typeEbEEZZNS1_14partition_implILS5_1ELb0ES3_jN6thrust23THRUST_200600_302600_NS6detail15normal_iteratorINSA_10device_ptrIjEEEEPS6_NSA_18transform_iteratorI7is_evenIjESF_NSA_11use_defaultESK_EENS0_5tupleIJNSA_16discard_iteratorISK_EESO_EEENSM_IJSG_SG_EEES6_PlJS6_EEE10hipError_tPvRmT3_T4_T5_T6_T7_T9_mT8_P12ihipStream_tbDpT10_ENKUlT_T0_E_clISt17integral_constantIbLb0EES1B_EEDaS16_S17_EUlS16_E_NS1_11comp_targetILNS1_3genE0ELNS1_11target_archE4294967295ELNS1_3gpuE0ELNS1_3repE0EEENS1_30default_config_static_selectorELNS0_4arch9wavefront6targetE1EEEvT1_
		.amdhsa_group_segment_fixed_size 0
		.amdhsa_private_segment_fixed_size 0
		.amdhsa_kernarg_size 144
		.amdhsa_user_sgpr_count 6
		.amdhsa_user_sgpr_private_segment_buffer 1
		.amdhsa_user_sgpr_dispatch_ptr 0
		.amdhsa_user_sgpr_queue_ptr 0
		.amdhsa_user_sgpr_kernarg_segment_ptr 1
		.amdhsa_user_sgpr_dispatch_id 0
		.amdhsa_user_sgpr_flat_scratch_init 0
		.amdhsa_user_sgpr_kernarg_preload_length 0
		.amdhsa_user_sgpr_kernarg_preload_offset 0
		.amdhsa_user_sgpr_private_segment_size 0
		.amdhsa_uses_dynamic_stack 0
		.amdhsa_system_sgpr_private_segment_wavefront_offset 0
		.amdhsa_system_sgpr_workgroup_id_x 1
		.amdhsa_system_sgpr_workgroup_id_y 0
		.amdhsa_system_sgpr_workgroup_id_z 0
		.amdhsa_system_sgpr_workgroup_info 0
		.amdhsa_system_vgpr_workitem_id 0
		.amdhsa_next_free_vgpr 1
		.amdhsa_next_free_sgpr 0
		.amdhsa_accum_offset 4
		.amdhsa_reserve_vcc 0
		.amdhsa_reserve_flat_scratch 0
		.amdhsa_float_round_mode_32 0
		.amdhsa_float_round_mode_16_64 0
		.amdhsa_float_denorm_mode_32 3
		.amdhsa_float_denorm_mode_16_64 3
		.amdhsa_dx10_clamp 1
		.amdhsa_ieee_mode 1
		.amdhsa_fp16_overflow 0
		.amdhsa_tg_split 0
		.amdhsa_exception_fp_ieee_invalid_op 0
		.amdhsa_exception_fp_denorm_src 0
		.amdhsa_exception_fp_ieee_div_zero 0
		.amdhsa_exception_fp_ieee_overflow 0
		.amdhsa_exception_fp_ieee_underflow 0
		.amdhsa_exception_fp_ieee_inexact 0
		.amdhsa_exception_int_div_zero 0
	.end_amdhsa_kernel
	.section	.text._ZN7rocprim17ROCPRIM_400000_NS6detail17trampoline_kernelINS0_14default_configENS1_25partition_config_selectorILNS1_17partition_subalgoE1EjNS0_10empty_typeEbEEZZNS1_14partition_implILS5_1ELb0ES3_jN6thrust23THRUST_200600_302600_NS6detail15normal_iteratorINSA_10device_ptrIjEEEEPS6_NSA_18transform_iteratorI7is_evenIjESF_NSA_11use_defaultESK_EENS0_5tupleIJNSA_16discard_iteratorISK_EESO_EEENSM_IJSG_SG_EEES6_PlJS6_EEE10hipError_tPvRmT3_T4_T5_T6_T7_T9_mT8_P12ihipStream_tbDpT10_ENKUlT_T0_E_clISt17integral_constantIbLb0EES1B_EEDaS16_S17_EUlS16_E_NS1_11comp_targetILNS1_3genE0ELNS1_11target_archE4294967295ELNS1_3gpuE0ELNS1_3repE0EEENS1_30default_config_static_selectorELNS0_4arch9wavefront6targetE1EEEvT1_,"axG",@progbits,_ZN7rocprim17ROCPRIM_400000_NS6detail17trampoline_kernelINS0_14default_configENS1_25partition_config_selectorILNS1_17partition_subalgoE1EjNS0_10empty_typeEbEEZZNS1_14partition_implILS5_1ELb0ES3_jN6thrust23THRUST_200600_302600_NS6detail15normal_iteratorINSA_10device_ptrIjEEEEPS6_NSA_18transform_iteratorI7is_evenIjESF_NSA_11use_defaultESK_EENS0_5tupleIJNSA_16discard_iteratorISK_EESO_EEENSM_IJSG_SG_EEES6_PlJS6_EEE10hipError_tPvRmT3_T4_T5_T6_T7_T9_mT8_P12ihipStream_tbDpT10_ENKUlT_T0_E_clISt17integral_constantIbLb0EES1B_EEDaS16_S17_EUlS16_E_NS1_11comp_targetILNS1_3genE0ELNS1_11target_archE4294967295ELNS1_3gpuE0ELNS1_3repE0EEENS1_30default_config_static_selectorELNS0_4arch9wavefront6targetE1EEEvT1_,comdat
.Lfunc_end2971:
	.size	_ZN7rocprim17ROCPRIM_400000_NS6detail17trampoline_kernelINS0_14default_configENS1_25partition_config_selectorILNS1_17partition_subalgoE1EjNS0_10empty_typeEbEEZZNS1_14partition_implILS5_1ELb0ES3_jN6thrust23THRUST_200600_302600_NS6detail15normal_iteratorINSA_10device_ptrIjEEEEPS6_NSA_18transform_iteratorI7is_evenIjESF_NSA_11use_defaultESK_EENS0_5tupleIJNSA_16discard_iteratorISK_EESO_EEENSM_IJSG_SG_EEES6_PlJS6_EEE10hipError_tPvRmT3_T4_T5_T6_T7_T9_mT8_P12ihipStream_tbDpT10_ENKUlT_T0_E_clISt17integral_constantIbLb0EES1B_EEDaS16_S17_EUlS16_E_NS1_11comp_targetILNS1_3genE0ELNS1_11target_archE4294967295ELNS1_3gpuE0ELNS1_3repE0EEENS1_30default_config_static_selectorELNS0_4arch9wavefront6targetE1EEEvT1_, .Lfunc_end2971-_ZN7rocprim17ROCPRIM_400000_NS6detail17trampoline_kernelINS0_14default_configENS1_25partition_config_selectorILNS1_17partition_subalgoE1EjNS0_10empty_typeEbEEZZNS1_14partition_implILS5_1ELb0ES3_jN6thrust23THRUST_200600_302600_NS6detail15normal_iteratorINSA_10device_ptrIjEEEEPS6_NSA_18transform_iteratorI7is_evenIjESF_NSA_11use_defaultESK_EENS0_5tupleIJNSA_16discard_iteratorISK_EESO_EEENSM_IJSG_SG_EEES6_PlJS6_EEE10hipError_tPvRmT3_T4_T5_T6_T7_T9_mT8_P12ihipStream_tbDpT10_ENKUlT_T0_E_clISt17integral_constantIbLb0EES1B_EEDaS16_S17_EUlS16_E_NS1_11comp_targetILNS1_3genE0ELNS1_11target_archE4294967295ELNS1_3gpuE0ELNS1_3repE0EEENS1_30default_config_static_selectorELNS0_4arch9wavefront6targetE1EEEvT1_
                                        ; -- End function
	.section	.AMDGPU.csdata,"",@progbits
; Kernel info:
; codeLenInByte = 0
; NumSgprs: 4
; NumVgprs: 0
; NumAgprs: 0
; TotalNumVgprs: 0
; ScratchSize: 0
; MemoryBound: 0
; FloatMode: 240
; IeeeMode: 1
; LDSByteSize: 0 bytes/workgroup (compile time only)
; SGPRBlocks: 0
; VGPRBlocks: 0
; NumSGPRsForWavesPerEU: 4
; NumVGPRsForWavesPerEU: 1
; AccumOffset: 4
; Occupancy: 8
; WaveLimiterHint : 0
; COMPUTE_PGM_RSRC2:SCRATCH_EN: 0
; COMPUTE_PGM_RSRC2:USER_SGPR: 6
; COMPUTE_PGM_RSRC2:TRAP_HANDLER: 0
; COMPUTE_PGM_RSRC2:TGID_X_EN: 1
; COMPUTE_PGM_RSRC2:TGID_Y_EN: 0
; COMPUTE_PGM_RSRC2:TGID_Z_EN: 0
; COMPUTE_PGM_RSRC2:TIDIG_COMP_CNT: 0
; COMPUTE_PGM_RSRC3_GFX90A:ACCUM_OFFSET: 0
; COMPUTE_PGM_RSRC3_GFX90A:TG_SPLIT: 0
	.section	.text._ZN7rocprim17ROCPRIM_400000_NS6detail17trampoline_kernelINS0_14default_configENS1_25partition_config_selectorILNS1_17partition_subalgoE1EjNS0_10empty_typeEbEEZZNS1_14partition_implILS5_1ELb0ES3_jN6thrust23THRUST_200600_302600_NS6detail15normal_iteratorINSA_10device_ptrIjEEEEPS6_NSA_18transform_iteratorI7is_evenIjESF_NSA_11use_defaultESK_EENS0_5tupleIJNSA_16discard_iteratorISK_EESO_EEENSM_IJSG_SG_EEES6_PlJS6_EEE10hipError_tPvRmT3_T4_T5_T6_T7_T9_mT8_P12ihipStream_tbDpT10_ENKUlT_T0_E_clISt17integral_constantIbLb0EES1B_EEDaS16_S17_EUlS16_E_NS1_11comp_targetILNS1_3genE5ELNS1_11target_archE942ELNS1_3gpuE9ELNS1_3repE0EEENS1_30default_config_static_selectorELNS0_4arch9wavefront6targetE1EEEvT1_,"axG",@progbits,_ZN7rocprim17ROCPRIM_400000_NS6detail17trampoline_kernelINS0_14default_configENS1_25partition_config_selectorILNS1_17partition_subalgoE1EjNS0_10empty_typeEbEEZZNS1_14partition_implILS5_1ELb0ES3_jN6thrust23THRUST_200600_302600_NS6detail15normal_iteratorINSA_10device_ptrIjEEEEPS6_NSA_18transform_iteratorI7is_evenIjESF_NSA_11use_defaultESK_EENS0_5tupleIJNSA_16discard_iteratorISK_EESO_EEENSM_IJSG_SG_EEES6_PlJS6_EEE10hipError_tPvRmT3_T4_T5_T6_T7_T9_mT8_P12ihipStream_tbDpT10_ENKUlT_T0_E_clISt17integral_constantIbLb0EES1B_EEDaS16_S17_EUlS16_E_NS1_11comp_targetILNS1_3genE5ELNS1_11target_archE942ELNS1_3gpuE9ELNS1_3repE0EEENS1_30default_config_static_selectorELNS0_4arch9wavefront6targetE1EEEvT1_,comdat
	.protected	_ZN7rocprim17ROCPRIM_400000_NS6detail17trampoline_kernelINS0_14default_configENS1_25partition_config_selectorILNS1_17partition_subalgoE1EjNS0_10empty_typeEbEEZZNS1_14partition_implILS5_1ELb0ES3_jN6thrust23THRUST_200600_302600_NS6detail15normal_iteratorINSA_10device_ptrIjEEEEPS6_NSA_18transform_iteratorI7is_evenIjESF_NSA_11use_defaultESK_EENS0_5tupleIJNSA_16discard_iteratorISK_EESO_EEENSM_IJSG_SG_EEES6_PlJS6_EEE10hipError_tPvRmT3_T4_T5_T6_T7_T9_mT8_P12ihipStream_tbDpT10_ENKUlT_T0_E_clISt17integral_constantIbLb0EES1B_EEDaS16_S17_EUlS16_E_NS1_11comp_targetILNS1_3genE5ELNS1_11target_archE942ELNS1_3gpuE9ELNS1_3repE0EEENS1_30default_config_static_selectorELNS0_4arch9wavefront6targetE1EEEvT1_ ; -- Begin function _ZN7rocprim17ROCPRIM_400000_NS6detail17trampoline_kernelINS0_14default_configENS1_25partition_config_selectorILNS1_17partition_subalgoE1EjNS0_10empty_typeEbEEZZNS1_14partition_implILS5_1ELb0ES3_jN6thrust23THRUST_200600_302600_NS6detail15normal_iteratorINSA_10device_ptrIjEEEEPS6_NSA_18transform_iteratorI7is_evenIjESF_NSA_11use_defaultESK_EENS0_5tupleIJNSA_16discard_iteratorISK_EESO_EEENSM_IJSG_SG_EEES6_PlJS6_EEE10hipError_tPvRmT3_T4_T5_T6_T7_T9_mT8_P12ihipStream_tbDpT10_ENKUlT_T0_E_clISt17integral_constantIbLb0EES1B_EEDaS16_S17_EUlS16_E_NS1_11comp_targetILNS1_3genE5ELNS1_11target_archE942ELNS1_3gpuE9ELNS1_3repE0EEENS1_30default_config_static_selectorELNS0_4arch9wavefront6targetE1EEEvT1_
	.globl	_ZN7rocprim17ROCPRIM_400000_NS6detail17trampoline_kernelINS0_14default_configENS1_25partition_config_selectorILNS1_17partition_subalgoE1EjNS0_10empty_typeEbEEZZNS1_14partition_implILS5_1ELb0ES3_jN6thrust23THRUST_200600_302600_NS6detail15normal_iteratorINSA_10device_ptrIjEEEEPS6_NSA_18transform_iteratorI7is_evenIjESF_NSA_11use_defaultESK_EENS0_5tupleIJNSA_16discard_iteratorISK_EESO_EEENSM_IJSG_SG_EEES6_PlJS6_EEE10hipError_tPvRmT3_T4_T5_T6_T7_T9_mT8_P12ihipStream_tbDpT10_ENKUlT_T0_E_clISt17integral_constantIbLb0EES1B_EEDaS16_S17_EUlS16_E_NS1_11comp_targetILNS1_3genE5ELNS1_11target_archE942ELNS1_3gpuE9ELNS1_3repE0EEENS1_30default_config_static_selectorELNS0_4arch9wavefront6targetE1EEEvT1_
	.p2align	8
	.type	_ZN7rocprim17ROCPRIM_400000_NS6detail17trampoline_kernelINS0_14default_configENS1_25partition_config_selectorILNS1_17partition_subalgoE1EjNS0_10empty_typeEbEEZZNS1_14partition_implILS5_1ELb0ES3_jN6thrust23THRUST_200600_302600_NS6detail15normal_iteratorINSA_10device_ptrIjEEEEPS6_NSA_18transform_iteratorI7is_evenIjESF_NSA_11use_defaultESK_EENS0_5tupleIJNSA_16discard_iteratorISK_EESO_EEENSM_IJSG_SG_EEES6_PlJS6_EEE10hipError_tPvRmT3_T4_T5_T6_T7_T9_mT8_P12ihipStream_tbDpT10_ENKUlT_T0_E_clISt17integral_constantIbLb0EES1B_EEDaS16_S17_EUlS16_E_NS1_11comp_targetILNS1_3genE5ELNS1_11target_archE942ELNS1_3gpuE9ELNS1_3repE0EEENS1_30default_config_static_selectorELNS0_4arch9wavefront6targetE1EEEvT1_,@function
_ZN7rocprim17ROCPRIM_400000_NS6detail17trampoline_kernelINS0_14default_configENS1_25partition_config_selectorILNS1_17partition_subalgoE1EjNS0_10empty_typeEbEEZZNS1_14partition_implILS5_1ELb0ES3_jN6thrust23THRUST_200600_302600_NS6detail15normal_iteratorINSA_10device_ptrIjEEEEPS6_NSA_18transform_iteratorI7is_evenIjESF_NSA_11use_defaultESK_EENS0_5tupleIJNSA_16discard_iteratorISK_EESO_EEENSM_IJSG_SG_EEES6_PlJS6_EEE10hipError_tPvRmT3_T4_T5_T6_T7_T9_mT8_P12ihipStream_tbDpT10_ENKUlT_T0_E_clISt17integral_constantIbLb0EES1B_EEDaS16_S17_EUlS16_E_NS1_11comp_targetILNS1_3genE5ELNS1_11target_archE942ELNS1_3gpuE9ELNS1_3repE0EEENS1_30default_config_static_selectorELNS0_4arch9wavefront6targetE1EEEvT1_: ; @_ZN7rocprim17ROCPRIM_400000_NS6detail17trampoline_kernelINS0_14default_configENS1_25partition_config_selectorILNS1_17partition_subalgoE1EjNS0_10empty_typeEbEEZZNS1_14partition_implILS5_1ELb0ES3_jN6thrust23THRUST_200600_302600_NS6detail15normal_iteratorINSA_10device_ptrIjEEEEPS6_NSA_18transform_iteratorI7is_evenIjESF_NSA_11use_defaultESK_EENS0_5tupleIJNSA_16discard_iteratorISK_EESO_EEENSM_IJSG_SG_EEES6_PlJS6_EEE10hipError_tPvRmT3_T4_T5_T6_T7_T9_mT8_P12ihipStream_tbDpT10_ENKUlT_T0_E_clISt17integral_constantIbLb0EES1B_EEDaS16_S17_EUlS16_E_NS1_11comp_targetILNS1_3genE5ELNS1_11target_archE942ELNS1_3gpuE9ELNS1_3repE0EEENS1_30default_config_static_selectorELNS0_4arch9wavefront6targetE1EEEvT1_
; %bb.0:
	.section	.rodata,"a",@progbits
	.p2align	6, 0x0
	.amdhsa_kernel _ZN7rocprim17ROCPRIM_400000_NS6detail17trampoline_kernelINS0_14default_configENS1_25partition_config_selectorILNS1_17partition_subalgoE1EjNS0_10empty_typeEbEEZZNS1_14partition_implILS5_1ELb0ES3_jN6thrust23THRUST_200600_302600_NS6detail15normal_iteratorINSA_10device_ptrIjEEEEPS6_NSA_18transform_iteratorI7is_evenIjESF_NSA_11use_defaultESK_EENS0_5tupleIJNSA_16discard_iteratorISK_EESO_EEENSM_IJSG_SG_EEES6_PlJS6_EEE10hipError_tPvRmT3_T4_T5_T6_T7_T9_mT8_P12ihipStream_tbDpT10_ENKUlT_T0_E_clISt17integral_constantIbLb0EES1B_EEDaS16_S17_EUlS16_E_NS1_11comp_targetILNS1_3genE5ELNS1_11target_archE942ELNS1_3gpuE9ELNS1_3repE0EEENS1_30default_config_static_selectorELNS0_4arch9wavefront6targetE1EEEvT1_
		.amdhsa_group_segment_fixed_size 0
		.amdhsa_private_segment_fixed_size 0
		.amdhsa_kernarg_size 144
		.amdhsa_user_sgpr_count 6
		.amdhsa_user_sgpr_private_segment_buffer 1
		.amdhsa_user_sgpr_dispatch_ptr 0
		.amdhsa_user_sgpr_queue_ptr 0
		.amdhsa_user_sgpr_kernarg_segment_ptr 1
		.amdhsa_user_sgpr_dispatch_id 0
		.amdhsa_user_sgpr_flat_scratch_init 0
		.amdhsa_user_sgpr_kernarg_preload_length 0
		.amdhsa_user_sgpr_kernarg_preload_offset 0
		.amdhsa_user_sgpr_private_segment_size 0
		.amdhsa_uses_dynamic_stack 0
		.amdhsa_system_sgpr_private_segment_wavefront_offset 0
		.amdhsa_system_sgpr_workgroup_id_x 1
		.amdhsa_system_sgpr_workgroup_id_y 0
		.amdhsa_system_sgpr_workgroup_id_z 0
		.amdhsa_system_sgpr_workgroup_info 0
		.amdhsa_system_vgpr_workitem_id 0
		.amdhsa_next_free_vgpr 1
		.amdhsa_next_free_sgpr 0
		.amdhsa_accum_offset 4
		.amdhsa_reserve_vcc 0
		.amdhsa_reserve_flat_scratch 0
		.amdhsa_float_round_mode_32 0
		.amdhsa_float_round_mode_16_64 0
		.amdhsa_float_denorm_mode_32 3
		.amdhsa_float_denorm_mode_16_64 3
		.amdhsa_dx10_clamp 1
		.amdhsa_ieee_mode 1
		.amdhsa_fp16_overflow 0
		.amdhsa_tg_split 0
		.amdhsa_exception_fp_ieee_invalid_op 0
		.amdhsa_exception_fp_denorm_src 0
		.amdhsa_exception_fp_ieee_div_zero 0
		.amdhsa_exception_fp_ieee_overflow 0
		.amdhsa_exception_fp_ieee_underflow 0
		.amdhsa_exception_fp_ieee_inexact 0
		.amdhsa_exception_int_div_zero 0
	.end_amdhsa_kernel
	.section	.text._ZN7rocprim17ROCPRIM_400000_NS6detail17trampoline_kernelINS0_14default_configENS1_25partition_config_selectorILNS1_17partition_subalgoE1EjNS0_10empty_typeEbEEZZNS1_14partition_implILS5_1ELb0ES3_jN6thrust23THRUST_200600_302600_NS6detail15normal_iteratorINSA_10device_ptrIjEEEEPS6_NSA_18transform_iteratorI7is_evenIjESF_NSA_11use_defaultESK_EENS0_5tupleIJNSA_16discard_iteratorISK_EESO_EEENSM_IJSG_SG_EEES6_PlJS6_EEE10hipError_tPvRmT3_T4_T5_T6_T7_T9_mT8_P12ihipStream_tbDpT10_ENKUlT_T0_E_clISt17integral_constantIbLb0EES1B_EEDaS16_S17_EUlS16_E_NS1_11comp_targetILNS1_3genE5ELNS1_11target_archE942ELNS1_3gpuE9ELNS1_3repE0EEENS1_30default_config_static_selectorELNS0_4arch9wavefront6targetE1EEEvT1_,"axG",@progbits,_ZN7rocprim17ROCPRIM_400000_NS6detail17trampoline_kernelINS0_14default_configENS1_25partition_config_selectorILNS1_17partition_subalgoE1EjNS0_10empty_typeEbEEZZNS1_14partition_implILS5_1ELb0ES3_jN6thrust23THRUST_200600_302600_NS6detail15normal_iteratorINSA_10device_ptrIjEEEEPS6_NSA_18transform_iteratorI7is_evenIjESF_NSA_11use_defaultESK_EENS0_5tupleIJNSA_16discard_iteratorISK_EESO_EEENSM_IJSG_SG_EEES6_PlJS6_EEE10hipError_tPvRmT3_T4_T5_T6_T7_T9_mT8_P12ihipStream_tbDpT10_ENKUlT_T0_E_clISt17integral_constantIbLb0EES1B_EEDaS16_S17_EUlS16_E_NS1_11comp_targetILNS1_3genE5ELNS1_11target_archE942ELNS1_3gpuE9ELNS1_3repE0EEENS1_30default_config_static_selectorELNS0_4arch9wavefront6targetE1EEEvT1_,comdat
.Lfunc_end2972:
	.size	_ZN7rocprim17ROCPRIM_400000_NS6detail17trampoline_kernelINS0_14default_configENS1_25partition_config_selectorILNS1_17partition_subalgoE1EjNS0_10empty_typeEbEEZZNS1_14partition_implILS5_1ELb0ES3_jN6thrust23THRUST_200600_302600_NS6detail15normal_iteratorINSA_10device_ptrIjEEEEPS6_NSA_18transform_iteratorI7is_evenIjESF_NSA_11use_defaultESK_EENS0_5tupleIJNSA_16discard_iteratorISK_EESO_EEENSM_IJSG_SG_EEES6_PlJS6_EEE10hipError_tPvRmT3_T4_T5_T6_T7_T9_mT8_P12ihipStream_tbDpT10_ENKUlT_T0_E_clISt17integral_constantIbLb0EES1B_EEDaS16_S17_EUlS16_E_NS1_11comp_targetILNS1_3genE5ELNS1_11target_archE942ELNS1_3gpuE9ELNS1_3repE0EEENS1_30default_config_static_selectorELNS0_4arch9wavefront6targetE1EEEvT1_, .Lfunc_end2972-_ZN7rocprim17ROCPRIM_400000_NS6detail17trampoline_kernelINS0_14default_configENS1_25partition_config_selectorILNS1_17partition_subalgoE1EjNS0_10empty_typeEbEEZZNS1_14partition_implILS5_1ELb0ES3_jN6thrust23THRUST_200600_302600_NS6detail15normal_iteratorINSA_10device_ptrIjEEEEPS6_NSA_18transform_iteratorI7is_evenIjESF_NSA_11use_defaultESK_EENS0_5tupleIJNSA_16discard_iteratorISK_EESO_EEENSM_IJSG_SG_EEES6_PlJS6_EEE10hipError_tPvRmT3_T4_T5_T6_T7_T9_mT8_P12ihipStream_tbDpT10_ENKUlT_T0_E_clISt17integral_constantIbLb0EES1B_EEDaS16_S17_EUlS16_E_NS1_11comp_targetILNS1_3genE5ELNS1_11target_archE942ELNS1_3gpuE9ELNS1_3repE0EEENS1_30default_config_static_selectorELNS0_4arch9wavefront6targetE1EEEvT1_
                                        ; -- End function
	.section	.AMDGPU.csdata,"",@progbits
; Kernel info:
; codeLenInByte = 0
; NumSgprs: 4
; NumVgprs: 0
; NumAgprs: 0
; TotalNumVgprs: 0
; ScratchSize: 0
; MemoryBound: 0
; FloatMode: 240
; IeeeMode: 1
; LDSByteSize: 0 bytes/workgroup (compile time only)
; SGPRBlocks: 0
; VGPRBlocks: 0
; NumSGPRsForWavesPerEU: 4
; NumVGPRsForWavesPerEU: 1
; AccumOffset: 4
; Occupancy: 8
; WaveLimiterHint : 0
; COMPUTE_PGM_RSRC2:SCRATCH_EN: 0
; COMPUTE_PGM_RSRC2:USER_SGPR: 6
; COMPUTE_PGM_RSRC2:TRAP_HANDLER: 0
; COMPUTE_PGM_RSRC2:TGID_X_EN: 1
; COMPUTE_PGM_RSRC2:TGID_Y_EN: 0
; COMPUTE_PGM_RSRC2:TGID_Z_EN: 0
; COMPUTE_PGM_RSRC2:TIDIG_COMP_CNT: 0
; COMPUTE_PGM_RSRC3_GFX90A:ACCUM_OFFSET: 0
; COMPUTE_PGM_RSRC3_GFX90A:TG_SPLIT: 0
	.section	.text._ZN7rocprim17ROCPRIM_400000_NS6detail17trampoline_kernelINS0_14default_configENS1_25partition_config_selectorILNS1_17partition_subalgoE1EjNS0_10empty_typeEbEEZZNS1_14partition_implILS5_1ELb0ES3_jN6thrust23THRUST_200600_302600_NS6detail15normal_iteratorINSA_10device_ptrIjEEEEPS6_NSA_18transform_iteratorI7is_evenIjESF_NSA_11use_defaultESK_EENS0_5tupleIJNSA_16discard_iteratorISK_EESO_EEENSM_IJSG_SG_EEES6_PlJS6_EEE10hipError_tPvRmT3_T4_T5_T6_T7_T9_mT8_P12ihipStream_tbDpT10_ENKUlT_T0_E_clISt17integral_constantIbLb0EES1B_EEDaS16_S17_EUlS16_E_NS1_11comp_targetILNS1_3genE4ELNS1_11target_archE910ELNS1_3gpuE8ELNS1_3repE0EEENS1_30default_config_static_selectorELNS0_4arch9wavefront6targetE1EEEvT1_,"axG",@progbits,_ZN7rocprim17ROCPRIM_400000_NS6detail17trampoline_kernelINS0_14default_configENS1_25partition_config_selectorILNS1_17partition_subalgoE1EjNS0_10empty_typeEbEEZZNS1_14partition_implILS5_1ELb0ES3_jN6thrust23THRUST_200600_302600_NS6detail15normal_iteratorINSA_10device_ptrIjEEEEPS6_NSA_18transform_iteratorI7is_evenIjESF_NSA_11use_defaultESK_EENS0_5tupleIJNSA_16discard_iteratorISK_EESO_EEENSM_IJSG_SG_EEES6_PlJS6_EEE10hipError_tPvRmT3_T4_T5_T6_T7_T9_mT8_P12ihipStream_tbDpT10_ENKUlT_T0_E_clISt17integral_constantIbLb0EES1B_EEDaS16_S17_EUlS16_E_NS1_11comp_targetILNS1_3genE4ELNS1_11target_archE910ELNS1_3gpuE8ELNS1_3repE0EEENS1_30default_config_static_selectorELNS0_4arch9wavefront6targetE1EEEvT1_,comdat
	.protected	_ZN7rocprim17ROCPRIM_400000_NS6detail17trampoline_kernelINS0_14default_configENS1_25partition_config_selectorILNS1_17partition_subalgoE1EjNS0_10empty_typeEbEEZZNS1_14partition_implILS5_1ELb0ES3_jN6thrust23THRUST_200600_302600_NS6detail15normal_iteratorINSA_10device_ptrIjEEEEPS6_NSA_18transform_iteratorI7is_evenIjESF_NSA_11use_defaultESK_EENS0_5tupleIJNSA_16discard_iteratorISK_EESO_EEENSM_IJSG_SG_EEES6_PlJS6_EEE10hipError_tPvRmT3_T4_T5_T6_T7_T9_mT8_P12ihipStream_tbDpT10_ENKUlT_T0_E_clISt17integral_constantIbLb0EES1B_EEDaS16_S17_EUlS16_E_NS1_11comp_targetILNS1_3genE4ELNS1_11target_archE910ELNS1_3gpuE8ELNS1_3repE0EEENS1_30default_config_static_selectorELNS0_4arch9wavefront6targetE1EEEvT1_ ; -- Begin function _ZN7rocprim17ROCPRIM_400000_NS6detail17trampoline_kernelINS0_14default_configENS1_25partition_config_selectorILNS1_17partition_subalgoE1EjNS0_10empty_typeEbEEZZNS1_14partition_implILS5_1ELb0ES3_jN6thrust23THRUST_200600_302600_NS6detail15normal_iteratorINSA_10device_ptrIjEEEEPS6_NSA_18transform_iteratorI7is_evenIjESF_NSA_11use_defaultESK_EENS0_5tupleIJNSA_16discard_iteratorISK_EESO_EEENSM_IJSG_SG_EEES6_PlJS6_EEE10hipError_tPvRmT3_T4_T5_T6_T7_T9_mT8_P12ihipStream_tbDpT10_ENKUlT_T0_E_clISt17integral_constantIbLb0EES1B_EEDaS16_S17_EUlS16_E_NS1_11comp_targetILNS1_3genE4ELNS1_11target_archE910ELNS1_3gpuE8ELNS1_3repE0EEENS1_30default_config_static_selectorELNS0_4arch9wavefront6targetE1EEEvT1_
	.globl	_ZN7rocprim17ROCPRIM_400000_NS6detail17trampoline_kernelINS0_14default_configENS1_25partition_config_selectorILNS1_17partition_subalgoE1EjNS0_10empty_typeEbEEZZNS1_14partition_implILS5_1ELb0ES3_jN6thrust23THRUST_200600_302600_NS6detail15normal_iteratorINSA_10device_ptrIjEEEEPS6_NSA_18transform_iteratorI7is_evenIjESF_NSA_11use_defaultESK_EENS0_5tupleIJNSA_16discard_iteratorISK_EESO_EEENSM_IJSG_SG_EEES6_PlJS6_EEE10hipError_tPvRmT3_T4_T5_T6_T7_T9_mT8_P12ihipStream_tbDpT10_ENKUlT_T0_E_clISt17integral_constantIbLb0EES1B_EEDaS16_S17_EUlS16_E_NS1_11comp_targetILNS1_3genE4ELNS1_11target_archE910ELNS1_3gpuE8ELNS1_3repE0EEENS1_30default_config_static_selectorELNS0_4arch9wavefront6targetE1EEEvT1_
	.p2align	8
	.type	_ZN7rocprim17ROCPRIM_400000_NS6detail17trampoline_kernelINS0_14default_configENS1_25partition_config_selectorILNS1_17partition_subalgoE1EjNS0_10empty_typeEbEEZZNS1_14partition_implILS5_1ELb0ES3_jN6thrust23THRUST_200600_302600_NS6detail15normal_iteratorINSA_10device_ptrIjEEEEPS6_NSA_18transform_iteratorI7is_evenIjESF_NSA_11use_defaultESK_EENS0_5tupleIJNSA_16discard_iteratorISK_EESO_EEENSM_IJSG_SG_EEES6_PlJS6_EEE10hipError_tPvRmT3_T4_T5_T6_T7_T9_mT8_P12ihipStream_tbDpT10_ENKUlT_T0_E_clISt17integral_constantIbLb0EES1B_EEDaS16_S17_EUlS16_E_NS1_11comp_targetILNS1_3genE4ELNS1_11target_archE910ELNS1_3gpuE8ELNS1_3repE0EEENS1_30default_config_static_selectorELNS0_4arch9wavefront6targetE1EEEvT1_,@function
_ZN7rocprim17ROCPRIM_400000_NS6detail17trampoline_kernelINS0_14default_configENS1_25partition_config_selectorILNS1_17partition_subalgoE1EjNS0_10empty_typeEbEEZZNS1_14partition_implILS5_1ELb0ES3_jN6thrust23THRUST_200600_302600_NS6detail15normal_iteratorINSA_10device_ptrIjEEEEPS6_NSA_18transform_iteratorI7is_evenIjESF_NSA_11use_defaultESK_EENS0_5tupleIJNSA_16discard_iteratorISK_EESO_EEENSM_IJSG_SG_EEES6_PlJS6_EEE10hipError_tPvRmT3_T4_T5_T6_T7_T9_mT8_P12ihipStream_tbDpT10_ENKUlT_T0_E_clISt17integral_constantIbLb0EES1B_EEDaS16_S17_EUlS16_E_NS1_11comp_targetILNS1_3genE4ELNS1_11target_archE910ELNS1_3gpuE8ELNS1_3repE0EEENS1_30default_config_static_selectorELNS0_4arch9wavefront6targetE1EEEvT1_: ; @_ZN7rocprim17ROCPRIM_400000_NS6detail17trampoline_kernelINS0_14default_configENS1_25partition_config_selectorILNS1_17partition_subalgoE1EjNS0_10empty_typeEbEEZZNS1_14partition_implILS5_1ELb0ES3_jN6thrust23THRUST_200600_302600_NS6detail15normal_iteratorINSA_10device_ptrIjEEEEPS6_NSA_18transform_iteratorI7is_evenIjESF_NSA_11use_defaultESK_EENS0_5tupleIJNSA_16discard_iteratorISK_EESO_EEENSM_IJSG_SG_EEES6_PlJS6_EEE10hipError_tPvRmT3_T4_T5_T6_T7_T9_mT8_P12ihipStream_tbDpT10_ENKUlT_T0_E_clISt17integral_constantIbLb0EES1B_EEDaS16_S17_EUlS16_E_NS1_11comp_targetILNS1_3genE4ELNS1_11target_archE910ELNS1_3gpuE8ELNS1_3repE0EEENS1_30default_config_static_selectorELNS0_4arch9wavefront6targetE1EEEvT1_
; %bb.0:
	s_load_dwordx2 s[0:1], s[4:5], 0x70
	s_load_dwordx4 s[12:15], s[4:5], 0x8
	s_load_dwordx2 s[2:3], s[4:5], 0x20
	s_load_dwordx4 s[20:23], s[4:5], 0x60
	s_waitcnt lgkmcnt(0)
	v_mov_b32_e32 v3, s1
	s_load_dword s1, s[4:5], 0x88
	s_lshl_b64 s[8:9], s[14:15], 2
	s_add_u32 s16, s12, s8
	s_addc_u32 s17, s13, s9
	v_mov_b32_e32 v2, s0
	s_waitcnt lgkmcnt(0)
	s_add_i32 s10, s1, -1
	s_mulk_i32 s1, 0x700
	s_add_i32 s7, s1, s14
	s_sub_i32 s7, s0, s7
	s_addk_i32 s7, 0x700
	s_add_u32 s0, s14, s1
	s_addc_u32 s1, s15, 0
	s_cmp_eq_u32 s6, s10
	s_load_dwordx2 s[18:19], s[22:23], 0x0
	s_cselect_b64 s[22:23], -1, 0
	s_cmp_lg_u32 s6, s10
	s_mul_i32 s12, s6, 0x700
	s_mov_b32 s13, 0
	v_cmp_lt_u64_e32 vcc, s[0:1], v[2:3]
	s_cselect_b64 s[0:1], -1, 0
	s_or_b64 s[10:11], s[0:1], vcc
	s_lshl_b64 s[12:13], s[12:13], 2
	s_add_u32 s16, s16, s12
	s_addc_u32 s17, s17, s13
	s_mov_b64 s[0:1], -1
	s_and_b64 vcc, exec, s[10:11]
	s_cbranch_vccz .LBB2973_2
; %bb.1:
	v_lshlrev_b32_e32 v1, 2, v0
	v_mov_b32_e32 v3, s17
	v_add_co_u32_e32 v2, vcc, s16, v1
	v_addc_co_u32_e32 v3, vcc, 0, v3, vcc
	v_add_co_u32_e32 v4, vcc, 0x1000, v2
	v_addc_co_u32_e32 v5, vcc, 0, v3, vcc
	flat_load_dword v6, v[2:3]
	flat_load_dword v7, v[2:3] offset:1024
	flat_load_dword v8, v[2:3] offset:2048
	;; [unrolled: 1-line block ×3, first 2 shown]
	flat_load_dword v10, v[4:5]
	flat_load_dword v11, v[4:5] offset:1024
	flat_load_dword v12, v[4:5] offset:2048
	s_mov_b64 s[0:1], 0
	s_waitcnt vmcnt(0) lgkmcnt(0)
	ds_write2st64_b32 v1, v6, v7 offset1:4
	ds_write2st64_b32 v1, v8, v9 offset0:8 offset1:12
	ds_write2st64_b32 v1, v10, v11 offset0:16 offset1:20
	ds_write_b32 v1, v12 offset:6144
	s_waitcnt lgkmcnt(0)
	s_barrier
.LBB2973_2:
	s_andn2_b64 vcc, exec, s[0:1]
	v_cmp_gt_u32_e64 s[0:1], s7, v0
	s_cbranch_vccnz .LBB2973_18
; %bb.3:
                                        ; implicit-def: $vgpr2_vgpr3_vgpr4_vgpr5_vgpr6_vgpr7_vgpr8
	s_and_saveexec_b64 s[14:15], s[0:1]
	s_cbranch_execz .LBB2973_5
; %bb.4:
	v_lshlrev_b32_e32 v1, 2, v0
	v_mov_b32_e32 v3, s17
	v_add_co_u32_e32 v2, vcc, s16, v1
	v_addc_co_u32_e32 v3, vcc, 0, v3, vcc
	flat_load_dword v2, v[2:3]
.LBB2973_5:
	s_or_b64 exec, exec, s[14:15]
	v_or_b32_e32 v1, 0x100, v0
	v_cmp_gt_u32_e32 vcc, s7, v1
	s_and_saveexec_b64 s[0:1], vcc
	s_cbranch_execz .LBB2973_7
; %bb.6:
	v_lshlrev_b32_e32 v1, 2, v0
	v_mov_b32_e32 v3, s17
	v_add_co_u32_e32 v10, vcc, s16, v1
	v_addc_co_u32_e32 v11, vcc, 0, v3, vcc
	flat_load_dword v3, v[10:11] offset:1024
.LBB2973_7:
	s_or_b64 exec, exec, s[0:1]
	v_or_b32_e32 v1, 0x200, v0
	v_cmp_gt_u32_e32 vcc, s7, v1
	s_and_saveexec_b64 s[0:1], vcc
	s_cbranch_execz .LBB2973_9
; %bb.8:
	v_lshlrev_b32_e32 v1, 2, v0
	v_mov_b32_e32 v4, s17
	v_add_co_u32_e32 v10, vcc, s16, v1
	v_addc_co_u32_e32 v11, vcc, 0, v4, vcc
	flat_load_dword v4, v[10:11] offset:2048
.LBB2973_9:
	;; [unrolled: 12-line block ×3, first 2 shown]
	s_or_b64 exec, exec, s[0:1]
	v_or_b32_e32 v1, 0x400, v0
	v_cmp_gt_u32_e32 vcc, s7, v1
	s_and_saveexec_b64 s[0:1], vcc
	s_cbranch_execz .LBB2973_13
; %bb.12:
	v_lshlrev_b32_e32 v1, 2, v1
	v_mov_b32_e32 v6, s17
	v_add_co_u32_e32 v10, vcc, s16, v1
	v_addc_co_u32_e32 v11, vcc, 0, v6, vcc
	flat_load_dword v6, v[10:11]
.LBB2973_13:
	s_or_b64 exec, exec, s[0:1]
	v_or_b32_e32 v1, 0x500, v0
	v_cmp_gt_u32_e32 vcc, s7, v1
	s_and_saveexec_b64 s[0:1], vcc
	s_cbranch_execz .LBB2973_15
; %bb.14:
	v_lshlrev_b32_e32 v1, 2, v1
	v_mov_b32_e32 v7, s17
	v_add_co_u32_e32 v10, vcc, s16, v1
	v_addc_co_u32_e32 v11, vcc, 0, v7, vcc
	flat_load_dword v7, v[10:11]
.LBB2973_15:
	;; [unrolled: 12-line block ×3, first 2 shown]
	s_or_b64 exec, exec, s[0:1]
	v_lshlrev_b32_e32 v1, 2, v0
	s_waitcnt vmcnt(0) lgkmcnt(0)
	ds_write2st64_b32 v1, v2, v3 offset1:4
	ds_write2st64_b32 v1, v4, v5 offset0:8 offset1:12
	ds_write2st64_b32 v1, v6, v7 offset0:16 offset1:20
	ds_write_b32 v1, v8 offset:6144
	s_waitcnt lgkmcnt(0)
	s_barrier
.LBB2973_18:
	v_mul_u32_u24_e32 v18, 7, v0
	v_lshlrev_b32_e32 v8, 2, v18
	s_waitcnt lgkmcnt(0)
	ds_read2_b32 v[6:7], v8 offset1:1
	ds_read2_b32 v[4:5], v8 offset0:2 offset1:3
	ds_read2_b32 v[2:3], v8 offset0:4 offset1:5
	ds_read_b32 v1, v8 offset:24
	s_add_u32 s0, s2, s8
	s_addc_u32 s1, s3, s9
	s_add_u32 s0, s0, s12
	s_addc_u32 s1, s1, s13
	s_mov_b64 s[2:3], -1
	s_and_b64 vcc, exec, s[10:11]
	s_waitcnt lgkmcnt(0)
	s_barrier
	s_cbranch_vccz .LBB2973_20
; %bb.19:
	v_lshlrev_b32_e32 v9, 2, v0
	v_mov_b32_e32 v10, s1
	v_add_co_u32_e32 v11, vcc, s0, v9
	v_addc_co_u32_e32 v12, vcc, 0, v10, vcc
	s_movk_i32 s2, 0x1000
	v_add_co_u32_e32 v10, vcc, s2, v11
	v_addc_co_u32_e32 v11, vcc, 0, v12, vcc
	global_load_dword v13, v9, s[0:1]
	global_load_dword v14, v9, s[0:1] offset:1024
	global_load_dword v15, v9, s[0:1] offset:2048
	;; [unrolled: 1-line block ×3, first 2 shown]
	s_nop 0
	global_load_dword v9, v[10:11], off
	global_load_dword v12, v[10:11], off offset:1024
	global_load_dword v17, v[10:11], off offset:2048
	s_mov_b64 s[2:3], 0
	s_waitcnt vmcnt(6)
	v_xor_b32_e32 v10, -1, v13
	s_waitcnt vmcnt(5)
	v_xor_b32_e32 v11, -1, v14
	;; [unrolled: 2-line block ×3, first 2 shown]
	v_xor_b32_e32 v13, -1, v15
	v_xor_b32_e32 v14, -1, v16
	v_and_b32_e32 v10, 1, v10
	v_and_b32_e32 v11, 1, v11
	s_waitcnt vmcnt(1)
	v_xor_b32_e32 v12, -1, v12
	s_waitcnt vmcnt(0)
	v_xor_b32_e32 v15, -1, v17
	v_and_b32_e32 v9, 1, v9
	v_and_b32_e32 v13, 1, v13
	;; [unrolled: 1-line block ×3, first 2 shown]
	ds_write_b8 v0, v10
	ds_write_b8 v0, v11 offset:256
	ds_write_b8 v0, v13 offset:512
	;; [unrolled: 1-line block ×3, first 2 shown]
	v_and_b32_e32 v10, 1, v12
	v_and_b32_e32 v11, 1, v15
	ds_write_b8 v0, v9 offset:1024
	ds_write_b8 v0, v10 offset:1280
	;; [unrolled: 1-line block ×3, first 2 shown]
	s_waitcnt lgkmcnt(0)
	s_barrier
.LBB2973_20:
	s_load_dwordx2 s[24:25], s[4:5], 0x80
	s_andn2_b64 vcc, exec, s[2:3]
	s_cbranch_vccnz .LBB2973_36
; %bb.21:
	v_cmp_gt_u32_e32 vcc, s7, v0
	v_mov_b32_e32 v9, 0
	v_mov_b32_e32 v10, 0
	s_and_saveexec_b64 s[2:3], vcc
	s_cbranch_execz .LBB2973_23
; %bb.22:
	v_lshlrev_b32_e32 v10, 2, v0
	global_load_dword v10, v10, s[0:1]
	s_waitcnt vmcnt(0)
	v_xor_b32_e32 v10, -1, v10
	v_and_b32_e32 v10, 1, v10
.LBB2973_23:
	s_or_b64 exec, exec, s[2:3]
	v_or_b32_e32 v11, 0x100, v0
	v_cmp_gt_u32_e32 vcc, s7, v11
	s_and_saveexec_b64 s[2:3], vcc
	s_cbranch_execz .LBB2973_25
; %bb.24:
	v_lshlrev_b32_e32 v9, 2, v0
	global_load_dword v9, v9, s[0:1] offset:1024
	s_waitcnt vmcnt(0)
	v_xor_b32_e32 v9, -1, v9
	v_and_b32_e32 v9, 1, v9
.LBB2973_25:
	s_or_b64 exec, exec, s[2:3]
	v_or_b32_e32 v11, 0x200, v0
	v_cmp_gt_u32_e32 vcc, s7, v11
	v_mov_b32_e32 v11, 0
	v_mov_b32_e32 v12, 0
	s_and_saveexec_b64 s[2:3], vcc
	s_cbranch_execz .LBB2973_27
; %bb.26:
	v_lshlrev_b32_e32 v12, 2, v0
	global_load_dword v12, v12, s[0:1] offset:2048
	s_waitcnt vmcnt(0)
	v_xor_b32_e32 v12, -1, v12
	v_and_b32_e32 v12, 1, v12
.LBB2973_27:
	s_or_b64 exec, exec, s[2:3]
	v_or_b32_e32 v13, 0x300, v0
	v_cmp_gt_u32_e32 vcc, s7, v13
	s_and_saveexec_b64 s[2:3], vcc
	s_cbranch_execz .LBB2973_29
; %bb.28:
	v_lshlrev_b32_e32 v11, 2, v0
	global_load_dword v11, v11, s[0:1] offset:3072
	s_waitcnt vmcnt(0)
	v_xor_b32_e32 v11, -1, v11
	v_and_b32_e32 v11, 1, v11
.LBB2973_29:
	s_or_b64 exec, exec, s[2:3]
	v_or_b32_e32 v15, 0x400, v0
	v_cmp_gt_u32_e32 vcc, s7, v15
	v_mov_b32_e32 v13, 0
	v_mov_b32_e32 v14, 0
	s_and_saveexec_b64 s[2:3], vcc
	s_cbranch_execz .LBB2973_31
; %bb.30:
	v_lshlrev_b32_e32 v14, 2, v15
	global_load_dword v14, v14, s[0:1]
	s_waitcnt vmcnt(0)
	v_xor_b32_e32 v14, -1, v14
	v_and_b32_e32 v14, 1, v14
.LBB2973_31:
	s_or_b64 exec, exec, s[2:3]
	v_or_b32_e32 v15, 0x500, v0
	v_cmp_gt_u32_e32 vcc, s7, v15
	s_and_saveexec_b64 s[2:3], vcc
	s_cbranch_execz .LBB2973_33
; %bb.32:
	v_lshlrev_b32_e32 v13, 2, v15
	global_load_dword v13, v13, s[0:1]
	s_waitcnt vmcnt(0)
	v_xor_b32_e32 v13, -1, v13
	v_and_b32_e32 v13, 1, v13
.LBB2973_33:
	s_or_b64 exec, exec, s[2:3]
	v_or_b32_e32 v16, 0x600, v0
	v_cmp_gt_u32_e32 vcc, s7, v16
	v_mov_b32_e32 v15, 0
	s_and_saveexec_b64 s[2:3], vcc
	s_cbranch_execz .LBB2973_35
; %bb.34:
	v_lshlrev_b32_e32 v15, 2, v16
	global_load_dword v15, v15, s[0:1]
	s_waitcnt vmcnt(0)
	v_xor_b32_e32 v15, -1, v15
	v_and_b32_e32 v15, 1, v15
.LBB2973_35:
	s_or_b64 exec, exec, s[2:3]
	ds_write_b8 v0, v10
	ds_write_b8 v0, v9 offset:256
	ds_write_b8 v0, v12 offset:512
	;; [unrolled: 1-line block ×6, first 2 shown]
	s_waitcnt lgkmcnt(0)
	s_barrier
.LBB2973_36:
	s_movk_i32 s0, 0xffeb
	v_mad_i32_i24 v27, v0, s0, v8
	s_waitcnt lgkmcnt(0)
	ds_read_u8 v8, v27
	ds_read_u8 v9, v27 offset:1
	ds_read_u8 v10, v27 offset:2
	;; [unrolled: 1-line block ×6, first 2 shown]
	s_waitcnt lgkmcnt(6)
	v_and_b32_e32 v25, 1, v8
	s_waitcnt lgkmcnt(5)
	v_and_b32_e32 v24, 1, v9
	;; [unrolled: 2-line block ×5, first 2 shown]
	v_add3_u32 v8, v24, v25, v23
	s_waitcnt lgkmcnt(1)
	v_and_b32_e32 v20, 1, v13
	s_waitcnt lgkmcnt(0)
	v_and_b32_e32 v19, 1, v14
	v_add3_u32 v8, v8, v22, v21
	v_add3_u32 v29, v8, v20, v19
	v_mbcnt_lo_u32_b32 v8, -1, 0
	v_mbcnt_hi_u32_b32 v26, -1, v8
	v_and_b32_e32 v8, 15, v26
	v_cmp_eq_u32_e64 s[12:13], 0, v8
	v_cmp_lt_u32_e64 s[10:11], 1, v8
	v_cmp_lt_u32_e64 s[8:9], 3, v8
	;; [unrolled: 1-line block ×3, first 2 shown]
	v_and_b32_e32 v8, 16, v26
	v_cmp_eq_u32_e64 s[4:5], 0, v8
	v_or_b32_e32 v8, 63, v0
	s_cmp_lg_u32 s6, 0
	v_cmp_lt_u32_e64 s[0:1], 31, v26
	v_lshrrev_b32_e32 v28, 6, v0
	v_cmp_eq_u32_e64 s[2:3], v8, v0
	s_barrier
	s_cbranch_scc0 .LBB2973_63
; %bb.37:
	v_mov_b32_dpp v8, v29 row_shr:1 row_mask:0xf bank_mask:0xf
	v_cndmask_b32_e64 v8, v8, 0, s[12:13]
	v_add_u32_e32 v8, v8, v29
	s_nop 1
	v_mov_b32_dpp v9, v8 row_shr:2 row_mask:0xf bank_mask:0xf
	v_cndmask_b32_e64 v9, 0, v9, s[10:11]
	v_add_u32_e32 v8, v8, v9
	s_nop 1
	;; [unrolled: 4-line block ×4, first 2 shown]
	v_mov_b32_dpp v9, v8 row_bcast:15 row_mask:0xf bank_mask:0xf
	v_cndmask_b32_e64 v9, v9, 0, s[4:5]
	v_add_u32_e32 v8, v8, v9
	s_nop 1
	v_mov_b32_dpp v9, v8 row_bcast:31 row_mask:0xf bank_mask:0xf
	v_cndmask_b32_e64 v9, 0, v9, s[0:1]
	v_add_u32_e32 v8, v8, v9
	s_and_saveexec_b64 s[14:15], s[2:3]
	s_cbranch_execz .LBB2973_39
; %bb.38:
	v_lshlrev_b32_e32 v9, 2, v28
	ds_write_b32 v9, v8
.LBB2973_39:
	s_or_b64 exec, exec, s[14:15]
	v_cmp_gt_u32_e32 vcc, 4, v0
	s_waitcnt lgkmcnt(0)
	s_barrier
	s_and_saveexec_b64 s[14:15], vcc
	s_cbranch_execz .LBB2973_41
; %bb.40:
	v_lshlrev_b32_e32 v9, 2, v0
	ds_read_b32 v10, v9
	v_and_b32_e32 v11, 3, v26
	v_cmp_ne_u32_e32 vcc, 0, v11
	s_waitcnt lgkmcnt(0)
	v_mov_b32_dpp v12, v10 row_shr:1 row_mask:0xf bank_mask:0xf
	v_cndmask_b32_e32 v12, 0, v12, vcc
	v_add_u32_e32 v10, v12, v10
	v_cmp_lt_u32_e32 vcc, 1, v11
	s_nop 0
	v_mov_b32_dpp v12, v10 row_shr:2 row_mask:0xf bank_mask:0xf
	v_cndmask_b32_e32 v11, 0, v12, vcc
	v_add_u32_e32 v10, v10, v11
	ds_write_b32 v9, v10
.LBB2973_41:
	s_or_b64 exec, exec, s[14:15]
	v_cmp_gt_u32_e32 vcc, 64, v0
	v_cmp_lt_u32_e64 s[14:15], 63, v0
	s_waitcnt lgkmcnt(0)
	s_barrier
	s_waitcnt lgkmcnt(0)
                                        ; implicit-def: $vgpr30
	s_and_saveexec_b64 s[26:27], s[14:15]
	s_cbranch_execz .LBB2973_43
; %bb.42:
	v_lshl_add_u32 v9, v28, 2, -4
	ds_read_b32 v30, v9
	s_waitcnt lgkmcnt(0)
	v_add_u32_e32 v8, v30, v8
.LBB2973_43:
	s_or_b64 exec, exec, s[26:27]
	v_add_u32_e32 v9, -1, v26
	v_and_b32_e32 v10, 64, v26
	v_cmp_lt_i32_e64 s[14:15], v9, v10
	v_cndmask_b32_e64 v9, v9, v26, s[14:15]
	v_lshlrev_b32_e32 v9, 2, v9
	ds_bpermute_b32 v31, v9, v8
	v_cmp_eq_u32_e64 s[14:15], 0, v26
	s_and_saveexec_b64 s[26:27], vcc
	s_cbranch_execz .LBB2973_62
; %bb.44:
	v_mov_b32_e32 v15, 0
	ds_read_b32 v8, v15 offset:12
	s_and_saveexec_b64 s[28:29], s[14:15]
	s_cbranch_execz .LBB2973_46
; %bb.45:
	s_add_i32 s30, s6, 64
	s_mov_b32 s31, 0
	s_lshl_b64 s[30:31], s[30:31], 3
	s_add_u32 s30, s24, s30
	v_mov_b32_e32 v9, 1
	s_addc_u32 s31, s25, s31
	s_waitcnt lgkmcnt(0)
	global_store_dwordx2 v15, v[8:9], s[30:31]
.LBB2973_46:
	s_or_b64 exec, exec, s[28:29]
	v_xad_u32 v10, v26, -1, s6
	v_add_u32_e32 v14, 64, v10
	v_lshlrev_b64 v[12:13], 3, v[14:15]
	v_mov_b32_e32 v9, s25
	v_add_co_u32_e32 v16, vcc, s24, v12
	v_addc_co_u32_e32 v17, vcc, v9, v13, vcc
	global_load_dwordx2 v[12:13], v[16:17], off glc
	s_waitcnt vmcnt(0)
	v_cmp_eq_u16_sdwa s[30:31], v13, v15 src0_sel:BYTE_0 src1_sel:DWORD
	s_and_saveexec_b64 s[28:29], s[30:31]
	s_cbranch_execz .LBB2973_50
; %bb.47:
	s_mov_b64 s[30:31], 0
	v_mov_b32_e32 v9, 0
.LBB2973_48:                            ; =>This Inner Loop Header: Depth=1
	global_load_dwordx2 v[12:13], v[16:17], off glc
	s_waitcnt vmcnt(0)
	v_cmp_ne_u16_sdwa s[34:35], v13, v9 src0_sel:BYTE_0 src1_sel:DWORD
	s_or_b64 s[30:31], s[34:35], s[30:31]
	s_andn2_b64 exec, exec, s[30:31]
	s_cbranch_execnz .LBB2973_48
; %bb.49:
	s_or_b64 exec, exec, s[30:31]
.LBB2973_50:
	s_or_b64 exec, exec, s[28:29]
	v_and_b32_e32 v33, 63, v26
	v_mov_b32_e32 v32, 2
	v_cmp_ne_u32_e32 vcc, 63, v33
	v_cmp_eq_u16_sdwa s[28:29], v13, v32 src0_sel:BYTE_0 src1_sel:DWORD
	v_lshlrev_b64 v[14:15], v26, -1
	v_addc_co_u32_e32 v16, vcc, 0, v26, vcc
	v_and_b32_e32 v9, s29, v15
	v_lshlrev_b32_e32 v34, 2, v16
	v_or_b32_e32 v9, 0x80000000, v9
	ds_bpermute_b32 v16, v34, v12
	v_and_b32_e32 v11, s28, v14
	v_ffbl_b32_e32 v9, v9
	v_add_u32_e32 v9, 32, v9
	v_ffbl_b32_e32 v11, v11
	v_min_u32_e32 v9, v11, v9
	v_cmp_lt_u32_e32 vcc, v33, v9
	s_waitcnt lgkmcnt(0)
	v_cndmask_b32_e32 v11, 0, v16, vcc
	v_cmp_gt_u32_e32 vcc, 62, v33
	v_add_u32_e32 v11, v11, v12
	v_cndmask_b32_e64 v12, 0, 1, vcc
	v_lshlrev_b32_e32 v12, 1, v12
	v_add_lshl_u32 v35, v12, v26, 2
	ds_bpermute_b32 v12, v35, v11
	v_add_u32_e32 v36, 2, v33
	v_cmp_le_u32_e32 vcc, v36, v9
	v_add_u32_e32 v38, 4, v33
	v_add_u32_e32 v40, 8, v33
	s_waitcnt lgkmcnt(0)
	v_cndmask_b32_e32 v12, 0, v12, vcc
	v_cmp_gt_u32_e32 vcc, 60, v33
	v_add_u32_e32 v11, v11, v12
	v_cndmask_b32_e64 v12, 0, 1, vcc
	v_lshlrev_b32_e32 v12, 2, v12
	v_add_lshl_u32 v37, v12, v26, 2
	ds_bpermute_b32 v12, v37, v11
	v_cmp_le_u32_e32 vcc, v38, v9
	v_add_u32_e32 v42, 16, v33
	v_add_u32_e32 v44, 32, v33
	s_waitcnt lgkmcnt(0)
	v_cndmask_b32_e32 v12, 0, v12, vcc
	v_cmp_gt_u32_e32 vcc, 56, v33
	v_add_u32_e32 v11, v11, v12
	v_cndmask_b32_e64 v12, 0, 1, vcc
	v_lshlrev_b32_e32 v12, 3, v12
	v_add_lshl_u32 v39, v12, v26, 2
	ds_bpermute_b32 v12, v39, v11
	v_cmp_le_u32_e32 vcc, v40, v9
	s_waitcnt lgkmcnt(0)
	v_cndmask_b32_e32 v12, 0, v12, vcc
	v_cmp_gt_u32_e32 vcc, 48, v33
	v_add_u32_e32 v11, v11, v12
	v_cndmask_b32_e64 v12, 0, 1, vcc
	v_lshlrev_b32_e32 v12, 4, v12
	v_add_lshl_u32 v41, v12, v26, 2
	ds_bpermute_b32 v12, v41, v11
	v_cmp_le_u32_e32 vcc, v42, v9
	;; [unrolled: 9-line block ×3, first 2 shown]
	s_waitcnt lgkmcnt(0)
	v_cndmask_b32_e32 v9, 0, v12, vcc
	v_add_u32_e32 v12, v11, v9
	v_mov_b32_e32 v11, 0
	s_branch .LBB2973_52
.LBB2973_51:                            ;   in Loop: Header=BB2973_52 Depth=1
	s_or_b64 exec, exec, s[28:29]
	v_cmp_eq_u16_sdwa s[28:29], v13, v32 src0_sel:BYTE_0 src1_sel:DWORD
	v_and_b32_e32 v16, s29, v15
	v_or_b32_e32 v16, 0x80000000, v16
	ds_bpermute_b32 v45, v34, v12
	v_and_b32_e32 v17, s28, v14
	v_ffbl_b32_e32 v16, v16
	v_add_u32_e32 v16, 32, v16
	v_ffbl_b32_e32 v17, v17
	v_min_u32_e32 v16, v17, v16
	v_cmp_lt_u32_e32 vcc, v33, v16
	s_waitcnt lgkmcnt(0)
	v_cndmask_b32_e32 v17, 0, v45, vcc
	v_add_u32_e32 v12, v17, v12
	ds_bpermute_b32 v17, v35, v12
	v_cmp_le_u32_e32 vcc, v36, v16
	v_subrev_u32_e32 v10, 64, v10
	s_waitcnt lgkmcnt(0)
	v_cndmask_b32_e32 v17, 0, v17, vcc
	v_add_u32_e32 v12, v12, v17
	ds_bpermute_b32 v17, v37, v12
	v_cmp_le_u32_e32 vcc, v38, v16
	s_waitcnt lgkmcnt(0)
	v_cndmask_b32_e32 v17, 0, v17, vcc
	v_add_u32_e32 v12, v12, v17
	ds_bpermute_b32 v17, v39, v12
	v_cmp_le_u32_e32 vcc, v40, v16
	;; [unrolled: 5-line block ×4, first 2 shown]
	s_waitcnt lgkmcnt(0)
	v_cndmask_b32_e32 v16, 0, v17, vcc
	v_add3_u32 v12, v16, v9, v12
.LBB2973_52:                            ; =>This Loop Header: Depth=1
                                        ;     Child Loop BB2973_55 Depth 2
	v_cmp_ne_u16_sdwa s[28:29], v13, v32 src0_sel:BYTE_0 src1_sel:DWORD
	v_cndmask_b32_e64 v9, 0, 1, s[28:29]
	;;#ASMSTART
	;;#ASMEND
	v_cmp_ne_u32_e32 vcc, 0, v9
	s_cmp_lg_u64 vcc, exec
	v_mov_b32_e32 v9, v12
	s_cbranch_scc1 .LBB2973_57
; %bb.53:                               ;   in Loop: Header=BB2973_52 Depth=1
	v_lshlrev_b64 v[12:13], 3, v[10:11]
	v_mov_b32_e32 v17, s25
	v_add_co_u32_e32 v16, vcc, s24, v12
	v_addc_co_u32_e32 v17, vcc, v17, v13, vcc
	global_load_dwordx2 v[12:13], v[16:17], off glc
	s_waitcnt vmcnt(0)
	v_cmp_eq_u16_sdwa s[30:31], v13, v11 src0_sel:BYTE_0 src1_sel:DWORD
	s_and_saveexec_b64 s[28:29], s[30:31]
	s_cbranch_execz .LBB2973_51
; %bb.54:                               ;   in Loop: Header=BB2973_52 Depth=1
	s_mov_b64 s[30:31], 0
.LBB2973_55:                            ;   Parent Loop BB2973_52 Depth=1
                                        ; =>  This Inner Loop Header: Depth=2
	global_load_dwordx2 v[12:13], v[16:17], off glc
	s_waitcnt vmcnt(0)
	v_cmp_ne_u16_sdwa s[34:35], v13, v11 src0_sel:BYTE_0 src1_sel:DWORD
	s_or_b64 s[30:31], s[34:35], s[30:31]
	s_andn2_b64 exec, exec, s[30:31]
	s_cbranch_execnz .LBB2973_55
; %bb.56:                               ;   in Loop: Header=BB2973_52 Depth=1
	s_or_b64 exec, exec, s[30:31]
	s_branch .LBB2973_51
.LBB2973_57:                            ;   in Loop: Header=BB2973_52 Depth=1
                                        ; implicit-def: $vgpr12
                                        ; implicit-def: $vgpr13
	s_cbranch_execz .LBB2973_52
; %bb.58:
	s_and_saveexec_b64 s[28:29], s[14:15]
	s_cbranch_execz .LBB2973_60
; %bb.59:
	s_add_i32 s6, s6, 64
	s_mov_b32 s7, 0
	s_lshl_b64 s[6:7], s[6:7], 3
	s_add_u32 s6, s24, s6
	v_add_u32_e32 v10, v9, v8
	v_mov_b32_e32 v11, 2
	s_addc_u32 s7, s25, s7
	v_mov_b32_e32 v12, 0
	global_store_dwordx2 v12, v[10:11], s[6:7]
	ds_write_b64 v12, v[8:9] offset:7168
.LBB2973_60:
	s_or_b64 exec, exec, s[28:29]
	v_cmp_eq_u32_e32 vcc, 0, v0
	s_and_b64 exec, exec, vcc
	s_cbranch_execz .LBB2973_62
; %bb.61:
	v_mov_b32_e32 v8, 0
	ds_write_b32 v8, v9 offset:12
.LBB2973_62:
	s_or_b64 exec, exec, s[26:27]
	v_mov_b32_e32 v8, 0
	s_waitcnt lgkmcnt(0)
	s_barrier
	ds_read_b32 v9, v8 offset:12
	v_cndmask_b32_e64 v10, v31, v30, s[14:15]
	v_cmp_ne_u32_e32 vcc, 0, v0
	v_cndmask_b32_e32 v10, 0, v10, vcc
	s_waitcnt lgkmcnt(0)
	v_add_u32_e32 v16, v9, v10
	v_add_u32_e32 v15, v16, v25
	;; [unrolled: 1-line block ×3, first 2 shown]
	s_barrier
	ds_read_b64 v[8:9], v8 offset:7168
	v_add_u32_e32 v12, v14, v23
	v_add_u32_e32 v13, v12, v22
	;; [unrolled: 1-line block ×4, first 2 shown]
	s_branch .LBB2973_73
.LBB2973_63:
                                        ; implicit-def: $vgpr9
                                        ; implicit-def: $vgpr10
                                        ; implicit-def: $vgpr11
                                        ; implicit-def: $vgpr13
                                        ; implicit-def: $vgpr12
                                        ; implicit-def: $vgpr14
                                        ; implicit-def: $vgpr15
                                        ; implicit-def: $vgpr16
	s_cbranch_execz .LBB2973_73
; %bb.64:
	s_waitcnt lgkmcnt(0)
	v_mov_b32_dpp v8, v29 row_shr:1 row_mask:0xf bank_mask:0xf
	v_cndmask_b32_e64 v8, v8, 0, s[12:13]
	v_add_u32_e32 v8, v8, v29
	s_nop 1
	v_mov_b32_dpp v9, v8 row_shr:2 row_mask:0xf bank_mask:0xf
	v_cndmask_b32_e64 v9, 0, v9, s[10:11]
	v_add_u32_e32 v8, v8, v9
	s_nop 1
	;; [unrolled: 4-line block ×4, first 2 shown]
	v_mov_b32_dpp v9, v8 row_bcast:15 row_mask:0xf bank_mask:0xf
	v_cndmask_b32_e64 v9, v9, 0, s[4:5]
	v_add_u32_e32 v8, v8, v9
	s_nop 1
	v_mov_b32_dpp v9, v8 row_bcast:31 row_mask:0xf bank_mask:0xf
	v_cndmask_b32_e64 v9, 0, v9, s[0:1]
	v_add_u32_e32 v8, v8, v9
	s_and_saveexec_b64 s[0:1], s[2:3]
	s_cbranch_execz .LBB2973_66
; %bb.65:
	v_lshlrev_b32_e32 v9, 2, v28
	ds_write_b32 v9, v8
.LBB2973_66:
	s_or_b64 exec, exec, s[0:1]
	v_cmp_gt_u32_e32 vcc, 4, v0
	s_waitcnt lgkmcnt(0)
	s_barrier
	s_and_saveexec_b64 s[0:1], vcc
	s_cbranch_execz .LBB2973_68
; %bb.67:
	v_mad_i32_i24 v9, v0, -3, v27
	ds_read_b32 v10, v9
	v_and_b32_e32 v11, 3, v26
	v_cmp_ne_u32_e32 vcc, 0, v11
	s_waitcnt lgkmcnt(0)
	v_mov_b32_dpp v12, v10 row_shr:1 row_mask:0xf bank_mask:0xf
	v_cndmask_b32_e32 v12, 0, v12, vcc
	v_add_u32_e32 v10, v12, v10
	v_cmp_lt_u32_e32 vcc, 1, v11
	s_nop 0
	v_mov_b32_dpp v12, v10 row_shr:2 row_mask:0xf bank_mask:0xf
	v_cndmask_b32_e32 v11, 0, v12, vcc
	v_add_u32_e32 v10, v10, v11
	ds_write_b32 v9, v10
.LBB2973_68:
	s_or_b64 exec, exec, s[0:1]
	v_cmp_lt_u32_e32 vcc, 63, v0
	v_mov_b32_e32 v9, 0
	v_mov_b32_e32 v10, 0
	s_waitcnt lgkmcnt(0)
	s_barrier
	s_and_saveexec_b64 s[0:1], vcc
	s_cbranch_execz .LBB2973_70
; %bb.69:
	v_lshl_add_u32 v10, v28, 2, -4
	ds_read_b32 v10, v10
.LBB2973_70:
	s_or_b64 exec, exec, s[0:1]
	v_add_u32_e32 v11, -1, v26
	v_and_b32_e32 v12, 64, v26
	v_cmp_lt_i32_e32 vcc, v11, v12
	v_cndmask_b32_e32 v11, v11, v26, vcc
	s_waitcnt lgkmcnt(0)
	v_add_u32_e32 v8, v10, v8
	v_lshlrev_b32_e32 v11, 2, v11
	ds_bpermute_b32 v11, v11, v8
	ds_read_b32 v8, v9 offset:12
	v_cmp_eq_u32_e32 vcc, 0, v0
	s_and_saveexec_b64 s[0:1], vcc
	s_cbranch_execz .LBB2973_72
; %bb.71:
	v_mov_b32_e32 v12, 0
	v_mov_b32_e32 v9, 2
	s_waitcnt lgkmcnt(0)
	global_store_dwordx2 v12, v[8:9], s[24:25] offset:512
.LBB2973_72:
	s_or_b64 exec, exec, s[0:1]
	v_cmp_eq_u32_e64 s[0:1], 0, v26
	s_waitcnt lgkmcnt(1)
	v_cndmask_b32_e64 v10, v11, v10, s[0:1]
	v_cndmask_b32_e64 v16, v10, 0, vcc
	v_add_u32_e32 v15, v16, v25
	v_add_u32_e32 v14, v15, v24
	;; [unrolled: 1-line block ×5, first 2 shown]
	v_mov_b32_e32 v9, 0
	v_add_u32_e32 v10, v11, v20
	s_waitcnt lgkmcnt(0)
	s_barrier
.LBB2973_73:
	s_waitcnt lgkmcnt(0)
	v_add_u32_e32 v17, v8, v18
	v_sub_u32_e32 v16, v16, v9
	v_sub_u32_e32 v18, v17, v16
	v_cmp_eq_u32_e32 vcc, 1, v25
	v_cndmask_b32_e32 v16, v18, v16, vcc
	v_lshlrev_b32_e32 v16, 2, v16
	ds_write_b32 v16, v6
	v_sub_u32_e32 v6, v15, v9
	v_sub_u32_e32 v15, v17, v6
	v_add_u32_e32 v15, 1, v15
	v_cmp_eq_u32_e32 vcc, 1, v24
	v_cndmask_b32_e32 v6, v15, v6, vcc
	v_lshlrev_b32_e32 v6, 2, v6
	ds_write_b32 v6, v7
	v_sub_u32_e32 v6, v14, v9
	v_sub_u32_e32 v7, v17, v6
	v_add_u32_e32 v7, 2, v7
	;; [unrolled: 7-line block ×6, first 2 shown]
	v_cmp_eq_u32_e32 vcc, 1, v19
	v_cndmask_b32_e32 v2, v3, v2, vcc
	v_cmp_eq_u32_e32 vcc, 0, v0
	v_lshlrev_b32_e32 v2, 2, v2
	s_and_b64 s[0:1], vcc, s[22:23]
	ds_write_b32 v2, v1
	s_waitcnt lgkmcnt(0)
	s_barrier
	s_and_saveexec_b64 s[2:3], s[0:1]
	s_cbranch_execz .LBB2973_75
; %bb.74:
	v_mov_b32_e32 v0, s19
	v_add_co_u32_e32 v1, vcc, s18, v8
	v_addc_co_u32_e32 v3, vcc, 0, v0, vcc
	v_add_co_u32_e32 v0, vcc, v1, v9
	v_mov_b32_e32 v2, 0
	v_addc_co_u32_e32 v1, vcc, 0, v3, vcc
	global_store_dwordx2 v2, v[0:1], s[20:21]
.LBB2973_75:
	s_endpgm
	.section	.rodata,"a",@progbits
	.p2align	6, 0x0
	.amdhsa_kernel _ZN7rocprim17ROCPRIM_400000_NS6detail17trampoline_kernelINS0_14default_configENS1_25partition_config_selectorILNS1_17partition_subalgoE1EjNS0_10empty_typeEbEEZZNS1_14partition_implILS5_1ELb0ES3_jN6thrust23THRUST_200600_302600_NS6detail15normal_iteratorINSA_10device_ptrIjEEEEPS6_NSA_18transform_iteratorI7is_evenIjESF_NSA_11use_defaultESK_EENS0_5tupleIJNSA_16discard_iteratorISK_EESO_EEENSM_IJSG_SG_EEES6_PlJS6_EEE10hipError_tPvRmT3_T4_T5_T6_T7_T9_mT8_P12ihipStream_tbDpT10_ENKUlT_T0_E_clISt17integral_constantIbLb0EES1B_EEDaS16_S17_EUlS16_E_NS1_11comp_targetILNS1_3genE4ELNS1_11target_archE910ELNS1_3gpuE8ELNS1_3repE0EEENS1_30default_config_static_selectorELNS0_4arch9wavefront6targetE1EEEvT1_
		.amdhsa_group_segment_fixed_size 7176
		.amdhsa_private_segment_fixed_size 0
		.amdhsa_kernarg_size 144
		.amdhsa_user_sgpr_count 6
		.amdhsa_user_sgpr_private_segment_buffer 1
		.amdhsa_user_sgpr_dispatch_ptr 0
		.amdhsa_user_sgpr_queue_ptr 0
		.amdhsa_user_sgpr_kernarg_segment_ptr 1
		.amdhsa_user_sgpr_dispatch_id 0
		.amdhsa_user_sgpr_flat_scratch_init 0
		.amdhsa_user_sgpr_kernarg_preload_length 0
		.amdhsa_user_sgpr_kernarg_preload_offset 0
		.amdhsa_user_sgpr_private_segment_size 0
		.amdhsa_uses_dynamic_stack 0
		.amdhsa_system_sgpr_private_segment_wavefront_offset 0
		.amdhsa_system_sgpr_workgroup_id_x 1
		.amdhsa_system_sgpr_workgroup_id_y 0
		.amdhsa_system_sgpr_workgroup_id_z 0
		.amdhsa_system_sgpr_workgroup_info 0
		.amdhsa_system_vgpr_workitem_id 0
		.amdhsa_next_free_vgpr 46
		.amdhsa_next_free_sgpr 36
		.amdhsa_accum_offset 48
		.amdhsa_reserve_vcc 1
		.amdhsa_reserve_flat_scratch 0
		.amdhsa_float_round_mode_32 0
		.amdhsa_float_round_mode_16_64 0
		.amdhsa_float_denorm_mode_32 3
		.amdhsa_float_denorm_mode_16_64 3
		.amdhsa_dx10_clamp 1
		.amdhsa_ieee_mode 1
		.amdhsa_fp16_overflow 0
		.amdhsa_tg_split 0
		.amdhsa_exception_fp_ieee_invalid_op 0
		.amdhsa_exception_fp_denorm_src 0
		.amdhsa_exception_fp_ieee_div_zero 0
		.amdhsa_exception_fp_ieee_overflow 0
		.amdhsa_exception_fp_ieee_underflow 0
		.amdhsa_exception_fp_ieee_inexact 0
		.amdhsa_exception_int_div_zero 0
	.end_amdhsa_kernel
	.section	.text._ZN7rocprim17ROCPRIM_400000_NS6detail17trampoline_kernelINS0_14default_configENS1_25partition_config_selectorILNS1_17partition_subalgoE1EjNS0_10empty_typeEbEEZZNS1_14partition_implILS5_1ELb0ES3_jN6thrust23THRUST_200600_302600_NS6detail15normal_iteratorINSA_10device_ptrIjEEEEPS6_NSA_18transform_iteratorI7is_evenIjESF_NSA_11use_defaultESK_EENS0_5tupleIJNSA_16discard_iteratorISK_EESO_EEENSM_IJSG_SG_EEES6_PlJS6_EEE10hipError_tPvRmT3_T4_T5_T6_T7_T9_mT8_P12ihipStream_tbDpT10_ENKUlT_T0_E_clISt17integral_constantIbLb0EES1B_EEDaS16_S17_EUlS16_E_NS1_11comp_targetILNS1_3genE4ELNS1_11target_archE910ELNS1_3gpuE8ELNS1_3repE0EEENS1_30default_config_static_selectorELNS0_4arch9wavefront6targetE1EEEvT1_,"axG",@progbits,_ZN7rocprim17ROCPRIM_400000_NS6detail17trampoline_kernelINS0_14default_configENS1_25partition_config_selectorILNS1_17partition_subalgoE1EjNS0_10empty_typeEbEEZZNS1_14partition_implILS5_1ELb0ES3_jN6thrust23THRUST_200600_302600_NS6detail15normal_iteratorINSA_10device_ptrIjEEEEPS6_NSA_18transform_iteratorI7is_evenIjESF_NSA_11use_defaultESK_EENS0_5tupleIJNSA_16discard_iteratorISK_EESO_EEENSM_IJSG_SG_EEES6_PlJS6_EEE10hipError_tPvRmT3_T4_T5_T6_T7_T9_mT8_P12ihipStream_tbDpT10_ENKUlT_T0_E_clISt17integral_constantIbLb0EES1B_EEDaS16_S17_EUlS16_E_NS1_11comp_targetILNS1_3genE4ELNS1_11target_archE910ELNS1_3gpuE8ELNS1_3repE0EEENS1_30default_config_static_selectorELNS0_4arch9wavefront6targetE1EEEvT1_,comdat
.Lfunc_end2973:
	.size	_ZN7rocprim17ROCPRIM_400000_NS6detail17trampoline_kernelINS0_14default_configENS1_25partition_config_selectorILNS1_17partition_subalgoE1EjNS0_10empty_typeEbEEZZNS1_14partition_implILS5_1ELb0ES3_jN6thrust23THRUST_200600_302600_NS6detail15normal_iteratorINSA_10device_ptrIjEEEEPS6_NSA_18transform_iteratorI7is_evenIjESF_NSA_11use_defaultESK_EENS0_5tupleIJNSA_16discard_iteratorISK_EESO_EEENSM_IJSG_SG_EEES6_PlJS6_EEE10hipError_tPvRmT3_T4_T5_T6_T7_T9_mT8_P12ihipStream_tbDpT10_ENKUlT_T0_E_clISt17integral_constantIbLb0EES1B_EEDaS16_S17_EUlS16_E_NS1_11comp_targetILNS1_3genE4ELNS1_11target_archE910ELNS1_3gpuE8ELNS1_3repE0EEENS1_30default_config_static_selectorELNS0_4arch9wavefront6targetE1EEEvT1_, .Lfunc_end2973-_ZN7rocprim17ROCPRIM_400000_NS6detail17trampoline_kernelINS0_14default_configENS1_25partition_config_selectorILNS1_17partition_subalgoE1EjNS0_10empty_typeEbEEZZNS1_14partition_implILS5_1ELb0ES3_jN6thrust23THRUST_200600_302600_NS6detail15normal_iteratorINSA_10device_ptrIjEEEEPS6_NSA_18transform_iteratorI7is_evenIjESF_NSA_11use_defaultESK_EENS0_5tupleIJNSA_16discard_iteratorISK_EESO_EEENSM_IJSG_SG_EEES6_PlJS6_EEE10hipError_tPvRmT3_T4_T5_T6_T7_T9_mT8_P12ihipStream_tbDpT10_ENKUlT_T0_E_clISt17integral_constantIbLb0EES1B_EEDaS16_S17_EUlS16_E_NS1_11comp_targetILNS1_3genE4ELNS1_11target_archE910ELNS1_3gpuE8ELNS1_3repE0EEENS1_30default_config_static_selectorELNS0_4arch9wavefront6targetE1EEEvT1_
                                        ; -- End function
	.section	.AMDGPU.csdata,"",@progbits
; Kernel info:
; codeLenInByte = 3832
; NumSgprs: 40
; NumVgprs: 46
; NumAgprs: 0
; TotalNumVgprs: 46
; ScratchSize: 0
; MemoryBound: 0
; FloatMode: 240
; IeeeMode: 1
; LDSByteSize: 7176 bytes/workgroup (compile time only)
; SGPRBlocks: 4
; VGPRBlocks: 5
; NumSGPRsForWavesPerEU: 40
; NumVGPRsForWavesPerEU: 46
; AccumOffset: 48
; Occupancy: 8
; WaveLimiterHint : 1
; COMPUTE_PGM_RSRC2:SCRATCH_EN: 0
; COMPUTE_PGM_RSRC2:USER_SGPR: 6
; COMPUTE_PGM_RSRC2:TRAP_HANDLER: 0
; COMPUTE_PGM_RSRC2:TGID_X_EN: 1
; COMPUTE_PGM_RSRC2:TGID_Y_EN: 0
; COMPUTE_PGM_RSRC2:TGID_Z_EN: 0
; COMPUTE_PGM_RSRC2:TIDIG_COMP_CNT: 0
; COMPUTE_PGM_RSRC3_GFX90A:ACCUM_OFFSET: 11
; COMPUTE_PGM_RSRC3_GFX90A:TG_SPLIT: 0
	.section	.text._ZN7rocprim17ROCPRIM_400000_NS6detail17trampoline_kernelINS0_14default_configENS1_25partition_config_selectorILNS1_17partition_subalgoE1EjNS0_10empty_typeEbEEZZNS1_14partition_implILS5_1ELb0ES3_jN6thrust23THRUST_200600_302600_NS6detail15normal_iteratorINSA_10device_ptrIjEEEEPS6_NSA_18transform_iteratorI7is_evenIjESF_NSA_11use_defaultESK_EENS0_5tupleIJNSA_16discard_iteratorISK_EESO_EEENSM_IJSG_SG_EEES6_PlJS6_EEE10hipError_tPvRmT3_T4_T5_T6_T7_T9_mT8_P12ihipStream_tbDpT10_ENKUlT_T0_E_clISt17integral_constantIbLb0EES1B_EEDaS16_S17_EUlS16_E_NS1_11comp_targetILNS1_3genE3ELNS1_11target_archE908ELNS1_3gpuE7ELNS1_3repE0EEENS1_30default_config_static_selectorELNS0_4arch9wavefront6targetE1EEEvT1_,"axG",@progbits,_ZN7rocprim17ROCPRIM_400000_NS6detail17trampoline_kernelINS0_14default_configENS1_25partition_config_selectorILNS1_17partition_subalgoE1EjNS0_10empty_typeEbEEZZNS1_14partition_implILS5_1ELb0ES3_jN6thrust23THRUST_200600_302600_NS6detail15normal_iteratorINSA_10device_ptrIjEEEEPS6_NSA_18transform_iteratorI7is_evenIjESF_NSA_11use_defaultESK_EENS0_5tupleIJNSA_16discard_iteratorISK_EESO_EEENSM_IJSG_SG_EEES6_PlJS6_EEE10hipError_tPvRmT3_T4_T5_T6_T7_T9_mT8_P12ihipStream_tbDpT10_ENKUlT_T0_E_clISt17integral_constantIbLb0EES1B_EEDaS16_S17_EUlS16_E_NS1_11comp_targetILNS1_3genE3ELNS1_11target_archE908ELNS1_3gpuE7ELNS1_3repE0EEENS1_30default_config_static_selectorELNS0_4arch9wavefront6targetE1EEEvT1_,comdat
	.protected	_ZN7rocprim17ROCPRIM_400000_NS6detail17trampoline_kernelINS0_14default_configENS1_25partition_config_selectorILNS1_17partition_subalgoE1EjNS0_10empty_typeEbEEZZNS1_14partition_implILS5_1ELb0ES3_jN6thrust23THRUST_200600_302600_NS6detail15normal_iteratorINSA_10device_ptrIjEEEEPS6_NSA_18transform_iteratorI7is_evenIjESF_NSA_11use_defaultESK_EENS0_5tupleIJNSA_16discard_iteratorISK_EESO_EEENSM_IJSG_SG_EEES6_PlJS6_EEE10hipError_tPvRmT3_T4_T5_T6_T7_T9_mT8_P12ihipStream_tbDpT10_ENKUlT_T0_E_clISt17integral_constantIbLb0EES1B_EEDaS16_S17_EUlS16_E_NS1_11comp_targetILNS1_3genE3ELNS1_11target_archE908ELNS1_3gpuE7ELNS1_3repE0EEENS1_30default_config_static_selectorELNS0_4arch9wavefront6targetE1EEEvT1_ ; -- Begin function _ZN7rocprim17ROCPRIM_400000_NS6detail17trampoline_kernelINS0_14default_configENS1_25partition_config_selectorILNS1_17partition_subalgoE1EjNS0_10empty_typeEbEEZZNS1_14partition_implILS5_1ELb0ES3_jN6thrust23THRUST_200600_302600_NS6detail15normal_iteratorINSA_10device_ptrIjEEEEPS6_NSA_18transform_iteratorI7is_evenIjESF_NSA_11use_defaultESK_EENS0_5tupleIJNSA_16discard_iteratorISK_EESO_EEENSM_IJSG_SG_EEES6_PlJS6_EEE10hipError_tPvRmT3_T4_T5_T6_T7_T9_mT8_P12ihipStream_tbDpT10_ENKUlT_T0_E_clISt17integral_constantIbLb0EES1B_EEDaS16_S17_EUlS16_E_NS1_11comp_targetILNS1_3genE3ELNS1_11target_archE908ELNS1_3gpuE7ELNS1_3repE0EEENS1_30default_config_static_selectorELNS0_4arch9wavefront6targetE1EEEvT1_
	.globl	_ZN7rocprim17ROCPRIM_400000_NS6detail17trampoline_kernelINS0_14default_configENS1_25partition_config_selectorILNS1_17partition_subalgoE1EjNS0_10empty_typeEbEEZZNS1_14partition_implILS5_1ELb0ES3_jN6thrust23THRUST_200600_302600_NS6detail15normal_iteratorINSA_10device_ptrIjEEEEPS6_NSA_18transform_iteratorI7is_evenIjESF_NSA_11use_defaultESK_EENS0_5tupleIJNSA_16discard_iteratorISK_EESO_EEENSM_IJSG_SG_EEES6_PlJS6_EEE10hipError_tPvRmT3_T4_T5_T6_T7_T9_mT8_P12ihipStream_tbDpT10_ENKUlT_T0_E_clISt17integral_constantIbLb0EES1B_EEDaS16_S17_EUlS16_E_NS1_11comp_targetILNS1_3genE3ELNS1_11target_archE908ELNS1_3gpuE7ELNS1_3repE0EEENS1_30default_config_static_selectorELNS0_4arch9wavefront6targetE1EEEvT1_
	.p2align	8
	.type	_ZN7rocprim17ROCPRIM_400000_NS6detail17trampoline_kernelINS0_14default_configENS1_25partition_config_selectorILNS1_17partition_subalgoE1EjNS0_10empty_typeEbEEZZNS1_14partition_implILS5_1ELb0ES3_jN6thrust23THRUST_200600_302600_NS6detail15normal_iteratorINSA_10device_ptrIjEEEEPS6_NSA_18transform_iteratorI7is_evenIjESF_NSA_11use_defaultESK_EENS0_5tupleIJNSA_16discard_iteratorISK_EESO_EEENSM_IJSG_SG_EEES6_PlJS6_EEE10hipError_tPvRmT3_T4_T5_T6_T7_T9_mT8_P12ihipStream_tbDpT10_ENKUlT_T0_E_clISt17integral_constantIbLb0EES1B_EEDaS16_S17_EUlS16_E_NS1_11comp_targetILNS1_3genE3ELNS1_11target_archE908ELNS1_3gpuE7ELNS1_3repE0EEENS1_30default_config_static_selectorELNS0_4arch9wavefront6targetE1EEEvT1_,@function
_ZN7rocprim17ROCPRIM_400000_NS6detail17trampoline_kernelINS0_14default_configENS1_25partition_config_selectorILNS1_17partition_subalgoE1EjNS0_10empty_typeEbEEZZNS1_14partition_implILS5_1ELb0ES3_jN6thrust23THRUST_200600_302600_NS6detail15normal_iteratorINSA_10device_ptrIjEEEEPS6_NSA_18transform_iteratorI7is_evenIjESF_NSA_11use_defaultESK_EENS0_5tupleIJNSA_16discard_iteratorISK_EESO_EEENSM_IJSG_SG_EEES6_PlJS6_EEE10hipError_tPvRmT3_T4_T5_T6_T7_T9_mT8_P12ihipStream_tbDpT10_ENKUlT_T0_E_clISt17integral_constantIbLb0EES1B_EEDaS16_S17_EUlS16_E_NS1_11comp_targetILNS1_3genE3ELNS1_11target_archE908ELNS1_3gpuE7ELNS1_3repE0EEENS1_30default_config_static_selectorELNS0_4arch9wavefront6targetE1EEEvT1_: ; @_ZN7rocprim17ROCPRIM_400000_NS6detail17trampoline_kernelINS0_14default_configENS1_25partition_config_selectorILNS1_17partition_subalgoE1EjNS0_10empty_typeEbEEZZNS1_14partition_implILS5_1ELb0ES3_jN6thrust23THRUST_200600_302600_NS6detail15normal_iteratorINSA_10device_ptrIjEEEEPS6_NSA_18transform_iteratorI7is_evenIjESF_NSA_11use_defaultESK_EENS0_5tupleIJNSA_16discard_iteratorISK_EESO_EEENSM_IJSG_SG_EEES6_PlJS6_EEE10hipError_tPvRmT3_T4_T5_T6_T7_T9_mT8_P12ihipStream_tbDpT10_ENKUlT_T0_E_clISt17integral_constantIbLb0EES1B_EEDaS16_S17_EUlS16_E_NS1_11comp_targetILNS1_3genE3ELNS1_11target_archE908ELNS1_3gpuE7ELNS1_3repE0EEENS1_30default_config_static_selectorELNS0_4arch9wavefront6targetE1EEEvT1_
; %bb.0:
	.section	.rodata,"a",@progbits
	.p2align	6, 0x0
	.amdhsa_kernel _ZN7rocprim17ROCPRIM_400000_NS6detail17trampoline_kernelINS0_14default_configENS1_25partition_config_selectorILNS1_17partition_subalgoE1EjNS0_10empty_typeEbEEZZNS1_14partition_implILS5_1ELb0ES3_jN6thrust23THRUST_200600_302600_NS6detail15normal_iteratorINSA_10device_ptrIjEEEEPS6_NSA_18transform_iteratorI7is_evenIjESF_NSA_11use_defaultESK_EENS0_5tupleIJNSA_16discard_iteratorISK_EESO_EEENSM_IJSG_SG_EEES6_PlJS6_EEE10hipError_tPvRmT3_T4_T5_T6_T7_T9_mT8_P12ihipStream_tbDpT10_ENKUlT_T0_E_clISt17integral_constantIbLb0EES1B_EEDaS16_S17_EUlS16_E_NS1_11comp_targetILNS1_3genE3ELNS1_11target_archE908ELNS1_3gpuE7ELNS1_3repE0EEENS1_30default_config_static_selectorELNS0_4arch9wavefront6targetE1EEEvT1_
		.amdhsa_group_segment_fixed_size 0
		.amdhsa_private_segment_fixed_size 0
		.amdhsa_kernarg_size 144
		.amdhsa_user_sgpr_count 6
		.amdhsa_user_sgpr_private_segment_buffer 1
		.amdhsa_user_sgpr_dispatch_ptr 0
		.amdhsa_user_sgpr_queue_ptr 0
		.amdhsa_user_sgpr_kernarg_segment_ptr 1
		.amdhsa_user_sgpr_dispatch_id 0
		.amdhsa_user_sgpr_flat_scratch_init 0
		.amdhsa_user_sgpr_kernarg_preload_length 0
		.amdhsa_user_sgpr_kernarg_preload_offset 0
		.amdhsa_user_sgpr_private_segment_size 0
		.amdhsa_uses_dynamic_stack 0
		.amdhsa_system_sgpr_private_segment_wavefront_offset 0
		.amdhsa_system_sgpr_workgroup_id_x 1
		.amdhsa_system_sgpr_workgroup_id_y 0
		.amdhsa_system_sgpr_workgroup_id_z 0
		.amdhsa_system_sgpr_workgroup_info 0
		.amdhsa_system_vgpr_workitem_id 0
		.amdhsa_next_free_vgpr 1
		.amdhsa_next_free_sgpr 0
		.amdhsa_accum_offset 4
		.amdhsa_reserve_vcc 0
		.amdhsa_reserve_flat_scratch 0
		.amdhsa_float_round_mode_32 0
		.amdhsa_float_round_mode_16_64 0
		.amdhsa_float_denorm_mode_32 3
		.amdhsa_float_denorm_mode_16_64 3
		.amdhsa_dx10_clamp 1
		.amdhsa_ieee_mode 1
		.amdhsa_fp16_overflow 0
		.amdhsa_tg_split 0
		.amdhsa_exception_fp_ieee_invalid_op 0
		.amdhsa_exception_fp_denorm_src 0
		.amdhsa_exception_fp_ieee_div_zero 0
		.amdhsa_exception_fp_ieee_overflow 0
		.amdhsa_exception_fp_ieee_underflow 0
		.amdhsa_exception_fp_ieee_inexact 0
		.amdhsa_exception_int_div_zero 0
	.end_amdhsa_kernel
	.section	.text._ZN7rocprim17ROCPRIM_400000_NS6detail17trampoline_kernelINS0_14default_configENS1_25partition_config_selectorILNS1_17partition_subalgoE1EjNS0_10empty_typeEbEEZZNS1_14partition_implILS5_1ELb0ES3_jN6thrust23THRUST_200600_302600_NS6detail15normal_iteratorINSA_10device_ptrIjEEEEPS6_NSA_18transform_iteratorI7is_evenIjESF_NSA_11use_defaultESK_EENS0_5tupleIJNSA_16discard_iteratorISK_EESO_EEENSM_IJSG_SG_EEES6_PlJS6_EEE10hipError_tPvRmT3_T4_T5_T6_T7_T9_mT8_P12ihipStream_tbDpT10_ENKUlT_T0_E_clISt17integral_constantIbLb0EES1B_EEDaS16_S17_EUlS16_E_NS1_11comp_targetILNS1_3genE3ELNS1_11target_archE908ELNS1_3gpuE7ELNS1_3repE0EEENS1_30default_config_static_selectorELNS0_4arch9wavefront6targetE1EEEvT1_,"axG",@progbits,_ZN7rocprim17ROCPRIM_400000_NS6detail17trampoline_kernelINS0_14default_configENS1_25partition_config_selectorILNS1_17partition_subalgoE1EjNS0_10empty_typeEbEEZZNS1_14partition_implILS5_1ELb0ES3_jN6thrust23THRUST_200600_302600_NS6detail15normal_iteratorINSA_10device_ptrIjEEEEPS6_NSA_18transform_iteratorI7is_evenIjESF_NSA_11use_defaultESK_EENS0_5tupleIJNSA_16discard_iteratorISK_EESO_EEENSM_IJSG_SG_EEES6_PlJS6_EEE10hipError_tPvRmT3_T4_T5_T6_T7_T9_mT8_P12ihipStream_tbDpT10_ENKUlT_T0_E_clISt17integral_constantIbLb0EES1B_EEDaS16_S17_EUlS16_E_NS1_11comp_targetILNS1_3genE3ELNS1_11target_archE908ELNS1_3gpuE7ELNS1_3repE0EEENS1_30default_config_static_selectorELNS0_4arch9wavefront6targetE1EEEvT1_,comdat
.Lfunc_end2974:
	.size	_ZN7rocprim17ROCPRIM_400000_NS6detail17trampoline_kernelINS0_14default_configENS1_25partition_config_selectorILNS1_17partition_subalgoE1EjNS0_10empty_typeEbEEZZNS1_14partition_implILS5_1ELb0ES3_jN6thrust23THRUST_200600_302600_NS6detail15normal_iteratorINSA_10device_ptrIjEEEEPS6_NSA_18transform_iteratorI7is_evenIjESF_NSA_11use_defaultESK_EENS0_5tupleIJNSA_16discard_iteratorISK_EESO_EEENSM_IJSG_SG_EEES6_PlJS6_EEE10hipError_tPvRmT3_T4_T5_T6_T7_T9_mT8_P12ihipStream_tbDpT10_ENKUlT_T0_E_clISt17integral_constantIbLb0EES1B_EEDaS16_S17_EUlS16_E_NS1_11comp_targetILNS1_3genE3ELNS1_11target_archE908ELNS1_3gpuE7ELNS1_3repE0EEENS1_30default_config_static_selectorELNS0_4arch9wavefront6targetE1EEEvT1_, .Lfunc_end2974-_ZN7rocprim17ROCPRIM_400000_NS6detail17trampoline_kernelINS0_14default_configENS1_25partition_config_selectorILNS1_17partition_subalgoE1EjNS0_10empty_typeEbEEZZNS1_14partition_implILS5_1ELb0ES3_jN6thrust23THRUST_200600_302600_NS6detail15normal_iteratorINSA_10device_ptrIjEEEEPS6_NSA_18transform_iteratorI7is_evenIjESF_NSA_11use_defaultESK_EENS0_5tupleIJNSA_16discard_iteratorISK_EESO_EEENSM_IJSG_SG_EEES6_PlJS6_EEE10hipError_tPvRmT3_T4_T5_T6_T7_T9_mT8_P12ihipStream_tbDpT10_ENKUlT_T0_E_clISt17integral_constantIbLb0EES1B_EEDaS16_S17_EUlS16_E_NS1_11comp_targetILNS1_3genE3ELNS1_11target_archE908ELNS1_3gpuE7ELNS1_3repE0EEENS1_30default_config_static_selectorELNS0_4arch9wavefront6targetE1EEEvT1_
                                        ; -- End function
	.section	.AMDGPU.csdata,"",@progbits
; Kernel info:
; codeLenInByte = 0
; NumSgprs: 4
; NumVgprs: 0
; NumAgprs: 0
; TotalNumVgprs: 0
; ScratchSize: 0
; MemoryBound: 0
; FloatMode: 240
; IeeeMode: 1
; LDSByteSize: 0 bytes/workgroup (compile time only)
; SGPRBlocks: 0
; VGPRBlocks: 0
; NumSGPRsForWavesPerEU: 4
; NumVGPRsForWavesPerEU: 1
; AccumOffset: 4
; Occupancy: 8
; WaveLimiterHint : 0
; COMPUTE_PGM_RSRC2:SCRATCH_EN: 0
; COMPUTE_PGM_RSRC2:USER_SGPR: 6
; COMPUTE_PGM_RSRC2:TRAP_HANDLER: 0
; COMPUTE_PGM_RSRC2:TGID_X_EN: 1
; COMPUTE_PGM_RSRC2:TGID_Y_EN: 0
; COMPUTE_PGM_RSRC2:TGID_Z_EN: 0
; COMPUTE_PGM_RSRC2:TIDIG_COMP_CNT: 0
; COMPUTE_PGM_RSRC3_GFX90A:ACCUM_OFFSET: 0
; COMPUTE_PGM_RSRC3_GFX90A:TG_SPLIT: 0
	.section	.text._ZN7rocprim17ROCPRIM_400000_NS6detail17trampoline_kernelINS0_14default_configENS1_25partition_config_selectorILNS1_17partition_subalgoE1EjNS0_10empty_typeEbEEZZNS1_14partition_implILS5_1ELb0ES3_jN6thrust23THRUST_200600_302600_NS6detail15normal_iteratorINSA_10device_ptrIjEEEEPS6_NSA_18transform_iteratorI7is_evenIjESF_NSA_11use_defaultESK_EENS0_5tupleIJNSA_16discard_iteratorISK_EESO_EEENSM_IJSG_SG_EEES6_PlJS6_EEE10hipError_tPvRmT3_T4_T5_T6_T7_T9_mT8_P12ihipStream_tbDpT10_ENKUlT_T0_E_clISt17integral_constantIbLb0EES1B_EEDaS16_S17_EUlS16_E_NS1_11comp_targetILNS1_3genE2ELNS1_11target_archE906ELNS1_3gpuE6ELNS1_3repE0EEENS1_30default_config_static_selectorELNS0_4arch9wavefront6targetE1EEEvT1_,"axG",@progbits,_ZN7rocprim17ROCPRIM_400000_NS6detail17trampoline_kernelINS0_14default_configENS1_25partition_config_selectorILNS1_17partition_subalgoE1EjNS0_10empty_typeEbEEZZNS1_14partition_implILS5_1ELb0ES3_jN6thrust23THRUST_200600_302600_NS6detail15normal_iteratorINSA_10device_ptrIjEEEEPS6_NSA_18transform_iteratorI7is_evenIjESF_NSA_11use_defaultESK_EENS0_5tupleIJNSA_16discard_iteratorISK_EESO_EEENSM_IJSG_SG_EEES6_PlJS6_EEE10hipError_tPvRmT3_T4_T5_T6_T7_T9_mT8_P12ihipStream_tbDpT10_ENKUlT_T0_E_clISt17integral_constantIbLb0EES1B_EEDaS16_S17_EUlS16_E_NS1_11comp_targetILNS1_3genE2ELNS1_11target_archE906ELNS1_3gpuE6ELNS1_3repE0EEENS1_30default_config_static_selectorELNS0_4arch9wavefront6targetE1EEEvT1_,comdat
	.protected	_ZN7rocprim17ROCPRIM_400000_NS6detail17trampoline_kernelINS0_14default_configENS1_25partition_config_selectorILNS1_17partition_subalgoE1EjNS0_10empty_typeEbEEZZNS1_14partition_implILS5_1ELb0ES3_jN6thrust23THRUST_200600_302600_NS6detail15normal_iteratorINSA_10device_ptrIjEEEEPS6_NSA_18transform_iteratorI7is_evenIjESF_NSA_11use_defaultESK_EENS0_5tupleIJNSA_16discard_iteratorISK_EESO_EEENSM_IJSG_SG_EEES6_PlJS6_EEE10hipError_tPvRmT3_T4_T5_T6_T7_T9_mT8_P12ihipStream_tbDpT10_ENKUlT_T0_E_clISt17integral_constantIbLb0EES1B_EEDaS16_S17_EUlS16_E_NS1_11comp_targetILNS1_3genE2ELNS1_11target_archE906ELNS1_3gpuE6ELNS1_3repE0EEENS1_30default_config_static_selectorELNS0_4arch9wavefront6targetE1EEEvT1_ ; -- Begin function _ZN7rocprim17ROCPRIM_400000_NS6detail17trampoline_kernelINS0_14default_configENS1_25partition_config_selectorILNS1_17partition_subalgoE1EjNS0_10empty_typeEbEEZZNS1_14partition_implILS5_1ELb0ES3_jN6thrust23THRUST_200600_302600_NS6detail15normal_iteratorINSA_10device_ptrIjEEEEPS6_NSA_18transform_iteratorI7is_evenIjESF_NSA_11use_defaultESK_EENS0_5tupleIJNSA_16discard_iteratorISK_EESO_EEENSM_IJSG_SG_EEES6_PlJS6_EEE10hipError_tPvRmT3_T4_T5_T6_T7_T9_mT8_P12ihipStream_tbDpT10_ENKUlT_T0_E_clISt17integral_constantIbLb0EES1B_EEDaS16_S17_EUlS16_E_NS1_11comp_targetILNS1_3genE2ELNS1_11target_archE906ELNS1_3gpuE6ELNS1_3repE0EEENS1_30default_config_static_selectorELNS0_4arch9wavefront6targetE1EEEvT1_
	.globl	_ZN7rocprim17ROCPRIM_400000_NS6detail17trampoline_kernelINS0_14default_configENS1_25partition_config_selectorILNS1_17partition_subalgoE1EjNS0_10empty_typeEbEEZZNS1_14partition_implILS5_1ELb0ES3_jN6thrust23THRUST_200600_302600_NS6detail15normal_iteratorINSA_10device_ptrIjEEEEPS6_NSA_18transform_iteratorI7is_evenIjESF_NSA_11use_defaultESK_EENS0_5tupleIJNSA_16discard_iteratorISK_EESO_EEENSM_IJSG_SG_EEES6_PlJS6_EEE10hipError_tPvRmT3_T4_T5_T6_T7_T9_mT8_P12ihipStream_tbDpT10_ENKUlT_T0_E_clISt17integral_constantIbLb0EES1B_EEDaS16_S17_EUlS16_E_NS1_11comp_targetILNS1_3genE2ELNS1_11target_archE906ELNS1_3gpuE6ELNS1_3repE0EEENS1_30default_config_static_selectorELNS0_4arch9wavefront6targetE1EEEvT1_
	.p2align	8
	.type	_ZN7rocprim17ROCPRIM_400000_NS6detail17trampoline_kernelINS0_14default_configENS1_25partition_config_selectorILNS1_17partition_subalgoE1EjNS0_10empty_typeEbEEZZNS1_14partition_implILS5_1ELb0ES3_jN6thrust23THRUST_200600_302600_NS6detail15normal_iteratorINSA_10device_ptrIjEEEEPS6_NSA_18transform_iteratorI7is_evenIjESF_NSA_11use_defaultESK_EENS0_5tupleIJNSA_16discard_iteratorISK_EESO_EEENSM_IJSG_SG_EEES6_PlJS6_EEE10hipError_tPvRmT3_T4_T5_T6_T7_T9_mT8_P12ihipStream_tbDpT10_ENKUlT_T0_E_clISt17integral_constantIbLb0EES1B_EEDaS16_S17_EUlS16_E_NS1_11comp_targetILNS1_3genE2ELNS1_11target_archE906ELNS1_3gpuE6ELNS1_3repE0EEENS1_30default_config_static_selectorELNS0_4arch9wavefront6targetE1EEEvT1_,@function
_ZN7rocprim17ROCPRIM_400000_NS6detail17trampoline_kernelINS0_14default_configENS1_25partition_config_selectorILNS1_17partition_subalgoE1EjNS0_10empty_typeEbEEZZNS1_14partition_implILS5_1ELb0ES3_jN6thrust23THRUST_200600_302600_NS6detail15normal_iteratorINSA_10device_ptrIjEEEEPS6_NSA_18transform_iteratorI7is_evenIjESF_NSA_11use_defaultESK_EENS0_5tupleIJNSA_16discard_iteratorISK_EESO_EEENSM_IJSG_SG_EEES6_PlJS6_EEE10hipError_tPvRmT3_T4_T5_T6_T7_T9_mT8_P12ihipStream_tbDpT10_ENKUlT_T0_E_clISt17integral_constantIbLb0EES1B_EEDaS16_S17_EUlS16_E_NS1_11comp_targetILNS1_3genE2ELNS1_11target_archE906ELNS1_3gpuE6ELNS1_3repE0EEENS1_30default_config_static_selectorELNS0_4arch9wavefront6targetE1EEEvT1_: ; @_ZN7rocprim17ROCPRIM_400000_NS6detail17trampoline_kernelINS0_14default_configENS1_25partition_config_selectorILNS1_17partition_subalgoE1EjNS0_10empty_typeEbEEZZNS1_14partition_implILS5_1ELb0ES3_jN6thrust23THRUST_200600_302600_NS6detail15normal_iteratorINSA_10device_ptrIjEEEEPS6_NSA_18transform_iteratorI7is_evenIjESF_NSA_11use_defaultESK_EENS0_5tupleIJNSA_16discard_iteratorISK_EESO_EEENSM_IJSG_SG_EEES6_PlJS6_EEE10hipError_tPvRmT3_T4_T5_T6_T7_T9_mT8_P12ihipStream_tbDpT10_ENKUlT_T0_E_clISt17integral_constantIbLb0EES1B_EEDaS16_S17_EUlS16_E_NS1_11comp_targetILNS1_3genE2ELNS1_11target_archE906ELNS1_3gpuE6ELNS1_3repE0EEENS1_30default_config_static_selectorELNS0_4arch9wavefront6targetE1EEEvT1_
; %bb.0:
	.section	.rodata,"a",@progbits
	.p2align	6, 0x0
	.amdhsa_kernel _ZN7rocprim17ROCPRIM_400000_NS6detail17trampoline_kernelINS0_14default_configENS1_25partition_config_selectorILNS1_17partition_subalgoE1EjNS0_10empty_typeEbEEZZNS1_14partition_implILS5_1ELb0ES3_jN6thrust23THRUST_200600_302600_NS6detail15normal_iteratorINSA_10device_ptrIjEEEEPS6_NSA_18transform_iteratorI7is_evenIjESF_NSA_11use_defaultESK_EENS0_5tupleIJNSA_16discard_iteratorISK_EESO_EEENSM_IJSG_SG_EEES6_PlJS6_EEE10hipError_tPvRmT3_T4_T5_T6_T7_T9_mT8_P12ihipStream_tbDpT10_ENKUlT_T0_E_clISt17integral_constantIbLb0EES1B_EEDaS16_S17_EUlS16_E_NS1_11comp_targetILNS1_3genE2ELNS1_11target_archE906ELNS1_3gpuE6ELNS1_3repE0EEENS1_30default_config_static_selectorELNS0_4arch9wavefront6targetE1EEEvT1_
		.amdhsa_group_segment_fixed_size 0
		.amdhsa_private_segment_fixed_size 0
		.amdhsa_kernarg_size 144
		.amdhsa_user_sgpr_count 6
		.amdhsa_user_sgpr_private_segment_buffer 1
		.amdhsa_user_sgpr_dispatch_ptr 0
		.amdhsa_user_sgpr_queue_ptr 0
		.amdhsa_user_sgpr_kernarg_segment_ptr 1
		.amdhsa_user_sgpr_dispatch_id 0
		.amdhsa_user_sgpr_flat_scratch_init 0
		.amdhsa_user_sgpr_kernarg_preload_length 0
		.amdhsa_user_sgpr_kernarg_preload_offset 0
		.amdhsa_user_sgpr_private_segment_size 0
		.amdhsa_uses_dynamic_stack 0
		.amdhsa_system_sgpr_private_segment_wavefront_offset 0
		.amdhsa_system_sgpr_workgroup_id_x 1
		.amdhsa_system_sgpr_workgroup_id_y 0
		.amdhsa_system_sgpr_workgroup_id_z 0
		.amdhsa_system_sgpr_workgroup_info 0
		.amdhsa_system_vgpr_workitem_id 0
		.amdhsa_next_free_vgpr 1
		.amdhsa_next_free_sgpr 0
		.amdhsa_accum_offset 4
		.amdhsa_reserve_vcc 0
		.amdhsa_reserve_flat_scratch 0
		.amdhsa_float_round_mode_32 0
		.amdhsa_float_round_mode_16_64 0
		.amdhsa_float_denorm_mode_32 3
		.amdhsa_float_denorm_mode_16_64 3
		.amdhsa_dx10_clamp 1
		.amdhsa_ieee_mode 1
		.amdhsa_fp16_overflow 0
		.amdhsa_tg_split 0
		.amdhsa_exception_fp_ieee_invalid_op 0
		.amdhsa_exception_fp_denorm_src 0
		.amdhsa_exception_fp_ieee_div_zero 0
		.amdhsa_exception_fp_ieee_overflow 0
		.amdhsa_exception_fp_ieee_underflow 0
		.amdhsa_exception_fp_ieee_inexact 0
		.amdhsa_exception_int_div_zero 0
	.end_amdhsa_kernel
	.section	.text._ZN7rocprim17ROCPRIM_400000_NS6detail17trampoline_kernelINS0_14default_configENS1_25partition_config_selectorILNS1_17partition_subalgoE1EjNS0_10empty_typeEbEEZZNS1_14partition_implILS5_1ELb0ES3_jN6thrust23THRUST_200600_302600_NS6detail15normal_iteratorINSA_10device_ptrIjEEEEPS6_NSA_18transform_iteratorI7is_evenIjESF_NSA_11use_defaultESK_EENS0_5tupleIJNSA_16discard_iteratorISK_EESO_EEENSM_IJSG_SG_EEES6_PlJS6_EEE10hipError_tPvRmT3_T4_T5_T6_T7_T9_mT8_P12ihipStream_tbDpT10_ENKUlT_T0_E_clISt17integral_constantIbLb0EES1B_EEDaS16_S17_EUlS16_E_NS1_11comp_targetILNS1_3genE2ELNS1_11target_archE906ELNS1_3gpuE6ELNS1_3repE0EEENS1_30default_config_static_selectorELNS0_4arch9wavefront6targetE1EEEvT1_,"axG",@progbits,_ZN7rocprim17ROCPRIM_400000_NS6detail17trampoline_kernelINS0_14default_configENS1_25partition_config_selectorILNS1_17partition_subalgoE1EjNS0_10empty_typeEbEEZZNS1_14partition_implILS5_1ELb0ES3_jN6thrust23THRUST_200600_302600_NS6detail15normal_iteratorINSA_10device_ptrIjEEEEPS6_NSA_18transform_iteratorI7is_evenIjESF_NSA_11use_defaultESK_EENS0_5tupleIJNSA_16discard_iteratorISK_EESO_EEENSM_IJSG_SG_EEES6_PlJS6_EEE10hipError_tPvRmT3_T4_T5_T6_T7_T9_mT8_P12ihipStream_tbDpT10_ENKUlT_T0_E_clISt17integral_constantIbLb0EES1B_EEDaS16_S17_EUlS16_E_NS1_11comp_targetILNS1_3genE2ELNS1_11target_archE906ELNS1_3gpuE6ELNS1_3repE0EEENS1_30default_config_static_selectorELNS0_4arch9wavefront6targetE1EEEvT1_,comdat
.Lfunc_end2975:
	.size	_ZN7rocprim17ROCPRIM_400000_NS6detail17trampoline_kernelINS0_14default_configENS1_25partition_config_selectorILNS1_17partition_subalgoE1EjNS0_10empty_typeEbEEZZNS1_14partition_implILS5_1ELb0ES3_jN6thrust23THRUST_200600_302600_NS6detail15normal_iteratorINSA_10device_ptrIjEEEEPS6_NSA_18transform_iteratorI7is_evenIjESF_NSA_11use_defaultESK_EENS0_5tupleIJNSA_16discard_iteratorISK_EESO_EEENSM_IJSG_SG_EEES6_PlJS6_EEE10hipError_tPvRmT3_T4_T5_T6_T7_T9_mT8_P12ihipStream_tbDpT10_ENKUlT_T0_E_clISt17integral_constantIbLb0EES1B_EEDaS16_S17_EUlS16_E_NS1_11comp_targetILNS1_3genE2ELNS1_11target_archE906ELNS1_3gpuE6ELNS1_3repE0EEENS1_30default_config_static_selectorELNS0_4arch9wavefront6targetE1EEEvT1_, .Lfunc_end2975-_ZN7rocprim17ROCPRIM_400000_NS6detail17trampoline_kernelINS0_14default_configENS1_25partition_config_selectorILNS1_17partition_subalgoE1EjNS0_10empty_typeEbEEZZNS1_14partition_implILS5_1ELb0ES3_jN6thrust23THRUST_200600_302600_NS6detail15normal_iteratorINSA_10device_ptrIjEEEEPS6_NSA_18transform_iteratorI7is_evenIjESF_NSA_11use_defaultESK_EENS0_5tupleIJNSA_16discard_iteratorISK_EESO_EEENSM_IJSG_SG_EEES6_PlJS6_EEE10hipError_tPvRmT3_T4_T5_T6_T7_T9_mT8_P12ihipStream_tbDpT10_ENKUlT_T0_E_clISt17integral_constantIbLb0EES1B_EEDaS16_S17_EUlS16_E_NS1_11comp_targetILNS1_3genE2ELNS1_11target_archE906ELNS1_3gpuE6ELNS1_3repE0EEENS1_30default_config_static_selectorELNS0_4arch9wavefront6targetE1EEEvT1_
                                        ; -- End function
	.section	.AMDGPU.csdata,"",@progbits
; Kernel info:
; codeLenInByte = 0
; NumSgprs: 4
; NumVgprs: 0
; NumAgprs: 0
; TotalNumVgprs: 0
; ScratchSize: 0
; MemoryBound: 0
; FloatMode: 240
; IeeeMode: 1
; LDSByteSize: 0 bytes/workgroup (compile time only)
; SGPRBlocks: 0
; VGPRBlocks: 0
; NumSGPRsForWavesPerEU: 4
; NumVGPRsForWavesPerEU: 1
; AccumOffset: 4
; Occupancy: 8
; WaveLimiterHint : 0
; COMPUTE_PGM_RSRC2:SCRATCH_EN: 0
; COMPUTE_PGM_RSRC2:USER_SGPR: 6
; COMPUTE_PGM_RSRC2:TRAP_HANDLER: 0
; COMPUTE_PGM_RSRC2:TGID_X_EN: 1
; COMPUTE_PGM_RSRC2:TGID_Y_EN: 0
; COMPUTE_PGM_RSRC2:TGID_Z_EN: 0
; COMPUTE_PGM_RSRC2:TIDIG_COMP_CNT: 0
; COMPUTE_PGM_RSRC3_GFX90A:ACCUM_OFFSET: 0
; COMPUTE_PGM_RSRC3_GFX90A:TG_SPLIT: 0
	.section	.text._ZN7rocprim17ROCPRIM_400000_NS6detail17trampoline_kernelINS0_14default_configENS1_25partition_config_selectorILNS1_17partition_subalgoE1EjNS0_10empty_typeEbEEZZNS1_14partition_implILS5_1ELb0ES3_jN6thrust23THRUST_200600_302600_NS6detail15normal_iteratorINSA_10device_ptrIjEEEEPS6_NSA_18transform_iteratorI7is_evenIjESF_NSA_11use_defaultESK_EENS0_5tupleIJNSA_16discard_iteratorISK_EESO_EEENSM_IJSG_SG_EEES6_PlJS6_EEE10hipError_tPvRmT3_T4_T5_T6_T7_T9_mT8_P12ihipStream_tbDpT10_ENKUlT_T0_E_clISt17integral_constantIbLb0EES1B_EEDaS16_S17_EUlS16_E_NS1_11comp_targetILNS1_3genE10ELNS1_11target_archE1200ELNS1_3gpuE4ELNS1_3repE0EEENS1_30default_config_static_selectorELNS0_4arch9wavefront6targetE1EEEvT1_,"axG",@progbits,_ZN7rocprim17ROCPRIM_400000_NS6detail17trampoline_kernelINS0_14default_configENS1_25partition_config_selectorILNS1_17partition_subalgoE1EjNS0_10empty_typeEbEEZZNS1_14partition_implILS5_1ELb0ES3_jN6thrust23THRUST_200600_302600_NS6detail15normal_iteratorINSA_10device_ptrIjEEEEPS6_NSA_18transform_iteratorI7is_evenIjESF_NSA_11use_defaultESK_EENS0_5tupleIJNSA_16discard_iteratorISK_EESO_EEENSM_IJSG_SG_EEES6_PlJS6_EEE10hipError_tPvRmT3_T4_T5_T6_T7_T9_mT8_P12ihipStream_tbDpT10_ENKUlT_T0_E_clISt17integral_constantIbLb0EES1B_EEDaS16_S17_EUlS16_E_NS1_11comp_targetILNS1_3genE10ELNS1_11target_archE1200ELNS1_3gpuE4ELNS1_3repE0EEENS1_30default_config_static_selectorELNS0_4arch9wavefront6targetE1EEEvT1_,comdat
	.protected	_ZN7rocprim17ROCPRIM_400000_NS6detail17trampoline_kernelINS0_14default_configENS1_25partition_config_selectorILNS1_17partition_subalgoE1EjNS0_10empty_typeEbEEZZNS1_14partition_implILS5_1ELb0ES3_jN6thrust23THRUST_200600_302600_NS6detail15normal_iteratorINSA_10device_ptrIjEEEEPS6_NSA_18transform_iteratorI7is_evenIjESF_NSA_11use_defaultESK_EENS0_5tupleIJNSA_16discard_iteratorISK_EESO_EEENSM_IJSG_SG_EEES6_PlJS6_EEE10hipError_tPvRmT3_T4_T5_T6_T7_T9_mT8_P12ihipStream_tbDpT10_ENKUlT_T0_E_clISt17integral_constantIbLb0EES1B_EEDaS16_S17_EUlS16_E_NS1_11comp_targetILNS1_3genE10ELNS1_11target_archE1200ELNS1_3gpuE4ELNS1_3repE0EEENS1_30default_config_static_selectorELNS0_4arch9wavefront6targetE1EEEvT1_ ; -- Begin function _ZN7rocprim17ROCPRIM_400000_NS6detail17trampoline_kernelINS0_14default_configENS1_25partition_config_selectorILNS1_17partition_subalgoE1EjNS0_10empty_typeEbEEZZNS1_14partition_implILS5_1ELb0ES3_jN6thrust23THRUST_200600_302600_NS6detail15normal_iteratorINSA_10device_ptrIjEEEEPS6_NSA_18transform_iteratorI7is_evenIjESF_NSA_11use_defaultESK_EENS0_5tupleIJNSA_16discard_iteratorISK_EESO_EEENSM_IJSG_SG_EEES6_PlJS6_EEE10hipError_tPvRmT3_T4_T5_T6_T7_T9_mT8_P12ihipStream_tbDpT10_ENKUlT_T0_E_clISt17integral_constantIbLb0EES1B_EEDaS16_S17_EUlS16_E_NS1_11comp_targetILNS1_3genE10ELNS1_11target_archE1200ELNS1_3gpuE4ELNS1_3repE0EEENS1_30default_config_static_selectorELNS0_4arch9wavefront6targetE1EEEvT1_
	.globl	_ZN7rocprim17ROCPRIM_400000_NS6detail17trampoline_kernelINS0_14default_configENS1_25partition_config_selectorILNS1_17partition_subalgoE1EjNS0_10empty_typeEbEEZZNS1_14partition_implILS5_1ELb0ES3_jN6thrust23THRUST_200600_302600_NS6detail15normal_iteratorINSA_10device_ptrIjEEEEPS6_NSA_18transform_iteratorI7is_evenIjESF_NSA_11use_defaultESK_EENS0_5tupleIJNSA_16discard_iteratorISK_EESO_EEENSM_IJSG_SG_EEES6_PlJS6_EEE10hipError_tPvRmT3_T4_T5_T6_T7_T9_mT8_P12ihipStream_tbDpT10_ENKUlT_T0_E_clISt17integral_constantIbLb0EES1B_EEDaS16_S17_EUlS16_E_NS1_11comp_targetILNS1_3genE10ELNS1_11target_archE1200ELNS1_3gpuE4ELNS1_3repE0EEENS1_30default_config_static_selectorELNS0_4arch9wavefront6targetE1EEEvT1_
	.p2align	8
	.type	_ZN7rocprim17ROCPRIM_400000_NS6detail17trampoline_kernelINS0_14default_configENS1_25partition_config_selectorILNS1_17partition_subalgoE1EjNS0_10empty_typeEbEEZZNS1_14partition_implILS5_1ELb0ES3_jN6thrust23THRUST_200600_302600_NS6detail15normal_iteratorINSA_10device_ptrIjEEEEPS6_NSA_18transform_iteratorI7is_evenIjESF_NSA_11use_defaultESK_EENS0_5tupleIJNSA_16discard_iteratorISK_EESO_EEENSM_IJSG_SG_EEES6_PlJS6_EEE10hipError_tPvRmT3_T4_T5_T6_T7_T9_mT8_P12ihipStream_tbDpT10_ENKUlT_T0_E_clISt17integral_constantIbLb0EES1B_EEDaS16_S17_EUlS16_E_NS1_11comp_targetILNS1_3genE10ELNS1_11target_archE1200ELNS1_3gpuE4ELNS1_3repE0EEENS1_30default_config_static_selectorELNS0_4arch9wavefront6targetE1EEEvT1_,@function
_ZN7rocprim17ROCPRIM_400000_NS6detail17trampoline_kernelINS0_14default_configENS1_25partition_config_selectorILNS1_17partition_subalgoE1EjNS0_10empty_typeEbEEZZNS1_14partition_implILS5_1ELb0ES3_jN6thrust23THRUST_200600_302600_NS6detail15normal_iteratorINSA_10device_ptrIjEEEEPS6_NSA_18transform_iteratorI7is_evenIjESF_NSA_11use_defaultESK_EENS0_5tupleIJNSA_16discard_iteratorISK_EESO_EEENSM_IJSG_SG_EEES6_PlJS6_EEE10hipError_tPvRmT3_T4_T5_T6_T7_T9_mT8_P12ihipStream_tbDpT10_ENKUlT_T0_E_clISt17integral_constantIbLb0EES1B_EEDaS16_S17_EUlS16_E_NS1_11comp_targetILNS1_3genE10ELNS1_11target_archE1200ELNS1_3gpuE4ELNS1_3repE0EEENS1_30default_config_static_selectorELNS0_4arch9wavefront6targetE1EEEvT1_: ; @_ZN7rocprim17ROCPRIM_400000_NS6detail17trampoline_kernelINS0_14default_configENS1_25partition_config_selectorILNS1_17partition_subalgoE1EjNS0_10empty_typeEbEEZZNS1_14partition_implILS5_1ELb0ES3_jN6thrust23THRUST_200600_302600_NS6detail15normal_iteratorINSA_10device_ptrIjEEEEPS6_NSA_18transform_iteratorI7is_evenIjESF_NSA_11use_defaultESK_EENS0_5tupleIJNSA_16discard_iteratorISK_EESO_EEENSM_IJSG_SG_EEES6_PlJS6_EEE10hipError_tPvRmT3_T4_T5_T6_T7_T9_mT8_P12ihipStream_tbDpT10_ENKUlT_T0_E_clISt17integral_constantIbLb0EES1B_EEDaS16_S17_EUlS16_E_NS1_11comp_targetILNS1_3genE10ELNS1_11target_archE1200ELNS1_3gpuE4ELNS1_3repE0EEENS1_30default_config_static_selectorELNS0_4arch9wavefront6targetE1EEEvT1_
; %bb.0:
	.section	.rodata,"a",@progbits
	.p2align	6, 0x0
	.amdhsa_kernel _ZN7rocprim17ROCPRIM_400000_NS6detail17trampoline_kernelINS0_14default_configENS1_25partition_config_selectorILNS1_17partition_subalgoE1EjNS0_10empty_typeEbEEZZNS1_14partition_implILS5_1ELb0ES3_jN6thrust23THRUST_200600_302600_NS6detail15normal_iteratorINSA_10device_ptrIjEEEEPS6_NSA_18transform_iteratorI7is_evenIjESF_NSA_11use_defaultESK_EENS0_5tupleIJNSA_16discard_iteratorISK_EESO_EEENSM_IJSG_SG_EEES6_PlJS6_EEE10hipError_tPvRmT3_T4_T5_T6_T7_T9_mT8_P12ihipStream_tbDpT10_ENKUlT_T0_E_clISt17integral_constantIbLb0EES1B_EEDaS16_S17_EUlS16_E_NS1_11comp_targetILNS1_3genE10ELNS1_11target_archE1200ELNS1_3gpuE4ELNS1_3repE0EEENS1_30default_config_static_selectorELNS0_4arch9wavefront6targetE1EEEvT1_
		.amdhsa_group_segment_fixed_size 0
		.amdhsa_private_segment_fixed_size 0
		.amdhsa_kernarg_size 144
		.amdhsa_user_sgpr_count 6
		.amdhsa_user_sgpr_private_segment_buffer 1
		.amdhsa_user_sgpr_dispatch_ptr 0
		.amdhsa_user_sgpr_queue_ptr 0
		.amdhsa_user_sgpr_kernarg_segment_ptr 1
		.amdhsa_user_sgpr_dispatch_id 0
		.amdhsa_user_sgpr_flat_scratch_init 0
		.amdhsa_user_sgpr_kernarg_preload_length 0
		.amdhsa_user_sgpr_kernarg_preload_offset 0
		.amdhsa_user_sgpr_private_segment_size 0
		.amdhsa_uses_dynamic_stack 0
		.amdhsa_system_sgpr_private_segment_wavefront_offset 0
		.amdhsa_system_sgpr_workgroup_id_x 1
		.amdhsa_system_sgpr_workgroup_id_y 0
		.amdhsa_system_sgpr_workgroup_id_z 0
		.amdhsa_system_sgpr_workgroup_info 0
		.amdhsa_system_vgpr_workitem_id 0
		.amdhsa_next_free_vgpr 1
		.amdhsa_next_free_sgpr 0
		.amdhsa_accum_offset 4
		.amdhsa_reserve_vcc 0
		.amdhsa_reserve_flat_scratch 0
		.amdhsa_float_round_mode_32 0
		.amdhsa_float_round_mode_16_64 0
		.amdhsa_float_denorm_mode_32 3
		.amdhsa_float_denorm_mode_16_64 3
		.amdhsa_dx10_clamp 1
		.amdhsa_ieee_mode 1
		.amdhsa_fp16_overflow 0
		.amdhsa_tg_split 0
		.amdhsa_exception_fp_ieee_invalid_op 0
		.amdhsa_exception_fp_denorm_src 0
		.amdhsa_exception_fp_ieee_div_zero 0
		.amdhsa_exception_fp_ieee_overflow 0
		.amdhsa_exception_fp_ieee_underflow 0
		.amdhsa_exception_fp_ieee_inexact 0
		.amdhsa_exception_int_div_zero 0
	.end_amdhsa_kernel
	.section	.text._ZN7rocprim17ROCPRIM_400000_NS6detail17trampoline_kernelINS0_14default_configENS1_25partition_config_selectorILNS1_17partition_subalgoE1EjNS0_10empty_typeEbEEZZNS1_14partition_implILS5_1ELb0ES3_jN6thrust23THRUST_200600_302600_NS6detail15normal_iteratorINSA_10device_ptrIjEEEEPS6_NSA_18transform_iteratorI7is_evenIjESF_NSA_11use_defaultESK_EENS0_5tupleIJNSA_16discard_iteratorISK_EESO_EEENSM_IJSG_SG_EEES6_PlJS6_EEE10hipError_tPvRmT3_T4_T5_T6_T7_T9_mT8_P12ihipStream_tbDpT10_ENKUlT_T0_E_clISt17integral_constantIbLb0EES1B_EEDaS16_S17_EUlS16_E_NS1_11comp_targetILNS1_3genE10ELNS1_11target_archE1200ELNS1_3gpuE4ELNS1_3repE0EEENS1_30default_config_static_selectorELNS0_4arch9wavefront6targetE1EEEvT1_,"axG",@progbits,_ZN7rocprim17ROCPRIM_400000_NS6detail17trampoline_kernelINS0_14default_configENS1_25partition_config_selectorILNS1_17partition_subalgoE1EjNS0_10empty_typeEbEEZZNS1_14partition_implILS5_1ELb0ES3_jN6thrust23THRUST_200600_302600_NS6detail15normal_iteratorINSA_10device_ptrIjEEEEPS6_NSA_18transform_iteratorI7is_evenIjESF_NSA_11use_defaultESK_EENS0_5tupleIJNSA_16discard_iteratorISK_EESO_EEENSM_IJSG_SG_EEES6_PlJS6_EEE10hipError_tPvRmT3_T4_T5_T6_T7_T9_mT8_P12ihipStream_tbDpT10_ENKUlT_T0_E_clISt17integral_constantIbLb0EES1B_EEDaS16_S17_EUlS16_E_NS1_11comp_targetILNS1_3genE10ELNS1_11target_archE1200ELNS1_3gpuE4ELNS1_3repE0EEENS1_30default_config_static_selectorELNS0_4arch9wavefront6targetE1EEEvT1_,comdat
.Lfunc_end2976:
	.size	_ZN7rocprim17ROCPRIM_400000_NS6detail17trampoline_kernelINS0_14default_configENS1_25partition_config_selectorILNS1_17partition_subalgoE1EjNS0_10empty_typeEbEEZZNS1_14partition_implILS5_1ELb0ES3_jN6thrust23THRUST_200600_302600_NS6detail15normal_iteratorINSA_10device_ptrIjEEEEPS6_NSA_18transform_iteratorI7is_evenIjESF_NSA_11use_defaultESK_EENS0_5tupleIJNSA_16discard_iteratorISK_EESO_EEENSM_IJSG_SG_EEES6_PlJS6_EEE10hipError_tPvRmT3_T4_T5_T6_T7_T9_mT8_P12ihipStream_tbDpT10_ENKUlT_T0_E_clISt17integral_constantIbLb0EES1B_EEDaS16_S17_EUlS16_E_NS1_11comp_targetILNS1_3genE10ELNS1_11target_archE1200ELNS1_3gpuE4ELNS1_3repE0EEENS1_30default_config_static_selectorELNS0_4arch9wavefront6targetE1EEEvT1_, .Lfunc_end2976-_ZN7rocprim17ROCPRIM_400000_NS6detail17trampoline_kernelINS0_14default_configENS1_25partition_config_selectorILNS1_17partition_subalgoE1EjNS0_10empty_typeEbEEZZNS1_14partition_implILS5_1ELb0ES3_jN6thrust23THRUST_200600_302600_NS6detail15normal_iteratorINSA_10device_ptrIjEEEEPS6_NSA_18transform_iteratorI7is_evenIjESF_NSA_11use_defaultESK_EENS0_5tupleIJNSA_16discard_iteratorISK_EESO_EEENSM_IJSG_SG_EEES6_PlJS6_EEE10hipError_tPvRmT3_T4_T5_T6_T7_T9_mT8_P12ihipStream_tbDpT10_ENKUlT_T0_E_clISt17integral_constantIbLb0EES1B_EEDaS16_S17_EUlS16_E_NS1_11comp_targetILNS1_3genE10ELNS1_11target_archE1200ELNS1_3gpuE4ELNS1_3repE0EEENS1_30default_config_static_selectorELNS0_4arch9wavefront6targetE1EEEvT1_
                                        ; -- End function
	.section	.AMDGPU.csdata,"",@progbits
; Kernel info:
; codeLenInByte = 0
; NumSgprs: 4
; NumVgprs: 0
; NumAgprs: 0
; TotalNumVgprs: 0
; ScratchSize: 0
; MemoryBound: 0
; FloatMode: 240
; IeeeMode: 1
; LDSByteSize: 0 bytes/workgroup (compile time only)
; SGPRBlocks: 0
; VGPRBlocks: 0
; NumSGPRsForWavesPerEU: 4
; NumVGPRsForWavesPerEU: 1
; AccumOffset: 4
; Occupancy: 8
; WaveLimiterHint : 0
; COMPUTE_PGM_RSRC2:SCRATCH_EN: 0
; COMPUTE_PGM_RSRC2:USER_SGPR: 6
; COMPUTE_PGM_RSRC2:TRAP_HANDLER: 0
; COMPUTE_PGM_RSRC2:TGID_X_EN: 1
; COMPUTE_PGM_RSRC2:TGID_Y_EN: 0
; COMPUTE_PGM_RSRC2:TGID_Z_EN: 0
; COMPUTE_PGM_RSRC2:TIDIG_COMP_CNT: 0
; COMPUTE_PGM_RSRC3_GFX90A:ACCUM_OFFSET: 0
; COMPUTE_PGM_RSRC3_GFX90A:TG_SPLIT: 0
	.section	.text._ZN7rocprim17ROCPRIM_400000_NS6detail17trampoline_kernelINS0_14default_configENS1_25partition_config_selectorILNS1_17partition_subalgoE1EjNS0_10empty_typeEbEEZZNS1_14partition_implILS5_1ELb0ES3_jN6thrust23THRUST_200600_302600_NS6detail15normal_iteratorINSA_10device_ptrIjEEEEPS6_NSA_18transform_iteratorI7is_evenIjESF_NSA_11use_defaultESK_EENS0_5tupleIJNSA_16discard_iteratorISK_EESO_EEENSM_IJSG_SG_EEES6_PlJS6_EEE10hipError_tPvRmT3_T4_T5_T6_T7_T9_mT8_P12ihipStream_tbDpT10_ENKUlT_T0_E_clISt17integral_constantIbLb0EES1B_EEDaS16_S17_EUlS16_E_NS1_11comp_targetILNS1_3genE9ELNS1_11target_archE1100ELNS1_3gpuE3ELNS1_3repE0EEENS1_30default_config_static_selectorELNS0_4arch9wavefront6targetE1EEEvT1_,"axG",@progbits,_ZN7rocprim17ROCPRIM_400000_NS6detail17trampoline_kernelINS0_14default_configENS1_25partition_config_selectorILNS1_17partition_subalgoE1EjNS0_10empty_typeEbEEZZNS1_14partition_implILS5_1ELb0ES3_jN6thrust23THRUST_200600_302600_NS6detail15normal_iteratorINSA_10device_ptrIjEEEEPS6_NSA_18transform_iteratorI7is_evenIjESF_NSA_11use_defaultESK_EENS0_5tupleIJNSA_16discard_iteratorISK_EESO_EEENSM_IJSG_SG_EEES6_PlJS6_EEE10hipError_tPvRmT3_T4_T5_T6_T7_T9_mT8_P12ihipStream_tbDpT10_ENKUlT_T0_E_clISt17integral_constantIbLb0EES1B_EEDaS16_S17_EUlS16_E_NS1_11comp_targetILNS1_3genE9ELNS1_11target_archE1100ELNS1_3gpuE3ELNS1_3repE0EEENS1_30default_config_static_selectorELNS0_4arch9wavefront6targetE1EEEvT1_,comdat
	.protected	_ZN7rocprim17ROCPRIM_400000_NS6detail17trampoline_kernelINS0_14default_configENS1_25partition_config_selectorILNS1_17partition_subalgoE1EjNS0_10empty_typeEbEEZZNS1_14partition_implILS5_1ELb0ES3_jN6thrust23THRUST_200600_302600_NS6detail15normal_iteratorINSA_10device_ptrIjEEEEPS6_NSA_18transform_iteratorI7is_evenIjESF_NSA_11use_defaultESK_EENS0_5tupleIJNSA_16discard_iteratorISK_EESO_EEENSM_IJSG_SG_EEES6_PlJS6_EEE10hipError_tPvRmT3_T4_T5_T6_T7_T9_mT8_P12ihipStream_tbDpT10_ENKUlT_T0_E_clISt17integral_constantIbLb0EES1B_EEDaS16_S17_EUlS16_E_NS1_11comp_targetILNS1_3genE9ELNS1_11target_archE1100ELNS1_3gpuE3ELNS1_3repE0EEENS1_30default_config_static_selectorELNS0_4arch9wavefront6targetE1EEEvT1_ ; -- Begin function _ZN7rocprim17ROCPRIM_400000_NS6detail17trampoline_kernelINS0_14default_configENS1_25partition_config_selectorILNS1_17partition_subalgoE1EjNS0_10empty_typeEbEEZZNS1_14partition_implILS5_1ELb0ES3_jN6thrust23THRUST_200600_302600_NS6detail15normal_iteratorINSA_10device_ptrIjEEEEPS6_NSA_18transform_iteratorI7is_evenIjESF_NSA_11use_defaultESK_EENS0_5tupleIJNSA_16discard_iteratorISK_EESO_EEENSM_IJSG_SG_EEES6_PlJS6_EEE10hipError_tPvRmT3_T4_T5_T6_T7_T9_mT8_P12ihipStream_tbDpT10_ENKUlT_T0_E_clISt17integral_constantIbLb0EES1B_EEDaS16_S17_EUlS16_E_NS1_11comp_targetILNS1_3genE9ELNS1_11target_archE1100ELNS1_3gpuE3ELNS1_3repE0EEENS1_30default_config_static_selectorELNS0_4arch9wavefront6targetE1EEEvT1_
	.globl	_ZN7rocprim17ROCPRIM_400000_NS6detail17trampoline_kernelINS0_14default_configENS1_25partition_config_selectorILNS1_17partition_subalgoE1EjNS0_10empty_typeEbEEZZNS1_14partition_implILS5_1ELb0ES3_jN6thrust23THRUST_200600_302600_NS6detail15normal_iteratorINSA_10device_ptrIjEEEEPS6_NSA_18transform_iteratorI7is_evenIjESF_NSA_11use_defaultESK_EENS0_5tupleIJNSA_16discard_iteratorISK_EESO_EEENSM_IJSG_SG_EEES6_PlJS6_EEE10hipError_tPvRmT3_T4_T5_T6_T7_T9_mT8_P12ihipStream_tbDpT10_ENKUlT_T0_E_clISt17integral_constantIbLb0EES1B_EEDaS16_S17_EUlS16_E_NS1_11comp_targetILNS1_3genE9ELNS1_11target_archE1100ELNS1_3gpuE3ELNS1_3repE0EEENS1_30default_config_static_selectorELNS0_4arch9wavefront6targetE1EEEvT1_
	.p2align	8
	.type	_ZN7rocprim17ROCPRIM_400000_NS6detail17trampoline_kernelINS0_14default_configENS1_25partition_config_selectorILNS1_17partition_subalgoE1EjNS0_10empty_typeEbEEZZNS1_14partition_implILS5_1ELb0ES3_jN6thrust23THRUST_200600_302600_NS6detail15normal_iteratorINSA_10device_ptrIjEEEEPS6_NSA_18transform_iteratorI7is_evenIjESF_NSA_11use_defaultESK_EENS0_5tupleIJNSA_16discard_iteratorISK_EESO_EEENSM_IJSG_SG_EEES6_PlJS6_EEE10hipError_tPvRmT3_T4_T5_T6_T7_T9_mT8_P12ihipStream_tbDpT10_ENKUlT_T0_E_clISt17integral_constantIbLb0EES1B_EEDaS16_S17_EUlS16_E_NS1_11comp_targetILNS1_3genE9ELNS1_11target_archE1100ELNS1_3gpuE3ELNS1_3repE0EEENS1_30default_config_static_selectorELNS0_4arch9wavefront6targetE1EEEvT1_,@function
_ZN7rocprim17ROCPRIM_400000_NS6detail17trampoline_kernelINS0_14default_configENS1_25partition_config_selectorILNS1_17partition_subalgoE1EjNS0_10empty_typeEbEEZZNS1_14partition_implILS5_1ELb0ES3_jN6thrust23THRUST_200600_302600_NS6detail15normal_iteratorINSA_10device_ptrIjEEEEPS6_NSA_18transform_iteratorI7is_evenIjESF_NSA_11use_defaultESK_EENS0_5tupleIJNSA_16discard_iteratorISK_EESO_EEENSM_IJSG_SG_EEES6_PlJS6_EEE10hipError_tPvRmT3_T4_T5_T6_T7_T9_mT8_P12ihipStream_tbDpT10_ENKUlT_T0_E_clISt17integral_constantIbLb0EES1B_EEDaS16_S17_EUlS16_E_NS1_11comp_targetILNS1_3genE9ELNS1_11target_archE1100ELNS1_3gpuE3ELNS1_3repE0EEENS1_30default_config_static_selectorELNS0_4arch9wavefront6targetE1EEEvT1_: ; @_ZN7rocprim17ROCPRIM_400000_NS6detail17trampoline_kernelINS0_14default_configENS1_25partition_config_selectorILNS1_17partition_subalgoE1EjNS0_10empty_typeEbEEZZNS1_14partition_implILS5_1ELb0ES3_jN6thrust23THRUST_200600_302600_NS6detail15normal_iteratorINSA_10device_ptrIjEEEEPS6_NSA_18transform_iteratorI7is_evenIjESF_NSA_11use_defaultESK_EENS0_5tupleIJNSA_16discard_iteratorISK_EESO_EEENSM_IJSG_SG_EEES6_PlJS6_EEE10hipError_tPvRmT3_T4_T5_T6_T7_T9_mT8_P12ihipStream_tbDpT10_ENKUlT_T0_E_clISt17integral_constantIbLb0EES1B_EEDaS16_S17_EUlS16_E_NS1_11comp_targetILNS1_3genE9ELNS1_11target_archE1100ELNS1_3gpuE3ELNS1_3repE0EEENS1_30default_config_static_selectorELNS0_4arch9wavefront6targetE1EEEvT1_
; %bb.0:
	.section	.rodata,"a",@progbits
	.p2align	6, 0x0
	.amdhsa_kernel _ZN7rocprim17ROCPRIM_400000_NS6detail17trampoline_kernelINS0_14default_configENS1_25partition_config_selectorILNS1_17partition_subalgoE1EjNS0_10empty_typeEbEEZZNS1_14partition_implILS5_1ELb0ES3_jN6thrust23THRUST_200600_302600_NS6detail15normal_iteratorINSA_10device_ptrIjEEEEPS6_NSA_18transform_iteratorI7is_evenIjESF_NSA_11use_defaultESK_EENS0_5tupleIJNSA_16discard_iteratorISK_EESO_EEENSM_IJSG_SG_EEES6_PlJS6_EEE10hipError_tPvRmT3_T4_T5_T6_T7_T9_mT8_P12ihipStream_tbDpT10_ENKUlT_T0_E_clISt17integral_constantIbLb0EES1B_EEDaS16_S17_EUlS16_E_NS1_11comp_targetILNS1_3genE9ELNS1_11target_archE1100ELNS1_3gpuE3ELNS1_3repE0EEENS1_30default_config_static_selectorELNS0_4arch9wavefront6targetE1EEEvT1_
		.amdhsa_group_segment_fixed_size 0
		.amdhsa_private_segment_fixed_size 0
		.amdhsa_kernarg_size 144
		.amdhsa_user_sgpr_count 6
		.amdhsa_user_sgpr_private_segment_buffer 1
		.amdhsa_user_sgpr_dispatch_ptr 0
		.amdhsa_user_sgpr_queue_ptr 0
		.amdhsa_user_sgpr_kernarg_segment_ptr 1
		.amdhsa_user_sgpr_dispatch_id 0
		.amdhsa_user_sgpr_flat_scratch_init 0
		.amdhsa_user_sgpr_kernarg_preload_length 0
		.amdhsa_user_sgpr_kernarg_preload_offset 0
		.amdhsa_user_sgpr_private_segment_size 0
		.amdhsa_uses_dynamic_stack 0
		.amdhsa_system_sgpr_private_segment_wavefront_offset 0
		.amdhsa_system_sgpr_workgroup_id_x 1
		.amdhsa_system_sgpr_workgroup_id_y 0
		.amdhsa_system_sgpr_workgroup_id_z 0
		.amdhsa_system_sgpr_workgroup_info 0
		.amdhsa_system_vgpr_workitem_id 0
		.amdhsa_next_free_vgpr 1
		.amdhsa_next_free_sgpr 0
		.amdhsa_accum_offset 4
		.amdhsa_reserve_vcc 0
		.amdhsa_reserve_flat_scratch 0
		.amdhsa_float_round_mode_32 0
		.amdhsa_float_round_mode_16_64 0
		.amdhsa_float_denorm_mode_32 3
		.amdhsa_float_denorm_mode_16_64 3
		.amdhsa_dx10_clamp 1
		.amdhsa_ieee_mode 1
		.amdhsa_fp16_overflow 0
		.amdhsa_tg_split 0
		.amdhsa_exception_fp_ieee_invalid_op 0
		.amdhsa_exception_fp_denorm_src 0
		.amdhsa_exception_fp_ieee_div_zero 0
		.amdhsa_exception_fp_ieee_overflow 0
		.amdhsa_exception_fp_ieee_underflow 0
		.amdhsa_exception_fp_ieee_inexact 0
		.amdhsa_exception_int_div_zero 0
	.end_amdhsa_kernel
	.section	.text._ZN7rocprim17ROCPRIM_400000_NS6detail17trampoline_kernelINS0_14default_configENS1_25partition_config_selectorILNS1_17partition_subalgoE1EjNS0_10empty_typeEbEEZZNS1_14partition_implILS5_1ELb0ES3_jN6thrust23THRUST_200600_302600_NS6detail15normal_iteratorINSA_10device_ptrIjEEEEPS6_NSA_18transform_iteratorI7is_evenIjESF_NSA_11use_defaultESK_EENS0_5tupleIJNSA_16discard_iteratorISK_EESO_EEENSM_IJSG_SG_EEES6_PlJS6_EEE10hipError_tPvRmT3_T4_T5_T6_T7_T9_mT8_P12ihipStream_tbDpT10_ENKUlT_T0_E_clISt17integral_constantIbLb0EES1B_EEDaS16_S17_EUlS16_E_NS1_11comp_targetILNS1_3genE9ELNS1_11target_archE1100ELNS1_3gpuE3ELNS1_3repE0EEENS1_30default_config_static_selectorELNS0_4arch9wavefront6targetE1EEEvT1_,"axG",@progbits,_ZN7rocprim17ROCPRIM_400000_NS6detail17trampoline_kernelINS0_14default_configENS1_25partition_config_selectorILNS1_17partition_subalgoE1EjNS0_10empty_typeEbEEZZNS1_14partition_implILS5_1ELb0ES3_jN6thrust23THRUST_200600_302600_NS6detail15normal_iteratorINSA_10device_ptrIjEEEEPS6_NSA_18transform_iteratorI7is_evenIjESF_NSA_11use_defaultESK_EENS0_5tupleIJNSA_16discard_iteratorISK_EESO_EEENSM_IJSG_SG_EEES6_PlJS6_EEE10hipError_tPvRmT3_T4_T5_T6_T7_T9_mT8_P12ihipStream_tbDpT10_ENKUlT_T0_E_clISt17integral_constantIbLb0EES1B_EEDaS16_S17_EUlS16_E_NS1_11comp_targetILNS1_3genE9ELNS1_11target_archE1100ELNS1_3gpuE3ELNS1_3repE0EEENS1_30default_config_static_selectorELNS0_4arch9wavefront6targetE1EEEvT1_,comdat
.Lfunc_end2977:
	.size	_ZN7rocprim17ROCPRIM_400000_NS6detail17trampoline_kernelINS0_14default_configENS1_25partition_config_selectorILNS1_17partition_subalgoE1EjNS0_10empty_typeEbEEZZNS1_14partition_implILS5_1ELb0ES3_jN6thrust23THRUST_200600_302600_NS6detail15normal_iteratorINSA_10device_ptrIjEEEEPS6_NSA_18transform_iteratorI7is_evenIjESF_NSA_11use_defaultESK_EENS0_5tupleIJNSA_16discard_iteratorISK_EESO_EEENSM_IJSG_SG_EEES6_PlJS6_EEE10hipError_tPvRmT3_T4_T5_T6_T7_T9_mT8_P12ihipStream_tbDpT10_ENKUlT_T0_E_clISt17integral_constantIbLb0EES1B_EEDaS16_S17_EUlS16_E_NS1_11comp_targetILNS1_3genE9ELNS1_11target_archE1100ELNS1_3gpuE3ELNS1_3repE0EEENS1_30default_config_static_selectorELNS0_4arch9wavefront6targetE1EEEvT1_, .Lfunc_end2977-_ZN7rocprim17ROCPRIM_400000_NS6detail17trampoline_kernelINS0_14default_configENS1_25partition_config_selectorILNS1_17partition_subalgoE1EjNS0_10empty_typeEbEEZZNS1_14partition_implILS5_1ELb0ES3_jN6thrust23THRUST_200600_302600_NS6detail15normal_iteratorINSA_10device_ptrIjEEEEPS6_NSA_18transform_iteratorI7is_evenIjESF_NSA_11use_defaultESK_EENS0_5tupleIJNSA_16discard_iteratorISK_EESO_EEENSM_IJSG_SG_EEES6_PlJS6_EEE10hipError_tPvRmT3_T4_T5_T6_T7_T9_mT8_P12ihipStream_tbDpT10_ENKUlT_T0_E_clISt17integral_constantIbLb0EES1B_EEDaS16_S17_EUlS16_E_NS1_11comp_targetILNS1_3genE9ELNS1_11target_archE1100ELNS1_3gpuE3ELNS1_3repE0EEENS1_30default_config_static_selectorELNS0_4arch9wavefront6targetE1EEEvT1_
                                        ; -- End function
	.section	.AMDGPU.csdata,"",@progbits
; Kernel info:
; codeLenInByte = 0
; NumSgprs: 4
; NumVgprs: 0
; NumAgprs: 0
; TotalNumVgprs: 0
; ScratchSize: 0
; MemoryBound: 0
; FloatMode: 240
; IeeeMode: 1
; LDSByteSize: 0 bytes/workgroup (compile time only)
; SGPRBlocks: 0
; VGPRBlocks: 0
; NumSGPRsForWavesPerEU: 4
; NumVGPRsForWavesPerEU: 1
; AccumOffset: 4
; Occupancy: 8
; WaveLimiterHint : 0
; COMPUTE_PGM_RSRC2:SCRATCH_EN: 0
; COMPUTE_PGM_RSRC2:USER_SGPR: 6
; COMPUTE_PGM_RSRC2:TRAP_HANDLER: 0
; COMPUTE_PGM_RSRC2:TGID_X_EN: 1
; COMPUTE_PGM_RSRC2:TGID_Y_EN: 0
; COMPUTE_PGM_RSRC2:TGID_Z_EN: 0
; COMPUTE_PGM_RSRC2:TIDIG_COMP_CNT: 0
; COMPUTE_PGM_RSRC3_GFX90A:ACCUM_OFFSET: 0
; COMPUTE_PGM_RSRC3_GFX90A:TG_SPLIT: 0
	.section	.text._ZN7rocprim17ROCPRIM_400000_NS6detail17trampoline_kernelINS0_14default_configENS1_25partition_config_selectorILNS1_17partition_subalgoE1EjNS0_10empty_typeEbEEZZNS1_14partition_implILS5_1ELb0ES3_jN6thrust23THRUST_200600_302600_NS6detail15normal_iteratorINSA_10device_ptrIjEEEEPS6_NSA_18transform_iteratorI7is_evenIjESF_NSA_11use_defaultESK_EENS0_5tupleIJNSA_16discard_iteratorISK_EESO_EEENSM_IJSG_SG_EEES6_PlJS6_EEE10hipError_tPvRmT3_T4_T5_T6_T7_T9_mT8_P12ihipStream_tbDpT10_ENKUlT_T0_E_clISt17integral_constantIbLb0EES1B_EEDaS16_S17_EUlS16_E_NS1_11comp_targetILNS1_3genE8ELNS1_11target_archE1030ELNS1_3gpuE2ELNS1_3repE0EEENS1_30default_config_static_selectorELNS0_4arch9wavefront6targetE1EEEvT1_,"axG",@progbits,_ZN7rocprim17ROCPRIM_400000_NS6detail17trampoline_kernelINS0_14default_configENS1_25partition_config_selectorILNS1_17partition_subalgoE1EjNS0_10empty_typeEbEEZZNS1_14partition_implILS5_1ELb0ES3_jN6thrust23THRUST_200600_302600_NS6detail15normal_iteratorINSA_10device_ptrIjEEEEPS6_NSA_18transform_iteratorI7is_evenIjESF_NSA_11use_defaultESK_EENS0_5tupleIJNSA_16discard_iteratorISK_EESO_EEENSM_IJSG_SG_EEES6_PlJS6_EEE10hipError_tPvRmT3_T4_T5_T6_T7_T9_mT8_P12ihipStream_tbDpT10_ENKUlT_T0_E_clISt17integral_constantIbLb0EES1B_EEDaS16_S17_EUlS16_E_NS1_11comp_targetILNS1_3genE8ELNS1_11target_archE1030ELNS1_3gpuE2ELNS1_3repE0EEENS1_30default_config_static_selectorELNS0_4arch9wavefront6targetE1EEEvT1_,comdat
	.protected	_ZN7rocprim17ROCPRIM_400000_NS6detail17trampoline_kernelINS0_14default_configENS1_25partition_config_selectorILNS1_17partition_subalgoE1EjNS0_10empty_typeEbEEZZNS1_14partition_implILS5_1ELb0ES3_jN6thrust23THRUST_200600_302600_NS6detail15normal_iteratorINSA_10device_ptrIjEEEEPS6_NSA_18transform_iteratorI7is_evenIjESF_NSA_11use_defaultESK_EENS0_5tupleIJNSA_16discard_iteratorISK_EESO_EEENSM_IJSG_SG_EEES6_PlJS6_EEE10hipError_tPvRmT3_T4_T5_T6_T7_T9_mT8_P12ihipStream_tbDpT10_ENKUlT_T0_E_clISt17integral_constantIbLb0EES1B_EEDaS16_S17_EUlS16_E_NS1_11comp_targetILNS1_3genE8ELNS1_11target_archE1030ELNS1_3gpuE2ELNS1_3repE0EEENS1_30default_config_static_selectorELNS0_4arch9wavefront6targetE1EEEvT1_ ; -- Begin function _ZN7rocprim17ROCPRIM_400000_NS6detail17trampoline_kernelINS0_14default_configENS1_25partition_config_selectorILNS1_17partition_subalgoE1EjNS0_10empty_typeEbEEZZNS1_14partition_implILS5_1ELb0ES3_jN6thrust23THRUST_200600_302600_NS6detail15normal_iteratorINSA_10device_ptrIjEEEEPS6_NSA_18transform_iteratorI7is_evenIjESF_NSA_11use_defaultESK_EENS0_5tupleIJNSA_16discard_iteratorISK_EESO_EEENSM_IJSG_SG_EEES6_PlJS6_EEE10hipError_tPvRmT3_T4_T5_T6_T7_T9_mT8_P12ihipStream_tbDpT10_ENKUlT_T0_E_clISt17integral_constantIbLb0EES1B_EEDaS16_S17_EUlS16_E_NS1_11comp_targetILNS1_3genE8ELNS1_11target_archE1030ELNS1_3gpuE2ELNS1_3repE0EEENS1_30default_config_static_selectorELNS0_4arch9wavefront6targetE1EEEvT1_
	.globl	_ZN7rocprim17ROCPRIM_400000_NS6detail17trampoline_kernelINS0_14default_configENS1_25partition_config_selectorILNS1_17partition_subalgoE1EjNS0_10empty_typeEbEEZZNS1_14partition_implILS5_1ELb0ES3_jN6thrust23THRUST_200600_302600_NS6detail15normal_iteratorINSA_10device_ptrIjEEEEPS6_NSA_18transform_iteratorI7is_evenIjESF_NSA_11use_defaultESK_EENS0_5tupleIJNSA_16discard_iteratorISK_EESO_EEENSM_IJSG_SG_EEES6_PlJS6_EEE10hipError_tPvRmT3_T4_T5_T6_T7_T9_mT8_P12ihipStream_tbDpT10_ENKUlT_T0_E_clISt17integral_constantIbLb0EES1B_EEDaS16_S17_EUlS16_E_NS1_11comp_targetILNS1_3genE8ELNS1_11target_archE1030ELNS1_3gpuE2ELNS1_3repE0EEENS1_30default_config_static_selectorELNS0_4arch9wavefront6targetE1EEEvT1_
	.p2align	8
	.type	_ZN7rocprim17ROCPRIM_400000_NS6detail17trampoline_kernelINS0_14default_configENS1_25partition_config_selectorILNS1_17partition_subalgoE1EjNS0_10empty_typeEbEEZZNS1_14partition_implILS5_1ELb0ES3_jN6thrust23THRUST_200600_302600_NS6detail15normal_iteratorINSA_10device_ptrIjEEEEPS6_NSA_18transform_iteratorI7is_evenIjESF_NSA_11use_defaultESK_EENS0_5tupleIJNSA_16discard_iteratorISK_EESO_EEENSM_IJSG_SG_EEES6_PlJS6_EEE10hipError_tPvRmT3_T4_T5_T6_T7_T9_mT8_P12ihipStream_tbDpT10_ENKUlT_T0_E_clISt17integral_constantIbLb0EES1B_EEDaS16_S17_EUlS16_E_NS1_11comp_targetILNS1_3genE8ELNS1_11target_archE1030ELNS1_3gpuE2ELNS1_3repE0EEENS1_30default_config_static_selectorELNS0_4arch9wavefront6targetE1EEEvT1_,@function
_ZN7rocprim17ROCPRIM_400000_NS6detail17trampoline_kernelINS0_14default_configENS1_25partition_config_selectorILNS1_17partition_subalgoE1EjNS0_10empty_typeEbEEZZNS1_14partition_implILS5_1ELb0ES3_jN6thrust23THRUST_200600_302600_NS6detail15normal_iteratorINSA_10device_ptrIjEEEEPS6_NSA_18transform_iteratorI7is_evenIjESF_NSA_11use_defaultESK_EENS0_5tupleIJNSA_16discard_iteratorISK_EESO_EEENSM_IJSG_SG_EEES6_PlJS6_EEE10hipError_tPvRmT3_T4_T5_T6_T7_T9_mT8_P12ihipStream_tbDpT10_ENKUlT_T0_E_clISt17integral_constantIbLb0EES1B_EEDaS16_S17_EUlS16_E_NS1_11comp_targetILNS1_3genE8ELNS1_11target_archE1030ELNS1_3gpuE2ELNS1_3repE0EEENS1_30default_config_static_selectorELNS0_4arch9wavefront6targetE1EEEvT1_: ; @_ZN7rocprim17ROCPRIM_400000_NS6detail17trampoline_kernelINS0_14default_configENS1_25partition_config_selectorILNS1_17partition_subalgoE1EjNS0_10empty_typeEbEEZZNS1_14partition_implILS5_1ELb0ES3_jN6thrust23THRUST_200600_302600_NS6detail15normal_iteratorINSA_10device_ptrIjEEEEPS6_NSA_18transform_iteratorI7is_evenIjESF_NSA_11use_defaultESK_EENS0_5tupleIJNSA_16discard_iteratorISK_EESO_EEENSM_IJSG_SG_EEES6_PlJS6_EEE10hipError_tPvRmT3_T4_T5_T6_T7_T9_mT8_P12ihipStream_tbDpT10_ENKUlT_T0_E_clISt17integral_constantIbLb0EES1B_EEDaS16_S17_EUlS16_E_NS1_11comp_targetILNS1_3genE8ELNS1_11target_archE1030ELNS1_3gpuE2ELNS1_3repE0EEENS1_30default_config_static_selectorELNS0_4arch9wavefront6targetE1EEEvT1_
; %bb.0:
	.section	.rodata,"a",@progbits
	.p2align	6, 0x0
	.amdhsa_kernel _ZN7rocprim17ROCPRIM_400000_NS6detail17trampoline_kernelINS0_14default_configENS1_25partition_config_selectorILNS1_17partition_subalgoE1EjNS0_10empty_typeEbEEZZNS1_14partition_implILS5_1ELb0ES3_jN6thrust23THRUST_200600_302600_NS6detail15normal_iteratorINSA_10device_ptrIjEEEEPS6_NSA_18transform_iteratorI7is_evenIjESF_NSA_11use_defaultESK_EENS0_5tupleIJNSA_16discard_iteratorISK_EESO_EEENSM_IJSG_SG_EEES6_PlJS6_EEE10hipError_tPvRmT3_T4_T5_T6_T7_T9_mT8_P12ihipStream_tbDpT10_ENKUlT_T0_E_clISt17integral_constantIbLb0EES1B_EEDaS16_S17_EUlS16_E_NS1_11comp_targetILNS1_3genE8ELNS1_11target_archE1030ELNS1_3gpuE2ELNS1_3repE0EEENS1_30default_config_static_selectorELNS0_4arch9wavefront6targetE1EEEvT1_
		.amdhsa_group_segment_fixed_size 0
		.amdhsa_private_segment_fixed_size 0
		.amdhsa_kernarg_size 144
		.amdhsa_user_sgpr_count 6
		.amdhsa_user_sgpr_private_segment_buffer 1
		.amdhsa_user_sgpr_dispatch_ptr 0
		.amdhsa_user_sgpr_queue_ptr 0
		.amdhsa_user_sgpr_kernarg_segment_ptr 1
		.amdhsa_user_sgpr_dispatch_id 0
		.amdhsa_user_sgpr_flat_scratch_init 0
		.amdhsa_user_sgpr_kernarg_preload_length 0
		.amdhsa_user_sgpr_kernarg_preload_offset 0
		.amdhsa_user_sgpr_private_segment_size 0
		.amdhsa_uses_dynamic_stack 0
		.amdhsa_system_sgpr_private_segment_wavefront_offset 0
		.amdhsa_system_sgpr_workgroup_id_x 1
		.amdhsa_system_sgpr_workgroup_id_y 0
		.amdhsa_system_sgpr_workgroup_id_z 0
		.amdhsa_system_sgpr_workgroup_info 0
		.amdhsa_system_vgpr_workitem_id 0
		.amdhsa_next_free_vgpr 1
		.amdhsa_next_free_sgpr 0
		.amdhsa_accum_offset 4
		.amdhsa_reserve_vcc 0
		.amdhsa_reserve_flat_scratch 0
		.amdhsa_float_round_mode_32 0
		.amdhsa_float_round_mode_16_64 0
		.amdhsa_float_denorm_mode_32 3
		.amdhsa_float_denorm_mode_16_64 3
		.amdhsa_dx10_clamp 1
		.amdhsa_ieee_mode 1
		.amdhsa_fp16_overflow 0
		.amdhsa_tg_split 0
		.amdhsa_exception_fp_ieee_invalid_op 0
		.amdhsa_exception_fp_denorm_src 0
		.amdhsa_exception_fp_ieee_div_zero 0
		.amdhsa_exception_fp_ieee_overflow 0
		.amdhsa_exception_fp_ieee_underflow 0
		.amdhsa_exception_fp_ieee_inexact 0
		.amdhsa_exception_int_div_zero 0
	.end_amdhsa_kernel
	.section	.text._ZN7rocprim17ROCPRIM_400000_NS6detail17trampoline_kernelINS0_14default_configENS1_25partition_config_selectorILNS1_17partition_subalgoE1EjNS0_10empty_typeEbEEZZNS1_14partition_implILS5_1ELb0ES3_jN6thrust23THRUST_200600_302600_NS6detail15normal_iteratorINSA_10device_ptrIjEEEEPS6_NSA_18transform_iteratorI7is_evenIjESF_NSA_11use_defaultESK_EENS0_5tupleIJNSA_16discard_iteratorISK_EESO_EEENSM_IJSG_SG_EEES6_PlJS6_EEE10hipError_tPvRmT3_T4_T5_T6_T7_T9_mT8_P12ihipStream_tbDpT10_ENKUlT_T0_E_clISt17integral_constantIbLb0EES1B_EEDaS16_S17_EUlS16_E_NS1_11comp_targetILNS1_3genE8ELNS1_11target_archE1030ELNS1_3gpuE2ELNS1_3repE0EEENS1_30default_config_static_selectorELNS0_4arch9wavefront6targetE1EEEvT1_,"axG",@progbits,_ZN7rocprim17ROCPRIM_400000_NS6detail17trampoline_kernelINS0_14default_configENS1_25partition_config_selectorILNS1_17partition_subalgoE1EjNS0_10empty_typeEbEEZZNS1_14partition_implILS5_1ELb0ES3_jN6thrust23THRUST_200600_302600_NS6detail15normal_iteratorINSA_10device_ptrIjEEEEPS6_NSA_18transform_iteratorI7is_evenIjESF_NSA_11use_defaultESK_EENS0_5tupleIJNSA_16discard_iteratorISK_EESO_EEENSM_IJSG_SG_EEES6_PlJS6_EEE10hipError_tPvRmT3_T4_T5_T6_T7_T9_mT8_P12ihipStream_tbDpT10_ENKUlT_T0_E_clISt17integral_constantIbLb0EES1B_EEDaS16_S17_EUlS16_E_NS1_11comp_targetILNS1_3genE8ELNS1_11target_archE1030ELNS1_3gpuE2ELNS1_3repE0EEENS1_30default_config_static_selectorELNS0_4arch9wavefront6targetE1EEEvT1_,comdat
.Lfunc_end2978:
	.size	_ZN7rocprim17ROCPRIM_400000_NS6detail17trampoline_kernelINS0_14default_configENS1_25partition_config_selectorILNS1_17partition_subalgoE1EjNS0_10empty_typeEbEEZZNS1_14partition_implILS5_1ELb0ES3_jN6thrust23THRUST_200600_302600_NS6detail15normal_iteratorINSA_10device_ptrIjEEEEPS6_NSA_18transform_iteratorI7is_evenIjESF_NSA_11use_defaultESK_EENS0_5tupleIJNSA_16discard_iteratorISK_EESO_EEENSM_IJSG_SG_EEES6_PlJS6_EEE10hipError_tPvRmT3_T4_T5_T6_T7_T9_mT8_P12ihipStream_tbDpT10_ENKUlT_T0_E_clISt17integral_constantIbLb0EES1B_EEDaS16_S17_EUlS16_E_NS1_11comp_targetILNS1_3genE8ELNS1_11target_archE1030ELNS1_3gpuE2ELNS1_3repE0EEENS1_30default_config_static_selectorELNS0_4arch9wavefront6targetE1EEEvT1_, .Lfunc_end2978-_ZN7rocprim17ROCPRIM_400000_NS6detail17trampoline_kernelINS0_14default_configENS1_25partition_config_selectorILNS1_17partition_subalgoE1EjNS0_10empty_typeEbEEZZNS1_14partition_implILS5_1ELb0ES3_jN6thrust23THRUST_200600_302600_NS6detail15normal_iteratorINSA_10device_ptrIjEEEEPS6_NSA_18transform_iteratorI7is_evenIjESF_NSA_11use_defaultESK_EENS0_5tupleIJNSA_16discard_iteratorISK_EESO_EEENSM_IJSG_SG_EEES6_PlJS6_EEE10hipError_tPvRmT3_T4_T5_T6_T7_T9_mT8_P12ihipStream_tbDpT10_ENKUlT_T0_E_clISt17integral_constantIbLb0EES1B_EEDaS16_S17_EUlS16_E_NS1_11comp_targetILNS1_3genE8ELNS1_11target_archE1030ELNS1_3gpuE2ELNS1_3repE0EEENS1_30default_config_static_selectorELNS0_4arch9wavefront6targetE1EEEvT1_
                                        ; -- End function
	.section	.AMDGPU.csdata,"",@progbits
; Kernel info:
; codeLenInByte = 0
; NumSgprs: 4
; NumVgprs: 0
; NumAgprs: 0
; TotalNumVgprs: 0
; ScratchSize: 0
; MemoryBound: 0
; FloatMode: 240
; IeeeMode: 1
; LDSByteSize: 0 bytes/workgroup (compile time only)
; SGPRBlocks: 0
; VGPRBlocks: 0
; NumSGPRsForWavesPerEU: 4
; NumVGPRsForWavesPerEU: 1
; AccumOffset: 4
; Occupancy: 8
; WaveLimiterHint : 0
; COMPUTE_PGM_RSRC2:SCRATCH_EN: 0
; COMPUTE_PGM_RSRC2:USER_SGPR: 6
; COMPUTE_PGM_RSRC2:TRAP_HANDLER: 0
; COMPUTE_PGM_RSRC2:TGID_X_EN: 1
; COMPUTE_PGM_RSRC2:TGID_Y_EN: 0
; COMPUTE_PGM_RSRC2:TGID_Z_EN: 0
; COMPUTE_PGM_RSRC2:TIDIG_COMP_CNT: 0
; COMPUTE_PGM_RSRC3_GFX90A:ACCUM_OFFSET: 0
; COMPUTE_PGM_RSRC3_GFX90A:TG_SPLIT: 0
	.section	.text._ZN7rocprim17ROCPRIM_400000_NS6detail17trampoline_kernelINS0_14default_configENS1_25partition_config_selectorILNS1_17partition_subalgoE1EjNS0_10empty_typeEbEEZZNS1_14partition_implILS5_1ELb0ES3_jN6thrust23THRUST_200600_302600_NS6detail15normal_iteratorINSA_10device_ptrIjEEEEPS6_NSA_18transform_iteratorI7is_evenIjESF_NSA_11use_defaultESK_EENS0_5tupleIJNSA_16discard_iteratorISK_EESO_EEENSM_IJSG_SG_EEES6_PlJS6_EEE10hipError_tPvRmT3_T4_T5_T6_T7_T9_mT8_P12ihipStream_tbDpT10_ENKUlT_T0_E_clISt17integral_constantIbLb1EES1B_EEDaS16_S17_EUlS16_E_NS1_11comp_targetILNS1_3genE0ELNS1_11target_archE4294967295ELNS1_3gpuE0ELNS1_3repE0EEENS1_30default_config_static_selectorELNS0_4arch9wavefront6targetE1EEEvT1_,"axG",@progbits,_ZN7rocprim17ROCPRIM_400000_NS6detail17trampoline_kernelINS0_14default_configENS1_25partition_config_selectorILNS1_17partition_subalgoE1EjNS0_10empty_typeEbEEZZNS1_14partition_implILS5_1ELb0ES3_jN6thrust23THRUST_200600_302600_NS6detail15normal_iteratorINSA_10device_ptrIjEEEEPS6_NSA_18transform_iteratorI7is_evenIjESF_NSA_11use_defaultESK_EENS0_5tupleIJNSA_16discard_iteratorISK_EESO_EEENSM_IJSG_SG_EEES6_PlJS6_EEE10hipError_tPvRmT3_T4_T5_T6_T7_T9_mT8_P12ihipStream_tbDpT10_ENKUlT_T0_E_clISt17integral_constantIbLb1EES1B_EEDaS16_S17_EUlS16_E_NS1_11comp_targetILNS1_3genE0ELNS1_11target_archE4294967295ELNS1_3gpuE0ELNS1_3repE0EEENS1_30default_config_static_selectorELNS0_4arch9wavefront6targetE1EEEvT1_,comdat
	.protected	_ZN7rocprim17ROCPRIM_400000_NS6detail17trampoline_kernelINS0_14default_configENS1_25partition_config_selectorILNS1_17partition_subalgoE1EjNS0_10empty_typeEbEEZZNS1_14partition_implILS5_1ELb0ES3_jN6thrust23THRUST_200600_302600_NS6detail15normal_iteratorINSA_10device_ptrIjEEEEPS6_NSA_18transform_iteratorI7is_evenIjESF_NSA_11use_defaultESK_EENS0_5tupleIJNSA_16discard_iteratorISK_EESO_EEENSM_IJSG_SG_EEES6_PlJS6_EEE10hipError_tPvRmT3_T4_T5_T6_T7_T9_mT8_P12ihipStream_tbDpT10_ENKUlT_T0_E_clISt17integral_constantIbLb1EES1B_EEDaS16_S17_EUlS16_E_NS1_11comp_targetILNS1_3genE0ELNS1_11target_archE4294967295ELNS1_3gpuE0ELNS1_3repE0EEENS1_30default_config_static_selectorELNS0_4arch9wavefront6targetE1EEEvT1_ ; -- Begin function _ZN7rocprim17ROCPRIM_400000_NS6detail17trampoline_kernelINS0_14default_configENS1_25partition_config_selectorILNS1_17partition_subalgoE1EjNS0_10empty_typeEbEEZZNS1_14partition_implILS5_1ELb0ES3_jN6thrust23THRUST_200600_302600_NS6detail15normal_iteratorINSA_10device_ptrIjEEEEPS6_NSA_18transform_iteratorI7is_evenIjESF_NSA_11use_defaultESK_EENS0_5tupleIJNSA_16discard_iteratorISK_EESO_EEENSM_IJSG_SG_EEES6_PlJS6_EEE10hipError_tPvRmT3_T4_T5_T6_T7_T9_mT8_P12ihipStream_tbDpT10_ENKUlT_T0_E_clISt17integral_constantIbLb1EES1B_EEDaS16_S17_EUlS16_E_NS1_11comp_targetILNS1_3genE0ELNS1_11target_archE4294967295ELNS1_3gpuE0ELNS1_3repE0EEENS1_30default_config_static_selectorELNS0_4arch9wavefront6targetE1EEEvT1_
	.globl	_ZN7rocprim17ROCPRIM_400000_NS6detail17trampoline_kernelINS0_14default_configENS1_25partition_config_selectorILNS1_17partition_subalgoE1EjNS0_10empty_typeEbEEZZNS1_14partition_implILS5_1ELb0ES3_jN6thrust23THRUST_200600_302600_NS6detail15normal_iteratorINSA_10device_ptrIjEEEEPS6_NSA_18transform_iteratorI7is_evenIjESF_NSA_11use_defaultESK_EENS0_5tupleIJNSA_16discard_iteratorISK_EESO_EEENSM_IJSG_SG_EEES6_PlJS6_EEE10hipError_tPvRmT3_T4_T5_T6_T7_T9_mT8_P12ihipStream_tbDpT10_ENKUlT_T0_E_clISt17integral_constantIbLb1EES1B_EEDaS16_S17_EUlS16_E_NS1_11comp_targetILNS1_3genE0ELNS1_11target_archE4294967295ELNS1_3gpuE0ELNS1_3repE0EEENS1_30default_config_static_selectorELNS0_4arch9wavefront6targetE1EEEvT1_
	.p2align	8
	.type	_ZN7rocprim17ROCPRIM_400000_NS6detail17trampoline_kernelINS0_14default_configENS1_25partition_config_selectorILNS1_17partition_subalgoE1EjNS0_10empty_typeEbEEZZNS1_14partition_implILS5_1ELb0ES3_jN6thrust23THRUST_200600_302600_NS6detail15normal_iteratorINSA_10device_ptrIjEEEEPS6_NSA_18transform_iteratorI7is_evenIjESF_NSA_11use_defaultESK_EENS0_5tupleIJNSA_16discard_iteratorISK_EESO_EEENSM_IJSG_SG_EEES6_PlJS6_EEE10hipError_tPvRmT3_T4_T5_T6_T7_T9_mT8_P12ihipStream_tbDpT10_ENKUlT_T0_E_clISt17integral_constantIbLb1EES1B_EEDaS16_S17_EUlS16_E_NS1_11comp_targetILNS1_3genE0ELNS1_11target_archE4294967295ELNS1_3gpuE0ELNS1_3repE0EEENS1_30default_config_static_selectorELNS0_4arch9wavefront6targetE1EEEvT1_,@function
_ZN7rocprim17ROCPRIM_400000_NS6detail17trampoline_kernelINS0_14default_configENS1_25partition_config_selectorILNS1_17partition_subalgoE1EjNS0_10empty_typeEbEEZZNS1_14partition_implILS5_1ELb0ES3_jN6thrust23THRUST_200600_302600_NS6detail15normal_iteratorINSA_10device_ptrIjEEEEPS6_NSA_18transform_iteratorI7is_evenIjESF_NSA_11use_defaultESK_EENS0_5tupleIJNSA_16discard_iteratorISK_EESO_EEENSM_IJSG_SG_EEES6_PlJS6_EEE10hipError_tPvRmT3_T4_T5_T6_T7_T9_mT8_P12ihipStream_tbDpT10_ENKUlT_T0_E_clISt17integral_constantIbLb1EES1B_EEDaS16_S17_EUlS16_E_NS1_11comp_targetILNS1_3genE0ELNS1_11target_archE4294967295ELNS1_3gpuE0ELNS1_3repE0EEENS1_30default_config_static_selectorELNS0_4arch9wavefront6targetE1EEEvT1_: ; @_ZN7rocprim17ROCPRIM_400000_NS6detail17trampoline_kernelINS0_14default_configENS1_25partition_config_selectorILNS1_17partition_subalgoE1EjNS0_10empty_typeEbEEZZNS1_14partition_implILS5_1ELb0ES3_jN6thrust23THRUST_200600_302600_NS6detail15normal_iteratorINSA_10device_ptrIjEEEEPS6_NSA_18transform_iteratorI7is_evenIjESF_NSA_11use_defaultESK_EENS0_5tupleIJNSA_16discard_iteratorISK_EESO_EEENSM_IJSG_SG_EEES6_PlJS6_EEE10hipError_tPvRmT3_T4_T5_T6_T7_T9_mT8_P12ihipStream_tbDpT10_ENKUlT_T0_E_clISt17integral_constantIbLb1EES1B_EEDaS16_S17_EUlS16_E_NS1_11comp_targetILNS1_3genE0ELNS1_11target_archE4294967295ELNS1_3gpuE0ELNS1_3repE0EEENS1_30default_config_static_selectorELNS0_4arch9wavefront6targetE1EEEvT1_
; %bb.0:
	.section	.rodata,"a",@progbits
	.p2align	6, 0x0
	.amdhsa_kernel _ZN7rocprim17ROCPRIM_400000_NS6detail17trampoline_kernelINS0_14default_configENS1_25partition_config_selectorILNS1_17partition_subalgoE1EjNS0_10empty_typeEbEEZZNS1_14partition_implILS5_1ELb0ES3_jN6thrust23THRUST_200600_302600_NS6detail15normal_iteratorINSA_10device_ptrIjEEEEPS6_NSA_18transform_iteratorI7is_evenIjESF_NSA_11use_defaultESK_EENS0_5tupleIJNSA_16discard_iteratorISK_EESO_EEENSM_IJSG_SG_EEES6_PlJS6_EEE10hipError_tPvRmT3_T4_T5_T6_T7_T9_mT8_P12ihipStream_tbDpT10_ENKUlT_T0_E_clISt17integral_constantIbLb1EES1B_EEDaS16_S17_EUlS16_E_NS1_11comp_targetILNS1_3genE0ELNS1_11target_archE4294967295ELNS1_3gpuE0ELNS1_3repE0EEENS1_30default_config_static_selectorELNS0_4arch9wavefront6targetE1EEEvT1_
		.amdhsa_group_segment_fixed_size 0
		.amdhsa_private_segment_fixed_size 0
		.amdhsa_kernarg_size 160
		.amdhsa_user_sgpr_count 6
		.amdhsa_user_sgpr_private_segment_buffer 1
		.amdhsa_user_sgpr_dispatch_ptr 0
		.amdhsa_user_sgpr_queue_ptr 0
		.amdhsa_user_sgpr_kernarg_segment_ptr 1
		.amdhsa_user_sgpr_dispatch_id 0
		.amdhsa_user_sgpr_flat_scratch_init 0
		.amdhsa_user_sgpr_kernarg_preload_length 0
		.amdhsa_user_sgpr_kernarg_preload_offset 0
		.amdhsa_user_sgpr_private_segment_size 0
		.amdhsa_uses_dynamic_stack 0
		.amdhsa_system_sgpr_private_segment_wavefront_offset 0
		.amdhsa_system_sgpr_workgroup_id_x 1
		.amdhsa_system_sgpr_workgroup_id_y 0
		.amdhsa_system_sgpr_workgroup_id_z 0
		.amdhsa_system_sgpr_workgroup_info 0
		.amdhsa_system_vgpr_workitem_id 0
		.amdhsa_next_free_vgpr 1
		.amdhsa_next_free_sgpr 0
		.amdhsa_accum_offset 4
		.amdhsa_reserve_vcc 0
		.amdhsa_reserve_flat_scratch 0
		.amdhsa_float_round_mode_32 0
		.amdhsa_float_round_mode_16_64 0
		.amdhsa_float_denorm_mode_32 3
		.amdhsa_float_denorm_mode_16_64 3
		.amdhsa_dx10_clamp 1
		.amdhsa_ieee_mode 1
		.amdhsa_fp16_overflow 0
		.amdhsa_tg_split 0
		.amdhsa_exception_fp_ieee_invalid_op 0
		.amdhsa_exception_fp_denorm_src 0
		.amdhsa_exception_fp_ieee_div_zero 0
		.amdhsa_exception_fp_ieee_overflow 0
		.amdhsa_exception_fp_ieee_underflow 0
		.amdhsa_exception_fp_ieee_inexact 0
		.amdhsa_exception_int_div_zero 0
	.end_amdhsa_kernel
	.section	.text._ZN7rocprim17ROCPRIM_400000_NS6detail17trampoline_kernelINS0_14default_configENS1_25partition_config_selectorILNS1_17partition_subalgoE1EjNS0_10empty_typeEbEEZZNS1_14partition_implILS5_1ELb0ES3_jN6thrust23THRUST_200600_302600_NS6detail15normal_iteratorINSA_10device_ptrIjEEEEPS6_NSA_18transform_iteratorI7is_evenIjESF_NSA_11use_defaultESK_EENS0_5tupleIJNSA_16discard_iteratorISK_EESO_EEENSM_IJSG_SG_EEES6_PlJS6_EEE10hipError_tPvRmT3_T4_T5_T6_T7_T9_mT8_P12ihipStream_tbDpT10_ENKUlT_T0_E_clISt17integral_constantIbLb1EES1B_EEDaS16_S17_EUlS16_E_NS1_11comp_targetILNS1_3genE0ELNS1_11target_archE4294967295ELNS1_3gpuE0ELNS1_3repE0EEENS1_30default_config_static_selectorELNS0_4arch9wavefront6targetE1EEEvT1_,"axG",@progbits,_ZN7rocprim17ROCPRIM_400000_NS6detail17trampoline_kernelINS0_14default_configENS1_25partition_config_selectorILNS1_17partition_subalgoE1EjNS0_10empty_typeEbEEZZNS1_14partition_implILS5_1ELb0ES3_jN6thrust23THRUST_200600_302600_NS6detail15normal_iteratorINSA_10device_ptrIjEEEEPS6_NSA_18transform_iteratorI7is_evenIjESF_NSA_11use_defaultESK_EENS0_5tupleIJNSA_16discard_iteratorISK_EESO_EEENSM_IJSG_SG_EEES6_PlJS6_EEE10hipError_tPvRmT3_T4_T5_T6_T7_T9_mT8_P12ihipStream_tbDpT10_ENKUlT_T0_E_clISt17integral_constantIbLb1EES1B_EEDaS16_S17_EUlS16_E_NS1_11comp_targetILNS1_3genE0ELNS1_11target_archE4294967295ELNS1_3gpuE0ELNS1_3repE0EEENS1_30default_config_static_selectorELNS0_4arch9wavefront6targetE1EEEvT1_,comdat
.Lfunc_end2979:
	.size	_ZN7rocprim17ROCPRIM_400000_NS6detail17trampoline_kernelINS0_14default_configENS1_25partition_config_selectorILNS1_17partition_subalgoE1EjNS0_10empty_typeEbEEZZNS1_14partition_implILS5_1ELb0ES3_jN6thrust23THRUST_200600_302600_NS6detail15normal_iteratorINSA_10device_ptrIjEEEEPS6_NSA_18transform_iteratorI7is_evenIjESF_NSA_11use_defaultESK_EENS0_5tupleIJNSA_16discard_iteratorISK_EESO_EEENSM_IJSG_SG_EEES6_PlJS6_EEE10hipError_tPvRmT3_T4_T5_T6_T7_T9_mT8_P12ihipStream_tbDpT10_ENKUlT_T0_E_clISt17integral_constantIbLb1EES1B_EEDaS16_S17_EUlS16_E_NS1_11comp_targetILNS1_3genE0ELNS1_11target_archE4294967295ELNS1_3gpuE0ELNS1_3repE0EEENS1_30default_config_static_selectorELNS0_4arch9wavefront6targetE1EEEvT1_, .Lfunc_end2979-_ZN7rocprim17ROCPRIM_400000_NS6detail17trampoline_kernelINS0_14default_configENS1_25partition_config_selectorILNS1_17partition_subalgoE1EjNS0_10empty_typeEbEEZZNS1_14partition_implILS5_1ELb0ES3_jN6thrust23THRUST_200600_302600_NS6detail15normal_iteratorINSA_10device_ptrIjEEEEPS6_NSA_18transform_iteratorI7is_evenIjESF_NSA_11use_defaultESK_EENS0_5tupleIJNSA_16discard_iteratorISK_EESO_EEENSM_IJSG_SG_EEES6_PlJS6_EEE10hipError_tPvRmT3_T4_T5_T6_T7_T9_mT8_P12ihipStream_tbDpT10_ENKUlT_T0_E_clISt17integral_constantIbLb1EES1B_EEDaS16_S17_EUlS16_E_NS1_11comp_targetILNS1_3genE0ELNS1_11target_archE4294967295ELNS1_3gpuE0ELNS1_3repE0EEENS1_30default_config_static_selectorELNS0_4arch9wavefront6targetE1EEEvT1_
                                        ; -- End function
	.section	.AMDGPU.csdata,"",@progbits
; Kernel info:
; codeLenInByte = 0
; NumSgprs: 4
; NumVgprs: 0
; NumAgprs: 0
; TotalNumVgprs: 0
; ScratchSize: 0
; MemoryBound: 0
; FloatMode: 240
; IeeeMode: 1
; LDSByteSize: 0 bytes/workgroup (compile time only)
; SGPRBlocks: 0
; VGPRBlocks: 0
; NumSGPRsForWavesPerEU: 4
; NumVGPRsForWavesPerEU: 1
; AccumOffset: 4
; Occupancy: 8
; WaveLimiterHint : 0
; COMPUTE_PGM_RSRC2:SCRATCH_EN: 0
; COMPUTE_PGM_RSRC2:USER_SGPR: 6
; COMPUTE_PGM_RSRC2:TRAP_HANDLER: 0
; COMPUTE_PGM_RSRC2:TGID_X_EN: 1
; COMPUTE_PGM_RSRC2:TGID_Y_EN: 0
; COMPUTE_PGM_RSRC2:TGID_Z_EN: 0
; COMPUTE_PGM_RSRC2:TIDIG_COMP_CNT: 0
; COMPUTE_PGM_RSRC3_GFX90A:ACCUM_OFFSET: 0
; COMPUTE_PGM_RSRC3_GFX90A:TG_SPLIT: 0
	.section	.text._ZN7rocprim17ROCPRIM_400000_NS6detail17trampoline_kernelINS0_14default_configENS1_25partition_config_selectorILNS1_17partition_subalgoE1EjNS0_10empty_typeEbEEZZNS1_14partition_implILS5_1ELb0ES3_jN6thrust23THRUST_200600_302600_NS6detail15normal_iteratorINSA_10device_ptrIjEEEEPS6_NSA_18transform_iteratorI7is_evenIjESF_NSA_11use_defaultESK_EENS0_5tupleIJNSA_16discard_iteratorISK_EESO_EEENSM_IJSG_SG_EEES6_PlJS6_EEE10hipError_tPvRmT3_T4_T5_T6_T7_T9_mT8_P12ihipStream_tbDpT10_ENKUlT_T0_E_clISt17integral_constantIbLb1EES1B_EEDaS16_S17_EUlS16_E_NS1_11comp_targetILNS1_3genE5ELNS1_11target_archE942ELNS1_3gpuE9ELNS1_3repE0EEENS1_30default_config_static_selectorELNS0_4arch9wavefront6targetE1EEEvT1_,"axG",@progbits,_ZN7rocprim17ROCPRIM_400000_NS6detail17trampoline_kernelINS0_14default_configENS1_25partition_config_selectorILNS1_17partition_subalgoE1EjNS0_10empty_typeEbEEZZNS1_14partition_implILS5_1ELb0ES3_jN6thrust23THRUST_200600_302600_NS6detail15normal_iteratorINSA_10device_ptrIjEEEEPS6_NSA_18transform_iteratorI7is_evenIjESF_NSA_11use_defaultESK_EENS0_5tupleIJNSA_16discard_iteratorISK_EESO_EEENSM_IJSG_SG_EEES6_PlJS6_EEE10hipError_tPvRmT3_T4_T5_T6_T7_T9_mT8_P12ihipStream_tbDpT10_ENKUlT_T0_E_clISt17integral_constantIbLb1EES1B_EEDaS16_S17_EUlS16_E_NS1_11comp_targetILNS1_3genE5ELNS1_11target_archE942ELNS1_3gpuE9ELNS1_3repE0EEENS1_30default_config_static_selectorELNS0_4arch9wavefront6targetE1EEEvT1_,comdat
	.protected	_ZN7rocprim17ROCPRIM_400000_NS6detail17trampoline_kernelINS0_14default_configENS1_25partition_config_selectorILNS1_17partition_subalgoE1EjNS0_10empty_typeEbEEZZNS1_14partition_implILS5_1ELb0ES3_jN6thrust23THRUST_200600_302600_NS6detail15normal_iteratorINSA_10device_ptrIjEEEEPS6_NSA_18transform_iteratorI7is_evenIjESF_NSA_11use_defaultESK_EENS0_5tupleIJNSA_16discard_iteratorISK_EESO_EEENSM_IJSG_SG_EEES6_PlJS6_EEE10hipError_tPvRmT3_T4_T5_T6_T7_T9_mT8_P12ihipStream_tbDpT10_ENKUlT_T0_E_clISt17integral_constantIbLb1EES1B_EEDaS16_S17_EUlS16_E_NS1_11comp_targetILNS1_3genE5ELNS1_11target_archE942ELNS1_3gpuE9ELNS1_3repE0EEENS1_30default_config_static_selectorELNS0_4arch9wavefront6targetE1EEEvT1_ ; -- Begin function _ZN7rocprim17ROCPRIM_400000_NS6detail17trampoline_kernelINS0_14default_configENS1_25partition_config_selectorILNS1_17partition_subalgoE1EjNS0_10empty_typeEbEEZZNS1_14partition_implILS5_1ELb0ES3_jN6thrust23THRUST_200600_302600_NS6detail15normal_iteratorINSA_10device_ptrIjEEEEPS6_NSA_18transform_iteratorI7is_evenIjESF_NSA_11use_defaultESK_EENS0_5tupleIJNSA_16discard_iteratorISK_EESO_EEENSM_IJSG_SG_EEES6_PlJS6_EEE10hipError_tPvRmT3_T4_T5_T6_T7_T9_mT8_P12ihipStream_tbDpT10_ENKUlT_T0_E_clISt17integral_constantIbLb1EES1B_EEDaS16_S17_EUlS16_E_NS1_11comp_targetILNS1_3genE5ELNS1_11target_archE942ELNS1_3gpuE9ELNS1_3repE0EEENS1_30default_config_static_selectorELNS0_4arch9wavefront6targetE1EEEvT1_
	.globl	_ZN7rocprim17ROCPRIM_400000_NS6detail17trampoline_kernelINS0_14default_configENS1_25partition_config_selectorILNS1_17partition_subalgoE1EjNS0_10empty_typeEbEEZZNS1_14partition_implILS5_1ELb0ES3_jN6thrust23THRUST_200600_302600_NS6detail15normal_iteratorINSA_10device_ptrIjEEEEPS6_NSA_18transform_iteratorI7is_evenIjESF_NSA_11use_defaultESK_EENS0_5tupleIJNSA_16discard_iteratorISK_EESO_EEENSM_IJSG_SG_EEES6_PlJS6_EEE10hipError_tPvRmT3_T4_T5_T6_T7_T9_mT8_P12ihipStream_tbDpT10_ENKUlT_T0_E_clISt17integral_constantIbLb1EES1B_EEDaS16_S17_EUlS16_E_NS1_11comp_targetILNS1_3genE5ELNS1_11target_archE942ELNS1_3gpuE9ELNS1_3repE0EEENS1_30default_config_static_selectorELNS0_4arch9wavefront6targetE1EEEvT1_
	.p2align	8
	.type	_ZN7rocprim17ROCPRIM_400000_NS6detail17trampoline_kernelINS0_14default_configENS1_25partition_config_selectorILNS1_17partition_subalgoE1EjNS0_10empty_typeEbEEZZNS1_14partition_implILS5_1ELb0ES3_jN6thrust23THRUST_200600_302600_NS6detail15normal_iteratorINSA_10device_ptrIjEEEEPS6_NSA_18transform_iteratorI7is_evenIjESF_NSA_11use_defaultESK_EENS0_5tupleIJNSA_16discard_iteratorISK_EESO_EEENSM_IJSG_SG_EEES6_PlJS6_EEE10hipError_tPvRmT3_T4_T5_T6_T7_T9_mT8_P12ihipStream_tbDpT10_ENKUlT_T0_E_clISt17integral_constantIbLb1EES1B_EEDaS16_S17_EUlS16_E_NS1_11comp_targetILNS1_3genE5ELNS1_11target_archE942ELNS1_3gpuE9ELNS1_3repE0EEENS1_30default_config_static_selectorELNS0_4arch9wavefront6targetE1EEEvT1_,@function
_ZN7rocprim17ROCPRIM_400000_NS6detail17trampoline_kernelINS0_14default_configENS1_25partition_config_selectorILNS1_17partition_subalgoE1EjNS0_10empty_typeEbEEZZNS1_14partition_implILS5_1ELb0ES3_jN6thrust23THRUST_200600_302600_NS6detail15normal_iteratorINSA_10device_ptrIjEEEEPS6_NSA_18transform_iteratorI7is_evenIjESF_NSA_11use_defaultESK_EENS0_5tupleIJNSA_16discard_iteratorISK_EESO_EEENSM_IJSG_SG_EEES6_PlJS6_EEE10hipError_tPvRmT3_T4_T5_T6_T7_T9_mT8_P12ihipStream_tbDpT10_ENKUlT_T0_E_clISt17integral_constantIbLb1EES1B_EEDaS16_S17_EUlS16_E_NS1_11comp_targetILNS1_3genE5ELNS1_11target_archE942ELNS1_3gpuE9ELNS1_3repE0EEENS1_30default_config_static_selectorELNS0_4arch9wavefront6targetE1EEEvT1_: ; @_ZN7rocprim17ROCPRIM_400000_NS6detail17trampoline_kernelINS0_14default_configENS1_25partition_config_selectorILNS1_17partition_subalgoE1EjNS0_10empty_typeEbEEZZNS1_14partition_implILS5_1ELb0ES3_jN6thrust23THRUST_200600_302600_NS6detail15normal_iteratorINSA_10device_ptrIjEEEEPS6_NSA_18transform_iteratorI7is_evenIjESF_NSA_11use_defaultESK_EENS0_5tupleIJNSA_16discard_iteratorISK_EESO_EEENSM_IJSG_SG_EEES6_PlJS6_EEE10hipError_tPvRmT3_T4_T5_T6_T7_T9_mT8_P12ihipStream_tbDpT10_ENKUlT_T0_E_clISt17integral_constantIbLb1EES1B_EEDaS16_S17_EUlS16_E_NS1_11comp_targetILNS1_3genE5ELNS1_11target_archE942ELNS1_3gpuE9ELNS1_3repE0EEENS1_30default_config_static_selectorELNS0_4arch9wavefront6targetE1EEEvT1_
; %bb.0:
	.section	.rodata,"a",@progbits
	.p2align	6, 0x0
	.amdhsa_kernel _ZN7rocprim17ROCPRIM_400000_NS6detail17trampoline_kernelINS0_14default_configENS1_25partition_config_selectorILNS1_17partition_subalgoE1EjNS0_10empty_typeEbEEZZNS1_14partition_implILS5_1ELb0ES3_jN6thrust23THRUST_200600_302600_NS6detail15normal_iteratorINSA_10device_ptrIjEEEEPS6_NSA_18transform_iteratorI7is_evenIjESF_NSA_11use_defaultESK_EENS0_5tupleIJNSA_16discard_iteratorISK_EESO_EEENSM_IJSG_SG_EEES6_PlJS6_EEE10hipError_tPvRmT3_T4_T5_T6_T7_T9_mT8_P12ihipStream_tbDpT10_ENKUlT_T0_E_clISt17integral_constantIbLb1EES1B_EEDaS16_S17_EUlS16_E_NS1_11comp_targetILNS1_3genE5ELNS1_11target_archE942ELNS1_3gpuE9ELNS1_3repE0EEENS1_30default_config_static_selectorELNS0_4arch9wavefront6targetE1EEEvT1_
		.amdhsa_group_segment_fixed_size 0
		.amdhsa_private_segment_fixed_size 0
		.amdhsa_kernarg_size 160
		.amdhsa_user_sgpr_count 6
		.amdhsa_user_sgpr_private_segment_buffer 1
		.amdhsa_user_sgpr_dispatch_ptr 0
		.amdhsa_user_sgpr_queue_ptr 0
		.amdhsa_user_sgpr_kernarg_segment_ptr 1
		.amdhsa_user_sgpr_dispatch_id 0
		.amdhsa_user_sgpr_flat_scratch_init 0
		.amdhsa_user_sgpr_kernarg_preload_length 0
		.amdhsa_user_sgpr_kernarg_preload_offset 0
		.amdhsa_user_sgpr_private_segment_size 0
		.amdhsa_uses_dynamic_stack 0
		.amdhsa_system_sgpr_private_segment_wavefront_offset 0
		.amdhsa_system_sgpr_workgroup_id_x 1
		.amdhsa_system_sgpr_workgroup_id_y 0
		.amdhsa_system_sgpr_workgroup_id_z 0
		.amdhsa_system_sgpr_workgroup_info 0
		.amdhsa_system_vgpr_workitem_id 0
		.amdhsa_next_free_vgpr 1
		.amdhsa_next_free_sgpr 0
		.amdhsa_accum_offset 4
		.amdhsa_reserve_vcc 0
		.amdhsa_reserve_flat_scratch 0
		.amdhsa_float_round_mode_32 0
		.amdhsa_float_round_mode_16_64 0
		.amdhsa_float_denorm_mode_32 3
		.amdhsa_float_denorm_mode_16_64 3
		.amdhsa_dx10_clamp 1
		.amdhsa_ieee_mode 1
		.amdhsa_fp16_overflow 0
		.amdhsa_tg_split 0
		.amdhsa_exception_fp_ieee_invalid_op 0
		.amdhsa_exception_fp_denorm_src 0
		.amdhsa_exception_fp_ieee_div_zero 0
		.amdhsa_exception_fp_ieee_overflow 0
		.amdhsa_exception_fp_ieee_underflow 0
		.amdhsa_exception_fp_ieee_inexact 0
		.amdhsa_exception_int_div_zero 0
	.end_amdhsa_kernel
	.section	.text._ZN7rocprim17ROCPRIM_400000_NS6detail17trampoline_kernelINS0_14default_configENS1_25partition_config_selectorILNS1_17partition_subalgoE1EjNS0_10empty_typeEbEEZZNS1_14partition_implILS5_1ELb0ES3_jN6thrust23THRUST_200600_302600_NS6detail15normal_iteratorINSA_10device_ptrIjEEEEPS6_NSA_18transform_iteratorI7is_evenIjESF_NSA_11use_defaultESK_EENS0_5tupleIJNSA_16discard_iteratorISK_EESO_EEENSM_IJSG_SG_EEES6_PlJS6_EEE10hipError_tPvRmT3_T4_T5_T6_T7_T9_mT8_P12ihipStream_tbDpT10_ENKUlT_T0_E_clISt17integral_constantIbLb1EES1B_EEDaS16_S17_EUlS16_E_NS1_11comp_targetILNS1_3genE5ELNS1_11target_archE942ELNS1_3gpuE9ELNS1_3repE0EEENS1_30default_config_static_selectorELNS0_4arch9wavefront6targetE1EEEvT1_,"axG",@progbits,_ZN7rocprim17ROCPRIM_400000_NS6detail17trampoline_kernelINS0_14default_configENS1_25partition_config_selectorILNS1_17partition_subalgoE1EjNS0_10empty_typeEbEEZZNS1_14partition_implILS5_1ELb0ES3_jN6thrust23THRUST_200600_302600_NS6detail15normal_iteratorINSA_10device_ptrIjEEEEPS6_NSA_18transform_iteratorI7is_evenIjESF_NSA_11use_defaultESK_EENS0_5tupleIJNSA_16discard_iteratorISK_EESO_EEENSM_IJSG_SG_EEES6_PlJS6_EEE10hipError_tPvRmT3_T4_T5_T6_T7_T9_mT8_P12ihipStream_tbDpT10_ENKUlT_T0_E_clISt17integral_constantIbLb1EES1B_EEDaS16_S17_EUlS16_E_NS1_11comp_targetILNS1_3genE5ELNS1_11target_archE942ELNS1_3gpuE9ELNS1_3repE0EEENS1_30default_config_static_selectorELNS0_4arch9wavefront6targetE1EEEvT1_,comdat
.Lfunc_end2980:
	.size	_ZN7rocprim17ROCPRIM_400000_NS6detail17trampoline_kernelINS0_14default_configENS1_25partition_config_selectorILNS1_17partition_subalgoE1EjNS0_10empty_typeEbEEZZNS1_14partition_implILS5_1ELb0ES3_jN6thrust23THRUST_200600_302600_NS6detail15normal_iteratorINSA_10device_ptrIjEEEEPS6_NSA_18transform_iteratorI7is_evenIjESF_NSA_11use_defaultESK_EENS0_5tupleIJNSA_16discard_iteratorISK_EESO_EEENSM_IJSG_SG_EEES6_PlJS6_EEE10hipError_tPvRmT3_T4_T5_T6_T7_T9_mT8_P12ihipStream_tbDpT10_ENKUlT_T0_E_clISt17integral_constantIbLb1EES1B_EEDaS16_S17_EUlS16_E_NS1_11comp_targetILNS1_3genE5ELNS1_11target_archE942ELNS1_3gpuE9ELNS1_3repE0EEENS1_30default_config_static_selectorELNS0_4arch9wavefront6targetE1EEEvT1_, .Lfunc_end2980-_ZN7rocprim17ROCPRIM_400000_NS6detail17trampoline_kernelINS0_14default_configENS1_25partition_config_selectorILNS1_17partition_subalgoE1EjNS0_10empty_typeEbEEZZNS1_14partition_implILS5_1ELb0ES3_jN6thrust23THRUST_200600_302600_NS6detail15normal_iteratorINSA_10device_ptrIjEEEEPS6_NSA_18transform_iteratorI7is_evenIjESF_NSA_11use_defaultESK_EENS0_5tupleIJNSA_16discard_iteratorISK_EESO_EEENSM_IJSG_SG_EEES6_PlJS6_EEE10hipError_tPvRmT3_T4_T5_T6_T7_T9_mT8_P12ihipStream_tbDpT10_ENKUlT_T0_E_clISt17integral_constantIbLb1EES1B_EEDaS16_S17_EUlS16_E_NS1_11comp_targetILNS1_3genE5ELNS1_11target_archE942ELNS1_3gpuE9ELNS1_3repE0EEENS1_30default_config_static_selectorELNS0_4arch9wavefront6targetE1EEEvT1_
                                        ; -- End function
	.section	.AMDGPU.csdata,"",@progbits
; Kernel info:
; codeLenInByte = 0
; NumSgprs: 4
; NumVgprs: 0
; NumAgprs: 0
; TotalNumVgprs: 0
; ScratchSize: 0
; MemoryBound: 0
; FloatMode: 240
; IeeeMode: 1
; LDSByteSize: 0 bytes/workgroup (compile time only)
; SGPRBlocks: 0
; VGPRBlocks: 0
; NumSGPRsForWavesPerEU: 4
; NumVGPRsForWavesPerEU: 1
; AccumOffset: 4
; Occupancy: 8
; WaveLimiterHint : 0
; COMPUTE_PGM_RSRC2:SCRATCH_EN: 0
; COMPUTE_PGM_RSRC2:USER_SGPR: 6
; COMPUTE_PGM_RSRC2:TRAP_HANDLER: 0
; COMPUTE_PGM_RSRC2:TGID_X_EN: 1
; COMPUTE_PGM_RSRC2:TGID_Y_EN: 0
; COMPUTE_PGM_RSRC2:TGID_Z_EN: 0
; COMPUTE_PGM_RSRC2:TIDIG_COMP_CNT: 0
; COMPUTE_PGM_RSRC3_GFX90A:ACCUM_OFFSET: 0
; COMPUTE_PGM_RSRC3_GFX90A:TG_SPLIT: 0
	.section	.text._ZN7rocprim17ROCPRIM_400000_NS6detail17trampoline_kernelINS0_14default_configENS1_25partition_config_selectorILNS1_17partition_subalgoE1EjNS0_10empty_typeEbEEZZNS1_14partition_implILS5_1ELb0ES3_jN6thrust23THRUST_200600_302600_NS6detail15normal_iteratorINSA_10device_ptrIjEEEEPS6_NSA_18transform_iteratorI7is_evenIjESF_NSA_11use_defaultESK_EENS0_5tupleIJNSA_16discard_iteratorISK_EESO_EEENSM_IJSG_SG_EEES6_PlJS6_EEE10hipError_tPvRmT3_T4_T5_T6_T7_T9_mT8_P12ihipStream_tbDpT10_ENKUlT_T0_E_clISt17integral_constantIbLb1EES1B_EEDaS16_S17_EUlS16_E_NS1_11comp_targetILNS1_3genE4ELNS1_11target_archE910ELNS1_3gpuE8ELNS1_3repE0EEENS1_30default_config_static_selectorELNS0_4arch9wavefront6targetE1EEEvT1_,"axG",@progbits,_ZN7rocprim17ROCPRIM_400000_NS6detail17trampoline_kernelINS0_14default_configENS1_25partition_config_selectorILNS1_17partition_subalgoE1EjNS0_10empty_typeEbEEZZNS1_14partition_implILS5_1ELb0ES3_jN6thrust23THRUST_200600_302600_NS6detail15normal_iteratorINSA_10device_ptrIjEEEEPS6_NSA_18transform_iteratorI7is_evenIjESF_NSA_11use_defaultESK_EENS0_5tupleIJNSA_16discard_iteratorISK_EESO_EEENSM_IJSG_SG_EEES6_PlJS6_EEE10hipError_tPvRmT3_T4_T5_T6_T7_T9_mT8_P12ihipStream_tbDpT10_ENKUlT_T0_E_clISt17integral_constantIbLb1EES1B_EEDaS16_S17_EUlS16_E_NS1_11comp_targetILNS1_3genE4ELNS1_11target_archE910ELNS1_3gpuE8ELNS1_3repE0EEENS1_30default_config_static_selectorELNS0_4arch9wavefront6targetE1EEEvT1_,comdat
	.protected	_ZN7rocprim17ROCPRIM_400000_NS6detail17trampoline_kernelINS0_14default_configENS1_25partition_config_selectorILNS1_17partition_subalgoE1EjNS0_10empty_typeEbEEZZNS1_14partition_implILS5_1ELb0ES3_jN6thrust23THRUST_200600_302600_NS6detail15normal_iteratorINSA_10device_ptrIjEEEEPS6_NSA_18transform_iteratorI7is_evenIjESF_NSA_11use_defaultESK_EENS0_5tupleIJNSA_16discard_iteratorISK_EESO_EEENSM_IJSG_SG_EEES6_PlJS6_EEE10hipError_tPvRmT3_T4_T5_T6_T7_T9_mT8_P12ihipStream_tbDpT10_ENKUlT_T0_E_clISt17integral_constantIbLb1EES1B_EEDaS16_S17_EUlS16_E_NS1_11comp_targetILNS1_3genE4ELNS1_11target_archE910ELNS1_3gpuE8ELNS1_3repE0EEENS1_30default_config_static_selectorELNS0_4arch9wavefront6targetE1EEEvT1_ ; -- Begin function _ZN7rocprim17ROCPRIM_400000_NS6detail17trampoline_kernelINS0_14default_configENS1_25partition_config_selectorILNS1_17partition_subalgoE1EjNS0_10empty_typeEbEEZZNS1_14partition_implILS5_1ELb0ES3_jN6thrust23THRUST_200600_302600_NS6detail15normal_iteratorINSA_10device_ptrIjEEEEPS6_NSA_18transform_iteratorI7is_evenIjESF_NSA_11use_defaultESK_EENS0_5tupleIJNSA_16discard_iteratorISK_EESO_EEENSM_IJSG_SG_EEES6_PlJS6_EEE10hipError_tPvRmT3_T4_T5_T6_T7_T9_mT8_P12ihipStream_tbDpT10_ENKUlT_T0_E_clISt17integral_constantIbLb1EES1B_EEDaS16_S17_EUlS16_E_NS1_11comp_targetILNS1_3genE4ELNS1_11target_archE910ELNS1_3gpuE8ELNS1_3repE0EEENS1_30default_config_static_selectorELNS0_4arch9wavefront6targetE1EEEvT1_
	.globl	_ZN7rocprim17ROCPRIM_400000_NS6detail17trampoline_kernelINS0_14default_configENS1_25partition_config_selectorILNS1_17partition_subalgoE1EjNS0_10empty_typeEbEEZZNS1_14partition_implILS5_1ELb0ES3_jN6thrust23THRUST_200600_302600_NS6detail15normal_iteratorINSA_10device_ptrIjEEEEPS6_NSA_18transform_iteratorI7is_evenIjESF_NSA_11use_defaultESK_EENS0_5tupleIJNSA_16discard_iteratorISK_EESO_EEENSM_IJSG_SG_EEES6_PlJS6_EEE10hipError_tPvRmT3_T4_T5_T6_T7_T9_mT8_P12ihipStream_tbDpT10_ENKUlT_T0_E_clISt17integral_constantIbLb1EES1B_EEDaS16_S17_EUlS16_E_NS1_11comp_targetILNS1_3genE4ELNS1_11target_archE910ELNS1_3gpuE8ELNS1_3repE0EEENS1_30default_config_static_selectorELNS0_4arch9wavefront6targetE1EEEvT1_
	.p2align	8
	.type	_ZN7rocprim17ROCPRIM_400000_NS6detail17trampoline_kernelINS0_14default_configENS1_25partition_config_selectorILNS1_17partition_subalgoE1EjNS0_10empty_typeEbEEZZNS1_14partition_implILS5_1ELb0ES3_jN6thrust23THRUST_200600_302600_NS6detail15normal_iteratorINSA_10device_ptrIjEEEEPS6_NSA_18transform_iteratorI7is_evenIjESF_NSA_11use_defaultESK_EENS0_5tupleIJNSA_16discard_iteratorISK_EESO_EEENSM_IJSG_SG_EEES6_PlJS6_EEE10hipError_tPvRmT3_T4_T5_T6_T7_T9_mT8_P12ihipStream_tbDpT10_ENKUlT_T0_E_clISt17integral_constantIbLb1EES1B_EEDaS16_S17_EUlS16_E_NS1_11comp_targetILNS1_3genE4ELNS1_11target_archE910ELNS1_3gpuE8ELNS1_3repE0EEENS1_30default_config_static_selectorELNS0_4arch9wavefront6targetE1EEEvT1_,@function
_ZN7rocprim17ROCPRIM_400000_NS6detail17trampoline_kernelINS0_14default_configENS1_25partition_config_selectorILNS1_17partition_subalgoE1EjNS0_10empty_typeEbEEZZNS1_14partition_implILS5_1ELb0ES3_jN6thrust23THRUST_200600_302600_NS6detail15normal_iteratorINSA_10device_ptrIjEEEEPS6_NSA_18transform_iteratorI7is_evenIjESF_NSA_11use_defaultESK_EENS0_5tupleIJNSA_16discard_iteratorISK_EESO_EEENSM_IJSG_SG_EEES6_PlJS6_EEE10hipError_tPvRmT3_T4_T5_T6_T7_T9_mT8_P12ihipStream_tbDpT10_ENKUlT_T0_E_clISt17integral_constantIbLb1EES1B_EEDaS16_S17_EUlS16_E_NS1_11comp_targetILNS1_3genE4ELNS1_11target_archE910ELNS1_3gpuE8ELNS1_3repE0EEENS1_30default_config_static_selectorELNS0_4arch9wavefront6targetE1EEEvT1_: ; @_ZN7rocprim17ROCPRIM_400000_NS6detail17trampoline_kernelINS0_14default_configENS1_25partition_config_selectorILNS1_17partition_subalgoE1EjNS0_10empty_typeEbEEZZNS1_14partition_implILS5_1ELb0ES3_jN6thrust23THRUST_200600_302600_NS6detail15normal_iteratorINSA_10device_ptrIjEEEEPS6_NSA_18transform_iteratorI7is_evenIjESF_NSA_11use_defaultESK_EENS0_5tupleIJNSA_16discard_iteratorISK_EESO_EEENSM_IJSG_SG_EEES6_PlJS6_EEE10hipError_tPvRmT3_T4_T5_T6_T7_T9_mT8_P12ihipStream_tbDpT10_ENKUlT_T0_E_clISt17integral_constantIbLb1EES1B_EEDaS16_S17_EUlS16_E_NS1_11comp_targetILNS1_3genE4ELNS1_11target_archE910ELNS1_3gpuE8ELNS1_3repE0EEENS1_30default_config_static_selectorELNS0_4arch9wavefront6targetE1EEEvT1_
; %bb.0:
	s_load_dwordx2 s[6:7], s[4:5], 0x20
	s_load_dwordx4 s[20:23], s[4:5], 0x60
	s_load_dwordx2 s[2:3], s[4:5], 0x70
	s_load_dwordx2 s[24:25], s[4:5], 0x80
	v_cmp_eq_u32_e64 s[0:1], 0, v0
	s_and_saveexec_b64 s[8:9], s[0:1]
	s_cbranch_execz .LBB2981_4
; %bb.1:
	s_mov_b64 s[12:13], exec
	v_mbcnt_lo_u32_b32 v1, s12, 0
	v_mbcnt_hi_u32_b32 v1, s13, v1
	v_cmp_eq_u32_e32 vcc, 0, v1
                                        ; implicit-def: $vgpr2
	s_and_saveexec_b64 s[10:11], vcc
	s_cbranch_execz .LBB2981_3
; %bb.2:
	s_load_dwordx2 s[14:15], s[4:5], 0x90
	s_bcnt1_i32_b64 s12, s[12:13]
	v_mov_b32_e32 v2, 0
	v_mov_b32_e32 v3, s12
	s_waitcnt lgkmcnt(0)
	global_atomic_add v2, v2, v3, s[14:15] glc
.LBB2981_3:
	s_or_b64 exec, exec, s[10:11]
	s_waitcnt vmcnt(0)
	v_readfirstlane_b32 s10, v2
	v_add_u32_e32 v1, s10, v1
	v_mov_b32_e32 v2, 0
	ds_write_b32 v2, v1
.LBB2981_4:
	s_or_b64 exec, exec, s[8:9]
	v_mov_b32_e32 v1, 0
	s_load_dwordx4 s[8:11], s[4:5], 0x8
	s_load_dword s12, s[4:5], 0x88
	s_waitcnt lgkmcnt(0)
	s_barrier
	ds_read_b32 v4, v1
	s_waitcnt lgkmcnt(0)
	s_barrier
	global_load_dwordx2 v[10:11], v1, s[22:23]
	s_lshl_b64 s[4:5], s[10:11], 2
	v_mov_b32_e32 v3, s3
	s_add_u32 s13, s8, s4
	s_mul_i32 s3, s12, 0x700
	s_addc_u32 s22, s9, s5
	s_add_i32 s9, s3, s10
	s_sub_i32 s14, s2, s9
	s_add_i32 s8, s12, -1
	s_addk_i32 s14, 0x700
	v_mov_b32_e32 v2, s2
	s_add_u32 s2, s10, s3
	v_readfirstlane_b32 s30, v4
	s_addc_u32 s3, s11, 0
	s_cmp_eq_u32 s30, s8
	s_cselect_b64 s[18:19], -1, 0
	s_cmp_lg_u32 s30, s8
	s_mul_i32 s16, s30, 0x700
	s_mov_b32 s17, 0
	v_cmp_lt_u64_e32 vcc, s[2:3], v[2:3]
	s_cselect_b64 s[2:3], -1, 0
	s_or_b64 s[8:9], vcc, s[2:3]
	s_lshl_b64 s[10:11], s[16:17], 2
	s_add_u32 s15, s13, s10
	s_addc_u32 s16, s22, s11
	s_mov_b64 s[2:3], -1
	s_and_b64 vcc, exec, s[8:9]
	s_cbranch_vccz .LBB2981_6
; %bb.5:
	v_lshlrev_b32_e32 v1, 2, v0
	v_mov_b32_e32 v3, s16
	v_add_co_u32_e32 v2, vcc, s15, v1
	v_addc_co_u32_e32 v3, vcc, 0, v3, vcc
	v_add_co_u32_e32 v4, vcc, 0x1000, v2
	v_addc_co_u32_e32 v5, vcc, 0, v3, vcc
	flat_load_dword v6, v[2:3]
	flat_load_dword v7, v[2:3] offset:1024
	flat_load_dword v8, v[2:3] offset:2048
	;; [unrolled: 1-line block ×3, first 2 shown]
	flat_load_dword v12, v[4:5]
	flat_load_dword v13, v[4:5] offset:1024
	flat_load_dword v14, v[4:5] offset:2048
	s_mov_b64 s[2:3], 0
	s_waitcnt vmcnt(0) lgkmcnt(0)
	ds_write2st64_b32 v1, v6, v7 offset1:4
	ds_write2st64_b32 v1, v8, v9 offset0:8 offset1:12
	ds_write2st64_b32 v1, v12, v13 offset0:16 offset1:20
	ds_write_b32 v1, v14 offset:6144
	s_waitcnt lgkmcnt(0)
	s_barrier
.LBB2981_6:
	s_andn2_b64 vcc, exec, s[2:3]
	v_cmp_gt_u32_e64 s[2:3], s14, v0
	s_cbranch_vccnz .LBB2981_22
; %bb.7:
                                        ; implicit-def: $vgpr2_vgpr3_vgpr4_vgpr5_vgpr6_vgpr7_vgpr8
	s_and_saveexec_b64 s[12:13], s[2:3]
	s_cbranch_execz .LBB2981_9
; %bb.8:
	v_lshlrev_b32_e32 v1, 2, v0
	v_mov_b32_e32 v3, s16
	v_add_co_u32_e32 v2, vcc, s15, v1
	v_addc_co_u32_e32 v3, vcc, 0, v3, vcc
	flat_load_dword v2, v[2:3]
.LBB2981_9:
	s_or_b64 exec, exec, s[12:13]
	v_or_b32_e32 v1, 0x100, v0
	v_cmp_gt_u32_e32 vcc, s14, v1
	s_and_saveexec_b64 s[2:3], vcc
	s_cbranch_execz .LBB2981_11
; %bb.10:
	v_lshlrev_b32_e32 v1, 2, v0
	v_mov_b32_e32 v3, s16
	v_add_co_u32_e32 v12, vcc, s15, v1
	v_addc_co_u32_e32 v13, vcc, 0, v3, vcc
	flat_load_dword v3, v[12:13] offset:1024
.LBB2981_11:
	s_or_b64 exec, exec, s[2:3]
	v_or_b32_e32 v1, 0x200, v0
	v_cmp_gt_u32_e32 vcc, s14, v1
	s_and_saveexec_b64 s[2:3], vcc
	s_cbranch_execz .LBB2981_13
; %bb.12:
	v_lshlrev_b32_e32 v1, 2, v0
	v_mov_b32_e32 v4, s16
	v_add_co_u32_e32 v12, vcc, s15, v1
	v_addc_co_u32_e32 v13, vcc, 0, v4, vcc
	flat_load_dword v4, v[12:13] offset:2048
.LBB2981_13:
	s_or_b64 exec, exec, s[2:3]
	v_or_b32_e32 v1, 0x300, v0
	v_cmp_gt_u32_e32 vcc, s14, v1
	s_and_saveexec_b64 s[2:3], vcc
	s_cbranch_execz .LBB2981_15
; %bb.14:
	v_lshlrev_b32_e32 v1, 2, v0
	v_mov_b32_e32 v5, s16
	v_add_co_u32_e32 v12, vcc, s15, v1
	v_addc_co_u32_e32 v13, vcc, 0, v5, vcc
	flat_load_dword v5, v[12:13] offset:3072
.LBB2981_15:
	s_or_b64 exec, exec, s[2:3]
	v_or_b32_e32 v1, 0x400, v0
	v_cmp_gt_u32_e32 vcc, s14, v1
	s_and_saveexec_b64 s[2:3], vcc
	s_cbranch_execz .LBB2981_17
; %bb.16:
	v_lshlrev_b32_e32 v1, 2, v1
	v_mov_b32_e32 v6, s16
	v_add_co_u32_e32 v12, vcc, s15, v1
	v_addc_co_u32_e32 v13, vcc, 0, v6, vcc
	flat_load_dword v6, v[12:13]
.LBB2981_17:
	s_or_b64 exec, exec, s[2:3]
	v_or_b32_e32 v1, 0x500, v0
	v_cmp_gt_u32_e32 vcc, s14, v1
	s_and_saveexec_b64 s[2:3], vcc
	s_cbranch_execz .LBB2981_19
; %bb.18:
	v_lshlrev_b32_e32 v1, 2, v1
	v_mov_b32_e32 v7, s16
	v_add_co_u32_e32 v12, vcc, s15, v1
	v_addc_co_u32_e32 v13, vcc, 0, v7, vcc
	flat_load_dword v7, v[12:13]
.LBB2981_19:
	;; [unrolled: 12-line block ×3, first 2 shown]
	s_or_b64 exec, exec, s[2:3]
	v_lshlrev_b32_e32 v1, 2, v0
	s_waitcnt vmcnt(0) lgkmcnt(0)
	ds_write2st64_b32 v1, v2, v3 offset1:4
	ds_write2st64_b32 v1, v4, v5 offset0:8 offset1:12
	ds_write2st64_b32 v1, v6, v7 offset0:16 offset1:20
	ds_write_b32 v1, v8 offset:6144
	s_waitcnt lgkmcnt(0)
	s_barrier
.LBB2981_22:
	v_mul_u32_u24_e32 v20, 7, v0
	v_lshlrev_b32_e32 v8, 2, v20
	ds_read2_b32 v[6:7], v8 offset1:1
	ds_read2_b32 v[4:5], v8 offset0:2 offset1:3
	ds_read2_b32 v[2:3], v8 offset0:4 offset1:5
	ds_read_b32 v1, v8 offset:24
	s_add_u32 s2, s6, s4
	s_addc_u32 s3, s7, s5
	s_add_u32 s2, s2, s10
	s_addc_u32 s3, s3, s11
	s_mov_b64 s[4:5], -1
	s_and_b64 vcc, exec, s[8:9]
	s_waitcnt lgkmcnt(0)
	s_barrier
	s_cbranch_vccz .LBB2981_24
; %bb.23:
	v_lshlrev_b32_e32 v9, 2, v0
	v_mov_b32_e32 v12, s3
	v_add_co_u32_e32 v13, vcc, s2, v9
	v_addc_co_u32_e32 v14, vcc, 0, v12, vcc
	s_movk_i32 s4, 0x1000
	v_add_co_u32_e32 v12, vcc, s4, v13
	v_addc_co_u32_e32 v13, vcc, 0, v14, vcc
	global_load_dword v15, v9, s[2:3]
	global_load_dword v16, v9, s[2:3] offset:1024
	global_load_dword v17, v9, s[2:3] offset:2048
	;; [unrolled: 1-line block ×3, first 2 shown]
	s_nop 0
	global_load_dword v9, v[12:13], off
	global_load_dword v14, v[12:13], off offset:1024
	global_load_dword v19, v[12:13], off offset:2048
	s_mov_b64 s[4:5], 0
	s_waitcnt vmcnt(6)
	v_xor_b32_e32 v12, -1, v15
	s_waitcnt vmcnt(5)
	v_xor_b32_e32 v13, -1, v16
	;; [unrolled: 2-line block ×3, first 2 shown]
	v_xor_b32_e32 v15, -1, v17
	v_xor_b32_e32 v16, -1, v18
	v_and_b32_e32 v12, 1, v12
	v_and_b32_e32 v13, 1, v13
	s_waitcnt vmcnt(1)
	v_xor_b32_e32 v14, -1, v14
	s_waitcnt vmcnt(0)
	v_xor_b32_e32 v17, -1, v19
	v_and_b32_e32 v9, 1, v9
	v_and_b32_e32 v15, 1, v15
	;; [unrolled: 1-line block ×3, first 2 shown]
	ds_write_b8 v0, v12
	ds_write_b8 v0, v13 offset:256
	ds_write_b8 v0, v15 offset:512
	;; [unrolled: 1-line block ×3, first 2 shown]
	v_and_b32_e32 v12, 1, v14
	v_and_b32_e32 v13, 1, v17
	ds_write_b8 v0, v9 offset:1024
	ds_write_b8 v0, v12 offset:1280
	;; [unrolled: 1-line block ×3, first 2 shown]
	s_waitcnt lgkmcnt(0)
	s_barrier
.LBB2981_24:
	s_andn2_b64 vcc, exec, s[4:5]
	s_cbranch_vccnz .LBB2981_40
; %bb.25:
	v_cmp_gt_u32_e32 vcc, s14, v0
	v_mov_b32_e32 v9, 0
	v_mov_b32_e32 v12, 0
	s_and_saveexec_b64 s[4:5], vcc
	s_cbranch_execz .LBB2981_27
; %bb.26:
	v_lshlrev_b32_e32 v12, 2, v0
	global_load_dword v12, v12, s[2:3]
	s_waitcnt vmcnt(0)
	v_xor_b32_e32 v12, -1, v12
	v_and_b32_e32 v12, 1, v12
.LBB2981_27:
	s_or_b64 exec, exec, s[4:5]
	v_or_b32_e32 v13, 0x100, v0
	v_cmp_gt_u32_e32 vcc, s14, v13
	s_and_saveexec_b64 s[4:5], vcc
	s_cbranch_execz .LBB2981_29
; %bb.28:
	v_lshlrev_b32_e32 v9, 2, v0
	global_load_dword v9, v9, s[2:3] offset:1024
	s_waitcnt vmcnt(0)
	v_xor_b32_e32 v9, -1, v9
	v_and_b32_e32 v9, 1, v9
.LBB2981_29:
	s_or_b64 exec, exec, s[4:5]
	v_or_b32_e32 v13, 0x200, v0
	v_cmp_gt_u32_e32 vcc, s14, v13
	v_mov_b32_e32 v13, 0
	v_mov_b32_e32 v14, 0
	s_and_saveexec_b64 s[4:5], vcc
	s_cbranch_execz .LBB2981_31
; %bb.30:
	v_lshlrev_b32_e32 v14, 2, v0
	global_load_dword v14, v14, s[2:3] offset:2048
	s_waitcnt vmcnt(0)
	v_xor_b32_e32 v14, -1, v14
	v_and_b32_e32 v14, 1, v14
.LBB2981_31:
	s_or_b64 exec, exec, s[4:5]
	v_or_b32_e32 v15, 0x300, v0
	v_cmp_gt_u32_e32 vcc, s14, v15
	s_and_saveexec_b64 s[4:5], vcc
	s_cbranch_execz .LBB2981_33
; %bb.32:
	v_lshlrev_b32_e32 v13, 2, v0
	global_load_dword v13, v13, s[2:3] offset:3072
	s_waitcnt vmcnt(0)
	v_xor_b32_e32 v13, -1, v13
	v_and_b32_e32 v13, 1, v13
.LBB2981_33:
	s_or_b64 exec, exec, s[4:5]
	v_or_b32_e32 v17, 0x400, v0
	v_cmp_gt_u32_e32 vcc, s14, v17
	v_mov_b32_e32 v15, 0
	v_mov_b32_e32 v16, 0
	s_and_saveexec_b64 s[4:5], vcc
	s_cbranch_execz .LBB2981_35
; %bb.34:
	v_lshlrev_b32_e32 v16, 2, v17
	global_load_dword v16, v16, s[2:3]
	s_waitcnt vmcnt(0)
	v_xor_b32_e32 v16, -1, v16
	v_and_b32_e32 v16, 1, v16
.LBB2981_35:
	s_or_b64 exec, exec, s[4:5]
	v_or_b32_e32 v17, 0x500, v0
	v_cmp_gt_u32_e32 vcc, s14, v17
	s_and_saveexec_b64 s[4:5], vcc
	s_cbranch_execz .LBB2981_37
; %bb.36:
	v_lshlrev_b32_e32 v15, 2, v17
	global_load_dword v15, v15, s[2:3]
	s_waitcnt vmcnt(0)
	v_xor_b32_e32 v15, -1, v15
	v_and_b32_e32 v15, 1, v15
.LBB2981_37:
	s_or_b64 exec, exec, s[4:5]
	v_or_b32_e32 v18, 0x600, v0
	v_cmp_gt_u32_e32 vcc, s14, v18
	v_mov_b32_e32 v17, 0
	s_and_saveexec_b64 s[4:5], vcc
	s_cbranch_execz .LBB2981_39
; %bb.38:
	v_lshlrev_b32_e32 v17, 2, v18
	global_load_dword v17, v17, s[2:3]
	s_waitcnt vmcnt(0)
	v_xor_b32_e32 v17, -1, v17
	v_and_b32_e32 v17, 1, v17
.LBB2981_39:
	s_or_b64 exec, exec, s[4:5]
	ds_write_b8 v0, v12
	ds_write_b8 v0, v9 offset:256
	ds_write_b8 v0, v14 offset:512
	;; [unrolled: 1-line block ×6, first 2 shown]
	s_waitcnt lgkmcnt(0)
	s_barrier
.LBB2981_40:
	s_movk_i32 s2, 0xffeb
	v_mad_i32_i24 v29, v0, s2, v8
	ds_read_u8 v8, v29
	ds_read_u8 v9, v29 offset:1
	ds_read_u8 v12, v29 offset:2
	;; [unrolled: 1-line block ×6, first 2 shown]
	s_waitcnt lgkmcnt(6)
	v_and_b32_e32 v27, 1, v8
	s_waitcnt lgkmcnt(5)
	v_and_b32_e32 v26, 1, v9
	;; [unrolled: 2-line block ×5, first 2 shown]
	v_add3_u32 v8, v26, v27, v25
	s_waitcnt lgkmcnt(1)
	v_and_b32_e32 v22, 1, v15
	s_waitcnt lgkmcnt(0)
	v_and_b32_e32 v21, 1, v16
	v_add3_u32 v8, v8, v24, v23
	v_add3_u32 v31, v8, v22, v21
	v_mbcnt_lo_u32_b32 v8, -1, 0
	v_mbcnt_hi_u32_b32 v28, -1, v8
	v_and_b32_e32 v8, 15, v28
	v_cmp_eq_u32_e64 s[14:15], 0, v8
	v_cmp_lt_u32_e64 s[12:13], 1, v8
	v_cmp_lt_u32_e64 s[10:11], 3, v8
	;; [unrolled: 1-line block ×3, first 2 shown]
	v_and_b32_e32 v8, 16, v28
	v_cmp_eq_u32_e64 s[6:7], 0, v8
	v_or_b32_e32 v8, 63, v0
	s_cmp_lg_u32 s30, 0
	v_cmp_lt_u32_e64 s[2:3], 31, v28
	v_lshrrev_b32_e32 v30, 6, v0
	v_cmp_eq_u32_e64 s[4:5], v8, v0
	s_barrier
	s_cbranch_scc0 .LBB2981_71
; %bb.41:
	v_mov_b32_dpp v8, v31 row_shr:1 row_mask:0xf bank_mask:0xf
	v_cndmask_b32_e64 v8, v8, 0, s[14:15]
	v_add_u32_e32 v8, v8, v31
	s_nop 1
	v_mov_b32_dpp v9, v8 row_shr:2 row_mask:0xf bank_mask:0xf
	v_cndmask_b32_e64 v9, 0, v9, s[12:13]
	v_add_u32_e32 v8, v8, v9
	s_nop 1
	;; [unrolled: 4-line block ×4, first 2 shown]
	v_mov_b32_dpp v9, v8 row_bcast:15 row_mask:0xf bank_mask:0xf
	v_cndmask_b32_e64 v9, v9, 0, s[6:7]
	v_add_u32_e32 v8, v8, v9
	s_nop 1
	v_mov_b32_dpp v9, v8 row_bcast:31 row_mask:0xf bank_mask:0xf
	v_cndmask_b32_e64 v9, 0, v9, s[2:3]
	v_add_u32_e32 v8, v8, v9
	s_and_saveexec_b64 s[16:17], s[4:5]
	s_cbranch_execz .LBB2981_43
; %bb.42:
	v_lshlrev_b32_e32 v9, 2, v30
	ds_write_b32 v9, v8
.LBB2981_43:
	s_or_b64 exec, exec, s[16:17]
	v_cmp_gt_u32_e32 vcc, 4, v0
	s_waitcnt lgkmcnt(0)
	s_barrier
	s_and_saveexec_b64 s[16:17], vcc
	s_cbranch_execz .LBB2981_45
; %bb.44:
	v_lshlrev_b32_e32 v9, 2, v0
	ds_read_b32 v12, v9
	v_and_b32_e32 v13, 3, v28
	v_cmp_ne_u32_e32 vcc, 0, v13
	s_waitcnt lgkmcnt(0)
	v_mov_b32_dpp v14, v12 row_shr:1 row_mask:0xf bank_mask:0xf
	v_cndmask_b32_e32 v14, 0, v14, vcc
	v_add_u32_e32 v12, v14, v12
	v_cmp_lt_u32_e32 vcc, 1, v13
	s_nop 0
	v_mov_b32_dpp v14, v12 row_shr:2 row_mask:0xf bank_mask:0xf
	v_cndmask_b32_e32 v13, 0, v14, vcc
	v_add_u32_e32 v12, v12, v13
	ds_write_b32 v9, v12
.LBB2981_45:
	s_or_b64 exec, exec, s[16:17]
	v_cmp_gt_u32_e32 vcc, 64, v0
	v_cmp_lt_u32_e64 s[16:17], 63, v0
	s_waitcnt lgkmcnt(0)
	s_barrier
	s_waitcnt lgkmcnt(0)
                                        ; implicit-def: $vgpr32
	s_and_saveexec_b64 s[22:23], s[16:17]
	s_cbranch_execz .LBB2981_47
; %bb.46:
	v_lshl_add_u32 v9, v30, 2, -4
	ds_read_b32 v32, v9
	s_waitcnt lgkmcnt(0)
	v_add_u32_e32 v8, v32, v8
.LBB2981_47:
	s_or_b64 exec, exec, s[22:23]
	v_add_u32_e32 v9, -1, v28
	v_and_b32_e32 v12, 64, v28
	v_cmp_lt_i32_e64 s[16:17], v9, v12
	v_cndmask_b32_e64 v9, v9, v28, s[16:17]
	v_lshlrev_b32_e32 v9, 2, v9
	ds_bpermute_b32 v33, v9, v8
	v_cmp_eq_u32_e64 s[16:17], 0, v28
	s_and_saveexec_b64 s[22:23], vcc
	s_cbranch_execz .LBB2981_70
; %bb.48:
	v_mov_b32_e32 v19, 0
	ds_read_b32 v8, v19 offset:12
	s_and_saveexec_b64 s[26:27], s[16:17]
	s_cbranch_execz .LBB2981_50
; %bb.49:
	s_add_i32 s28, s30, 64
	s_mov_b32 s29, 0
	s_lshl_b64 s[28:29], s[28:29], 3
	s_add_u32 s28, s24, s28
	v_mov_b32_e32 v9, 1
	s_addc_u32 s29, s25, s29
	s_waitcnt lgkmcnt(0)
	global_store_dwordx2 v19, v[8:9], s[28:29]
.LBB2981_50:
	s_or_b64 exec, exec, s[26:27]
	v_xad_u32 v12, v28, -1, s30
	v_add_u32_e32 v18, 64, v12
	v_lshlrev_b64 v[14:15], 3, v[18:19]
	v_mov_b32_e32 v9, s25
	v_add_co_u32_e32 v14, vcc, s24, v14
	v_addc_co_u32_e32 v15, vcc, v9, v15, vcc
	global_load_dwordx2 v[16:17], v[14:15], off glc
	s_waitcnt vmcnt(0)
	v_cmp_eq_u16_sdwa s[28:29], v17, v19 src0_sel:BYTE_0 src1_sel:DWORD
	s_and_saveexec_b64 s[26:27], s[28:29]
	s_cbranch_execz .LBB2981_56
; %bb.51:
	s_mov_b32 s31, 1
	s_mov_b64 s[28:29], 0
	v_mov_b32_e32 v9, 0
.LBB2981_52:                            ; =>This Loop Header: Depth=1
                                        ;     Child Loop BB2981_53 Depth 2
	s_max_u32 s33, s31, 1
.LBB2981_53:                            ;   Parent Loop BB2981_52 Depth=1
                                        ; =>  This Inner Loop Header: Depth=2
	s_add_i32 s33, s33, -1
	s_cmp_eq_u32 s33, 0
	s_sleep 1
	s_cbranch_scc0 .LBB2981_53
; %bb.54:                               ;   in Loop: Header=BB2981_52 Depth=1
	global_load_dwordx2 v[16:17], v[14:15], off glc
	s_cmp_lt_u32 s31, 32
	s_cselect_b64 s[34:35], -1, 0
	s_cmp_lg_u64 s[34:35], 0
	s_addc_u32 s31, s31, 0
	s_waitcnt vmcnt(0)
	v_cmp_ne_u16_sdwa s[34:35], v17, v9 src0_sel:BYTE_0 src1_sel:DWORD
	s_or_b64 s[28:29], s[34:35], s[28:29]
	s_andn2_b64 exec, exec, s[28:29]
	s_cbranch_execnz .LBB2981_52
; %bb.55:
	s_or_b64 exec, exec, s[28:29]
.LBB2981_56:
	s_or_b64 exec, exec, s[26:27]
	v_and_b32_e32 v35, 63, v28
	v_mov_b32_e32 v34, 2
	v_cmp_ne_u32_e32 vcc, 63, v35
	v_cmp_eq_u16_sdwa s[26:27], v17, v34 src0_sel:BYTE_0 src1_sel:DWORD
	v_lshlrev_b64 v[14:15], v28, -1
	v_addc_co_u32_e32 v18, vcc, 0, v28, vcc
	v_and_b32_e32 v9, s27, v15
	v_lshlrev_b32_e32 v36, 2, v18
	v_or_b32_e32 v9, 0x80000000, v9
	ds_bpermute_b32 v18, v36, v16
	v_and_b32_e32 v13, s26, v14
	v_ffbl_b32_e32 v9, v9
	v_add_u32_e32 v9, 32, v9
	v_ffbl_b32_e32 v13, v13
	v_min_u32_e32 v9, v13, v9
	v_cmp_lt_u32_e32 vcc, v35, v9
	s_waitcnt lgkmcnt(0)
	v_cndmask_b32_e32 v13, 0, v18, vcc
	v_cmp_gt_u32_e32 vcc, 62, v35
	v_add_u32_e32 v13, v13, v16
	v_cndmask_b32_e64 v16, 0, 1, vcc
	v_lshlrev_b32_e32 v16, 1, v16
	v_add_lshl_u32 v37, v16, v28, 2
	ds_bpermute_b32 v16, v37, v13
	v_add_u32_e32 v38, 2, v35
	v_cmp_le_u32_e32 vcc, v38, v9
	v_add_u32_e32 v40, 4, v35
	v_add_u32_e32 v42, 8, v35
	s_waitcnt lgkmcnt(0)
	v_cndmask_b32_e32 v16, 0, v16, vcc
	v_cmp_gt_u32_e32 vcc, 60, v35
	v_add_u32_e32 v13, v13, v16
	v_cndmask_b32_e64 v16, 0, 1, vcc
	v_lshlrev_b32_e32 v16, 2, v16
	v_add_lshl_u32 v39, v16, v28, 2
	ds_bpermute_b32 v16, v39, v13
	v_cmp_le_u32_e32 vcc, v40, v9
	v_add_u32_e32 v44, 16, v35
	v_add_u32_e32 v46, 32, v35
	s_waitcnt lgkmcnt(0)
	v_cndmask_b32_e32 v16, 0, v16, vcc
	v_cmp_gt_u32_e32 vcc, 56, v35
	v_add_u32_e32 v13, v13, v16
	v_cndmask_b32_e64 v16, 0, 1, vcc
	v_lshlrev_b32_e32 v16, 3, v16
	v_add_lshl_u32 v41, v16, v28, 2
	ds_bpermute_b32 v16, v41, v13
	v_cmp_le_u32_e32 vcc, v42, v9
	s_waitcnt lgkmcnt(0)
	v_cndmask_b32_e32 v16, 0, v16, vcc
	v_cmp_gt_u32_e32 vcc, 48, v35
	v_add_u32_e32 v13, v13, v16
	v_cndmask_b32_e64 v16, 0, 1, vcc
	v_lshlrev_b32_e32 v16, 4, v16
	v_add_lshl_u32 v43, v16, v28, 2
	ds_bpermute_b32 v16, v43, v13
	v_cmp_le_u32_e32 vcc, v44, v9
	;; [unrolled: 9-line block ×3, first 2 shown]
	s_waitcnt lgkmcnt(0)
	v_cndmask_b32_e32 v9, 0, v16, vcc
	v_add_u32_e32 v16, v13, v9
	v_mov_b32_e32 v13, 0
	s_branch .LBB2981_58
.LBB2981_57:                            ;   in Loop: Header=BB2981_58 Depth=1
	s_or_b64 exec, exec, s[26:27]
	v_cmp_eq_u16_sdwa s[26:27], v17, v34 src0_sel:BYTE_0 src1_sel:DWORD
	v_and_b32_e32 v18, s27, v15
	v_or_b32_e32 v18, 0x80000000, v18
	ds_bpermute_b32 v47, v36, v16
	v_and_b32_e32 v19, s26, v14
	v_ffbl_b32_e32 v18, v18
	v_add_u32_e32 v18, 32, v18
	v_ffbl_b32_e32 v19, v19
	v_min_u32_e32 v18, v19, v18
	v_cmp_lt_u32_e32 vcc, v35, v18
	s_waitcnt lgkmcnt(0)
	v_cndmask_b32_e32 v19, 0, v47, vcc
	v_add_u32_e32 v16, v19, v16
	ds_bpermute_b32 v19, v37, v16
	v_cmp_le_u32_e32 vcc, v38, v18
	v_subrev_u32_e32 v12, 64, v12
	s_waitcnt lgkmcnt(0)
	v_cndmask_b32_e32 v19, 0, v19, vcc
	v_add_u32_e32 v16, v16, v19
	ds_bpermute_b32 v19, v39, v16
	v_cmp_le_u32_e32 vcc, v40, v18
	s_waitcnt lgkmcnt(0)
	v_cndmask_b32_e32 v19, 0, v19, vcc
	v_add_u32_e32 v16, v16, v19
	ds_bpermute_b32 v19, v41, v16
	v_cmp_le_u32_e32 vcc, v42, v18
	;; [unrolled: 5-line block ×4, first 2 shown]
	s_waitcnt lgkmcnt(0)
	v_cndmask_b32_e32 v18, 0, v19, vcc
	v_add3_u32 v16, v18, v9, v16
.LBB2981_58:                            ; =>This Loop Header: Depth=1
                                        ;     Child Loop BB2981_61 Depth 2
                                        ;       Child Loop BB2981_62 Depth 3
	v_cmp_ne_u16_sdwa s[26:27], v17, v34 src0_sel:BYTE_0 src1_sel:DWORD
	v_cndmask_b32_e64 v9, 0, 1, s[26:27]
	;;#ASMSTART
	;;#ASMEND
	v_cmp_ne_u32_e32 vcc, 0, v9
	s_cmp_lg_u64 vcc, exec
	v_mov_b32_e32 v9, v16
	s_cbranch_scc1 .LBB2981_65
; %bb.59:                               ;   in Loop: Header=BB2981_58 Depth=1
	v_lshlrev_b64 v[16:17], 3, v[12:13]
	v_mov_b32_e32 v19, s25
	v_add_co_u32_e32 v18, vcc, s24, v16
	v_addc_co_u32_e32 v19, vcc, v19, v17, vcc
	global_load_dwordx2 v[16:17], v[18:19], off glc
	s_waitcnt vmcnt(0)
	v_cmp_eq_u16_sdwa s[28:29], v17, v13 src0_sel:BYTE_0 src1_sel:DWORD
	s_and_saveexec_b64 s[26:27], s[28:29]
	s_cbranch_execz .LBB2981_57
; %bb.60:                               ;   in Loop: Header=BB2981_58 Depth=1
	s_mov_b32 s31, 1
	s_mov_b64 s[28:29], 0
.LBB2981_61:                            ;   Parent Loop BB2981_58 Depth=1
                                        ; =>  This Loop Header: Depth=2
                                        ;       Child Loop BB2981_62 Depth 3
	s_max_u32 s33, s31, 1
.LBB2981_62:                            ;   Parent Loop BB2981_58 Depth=1
                                        ;     Parent Loop BB2981_61 Depth=2
                                        ; =>    This Inner Loop Header: Depth=3
	s_add_i32 s33, s33, -1
	s_cmp_eq_u32 s33, 0
	s_sleep 1
	s_cbranch_scc0 .LBB2981_62
; %bb.63:                               ;   in Loop: Header=BB2981_61 Depth=2
	global_load_dwordx2 v[16:17], v[18:19], off glc
	s_cmp_lt_u32 s31, 32
	s_cselect_b64 s[34:35], -1, 0
	s_cmp_lg_u64 s[34:35], 0
	s_addc_u32 s31, s31, 0
	s_waitcnt vmcnt(0)
	v_cmp_ne_u16_sdwa s[34:35], v17, v13 src0_sel:BYTE_0 src1_sel:DWORD
	s_or_b64 s[28:29], s[34:35], s[28:29]
	s_andn2_b64 exec, exec, s[28:29]
	s_cbranch_execnz .LBB2981_61
; %bb.64:                               ;   in Loop: Header=BB2981_58 Depth=1
	s_or_b64 exec, exec, s[28:29]
	s_branch .LBB2981_57
.LBB2981_65:                            ;   in Loop: Header=BB2981_58 Depth=1
                                        ; implicit-def: $vgpr16
                                        ; implicit-def: $vgpr17
	s_cbranch_execz .LBB2981_58
; %bb.66:
	s_and_saveexec_b64 s[26:27], s[16:17]
	s_cbranch_execz .LBB2981_68
; %bb.67:
	s_add_i32 s28, s30, 64
	s_mov_b32 s29, 0
	s_lshl_b64 s[28:29], s[28:29], 3
	s_add_u32 s28, s24, s28
	v_add_u32_e32 v12, v9, v8
	v_mov_b32_e32 v13, 2
	s_addc_u32 s29, s25, s29
	v_mov_b32_e32 v14, 0
	global_store_dwordx2 v14, v[12:13], s[28:29]
	ds_write_b64 v14, v[8:9] offset:7168
.LBB2981_68:
	s_or_b64 exec, exec, s[26:27]
	s_and_b64 exec, exec, s[0:1]
	s_cbranch_execz .LBB2981_70
; %bb.69:
	v_mov_b32_e32 v8, 0
	ds_write_b32 v8, v9 offset:12
.LBB2981_70:
	s_or_b64 exec, exec, s[22:23]
	v_mov_b32_e32 v8, 0
	s_waitcnt lgkmcnt(0)
	s_barrier
	ds_read_b32 v9, v8 offset:12
	v_cndmask_b32_e64 v12, v33, v32, s[16:17]
	v_cndmask_b32_e64 v12, v12, 0, s[0:1]
	s_waitcnt lgkmcnt(0)
	s_barrier
	v_add_u32_e32 v18, v9, v12
	v_add_u32_e32 v17, v18, v27
	;; [unrolled: 1-line block ×3, first 2 shown]
	ds_read_b64 v[8:9], v8 offset:7168
	v_add_u32_e32 v14, v16, v25
	v_add_u32_e32 v15, v14, v24
	;; [unrolled: 1-line block ×4, first 2 shown]
	s_branch .LBB2981_81
.LBB2981_71:
                                        ; implicit-def: $vgpr9
                                        ; implicit-def: $vgpr12
                                        ; implicit-def: $vgpr13
                                        ; implicit-def: $vgpr15
                                        ; implicit-def: $vgpr14
                                        ; implicit-def: $vgpr16
                                        ; implicit-def: $vgpr17
                                        ; implicit-def: $vgpr18
	s_cbranch_execz .LBB2981_81
; %bb.72:
	s_waitcnt lgkmcnt(0)
	v_mov_b32_dpp v8, v31 row_shr:1 row_mask:0xf bank_mask:0xf
	v_cndmask_b32_e64 v8, v8, 0, s[14:15]
	v_add_u32_e32 v8, v8, v31
	s_nop 1
	v_mov_b32_dpp v9, v8 row_shr:2 row_mask:0xf bank_mask:0xf
	v_cndmask_b32_e64 v9, 0, v9, s[12:13]
	v_add_u32_e32 v8, v8, v9
	s_nop 1
	;; [unrolled: 4-line block ×4, first 2 shown]
	v_mov_b32_dpp v9, v8 row_bcast:15 row_mask:0xf bank_mask:0xf
	v_cndmask_b32_e64 v9, v9, 0, s[6:7]
	v_add_u32_e32 v8, v8, v9
	s_nop 1
	v_mov_b32_dpp v9, v8 row_bcast:31 row_mask:0xf bank_mask:0xf
	v_cndmask_b32_e64 v9, 0, v9, s[2:3]
	v_add_u32_e32 v8, v8, v9
	s_and_saveexec_b64 s[2:3], s[4:5]
	s_cbranch_execz .LBB2981_74
; %bb.73:
	v_lshlrev_b32_e32 v9, 2, v30
	ds_write_b32 v9, v8
.LBB2981_74:
	s_or_b64 exec, exec, s[2:3]
	v_cmp_gt_u32_e32 vcc, 4, v0
	s_waitcnt lgkmcnt(0)
	s_barrier
	s_and_saveexec_b64 s[2:3], vcc
	s_cbranch_execz .LBB2981_76
; %bb.75:
	v_mad_i32_i24 v9, v0, -3, v29
	ds_read_b32 v12, v9
	v_and_b32_e32 v13, 3, v28
	v_cmp_ne_u32_e32 vcc, 0, v13
	s_waitcnt lgkmcnt(0)
	v_mov_b32_dpp v14, v12 row_shr:1 row_mask:0xf bank_mask:0xf
	v_cndmask_b32_e32 v14, 0, v14, vcc
	v_add_u32_e32 v12, v14, v12
	v_cmp_lt_u32_e32 vcc, 1, v13
	s_nop 0
	v_mov_b32_dpp v14, v12 row_shr:2 row_mask:0xf bank_mask:0xf
	v_cndmask_b32_e32 v13, 0, v14, vcc
	v_add_u32_e32 v12, v12, v13
	ds_write_b32 v9, v12
.LBB2981_76:
	s_or_b64 exec, exec, s[2:3]
	v_cmp_lt_u32_e32 vcc, 63, v0
	v_mov_b32_e32 v9, 0
	v_mov_b32_e32 v0, 0
	s_waitcnt lgkmcnt(0)
	s_barrier
	s_and_saveexec_b64 s[2:3], vcc
	s_cbranch_execz .LBB2981_78
; %bb.77:
	v_lshl_add_u32 v0, v30, 2, -4
	ds_read_b32 v0, v0
.LBB2981_78:
	s_or_b64 exec, exec, s[2:3]
	v_add_u32_e32 v12, -1, v28
	v_and_b32_e32 v13, 64, v28
	v_cmp_lt_i32_e32 vcc, v12, v13
	v_cndmask_b32_e32 v12, v12, v28, vcc
	s_waitcnt lgkmcnt(0)
	v_add_u32_e32 v8, v0, v8
	v_lshlrev_b32_e32 v12, 2, v12
	ds_bpermute_b32 v12, v12, v8
	ds_read_b32 v8, v9 offset:12
	s_and_saveexec_b64 s[2:3], s[0:1]
	s_cbranch_execz .LBB2981_80
; %bb.79:
	v_mov_b32_e32 v13, 0
	v_mov_b32_e32 v9, 2
	s_waitcnt lgkmcnt(0)
	global_store_dwordx2 v13, v[8:9], s[24:25] offset:512
.LBB2981_80:
	s_or_b64 exec, exec, s[2:3]
	v_cmp_eq_u32_e32 vcc, 0, v28
	s_waitcnt lgkmcnt(1)
	v_cndmask_b32_e32 v0, v12, v0, vcc
	v_cndmask_b32_e64 v18, v0, 0, s[0:1]
	v_add_u32_e32 v17, v18, v27
	v_add_u32_e32 v16, v17, v26
	;; [unrolled: 1-line block ×5, first 2 shown]
	v_mov_b32_e32 v9, 0
	v_add_u32_e32 v12, v13, v22
	s_waitcnt lgkmcnt(0)
	s_barrier
.LBB2981_81:
	s_waitcnt lgkmcnt(0)
	v_add_u32_e32 v0, v8, v20
	v_sub_u32_e32 v18, v18, v9
	v_sub_u32_e32 v19, v0, v18
	v_cmp_eq_u32_e32 vcc, 1, v27
	v_cndmask_b32_e32 v18, v19, v18, vcc
	v_lshlrev_b32_e32 v18, 2, v18
	ds_write_b32 v18, v6
	v_sub_u32_e32 v6, v17, v9
	v_sub_u32_e32 v17, v0, v6
	v_add_u32_e32 v17, 1, v17
	v_cmp_eq_u32_e32 vcc, 1, v26
	v_cndmask_b32_e32 v6, v17, v6, vcc
	v_lshlrev_b32_e32 v6, 2, v6
	ds_write_b32 v6, v7
	v_sub_u32_e32 v6, v16, v9
	v_sub_u32_e32 v7, v0, v6
	v_add_u32_e32 v7, 2, v7
	;; [unrolled: 7-line block ×6, first 2 shown]
	v_cmp_eq_u32_e32 vcc, 1, v21
	v_cndmask_b32_e32 v0, v0, v2, vcc
	v_lshlrev_b32_e32 v0, 2, v0
	s_and_b64 s[0:1], s[0:1], s[18:19]
	ds_write_b32 v0, v1
	s_waitcnt lgkmcnt(0)
	s_barrier
	s_and_saveexec_b64 s[2:3], s[0:1]
	s_cbranch_execz .LBB2981_83
; %bb.82:
	s_waitcnt vmcnt(0)
	v_add_co_u32_e32 v0, vcc, v10, v8
	v_addc_co_u32_e32 v1, vcc, 0, v11, vcc
	v_add_co_u32_e32 v0, vcc, v0, v9
	v_mov_b32_e32 v2, 0
	v_addc_co_u32_e32 v1, vcc, 0, v1, vcc
	global_store_dwordx2 v2, v[0:1], s[20:21]
.LBB2981_83:
	s_endpgm
	.section	.rodata,"a",@progbits
	.p2align	6, 0x0
	.amdhsa_kernel _ZN7rocprim17ROCPRIM_400000_NS6detail17trampoline_kernelINS0_14default_configENS1_25partition_config_selectorILNS1_17partition_subalgoE1EjNS0_10empty_typeEbEEZZNS1_14partition_implILS5_1ELb0ES3_jN6thrust23THRUST_200600_302600_NS6detail15normal_iteratorINSA_10device_ptrIjEEEEPS6_NSA_18transform_iteratorI7is_evenIjESF_NSA_11use_defaultESK_EENS0_5tupleIJNSA_16discard_iteratorISK_EESO_EEENSM_IJSG_SG_EEES6_PlJS6_EEE10hipError_tPvRmT3_T4_T5_T6_T7_T9_mT8_P12ihipStream_tbDpT10_ENKUlT_T0_E_clISt17integral_constantIbLb1EES1B_EEDaS16_S17_EUlS16_E_NS1_11comp_targetILNS1_3genE4ELNS1_11target_archE910ELNS1_3gpuE8ELNS1_3repE0EEENS1_30default_config_static_selectorELNS0_4arch9wavefront6targetE1EEEvT1_
		.amdhsa_group_segment_fixed_size 7176
		.amdhsa_private_segment_fixed_size 0
		.amdhsa_kernarg_size 160
		.amdhsa_user_sgpr_count 6
		.amdhsa_user_sgpr_private_segment_buffer 1
		.amdhsa_user_sgpr_dispatch_ptr 0
		.amdhsa_user_sgpr_queue_ptr 0
		.amdhsa_user_sgpr_kernarg_segment_ptr 1
		.amdhsa_user_sgpr_dispatch_id 0
		.amdhsa_user_sgpr_flat_scratch_init 0
		.amdhsa_user_sgpr_kernarg_preload_length 0
		.amdhsa_user_sgpr_kernarg_preload_offset 0
		.amdhsa_user_sgpr_private_segment_size 0
		.amdhsa_uses_dynamic_stack 0
		.amdhsa_system_sgpr_private_segment_wavefront_offset 0
		.amdhsa_system_sgpr_workgroup_id_x 1
		.amdhsa_system_sgpr_workgroup_id_y 0
		.amdhsa_system_sgpr_workgroup_id_z 0
		.amdhsa_system_sgpr_workgroup_info 0
		.amdhsa_system_vgpr_workitem_id 0
		.amdhsa_next_free_vgpr 48
		.amdhsa_next_free_sgpr 36
		.amdhsa_accum_offset 48
		.amdhsa_reserve_vcc 1
		.amdhsa_reserve_flat_scratch 0
		.amdhsa_float_round_mode_32 0
		.amdhsa_float_round_mode_16_64 0
		.amdhsa_float_denorm_mode_32 3
		.amdhsa_float_denorm_mode_16_64 3
		.amdhsa_dx10_clamp 1
		.amdhsa_ieee_mode 1
		.amdhsa_fp16_overflow 0
		.amdhsa_tg_split 0
		.amdhsa_exception_fp_ieee_invalid_op 0
		.amdhsa_exception_fp_denorm_src 0
		.amdhsa_exception_fp_ieee_div_zero 0
		.amdhsa_exception_fp_ieee_overflow 0
		.amdhsa_exception_fp_ieee_underflow 0
		.amdhsa_exception_fp_ieee_inexact 0
		.amdhsa_exception_int_div_zero 0
	.end_amdhsa_kernel
	.section	.text._ZN7rocprim17ROCPRIM_400000_NS6detail17trampoline_kernelINS0_14default_configENS1_25partition_config_selectorILNS1_17partition_subalgoE1EjNS0_10empty_typeEbEEZZNS1_14partition_implILS5_1ELb0ES3_jN6thrust23THRUST_200600_302600_NS6detail15normal_iteratorINSA_10device_ptrIjEEEEPS6_NSA_18transform_iteratorI7is_evenIjESF_NSA_11use_defaultESK_EENS0_5tupleIJNSA_16discard_iteratorISK_EESO_EEENSM_IJSG_SG_EEES6_PlJS6_EEE10hipError_tPvRmT3_T4_T5_T6_T7_T9_mT8_P12ihipStream_tbDpT10_ENKUlT_T0_E_clISt17integral_constantIbLb1EES1B_EEDaS16_S17_EUlS16_E_NS1_11comp_targetILNS1_3genE4ELNS1_11target_archE910ELNS1_3gpuE8ELNS1_3repE0EEENS1_30default_config_static_selectorELNS0_4arch9wavefront6targetE1EEEvT1_,"axG",@progbits,_ZN7rocprim17ROCPRIM_400000_NS6detail17trampoline_kernelINS0_14default_configENS1_25partition_config_selectorILNS1_17partition_subalgoE1EjNS0_10empty_typeEbEEZZNS1_14partition_implILS5_1ELb0ES3_jN6thrust23THRUST_200600_302600_NS6detail15normal_iteratorINSA_10device_ptrIjEEEEPS6_NSA_18transform_iteratorI7is_evenIjESF_NSA_11use_defaultESK_EENS0_5tupleIJNSA_16discard_iteratorISK_EESO_EEENSM_IJSG_SG_EEES6_PlJS6_EEE10hipError_tPvRmT3_T4_T5_T6_T7_T9_mT8_P12ihipStream_tbDpT10_ENKUlT_T0_E_clISt17integral_constantIbLb1EES1B_EEDaS16_S17_EUlS16_E_NS1_11comp_targetILNS1_3genE4ELNS1_11target_archE910ELNS1_3gpuE8ELNS1_3repE0EEENS1_30default_config_static_selectorELNS0_4arch9wavefront6targetE1EEEvT1_,comdat
.Lfunc_end2981:
	.size	_ZN7rocprim17ROCPRIM_400000_NS6detail17trampoline_kernelINS0_14default_configENS1_25partition_config_selectorILNS1_17partition_subalgoE1EjNS0_10empty_typeEbEEZZNS1_14partition_implILS5_1ELb0ES3_jN6thrust23THRUST_200600_302600_NS6detail15normal_iteratorINSA_10device_ptrIjEEEEPS6_NSA_18transform_iteratorI7is_evenIjESF_NSA_11use_defaultESK_EENS0_5tupleIJNSA_16discard_iteratorISK_EESO_EEENSM_IJSG_SG_EEES6_PlJS6_EEE10hipError_tPvRmT3_T4_T5_T6_T7_T9_mT8_P12ihipStream_tbDpT10_ENKUlT_T0_E_clISt17integral_constantIbLb1EES1B_EEDaS16_S17_EUlS16_E_NS1_11comp_targetILNS1_3genE4ELNS1_11target_archE910ELNS1_3gpuE8ELNS1_3repE0EEENS1_30default_config_static_selectorELNS0_4arch9wavefront6targetE1EEEvT1_, .Lfunc_end2981-_ZN7rocprim17ROCPRIM_400000_NS6detail17trampoline_kernelINS0_14default_configENS1_25partition_config_selectorILNS1_17partition_subalgoE1EjNS0_10empty_typeEbEEZZNS1_14partition_implILS5_1ELb0ES3_jN6thrust23THRUST_200600_302600_NS6detail15normal_iteratorINSA_10device_ptrIjEEEEPS6_NSA_18transform_iteratorI7is_evenIjESF_NSA_11use_defaultESK_EENS0_5tupleIJNSA_16discard_iteratorISK_EESO_EEENSM_IJSG_SG_EEES6_PlJS6_EEE10hipError_tPvRmT3_T4_T5_T6_T7_T9_mT8_P12ihipStream_tbDpT10_ENKUlT_T0_E_clISt17integral_constantIbLb1EES1B_EEDaS16_S17_EUlS16_E_NS1_11comp_targetILNS1_3genE4ELNS1_11target_archE910ELNS1_3gpuE8ELNS1_3repE0EEENS1_30default_config_static_selectorELNS0_4arch9wavefront6targetE1EEEvT1_
                                        ; -- End function
	.section	.AMDGPU.csdata,"",@progbits
; Kernel info:
; codeLenInByte = 4024
; NumSgprs: 40
; NumVgprs: 48
; NumAgprs: 0
; TotalNumVgprs: 48
; ScratchSize: 0
; MemoryBound: 0
; FloatMode: 240
; IeeeMode: 1
; LDSByteSize: 7176 bytes/workgroup (compile time only)
; SGPRBlocks: 4
; VGPRBlocks: 5
; NumSGPRsForWavesPerEU: 40
; NumVGPRsForWavesPerEU: 48
; AccumOffset: 48
; Occupancy: 8
; WaveLimiterHint : 1
; COMPUTE_PGM_RSRC2:SCRATCH_EN: 0
; COMPUTE_PGM_RSRC2:USER_SGPR: 6
; COMPUTE_PGM_RSRC2:TRAP_HANDLER: 0
; COMPUTE_PGM_RSRC2:TGID_X_EN: 1
; COMPUTE_PGM_RSRC2:TGID_Y_EN: 0
; COMPUTE_PGM_RSRC2:TGID_Z_EN: 0
; COMPUTE_PGM_RSRC2:TIDIG_COMP_CNT: 0
; COMPUTE_PGM_RSRC3_GFX90A:ACCUM_OFFSET: 11
; COMPUTE_PGM_RSRC3_GFX90A:TG_SPLIT: 0
	.section	.text._ZN7rocprim17ROCPRIM_400000_NS6detail17trampoline_kernelINS0_14default_configENS1_25partition_config_selectorILNS1_17partition_subalgoE1EjNS0_10empty_typeEbEEZZNS1_14partition_implILS5_1ELb0ES3_jN6thrust23THRUST_200600_302600_NS6detail15normal_iteratorINSA_10device_ptrIjEEEEPS6_NSA_18transform_iteratorI7is_evenIjESF_NSA_11use_defaultESK_EENS0_5tupleIJNSA_16discard_iteratorISK_EESO_EEENSM_IJSG_SG_EEES6_PlJS6_EEE10hipError_tPvRmT3_T4_T5_T6_T7_T9_mT8_P12ihipStream_tbDpT10_ENKUlT_T0_E_clISt17integral_constantIbLb1EES1B_EEDaS16_S17_EUlS16_E_NS1_11comp_targetILNS1_3genE3ELNS1_11target_archE908ELNS1_3gpuE7ELNS1_3repE0EEENS1_30default_config_static_selectorELNS0_4arch9wavefront6targetE1EEEvT1_,"axG",@progbits,_ZN7rocprim17ROCPRIM_400000_NS6detail17trampoline_kernelINS0_14default_configENS1_25partition_config_selectorILNS1_17partition_subalgoE1EjNS0_10empty_typeEbEEZZNS1_14partition_implILS5_1ELb0ES3_jN6thrust23THRUST_200600_302600_NS6detail15normal_iteratorINSA_10device_ptrIjEEEEPS6_NSA_18transform_iteratorI7is_evenIjESF_NSA_11use_defaultESK_EENS0_5tupleIJNSA_16discard_iteratorISK_EESO_EEENSM_IJSG_SG_EEES6_PlJS6_EEE10hipError_tPvRmT3_T4_T5_T6_T7_T9_mT8_P12ihipStream_tbDpT10_ENKUlT_T0_E_clISt17integral_constantIbLb1EES1B_EEDaS16_S17_EUlS16_E_NS1_11comp_targetILNS1_3genE3ELNS1_11target_archE908ELNS1_3gpuE7ELNS1_3repE0EEENS1_30default_config_static_selectorELNS0_4arch9wavefront6targetE1EEEvT1_,comdat
	.protected	_ZN7rocprim17ROCPRIM_400000_NS6detail17trampoline_kernelINS0_14default_configENS1_25partition_config_selectorILNS1_17partition_subalgoE1EjNS0_10empty_typeEbEEZZNS1_14partition_implILS5_1ELb0ES3_jN6thrust23THRUST_200600_302600_NS6detail15normal_iteratorINSA_10device_ptrIjEEEEPS6_NSA_18transform_iteratorI7is_evenIjESF_NSA_11use_defaultESK_EENS0_5tupleIJNSA_16discard_iteratorISK_EESO_EEENSM_IJSG_SG_EEES6_PlJS6_EEE10hipError_tPvRmT3_T4_T5_T6_T7_T9_mT8_P12ihipStream_tbDpT10_ENKUlT_T0_E_clISt17integral_constantIbLb1EES1B_EEDaS16_S17_EUlS16_E_NS1_11comp_targetILNS1_3genE3ELNS1_11target_archE908ELNS1_3gpuE7ELNS1_3repE0EEENS1_30default_config_static_selectorELNS0_4arch9wavefront6targetE1EEEvT1_ ; -- Begin function _ZN7rocprim17ROCPRIM_400000_NS6detail17trampoline_kernelINS0_14default_configENS1_25partition_config_selectorILNS1_17partition_subalgoE1EjNS0_10empty_typeEbEEZZNS1_14partition_implILS5_1ELb0ES3_jN6thrust23THRUST_200600_302600_NS6detail15normal_iteratorINSA_10device_ptrIjEEEEPS6_NSA_18transform_iteratorI7is_evenIjESF_NSA_11use_defaultESK_EENS0_5tupleIJNSA_16discard_iteratorISK_EESO_EEENSM_IJSG_SG_EEES6_PlJS6_EEE10hipError_tPvRmT3_T4_T5_T6_T7_T9_mT8_P12ihipStream_tbDpT10_ENKUlT_T0_E_clISt17integral_constantIbLb1EES1B_EEDaS16_S17_EUlS16_E_NS1_11comp_targetILNS1_3genE3ELNS1_11target_archE908ELNS1_3gpuE7ELNS1_3repE0EEENS1_30default_config_static_selectorELNS0_4arch9wavefront6targetE1EEEvT1_
	.globl	_ZN7rocprim17ROCPRIM_400000_NS6detail17trampoline_kernelINS0_14default_configENS1_25partition_config_selectorILNS1_17partition_subalgoE1EjNS0_10empty_typeEbEEZZNS1_14partition_implILS5_1ELb0ES3_jN6thrust23THRUST_200600_302600_NS6detail15normal_iteratorINSA_10device_ptrIjEEEEPS6_NSA_18transform_iteratorI7is_evenIjESF_NSA_11use_defaultESK_EENS0_5tupleIJNSA_16discard_iteratorISK_EESO_EEENSM_IJSG_SG_EEES6_PlJS6_EEE10hipError_tPvRmT3_T4_T5_T6_T7_T9_mT8_P12ihipStream_tbDpT10_ENKUlT_T0_E_clISt17integral_constantIbLb1EES1B_EEDaS16_S17_EUlS16_E_NS1_11comp_targetILNS1_3genE3ELNS1_11target_archE908ELNS1_3gpuE7ELNS1_3repE0EEENS1_30default_config_static_selectorELNS0_4arch9wavefront6targetE1EEEvT1_
	.p2align	8
	.type	_ZN7rocprim17ROCPRIM_400000_NS6detail17trampoline_kernelINS0_14default_configENS1_25partition_config_selectorILNS1_17partition_subalgoE1EjNS0_10empty_typeEbEEZZNS1_14partition_implILS5_1ELb0ES3_jN6thrust23THRUST_200600_302600_NS6detail15normal_iteratorINSA_10device_ptrIjEEEEPS6_NSA_18transform_iteratorI7is_evenIjESF_NSA_11use_defaultESK_EENS0_5tupleIJNSA_16discard_iteratorISK_EESO_EEENSM_IJSG_SG_EEES6_PlJS6_EEE10hipError_tPvRmT3_T4_T5_T6_T7_T9_mT8_P12ihipStream_tbDpT10_ENKUlT_T0_E_clISt17integral_constantIbLb1EES1B_EEDaS16_S17_EUlS16_E_NS1_11comp_targetILNS1_3genE3ELNS1_11target_archE908ELNS1_3gpuE7ELNS1_3repE0EEENS1_30default_config_static_selectorELNS0_4arch9wavefront6targetE1EEEvT1_,@function
_ZN7rocprim17ROCPRIM_400000_NS6detail17trampoline_kernelINS0_14default_configENS1_25partition_config_selectorILNS1_17partition_subalgoE1EjNS0_10empty_typeEbEEZZNS1_14partition_implILS5_1ELb0ES3_jN6thrust23THRUST_200600_302600_NS6detail15normal_iteratorINSA_10device_ptrIjEEEEPS6_NSA_18transform_iteratorI7is_evenIjESF_NSA_11use_defaultESK_EENS0_5tupleIJNSA_16discard_iteratorISK_EESO_EEENSM_IJSG_SG_EEES6_PlJS6_EEE10hipError_tPvRmT3_T4_T5_T6_T7_T9_mT8_P12ihipStream_tbDpT10_ENKUlT_T0_E_clISt17integral_constantIbLb1EES1B_EEDaS16_S17_EUlS16_E_NS1_11comp_targetILNS1_3genE3ELNS1_11target_archE908ELNS1_3gpuE7ELNS1_3repE0EEENS1_30default_config_static_selectorELNS0_4arch9wavefront6targetE1EEEvT1_: ; @_ZN7rocprim17ROCPRIM_400000_NS6detail17trampoline_kernelINS0_14default_configENS1_25partition_config_selectorILNS1_17partition_subalgoE1EjNS0_10empty_typeEbEEZZNS1_14partition_implILS5_1ELb0ES3_jN6thrust23THRUST_200600_302600_NS6detail15normal_iteratorINSA_10device_ptrIjEEEEPS6_NSA_18transform_iteratorI7is_evenIjESF_NSA_11use_defaultESK_EENS0_5tupleIJNSA_16discard_iteratorISK_EESO_EEENSM_IJSG_SG_EEES6_PlJS6_EEE10hipError_tPvRmT3_T4_T5_T6_T7_T9_mT8_P12ihipStream_tbDpT10_ENKUlT_T0_E_clISt17integral_constantIbLb1EES1B_EEDaS16_S17_EUlS16_E_NS1_11comp_targetILNS1_3genE3ELNS1_11target_archE908ELNS1_3gpuE7ELNS1_3repE0EEENS1_30default_config_static_selectorELNS0_4arch9wavefront6targetE1EEEvT1_
; %bb.0:
	.section	.rodata,"a",@progbits
	.p2align	6, 0x0
	.amdhsa_kernel _ZN7rocprim17ROCPRIM_400000_NS6detail17trampoline_kernelINS0_14default_configENS1_25partition_config_selectorILNS1_17partition_subalgoE1EjNS0_10empty_typeEbEEZZNS1_14partition_implILS5_1ELb0ES3_jN6thrust23THRUST_200600_302600_NS6detail15normal_iteratorINSA_10device_ptrIjEEEEPS6_NSA_18transform_iteratorI7is_evenIjESF_NSA_11use_defaultESK_EENS0_5tupleIJNSA_16discard_iteratorISK_EESO_EEENSM_IJSG_SG_EEES6_PlJS6_EEE10hipError_tPvRmT3_T4_T5_T6_T7_T9_mT8_P12ihipStream_tbDpT10_ENKUlT_T0_E_clISt17integral_constantIbLb1EES1B_EEDaS16_S17_EUlS16_E_NS1_11comp_targetILNS1_3genE3ELNS1_11target_archE908ELNS1_3gpuE7ELNS1_3repE0EEENS1_30default_config_static_selectorELNS0_4arch9wavefront6targetE1EEEvT1_
		.amdhsa_group_segment_fixed_size 0
		.amdhsa_private_segment_fixed_size 0
		.amdhsa_kernarg_size 160
		.amdhsa_user_sgpr_count 6
		.amdhsa_user_sgpr_private_segment_buffer 1
		.amdhsa_user_sgpr_dispatch_ptr 0
		.amdhsa_user_sgpr_queue_ptr 0
		.amdhsa_user_sgpr_kernarg_segment_ptr 1
		.amdhsa_user_sgpr_dispatch_id 0
		.amdhsa_user_sgpr_flat_scratch_init 0
		.amdhsa_user_sgpr_kernarg_preload_length 0
		.amdhsa_user_sgpr_kernarg_preload_offset 0
		.amdhsa_user_sgpr_private_segment_size 0
		.amdhsa_uses_dynamic_stack 0
		.amdhsa_system_sgpr_private_segment_wavefront_offset 0
		.amdhsa_system_sgpr_workgroup_id_x 1
		.amdhsa_system_sgpr_workgroup_id_y 0
		.amdhsa_system_sgpr_workgroup_id_z 0
		.amdhsa_system_sgpr_workgroup_info 0
		.amdhsa_system_vgpr_workitem_id 0
		.amdhsa_next_free_vgpr 1
		.amdhsa_next_free_sgpr 0
		.amdhsa_accum_offset 4
		.amdhsa_reserve_vcc 0
		.amdhsa_reserve_flat_scratch 0
		.amdhsa_float_round_mode_32 0
		.amdhsa_float_round_mode_16_64 0
		.amdhsa_float_denorm_mode_32 3
		.amdhsa_float_denorm_mode_16_64 3
		.amdhsa_dx10_clamp 1
		.amdhsa_ieee_mode 1
		.amdhsa_fp16_overflow 0
		.amdhsa_tg_split 0
		.amdhsa_exception_fp_ieee_invalid_op 0
		.amdhsa_exception_fp_denorm_src 0
		.amdhsa_exception_fp_ieee_div_zero 0
		.amdhsa_exception_fp_ieee_overflow 0
		.amdhsa_exception_fp_ieee_underflow 0
		.amdhsa_exception_fp_ieee_inexact 0
		.amdhsa_exception_int_div_zero 0
	.end_amdhsa_kernel
	.section	.text._ZN7rocprim17ROCPRIM_400000_NS6detail17trampoline_kernelINS0_14default_configENS1_25partition_config_selectorILNS1_17partition_subalgoE1EjNS0_10empty_typeEbEEZZNS1_14partition_implILS5_1ELb0ES3_jN6thrust23THRUST_200600_302600_NS6detail15normal_iteratorINSA_10device_ptrIjEEEEPS6_NSA_18transform_iteratorI7is_evenIjESF_NSA_11use_defaultESK_EENS0_5tupleIJNSA_16discard_iteratorISK_EESO_EEENSM_IJSG_SG_EEES6_PlJS6_EEE10hipError_tPvRmT3_T4_T5_T6_T7_T9_mT8_P12ihipStream_tbDpT10_ENKUlT_T0_E_clISt17integral_constantIbLb1EES1B_EEDaS16_S17_EUlS16_E_NS1_11comp_targetILNS1_3genE3ELNS1_11target_archE908ELNS1_3gpuE7ELNS1_3repE0EEENS1_30default_config_static_selectorELNS0_4arch9wavefront6targetE1EEEvT1_,"axG",@progbits,_ZN7rocprim17ROCPRIM_400000_NS6detail17trampoline_kernelINS0_14default_configENS1_25partition_config_selectorILNS1_17partition_subalgoE1EjNS0_10empty_typeEbEEZZNS1_14partition_implILS5_1ELb0ES3_jN6thrust23THRUST_200600_302600_NS6detail15normal_iteratorINSA_10device_ptrIjEEEEPS6_NSA_18transform_iteratorI7is_evenIjESF_NSA_11use_defaultESK_EENS0_5tupleIJNSA_16discard_iteratorISK_EESO_EEENSM_IJSG_SG_EEES6_PlJS6_EEE10hipError_tPvRmT3_T4_T5_T6_T7_T9_mT8_P12ihipStream_tbDpT10_ENKUlT_T0_E_clISt17integral_constantIbLb1EES1B_EEDaS16_S17_EUlS16_E_NS1_11comp_targetILNS1_3genE3ELNS1_11target_archE908ELNS1_3gpuE7ELNS1_3repE0EEENS1_30default_config_static_selectorELNS0_4arch9wavefront6targetE1EEEvT1_,comdat
.Lfunc_end2982:
	.size	_ZN7rocprim17ROCPRIM_400000_NS6detail17trampoline_kernelINS0_14default_configENS1_25partition_config_selectorILNS1_17partition_subalgoE1EjNS0_10empty_typeEbEEZZNS1_14partition_implILS5_1ELb0ES3_jN6thrust23THRUST_200600_302600_NS6detail15normal_iteratorINSA_10device_ptrIjEEEEPS6_NSA_18transform_iteratorI7is_evenIjESF_NSA_11use_defaultESK_EENS0_5tupleIJNSA_16discard_iteratorISK_EESO_EEENSM_IJSG_SG_EEES6_PlJS6_EEE10hipError_tPvRmT3_T4_T5_T6_T7_T9_mT8_P12ihipStream_tbDpT10_ENKUlT_T0_E_clISt17integral_constantIbLb1EES1B_EEDaS16_S17_EUlS16_E_NS1_11comp_targetILNS1_3genE3ELNS1_11target_archE908ELNS1_3gpuE7ELNS1_3repE0EEENS1_30default_config_static_selectorELNS0_4arch9wavefront6targetE1EEEvT1_, .Lfunc_end2982-_ZN7rocprim17ROCPRIM_400000_NS6detail17trampoline_kernelINS0_14default_configENS1_25partition_config_selectorILNS1_17partition_subalgoE1EjNS0_10empty_typeEbEEZZNS1_14partition_implILS5_1ELb0ES3_jN6thrust23THRUST_200600_302600_NS6detail15normal_iteratorINSA_10device_ptrIjEEEEPS6_NSA_18transform_iteratorI7is_evenIjESF_NSA_11use_defaultESK_EENS0_5tupleIJNSA_16discard_iteratorISK_EESO_EEENSM_IJSG_SG_EEES6_PlJS6_EEE10hipError_tPvRmT3_T4_T5_T6_T7_T9_mT8_P12ihipStream_tbDpT10_ENKUlT_T0_E_clISt17integral_constantIbLb1EES1B_EEDaS16_S17_EUlS16_E_NS1_11comp_targetILNS1_3genE3ELNS1_11target_archE908ELNS1_3gpuE7ELNS1_3repE0EEENS1_30default_config_static_selectorELNS0_4arch9wavefront6targetE1EEEvT1_
                                        ; -- End function
	.section	.AMDGPU.csdata,"",@progbits
; Kernel info:
; codeLenInByte = 0
; NumSgprs: 4
; NumVgprs: 0
; NumAgprs: 0
; TotalNumVgprs: 0
; ScratchSize: 0
; MemoryBound: 0
; FloatMode: 240
; IeeeMode: 1
; LDSByteSize: 0 bytes/workgroup (compile time only)
; SGPRBlocks: 0
; VGPRBlocks: 0
; NumSGPRsForWavesPerEU: 4
; NumVGPRsForWavesPerEU: 1
; AccumOffset: 4
; Occupancy: 8
; WaveLimiterHint : 0
; COMPUTE_PGM_RSRC2:SCRATCH_EN: 0
; COMPUTE_PGM_RSRC2:USER_SGPR: 6
; COMPUTE_PGM_RSRC2:TRAP_HANDLER: 0
; COMPUTE_PGM_RSRC2:TGID_X_EN: 1
; COMPUTE_PGM_RSRC2:TGID_Y_EN: 0
; COMPUTE_PGM_RSRC2:TGID_Z_EN: 0
; COMPUTE_PGM_RSRC2:TIDIG_COMP_CNT: 0
; COMPUTE_PGM_RSRC3_GFX90A:ACCUM_OFFSET: 0
; COMPUTE_PGM_RSRC3_GFX90A:TG_SPLIT: 0
	.section	.text._ZN7rocprim17ROCPRIM_400000_NS6detail17trampoline_kernelINS0_14default_configENS1_25partition_config_selectorILNS1_17partition_subalgoE1EjNS0_10empty_typeEbEEZZNS1_14partition_implILS5_1ELb0ES3_jN6thrust23THRUST_200600_302600_NS6detail15normal_iteratorINSA_10device_ptrIjEEEEPS6_NSA_18transform_iteratorI7is_evenIjESF_NSA_11use_defaultESK_EENS0_5tupleIJNSA_16discard_iteratorISK_EESO_EEENSM_IJSG_SG_EEES6_PlJS6_EEE10hipError_tPvRmT3_T4_T5_T6_T7_T9_mT8_P12ihipStream_tbDpT10_ENKUlT_T0_E_clISt17integral_constantIbLb1EES1B_EEDaS16_S17_EUlS16_E_NS1_11comp_targetILNS1_3genE2ELNS1_11target_archE906ELNS1_3gpuE6ELNS1_3repE0EEENS1_30default_config_static_selectorELNS0_4arch9wavefront6targetE1EEEvT1_,"axG",@progbits,_ZN7rocprim17ROCPRIM_400000_NS6detail17trampoline_kernelINS0_14default_configENS1_25partition_config_selectorILNS1_17partition_subalgoE1EjNS0_10empty_typeEbEEZZNS1_14partition_implILS5_1ELb0ES3_jN6thrust23THRUST_200600_302600_NS6detail15normal_iteratorINSA_10device_ptrIjEEEEPS6_NSA_18transform_iteratorI7is_evenIjESF_NSA_11use_defaultESK_EENS0_5tupleIJNSA_16discard_iteratorISK_EESO_EEENSM_IJSG_SG_EEES6_PlJS6_EEE10hipError_tPvRmT3_T4_T5_T6_T7_T9_mT8_P12ihipStream_tbDpT10_ENKUlT_T0_E_clISt17integral_constantIbLb1EES1B_EEDaS16_S17_EUlS16_E_NS1_11comp_targetILNS1_3genE2ELNS1_11target_archE906ELNS1_3gpuE6ELNS1_3repE0EEENS1_30default_config_static_selectorELNS0_4arch9wavefront6targetE1EEEvT1_,comdat
	.protected	_ZN7rocprim17ROCPRIM_400000_NS6detail17trampoline_kernelINS0_14default_configENS1_25partition_config_selectorILNS1_17partition_subalgoE1EjNS0_10empty_typeEbEEZZNS1_14partition_implILS5_1ELb0ES3_jN6thrust23THRUST_200600_302600_NS6detail15normal_iteratorINSA_10device_ptrIjEEEEPS6_NSA_18transform_iteratorI7is_evenIjESF_NSA_11use_defaultESK_EENS0_5tupleIJNSA_16discard_iteratorISK_EESO_EEENSM_IJSG_SG_EEES6_PlJS6_EEE10hipError_tPvRmT3_T4_T5_T6_T7_T9_mT8_P12ihipStream_tbDpT10_ENKUlT_T0_E_clISt17integral_constantIbLb1EES1B_EEDaS16_S17_EUlS16_E_NS1_11comp_targetILNS1_3genE2ELNS1_11target_archE906ELNS1_3gpuE6ELNS1_3repE0EEENS1_30default_config_static_selectorELNS0_4arch9wavefront6targetE1EEEvT1_ ; -- Begin function _ZN7rocprim17ROCPRIM_400000_NS6detail17trampoline_kernelINS0_14default_configENS1_25partition_config_selectorILNS1_17partition_subalgoE1EjNS0_10empty_typeEbEEZZNS1_14partition_implILS5_1ELb0ES3_jN6thrust23THRUST_200600_302600_NS6detail15normal_iteratorINSA_10device_ptrIjEEEEPS6_NSA_18transform_iteratorI7is_evenIjESF_NSA_11use_defaultESK_EENS0_5tupleIJNSA_16discard_iteratorISK_EESO_EEENSM_IJSG_SG_EEES6_PlJS6_EEE10hipError_tPvRmT3_T4_T5_T6_T7_T9_mT8_P12ihipStream_tbDpT10_ENKUlT_T0_E_clISt17integral_constantIbLb1EES1B_EEDaS16_S17_EUlS16_E_NS1_11comp_targetILNS1_3genE2ELNS1_11target_archE906ELNS1_3gpuE6ELNS1_3repE0EEENS1_30default_config_static_selectorELNS0_4arch9wavefront6targetE1EEEvT1_
	.globl	_ZN7rocprim17ROCPRIM_400000_NS6detail17trampoline_kernelINS0_14default_configENS1_25partition_config_selectorILNS1_17partition_subalgoE1EjNS0_10empty_typeEbEEZZNS1_14partition_implILS5_1ELb0ES3_jN6thrust23THRUST_200600_302600_NS6detail15normal_iteratorINSA_10device_ptrIjEEEEPS6_NSA_18transform_iteratorI7is_evenIjESF_NSA_11use_defaultESK_EENS0_5tupleIJNSA_16discard_iteratorISK_EESO_EEENSM_IJSG_SG_EEES6_PlJS6_EEE10hipError_tPvRmT3_T4_T5_T6_T7_T9_mT8_P12ihipStream_tbDpT10_ENKUlT_T0_E_clISt17integral_constantIbLb1EES1B_EEDaS16_S17_EUlS16_E_NS1_11comp_targetILNS1_3genE2ELNS1_11target_archE906ELNS1_3gpuE6ELNS1_3repE0EEENS1_30default_config_static_selectorELNS0_4arch9wavefront6targetE1EEEvT1_
	.p2align	8
	.type	_ZN7rocprim17ROCPRIM_400000_NS6detail17trampoline_kernelINS0_14default_configENS1_25partition_config_selectorILNS1_17partition_subalgoE1EjNS0_10empty_typeEbEEZZNS1_14partition_implILS5_1ELb0ES3_jN6thrust23THRUST_200600_302600_NS6detail15normal_iteratorINSA_10device_ptrIjEEEEPS6_NSA_18transform_iteratorI7is_evenIjESF_NSA_11use_defaultESK_EENS0_5tupleIJNSA_16discard_iteratorISK_EESO_EEENSM_IJSG_SG_EEES6_PlJS6_EEE10hipError_tPvRmT3_T4_T5_T6_T7_T9_mT8_P12ihipStream_tbDpT10_ENKUlT_T0_E_clISt17integral_constantIbLb1EES1B_EEDaS16_S17_EUlS16_E_NS1_11comp_targetILNS1_3genE2ELNS1_11target_archE906ELNS1_3gpuE6ELNS1_3repE0EEENS1_30default_config_static_selectorELNS0_4arch9wavefront6targetE1EEEvT1_,@function
_ZN7rocprim17ROCPRIM_400000_NS6detail17trampoline_kernelINS0_14default_configENS1_25partition_config_selectorILNS1_17partition_subalgoE1EjNS0_10empty_typeEbEEZZNS1_14partition_implILS5_1ELb0ES3_jN6thrust23THRUST_200600_302600_NS6detail15normal_iteratorINSA_10device_ptrIjEEEEPS6_NSA_18transform_iteratorI7is_evenIjESF_NSA_11use_defaultESK_EENS0_5tupleIJNSA_16discard_iteratorISK_EESO_EEENSM_IJSG_SG_EEES6_PlJS6_EEE10hipError_tPvRmT3_T4_T5_T6_T7_T9_mT8_P12ihipStream_tbDpT10_ENKUlT_T0_E_clISt17integral_constantIbLb1EES1B_EEDaS16_S17_EUlS16_E_NS1_11comp_targetILNS1_3genE2ELNS1_11target_archE906ELNS1_3gpuE6ELNS1_3repE0EEENS1_30default_config_static_selectorELNS0_4arch9wavefront6targetE1EEEvT1_: ; @_ZN7rocprim17ROCPRIM_400000_NS6detail17trampoline_kernelINS0_14default_configENS1_25partition_config_selectorILNS1_17partition_subalgoE1EjNS0_10empty_typeEbEEZZNS1_14partition_implILS5_1ELb0ES3_jN6thrust23THRUST_200600_302600_NS6detail15normal_iteratorINSA_10device_ptrIjEEEEPS6_NSA_18transform_iteratorI7is_evenIjESF_NSA_11use_defaultESK_EENS0_5tupleIJNSA_16discard_iteratorISK_EESO_EEENSM_IJSG_SG_EEES6_PlJS6_EEE10hipError_tPvRmT3_T4_T5_T6_T7_T9_mT8_P12ihipStream_tbDpT10_ENKUlT_T0_E_clISt17integral_constantIbLb1EES1B_EEDaS16_S17_EUlS16_E_NS1_11comp_targetILNS1_3genE2ELNS1_11target_archE906ELNS1_3gpuE6ELNS1_3repE0EEENS1_30default_config_static_selectorELNS0_4arch9wavefront6targetE1EEEvT1_
; %bb.0:
	.section	.rodata,"a",@progbits
	.p2align	6, 0x0
	.amdhsa_kernel _ZN7rocprim17ROCPRIM_400000_NS6detail17trampoline_kernelINS0_14default_configENS1_25partition_config_selectorILNS1_17partition_subalgoE1EjNS0_10empty_typeEbEEZZNS1_14partition_implILS5_1ELb0ES3_jN6thrust23THRUST_200600_302600_NS6detail15normal_iteratorINSA_10device_ptrIjEEEEPS6_NSA_18transform_iteratorI7is_evenIjESF_NSA_11use_defaultESK_EENS0_5tupleIJNSA_16discard_iteratorISK_EESO_EEENSM_IJSG_SG_EEES6_PlJS6_EEE10hipError_tPvRmT3_T4_T5_T6_T7_T9_mT8_P12ihipStream_tbDpT10_ENKUlT_T0_E_clISt17integral_constantIbLb1EES1B_EEDaS16_S17_EUlS16_E_NS1_11comp_targetILNS1_3genE2ELNS1_11target_archE906ELNS1_3gpuE6ELNS1_3repE0EEENS1_30default_config_static_selectorELNS0_4arch9wavefront6targetE1EEEvT1_
		.amdhsa_group_segment_fixed_size 0
		.amdhsa_private_segment_fixed_size 0
		.amdhsa_kernarg_size 160
		.amdhsa_user_sgpr_count 6
		.amdhsa_user_sgpr_private_segment_buffer 1
		.amdhsa_user_sgpr_dispatch_ptr 0
		.amdhsa_user_sgpr_queue_ptr 0
		.amdhsa_user_sgpr_kernarg_segment_ptr 1
		.amdhsa_user_sgpr_dispatch_id 0
		.amdhsa_user_sgpr_flat_scratch_init 0
		.amdhsa_user_sgpr_kernarg_preload_length 0
		.amdhsa_user_sgpr_kernarg_preload_offset 0
		.amdhsa_user_sgpr_private_segment_size 0
		.amdhsa_uses_dynamic_stack 0
		.amdhsa_system_sgpr_private_segment_wavefront_offset 0
		.amdhsa_system_sgpr_workgroup_id_x 1
		.amdhsa_system_sgpr_workgroup_id_y 0
		.amdhsa_system_sgpr_workgroup_id_z 0
		.amdhsa_system_sgpr_workgroup_info 0
		.amdhsa_system_vgpr_workitem_id 0
		.amdhsa_next_free_vgpr 1
		.amdhsa_next_free_sgpr 0
		.amdhsa_accum_offset 4
		.amdhsa_reserve_vcc 0
		.amdhsa_reserve_flat_scratch 0
		.amdhsa_float_round_mode_32 0
		.amdhsa_float_round_mode_16_64 0
		.amdhsa_float_denorm_mode_32 3
		.amdhsa_float_denorm_mode_16_64 3
		.amdhsa_dx10_clamp 1
		.amdhsa_ieee_mode 1
		.amdhsa_fp16_overflow 0
		.amdhsa_tg_split 0
		.amdhsa_exception_fp_ieee_invalid_op 0
		.amdhsa_exception_fp_denorm_src 0
		.amdhsa_exception_fp_ieee_div_zero 0
		.amdhsa_exception_fp_ieee_overflow 0
		.amdhsa_exception_fp_ieee_underflow 0
		.amdhsa_exception_fp_ieee_inexact 0
		.amdhsa_exception_int_div_zero 0
	.end_amdhsa_kernel
	.section	.text._ZN7rocprim17ROCPRIM_400000_NS6detail17trampoline_kernelINS0_14default_configENS1_25partition_config_selectorILNS1_17partition_subalgoE1EjNS0_10empty_typeEbEEZZNS1_14partition_implILS5_1ELb0ES3_jN6thrust23THRUST_200600_302600_NS6detail15normal_iteratorINSA_10device_ptrIjEEEEPS6_NSA_18transform_iteratorI7is_evenIjESF_NSA_11use_defaultESK_EENS0_5tupleIJNSA_16discard_iteratorISK_EESO_EEENSM_IJSG_SG_EEES6_PlJS6_EEE10hipError_tPvRmT3_T4_T5_T6_T7_T9_mT8_P12ihipStream_tbDpT10_ENKUlT_T0_E_clISt17integral_constantIbLb1EES1B_EEDaS16_S17_EUlS16_E_NS1_11comp_targetILNS1_3genE2ELNS1_11target_archE906ELNS1_3gpuE6ELNS1_3repE0EEENS1_30default_config_static_selectorELNS0_4arch9wavefront6targetE1EEEvT1_,"axG",@progbits,_ZN7rocprim17ROCPRIM_400000_NS6detail17trampoline_kernelINS0_14default_configENS1_25partition_config_selectorILNS1_17partition_subalgoE1EjNS0_10empty_typeEbEEZZNS1_14partition_implILS5_1ELb0ES3_jN6thrust23THRUST_200600_302600_NS6detail15normal_iteratorINSA_10device_ptrIjEEEEPS6_NSA_18transform_iteratorI7is_evenIjESF_NSA_11use_defaultESK_EENS0_5tupleIJNSA_16discard_iteratorISK_EESO_EEENSM_IJSG_SG_EEES6_PlJS6_EEE10hipError_tPvRmT3_T4_T5_T6_T7_T9_mT8_P12ihipStream_tbDpT10_ENKUlT_T0_E_clISt17integral_constantIbLb1EES1B_EEDaS16_S17_EUlS16_E_NS1_11comp_targetILNS1_3genE2ELNS1_11target_archE906ELNS1_3gpuE6ELNS1_3repE0EEENS1_30default_config_static_selectorELNS0_4arch9wavefront6targetE1EEEvT1_,comdat
.Lfunc_end2983:
	.size	_ZN7rocprim17ROCPRIM_400000_NS6detail17trampoline_kernelINS0_14default_configENS1_25partition_config_selectorILNS1_17partition_subalgoE1EjNS0_10empty_typeEbEEZZNS1_14partition_implILS5_1ELb0ES3_jN6thrust23THRUST_200600_302600_NS6detail15normal_iteratorINSA_10device_ptrIjEEEEPS6_NSA_18transform_iteratorI7is_evenIjESF_NSA_11use_defaultESK_EENS0_5tupleIJNSA_16discard_iteratorISK_EESO_EEENSM_IJSG_SG_EEES6_PlJS6_EEE10hipError_tPvRmT3_T4_T5_T6_T7_T9_mT8_P12ihipStream_tbDpT10_ENKUlT_T0_E_clISt17integral_constantIbLb1EES1B_EEDaS16_S17_EUlS16_E_NS1_11comp_targetILNS1_3genE2ELNS1_11target_archE906ELNS1_3gpuE6ELNS1_3repE0EEENS1_30default_config_static_selectorELNS0_4arch9wavefront6targetE1EEEvT1_, .Lfunc_end2983-_ZN7rocprim17ROCPRIM_400000_NS6detail17trampoline_kernelINS0_14default_configENS1_25partition_config_selectorILNS1_17partition_subalgoE1EjNS0_10empty_typeEbEEZZNS1_14partition_implILS5_1ELb0ES3_jN6thrust23THRUST_200600_302600_NS6detail15normal_iteratorINSA_10device_ptrIjEEEEPS6_NSA_18transform_iteratorI7is_evenIjESF_NSA_11use_defaultESK_EENS0_5tupleIJNSA_16discard_iteratorISK_EESO_EEENSM_IJSG_SG_EEES6_PlJS6_EEE10hipError_tPvRmT3_T4_T5_T6_T7_T9_mT8_P12ihipStream_tbDpT10_ENKUlT_T0_E_clISt17integral_constantIbLb1EES1B_EEDaS16_S17_EUlS16_E_NS1_11comp_targetILNS1_3genE2ELNS1_11target_archE906ELNS1_3gpuE6ELNS1_3repE0EEENS1_30default_config_static_selectorELNS0_4arch9wavefront6targetE1EEEvT1_
                                        ; -- End function
	.section	.AMDGPU.csdata,"",@progbits
; Kernel info:
; codeLenInByte = 0
; NumSgprs: 4
; NumVgprs: 0
; NumAgprs: 0
; TotalNumVgprs: 0
; ScratchSize: 0
; MemoryBound: 0
; FloatMode: 240
; IeeeMode: 1
; LDSByteSize: 0 bytes/workgroup (compile time only)
; SGPRBlocks: 0
; VGPRBlocks: 0
; NumSGPRsForWavesPerEU: 4
; NumVGPRsForWavesPerEU: 1
; AccumOffset: 4
; Occupancy: 8
; WaveLimiterHint : 0
; COMPUTE_PGM_RSRC2:SCRATCH_EN: 0
; COMPUTE_PGM_RSRC2:USER_SGPR: 6
; COMPUTE_PGM_RSRC2:TRAP_HANDLER: 0
; COMPUTE_PGM_RSRC2:TGID_X_EN: 1
; COMPUTE_PGM_RSRC2:TGID_Y_EN: 0
; COMPUTE_PGM_RSRC2:TGID_Z_EN: 0
; COMPUTE_PGM_RSRC2:TIDIG_COMP_CNT: 0
; COMPUTE_PGM_RSRC3_GFX90A:ACCUM_OFFSET: 0
; COMPUTE_PGM_RSRC3_GFX90A:TG_SPLIT: 0
	.section	.text._ZN7rocprim17ROCPRIM_400000_NS6detail17trampoline_kernelINS0_14default_configENS1_25partition_config_selectorILNS1_17partition_subalgoE1EjNS0_10empty_typeEbEEZZNS1_14partition_implILS5_1ELb0ES3_jN6thrust23THRUST_200600_302600_NS6detail15normal_iteratorINSA_10device_ptrIjEEEEPS6_NSA_18transform_iteratorI7is_evenIjESF_NSA_11use_defaultESK_EENS0_5tupleIJNSA_16discard_iteratorISK_EESO_EEENSM_IJSG_SG_EEES6_PlJS6_EEE10hipError_tPvRmT3_T4_T5_T6_T7_T9_mT8_P12ihipStream_tbDpT10_ENKUlT_T0_E_clISt17integral_constantIbLb1EES1B_EEDaS16_S17_EUlS16_E_NS1_11comp_targetILNS1_3genE10ELNS1_11target_archE1200ELNS1_3gpuE4ELNS1_3repE0EEENS1_30default_config_static_selectorELNS0_4arch9wavefront6targetE1EEEvT1_,"axG",@progbits,_ZN7rocprim17ROCPRIM_400000_NS6detail17trampoline_kernelINS0_14default_configENS1_25partition_config_selectorILNS1_17partition_subalgoE1EjNS0_10empty_typeEbEEZZNS1_14partition_implILS5_1ELb0ES3_jN6thrust23THRUST_200600_302600_NS6detail15normal_iteratorINSA_10device_ptrIjEEEEPS6_NSA_18transform_iteratorI7is_evenIjESF_NSA_11use_defaultESK_EENS0_5tupleIJNSA_16discard_iteratorISK_EESO_EEENSM_IJSG_SG_EEES6_PlJS6_EEE10hipError_tPvRmT3_T4_T5_T6_T7_T9_mT8_P12ihipStream_tbDpT10_ENKUlT_T0_E_clISt17integral_constantIbLb1EES1B_EEDaS16_S17_EUlS16_E_NS1_11comp_targetILNS1_3genE10ELNS1_11target_archE1200ELNS1_3gpuE4ELNS1_3repE0EEENS1_30default_config_static_selectorELNS0_4arch9wavefront6targetE1EEEvT1_,comdat
	.protected	_ZN7rocprim17ROCPRIM_400000_NS6detail17trampoline_kernelINS0_14default_configENS1_25partition_config_selectorILNS1_17partition_subalgoE1EjNS0_10empty_typeEbEEZZNS1_14partition_implILS5_1ELb0ES3_jN6thrust23THRUST_200600_302600_NS6detail15normal_iteratorINSA_10device_ptrIjEEEEPS6_NSA_18transform_iteratorI7is_evenIjESF_NSA_11use_defaultESK_EENS0_5tupleIJNSA_16discard_iteratorISK_EESO_EEENSM_IJSG_SG_EEES6_PlJS6_EEE10hipError_tPvRmT3_T4_T5_T6_T7_T9_mT8_P12ihipStream_tbDpT10_ENKUlT_T0_E_clISt17integral_constantIbLb1EES1B_EEDaS16_S17_EUlS16_E_NS1_11comp_targetILNS1_3genE10ELNS1_11target_archE1200ELNS1_3gpuE4ELNS1_3repE0EEENS1_30default_config_static_selectorELNS0_4arch9wavefront6targetE1EEEvT1_ ; -- Begin function _ZN7rocprim17ROCPRIM_400000_NS6detail17trampoline_kernelINS0_14default_configENS1_25partition_config_selectorILNS1_17partition_subalgoE1EjNS0_10empty_typeEbEEZZNS1_14partition_implILS5_1ELb0ES3_jN6thrust23THRUST_200600_302600_NS6detail15normal_iteratorINSA_10device_ptrIjEEEEPS6_NSA_18transform_iteratorI7is_evenIjESF_NSA_11use_defaultESK_EENS0_5tupleIJNSA_16discard_iteratorISK_EESO_EEENSM_IJSG_SG_EEES6_PlJS6_EEE10hipError_tPvRmT3_T4_T5_T6_T7_T9_mT8_P12ihipStream_tbDpT10_ENKUlT_T0_E_clISt17integral_constantIbLb1EES1B_EEDaS16_S17_EUlS16_E_NS1_11comp_targetILNS1_3genE10ELNS1_11target_archE1200ELNS1_3gpuE4ELNS1_3repE0EEENS1_30default_config_static_selectorELNS0_4arch9wavefront6targetE1EEEvT1_
	.globl	_ZN7rocprim17ROCPRIM_400000_NS6detail17trampoline_kernelINS0_14default_configENS1_25partition_config_selectorILNS1_17partition_subalgoE1EjNS0_10empty_typeEbEEZZNS1_14partition_implILS5_1ELb0ES3_jN6thrust23THRUST_200600_302600_NS6detail15normal_iteratorINSA_10device_ptrIjEEEEPS6_NSA_18transform_iteratorI7is_evenIjESF_NSA_11use_defaultESK_EENS0_5tupleIJNSA_16discard_iteratorISK_EESO_EEENSM_IJSG_SG_EEES6_PlJS6_EEE10hipError_tPvRmT3_T4_T5_T6_T7_T9_mT8_P12ihipStream_tbDpT10_ENKUlT_T0_E_clISt17integral_constantIbLb1EES1B_EEDaS16_S17_EUlS16_E_NS1_11comp_targetILNS1_3genE10ELNS1_11target_archE1200ELNS1_3gpuE4ELNS1_3repE0EEENS1_30default_config_static_selectorELNS0_4arch9wavefront6targetE1EEEvT1_
	.p2align	8
	.type	_ZN7rocprim17ROCPRIM_400000_NS6detail17trampoline_kernelINS0_14default_configENS1_25partition_config_selectorILNS1_17partition_subalgoE1EjNS0_10empty_typeEbEEZZNS1_14partition_implILS5_1ELb0ES3_jN6thrust23THRUST_200600_302600_NS6detail15normal_iteratorINSA_10device_ptrIjEEEEPS6_NSA_18transform_iteratorI7is_evenIjESF_NSA_11use_defaultESK_EENS0_5tupleIJNSA_16discard_iteratorISK_EESO_EEENSM_IJSG_SG_EEES6_PlJS6_EEE10hipError_tPvRmT3_T4_T5_T6_T7_T9_mT8_P12ihipStream_tbDpT10_ENKUlT_T0_E_clISt17integral_constantIbLb1EES1B_EEDaS16_S17_EUlS16_E_NS1_11comp_targetILNS1_3genE10ELNS1_11target_archE1200ELNS1_3gpuE4ELNS1_3repE0EEENS1_30default_config_static_selectorELNS0_4arch9wavefront6targetE1EEEvT1_,@function
_ZN7rocprim17ROCPRIM_400000_NS6detail17trampoline_kernelINS0_14default_configENS1_25partition_config_selectorILNS1_17partition_subalgoE1EjNS0_10empty_typeEbEEZZNS1_14partition_implILS5_1ELb0ES3_jN6thrust23THRUST_200600_302600_NS6detail15normal_iteratorINSA_10device_ptrIjEEEEPS6_NSA_18transform_iteratorI7is_evenIjESF_NSA_11use_defaultESK_EENS0_5tupleIJNSA_16discard_iteratorISK_EESO_EEENSM_IJSG_SG_EEES6_PlJS6_EEE10hipError_tPvRmT3_T4_T5_T6_T7_T9_mT8_P12ihipStream_tbDpT10_ENKUlT_T0_E_clISt17integral_constantIbLb1EES1B_EEDaS16_S17_EUlS16_E_NS1_11comp_targetILNS1_3genE10ELNS1_11target_archE1200ELNS1_3gpuE4ELNS1_3repE0EEENS1_30default_config_static_selectorELNS0_4arch9wavefront6targetE1EEEvT1_: ; @_ZN7rocprim17ROCPRIM_400000_NS6detail17trampoline_kernelINS0_14default_configENS1_25partition_config_selectorILNS1_17partition_subalgoE1EjNS0_10empty_typeEbEEZZNS1_14partition_implILS5_1ELb0ES3_jN6thrust23THRUST_200600_302600_NS6detail15normal_iteratorINSA_10device_ptrIjEEEEPS6_NSA_18transform_iteratorI7is_evenIjESF_NSA_11use_defaultESK_EENS0_5tupleIJNSA_16discard_iteratorISK_EESO_EEENSM_IJSG_SG_EEES6_PlJS6_EEE10hipError_tPvRmT3_T4_T5_T6_T7_T9_mT8_P12ihipStream_tbDpT10_ENKUlT_T0_E_clISt17integral_constantIbLb1EES1B_EEDaS16_S17_EUlS16_E_NS1_11comp_targetILNS1_3genE10ELNS1_11target_archE1200ELNS1_3gpuE4ELNS1_3repE0EEENS1_30default_config_static_selectorELNS0_4arch9wavefront6targetE1EEEvT1_
; %bb.0:
	.section	.rodata,"a",@progbits
	.p2align	6, 0x0
	.amdhsa_kernel _ZN7rocprim17ROCPRIM_400000_NS6detail17trampoline_kernelINS0_14default_configENS1_25partition_config_selectorILNS1_17partition_subalgoE1EjNS0_10empty_typeEbEEZZNS1_14partition_implILS5_1ELb0ES3_jN6thrust23THRUST_200600_302600_NS6detail15normal_iteratorINSA_10device_ptrIjEEEEPS6_NSA_18transform_iteratorI7is_evenIjESF_NSA_11use_defaultESK_EENS0_5tupleIJNSA_16discard_iteratorISK_EESO_EEENSM_IJSG_SG_EEES6_PlJS6_EEE10hipError_tPvRmT3_T4_T5_T6_T7_T9_mT8_P12ihipStream_tbDpT10_ENKUlT_T0_E_clISt17integral_constantIbLb1EES1B_EEDaS16_S17_EUlS16_E_NS1_11comp_targetILNS1_3genE10ELNS1_11target_archE1200ELNS1_3gpuE4ELNS1_3repE0EEENS1_30default_config_static_selectorELNS0_4arch9wavefront6targetE1EEEvT1_
		.amdhsa_group_segment_fixed_size 0
		.amdhsa_private_segment_fixed_size 0
		.amdhsa_kernarg_size 160
		.amdhsa_user_sgpr_count 6
		.amdhsa_user_sgpr_private_segment_buffer 1
		.amdhsa_user_sgpr_dispatch_ptr 0
		.amdhsa_user_sgpr_queue_ptr 0
		.amdhsa_user_sgpr_kernarg_segment_ptr 1
		.amdhsa_user_sgpr_dispatch_id 0
		.amdhsa_user_sgpr_flat_scratch_init 0
		.amdhsa_user_sgpr_kernarg_preload_length 0
		.amdhsa_user_sgpr_kernarg_preload_offset 0
		.amdhsa_user_sgpr_private_segment_size 0
		.amdhsa_uses_dynamic_stack 0
		.amdhsa_system_sgpr_private_segment_wavefront_offset 0
		.amdhsa_system_sgpr_workgroup_id_x 1
		.amdhsa_system_sgpr_workgroup_id_y 0
		.amdhsa_system_sgpr_workgroup_id_z 0
		.amdhsa_system_sgpr_workgroup_info 0
		.amdhsa_system_vgpr_workitem_id 0
		.amdhsa_next_free_vgpr 1
		.amdhsa_next_free_sgpr 0
		.amdhsa_accum_offset 4
		.amdhsa_reserve_vcc 0
		.amdhsa_reserve_flat_scratch 0
		.amdhsa_float_round_mode_32 0
		.amdhsa_float_round_mode_16_64 0
		.amdhsa_float_denorm_mode_32 3
		.amdhsa_float_denorm_mode_16_64 3
		.amdhsa_dx10_clamp 1
		.amdhsa_ieee_mode 1
		.amdhsa_fp16_overflow 0
		.amdhsa_tg_split 0
		.amdhsa_exception_fp_ieee_invalid_op 0
		.amdhsa_exception_fp_denorm_src 0
		.amdhsa_exception_fp_ieee_div_zero 0
		.amdhsa_exception_fp_ieee_overflow 0
		.amdhsa_exception_fp_ieee_underflow 0
		.amdhsa_exception_fp_ieee_inexact 0
		.amdhsa_exception_int_div_zero 0
	.end_amdhsa_kernel
	.section	.text._ZN7rocprim17ROCPRIM_400000_NS6detail17trampoline_kernelINS0_14default_configENS1_25partition_config_selectorILNS1_17partition_subalgoE1EjNS0_10empty_typeEbEEZZNS1_14partition_implILS5_1ELb0ES3_jN6thrust23THRUST_200600_302600_NS6detail15normal_iteratorINSA_10device_ptrIjEEEEPS6_NSA_18transform_iteratorI7is_evenIjESF_NSA_11use_defaultESK_EENS0_5tupleIJNSA_16discard_iteratorISK_EESO_EEENSM_IJSG_SG_EEES6_PlJS6_EEE10hipError_tPvRmT3_T4_T5_T6_T7_T9_mT8_P12ihipStream_tbDpT10_ENKUlT_T0_E_clISt17integral_constantIbLb1EES1B_EEDaS16_S17_EUlS16_E_NS1_11comp_targetILNS1_3genE10ELNS1_11target_archE1200ELNS1_3gpuE4ELNS1_3repE0EEENS1_30default_config_static_selectorELNS0_4arch9wavefront6targetE1EEEvT1_,"axG",@progbits,_ZN7rocprim17ROCPRIM_400000_NS6detail17trampoline_kernelINS0_14default_configENS1_25partition_config_selectorILNS1_17partition_subalgoE1EjNS0_10empty_typeEbEEZZNS1_14partition_implILS5_1ELb0ES3_jN6thrust23THRUST_200600_302600_NS6detail15normal_iteratorINSA_10device_ptrIjEEEEPS6_NSA_18transform_iteratorI7is_evenIjESF_NSA_11use_defaultESK_EENS0_5tupleIJNSA_16discard_iteratorISK_EESO_EEENSM_IJSG_SG_EEES6_PlJS6_EEE10hipError_tPvRmT3_T4_T5_T6_T7_T9_mT8_P12ihipStream_tbDpT10_ENKUlT_T0_E_clISt17integral_constantIbLb1EES1B_EEDaS16_S17_EUlS16_E_NS1_11comp_targetILNS1_3genE10ELNS1_11target_archE1200ELNS1_3gpuE4ELNS1_3repE0EEENS1_30default_config_static_selectorELNS0_4arch9wavefront6targetE1EEEvT1_,comdat
.Lfunc_end2984:
	.size	_ZN7rocprim17ROCPRIM_400000_NS6detail17trampoline_kernelINS0_14default_configENS1_25partition_config_selectorILNS1_17partition_subalgoE1EjNS0_10empty_typeEbEEZZNS1_14partition_implILS5_1ELb0ES3_jN6thrust23THRUST_200600_302600_NS6detail15normal_iteratorINSA_10device_ptrIjEEEEPS6_NSA_18transform_iteratorI7is_evenIjESF_NSA_11use_defaultESK_EENS0_5tupleIJNSA_16discard_iteratorISK_EESO_EEENSM_IJSG_SG_EEES6_PlJS6_EEE10hipError_tPvRmT3_T4_T5_T6_T7_T9_mT8_P12ihipStream_tbDpT10_ENKUlT_T0_E_clISt17integral_constantIbLb1EES1B_EEDaS16_S17_EUlS16_E_NS1_11comp_targetILNS1_3genE10ELNS1_11target_archE1200ELNS1_3gpuE4ELNS1_3repE0EEENS1_30default_config_static_selectorELNS0_4arch9wavefront6targetE1EEEvT1_, .Lfunc_end2984-_ZN7rocprim17ROCPRIM_400000_NS6detail17trampoline_kernelINS0_14default_configENS1_25partition_config_selectorILNS1_17partition_subalgoE1EjNS0_10empty_typeEbEEZZNS1_14partition_implILS5_1ELb0ES3_jN6thrust23THRUST_200600_302600_NS6detail15normal_iteratorINSA_10device_ptrIjEEEEPS6_NSA_18transform_iteratorI7is_evenIjESF_NSA_11use_defaultESK_EENS0_5tupleIJNSA_16discard_iteratorISK_EESO_EEENSM_IJSG_SG_EEES6_PlJS6_EEE10hipError_tPvRmT3_T4_T5_T6_T7_T9_mT8_P12ihipStream_tbDpT10_ENKUlT_T0_E_clISt17integral_constantIbLb1EES1B_EEDaS16_S17_EUlS16_E_NS1_11comp_targetILNS1_3genE10ELNS1_11target_archE1200ELNS1_3gpuE4ELNS1_3repE0EEENS1_30default_config_static_selectorELNS0_4arch9wavefront6targetE1EEEvT1_
                                        ; -- End function
	.section	.AMDGPU.csdata,"",@progbits
; Kernel info:
; codeLenInByte = 0
; NumSgprs: 4
; NumVgprs: 0
; NumAgprs: 0
; TotalNumVgprs: 0
; ScratchSize: 0
; MemoryBound: 0
; FloatMode: 240
; IeeeMode: 1
; LDSByteSize: 0 bytes/workgroup (compile time only)
; SGPRBlocks: 0
; VGPRBlocks: 0
; NumSGPRsForWavesPerEU: 4
; NumVGPRsForWavesPerEU: 1
; AccumOffset: 4
; Occupancy: 8
; WaveLimiterHint : 0
; COMPUTE_PGM_RSRC2:SCRATCH_EN: 0
; COMPUTE_PGM_RSRC2:USER_SGPR: 6
; COMPUTE_PGM_RSRC2:TRAP_HANDLER: 0
; COMPUTE_PGM_RSRC2:TGID_X_EN: 1
; COMPUTE_PGM_RSRC2:TGID_Y_EN: 0
; COMPUTE_PGM_RSRC2:TGID_Z_EN: 0
; COMPUTE_PGM_RSRC2:TIDIG_COMP_CNT: 0
; COMPUTE_PGM_RSRC3_GFX90A:ACCUM_OFFSET: 0
; COMPUTE_PGM_RSRC3_GFX90A:TG_SPLIT: 0
	.section	.text._ZN7rocprim17ROCPRIM_400000_NS6detail17trampoline_kernelINS0_14default_configENS1_25partition_config_selectorILNS1_17partition_subalgoE1EjNS0_10empty_typeEbEEZZNS1_14partition_implILS5_1ELb0ES3_jN6thrust23THRUST_200600_302600_NS6detail15normal_iteratorINSA_10device_ptrIjEEEEPS6_NSA_18transform_iteratorI7is_evenIjESF_NSA_11use_defaultESK_EENS0_5tupleIJNSA_16discard_iteratorISK_EESO_EEENSM_IJSG_SG_EEES6_PlJS6_EEE10hipError_tPvRmT3_T4_T5_T6_T7_T9_mT8_P12ihipStream_tbDpT10_ENKUlT_T0_E_clISt17integral_constantIbLb1EES1B_EEDaS16_S17_EUlS16_E_NS1_11comp_targetILNS1_3genE9ELNS1_11target_archE1100ELNS1_3gpuE3ELNS1_3repE0EEENS1_30default_config_static_selectorELNS0_4arch9wavefront6targetE1EEEvT1_,"axG",@progbits,_ZN7rocprim17ROCPRIM_400000_NS6detail17trampoline_kernelINS0_14default_configENS1_25partition_config_selectorILNS1_17partition_subalgoE1EjNS0_10empty_typeEbEEZZNS1_14partition_implILS5_1ELb0ES3_jN6thrust23THRUST_200600_302600_NS6detail15normal_iteratorINSA_10device_ptrIjEEEEPS6_NSA_18transform_iteratorI7is_evenIjESF_NSA_11use_defaultESK_EENS0_5tupleIJNSA_16discard_iteratorISK_EESO_EEENSM_IJSG_SG_EEES6_PlJS6_EEE10hipError_tPvRmT3_T4_T5_T6_T7_T9_mT8_P12ihipStream_tbDpT10_ENKUlT_T0_E_clISt17integral_constantIbLb1EES1B_EEDaS16_S17_EUlS16_E_NS1_11comp_targetILNS1_3genE9ELNS1_11target_archE1100ELNS1_3gpuE3ELNS1_3repE0EEENS1_30default_config_static_selectorELNS0_4arch9wavefront6targetE1EEEvT1_,comdat
	.protected	_ZN7rocprim17ROCPRIM_400000_NS6detail17trampoline_kernelINS0_14default_configENS1_25partition_config_selectorILNS1_17partition_subalgoE1EjNS0_10empty_typeEbEEZZNS1_14partition_implILS5_1ELb0ES3_jN6thrust23THRUST_200600_302600_NS6detail15normal_iteratorINSA_10device_ptrIjEEEEPS6_NSA_18transform_iteratorI7is_evenIjESF_NSA_11use_defaultESK_EENS0_5tupleIJNSA_16discard_iteratorISK_EESO_EEENSM_IJSG_SG_EEES6_PlJS6_EEE10hipError_tPvRmT3_T4_T5_T6_T7_T9_mT8_P12ihipStream_tbDpT10_ENKUlT_T0_E_clISt17integral_constantIbLb1EES1B_EEDaS16_S17_EUlS16_E_NS1_11comp_targetILNS1_3genE9ELNS1_11target_archE1100ELNS1_3gpuE3ELNS1_3repE0EEENS1_30default_config_static_selectorELNS0_4arch9wavefront6targetE1EEEvT1_ ; -- Begin function _ZN7rocprim17ROCPRIM_400000_NS6detail17trampoline_kernelINS0_14default_configENS1_25partition_config_selectorILNS1_17partition_subalgoE1EjNS0_10empty_typeEbEEZZNS1_14partition_implILS5_1ELb0ES3_jN6thrust23THRUST_200600_302600_NS6detail15normal_iteratorINSA_10device_ptrIjEEEEPS6_NSA_18transform_iteratorI7is_evenIjESF_NSA_11use_defaultESK_EENS0_5tupleIJNSA_16discard_iteratorISK_EESO_EEENSM_IJSG_SG_EEES6_PlJS6_EEE10hipError_tPvRmT3_T4_T5_T6_T7_T9_mT8_P12ihipStream_tbDpT10_ENKUlT_T0_E_clISt17integral_constantIbLb1EES1B_EEDaS16_S17_EUlS16_E_NS1_11comp_targetILNS1_3genE9ELNS1_11target_archE1100ELNS1_3gpuE3ELNS1_3repE0EEENS1_30default_config_static_selectorELNS0_4arch9wavefront6targetE1EEEvT1_
	.globl	_ZN7rocprim17ROCPRIM_400000_NS6detail17trampoline_kernelINS0_14default_configENS1_25partition_config_selectorILNS1_17partition_subalgoE1EjNS0_10empty_typeEbEEZZNS1_14partition_implILS5_1ELb0ES3_jN6thrust23THRUST_200600_302600_NS6detail15normal_iteratorINSA_10device_ptrIjEEEEPS6_NSA_18transform_iteratorI7is_evenIjESF_NSA_11use_defaultESK_EENS0_5tupleIJNSA_16discard_iteratorISK_EESO_EEENSM_IJSG_SG_EEES6_PlJS6_EEE10hipError_tPvRmT3_T4_T5_T6_T7_T9_mT8_P12ihipStream_tbDpT10_ENKUlT_T0_E_clISt17integral_constantIbLb1EES1B_EEDaS16_S17_EUlS16_E_NS1_11comp_targetILNS1_3genE9ELNS1_11target_archE1100ELNS1_3gpuE3ELNS1_3repE0EEENS1_30default_config_static_selectorELNS0_4arch9wavefront6targetE1EEEvT1_
	.p2align	8
	.type	_ZN7rocprim17ROCPRIM_400000_NS6detail17trampoline_kernelINS0_14default_configENS1_25partition_config_selectorILNS1_17partition_subalgoE1EjNS0_10empty_typeEbEEZZNS1_14partition_implILS5_1ELb0ES3_jN6thrust23THRUST_200600_302600_NS6detail15normal_iteratorINSA_10device_ptrIjEEEEPS6_NSA_18transform_iteratorI7is_evenIjESF_NSA_11use_defaultESK_EENS0_5tupleIJNSA_16discard_iteratorISK_EESO_EEENSM_IJSG_SG_EEES6_PlJS6_EEE10hipError_tPvRmT3_T4_T5_T6_T7_T9_mT8_P12ihipStream_tbDpT10_ENKUlT_T0_E_clISt17integral_constantIbLb1EES1B_EEDaS16_S17_EUlS16_E_NS1_11comp_targetILNS1_3genE9ELNS1_11target_archE1100ELNS1_3gpuE3ELNS1_3repE0EEENS1_30default_config_static_selectorELNS0_4arch9wavefront6targetE1EEEvT1_,@function
_ZN7rocprim17ROCPRIM_400000_NS6detail17trampoline_kernelINS0_14default_configENS1_25partition_config_selectorILNS1_17partition_subalgoE1EjNS0_10empty_typeEbEEZZNS1_14partition_implILS5_1ELb0ES3_jN6thrust23THRUST_200600_302600_NS6detail15normal_iteratorINSA_10device_ptrIjEEEEPS6_NSA_18transform_iteratorI7is_evenIjESF_NSA_11use_defaultESK_EENS0_5tupleIJNSA_16discard_iteratorISK_EESO_EEENSM_IJSG_SG_EEES6_PlJS6_EEE10hipError_tPvRmT3_T4_T5_T6_T7_T9_mT8_P12ihipStream_tbDpT10_ENKUlT_T0_E_clISt17integral_constantIbLb1EES1B_EEDaS16_S17_EUlS16_E_NS1_11comp_targetILNS1_3genE9ELNS1_11target_archE1100ELNS1_3gpuE3ELNS1_3repE0EEENS1_30default_config_static_selectorELNS0_4arch9wavefront6targetE1EEEvT1_: ; @_ZN7rocprim17ROCPRIM_400000_NS6detail17trampoline_kernelINS0_14default_configENS1_25partition_config_selectorILNS1_17partition_subalgoE1EjNS0_10empty_typeEbEEZZNS1_14partition_implILS5_1ELb0ES3_jN6thrust23THRUST_200600_302600_NS6detail15normal_iteratorINSA_10device_ptrIjEEEEPS6_NSA_18transform_iteratorI7is_evenIjESF_NSA_11use_defaultESK_EENS0_5tupleIJNSA_16discard_iteratorISK_EESO_EEENSM_IJSG_SG_EEES6_PlJS6_EEE10hipError_tPvRmT3_T4_T5_T6_T7_T9_mT8_P12ihipStream_tbDpT10_ENKUlT_T0_E_clISt17integral_constantIbLb1EES1B_EEDaS16_S17_EUlS16_E_NS1_11comp_targetILNS1_3genE9ELNS1_11target_archE1100ELNS1_3gpuE3ELNS1_3repE0EEENS1_30default_config_static_selectorELNS0_4arch9wavefront6targetE1EEEvT1_
; %bb.0:
	.section	.rodata,"a",@progbits
	.p2align	6, 0x0
	.amdhsa_kernel _ZN7rocprim17ROCPRIM_400000_NS6detail17trampoline_kernelINS0_14default_configENS1_25partition_config_selectorILNS1_17partition_subalgoE1EjNS0_10empty_typeEbEEZZNS1_14partition_implILS5_1ELb0ES3_jN6thrust23THRUST_200600_302600_NS6detail15normal_iteratorINSA_10device_ptrIjEEEEPS6_NSA_18transform_iteratorI7is_evenIjESF_NSA_11use_defaultESK_EENS0_5tupleIJNSA_16discard_iteratorISK_EESO_EEENSM_IJSG_SG_EEES6_PlJS6_EEE10hipError_tPvRmT3_T4_T5_T6_T7_T9_mT8_P12ihipStream_tbDpT10_ENKUlT_T0_E_clISt17integral_constantIbLb1EES1B_EEDaS16_S17_EUlS16_E_NS1_11comp_targetILNS1_3genE9ELNS1_11target_archE1100ELNS1_3gpuE3ELNS1_3repE0EEENS1_30default_config_static_selectorELNS0_4arch9wavefront6targetE1EEEvT1_
		.amdhsa_group_segment_fixed_size 0
		.amdhsa_private_segment_fixed_size 0
		.amdhsa_kernarg_size 160
		.amdhsa_user_sgpr_count 6
		.amdhsa_user_sgpr_private_segment_buffer 1
		.amdhsa_user_sgpr_dispatch_ptr 0
		.amdhsa_user_sgpr_queue_ptr 0
		.amdhsa_user_sgpr_kernarg_segment_ptr 1
		.amdhsa_user_sgpr_dispatch_id 0
		.amdhsa_user_sgpr_flat_scratch_init 0
		.amdhsa_user_sgpr_kernarg_preload_length 0
		.amdhsa_user_sgpr_kernarg_preload_offset 0
		.amdhsa_user_sgpr_private_segment_size 0
		.amdhsa_uses_dynamic_stack 0
		.amdhsa_system_sgpr_private_segment_wavefront_offset 0
		.amdhsa_system_sgpr_workgroup_id_x 1
		.amdhsa_system_sgpr_workgroup_id_y 0
		.amdhsa_system_sgpr_workgroup_id_z 0
		.amdhsa_system_sgpr_workgroup_info 0
		.amdhsa_system_vgpr_workitem_id 0
		.amdhsa_next_free_vgpr 1
		.amdhsa_next_free_sgpr 0
		.amdhsa_accum_offset 4
		.amdhsa_reserve_vcc 0
		.amdhsa_reserve_flat_scratch 0
		.amdhsa_float_round_mode_32 0
		.amdhsa_float_round_mode_16_64 0
		.amdhsa_float_denorm_mode_32 3
		.amdhsa_float_denorm_mode_16_64 3
		.amdhsa_dx10_clamp 1
		.amdhsa_ieee_mode 1
		.amdhsa_fp16_overflow 0
		.amdhsa_tg_split 0
		.amdhsa_exception_fp_ieee_invalid_op 0
		.amdhsa_exception_fp_denorm_src 0
		.amdhsa_exception_fp_ieee_div_zero 0
		.amdhsa_exception_fp_ieee_overflow 0
		.amdhsa_exception_fp_ieee_underflow 0
		.amdhsa_exception_fp_ieee_inexact 0
		.amdhsa_exception_int_div_zero 0
	.end_amdhsa_kernel
	.section	.text._ZN7rocprim17ROCPRIM_400000_NS6detail17trampoline_kernelINS0_14default_configENS1_25partition_config_selectorILNS1_17partition_subalgoE1EjNS0_10empty_typeEbEEZZNS1_14partition_implILS5_1ELb0ES3_jN6thrust23THRUST_200600_302600_NS6detail15normal_iteratorINSA_10device_ptrIjEEEEPS6_NSA_18transform_iteratorI7is_evenIjESF_NSA_11use_defaultESK_EENS0_5tupleIJNSA_16discard_iteratorISK_EESO_EEENSM_IJSG_SG_EEES6_PlJS6_EEE10hipError_tPvRmT3_T4_T5_T6_T7_T9_mT8_P12ihipStream_tbDpT10_ENKUlT_T0_E_clISt17integral_constantIbLb1EES1B_EEDaS16_S17_EUlS16_E_NS1_11comp_targetILNS1_3genE9ELNS1_11target_archE1100ELNS1_3gpuE3ELNS1_3repE0EEENS1_30default_config_static_selectorELNS0_4arch9wavefront6targetE1EEEvT1_,"axG",@progbits,_ZN7rocprim17ROCPRIM_400000_NS6detail17trampoline_kernelINS0_14default_configENS1_25partition_config_selectorILNS1_17partition_subalgoE1EjNS0_10empty_typeEbEEZZNS1_14partition_implILS5_1ELb0ES3_jN6thrust23THRUST_200600_302600_NS6detail15normal_iteratorINSA_10device_ptrIjEEEEPS6_NSA_18transform_iteratorI7is_evenIjESF_NSA_11use_defaultESK_EENS0_5tupleIJNSA_16discard_iteratorISK_EESO_EEENSM_IJSG_SG_EEES6_PlJS6_EEE10hipError_tPvRmT3_T4_T5_T6_T7_T9_mT8_P12ihipStream_tbDpT10_ENKUlT_T0_E_clISt17integral_constantIbLb1EES1B_EEDaS16_S17_EUlS16_E_NS1_11comp_targetILNS1_3genE9ELNS1_11target_archE1100ELNS1_3gpuE3ELNS1_3repE0EEENS1_30default_config_static_selectorELNS0_4arch9wavefront6targetE1EEEvT1_,comdat
.Lfunc_end2985:
	.size	_ZN7rocprim17ROCPRIM_400000_NS6detail17trampoline_kernelINS0_14default_configENS1_25partition_config_selectorILNS1_17partition_subalgoE1EjNS0_10empty_typeEbEEZZNS1_14partition_implILS5_1ELb0ES3_jN6thrust23THRUST_200600_302600_NS6detail15normal_iteratorINSA_10device_ptrIjEEEEPS6_NSA_18transform_iteratorI7is_evenIjESF_NSA_11use_defaultESK_EENS0_5tupleIJNSA_16discard_iteratorISK_EESO_EEENSM_IJSG_SG_EEES6_PlJS6_EEE10hipError_tPvRmT3_T4_T5_T6_T7_T9_mT8_P12ihipStream_tbDpT10_ENKUlT_T0_E_clISt17integral_constantIbLb1EES1B_EEDaS16_S17_EUlS16_E_NS1_11comp_targetILNS1_3genE9ELNS1_11target_archE1100ELNS1_3gpuE3ELNS1_3repE0EEENS1_30default_config_static_selectorELNS0_4arch9wavefront6targetE1EEEvT1_, .Lfunc_end2985-_ZN7rocprim17ROCPRIM_400000_NS6detail17trampoline_kernelINS0_14default_configENS1_25partition_config_selectorILNS1_17partition_subalgoE1EjNS0_10empty_typeEbEEZZNS1_14partition_implILS5_1ELb0ES3_jN6thrust23THRUST_200600_302600_NS6detail15normal_iteratorINSA_10device_ptrIjEEEEPS6_NSA_18transform_iteratorI7is_evenIjESF_NSA_11use_defaultESK_EENS0_5tupleIJNSA_16discard_iteratorISK_EESO_EEENSM_IJSG_SG_EEES6_PlJS6_EEE10hipError_tPvRmT3_T4_T5_T6_T7_T9_mT8_P12ihipStream_tbDpT10_ENKUlT_T0_E_clISt17integral_constantIbLb1EES1B_EEDaS16_S17_EUlS16_E_NS1_11comp_targetILNS1_3genE9ELNS1_11target_archE1100ELNS1_3gpuE3ELNS1_3repE0EEENS1_30default_config_static_selectorELNS0_4arch9wavefront6targetE1EEEvT1_
                                        ; -- End function
	.section	.AMDGPU.csdata,"",@progbits
; Kernel info:
; codeLenInByte = 0
; NumSgprs: 4
; NumVgprs: 0
; NumAgprs: 0
; TotalNumVgprs: 0
; ScratchSize: 0
; MemoryBound: 0
; FloatMode: 240
; IeeeMode: 1
; LDSByteSize: 0 bytes/workgroup (compile time only)
; SGPRBlocks: 0
; VGPRBlocks: 0
; NumSGPRsForWavesPerEU: 4
; NumVGPRsForWavesPerEU: 1
; AccumOffset: 4
; Occupancy: 8
; WaveLimiterHint : 0
; COMPUTE_PGM_RSRC2:SCRATCH_EN: 0
; COMPUTE_PGM_RSRC2:USER_SGPR: 6
; COMPUTE_PGM_RSRC2:TRAP_HANDLER: 0
; COMPUTE_PGM_RSRC2:TGID_X_EN: 1
; COMPUTE_PGM_RSRC2:TGID_Y_EN: 0
; COMPUTE_PGM_RSRC2:TGID_Z_EN: 0
; COMPUTE_PGM_RSRC2:TIDIG_COMP_CNT: 0
; COMPUTE_PGM_RSRC3_GFX90A:ACCUM_OFFSET: 0
; COMPUTE_PGM_RSRC3_GFX90A:TG_SPLIT: 0
	.section	.text._ZN7rocprim17ROCPRIM_400000_NS6detail17trampoline_kernelINS0_14default_configENS1_25partition_config_selectorILNS1_17partition_subalgoE1EjNS0_10empty_typeEbEEZZNS1_14partition_implILS5_1ELb0ES3_jN6thrust23THRUST_200600_302600_NS6detail15normal_iteratorINSA_10device_ptrIjEEEEPS6_NSA_18transform_iteratorI7is_evenIjESF_NSA_11use_defaultESK_EENS0_5tupleIJNSA_16discard_iteratorISK_EESO_EEENSM_IJSG_SG_EEES6_PlJS6_EEE10hipError_tPvRmT3_T4_T5_T6_T7_T9_mT8_P12ihipStream_tbDpT10_ENKUlT_T0_E_clISt17integral_constantIbLb1EES1B_EEDaS16_S17_EUlS16_E_NS1_11comp_targetILNS1_3genE8ELNS1_11target_archE1030ELNS1_3gpuE2ELNS1_3repE0EEENS1_30default_config_static_selectorELNS0_4arch9wavefront6targetE1EEEvT1_,"axG",@progbits,_ZN7rocprim17ROCPRIM_400000_NS6detail17trampoline_kernelINS0_14default_configENS1_25partition_config_selectorILNS1_17partition_subalgoE1EjNS0_10empty_typeEbEEZZNS1_14partition_implILS5_1ELb0ES3_jN6thrust23THRUST_200600_302600_NS6detail15normal_iteratorINSA_10device_ptrIjEEEEPS6_NSA_18transform_iteratorI7is_evenIjESF_NSA_11use_defaultESK_EENS0_5tupleIJNSA_16discard_iteratorISK_EESO_EEENSM_IJSG_SG_EEES6_PlJS6_EEE10hipError_tPvRmT3_T4_T5_T6_T7_T9_mT8_P12ihipStream_tbDpT10_ENKUlT_T0_E_clISt17integral_constantIbLb1EES1B_EEDaS16_S17_EUlS16_E_NS1_11comp_targetILNS1_3genE8ELNS1_11target_archE1030ELNS1_3gpuE2ELNS1_3repE0EEENS1_30default_config_static_selectorELNS0_4arch9wavefront6targetE1EEEvT1_,comdat
	.protected	_ZN7rocprim17ROCPRIM_400000_NS6detail17trampoline_kernelINS0_14default_configENS1_25partition_config_selectorILNS1_17partition_subalgoE1EjNS0_10empty_typeEbEEZZNS1_14partition_implILS5_1ELb0ES3_jN6thrust23THRUST_200600_302600_NS6detail15normal_iteratorINSA_10device_ptrIjEEEEPS6_NSA_18transform_iteratorI7is_evenIjESF_NSA_11use_defaultESK_EENS0_5tupleIJNSA_16discard_iteratorISK_EESO_EEENSM_IJSG_SG_EEES6_PlJS6_EEE10hipError_tPvRmT3_T4_T5_T6_T7_T9_mT8_P12ihipStream_tbDpT10_ENKUlT_T0_E_clISt17integral_constantIbLb1EES1B_EEDaS16_S17_EUlS16_E_NS1_11comp_targetILNS1_3genE8ELNS1_11target_archE1030ELNS1_3gpuE2ELNS1_3repE0EEENS1_30default_config_static_selectorELNS0_4arch9wavefront6targetE1EEEvT1_ ; -- Begin function _ZN7rocprim17ROCPRIM_400000_NS6detail17trampoline_kernelINS0_14default_configENS1_25partition_config_selectorILNS1_17partition_subalgoE1EjNS0_10empty_typeEbEEZZNS1_14partition_implILS5_1ELb0ES3_jN6thrust23THRUST_200600_302600_NS6detail15normal_iteratorINSA_10device_ptrIjEEEEPS6_NSA_18transform_iteratorI7is_evenIjESF_NSA_11use_defaultESK_EENS0_5tupleIJNSA_16discard_iteratorISK_EESO_EEENSM_IJSG_SG_EEES6_PlJS6_EEE10hipError_tPvRmT3_T4_T5_T6_T7_T9_mT8_P12ihipStream_tbDpT10_ENKUlT_T0_E_clISt17integral_constantIbLb1EES1B_EEDaS16_S17_EUlS16_E_NS1_11comp_targetILNS1_3genE8ELNS1_11target_archE1030ELNS1_3gpuE2ELNS1_3repE0EEENS1_30default_config_static_selectorELNS0_4arch9wavefront6targetE1EEEvT1_
	.globl	_ZN7rocprim17ROCPRIM_400000_NS6detail17trampoline_kernelINS0_14default_configENS1_25partition_config_selectorILNS1_17partition_subalgoE1EjNS0_10empty_typeEbEEZZNS1_14partition_implILS5_1ELb0ES3_jN6thrust23THRUST_200600_302600_NS6detail15normal_iteratorINSA_10device_ptrIjEEEEPS6_NSA_18transform_iteratorI7is_evenIjESF_NSA_11use_defaultESK_EENS0_5tupleIJNSA_16discard_iteratorISK_EESO_EEENSM_IJSG_SG_EEES6_PlJS6_EEE10hipError_tPvRmT3_T4_T5_T6_T7_T9_mT8_P12ihipStream_tbDpT10_ENKUlT_T0_E_clISt17integral_constantIbLb1EES1B_EEDaS16_S17_EUlS16_E_NS1_11comp_targetILNS1_3genE8ELNS1_11target_archE1030ELNS1_3gpuE2ELNS1_3repE0EEENS1_30default_config_static_selectorELNS0_4arch9wavefront6targetE1EEEvT1_
	.p2align	8
	.type	_ZN7rocprim17ROCPRIM_400000_NS6detail17trampoline_kernelINS0_14default_configENS1_25partition_config_selectorILNS1_17partition_subalgoE1EjNS0_10empty_typeEbEEZZNS1_14partition_implILS5_1ELb0ES3_jN6thrust23THRUST_200600_302600_NS6detail15normal_iteratorINSA_10device_ptrIjEEEEPS6_NSA_18transform_iteratorI7is_evenIjESF_NSA_11use_defaultESK_EENS0_5tupleIJNSA_16discard_iteratorISK_EESO_EEENSM_IJSG_SG_EEES6_PlJS6_EEE10hipError_tPvRmT3_T4_T5_T6_T7_T9_mT8_P12ihipStream_tbDpT10_ENKUlT_T0_E_clISt17integral_constantIbLb1EES1B_EEDaS16_S17_EUlS16_E_NS1_11comp_targetILNS1_3genE8ELNS1_11target_archE1030ELNS1_3gpuE2ELNS1_3repE0EEENS1_30default_config_static_selectorELNS0_4arch9wavefront6targetE1EEEvT1_,@function
_ZN7rocprim17ROCPRIM_400000_NS6detail17trampoline_kernelINS0_14default_configENS1_25partition_config_selectorILNS1_17partition_subalgoE1EjNS0_10empty_typeEbEEZZNS1_14partition_implILS5_1ELb0ES3_jN6thrust23THRUST_200600_302600_NS6detail15normal_iteratorINSA_10device_ptrIjEEEEPS6_NSA_18transform_iteratorI7is_evenIjESF_NSA_11use_defaultESK_EENS0_5tupleIJNSA_16discard_iteratorISK_EESO_EEENSM_IJSG_SG_EEES6_PlJS6_EEE10hipError_tPvRmT3_T4_T5_T6_T7_T9_mT8_P12ihipStream_tbDpT10_ENKUlT_T0_E_clISt17integral_constantIbLb1EES1B_EEDaS16_S17_EUlS16_E_NS1_11comp_targetILNS1_3genE8ELNS1_11target_archE1030ELNS1_3gpuE2ELNS1_3repE0EEENS1_30default_config_static_selectorELNS0_4arch9wavefront6targetE1EEEvT1_: ; @_ZN7rocprim17ROCPRIM_400000_NS6detail17trampoline_kernelINS0_14default_configENS1_25partition_config_selectorILNS1_17partition_subalgoE1EjNS0_10empty_typeEbEEZZNS1_14partition_implILS5_1ELb0ES3_jN6thrust23THRUST_200600_302600_NS6detail15normal_iteratorINSA_10device_ptrIjEEEEPS6_NSA_18transform_iteratorI7is_evenIjESF_NSA_11use_defaultESK_EENS0_5tupleIJNSA_16discard_iteratorISK_EESO_EEENSM_IJSG_SG_EEES6_PlJS6_EEE10hipError_tPvRmT3_T4_T5_T6_T7_T9_mT8_P12ihipStream_tbDpT10_ENKUlT_T0_E_clISt17integral_constantIbLb1EES1B_EEDaS16_S17_EUlS16_E_NS1_11comp_targetILNS1_3genE8ELNS1_11target_archE1030ELNS1_3gpuE2ELNS1_3repE0EEENS1_30default_config_static_selectorELNS0_4arch9wavefront6targetE1EEEvT1_
; %bb.0:
	.section	.rodata,"a",@progbits
	.p2align	6, 0x0
	.amdhsa_kernel _ZN7rocprim17ROCPRIM_400000_NS6detail17trampoline_kernelINS0_14default_configENS1_25partition_config_selectorILNS1_17partition_subalgoE1EjNS0_10empty_typeEbEEZZNS1_14partition_implILS5_1ELb0ES3_jN6thrust23THRUST_200600_302600_NS6detail15normal_iteratorINSA_10device_ptrIjEEEEPS6_NSA_18transform_iteratorI7is_evenIjESF_NSA_11use_defaultESK_EENS0_5tupleIJNSA_16discard_iteratorISK_EESO_EEENSM_IJSG_SG_EEES6_PlJS6_EEE10hipError_tPvRmT3_T4_T5_T6_T7_T9_mT8_P12ihipStream_tbDpT10_ENKUlT_T0_E_clISt17integral_constantIbLb1EES1B_EEDaS16_S17_EUlS16_E_NS1_11comp_targetILNS1_3genE8ELNS1_11target_archE1030ELNS1_3gpuE2ELNS1_3repE0EEENS1_30default_config_static_selectorELNS0_4arch9wavefront6targetE1EEEvT1_
		.amdhsa_group_segment_fixed_size 0
		.amdhsa_private_segment_fixed_size 0
		.amdhsa_kernarg_size 160
		.amdhsa_user_sgpr_count 6
		.amdhsa_user_sgpr_private_segment_buffer 1
		.amdhsa_user_sgpr_dispatch_ptr 0
		.amdhsa_user_sgpr_queue_ptr 0
		.amdhsa_user_sgpr_kernarg_segment_ptr 1
		.amdhsa_user_sgpr_dispatch_id 0
		.amdhsa_user_sgpr_flat_scratch_init 0
		.amdhsa_user_sgpr_kernarg_preload_length 0
		.amdhsa_user_sgpr_kernarg_preload_offset 0
		.amdhsa_user_sgpr_private_segment_size 0
		.amdhsa_uses_dynamic_stack 0
		.amdhsa_system_sgpr_private_segment_wavefront_offset 0
		.amdhsa_system_sgpr_workgroup_id_x 1
		.amdhsa_system_sgpr_workgroup_id_y 0
		.amdhsa_system_sgpr_workgroup_id_z 0
		.amdhsa_system_sgpr_workgroup_info 0
		.amdhsa_system_vgpr_workitem_id 0
		.amdhsa_next_free_vgpr 1
		.amdhsa_next_free_sgpr 0
		.amdhsa_accum_offset 4
		.amdhsa_reserve_vcc 0
		.amdhsa_reserve_flat_scratch 0
		.amdhsa_float_round_mode_32 0
		.amdhsa_float_round_mode_16_64 0
		.amdhsa_float_denorm_mode_32 3
		.amdhsa_float_denorm_mode_16_64 3
		.amdhsa_dx10_clamp 1
		.amdhsa_ieee_mode 1
		.amdhsa_fp16_overflow 0
		.amdhsa_tg_split 0
		.amdhsa_exception_fp_ieee_invalid_op 0
		.amdhsa_exception_fp_denorm_src 0
		.amdhsa_exception_fp_ieee_div_zero 0
		.amdhsa_exception_fp_ieee_overflow 0
		.amdhsa_exception_fp_ieee_underflow 0
		.amdhsa_exception_fp_ieee_inexact 0
		.amdhsa_exception_int_div_zero 0
	.end_amdhsa_kernel
	.section	.text._ZN7rocprim17ROCPRIM_400000_NS6detail17trampoline_kernelINS0_14default_configENS1_25partition_config_selectorILNS1_17partition_subalgoE1EjNS0_10empty_typeEbEEZZNS1_14partition_implILS5_1ELb0ES3_jN6thrust23THRUST_200600_302600_NS6detail15normal_iteratorINSA_10device_ptrIjEEEEPS6_NSA_18transform_iteratorI7is_evenIjESF_NSA_11use_defaultESK_EENS0_5tupleIJNSA_16discard_iteratorISK_EESO_EEENSM_IJSG_SG_EEES6_PlJS6_EEE10hipError_tPvRmT3_T4_T5_T6_T7_T9_mT8_P12ihipStream_tbDpT10_ENKUlT_T0_E_clISt17integral_constantIbLb1EES1B_EEDaS16_S17_EUlS16_E_NS1_11comp_targetILNS1_3genE8ELNS1_11target_archE1030ELNS1_3gpuE2ELNS1_3repE0EEENS1_30default_config_static_selectorELNS0_4arch9wavefront6targetE1EEEvT1_,"axG",@progbits,_ZN7rocprim17ROCPRIM_400000_NS6detail17trampoline_kernelINS0_14default_configENS1_25partition_config_selectorILNS1_17partition_subalgoE1EjNS0_10empty_typeEbEEZZNS1_14partition_implILS5_1ELb0ES3_jN6thrust23THRUST_200600_302600_NS6detail15normal_iteratorINSA_10device_ptrIjEEEEPS6_NSA_18transform_iteratorI7is_evenIjESF_NSA_11use_defaultESK_EENS0_5tupleIJNSA_16discard_iteratorISK_EESO_EEENSM_IJSG_SG_EEES6_PlJS6_EEE10hipError_tPvRmT3_T4_T5_T6_T7_T9_mT8_P12ihipStream_tbDpT10_ENKUlT_T0_E_clISt17integral_constantIbLb1EES1B_EEDaS16_S17_EUlS16_E_NS1_11comp_targetILNS1_3genE8ELNS1_11target_archE1030ELNS1_3gpuE2ELNS1_3repE0EEENS1_30default_config_static_selectorELNS0_4arch9wavefront6targetE1EEEvT1_,comdat
.Lfunc_end2986:
	.size	_ZN7rocprim17ROCPRIM_400000_NS6detail17trampoline_kernelINS0_14default_configENS1_25partition_config_selectorILNS1_17partition_subalgoE1EjNS0_10empty_typeEbEEZZNS1_14partition_implILS5_1ELb0ES3_jN6thrust23THRUST_200600_302600_NS6detail15normal_iteratorINSA_10device_ptrIjEEEEPS6_NSA_18transform_iteratorI7is_evenIjESF_NSA_11use_defaultESK_EENS0_5tupleIJNSA_16discard_iteratorISK_EESO_EEENSM_IJSG_SG_EEES6_PlJS6_EEE10hipError_tPvRmT3_T4_T5_T6_T7_T9_mT8_P12ihipStream_tbDpT10_ENKUlT_T0_E_clISt17integral_constantIbLb1EES1B_EEDaS16_S17_EUlS16_E_NS1_11comp_targetILNS1_3genE8ELNS1_11target_archE1030ELNS1_3gpuE2ELNS1_3repE0EEENS1_30default_config_static_selectorELNS0_4arch9wavefront6targetE1EEEvT1_, .Lfunc_end2986-_ZN7rocprim17ROCPRIM_400000_NS6detail17trampoline_kernelINS0_14default_configENS1_25partition_config_selectorILNS1_17partition_subalgoE1EjNS0_10empty_typeEbEEZZNS1_14partition_implILS5_1ELb0ES3_jN6thrust23THRUST_200600_302600_NS6detail15normal_iteratorINSA_10device_ptrIjEEEEPS6_NSA_18transform_iteratorI7is_evenIjESF_NSA_11use_defaultESK_EENS0_5tupleIJNSA_16discard_iteratorISK_EESO_EEENSM_IJSG_SG_EEES6_PlJS6_EEE10hipError_tPvRmT3_T4_T5_T6_T7_T9_mT8_P12ihipStream_tbDpT10_ENKUlT_T0_E_clISt17integral_constantIbLb1EES1B_EEDaS16_S17_EUlS16_E_NS1_11comp_targetILNS1_3genE8ELNS1_11target_archE1030ELNS1_3gpuE2ELNS1_3repE0EEENS1_30default_config_static_selectorELNS0_4arch9wavefront6targetE1EEEvT1_
                                        ; -- End function
	.section	.AMDGPU.csdata,"",@progbits
; Kernel info:
; codeLenInByte = 0
; NumSgprs: 4
; NumVgprs: 0
; NumAgprs: 0
; TotalNumVgprs: 0
; ScratchSize: 0
; MemoryBound: 0
; FloatMode: 240
; IeeeMode: 1
; LDSByteSize: 0 bytes/workgroup (compile time only)
; SGPRBlocks: 0
; VGPRBlocks: 0
; NumSGPRsForWavesPerEU: 4
; NumVGPRsForWavesPerEU: 1
; AccumOffset: 4
; Occupancy: 8
; WaveLimiterHint : 0
; COMPUTE_PGM_RSRC2:SCRATCH_EN: 0
; COMPUTE_PGM_RSRC2:USER_SGPR: 6
; COMPUTE_PGM_RSRC2:TRAP_HANDLER: 0
; COMPUTE_PGM_RSRC2:TGID_X_EN: 1
; COMPUTE_PGM_RSRC2:TGID_Y_EN: 0
; COMPUTE_PGM_RSRC2:TGID_Z_EN: 0
; COMPUTE_PGM_RSRC2:TIDIG_COMP_CNT: 0
; COMPUTE_PGM_RSRC3_GFX90A:ACCUM_OFFSET: 0
; COMPUTE_PGM_RSRC3_GFX90A:TG_SPLIT: 0
	.section	.text._ZN7rocprim17ROCPRIM_400000_NS6detail17trampoline_kernelINS0_14default_configENS1_25partition_config_selectorILNS1_17partition_subalgoE1EjNS0_10empty_typeEbEEZZNS1_14partition_implILS5_1ELb0ES3_jN6thrust23THRUST_200600_302600_NS6detail15normal_iteratorINSA_10device_ptrIjEEEEPS6_NSA_18transform_iteratorI7is_evenIjESF_NSA_11use_defaultESK_EENS0_5tupleIJNSA_16discard_iteratorISK_EESO_EEENSM_IJSG_SG_EEES6_PlJS6_EEE10hipError_tPvRmT3_T4_T5_T6_T7_T9_mT8_P12ihipStream_tbDpT10_ENKUlT_T0_E_clISt17integral_constantIbLb1EES1A_IbLb0EEEEDaS16_S17_EUlS16_E_NS1_11comp_targetILNS1_3genE0ELNS1_11target_archE4294967295ELNS1_3gpuE0ELNS1_3repE0EEENS1_30default_config_static_selectorELNS0_4arch9wavefront6targetE1EEEvT1_,"axG",@progbits,_ZN7rocprim17ROCPRIM_400000_NS6detail17trampoline_kernelINS0_14default_configENS1_25partition_config_selectorILNS1_17partition_subalgoE1EjNS0_10empty_typeEbEEZZNS1_14partition_implILS5_1ELb0ES3_jN6thrust23THRUST_200600_302600_NS6detail15normal_iteratorINSA_10device_ptrIjEEEEPS6_NSA_18transform_iteratorI7is_evenIjESF_NSA_11use_defaultESK_EENS0_5tupleIJNSA_16discard_iteratorISK_EESO_EEENSM_IJSG_SG_EEES6_PlJS6_EEE10hipError_tPvRmT3_T4_T5_T6_T7_T9_mT8_P12ihipStream_tbDpT10_ENKUlT_T0_E_clISt17integral_constantIbLb1EES1A_IbLb0EEEEDaS16_S17_EUlS16_E_NS1_11comp_targetILNS1_3genE0ELNS1_11target_archE4294967295ELNS1_3gpuE0ELNS1_3repE0EEENS1_30default_config_static_selectorELNS0_4arch9wavefront6targetE1EEEvT1_,comdat
	.protected	_ZN7rocprim17ROCPRIM_400000_NS6detail17trampoline_kernelINS0_14default_configENS1_25partition_config_selectorILNS1_17partition_subalgoE1EjNS0_10empty_typeEbEEZZNS1_14partition_implILS5_1ELb0ES3_jN6thrust23THRUST_200600_302600_NS6detail15normal_iteratorINSA_10device_ptrIjEEEEPS6_NSA_18transform_iteratorI7is_evenIjESF_NSA_11use_defaultESK_EENS0_5tupleIJNSA_16discard_iteratorISK_EESO_EEENSM_IJSG_SG_EEES6_PlJS6_EEE10hipError_tPvRmT3_T4_T5_T6_T7_T9_mT8_P12ihipStream_tbDpT10_ENKUlT_T0_E_clISt17integral_constantIbLb1EES1A_IbLb0EEEEDaS16_S17_EUlS16_E_NS1_11comp_targetILNS1_3genE0ELNS1_11target_archE4294967295ELNS1_3gpuE0ELNS1_3repE0EEENS1_30default_config_static_selectorELNS0_4arch9wavefront6targetE1EEEvT1_ ; -- Begin function _ZN7rocprim17ROCPRIM_400000_NS6detail17trampoline_kernelINS0_14default_configENS1_25partition_config_selectorILNS1_17partition_subalgoE1EjNS0_10empty_typeEbEEZZNS1_14partition_implILS5_1ELb0ES3_jN6thrust23THRUST_200600_302600_NS6detail15normal_iteratorINSA_10device_ptrIjEEEEPS6_NSA_18transform_iteratorI7is_evenIjESF_NSA_11use_defaultESK_EENS0_5tupleIJNSA_16discard_iteratorISK_EESO_EEENSM_IJSG_SG_EEES6_PlJS6_EEE10hipError_tPvRmT3_T4_T5_T6_T7_T9_mT8_P12ihipStream_tbDpT10_ENKUlT_T0_E_clISt17integral_constantIbLb1EES1A_IbLb0EEEEDaS16_S17_EUlS16_E_NS1_11comp_targetILNS1_3genE0ELNS1_11target_archE4294967295ELNS1_3gpuE0ELNS1_3repE0EEENS1_30default_config_static_selectorELNS0_4arch9wavefront6targetE1EEEvT1_
	.globl	_ZN7rocprim17ROCPRIM_400000_NS6detail17trampoline_kernelINS0_14default_configENS1_25partition_config_selectorILNS1_17partition_subalgoE1EjNS0_10empty_typeEbEEZZNS1_14partition_implILS5_1ELb0ES3_jN6thrust23THRUST_200600_302600_NS6detail15normal_iteratorINSA_10device_ptrIjEEEEPS6_NSA_18transform_iteratorI7is_evenIjESF_NSA_11use_defaultESK_EENS0_5tupleIJNSA_16discard_iteratorISK_EESO_EEENSM_IJSG_SG_EEES6_PlJS6_EEE10hipError_tPvRmT3_T4_T5_T6_T7_T9_mT8_P12ihipStream_tbDpT10_ENKUlT_T0_E_clISt17integral_constantIbLb1EES1A_IbLb0EEEEDaS16_S17_EUlS16_E_NS1_11comp_targetILNS1_3genE0ELNS1_11target_archE4294967295ELNS1_3gpuE0ELNS1_3repE0EEENS1_30default_config_static_selectorELNS0_4arch9wavefront6targetE1EEEvT1_
	.p2align	8
	.type	_ZN7rocprim17ROCPRIM_400000_NS6detail17trampoline_kernelINS0_14default_configENS1_25partition_config_selectorILNS1_17partition_subalgoE1EjNS0_10empty_typeEbEEZZNS1_14partition_implILS5_1ELb0ES3_jN6thrust23THRUST_200600_302600_NS6detail15normal_iteratorINSA_10device_ptrIjEEEEPS6_NSA_18transform_iteratorI7is_evenIjESF_NSA_11use_defaultESK_EENS0_5tupleIJNSA_16discard_iteratorISK_EESO_EEENSM_IJSG_SG_EEES6_PlJS6_EEE10hipError_tPvRmT3_T4_T5_T6_T7_T9_mT8_P12ihipStream_tbDpT10_ENKUlT_T0_E_clISt17integral_constantIbLb1EES1A_IbLb0EEEEDaS16_S17_EUlS16_E_NS1_11comp_targetILNS1_3genE0ELNS1_11target_archE4294967295ELNS1_3gpuE0ELNS1_3repE0EEENS1_30default_config_static_selectorELNS0_4arch9wavefront6targetE1EEEvT1_,@function
_ZN7rocprim17ROCPRIM_400000_NS6detail17trampoline_kernelINS0_14default_configENS1_25partition_config_selectorILNS1_17partition_subalgoE1EjNS0_10empty_typeEbEEZZNS1_14partition_implILS5_1ELb0ES3_jN6thrust23THRUST_200600_302600_NS6detail15normal_iteratorINSA_10device_ptrIjEEEEPS6_NSA_18transform_iteratorI7is_evenIjESF_NSA_11use_defaultESK_EENS0_5tupleIJNSA_16discard_iteratorISK_EESO_EEENSM_IJSG_SG_EEES6_PlJS6_EEE10hipError_tPvRmT3_T4_T5_T6_T7_T9_mT8_P12ihipStream_tbDpT10_ENKUlT_T0_E_clISt17integral_constantIbLb1EES1A_IbLb0EEEEDaS16_S17_EUlS16_E_NS1_11comp_targetILNS1_3genE0ELNS1_11target_archE4294967295ELNS1_3gpuE0ELNS1_3repE0EEENS1_30default_config_static_selectorELNS0_4arch9wavefront6targetE1EEEvT1_: ; @_ZN7rocprim17ROCPRIM_400000_NS6detail17trampoline_kernelINS0_14default_configENS1_25partition_config_selectorILNS1_17partition_subalgoE1EjNS0_10empty_typeEbEEZZNS1_14partition_implILS5_1ELb0ES3_jN6thrust23THRUST_200600_302600_NS6detail15normal_iteratorINSA_10device_ptrIjEEEEPS6_NSA_18transform_iteratorI7is_evenIjESF_NSA_11use_defaultESK_EENS0_5tupleIJNSA_16discard_iteratorISK_EESO_EEENSM_IJSG_SG_EEES6_PlJS6_EEE10hipError_tPvRmT3_T4_T5_T6_T7_T9_mT8_P12ihipStream_tbDpT10_ENKUlT_T0_E_clISt17integral_constantIbLb1EES1A_IbLb0EEEEDaS16_S17_EUlS16_E_NS1_11comp_targetILNS1_3genE0ELNS1_11target_archE4294967295ELNS1_3gpuE0ELNS1_3repE0EEENS1_30default_config_static_selectorELNS0_4arch9wavefront6targetE1EEEvT1_
; %bb.0:
	.section	.rodata,"a",@progbits
	.p2align	6, 0x0
	.amdhsa_kernel _ZN7rocprim17ROCPRIM_400000_NS6detail17trampoline_kernelINS0_14default_configENS1_25partition_config_selectorILNS1_17partition_subalgoE1EjNS0_10empty_typeEbEEZZNS1_14partition_implILS5_1ELb0ES3_jN6thrust23THRUST_200600_302600_NS6detail15normal_iteratorINSA_10device_ptrIjEEEEPS6_NSA_18transform_iteratorI7is_evenIjESF_NSA_11use_defaultESK_EENS0_5tupleIJNSA_16discard_iteratorISK_EESO_EEENSM_IJSG_SG_EEES6_PlJS6_EEE10hipError_tPvRmT3_T4_T5_T6_T7_T9_mT8_P12ihipStream_tbDpT10_ENKUlT_T0_E_clISt17integral_constantIbLb1EES1A_IbLb0EEEEDaS16_S17_EUlS16_E_NS1_11comp_targetILNS1_3genE0ELNS1_11target_archE4294967295ELNS1_3gpuE0ELNS1_3repE0EEENS1_30default_config_static_selectorELNS0_4arch9wavefront6targetE1EEEvT1_
		.amdhsa_group_segment_fixed_size 0
		.amdhsa_private_segment_fixed_size 0
		.amdhsa_kernarg_size 144
		.amdhsa_user_sgpr_count 6
		.amdhsa_user_sgpr_private_segment_buffer 1
		.amdhsa_user_sgpr_dispatch_ptr 0
		.amdhsa_user_sgpr_queue_ptr 0
		.amdhsa_user_sgpr_kernarg_segment_ptr 1
		.amdhsa_user_sgpr_dispatch_id 0
		.amdhsa_user_sgpr_flat_scratch_init 0
		.amdhsa_user_sgpr_kernarg_preload_length 0
		.amdhsa_user_sgpr_kernarg_preload_offset 0
		.amdhsa_user_sgpr_private_segment_size 0
		.amdhsa_uses_dynamic_stack 0
		.amdhsa_system_sgpr_private_segment_wavefront_offset 0
		.amdhsa_system_sgpr_workgroup_id_x 1
		.amdhsa_system_sgpr_workgroup_id_y 0
		.amdhsa_system_sgpr_workgroup_id_z 0
		.amdhsa_system_sgpr_workgroup_info 0
		.amdhsa_system_vgpr_workitem_id 0
		.amdhsa_next_free_vgpr 1
		.amdhsa_next_free_sgpr 0
		.amdhsa_accum_offset 4
		.amdhsa_reserve_vcc 0
		.amdhsa_reserve_flat_scratch 0
		.amdhsa_float_round_mode_32 0
		.amdhsa_float_round_mode_16_64 0
		.amdhsa_float_denorm_mode_32 3
		.amdhsa_float_denorm_mode_16_64 3
		.amdhsa_dx10_clamp 1
		.amdhsa_ieee_mode 1
		.amdhsa_fp16_overflow 0
		.amdhsa_tg_split 0
		.amdhsa_exception_fp_ieee_invalid_op 0
		.amdhsa_exception_fp_denorm_src 0
		.amdhsa_exception_fp_ieee_div_zero 0
		.amdhsa_exception_fp_ieee_overflow 0
		.amdhsa_exception_fp_ieee_underflow 0
		.amdhsa_exception_fp_ieee_inexact 0
		.amdhsa_exception_int_div_zero 0
	.end_amdhsa_kernel
	.section	.text._ZN7rocprim17ROCPRIM_400000_NS6detail17trampoline_kernelINS0_14default_configENS1_25partition_config_selectorILNS1_17partition_subalgoE1EjNS0_10empty_typeEbEEZZNS1_14partition_implILS5_1ELb0ES3_jN6thrust23THRUST_200600_302600_NS6detail15normal_iteratorINSA_10device_ptrIjEEEEPS6_NSA_18transform_iteratorI7is_evenIjESF_NSA_11use_defaultESK_EENS0_5tupleIJNSA_16discard_iteratorISK_EESO_EEENSM_IJSG_SG_EEES6_PlJS6_EEE10hipError_tPvRmT3_T4_T5_T6_T7_T9_mT8_P12ihipStream_tbDpT10_ENKUlT_T0_E_clISt17integral_constantIbLb1EES1A_IbLb0EEEEDaS16_S17_EUlS16_E_NS1_11comp_targetILNS1_3genE0ELNS1_11target_archE4294967295ELNS1_3gpuE0ELNS1_3repE0EEENS1_30default_config_static_selectorELNS0_4arch9wavefront6targetE1EEEvT1_,"axG",@progbits,_ZN7rocprim17ROCPRIM_400000_NS6detail17trampoline_kernelINS0_14default_configENS1_25partition_config_selectorILNS1_17partition_subalgoE1EjNS0_10empty_typeEbEEZZNS1_14partition_implILS5_1ELb0ES3_jN6thrust23THRUST_200600_302600_NS6detail15normal_iteratorINSA_10device_ptrIjEEEEPS6_NSA_18transform_iteratorI7is_evenIjESF_NSA_11use_defaultESK_EENS0_5tupleIJNSA_16discard_iteratorISK_EESO_EEENSM_IJSG_SG_EEES6_PlJS6_EEE10hipError_tPvRmT3_T4_T5_T6_T7_T9_mT8_P12ihipStream_tbDpT10_ENKUlT_T0_E_clISt17integral_constantIbLb1EES1A_IbLb0EEEEDaS16_S17_EUlS16_E_NS1_11comp_targetILNS1_3genE0ELNS1_11target_archE4294967295ELNS1_3gpuE0ELNS1_3repE0EEENS1_30default_config_static_selectorELNS0_4arch9wavefront6targetE1EEEvT1_,comdat
.Lfunc_end2987:
	.size	_ZN7rocprim17ROCPRIM_400000_NS6detail17trampoline_kernelINS0_14default_configENS1_25partition_config_selectorILNS1_17partition_subalgoE1EjNS0_10empty_typeEbEEZZNS1_14partition_implILS5_1ELb0ES3_jN6thrust23THRUST_200600_302600_NS6detail15normal_iteratorINSA_10device_ptrIjEEEEPS6_NSA_18transform_iteratorI7is_evenIjESF_NSA_11use_defaultESK_EENS0_5tupleIJNSA_16discard_iteratorISK_EESO_EEENSM_IJSG_SG_EEES6_PlJS6_EEE10hipError_tPvRmT3_T4_T5_T6_T7_T9_mT8_P12ihipStream_tbDpT10_ENKUlT_T0_E_clISt17integral_constantIbLb1EES1A_IbLb0EEEEDaS16_S17_EUlS16_E_NS1_11comp_targetILNS1_3genE0ELNS1_11target_archE4294967295ELNS1_3gpuE0ELNS1_3repE0EEENS1_30default_config_static_selectorELNS0_4arch9wavefront6targetE1EEEvT1_, .Lfunc_end2987-_ZN7rocprim17ROCPRIM_400000_NS6detail17trampoline_kernelINS0_14default_configENS1_25partition_config_selectorILNS1_17partition_subalgoE1EjNS0_10empty_typeEbEEZZNS1_14partition_implILS5_1ELb0ES3_jN6thrust23THRUST_200600_302600_NS6detail15normal_iteratorINSA_10device_ptrIjEEEEPS6_NSA_18transform_iteratorI7is_evenIjESF_NSA_11use_defaultESK_EENS0_5tupleIJNSA_16discard_iteratorISK_EESO_EEENSM_IJSG_SG_EEES6_PlJS6_EEE10hipError_tPvRmT3_T4_T5_T6_T7_T9_mT8_P12ihipStream_tbDpT10_ENKUlT_T0_E_clISt17integral_constantIbLb1EES1A_IbLb0EEEEDaS16_S17_EUlS16_E_NS1_11comp_targetILNS1_3genE0ELNS1_11target_archE4294967295ELNS1_3gpuE0ELNS1_3repE0EEENS1_30default_config_static_selectorELNS0_4arch9wavefront6targetE1EEEvT1_
                                        ; -- End function
	.section	.AMDGPU.csdata,"",@progbits
; Kernel info:
; codeLenInByte = 0
; NumSgprs: 4
; NumVgprs: 0
; NumAgprs: 0
; TotalNumVgprs: 0
; ScratchSize: 0
; MemoryBound: 0
; FloatMode: 240
; IeeeMode: 1
; LDSByteSize: 0 bytes/workgroup (compile time only)
; SGPRBlocks: 0
; VGPRBlocks: 0
; NumSGPRsForWavesPerEU: 4
; NumVGPRsForWavesPerEU: 1
; AccumOffset: 4
; Occupancy: 8
; WaveLimiterHint : 0
; COMPUTE_PGM_RSRC2:SCRATCH_EN: 0
; COMPUTE_PGM_RSRC2:USER_SGPR: 6
; COMPUTE_PGM_RSRC2:TRAP_HANDLER: 0
; COMPUTE_PGM_RSRC2:TGID_X_EN: 1
; COMPUTE_PGM_RSRC2:TGID_Y_EN: 0
; COMPUTE_PGM_RSRC2:TGID_Z_EN: 0
; COMPUTE_PGM_RSRC2:TIDIG_COMP_CNT: 0
; COMPUTE_PGM_RSRC3_GFX90A:ACCUM_OFFSET: 0
; COMPUTE_PGM_RSRC3_GFX90A:TG_SPLIT: 0
	.section	.text._ZN7rocprim17ROCPRIM_400000_NS6detail17trampoline_kernelINS0_14default_configENS1_25partition_config_selectorILNS1_17partition_subalgoE1EjNS0_10empty_typeEbEEZZNS1_14partition_implILS5_1ELb0ES3_jN6thrust23THRUST_200600_302600_NS6detail15normal_iteratorINSA_10device_ptrIjEEEEPS6_NSA_18transform_iteratorI7is_evenIjESF_NSA_11use_defaultESK_EENS0_5tupleIJNSA_16discard_iteratorISK_EESO_EEENSM_IJSG_SG_EEES6_PlJS6_EEE10hipError_tPvRmT3_T4_T5_T6_T7_T9_mT8_P12ihipStream_tbDpT10_ENKUlT_T0_E_clISt17integral_constantIbLb1EES1A_IbLb0EEEEDaS16_S17_EUlS16_E_NS1_11comp_targetILNS1_3genE5ELNS1_11target_archE942ELNS1_3gpuE9ELNS1_3repE0EEENS1_30default_config_static_selectorELNS0_4arch9wavefront6targetE1EEEvT1_,"axG",@progbits,_ZN7rocprim17ROCPRIM_400000_NS6detail17trampoline_kernelINS0_14default_configENS1_25partition_config_selectorILNS1_17partition_subalgoE1EjNS0_10empty_typeEbEEZZNS1_14partition_implILS5_1ELb0ES3_jN6thrust23THRUST_200600_302600_NS6detail15normal_iteratorINSA_10device_ptrIjEEEEPS6_NSA_18transform_iteratorI7is_evenIjESF_NSA_11use_defaultESK_EENS0_5tupleIJNSA_16discard_iteratorISK_EESO_EEENSM_IJSG_SG_EEES6_PlJS6_EEE10hipError_tPvRmT3_T4_T5_T6_T7_T9_mT8_P12ihipStream_tbDpT10_ENKUlT_T0_E_clISt17integral_constantIbLb1EES1A_IbLb0EEEEDaS16_S17_EUlS16_E_NS1_11comp_targetILNS1_3genE5ELNS1_11target_archE942ELNS1_3gpuE9ELNS1_3repE0EEENS1_30default_config_static_selectorELNS0_4arch9wavefront6targetE1EEEvT1_,comdat
	.protected	_ZN7rocprim17ROCPRIM_400000_NS6detail17trampoline_kernelINS0_14default_configENS1_25partition_config_selectorILNS1_17partition_subalgoE1EjNS0_10empty_typeEbEEZZNS1_14partition_implILS5_1ELb0ES3_jN6thrust23THRUST_200600_302600_NS6detail15normal_iteratorINSA_10device_ptrIjEEEEPS6_NSA_18transform_iteratorI7is_evenIjESF_NSA_11use_defaultESK_EENS0_5tupleIJNSA_16discard_iteratorISK_EESO_EEENSM_IJSG_SG_EEES6_PlJS6_EEE10hipError_tPvRmT3_T4_T5_T6_T7_T9_mT8_P12ihipStream_tbDpT10_ENKUlT_T0_E_clISt17integral_constantIbLb1EES1A_IbLb0EEEEDaS16_S17_EUlS16_E_NS1_11comp_targetILNS1_3genE5ELNS1_11target_archE942ELNS1_3gpuE9ELNS1_3repE0EEENS1_30default_config_static_selectorELNS0_4arch9wavefront6targetE1EEEvT1_ ; -- Begin function _ZN7rocprim17ROCPRIM_400000_NS6detail17trampoline_kernelINS0_14default_configENS1_25partition_config_selectorILNS1_17partition_subalgoE1EjNS0_10empty_typeEbEEZZNS1_14partition_implILS5_1ELb0ES3_jN6thrust23THRUST_200600_302600_NS6detail15normal_iteratorINSA_10device_ptrIjEEEEPS6_NSA_18transform_iteratorI7is_evenIjESF_NSA_11use_defaultESK_EENS0_5tupleIJNSA_16discard_iteratorISK_EESO_EEENSM_IJSG_SG_EEES6_PlJS6_EEE10hipError_tPvRmT3_T4_T5_T6_T7_T9_mT8_P12ihipStream_tbDpT10_ENKUlT_T0_E_clISt17integral_constantIbLb1EES1A_IbLb0EEEEDaS16_S17_EUlS16_E_NS1_11comp_targetILNS1_3genE5ELNS1_11target_archE942ELNS1_3gpuE9ELNS1_3repE0EEENS1_30default_config_static_selectorELNS0_4arch9wavefront6targetE1EEEvT1_
	.globl	_ZN7rocprim17ROCPRIM_400000_NS6detail17trampoline_kernelINS0_14default_configENS1_25partition_config_selectorILNS1_17partition_subalgoE1EjNS0_10empty_typeEbEEZZNS1_14partition_implILS5_1ELb0ES3_jN6thrust23THRUST_200600_302600_NS6detail15normal_iteratorINSA_10device_ptrIjEEEEPS6_NSA_18transform_iteratorI7is_evenIjESF_NSA_11use_defaultESK_EENS0_5tupleIJNSA_16discard_iteratorISK_EESO_EEENSM_IJSG_SG_EEES6_PlJS6_EEE10hipError_tPvRmT3_T4_T5_T6_T7_T9_mT8_P12ihipStream_tbDpT10_ENKUlT_T0_E_clISt17integral_constantIbLb1EES1A_IbLb0EEEEDaS16_S17_EUlS16_E_NS1_11comp_targetILNS1_3genE5ELNS1_11target_archE942ELNS1_3gpuE9ELNS1_3repE0EEENS1_30default_config_static_selectorELNS0_4arch9wavefront6targetE1EEEvT1_
	.p2align	8
	.type	_ZN7rocprim17ROCPRIM_400000_NS6detail17trampoline_kernelINS0_14default_configENS1_25partition_config_selectorILNS1_17partition_subalgoE1EjNS0_10empty_typeEbEEZZNS1_14partition_implILS5_1ELb0ES3_jN6thrust23THRUST_200600_302600_NS6detail15normal_iteratorINSA_10device_ptrIjEEEEPS6_NSA_18transform_iteratorI7is_evenIjESF_NSA_11use_defaultESK_EENS0_5tupleIJNSA_16discard_iteratorISK_EESO_EEENSM_IJSG_SG_EEES6_PlJS6_EEE10hipError_tPvRmT3_T4_T5_T6_T7_T9_mT8_P12ihipStream_tbDpT10_ENKUlT_T0_E_clISt17integral_constantIbLb1EES1A_IbLb0EEEEDaS16_S17_EUlS16_E_NS1_11comp_targetILNS1_3genE5ELNS1_11target_archE942ELNS1_3gpuE9ELNS1_3repE0EEENS1_30default_config_static_selectorELNS0_4arch9wavefront6targetE1EEEvT1_,@function
_ZN7rocprim17ROCPRIM_400000_NS6detail17trampoline_kernelINS0_14default_configENS1_25partition_config_selectorILNS1_17partition_subalgoE1EjNS0_10empty_typeEbEEZZNS1_14partition_implILS5_1ELb0ES3_jN6thrust23THRUST_200600_302600_NS6detail15normal_iteratorINSA_10device_ptrIjEEEEPS6_NSA_18transform_iteratorI7is_evenIjESF_NSA_11use_defaultESK_EENS0_5tupleIJNSA_16discard_iteratorISK_EESO_EEENSM_IJSG_SG_EEES6_PlJS6_EEE10hipError_tPvRmT3_T4_T5_T6_T7_T9_mT8_P12ihipStream_tbDpT10_ENKUlT_T0_E_clISt17integral_constantIbLb1EES1A_IbLb0EEEEDaS16_S17_EUlS16_E_NS1_11comp_targetILNS1_3genE5ELNS1_11target_archE942ELNS1_3gpuE9ELNS1_3repE0EEENS1_30default_config_static_selectorELNS0_4arch9wavefront6targetE1EEEvT1_: ; @_ZN7rocprim17ROCPRIM_400000_NS6detail17trampoline_kernelINS0_14default_configENS1_25partition_config_selectorILNS1_17partition_subalgoE1EjNS0_10empty_typeEbEEZZNS1_14partition_implILS5_1ELb0ES3_jN6thrust23THRUST_200600_302600_NS6detail15normal_iteratorINSA_10device_ptrIjEEEEPS6_NSA_18transform_iteratorI7is_evenIjESF_NSA_11use_defaultESK_EENS0_5tupleIJNSA_16discard_iteratorISK_EESO_EEENSM_IJSG_SG_EEES6_PlJS6_EEE10hipError_tPvRmT3_T4_T5_T6_T7_T9_mT8_P12ihipStream_tbDpT10_ENKUlT_T0_E_clISt17integral_constantIbLb1EES1A_IbLb0EEEEDaS16_S17_EUlS16_E_NS1_11comp_targetILNS1_3genE5ELNS1_11target_archE942ELNS1_3gpuE9ELNS1_3repE0EEENS1_30default_config_static_selectorELNS0_4arch9wavefront6targetE1EEEvT1_
; %bb.0:
	.section	.rodata,"a",@progbits
	.p2align	6, 0x0
	.amdhsa_kernel _ZN7rocprim17ROCPRIM_400000_NS6detail17trampoline_kernelINS0_14default_configENS1_25partition_config_selectorILNS1_17partition_subalgoE1EjNS0_10empty_typeEbEEZZNS1_14partition_implILS5_1ELb0ES3_jN6thrust23THRUST_200600_302600_NS6detail15normal_iteratorINSA_10device_ptrIjEEEEPS6_NSA_18transform_iteratorI7is_evenIjESF_NSA_11use_defaultESK_EENS0_5tupleIJNSA_16discard_iteratorISK_EESO_EEENSM_IJSG_SG_EEES6_PlJS6_EEE10hipError_tPvRmT3_T4_T5_T6_T7_T9_mT8_P12ihipStream_tbDpT10_ENKUlT_T0_E_clISt17integral_constantIbLb1EES1A_IbLb0EEEEDaS16_S17_EUlS16_E_NS1_11comp_targetILNS1_3genE5ELNS1_11target_archE942ELNS1_3gpuE9ELNS1_3repE0EEENS1_30default_config_static_selectorELNS0_4arch9wavefront6targetE1EEEvT1_
		.amdhsa_group_segment_fixed_size 0
		.amdhsa_private_segment_fixed_size 0
		.amdhsa_kernarg_size 144
		.amdhsa_user_sgpr_count 6
		.amdhsa_user_sgpr_private_segment_buffer 1
		.amdhsa_user_sgpr_dispatch_ptr 0
		.amdhsa_user_sgpr_queue_ptr 0
		.amdhsa_user_sgpr_kernarg_segment_ptr 1
		.amdhsa_user_sgpr_dispatch_id 0
		.amdhsa_user_sgpr_flat_scratch_init 0
		.amdhsa_user_sgpr_kernarg_preload_length 0
		.amdhsa_user_sgpr_kernarg_preload_offset 0
		.amdhsa_user_sgpr_private_segment_size 0
		.amdhsa_uses_dynamic_stack 0
		.amdhsa_system_sgpr_private_segment_wavefront_offset 0
		.amdhsa_system_sgpr_workgroup_id_x 1
		.amdhsa_system_sgpr_workgroup_id_y 0
		.amdhsa_system_sgpr_workgroup_id_z 0
		.amdhsa_system_sgpr_workgroup_info 0
		.amdhsa_system_vgpr_workitem_id 0
		.amdhsa_next_free_vgpr 1
		.amdhsa_next_free_sgpr 0
		.amdhsa_accum_offset 4
		.amdhsa_reserve_vcc 0
		.amdhsa_reserve_flat_scratch 0
		.amdhsa_float_round_mode_32 0
		.amdhsa_float_round_mode_16_64 0
		.amdhsa_float_denorm_mode_32 3
		.amdhsa_float_denorm_mode_16_64 3
		.amdhsa_dx10_clamp 1
		.amdhsa_ieee_mode 1
		.amdhsa_fp16_overflow 0
		.amdhsa_tg_split 0
		.amdhsa_exception_fp_ieee_invalid_op 0
		.amdhsa_exception_fp_denorm_src 0
		.amdhsa_exception_fp_ieee_div_zero 0
		.amdhsa_exception_fp_ieee_overflow 0
		.amdhsa_exception_fp_ieee_underflow 0
		.amdhsa_exception_fp_ieee_inexact 0
		.amdhsa_exception_int_div_zero 0
	.end_amdhsa_kernel
	.section	.text._ZN7rocprim17ROCPRIM_400000_NS6detail17trampoline_kernelINS0_14default_configENS1_25partition_config_selectorILNS1_17partition_subalgoE1EjNS0_10empty_typeEbEEZZNS1_14partition_implILS5_1ELb0ES3_jN6thrust23THRUST_200600_302600_NS6detail15normal_iteratorINSA_10device_ptrIjEEEEPS6_NSA_18transform_iteratorI7is_evenIjESF_NSA_11use_defaultESK_EENS0_5tupleIJNSA_16discard_iteratorISK_EESO_EEENSM_IJSG_SG_EEES6_PlJS6_EEE10hipError_tPvRmT3_T4_T5_T6_T7_T9_mT8_P12ihipStream_tbDpT10_ENKUlT_T0_E_clISt17integral_constantIbLb1EES1A_IbLb0EEEEDaS16_S17_EUlS16_E_NS1_11comp_targetILNS1_3genE5ELNS1_11target_archE942ELNS1_3gpuE9ELNS1_3repE0EEENS1_30default_config_static_selectorELNS0_4arch9wavefront6targetE1EEEvT1_,"axG",@progbits,_ZN7rocprim17ROCPRIM_400000_NS6detail17trampoline_kernelINS0_14default_configENS1_25partition_config_selectorILNS1_17partition_subalgoE1EjNS0_10empty_typeEbEEZZNS1_14partition_implILS5_1ELb0ES3_jN6thrust23THRUST_200600_302600_NS6detail15normal_iteratorINSA_10device_ptrIjEEEEPS6_NSA_18transform_iteratorI7is_evenIjESF_NSA_11use_defaultESK_EENS0_5tupleIJNSA_16discard_iteratorISK_EESO_EEENSM_IJSG_SG_EEES6_PlJS6_EEE10hipError_tPvRmT3_T4_T5_T6_T7_T9_mT8_P12ihipStream_tbDpT10_ENKUlT_T0_E_clISt17integral_constantIbLb1EES1A_IbLb0EEEEDaS16_S17_EUlS16_E_NS1_11comp_targetILNS1_3genE5ELNS1_11target_archE942ELNS1_3gpuE9ELNS1_3repE0EEENS1_30default_config_static_selectorELNS0_4arch9wavefront6targetE1EEEvT1_,comdat
.Lfunc_end2988:
	.size	_ZN7rocprim17ROCPRIM_400000_NS6detail17trampoline_kernelINS0_14default_configENS1_25partition_config_selectorILNS1_17partition_subalgoE1EjNS0_10empty_typeEbEEZZNS1_14partition_implILS5_1ELb0ES3_jN6thrust23THRUST_200600_302600_NS6detail15normal_iteratorINSA_10device_ptrIjEEEEPS6_NSA_18transform_iteratorI7is_evenIjESF_NSA_11use_defaultESK_EENS0_5tupleIJNSA_16discard_iteratorISK_EESO_EEENSM_IJSG_SG_EEES6_PlJS6_EEE10hipError_tPvRmT3_T4_T5_T6_T7_T9_mT8_P12ihipStream_tbDpT10_ENKUlT_T0_E_clISt17integral_constantIbLb1EES1A_IbLb0EEEEDaS16_S17_EUlS16_E_NS1_11comp_targetILNS1_3genE5ELNS1_11target_archE942ELNS1_3gpuE9ELNS1_3repE0EEENS1_30default_config_static_selectorELNS0_4arch9wavefront6targetE1EEEvT1_, .Lfunc_end2988-_ZN7rocprim17ROCPRIM_400000_NS6detail17trampoline_kernelINS0_14default_configENS1_25partition_config_selectorILNS1_17partition_subalgoE1EjNS0_10empty_typeEbEEZZNS1_14partition_implILS5_1ELb0ES3_jN6thrust23THRUST_200600_302600_NS6detail15normal_iteratorINSA_10device_ptrIjEEEEPS6_NSA_18transform_iteratorI7is_evenIjESF_NSA_11use_defaultESK_EENS0_5tupleIJNSA_16discard_iteratorISK_EESO_EEENSM_IJSG_SG_EEES6_PlJS6_EEE10hipError_tPvRmT3_T4_T5_T6_T7_T9_mT8_P12ihipStream_tbDpT10_ENKUlT_T0_E_clISt17integral_constantIbLb1EES1A_IbLb0EEEEDaS16_S17_EUlS16_E_NS1_11comp_targetILNS1_3genE5ELNS1_11target_archE942ELNS1_3gpuE9ELNS1_3repE0EEENS1_30default_config_static_selectorELNS0_4arch9wavefront6targetE1EEEvT1_
                                        ; -- End function
	.section	.AMDGPU.csdata,"",@progbits
; Kernel info:
; codeLenInByte = 0
; NumSgprs: 4
; NumVgprs: 0
; NumAgprs: 0
; TotalNumVgprs: 0
; ScratchSize: 0
; MemoryBound: 0
; FloatMode: 240
; IeeeMode: 1
; LDSByteSize: 0 bytes/workgroup (compile time only)
; SGPRBlocks: 0
; VGPRBlocks: 0
; NumSGPRsForWavesPerEU: 4
; NumVGPRsForWavesPerEU: 1
; AccumOffset: 4
; Occupancy: 8
; WaveLimiterHint : 0
; COMPUTE_PGM_RSRC2:SCRATCH_EN: 0
; COMPUTE_PGM_RSRC2:USER_SGPR: 6
; COMPUTE_PGM_RSRC2:TRAP_HANDLER: 0
; COMPUTE_PGM_RSRC2:TGID_X_EN: 1
; COMPUTE_PGM_RSRC2:TGID_Y_EN: 0
; COMPUTE_PGM_RSRC2:TGID_Z_EN: 0
; COMPUTE_PGM_RSRC2:TIDIG_COMP_CNT: 0
; COMPUTE_PGM_RSRC3_GFX90A:ACCUM_OFFSET: 0
; COMPUTE_PGM_RSRC3_GFX90A:TG_SPLIT: 0
	.section	.text._ZN7rocprim17ROCPRIM_400000_NS6detail17trampoline_kernelINS0_14default_configENS1_25partition_config_selectorILNS1_17partition_subalgoE1EjNS0_10empty_typeEbEEZZNS1_14partition_implILS5_1ELb0ES3_jN6thrust23THRUST_200600_302600_NS6detail15normal_iteratorINSA_10device_ptrIjEEEEPS6_NSA_18transform_iteratorI7is_evenIjESF_NSA_11use_defaultESK_EENS0_5tupleIJNSA_16discard_iteratorISK_EESO_EEENSM_IJSG_SG_EEES6_PlJS6_EEE10hipError_tPvRmT3_T4_T5_T6_T7_T9_mT8_P12ihipStream_tbDpT10_ENKUlT_T0_E_clISt17integral_constantIbLb1EES1A_IbLb0EEEEDaS16_S17_EUlS16_E_NS1_11comp_targetILNS1_3genE4ELNS1_11target_archE910ELNS1_3gpuE8ELNS1_3repE0EEENS1_30default_config_static_selectorELNS0_4arch9wavefront6targetE1EEEvT1_,"axG",@progbits,_ZN7rocprim17ROCPRIM_400000_NS6detail17trampoline_kernelINS0_14default_configENS1_25partition_config_selectorILNS1_17partition_subalgoE1EjNS0_10empty_typeEbEEZZNS1_14partition_implILS5_1ELb0ES3_jN6thrust23THRUST_200600_302600_NS6detail15normal_iteratorINSA_10device_ptrIjEEEEPS6_NSA_18transform_iteratorI7is_evenIjESF_NSA_11use_defaultESK_EENS0_5tupleIJNSA_16discard_iteratorISK_EESO_EEENSM_IJSG_SG_EEES6_PlJS6_EEE10hipError_tPvRmT3_T4_T5_T6_T7_T9_mT8_P12ihipStream_tbDpT10_ENKUlT_T0_E_clISt17integral_constantIbLb1EES1A_IbLb0EEEEDaS16_S17_EUlS16_E_NS1_11comp_targetILNS1_3genE4ELNS1_11target_archE910ELNS1_3gpuE8ELNS1_3repE0EEENS1_30default_config_static_selectorELNS0_4arch9wavefront6targetE1EEEvT1_,comdat
	.protected	_ZN7rocprim17ROCPRIM_400000_NS6detail17trampoline_kernelINS0_14default_configENS1_25partition_config_selectorILNS1_17partition_subalgoE1EjNS0_10empty_typeEbEEZZNS1_14partition_implILS5_1ELb0ES3_jN6thrust23THRUST_200600_302600_NS6detail15normal_iteratorINSA_10device_ptrIjEEEEPS6_NSA_18transform_iteratorI7is_evenIjESF_NSA_11use_defaultESK_EENS0_5tupleIJNSA_16discard_iteratorISK_EESO_EEENSM_IJSG_SG_EEES6_PlJS6_EEE10hipError_tPvRmT3_T4_T5_T6_T7_T9_mT8_P12ihipStream_tbDpT10_ENKUlT_T0_E_clISt17integral_constantIbLb1EES1A_IbLb0EEEEDaS16_S17_EUlS16_E_NS1_11comp_targetILNS1_3genE4ELNS1_11target_archE910ELNS1_3gpuE8ELNS1_3repE0EEENS1_30default_config_static_selectorELNS0_4arch9wavefront6targetE1EEEvT1_ ; -- Begin function _ZN7rocprim17ROCPRIM_400000_NS6detail17trampoline_kernelINS0_14default_configENS1_25partition_config_selectorILNS1_17partition_subalgoE1EjNS0_10empty_typeEbEEZZNS1_14partition_implILS5_1ELb0ES3_jN6thrust23THRUST_200600_302600_NS6detail15normal_iteratorINSA_10device_ptrIjEEEEPS6_NSA_18transform_iteratorI7is_evenIjESF_NSA_11use_defaultESK_EENS0_5tupleIJNSA_16discard_iteratorISK_EESO_EEENSM_IJSG_SG_EEES6_PlJS6_EEE10hipError_tPvRmT3_T4_T5_T6_T7_T9_mT8_P12ihipStream_tbDpT10_ENKUlT_T0_E_clISt17integral_constantIbLb1EES1A_IbLb0EEEEDaS16_S17_EUlS16_E_NS1_11comp_targetILNS1_3genE4ELNS1_11target_archE910ELNS1_3gpuE8ELNS1_3repE0EEENS1_30default_config_static_selectorELNS0_4arch9wavefront6targetE1EEEvT1_
	.globl	_ZN7rocprim17ROCPRIM_400000_NS6detail17trampoline_kernelINS0_14default_configENS1_25partition_config_selectorILNS1_17partition_subalgoE1EjNS0_10empty_typeEbEEZZNS1_14partition_implILS5_1ELb0ES3_jN6thrust23THRUST_200600_302600_NS6detail15normal_iteratorINSA_10device_ptrIjEEEEPS6_NSA_18transform_iteratorI7is_evenIjESF_NSA_11use_defaultESK_EENS0_5tupleIJNSA_16discard_iteratorISK_EESO_EEENSM_IJSG_SG_EEES6_PlJS6_EEE10hipError_tPvRmT3_T4_T5_T6_T7_T9_mT8_P12ihipStream_tbDpT10_ENKUlT_T0_E_clISt17integral_constantIbLb1EES1A_IbLb0EEEEDaS16_S17_EUlS16_E_NS1_11comp_targetILNS1_3genE4ELNS1_11target_archE910ELNS1_3gpuE8ELNS1_3repE0EEENS1_30default_config_static_selectorELNS0_4arch9wavefront6targetE1EEEvT1_
	.p2align	8
	.type	_ZN7rocprim17ROCPRIM_400000_NS6detail17trampoline_kernelINS0_14default_configENS1_25partition_config_selectorILNS1_17partition_subalgoE1EjNS0_10empty_typeEbEEZZNS1_14partition_implILS5_1ELb0ES3_jN6thrust23THRUST_200600_302600_NS6detail15normal_iteratorINSA_10device_ptrIjEEEEPS6_NSA_18transform_iteratorI7is_evenIjESF_NSA_11use_defaultESK_EENS0_5tupleIJNSA_16discard_iteratorISK_EESO_EEENSM_IJSG_SG_EEES6_PlJS6_EEE10hipError_tPvRmT3_T4_T5_T6_T7_T9_mT8_P12ihipStream_tbDpT10_ENKUlT_T0_E_clISt17integral_constantIbLb1EES1A_IbLb0EEEEDaS16_S17_EUlS16_E_NS1_11comp_targetILNS1_3genE4ELNS1_11target_archE910ELNS1_3gpuE8ELNS1_3repE0EEENS1_30default_config_static_selectorELNS0_4arch9wavefront6targetE1EEEvT1_,@function
_ZN7rocprim17ROCPRIM_400000_NS6detail17trampoline_kernelINS0_14default_configENS1_25partition_config_selectorILNS1_17partition_subalgoE1EjNS0_10empty_typeEbEEZZNS1_14partition_implILS5_1ELb0ES3_jN6thrust23THRUST_200600_302600_NS6detail15normal_iteratorINSA_10device_ptrIjEEEEPS6_NSA_18transform_iteratorI7is_evenIjESF_NSA_11use_defaultESK_EENS0_5tupleIJNSA_16discard_iteratorISK_EESO_EEENSM_IJSG_SG_EEES6_PlJS6_EEE10hipError_tPvRmT3_T4_T5_T6_T7_T9_mT8_P12ihipStream_tbDpT10_ENKUlT_T0_E_clISt17integral_constantIbLb1EES1A_IbLb0EEEEDaS16_S17_EUlS16_E_NS1_11comp_targetILNS1_3genE4ELNS1_11target_archE910ELNS1_3gpuE8ELNS1_3repE0EEENS1_30default_config_static_selectorELNS0_4arch9wavefront6targetE1EEEvT1_: ; @_ZN7rocprim17ROCPRIM_400000_NS6detail17trampoline_kernelINS0_14default_configENS1_25partition_config_selectorILNS1_17partition_subalgoE1EjNS0_10empty_typeEbEEZZNS1_14partition_implILS5_1ELb0ES3_jN6thrust23THRUST_200600_302600_NS6detail15normal_iteratorINSA_10device_ptrIjEEEEPS6_NSA_18transform_iteratorI7is_evenIjESF_NSA_11use_defaultESK_EENS0_5tupleIJNSA_16discard_iteratorISK_EESO_EEENSM_IJSG_SG_EEES6_PlJS6_EEE10hipError_tPvRmT3_T4_T5_T6_T7_T9_mT8_P12ihipStream_tbDpT10_ENKUlT_T0_E_clISt17integral_constantIbLb1EES1A_IbLb0EEEEDaS16_S17_EUlS16_E_NS1_11comp_targetILNS1_3genE4ELNS1_11target_archE910ELNS1_3gpuE8ELNS1_3repE0EEENS1_30default_config_static_selectorELNS0_4arch9wavefront6targetE1EEEvT1_
; %bb.0:
	s_load_dwordx2 s[0:1], s[4:5], 0x70
	s_load_dwordx4 s[12:15], s[4:5], 0x8
	s_load_dwordx2 s[2:3], s[4:5], 0x20
	s_load_dwordx4 s[20:23], s[4:5], 0x60
	s_waitcnt lgkmcnt(0)
	v_mov_b32_e32 v3, s1
	s_load_dword s1, s[4:5], 0x88
	s_lshl_b64 s[8:9], s[14:15], 2
	s_add_u32 s16, s12, s8
	s_addc_u32 s17, s13, s9
	v_mov_b32_e32 v2, s0
	s_waitcnt lgkmcnt(0)
	s_add_i32 s10, s1, -1
	s_mulk_i32 s1, 0x700
	s_add_i32 s7, s1, s14
	s_sub_i32 s7, s0, s7
	s_addk_i32 s7, 0x700
	s_add_u32 s0, s14, s1
	s_addc_u32 s1, s15, 0
	s_cmp_eq_u32 s6, s10
	s_load_dwordx2 s[18:19], s[22:23], 0x0
	s_cselect_b64 s[22:23], -1, 0
	s_cmp_lg_u32 s6, s10
	s_mul_i32 s12, s6, 0x700
	s_mov_b32 s13, 0
	v_cmp_lt_u64_e32 vcc, s[0:1], v[2:3]
	s_cselect_b64 s[0:1], -1, 0
	s_or_b64 s[10:11], s[0:1], vcc
	s_lshl_b64 s[12:13], s[12:13], 2
	s_add_u32 s16, s16, s12
	s_addc_u32 s17, s17, s13
	s_mov_b64 s[0:1], -1
	s_and_b64 vcc, exec, s[10:11]
	s_cbranch_vccz .LBB2989_2
; %bb.1:
	v_lshlrev_b32_e32 v1, 2, v0
	v_mov_b32_e32 v3, s17
	v_add_co_u32_e32 v2, vcc, s16, v1
	v_addc_co_u32_e32 v3, vcc, 0, v3, vcc
	v_add_co_u32_e32 v4, vcc, 0x1000, v2
	v_addc_co_u32_e32 v5, vcc, 0, v3, vcc
	flat_load_dword v6, v[2:3]
	flat_load_dword v7, v[2:3] offset:1024
	flat_load_dword v8, v[2:3] offset:2048
	flat_load_dword v9, v[2:3] offset:3072
	flat_load_dword v10, v[4:5]
	flat_load_dword v11, v[4:5] offset:1024
	flat_load_dword v12, v[4:5] offset:2048
	s_mov_b64 s[0:1], 0
	s_waitcnt vmcnt(0) lgkmcnt(0)
	ds_write2st64_b32 v1, v6, v7 offset1:4
	ds_write2st64_b32 v1, v8, v9 offset0:8 offset1:12
	ds_write2st64_b32 v1, v10, v11 offset0:16 offset1:20
	ds_write_b32 v1, v12 offset:6144
	s_waitcnt lgkmcnt(0)
	s_barrier
.LBB2989_2:
	s_andn2_b64 vcc, exec, s[0:1]
	v_cmp_gt_u32_e64 s[0:1], s7, v0
	s_cbranch_vccnz .LBB2989_18
; %bb.3:
                                        ; implicit-def: $vgpr2_vgpr3_vgpr4_vgpr5_vgpr6_vgpr7_vgpr8
	s_and_saveexec_b64 s[14:15], s[0:1]
	s_cbranch_execz .LBB2989_5
; %bb.4:
	v_lshlrev_b32_e32 v1, 2, v0
	v_mov_b32_e32 v3, s17
	v_add_co_u32_e32 v2, vcc, s16, v1
	v_addc_co_u32_e32 v3, vcc, 0, v3, vcc
	flat_load_dword v2, v[2:3]
.LBB2989_5:
	s_or_b64 exec, exec, s[14:15]
	v_or_b32_e32 v1, 0x100, v0
	v_cmp_gt_u32_e32 vcc, s7, v1
	s_and_saveexec_b64 s[0:1], vcc
	s_cbranch_execz .LBB2989_7
; %bb.6:
	v_lshlrev_b32_e32 v1, 2, v0
	v_mov_b32_e32 v3, s17
	v_add_co_u32_e32 v10, vcc, s16, v1
	v_addc_co_u32_e32 v11, vcc, 0, v3, vcc
	flat_load_dword v3, v[10:11] offset:1024
.LBB2989_7:
	s_or_b64 exec, exec, s[0:1]
	v_or_b32_e32 v1, 0x200, v0
	v_cmp_gt_u32_e32 vcc, s7, v1
	s_and_saveexec_b64 s[0:1], vcc
	s_cbranch_execz .LBB2989_9
; %bb.8:
	v_lshlrev_b32_e32 v1, 2, v0
	v_mov_b32_e32 v4, s17
	v_add_co_u32_e32 v10, vcc, s16, v1
	v_addc_co_u32_e32 v11, vcc, 0, v4, vcc
	flat_load_dword v4, v[10:11] offset:2048
.LBB2989_9:
	;; [unrolled: 12-line block ×3, first 2 shown]
	s_or_b64 exec, exec, s[0:1]
	v_or_b32_e32 v1, 0x400, v0
	v_cmp_gt_u32_e32 vcc, s7, v1
	s_and_saveexec_b64 s[0:1], vcc
	s_cbranch_execz .LBB2989_13
; %bb.12:
	v_lshlrev_b32_e32 v1, 2, v1
	v_mov_b32_e32 v6, s17
	v_add_co_u32_e32 v10, vcc, s16, v1
	v_addc_co_u32_e32 v11, vcc, 0, v6, vcc
	flat_load_dword v6, v[10:11]
.LBB2989_13:
	s_or_b64 exec, exec, s[0:1]
	v_or_b32_e32 v1, 0x500, v0
	v_cmp_gt_u32_e32 vcc, s7, v1
	s_and_saveexec_b64 s[0:1], vcc
	s_cbranch_execz .LBB2989_15
; %bb.14:
	v_lshlrev_b32_e32 v1, 2, v1
	v_mov_b32_e32 v7, s17
	v_add_co_u32_e32 v10, vcc, s16, v1
	v_addc_co_u32_e32 v11, vcc, 0, v7, vcc
	flat_load_dword v7, v[10:11]
.LBB2989_15:
	;; [unrolled: 12-line block ×3, first 2 shown]
	s_or_b64 exec, exec, s[0:1]
	v_lshlrev_b32_e32 v1, 2, v0
	s_waitcnt vmcnt(0) lgkmcnt(0)
	ds_write2st64_b32 v1, v2, v3 offset1:4
	ds_write2st64_b32 v1, v4, v5 offset0:8 offset1:12
	ds_write2st64_b32 v1, v6, v7 offset0:16 offset1:20
	ds_write_b32 v1, v8 offset:6144
	s_waitcnt lgkmcnt(0)
	s_barrier
.LBB2989_18:
	v_mul_u32_u24_e32 v18, 7, v0
	v_lshlrev_b32_e32 v8, 2, v18
	s_waitcnt lgkmcnt(0)
	ds_read2_b32 v[6:7], v8 offset1:1
	ds_read2_b32 v[4:5], v8 offset0:2 offset1:3
	ds_read2_b32 v[2:3], v8 offset0:4 offset1:5
	ds_read_b32 v1, v8 offset:24
	s_add_u32 s0, s2, s8
	s_addc_u32 s1, s3, s9
	s_add_u32 s0, s0, s12
	s_addc_u32 s1, s1, s13
	s_mov_b64 s[2:3], -1
	s_and_b64 vcc, exec, s[10:11]
	s_waitcnt lgkmcnt(0)
	s_barrier
	s_cbranch_vccz .LBB2989_20
; %bb.19:
	v_lshlrev_b32_e32 v9, 2, v0
	v_mov_b32_e32 v10, s1
	v_add_co_u32_e32 v11, vcc, s0, v9
	v_addc_co_u32_e32 v12, vcc, 0, v10, vcc
	s_movk_i32 s2, 0x1000
	v_add_co_u32_e32 v10, vcc, s2, v11
	v_addc_co_u32_e32 v11, vcc, 0, v12, vcc
	global_load_dword v13, v9, s[0:1]
	global_load_dword v14, v9, s[0:1] offset:1024
	global_load_dword v15, v9, s[0:1] offset:2048
	;; [unrolled: 1-line block ×3, first 2 shown]
	s_nop 0
	global_load_dword v9, v[10:11], off
	global_load_dword v12, v[10:11], off offset:1024
	global_load_dword v17, v[10:11], off offset:2048
	s_mov_b64 s[2:3], 0
	s_waitcnt vmcnt(6)
	v_xor_b32_e32 v10, -1, v13
	s_waitcnt vmcnt(5)
	v_xor_b32_e32 v11, -1, v14
	;; [unrolled: 2-line block ×3, first 2 shown]
	v_xor_b32_e32 v13, -1, v15
	v_xor_b32_e32 v14, -1, v16
	v_and_b32_e32 v10, 1, v10
	v_and_b32_e32 v11, 1, v11
	s_waitcnt vmcnt(1)
	v_xor_b32_e32 v12, -1, v12
	s_waitcnt vmcnt(0)
	v_xor_b32_e32 v15, -1, v17
	v_and_b32_e32 v9, 1, v9
	v_and_b32_e32 v13, 1, v13
	;; [unrolled: 1-line block ×3, first 2 shown]
	ds_write_b8 v0, v10
	ds_write_b8 v0, v11 offset:256
	ds_write_b8 v0, v13 offset:512
	;; [unrolled: 1-line block ×3, first 2 shown]
	v_and_b32_e32 v10, 1, v12
	v_and_b32_e32 v11, 1, v15
	ds_write_b8 v0, v9 offset:1024
	ds_write_b8 v0, v10 offset:1280
	;; [unrolled: 1-line block ×3, first 2 shown]
	s_waitcnt lgkmcnt(0)
	s_barrier
.LBB2989_20:
	s_load_dwordx2 s[24:25], s[4:5], 0x80
	s_andn2_b64 vcc, exec, s[2:3]
	s_cbranch_vccnz .LBB2989_36
; %bb.21:
	v_cmp_gt_u32_e32 vcc, s7, v0
	v_mov_b32_e32 v9, 0
	v_mov_b32_e32 v10, 0
	s_and_saveexec_b64 s[2:3], vcc
	s_cbranch_execz .LBB2989_23
; %bb.22:
	v_lshlrev_b32_e32 v10, 2, v0
	global_load_dword v10, v10, s[0:1]
	s_waitcnt vmcnt(0)
	v_xor_b32_e32 v10, -1, v10
	v_and_b32_e32 v10, 1, v10
.LBB2989_23:
	s_or_b64 exec, exec, s[2:3]
	v_or_b32_e32 v11, 0x100, v0
	v_cmp_gt_u32_e32 vcc, s7, v11
	s_and_saveexec_b64 s[2:3], vcc
	s_cbranch_execz .LBB2989_25
; %bb.24:
	v_lshlrev_b32_e32 v9, 2, v0
	global_load_dword v9, v9, s[0:1] offset:1024
	s_waitcnt vmcnt(0)
	v_xor_b32_e32 v9, -1, v9
	v_and_b32_e32 v9, 1, v9
.LBB2989_25:
	s_or_b64 exec, exec, s[2:3]
	v_or_b32_e32 v11, 0x200, v0
	v_cmp_gt_u32_e32 vcc, s7, v11
	v_mov_b32_e32 v11, 0
	v_mov_b32_e32 v12, 0
	s_and_saveexec_b64 s[2:3], vcc
	s_cbranch_execz .LBB2989_27
; %bb.26:
	v_lshlrev_b32_e32 v12, 2, v0
	global_load_dword v12, v12, s[0:1] offset:2048
	s_waitcnt vmcnt(0)
	v_xor_b32_e32 v12, -1, v12
	v_and_b32_e32 v12, 1, v12
.LBB2989_27:
	s_or_b64 exec, exec, s[2:3]
	v_or_b32_e32 v13, 0x300, v0
	v_cmp_gt_u32_e32 vcc, s7, v13
	s_and_saveexec_b64 s[2:3], vcc
	s_cbranch_execz .LBB2989_29
; %bb.28:
	v_lshlrev_b32_e32 v11, 2, v0
	global_load_dword v11, v11, s[0:1] offset:3072
	s_waitcnt vmcnt(0)
	v_xor_b32_e32 v11, -1, v11
	v_and_b32_e32 v11, 1, v11
.LBB2989_29:
	s_or_b64 exec, exec, s[2:3]
	v_or_b32_e32 v15, 0x400, v0
	v_cmp_gt_u32_e32 vcc, s7, v15
	v_mov_b32_e32 v13, 0
	v_mov_b32_e32 v14, 0
	s_and_saveexec_b64 s[2:3], vcc
	s_cbranch_execz .LBB2989_31
; %bb.30:
	v_lshlrev_b32_e32 v14, 2, v15
	global_load_dword v14, v14, s[0:1]
	s_waitcnt vmcnt(0)
	v_xor_b32_e32 v14, -1, v14
	v_and_b32_e32 v14, 1, v14
.LBB2989_31:
	s_or_b64 exec, exec, s[2:3]
	v_or_b32_e32 v15, 0x500, v0
	v_cmp_gt_u32_e32 vcc, s7, v15
	s_and_saveexec_b64 s[2:3], vcc
	s_cbranch_execz .LBB2989_33
; %bb.32:
	v_lshlrev_b32_e32 v13, 2, v15
	global_load_dword v13, v13, s[0:1]
	s_waitcnt vmcnt(0)
	v_xor_b32_e32 v13, -1, v13
	v_and_b32_e32 v13, 1, v13
.LBB2989_33:
	s_or_b64 exec, exec, s[2:3]
	v_or_b32_e32 v16, 0x600, v0
	v_cmp_gt_u32_e32 vcc, s7, v16
	v_mov_b32_e32 v15, 0
	s_and_saveexec_b64 s[2:3], vcc
	s_cbranch_execz .LBB2989_35
; %bb.34:
	v_lshlrev_b32_e32 v15, 2, v16
	global_load_dword v15, v15, s[0:1]
	s_waitcnt vmcnt(0)
	v_xor_b32_e32 v15, -1, v15
	v_and_b32_e32 v15, 1, v15
.LBB2989_35:
	s_or_b64 exec, exec, s[2:3]
	ds_write_b8 v0, v10
	ds_write_b8 v0, v9 offset:256
	ds_write_b8 v0, v12 offset:512
	;; [unrolled: 1-line block ×6, first 2 shown]
	s_waitcnt lgkmcnt(0)
	s_barrier
.LBB2989_36:
	s_movk_i32 s0, 0xffeb
	v_mad_i32_i24 v27, v0, s0, v8
	s_waitcnt lgkmcnt(0)
	ds_read_u8 v8, v27
	ds_read_u8 v9, v27 offset:1
	ds_read_u8 v10, v27 offset:2
	;; [unrolled: 1-line block ×6, first 2 shown]
	s_waitcnt lgkmcnt(6)
	v_and_b32_e32 v25, 1, v8
	s_waitcnt lgkmcnt(5)
	v_and_b32_e32 v24, 1, v9
	;; [unrolled: 2-line block ×5, first 2 shown]
	v_add3_u32 v8, v24, v25, v23
	s_waitcnt lgkmcnt(1)
	v_and_b32_e32 v20, 1, v13
	s_waitcnt lgkmcnt(0)
	v_and_b32_e32 v19, 1, v14
	v_add3_u32 v8, v8, v22, v21
	v_add3_u32 v29, v8, v20, v19
	v_mbcnt_lo_u32_b32 v8, -1, 0
	v_mbcnt_hi_u32_b32 v26, -1, v8
	v_and_b32_e32 v8, 15, v26
	v_cmp_eq_u32_e64 s[12:13], 0, v8
	v_cmp_lt_u32_e64 s[10:11], 1, v8
	v_cmp_lt_u32_e64 s[8:9], 3, v8
	;; [unrolled: 1-line block ×3, first 2 shown]
	v_and_b32_e32 v8, 16, v26
	v_cmp_eq_u32_e64 s[4:5], 0, v8
	v_or_b32_e32 v8, 63, v0
	s_cmp_lg_u32 s6, 0
	v_cmp_lt_u32_e64 s[0:1], 31, v26
	v_lshrrev_b32_e32 v28, 6, v0
	v_cmp_eq_u32_e64 s[2:3], v8, v0
	s_barrier
	s_cbranch_scc0 .LBB2989_67
; %bb.37:
	v_mov_b32_dpp v8, v29 row_shr:1 row_mask:0xf bank_mask:0xf
	v_cndmask_b32_e64 v8, v8, 0, s[12:13]
	v_add_u32_e32 v8, v8, v29
	s_nop 1
	v_mov_b32_dpp v9, v8 row_shr:2 row_mask:0xf bank_mask:0xf
	v_cndmask_b32_e64 v9, 0, v9, s[10:11]
	v_add_u32_e32 v8, v8, v9
	s_nop 1
	;; [unrolled: 4-line block ×4, first 2 shown]
	v_mov_b32_dpp v9, v8 row_bcast:15 row_mask:0xf bank_mask:0xf
	v_cndmask_b32_e64 v9, v9, 0, s[4:5]
	v_add_u32_e32 v8, v8, v9
	s_nop 1
	v_mov_b32_dpp v9, v8 row_bcast:31 row_mask:0xf bank_mask:0xf
	v_cndmask_b32_e64 v9, 0, v9, s[0:1]
	v_add_u32_e32 v8, v8, v9
	s_and_saveexec_b64 s[14:15], s[2:3]
	s_cbranch_execz .LBB2989_39
; %bb.38:
	v_lshlrev_b32_e32 v9, 2, v28
	ds_write_b32 v9, v8
.LBB2989_39:
	s_or_b64 exec, exec, s[14:15]
	v_cmp_gt_u32_e32 vcc, 4, v0
	s_waitcnt lgkmcnt(0)
	s_barrier
	s_and_saveexec_b64 s[14:15], vcc
	s_cbranch_execz .LBB2989_41
; %bb.40:
	v_lshlrev_b32_e32 v9, 2, v0
	ds_read_b32 v10, v9
	v_and_b32_e32 v11, 3, v26
	v_cmp_ne_u32_e32 vcc, 0, v11
	s_waitcnt lgkmcnt(0)
	v_mov_b32_dpp v12, v10 row_shr:1 row_mask:0xf bank_mask:0xf
	v_cndmask_b32_e32 v12, 0, v12, vcc
	v_add_u32_e32 v10, v12, v10
	v_cmp_lt_u32_e32 vcc, 1, v11
	s_nop 0
	v_mov_b32_dpp v12, v10 row_shr:2 row_mask:0xf bank_mask:0xf
	v_cndmask_b32_e32 v11, 0, v12, vcc
	v_add_u32_e32 v10, v10, v11
	ds_write_b32 v9, v10
.LBB2989_41:
	s_or_b64 exec, exec, s[14:15]
	v_cmp_gt_u32_e32 vcc, 64, v0
	v_cmp_lt_u32_e64 s[14:15], 63, v0
	s_waitcnt lgkmcnt(0)
	s_barrier
	s_waitcnt lgkmcnt(0)
                                        ; implicit-def: $vgpr30
	s_and_saveexec_b64 s[26:27], s[14:15]
	s_cbranch_execz .LBB2989_43
; %bb.42:
	v_lshl_add_u32 v9, v28, 2, -4
	ds_read_b32 v30, v9
	s_waitcnt lgkmcnt(0)
	v_add_u32_e32 v8, v30, v8
.LBB2989_43:
	s_or_b64 exec, exec, s[26:27]
	v_add_u32_e32 v9, -1, v26
	v_and_b32_e32 v10, 64, v26
	v_cmp_lt_i32_e64 s[14:15], v9, v10
	v_cndmask_b32_e64 v9, v9, v26, s[14:15]
	v_lshlrev_b32_e32 v9, 2, v9
	ds_bpermute_b32 v31, v9, v8
	v_cmp_eq_u32_e64 s[14:15], 0, v26
	s_and_saveexec_b64 s[26:27], vcc
	s_cbranch_execz .LBB2989_66
; %bb.44:
	v_mov_b32_e32 v17, 0
	ds_read_b32 v8, v17 offset:12
	s_and_saveexec_b64 s[28:29], s[14:15]
	s_cbranch_execz .LBB2989_46
; %bb.45:
	s_add_i32 s30, s6, 64
	s_mov_b32 s31, 0
	s_lshl_b64 s[30:31], s[30:31], 3
	s_add_u32 s30, s24, s30
	v_mov_b32_e32 v9, 1
	s_addc_u32 s31, s25, s31
	s_waitcnt lgkmcnt(0)
	global_store_dwordx2 v17, v[8:9], s[30:31]
.LBB2989_46:
	s_or_b64 exec, exec, s[28:29]
	v_xad_u32 v10, v26, -1, s6
	v_add_u32_e32 v16, 64, v10
	v_lshlrev_b64 v[12:13], 3, v[16:17]
	v_mov_b32_e32 v9, s25
	v_add_co_u32_e32 v12, vcc, s24, v12
	v_addc_co_u32_e32 v13, vcc, v9, v13, vcc
	global_load_dwordx2 v[14:15], v[12:13], off glc
	s_waitcnt vmcnt(0)
	v_cmp_eq_u16_sdwa s[30:31], v15, v17 src0_sel:BYTE_0 src1_sel:DWORD
	s_and_saveexec_b64 s[28:29], s[30:31]
	s_cbranch_execz .LBB2989_52
; %bb.47:
	s_mov_b32 s7, 1
	s_mov_b64 s[30:31], 0
	v_mov_b32_e32 v9, 0
.LBB2989_48:                            ; =>This Loop Header: Depth=1
                                        ;     Child Loop BB2989_49 Depth 2
	s_max_u32 s33, s7, 1
.LBB2989_49:                            ;   Parent Loop BB2989_48 Depth=1
                                        ; =>  This Inner Loop Header: Depth=2
	s_add_i32 s33, s33, -1
	s_cmp_eq_u32 s33, 0
	s_sleep 1
	s_cbranch_scc0 .LBB2989_49
; %bb.50:                               ;   in Loop: Header=BB2989_48 Depth=1
	global_load_dwordx2 v[14:15], v[12:13], off glc
	s_cmp_lt_u32 s7, 32
	s_cselect_b64 s[34:35], -1, 0
	s_cmp_lg_u64 s[34:35], 0
	s_addc_u32 s7, s7, 0
	s_waitcnt vmcnt(0)
	v_cmp_ne_u16_sdwa s[34:35], v15, v9 src0_sel:BYTE_0 src1_sel:DWORD
	s_or_b64 s[30:31], s[34:35], s[30:31]
	s_andn2_b64 exec, exec, s[30:31]
	s_cbranch_execnz .LBB2989_48
; %bb.51:
	s_or_b64 exec, exec, s[30:31]
.LBB2989_52:
	s_or_b64 exec, exec, s[28:29]
	v_and_b32_e32 v33, 63, v26
	v_mov_b32_e32 v32, 2
	v_cmp_ne_u32_e32 vcc, 63, v33
	v_cmp_eq_u16_sdwa s[28:29], v15, v32 src0_sel:BYTE_0 src1_sel:DWORD
	v_lshlrev_b64 v[12:13], v26, -1
	v_addc_co_u32_e32 v16, vcc, 0, v26, vcc
	v_and_b32_e32 v9, s29, v13
	v_lshlrev_b32_e32 v34, 2, v16
	v_or_b32_e32 v9, 0x80000000, v9
	ds_bpermute_b32 v16, v34, v14
	v_and_b32_e32 v11, s28, v12
	v_ffbl_b32_e32 v9, v9
	v_add_u32_e32 v9, 32, v9
	v_ffbl_b32_e32 v11, v11
	v_min_u32_e32 v9, v11, v9
	v_cmp_lt_u32_e32 vcc, v33, v9
	s_waitcnt lgkmcnt(0)
	v_cndmask_b32_e32 v11, 0, v16, vcc
	v_cmp_gt_u32_e32 vcc, 62, v33
	v_add_u32_e32 v11, v11, v14
	v_cndmask_b32_e64 v14, 0, 1, vcc
	v_lshlrev_b32_e32 v14, 1, v14
	v_add_lshl_u32 v35, v14, v26, 2
	ds_bpermute_b32 v14, v35, v11
	v_add_u32_e32 v36, 2, v33
	v_cmp_le_u32_e32 vcc, v36, v9
	v_add_u32_e32 v38, 4, v33
	v_add_u32_e32 v40, 8, v33
	s_waitcnt lgkmcnt(0)
	v_cndmask_b32_e32 v14, 0, v14, vcc
	v_cmp_gt_u32_e32 vcc, 60, v33
	v_add_u32_e32 v11, v11, v14
	v_cndmask_b32_e64 v14, 0, 1, vcc
	v_lshlrev_b32_e32 v14, 2, v14
	v_add_lshl_u32 v37, v14, v26, 2
	ds_bpermute_b32 v14, v37, v11
	v_cmp_le_u32_e32 vcc, v38, v9
	v_add_u32_e32 v42, 16, v33
	v_add_u32_e32 v44, 32, v33
	s_waitcnt lgkmcnt(0)
	v_cndmask_b32_e32 v14, 0, v14, vcc
	v_cmp_gt_u32_e32 vcc, 56, v33
	v_add_u32_e32 v11, v11, v14
	v_cndmask_b32_e64 v14, 0, 1, vcc
	v_lshlrev_b32_e32 v14, 3, v14
	v_add_lshl_u32 v39, v14, v26, 2
	ds_bpermute_b32 v14, v39, v11
	v_cmp_le_u32_e32 vcc, v40, v9
	s_waitcnt lgkmcnt(0)
	v_cndmask_b32_e32 v14, 0, v14, vcc
	v_cmp_gt_u32_e32 vcc, 48, v33
	v_add_u32_e32 v11, v11, v14
	v_cndmask_b32_e64 v14, 0, 1, vcc
	v_lshlrev_b32_e32 v14, 4, v14
	v_add_lshl_u32 v41, v14, v26, 2
	ds_bpermute_b32 v14, v41, v11
	v_cmp_le_u32_e32 vcc, v42, v9
	;; [unrolled: 9-line block ×3, first 2 shown]
	s_waitcnt lgkmcnt(0)
	v_cndmask_b32_e32 v9, 0, v14, vcc
	v_add_u32_e32 v14, v11, v9
	v_mov_b32_e32 v11, 0
	s_branch .LBB2989_54
.LBB2989_53:                            ;   in Loop: Header=BB2989_54 Depth=1
	s_or_b64 exec, exec, s[28:29]
	v_cmp_eq_u16_sdwa s[28:29], v15, v32 src0_sel:BYTE_0 src1_sel:DWORD
	v_and_b32_e32 v16, s29, v13
	v_or_b32_e32 v16, 0x80000000, v16
	ds_bpermute_b32 v45, v34, v14
	v_and_b32_e32 v17, s28, v12
	v_ffbl_b32_e32 v16, v16
	v_add_u32_e32 v16, 32, v16
	v_ffbl_b32_e32 v17, v17
	v_min_u32_e32 v16, v17, v16
	v_cmp_lt_u32_e32 vcc, v33, v16
	s_waitcnt lgkmcnt(0)
	v_cndmask_b32_e32 v17, 0, v45, vcc
	v_add_u32_e32 v14, v17, v14
	ds_bpermute_b32 v17, v35, v14
	v_cmp_le_u32_e32 vcc, v36, v16
	v_subrev_u32_e32 v10, 64, v10
	s_waitcnt lgkmcnt(0)
	v_cndmask_b32_e32 v17, 0, v17, vcc
	v_add_u32_e32 v14, v14, v17
	ds_bpermute_b32 v17, v37, v14
	v_cmp_le_u32_e32 vcc, v38, v16
	s_waitcnt lgkmcnt(0)
	v_cndmask_b32_e32 v17, 0, v17, vcc
	v_add_u32_e32 v14, v14, v17
	ds_bpermute_b32 v17, v39, v14
	v_cmp_le_u32_e32 vcc, v40, v16
	;; [unrolled: 5-line block ×4, first 2 shown]
	s_waitcnt lgkmcnt(0)
	v_cndmask_b32_e32 v16, 0, v17, vcc
	v_add3_u32 v14, v16, v9, v14
.LBB2989_54:                            ; =>This Loop Header: Depth=1
                                        ;     Child Loop BB2989_57 Depth 2
                                        ;       Child Loop BB2989_58 Depth 3
	v_cmp_ne_u16_sdwa s[28:29], v15, v32 src0_sel:BYTE_0 src1_sel:DWORD
	v_cndmask_b32_e64 v9, 0, 1, s[28:29]
	;;#ASMSTART
	;;#ASMEND
	v_cmp_ne_u32_e32 vcc, 0, v9
	s_cmp_lg_u64 vcc, exec
	v_mov_b32_e32 v9, v14
	s_cbranch_scc1 .LBB2989_61
; %bb.55:                               ;   in Loop: Header=BB2989_54 Depth=1
	v_lshlrev_b64 v[14:15], 3, v[10:11]
	v_mov_b32_e32 v17, s25
	v_add_co_u32_e32 v16, vcc, s24, v14
	v_addc_co_u32_e32 v17, vcc, v17, v15, vcc
	global_load_dwordx2 v[14:15], v[16:17], off glc
	s_waitcnt vmcnt(0)
	v_cmp_eq_u16_sdwa s[30:31], v15, v11 src0_sel:BYTE_0 src1_sel:DWORD
	s_and_saveexec_b64 s[28:29], s[30:31]
	s_cbranch_execz .LBB2989_53
; %bb.56:                               ;   in Loop: Header=BB2989_54 Depth=1
	s_mov_b32 s7, 1
	s_mov_b64 s[30:31], 0
.LBB2989_57:                            ;   Parent Loop BB2989_54 Depth=1
                                        ; =>  This Loop Header: Depth=2
                                        ;       Child Loop BB2989_58 Depth 3
	s_max_u32 s33, s7, 1
.LBB2989_58:                            ;   Parent Loop BB2989_54 Depth=1
                                        ;     Parent Loop BB2989_57 Depth=2
                                        ; =>    This Inner Loop Header: Depth=3
	s_add_i32 s33, s33, -1
	s_cmp_eq_u32 s33, 0
	s_sleep 1
	s_cbranch_scc0 .LBB2989_58
; %bb.59:                               ;   in Loop: Header=BB2989_57 Depth=2
	global_load_dwordx2 v[14:15], v[16:17], off glc
	s_cmp_lt_u32 s7, 32
	s_cselect_b64 s[34:35], -1, 0
	s_cmp_lg_u64 s[34:35], 0
	s_addc_u32 s7, s7, 0
	s_waitcnt vmcnt(0)
	v_cmp_ne_u16_sdwa s[34:35], v15, v11 src0_sel:BYTE_0 src1_sel:DWORD
	s_or_b64 s[30:31], s[34:35], s[30:31]
	s_andn2_b64 exec, exec, s[30:31]
	s_cbranch_execnz .LBB2989_57
; %bb.60:                               ;   in Loop: Header=BB2989_54 Depth=1
	s_or_b64 exec, exec, s[30:31]
	s_branch .LBB2989_53
.LBB2989_61:                            ;   in Loop: Header=BB2989_54 Depth=1
                                        ; implicit-def: $vgpr14
                                        ; implicit-def: $vgpr15
	s_cbranch_execz .LBB2989_54
; %bb.62:
	s_and_saveexec_b64 s[28:29], s[14:15]
	s_cbranch_execz .LBB2989_64
; %bb.63:
	s_add_i32 s6, s6, 64
	s_mov_b32 s7, 0
	s_lshl_b64 s[6:7], s[6:7], 3
	s_add_u32 s6, s24, s6
	v_add_u32_e32 v10, v9, v8
	v_mov_b32_e32 v11, 2
	s_addc_u32 s7, s25, s7
	v_mov_b32_e32 v12, 0
	global_store_dwordx2 v12, v[10:11], s[6:7]
	ds_write_b64 v12, v[8:9] offset:7168
.LBB2989_64:
	s_or_b64 exec, exec, s[28:29]
	v_cmp_eq_u32_e32 vcc, 0, v0
	s_and_b64 exec, exec, vcc
	s_cbranch_execz .LBB2989_66
; %bb.65:
	v_mov_b32_e32 v8, 0
	ds_write_b32 v8, v9 offset:12
.LBB2989_66:
	s_or_b64 exec, exec, s[26:27]
	v_mov_b32_e32 v8, 0
	s_waitcnt lgkmcnt(0)
	s_barrier
	ds_read_b32 v9, v8 offset:12
	v_cndmask_b32_e64 v10, v31, v30, s[14:15]
	v_cmp_ne_u32_e32 vcc, 0, v0
	v_cndmask_b32_e32 v10, 0, v10, vcc
	s_waitcnt lgkmcnt(0)
	v_add_u32_e32 v16, v9, v10
	v_add_u32_e32 v15, v16, v25
	;; [unrolled: 1-line block ×3, first 2 shown]
	s_barrier
	ds_read_b64 v[8:9], v8 offset:7168
	v_add_u32_e32 v12, v14, v23
	v_add_u32_e32 v13, v12, v22
	;; [unrolled: 1-line block ×4, first 2 shown]
	s_branch .LBB2989_77
.LBB2989_67:
                                        ; implicit-def: $vgpr9
                                        ; implicit-def: $vgpr10
                                        ; implicit-def: $vgpr11
                                        ; implicit-def: $vgpr13
                                        ; implicit-def: $vgpr12
                                        ; implicit-def: $vgpr14
                                        ; implicit-def: $vgpr15
                                        ; implicit-def: $vgpr16
	s_cbranch_execz .LBB2989_77
; %bb.68:
	s_waitcnt lgkmcnt(0)
	v_mov_b32_dpp v8, v29 row_shr:1 row_mask:0xf bank_mask:0xf
	v_cndmask_b32_e64 v8, v8, 0, s[12:13]
	v_add_u32_e32 v8, v8, v29
	s_nop 1
	v_mov_b32_dpp v9, v8 row_shr:2 row_mask:0xf bank_mask:0xf
	v_cndmask_b32_e64 v9, 0, v9, s[10:11]
	v_add_u32_e32 v8, v8, v9
	s_nop 1
	;; [unrolled: 4-line block ×4, first 2 shown]
	v_mov_b32_dpp v9, v8 row_bcast:15 row_mask:0xf bank_mask:0xf
	v_cndmask_b32_e64 v9, v9, 0, s[4:5]
	v_add_u32_e32 v8, v8, v9
	s_nop 1
	v_mov_b32_dpp v9, v8 row_bcast:31 row_mask:0xf bank_mask:0xf
	v_cndmask_b32_e64 v9, 0, v9, s[0:1]
	v_add_u32_e32 v8, v8, v9
	s_and_saveexec_b64 s[0:1], s[2:3]
	s_cbranch_execz .LBB2989_70
; %bb.69:
	v_lshlrev_b32_e32 v9, 2, v28
	ds_write_b32 v9, v8
.LBB2989_70:
	s_or_b64 exec, exec, s[0:1]
	v_cmp_gt_u32_e32 vcc, 4, v0
	s_waitcnt lgkmcnt(0)
	s_barrier
	s_and_saveexec_b64 s[0:1], vcc
	s_cbranch_execz .LBB2989_72
; %bb.71:
	v_mad_i32_i24 v9, v0, -3, v27
	ds_read_b32 v10, v9
	v_and_b32_e32 v11, 3, v26
	v_cmp_ne_u32_e32 vcc, 0, v11
	s_waitcnt lgkmcnt(0)
	v_mov_b32_dpp v12, v10 row_shr:1 row_mask:0xf bank_mask:0xf
	v_cndmask_b32_e32 v12, 0, v12, vcc
	v_add_u32_e32 v10, v12, v10
	v_cmp_lt_u32_e32 vcc, 1, v11
	s_nop 0
	v_mov_b32_dpp v12, v10 row_shr:2 row_mask:0xf bank_mask:0xf
	v_cndmask_b32_e32 v11, 0, v12, vcc
	v_add_u32_e32 v10, v10, v11
	ds_write_b32 v9, v10
.LBB2989_72:
	s_or_b64 exec, exec, s[0:1]
	v_cmp_lt_u32_e32 vcc, 63, v0
	v_mov_b32_e32 v9, 0
	v_mov_b32_e32 v10, 0
	s_waitcnt lgkmcnt(0)
	s_barrier
	s_and_saveexec_b64 s[0:1], vcc
	s_cbranch_execz .LBB2989_74
; %bb.73:
	v_lshl_add_u32 v10, v28, 2, -4
	ds_read_b32 v10, v10
.LBB2989_74:
	s_or_b64 exec, exec, s[0:1]
	v_add_u32_e32 v11, -1, v26
	v_and_b32_e32 v12, 64, v26
	v_cmp_lt_i32_e32 vcc, v11, v12
	v_cndmask_b32_e32 v11, v11, v26, vcc
	s_waitcnt lgkmcnt(0)
	v_add_u32_e32 v8, v10, v8
	v_lshlrev_b32_e32 v11, 2, v11
	ds_bpermute_b32 v11, v11, v8
	ds_read_b32 v8, v9 offset:12
	v_cmp_eq_u32_e32 vcc, 0, v0
	s_and_saveexec_b64 s[0:1], vcc
	s_cbranch_execz .LBB2989_76
; %bb.75:
	v_mov_b32_e32 v12, 0
	v_mov_b32_e32 v9, 2
	s_waitcnt lgkmcnt(0)
	global_store_dwordx2 v12, v[8:9], s[24:25] offset:512
.LBB2989_76:
	s_or_b64 exec, exec, s[0:1]
	v_cmp_eq_u32_e64 s[0:1], 0, v26
	s_waitcnt lgkmcnt(1)
	v_cndmask_b32_e64 v10, v11, v10, s[0:1]
	v_cndmask_b32_e64 v16, v10, 0, vcc
	v_add_u32_e32 v15, v16, v25
	v_add_u32_e32 v14, v15, v24
	;; [unrolled: 1-line block ×5, first 2 shown]
	v_mov_b32_e32 v9, 0
	v_add_u32_e32 v10, v11, v20
	s_waitcnt lgkmcnt(0)
	s_barrier
.LBB2989_77:
	s_waitcnt lgkmcnt(0)
	v_add_u32_e32 v17, v8, v18
	v_sub_u32_e32 v16, v16, v9
	v_sub_u32_e32 v18, v17, v16
	v_cmp_eq_u32_e32 vcc, 1, v25
	v_cndmask_b32_e32 v16, v18, v16, vcc
	v_lshlrev_b32_e32 v16, 2, v16
	ds_write_b32 v16, v6
	v_sub_u32_e32 v6, v15, v9
	v_sub_u32_e32 v15, v17, v6
	v_add_u32_e32 v15, 1, v15
	v_cmp_eq_u32_e32 vcc, 1, v24
	v_cndmask_b32_e32 v6, v15, v6, vcc
	v_lshlrev_b32_e32 v6, 2, v6
	ds_write_b32 v6, v7
	v_sub_u32_e32 v6, v14, v9
	v_sub_u32_e32 v7, v17, v6
	v_add_u32_e32 v7, 2, v7
	;; [unrolled: 7-line block ×6, first 2 shown]
	v_cmp_eq_u32_e32 vcc, 1, v19
	v_cndmask_b32_e32 v2, v3, v2, vcc
	v_cmp_eq_u32_e32 vcc, 0, v0
	v_lshlrev_b32_e32 v2, 2, v2
	s_and_b64 s[0:1], vcc, s[22:23]
	ds_write_b32 v2, v1
	s_waitcnt lgkmcnt(0)
	s_barrier
	s_and_saveexec_b64 s[2:3], s[0:1]
	s_cbranch_execz .LBB2989_79
; %bb.78:
	v_mov_b32_e32 v0, s19
	v_add_co_u32_e32 v1, vcc, s18, v8
	v_addc_co_u32_e32 v3, vcc, 0, v0, vcc
	v_add_co_u32_e32 v0, vcc, v1, v9
	v_mov_b32_e32 v2, 0
	v_addc_co_u32_e32 v1, vcc, 0, v3, vcc
	global_store_dwordx2 v2, v[0:1], s[20:21]
.LBB2989_79:
	s_endpgm
	.section	.rodata,"a",@progbits
	.p2align	6, 0x0
	.amdhsa_kernel _ZN7rocprim17ROCPRIM_400000_NS6detail17trampoline_kernelINS0_14default_configENS1_25partition_config_selectorILNS1_17partition_subalgoE1EjNS0_10empty_typeEbEEZZNS1_14partition_implILS5_1ELb0ES3_jN6thrust23THRUST_200600_302600_NS6detail15normal_iteratorINSA_10device_ptrIjEEEEPS6_NSA_18transform_iteratorI7is_evenIjESF_NSA_11use_defaultESK_EENS0_5tupleIJNSA_16discard_iteratorISK_EESO_EEENSM_IJSG_SG_EEES6_PlJS6_EEE10hipError_tPvRmT3_T4_T5_T6_T7_T9_mT8_P12ihipStream_tbDpT10_ENKUlT_T0_E_clISt17integral_constantIbLb1EES1A_IbLb0EEEEDaS16_S17_EUlS16_E_NS1_11comp_targetILNS1_3genE4ELNS1_11target_archE910ELNS1_3gpuE8ELNS1_3repE0EEENS1_30default_config_static_selectorELNS0_4arch9wavefront6targetE1EEEvT1_
		.amdhsa_group_segment_fixed_size 7176
		.amdhsa_private_segment_fixed_size 0
		.amdhsa_kernarg_size 144
		.amdhsa_user_sgpr_count 6
		.amdhsa_user_sgpr_private_segment_buffer 1
		.amdhsa_user_sgpr_dispatch_ptr 0
		.amdhsa_user_sgpr_queue_ptr 0
		.amdhsa_user_sgpr_kernarg_segment_ptr 1
		.amdhsa_user_sgpr_dispatch_id 0
		.amdhsa_user_sgpr_flat_scratch_init 0
		.amdhsa_user_sgpr_kernarg_preload_length 0
		.amdhsa_user_sgpr_kernarg_preload_offset 0
		.amdhsa_user_sgpr_private_segment_size 0
		.amdhsa_uses_dynamic_stack 0
		.amdhsa_system_sgpr_private_segment_wavefront_offset 0
		.amdhsa_system_sgpr_workgroup_id_x 1
		.amdhsa_system_sgpr_workgroup_id_y 0
		.amdhsa_system_sgpr_workgroup_id_z 0
		.amdhsa_system_sgpr_workgroup_info 0
		.amdhsa_system_vgpr_workitem_id 0
		.amdhsa_next_free_vgpr 46
		.amdhsa_next_free_sgpr 36
		.amdhsa_accum_offset 48
		.amdhsa_reserve_vcc 1
		.amdhsa_reserve_flat_scratch 0
		.amdhsa_float_round_mode_32 0
		.amdhsa_float_round_mode_16_64 0
		.amdhsa_float_denorm_mode_32 3
		.amdhsa_float_denorm_mode_16_64 3
		.amdhsa_dx10_clamp 1
		.amdhsa_ieee_mode 1
		.amdhsa_fp16_overflow 0
		.amdhsa_tg_split 0
		.amdhsa_exception_fp_ieee_invalid_op 0
		.amdhsa_exception_fp_denorm_src 0
		.amdhsa_exception_fp_ieee_div_zero 0
		.amdhsa_exception_fp_ieee_overflow 0
		.amdhsa_exception_fp_ieee_underflow 0
		.amdhsa_exception_fp_ieee_inexact 0
		.amdhsa_exception_int_div_zero 0
	.end_amdhsa_kernel
	.section	.text._ZN7rocprim17ROCPRIM_400000_NS6detail17trampoline_kernelINS0_14default_configENS1_25partition_config_selectorILNS1_17partition_subalgoE1EjNS0_10empty_typeEbEEZZNS1_14partition_implILS5_1ELb0ES3_jN6thrust23THRUST_200600_302600_NS6detail15normal_iteratorINSA_10device_ptrIjEEEEPS6_NSA_18transform_iteratorI7is_evenIjESF_NSA_11use_defaultESK_EENS0_5tupleIJNSA_16discard_iteratorISK_EESO_EEENSM_IJSG_SG_EEES6_PlJS6_EEE10hipError_tPvRmT3_T4_T5_T6_T7_T9_mT8_P12ihipStream_tbDpT10_ENKUlT_T0_E_clISt17integral_constantIbLb1EES1A_IbLb0EEEEDaS16_S17_EUlS16_E_NS1_11comp_targetILNS1_3genE4ELNS1_11target_archE910ELNS1_3gpuE8ELNS1_3repE0EEENS1_30default_config_static_selectorELNS0_4arch9wavefront6targetE1EEEvT1_,"axG",@progbits,_ZN7rocprim17ROCPRIM_400000_NS6detail17trampoline_kernelINS0_14default_configENS1_25partition_config_selectorILNS1_17partition_subalgoE1EjNS0_10empty_typeEbEEZZNS1_14partition_implILS5_1ELb0ES3_jN6thrust23THRUST_200600_302600_NS6detail15normal_iteratorINSA_10device_ptrIjEEEEPS6_NSA_18transform_iteratorI7is_evenIjESF_NSA_11use_defaultESK_EENS0_5tupleIJNSA_16discard_iteratorISK_EESO_EEENSM_IJSG_SG_EEES6_PlJS6_EEE10hipError_tPvRmT3_T4_T5_T6_T7_T9_mT8_P12ihipStream_tbDpT10_ENKUlT_T0_E_clISt17integral_constantIbLb1EES1A_IbLb0EEEEDaS16_S17_EUlS16_E_NS1_11comp_targetILNS1_3genE4ELNS1_11target_archE910ELNS1_3gpuE8ELNS1_3repE0EEENS1_30default_config_static_selectorELNS0_4arch9wavefront6targetE1EEEvT1_,comdat
.Lfunc_end2989:
	.size	_ZN7rocprim17ROCPRIM_400000_NS6detail17trampoline_kernelINS0_14default_configENS1_25partition_config_selectorILNS1_17partition_subalgoE1EjNS0_10empty_typeEbEEZZNS1_14partition_implILS5_1ELb0ES3_jN6thrust23THRUST_200600_302600_NS6detail15normal_iteratorINSA_10device_ptrIjEEEEPS6_NSA_18transform_iteratorI7is_evenIjESF_NSA_11use_defaultESK_EENS0_5tupleIJNSA_16discard_iteratorISK_EESO_EEENSM_IJSG_SG_EEES6_PlJS6_EEE10hipError_tPvRmT3_T4_T5_T6_T7_T9_mT8_P12ihipStream_tbDpT10_ENKUlT_T0_E_clISt17integral_constantIbLb1EES1A_IbLb0EEEEDaS16_S17_EUlS16_E_NS1_11comp_targetILNS1_3genE4ELNS1_11target_archE910ELNS1_3gpuE8ELNS1_3repE0EEENS1_30default_config_static_selectorELNS0_4arch9wavefront6targetE1EEEvT1_, .Lfunc_end2989-_ZN7rocprim17ROCPRIM_400000_NS6detail17trampoline_kernelINS0_14default_configENS1_25partition_config_selectorILNS1_17partition_subalgoE1EjNS0_10empty_typeEbEEZZNS1_14partition_implILS5_1ELb0ES3_jN6thrust23THRUST_200600_302600_NS6detail15normal_iteratorINSA_10device_ptrIjEEEEPS6_NSA_18transform_iteratorI7is_evenIjESF_NSA_11use_defaultESK_EENS0_5tupleIJNSA_16discard_iteratorISK_EESO_EEENSM_IJSG_SG_EEES6_PlJS6_EEE10hipError_tPvRmT3_T4_T5_T6_T7_T9_mT8_P12ihipStream_tbDpT10_ENKUlT_T0_E_clISt17integral_constantIbLb1EES1A_IbLb0EEEEDaS16_S17_EUlS16_E_NS1_11comp_targetILNS1_3genE4ELNS1_11target_archE910ELNS1_3gpuE8ELNS1_3repE0EEENS1_30default_config_static_selectorELNS0_4arch9wavefront6targetE1EEEvT1_
                                        ; -- End function
	.section	.AMDGPU.csdata,"",@progbits
; Kernel info:
; codeLenInByte = 3912
; NumSgprs: 40
; NumVgprs: 46
; NumAgprs: 0
; TotalNumVgprs: 46
; ScratchSize: 0
; MemoryBound: 0
; FloatMode: 240
; IeeeMode: 1
; LDSByteSize: 7176 bytes/workgroup (compile time only)
; SGPRBlocks: 4
; VGPRBlocks: 5
; NumSGPRsForWavesPerEU: 40
; NumVGPRsForWavesPerEU: 46
; AccumOffset: 48
; Occupancy: 8
; WaveLimiterHint : 1
; COMPUTE_PGM_RSRC2:SCRATCH_EN: 0
; COMPUTE_PGM_RSRC2:USER_SGPR: 6
; COMPUTE_PGM_RSRC2:TRAP_HANDLER: 0
; COMPUTE_PGM_RSRC2:TGID_X_EN: 1
; COMPUTE_PGM_RSRC2:TGID_Y_EN: 0
; COMPUTE_PGM_RSRC2:TGID_Z_EN: 0
; COMPUTE_PGM_RSRC2:TIDIG_COMP_CNT: 0
; COMPUTE_PGM_RSRC3_GFX90A:ACCUM_OFFSET: 11
; COMPUTE_PGM_RSRC3_GFX90A:TG_SPLIT: 0
	.section	.text._ZN7rocprim17ROCPRIM_400000_NS6detail17trampoline_kernelINS0_14default_configENS1_25partition_config_selectorILNS1_17partition_subalgoE1EjNS0_10empty_typeEbEEZZNS1_14partition_implILS5_1ELb0ES3_jN6thrust23THRUST_200600_302600_NS6detail15normal_iteratorINSA_10device_ptrIjEEEEPS6_NSA_18transform_iteratorI7is_evenIjESF_NSA_11use_defaultESK_EENS0_5tupleIJNSA_16discard_iteratorISK_EESO_EEENSM_IJSG_SG_EEES6_PlJS6_EEE10hipError_tPvRmT3_T4_T5_T6_T7_T9_mT8_P12ihipStream_tbDpT10_ENKUlT_T0_E_clISt17integral_constantIbLb1EES1A_IbLb0EEEEDaS16_S17_EUlS16_E_NS1_11comp_targetILNS1_3genE3ELNS1_11target_archE908ELNS1_3gpuE7ELNS1_3repE0EEENS1_30default_config_static_selectorELNS0_4arch9wavefront6targetE1EEEvT1_,"axG",@progbits,_ZN7rocprim17ROCPRIM_400000_NS6detail17trampoline_kernelINS0_14default_configENS1_25partition_config_selectorILNS1_17partition_subalgoE1EjNS0_10empty_typeEbEEZZNS1_14partition_implILS5_1ELb0ES3_jN6thrust23THRUST_200600_302600_NS6detail15normal_iteratorINSA_10device_ptrIjEEEEPS6_NSA_18transform_iteratorI7is_evenIjESF_NSA_11use_defaultESK_EENS0_5tupleIJNSA_16discard_iteratorISK_EESO_EEENSM_IJSG_SG_EEES6_PlJS6_EEE10hipError_tPvRmT3_T4_T5_T6_T7_T9_mT8_P12ihipStream_tbDpT10_ENKUlT_T0_E_clISt17integral_constantIbLb1EES1A_IbLb0EEEEDaS16_S17_EUlS16_E_NS1_11comp_targetILNS1_3genE3ELNS1_11target_archE908ELNS1_3gpuE7ELNS1_3repE0EEENS1_30default_config_static_selectorELNS0_4arch9wavefront6targetE1EEEvT1_,comdat
	.protected	_ZN7rocprim17ROCPRIM_400000_NS6detail17trampoline_kernelINS0_14default_configENS1_25partition_config_selectorILNS1_17partition_subalgoE1EjNS0_10empty_typeEbEEZZNS1_14partition_implILS5_1ELb0ES3_jN6thrust23THRUST_200600_302600_NS6detail15normal_iteratorINSA_10device_ptrIjEEEEPS6_NSA_18transform_iteratorI7is_evenIjESF_NSA_11use_defaultESK_EENS0_5tupleIJNSA_16discard_iteratorISK_EESO_EEENSM_IJSG_SG_EEES6_PlJS6_EEE10hipError_tPvRmT3_T4_T5_T6_T7_T9_mT8_P12ihipStream_tbDpT10_ENKUlT_T0_E_clISt17integral_constantIbLb1EES1A_IbLb0EEEEDaS16_S17_EUlS16_E_NS1_11comp_targetILNS1_3genE3ELNS1_11target_archE908ELNS1_3gpuE7ELNS1_3repE0EEENS1_30default_config_static_selectorELNS0_4arch9wavefront6targetE1EEEvT1_ ; -- Begin function _ZN7rocprim17ROCPRIM_400000_NS6detail17trampoline_kernelINS0_14default_configENS1_25partition_config_selectorILNS1_17partition_subalgoE1EjNS0_10empty_typeEbEEZZNS1_14partition_implILS5_1ELb0ES3_jN6thrust23THRUST_200600_302600_NS6detail15normal_iteratorINSA_10device_ptrIjEEEEPS6_NSA_18transform_iteratorI7is_evenIjESF_NSA_11use_defaultESK_EENS0_5tupleIJNSA_16discard_iteratorISK_EESO_EEENSM_IJSG_SG_EEES6_PlJS6_EEE10hipError_tPvRmT3_T4_T5_T6_T7_T9_mT8_P12ihipStream_tbDpT10_ENKUlT_T0_E_clISt17integral_constantIbLb1EES1A_IbLb0EEEEDaS16_S17_EUlS16_E_NS1_11comp_targetILNS1_3genE3ELNS1_11target_archE908ELNS1_3gpuE7ELNS1_3repE0EEENS1_30default_config_static_selectorELNS0_4arch9wavefront6targetE1EEEvT1_
	.globl	_ZN7rocprim17ROCPRIM_400000_NS6detail17trampoline_kernelINS0_14default_configENS1_25partition_config_selectorILNS1_17partition_subalgoE1EjNS0_10empty_typeEbEEZZNS1_14partition_implILS5_1ELb0ES3_jN6thrust23THRUST_200600_302600_NS6detail15normal_iteratorINSA_10device_ptrIjEEEEPS6_NSA_18transform_iteratorI7is_evenIjESF_NSA_11use_defaultESK_EENS0_5tupleIJNSA_16discard_iteratorISK_EESO_EEENSM_IJSG_SG_EEES6_PlJS6_EEE10hipError_tPvRmT3_T4_T5_T6_T7_T9_mT8_P12ihipStream_tbDpT10_ENKUlT_T0_E_clISt17integral_constantIbLb1EES1A_IbLb0EEEEDaS16_S17_EUlS16_E_NS1_11comp_targetILNS1_3genE3ELNS1_11target_archE908ELNS1_3gpuE7ELNS1_3repE0EEENS1_30default_config_static_selectorELNS0_4arch9wavefront6targetE1EEEvT1_
	.p2align	8
	.type	_ZN7rocprim17ROCPRIM_400000_NS6detail17trampoline_kernelINS0_14default_configENS1_25partition_config_selectorILNS1_17partition_subalgoE1EjNS0_10empty_typeEbEEZZNS1_14partition_implILS5_1ELb0ES3_jN6thrust23THRUST_200600_302600_NS6detail15normal_iteratorINSA_10device_ptrIjEEEEPS6_NSA_18transform_iteratorI7is_evenIjESF_NSA_11use_defaultESK_EENS0_5tupleIJNSA_16discard_iteratorISK_EESO_EEENSM_IJSG_SG_EEES6_PlJS6_EEE10hipError_tPvRmT3_T4_T5_T6_T7_T9_mT8_P12ihipStream_tbDpT10_ENKUlT_T0_E_clISt17integral_constantIbLb1EES1A_IbLb0EEEEDaS16_S17_EUlS16_E_NS1_11comp_targetILNS1_3genE3ELNS1_11target_archE908ELNS1_3gpuE7ELNS1_3repE0EEENS1_30default_config_static_selectorELNS0_4arch9wavefront6targetE1EEEvT1_,@function
_ZN7rocprim17ROCPRIM_400000_NS6detail17trampoline_kernelINS0_14default_configENS1_25partition_config_selectorILNS1_17partition_subalgoE1EjNS0_10empty_typeEbEEZZNS1_14partition_implILS5_1ELb0ES3_jN6thrust23THRUST_200600_302600_NS6detail15normal_iteratorINSA_10device_ptrIjEEEEPS6_NSA_18transform_iteratorI7is_evenIjESF_NSA_11use_defaultESK_EENS0_5tupleIJNSA_16discard_iteratorISK_EESO_EEENSM_IJSG_SG_EEES6_PlJS6_EEE10hipError_tPvRmT3_T4_T5_T6_T7_T9_mT8_P12ihipStream_tbDpT10_ENKUlT_T0_E_clISt17integral_constantIbLb1EES1A_IbLb0EEEEDaS16_S17_EUlS16_E_NS1_11comp_targetILNS1_3genE3ELNS1_11target_archE908ELNS1_3gpuE7ELNS1_3repE0EEENS1_30default_config_static_selectorELNS0_4arch9wavefront6targetE1EEEvT1_: ; @_ZN7rocprim17ROCPRIM_400000_NS6detail17trampoline_kernelINS0_14default_configENS1_25partition_config_selectorILNS1_17partition_subalgoE1EjNS0_10empty_typeEbEEZZNS1_14partition_implILS5_1ELb0ES3_jN6thrust23THRUST_200600_302600_NS6detail15normal_iteratorINSA_10device_ptrIjEEEEPS6_NSA_18transform_iteratorI7is_evenIjESF_NSA_11use_defaultESK_EENS0_5tupleIJNSA_16discard_iteratorISK_EESO_EEENSM_IJSG_SG_EEES6_PlJS6_EEE10hipError_tPvRmT3_T4_T5_T6_T7_T9_mT8_P12ihipStream_tbDpT10_ENKUlT_T0_E_clISt17integral_constantIbLb1EES1A_IbLb0EEEEDaS16_S17_EUlS16_E_NS1_11comp_targetILNS1_3genE3ELNS1_11target_archE908ELNS1_3gpuE7ELNS1_3repE0EEENS1_30default_config_static_selectorELNS0_4arch9wavefront6targetE1EEEvT1_
; %bb.0:
	.section	.rodata,"a",@progbits
	.p2align	6, 0x0
	.amdhsa_kernel _ZN7rocprim17ROCPRIM_400000_NS6detail17trampoline_kernelINS0_14default_configENS1_25partition_config_selectorILNS1_17partition_subalgoE1EjNS0_10empty_typeEbEEZZNS1_14partition_implILS5_1ELb0ES3_jN6thrust23THRUST_200600_302600_NS6detail15normal_iteratorINSA_10device_ptrIjEEEEPS6_NSA_18transform_iteratorI7is_evenIjESF_NSA_11use_defaultESK_EENS0_5tupleIJNSA_16discard_iteratorISK_EESO_EEENSM_IJSG_SG_EEES6_PlJS6_EEE10hipError_tPvRmT3_T4_T5_T6_T7_T9_mT8_P12ihipStream_tbDpT10_ENKUlT_T0_E_clISt17integral_constantIbLb1EES1A_IbLb0EEEEDaS16_S17_EUlS16_E_NS1_11comp_targetILNS1_3genE3ELNS1_11target_archE908ELNS1_3gpuE7ELNS1_3repE0EEENS1_30default_config_static_selectorELNS0_4arch9wavefront6targetE1EEEvT1_
		.amdhsa_group_segment_fixed_size 0
		.amdhsa_private_segment_fixed_size 0
		.amdhsa_kernarg_size 144
		.amdhsa_user_sgpr_count 6
		.amdhsa_user_sgpr_private_segment_buffer 1
		.amdhsa_user_sgpr_dispatch_ptr 0
		.amdhsa_user_sgpr_queue_ptr 0
		.amdhsa_user_sgpr_kernarg_segment_ptr 1
		.amdhsa_user_sgpr_dispatch_id 0
		.amdhsa_user_sgpr_flat_scratch_init 0
		.amdhsa_user_sgpr_kernarg_preload_length 0
		.amdhsa_user_sgpr_kernarg_preload_offset 0
		.amdhsa_user_sgpr_private_segment_size 0
		.amdhsa_uses_dynamic_stack 0
		.amdhsa_system_sgpr_private_segment_wavefront_offset 0
		.amdhsa_system_sgpr_workgroup_id_x 1
		.amdhsa_system_sgpr_workgroup_id_y 0
		.amdhsa_system_sgpr_workgroup_id_z 0
		.amdhsa_system_sgpr_workgroup_info 0
		.amdhsa_system_vgpr_workitem_id 0
		.amdhsa_next_free_vgpr 1
		.amdhsa_next_free_sgpr 0
		.amdhsa_accum_offset 4
		.amdhsa_reserve_vcc 0
		.amdhsa_reserve_flat_scratch 0
		.amdhsa_float_round_mode_32 0
		.amdhsa_float_round_mode_16_64 0
		.amdhsa_float_denorm_mode_32 3
		.amdhsa_float_denorm_mode_16_64 3
		.amdhsa_dx10_clamp 1
		.amdhsa_ieee_mode 1
		.amdhsa_fp16_overflow 0
		.amdhsa_tg_split 0
		.amdhsa_exception_fp_ieee_invalid_op 0
		.amdhsa_exception_fp_denorm_src 0
		.amdhsa_exception_fp_ieee_div_zero 0
		.amdhsa_exception_fp_ieee_overflow 0
		.amdhsa_exception_fp_ieee_underflow 0
		.amdhsa_exception_fp_ieee_inexact 0
		.amdhsa_exception_int_div_zero 0
	.end_amdhsa_kernel
	.section	.text._ZN7rocprim17ROCPRIM_400000_NS6detail17trampoline_kernelINS0_14default_configENS1_25partition_config_selectorILNS1_17partition_subalgoE1EjNS0_10empty_typeEbEEZZNS1_14partition_implILS5_1ELb0ES3_jN6thrust23THRUST_200600_302600_NS6detail15normal_iteratorINSA_10device_ptrIjEEEEPS6_NSA_18transform_iteratorI7is_evenIjESF_NSA_11use_defaultESK_EENS0_5tupleIJNSA_16discard_iteratorISK_EESO_EEENSM_IJSG_SG_EEES6_PlJS6_EEE10hipError_tPvRmT3_T4_T5_T6_T7_T9_mT8_P12ihipStream_tbDpT10_ENKUlT_T0_E_clISt17integral_constantIbLb1EES1A_IbLb0EEEEDaS16_S17_EUlS16_E_NS1_11comp_targetILNS1_3genE3ELNS1_11target_archE908ELNS1_3gpuE7ELNS1_3repE0EEENS1_30default_config_static_selectorELNS0_4arch9wavefront6targetE1EEEvT1_,"axG",@progbits,_ZN7rocprim17ROCPRIM_400000_NS6detail17trampoline_kernelINS0_14default_configENS1_25partition_config_selectorILNS1_17partition_subalgoE1EjNS0_10empty_typeEbEEZZNS1_14partition_implILS5_1ELb0ES3_jN6thrust23THRUST_200600_302600_NS6detail15normal_iteratorINSA_10device_ptrIjEEEEPS6_NSA_18transform_iteratorI7is_evenIjESF_NSA_11use_defaultESK_EENS0_5tupleIJNSA_16discard_iteratorISK_EESO_EEENSM_IJSG_SG_EEES6_PlJS6_EEE10hipError_tPvRmT3_T4_T5_T6_T7_T9_mT8_P12ihipStream_tbDpT10_ENKUlT_T0_E_clISt17integral_constantIbLb1EES1A_IbLb0EEEEDaS16_S17_EUlS16_E_NS1_11comp_targetILNS1_3genE3ELNS1_11target_archE908ELNS1_3gpuE7ELNS1_3repE0EEENS1_30default_config_static_selectorELNS0_4arch9wavefront6targetE1EEEvT1_,comdat
.Lfunc_end2990:
	.size	_ZN7rocprim17ROCPRIM_400000_NS6detail17trampoline_kernelINS0_14default_configENS1_25partition_config_selectorILNS1_17partition_subalgoE1EjNS0_10empty_typeEbEEZZNS1_14partition_implILS5_1ELb0ES3_jN6thrust23THRUST_200600_302600_NS6detail15normal_iteratorINSA_10device_ptrIjEEEEPS6_NSA_18transform_iteratorI7is_evenIjESF_NSA_11use_defaultESK_EENS0_5tupleIJNSA_16discard_iteratorISK_EESO_EEENSM_IJSG_SG_EEES6_PlJS6_EEE10hipError_tPvRmT3_T4_T5_T6_T7_T9_mT8_P12ihipStream_tbDpT10_ENKUlT_T0_E_clISt17integral_constantIbLb1EES1A_IbLb0EEEEDaS16_S17_EUlS16_E_NS1_11comp_targetILNS1_3genE3ELNS1_11target_archE908ELNS1_3gpuE7ELNS1_3repE0EEENS1_30default_config_static_selectorELNS0_4arch9wavefront6targetE1EEEvT1_, .Lfunc_end2990-_ZN7rocprim17ROCPRIM_400000_NS6detail17trampoline_kernelINS0_14default_configENS1_25partition_config_selectorILNS1_17partition_subalgoE1EjNS0_10empty_typeEbEEZZNS1_14partition_implILS5_1ELb0ES3_jN6thrust23THRUST_200600_302600_NS6detail15normal_iteratorINSA_10device_ptrIjEEEEPS6_NSA_18transform_iteratorI7is_evenIjESF_NSA_11use_defaultESK_EENS0_5tupleIJNSA_16discard_iteratorISK_EESO_EEENSM_IJSG_SG_EEES6_PlJS6_EEE10hipError_tPvRmT3_T4_T5_T6_T7_T9_mT8_P12ihipStream_tbDpT10_ENKUlT_T0_E_clISt17integral_constantIbLb1EES1A_IbLb0EEEEDaS16_S17_EUlS16_E_NS1_11comp_targetILNS1_3genE3ELNS1_11target_archE908ELNS1_3gpuE7ELNS1_3repE0EEENS1_30default_config_static_selectorELNS0_4arch9wavefront6targetE1EEEvT1_
                                        ; -- End function
	.section	.AMDGPU.csdata,"",@progbits
; Kernel info:
; codeLenInByte = 0
; NumSgprs: 4
; NumVgprs: 0
; NumAgprs: 0
; TotalNumVgprs: 0
; ScratchSize: 0
; MemoryBound: 0
; FloatMode: 240
; IeeeMode: 1
; LDSByteSize: 0 bytes/workgroup (compile time only)
; SGPRBlocks: 0
; VGPRBlocks: 0
; NumSGPRsForWavesPerEU: 4
; NumVGPRsForWavesPerEU: 1
; AccumOffset: 4
; Occupancy: 8
; WaveLimiterHint : 0
; COMPUTE_PGM_RSRC2:SCRATCH_EN: 0
; COMPUTE_PGM_RSRC2:USER_SGPR: 6
; COMPUTE_PGM_RSRC2:TRAP_HANDLER: 0
; COMPUTE_PGM_RSRC2:TGID_X_EN: 1
; COMPUTE_PGM_RSRC2:TGID_Y_EN: 0
; COMPUTE_PGM_RSRC2:TGID_Z_EN: 0
; COMPUTE_PGM_RSRC2:TIDIG_COMP_CNT: 0
; COMPUTE_PGM_RSRC3_GFX90A:ACCUM_OFFSET: 0
; COMPUTE_PGM_RSRC3_GFX90A:TG_SPLIT: 0
	.section	.text._ZN7rocprim17ROCPRIM_400000_NS6detail17trampoline_kernelINS0_14default_configENS1_25partition_config_selectorILNS1_17partition_subalgoE1EjNS0_10empty_typeEbEEZZNS1_14partition_implILS5_1ELb0ES3_jN6thrust23THRUST_200600_302600_NS6detail15normal_iteratorINSA_10device_ptrIjEEEEPS6_NSA_18transform_iteratorI7is_evenIjESF_NSA_11use_defaultESK_EENS0_5tupleIJNSA_16discard_iteratorISK_EESO_EEENSM_IJSG_SG_EEES6_PlJS6_EEE10hipError_tPvRmT3_T4_T5_T6_T7_T9_mT8_P12ihipStream_tbDpT10_ENKUlT_T0_E_clISt17integral_constantIbLb1EES1A_IbLb0EEEEDaS16_S17_EUlS16_E_NS1_11comp_targetILNS1_3genE2ELNS1_11target_archE906ELNS1_3gpuE6ELNS1_3repE0EEENS1_30default_config_static_selectorELNS0_4arch9wavefront6targetE1EEEvT1_,"axG",@progbits,_ZN7rocprim17ROCPRIM_400000_NS6detail17trampoline_kernelINS0_14default_configENS1_25partition_config_selectorILNS1_17partition_subalgoE1EjNS0_10empty_typeEbEEZZNS1_14partition_implILS5_1ELb0ES3_jN6thrust23THRUST_200600_302600_NS6detail15normal_iteratorINSA_10device_ptrIjEEEEPS6_NSA_18transform_iteratorI7is_evenIjESF_NSA_11use_defaultESK_EENS0_5tupleIJNSA_16discard_iteratorISK_EESO_EEENSM_IJSG_SG_EEES6_PlJS6_EEE10hipError_tPvRmT3_T4_T5_T6_T7_T9_mT8_P12ihipStream_tbDpT10_ENKUlT_T0_E_clISt17integral_constantIbLb1EES1A_IbLb0EEEEDaS16_S17_EUlS16_E_NS1_11comp_targetILNS1_3genE2ELNS1_11target_archE906ELNS1_3gpuE6ELNS1_3repE0EEENS1_30default_config_static_selectorELNS0_4arch9wavefront6targetE1EEEvT1_,comdat
	.protected	_ZN7rocprim17ROCPRIM_400000_NS6detail17trampoline_kernelINS0_14default_configENS1_25partition_config_selectorILNS1_17partition_subalgoE1EjNS0_10empty_typeEbEEZZNS1_14partition_implILS5_1ELb0ES3_jN6thrust23THRUST_200600_302600_NS6detail15normal_iteratorINSA_10device_ptrIjEEEEPS6_NSA_18transform_iteratorI7is_evenIjESF_NSA_11use_defaultESK_EENS0_5tupleIJNSA_16discard_iteratorISK_EESO_EEENSM_IJSG_SG_EEES6_PlJS6_EEE10hipError_tPvRmT3_T4_T5_T6_T7_T9_mT8_P12ihipStream_tbDpT10_ENKUlT_T0_E_clISt17integral_constantIbLb1EES1A_IbLb0EEEEDaS16_S17_EUlS16_E_NS1_11comp_targetILNS1_3genE2ELNS1_11target_archE906ELNS1_3gpuE6ELNS1_3repE0EEENS1_30default_config_static_selectorELNS0_4arch9wavefront6targetE1EEEvT1_ ; -- Begin function _ZN7rocprim17ROCPRIM_400000_NS6detail17trampoline_kernelINS0_14default_configENS1_25partition_config_selectorILNS1_17partition_subalgoE1EjNS0_10empty_typeEbEEZZNS1_14partition_implILS5_1ELb0ES3_jN6thrust23THRUST_200600_302600_NS6detail15normal_iteratorINSA_10device_ptrIjEEEEPS6_NSA_18transform_iteratorI7is_evenIjESF_NSA_11use_defaultESK_EENS0_5tupleIJNSA_16discard_iteratorISK_EESO_EEENSM_IJSG_SG_EEES6_PlJS6_EEE10hipError_tPvRmT3_T4_T5_T6_T7_T9_mT8_P12ihipStream_tbDpT10_ENKUlT_T0_E_clISt17integral_constantIbLb1EES1A_IbLb0EEEEDaS16_S17_EUlS16_E_NS1_11comp_targetILNS1_3genE2ELNS1_11target_archE906ELNS1_3gpuE6ELNS1_3repE0EEENS1_30default_config_static_selectorELNS0_4arch9wavefront6targetE1EEEvT1_
	.globl	_ZN7rocprim17ROCPRIM_400000_NS6detail17trampoline_kernelINS0_14default_configENS1_25partition_config_selectorILNS1_17partition_subalgoE1EjNS0_10empty_typeEbEEZZNS1_14partition_implILS5_1ELb0ES3_jN6thrust23THRUST_200600_302600_NS6detail15normal_iteratorINSA_10device_ptrIjEEEEPS6_NSA_18transform_iteratorI7is_evenIjESF_NSA_11use_defaultESK_EENS0_5tupleIJNSA_16discard_iteratorISK_EESO_EEENSM_IJSG_SG_EEES6_PlJS6_EEE10hipError_tPvRmT3_T4_T5_T6_T7_T9_mT8_P12ihipStream_tbDpT10_ENKUlT_T0_E_clISt17integral_constantIbLb1EES1A_IbLb0EEEEDaS16_S17_EUlS16_E_NS1_11comp_targetILNS1_3genE2ELNS1_11target_archE906ELNS1_3gpuE6ELNS1_3repE0EEENS1_30default_config_static_selectorELNS0_4arch9wavefront6targetE1EEEvT1_
	.p2align	8
	.type	_ZN7rocprim17ROCPRIM_400000_NS6detail17trampoline_kernelINS0_14default_configENS1_25partition_config_selectorILNS1_17partition_subalgoE1EjNS0_10empty_typeEbEEZZNS1_14partition_implILS5_1ELb0ES3_jN6thrust23THRUST_200600_302600_NS6detail15normal_iteratorINSA_10device_ptrIjEEEEPS6_NSA_18transform_iteratorI7is_evenIjESF_NSA_11use_defaultESK_EENS0_5tupleIJNSA_16discard_iteratorISK_EESO_EEENSM_IJSG_SG_EEES6_PlJS6_EEE10hipError_tPvRmT3_T4_T5_T6_T7_T9_mT8_P12ihipStream_tbDpT10_ENKUlT_T0_E_clISt17integral_constantIbLb1EES1A_IbLb0EEEEDaS16_S17_EUlS16_E_NS1_11comp_targetILNS1_3genE2ELNS1_11target_archE906ELNS1_3gpuE6ELNS1_3repE0EEENS1_30default_config_static_selectorELNS0_4arch9wavefront6targetE1EEEvT1_,@function
_ZN7rocprim17ROCPRIM_400000_NS6detail17trampoline_kernelINS0_14default_configENS1_25partition_config_selectorILNS1_17partition_subalgoE1EjNS0_10empty_typeEbEEZZNS1_14partition_implILS5_1ELb0ES3_jN6thrust23THRUST_200600_302600_NS6detail15normal_iteratorINSA_10device_ptrIjEEEEPS6_NSA_18transform_iteratorI7is_evenIjESF_NSA_11use_defaultESK_EENS0_5tupleIJNSA_16discard_iteratorISK_EESO_EEENSM_IJSG_SG_EEES6_PlJS6_EEE10hipError_tPvRmT3_T4_T5_T6_T7_T9_mT8_P12ihipStream_tbDpT10_ENKUlT_T0_E_clISt17integral_constantIbLb1EES1A_IbLb0EEEEDaS16_S17_EUlS16_E_NS1_11comp_targetILNS1_3genE2ELNS1_11target_archE906ELNS1_3gpuE6ELNS1_3repE0EEENS1_30default_config_static_selectorELNS0_4arch9wavefront6targetE1EEEvT1_: ; @_ZN7rocprim17ROCPRIM_400000_NS6detail17trampoline_kernelINS0_14default_configENS1_25partition_config_selectorILNS1_17partition_subalgoE1EjNS0_10empty_typeEbEEZZNS1_14partition_implILS5_1ELb0ES3_jN6thrust23THRUST_200600_302600_NS6detail15normal_iteratorINSA_10device_ptrIjEEEEPS6_NSA_18transform_iteratorI7is_evenIjESF_NSA_11use_defaultESK_EENS0_5tupleIJNSA_16discard_iteratorISK_EESO_EEENSM_IJSG_SG_EEES6_PlJS6_EEE10hipError_tPvRmT3_T4_T5_T6_T7_T9_mT8_P12ihipStream_tbDpT10_ENKUlT_T0_E_clISt17integral_constantIbLb1EES1A_IbLb0EEEEDaS16_S17_EUlS16_E_NS1_11comp_targetILNS1_3genE2ELNS1_11target_archE906ELNS1_3gpuE6ELNS1_3repE0EEENS1_30default_config_static_selectorELNS0_4arch9wavefront6targetE1EEEvT1_
; %bb.0:
	.section	.rodata,"a",@progbits
	.p2align	6, 0x0
	.amdhsa_kernel _ZN7rocprim17ROCPRIM_400000_NS6detail17trampoline_kernelINS0_14default_configENS1_25partition_config_selectorILNS1_17partition_subalgoE1EjNS0_10empty_typeEbEEZZNS1_14partition_implILS5_1ELb0ES3_jN6thrust23THRUST_200600_302600_NS6detail15normal_iteratorINSA_10device_ptrIjEEEEPS6_NSA_18transform_iteratorI7is_evenIjESF_NSA_11use_defaultESK_EENS0_5tupleIJNSA_16discard_iteratorISK_EESO_EEENSM_IJSG_SG_EEES6_PlJS6_EEE10hipError_tPvRmT3_T4_T5_T6_T7_T9_mT8_P12ihipStream_tbDpT10_ENKUlT_T0_E_clISt17integral_constantIbLb1EES1A_IbLb0EEEEDaS16_S17_EUlS16_E_NS1_11comp_targetILNS1_3genE2ELNS1_11target_archE906ELNS1_3gpuE6ELNS1_3repE0EEENS1_30default_config_static_selectorELNS0_4arch9wavefront6targetE1EEEvT1_
		.amdhsa_group_segment_fixed_size 0
		.amdhsa_private_segment_fixed_size 0
		.amdhsa_kernarg_size 144
		.amdhsa_user_sgpr_count 6
		.amdhsa_user_sgpr_private_segment_buffer 1
		.amdhsa_user_sgpr_dispatch_ptr 0
		.amdhsa_user_sgpr_queue_ptr 0
		.amdhsa_user_sgpr_kernarg_segment_ptr 1
		.amdhsa_user_sgpr_dispatch_id 0
		.amdhsa_user_sgpr_flat_scratch_init 0
		.amdhsa_user_sgpr_kernarg_preload_length 0
		.amdhsa_user_sgpr_kernarg_preload_offset 0
		.amdhsa_user_sgpr_private_segment_size 0
		.amdhsa_uses_dynamic_stack 0
		.amdhsa_system_sgpr_private_segment_wavefront_offset 0
		.amdhsa_system_sgpr_workgroup_id_x 1
		.amdhsa_system_sgpr_workgroup_id_y 0
		.amdhsa_system_sgpr_workgroup_id_z 0
		.amdhsa_system_sgpr_workgroup_info 0
		.amdhsa_system_vgpr_workitem_id 0
		.amdhsa_next_free_vgpr 1
		.amdhsa_next_free_sgpr 0
		.amdhsa_accum_offset 4
		.amdhsa_reserve_vcc 0
		.amdhsa_reserve_flat_scratch 0
		.amdhsa_float_round_mode_32 0
		.amdhsa_float_round_mode_16_64 0
		.amdhsa_float_denorm_mode_32 3
		.amdhsa_float_denorm_mode_16_64 3
		.amdhsa_dx10_clamp 1
		.amdhsa_ieee_mode 1
		.amdhsa_fp16_overflow 0
		.amdhsa_tg_split 0
		.amdhsa_exception_fp_ieee_invalid_op 0
		.amdhsa_exception_fp_denorm_src 0
		.amdhsa_exception_fp_ieee_div_zero 0
		.amdhsa_exception_fp_ieee_overflow 0
		.amdhsa_exception_fp_ieee_underflow 0
		.amdhsa_exception_fp_ieee_inexact 0
		.amdhsa_exception_int_div_zero 0
	.end_amdhsa_kernel
	.section	.text._ZN7rocprim17ROCPRIM_400000_NS6detail17trampoline_kernelINS0_14default_configENS1_25partition_config_selectorILNS1_17partition_subalgoE1EjNS0_10empty_typeEbEEZZNS1_14partition_implILS5_1ELb0ES3_jN6thrust23THRUST_200600_302600_NS6detail15normal_iteratorINSA_10device_ptrIjEEEEPS6_NSA_18transform_iteratorI7is_evenIjESF_NSA_11use_defaultESK_EENS0_5tupleIJNSA_16discard_iteratorISK_EESO_EEENSM_IJSG_SG_EEES6_PlJS6_EEE10hipError_tPvRmT3_T4_T5_T6_T7_T9_mT8_P12ihipStream_tbDpT10_ENKUlT_T0_E_clISt17integral_constantIbLb1EES1A_IbLb0EEEEDaS16_S17_EUlS16_E_NS1_11comp_targetILNS1_3genE2ELNS1_11target_archE906ELNS1_3gpuE6ELNS1_3repE0EEENS1_30default_config_static_selectorELNS0_4arch9wavefront6targetE1EEEvT1_,"axG",@progbits,_ZN7rocprim17ROCPRIM_400000_NS6detail17trampoline_kernelINS0_14default_configENS1_25partition_config_selectorILNS1_17partition_subalgoE1EjNS0_10empty_typeEbEEZZNS1_14partition_implILS5_1ELb0ES3_jN6thrust23THRUST_200600_302600_NS6detail15normal_iteratorINSA_10device_ptrIjEEEEPS6_NSA_18transform_iteratorI7is_evenIjESF_NSA_11use_defaultESK_EENS0_5tupleIJNSA_16discard_iteratorISK_EESO_EEENSM_IJSG_SG_EEES6_PlJS6_EEE10hipError_tPvRmT3_T4_T5_T6_T7_T9_mT8_P12ihipStream_tbDpT10_ENKUlT_T0_E_clISt17integral_constantIbLb1EES1A_IbLb0EEEEDaS16_S17_EUlS16_E_NS1_11comp_targetILNS1_3genE2ELNS1_11target_archE906ELNS1_3gpuE6ELNS1_3repE0EEENS1_30default_config_static_selectorELNS0_4arch9wavefront6targetE1EEEvT1_,comdat
.Lfunc_end2991:
	.size	_ZN7rocprim17ROCPRIM_400000_NS6detail17trampoline_kernelINS0_14default_configENS1_25partition_config_selectorILNS1_17partition_subalgoE1EjNS0_10empty_typeEbEEZZNS1_14partition_implILS5_1ELb0ES3_jN6thrust23THRUST_200600_302600_NS6detail15normal_iteratorINSA_10device_ptrIjEEEEPS6_NSA_18transform_iteratorI7is_evenIjESF_NSA_11use_defaultESK_EENS0_5tupleIJNSA_16discard_iteratorISK_EESO_EEENSM_IJSG_SG_EEES6_PlJS6_EEE10hipError_tPvRmT3_T4_T5_T6_T7_T9_mT8_P12ihipStream_tbDpT10_ENKUlT_T0_E_clISt17integral_constantIbLb1EES1A_IbLb0EEEEDaS16_S17_EUlS16_E_NS1_11comp_targetILNS1_3genE2ELNS1_11target_archE906ELNS1_3gpuE6ELNS1_3repE0EEENS1_30default_config_static_selectorELNS0_4arch9wavefront6targetE1EEEvT1_, .Lfunc_end2991-_ZN7rocprim17ROCPRIM_400000_NS6detail17trampoline_kernelINS0_14default_configENS1_25partition_config_selectorILNS1_17partition_subalgoE1EjNS0_10empty_typeEbEEZZNS1_14partition_implILS5_1ELb0ES3_jN6thrust23THRUST_200600_302600_NS6detail15normal_iteratorINSA_10device_ptrIjEEEEPS6_NSA_18transform_iteratorI7is_evenIjESF_NSA_11use_defaultESK_EENS0_5tupleIJNSA_16discard_iteratorISK_EESO_EEENSM_IJSG_SG_EEES6_PlJS6_EEE10hipError_tPvRmT3_T4_T5_T6_T7_T9_mT8_P12ihipStream_tbDpT10_ENKUlT_T0_E_clISt17integral_constantIbLb1EES1A_IbLb0EEEEDaS16_S17_EUlS16_E_NS1_11comp_targetILNS1_3genE2ELNS1_11target_archE906ELNS1_3gpuE6ELNS1_3repE0EEENS1_30default_config_static_selectorELNS0_4arch9wavefront6targetE1EEEvT1_
                                        ; -- End function
	.section	.AMDGPU.csdata,"",@progbits
; Kernel info:
; codeLenInByte = 0
; NumSgprs: 4
; NumVgprs: 0
; NumAgprs: 0
; TotalNumVgprs: 0
; ScratchSize: 0
; MemoryBound: 0
; FloatMode: 240
; IeeeMode: 1
; LDSByteSize: 0 bytes/workgroup (compile time only)
; SGPRBlocks: 0
; VGPRBlocks: 0
; NumSGPRsForWavesPerEU: 4
; NumVGPRsForWavesPerEU: 1
; AccumOffset: 4
; Occupancy: 8
; WaveLimiterHint : 0
; COMPUTE_PGM_RSRC2:SCRATCH_EN: 0
; COMPUTE_PGM_RSRC2:USER_SGPR: 6
; COMPUTE_PGM_RSRC2:TRAP_HANDLER: 0
; COMPUTE_PGM_RSRC2:TGID_X_EN: 1
; COMPUTE_PGM_RSRC2:TGID_Y_EN: 0
; COMPUTE_PGM_RSRC2:TGID_Z_EN: 0
; COMPUTE_PGM_RSRC2:TIDIG_COMP_CNT: 0
; COMPUTE_PGM_RSRC3_GFX90A:ACCUM_OFFSET: 0
; COMPUTE_PGM_RSRC3_GFX90A:TG_SPLIT: 0
	.section	.text._ZN7rocprim17ROCPRIM_400000_NS6detail17trampoline_kernelINS0_14default_configENS1_25partition_config_selectorILNS1_17partition_subalgoE1EjNS0_10empty_typeEbEEZZNS1_14partition_implILS5_1ELb0ES3_jN6thrust23THRUST_200600_302600_NS6detail15normal_iteratorINSA_10device_ptrIjEEEEPS6_NSA_18transform_iteratorI7is_evenIjESF_NSA_11use_defaultESK_EENS0_5tupleIJNSA_16discard_iteratorISK_EESO_EEENSM_IJSG_SG_EEES6_PlJS6_EEE10hipError_tPvRmT3_T4_T5_T6_T7_T9_mT8_P12ihipStream_tbDpT10_ENKUlT_T0_E_clISt17integral_constantIbLb1EES1A_IbLb0EEEEDaS16_S17_EUlS16_E_NS1_11comp_targetILNS1_3genE10ELNS1_11target_archE1200ELNS1_3gpuE4ELNS1_3repE0EEENS1_30default_config_static_selectorELNS0_4arch9wavefront6targetE1EEEvT1_,"axG",@progbits,_ZN7rocprim17ROCPRIM_400000_NS6detail17trampoline_kernelINS0_14default_configENS1_25partition_config_selectorILNS1_17partition_subalgoE1EjNS0_10empty_typeEbEEZZNS1_14partition_implILS5_1ELb0ES3_jN6thrust23THRUST_200600_302600_NS6detail15normal_iteratorINSA_10device_ptrIjEEEEPS6_NSA_18transform_iteratorI7is_evenIjESF_NSA_11use_defaultESK_EENS0_5tupleIJNSA_16discard_iteratorISK_EESO_EEENSM_IJSG_SG_EEES6_PlJS6_EEE10hipError_tPvRmT3_T4_T5_T6_T7_T9_mT8_P12ihipStream_tbDpT10_ENKUlT_T0_E_clISt17integral_constantIbLb1EES1A_IbLb0EEEEDaS16_S17_EUlS16_E_NS1_11comp_targetILNS1_3genE10ELNS1_11target_archE1200ELNS1_3gpuE4ELNS1_3repE0EEENS1_30default_config_static_selectorELNS0_4arch9wavefront6targetE1EEEvT1_,comdat
	.protected	_ZN7rocprim17ROCPRIM_400000_NS6detail17trampoline_kernelINS0_14default_configENS1_25partition_config_selectorILNS1_17partition_subalgoE1EjNS0_10empty_typeEbEEZZNS1_14partition_implILS5_1ELb0ES3_jN6thrust23THRUST_200600_302600_NS6detail15normal_iteratorINSA_10device_ptrIjEEEEPS6_NSA_18transform_iteratorI7is_evenIjESF_NSA_11use_defaultESK_EENS0_5tupleIJNSA_16discard_iteratorISK_EESO_EEENSM_IJSG_SG_EEES6_PlJS6_EEE10hipError_tPvRmT3_T4_T5_T6_T7_T9_mT8_P12ihipStream_tbDpT10_ENKUlT_T0_E_clISt17integral_constantIbLb1EES1A_IbLb0EEEEDaS16_S17_EUlS16_E_NS1_11comp_targetILNS1_3genE10ELNS1_11target_archE1200ELNS1_3gpuE4ELNS1_3repE0EEENS1_30default_config_static_selectorELNS0_4arch9wavefront6targetE1EEEvT1_ ; -- Begin function _ZN7rocprim17ROCPRIM_400000_NS6detail17trampoline_kernelINS0_14default_configENS1_25partition_config_selectorILNS1_17partition_subalgoE1EjNS0_10empty_typeEbEEZZNS1_14partition_implILS5_1ELb0ES3_jN6thrust23THRUST_200600_302600_NS6detail15normal_iteratorINSA_10device_ptrIjEEEEPS6_NSA_18transform_iteratorI7is_evenIjESF_NSA_11use_defaultESK_EENS0_5tupleIJNSA_16discard_iteratorISK_EESO_EEENSM_IJSG_SG_EEES6_PlJS6_EEE10hipError_tPvRmT3_T4_T5_T6_T7_T9_mT8_P12ihipStream_tbDpT10_ENKUlT_T0_E_clISt17integral_constantIbLb1EES1A_IbLb0EEEEDaS16_S17_EUlS16_E_NS1_11comp_targetILNS1_3genE10ELNS1_11target_archE1200ELNS1_3gpuE4ELNS1_3repE0EEENS1_30default_config_static_selectorELNS0_4arch9wavefront6targetE1EEEvT1_
	.globl	_ZN7rocprim17ROCPRIM_400000_NS6detail17trampoline_kernelINS0_14default_configENS1_25partition_config_selectorILNS1_17partition_subalgoE1EjNS0_10empty_typeEbEEZZNS1_14partition_implILS5_1ELb0ES3_jN6thrust23THRUST_200600_302600_NS6detail15normal_iteratorINSA_10device_ptrIjEEEEPS6_NSA_18transform_iteratorI7is_evenIjESF_NSA_11use_defaultESK_EENS0_5tupleIJNSA_16discard_iteratorISK_EESO_EEENSM_IJSG_SG_EEES6_PlJS6_EEE10hipError_tPvRmT3_T4_T5_T6_T7_T9_mT8_P12ihipStream_tbDpT10_ENKUlT_T0_E_clISt17integral_constantIbLb1EES1A_IbLb0EEEEDaS16_S17_EUlS16_E_NS1_11comp_targetILNS1_3genE10ELNS1_11target_archE1200ELNS1_3gpuE4ELNS1_3repE0EEENS1_30default_config_static_selectorELNS0_4arch9wavefront6targetE1EEEvT1_
	.p2align	8
	.type	_ZN7rocprim17ROCPRIM_400000_NS6detail17trampoline_kernelINS0_14default_configENS1_25partition_config_selectorILNS1_17partition_subalgoE1EjNS0_10empty_typeEbEEZZNS1_14partition_implILS5_1ELb0ES3_jN6thrust23THRUST_200600_302600_NS6detail15normal_iteratorINSA_10device_ptrIjEEEEPS6_NSA_18transform_iteratorI7is_evenIjESF_NSA_11use_defaultESK_EENS0_5tupleIJNSA_16discard_iteratorISK_EESO_EEENSM_IJSG_SG_EEES6_PlJS6_EEE10hipError_tPvRmT3_T4_T5_T6_T7_T9_mT8_P12ihipStream_tbDpT10_ENKUlT_T0_E_clISt17integral_constantIbLb1EES1A_IbLb0EEEEDaS16_S17_EUlS16_E_NS1_11comp_targetILNS1_3genE10ELNS1_11target_archE1200ELNS1_3gpuE4ELNS1_3repE0EEENS1_30default_config_static_selectorELNS0_4arch9wavefront6targetE1EEEvT1_,@function
_ZN7rocprim17ROCPRIM_400000_NS6detail17trampoline_kernelINS0_14default_configENS1_25partition_config_selectorILNS1_17partition_subalgoE1EjNS0_10empty_typeEbEEZZNS1_14partition_implILS5_1ELb0ES3_jN6thrust23THRUST_200600_302600_NS6detail15normal_iteratorINSA_10device_ptrIjEEEEPS6_NSA_18transform_iteratorI7is_evenIjESF_NSA_11use_defaultESK_EENS0_5tupleIJNSA_16discard_iteratorISK_EESO_EEENSM_IJSG_SG_EEES6_PlJS6_EEE10hipError_tPvRmT3_T4_T5_T6_T7_T9_mT8_P12ihipStream_tbDpT10_ENKUlT_T0_E_clISt17integral_constantIbLb1EES1A_IbLb0EEEEDaS16_S17_EUlS16_E_NS1_11comp_targetILNS1_3genE10ELNS1_11target_archE1200ELNS1_3gpuE4ELNS1_3repE0EEENS1_30default_config_static_selectorELNS0_4arch9wavefront6targetE1EEEvT1_: ; @_ZN7rocprim17ROCPRIM_400000_NS6detail17trampoline_kernelINS0_14default_configENS1_25partition_config_selectorILNS1_17partition_subalgoE1EjNS0_10empty_typeEbEEZZNS1_14partition_implILS5_1ELb0ES3_jN6thrust23THRUST_200600_302600_NS6detail15normal_iteratorINSA_10device_ptrIjEEEEPS6_NSA_18transform_iteratorI7is_evenIjESF_NSA_11use_defaultESK_EENS0_5tupleIJNSA_16discard_iteratorISK_EESO_EEENSM_IJSG_SG_EEES6_PlJS6_EEE10hipError_tPvRmT3_T4_T5_T6_T7_T9_mT8_P12ihipStream_tbDpT10_ENKUlT_T0_E_clISt17integral_constantIbLb1EES1A_IbLb0EEEEDaS16_S17_EUlS16_E_NS1_11comp_targetILNS1_3genE10ELNS1_11target_archE1200ELNS1_3gpuE4ELNS1_3repE0EEENS1_30default_config_static_selectorELNS0_4arch9wavefront6targetE1EEEvT1_
; %bb.0:
	.section	.rodata,"a",@progbits
	.p2align	6, 0x0
	.amdhsa_kernel _ZN7rocprim17ROCPRIM_400000_NS6detail17trampoline_kernelINS0_14default_configENS1_25partition_config_selectorILNS1_17partition_subalgoE1EjNS0_10empty_typeEbEEZZNS1_14partition_implILS5_1ELb0ES3_jN6thrust23THRUST_200600_302600_NS6detail15normal_iteratorINSA_10device_ptrIjEEEEPS6_NSA_18transform_iteratorI7is_evenIjESF_NSA_11use_defaultESK_EENS0_5tupleIJNSA_16discard_iteratorISK_EESO_EEENSM_IJSG_SG_EEES6_PlJS6_EEE10hipError_tPvRmT3_T4_T5_T6_T7_T9_mT8_P12ihipStream_tbDpT10_ENKUlT_T0_E_clISt17integral_constantIbLb1EES1A_IbLb0EEEEDaS16_S17_EUlS16_E_NS1_11comp_targetILNS1_3genE10ELNS1_11target_archE1200ELNS1_3gpuE4ELNS1_3repE0EEENS1_30default_config_static_selectorELNS0_4arch9wavefront6targetE1EEEvT1_
		.amdhsa_group_segment_fixed_size 0
		.amdhsa_private_segment_fixed_size 0
		.amdhsa_kernarg_size 144
		.amdhsa_user_sgpr_count 6
		.amdhsa_user_sgpr_private_segment_buffer 1
		.amdhsa_user_sgpr_dispatch_ptr 0
		.amdhsa_user_sgpr_queue_ptr 0
		.amdhsa_user_sgpr_kernarg_segment_ptr 1
		.amdhsa_user_sgpr_dispatch_id 0
		.amdhsa_user_sgpr_flat_scratch_init 0
		.amdhsa_user_sgpr_kernarg_preload_length 0
		.amdhsa_user_sgpr_kernarg_preload_offset 0
		.amdhsa_user_sgpr_private_segment_size 0
		.amdhsa_uses_dynamic_stack 0
		.amdhsa_system_sgpr_private_segment_wavefront_offset 0
		.amdhsa_system_sgpr_workgroup_id_x 1
		.amdhsa_system_sgpr_workgroup_id_y 0
		.amdhsa_system_sgpr_workgroup_id_z 0
		.amdhsa_system_sgpr_workgroup_info 0
		.amdhsa_system_vgpr_workitem_id 0
		.amdhsa_next_free_vgpr 1
		.amdhsa_next_free_sgpr 0
		.amdhsa_accum_offset 4
		.amdhsa_reserve_vcc 0
		.amdhsa_reserve_flat_scratch 0
		.amdhsa_float_round_mode_32 0
		.amdhsa_float_round_mode_16_64 0
		.amdhsa_float_denorm_mode_32 3
		.amdhsa_float_denorm_mode_16_64 3
		.amdhsa_dx10_clamp 1
		.amdhsa_ieee_mode 1
		.amdhsa_fp16_overflow 0
		.amdhsa_tg_split 0
		.amdhsa_exception_fp_ieee_invalid_op 0
		.amdhsa_exception_fp_denorm_src 0
		.amdhsa_exception_fp_ieee_div_zero 0
		.amdhsa_exception_fp_ieee_overflow 0
		.amdhsa_exception_fp_ieee_underflow 0
		.amdhsa_exception_fp_ieee_inexact 0
		.amdhsa_exception_int_div_zero 0
	.end_amdhsa_kernel
	.section	.text._ZN7rocprim17ROCPRIM_400000_NS6detail17trampoline_kernelINS0_14default_configENS1_25partition_config_selectorILNS1_17partition_subalgoE1EjNS0_10empty_typeEbEEZZNS1_14partition_implILS5_1ELb0ES3_jN6thrust23THRUST_200600_302600_NS6detail15normal_iteratorINSA_10device_ptrIjEEEEPS6_NSA_18transform_iteratorI7is_evenIjESF_NSA_11use_defaultESK_EENS0_5tupleIJNSA_16discard_iteratorISK_EESO_EEENSM_IJSG_SG_EEES6_PlJS6_EEE10hipError_tPvRmT3_T4_T5_T6_T7_T9_mT8_P12ihipStream_tbDpT10_ENKUlT_T0_E_clISt17integral_constantIbLb1EES1A_IbLb0EEEEDaS16_S17_EUlS16_E_NS1_11comp_targetILNS1_3genE10ELNS1_11target_archE1200ELNS1_3gpuE4ELNS1_3repE0EEENS1_30default_config_static_selectorELNS0_4arch9wavefront6targetE1EEEvT1_,"axG",@progbits,_ZN7rocprim17ROCPRIM_400000_NS6detail17trampoline_kernelINS0_14default_configENS1_25partition_config_selectorILNS1_17partition_subalgoE1EjNS0_10empty_typeEbEEZZNS1_14partition_implILS5_1ELb0ES3_jN6thrust23THRUST_200600_302600_NS6detail15normal_iteratorINSA_10device_ptrIjEEEEPS6_NSA_18transform_iteratorI7is_evenIjESF_NSA_11use_defaultESK_EENS0_5tupleIJNSA_16discard_iteratorISK_EESO_EEENSM_IJSG_SG_EEES6_PlJS6_EEE10hipError_tPvRmT3_T4_T5_T6_T7_T9_mT8_P12ihipStream_tbDpT10_ENKUlT_T0_E_clISt17integral_constantIbLb1EES1A_IbLb0EEEEDaS16_S17_EUlS16_E_NS1_11comp_targetILNS1_3genE10ELNS1_11target_archE1200ELNS1_3gpuE4ELNS1_3repE0EEENS1_30default_config_static_selectorELNS0_4arch9wavefront6targetE1EEEvT1_,comdat
.Lfunc_end2992:
	.size	_ZN7rocprim17ROCPRIM_400000_NS6detail17trampoline_kernelINS0_14default_configENS1_25partition_config_selectorILNS1_17partition_subalgoE1EjNS0_10empty_typeEbEEZZNS1_14partition_implILS5_1ELb0ES3_jN6thrust23THRUST_200600_302600_NS6detail15normal_iteratorINSA_10device_ptrIjEEEEPS6_NSA_18transform_iteratorI7is_evenIjESF_NSA_11use_defaultESK_EENS0_5tupleIJNSA_16discard_iteratorISK_EESO_EEENSM_IJSG_SG_EEES6_PlJS6_EEE10hipError_tPvRmT3_T4_T5_T6_T7_T9_mT8_P12ihipStream_tbDpT10_ENKUlT_T0_E_clISt17integral_constantIbLb1EES1A_IbLb0EEEEDaS16_S17_EUlS16_E_NS1_11comp_targetILNS1_3genE10ELNS1_11target_archE1200ELNS1_3gpuE4ELNS1_3repE0EEENS1_30default_config_static_selectorELNS0_4arch9wavefront6targetE1EEEvT1_, .Lfunc_end2992-_ZN7rocprim17ROCPRIM_400000_NS6detail17trampoline_kernelINS0_14default_configENS1_25partition_config_selectorILNS1_17partition_subalgoE1EjNS0_10empty_typeEbEEZZNS1_14partition_implILS5_1ELb0ES3_jN6thrust23THRUST_200600_302600_NS6detail15normal_iteratorINSA_10device_ptrIjEEEEPS6_NSA_18transform_iteratorI7is_evenIjESF_NSA_11use_defaultESK_EENS0_5tupleIJNSA_16discard_iteratorISK_EESO_EEENSM_IJSG_SG_EEES6_PlJS6_EEE10hipError_tPvRmT3_T4_T5_T6_T7_T9_mT8_P12ihipStream_tbDpT10_ENKUlT_T0_E_clISt17integral_constantIbLb1EES1A_IbLb0EEEEDaS16_S17_EUlS16_E_NS1_11comp_targetILNS1_3genE10ELNS1_11target_archE1200ELNS1_3gpuE4ELNS1_3repE0EEENS1_30default_config_static_selectorELNS0_4arch9wavefront6targetE1EEEvT1_
                                        ; -- End function
	.section	.AMDGPU.csdata,"",@progbits
; Kernel info:
; codeLenInByte = 0
; NumSgprs: 4
; NumVgprs: 0
; NumAgprs: 0
; TotalNumVgprs: 0
; ScratchSize: 0
; MemoryBound: 0
; FloatMode: 240
; IeeeMode: 1
; LDSByteSize: 0 bytes/workgroup (compile time only)
; SGPRBlocks: 0
; VGPRBlocks: 0
; NumSGPRsForWavesPerEU: 4
; NumVGPRsForWavesPerEU: 1
; AccumOffset: 4
; Occupancy: 8
; WaveLimiterHint : 0
; COMPUTE_PGM_RSRC2:SCRATCH_EN: 0
; COMPUTE_PGM_RSRC2:USER_SGPR: 6
; COMPUTE_PGM_RSRC2:TRAP_HANDLER: 0
; COMPUTE_PGM_RSRC2:TGID_X_EN: 1
; COMPUTE_PGM_RSRC2:TGID_Y_EN: 0
; COMPUTE_PGM_RSRC2:TGID_Z_EN: 0
; COMPUTE_PGM_RSRC2:TIDIG_COMP_CNT: 0
; COMPUTE_PGM_RSRC3_GFX90A:ACCUM_OFFSET: 0
; COMPUTE_PGM_RSRC3_GFX90A:TG_SPLIT: 0
	.section	.text._ZN7rocprim17ROCPRIM_400000_NS6detail17trampoline_kernelINS0_14default_configENS1_25partition_config_selectorILNS1_17partition_subalgoE1EjNS0_10empty_typeEbEEZZNS1_14partition_implILS5_1ELb0ES3_jN6thrust23THRUST_200600_302600_NS6detail15normal_iteratorINSA_10device_ptrIjEEEEPS6_NSA_18transform_iteratorI7is_evenIjESF_NSA_11use_defaultESK_EENS0_5tupleIJNSA_16discard_iteratorISK_EESO_EEENSM_IJSG_SG_EEES6_PlJS6_EEE10hipError_tPvRmT3_T4_T5_T6_T7_T9_mT8_P12ihipStream_tbDpT10_ENKUlT_T0_E_clISt17integral_constantIbLb1EES1A_IbLb0EEEEDaS16_S17_EUlS16_E_NS1_11comp_targetILNS1_3genE9ELNS1_11target_archE1100ELNS1_3gpuE3ELNS1_3repE0EEENS1_30default_config_static_selectorELNS0_4arch9wavefront6targetE1EEEvT1_,"axG",@progbits,_ZN7rocprim17ROCPRIM_400000_NS6detail17trampoline_kernelINS0_14default_configENS1_25partition_config_selectorILNS1_17partition_subalgoE1EjNS0_10empty_typeEbEEZZNS1_14partition_implILS5_1ELb0ES3_jN6thrust23THRUST_200600_302600_NS6detail15normal_iteratorINSA_10device_ptrIjEEEEPS6_NSA_18transform_iteratorI7is_evenIjESF_NSA_11use_defaultESK_EENS0_5tupleIJNSA_16discard_iteratorISK_EESO_EEENSM_IJSG_SG_EEES6_PlJS6_EEE10hipError_tPvRmT3_T4_T5_T6_T7_T9_mT8_P12ihipStream_tbDpT10_ENKUlT_T0_E_clISt17integral_constantIbLb1EES1A_IbLb0EEEEDaS16_S17_EUlS16_E_NS1_11comp_targetILNS1_3genE9ELNS1_11target_archE1100ELNS1_3gpuE3ELNS1_3repE0EEENS1_30default_config_static_selectorELNS0_4arch9wavefront6targetE1EEEvT1_,comdat
	.protected	_ZN7rocprim17ROCPRIM_400000_NS6detail17trampoline_kernelINS0_14default_configENS1_25partition_config_selectorILNS1_17partition_subalgoE1EjNS0_10empty_typeEbEEZZNS1_14partition_implILS5_1ELb0ES3_jN6thrust23THRUST_200600_302600_NS6detail15normal_iteratorINSA_10device_ptrIjEEEEPS6_NSA_18transform_iteratorI7is_evenIjESF_NSA_11use_defaultESK_EENS0_5tupleIJNSA_16discard_iteratorISK_EESO_EEENSM_IJSG_SG_EEES6_PlJS6_EEE10hipError_tPvRmT3_T4_T5_T6_T7_T9_mT8_P12ihipStream_tbDpT10_ENKUlT_T0_E_clISt17integral_constantIbLb1EES1A_IbLb0EEEEDaS16_S17_EUlS16_E_NS1_11comp_targetILNS1_3genE9ELNS1_11target_archE1100ELNS1_3gpuE3ELNS1_3repE0EEENS1_30default_config_static_selectorELNS0_4arch9wavefront6targetE1EEEvT1_ ; -- Begin function _ZN7rocprim17ROCPRIM_400000_NS6detail17trampoline_kernelINS0_14default_configENS1_25partition_config_selectorILNS1_17partition_subalgoE1EjNS0_10empty_typeEbEEZZNS1_14partition_implILS5_1ELb0ES3_jN6thrust23THRUST_200600_302600_NS6detail15normal_iteratorINSA_10device_ptrIjEEEEPS6_NSA_18transform_iteratorI7is_evenIjESF_NSA_11use_defaultESK_EENS0_5tupleIJNSA_16discard_iteratorISK_EESO_EEENSM_IJSG_SG_EEES6_PlJS6_EEE10hipError_tPvRmT3_T4_T5_T6_T7_T9_mT8_P12ihipStream_tbDpT10_ENKUlT_T0_E_clISt17integral_constantIbLb1EES1A_IbLb0EEEEDaS16_S17_EUlS16_E_NS1_11comp_targetILNS1_3genE9ELNS1_11target_archE1100ELNS1_3gpuE3ELNS1_3repE0EEENS1_30default_config_static_selectorELNS0_4arch9wavefront6targetE1EEEvT1_
	.globl	_ZN7rocprim17ROCPRIM_400000_NS6detail17trampoline_kernelINS0_14default_configENS1_25partition_config_selectorILNS1_17partition_subalgoE1EjNS0_10empty_typeEbEEZZNS1_14partition_implILS5_1ELb0ES3_jN6thrust23THRUST_200600_302600_NS6detail15normal_iteratorINSA_10device_ptrIjEEEEPS6_NSA_18transform_iteratorI7is_evenIjESF_NSA_11use_defaultESK_EENS0_5tupleIJNSA_16discard_iteratorISK_EESO_EEENSM_IJSG_SG_EEES6_PlJS6_EEE10hipError_tPvRmT3_T4_T5_T6_T7_T9_mT8_P12ihipStream_tbDpT10_ENKUlT_T0_E_clISt17integral_constantIbLb1EES1A_IbLb0EEEEDaS16_S17_EUlS16_E_NS1_11comp_targetILNS1_3genE9ELNS1_11target_archE1100ELNS1_3gpuE3ELNS1_3repE0EEENS1_30default_config_static_selectorELNS0_4arch9wavefront6targetE1EEEvT1_
	.p2align	8
	.type	_ZN7rocprim17ROCPRIM_400000_NS6detail17trampoline_kernelINS0_14default_configENS1_25partition_config_selectorILNS1_17partition_subalgoE1EjNS0_10empty_typeEbEEZZNS1_14partition_implILS5_1ELb0ES3_jN6thrust23THRUST_200600_302600_NS6detail15normal_iteratorINSA_10device_ptrIjEEEEPS6_NSA_18transform_iteratorI7is_evenIjESF_NSA_11use_defaultESK_EENS0_5tupleIJNSA_16discard_iteratorISK_EESO_EEENSM_IJSG_SG_EEES6_PlJS6_EEE10hipError_tPvRmT3_T4_T5_T6_T7_T9_mT8_P12ihipStream_tbDpT10_ENKUlT_T0_E_clISt17integral_constantIbLb1EES1A_IbLb0EEEEDaS16_S17_EUlS16_E_NS1_11comp_targetILNS1_3genE9ELNS1_11target_archE1100ELNS1_3gpuE3ELNS1_3repE0EEENS1_30default_config_static_selectorELNS0_4arch9wavefront6targetE1EEEvT1_,@function
_ZN7rocprim17ROCPRIM_400000_NS6detail17trampoline_kernelINS0_14default_configENS1_25partition_config_selectorILNS1_17partition_subalgoE1EjNS0_10empty_typeEbEEZZNS1_14partition_implILS5_1ELb0ES3_jN6thrust23THRUST_200600_302600_NS6detail15normal_iteratorINSA_10device_ptrIjEEEEPS6_NSA_18transform_iteratorI7is_evenIjESF_NSA_11use_defaultESK_EENS0_5tupleIJNSA_16discard_iteratorISK_EESO_EEENSM_IJSG_SG_EEES6_PlJS6_EEE10hipError_tPvRmT3_T4_T5_T6_T7_T9_mT8_P12ihipStream_tbDpT10_ENKUlT_T0_E_clISt17integral_constantIbLb1EES1A_IbLb0EEEEDaS16_S17_EUlS16_E_NS1_11comp_targetILNS1_3genE9ELNS1_11target_archE1100ELNS1_3gpuE3ELNS1_3repE0EEENS1_30default_config_static_selectorELNS0_4arch9wavefront6targetE1EEEvT1_: ; @_ZN7rocprim17ROCPRIM_400000_NS6detail17trampoline_kernelINS0_14default_configENS1_25partition_config_selectorILNS1_17partition_subalgoE1EjNS0_10empty_typeEbEEZZNS1_14partition_implILS5_1ELb0ES3_jN6thrust23THRUST_200600_302600_NS6detail15normal_iteratorINSA_10device_ptrIjEEEEPS6_NSA_18transform_iteratorI7is_evenIjESF_NSA_11use_defaultESK_EENS0_5tupleIJNSA_16discard_iteratorISK_EESO_EEENSM_IJSG_SG_EEES6_PlJS6_EEE10hipError_tPvRmT3_T4_T5_T6_T7_T9_mT8_P12ihipStream_tbDpT10_ENKUlT_T0_E_clISt17integral_constantIbLb1EES1A_IbLb0EEEEDaS16_S17_EUlS16_E_NS1_11comp_targetILNS1_3genE9ELNS1_11target_archE1100ELNS1_3gpuE3ELNS1_3repE0EEENS1_30default_config_static_selectorELNS0_4arch9wavefront6targetE1EEEvT1_
; %bb.0:
	.section	.rodata,"a",@progbits
	.p2align	6, 0x0
	.amdhsa_kernel _ZN7rocprim17ROCPRIM_400000_NS6detail17trampoline_kernelINS0_14default_configENS1_25partition_config_selectorILNS1_17partition_subalgoE1EjNS0_10empty_typeEbEEZZNS1_14partition_implILS5_1ELb0ES3_jN6thrust23THRUST_200600_302600_NS6detail15normal_iteratorINSA_10device_ptrIjEEEEPS6_NSA_18transform_iteratorI7is_evenIjESF_NSA_11use_defaultESK_EENS0_5tupleIJNSA_16discard_iteratorISK_EESO_EEENSM_IJSG_SG_EEES6_PlJS6_EEE10hipError_tPvRmT3_T4_T5_T6_T7_T9_mT8_P12ihipStream_tbDpT10_ENKUlT_T0_E_clISt17integral_constantIbLb1EES1A_IbLb0EEEEDaS16_S17_EUlS16_E_NS1_11comp_targetILNS1_3genE9ELNS1_11target_archE1100ELNS1_3gpuE3ELNS1_3repE0EEENS1_30default_config_static_selectorELNS0_4arch9wavefront6targetE1EEEvT1_
		.amdhsa_group_segment_fixed_size 0
		.amdhsa_private_segment_fixed_size 0
		.amdhsa_kernarg_size 144
		.amdhsa_user_sgpr_count 6
		.amdhsa_user_sgpr_private_segment_buffer 1
		.amdhsa_user_sgpr_dispatch_ptr 0
		.amdhsa_user_sgpr_queue_ptr 0
		.amdhsa_user_sgpr_kernarg_segment_ptr 1
		.amdhsa_user_sgpr_dispatch_id 0
		.amdhsa_user_sgpr_flat_scratch_init 0
		.amdhsa_user_sgpr_kernarg_preload_length 0
		.amdhsa_user_sgpr_kernarg_preload_offset 0
		.amdhsa_user_sgpr_private_segment_size 0
		.amdhsa_uses_dynamic_stack 0
		.amdhsa_system_sgpr_private_segment_wavefront_offset 0
		.amdhsa_system_sgpr_workgroup_id_x 1
		.amdhsa_system_sgpr_workgroup_id_y 0
		.amdhsa_system_sgpr_workgroup_id_z 0
		.amdhsa_system_sgpr_workgroup_info 0
		.amdhsa_system_vgpr_workitem_id 0
		.amdhsa_next_free_vgpr 1
		.amdhsa_next_free_sgpr 0
		.amdhsa_accum_offset 4
		.amdhsa_reserve_vcc 0
		.amdhsa_reserve_flat_scratch 0
		.amdhsa_float_round_mode_32 0
		.amdhsa_float_round_mode_16_64 0
		.amdhsa_float_denorm_mode_32 3
		.amdhsa_float_denorm_mode_16_64 3
		.amdhsa_dx10_clamp 1
		.amdhsa_ieee_mode 1
		.amdhsa_fp16_overflow 0
		.amdhsa_tg_split 0
		.amdhsa_exception_fp_ieee_invalid_op 0
		.amdhsa_exception_fp_denorm_src 0
		.amdhsa_exception_fp_ieee_div_zero 0
		.amdhsa_exception_fp_ieee_overflow 0
		.amdhsa_exception_fp_ieee_underflow 0
		.amdhsa_exception_fp_ieee_inexact 0
		.amdhsa_exception_int_div_zero 0
	.end_amdhsa_kernel
	.section	.text._ZN7rocprim17ROCPRIM_400000_NS6detail17trampoline_kernelINS0_14default_configENS1_25partition_config_selectorILNS1_17partition_subalgoE1EjNS0_10empty_typeEbEEZZNS1_14partition_implILS5_1ELb0ES3_jN6thrust23THRUST_200600_302600_NS6detail15normal_iteratorINSA_10device_ptrIjEEEEPS6_NSA_18transform_iteratorI7is_evenIjESF_NSA_11use_defaultESK_EENS0_5tupleIJNSA_16discard_iteratorISK_EESO_EEENSM_IJSG_SG_EEES6_PlJS6_EEE10hipError_tPvRmT3_T4_T5_T6_T7_T9_mT8_P12ihipStream_tbDpT10_ENKUlT_T0_E_clISt17integral_constantIbLb1EES1A_IbLb0EEEEDaS16_S17_EUlS16_E_NS1_11comp_targetILNS1_3genE9ELNS1_11target_archE1100ELNS1_3gpuE3ELNS1_3repE0EEENS1_30default_config_static_selectorELNS0_4arch9wavefront6targetE1EEEvT1_,"axG",@progbits,_ZN7rocprim17ROCPRIM_400000_NS6detail17trampoline_kernelINS0_14default_configENS1_25partition_config_selectorILNS1_17partition_subalgoE1EjNS0_10empty_typeEbEEZZNS1_14partition_implILS5_1ELb0ES3_jN6thrust23THRUST_200600_302600_NS6detail15normal_iteratorINSA_10device_ptrIjEEEEPS6_NSA_18transform_iteratorI7is_evenIjESF_NSA_11use_defaultESK_EENS0_5tupleIJNSA_16discard_iteratorISK_EESO_EEENSM_IJSG_SG_EEES6_PlJS6_EEE10hipError_tPvRmT3_T4_T5_T6_T7_T9_mT8_P12ihipStream_tbDpT10_ENKUlT_T0_E_clISt17integral_constantIbLb1EES1A_IbLb0EEEEDaS16_S17_EUlS16_E_NS1_11comp_targetILNS1_3genE9ELNS1_11target_archE1100ELNS1_3gpuE3ELNS1_3repE0EEENS1_30default_config_static_selectorELNS0_4arch9wavefront6targetE1EEEvT1_,comdat
.Lfunc_end2993:
	.size	_ZN7rocprim17ROCPRIM_400000_NS6detail17trampoline_kernelINS0_14default_configENS1_25partition_config_selectorILNS1_17partition_subalgoE1EjNS0_10empty_typeEbEEZZNS1_14partition_implILS5_1ELb0ES3_jN6thrust23THRUST_200600_302600_NS6detail15normal_iteratorINSA_10device_ptrIjEEEEPS6_NSA_18transform_iteratorI7is_evenIjESF_NSA_11use_defaultESK_EENS0_5tupleIJNSA_16discard_iteratorISK_EESO_EEENSM_IJSG_SG_EEES6_PlJS6_EEE10hipError_tPvRmT3_T4_T5_T6_T7_T9_mT8_P12ihipStream_tbDpT10_ENKUlT_T0_E_clISt17integral_constantIbLb1EES1A_IbLb0EEEEDaS16_S17_EUlS16_E_NS1_11comp_targetILNS1_3genE9ELNS1_11target_archE1100ELNS1_3gpuE3ELNS1_3repE0EEENS1_30default_config_static_selectorELNS0_4arch9wavefront6targetE1EEEvT1_, .Lfunc_end2993-_ZN7rocprim17ROCPRIM_400000_NS6detail17trampoline_kernelINS0_14default_configENS1_25partition_config_selectorILNS1_17partition_subalgoE1EjNS0_10empty_typeEbEEZZNS1_14partition_implILS5_1ELb0ES3_jN6thrust23THRUST_200600_302600_NS6detail15normal_iteratorINSA_10device_ptrIjEEEEPS6_NSA_18transform_iteratorI7is_evenIjESF_NSA_11use_defaultESK_EENS0_5tupleIJNSA_16discard_iteratorISK_EESO_EEENSM_IJSG_SG_EEES6_PlJS6_EEE10hipError_tPvRmT3_T4_T5_T6_T7_T9_mT8_P12ihipStream_tbDpT10_ENKUlT_T0_E_clISt17integral_constantIbLb1EES1A_IbLb0EEEEDaS16_S17_EUlS16_E_NS1_11comp_targetILNS1_3genE9ELNS1_11target_archE1100ELNS1_3gpuE3ELNS1_3repE0EEENS1_30default_config_static_selectorELNS0_4arch9wavefront6targetE1EEEvT1_
                                        ; -- End function
	.section	.AMDGPU.csdata,"",@progbits
; Kernel info:
; codeLenInByte = 0
; NumSgprs: 4
; NumVgprs: 0
; NumAgprs: 0
; TotalNumVgprs: 0
; ScratchSize: 0
; MemoryBound: 0
; FloatMode: 240
; IeeeMode: 1
; LDSByteSize: 0 bytes/workgroup (compile time only)
; SGPRBlocks: 0
; VGPRBlocks: 0
; NumSGPRsForWavesPerEU: 4
; NumVGPRsForWavesPerEU: 1
; AccumOffset: 4
; Occupancy: 8
; WaveLimiterHint : 0
; COMPUTE_PGM_RSRC2:SCRATCH_EN: 0
; COMPUTE_PGM_RSRC2:USER_SGPR: 6
; COMPUTE_PGM_RSRC2:TRAP_HANDLER: 0
; COMPUTE_PGM_RSRC2:TGID_X_EN: 1
; COMPUTE_PGM_RSRC2:TGID_Y_EN: 0
; COMPUTE_PGM_RSRC2:TGID_Z_EN: 0
; COMPUTE_PGM_RSRC2:TIDIG_COMP_CNT: 0
; COMPUTE_PGM_RSRC3_GFX90A:ACCUM_OFFSET: 0
; COMPUTE_PGM_RSRC3_GFX90A:TG_SPLIT: 0
	.section	.text._ZN7rocprim17ROCPRIM_400000_NS6detail17trampoline_kernelINS0_14default_configENS1_25partition_config_selectorILNS1_17partition_subalgoE1EjNS0_10empty_typeEbEEZZNS1_14partition_implILS5_1ELb0ES3_jN6thrust23THRUST_200600_302600_NS6detail15normal_iteratorINSA_10device_ptrIjEEEEPS6_NSA_18transform_iteratorI7is_evenIjESF_NSA_11use_defaultESK_EENS0_5tupleIJNSA_16discard_iteratorISK_EESO_EEENSM_IJSG_SG_EEES6_PlJS6_EEE10hipError_tPvRmT3_T4_T5_T6_T7_T9_mT8_P12ihipStream_tbDpT10_ENKUlT_T0_E_clISt17integral_constantIbLb1EES1A_IbLb0EEEEDaS16_S17_EUlS16_E_NS1_11comp_targetILNS1_3genE8ELNS1_11target_archE1030ELNS1_3gpuE2ELNS1_3repE0EEENS1_30default_config_static_selectorELNS0_4arch9wavefront6targetE1EEEvT1_,"axG",@progbits,_ZN7rocprim17ROCPRIM_400000_NS6detail17trampoline_kernelINS0_14default_configENS1_25partition_config_selectorILNS1_17partition_subalgoE1EjNS0_10empty_typeEbEEZZNS1_14partition_implILS5_1ELb0ES3_jN6thrust23THRUST_200600_302600_NS6detail15normal_iteratorINSA_10device_ptrIjEEEEPS6_NSA_18transform_iteratorI7is_evenIjESF_NSA_11use_defaultESK_EENS0_5tupleIJNSA_16discard_iteratorISK_EESO_EEENSM_IJSG_SG_EEES6_PlJS6_EEE10hipError_tPvRmT3_T4_T5_T6_T7_T9_mT8_P12ihipStream_tbDpT10_ENKUlT_T0_E_clISt17integral_constantIbLb1EES1A_IbLb0EEEEDaS16_S17_EUlS16_E_NS1_11comp_targetILNS1_3genE8ELNS1_11target_archE1030ELNS1_3gpuE2ELNS1_3repE0EEENS1_30default_config_static_selectorELNS0_4arch9wavefront6targetE1EEEvT1_,comdat
	.protected	_ZN7rocprim17ROCPRIM_400000_NS6detail17trampoline_kernelINS0_14default_configENS1_25partition_config_selectorILNS1_17partition_subalgoE1EjNS0_10empty_typeEbEEZZNS1_14partition_implILS5_1ELb0ES3_jN6thrust23THRUST_200600_302600_NS6detail15normal_iteratorINSA_10device_ptrIjEEEEPS6_NSA_18transform_iteratorI7is_evenIjESF_NSA_11use_defaultESK_EENS0_5tupleIJNSA_16discard_iteratorISK_EESO_EEENSM_IJSG_SG_EEES6_PlJS6_EEE10hipError_tPvRmT3_T4_T5_T6_T7_T9_mT8_P12ihipStream_tbDpT10_ENKUlT_T0_E_clISt17integral_constantIbLb1EES1A_IbLb0EEEEDaS16_S17_EUlS16_E_NS1_11comp_targetILNS1_3genE8ELNS1_11target_archE1030ELNS1_3gpuE2ELNS1_3repE0EEENS1_30default_config_static_selectorELNS0_4arch9wavefront6targetE1EEEvT1_ ; -- Begin function _ZN7rocprim17ROCPRIM_400000_NS6detail17trampoline_kernelINS0_14default_configENS1_25partition_config_selectorILNS1_17partition_subalgoE1EjNS0_10empty_typeEbEEZZNS1_14partition_implILS5_1ELb0ES3_jN6thrust23THRUST_200600_302600_NS6detail15normal_iteratorINSA_10device_ptrIjEEEEPS6_NSA_18transform_iteratorI7is_evenIjESF_NSA_11use_defaultESK_EENS0_5tupleIJNSA_16discard_iteratorISK_EESO_EEENSM_IJSG_SG_EEES6_PlJS6_EEE10hipError_tPvRmT3_T4_T5_T6_T7_T9_mT8_P12ihipStream_tbDpT10_ENKUlT_T0_E_clISt17integral_constantIbLb1EES1A_IbLb0EEEEDaS16_S17_EUlS16_E_NS1_11comp_targetILNS1_3genE8ELNS1_11target_archE1030ELNS1_3gpuE2ELNS1_3repE0EEENS1_30default_config_static_selectorELNS0_4arch9wavefront6targetE1EEEvT1_
	.globl	_ZN7rocprim17ROCPRIM_400000_NS6detail17trampoline_kernelINS0_14default_configENS1_25partition_config_selectorILNS1_17partition_subalgoE1EjNS0_10empty_typeEbEEZZNS1_14partition_implILS5_1ELb0ES3_jN6thrust23THRUST_200600_302600_NS6detail15normal_iteratorINSA_10device_ptrIjEEEEPS6_NSA_18transform_iteratorI7is_evenIjESF_NSA_11use_defaultESK_EENS0_5tupleIJNSA_16discard_iteratorISK_EESO_EEENSM_IJSG_SG_EEES6_PlJS6_EEE10hipError_tPvRmT3_T4_T5_T6_T7_T9_mT8_P12ihipStream_tbDpT10_ENKUlT_T0_E_clISt17integral_constantIbLb1EES1A_IbLb0EEEEDaS16_S17_EUlS16_E_NS1_11comp_targetILNS1_3genE8ELNS1_11target_archE1030ELNS1_3gpuE2ELNS1_3repE0EEENS1_30default_config_static_selectorELNS0_4arch9wavefront6targetE1EEEvT1_
	.p2align	8
	.type	_ZN7rocprim17ROCPRIM_400000_NS6detail17trampoline_kernelINS0_14default_configENS1_25partition_config_selectorILNS1_17partition_subalgoE1EjNS0_10empty_typeEbEEZZNS1_14partition_implILS5_1ELb0ES3_jN6thrust23THRUST_200600_302600_NS6detail15normal_iteratorINSA_10device_ptrIjEEEEPS6_NSA_18transform_iteratorI7is_evenIjESF_NSA_11use_defaultESK_EENS0_5tupleIJNSA_16discard_iteratorISK_EESO_EEENSM_IJSG_SG_EEES6_PlJS6_EEE10hipError_tPvRmT3_T4_T5_T6_T7_T9_mT8_P12ihipStream_tbDpT10_ENKUlT_T0_E_clISt17integral_constantIbLb1EES1A_IbLb0EEEEDaS16_S17_EUlS16_E_NS1_11comp_targetILNS1_3genE8ELNS1_11target_archE1030ELNS1_3gpuE2ELNS1_3repE0EEENS1_30default_config_static_selectorELNS0_4arch9wavefront6targetE1EEEvT1_,@function
_ZN7rocprim17ROCPRIM_400000_NS6detail17trampoline_kernelINS0_14default_configENS1_25partition_config_selectorILNS1_17partition_subalgoE1EjNS0_10empty_typeEbEEZZNS1_14partition_implILS5_1ELb0ES3_jN6thrust23THRUST_200600_302600_NS6detail15normal_iteratorINSA_10device_ptrIjEEEEPS6_NSA_18transform_iteratorI7is_evenIjESF_NSA_11use_defaultESK_EENS0_5tupleIJNSA_16discard_iteratorISK_EESO_EEENSM_IJSG_SG_EEES6_PlJS6_EEE10hipError_tPvRmT3_T4_T5_T6_T7_T9_mT8_P12ihipStream_tbDpT10_ENKUlT_T0_E_clISt17integral_constantIbLb1EES1A_IbLb0EEEEDaS16_S17_EUlS16_E_NS1_11comp_targetILNS1_3genE8ELNS1_11target_archE1030ELNS1_3gpuE2ELNS1_3repE0EEENS1_30default_config_static_selectorELNS0_4arch9wavefront6targetE1EEEvT1_: ; @_ZN7rocprim17ROCPRIM_400000_NS6detail17trampoline_kernelINS0_14default_configENS1_25partition_config_selectorILNS1_17partition_subalgoE1EjNS0_10empty_typeEbEEZZNS1_14partition_implILS5_1ELb0ES3_jN6thrust23THRUST_200600_302600_NS6detail15normal_iteratorINSA_10device_ptrIjEEEEPS6_NSA_18transform_iteratorI7is_evenIjESF_NSA_11use_defaultESK_EENS0_5tupleIJNSA_16discard_iteratorISK_EESO_EEENSM_IJSG_SG_EEES6_PlJS6_EEE10hipError_tPvRmT3_T4_T5_T6_T7_T9_mT8_P12ihipStream_tbDpT10_ENKUlT_T0_E_clISt17integral_constantIbLb1EES1A_IbLb0EEEEDaS16_S17_EUlS16_E_NS1_11comp_targetILNS1_3genE8ELNS1_11target_archE1030ELNS1_3gpuE2ELNS1_3repE0EEENS1_30default_config_static_selectorELNS0_4arch9wavefront6targetE1EEEvT1_
; %bb.0:
	.section	.rodata,"a",@progbits
	.p2align	6, 0x0
	.amdhsa_kernel _ZN7rocprim17ROCPRIM_400000_NS6detail17trampoline_kernelINS0_14default_configENS1_25partition_config_selectorILNS1_17partition_subalgoE1EjNS0_10empty_typeEbEEZZNS1_14partition_implILS5_1ELb0ES3_jN6thrust23THRUST_200600_302600_NS6detail15normal_iteratorINSA_10device_ptrIjEEEEPS6_NSA_18transform_iteratorI7is_evenIjESF_NSA_11use_defaultESK_EENS0_5tupleIJNSA_16discard_iteratorISK_EESO_EEENSM_IJSG_SG_EEES6_PlJS6_EEE10hipError_tPvRmT3_T4_T5_T6_T7_T9_mT8_P12ihipStream_tbDpT10_ENKUlT_T0_E_clISt17integral_constantIbLb1EES1A_IbLb0EEEEDaS16_S17_EUlS16_E_NS1_11comp_targetILNS1_3genE8ELNS1_11target_archE1030ELNS1_3gpuE2ELNS1_3repE0EEENS1_30default_config_static_selectorELNS0_4arch9wavefront6targetE1EEEvT1_
		.amdhsa_group_segment_fixed_size 0
		.amdhsa_private_segment_fixed_size 0
		.amdhsa_kernarg_size 144
		.amdhsa_user_sgpr_count 6
		.amdhsa_user_sgpr_private_segment_buffer 1
		.amdhsa_user_sgpr_dispatch_ptr 0
		.amdhsa_user_sgpr_queue_ptr 0
		.amdhsa_user_sgpr_kernarg_segment_ptr 1
		.amdhsa_user_sgpr_dispatch_id 0
		.amdhsa_user_sgpr_flat_scratch_init 0
		.amdhsa_user_sgpr_kernarg_preload_length 0
		.amdhsa_user_sgpr_kernarg_preload_offset 0
		.amdhsa_user_sgpr_private_segment_size 0
		.amdhsa_uses_dynamic_stack 0
		.amdhsa_system_sgpr_private_segment_wavefront_offset 0
		.amdhsa_system_sgpr_workgroup_id_x 1
		.amdhsa_system_sgpr_workgroup_id_y 0
		.amdhsa_system_sgpr_workgroup_id_z 0
		.amdhsa_system_sgpr_workgroup_info 0
		.amdhsa_system_vgpr_workitem_id 0
		.amdhsa_next_free_vgpr 1
		.amdhsa_next_free_sgpr 0
		.amdhsa_accum_offset 4
		.amdhsa_reserve_vcc 0
		.amdhsa_reserve_flat_scratch 0
		.amdhsa_float_round_mode_32 0
		.amdhsa_float_round_mode_16_64 0
		.amdhsa_float_denorm_mode_32 3
		.amdhsa_float_denorm_mode_16_64 3
		.amdhsa_dx10_clamp 1
		.amdhsa_ieee_mode 1
		.amdhsa_fp16_overflow 0
		.amdhsa_tg_split 0
		.amdhsa_exception_fp_ieee_invalid_op 0
		.amdhsa_exception_fp_denorm_src 0
		.amdhsa_exception_fp_ieee_div_zero 0
		.amdhsa_exception_fp_ieee_overflow 0
		.amdhsa_exception_fp_ieee_underflow 0
		.amdhsa_exception_fp_ieee_inexact 0
		.amdhsa_exception_int_div_zero 0
	.end_amdhsa_kernel
	.section	.text._ZN7rocprim17ROCPRIM_400000_NS6detail17trampoline_kernelINS0_14default_configENS1_25partition_config_selectorILNS1_17partition_subalgoE1EjNS0_10empty_typeEbEEZZNS1_14partition_implILS5_1ELb0ES3_jN6thrust23THRUST_200600_302600_NS6detail15normal_iteratorINSA_10device_ptrIjEEEEPS6_NSA_18transform_iteratorI7is_evenIjESF_NSA_11use_defaultESK_EENS0_5tupleIJNSA_16discard_iteratorISK_EESO_EEENSM_IJSG_SG_EEES6_PlJS6_EEE10hipError_tPvRmT3_T4_T5_T6_T7_T9_mT8_P12ihipStream_tbDpT10_ENKUlT_T0_E_clISt17integral_constantIbLb1EES1A_IbLb0EEEEDaS16_S17_EUlS16_E_NS1_11comp_targetILNS1_3genE8ELNS1_11target_archE1030ELNS1_3gpuE2ELNS1_3repE0EEENS1_30default_config_static_selectorELNS0_4arch9wavefront6targetE1EEEvT1_,"axG",@progbits,_ZN7rocprim17ROCPRIM_400000_NS6detail17trampoline_kernelINS0_14default_configENS1_25partition_config_selectorILNS1_17partition_subalgoE1EjNS0_10empty_typeEbEEZZNS1_14partition_implILS5_1ELb0ES3_jN6thrust23THRUST_200600_302600_NS6detail15normal_iteratorINSA_10device_ptrIjEEEEPS6_NSA_18transform_iteratorI7is_evenIjESF_NSA_11use_defaultESK_EENS0_5tupleIJNSA_16discard_iteratorISK_EESO_EEENSM_IJSG_SG_EEES6_PlJS6_EEE10hipError_tPvRmT3_T4_T5_T6_T7_T9_mT8_P12ihipStream_tbDpT10_ENKUlT_T0_E_clISt17integral_constantIbLb1EES1A_IbLb0EEEEDaS16_S17_EUlS16_E_NS1_11comp_targetILNS1_3genE8ELNS1_11target_archE1030ELNS1_3gpuE2ELNS1_3repE0EEENS1_30default_config_static_selectorELNS0_4arch9wavefront6targetE1EEEvT1_,comdat
.Lfunc_end2994:
	.size	_ZN7rocprim17ROCPRIM_400000_NS6detail17trampoline_kernelINS0_14default_configENS1_25partition_config_selectorILNS1_17partition_subalgoE1EjNS0_10empty_typeEbEEZZNS1_14partition_implILS5_1ELb0ES3_jN6thrust23THRUST_200600_302600_NS6detail15normal_iteratorINSA_10device_ptrIjEEEEPS6_NSA_18transform_iteratorI7is_evenIjESF_NSA_11use_defaultESK_EENS0_5tupleIJNSA_16discard_iteratorISK_EESO_EEENSM_IJSG_SG_EEES6_PlJS6_EEE10hipError_tPvRmT3_T4_T5_T6_T7_T9_mT8_P12ihipStream_tbDpT10_ENKUlT_T0_E_clISt17integral_constantIbLb1EES1A_IbLb0EEEEDaS16_S17_EUlS16_E_NS1_11comp_targetILNS1_3genE8ELNS1_11target_archE1030ELNS1_3gpuE2ELNS1_3repE0EEENS1_30default_config_static_selectorELNS0_4arch9wavefront6targetE1EEEvT1_, .Lfunc_end2994-_ZN7rocprim17ROCPRIM_400000_NS6detail17trampoline_kernelINS0_14default_configENS1_25partition_config_selectorILNS1_17partition_subalgoE1EjNS0_10empty_typeEbEEZZNS1_14partition_implILS5_1ELb0ES3_jN6thrust23THRUST_200600_302600_NS6detail15normal_iteratorINSA_10device_ptrIjEEEEPS6_NSA_18transform_iteratorI7is_evenIjESF_NSA_11use_defaultESK_EENS0_5tupleIJNSA_16discard_iteratorISK_EESO_EEENSM_IJSG_SG_EEES6_PlJS6_EEE10hipError_tPvRmT3_T4_T5_T6_T7_T9_mT8_P12ihipStream_tbDpT10_ENKUlT_T0_E_clISt17integral_constantIbLb1EES1A_IbLb0EEEEDaS16_S17_EUlS16_E_NS1_11comp_targetILNS1_3genE8ELNS1_11target_archE1030ELNS1_3gpuE2ELNS1_3repE0EEENS1_30default_config_static_selectorELNS0_4arch9wavefront6targetE1EEEvT1_
                                        ; -- End function
	.section	.AMDGPU.csdata,"",@progbits
; Kernel info:
; codeLenInByte = 0
; NumSgprs: 4
; NumVgprs: 0
; NumAgprs: 0
; TotalNumVgprs: 0
; ScratchSize: 0
; MemoryBound: 0
; FloatMode: 240
; IeeeMode: 1
; LDSByteSize: 0 bytes/workgroup (compile time only)
; SGPRBlocks: 0
; VGPRBlocks: 0
; NumSGPRsForWavesPerEU: 4
; NumVGPRsForWavesPerEU: 1
; AccumOffset: 4
; Occupancy: 8
; WaveLimiterHint : 0
; COMPUTE_PGM_RSRC2:SCRATCH_EN: 0
; COMPUTE_PGM_RSRC2:USER_SGPR: 6
; COMPUTE_PGM_RSRC2:TRAP_HANDLER: 0
; COMPUTE_PGM_RSRC2:TGID_X_EN: 1
; COMPUTE_PGM_RSRC2:TGID_Y_EN: 0
; COMPUTE_PGM_RSRC2:TGID_Z_EN: 0
; COMPUTE_PGM_RSRC2:TIDIG_COMP_CNT: 0
; COMPUTE_PGM_RSRC3_GFX90A:ACCUM_OFFSET: 0
; COMPUTE_PGM_RSRC3_GFX90A:TG_SPLIT: 0
	.section	.text._ZN7rocprim17ROCPRIM_400000_NS6detail17trampoline_kernelINS0_14default_configENS1_25partition_config_selectorILNS1_17partition_subalgoE1EjNS0_10empty_typeEbEEZZNS1_14partition_implILS5_1ELb0ES3_jN6thrust23THRUST_200600_302600_NS6detail15normal_iteratorINSA_10device_ptrIjEEEEPS6_NSA_18transform_iteratorI7is_evenIjESF_NSA_11use_defaultESK_EENS0_5tupleIJNSA_16discard_iteratorISK_EESO_EEENSM_IJSG_SG_EEES6_PlJS6_EEE10hipError_tPvRmT3_T4_T5_T6_T7_T9_mT8_P12ihipStream_tbDpT10_ENKUlT_T0_E_clISt17integral_constantIbLb0EES1A_IbLb1EEEEDaS16_S17_EUlS16_E_NS1_11comp_targetILNS1_3genE0ELNS1_11target_archE4294967295ELNS1_3gpuE0ELNS1_3repE0EEENS1_30default_config_static_selectorELNS0_4arch9wavefront6targetE1EEEvT1_,"axG",@progbits,_ZN7rocprim17ROCPRIM_400000_NS6detail17trampoline_kernelINS0_14default_configENS1_25partition_config_selectorILNS1_17partition_subalgoE1EjNS0_10empty_typeEbEEZZNS1_14partition_implILS5_1ELb0ES3_jN6thrust23THRUST_200600_302600_NS6detail15normal_iteratorINSA_10device_ptrIjEEEEPS6_NSA_18transform_iteratorI7is_evenIjESF_NSA_11use_defaultESK_EENS0_5tupleIJNSA_16discard_iteratorISK_EESO_EEENSM_IJSG_SG_EEES6_PlJS6_EEE10hipError_tPvRmT3_T4_T5_T6_T7_T9_mT8_P12ihipStream_tbDpT10_ENKUlT_T0_E_clISt17integral_constantIbLb0EES1A_IbLb1EEEEDaS16_S17_EUlS16_E_NS1_11comp_targetILNS1_3genE0ELNS1_11target_archE4294967295ELNS1_3gpuE0ELNS1_3repE0EEENS1_30default_config_static_selectorELNS0_4arch9wavefront6targetE1EEEvT1_,comdat
	.protected	_ZN7rocprim17ROCPRIM_400000_NS6detail17trampoline_kernelINS0_14default_configENS1_25partition_config_selectorILNS1_17partition_subalgoE1EjNS0_10empty_typeEbEEZZNS1_14partition_implILS5_1ELb0ES3_jN6thrust23THRUST_200600_302600_NS6detail15normal_iteratorINSA_10device_ptrIjEEEEPS6_NSA_18transform_iteratorI7is_evenIjESF_NSA_11use_defaultESK_EENS0_5tupleIJNSA_16discard_iteratorISK_EESO_EEENSM_IJSG_SG_EEES6_PlJS6_EEE10hipError_tPvRmT3_T4_T5_T6_T7_T9_mT8_P12ihipStream_tbDpT10_ENKUlT_T0_E_clISt17integral_constantIbLb0EES1A_IbLb1EEEEDaS16_S17_EUlS16_E_NS1_11comp_targetILNS1_3genE0ELNS1_11target_archE4294967295ELNS1_3gpuE0ELNS1_3repE0EEENS1_30default_config_static_selectorELNS0_4arch9wavefront6targetE1EEEvT1_ ; -- Begin function _ZN7rocprim17ROCPRIM_400000_NS6detail17trampoline_kernelINS0_14default_configENS1_25partition_config_selectorILNS1_17partition_subalgoE1EjNS0_10empty_typeEbEEZZNS1_14partition_implILS5_1ELb0ES3_jN6thrust23THRUST_200600_302600_NS6detail15normal_iteratorINSA_10device_ptrIjEEEEPS6_NSA_18transform_iteratorI7is_evenIjESF_NSA_11use_defaultESK_EENS0_5tupleIJNSA_16discard_iteratorISK_EESO_EEENSM_IJSG_SG_EEES6_PlJS6_EEE10hipError_tPvRmT3_T4_T5_T6_T7_T9_mT8_P12ihipStream_tbDpT10_ENKUlT_T0_E_clISt17integral_constantIbLb0EES1A_IbLb1EEEEDaS16_S17_EUlS16_E_NS1_11comp_targetILNS1_3genE0ELNS1_11target_archE4294967295ELNS1_3gpuE0ELNS1_3repE0EEENS1_30default_config_static_selectorELNS0_4arch9wavefront6targetE1EEEvT1_
	.globl	_ZN7rocprim17ROCPRIM_400000_NS6detail17trampoline_kernelINS0_14default_configENS1_25partition_config_selectorILNS1_17partition_subalgoE1EjNS0_10empty_typeEbEEZZNS1_14partition_implILS5_1ELb0ES3_jN6thrust23THRUST_200600_302600_NS6detail15normal_iteratorINSA_10device_ptrIjEEEEPS6_NSA_18transform_iteratorI7is_evenIjESF_NSA_11use_defaultESK_EENS0_5tupleIJNSA_16discard_iteratorISK_EESO_EEENSM_IJSG_SG_EEES6_PlJS6_EEE10hipError_tPvRmT3_T4_T5_T6_T7_T9_mT8_P12ihipStream_tbDpT10_ENKUlT_T0_E_clISt17integral_constantIbLb0EES1A_IbLb1EEEEDaS16_S17_EUlS16_E_NS1_11comp_targetILNS1_3genE0ELNS1_11target_archE4294967295ELNS1_3gpuE0ELNS1_3repE0EEENS1_30default_config_static_selectorELNS0_4arch9wavefront6targetE1EEEvT1_
	.p2align	8
	.type	_ZN7rocprim17ROCPRIM_400000_NS6detail17trampoline_kernelINS0_14default_configENS1_25partition_config_selectorILNS1_17partition_subalgoE1EjNS0_10empty_typeEbEEZZNS1_14partition_implILS5_1ELb0ES3_jN6thrust23THRUST_200600_302600_NS6detail15normal_iteratorINSA_10device_ptrIjEEEEPS6_NSA_18transform_iteratorI7is_evenIjESF_NSA_11use_defaultESK_EENS0_5tupleIJNSA_16discard_iteratorISK_EESO_EEENSM_IJSG_SG_EEES6_PlJS6_EEE10hipError_tPvRmT3_T4_T5_T6_T7_T9_mT8_P12ihipStream_tbDpT10_ENKUlT_T0_E_clISt17integral_constantIbLb0EES1A_IbLb1EEEEDaS16_S17_EUlS16_E_NS1_11comp_targetILNS1_3genE0ELNS1_11target_archE4294967295ELNS1_3gpuE0ELNS1_3repE0EEENS1_30default_config_static_selectorELNS0_4arch9wavefront6targetE1EEEvT1_,@function
_ZN7rocprim17ROCPRIM_400000_NS6detail17trampoline_kernelINS0_14default_configENS1_25partition_config_selectorILNS1_17partition_subalgoE1EjNS0_10empty_typeEbEEZZNS1_14partition_implILS5_1ELb0ES3_jN6thrust23THRUST_200600_302600_NS6detail15normal_iteratorINSA_10device_ptrIjEEEEPS6_NSA_18transform_iteratorI7is_evenIjESF_NSA_11use_defaultESK_EENS0_5tupleIJNSA_16discard_iteratorISK_EESO_EEENSM_IJSG_SG_EEES6_PlJS6_EEE10hipError_tPvRmT3_T4_T5_T6_T7_T9_mT8_P12ihipStream_tbDpT10_ENKUlT_T0_E_clISt17integral_constantIbLb0EES1A_IbLb1EEEEDaS16_S17_EUlS16_E_NS1_11comp_targetILNS1_3genE0ELNS1_11target_archE4294967295ELNS1_3gpuE0ELNS1_3repE0EEENS1_30default_config_static_selectorELNS0_4arch9wavefront6targetE1EEEvT1_: ; @_ZN7rocprim17ROCPRIM_400000_NS6detail17trampoline_kernelINS0_14default_configENS1_25partition_config_selectorILNS1_17partition_subalgoE1EjNS0_10empty_typeEbEEZZNS1_14partition_implILS5_1ELb0ES3_jN6thrust23THRUST_200600_302600_NS6detail15normal_iteratorINSA_10device_ptrIjEEEEPS6_NSA_18transform_iteratorI7is_evenIjESF_NSA_11use_defaultESK_EENS0_5tupleIJNSA_16discard_iteratorISK_EESO_EEENSM_IJSG_SG_EEES6_PlJS6_EEE10hipError_tPvRmT3_T4_T5_T6_T7_T9_mT8_P12ihipStream_tbDpT10_ENKUlT_T0_E_clISt17integral_constantIbLb0EES1A_IbLb1EEEEDaS16_S17_EUlS16_E_NS1_11comp_targetILNS1_3genE0ELNS1_11target_archE4294967295ELNS1_3gpuE0ELNS1_3repE0EEENS1_30default_config_static_selectorELNS0_4arch9wavefront6targetE1EEEvT1_
; %bb.0:
	.section	.rodata,"a",@progbits
	.p2align	6, 0x0
	.amdhsa_kernel _ZN7rocprim17ROCPRIM_400000_NS6detail17trampoline_kernelINS0_14default_configENS1_25partition_config_selectorILNS1_17partition_subalgoE1EjNS0_10empty_typeEbEEZZNS1_14partition_implILS5_1ELb0ES3_jN6thrust23THRUST_200600_302600_NS6detail15normal_iteratorINSA_10device_ptrIjEEEEPS6_NSA_18transform_iteratorI7is_evenIjESF_NSA_11use_defaultESK_EENS0_5tupleIJNSA_16discard_iteratorISK_EESO_EEENSM_IJSG_SG_EEES6_PlJS6_EEE10hipError_tPvRmT3_T4_T5_T6_T7_T9_mT8_P12ihipStream_tbDpT10_ENKUlT_T0_E_clISt17integral_constantIbLb0EES1A_IbLb1EEEEDaS16_S17_EUlS16_E_NS1_11comp_targetILNS1_3genE0ELNS1_11target_archE4294967295ELNS1_3gpuE0ELNS1_3repE0EEENS1_30default_config_static_selectorELNS0_4arch9wavefront6targetE1EEEvT1_
		.amdhsa_group_segment_fixed_size 0
		.amdhsa_private_segment_fixed_size 0
		.amdhsa_kernarg_size 160
		.amdhsa_user_sgpr_count 6
		.amdhsa_user_sgpr_private_segment_buffer 1
		.amdhsa_user_sgpr_dispatch_ptr 0
		.amdhsa_user_sgpr_queue_ptr 0
		.amdhsa_user_sgpr_kernarg_segment_ptr 1
		.amdhsa_user_sgpr_dispatch_id 0
		.amdhsa_user_sgpr_flat_scratch_init 0
		.amdhsa_user_sgpr_kernarg_preload_length 0
		.amdhsa_user_sgpr_kernarg_preload_offset 0
		.amdhsa_user_sgpr_private_segment_size 0
		.amdhsa_uses_dynamic_stack 0
		.amdhsa_system_sgpr_private_segment_wavefront_offset 0
		.amdhsa_system_sgpr_workgroup_id_x 1
		.amdhsa_system_sgpr_workgroup_id_y 0
		.amdhsa_system_sgpr_workgroup_id_z 0
		.amdhsa_system_sgpr_workgroup_info 0
		.amdhsa_system_vgpr_workitem_id 0
		.amdhsa_next_free_vgpr 1
		.amdhsa_next_free_sgpr 0
		.amdhsa_accum_offset 4
		.amdhsa_reserve_vcc 0
		.amdhsa_reserve_flat_scratch 0
		.amdhsa_float_round_mode_32 0
		.amdhsa_float_round_mode_16_64 0
		.amdhsa_float_denorm_mode_32 3
		.amdhsa_float_denorm_mode_16_64 3
		.amdhsa_dx10_clamp 1
		.amdhsa_ieee_mode 1
		.amdhsa_fp16_overflow 0
		.amdhsa_tg_split 0
		.amdhsa_exception_fp_ieee_invalid_op 0
		.amdhsa_exception_fp_denorm_src 0
		.amdhsa_exception_fp_ieee_div_zero 0
		.amdhsa_exception_fp_ieee_overflow 0
		.amdhsa_exception_fp_ieee_underflow 0
		.amdhsa_exception_fp_ieee_inexact 0
		.amdhsa_exception_int_div_zero 0
	.end_amdhsa_kernel
	.section	.text._ZN7rocprim17ROCPRIM_400000_NS6detail17trampoline_kernelINS0_14default_configENS1_25partition_config_selectorILNS1_17partition_subalgoE1EjNS0_10empty_typeEbEEZZNS1_14partition_implILS5_1ELb0ES3_jN6thrust23THRUST_200600_302600_NS6detail15normal_iteratorINSA_10device_ptrIjEEEEPS6_NSA_18transform_iteratorI7is_evenIjESF_NSA_11use_defaultESK_EENS0_5tupleIJNSA_16discard_iteratorISK_EESO_EEENSM_IJSG_SG_EEES6_PlJS6_EEE10hipError_tPvRmT3_T4_T5_T6_T7_T9_mT8_P12ihipStream_tbDpT10_ENKUlT_T0_E_clISt17integral_constantIbLb0EES1A_IbLb1EEEEDaS16_S17_EUlS16_E_NS1_11comp_targetILNS1_3genE0ELNS1_11target_archE4294967295ELNS1_3gpuE0ELNS1_3repE0EEENS1_30default_config_static_selectorELNS0_4arch9wavefront6targetE1EEEvT1_,"axG",@progbits,_ZN7rocprim17ROCPRIM_400000_NS6detail17trampoline_kernelINS0_14default_configENS1_25partition_config_selectorILNS1_17partition_subalgoE1EjNS0_10empty_typeEbEEZZNS1_14partition_implILS5_1ELb0ES3_jN6thrust23THRUST_200600_302600_NS6detail15normal_iteratorINSA_10device_ptrIjEEEEPS6_NSA_18transform_iteratorI7is_evenIjESF_NSA_11use_defaultESK_EENS0_5tupleIJNSA_16discard_iteratorISK_EESO_EEENSM_IJSG_SG_EEES6_PlJS6_EEE10hipError_tPvRmT3_T4_T5_T6_T7_T9_mT8_P12ihipStream_tbDpT10_ENKUlT_T0_E_clISt17integral_constantIbLb0EES1A_IbLb1EEEEDaS16_S17_EUlS16_E_NS1_11comp_targetILNS1_3genE0ELNS1_11target_archE4294967295ELNS1_3gpuE0ELNS1_3repE0EEENS1_30default_config_static_selectorELNS0_4arch9wavefront6targetE1EEEvT1_,comdat
.Lfunc_end2995:
	.size	_ZN7rocprim17ROCPRIM_400000_NS6detail17trampoline_kernelINS0_14default_configENS1_25partition_config_selectorILNS1_17partition_subalgoE1EjNS0_10empty_typeEbEEZZNS1_14partition_implILS5_1ELb0ES3_jN6thrust23THRUST_200600_302600_NS6detail15normal_iteratorINSA_10device_ptrIjEEEEPS6_NSA_18transform_iteratorI7is_evenIjESF_NSA_11use_defaultESK_EENS0_5tupleIJNSA_16discard_iteratorISK_EESO_EEENSM_IJSG_SG_EEES6_PlJS6_EEE10hipError_tPvRmT3_T4_T5_T6_T7_T9_mT8_P12ihipStream_tbDpT10_ENKUlT_T0_E_clISt17integral_constantIbLb0EES1A_IbLb1EEEEDaS16_S17_EUlS16_E_NS1_11comp_targetILNS1_3genE0ELNS1_11target_archE4294967295ELNS1_3gpuE0ELNS1_3repE0EEENS1_30default_config_static_selectorELNS0_4arch9wavefront6targetE1EEEvT1_, .Lfunc_end2995-_ZN7rocprim17ROCPRIM_400000_NS6detail17trampoline_kernelINS0_14default_configENS1_25partition_config_selectorILNS1_17partition_subalgoE1EjNS0_10empty_typeEbEEZZNS1_14partition_implILS5_1ELb0ES3_jN6thrust23THRUST_200600_302600_NS6detail15normal_iteratorINSA_10device_ptrIjEEEEPS6_NSA_18transform_iteratorI7is_evenIjESF_NSA_11use_defaultESK_EENS0_5tupleIJNSA_16discard_iteratorISK_EESO_EEENSM_IJSG_SG_EEES6_PlJS6_EEE10hipError_tPvRmT3_T4_T5_T6_T7_T9_mT8_P12ihipStream_tbDpT10_ENKUlT_T0_E_clISt17integral_constantIbLb0EES1A_IbLb1EEEEDaS16_S17_EUlS16_E_NS1_11comp_targetILNS1_3genE0ELNS1_11target_archE4294967295ELNS1_3gpuE0ELNS1_3repE0EEENS1_30default_config_static_selectorELNS0_4arch9wavefront6targetE1EEEvT1_
                                        ; -- End function
	.section	.AMDGPU.csdata,"",@progbits
; Kernel info:
; codeLenInByte = 0
; NumSgprs: 4
; NumVgprs: 0
; NumAgprs: 0
; TotalNumVgprs: 0
; ScratchSize: 0
; MemoryBound: 0
; FloatMode: 240
; IeeeMode: 1
; LDSByteSize: 0 bytes/workgroup (compile time only)
; SGPRBlocks: 0
; VGPRBlocks: 0
; NumSGPRsForWavesPerEU: 4
; NumVGPRsForWavesPerEU: 1
; AccumOffset: 4
; Occupancy: 8
; WaveLimiterHint : 0
; COMPUTE_PGM_RSRC2:SCRATCH_EN: 0
; COMPUTE_PGM_RSRC2:USER_SGPR: 6
; COMPUTE_PGM_RSRC2:TRAP_HANDLER: 0
; COMPUTE_PGM_RSRC2:TGID_X_EN: 1
; COMPUTE_PGM_RSRC2:TGID_Y_EN: 0
; COMPUTE_PGM_RSRC2:TGID_Z_EN: 0
; COMPUTE_PGM_RSRC2:TIDIG_COMP_CNT: 0
; COMPUTE_PGM_RSRC3_GFX90A:ACCUM_OFFSET: 0
; COMPUTE_PGM_RSRC3_GFX90A:TG_SPLIT: 0
	.section	.text._ZN7rocprim17ROCPRIM_400000_NS6detail17trampoline_kernelINS0_14default_configENS1_25partition_config_selectorILNS1_17partition_subalgoE1EjNS0_10empty_typeEbEEZZNS1_14partition_implILS5_1ELb0ES3_jN6thrust23THRUST_200600_302600_NS6detail15normal_iteratorINSA_10device_ptrIjEEEEPS6_NSA_18transform_iteratorI7is_evenIjESF_NSA_11use_defaultESK_EENS0_5tupleIJNSA_16discard_iteratorISK_EESO_EEENSM_IJSG_SG_EEES6_PlJS6_EEE10hipError_tPvRmT3_T4_T5_T6_T7_T9_mT8_P12ihipStream_tbDpT10_ENKUlT_T0_E_clISt17integral_constantIbLb0EES1A_IbLb1EEEEDaS16_S17_EUlS16_E_NS1_11comp_targetILNS1_3genE5ELNS1_11target_archE942ELNS1_3gpuE9ELNS1_3repE0EEENS1_30default_config_static_selectorELNS0_4arch9wavefront6targetE1EEEvT1_,"axG",@progbits,_ZN7rocprim17ROCPRIM_400000_NS6detail17trampoline_kernelINS0_14default_configENS1_25partition_config_selectorILNS1_17partition_subalgoE1EjNS0_10empty_typeEbEEZZNS1_14partition_implILS5_1ELb0ES3_jN6thrust23THRUST_200600_302600_NS6detail15normal_iteratorINSA_10device_ptrIjEEEEPS6_NSA_18transform_iteratorI7is_evenIjESF_NSA_11use_defaultESK_EENS0_5tupleIJNSA_16discard_iteratorISK_EESO_EEENSM_IJSG_SG_EEES6_PlJS6_EEE10hipError_tPvRmT3_T4_T5_T6_T7_T9_mT8_P12ihipStream_tbDpT10_ENKUlT_T0_E_clISt17integral_constantIbLb0EES1A_IbLb1EEEEDaS16_S17_EUlS16_E_NS1_11comp_targetILNS1_3genE5ELNS1_11target_archE942ELNS1_3gpuE9ELNS1_3repE0EEENS1_30default_config_static_selectorELNS0_4arch9wavefront6targetE1EEEvT1_,comdat
	.protected	_ZN7rocprim17ROCPRIM_400000_NS6detail17trampoline_kernelINS0_14default_configENS1_25partition_config_selectorILNS1_17partition_subalgoE1EjNS0_10empty_typeEbEEZZNS1_14partition_implILS5_1ELb0ES3_jN6thrust23THRUST_200600_302600_NS6detail15normal_iteratorINSA_10device_ptrIjEEEEPS6_NSA_18transform_iteratorI7is_evenIjESF_NSA_11use_defaultESK_EENS0_5tupleIJNSA_16discard_iteratorISK_EESO_EEENSM_IJSG_SG_EEES6_PlJS6_EEE10hipError_tPvRmT3_T4_T5_T6_T7_T9_mT8_P12ihipStream_tbDpT10_ENKUlT_T0_E_clISt17integral_constantIbLb0EES1A_IbLb1EEEEDaS16_S17_EUlS16_E_NS1_11comp_targetILNS1_3genE5ELNS1_11target_archE942ELNS1_3gpuE9ELNS1_3repE0EEENS1_30default_config_static_selectorELNS0_4arch9wavefront6targetE1EEEvT1_ ; -- Begin function _ZN7rocprim17ROCPRIM_400000_NS6detail17trampoline_kernelINS0_14default_configENS1_25partition_config_selectorILNS1_17partition_subalgoE1EjNS0_10empty_typeEbEEZZNS1_14partition_implILS5_1ELb0ES3_jN6thrust23THRUST_200600_302600_NS6detail15normal_iteratorINSA_10device_ptrIjEEEEPS6_NSA_18transform_iteratorI7is_evenIjESF_NSA_11use_defaultESK_EENS0_5tupleIJNSA_16discard_iteratorISK_EESO_EEENSM_IJSG_SG_EEES6_PlJS6_EEE10hipError_tPvRmT3_T4_T5_T6_T7_T9_mT8_P12ihipStream_tbDpT10_ENKUlT_T0_E_clISt17integral_constantIbLb0EES1A_IbLb1EEEEDaS16_S17_EUlS16_E_NS1_11comp_targetILNS1_3genE5ELNS1_11target_archE942ELNS1_3gpuE9ELNS1_3repE0EEENS1_30default_config_static_selectorELNS0_4arch9wavefront6targetE1EEEvT1_
	.globl	_ZN7rocprim17ROCPRIM_400000_NS6detail17trampoline_kernelINS0_14default_configENS1_25partition_config_selectorILNS1_17partition_subalgoE1EjNS0_10empty_typeEbEEZZNS1_14partition_implILS5_1ELb0ES3_jN6thrust23THRUST_200600_302600_NS6detail15normal_iteratorINSA_10device_ptrIjEEEEPS6_NSA_18transform_iteratorI7is_evenIjESF_NSA_11use_defaultESK_EENS0_5tupleIJNSA_16discard_iteratorISK_EESO_EEENSM_IJSG_SG_EEES6_PlJS6_EEE10hipError_tPvRmT3_T4_T5_T6_T7_T9_mT8_P12ihipStream_tbDpT10_ENKUlT_T0_E_clISt17integral_constantIbLb0EES1A_IbLb1EEEEDaS16_S17_EUlS16_E_NS1_11comp_targetILNS1_3genE5ELNS1_11target_archE942ELNS1_3gpuE9ELNS1_3repE0EEENS1_30default_config_static_selectorELNS0_4arch9wavefront6targetE1EEEvT1_
	.p2align	8
	.type	_ZN7rocprim17ROCPRIM_400000_NS6detail17trampoline_kernelINS0_14default_configENS1_25partition_config_selectorILNS1_17partition_subalgoE1EjNS0_10empty_typeEbEEZZNS1_14partition_implILS5_1ELb0ES3_jN6thrust23THRUST_200600_302600_NS6detail15normal_iteratorINSA_10device_ptrIjEEEEPS6_NSA_18transform_iteratorI7is_evenIjESF_NSA_11use_defaultESK_EENS0_5tupleIJNSA_16discard_iteratorISK_EESO_EEENSM_IJSG_SG_EEES6_PlJS6_EEE10hipError_tPvRmT3_T4_T5_T6_T7_T9_mT8_P12ihipStream_tbDpT10_ENKUlT_T0_E_clISt17integral_constantIbLb0EES1A_IbLb1EEEEDaS16_S17_EUlS16_E_NS1_11comp_targetILNS1_3genE5ELNS1_11target_archE942ELNS1_3gpuE9ELNS1_3repE0EEENS1_30default_config_static_selectorELNS0_4arch9wavefront6targetE1EEEvT1_,@function
_ZN7rocprim17ROCPRIM_400000_NS6detail17trampoline_kernelINS0_14default_configENS1_25partition_config_selectorILNS1_17partition_subalgoE1EjNS0_10empty_typeEbEEZZNS1_14partition_implILS5_1ELb0ES3_jN6thrust23THRUST_200600_302600_NS6detail15normal_iteratorINSA_10device_ptrIjEEEEPS6_NSA_18transform_iteratorI7is_evenIjESF_NSA_11use_defaultESK_EENS0_5tupleIJNSA_16discard_iteratorISK_EESO_EEENSM_IJSG_SG_EEES6_PlJS6_EEE10hipError_tPvRmT3_T4_T5_T6_T7_T9_mT8_P12ihipStream_tbDpT10_ENKUlT_T0_E_clISt17integral_constantIbLb0EES1A_IbLb1EEEEDaS16_S17_EUlS16_E_NS1_11comp_targetILNS1_3genE5ELNS1_11target_archE942ELNS1_3gpuE9ELNS1_3repE0EEENS1_30default_config_static_selectorELNS0_4arch9wavefront6targetE1EEEvT1_: ; @_ZN7rocprim17ROCPRIM_400000_NS6detail17trampoline_kernelINS0_14default_configENS1_25partition_config_selectorILNS1_17partition_subalgoE1EjNS0_10empty_typeEbEEZZNS1_14partition_implILS5_1ELb0ES3_jN6thrust23THRUST_200600_302600_NS6detail15normal_iteratorINSA_10device_ptrIjEEEEPS6_NSA_18transform_iteratorI7is_evenIjESF_NSA_11use_defaultESK_EENS0_5tupleIJNSA_16discard_iteratorISK_EESO_EEENSM_IJSG_SG_EEES6_PlJS6_EEE10hipError_tPvRmT3_T4_T5_T6_T7_T9_mT8_P12ihipStream_tbDpT10_ENKUlT_T0_E_clISt17integral_constantIbLb0EES1A_IbLb1EEEEDaS16_S17_EUlS16_E_NS1_11comp_targetILNS1_3genE5ELNS1_11target_archE942ELNS1_3gpuE9ELNS1_3repE0EEENS1_30default_config_static_selectorELNS0_4arch9wavefront6targetE1EEEvT1_
; %bb.0:
	.section	.rodata,"a",@progbits
	.p2align	6, 0x0
	.amdhsa_kernel _ZN7rocprim17ROCPRIM_400000_NS6detail17trampoline_kernelINS0_14default_configENS1_25partition_config_selectorILNS1_17partition_subalgoE1EjNS0_10empty_typeEbEEZZNS1_14partition_implILS5_1ELb0ES3_jN6thrust23THRUST_200600_302600_NS6detail15normal_iteratorINSA_10device_ptrIjEEEEPS6_NSA_18transform_iteratorI7is_evenIjESF_NSA_11use_defaultESK_EENS0_5tupleIJNSA_16discard_iteratorISK_EESO_EEENSM_IJSG_SG_EEES6_PlJS6_EEE10hipError_tPvRmT3_T4_T5_T6_T7_T9_mT8_P12ihipStream_tbDpT10_ENKUlT_T0_E_clISt17integral_constantIbLb0EES1A_IbLb1EEEEDaS16_S17_EUlS16_E_NS1_11comp_targetILNS1_3genE5ELNS1_11target_archE942ELNS1_3gpuE9ELNS1_3repE0EEENS1_30default_config_static_selectorELNS0_4arch9wavefront6targetE1EEEvT1_
		.amdhsa_group_segment_fixed_size 0
		.amdhsa_private_segment_fixed_size 0
		.amdhsa_kernarg_size 160
		.amdhsa_user_sgpr_count 6
		.amdhsa_user_sgpr_private_segment_buffer 1
		.amdhsa_user_sgpr_dispatch_ptr 0
		.amdhsa_user_sgpr_queue_ptr 0
		.amdhsa_user_sgpr_kernarg_segment_ptr 1
		.amdhsa_user_sgpr_dispatch_id 0
		.amdhsa_user_sgpr_flat_scratch_init 0
		.amdhsa_user_sgpr_kernarg_preload_length 0
		.amdhsa_user_sgpr_kernarg_preload_offset 0
		.amdhsa_user_sgpr_private_segment_size 0
		.amdhsa_uses_dynamic_stack 0
		.amdhsa_system_sgpr_private_segment_wavefront_offset 0
		.amdhsa_system_sgpr_workgroup_id_x 1
		.amdhsa_system_sgpr_workgroup_id_y 0
		.amdhsa_system_sgpr_workgroup_id_z 0
		.amdhsa_system_sgpr_workgroup_info 0
		.amdhsa_system_vgpr_workitem_id 0
		.amdhsa_next_free_vgpr 1
		.amdhsa_next_free_sgpr 0
		.amdhsa_accum_offset 4
		.amdhsa_reserve_vcc 0
		.amdhsa_reserve_flat_scratch 0
		.amdhsa_float_round_mode_32 0
		.amdhsa_float_round_mode_16_64 0
		.amdhsa_float_denorm_mode_32 3
		.amdhsa_float_denorm_mode_16_64 3
		.amdhsa_dx10_clamp 1
		.amdhsa_ieee_mode 1
		.amdhsa_fp16_overflow 0
		.amdhsa_tg_split 0
		.amdhsa_exception_fp_ieee_invalid_op 0
		.amdhsa_exception_fp_denorm_src 0
		.amdhsa_exception_fp_ieee_div_zero 0
		.amdhsa_exception_fp_ieee_overflow 0
		.amdhsa_exception_fp_ieee_underflow 0
		.amdhsa_exception_fp_ieee_inexact 0
		.amdhsa_exception_int_div_zero 0
	.end_amdhsa_kernel
	.section	.text._ZN7rocprim17ROCPRIM_400000_NS6detail17trampoline_kernelINS0_14default_configENS1_25partition_config_selectorILNS1_17partition_subalgoE1EjNS0_10empty_typeEbEEZZNS1_14partition_implILS5_1ELb0ES3_jN6thrust23THRUST_200600_302600_NS6detail15normal_iteratorINSA_10device_ptrIjEEEEPS6_NSA_18transform_iteratorI7is_evenIjESF_NSA_11use_defaultESK_EENS0_5tupleIJNSA_16discard_iteratorISK_EESO_EEENSM_IJSG_SG_EEES6_PlJS6_EEE10hipError_tPvRmT3_T4_T5_T6_T7_T9_mT8_P12ihipStream_tbDpT10_ENKUlT_T0_E_clISt17integral_constantIbLb0EES1A_IbLb1EEEEDaS16_S17_EUlS16_E_NS1_11comp_targetILNS1_3genE5ELNS1_11target_archE942ELNS1_3gpuE9ELNS1_3repE0EEENS1_30default_config_static_selectorELNS0_4arch9wavefront6targetE1EEEvT1_,"axG",@progbits,_ZN7rocprim17ROCPRIM_400000_NS6detail17trampoline_kernelINS0_14default_configENS1_25partition_config_selectorILNS1_17partition_subalgoE1EjNS0_10empty_typeEbEEZZNS1_14partition_implILS5_1ELb0ES3_jN6thrust23THRUST_200600_302600_NS6detail15normal_iteratorINSA_10device_ptrIjEEEEPS6_NSA_18transform_iteratorI7is_evenIjESF_NSA_11use_defaultESK_EENS0_5tupleIJNSA_16discard_iteratorISK_EESO_EEENSM_IJSG_SG_EEES6_PlJS6_EEE10hipError_tPvRmT3_T4_T5_T6_T7_T9_mT8_P12ihipStream_tbDpT10_ENKUlT_T0_E_clISt17integral_constantIbLb0EES1A_IbLb1EEEEDaS16_S17_EUlS16_E_NS1_11comp_targetILNS1_3genE5ELNS1_11target_archE942ELNS1_3gpuE9ELNS1_3repE0EEENS1_30default_config_static_selectorELNS0_4arch9wavefront6targetE1EEEvT1_,comdat
.Lfunc_end2996:
	.size	_ZN7rocprim17ROCPRIM_400000_NS6detail17trampoline_kernelINS0_14default_configENS1_25partition_config_selectorILNS1_17partition_subalgoE1EjNS0_10empty_typeEbEEZZNS1_14partition_implILS5_1ELb0ES3_jN6thrust23THRUST_200600_302600_NS6detail15normal_iteratorINSA_10device_ptrIjEEEEPS6_NSA_18transform_iteratorI7is_evenIjESF_NSA_11use_defaultESK_EENS0_5tupleIJNSA_16discard_iteratorISK_EESO_EEENSM_IJSG_SG_EEES6_PlJS6_EEE10hipError_tPvRmT3_T4_T5_T6_T7_T9_mT8_P12ihipStream_tbDpT10_ENKUlT_T0_E_clISt17integral_constantIbLb0EES1A_IbLb1EEEEDaS16_S17_EUlS16_E_NS1_11comp_targetILNS1_3genE5ELNS1_11target_archE942ELNS1_3gpuE9ELNS1_3repE0EEENS1_30default_config_static_selectorELNS0_4arch9wavefront6targetE1EEEvT1_, .Lfunc_end2996-_ZN7rocprim17ROCPRIM_400000_NS6detail17trampoline_kernelINS0_14default_configENS1_25partition_config_selectorILNS1_17partition_subalgoE1EjNS0_10empty_typeEbEEZZNS1_14partition_implILS5_1ELb0ES3_jN6thrust23THRUST_200600_302600_NS6detail15normal_iteratorINSA_10device_ptrIjEEEEPS6_NSA_18transform_iteratorI7is_evenIjESF_NSA_11use_defaultESK_EENS0_5tupleIJNSA_16discard_iteratorISK_EESO_EEENSM_IJSG_SG_EEES6_PlJS6_EEE10hipError_tPvRmT3_T4_T5_T6_T7_T9_mT8_P12ihipStream_tbDpT10_ENKUlT_T0_E_clISt17integral_constantIbLb0EES1A_IbLb1EEEEDaS16_S17_EUlS16_E_NS1_11comp_targetILNS1_3genE5ELNS1_11target_archE942ELNS1_3gpuE9ELNS1_3repE0EEENS1_30default_config_static_selectorELNS0_4arch9wavefront6targetE1EEEvT1_
                                        ; -- End function
	.section	.AMDGPU.csdata,"",@progbits
; Kernel info:
; codeLenInByte = 0
; NumSgprs: 4
; NumVgprs: 0
; NumAgprs: 0
; TotalNumVgprs: 0
; ScratchSize: 0
; MemoryBound: 0
; FloatMode: 240
; IeeeMode: 1
; LDSByteSize: 0 bytes/workgroup (compile time only)
; SGPRBlocks: 0
; VGPRBlocks: 0
; NumSGPRsForWavesPerEU: 4
; NumVGPRsForWavesPerEU: 1
; AccumOffset: 4
; Occupancy: 8
; WaveLimiterHint : 0
; COMPUTE_PGM_RSRC2:SCRATCH_EN: 0
; COMPUTE_PGM_RSRC2:USER_SGPR: 6
; COMPUTE_PGM_RSRC2:TRAP_HANDLER: 0
; COMPUTE_PGM_RSRC2:TGID_X_EN: 1
; COMPUTE_PGM_RSRC2:TGID_Y_EN: 0
; COMPUTE_PGM_RSRC2:TGID_Z_EN: 0
; COMPUTE_PGM_RSRC2:TIDIG_COMP_CNT: 0
; COMPUTE_PGM_RSRC3_GFX90A:ACCUM_OFFSET: 0
; COMPUTE_PGM_RSRC3_GFX90A:TG_SPLIT: 0
	.section	.text._ZN7rocprim17ROCPRIM_400000_NS6detail17trampoline_kernelINS0_14default_configENS1_25partition_config_selectorILNS1_17partition_subalgoE1EjNS0_10empty_typeEbEEZZNS1_14partition_implILS5_1ELb0ES3_jN6thrust23THRUST_200600_302600_NS6detail15normal_iteratorINSA_10device_ptrIjEEEEPS6_NSA_18transform_iteratorI7is_evenIjESF_NSA_11use_defaultESK_EENS0_5tupleIJNSA_16discard_iteratorISK_EESO_EEENSM_IJSG_SG_EEES6_PlJS6_EEE10hipError_tPvRmT3_T4_T5_T6_T7_T9_mT8_P12ihipStream_tbDpT10_ENKUlT_T0_E_clISt17integral_constantIbLb0EES1A_IbLb1EEEEDaS16_S17_EUlS16_E_NS1_11comp_targetILNS1_3genE4ELNS1_11target_archE910ELNS1_3gpuE8ELNS1_3repE0EEENS1_30default_config_static_selectorELNS0_4arch9wavefront6targetE1EEEvT1_,"axG",@progbits,_ZN7rocprim17ROCPRIM_400000_NS6detail17trampoline_kernelINS0_14default_configENS1_25partition_config_selectorILNS1_17partition_subalgoE1EjNS0_10empty_typeEbEEZZNS1_14partition_implILS5_1ELb0ES3_jN6thrust23THRUST_200600_302600_NS6detail15normal_iteratorINSA_10device_ptrIjEEEEPS6_NSA_18transform_iteratorI7is_evenIjESF_NSA_11use_defaultESK_EENS0_5tupleIJNSA_16discard_iteratorISK_EESO_EEENSM_IJSG_SG_EEES6_PlJS6_EEE10hipError_tPvRmT3_T4_T5_T6_T7_T9_mT8_P12ihipStream_tbDpT10_ENKUlT_T0_E_clISt17integral_constantIbLb0EES1A_IbLb1EEEEDaS16_S17_EUlS16_E_NS1_11comp_targetILNS1_3genE4ELNS1_11target_archE910ELNS1_3gpuE8ELNS1_3repE0EEENS1_30default_config_static_selectorELNS0_4arch9wavefront6targetE1EEEvT1_,comdat
	.protected	_ZN7rocprim17ROCPRIM_400000_NS6detail17trampoline_kernelINS0_14default_configENS1_25partition_config_selectorILNS1_17partition_subalgoE1EjNS0_10empty_typeEbEEZZNS1_14partition_implILS5_1ELb0ES3_jN6thrust23THRUST_200600_302600_NS6detail15normal_iteratorINSA_10device_ptrIjEEEEPS6_NSA_18transform_iteratorI7is_evenIjESF_NSA_11use_defaultESK_EENS0_5tupleIJNSA_16discard_iteratorISK_EESO_EEENSM_IJSG_SG_EEES6_PlJS6_EEE10hipError_tPvRmT3_T4_T5_T6_T7_T9_mT8_P12ihipStream_tbDpT10_ENKUlT_T0_E_clISt17integral_constantIbLb0EES1A_IbLb1EEEEDaS16_S17_EUlS16_E_NS1_11comp_targetILNS1_3genE4ELNS1_11target_archE910ELNS1_3gpuE8ELNS1_3repE0EEENS1_30default_config_static_selectorELNS0_4arch9wavefront6targetE1EEEvT1_ ; -- Begin function _ZN7rocprim17ROCPRIM_400000_NS6detail17trampoline_kernelINS0_14default_configENS1_25partition_config_selectorILNS1_17partition_subalgoE1EjNS0_10empty_typeEbEEZZNS1_14partition_implILS5_1ELb0ES3_jN6thrust23THRUST_200600_302600_NS6detail15normal_iteratorINSA_10device_ptrIjEEEEPS6_NSA_18transform_iteratorI7is_evenIjESF_NSA_11use_defaultESK_EENS0_5tupleIJNSA_16discard_iteratorISK_EESO_EEENSM_IJSG_SG_EEES6_PlJS6_EEE10hipError_tPvRmT3_T4_T5_T6_T7_T9_mT8_P12ihipStream_tbDpT10_ENKUlT_T0_E_clISt17integral_constantIbLb0EES1A_IbLb1EEEEDaS16_S17_EUlS16_E_NS1_11comp_targetILNS1_3genE4ELNS1_11target_archE910ELNS1_3gpuE8ELNS1_3repE0EEENS1_30default_config_static_selectorELNS0_4arch9wavefront6targetE1EEEvT1_
	.globl	_ZN7rocprim17ROCPRIM_400000_NS6detail17trampoline_kernelINS0_14default_configENS1_25partition_config_selectorILNS1_17partition_subalgoE1EjNS0_10empty_typeEbEEZZNS1_14partition_implILS5_1ELb0ES3_jN6thrust23THRUST_200600_302600_NS6detail15normal_iteratorINSA_10device_ptrIjEEEEPS6_NSA_18transform_iteratorI7is_evenIjESF_NSA_11use_defaultESK_EENS0_5tupleIJNSA_16discard_iteratorISK_EESO_EEENSM_IJSG_SG_EEES6_PlJS6_EEE10hipError_tPvRmT3_T4_T5_T6_T7_T9_mT8_P12ihipStream_tbDpT10_ENKUlT_T0_E_clISt17integral_constantIbLb0EES1A_IbLb1EEEEDaS16_S17_EUlS16_E_NS1_11comp_targetILNS1_3genE4ELNS1_11target_archE910ELNS1_3gpuE8ELNS1_3repE0EEENS1_30default_config_static_selectorELNS0_4arch9wavefront6targetE1EEEvT1_
	.p2align	8
	.type	_ZN7rocprim17ROCPRIM_400000_NS6detail17trampoline_kernelINS0_14default_configENS1_25partition_config_selectorILNS1_17partition_subalgoE1EjNS0_10empty_typeEbEEZZNS1_14partition_implILS5_1ELb0ES3_jN6thrust23THRUST_200600_302600_NS6detail15normal_iteratorINSA_10device_ptrIjEEEEPS6_NSA_18transform_iteratorI7is_evenIjESF_NSA_11use_defaultESK_EENS0_5tupleIJNSA_16discard_iteratorISK_EESO_EEENSM_IJSG_SG_EEES6_PlJS6_EEE10hipError_tPvRmT3_T4_T5_T6_T7_T9_mT8_P12ihipStream_tbDpT10_ENKUlT_T0_E_clISt17integral_constantIbLb0EES1A_IbLb1EEEEDaS16_S17_EUlS16_E_NS1_11comp_targetILNS1_3genE4ELNS1_11target_archE910ELNS1_3gpuE8ELNS1_3repE0EEENS1_30default_config_static_selectorELNS0_4arch9wavefront6targetE1EEEvT1_,@function
_ZN7rocprim17ROCPRIM_400000_NS6detail17trampoline_kernelINS0_14default_configENS1_25partition_config_selectorILNS1_17partition_subalgoE1EjNS0_10empty_typeEbEEZZNS1_14partition_implILS5_1ELb0ES3_jN6thrust23THRUST_200600_302600_NS6detail15normal_iteratorINSA_10device_ptrIjEEEEPS6_NSA_18transform_iteratorI7is_evenIjESF_NSA_11use_defaultESK_EENS0_5tupleIJNSA_16discard_iteratorISK_EESO_EEENSM_IJSG_SG_EEES6_PlJS6_EEE10hipError_tPvRmT3_T4_T5_T6_T7_T9_mT8_P12ihipStream_tbDpT10_ENKUlT_T0_E_clISt17integral_constantIbLb0EES1A_IbLb1EEEEDaS16_S17_EUlS16_E_NS1_11comp_targetILNS1_3genE4ELNS1_11target_archE910ELNS1_3gpuE8ELNS1_3repE0EEENS1_30default_config_static_selectorELNS0_4arch9wavefront6targetE1EEEvT1_: ; @_ZN7rocprim17ROCPRIM_400000_NS6detail17trampoline_kernelINS0_14default_configENS1_25partition_config_selectorILNS1_17partition_subalgoE1EjNS0_10empty_typeEbEEZZNS1_14partition_implILS5_1ELb0ES3_jN6thrust23THRUST_200600_302600_NS6detail15normal_iteratorINSA_10device_ptrIjEEEEPS6_NSA_18transform_iteratorI7is_evenIjESF_NSA_11use_defaultESK_EENS0_5tupleIJNSA_16discard_iteratorISK_EESO_EEENSM_IJSG_SG_EEES6_PlJS6_EEE10hipError_tPvRmT3_T4_T5_T6_T7_T9_mT8_P12ihipStream_tbDpT10_ENKUlT_T0_E_clISt17integral_constantIbLb0EES1A_IbLb1EEEEDaS16_S17_EUlS16_E_NS1_11comp_targetILNS1_3genE4ELNS1_11target_archE910ELNS1_3gpuE8ELNS1_3repE0EEENS1_30default_config_static_selectorELNS0_4arch9wavefront6targetE1EEEvT1_
; %bb.0:
	s_load_dwordx2 s[6:7], s[4:5], 0x20
	s_load_dwordx4 s[20:23], s[4:5], 0x60
	s_load_dwordx2 s[2:3], s[4:5], 0x70
	s_load_dwordx2 s[24:25], s[4:5], 0x80
	v_cmp_eq_u32_e64 s[0:1], 0, v0
	s_and_saveexec_b64 s[8:9], s[0:1]
	s_cbranch_execz .LBB2997_4
; %bb.1:
	s_mov_b64 s[12:13], exec
	v_mbcnt_lo_u32_b32 v1, s12, 0
	v_mbcnt_hi_u32_b32 v1, s13, v1
	v_cmp_eq_u32_e32 vcc, 0, v1
                                        ; implicit-def: $vgpr2
	s_and_saveexec_b64 s[10:11], vcc
	s_cbranch_execz .LBB2997_3
; %bb.2:
	s_load_dwordx2 s[14:15], s[4:5], 0x90
	s_bcnt1_i32_b64 s12, s[12:13]
	v_mov_b32_e32 v2, 0
	v_mov_b32_e32 v3, s12
	s_waitcnt lgkmcnt(0)
	global_atomic_add v2, v2, v3, s[14:15] glc
.LBB2997_3:
	s_or_b64 exec, exec, s[10:11]
	s_waitcnt vmcnt(0)
	v_readfirstlane_b32 s10, v2
	v_add_u32_e32 v1, s10, v1
	v_mov_b32_e32 v2, 0
	ds_write_b32 v2, v1
.LBB2997_4:
	s_or_b64 exec, exec, s[8:9]
	v_mov_b32_e32 v1, 0
	s_load_dwordx4 s[8:11], s[4:5], 0x8
	s_load_dword s12, s[4:5], 0x88
	s_waitcnt lgkmcnt(0)
	s_barrier
	ds_read_b32 v4, v1
	s_waitcnt lgkmcnt(0)
	s_barrier
	global_load_dwordx2 v[10:11], v1, s[22:23]
	s_lshl_b64 s[4:5], s[10:11], 2
	v_mov_b32_e32 v3, s3
	s_add_u32 s13, s8, s4
	s_mul_i32 s3, s12, 0x700
	s_addc_u32 s22, s9, s5
	s_add_i32 s9, s3, s10
	s_sub_i32 s14, s2, s9
	s_add_i32 s8, s12, -1
	s_addk_i32 s14, 0x700
	v_mov_b32_e32 v2, s2
	s_add_u32 s2, s10, s3
	v_readfirstlane_b32 s30, v4
	s_addc_u32 s3, s11, 0
	s_cmp_eq_u32 s30, s8
	s_cselect_b64 s[18:19], -1, 0
	s_cmp_lg_u32 s30, s8
	s_mul_i32 s16, s30, 0x700
	s_mov_b32 s17, 0
	v_cmp_lt_u64_e32 vcc, s[2:3], v[2:3]
	s_cselect_b64 s[2:3], -1, 0
	s_or_b64 s[8:9], vcc, s[2:3]
	s_lshl_b64 s[10:11], s[16:17], 2
	s_add_u32 s15, s13, s10
	s_addc_u32 s16, s22, s11
	s_mov_b64 s[2:3], -1
	s_and_b64 vcc, exec, s[8:9]
	s_cbranch_vccz .LBB2997_6
; %bb.5:
	v_lshlrev_b32_e32 v1, 2, v0
	v_mov_b32_e32 v3, s16
	v_add_co_u32_e32 v2, vcc, s15, v1
	v_addc_co_u32_e32 v3, vcc, 0, v3, vcc
	v_add_co_u32_e32 v4, vcc, 0x1000, v2
	v_addc_co_u32_e32 v5, vcc, 0, v3, vcc
	flat_load_dword v6, v[2:3]
	flat_load_dword v7, v[2:3] offset:1024
	flat_load_dword v8, v[2:3] offset:2048
	;; [unrolled: 1-line block ×3, first 2 shown]
	flat_load_dword v12, v[4:5]
	flat_load_dword v13, v[4:5] offset:1024
	flat_load_dword v14, v[4:5] offset:2048
	s_mov_b64 s[2:3], 0
	s_waitcnt vmcnt(0) lgkmcnt(0)
	ds_write2st64_b32 v1, v6, v7 offset1:4
	ds_write2st64_b32 v1, v8, v9 offset0:8 offset1:12
	ds_write2st64_b32 v1, v12, v13 offset0:16 offset1:20
	ds_write_b32 v1, v14 offset:6144
	s_waitcnt lgkmcnt(0)
	s_barrier
.LBB2997_6:
	s_andn2_b64 vcc, exec, s[2:3]
	v_cmp_gt_u32_e64 s[2:3], s14, v0
	s_cbranch_vccnz .LBB2997_22
; %bb.7:
                                        ; implicit-def: $vgpr2_vgpr3_vgpr4_vgpr5_vgpr6_vgpr7_vgpr8
	s_and_saveexec_b64 s[12:13], s[2:3]
	s_cbranch_execz .LBB2997_9
; %bb.8:
	v_lshlrev_b32_e32 v1, 2, v0
	v_mov_b32_e32 v3, s16
	v_add_co_u32_e32 v2, vcc, s15, v1
	v_addc_co_u32_e32 v3, vcc, 0, v3, vcc
	flat_load_dword v2, v[2:3]
.LBB2997_9:
	s_or_b64 exec, exec, s[12:13]
	v_or_b32_e32 v1, 0x100, v0
	v_cmp_gt_u32_e32 vcc, s14, v1
	s_and_saveexec_b64 s[2:3], vcc
	s_cbranch_execz .LBB2997_11
; %bb.10:
	v_lshlrev_b32_e32 v1, 2, v0
	v_mov_b32_e32 v3, s16
	v_add_co_u32_e32 v12, vcc, s15, v1
	v_addc_co_u32_e32 v13, vcc, 0, v3, vcc
	flat_load_dword v3, v[12:13] offset:1024
.LBB2997_11:
	s_or_b64 exec, exec, s[2:3]
	v_or_b32_e32 v1, 0x200, v0
	v_cmp_gt_u32_e32 vcc, s14, v1
	s_and_saveexec_b64 s[2:3], vcc
	s_cbranch_execz .LBB2997_13
; %bb.12:
	v_lshlrev_b32_e32 v1, 2, v0
	v_mov_b32_e32 v4, s16
	v_add_co_u32_e32 v12, vcc, s15, v1
	v_addc_co_u32_e32 v13, vcc, 0, v4, vcc
	flat_load_dword v4, v[12:13] offset:2048
.LBB2997_13:
	s_or_b64 exec, exec, s[2:3]
	v_or_b32_e32 v1, 0x300, v0
	v_cmp_gt_u32_e32 vcc, s14, v1
	s_and_saveexec_b64 s[2:3], vcc
	s_cbranch_execz .LBB2997_15
; %bb.14:
	v_lshlrev_b32_e32 v1, 2, v0
	v_mov_b32_e32 v5, s16
	v_add_co_u32_e32 v12, vcc, s15, v1
	v_addc_co_u32_e32 v13, vcc, 0, v5, vcc
	flat_load_dword v5, v[12:13] offset:3072
.LBB2997_15:
	s_or_b64 exec, exec, s[2:3]
	v_or_b32_e32 v1, 0x400, v0
	v_cmp_gt_u32_e32 vcc, s14, v1
	s_and_saveexec_b64 s[2:3], vcc
	s_cbranch_execz .LBB2997_17
; %bb.16:
	v_lshlrev_b32_e32 v1, 2, v1
	v_mov_b32_e32 v6, s16
	v_add_co_u32_e32 v12, vcc, s15, v1
	v_addc_co_u32_e32 v13, vcc, 0, v6, vcc
	flat_load_dword v6, v[12:13]
.LBB2997_17:
	s_or_b64 exec, exec, s[2:3]
	v_or_b32_e32 v1, 0x500, v0
	v_cmp_gt_u32_e32 vcc, s14, v1
	s_and_saveexec_b64 s[2:3], vcc
	s_cbranch_execz .LBB2997_19
; %bb.18:
	v_lshlrev_b32_e32 v1, 2, v1
	v_mov_b32_e32 v7, s16
	v_add_co_u32_e32 v12, vcc, s15, v1
	v_addc_co_u32_e32 v13, vcc, 0, v7, vcc
	flat_load_dword v7, v[12:13]
.LBB2997_19:
	;; [unrolled: 12-line block ×3, first 2 shown]
	s_or_b64 exec, exec, s[2:3]
	v_lshlrev_b32_e32 v1, 2, v0
	s_waitcnt vmcnt(0) lgkmcnt(0)
	ds_write2st64_b32 v1, v2, v3 offset1:4
	ds_write2st64_b32 v1, v4, v5 offset0:8 offset1:12
	ds_write2st64_b32 v1, v6, v7 offset0:16 offset1:20
	ds_write_b32 v1, v8 offset:6144
	s_waitcnt lgkmcnt(0)
	s_barrier
.LBB2997_22:
	v_mul_u32_u24_e32 v20, 7, v0
	v_lshlrev_b32_e32 v8, 2, v20
	ds_read2_b32 v[6:7], v8 offset1:1
	ds_read2_b32 v[4:5], v8 offset0:2 offset1:3
	ds_read2_b32 v[2:3], v8 offset0:4 offset1:5
	ds_read_b32 v1, v8 offset:24
	s_add_u32 s2, s6, s4
	s_addc_u32 s3, s7, s5
	s_add_u32 s2, s2, s10
	s_addc_u32 s3, s3, s11
	s_mov_b64 s[4:5], -1
	s_and_b64 vcc, exec, s[8:9]
	s_waitcnt lgkmcnt(0)
	s_barrier
	s_cbranch_vccz .LBB2997_24
; %bb.23:
	v_lshlrev_b32_e32 v9, 2, v0
	v_mov_b32_e32 v12, s3
	v_add_co_u32_e32 v13, vcc, s2, v9
	v_addc_co_u32_e32 v14, vcc, 0, v12, vcc
	s_movk_i32 s4, 0x1000
	v_add_co_u32_e32 v12, vcc, s4, v13
	v_addc_co_u32_e32 v13, vcc, 0, v14, vcc
	global_load_dword v15, v9, s[2:3]
	global_load_dword v16, v9, s[2:3] offset:1024
	global_load_dword v17, v9, s[2:3] offset:2048
	;; [unrolled: 1-line block ×3, first 2 shown]
	s_nop 0
	global_load_dword v9, v[12:13], off
	global_load_dword v14, v[12:13], off offset:1024
	global_load_dword v19, v[12:13], off offset:2048
	s_mov_b64 s[4:5], 0
	s_waitcnt vmcnt(6)
	v_xor_b32_e32 v12, -1, v15
	s_waitcnt vmcnt(5)
	v_xor_b32_e32 v13, -1, v16
	;; [unrolled: 2-line block ×3, first 2 shown]
	v_xor_b32_e32 v15, -1, v17
	v_xor_b32_e32 v16, -1, v18
	v_and_b32_e32 v12, 1, v12
	v_and_b32_e32 v13, 1, v13
	s_waitcnt vmcnt(1)
	v_xor_b32_e32 v14, -1, v14
	s_waitcnt vmcnt(0)
	v_xor_b32_e32 v17, -1, v19
	v_and_b32_e32 v9, 1, v9
	v_and_b32_e32 v15, 1, v15
	;; [unrolled: 1-line block ×3, first 2 shown]
	ds_write_b8 v0, v12
	ds_write_b8 v0, v13 offset:256
	ds_write_b8 v0, v15 offset:512
	;; [unrolled: 1-line block ×3, first 2 shown]
	v_and_b32_e32 v12, 1, v14
	v_and_b32_e32 v13, 1, v17
	ds_write_b8 v0, v9 offset:1024
	ds_write_b8 v0, v12 offset:1280
	;; [unrolled: 1-line block ×3, first 2 shown]
	s_waitcnt lgkmcnt(0)
	s_barrier
.LBB2997_24:
	s_andn2_b64 vcc, exec, s[4:5]
	s_cbranch_vccnz .LBB2997_40
; %bb.25:
	v_cmp_gt_u32_e32 vcc, s14, v0
	v_mov_b32_e32 v9, 0
	v_mov_b32_e32 v12, 0
	s_and_saveexec_b64 s[4:5], vcc
	s_cbranch_execz .LBB2997_27
; %bb.26:
	v_lshlrev_b32_e32 v12, 2, v0
	global_load_dword v12, v12, s[2:3]
	s_waitcnt vmcnt(0)
	v_xor_b32_e32 v12, -1, v12
	v_and_b32_e32 v12, 1, v12
.LBB2997_27:
	s_or_b64 exec, exec, s[4:5]
	v_or_b32_e32 v13, 0x100, v0
	v_cmp_gt_u32_e32 vcc, s14, v13
	s_and_saveexec_b64 s[4:5], vcc
	s_cbranch_execz .LBB2997_29
; %bb.28:
	v_lshlrev_b32_e32 v9, 2, v0
	global_load_dword v9, v9, s[2:3] offset:1024
	s_waitcnt vmcnt(0)
	v_xor_b32_e32 v9, -1, v9
	v_and_b32_e32 v9, 1, v9
.LBB2997_29:
	s_or_b64 exec, exec, s[4:5]
	v_or_b32_e32 v13, 0x200, v0
	v_cmp_gt_u32_e32 vcc, s14, v13
	v_mov_b32_e32 v13, 0
	v_mov_b32_e32 v14, 0
	s_and_saveexec_b64 s[4:5], vcc
	s_cbranch_execz .LBB2997_31
; %bb.30:
	v_lshlrev_b32_e32 v14, 2, v0
	global_load_dword v14, v14, s[2:3] offset:2048
	s_waitcnt vmcnt(0)
	v_xor_b32_e32 v14, -1, v14
	v_and_b32_e32 v14, 1, v14
.LBB2997_31:
	s_or_b64 exec, exec, s[4:5]
	v_or_b32_e32 v15, 0x300, v0
	v_cmp_gt_u32_e32 vcc, s14, v15
	s_and_saveexec_b64 s[4:5], vcc
	s_cbranch_execz .LBB2997_33
; %bb.32:
	v_lshlrev_b32_e32 v13, 2, v0
	global_load_dword v13, v13, s[2:3] offset:3072
	s_waitcnt vmcnt(0)
	v_xor_b32_e32 v13, -1, v13
	v_and_b32_e32 v13, 1, v13
.LBB2997_33:
	s_or_b64 exec, exec, s[4:5]
	v_or_b32_e32 v17, 0x400, v0
	v_cmp_gt_u32_e32 vcc, s14, v17
	v_mov_b32_e32 v15, 0
	v_mov_b32_e32 v16, 0
	s_and_saveexec_b64 s[4:5], vcc
	s_cbranch_execz .LBB2997_35
; %bb.34:
	v_lshlrev_b32_e32 v16, 2, v17
	global_load_dword v16, v16, s[2:3]
	s_waitcnt vmcnt(0)
	v_xor_b32_e32 v16, -1, v16
	v_and_b32_e32 v16, 1, v16
.LBB2997_35:
	s_or_b64 exec, exec, s[4:5]
	v_or_b32_e32 v17, 0x500, v0
	v_cmp_gt_u32_e32 vcc, s14, v17
	s_and_saveexec_b64 s[4:5], vcc
	s_cbranch_execz .LBB2997_37
; %bb.36:
	v_lshlrev_b32_e32 v15, 2, v17
	global_load_dword v15, v15, s[2:3]
	s_waitcnt vmcnt(0)
	v_xor_b32_e32 v15, -1, v15
	v_and_b32_e32 v15, 1, v15
.LBB2997_37:
	s_or_b64 exec, exec, s[4:5]
	v_or_b32_e32 v18, 0x600, v0
	v_cmp_gt_u32_e32 vcc, s14, v18
	v_mov_b32_e32 v17, 0
	s_and_saveexec_b64 s[4:5], vcc
	s_cbranch_execz .LBB2997_39
; %bb.38:
	v_lshlrev_b32_e32 v17, 2, v18
	global_load_dword v17, v17, s[2:3]
	s_waitcnt vmcnt(0)
	v_xor_b32_e32 v17, -1, v17
	v_and_b32_e32 v17, 1, v17
.LBB2997_39:
	s_or_b64 exec, exec, s[4:5]
	ds_write_b8 v0, v12
	ds_write_b8 v0, v9 offset:256
	ds_write_b8 v0, v14 offset:512
	ds_write_b8 v0, v13 offset:768
	ds_write_b8 v0, v16 offset:1024
	ds_write_b8 v0, v15 offset:1280
	ds_write_b8 v0, v17 offset:1536
	s_waitcnt lgkmcnt(0)
	s_barrier
.LBB2997_40:
	s_movk_i32 s2, 0xffeb
	v_mad_i32_i24 v29, v0, s2, v8
	ds_read_u8 v8, v29
	ds_read_u8 v9, v29 offset:1
	ds_read_u8 v12, v29 offset:2
	;; [unrolled: 1-line block ×6, first 2 shown]
	s_waitcnt lgkmcnt(6)
	v_and_b32_e32 v27, 1, v8
	s_waitcnt lgkmcnt(5)
	v_and_b32_e32 v26, 1, v9
	s_waitcnt lgkmcnt(4)
	v_and_b32_e32 v25, 1, v12
	s_waitcnt lgkmcnt(3)
	v_and_b32_e32 v24, 1, v13
	s_waitcnt lgkmcnt(2)
	v_and_b32_e32 v23, 1, v14
	v_add3_u32 v8, v26, v27, v25
	s_waitcnt lgkmcnt(1)
	v_and_b32_e32 v22, 1, v15
	s_waitcnt lgkmcnt(0)
	v_and_b32_e32 v21, 1, v16
	v_add3_u32 v8, v8, v24, v23
	v_add3_u32 v31, v8, v22, v21
	v_mbcnt_lo_u32_b32 v8, -1, 0
	v_mbcnt_hi_u32_b32 v28, -1, v8
	v_and_b32_e32 v8, 15, v28
	v_cmp_eq_u32_e64 s[14:15], 0, v8
	v_cmp_lt_u32_e64 s[12:13], 1, v8
	v_cmp_lt_u32_e64 s[10:11], 3, v8
	v_cmp_lt_u32_e64 s[8:9], 7, v8
	v_and_b32_e32 v8, 16, v28
	v_cmp_eq_u32_e64 s[6:7], 0, v8
	v_or_b32_e32 v8, 63, v0
	s_cmp_lg_u32 s30, 0
	v_cmp_lt_u32_e64 s[2:3], 31, v28
	v_lshrrev_b32_e32 v30, 6, v0
	v_cmp_eq_u32_e64 s[4:5], v8, v0
	s_barrier
	s_cbranch_scc0 .LBB2997_67
; %bb.41:
	v_mov_b32_dpp v8, v31 row_shr:1 row_mask:0xf bank_mask:0xf
	v_cndmask_b32_e64 v8, v8, 0, s[14:15]
	v_add_u32_e32 v8, v8, v31
	s_nop 1
	v_mov_b32_dpp v9, v8 row_shr:2 row_mask:0xf bank_mask:0xf
	v_cndmask_b32_e64 v9, 0, v9, s[12:13]
	v_add_u32_e32 v8, v8, v9
	s_nop 1
	v_mov_b32_dpp v9, v8 row_shr:4 row_mask:0xf bank_mask:0xf
	v_cndmask_b32_e64 v9, 0, v9, s[10:11]
	v_add_u32_e32 v8, v8, v9
	s_nop 1
	v_mov_b32_dpp v9, v8 row_shr:8 row_mask:0xf bank_mask:0xf
	v_cndmask_b32_e64 v9, 0, v9, s[8:9]
	v_add_u32_e32 v8, v8, v9
	s_nop 1
	v_mov_b32_dpp v9, v8 row_bcast:15 row_mask:0xf bank_mask:0xf
	v_cndmask_b32_e64 v9, v9, 0, s[6:7]
	v_add_u32_e32 v8, v8, v9
	s_nop 1
	v_mov_b32_dpp v9, v8 row_bcast:31 row_mask:0xf bank_mask:0xf
	v_cndmask_b32_e64 v9, 0, v9, s[2:3]
	v_add_u32_e32 v8, v8, v9
	s_and_saveexec_b64 s[16:17], s[4:5]
	s_cbranch_execz .LBB2997_43
; %bb.42:
	v_lshlrev_b32_e32 v9, 2, v30
	ds_write_b32 v9, v8
.LBB2997_43:
	s_or_b64 exec, exec, s[16:17]
	v_cmp_gt_u32_e32 vcc, 4, v0
	s_waitcnt lgkmcnt(0)
	s_barrier
	s_and_saveexec_b64 s[16:17], vcc
	s_cbranch_execz .LBB2997_45
; %bb.44:
	v_lshlrev_b32_e32 v9, 2, v0
	ds_read_b32 v12, v9
	v_and_b32_e32 v13, 3, v28
	v_cmp_ne_u32_e32 vcc, 0, v13
	s_waitcnt lgkmcnt(0)
	v_mov_b32_dpp v14, v12 row_shr:1 row_mask:0xf bank_mask:0xf
	v_cndmask_b32_e32 v14, 0, v14, vcc
	v_add_u32_e32 v12, v14, v12
	v_cmp_lt_u32_e32 vcc, 1, v13
	s_nop 0
	v_mov_b32_dpp v14, v12 row_shr:2 row_mask:0xf bank_mask:0xf
	v_cndmask_b32_e32 v13, 0, v14, vcc
	v_add_u32_e32 v12, v12, v13
	ds_write_b32 v9, v12
.LBB2997_45:
	s_or_b64 exec, exec, s[16:17]
	v_cmp_gt_u32_e32 vcc, 64, v0
	v_cmp_lt_u32_e64 s[16:17], 63, v0
	s_waitcnt lgkmcnt(0)
	s_barrier
	s_waitcnt lgkmcnt(0)
                                        ; implicit-def: $vgpr32
	s_and_saveexec_b64 s[22:23], s[16:17]
	s_cbranch_execz .LBB2997_47
; %bb.46:
	v_lshl_add_u32 v9, v30, 2, -4
	ds_read_b32 v32, v9
	s_waitcnt lgkmcnt(0)
	v_add_u32_e32 v8, v32, v8
.LBB2997_47:
	s_or_b64 exec, exec, s[22:23]
	v_add_u32_e32 v9, -1, v28
	v_and_b32_e32 v12, 64, v28
	v_cmp_lt_i32_e64 s[16:17], v9, v12
	v_cndmask_b32_e64 v9, v9, v28, s[16:17]
	v_lshlrev_b32_e32 v9, 2, v9
	ds_bpermute_b32 v33, v9, v8
	v_cmp_eq_u32_e64 s[16:17], 0, v28
	s_and_saveexec_b64 s[22:23], vcc
	s_cbranch_execz .LBB2997_66
; %bb.48:
	v_mov_b32_e32 v17, 0
	ds_read_b32 v8, v17 offset:12
	s_and_saveexec_b64 s[26:27], s[16:17]
	s_cbranch_execz .LBB2997_50
; %bb.49:
	s_add_i32 s28, s30, 64
	s_mov_b32 s29, 0
	s_lshl_b64 s[28:29], s[28:29], 3
	s_add_u32 s28, s24, s28
	v_mov_b32_e32 v9, 1
	s_addc_u32 s29, s25, s29
	s_waitcnt lgkmcnt(0)
	global_store_dwordx2 v17, v[8:9], s[28:29]
.LBB2997_50:
	s_or_b64 exec, exec, s[26:27]
	v_xad_u32 v12, v28, -1, s30
	v_add_u32_e32 v16, 64, v12
	v_lshlrev_b64 v[14:15], 3, v[16:17]
	v_mov_b32_e32 v9, s25
	v_add_co_u32_e32 v18, vcc, s24, v14
	v_addc_co_u32_e32 v19, vcc, v9, v15, vcc
	global_load_dwordx2 v[14:15], v[18:19], off glc
	s_waitcnt vmcnt(0)
	v_cmp_eq_u16_sdwa s[28:29], v15, v17 src0_sel:BYTE_0 src1_sel:DWORD
	s_and_saveexec_b64 s[26:27], s[28:29]
	s_cbranch_execz .LBB2997_54
; %bb.51:
	s_mov_b64 s[28:29], 0
	v_mov_b32_e32 v9, 0
.LBB2997_52:                            ; =>This Inner Loop Header: Depth=1
	global_load_dwordx2 v[14:15], v[18:19], off glc
	s_waitcnt vmcnt(0)
	v_cmp_ne_u16_sdwa s[34:35], v15, v9 src0_sel:BYTE_0 src1_sel:DWORD
	s_or_b64 s[28:29], s[34:35], s[28:29]
	s_andn2_b64 exec, exec, s[28:29]
	s_cbranch_execnz .LBB2997_52
; %bb.53:
	s_or_b64 exec, exec, s[28:29]
.LBB2997_54:
	s_or_b64 exec, exec, s[26:27]
	v_and_b32_e32 v35, 63, v28
	v_mov_b32_e32 v34, 2
	v_cmp_ne_u32_e32 vcc, 63, v35
	v_cmp_eq_u16_sdwa s[26:27], v15, v34 src0_sel:BYTE_0 src1_sel:DWORD
	v_lshlrev_b64 v[16:17], v28, -1
	v_addc_co_u32_e32 v18, vcc, 0, v28, vcc
	v_and_b32_e32 v9, s27, v17
	v_lshlrev_b32_e32 v36, 2, v18
	v_or_b32_e32 v9, 0x80000000, v9
	ds_bpermute_b32 v18, v36, v14
	v_and_b32_e32 v13, s26, v16
	v_ffbl_b32_e32 v9, v9
	v_add_u32_e32 v9, 32, v9
	v_ffbl_b32_e32 v13, v13
	v_min_u32_e32 v9, v13, v9
	v_cmp_lt_u32_e32 vcc, v35, v9
	s_waitcnt lgkmcnt(0)
	v_cndmask_b32_e32 v13, 0, v18, vcc
	v_cmp_gt_u32_e32 vcc, 62, v35
	v_add_u32_e32 v13, v13, v14
	v_cndmask_b32_e64 v14, 0, 1, vcc
	v_lshlrev_b32_e32 v14, 1, v14
	v_add_lshl_u32 v37, v14, v28, 2
	ds_bpermute_b32 v14, v37, v13
	v_add_u32_e32 v38, 2, v35
	v_cmp_le_u32_e32 vcc, v38, v9
	v_add_u32_e32 v40, 4, v35
	v_add_u32_e32 v42, 8, v35
	s_waitcnt lgkmcnt(0)
	v_cndmask_b32_e32 v14, 0, v14, vcc
	v_cmp_gt_u32_e32 vcc, 60, v35
	v_add_u32_e32 v13, v13, v14
	v_cndmask_b32_e64 v14, 0, 1, vcc
	v_lshlrev_b32_e32 v14, 2, v14
	v_add_lshl_u32 v39, v14, v28, 2
	ds_bpermute_b32 v14, v39, v13
	v_cmp_le_u32_e32 vcc, v40, v9
	v_add_u32_e32 v44, 16, v35
	v_add_u32_e32 v46, 32, v35
	s_waitcnt lgkmcnt(0)
	v_cndmask_b32_e32 v14, 0, v14, vcc
	v_cmp_gt_u32_e32 vcc, 56, v35
	v_add_u32_e32 v13, v13, v14
	v_cndmask_b32_e64 v14, 0, 1, vcc
	v_lshlrev_b32_e32 v14, 3, v14
	v_add_lshl_u32 v41, v14, v28, 2
	ds_bpermute_b32 v14, v41, v13
	v_cmp_le_u32_e32 vcc, v42, v9
	s_waitcnt lgkmcnt(0)
	v_cndmask_b32_e32 v14, 0, v14, vcc
	v_cmp_gt_u32_e32 vcc, 48, v35
	v_add_u32_e32 v13, v13, v14
	v_cndmask_b32_e64 v14, 0, 1, vcc
	v_lshlrev_b32_e32 v14, 4, v14
	v_add_lshl_u32 v43, v14, v28, 2
	ds_bpermute_b32 v14, v43, v13
	v_cmp_le_u32_e32 vcc, v44, v9
	;; [unrolled: 9-line block ×3, first 2 shown]
	s_waitcnt lgkmcnt(0)
	v_cndmask_b32_e32 v9, 0, v14, vcc
	v_add_u32_e32 v14, v13, v9
	v_mov_b32_e32 v13, 0
	s_branch .LBB2997_56
.LBB2997_55:                            ;   in Loop: Header=BB2997_56 Depth=1
	s_or_b64 exec, exec, s[26:27]
	v_cmp_eq_u16_sdwa s[26:27], v15, v34 src0_sel:BYTE_0 src1_sel:DWORD
	v_and_b32_e32 v18, s27, v17
	v_or_b32_e32 v18, 0x80000000, v18
	ds_bpermute_b32 v47, v36, v14
	v_and_b32_e32 v19, s26, v16
	v_ffbl_b32_e32 v18, v18
	v_add_u32_e32 v18, 32, v18
	v_ffbl_b32_e32 v19, v19
	v_min_u32_e32 v18, v19, v18
	v_cmp_lt_u32_e32 vcc, v35, v18
	s_waitcnt lgkmcnt(0)
	v_cndmask_b32_e32 v19, 0, v47, vcc
	v_add_u32_e32 v14, v19, v14
	ds_bpermute_b32 v19, v37, v14
	v_cmp_le_u32_e32 vcc, v38, v18
	v_subrev_u32_e32 v12, 64, v12
	s_waitcnt lgkmcnt(0)
	v_cndmask_b32_e32 v19, 0, v19, vcc
	v_add_u32_e32 v14, v14, v19
	ds_bpermute_b32 v19, v39, v14
	v_cmp_le_u32_e32 vcc, v40, v18
	s_waitcnt lgkmcnt(0)
	v_cndmask_b32_e32 v19, 0, v19, vcc
	v_add_u32_e32 v14, v14, v19
	ds_bpermute_b32 v19, v41, v14
	v_cmp_le_u32_e32 vcc, v42, v18
	;; [unrolled: 5-line block ×4, first 2 shown]
	s_waitcnt lgkmcnt(0)
	v_cndmask_b32_e32 v18, 0, v19, vcc
	v_add3_u32 v14, v18, v9, v14
.LBB2997_56:                            ; =>This Loop Header: Depth=1
                                        ;     Child Loop BB2997_59 Depth 2
	v_cmp_ne_u16_sdwa s[26:27], v15, v34 src0_sel:BYTE_0 src1_sel:DWORD
	v_cndmask_b32_e64 v9, 0, 1, s[26:27]
	;;#ASMSTART
	;;#ASMEND
	v_cmp_ne_u32_e32 vcc, 0, v9
	s_cmp_lg_u64 vcc, exec
	v_mov_b32_e32 v9, v14
	s_cbranch_scc1 .LBB2997_61
; %bb.57:                               ;   in Loop: Header=BB2997_56 Depth=1
	v_lshlrev_b64 v[14:15], 3, v[12:13]
	v_mov_b32_e32 v19, s25
	v_add_co_u32_e32 v18, vcc, s24, v14
	v_addc_co_u32_e32 v19, vcc, v19, v15, vcc
	global_load_dwordx2 v[14:15], v[18:19], off glc
	s_waitcnt vmcnt(0)
	v_cmp_eq_u16_sdwa s[28:29], v15, v13 src0_sel:BYTE_0 src1_sel:DWORD
	s_and_saveexec_b64 s[26:27], s[28:29]
	s_cbranch_execz .LBB2997_55
; %bb.58:                               ;   in Loop: Header=BB2997_56 Depth=1
	s_mov_b64 s[28:29], 0
.LBB2997_59:                            ;   Parent Loop BB2997_56 Depth=1
                                        ; =>  This Inner Loop Header: Depth=2
	global_load_dwordx2 v[14:15], v[18:19], off glc
	s_waitcnt vmcnt(0)
	v_cmp_ne_u16_sdwa s[34:35], v15, v13 src0_sel:BYTE_0 src1_sel:DWORD
	s_or_b64 s[28:29], s[34:35], s[28:29]
	s_andn2_b64 exec, exec, s[28:29]
	s_cbranch_execnz .LBB2997_59
; %bb.60:                               ;   in Loop: Header=BB2997_56 Depth=1
	s_or_b64 exec, exec, s[28:29]
	s_branch .LBB2997_55
.LBB2997_61:                            ;   in Loop: Header=BB2997_56 Depth=1
                                        ; implicit-def: $vgpr14
                                        ; implicit-def: $vgpr15
	s_cbranch_execz .LBB2997_56
; %bb.62:
	s_and_saveexec_b64 s[26:27], s[16:17]
	s_cbranch_execz .LBB2997_64
; %bb.63:
	s_add_i32 s28, s30, 64
	s_mov_b32 s29, 0
	s_lshl_b64 s[28:29], s[28:29], 3
	s_add_u32 s28, s24, s28
	v_add_u32_e32 v12, v9, v8
	v_mov_b32_e32 v13, 2
	s_addc_u32 s29, s25, s29
	v_mov_b32_e32 v14, 0
	global_store_dwordx2 v14, v[12:13], s[28:29]
	ds_write_b64 v14, v[8:9] offset:7168
.LBB2997_64:
	s_or_b64 exec, exec, s[26:27]
	s_and_b64 exec, exec, s[0:1]
	s_cbranch_execz .LBB2997_66
; %bb.65:
	v_mov_b32_e32 v8, 0
	ds_write_b32 v8, v9 offset:12
.LBB2997_66:
	s_or_b64 exec, exec, s[22:23]
	v_mov_b32_e32 v8, 0
	s_waitcnt lgkmcnt(0)
	s_barrier
	ds_read_b32 v9, v8 offset:12
	v_cndmask_b32_e64 v12, v33, v32, s[16:17]
	v_cndmask_b32_e64 v12, v12, 0, s[0:1]
	s_waitcnt lgkmcnt(0)
	s_barrier
	v_add_u32_e32 v18, v9, v12
	v_add_u32_e32 v17, v18, v27
	;; [unrolled: 1-line block ×3, first 2 shown]
	ds_read_b64 v[8:9], v8 offset:7168
	v_add_u32_e32 v14, v16, v25
	v_add_u32_e32 v15, v14, v24
	;; [unrolled: 1-line block ×4, first 2 shown]
	s_branch .LBB2997_77
.LBB2997_67:
                                        ; implicit-def: $vgpr9
                                        ; implicit-def: $vgpr12
                                        ; implicit-def: $vgpr13
                                        ; implicit-def: $vgpr15
                                        ; implicit-def: $vgpr14
                                        ; implicit-def: $vgpr16
                                        ; implicit-def: $vgpr17
                                        ; implicit-def: $vgpr18
	s_cbranch_execz .LBB2997_77
; %bb.68:
	s_waitcnt lgkmcnt(0)
	v_mov_b32_dpp v8, v31 row_shr:1 row_mask:0xf bank_mask:0xf
	v_cndmask_b32_e64 v8, v8, 0, s[14:15]
	v_add_u32_e32 v8, v8, v31
	s_nop 1
	v_mov_b32_dpp v9, v8 row_shr:2 row_mask:0xf bank_mask:0xf
	v_cndmask_b32_e64 v9, 0, v9, s[12:13]
	v_add_u32_e32 v8, v8, v9
	s_nop 1
	;; [unrolled: 4-line block ×4, first 2 shown]
	v_mov_b32_dpp v9, v8 row_bcast:15 row_mask:0xf bank_mask:0xf
	v_cndmask_b32_e64 v9, v9, 0, s[6:7]
	v_add_u32_e32 v8, v8, v9
	s_nop 1
	v_mov_b32_dpp v9, v8 row_bcast:31 row_mask:0xf bank_mask:0xf
	v_cndmask_b32_e64 v9, 0, v9, s[2:3]
	v_add_u32_e32 v8, v8, v9
	s_and_saveexec_b64 s[2:3], s[4:5]
	s_cbranch_execz .LBB2997_70
; %bb.69:
	v_lshlrev_b32_e32 v9, 2, v30
	ds_write_b32 v9, v8
.LBB2997_70:
	s_or_b64 exec, exec, s[2:3]
	v_cmp_gt_u32_e32 vcc, 4, v0
	s_waitcnt lgkmcnt(0)
	s_barrier
	s_and_saveexec_b64 s[2:3], vcc
	s_cbranch_execz .LBB2997_72
; %bb.71:
	v_mad_i32_i24 v9, v0, -3, v29
	ds_read_b32 v12, v9
	v_and_b32_e32 v13, 3, v28
	v_cmp_ne_u32_e32 vcc, 0, v13
	s_waitcnt lgkmcnt(0)
	v_mov_b32_dpp v14, v12 row_shr:1 row_mask:0xf bank_mask:0xf
	v_cndmask_b32_e32 v14, 0, v14, vcc
	v_add_u32_e32 v12, v14, v12
	v_cmp_lt_u32_e32 vcc, 1, v13
	s_nop 0
	v_mov_b32_dpp v14, v12 row_shr:2 row_mask:0xf bank_mask:0xf
	v_cndmask_b32_e32 v13, 0, v14, vcc
	v_add_u32_e32 v12, v12, v13
	ds_write_b32 v9, v12
.LBB2997_72:
	s_or_b64 exec, exec, s[2:3]
	v_cmp_lt_u32_e32 vcc, 63, v0
	v_mov_b32_e32 v9, 0
	v_mov_b32_e32 v0, 0
	s_waitcnt lgkmcnt(0)
	s_barrier
	s_and_saveexec_b64 s[2:3], vcc
	s_cbranch_execz .LBB2997_74
; %bb.73:
	v_lshl_add_u32 v0, v30, 2, -4
	ds_read_b32 v0, v0
.LBB2997_74:
	s_or_b64 exec, exec, s[2:3]
	v_add_u32_e32 v12, -1, v28
	v_and_b32_e32 v13, 64, v28
	v_cmp_lt_i32_e32 vcc, v12, v13
	v_cndmask_b32_e32 v12, v12, v28, vcc
	s_waitcnt lgkmcnt(0)
	v_add_u32_e32 v8, v0, v8
	v_lshlrev_b32_e32 v12, 2, v12
	ds_bpermute_b32 v12, v12, v8
	ds_read_b32 v8, v9 offset:12
	s_and_saveexec_b64 s[2:3], s[0:1]
	s_cbranch_execz .LBB2997_76
; %bb.75:
	v_mov_b32_e32 v13, 0
	v_mov_b32_e32 v9, 2
	s_waitcnt lgkmcnt(0)
	global_store_dwordx2 v13, v[8:9], s[24:25] offset:512
.LBB2997_76:
	s_or_b64 exec, exec, s[2:3]
	v_cmp_eq_u32_e32 vcc, 0, v28
	s_waitcnt lgkmcnt(1)
	v_cndmask_b32_e32 v0, v12, v0, vcc
	v_cndmask_b32_e64 v18, v0, 0, s[0:1]
	v_add_u32_e32 v17, v18, v27
	v_add_u32_e32 v16, v17, v26
	;; [unrolled: 1-line block ×5, first 2 shown]
	v_mov_b32_e32 v9, 0
	v_add_u32_e32 v12, v13, v22
	s_waitcnt lgkmcnt(0)
	s_barrier
.LBB2997_77:
	s_waitcnt lgkmcnt(0)
	v_add_u32_e32 v0, v8, v20
	v_sub_u32_e32 v18, v18, v9
	v_sub_u32_e32 v19, v0, v18
	v_cmp_eq_u32_e32 vcc, 1, v27
	v_cndmask_b32_e32 v18, v19, v18, vcc
	v_lshlrev_b32_e32 v18, 2, v18
	ds_write_b32 v18, v6
	v_sub_u32_e32 v6, v17, v9
	v_sub_u32_e32 v17, v0, v6
	v_add_u32_e32 v17, 1, v17
	v_cmp_eq_u32_e32 vcc, 1, v26
	v_cndmask_b32_e32 v6, v17, v6, vcc
	v_lshlrev_b32_e32 v6, 2, v6
	ds_write_b32 v6, v7
	v_sub_u32_e32 v6, v16, v9
	v_sub_u32_e32 v7, v0, v6
	v_add_u32_e32 v7, 2, v7
	;; [unrolled: 7-line block ×6, first 2 shown]
	v_cmp_eq_u32_e32 vcc, 1, v21
	v_cndmask_b32_e32 v0, v0, v2, vcc
	v_lshlrev_b32_e32 v0, 2, v0
	s_and_b64 s[0:1], s[0:1], s[18:19]
	ds_write_b32 v0, v1
	s_waitcnt lgkmcnt(0)
	s_barrier
	s_and_saveexec_b64 s[2:3], s[0:1]
	s_cbranch_execz .LBB2997_79
; %bb.78:
	s_waitcnt vmcnt(0)
	v_add_co_u32_e32 v0, vcc, v10, v8
	v_addc_co_u32_e32 v1, vcc, 0, v11, vcc
	v_add_co_u32_e32 v0, vcc, v0, v9
	v_mov_b32_e32 v2, 0
	v_addc_co_u32_e32 v1, vcc, 0, v1, vcc
	global_store_dwordx2 v2, v[0:1], s[20:21]
.LBB2997_79:
	s_endpgm
	.section	.rodata,"a",@progbits
	.p2align	6, 0x0
	.amdhsa_kernel _ZN7rocprim17ROCPRIM_400000_NS6detail17trampoline_kernelINS0_14default_configENS1_25partition_config_selectorILNS1_17partition_subalgoE1EjNS0_10empty_typeEbEEZZNS1_14partition_implILS5_1ELb0ES3_jN6thrust23THRUST_200600_302600_NS6detail15normal_iteratorINSA_10device_ptrIjEEEEPS6_NSA_18transform_iteratorI7is_evenIjESF_NSA_11use_defaultESK_EENS0_5tupleIJNSA_16discard_iteratorISK_EESO_EEENSM_IJSG_SG_EEES6_PlJS6_EEE10hipError_tPvRmT3_T4_T5_T6_T7_T9_mT8_P12ihipStream_tbDpT10_ENKUlT_T0_E_clISt17integral_constantIbLb0EES1A_IbLb1EEEEDaS16_S17_EUlS16_E_NS1_11comp_targetILNS1_3genE4ELNS1_11target_archE910ELNS1_3gpuE8ELNS1_3repE0EEENS1_30default_config_static_selectorELNS0_4arch9wavefront6targetE1EEEvT1_
		.amdhsa_group_segment_fixed_size 7176
		.amdhsa_private_segment_fixed_size 0
		.amdhsa_kernarg_size 160
		.amdhsa_user_sgpr_count 6
		.amdhsa_user_sgpr_private_segment_buffer 1
		.amdhsa_user_sgpr_dispatch_ptr 0
		.amdhsa_user_sgpr_queue_ptr 0
		.amdhsa_user_sgpr_kernarg_segment_ptr 1
		.amdhsa_user_sgpr_dispatch_id 0
		.amdhsa_user_sgpr_flat_scratch_init 0
		.amdhsa_user_sgpr_kernarg_preload_length 0
		.amdhsa_user_sgpr_kernarg_preload_offset 0
		.amdhsa_user_sgpr_private_segment_size 0
		.amdhsa_uses_dynamic_stack 0
		.amdhsa_system_sgpr_private_segment_wavefront_offset 0
		.amdhsa_system_sgpr_workgroup_id_x 1
		.amdhsa_system_sgpr_workgroup_id_y 0
		.amdhsa_system_sgpr_workgroup_id_z 0
		.amdhsa_system_sgpr_workgroup_info 0
		.amdhsa_system_vgpr_workitem_id 0
		.amdhsa_next_free_vgpr 48
		.amdhsa_next_free_sgpr 36
		.amdhsa_accum_offset 48
		.amdhsa_reserve_vcc 1
		.amdhsa_reserve_flat_scratch 0
		.amdhsa_float_round_mode_32 0
		.amdhsa_float_round_mode_16_64 0
		.amdhsa_float_denorm_mode_32 3
		.amdhsa_float_denorm_mode_16_64 3
		.amdhsa_dx10_clamp 1
		.amdhsa_ieee_mode 1
		.amdhsa_fp16_overflow 0
		.amdhsa_tg_split 0
		.amdhsa_exception_fp_ieee_invalid_op 0
		.amdhsa_exception_fp_denorm_src 0
		.amdhsa_exception_fp_ieee_div_zero 0
		.amdhsa_exception_fp_ieee_overflow 0
		.amdhsa_exception_fp_ieee_underflow 0
		.amdhsa_exception_fp_ieee_inexact 0
		.amdhsa_exception_int_div_zero 0
	.end_amdhsa_kernel
	.section	.text._ZN7rocprim17ROCPRIM_400000_NS6detail17trampoline_kernelINS0_14default_configENS1_25partition_config_selectorILNS1_17partition_subalgoE1EjNS0_10empty_typeEbEEZZNS1_14partition_implILS5_1ELb0ES3_jN6thrust23THRUST_200600_302600_NS6detail15normal_iteratorINSA_10device_ptrIjEEEEPS6_NSA_18transform_iteratorI7is_evenIjESF_NSA_11use_defaultESK_EENS0_5tupleIJNSA_16discard_iteratorISK_EESO_EEENSM_IJSG_SG_EEES6_PlJS6_EEE10hipError_tPvRmT3_T4_T5_T6_T7_T9_mT8_P12ihipStream_tbDpT10_ENKUlT_T0_E_clISt17integral_constantIbLb0EES1A_IbLb1EEEEDaS16_S17_EUlS16_E_NS1_11comp_targetILNS1_3genE4ELNS1_11target_archE910ELNS1_3gpuE8ELNS1_3repE0EEENS1_30default_config_static_selectorELNS0_4arch9wavefront6targetE1EEEvT1_,"axG",@progbits,_ZN7rocprim17ROCPRIM_400000_NS6detail17trampoline_kernelINS0_14default_configENS1_25partition_config_selectorILNS1_17partition_subalgoE1EjNS0_10empty_typeEbEEZZNS1_14partition_implILS5_1ELb0ES3_jN6thrust23THRUST_200600_302600_NS6detail15normal_iteratorINSA_10device_ptrIjEEEEPS6_NSA_18transform_iteratorI7is_evenIjESF_NSA_11use_defaultESK_EENS0_5tupleIJNSA_16discard_iteratorISK_EESO_EEENSM_IJSG_SG_EEES6_PlJS6_EEE10hipError_tPvRmT3_T4_T5_T6_T7_T9_mT8_P12ihipStream_tbDpT10_ENKUlT_T0_E_clISt17integral_constantIbLb0EES1A_IbLb1EEEEDaS16_S17_EUlS16_E_NS1_11comp_targetILNS1_3genE4ELNS1_11target_archE910ELNS1_3gpuE8ELNS1_3repE0EEENS1_30default_config_static_selectorELNS0_4arch9wavefront6targetE1EEEvT1_,comdat
.Lfunc_end2997:
	.size	_ZN7rocprim17ROCPRIM_400000_NS6detail17trampoline_kernelINS0_14default_configENS1_25partition_config_selectorILNS1_17partition_subalgoE1EjNS0_10empty_typeEbEEZZNS1_14partition_implILS5_1ELb0ES3_jN6thrust23THRUST_200600_302600_NS6detail15normal_iteratorINSA_10device_ptrIjEEEEPS6_NSA_18transform_iteratorI7is_evenIjESF_NSA_11use_defaultESK_EENS0_5tupleIJNSA_16discard_iteratorISK_EESO_EEENSM_IJSG_SG_EEES6_PlJS6_EEE10hipError_tPvRmT3_T4_T5_T6_T7_T9_mT8_P12ihipStream_tbDpT10_ENKUlT_T0_E_clISt17integral_constantIbLb0EES1A_IbLb1EEEEDaS16_S17_EUlS16_E_NS1_11comp_targetILNS1_3genE4ELNS1_11target_archE910ELNS1_3gpuE8ELNS1_3repE0EEENS1_30default_config_static_selectorELNS0_4arch9wavefront6targetE1EEEvT1_, .Lfunc_end2997-_ZN7rocprim17ROCPRIM_400000_NS6detail17trampoline_kernelINS0_14default_configENS1_25partition_config_selectorILNS1_17partition_subalgoE1EjNS0_10empty_typeEbEEZZNS1_14partition_implILS5_1ELb0ES3_jN6thrust23THRUST_200600_302600_NS6detail15normal_iteratorINSA_10device_ptrIjEEEEPS6_NSA_18transform_iteratorI7is_evenIjESF_NSA_11use_defaultESK_EENS0_5tupleIJNSA_16discard_iteratorISK_EESO_EEENSM_IJSG_SG_EEES6_PlJS6_EEE10hipError_tPvRmT3_T4_T5_T6_T7_T9_mT8_P12ihipStream_tbDpT10_ENKUlT_T0_E_clISt17integral_constantIbLb0EES1A_IbLb1EEEEDaS16_S17_EUlS16_E_NS1_11comp_targetILNS1_3genE4ELNS1_11target_archE910ELNS1_3gpuE8ELNS1_3repE0EEENS1_30default_config_static_selectorELNS0_4arch9wavefront6targetE1EEEvT1_
                                        ; -- End function
	.section	.AMDGPU.csdata,"",@progbits
; Kernel info:
; codeLenInByte = 3944
; NumSgprs: 40
; NumVgprs: 48
; NumAgprs: 0
; TotalNumVgprs: 48
; ScratchSize: 0
; MemoryBound: 0
; FloatMode: 240
; IeeeMode: 1
; LDSByteSize: 7176 bytes/workgroup (compile time only)
; SGPRBlocks: 4
; VGPRBlocks: 5
; NumSGPRsForWavesPerEU: 40
; NumVGPRsForWavesPerEU: 48
; AccumOffset: 48
; Occupancy: 8
; WaveLimiterHint : 1
; COMPUTE_PGM_RSRC2:SCRATCH_EN: 0
; COMPUTE_PGM_RSRC2:USER_SGPR: 6
; COMPUTE_PGM_RSRC2:TRAP_HANDLER: 0
; COMPUTE_PGM_RSRC2:TGID_X_EN: 1
; COMPUTE_PGM_RSRC2:TGID_Y_EN: 0
; COMPUTE_PGM_RSRC2:TGID_Z_EN: 0
; COMPUTE_PGM_RSRC2:TIDIG_COMP_CNT: 0
; COMPUTE_PGM_RSRC3_GFX90A:ACCUM_OFFSET: 11
; COMPUTE_PGM_RSRC3_GFX90A:TG_SPLIT: 0
	.section	.text._ZN7rocprim17ROCPRIM_400000_NS6detail17trampoline_kernelINS0_14default_configENS1_25partition_config_selectorILNS1_17partition_subalgoE1EjNS0_10empty_typeEbEEZZNS1_14partition_implILS5_1ELb0ES3_jN6thrust23THRUST_200600_302600_NS6detail15normal_iteratorINSA_10device_ptrIjEEEEPS6_NSA_18transform_iteratorI7is_evenIjESF_NSA_11use_defaultESK_EENS0_5tupleIJNSA_16discard_iteratorISK_EESO_EEENSM_IJSG_SG_EEES6_PlJS6_EEE10hipError_tPvRmT3_T4_T5_T6_T7_T9_mT8_P12ihipStream_tbDpT10_ENKUlT_T0_E_clISt17integral_constantIbLb0EES1A_IbLb1EEEEDaS16_S17_EUlS16_E_NS1_11comp_targetILNS1_3genE3ELNS1_11target_archE908ELNS1_3gpuE7ELNS1_3repE0EEENS1_30default_config_static_selectorELNS0_4arch9wavefront6targetE1EEEvT1_,"axG",@progbits,_ZN7rocprim17ROCPRIM_400000_NS6detail17trampoline_kernelINS0_14default_configENS1_25partition_config_selectorILNS1_17partition_subalgoE1EjNS0_10empty_typeEbEEZZNS1_14partition_implILS5_1ELb0ES3_jN6thrust23THRUST_200600_302600_NS6detail15normal_iteratorINSA_10device_ptrIjEEEEPS6_NSA_18transform_iteratorI7is_evenIjESF_NSA_11use_defaultESK_EENS0_5tupleIJNSA_16discard_iteratorISK_EESO_EEENSM_IJSG_SG_EEES6_PlJS6_EEE10hipError_tPvRmT3_T4_T5_T6_T7_T9_mT8_P12ihipStream_tbDpT10_ENKUlT_T0_E_clISt17integral_constantIbLb0EES1A_IbLb1EEEEDaS16_S17_EUlS16_E_NS1_11comp_targetILNS1_3genE3ELNS1_11target_archE908ELNS1_3gpuE7ELNS1_3repE0EEENS1_30default_config_static_selectorELNS0_4arch9wavefront6targetE1EEEvT1_,comdat
	.protected	_ZN7rocprim17ROCPRIM_400000_NS6detail17trampoline_kernelINS0_14default_configENS1_25partition_config_selectorILNS1_17partition_subalgoE1EjNS0_10empty_typeEbEEZZNS1_14partition_implILS5_1ELb0ES3_jN6thrust23THRUST_200600_302600_NS6detail15normal_iteratorINSA_10device_ptrIjEEEEPS6_NSA_18transform_iteratorI7is_evenIjESF_NSA_11use_defaultESK_EENS0_5tupleIJNSA_16discard_iteratorISK_EESO_EEENSM_IJSG_SG_EEES6_PlJS6_EEE10hipError_tPvRmT3_T4_T5_T6_T7_T9_mT8_P12ihipStream_tbDpT10_ENKUlT_T0_E_clISt17integral_constantIbLb0EES1A_IbLb1EEEEDaS16_S17_EUlS16_E_NS1_11comp_targetILNS1_3genE3ELNS1_11target_archE908ELNS1_3gpuE7ELNS1_3repE0EEENS1_30default_config_static_selectorELNS0_4arch9wavefront6targetE1EEEvT1_ ; -- Begin function _ZN7rocprim17ROCPRIM_400000_NS6detail17trampoline_kernelINS0_14default_configENS1_25partition_config_selectorILNS1_17partition_subalgoE1EjNS0_10empty_typeEbEEZZNS1_14partition_implILS5_1ELb0ES3_jN6thrust23THRUST_200600_302600_NS6detail15normal_iteratorINSA_10device_ptrIjEEEEPS6_NSA_18transform_iteratorI7is_evenIjESF_NSA_11use_defaultESK_EENS0_5tupleIJNSA_16discard_iteratorISK_EESO_EEENSM_IJSG_SG_EEES6_PlJS6_EEE10hipError_tPvRmT3_T4_T5_T6_T7_T9_mT8_P12ihipStream_tbDpT10_ENKUlT_T0_E_clISt17integral_constantIbLb0EES1A_IbLb1EEEEDaS16_S17_EUlS16_E_NS1_11comp_targetILNS1_3genE3ELNS1_11target_archE908ELNS1_3gpuE7ELNS1_3repE0EEENS1_30default_config_static_selectorELNS0_4arch9wavefront6targetE1EEEvT1_
	.globl	_ZN7rocprim17ROCPRIM_400000_NS6detail17trampoline_kernelINS0_14default_configENS1_25partition_config_selectorILNS1_17partition_subalgoE1EjNS0_10empty_typeEbEEZZNS1_14partition_implILS5_1ELb0ES3_jN6thrust23THRUST_200600_302600_NS6detail15normal_iteratorINSA_10device_ptrIjEEEEPS6_NSA_18transform_iteratorI7is_evenIjESF_NSA_11use_defaultESK_EENS0_5tupleIJNSA_16discard_iteratorISK_EESO_EEENSM_IJSG_SG_EEES6_PlJS6_EEE10hipError_tPvRmT3_T4_T5_T6_T7_T9_mT8_P12ihipStream_tbDpT10_ENKUlT_T0_E_clISt17integral_constantIbLb0EES1A_IbLb1EEEEDaS16_S17_EUlS16_E_NS1_11comp_targetILNS1_3genE3ELNS1_11target_archE908ELNS1_3gpuE7ELNS1_3repE0EEENS1_30default_config_static_selectorELNS0_4arch9wavefront6targetE1EEEvT1_
	.p2align	8
	.type	_ZN7rocprim17ROCPRIM_400000_NS6detail17trampoline_kernelINS0_14default_configENS1_25partition_config_selectorILNS1_17partition_subalgoE1EjNS0_10empty_typeEbEEZZNS1_14partition_implILS5_1ELb0ES3_jN6thrust23THRUST_200600_302600_NS6detail15normal_iteratorINSA_10device_ptrIjEEEEPS6_NSA_18transform_iteratorI7is_evenIjESF_NSA_11use_defaultESK_EENS0_5tupleIJNSA_16discard_iteratorISK_EESO_EEENSM_IJSG_SG_EEES6_PlJS6_EEE10hipError_tPvRmT3_T4_T5_T6_T7_T9_mT8_P12ihipStream_tbDpT10_ENKUlT_T0_E_clISt17integral_constantIbLb0EES1A_IbLb1EEEEDaS16_S17_EUlS16_E_NS1_11comp_targetILNS1_3genE3ELNS1_11target_archE908ELNS1_3gpuE7ELNS1_3repE0EEENS1_30default_config_static_selectorELNS0_4arch9wavefront6targetE1EEEvT1_,@function
_ZN7rocprim17ROCPRIM_400000_NS6detail17trampoline_kernelINS0_14default_configENS1_25partition_config_selectorILNS1_17partition_subalgoE1EjNS0_10empty_typeEbEEZZNS1_14partition_implILS5_1ELb0ES3_jN6thrust23THRUST_200600_302600_NS6detail15normal_iteratorINSA_10device_ptrIjEEEEPS6_NSA_18transform_iteratorI7is_evenIjESF_NSA_11use_defaultESK_EENS0_5tupleIJNSA_16discard_iteratorISK_EESO_EEENSM_IJSG_SG_EEES6_PlJS6_EEE10hipError_tPvRmT3_T4_T5_T6_T7_T9_mT8_P12ihipStream_tbDpT10_ENKUlT_T0_E_clISt17integral_constantIbLb0EES1A_IbLb1EEEEDaS16_S17_EUlS16_E_NS1_11comp_targetILNS1_3genE3ELNS1_11target_archE908ELNS1_3gpuE7ELNS1_3repE0EEENS1_30default_config_static_selectorELNS0_4arch9wavefront6targetE1EEEvT1_: ; @_ZN7rocprim17ROCPRIM_400000_NS6detail17trampoline_kernelINS0_14default_configENS1_25partition_config_selectorILNS1_17partition_subalgoE1EjNS0_10empty_typeEbEEZZNS1_14partition_implILS5_1ELb0ES3_jN6thrust23THRUST_200600_302600_NS6detail15normal_iteratorINSA_10device_ptrIjEEEEPS6_NSA_18transform_iteratorI7is_evenIjESF_NSA_11use_defaultESK_EENS0_5tupleIJNSA_16discard_iteratorISK_EESO_EEENSM_IJSG_SG_EEES6_PlJS6_EEE10hipError_tPvRmT3_T4_T5_T6_T7_T9_mT8_P12ihipStream_tbDpT10_ENKUlT_T0_E_clISt17integral_constantIbLb0EES1A_IbLb1EEEEDaS16_S17_EUlS16_E_NS1_11comp_targetILNS1_3genE3ELNS1_11target_archE908ELNS1_3gpuE7ELNS1_3repE0EEENS1_30default_config_static_selectorELNS0_4arch9wavefront6targetE1EEEvT1_
; %bb.0:
	.section	.rodata,"a",@progbits
	.p2align	6, 0x0
	.amdhsa_kernel _ZN7rocprim17ROCPRIM_400000_NS6detail17trampoline_kernelINS0_14default_configENS1_25partition_config_selectorILNS1_17partition_subalgoE1EjNS0_10empty_typeEbEEZZNS1_14partition_implILS5_1ELb0ES3_jN6thrust23THRUST_200600_302600_NS6detail15normal_iteratorINSA_10device_ptrIjEEEEPS6_NSA_18transform_iteratorI7is_evenIjESF_NSA_11use_defaultESK_EENS0_5tupleIJNSA_16discard_iteratorISK_EESO_EEENSM_IJSG_SG_EEES6_PlJS6_EEE10hipError_tPvRmT3_T4_T5_T6_T7_T9_mT8_P12ihipStream_tbDpT10_ENKUlT_T0_E_clISt17integral_constantIbLb0EES1A_IbLb1EEEEDaS16_S17_EUlS16_E_NS1_11comp_targetILNS1_3genE3ELNS1_11target_archE908ELNS1_3gpuE7ELNS1_3repE0EEENS1_30default_config_static_selectorELNS0_4arch9wavefront6targetE1EEEvT1_
		.amdhsa_group_segment_fixed_size 0
		.amdhsa_private_segment_fixed_size 0
		.amdhsa_kernarg_size 160
		.amdhsa_user_sgpr_count 6
		.amdhsa_user_sgpr_private_segment_buffer 1
		.amdhsa_user_sgpr_dispatch_ptr 0
		.amdhsa_user_sgpr_queue_ptr 0
		.amdhsa_user_sgpr_kernarg_segment_ptr 1
		.amdhsa_user_sgpr_dispatch_id 0
		.amdhsa_user_sgpr_flat_scratch_init 0
		.amdhsa_user_sgpr_kernarg_preload_length 0
		.amdhsa_user_sgpr_kernarg_preload_offset 0
		.amdhsa_user_sgpr_private_segment_size 0
		.amdhsa_uses_dynamic_stack 0
		.amdhsa_system_sgpr_private_segment_wavefront_offset 0
		.amdhsa_system_sgpr_workgroup_id_x 1
		.amdhsa_system_sgpr_workgroup_id_y 0
		.amdhsa_system_sgpr_workgroup_id_z 0
		.amdhsa_system_sgpr_workgroup_info 0
		.amdhsa_system_vgpr_workitem_id 0
		.amdhsa_next_free_vgpr 1
		.amdhsa_next_free_sgpr 0
		.amdhsa_accum_offset 4
		.amdhsa_reserve_vcc 0
		.amdhsa_reserve_flat_scratch 0
		.amdhsa_float_round_mode_32 0
		.amdhsa_float_round_mode_16_64 0
		.amdhsa_float_denorm_mode_32 3
		.amdhsa_float_denorm_mode_16_64 3
		.amdhsa_dx10_clamp 1
		.amdhsa_ieee_mode 1
		.amdhsa_fp16_overflow 0
		.amdhsa_tg_split 0
		.amdhsa_exception_fp_ieee_invalid_op 0
		.amdhsa_exception_fp_denorm_src 0
		.amdhsa_exception_fp_ieee_div_zero 0
		.amdhsa_exception_fp_ieee_overflow 0
		.amdhsa_exception_fp_ieee_underflow 0
		.amdhsa_exception_fp_ieee_inexact 0
		.amdhsa_exception_int_div_zero 0
	.end_amdhsa_kernel
	.section	.text._ZN7rocprim17ROCPRIM_400000_NS6detail17trampoline_kernelINS0_14default_configENS1_25partition_config_selectorILNS1_17partition_subalgoE1EjNS0_10empty_typeEbEEZZNS1_14partition_implILS5_1ELb0ES3_jN6thrust23THRUST_200600_302600_NS6detail15normal_iteratorINSA_10device_ptrIjEEEEPS6_NSA_18transform_iteratorI7is_evenIjESF_NSA_11use_defaultESK_EENS0_5tupleIJNSA_16discard_iteratorISK_EESO_EEENSM_IJSG_SG_EEES6_PlJS6_EEE10hipError_tPvRmT3_T4_T5_T6_T7_T9_mT8_P12ihipStream_tbDpT10_ENKUlT_T0_E_clISt17integral_constantIbLb0EES1A_IbLb1EEEEDaS16_S17_EUlS16_E_NS1_11comp_targetILNS1_3genE3ELNS1_11target_archE908ELNS1_3gpuE7ELNS1_3repE0EEENS1_30default_config_static_selectorELNS0_4arch9wavefront6targetE1EEEvT1_,"axG",@progbits,_ZN7rocprim17ROCPRIM_400000_NS6detail17trampoline_kernelINS0_14default_configENS1_25partition_config_selectorILNS1_17partition_subalgoE1EjNS0_10empty_typeEbEEZZNS1_14partition_implILS5_1ELb0ES3_jN6thrust23THRUST_200600_302600_NS6detail15normal_iteratorINSA_10device_ptrIjEEEEPS6_NSA_18transform_iteratorI7is_evenIjESF_NSA_11use_defaultESK_EENS0_5tupleIJNSA_16discard_iteratorISK_EESO_EEENSM_IJSG_SG_EEES6_PlJS6_EEE10hipError_tPvRmT3_T4_T5_T6_T7_T9_mT8_P12ihipStream_tbDpT10_ENKUlT_T0_E_clISt17integral_constantIbLb0EES1A_IbLb1EEEEDaS16_S17_EUlS16_E_NS1_11comp_targetILNS1_3genE3ELNS1_11target_archE908ELNS1_3gpuE7ELNS1_3repE0EEENS1_30default_config_static_selectorELNS0_4arch9wavefront6targetE1EEEvT1_,comdat
.Lfunc_end2998:
	.size	_ZN7rocprim17ROCPRIM_400000_NS6detail17trampoline_kernelINS0_14default_configENS1_25partition_config_selectorILNS1_17partition_subalgoE1EjNS0_10empty_typeEbEEZZNS1_14partition_implILS5_1ELb0ES3_jN6thrust23THRUST_200600_302600_NS6detail15normal_iteratorINSA_10device_ptrIjEEEEPS6_NSA_18transform_iteratorI7is_evenIjESF_NSA_11use_defaultESK_EENS0_5tupleIJNSA_16discard_iteratorISK_EESO_EEENSM_IJSG_SG_EEES6_PlJS6_EEE10hipError_tPvRmT3_T4_T5_T6_T7_T9_mT8_P12ihipStream_tbDpT10_ENKUlT_T0_E_clISt17integral_constantIbLb0EES1A_IbLb1EEEEDaS16_S17_EUlS16_E_NS1_11comp_targetILNS1_3genE3ELNS1_11target_archE908ELNS1_3gpuE7ELNS1_3repE0EEENS1_30default_config_static_selectorELNS0_4arch9wavefront6targetE1EEEvT1_, .Lfunc_end2998-_ZN7rocprim17ROCPRIM_400000_NS6detail17trampoline_kernelINS0_14default_configENS1_25partition_config_selectorILNS1_17partition_subalgoE1EjNS0_10empty_typeEbEEZZNS1_14partition_implILS5_1ELb0ES3_jN6thrust23THRUST_200600_302600_NS6detail15normal_iteratorINSA_10device_ptrIjEEEEPS6_NSA_18transform_iteratorI7is_evenIjESF_NSA_11use_defaultESK_EENS0_5tupleIJNSA_16discard_iteratorISK_EESO_EEENSM_IJSG_SG_EEES6_PlJS6_EEE10hipError_tPvRmT3_T4_T5_T6_T7_T9_mT8_P12ihipStream_tbDpT10_ENKUlT_T0_E_clISt17integral_constantIbLb0EES1A_IbLb1EEEEDaS16_S17_EUlS16_E_NS1_11comp_targetILNS1_3genE3ELNS1_11target_archE908ELNS1_3gpuE7ELNS1_3repE0EEENS1_30default_config_static_selectorELNS0_4arch9wavefront6targetE1EEEvT1_
                                        ; -- End function
	.section	.AMDGPU.csdata,"",@progbits
; Kernel info:
; codeLenInByte = 0
; NumSgprs: 4
; NumVgprs: 0
; NumAgprs: 0
; TotalNumVgprs: 0
; ScratchSize: 0
; MemoryBound: 0
; FloatMode: 240
; IeeeMode: 1
; LDSByteSize: 0 bytes/workgroup (compile time only)
; SGPRBlocks: 0
; VGPRBlocks: 0
; NumSGPRsForWavesPerEU: 4
; NumVGPRsForWavesPerEU: 1
; AccumOffset: 4
; Occupancy: 8
; WaveLimiterHint : 0
; COMPUTE_PGM_RSRC2:SCRATCH_EN: 0
; COMPUTE_PGM_RSRC2:USER_SGPR: 6
; COMPUTE_PGM_RSRC2:TRAP_HANDLER: 0
; COMPUTE_PGM_RSRC2:TGID_X_EN: 1
; COMPUTE_PGM_RSRC2:TGID_Y_EN: 0
; COMPUTE_PGM_RSRC2:TGID_Z_EN: 0
; COMPUTE_PGM_RSRC2:TIDIG_COMP_CNT: 0
; COMPUTE_PGM_RSRC3_GFX90A:ACCUM_OFFSET: 0
; COMPUTE_PGM_RSRC3_GFX90A:TG_SPLIT: 0
	.section	.text._ZN7rocprim17ROCPRIM_400000_NS6detail17trampoline_kernelINS0_14default_configENS1_25partition_config_selectorILNS1_17partition_subalgoE1EjNS0_10empty_typeEbEEZZNS1_14partition_implILS5_1ELb0ES3_jN6thrust23THRUST_200600_302600_NS6detail15normal_iteratorINSA_10device_ptrIjEEEEPS6_NSA_18transform_iteratorI7is_evenIjESF_NSA_11use_defaultESK_EENS0_5tupleIJNSA_16discard_iteratorISK_EESO_EEENSM_IJSG_SG_EEES6_PlJS6_EEE10hipError_tPvRmT3_T4_T5_T6_T7_T9_mT8_P12ihipStream_tbDpT10_ENKUlT_T0_E_clISt17integral_constantIbLb0EES1A_IbLb1EEEEDaS16_S17_EUlS16_E_NS1_11comp_targetILNS1_3genE2ELNS1_11target_archE906ELNS1_3gpuE6ELNS1_3repE0EEENS1_30default_config_static_selectorELNS0_4arch9wavefront6targetE1EEEvT1_,"axG",@progbits,_ZN7rocprim17ROCPRIM_400000_NS6detail17trampoline_kernelINS0_14default_configENS1_25partition_config_selectorILNS1_17partition_subalgoE1EjNS0_10empty_typeEbEEZZNS1_14partition_implILS5_1ELb0ES3_jN6thrust23THRUST_200600_302600_NS6detail15normal_iteratorINSA_10device_ptrIjEEEEPS6_NSA_18transform_iteratorI7is_evenIjESF_NSA_11use_defaultESK_EENS0_5tupleIJNSA_16discard_iteratorISK_EESO_EEENSM_IJSG_SG_EEES6_PlJS6_EEE10hipError_tPvRmT3_T4_T5_T6_T7_T9_mT8_P12ihipStream_tbDpT10_ENKUlT_T0_E_clISt17integral_constantIbLb0EES1A_IbLb1EEEEDaS16_S17_EUlS16_E_NS1_11comp_targetILNS1_3genE2ELNS1_11target_archE906ELNS1_3gpuE6ELNS1_3repE0EEENS1_30default_config_static_selectorELNS0_4arch9wavefront6targetE1EEEvT1_,comdat
	.protected	_ZN7rocprim17ROCPRIM_400000_NS6detail17trampoline_kernelINS0_14default_configENS1_25partition_config_selectorILNS1_17partition_subalgoE1EjNS0_10empty_typeEbEEZZNS1_14partition_implILS5_1ELb0ES3_jN6thrust23THRUST_200600_302600_NS6detail15normal_iteratorINSA_10device_ptrIjEEEEPS6_NSA_18transform_iteratorI7is_evenIjESF_NSA_11use_defaultESK_EENS0_5tupleIJNSA_16discard_iteratorISK_EESO_EEENSM_IJSG_SG_EEES6_PlJS6_EEE10hipError_tPvRmT3_T4_T5_T6_T7_T9_mT8_P12ihipStream_tbDpT10_ENKUlT_T0_E_clISt17integral_constantIbLb0EES1A_IbLb1EEEEDaS16_S17_EUlS16_E_NS1_11comp_targetILNS1_3genE2ELNS1_11target_archE906ELNS1_3gpuE6ELNS1_3repE0EEENS1_30default_config_static_selectorELNS0_4arch9wavefront6targetE1EEEvT1_ ; -- Begin function _ZN7rocprim17ROCPRIM_400000_NS6detail17trampoline_kernelINS0_14default_configENS1_25partition_config_selectorILNS1_17partition_subalgoE1EjNS0_10empty_typeEbEEZZNS1_14partition_implILS5_1ELb0ES3_jN6thrust23THRUST_200600_302600_NS6detail15normal_iteratorINSA_10device_ptrIjEEEEPS6_NSA_18transform_iteratorI7is_evenIjESF_NSA_11use_defaultESK_EENS0_5tupleIJNSA_16discard_iteratorISK_EESO_EEENSM_IJSG_SG_EEES6_PlJS6_EEE10hipError_tPvRmT3_T4_T5_T6_T7_T9_mT8_P12ihipStream_tbDpT10_ENKUlT_T0_E_clISt17integral_constantIbLb0EES1A_IbLb1EEEEDaS16_S17_EUlS16_E_NS1_11comp_targetILNS1_3genE2ELNS1_11target_archE906ELNS1_3gpuE6ELNS1_3repE0EEENS1_30default_config_static_selectorELNS0_4arch9wavefront6targetE1EEEvT1_
	.globl	_ZN7rocprim17ROCPRIM_400000_NS6detail17trampoline_kernelINS0_14default_configENS1_25partition_config_selectorILNS1_17partition_subalgoE1EjNS0_10empty_typeEbEEZZNS1_14partition_implILS5_1ELb0ES3_jN6thrust23THRUST_200600_302600_NS6detail15normal_iteratorINSA_10device_ptrIjEEEEPS6_NSA_18transform_iteratorI7is_evenIjESF_NSA_11use_defaultESK_EENS0_5tupleIJNSA_16discard_iteratorISK_EESO_EEENSM_IJSG_SG_EEES6_PlJS6_EEE10hipError_tPvRmT3_T4_T5_T6_T7_T9_mT8_P12ihipStream_tbDpT10_ENKUlT_T0_E_clISt17integral_constantIbLb0EES1A_IbLb1EEEEDaS16_S17_EUlS16_E_NS1_11comp_targetILNS1_3genE2ELNS1_11target_archE906ELNS1_3gpuE6ELNS1_3repE0EEENS1_30default_config_static_selectorELNS0_4arch9wavefront6targetE1EEEvT1_
	.p2align	8
	.type	_ZN7rocprim17ROCPRIM_400000_NS6detail17trampoline_kernelINS0_14default_configENS1_25partition_config_selectorILNS1_17partition_subalgoE1EjNS0_10empty_typeEbEEZZNS1_14partition_implILS5_1ELb0ES3_jN6thrust23THRUST_200600_302600_NS6detail15normal_iteratorINSA_10device_ptrIjEEEEPS6_NSA_18transform_iteratorI7is_evenIjESF_NSA_11use_defaultESK_EENS0_5tupleIJNSA_16discard_iteratorISK_EESO_EEENSM_IJSG_SG_EEES6_PlJS6_EEE10hipError_tPvRmT3_T4_T5_T6_T7_T9_mT8_P12ihipStream_tbDpT10_ENKUlT_T0_E_clISt17integral_constantIbLb0EES1A_IbLb1EEEEDaS16_S17_EUlS16_E_NS1_11comp_targetILNS1_3genE2ELNS1_11target_archE906ELNS1_3gpuE6ELNS1_3repE0EEENS1_30default_config_static_selectorELNS0_4arch9wavefront6targetE1EEEvT1_,@function
_ZN7rocprim17ROCPRIM_400000_NS6detail17trampoline_kernelINS0_14default_configENS1_25partition_config_selectorILNS1_17partition_subalgoE1EjNS0_10empty_typeEbEEZZNS1_14partition_implILS5_1ELb0ES3_jN6thrust23THRUST_200600_302600_NS6detail15normal_iteratorINSA_10device_ptrIjEEEEPS6_NSA_18transform_iteratorI7is_evenIjESF_NSA_11use_defaultESK_EENS0_5tupleIJNSA_16discard_iteratorISK_EESO_EEENSM_IJSG_SG_EEES6_PlJS6_EEE10hipError_tPvRmT3_T4_T5_T6_T7_T9_mT8_P12ihipStream_tbDpT10_ENKUlT_T0_E_clISt17integral_constantIbLb0EES1A_IbLb1EEEEDaS16_S17_EUlS16_E_NS1_11comp_targetILNS1_3genE2ELNS1_11target_archE906ELNS1_3gpuE6ELNS1_3repE0EEENS1_30default_config_static_selectorELNS0_4arch9wavefront6targetE1EEEvT1_: ; @_ZN7rocprim17ROCPRIM_400000_NS6detail17trampoline_kernelINS0_14default_configENS1_25partition_config_selectorILNS1_17partition_subalgoE1EjNS0_10empty_typeEbEEZZNS1_14partition_implILS5_1ELb0ES3_jN6thrust23THRUST_200600_302600_NS6detail15normal_iteratorINSA_10device_ptrIjEEEEPS6_NSA_18transform_iteratorI7is_evenIjESF_NSA_11use_defaultESK_EENS0_5tupleIJNSA_16discard_iteratorISK_EESO_EEENSM_IJSG_SG_EEES6_PlJS6_EEE10hipError_tPvRmT3_T4_T5_T6_T7_T9_mT8_P12ihipStream_tbDpT10_ENKUlT_T0_E_clISt17integral_constantIbLb0EES1A_IbLb1EEEEDaS16_S17_EUlS16_E_NS1_11comp_targetILNS1_3genE2ELNS1_11target_archE906ELNS1_3gpuE6ELNS1_3repE0EEENS1_30default_config_static_selectorELNS0_4arch9wavefront6targetE1EEEvT1_
; %bb.0:
	.section	.rodata,"a",@progbits
	.p2align	6, 0x0
	.amdhsa_kernel _ZN7rocprim17ROCPRIM_400000_NS6detail17trampoline_kernelINS0_14default_configENS1_25partition_config_selectorILNS1_17partition_subalgoE1EjNS0_10empty_typeEbEEZZNS1_14partition_implILS5_1ELb0ES3_jN6thrust23THRUST_200600_302600_NS6detail15normal_iteratorINSA_10device_ptrIjEEEEPS6_NSA_18transform_iteratorI7is_evenIjESF_NSA_11use_defaultESK_EENS0_5tupleIJNSA_16discard_iteratorISK_EESO_EEENSM_IJSG_SG_EEES6_PlJS6_EEE10hipError_tPvRmT3_T4_T5_T6_T7_T9_mT8_P12ihipStream_tbDpT10_ENKUlT_T0_E_clISt17integral_constantIbLb0EES1A_IbLb1EEEEDaS16_S17_EUlS16_E_NS1_11comp_targetILNS1_3genE2ELNS1_11target_archE906ELNS1_3gpuE6ELNS1_3repE0EEENS1_30default_config_static_selectorELNS0_4arch9wavefront6targetE1EEEvT1_
		.amdhsa_group_segment_fixed_size 0
		.amdhsa_private_segment_fixed_size 0
		.amdhsa_kernarg_size 160
		.amdhsa_user_sgpr_count 6
		.amdhsa_user_sgpr_private_segment_buffer 1
		.amdhsa_user_sgpr_dispatch_ptr 0
		.amdhsa_user_sgpr_queue_ptr 0
		.amdhsa_user_sgpr_kernarg_segment_ptr 1
		.amdhsa_user_sgpr_dispatch_id 0
		.amdhsa_user_sgpr_flat_scratch_init 0
		.amdhsa_user_sgpr_kernarg_preload_length 0
		.amdhsa_user_sgpr_kernarg_preload_offset 0
		.amdhsa_user_sgpr_private_segment_size 0
		.amdhsa_uses_dynamic_stack 0
		.amdhsa_system_sgpr_private_segment_wavefront_offset 0
		.amdhsa_system_sgpr_workgroup_id_x 1
		.amdhsa_system_sgpr_workgroup_id_y 0
		.amdhsa_system_sgpr_workgroup_id_z 0
		.amdhsa_system_sgpr_workgroup_info 0
		.amdhsa_system_vgpr_workitem_id 0
		.amdhsa_next_free_vgpr 1
		.amdhsa_next_free_sgpr 0
		.amdhsa_accum_offset 4
		.amdhsa_reserve_vcc 0
		.amdhsa_reserve_flat_scratch 0
		.amdhsa_float_round_mode_32 0
		.amdhsa_float_round_mode_16_64 0
		.amdhsa_float_denorm_mode_32 3
		.amdhsa_float_denorm_mode_16_64 3
		.amdhsa_dx10_clamp 1
		.amdhsa_ieee_mode 1
		.amdhsa_fp16_overflow 0
		.amdhsa_tg_split 0
		.amdhsa_exception_fp_ieee_invalid_op 0
		.amdhsa_exception_fp_denorm_src 0
		.amdhsa_exception_fp_ieee_div_zero 0
		.amdhsa_exception_fp_ieee_overflow 0
		.amdhsa_exception_fp_ieee_underflow 0
		.amdhsa_exception_fp_ieee_inexact 0
		.amdhsa_exception_int_div_zero 0
	.end_amdhsa_kernel
	.section	.text._ZN7rocprim17ROCPRIM_400000_NS6detail17trampoline_kernelINS0_14default_configENS1_25partition_config_selectorILNS1_17partition_subalgoE1EjNS0_10empty_typeEbEEZZNS1_14partition_implILS5_1ELb0ES3_jN6thrust23THRUST_200600_302600_NS6detail15normal_iteratorINSA_10device_ptrIjEEEEPS6_NSA_18transform_iteratorI7is_evenIjESF_NSA_11use_defaultESK_EENS0_5tupleIJNSA_16discard_iteratorISK_EESO_EEENSM_IJSG_SG_EEES6_PlJS6_EEE10hipError_tPvRmT3_T4_T5_T6_T7_T9_mT8_P12ihipStream_tbDpT10_ENKUlT_T0_E_clISt17integral_constantIbLb0EES1A_IbLb1EEEEDaS16_S17_EUlS16_E_NS1_11comp_targetILNS1_3genE2ELNS1_11target_archE906ELNS1_3gpuE6ELNS1_3repE0EEENS1_30default_config_static_selectorELNS0_4arch9wavefront6targetE1EEEvT1_,"axG",@progbits,_ZN7rocprim17ROCPRIM_400000_NS6detail17trampoline_kernelINS0_14default_configENS1_25partition_config_selectorILNS1_17partition_subalgoE1EjNS0_10empty_typeEbEEZZNS1_14partition_implILS5_1ELb0ES3_jN6thrust23THRUST_200600_302600_NS6detail15normal_iteratorINSA_10device_ptrIjEEEEPS6_NSA_18transform_iteratorI7is_evenIjESF_NSA_11use_defaultESK_EENS0_5tupleIJNSA_16discard_iteratorISK_EESO_EEENSM_IJSG_SG_EEES6_PlJS6_EEE10hipError_tPvRmT3_T4_T5_T6_T7_T9_mT8_P12ihipStream_tbDpT10_ENKUlT_T0_E_clISt17integral_constantIbLb0EES1A_IbLb1EEEEDaS16_S17_EUlS16_E_NS1_11comp_targetILNS1_3genE2ELNS1_11target_archE906ELNS1_3gpuE6ELNS1_3repE0EEENS1_30default_config_static_selectorELNS0_4arch9wavefront6targetE1EEEvT1_,comdat
.Lfunc_end2999:
	.size	_ZN7rocprim17ROCPRIM_400000_NS6detail17trampoline_kernelINS0_14default_configENS1_25partition_config_selectorILNS1_17partition_subalgoE1EjNS0_10empty_typeEbEEZZNS1_14partition_implILS5_1ELb0ES3_jN6thrust23THRUST_200600_302600_NS6detail15normal_iteratorINSA_10device_ptrIjEEEEPS6_NSA_18transform_iteratorI7is_evenIjESF_NSA_11use_defaultESK_EENS0_5tupleIJNSA_16discard_iteratorISK_EESO_EEENSM_IJSG_SG_EEES6_PlJS6_EEE10hipError_tPvRmT3_T4_T5_T6_T7_T9_mT8_P12ihipStream_tbDpT10_ENKUlT_T0_E_clISt17integral_constantIbLb0EES1A_IbLb1EEEEDaS16_S17_EUlS16_E_NS1_11comp_targetILNS1_3genE2ELNS1_11target_archE906ELNS1_3gpuE6ELNS1_3repE0EEENS1_30default_config_static_selectorELNS0_4arch9wavefront6targetE1EEEvT1_, .Lfunc_end2999-_ZN7rocprim17ROCPRIM_400000_NS6detail17trampoline_kernelINS0_14default_configENS1_25partition_config_selectorILNS1_17partition_subalgoE1EjNS0_10empty_typeEbEEZZNS1_14partition_implILS5_1ELb0ES3_jN6thrust23THRUST_200600_302600_NS6detail15normal_iteratorINSA_10device_ptrIjEEEEPS6_NSA_18transform_iteratorI7is_evenIjESF_NSA_11use_defaultESK_EENS0_5tupleIJNSA_16discard_iteratorISK_EESO_EEENSM_IJSG_SG_EEES6_PlJS6_EEE10hipError_tPvRmT3_T4_T5_T6_T7_T9_mT8_P12ihipStream_tbDpT10_ENKUlT_T0_E_clISt17integral_constantIbLb0EES1A_IbLb1EEEEDaS16_S17_EUlS16_E_NS1_11comp_targetILNS1_3genE2ELNS1_11target_archE906ELNS1_3gpuE6ELNS1_3repE0EEENS1_30default_config_static_selectorELNS0_4arch9wavefront6targetE1EEEvT1_
                                        ; -- End function
	.section	.AMDGPU.csdata,"",@progbits
; Kernel info:
; codeLenInByte = 0
; NumSgprs: 4
; NumVgprs: 0
; NumAgprs: 0
; TotalNumVgprs: 0
; ScratchSize: 0
; MemoryBound: 0
; FloatMode: 240
; IeeeMode: 1
; LDSByteSize: 0 bytes/workgroup (compile time only)
; SGPRBlocks: 0
; VGPRBlocks: 0
; NumSGPRsForWavesPerEU: 4
; NumVGPRsForWavesPerEU: 1
; AccumOffset: 4
; Occupancy: 8
; WaveLimiterHint : 0
; COMPUTE_PGM_RSRC2:SCRATCH_EN: 0
; COMPUTE_PGM_RSRC2:USER_SGPR: 6
; COMPUTE_PGM_RSRC2:TRAP_HANDLER: 0
; COMPUTE_PGM_RSRC2:TGID_X_EN: 1
; COMPUTE_PGM_RSRC2:TGID_Y_EN: 0
; COMPUTE_PGM_RSRC2:TGID_Z_EN: 0
; COMPUTE_PGM_RSRC2:TIDIG_COMP_CNT: 0
; COMPUTE_PGM_RSRC3_GFX90A:ACCUM_OFFSET: 0
; COMPUTE_PGM_RSRC3_GFX90A:TG_SPLIT: 0
	.section	.text._ZN7rocprim17ROCPRIM_400000_NS6detail17trampoline_kernelINS0_14default_configENS1_25partition_config_selectorILNS1_17partition_subalgoE1EjNS0_10empty_typeEbEEZZNS1_14partition_implILS5_1ELb0ES3_jN6thrust23THRUST_200600_302600_NS6detail15normal_iteratorINSA_10device_ptrIjEEEEPS6_NSA_18transform_iteratorI7is_evenIjESF_NSA_11use_defaultESK_EENS0_5tupleIJNSA_16discard_iteratorISK_EESO_EEENSM_IJSG_SG_EEES6_PlJS6_EEE10hipError_tPvRmT3_T4_T5_T6_T7_T9_mT8_P12ihipStream_tbDpT10_ENKUlT_T0_E_clISt17integral_constantIbLb0EES1A_IbLb1EEEEDaS16_S17_EUlS16_E_NS1_11comp_targetILNS1_3genE10ELNS1_11target_archE1200ELNS1_3gpuE4ELNS1_3repE0EEENS1_30default_config_static_selectorELNS0_4arch9wavefront6targetE1EEEvT1_,"axG",@progbits,_ZN7rocprim17ROCPRIM_400000_NS6detail17trampoline_kernelINS0_14default_configENS1_25partition_config_selectorILNS1_17partition_subalgoE1EjNS0_10empty_typeEbEEZZNS1_14partition_implILS5_1ELb0ES3_jN6thrust23THRUST_200600_302600_NS6detail15normal_iteratorINSA_10device_ptrIjEEEEPS6_NSA_18transform_iteratorI7is_evenIjESF_NSA_11use_defaultESK_EENS0_5tupleIJNSA_16discard_iteratorISK_EESO_EEENSM_IJSG_SG_EEES6_PlJS6_EEE10hipError_tPvRmT3_T4_T5_T6_T7_T9_mT8_P12ihipStream_tbDpT10_ENKUlT_T0_E_clISt17integral_constantIbLb0EES1A_IbLb1EEEEDaS16_S17_EUlS16_E_NS1_11comp_targetILNS1_3genE10ELNS1_11target_archE1200ELNS1_3gpuE4ELNS1_3repE0EEENS1_30default_config_static_selectorELNS0_4arch9wavefront6targetE1EEEvT1_,comdat
	.protected	_ZN7rocprim17ROCPRIM_400000_NS6detail17trampoline_kernelINS0_14default_configENS1_25partition_config_selectorILNS1_17partition_subalgoE1EjNS0_10empty_typeEbEEZZNS1_14partition_implILS5_1ELb0ES3_jN6thrust23THRUST_200600_302600_NS6detail15normal_iteratorINSA_10device_ptrIjEEEEPS6_NSA_18transform_iteratorI7is_evenIjESF_NSA_11use_defaultESK_EENS0_5tupleIJNSA_16discard_iteratorISK_EESO_EEENSM_IJSG_SG_EEES6_PlJS6_EEE10hipError_tPvRmT3_T4_T5_T6_T7_T9_mT8_P12ihipStream_tbDpT10_ENKUlT_T0_E_clISt17integral_constantIbLb0EES1A_IbLb1EEEEDaS16_S17_EUlS16_E_NS1_11comp_targetILNS1_3genE10ELNS1_11target_archE1200ELNS1_3gpuE4ELNS1_3repE0EEENS1_30default_config_static_selectorELNS0_4arch9wavefront6targetE1EEEvT1_ ; -- Begin function _ZN7rocprim17ROCPRIM_400000_NS6detail17trampoline_kernelINS0_14default_configENS1_25partition_config_selectorILNS1_17partition_subalgoE1EjNS0_10empty_typeEbEEZZNS1_14partition_implILS5_1ELb0ES3_jN6thrust23THRUST_200600_302600_NS6detail15normal_iteratorINSA_10device_ptrIjEEEEPS6_NSA_18transform_iteratorI7is_evenIjESF_NSA_11use_defaultESK_EENS0_5tupleIJNSA_16discard_iteratorISK_EESO_EEENSM_IJSG_SG_EEES6_PlJS6_EEE10hipError_tPvRmT3_T4_T5_T6_T7_T9_mT8_P12ihipStream_tbDpT10_ENKUlT_T0_E_clISt17integral_constantIbLb0EES1A_IbLb1EEEEDaS16_S17_EUlS16_E_NS1_11comp_targetILNS1_3genE10ELNS1_11target_archE1200ELNS1_3gpuE4ELNS1_3repE0EEENS1_30default_config_static_selectorELNS0_4arch9wavefront6targetE1EEEvT1_
	.globl	_ZN7rocprim17ROCPRIM_400000_NS6detail17trampoline_kernelINS0_14default_configENS1_25partition_config_selectorILNS1_17partition_subalgoE1EjNS0_10empty_typeEbEEZZNS1_14partition_implILS5_1ELb0ES3_jN6thrust23THRUST_200600_302600_NS6detail15normal_iteratorINSA_10device_ptrIjEEEEPS6_NSA_18transform_iteratorI7is_evenIjESF_NSA_11use_defaultESK_EENS0_5tupleIJNSA_16discard_iteratorISK_EESO_EEENSM_IJSG_SG_EEES6_PlJS6_EEE10hipError_tPvRmT3_T4_T5_T6_T7_T9_mT8_P12ihipStream_tbDpT10_ENKUlT_T0_E_clISt17integral_constantIbLb0EES1A_IbLb1EEEEDaS16_S17_EUlS16_E_NS1_11comp_targetILNS1_3genE10ELNS1_11target_archE1200ELNS1_3gpuE4ELNS1_3repE0EEENS1_30default_config_static_selectorELNS0_4arch9wavefront6targetE1EEEvT1_
	.p2align	8
	.type	_ZN7rocprim17ROCPRIM_400000_NS6detail17trampoline_kernelINS0_14default_configENS1_25partition_config_selectorILNS1_17partition_subalgoE1EjNS0_10empty_typeEbEEZZNS1_14partition_implILS5_1ELb0ES3_jN6thrust23THRUST_200600_302600_NS6detail15normal_iteratorINSA_10device_ptrIjEEEEPS6_NSA_18transform_iteratorI7is_evenIjESF_NSA_11use_defaultESK_EENS0_5tupleIJNSA_16discard_iteratorISK_EESO_EEENSM_IJSG_SG_EEES6_PlJS6_EEE10hipError_tPvRmT3_T4_T5_T6_T7_T9_mT8_P12ihipStream_tbDpT10_ENKUlT_T0_E_clISt17integral_constantIbLb0EES1A_IbLb1EEEEDaS16_S17_EUlS16_E_NS1_11comp_targetILNS1_3genE10ELNS1_11target_archE1200ELNS1_3gpuE4ELNS1_3repE0EEENS1_30default_config_static_selectorELNS0_4arch9wavefront6targetE1EEEvT1_,@function
_ZN7rocprim17ROCPRIM_400000_NS6detail17trampoline_kernelINS0_14default_configENS1_25partition_config_selectorILNS1_17partition_subalgoE1EjNS0_10empty_typeEbEEZZNS1_14partition_implILS5_1ELb0ES3_jN6thrust23THRUST_200600_302600_NS6detail15normal_iteratorINSA_10device_ptrIjEEEEPS6_NSA_18transform_iteratorI7is_evenIjESF_NSA_11use_defaultESK_EENS0_5tupleIJNSA_16discard_iteratorISK_EESO_EEENSM_IJSG_SG_EEES6_PlJS6_EEE10hipError_tPvRmT3_T4_T5_T6_T7_T9_mT8_P12ihipStream_tbDpT10_ENKUlT_T0_E_clISt17integral_constantIbLb0EES1A_IbLb1EEEEDaS16_S17_EUlS16_E_NS1_11comp_targetILNS1_3genE10ELNS1_11target_archE1200ELNS1_3gpuE4ELNS1_3repE0EEENS1_30default_config_static_selectorELNS0_4arch9wavefront6targetE1EEEvT1_: ; @_ZN7rocprim17ROCPRIM_400000_NS6detail17trampoline_kernelINS0_14default_configENS1_25partition_config_selectorILNS1_17partition_subalgoE1EjNS0_10empty_typeEbEEZZNS1_14partition_implILS5_1ELb0ES3_jN6thrust23THRUST_200600_302600_NS6detail15normal_iteratorINSA_10device_ptrIjEEEEPS6_NSA_18transform_iteratorI7is_evenIjESF_NSA_11use_defaultESK_EENS0_5tupleIJNSA_16discard_iteratorISK_EESO_EEENSM_IJSG_SG_EEES6_PlJS6_EEE10hipError_tPvRmT3_T4_T5_T6_T7_T9_mT8_P12ihipStream_tbDpT10_ENKUlT_T0_E_clISt17integral_constantIbLb0EES1A_IbLb1EEEEDaS16_S17_EUlS16_E_NS1_11comp_targetILNS1_3genE10ELNS1_11target_archE1200ELNS1_3gpuE4ELNS1_3repE0EEENS1_30default_config_static_selectorELNS0_4arch9wavefront6targetE1EEEvT1_
; %bb.0:
	.section	.rodata,"a",@progbits
	.p2align	6, 0x0
	.amdhsa_kernel _ZN7rocprim17ROCPRIM_400000_NS6detail17trampoline_kernelINS0_14default_configENS1_25partition_config_selectorILNS1_17partition_subalgoE1EjNS0_10empty_typeEbEEZZNS1_14partition_implILS5_1ELb0ES3_jN6thrust23THRUST_200600_302600_NS6detail15normal_iteratorINSA_10device_ptrIjEEEEPS6_NSA_18transform_iteratorI7is_evenIjESF_NSA_11use_defaultESK_EENS0_5tupleIJNSA_16discard_iteratorISK_EESO_EEENSM_IJSG_SG_EEES6_PlJS6_EEE10hipError_tPvRmT3_T4_T5_T6_T7_T9_mT8_P12ihipStream_tbDpT10_ENKUlT_T0_E_clISt17integral_constantIbLb0EES1A_IbLb1EEEEDaS16_S17_EUlS16_E_NS1_11comp_targetILNS1_3genE10ELNS1_11target_archE1200ELNS1_3gpuE4ELNS1_3repE0EEENS1_30default_config_static_selectorELNS0_4arch9wavefront6targetE1EEEvT1_
		.amdhsa_group_segment_fixed_size 0
		.amdhsa_private_segment_fixed_size 0
		.amdhsa_kernarg_size 160
		.amdhsa_user_sgpr_count 6
		.amdhsa_user_sgpr_private_segment_buffer 1
		.amdhsa_user_sgpr_dispatch_ptr 0
		.amdhsa_user_sgpr_queue_ptr 0
		.amdhsa_user_sgpr_kernarg_segment_ptr 1
		.amdhsa_user_sgpr_dispatch_id 0
		.amdhsa_user_sgpr_flat_scratch_init 0
		.amdhsa_user_sgpr_kernarg_preload_length 0
		.amdhsa_user_sgpr_kernarg_preload_offset 0
		.amdhsa_user_sgpr_private_segment_size 0
		.amdhsa_uses_dynamic_stack 0
		.amdhsa_system_sgpr_private_segment_wavefront_offset 0
		.amdhsa_system_sgpr_workgroup_id_x 1
		.amdhsa_system_sgpr_workgroup_id_y 0
		.amdhsa_system_sgpr_workgroup_id_z 0
		.amdhsa_system_sgpr_workgroup_info 0
		.amdhsa_system_vgpr_workitem_id 0
		.amdhsa_next_free_vgpr 1
		.amdhsa_next_free_sgpr 0
		.amdhsa_accum_offset 4
		.amdhsa_reserve_vcc 0
		.amdhsa_reserve_flat_scratch 0
		.amdhsa_float_round_mode_32 0
		.amdhsa_float_round_mode_16_64 0
		.amdhsa_float_denorm_mode_32 3
		.amdhsa_float_denorm_mode_16_64 3
		.amdhsa_dx10_clamp 1
		.amdhsa_ieee_mode 1
		.amdhsa_fp16_overflow 0
		.amdhsa_tg_split 0
		.amdhsa_exception_fp_ieee_invalid_op 0
		.amdhsa_exception_fp_denorm_src 0
		.amdhsa_exception_fp_ieee_div_zero 0
		.amdhsa_exception_fp_ieee_overflow 0
		.amdhsa_exception_fp_ieee_underflow 0
		.amdhsa_exception_fp_ieee_inexact 0
		.amdhsa_exception_int_div_zero 0
	.end_amdhsa_kernel
	.section	.text._ZN7rocprim17ROCPRIM_400000_NS6detail17trampoline_kernelINS0_14default_configENS1_25partition_config_selectorILNS1_17partition_subalgoE1EjNS0_10empty_typeEbEEZZNS1_14partition_implILS5_1ELb0ES3_jN6thrust23THRUST_200600_302600_NS6detail15normal_iteratorINSA_10device_ptrIjEEEEPS6_NSA_18transform_iteratorI7is_evenIjESF_NSA_11use_defaultESK_EENS0_5tupleIJNSA_16discard_iteratorISK_EESO_EEENSM_IJSG_SG_EEES6_PlJS6_EEE10hipError_tPvRmT3_T4_T5_T6_T7_T9_mT8_P12ihipStream_tbDpT10_ENKUlT_T0_E_clISt17integral_constantIbLb0EES1A_IbLb1EEEEDaS16_S17_EUlS16_E_NS1_11comp_targetILNS1_3genE10ELNS1_11target_archE1200ELNS1_3gpuE4ELNS1_3repE0EEENS1_30default_config_static_selectorELNS0_4arch9wavefront6targetE1EEEvT1_,"axG",@progbits,_ZN7rocprim17ROCPRIM_400000_NS6detail17trampoline_kernelINS0_14default_configENS1_25partition_config_selectorILNS1_17partition_subalgoE1EjNS0_10empty_typeEbEEZZNS1_14partition_implILS5_1ELb0ES3_jN6thrust23THRUST_200600_302600_NS6detail15normal_iteratorINSA_10device_ptrIjEEEEPS6_NSA_18transform_iteratorI7is_evenIjESF_NSA_11use_defaultESK_EENS0_5tupleIJNSA_16discard_iteratorISK_EESO_EEENSM_IJSG_SG_EEES6_PlJS6_EEE10hipError_tPvRmT3_T4_T5_T6_T7_T9_mT8_P12ihipStream_tbDpT10_ENKUlT_T0_E_clISt17integral_constantIbLb0EES1A_IbLb1EEEEDaS16_S17_EUlS16_E_NS1_11comp_targetILNS1_3genE10ELNS1_11target_archE1200ELNS1_3gpuE4ELNS1_3repE0EEENS1_30default_config_static_selectorELNS0_4arch9wavefront6targetE1EEEvT1_,comdat
.Lfunc_end3000:
	.size	_ZN7rocprim17ROCPRIM_400000_NS6detail17trampoline_kernelINS0_14default_configENS1_25partition_config_selectorILNS1_17partition_subalgoE1EjNS0_10empty_typeEbEEZZNS1_14partition_implILS5_1ELb0ES3_jN6thrust23THRUST_200600_302600_NS6detail15normal_iteratorINSA_10device_ptrIjEEEEPS6_NSA_18transform_iteratorI7is_evenIjESF_NSA_11use_defaultESK_EENS0_5tupleIJNSA_16discard_iteratorISK_EESO_EEENSM_IJSG_SG_EEES6_PlJS6_EEE10hipError_tPvRmT3_T4_T5_T6_T7_T9_mT8_P12ihipStream_tbDpT10_ENKUlT_T0_E_clISt17integral_constantIbLb0EES1A_IbLb1EEEEDaS16_S17_EUlS16_E_NS1_11comp_targetILNS1_3genE10ELNS1_11target_archE1200ELNS1_3gpuE4ELNS1_3repE0EEENS1_30default_config_static_selectorELNS0_4arch9wavefront6targetE1EEEvT1_, .Lfunc_end3000-_ZN7rocprim17ROCPRIM_400000_NS6detail17trampoline_kernelINS0_14default_configENS1_25partition_config_selectorILNS1_17partition_subalgoE1EjNS0_10empty_typeEbEEZZNS1_14partition_implILS5_1ELb0ES3_jN6thrust23THRUST_200600_302600_NS6detail15normal_iteratorINSA_10device_ptrIjEEEEPS6_NSA_18transform_iteratorI7is_evenIjESF_NSA_11use_defaultESK_EENS0_5tupleIJNSA_16discard_iteratorISK_EESO_EEENSM_IJSG_SG_EEES6_PlJS6_EEE10hipError_tPvRmT3_T4_T5_T6_T7_T9_mT8_P12ihipStream_tbDpT10_ENKUlT_T0_E_clISt17integral_constantIbLb0EES1A_IbLb1EEEEDaS16_S17_EUlS16_E_NS1_11comp_targetILNS1_3genE10ELNS1_11target_archE1200ELNS1_3gpuE4ELNS1_3repE0EEENS1_30default_config_static_selectorELNS0_4arch9wavefront6targetE1EEEvT1_
                                        ; -- End function
	.section	.AMDGPU.csdata,"",@progbits
; Kernel info:
; codeLenInByte = 0
; NumSgprs: 4
; NumVgprs: 0
; NumAgprs: 0
; TotalNumVgprs: 0
; ScratchSize: 0
; MemoryBound: 0
; FloatMode: 240
; IeeeMode: 1
; LDSByteSize: 0 bytes/workgroup (compile time only)
; SGPRBlocks: 0
; VGPRBlocks: 0
; NumSGPRsForWavesPerEU: 4
; NumVGPRsForWavesPerEU: 1
; AccumOffset: 4
; Occupancy: 8
; WaveLimiterHint : 0
; COMPUTE_PGM_RSRC2:SCRATCH_EN: 0
; COMPUTE_PGM_RSRC2:USER_SGPR: 6
; COMPUTE_PGM_RSRC2:TRAP_HANDLER: 0
; COMPUTE_PGM_RSRC2:TGID_X_EN: 1
; COMPUTE_PGM_RSRC2:TGID_Y_EN: 0
; COMPUTE_PGM_RSRC2:TGID_Z_EN: 0
; COMPUTE_PGM_RSRC2:TIDIG_COMP_CNT: 0
; COMPUTE_PGM_RSRC3_GFX90A:ACCUM_OFFSET: 0
; COMPUTE_PGM_RSRC3_GFX90A:TG_SPLIT: 0
	.section	.text._ZN7rocprim17ROCPRIM_400000_NS6detail17trampoline_kernelINS0_14default_configENS1_25partition_config_selectorILNS1_17partition_subalgoE1EjNS0_10empty_typeEbEEZZNS1_14partition_implILS5_1ELb0ES3_jN6thrust23THRUST_200600_302600_NS6detail15normal_iteratorINSA_10device_ptrIjEEEEPS6_NSA_18transform_iteratorI7is_evenIjESF_NSA_11use_defaultESK_EENS0_5tupleIJNSA_16discard_iteratorISK_EESO_EEENSM_IJSG_SG_EEES6_PlJS6_EEE10hipError_tPvRmT3_T4_T5_T6_T7_T9_mT8_P12ihipStream_tbDpT10_ENKUlT_T0_E_clISt17integral_constantIbLb0EES1A_IbLb1EEEEDaS16_S17_EUlS16_E_NS1_11comp_targetILNS1_3genE9ELNS1_11target_archE1100ELNS1_3gpuE3ELNS1_3repE0EEENS1_30default_config_static_selectorELNS0_4arch9wavefront6targetE1EEEvT1_,"axG",@progbits,_ZN7rocprim17ROCPRIM_400000_NS6detail17trampoline_kernelINS0_14default_configENS1_25partition_config_selectorILNS1_17partition_subalgoE1EjNS0_10empty_typeEbEEZZNS1_14partition_implILS5_1ELb0ES3_jN6thrust23THRUST_200600_302600_NS6detail15normal_iteratorINSA_10device_ptrIjEEEEPS6_NSA_18transform_iteratorI7is_evenIjESF_NSA_11use_defaultESK_EENS0_5tupleIJNSA_16discard_iteratorISK_EESO_EEENSM_IJSG_SG_EEES6_PlJS6_EEE10hipError_tPvRmT3_T4_T5_T6_T7_T9_mT8_P12ihipStream_tbDpT10_ENKUlT_T0_E_clISt17integral_constantIbLb0EES1A_IbLb1EEEEDaS16_S17_EUlS16_E_NS1_11comp_targetILNS1_3genE9ELNS1_11target_archE1100ELNS1_3gpuE3ELNS1_3repE0EEENS1_30default_config_static_selectorELNS0_4arch9wavefront6targetE1EEEvT1_,comdat
	.protected	_ZN7rocprim17ROCPRIM_400000_NS6detail17trampoline_kernelINS0_14default_configENS1_25partition_config_selectorILNS1_17partition_subalgoE1EjNS0_10empty_typeEbEEZZNS1_14partition_implILS5_1ELb0ES3_jN6thrust23THRUST_200600_302600_NS6detail15normal_iteratorINSA_10device_ptrIjEEEEPS6_NSA_18transform_iteratorI7is_evenIjESF_NSA_11use_defaultESK_EENS0_5tupleIJNSA_16discard_iteratorISK_EESO_EEENSM_IJSG_SG_EEES6_PlJS6_EEE10hipError_tPvRmT3_T4_T5_T6_T7_T9_mT8_P12ihipStream_tbDpT10_ENKUlT_T0_E_clISt17integral_constantIbLb0EES1A_IbLb1EEEEDaS16_S17_EUlS16_E_NS1_11comp_targetILNS1_3genE9ELNS1_11target_archE1100ELNS1_3gpuE3ELNS1_3repE0EEENS1_30default_config_static_selectorELNS0_4arch9wavefront6targetE1EEEvT1_ ; -- Begin function _ZN7rocprim17ROCPRIM_400000_NS6detail17trampoline_kernelINS0_14default_configENS1_25partition_config_selectorILNS1_17partition_subalgoE1EjNS0_10empty_typeEbEEZZNS1_14partition_implILS5_1ELb0ES3_jN6thrust23THRUST_200600_302600_NS6detail15normal_iteratorINSA_10device_ptrIjEEEEPS6_NSA_18transform_iteratorI7is_evenIjESF_NSA_11use_defaultESK_EENS0_5tupleIJNSA_16discard_iteratorISK_EESO_EEENSM_IJSG_SG_EEES6_PlJS6_EEE10hipError_tPvRmT3_T4_T5_T6_T7_T9_mT8_P12ihipStream_tbDpT10_ENKUlT_T0_E_clISt17integral_constantIbLb0EES1A_IbLb1EEEEDaS16_S17_EUlS16_E_NS1_11comp_targetILNS1_3genE9ELNS1_11target_archE1100ELNS1_3gpuE3ELNS1_3repE0EEENS1_30default_config_static_selectorELNS0_4arch9wavefront6targetE1EEEvT1_
	.globl	_ZN7rocprim17ROCPRIM_400000_NS6detail17trampoline_kernelINS0_14default_configENS1_25partition_config_selectorILNS1_17partition_subalgoE1EjNS0_10empty_typeEbEEZZNS1_14partition_implILS5_1ELb0ES3_jN6thrust23THRUST_200600_302600_NS6detail15normal_iteratorINSA_10device_ptrIjEEEEPS6_NSA_18transform_iteratorI7is_evenIjESF_NSA_11use_defaultESK_EENS0_5tupleIJNSA_16discard_iteratorISK_EESO_EEENSM_IJSG_SG_EEES6_PlJS6_EEE10hipError_tPvRmT3_T4_T5_T6_T7_T9_mT8_P12ihipStream_tbDpT10_ENKUlT_T0_E_clISt17integral_constantIbLb0EES1A_IbLb1EEEEDaS16_S17_EUlS16_E_NS1_11comp_targetILNS1_3genE9ELNS1_11target_archE1100ELNS1_3gpuE3ELNS1_3repE0EEENS1_30default_config_static_selectorELNS0_4arch9wavefront6targetE1EEEvT1_
	.p2align	8
	.type	_ZN7rocprim17ROCPRIM_400000_NS6detail17trampoline_kernelINS0_14default_configENS1_25partition_config_selectorILNS1_17partition_subalgoE1EjNS0_10empty_typeEbEEZZNS1_14partition_implILS5_1ELb0ES3_jN6thrust23THRUST_200600_302600_NS6detail15normal_iteratorINSA_10device_ptrIjEEEEPS6_NSA_18transform_iteratorI7is_evenIjESF_NSA_11use_defaultESK_EENS0_5tupleIJNSA_16discard_iteratorISK_EESO_EEENSM_IJSG_SG_EEES6_PlJS6_EEE10hipError_tPvRmT3_T4_T5_T6_T7_T9_mT8_P12ihipStream_tbDpT10_ENKUlT_T0_E_clISt17integral_constantIbLb0EES1A_IbLb1EEEEDaS16_S17_EUlS16_E_NS1_11comp_targetILNS1_3genE9ELNS1_11target_archE1100ELNS1_3gpuE3ELNS1_3repE0EEENS1_30default_config_static_selectorELNS0_4arch9wavefront6targetE1EEEvT1_,@function
_ZN7rocprim17ROCPRIM_400000_NS6detail17trampoline_kernelINS0_14default_configENS1_25partition_config_selectorILNS1_17partition_subalgoE1EjNS0_10empty_typeEbEEZZNS1_14partition_implILS5_1ELb0ES3_jN6thrust23THRUST_200600_302600_NS6detail15normal_iteratorINSA_10device_ptrIjEEEEPS6_NSA_18transform_iteratorI7is_evenIjESF_NSA_11use_defaultESK_EENS0_5tupleIJNSA_16discard_iteratorISK_EESO_EEENSM_IJSG_SG_EEES6_PlJS6_EEE10hipError_tPvRmT3_T4_T5_T6_T7_T9_mT8_P12ihipStream_tbDpT10_ENKUlT_T0_E_clISt17integral_constantIbLb0EES1A_IbLb1EEEEDaS16_S17_EUlS16_E_NS1_11comp_targetILNS1_3genE9ELNS1_11target_archE1100ELNS1_3gpuE3ELNS1_3repE0EEENS1_30default_config_static_selectorELNS0_4arch9wavefront6targetE1EEEvT1_: ; @_ZN7rocprim17ROCPRIM_400000_NS6detail17trampoline_kernelINS0_14default_configENS1_25partition_config_selectorILNS1_17partition_subalgoE1EjNS0_10empty_typeEbEEZZNS1_14partition_implILS5_1ELb0ES3_jN6thrust23THRUST_200600_302600_NS6detail15normal_iteratorINSA_10device_ptrIjEEEEPS6_NSA_18transform_iteratorI7is_evenIjESF_NSA_11use_defaultESK_EENS0_5tupleIJNSA_16discard_iteratorISK_EESO_EEENSM_IJSG_SG_EEES6_PlJS6_EEE10hipError_tPvRmT3_T4_T5_T6_T7_T9_mT8_P12ihipStream_tbDpT10_ENKUlT_T0_E_clISt17integral_constantIbLb0EES1A_IbLb1EEEEDaS16_S17_EUlS16_E_NS1_11comp_targetILNS1_3genE9ELNS1_11target_archE1100ELNS1_3gpuE3ELNS1_3repE0EEENS1_30default_config_static_selectorELNS0_4arch9wavefront6targetE1EEEvT1_
; %bb.0:
	.section	.rodata,"a",@progbits
	.p2align	6, 0x0
	.amdhsa_kernel _ZN7rocprim17ROCPRIM_400000_NS6detail17trampoline_kernelINS0_14default_configENS1_25partition_config_selectorILNS1_17partition_subalgoE1EjNS0_10empty_typeEbEEZZNS1_14partition_implILS5_1ELb0ES3_jN6thrust23THRUST_200600_302600_NS6detail15normal_iteratorINSA_10device_ptrIjEEEEPS6_NSA_18transform_iteratorI7is_evenIjESF_NSA_11use_defaultESK_EENS0_5tupleIJNSA_16discard_iteratorISK_EESO_EEENSM_IJSG_SG_EEES6_PlJS6_EEE10hipError_tPvRmT3_T4_T5_T6_T7_T9_mT8_P12ihipStream_tbDpT10_ENKUlT_T0_E_clISt17integral_constantIbLb0EES1A_IbLb1EEEEDaS16_S17_EUlS16_E_NS1_11comp_targetILNS1_3genE9ELNS1_11target_archE1100ELNS1_3gpuE3ELNS1_3repE0EEENS1_30default_config_static_selectorELNS0_4arch9wavefront6targetE1EEEvT1_
		.amdhsa_group_segment_fixed_size 0
		.amdhsa_private_segment_fixed_size 0
		.amdhsa_kernarg_size 160
		.amdhsa_user_sgpr_count 6
		.amdhsa_user_sgpr_private_segment_buffer 1
		.amdhsa_user_sgpr_dispatch_ptr 0
		.amdhsa_user_sgpr_queue_ptr 0
		.amdhsa_user_sgpr_kernarg_segment_ptr 1
		.amdhsa_user_sgpr_dispatch_id 0
		.amdhsa_user_sgpr_flat_scratch_init 0
		.amdhsa_user_sgpr_kernarg_preload_length 0
		.amdhsa_user_sgpr_kernarg_preload_offset 0
		.amdhsa_user_sgpr_private_segment_size 0
		.amdhsa_uses_dynamic_stack 0
		.amdhsa_system_sgpr_private_segment_wavefront_offset 0
		.amdhsa_system_sgpr_workgroup_id_x 1
		.amdhsa_system_sgpr_workgroup_id_y 0
		.amdhsa_system_sgpr_workgroup_id_z 0
		.amdhsa_system_sgpr_workgroup_info 0
		.amdhsa_system_vgpr_workitem_id 0
		.amdhsa_next_free_vgpr 1
		.amdhsa_next_free_sgpr 0
		.amdhsa_accum_offset 4
		.amdhsa_reserve_vcc 0
		.amdhsa_reserve_flat_scratch 0
		.amdhsa_float_round_mode_32 0
		.amdhsa_float_round_mode_16_64 0
		.amdhsa_float_denorm_mode_32 3
		.amdhsa_float_denorm_mode_16_64 3
		.amdhsa_dx10_clamp 1
		.amdhsa_ieee_mode 1
		.amdhsa_fp16_overflow 0
		.amdhsa_tg_split 0
		.amdhsa_exception_fp_ieee_invalid_op 0
		.amdhsa_exception_fp_denorm_src 0
		.amdhsa_exception_fp_ieee_div_zero 0
		.amdhsa_exception_fp_ieee_overflow 0
		.amdhsa_exception_fp_ieee_underflow 0
		.amdhsa_exception_fp_ieee_inexact 0
		.amdhsa_exception_int_div_zero 0
	.end_amdhsa_kernel
	.section	.text._ZN7rocprim17ROCPRIM_400000_NS6detail17trampoline_kernelINS0_14default_configENS1_25partition_config_selectorILNS1_17partition_subalgoE1EjNS0_10empty_typeEbEEZZNS1_14partition_implILS5_1ELb0ES3_jN6thrust23THRUST_200600_302600_NS6detail15normal_iteratorINSA_10device_ptrIjEEEEPS6_NSA_18transform_iteratorI7is_evenIjESF_NSA_11use_defaultESK_EENS0_5tupleIJNSA_16discard_iteratorISK_EESO_EEENSM_IJSG_SG_EEES6_PlJS6_EEE10hipError_tPvRmT3_T4_T5_T6_T7_T9_mT8_P12ihipStream_tbDpT10_ENKUlT_T0_E_clISt17integral_constantIbLb0EES1A_IbLb1EEEEDaS16_S17_EUlS16_E_NS1_11comp_targetILNS1_3genE9ELNS1_11target_archE1100ELNS1_3gpuE3ELNS1_3repE0EEENS1_30default_config_static_selectorELNS0_4arch9wavefront6targetE1EEEvT1_,"axG",@progbits,_ZN7rocprim17ROCPRIM_400000_NS6detail17trampoline_kernelINS0_14default_configENS1_25partition_config_selectorILNS1_17partition_subalgoE1EjNS0_10empty_typeEbEEZZNS1_14partition_implILS5_1ELb0ES3_jN6thrust23THRUST_200600_302600_NS6detail15normal_iteratorINSA_10device_ptrIjEEEEPS6_NSA_18transform_iteratorI7is_evenIjESF_NSA_11use_defaultESK_EENS0_5tupleIJNSA_16discard_iteratorISK_EESO_EEENSM_IJSG_SG_EEES6_PlJS6_EEE10hipError_tPvRmT3_T4_T5_T6_T7_T9_mT8_P12ihipStream_tbDpT10_ENKUlT_T0_E_clISt17integral_constantIbLb0EES1A_IbLb1EEEEDaS16_S17_EUlS16_E_NS1_11comp_targetILNS1_3genE9ELNS1_11target_archE1100ELNS1_3gpuE3ELNS1_3repE0EEENS1_30default_config_static_selectorELNS0_4arch9wavefront6targetE1EEEvT1_,comdat
.Lfunc_end3001:
	.size	_ZN7rocprim17ROCPRIM_400000_NS6detail17trampoline_kernelINS0_14default_configENS1_25partition_config_selectorILNS1_17partition_subalgoE1EjNS0_10empty_typeEbEEZZNS1_14partition_implILS5_1ELb0ES3_jN6thrust23THRUST_200600_302600_NS6detail15normal_iteratorINSA_10device_ptrIjEEEEPS6_NSA_18transform_iteratorI7is_evenIjESF_NSA_11use_defaultESK_EENS0_5tupleIJNSA_16discard_iteratorISK_EESO_EEENSM_IJSG_SG_EEES6_PlJS6_EEE10hipError_tPvRmT3_T4_T5_T6_T7_T9_mT8_P12ihipStream_tbDpT10_ENKUlT_T0_E_clISt17integral_constantIbLb0EES1A_IbLb1EEEEDaS16_S17_EUlS16_E_NS1_11comp_targetILNS1_3genE9ELNS1_11target_archE1100ELNS1_3gpuE3ELNS1_3repE0EEENS1_30default_config_static_selectorELNS0_4arch9wavefront6targetE1EEEvT1_, .Lfunc_end3001-_ZN7rocprim17ROCPRIM_400000_NS6detail17trampoline_kernelINS0_14default_configENS1_25partition_config_selectorILNS1_17partition_subalgoE1EjNS0_10empty_typeEbEEZZNS1_14partition_implILS5_1ELb0ES3_jN6thrust23THRUST_200600_302600_NS6detail15normal_iteratorINSA_10device_ptrIjEEEEPS6_NSA_18transform_iteratorI7is_evenIjESF_NSA_11use_defaultESK_EENS0_5tupleIJNSA_16discard_iteratorISK_EESO_EEENSM_IJSG_SG_EEES6_PlJS6_EEE10hipError_tPvRmT3_T4_T5_T6_T7_T9_mT8_P12ihipStream_tbDpT10_ENKUlT_T0_E_clISt17integral_constantIbLb0EES1A_IbLb1EEEEDaS16_S17_EUlS16_E_NS1_11comp_targetILNS1_3genE9ELNS1_11target_archE1100ELNS1_3gpuE3ELNS1_3repE0EEENS1_30default_config_static_selectorELNS0_4arch9wavefront6targetE1EEEvT1_
                                        ; -- End function
	.section	.AMDGPU.csdata,"",@progbits
; Kernel info:
; codeLenInByte = 0
; NumSgprs: 4
; NumVgprs: 0
; NumAgprs: 0
; TotalNumVgprs: 0
; ScratchSize: 0
; MemoryBound: 0
; FloatMode: 240
; IeeeMode: 1
; LDSByteSize: 0 bytes/workgroup (compile time only)
; SGPRBlocks: 0
; VGPRBlocks: 0
; NumSGPRsForWavesPerEU: 4
; NumVGPRsForWavesPerEU: 1
; AccumOffset: 4
; Occupancy: 8
; WaveLimiterHint : 0
; COMPUTE_PGM_RSRC2:SCRATCH_EN: 0
; COMPUTE_PGM_RSRC2:USER_SGPR: 6
; COMPUTE_PGM_RSRC2:TRAP_HANDLER: 0
; COMPUTE_PGM_RSRC2:TGID_X_EN: 1
; COMPUTE_PGM_RSRC2:TGID_Y_EN: 0
; COMPUTE_PGM_RSRC2:TGID_Z_EN: 0
; COMPUTE_PGM_RSRC2:TIDIG_COMP_CNT: 0
; COMPUTE_PGM_RSRC3_GFX90A:ACCUM_OFFSET: 0
; COMPUTE_PGM_RSRC3_GFX90A:TG_SPLIT: 0
	.section	.text._ZN7rocprim17ROCPRIM_400000_NS6detail17trampoline_kernelINS0_14default_configENS1_25partition_config_selectorILNS1_17partition_subalgoE1EjNS0_10empty_typeEbEEZZNS1_14partition_implILS5_1ELb0ES3_jN6thrust23THRUST_200600_302600_NS6detail15normal_iteratorINSA_10device_ptrIjEEEEPS6_NSA_18transform_iteratorI7is_evenIjESF_NSA_11use_defaultESK_EENS0_5tupleIJNSA_16discard_iteratorISK_EESO_EEENSM_IJSG_SG_EEES6_PlJS6_EEE10hipError_tPvRmT3_T4_T5_T6_T7_T9_mT8_P12ihipStream_tbDpT10_ENKUlT_T0_E_clISt17integral_constantIbLb0EES1A_IbLb1EEEEDaS16_S17_EUlS16_E_NS1_11comp_targetILNS1_3genE8ELNS1_11target_archE1030ELNS1_3gpuE2ELNS1_3repE0EEENS1_30default_config_static_selectorELNS0_4arch9wavefront6targetE1EEEvT1_,"axG",@progbits,_ZN7rocprim17ROCPRIM_400000_NS6detail17trampoline_kernelINS0_14default_configENS1_25partition_config_selectorILNS1_17partition_subalgoE1EjNS0_10empty_typeEbEEZZNS1_14partition_implILS5_1ELb0ES3_jN6thrust23THRUST_200600_302600_NS6detail15normal_iteratorINSA_10device_ptrIjEEEEPS6_NSA_18transform_iteratorI7is_evenIjESF_NSA_11use_defaultESK_EENS0_5tupleIJNSA_16discard_iteratorISK_EESO_EEENSM_IJSG_SG_EEES6_PlJS6_EEE10hipError_tPvRmT3_T4_T5_T6_T7_T9_mT8_P12ihipStream_tbDpT10_ENKUlT_T0_E_clISt17integral_constantIbLb0EES1A_IbLb1EEEEDaS16_S17_EUlS16_E_NS1_11comp_targetILNS1_3genE8ELNS1_11target_archE1030ELNS1_3gpuE2ELNS1_3repE0EEENS1_30default_config_static_selectorELNS0_4arch9wavefront6targetE1EEEvT1_,comdat
	.protected	_ZN7rocprim17ROCPRIM_400000_NS6detail17trampoline_kernelINS0_14default_configENS1_25partition_config_selectorILNS1_17partition_subalgoE1EjNS0_10empty_typeEbEEZZNS1_14partition_implILS5_1ELb0ES3_jN6thrust23THRUST_200600_302600_NS6detail15normal_iteratorINSA_10device_ptrIjEEEEPS6_NSA_18transform_iteratorI7is_evenIjESF_NSA_11use_defaultESK_EENS0_5tupleIJNSA_16discard_iteratorISK_EESO_EEENSM_IJSG_SG_EEES6_PlJS6_EEE10hipError_tPvRmT3_T4_T5_T6_T7_T9_mT8_P12ihipStream_tbDpT10_ENKUlT_T0_E_clISt17integral_constantIbLb0EES1A_IbLb1EEEEDaS16_S17_EUlS16_E_NS1_11comp_targetILNS1_3genE8ELNS1_11target_archE1030ELNS1_3gpuE2ELNS1_3repE0EEENS1_30default_config_static_selectorELNS0_4arch9wavefront6targetE1EEEvT1_ ; -- Begin function _ZN7rocprim17ROCPRIM_400000_NS6detail17trampoline_kernelINS0_14default_configENS1_25partition_config_selectorILNS1_17partition_subalgoE1EjNS0_10empty_typeEbEEZZNS1_14partition_implILS5_1ELb0ES3_jN6thrust23THRUST_200600_302600_NS6detail15normal_iteratorINSA_10device_ptrIjEEEEPS6_NSA_18transform_iteratorI7is_evenIjESF_NSA_11use_defaultESK_EENS0_5tupleIJNSA_16discard_iteratorISK_EESO_EEENSM_IJSG_SG_EEES6_PlJS6_EEE10hipError_tPvRmT3_T4_T5_T6_T7_T9_mT8_P12ihipStream_tbDpT10_ENKUlT_T0_E_clISt17integral_constantIbLb0EES1A_IbLb1EEEEDaS16_S17_EUlS16_E_NS1_11comp_targetILNS1_3genE8ELNS1_11target_archE1030ELNS1_3gpuE2ELNS1_3repE0EEENS1_30default_config_static_selectorELNS0_4arch9wavefront6targetE1EEEvT1_
	.globl	_ZN7rocprim17ROCPRIM_400000_NS6detail17trampoline_kernelINS0_14default_configENS1_25partition_config_selectorILNS1_17partition_subalgoE1EjNS0_10empty_typeEbEEZZNS1_14partition_implILS5_1ELb0ES3_jN6thrust23THRUST_200600_302600_NS6detail15normal_iteratorINSA_10device_ptrIjEEEEPS6_NSA_18transform_iteratorI7is_evenIjESF_NSA_11use_defaultESK_EENS0_5tupleIJNSA_16discard_iteratorISK_EESO_EEENSM_IJSG_SG_EEES6_PlJS6_EEE10hipError_tPvRmT3_T4_T5_T6_T7_T9_mT8_P12ihipStream_tbDpT10_ENKUlT_T0_E_clISt17integral_constantIbLb0EES1A_IbLb1EEEEDaS16_S17_EUlS16_E_NS1_11comp_targetILNS1_3genE8ELNS1_11target_archE1030ELNS1_3gpuE2ELNS1_3repE0EEENS1_30default_config_static_selectorELNS0_4arch9wavefront6targetE1EEEvT1_
	.p2align	8
	.type	_ZN7rocprim17ROCPRIM_400000_NS6detail17trampoline_kernelINS0_14default_configENS1_25partition_config_selectorILNS1_17partition_subalgoE1EjNS0_10empty_typeEbEEZZNS1_14partition_implILS5_1ELb0ES3_jN6thrust23THRUST_200600_302600_NS6detail15normal_iteratorINSA_10device_ptrIjEEEEPS6_NSA_18transform_iteratorI7is_evenIjESF_NSA_11use_defaultESK_EENS0_5tupleIJNSA_16discard_iteratorISK_EESO_EEENSM_IJSG_SG_EEES6_PlJS6_EEE10hipError_tPvRmT3_T4_T5_T6_T7_T9_mT8_P12ihipStream_tbDpT10_ENKUlT_T0_E_clISt17integral_constantIbLb0EES1A_IbLb1EEEEDaS16_S17_EUlS16_E_NS1_11comp_targetILNS1_3genE8ELNS1_11target_archE1030ELNS1_3gpuE2ELNS1_3repE0EEENS1_30default_config_static_selectorELNS0_4arch9wavefront6targetE1EEEvT1_,@function
_ZN7rocprim17ROCPRIM_400000_NS6detail17trampoline_kernelINS0_14default_configENS1_25partition_config_selectorILNS1_17partition_subalgoE1EjNS0_10empty_typeEbEEZZNS1_14partition_implILS5_1ELb0ES3_jN6thrust23THRUST_200600_302600_NS6detail15normal_iteratorINSA_10device_ptrIjEEEEPS6_NSA_18transform_iteratorI7is_evenIjESF_NSA_11use_defaultESK_EENS0_5tupleIJNSA_16discard_iteratorISK_EESO_EEENSM_IJSG_SG_EEES6_PlJS6_EEE10hipError_tPvRmT3_T4_T5_T6_T7_T9_mT8_P12ihipStream_tbDpT10_ENKUlT_T0_E_clISt17integral_constantIbLb0EES1A_IbLb1EEEEDaS16_S17_EUlS16_E_NS1_11comp_targetILNS1_3genE8ELNS1_11target_archE1030ELNS1_3gpuE2ELNS1_3repE0EEENS1_30default_config_static_selectorELNS0_4arch9wavefront6targetE1EEEvT1_: ; @_ZN7rocprim17ROCPRIM_400000_NS6detail17trampoline_kernelINS0_14default_configENS1_25partition_config_selectorILNS1_17partition_subalgoE1EjNS0_10empty_typeEbEEZZNS1_14partition_implILS5_1ELb0ES3_jN6thrust23THRUST_200600_302600_NS6detail15normal_iteratorINSA_10device_ptrIjEEEEPS6_NSA_18transform_iteratorI7is_evenIjESF_NSA_11use_defaultESK_EENS0_5tupleIJNSA_16discard_iteratorISK_EESO_EEENSM_IJSG_SG_EEES6_PlJS6_EEE10hipError_tPvRmT3_T4_T5_T6_T7_T9_mT8_P12ihipStream_tbDpT10_ENKUlT_T0_E_clISt17integral_constantIbLb0EES1A_IbLb1EEEEDaS16_S17_EUlS16_E_NS1_11comp_targetILNS1_3genE8ELNS1_11target_archE1030ELNS1_3gpuE2ELNS1_3repE0EEENS1_30default_config_static_selectorELNS0_4arch9wavefront6targetE1EEEvT1_
; %bb.0:
	.section	.rodata,"a",@progbits
	.p2align	6, 0x0
	.amdhsa_kernel _ZN7rocprim17ROCPRIM_400000_NS6detail17trampoline_kernelINS0_14default_configENS1_25partition_config_selectorILNS1_17partition_subalgoE1EjNS0_10empty_typeEbEEZZNS1_14partition_implILS5_1ELb0ES3_jN6thrust23THRUST_200600_302600_NS6detail15normal_iteratorINSA_10device_ptrIjEEEEPS6_NSA_18transform_iteratorI7is_evenIjESF_NSA_11use_defaultESK_EENS0_5tupleIJNSA_16discard_iteratorISK_EESO_EEENSM_IJSG_SG_EEES6_PlJS6_EEE10hipError_tPvRmT3_T4_T5_T6_T7_T9_mT8_P12ihipStream_tbDpT10_ENKUlT_T0_E_clISt17integral_constantIbLb0EES1A_IbLb1EEEEDaS16_S17_EUlS16_E_NS1_11comp_targetILNS1_3genE8ELNS1_11target_archE1030ELNS1_3gpuE2ELNS1_3repE0EEENS1_30default_config_static_selectorELNS0_4arch9wavefront6targetE1EEEvT1_
		.amdhsa_group_segment_fixed_size 0
		.amdhsa_private_segment_fixed_size 0
		.amdhsa_kernarg_size 160
		.amdhsa_user_sgpr_count 6
		.amdhsa_user_sgpr_private_segment_buffer 1
		.amdhsa_user_sgpr_dispatch_ptr 0
		.amdhsa_user_sgpr_queue_ptr 0
		.amdhsa_user_sgpr_kernarg_segment_ptr 1
		.amdhsa_user_sgpr_dispatch_id 0
		.amdhsa_user_sgpr_flat_scratch_init 0
		.amdhsa_user_sgpr_kernarg_preload_length 0
		.amdhsa_user_sgpr_kernarg_preload_offset 0
		.amdhsa_user_sgpr_private_segment_size 0
		.amdhsa_uses_dynamic_stack 0
		.amdhsa_system_sgpr_private_segment_wavefront_offset 0
		.amdhsa_system_sgpr_workgroup_id_x 1
		.amdhsa_system_sgpr_workgroup_id_y 0
		.amdhsa_system_sgpr_workgroup_id_z 0
		.amdhsa_system_sgpr_workgroup_info 0
		.amdhsa_system_vgpr_workitem_id 0
		.amdhsa_next_free_vgpr 1
		.amdhsa_next_free_sgpr 0
		.amdhsa_accum_offset 4
		.amdhsa_reserve_vcc 0
		.amdhsa_reserve_flat_scratch 0
		.amdhsa_float_round_mode_32 0
		.amdhsa_float_round_mode_16_64 0
		.amdhsa_float_denorm_mode_32 3
		.amdhsa_float_denorm_mode_16_64 3
		.amdhsa_dx10_clamp 1
		.amdhsa_ieee_mode 1
		.amdhsa_fp16_overflow 0
		.amdhsa_tg_split 0
		.amdhsa_exception_fp_ieee_invalid_op 0
		.amdhsa_exception_fp_denorm_src 0
		.amdhsa_exception_fp_ieee_div_zero 0
		.amdhsa_exception_fp_ieee_overflow 0
		.amdhsa_exception_fp_ieee_underflow 0
		.amdhsa_exception_fp_ieee_inexact 0
		.amdhsa_exception_int_div_zero 0
	.end_amdhsa_kernel
	.section	.text._ZN7rocprim17ROCPRIM_400000_NS6detail17trampoline_kernelINS0_14default_configENS1_25partition_config_selectorILNS1_17partition_subalgoE1EjNS0_10empty_typeEbEEZZNS1_14partition_implILS5_1ELb0ES3_jN6thrust23THRUST_200600_302600_NS6detail15normal_iteratorINSA_10device_ptrIjEEEEPS6_NSA_18transform_iteratorI7is_evenIjESF_NSA_11use_defaultESK_EENS0_5tupleIJNSA_16discard_iteratorISK_EESO_EEENSM_IJSG_SG_EEES6_PlJS6_EEE10hipError_tPvRmT3_T4_T5_T6_T7_T9_mT8_P12ihipStream_tbDpT10_ENKUlT_T0_E_clISt17integral_constantIbLb0EES1A_IbLb1EEEEDaS16_S17_EUlS16_E_NS1_11comp_targetILNS1_3genE8ELNS1_11target_archE1030ELNS1_3gpuE2ELNS1_3repE0EEENS1_30default_config_static_selectorELNS0_4arch9wavefront6targetE1EEEvT1_,"axG",@progbits,_ZN7rocprim17ROCPRIM_400000_NS6detail17trampoline_kernelINS0_14default_configENS1_25partition_config_selectorILNS1_17partition_subalgoE1EjNS0_10empty_typeEbEEZZNS1_14partition_implILS5_1ELb0ES3_jN6thrust23THRUST_200600_302600_NS6detail15normal_iteratorINSA_10device_ptrIjEEEEPS6_NSA_18transform_iteratorI7is_evenIjESF_NSA_11use_defaultESK_EENS0_5tupleIJNSA_16discard_iteratorISK_EESO_EEENSM_IJSG_SG_EEES6_PlJS6_EEE10hipError_tPvRmT3_T4_T5_T6_T7_T9_mT8_P12ihipStream_tbDpT10_ENKUlT_T0_E_clISt17integral_constantIbLb0EES1A_IbLb1EEEEDaS16_S17_EUlS16_E_NS1_11comp_targetILNS1_3genE8ELNS1_11target_archE1030ELNS1_3gpuE2ELNS1_3repE0EEENS1_30default_config_static_selectorELNS0_4arch9wavefront6targetE1EEEvT1_,comdat
.Lfunc_end3002:
	.size	_ZN7rocprim17ROCPRIM_400000_NS6detail17trampoline_kernelINS0_14default_configENS1_25partition_config_selectorILNS1_17partition_subalgoE1EjNS0_10empty_typeEbEEZZNS1_14partition_implILS5_1ELb0ES3_jN6thrust23THRUST_200600_302600_NS6detail15normal_iteratorINSA_10device_ptrIjEEEEPS6_NSA_18transform_iteratorI7is_evenIjESF_NSA_11use_defaultESK_EENS0_5tupleIJNSA_16discard_iteratorISK_EESO_EEENSM_IJSG_SG_EEES6_PlJS6_EEE10hipError_tPvRmT3_T4_T5_T6_T7_T9_mT8_P12ihipStream_tbDpT10_ENKUlT_T0_E_clISt17integral_constantIbLb0EES1A_IbLb1EEEEDaS16_S17_EUlS16_E_NS1_11comp_targetILNS1_3genE8ELNS1_11target_archE1030ELNS1_3gpuE2ELNS1_3repE0EEENS1_30default_config_static_selectorELNS0_4arch9wavefront6targetE1EEEvT1_, .Lfunc_end3002-_ZN7rocprim17ROCPRIM_400000_NS6detail17trampoline_kernelINS0_14default_configENS1_25partition_config_selectorILNS1_17partition_subalgoE1EjNS0_10empty_typeEbEEZZNS1_14partition_implILS5_1ELb0ES3_jN6thrust23THRUST_200600_302600_NS6detail15normal_iteratorINSA_10device_ptrIjEEEEPS6_NSA_18transform_iteratorI7is_evenIjESF_NSA_11use_defaultESK_EENS0_5tupleIJNSA_16discard_iteratorISK_EESO_EEENSM_IJSG_SG_EEES6_PlJS6_EEE10hipError_tPvRmT3_T4_T5_T6_T7_T9_mT8_P12ihipStream_tbDpT10_ENKUlT_T0_E_clISt17integral_constantIbLb0EES1A_IbLb1EEEEDaS16_S17_EUlS16_E_NS1_11comp_targetILNS1_3genE8ELNS1_11target_archE1030ELNS1_3gpuE2ELNS1_3repE0EEENS1_30default_config_static_selectorELNS0_4arch9wavefront6targetE1EEEvT1_
                                        ; -- End function
	.section	.AMDGPU.csdata,"",@progbits
; Kernel info:
; codeLenInByte = 0
; NumSgprs: 4
; NumVgprs: 0
; NumAgprs: 0
; TotalNumVgprs: 0
; ScratchSize: 0
; MemoryBound: 0
; FloatMode: 240
; IeeeMode: 1
; LDSByteSize: 0 bytes/workgroup (compile time only)
; SGPRBlocks: 0
; VGPRBlocks: 0
; NumSGPRsForWavesPerEU: 4
; NumVGPRsForWavesPerEU: 1
; AccumOffset: 4
; Occupancy: 8
; WaveLimiterHint : 0
; COMPUTE_PGM_RSRC2:SCRATCH_EN: 0
; COMPUTE_PGM_RSRC2:USER_SGPR: 6
; COMPUTE_PGM_RSRC2:TRAP_HANDLER: 0
; COMPUTE_PGM_RSRC2:TGID_X_EN: 1
; COMPUTE_PGM_RSRC2:TGID_Y_EN: 0
; COMPUTE_PGM_RSRC2:TGID_Z_EN: 0
; COMPUTE_PGM_RSRC2:TIDIG_COMP_CNT: 0
; COMPUTE_PGM_RSRC3_GFX90A:ACCUM_OFFSET: 0
; COMPUTE_PGM_RSRC3_GFX90A:TG_SPLIT: 0
	.section	.text._ZN7rocprim17ROCPRIM_400000_NS6detail17trampoline_kernelINS0_14default_configENS1_25partition_config_selectorILNS1_17partition_subalgoE1EjNS0_10empty_typeEbEEZZNS1_14partition_implILS5_1ELb0ES3_jN6thrust23THRUST_200600_302600_NS6detail15normal_iteratorINSA_10device_ptrIjEEEEPS6_NSA_18transform_iteratorI7is_evenIjESF_NSA_11use_defaultESK_EENS0_5tupleIJSF_NSA_16discard_iteratorISK_EEEEENSM_IJSG_SG_EEES6_PlJS6_EEE10hipError_tPvRmT3_T4_T5_T6_T7_T9_mT8_P12ihipStream_tbDpT10_ENKUlT_T0_E_clISt17integral_constantIbLb0EES1B_EEDaS16_S17_EUlS16_E_NS1_11comp_targetILNS1_3genE0ELNS1_11target_archE4294967295ELNS1_3gpuE0ELNS1_3repE0EEENS1_30default_config_static_selectorELNS0_4arch9wavefront6targetE1EEEvT1_,"axG",@progbits,_ZN7rocprim17ROCPRIM_400000_NS6detail17trampoline_kernelINS0_14default_configENS1_25partition_config_selectorILNS1_17partition_subalgoE1EjNS0_10empty_typeEbEEZZNS1_14partition_implILS5_1ELb0ES3_jN6thrust23THRUST_200600_302600_NS6detail15normal_iteratorINSA_10device_ptrIjEEEEPS6_NSA_18transform_iteratorI7is_evenIjESF_NSA_11use_defaultESK_EENS0_5tupleIJSF_NSA_16discard_iteratorISK_EEEEENSM_IJSG_SG_EEES6_PlJS6_EEE10hipError_tPvRmT3_T4_T5_T6_T7_T9_mT8_P12ihipStream_tbDpT10_ENKUlT_T0_E_clISt17integral_constantIbLb0EES1B_EEDaS16_S17_EUlS16_E_NS1_11comp_targetILNS1_3genE0ELNS1_11target_archE4294967295ELNS1_3gpuE0ELNS1_3repE0EEENS1_30default_config_static_selectorELNS0_4arch9wavefront6targetE1EEEvT1_,comdat
	.protected	_ZN7rocprim17ROCPRIM_400000_NS6detail17trampoline_kernelINS0_14default_configENS1_25partition_config_selectorILNS1_17partition_subalgoE1EjNS0_10empty_typeEbEEZZNS1_14partition_implILS5_1ELb0ES3_jN6thrust23THRUST_200600_302600_NS6detail15normal_iteratorINSA_10device_ptrIjEEEEPS6_NSA_18transform_iteratorI7is_evenIjESF_NSA_11use_defaultESK_EENS0_5tupleIJSF_NSA_16discard_iteratorISK_EEEEENSM_IJSG_SG_EEES6_PlJS6_EEE10hipError_tPvRmT3_T4_T5_T6_T7_T9_mT8_P12ihipStream_tbDpT10_ENKUlT_T0_E_clISt17integral_constantIbLb0EES1B_EEDaS16_S17_EUlS16_E_NS1_11comp_targetILNS1_3genE0ELNS1_11target_archE4294967295ELNS1_3gpuE0ELNS1_3repE0EEENS1_30default_config_static_selectorELNS0_4arch9wavefront6targetE1EEEvT1_ ; -- Begin function _ZN7rocprim17ROCPRIM_400000_NS6detail17trampoline_kernelINS0_14default_configENS1_25partition_config_selectorILNS1_17partition_subalgoE1EjNS0_10empty_typeEbEEZZNS1_14partition_implILS5_1ELb0ES3_jN6thrust23THRUST_200600_302600_NS6detail15normal_iteratorINSA_10device_ptrIjEEEEPS6_NSA_18transform_iteratorI7is_evenIjESF_NSA_11use_defaultESK_EENS0_5tupleIJSF_NSA_16discard_iteratorISK_EEEEENSM_IJSG_SG_EEES6_PlJS6_EEE10hipError_tPvRmT3_T4_T5_T6_T7_T9_mT8_P12ihipStream_tbDpT10_ENKUlT_T0_E_clISt17integral_constantIbLb0EES1B_EEDaS16_S17_EUlS16_E_NS1_11comp_targetILNS1_3genE0ELNS1_11target_archE4294967295ELNS1_3gpuE0ELNS1_3repE0EEENS1_30default_config_static_selectorELNS0_4arch9wavefront6targetE1EEEvT1_
	.globl	_ZN7rocprim17ROCPRIM_400000_NS6detail17trampoline_kernelINS0_14default_configENS1_25partition_config_selectorILNS1_17partition_subalgoE1EjNS0_10empty_typeEbEEZZNS1_14partition_implILS5_1ELb0ES3_jN6thrust23THRUST_200600_302600_NS6detail15normal_iteratorINSA_10device_ptrIjEEEEPS6_NSA_18transform_iteratorI7is_evenIjESF_NSA_11use_defaultESK_EENS0_5tupleIJSF_NSA_16discard_iteratorISK_EEEEENSM_IJSG_SG_EEES6_PlJS6_EEE10hipError_tPvRmT3_T4_T5_T6_T7_T9_mT8_P12ihipStream_tbDpT10_ENKUlT_T0_E_clISt17integral_constantIbLb0EES1B_EEDaS16_S17_EUlS16_E_NS1_11comp_targetILNS1_3genE0ELNS1_11target_archE4294967295ELNS1_3gpuE0ELNS1_3repE0EEENS1_30default_config_static_selectorELNS0_4arch9wavefront6targetE1EEEvT1_
	.p2align	8
	.type	_ZN7rocprim17ROCPRIM_400000_NS6detail17trampoline_kernelINS0_14default_configENS1_25partition_config_selectorILNS1_17partition_subalgoE1EjNS0_10empty_typeEbEEZZNS1_14partition_implILS5_1ELb0ES3_jN6thrust23THRUST_200600_302600_NS6detail15normal_iteratorINSA_10device_ptrIjEEEEPS6_NSA_18transform_iteratorI7is_evenIjESF_NSA_11use_defaultESK_EENS0_5tupleIJSF_NSA_16discard_iteratorISK_EEEEENSM_IJSG_SG_EEES6_PlJS6_EEE10hipError_tPvRmT3_T4_T5_T6_T7_T9_mT8_P12ihipStream_tbDpT10_ENKUlT_T0_E_clISt17integral_constantIbLb0EES1B_EEDaS16_S17_EUlS16_E_NS1_11comp_targetILNS1_3genE0ELNS1_11target_archE4294967295ELNS1_3gpuE0ELNS1_3repE0EEENS1_30default_config_static_selectorELNS0_4arch9wavefront6targetE1EEEvT1_,@function
_ZN7rocprim17ROCPRIM_400000_NS6detail17trampoline_kernelINS0_14default_configENS1_25partition_config_selectorILNS1_17partition_subalgoE1EjNS0_10empty_typeEbEEZZNS1_14partition_implILS5_1ELb0ES3_jN6thrust23THRUST_200600_302600_NS6detail15normal_iteratorINSA_10device_ptrIjEEEEPS6_NSA_18transform_iteratorI7is_evenIjESF_NSA_11use_defaultESK_EENS0_5tupleIJSF_NSA_16discard_iteratorISK_EEEEENSM_IJSG_SG_EEES6_PlJS6_EEE10hipError_tPvRmT3_T4_T5_T6_T7_T9_mT8_P12ihipStream_tbDpT10_ENKUlT_T0_E_clISt17integral_constantIbLb0EES1B_EEDaS16_S17_EUlS16_E_NS1_11comp_targetILNS1_3genE0ELNS1_11target_archE4294967295ELNS1_3gpuE0ELNS1_3repE0EEENS1_30default_config_static_selectorELNS0_4arch9wavefront6targetE1EEEvT1_: ; @_ZN7rocprim17ROCPRIM_400000_NS6detail17trampoline_kernelINS0_14default_configENS1_25partition_config_selectorILNS1_17partition_subalgoE1EjNS0_10empty_typeEbEEZZNS1_14partition_implILS5_1ELb0ES3_jN6thrust23THRUST_200600_302600_NS6detail15normal_iteratorINSA_10device_ptrIjEEEEPS6_NSA_18transform_iteratorI7is_evenIjESF_NSA_11use_defaultESK_EENS0_5tupleIJSF_NSA_16discard_iteratorISK_EEEEENSM_IJSG_SG_EEES6_PlJS6_EEE10hipError_tPvRmT3_T4_T5_T6_T7_T9_mT8_P12ihipStream_tbDpT10_ENKUlT_T0_E_clISt17integral_constantIbLb0EES1B_EEDaS16_S17_EUlS16_E_NS1_11comp_targetILNS1_3genE0ELNS1_11target_archE4294967295ELNS1_3gpuE0ELNS1_3repE0EEENS1_30default_config_static_selectorELNS0_4arch9wavefront6targetE1EEEvT1_
; %bb.0:
	.section	.rodata,"a",@progbits
	.p2align	6, 0x0
	.amdhsa_kernel _ZN7rocprim17ROCPRIM_400000_NS6detail17trampoline_kernelINS0_14default_configENS1_25partition_config_selectorILNS1_17partition_subalgoE1EjNS0_10empty_typeEbEEZZNS1_14partition_implILS5_1ELb0ES3_jN6thrust23THRUST_200600_302600_NS6detail15normal_iteratorINSA_10device_ptrIjEEEEPS6_NSA_18transform_iteratorI7is_evenIjESF_NSA_11use_defaultESK_EENS0_5tupleIJSF_NSA_16discard_iteratorISK_EEEEENSM_IJSG_SG_EEES6_PlJS6_EEE10hipError_tPvRmT3_T4_T5_T6_T7_T9_mT8_P12ihipStream_tbDpT10_ENKUlT_T0_E_clISt17integral_constantIbLb0EES1B_EEDaS16_S17_EUlS16_E_NS1_11comp_targetILNS1_3genE0ELNS1_11target_archE4294967295ELNS1_3gpuE0ELNS1_3repE0EEENS1_30default_config_static_selectorELNS0_4arch9wavefront6targetE1EEEvT1_
		.amdhsa_group_segment_fixed_size 0
		.amdhsa_private_segment_fixed_size 0
		.amdhsa_kernarg_size 136
		.amdhsa_user_sgpr_count 6
		.amdhsa_user_sgpr_private_segment_buffer 1
		.amdhsa_user_sgpr_dispatch_ptr 0
		.amdhsa_user_sgpr_queue_ptr 0
		.amdhsa_user_sgpr_kernarg_segment_ptr 1
		.amdhsa_user_sgpr_dispatch_id 0
		.amdhsa_user_sgpr_flat_scratch_init 0
		.amdhsa_user_sgpr_kernarg_preload_length 0
		.amdhsa_user_sgpr_kernarg_preload_offset 0
		.amdhsa_user_sgpr_private_segment_size 0
		.amdhsa_uses_dynamic_stack 0
		.amdhsa_system_sgpr_private_segment_wavefront_offset 0
		.amdhsa_system_sgpr_workgroup_id_x 1
		.amdhsa_system_sgpr_workgroup_id_y 0
		.amdhsa_system_sgpr_workgroup_id_z 0
		.amdhsa_system_sgpr_workgroup_info 0
		.amdhsa_system_vgpr_workitem_id 0
		.amdhsa_next_free_vgpr 1
		.amdhsa_next_free_sgpr 0
		.amdhsa_accum_offset 4
		.amdhsa_reserve_vcc 0
		.amdhsa_reserve_flat_scratch 0
		.amdhsa_float_round_mode_32 0
		.amdhsa_float_round_mode_16_64 0
		.amdhsa_float_denorm_mode_32 3
		.amdhsa_float_denorm_mode_16_64 3
		.amdhsa_dx10_clamp 1
		.amdhsa_ieee_mode 1
		.amdhsa_fp16_overflow 0
		.amdhsa_tg_split 0
		.amdhsa_exception_fp_ieee_invalid_op 0
		.amdhsa_exception_fp_denorm_src 0
		.amdhsa_exception_fp_ieee_div_zero 0
		.amdhsa_exception_fp_ieee_overflow 0
		.amdhsa_exception_fp_ieee_underflow 0
		.amdhsa_exception_fp_ieee_inexact 0
		.amdhsa_exception_int_div_zero 0
	.end_amdhsa_kernel
	.section	.text._ZN7rocprim17ROCPRIM_400000_NS6detail17trampoline_kernelINS0_14default_configENS1_25partition_config_selectorILNS1_17partition_subalgoE1EjNS0_10empty_typeEbEEZZNS1_14partition_implILS5_1ELb0ES3_jN6thrust23THRUST_200600_302600_NS6detail15normal_iteratorINSA_10device_ptrIjEEEEPS6_NSA_18transform_iteratorI7is_evenIjESF_NSA_11use_defaultESK_EENS0_5tupleIJSF_NSA_16discard_iteratorISK_EEEEENSM_IJSG_SG_EEES6_PlJS6_EEE10hipError_tPvRmT3_T4_T5_T6_T7_T9_mT8_P12ihipStream_tbDpT10_ENKUlT_T0_E_clISt17integral_constantIbLb0EES1B_EEDaS16_S17_EUlS16_E_NS1_11comp_targetILNS1_3genE0ELNS1_11target_archE4294967295ELNS1_3gpuE0ELNS1_3repE0EEENS1_30default_config_static_selectorELNS0_4arch9wavefront6targetE1EEEvT1_,"axG",@progbits,_ZN7rocprim17ROCPRIM_400000_NS6detail17trampoline_kernelINS0_14default_configENS1_25partition_config_selectorILNS1_17partition_subalgoE1EjNS0_10empty_typeEbEEZZNS1_14partition_implILS5_1ELb0ES3_jN6thrust23THRUST_200600_302600_NS6detail15normal_iteratorINSA_10device_ptrIjEEEEPS6_NSA_18transform_iteratorI7is_evenIjESF_NSA_11use_defaultESK_EENS0_5tupleIJSF_NSA_16discard_iteratorISK_EEEEENSM_IJSG_SG_EEES6_PlJS6_EEE10hipError_tPvRmT3_T4_T5_T6_T7_T9_mT8_P12ihipStream_tbDpT10_ENKUlT_T0_E_clISt17integral_constantIbLb0EES1B_EEDaS16_S17_EUlS16_E_NS1_11comp_targetILNS1_3genE0ELNS1_11target_archE4294967295ELNS1_3gpuE0ELNS1_3repE0EEENS1_30default_config_static_selectorELNS0_4arch9wavefront6targetE1EEEvT1_,comdat
.Lfunc_end3003:
	.size	_ZN7rocprim17ROCPRIM_400000_NS6detail17trampoline_kernelINS0_14default_configENS1_25partition_config_selectorILNS1_17partition_subalgoE1EjNS0_10empty_typeEbEEZZNS1_14partition_implILS5_1ELb0ES3_jN6thrust23THRUST_200600_302600_NS6detail15normal_iteratorINSA_10device_ptrIjEEEEPS6_NSA_18transform_iteratorI7is_evenIjESF_NSA_11use_defaultESK_EENS0_5tupleIJSF_NSA_16discard_iteratorISK_EEEEENSM_IJSG_SG_EEES6_PlJS6_EEE10hipError_tPvRmT3_T4_T5_T6_T7_T9_mT8_P12ihipStream_tbDpT10_ENKUlT_T0_E_clISt17integral_constantIbLb0EES1B_EEDaS16_S17_EUlS16_E_NS1_11comp_targetILNS1_3genE0ELNS1_11target_archE4294967295ELNS1_3gpuE0ELNS1_3repE0EEENS1_30default_config_static_selectorELNS0_4arch9wavefront6targetE1EEEvT1_, .Lfunc_end3003-_ZN7rocprim17ROCPRIM_400000_NS6detail17trampoline_kernelINS0_14default_configENS1_25partition_config_selectorILNS1_17partition_subalgoE1EjNS0_10empty_typeEbEEZZNS1_14partition_implILS5_1ELb0ES3_jN6thrust23THRUST_200600_302600_NS6detail15normal_iteratorINSA_10device_ptrIjEEEEPS6_NSA_18transform_iteratorI7is_evenIjESF_NSA_11use_defaultESK_EENS0_5tupleIJSF_NSA_16discard_iteratorISK_EEEEENSM_IJSG_SG_EEES6_PlJS6_EEE10hipError_tPvRmT3_T4_T5_T6_T7_T9_mT8_P12ihipStream_tbDpT10_ENKUlT_T0_E_clISt17integral_constantIbLb0EES1B_EEDaS16_S17_EUlS16_E_NS1_11comp_targetILNS1_3genE0ELNS1_11target_archE4294967295ELNS1_3gpuE0ELNS1_3repE0EEENS1_30default_config_static_selectorELNS0_4arch9wavefront6targetE1EEEvT1_
                                        ; -- End function
	.section	.AMDGPU.csdata,"",@progbits
; Kernel info:
; codeLenInByte = 0
; NumSgprs: 4
; NumVgprs: 0
; NumAgprs: 0
; TotalNumVgprs: 0
; ScratchSize: 0
; MemoryBound: 0
; FloatMode: 240
; IeeeMode: 1
; LDSByteSize: 0 bytes/workgroup (compile time only)
; SGPRBlocks: 0
; VGPRBlocks: 0
; NumSGPRsForWavesPerEU: 4
; NumVGPRsForWavesPerEU: 1
; AccumOffset: 4
; Occupancy: 8
; WaveLimiterHint : 0
; COMPUTE_PGM_RSRC2:SCRATCH_EN: 0
; COMPUTE_PGM_RSRC2:USER_SGPR: 6
; COMPUTE_PGM_RSRC2:TRAP_HANDLER: 0
; COMPUTE_PGM_RSRC2:TGID_X_EN: 1
; COMPUTE_PGM_RSRC2:TGID_Y_EN: 0
; COMPUTE_PGM_RSRC2:TGID_Z_EN: 0
; COMPUTE_PGM_RSRC2:TIDIG_COMP_CNT: 0
; COMPUTE_PGM_RSRC3_GFX90A:ACCUM_OFFSET: 0
; COMPUTE_PGM_RSRC3_GFX90A:TG_SPLIT: 0
	.section	.text._ZN7rocprim17ROCPRIM_400000_NS6detail17trampoline_kernelINS0_14default_configENS1_25partition_config_selectorILNS1_17partition_subalgoE1EjNS0_10empty_typeEbEEZZNS1_14partition_implILS5_1ELb0ES3_jN6thrust23THRUST_200600_302600_NS6detail15normal_iteratorINSA_10device_ptrIjEEEEPS6_NSA_18transform_iteratorI7is_evenIjESF_NSA_11use_defaultESK_EENS0_5tupleIJSF_NSA_16discard_iteratorISK_EEEEENSM_IJSG_SG_EEES6_PlJS6_EEE10hipError_tPvRmT3_T4_T5_T6_T7_T9_mT8_P12ihipStream_tbDpT10_ENKUlT_T0_E_clISt17integral_constantIbLb0EES1B_EEDaS16_S17_EUlS16_E_NS1_11comp_targetILNS1_3genE5ELNS1_11target_archE942ELNS1_3gpuE9ELNS1_3repE0EEENS1_30default_config_static_selectorELNS0_4arch9wavefront6targetE1EEEvT1_,"axG",@progbits,_ZN7rocprim17ROCPRIM_400000_NS6detail17trampoline_kernelINS0_14default_configENS1_25partition_config_selectorILNS1_17partition_subalgoE1EjNS0_10empty_typeEbEEZZNS1_14partition_implILS5_1ELb0ES3_jN6thrust23THRUST_200600_302600_NS6detail15normal_iteratorINSA_10device_ptrIjEEEEPS6_NSA_18transform_iteratorI7is_evenIjESF_NSA_11use_defaultESK_EENS0_5tupleIJSF_NSA_16discard_iteratorISK_EEEEENSM_IJSG_SG_EEES6_PlJS6_EEE10hipError_tPvRmT3_T4_T5_T6_T7_T9_mT8_P12ihipStream_tbDpT10_ENKUlT_T0_E_clISt17integral_constantIbLb0EES1B_EEDaS16_S17_EUlS16_E_NS1_11comp_targetILNS1_3genE5ELNS1_11target_archE942ELNS1_3gpuE9ELNS1_3repE0EEENS1_30default_config_static_selectorELNS0_4arch9wavefront6targetE1EEEvT1_,comdat
	.protected	_ZN7rocprim17ROCPRIM_400000_NS6detail17trampoline_kernelINS0_14default_configENS1_25partition_config_selectorILNS1_17partition_subalgoE1EjNS0_10empty_typeEbEEZZNS1_14partition_implILS5_1ELb0ES3_jN6thrust23THRUST_200600_302600_NS6detail15normal_iteratorINSA_10device_ptrIjEEEEPS6_NSA_18transform_iteratorI7is_evenIjESF_NSA_11use_defaultESK_EENS0_5tupleIJSF_NSA_16discard_iteratorISK_EEEEENSM_IJSG_SG_EEES6_PlJS6_EEE10hipError_tPvRmT3_T4_T5_T6_T7_T9_mT8_P12ihipStream_tbDpT10_ENKUlT_T0_E_clISt17integral_constantIbLb0EES1B_EEDaS16_S17_EUlS16_E_NS1_11comp_targetILNS1_3genE5ELNS1_11target_archE942ELNS1_3gpuE9ELNS1_3repE0EEENS1_30default_config_static_selectorELNS0_4arch9wavefront6targetE1EEEvT1_ ; -- Begin function _ZN7rocprim17ROCPRIM_400000_NS6detail17trampoline_kernelINS0_14default_configENS1_25partition_config_selectorILNS1_17partition_subalgoE1EjNS0_10empty_typeEbEEZZNS1_14partition_implILS5_1ELb0ES3_jN6thrust23THRUST_200600_302600_NS6detail15normal_iteratorINSA_10device_ptrIjEEEEPS6_NSA_18transform_iteratorI7is_evenIjESF_NSA_11use_defaultESK_EENS0_5tupleIJSF_NSA_16discard_iteratorISK_EEEEENSM_IJSG_SG_EEES6_PlJS6_EEE10hipError_tPvRmT3_T4_T5_T6_T7_T9_mT8_P12ihipStream_tbDpT10_ENKUlT_T0_E_clISt17integral_constantIbLb0EES1B_EEDaS16_S17_EUlS16_E_NS1_11comp_targetILNS1_3genE5ELNS1_11target_archE942ELNS1_3gpuE9ELNS1_3repE0EEENS1_30default_config_static_selectorELNS0_4arch9wavefront6targetE1EEEvT1_
	.globl	_ZN7rocprim17ROCPRIM_400000_NS6detail17trampoline_kernelINS0_14default_configENS1_25partition_config_selectorILNS1_17partition_subalgoE1EjNS0_10empty_typeEbEEZZNS1_14partition_implILS5_1ELb0ES3_jN6thrust23THRUST_200600_302600_NS6detail15normal_iteratorINSA_10device_ptrIjEEEEPS6_NSA_18transform_iteratorI7is_evenIjESF_NSA_11use_defaultESK_EENS0_5tupleIJSF_NSA_16discard_iteratorISK_EEEEENSM_IJSG_SG_EEES6_PlJS6_EEE10hipError_tPvRmT3_T4_T5_T6_T7_T9_mT8_P12ihipStream_tbDpT10_ENKUlT_T0_E_clISt17integral_constantIbLb0EES1B_EEDaS16_S17_EUlS16_E_NS1_11comp_targetILNS1_3genE5ELNS1_11target_archE942ELNS1_3gpuE9ELNS1_3repE0EEENS1_30default_config_static_selectorELNS0_4arch9wavefront6targetE1EEEvT1_
	.p2align	8
	.type	_ZN7rocprim17ROCPRIM_400000_NS6detail17trampoline_kernelINS0_14default_configENS1_25partition_config_selectorILNS1_17partition_subalgoE1EjNS0_10empty_typeEbEEZZNS1_14partition_implILS5_1ELb0ES3_jN6thrust23THRUST_200600_302600_NS6detail15normal_iteratorINSA_10device_ptrIjEEEEPS6_NSA_18transform_iteratorI7is_evenIjESF_NSA_11use_defaultESK_EENS0_5tupleIJSF_NSA_16discard_iteratorISK_EEEEENSM_IJSG_SG_EEES6_PlJS6_EEE10hipError_tPvRmT3_T4_T5_T6_T7_T9_mT8_P12ihipStream_tbDpT10_ENKUlT_T0_E_clISt17integral_constantIbLb0EES1B_EEDaS16_S17_EUlS16_E_NS1_11comp_targetILNS1_3genE5ELNS1_11target_archE942ELNS1_3gpuE9ELNS1_3repE0EEENS1_30default_config_static_selectorELNS0_4arch9wavefront6targetE1EEEvT1_,@function
_ZN7rocprim17ROCPRIM_400000_NS6detail17trampoline_kernelINS0_14default_configENS1_25partition_config_selectorILNS1_17partition_subalgoE1EjNS0_10empty_typeEbEEZZNS1_14partition_implILS5_1ELb0ES3_jN6thrust23THRUST_200600_302600_NS6detail15normal_iteratorINSA_10device_ptrIjEEEEPS6_NSA_18transform_iteratorI7is_evenIjESF_NSA_11use_defaultESK_EENS0_5tupleIJSF_NSA_16discard_iteratorISK_EEEEENSM_IJSG_SG_EEES6_PlJS6_EEE10hipError_tPvRmT3_T4_T5_T6_T7_T9_mT8_P12ihipStream_tbDpT10_ENKUlT_T0_E_clISt17integral_constantIbLb0EES1B_EEDaS16_S17_EUlS16_E_NS1_11comp_targetILNS1_3genE5ELNS1_11target_archE942ELNS1_3gpuE9ELNS1_3repE0EEENS1_30default_config_static_selectorELNS0_4arch9wavefront6targetE1EEEvT1_: ; @_ZN7rocprim17ROCPRIM_400000_NS6detail17trampoline_kernelINS0_14default_configENS1_25partition_config_selectorILNS1_17partition_subalgoE1EjNS0_10empty_typeEbEEZZNS1_14partition_implILS5_1ELb0ES3_jN6thrust23THRUST_200600_302600_NS6detail15normal_iteratorINSA_10device_ptrIjEEEEPS6_NSA_18transform_iteratorI7is_evenIjESF_NSA_11use_defaultESK_EENS0_5tupleIJSF_NSA_16discard_iteratorISK_EEEEENSM_IJSG_SG_EEES6_PlJS6_EEE10hipError_tPvRmT3_T4_T5_T6_T7_T9_mT8_P12ihipStream_tbDpT10_ENKUlT_T0_E_clISt17integral_constantIbLb0EES1B_EEDaS16_S17_EUlS16_E_NS1_11comp_targetILNS1_3genE5ELNS1_11target_archE942ELNS1_3gpuE9ELNS1_3repE0EEENS1_30default_config_static_selectorELNS0_4arch9wavefront6targetE1EEEvT1_
; %bb.0:
	.section	.rodata,"a",@progbits
	.p2align	6, 0x0
	.amdhsa_kernel _ZN7rocprim17ROCPRIM_400000_NS6detail17trampoline_kernelINS0_14default_configENS1_25partition_config_selectorILNS1_17partition_subalgoE1EjNS0_10empty_typeEbEEZZNS1_14partition_implILS5_1ELb0ES3_jN6thrust23THRUST_200600_302600_NS6detail15normal_iteratorINSA_10device_ptrIjEEEEPS6_NSA_18transform_iteratorI7is_evenIjESF_NSA_11use_defaultESK_EENS0_5tupleIJSF_NSA_16discard_iteratorISK_EEEEENSM_IJSG_SG_EEES6_PlJS6_EEE10hipError_tPvRmT3_T4_T5_T6_T7_T9_mT8_P12ihipStream_tbDpT10_ENKUlT_T0_E_clISt17integral_constantIbLb0EES1B_EEDaS16_S17_EUlS16_E_NS1_11comp_targetILNS1_3genE5ELNS1_11target_archE942ELNS1_3gpuE9ELNS1_3repE0EEENS1_30default_config_static_selectorELNS0_4arch9wavefront6targetE1EEEvT1_
		.amdhsa_group_segment_fixed_size 0
		.amdhsa_private_segment_fixed_size 0
		.amdhsa_kernarg_size 136
		.amdhsa_user_sgpr_count 6
		.amdhsa_user_sgpr_private_segment_buffer 1
		.amdhsa_user_sgpr_dispatch_ptr 0
		.amdhsa_user_sgpr_queue_ptr 0
		.amdhsa_user_sgpr_kernarg_segment_ptr 1
		.amdhsa_user_sgpr_dispatch_id 0
		.amdhsa_user_sgpr_flat_scratch_init 0
		.amdhsa_user_sgpr_kernarg_preload_length 0
		.amdhsa_user_sgpr_kernarg_preload_offset 0
		.amdhsa_user_sgpr_private_segment_size 0
		.amdhsa_uses_dynamic_stack 0
		.amdhsa_system_sgpr_private_segment_wavefront_offset 0
		.amdhsa_system_sgpr_workgroup_id_x 1
		.amdhsa_system_sgpr_workgroup_id_y 0
		.amdhsa_system_sgpr_workgroup_id_z 0
		.amdhsa_system_sgpr_workgroup_info 0
		.amdhsa_system_vgpr_workitem_id 0
		.amdhsa_next_free_vgpr 1
		.amdhsa_next_free_sgpr 0
		.amdhsa_accum_offset 4
		.amdhsa_reserve_vcc 0
		.amdhsa_reserve_flat_scratch 0
		.amdhsa_float_round_mode_32 0
		.amdhsa_float_round_mode_16_64 0
		.amdhsa_float_denorm_mode_32 3
		.amdhsa_float_denorm_mode_16_64 3
		.amdhsa_dx10_clamp 1
		.amdhsa_ieee_mode 1
		.amdhsa_fp16_overflow 0
		.amdhsa_tg_split 0
		.amdhsa_exception_fp_ieee_invalid_op 0
		.amdhsa_exception_fp_denorm_src 0
		.amdhsa_exception_fp_ieee_div_zero 0
		.amdhsa_exception_fp_ieee_overflow 0
		.amdhsa_exception_fp_ieee_underflow 0
		.amdhsa_exception_fp_ieee_inexact 0
		.amdhsa_exception_int_div_zero 0
	.end_amdhsa_kernel
	.section	.text._ZN7rocprim17ROCPRIM_400000_NS6detail17trampoline_kernelINS0_14default_configENS1_25partition_config_selectorILNS1_17partition_subalgoE1EjNS0_10empty_typeEbEEZZNS1_14partition_implILS5_1ELb0ES3_jN6thrust23THRUST_200600_302600_NS6detail15normal_iteratorINSA_10device_ptrIjEEEEPS6_NSA_18transform_iteratorI7is_evenIjESF_NSA_11use_defaultESK_EENS0_5tupleIJSF_NSA_16discard_iteratorISK_EEEEENSM_IJSG_SG_EEES6_PlJS6_EEE10hipError_tPvRmT3_T4_T5_T6_T7_T9_mT8_P12ihipStream_tbDpT10_ENKUlT_T0_E_clISt17integral_constantIbLb0EES1B_EEDaS16_S17_EUlS16_E_NS1_11comp_targetILNS1_3genE5ELNS1_11target_archE942ELNS1_3gpuE9ELNS1_3repE0EEENS1_30default_config_static_selectorELNS0_4arch9wavefront6targetE1EEEvT1_,"axG",@progbits,_ZN7rocprim17ROCPRIM_400000_NS6detail17trampoline_kernelINS0_14default_configENS1_25partition_config_selectorILNS1_17partition_subalgoE1EjNS0_10empty_typeEbEEZZNS1_14partition_implILS5_1ELb0ES3_jN6thrust23THRUST_200600_302600_NS6detail15normal_iteratorINSA_10device_ptrIjEEEEPS6_NSA_18transform_iteratorI7is_evenIjESF_NSA_11use_defaultESK_EENS0_5tupleIJSF_NSA_16discard_iteratorISK_EEEEENSM_IJSG_SG_EEES6_PlJS6_EEE10hipError_tPvRmT3_T4_T5_T6_T7_T9_mT8_P12ihipStream_tbDpT10_ENKUlT_T0_E_clISt17integral_constantIbLb0EES1B_EEDaS16_S17_EUlS16_E_NS1_11comp_targetILNS1_3genE5ELNS1_11target_archE942ELNS1_3gpuE9ELNS1_3repE0EEENS1_30default_config_static_selectorELNS0_4arch9wavefront6targetE1EEEvT1_,comdat
.Lfunc_end3004:
	.size	_ZN7rocprim17ROCPRIM_400000_NS6detail17trampoline_kernelINS0_14default_configENS1_25partition_config_selectorILNS1_17partition_subalgoE1EjNS0_10empty_typeEbEEZZNS1_14partition_implILS5_1ELb0ES3_jN6thrust23THRUST_200600_302600_NS6detail15normal_iteratorINSA_10device_ptrIjEEEEPS6_NSA_18transform_iteratorI7is_evenIjESF_NSA_11use_defaultESK_EENS0_5tupleIJSF_NSA_16discard_iteratorISK_EEEEENSM_IJSG_SG_EEES6_PlJS6_EEE10hipError_tPvRmT3_T4_T5_T6_T7_T9_mT8_P12ihipStream_tbDpT10_ENKUlT_T0_E_clISt17integral_constantIbLb0EES1B_EEDaS16_S17_EUlS16_E_NS1_11comp_targetILNS1_3genE5ELNS1_11target_archE942ELNS1_3gpuE9ELNS1_3repE0EEENS1_30default_config_static_selectorELNS0_4arch9wavefront6targetE1EEEvT1_, .Lfunc_end3004-_ZN7rocprim17ROCPRIM_400000_NS6detail17trampoline_kernelINS0_14default_configENS1_25partition_config_selectorILNS1_17partition_subalgoE1EjNS0_10empty_typeEbEEZZNS1_14partition_implILS5_1ELb0ES3_jN6thrust23THRUST_200600_302600_NS6detail15normal_iteratorINSA_10device_ptrIjEEEEPS6_NSA_18transform_iteratorI7is_evenIjESF_NSA_11use_defaultESK_EENS0_5tupleIJSF_NSA_16discard_iteratorISK_EEEEENSM_IJSG_SG_EEES6_PlJS6_EEE10hipError_tPvRmT3_T4_T5_T6_T7_T9_mT8_P12ihipStream_tbDpT10_ENKUlT_T0_E_clISt17integral_constantIbLb0EES1B_EEDaS16_S17_EUlS16_E_NS1_11comp_targetILNS1_3genE5ELNS1_11target_archE942ELNS1_3gpuE9ELNS1_3repE0EEENS1_30default_config_static_selectorELNS0_4arch9wavefront6targetE1EEEvT1_
                                        ; -- End function
	.section	.AMDGPU.csdata,"",@progbits
; Kernel info:
; codeLenInByte = 0
; NumSgprs: 4
; NumVgprs: 0
; NumAgprs: 0
; TotalNumVgprs: 0
; ScratchSize: 0
; MemoryBound: 0
; FloatMode: 240
; IeeeMode: 1
; LDSByteSize: 0 bytes/workgroup (compile time only)
; SGPRBlocks: 0
; VGPRBlocks: 0
; NumSGPRsForWavesPerEU: 4
; NumVGPRsForWavesPerEU: 1
; AccumOffset: 4
; Occupancy: 8
; WaveLimiterHint : 0
; COMPUTE_PGM_RSRC2:SCRATCH_EN: 0
; COMPUTE_PGM_RSRC2:USER_SGPR: 6
; COMPUTE_PGM_RSRC2:TRAP_HANDLER: 0
; COMPUTE_PGM_RSRC2:TGID_X_EN: 1
; COMPUTE_PGM_RSRC2:TGID_Y_EN: 0
; COMPUTE_PGM_RSRC2:TGID_Z_EN: 0
; COMPUTE_PGM_RSRC2:TIDIG_COMP_CNT: 0
; COMPUTE_PGM_RSRC3_GFX90A:ACCUM_OFFSET: 0
; COMPUTE_PGM_RSRC3_GFX90A:TG_SPLIT: 0
	.section	.text._ZN7rocprim17ROCPRIM_400000_NS6detail17trampoline_kernelINS0_14default_configENS1_25partition_config_selectorILNS1_17partition_subalgoE1EjNS0_10empty_typeEbEEZZNS1_14partition_implILS5_1ELb0ES3_jN6thrust23THRUST_200600_302600_NS6detail15normal_iteratorINSA_10device_ptrIjEEEEPS6_NSA_18transform_iteratorI7is_evenIjESF_NSA_11use_defaultESK_EENS0_5tupleIJSF_NSA_16discard_iteratorISK_EEEEENSM_IJSG_SG_EEES6_PlJS6_EEE10hipError_tPvRmT3_T4_T5_T6_T7_T9_mT8_P12ihipStream_tbDpT10_ENKUlT_T0_E_clISt17integral_constantIbLb0EES1B_EEDaS16_S17_EUlS16_E_NS1_11comp_targetILNS1_3genE4ELNS1_11target_archE910ELNS1_3gpuE8ELNS1_3repE0EEENS1_30default_config_static_selectorELNS0_4arch9wavefront6targetE1EEEvT1_,"axG",@progbits,_ZN7rocprim17ROCPRIM_400000_NS6detail17trampoline_kernelINS0_14default_configENS1_25partition_config_selectorILNS1_17partition_subalgoE1EjNS0_10empty_typeEbEEZZNS1_14partition_implILS5_1ELb0ES3_jN6thrust23THRUST_200600_302600_NS6detail15normal_iteratorINSA_10device_ptrIjEEEEPS6_NSA_18transform_iteratorI7is_evenIjESF_NSA_11use_defaultESK_EENS0_5tupleIJSF_NSA_16discard_iteratorISK_EEEEENSM_IJSG_SG_EEES6_PlJS6_EEE10hipError_tPvRmT3_T4_T5_T6_T7_T9_mT8_P12ihipStream_tbDpT10_ENKUlT_T0_E_clISt17integral_constantIbLb0EES1B_EEDaS16_S17_EUlS16_E_NS1_11comp_targetILNS1_3genE4ELNS1_11target_archE910ELNS1_3gpuE8ELNS1_3repE0EEENS1_30default_config_static_selectorELNS0_4arch9wavefront6targetE1EEEvT1_,comdat
	.protected	_ZN7rocprim17ROCPRIM_400000_NS6detail17trampoline_kernelINS0_14default_configENS1_25partition_config_selectorILNS1_17partition_subalgoE1EjNS0_10empty_typeEbEEZZNS1_14partition_implILS5_1ELb0ES3_jN6thrust23THRUST_200600_302600_NS6detail15normal_iteratorINSA_10device_ptrIjEEEEPS6_NSA_18transform_iteratorI7is_evenIjESF_NSA_11use_defaultESK_EENS0_5tupleIJSF_NSA_16discard_iteratorISK_EEEEENSM_IJSG_SG_EEES6_PlJS6_EEE10hipError_tPvRmT3_T4_T5_T6_T7_T9_mT8_P12ihipStream_tbDpT10_ENKUlT_T0_E_clISt17integral_constantIbLb0EES1B_EEDaS16_S17_EUlS16_E_NS1_11comp_targetILNS1_3genE4ELNS1_11target_archE910ELNS1_3gpuE8ELNS1_3repE0EEENS1_30default_config_static_selectorELNS0_4arch9wavefront6targetE1EEEvT1_ ; -- Begin function _ZN7rocprim17ROCPRIM_400000_NS6detail17trampoline_kernelINS0_14default_configENS1_25partition_config_selectorILNS1_17partition_subalgoE1EjNS0_10empty_typeEbEEZZNS1_14partition_implILS5_1ELb0ES3_jN6thrust23THRUST_200600_302600_NS6detail15normal_iteratorINSA_10device_ptrIjEEEEPS6_NSA_18transform_iteratorI7is_evenIjESF_NSA_11use_defaultESK_EENS0_5tupleIJSF_NSA_16discard_iteratorISK_EEEEENSM_IJSG_SG_EEES6_PlJS6_EEE10hipError_tPvRmT3_T4_T5_T6_T7_T9_mT8_P12ihipStream_tbDpT10_ENKUlT_T0_E_clISt17integral_constantIbLb0EES1B_EEDaS16_S17_EUlS16_E_NS1_11comp_targetILNS1_3genE4ELNS1_11target_archE910ELNS1_3gpuE8ELNS1_3repE0EEENS1_30default_config_static_selectorELNS0_4arch9wavefront6targetE1EEEvT1_
	.globl	_ZN7rocprim17ROCPRIM_400000_NS6detail17trampoline_kernelINS0_14default_configENS1_25partition_config_selectorILNS1_17partition_subalgoE1EjNS0_10empty_typeEbEEZZNS1_14partition_implILS5_1ELb0ES3_jN6thrust23THRUST_200600_302600_NS6detail15normal_iteratorINSA_10device_ptrIjEEEEPS6_NSA_18transform_iteratorI7is_evenIjESF_NSA_11use_defaultESK_EENS0_5tupleIJSF_NSA_16discard_iteratorISK_EEEEENSM_IJSG_SG_EEES6_PlJS6_EEE10hipError_tPvRmT3_T4_T5_T6_T7_T9_mT8_P12ihipStream_tbDpT10_ENKUlT_T0_E_clISt17integral_constantIbLb0EES1B_EEDaS16_S17_EUlS16_E_NS1_11comp_targetILNS1_3genE4ELNS1_11target_archE910ELNS1_3gpuE8ELNS1_3repE0EEENS1_30default_config_static_selectorELNS0_4arch9wavefront6targetE1EEEvT1_
	.p2align	8
	.type	_ZN7rocprim17ROCPRIM_400000_NS6detail17trampoline_kernelINS0_14default_configENS1_25partition_config_selectorILNS1_17partition_subalgoE1EjNS0_10empty_typeEbEEZZNS1_14partition_implILS5_1ELb0ES3_jN6thrust23THRUST_200600_302600_NS6detail15normal_iteratorINSA_10device_ptrIjEEEEPS6_NSA_18transform_iteratorI7is_evenIjESF_NSA_11use_defaultESK_EENS0_5tupleIJSF_NSA_16discard_iteratorISK_EEEEENSM_IJSG_SG_EEES6_PlJS6_EEE10hipError_tPvRmT3_T4_T5_T6_T7_T9_mT8_P12ihipStream_tbDpT10_ENKUlT_T0_E_clISt17integral_constantIbLb0EES1B_EEDaS16_S17_EUlS16_E_NS1_11comp_targetILNS1_3genE4ELNS1_11target_archE910ELNS1_3gpuE8ELNS1_3repE0EEENS1_30default_config_static_selectorELNS0_4arch9wavefront6targetE1EEEvT1_,@function
_ZN7rocprim17ROCPRIM_400000_NS6detail17trampoline_kernelINS0_14default_configENS1_25partition_config_selectorILNS1_17partition_subalgoE1EjNS0_10empty_typeEbEEZZNS1_14partition_implILS5_1ELb0ES3_jN6thrust23THRUST_200600_302600_NS6detail15normal_iteratorINSA_10device_ptrIjEEEEPS6_NSA_18transform_iteratorI7is_evenIjESF_NSA_11use_defaultESK_EENS0_5tupleIJSF_NSA_16discard_iteratorISK_EEEEENSM_IJSG_SG_EEES6_PlJS6_EEE10hipError_tPvRmT3_T4_T5_T6_T7_T9_mT8_P12ihipStream_tbDpT10_ENKUlT_T0_E_clISt17integral_constantIbLb0EES1B_EEDaS16_S17_EUlS16_E_NS1_11comp_targetILNS1_3genE4ELNS1_11target_archE910ELNS1_3gpuE8ELNS1_3repE0EEENS1_30default_config_static_selectorELNS0_4arch9wavefront6targetE1EEEvT1_: ; @_ZN7rocprim17ROCPRIM_400000_NS6detail17trampoline_kernelINS0_14default_configENS1_25partition_config_selectorILNS1_17partition_subalgoE1EjNS0_10empty_typeEbEEZZNS1_14partition_implILS5_1ELb0ES3_jN6thrust23THRUST_200600_302600_NS6detail15normal_iteratorINSA_10device_ptrIjEEEEPS6_NSA_18transform_iteratorI7is_evenIjESF_NSA_11use_defaultESK_EENS0_5tupleIJSF_NSA_16discard_iteratorISK_EEEEENSM_IJSG_SG_EEES6_PlJS6_EEE10hipError_tPvRmT3_T4_T5_T6_T7_T9_mT8_P12ihipStream_tbDpT10_ENKUlT_T0_E_clISt17integral_constantIbLb0EES1B_EEDaS16_S17_EUlS16_E_NS1_11comp_targetILNS1_3genE4ELNS1_11target_archE910ELNS1_3gpuE8ELNS1_3repE0EEENS1_30default_config_static_selectorELNS0_4arch9wavefront6targetE1EEEvT1_
; %bb.0:
	s_load_dwordx2 s[0:1], s[4:5], 0x68
	s_load_dwordx4 s[12:15], s[4:5], 0x8
	s_load_dwordx2 s[2:3], s[4:5], 0x20
	s_load_dwordx4 s[20:23], s[4:5], 0x58
	s_mul_i32 s10, s6, 0x700
	s_waitcnt lgkmcnt(0)
	v_mov_b32_e32 v3, s1
	s_load_dword s1, s[4:5], 0x80
	s_lshl_b64 s[8:9], s[14:15], 2
	s_add_u32 s7, s12, s8
	s_addc_u32 s12, s13, s9
	v_mov_b32_e32 v2, s0
	s_waitcnt lgkmcnt(0)
	s_add_i32 s13, s1, -1
	s_mulk_i32 s1, 0x700
	s_add_i32 s11, s1, s14
	s_sub_i32 s33, s0, s11
	s_addk_i32 s33, 0x700
	s_add_u32 s0, s14, s1
	s_addc_u32 s1, s15, 0
	s_cmp_eq_u32 s6, s13
	s_load_dwordx2 s[22:23], s[22:23], 0x0
	s_cselect_b64 s[24:25], -1, 0
	s_cmp_lg_u32 s6, s13
	s_mov_b32 s11, 0
	v_cmp_lt_u64_e32 vcc, s[0:1], v[2:3]
	s_cselect_b64 s[0:1], -1, 0
	s_or_b64 s[26:27], s[0:1], vcc
	s_lshl_b64 s[10:11], s[10:11], 2
	s_add_u32 s7, s7, s10
	s_addc_u32 s14, s12, s11
	s_mov_b64 s[0:1], -1
	s_and_b64 vcc, exec, s[26:27]
	v_lshlrev_b32_e32 v1, 2, v0
	s_cbranch_vccz .LBB3005_2
; %bb.1:
	v_mov_b32_e32 v3, s14
	v_add_co_u32_e32 v2, vcc, s7, v1
	v_addc_co_u32_e32 v3, vcc, 0, v3, vcc
	v_add_co_u32_e32 v4, vcc, 0x1000, v2
	v_addc_co_u32_e32 v5, vcc, 0, v3, vcc
	flat_load_dword v6, v[2:3]
	flat_load_dword v7, v[2:3] offset:1024
	flat_load_dword v8, v[2:3] offset:2048
	;; [unrolled: 1-line block ×3, first 2 shown]
	flat_load_dword v10, v[4:5]
	flat_load_dword v11, v[4:5] offset:1024
	flat_load_dword v12, v[4:5] offset:2048
	s_mov_b64 s[0:1], 0
	s_waitcnt vmcnt(0) lgkmcnt(0)
	ds_write2st64_b32 v1, v6, v7 offset1:4
	ds_write2st64_b32 v1, v8, v9 offset0:8 offset1:12
	ds_write2st64_b32 v1, v10, v11 offset0:16 offset1:20
	ds_write_b32 v1, v12 offset:6144
	s_waitcnt lgkmcnt(0)
	s_barrier
.LBB3005_2:
	s_andn2_b64 vcc, exec, s[0:1]
	v_cmp_gt_u32_e64 s[0:1], s33, v0
	s_cbranch_vccnz .LBB3005_18
; %bb.3:
                                        ; implicit-def: $vgpr2_vgpr3_vgpr4_vgpr5_vgpr6_vgpr7_vgpr8
	s_and_saveexec_b64 s[12:13], s[0:1]
	s_cbranch_execz .LBB3005_5
; %bb.4:
	v_mov_b32_e32 v3, s14
	v_add_co_u32_e32 v2, vcc, s7, v1
	v_addc_co_u32_e32 v3, vcc, 0, v3, vcc
	flat_load_dword v2, v[2:3]
.LBB3005_5:
	s_or_b64 exec, exec, s[12:13]
	v_or_b32_e32 v9, 0x100, v0
	v_cmp_gt_u32_e32 vcc, s33, v9
	s_and_saveexec_b64 s[0:1], vcc
	s_cbranch_execz .LBB3005_7
; %bb.6:
	v_mov_b32_e32 v3, s14
	v_add_co_u32_e32 v10, vcc, s7, v1
	v_addc_co_u32_e32 v11, vcc, 0, v3, vcc
	flat_load_dword v3, v[10:11] offset:1024
.LBB3005_7:
	s_or_b64 exec, exec, s[0:1]
	v_or_b32_e32 v9, 0x200, v0
	v_cmp_gt_u32_e32 vcc, s33, v9
	s_and_saveexec_b64 s[0:1], vcc
	s_cbranch_execz .LBB3005_9
; %bb.8:
	v_mov_b32_e32 v4, s14
	v_add_co_u32_e32 v10, vcc, s7, v1
	v_addc_co_u32_e32 v11, vcc, 0, v4, vcc
	flat_load_dword v4, v[10:11] offset:2048
.LBB3005_9:
	;; [unrolled: 11-line block ×3, first 2 shown]
	s_or_b64 exec, exec, s[0:1]
	v_or_b32_e32 v9, 0x400, v0
	v_cmp_gt_u32_e32 vcc, s33, v9
	s_and_saveexec_b64 s[0:1], vcc
	s_cbranch_execz .LBB3005_13
; %bb.12:
	v_lshlrev_b32_e32 v6, 2, v9
	v_mov_b32_e32 v9, s14
	v_add_co_u32_e32 v10, vcc, s7, v6
	v_addc_co_u32_e32 v11, vcc, 0, v9, vcc
	flat_load_dword v6, v[10:11]
.LBB3005_13:
	s_or_b64 exec, exec, s[0:1]
	v_or_b32_e32 v9, 0x500, v0
	v_cmp_gt_u32_e32 vcc, s33, v9
	s_and_saveexec_b64 s[0:1], vcc
	s_cbranch_execz .LBB3005_15
; %bb.14:
	v_lshlrev_b32_e32 v7, 2, v9
	v_mov_b32_e32 v9, s14
	v_add_co_u32_e32 v10, vcc, s7, v7
	v_addc_co_u32_e32 v11, vcc, 0, v9, vcc
	flat_load_dword v7, v[10:11]
.LBB3005_15:
	;; [unrolled: 12-line block ×3, first 2 shown]
	s_or_b64 exec, exec, s[0:1]
	s_waitcnt vmcnt(0) lgkmcnt(0)
	ds_write2st64_b32 v1, v2, v3 offset1:4
	ds_write2st64_b32 v1, v4, v5 offset0:8 offset1:12
	ds_write2st64_b32 v1, v6, v7 offset0:16 offset1:20
	ds_write_b32 v1, v8 offset:6144
	s_waitcnt lgkmcnt(0)
	s_barrier
.LBB3005_18:
	v_mul_u32_u24_e32 v19, 7, v0
	v_lshlrev_b32_e32 v8, 2, v19
	s_waitcnt lgkmcnt(0)
	ds_read2_b32 v[6:7], v8 offset1:1
	ds_read2_b32 v[4:5], v8 offset0:2 offset1:3
	ds_read2_b32 v[2:3], v8 offset0:4 offset1:5
	ds_read_b32 v18, v8 offset:24
	s_add_u32 s0, s2, s8
	s_addc_u32 s1, s3, s9
	s_add_u32 s0, s0, s10
	s_addc_u32 s1, s1, s11
	s_mov_b64 s[2:3], -1
	s_and_b64 vcc, exec, s[26:27]
	s_waitcnt lgkmcnt(0)
	s_barrier
	s_cbranch_vccz .LBB3005_20
; %bb.19:
	v_mov_b32_e32 v9, s1
	v_add_co_u32_e32 v10, vcc, s0, v1
	v_addc_co_u32_e32 v9, vcc, 0, v9, vcc
	s_movk_i32 s2, 0x1000
	v_add_co_u32_e32 v10, vcc, s2, v10
	global_load_dword v12, v1, s[0:1]
	global_load_dword v13, v1, s[0:1] offset:1024
	global_load_dword v14, v1, s[0:1] offset:2048
	;; [unrolled: 1-line block ×3, first 2 shown]
	v_addc_co_u32_e32 v11, vcc, 0, v9, vcc
	global_load_dword v9, v[10:11], off
	global_load_dword v16, v[10:11], off offset:1024
	global_load_dword v17, v[10:11], off offset:2048
	s_mov_b64 s[2:3], 0
	s_waitcnt vmcnt(6)
	v_xor_b32_e32 v10, -1, v12
	s_waitcnt vmcnt(5)
	v_xor_b32_e32 v11, -1, v13
	;; [unrolled: 2-line block ×4, first 2 shown]
	v_and_b32_e32 v10, 1, v10
	v_and_b32_e32 v11, 1, v11
	s_waitcnt vmcnt(2)
	v_xor_b32_e32 v9, -1, v9
	v_and_b32_e32 v12, 1, v12
	v_and_b32_e32 v13, 1, v13
	ds_write_b8 v0, v10
	ds_write_b8 v0, v11 offset:256
	ds_write_b8 v0, v12 offset:512
	;; [unrolled: 1-line block ×3, first 2 shown]
	s_waitcnt vmcnt(1)
	v_xor_b32_e32 v10, -1, v16
	s_waitcnt vmcnt(0)
	v_xor_b32_e32 v11, -1, v17
	v_and_b32_e32 v9, 1, v9
	v_and_b32_e32 v10, 1, v10
	;; [unrolled: 1-line block ×3, first 2 shown]
	ds_write_b8 v0, v9 offset:1024
	ds_write_b8 v0, v10 offset:1280
	;; [unrolled: 1-line block ×3, first 2 shown]
	s_waitcnt lgkmcnt(0)
	s_barrier
.LBB3005_20:
	s_load_dwordx2 s[28:29], s[4:5], 0x78
	s_andn2_b64 vcc, exec, s[2:3]
	s_cbranch_vccnz .LBB3005_36
; %bb.21:
	v_cmp_gt_u32_e32 vcc, s33, v0
	v_mov_b32_e32 v9, 0
	v_mov_b32_e32 v10, 0
	s_and_saveexec_b64 s[2:3], vcc
	s_cbranch_execz .LBB3005_23
; %bb.22:
	global_load_dword v10, v1, s[0:1]
	s_waitcnt vmcnt(0)
	v_xor_b32_e32 v10, -1, v10
	v_and_b32_e32 v10, 1, v10
.LBB3005_23:
	s_or_b64 exec, exec, s[2:3]
	v_or_b32_e32 v11, 0x100, v0
	v_cmp_gt_u32_e32 vcc, s33, v11
	s_and_saveexec_b64 s[2:3], vcc
	s_cbranch_execz .LBB3005_25
; %bb.24:
	global_load_dword v9, v1, s[0:1] offset:1024
	s_waitcnt vmcnt(0)
	v_xor_b32_e32 v9, -1, v9
	v_and_b32_e32 v9, 1, v9
.LBB3005_25:
	s_or_b64 exec, exec, s[2:3]
	v_or_b32_e32 v11, 0x200, v0
	v_cmp_gt_u32_e32 vcc, s33, v11
	v_mov_b32_e32 v11, 0
	v_mov_b32_e32 v12, 0
	s_and_saveexec_b64 s[2:3], vcc
	s_cbranch_execz .LBB3005_27
; %bb.26:
	global_load_dword v12, v1, s[0:1] offset:2048
	s_waitcnt vmcnt(0)
	v_xor_b32_e32 v12, -1, v12
	v_and_b32_e32 v12, 1, v12
.LBB3005_27:
	s_or_b64 exec, exec, s[2:3]
	v_or_b32_e32 v13, 0x300, v0
	v_cmp_gt_u32_e32 vcc, s33, v13
	s_and_saveexec_b64 s[2:3], vcc
	s_cbranch_execz .LBB3005_29
; %bb.28:
	global_load_dword v11, v1, s[0:1] offset:3072
	s_waitcnt vmcnt(0)
	v_xor_b32_e32 v11, -1, v11
	v_and_b32_e32 v11, 1, v11
.LBB3005_29:
	s_or_b64 exec, exec, s[2:3]
	v_or_b32_e32 v15, 0x400, v0
	v_cmp_gt_u32_e32 vcc, s33, v15
	v_mov_b32_e32 v13, 0
	v_mov_b32_e32 v14, 0
	s_and_saveexec_b64 s[2:3], vcc
	s_cbranch_execz .LBB3005_31
; %bb.30:
	v_lshlrev_b32_e32 v14, 2, v15
	global_load_dword v14, v14, s[0:1]
	s_waitcnt vmcnt(0)
	v_xor_b32_e32 v14, -1, v14
	v_and_b32_e32 v14, 1, v14
.LBB3005_31:
	s_or_b64 exec, exec, s[2:3]
	v_or_b32_e32 v15, 0x500, v0
	v_cmp_gt_u32_e32 vcc, s33, v15
	s_and_saveexec_b64 s[2:3], vcc
	s_cbranch_execz .LBB3005_33
; %bb.32:
	v_lshlrev_b32_e32 v13, 2, v15
	global_load_dword v13, v13, s[0:1]
	s_waitcnt vmcnt(0)
	v_xor_b32_e32 v13, -1, v13
	v_and_b32_e32 v13, 1, v13
.LBB3005_33:
	s_or_b64 exec, exec, s[2:3]
	v_or_b32_e32 v16, 0x600, v0
	v_cmp_gt_u32_e32 vcc, s33, v16
	v_mov_b32_e32 v15, 0
	s_and_saveexec_b64 s[2:3], vcc
	s_cbranch_execz .LBB3005_35
; %bb.34:
	v_lshlrev_b32_e32 v15, 2, v16
	global_load_dword v15, v15, s[0:1]
	s_waitcnt vmcnt(0)
	v_xor_b32_e32 v15, -1, v15
	v_and_b32_e32 v15, 1, v15
.LBB3005_35:
	s_or_b64 exec, exec, s[2:3]
	ds_write_b8 v0, v10
	ds_write_b8 v0, v9 offset:256
	ds_write_b8 v0, v12 offset:512
	;; [unrolled: 1-line block ×6, first 2 shown]
	s_waitcnt lgkmcnt(0)
	s_barrier
.LBB3005_36:
	s_movk_i32 s0, 0xffeb
	v_mad_i32_i24 v28, v0, s0, v8
	s_waitcnt lgkmcnt(0)
	ds_read_u8 v8, v28
	ds_read_u8 v9, v28 offset:1
	ds_read_u8 v10, v28 offset:2
	;; [unrolled: 1-line block ×6, first 2 shown]
	s_waitcnt lgkmcnt(6)
	v_and_b32_e32 v26, 1, v8
	s_waitcnt lgkmcnt(5)
	v_and_b32_e32 v25, 1, v9
	;; [unrolled: 2-line block ×5, first 2 shown]
	v_add3_u32 v8, v25, v26, v24
	s_waitcnt lgkmcnt(1)
	v_and_b32_e32 v21, 1, v13
	s_waitcnt lgkmcnt(0)
	v_and_b32_e32 v20, 1, v14
	v_add3_u32 v8, v8, v23, v22
	v_add3_u32 v30, v8, v21, v20
	v_mbcnt_lo_u32_b32 v8, -1, 0
	v_mbcnt_hi_u32_b32 v27, -1, v8
	v_and_b32_e32 v8, 15, v27
	v_cmp_eq_u32_e64 s[14:15], 0, v8
	v_cmp_lt_u32_e64 s[12:13], 1, v8
	v_cmp_lt_u32_e64 s[10:11], 3, v8
	;; [unrolled: 1-line block ×3, first 2 shown]
	v_and_b32_e32 v8, 16, v27
	v_cmp_eq_u32_e64 s[18:19], 0, v8
	v_or_b32_e32 v8, 63, v0
	s_cmp_lg_u32 s6, 0
	v_cmp_lt_u32_e64 s[0:1], 31, v27
	v_lshrrev_b32_e32 v29, 6, v0
	v_cmp_eq_u32_e64 s[2:3], v8, v0
	s_barrier
	s_cbranch_scc0 .LBB3005_63
; %bb.37:
	v_mov_b32_dpp v8, v30 row_shr:1 row_mask:0xf bank_mask:0xf
	v_cndmask_b32_e64 v8, v8, 0, s[14:15]
	v_add_u32_e32 v8, v8, v30
	s_nop 1
	v_mov_b32_dpp v9, v8 row_shr:2 row_mask:0xf bank_mask:0xf
	v_cndmask_b32_e64 v9, 0, v9, s[12:13]
	v_add_u32_e32 v8, v8, v9
	s_nop 1
	;; [unrolled: 4-line block ×4, first 2 shown]
	v_mov_b32_dpp v9, v8 row_bcast:15 row_mask:0xf bank_mask:0xf
	v_cndmask_b32_e64 v9, v9, 0, s[18:19]
	v_add_u32_e32 v8, v8, v9
	s_nop 1
	v_mov_b32_dpp v9, v8 row_bcast:31 row_mask:0xf bank_mask:0xf
	v_cndmask_b32_e64 v9, 0, v9, s[0:1]
	v_add_u32_e32 v8, v8, v9
	s_and_saveexec_b64 s[16:17], s[2:3]
	s_cbranch_execz .LBB3005_39
; %bb.38:
	v_lshlrev_b32_e32 v9, 2, v29
	ds_write_b32 v9, v8
.LBB3005_39:
	s_or_b64 exec, exec, s[16:17]
	v_cmp_gt_u32_e32 vcc, 4, v0
	s_waitcnt lgkmcnt(0)
	s_barrier
	s_and_saveexec_b64 s[16:17], vcc
	s_cbranch_execz .LBB3005_41
; %bb.40:
	ds_read_b32 v9, v1
	v_and_b32_e32 v10, 3, v27
	v_cmp_ne_u32_e32 vcc, 0, v10
	s_waitcnt lgkmcnt(0)
	v_mov_b32_dpp v11, v9 row_shr:1 row_mask:0xf bank_mask:0xf
	v_cndmask_b32_e32 v11, 0, v11, vcc
	v_add_u32_e32 v9, v11, v9
	v_cmp_lt_u32_e32 vcc, 1, v10
	s_nop 0
	v_mov_b32_dpp v11, v9 row_shr:2 row_mask:0xf bank_mask:0xf
	v_cndmask_b32_e32 v10, 0, v11, vcc
	v_add_u32_e32 v9, v9, v10
	ds_write_b32 v1, v9
.LBB3005_41:
	s_or_b64 exec, exec, s[16:17]
	v_cmp_gt_u32_e32 vcc, 64, v0
	v_cmp_lt_u32_e64 s[16:17], 63, v0
	s_waitcnt lgkmcnt(0)
	s_barrier
	s_waitcnt lgkmcnt(0)
                                        ; implicit-def: $vgpr31
	s_and_saveexec_b64 s[30:31], s[16:17]
	s_cbranch_execz .LBB3005_43
; %bb.42:
	v_lshl_add_u32 v9, v29, 2, -4
	ds_read_b32 v31, v9
	s_waitcnt lgkmcnt(0)
	v_add_u32_e32 v8, v31, v8
.LBB3005_43:
	s_or_b64 exec, exec, s[30:31]
	v_add_u32_e32 v9, -1, v27
	v_and_b32_e32 v10, 64, v27
	v_cmp_lt_i32_e64 s[16:17], v9, v10
	v_cndmask_b32_e64 v9, v9, v27, s[16:17]
	v_lshlrev_b32_e32 v9, 2, v9
	ds_bpermute_b32 v32, v9, v8
	v_cmp_eq_u32_e64 s[16:17], 0, v27
	s_and_saveexec_b64 s[30:31], vcc
	s_cbranch_execz .LBB3005_62
; %bb.44:
	v_mov_b32_e32 v15, 0
	ds_read_b32 v8, v15 offset:12
	s_and_saveexec_b64 s[34:35], s[16:17]
	s_cbranch_execz .LBB3005_46
; %bb.45:
	s_add_i32 s36, s6, 64
	s_mov_b32 s37, 0
	s_lshl_b64 s[36:37], s[36:37], 3
	s_add_u32 s36, s28, s36
	v_mov_b32_e32 v9, 1
	s_addc_u32 s37, s29, s37
	s_waitcnt lgkmcnt(0)
	global_store_dwordx2 v15, v[8:9], s[36:37]
.LBB3005_46:
	s_or_b64 exec, exec, s[34:35]
	v_xad_u32 v10, v27, -1, s6
	v_add_u32_e32 v14, 64, v10
	v_lshlrev_b64 v[12:13], 3, v[14:15]
	v_mov_b32_e32 v9, s29
	v_add_co_u32_e32 v16, vcc, s28, v12
	v_addc_co_u32_e32 v17, vcc, v9, v13, vcc
	global_load_dwordx2 v[12:13], v[16:17], off glc
	s_waitcnt vmcnt(0)
	v_cmp_eq_u16_sdwa s[36:37], v13, v15 src0_sel:BYTE_0 src1_sel:DWORD
	s_and_saveexec_b64 s[34:35], s[36:37]
	s_cbranch_execz .LBB3005_50
; %bb.47:
	s_mov_b64 s[36:37], 0
	v_mov_b32_e32 v9, 0
.LBB3005_48:                            ; =>This Inner Loop Header: Depth=1
	global_load_dwordx2 v[12:13], v[16:17], off glc
	s_waitcnt vmcnt(0)
	v_cmp_ne_u16_sdwa s[38:39], v13, v9 src0_sel:BYTE_0 src1_sel:DWORD
	s_or_b64 s[36:37], s[38:39], s[36:37]
	s_andn2_b64 exec, exec, s[36:37]
	s_cbranch_execnz .LBB3005_48
; %bb.49:
	s_or_b64 exec, exec, s[36:37]
.LBB3005_50:
	s_or_b64 exec, exec, s[34:35]
	v_and_b32_e32 v34, 63, v27
	v_mov_b32_e32 v33, 2
	v_cmp_ne_u32_e32 vcc, 63, v34
	v_cmp_eq_u16_sdwa s[34:35], v13, v33 src0_sel:BYTE_0 src1_sel:DWORD
	v_lshlrev_b64 v[14:15], v27, -1
	v_addc_co_u32_e32 v16, vcc, 0, v27, vcc
	v_and_b32_e32 v9, s35, v15
	v_lshlrev_b32_e32 v35, 2, v16
	v_or_b32_e32 v9, 0x80000000, v9
	ds_bpermute_b32 v16, v35, v12
	v_and_b32_e32 v11, s34, v14
	v_ffbl_b32_e32 v9, v9
	v_add_u32_e32 v9, 32, v9
	v_ffbl_b32_e32 v11, v11
	v_min_u32_e32 v9, v11, v9
	v_cmp_lt_u32_e32 vcc, v34, v9
	s_waitcnt lgkmcnt(0)
	v_cndmask_b32_e32 v11, 0, v16, vcc
	v_cmp_gt_u32_e32 vcc, 62, v34
	v_add_u32_e32 v11, v11, v12
	v_cndmask_b32_e64 v12, 0, 1, vcc
	v_lshlrev_b32_e32 v12, 1, v12
	v_add_lshl_u32 v36, v12, v27, 2
	ds_bpermute_b32 v12, v36, v11
	v_add_u32_e32 v37, 2, v34
	v_cmp_le_u32_e32 vcc, v37, v9
	v_add_u32_e32 v39, 4, v34
	v_add_u32_e32 v41, 8, v34
	s_waitcnt lgkmcnt(0)
	v_cndmask_b32_e32 v12, 0, v12, vcc
	v_cmp_gt_u32_e32 vcc, 60, v34
	v_add_u32_e32 v11, v11, v12
	v_cndmask_b32_e64 v12, 0, 1, vcc
	v_lshlrev_b32_e32 v12, 2, v12
	v_add_lshl_u32 v38, v12, v27, 2
	ds_bpermute_b32 v12, v38, v11
	v_cmp_le_u32_e32 vcc, v39, v9
	v_add_u32_e32 v43, 16, v34
	v_add_u32_e32 v45, 32, v34
	s_waitcnt lgkmcnt(0)
	v_cndmask_b32_e32 v12, 0, v12, vcc
	v_cmp_gt_u32_e32 vcc, 56, v34
	v_add_u32_e32 v11, v11, v12
	v_cndmask_b32_e64 v12, 0, 1, vcc
	v_lshlrev_b32_e32 v12, 3, v12
	v_add_lshl_u32 v40, v12, v27, 2
	ds_bpermute_b32 v12, v40, v11
	v_cmp_le_u32_e32 vcc, v41, v9
	s_waitcnt lgkmcnt(0)
	v_cndmask_b32_e32 v12, 0, v12, vcc
	v_cmp_gt_u32_e32 vcc, 48, v34
	v_add_u32_e32 v11, v11, v12
	v_cndmask_b32_e64 v12, 0, 1, vcc
	v_lshlrev_b32_e32 v12, 4, v12
	v_add_lshl_u32 v42, v12, v27, 2
	ds_bpermute_b32 v12, v42, v11
	v_cmp_le_u32_e32 vcc, v43, v9
	;; [unrolled: 9-line block ×3, first 2 shown]
	s_waitcnt lgkmcnt(0)
	v_cndmask_b32_e32 v9, 0, v12, vcc
	v_add_u32_e32 v12, v11, v9
	v_mov_b32_e32 v11, 0
	s_branch .LBB3005_52
.LBB3005_51:                            ;   in Loop: Header=BB3005_52 Depth=1
	s_or_b64 exec, exec, s[34:35]
	v_cmp_eq_u16_sdwa s[34:35], v13, v33 src0_sel:BYTE_0 src1_sel:DWORD
	v_and_b32_e32 v16, s35, v15
	v_or_b32_e32 v16, 0x80000000, v16
	ds_bpermute_b32 v46, v35, v12
	v_and_b32_e32 v17, s34, v14
	v_ffbl_b32_e32 v16, v16
	v_add_u32_e32 v16, 32, v16
	v_ffbl_b32_e32 v17, v17
	v_min_u32_e32 v16, v17, v16
	v_cmp_lt_u32_e32 vcc, v34, v16
	s_waitcnt lgkmcnt(0)
	v_cndmask_b32_e32 v17, 0, v46, vcc
	v_add_u32_e32 v12, v17, v12
	ds_bpermute_b32 v17, v36, v12
	v_cmp_le_u32_e32 vcc, v37, v16
	v_subrev_u32_e32 v10, 64, v10
	s_waitcnt lgkmcnt(0)
	v_cndmask_b32_e32 v17, 0, v17, vcc
	v_add_u32_e32 v12, v12, v17
	ds_bpermute_b32 v17, v38, v12
	v_cmp_le_u32_e32 vcc, v39, v16
	s_waitcnt lgkmcnt(0)
	v_cndmask_b32_e32 v17, 0, v17, vcc
	v_add_u32_e32 v12, v12, v17
	ds_bpermute_b32 v17, v40, v12
	v_cmp_le_u32_e32 vcc, v41, v16
	;; [unrolled: 5-line block ×4, first 2 shown]
	s_waitcnt lgkmcnt(0)
	v_cndmask_b32_e32 v16, 0, v17, vcc
	v_add3_u32 v12, v16, v9, v12
.LBB3005_52:                            ; =>This Loop Header: Depth=1
                                        ;     Child Loop BB3005_55 Depth 2
	v_cmp_ne_u16_sdwa s[34:35], v13, v33 src0_sel:BYTE_0 src1_sel:DWORD
	v_cndmask_b32_e64 v9, 0, 1, s[34:35]
	;;#ASMSTART
	;;#ASMEND
	v_cmp_ne_u32_e32 vcc, 0, v9
	s_cmp_lg_u64 vcc, exec
	v_mov_b32_e32 v9, v12
	s_cbranch_scc1 .LBB3005_57
; %bb.53:                               ;   in Loop: Header=BB3005_52 Depth=1
	v_lshlrev_b64 v[12:13], 3, v[10:11]
	v_mov_b32_e32 v17, s29
	v_add_co_u32_e32 v16, vcc, s28, v12
	v_addc_co_u32_e32 v17, vcc, v17, v13, vcc
	global_load_dwordx2 v[12:13], v[16:17], off glc
	s_waitcnt vmcnt(0)
	v_cmp_eq_u16_sdwa s[36:37], v13, v11 src0_sel:BYTE_0 src1_sel:DWORD
	s_and_saveexec_b64 s[34:35], s[36:37]
	s_cbranch_execz .LBB3005_51
; %bb.54:                               ;   in Loop: Header=BB3005_52 Depth=1
	s_mov_b64 s[36:37], 0
.LBB3005_55:                            ;   Parent Loop BB3005_52 Depth=1
                                        ; =>  This Inner Loop Header: Depth=2
	global_load_dwordx2 v[12:13], v[16:17], off glc
	s_waitcnt vmcnt(0)
	v_cmp_ne_u16_sdwa s[38:39], v13, v11 src0_sel:BYTE_0 src1_sel:DWORD
	s_or_b64 s[36:37], s[38:39], s[36:37]
	s_andn2_b64 exec, exec, s[36:37]
	s_cbranch_execnz .LBB3005_55
; %bb.56:                               ;   in Loop: Header=BB3005_52 Depth=1
	s_or_b64 exec, exec, s[36:37]
	s_branch .LBB3005_51
.LBB3005_57:                            ;   in Loop: Header=BB3005_52 Depth=1
                                        ; implicit-def: $vgpr12
                                        ; implicit-def: $vgpr13
	s_cbranch_execz .LBB3005_52
; %bb.58:
	s_and_saveexec_b64 s[34:35], s[16:17]
	s_cbranch_execz .LBB3005_60
; %bb.59:
	s_add_i32 s6, s6, 64
	s_mov_b32 s7, 0
	s_lshl_b64 s[6:7], s[6:7], 3
	s_add_u32 s6, s28, s6
	v_add_u32_e32 v10, v9, v8
	v_mov_b32_e32 v11, 2
	s_addc_u32 s7, s29, s7
	v_mov_b32_e32 v12, 0
	global_store_dwordx2 v12, v[10:11], s[6:7]
	ds_write_b64 v12, v[8:9] offset:7168
.LBB3005_60:
	s_or_b64 exec, exec, s[34:35]
	v_cmp_eq_u32_e32 vcc, 0, v0
	s_and_b64 exec, exec, vcc
	s_cbranch_execz .LBB3005_62
; %bb.61:
	v_mov_b32_e32 v8, 0
	ds_write_b32 v8, v9 offset:12
.LBB3005_62:
	s_or_b64 exec, exec, s[30:31]
	v_mov_b32_e32 v8, 0
	s_waitcnt lgkmcnt(0)
	s_barrier
	ds_read_b32 v9, v8 offset:12
	v_cndmask_b32_e64 v10, v32, v31, s[16:17]
	v_cmp_ne_u32_e32 vcc, 0, v0
	v_cndmask_b32_e32 v10, 0, v10, vcc
	s_waitcnt lgkmcnt(0)
	v_add_u32_e32 v17, v9, v10
	v_add_u32_e32 v16, v17, v26
	s_barrier
	ds_read_b64 v[8:9], v8 offset:7168
	v_add_u32_e32 v15, v16, v25
	v_add_u32_e32 v13, v15, v24
	;; [unrolled: 1-line block ×5, first 2 shown]
	s_waitcnt lgkmcnt(0)
	v_mov_b32_e32 v10, v9
	s_load_dwordx2 s[4:5], s[4:5], 0x30
	s_branch .LBB3005_73
.LBB3005_63:
                                        ; implicit-def: $vgpr10
                                        ; implicit-def: $vgpr8
                                        ; implicit-def: $vgpr11
                                        ; implicit-def: $vgpr12
                                        ; implicit-def: $vgpr14
                                        ; implicit-def: $vgpr13
                                        ; implicit-def: $vgpr15
                                        ; implicit-def: $vgpr16
                                        ; implicit-def: $vgpr17
	s_load_dwordx2 s[4:5], s[4:5], 0x30
	s_cbranch_execz .LBB3005_73
; %bb.64:
	v_mov_b32_dpp v8, v30 row_shr:1 row_mask:0xf bank_mask:0xf
	v_cndmask_b32_e64 v8, v8, 0, s[14:15]
	v_add_u32_e32 v8, v8, v30
	s_nop 1
	v_mov_b32_dpp v9, v8 row_shr:2 row_mask:0xf bank_mask:0xf
	v_cndmask_b32_e64 v9, 0, v9, s[12:13]
	v_add_u32_e32 v8, v8, v9
	s_nop 1
	;; [unrolled: 4-line block ×4, first 2 shown]
	v_mov_b32_dpp v9, v8 row_bcast:15 row_mask:0xf bank_mask:0xf
	v_cndmask_b32_e64 v9, v9, 0, s[18:19]
	v_add_u32_e32 v8, v8, v9
	s_nop 1
	v_mov_b32_dpp v9, v8 row_bcast:31 row_mask:0xf bank_mask:0xf
	v_cndmask_b32_e64 v9, 0, v9, s[0:1]
	v_add_u32_e32 v8, v8, v9
	s_and_saveexec_b64 s[0:1], s[2:3]
	s_cbranch_execz .LBB3005_66
; %bb.65:
	v_lshlrev_b32_e32 v9, 2, v29
	ds_write_b32 v9, v8
.LBB3005_66:
	s_or_b64 exec, exec, s[0:1]
	v_cmp_gt_u32_e32 vcc, 4, v0
	s_waitcnt lgkmcnt(0)
	s_barrier
	s_and_saveexec_b64 s[0:1], vcc
	s_cbranch_execz .LBB3005_68
; %bb.67:
	v_mad_i32_i24 v9, v0, -3, v28
	ds_read_b32 v10, v9
	v_and_b32_e32 v11, 3, v27
	v_cmp_ne_u32_e32 vcc, 0, v11
	s_waitcnt lgkmcnt(0)
	v_mov_b32_dpp v12, v10 row_shr:1 row_mask:0xf bank_mask:0xf
	v_cndmask_b32_e32 v12, 0, v12, vcc
	v_add_u32_e32 v10, v12, v10
	v_cmp_lt_u32_e32 vcc, 1, v11
	s_nop 0
	v_mov_b32_dpp v12, v10 row_shr:2 row_mask:0xf bank_mask:0xf
	v_cndmask_b32_e32 v11, 0, v12, vcc
	v_add_u32_e32 v10, v10, v11
	ds_write_b32 v9, v10
.LBB3005_68:
	s_or_b64 exec, exec, s[0:1]
	v_cmp_lt_u32_e32 vcc, 63, v0
	v_mov_b32_e32 v9, 0
	v_mov_b32_e32 v10, 0
	s_waitcnt lgkmcnt(0)
	s_barrier
	s_and_saveexec_b64 s[0:1], vcc
	s_cbranch_execz .LBB3005_70
; %bb.69:
	v_lshl_add_u32 v10, v29, 2, -4
	ds_read_b32 v10, v10
.LBB3005_70:
	s_or_b64 exec, exec, s[0:1]
	v_add_u32_e32 v11, -1, v27
	v_and_b32_e32 v12, 64, v27
	v_cmp_lt_i32_e32 vcc, v11, v12
	v_cndmask_b32_e32 v11, v11, v27, vcc
	s_waitcnt lgkmcnt(0)
	v_add_u32_e32 v8, v10, v8
	v_lshlrev_b32_e32 v11, 2, v11
	ds_bpermute_b32 v11, v11, v8
	ds_read_b32 v8, v9 offset:12
	v_cmp_eq_u32_e32 vcc, 0, v0
	s_and_saveexec_b64 s[0:1], vcc
	s_cbranch_execz .LBB3005_72
; %bb.71:
	v_mov_b32_e32 v12, 0
	v_mov_b32_e32 v9, 2
	s_waitcnt lgkmcnt(0)
	global_store_dwordx2 v12, v[8:9], s[28:29] offset:512
.LBB3005_72:
	s_or_b64 exec, exec, s[0:1]
	v_cmp_eq_u32_e64 s[0:1], 0, v27
	s_waitcnt lgkmcnt(1)
	v_cndmask_b32_e64 v9, v11, v10, s[0:1]
	v_cndmask_b32_e64 v17, v9, 0, vcc
	v_add_u32_e32 v16, v17, v26
	v_add_u32_e32 v15, v16, v25
	;; [unrolled: 1-line block ×5, first 2 shown]
	v_mov_b32_e32 v10, 0
	v_add_u32_e32 v11, v12, v21
	s_waitcnt lgkmcnt(0)
	s_barrier
.LBB3005_73:
	v_add_u32_e32 v9, v8, v19
	v_sub_u32_e32 v17, v17, v10
	v_sub_u32_e32 v19, v9, v17
	v_cmp_eq_u32_e32 vcc, 1, v26
	v_cndmask_b32_e32 v17, v19, v17, vcc
	v_lshlrev_b32_e32 v17, 2, v17
	ds_write_b32 v17, v6
	v_sub_u32_e32 v6, v16, v10
	v_sub_u32_e32 v16, v9, v6
	v_add_u32_e32 v16, 1, v16
	v_cmp_eq_u32_e32 vcc, 1, v25
	v_cndmask_b32_e32 v6, v16, v6, vcc
	v_lshlrev_b32_e32 v6, 2, v6
	ds_write_b32 v6, v7
	v_sub_u32_e32 v6, v15, v10
	v_sub_u32_e32 v7, v9, v6
	v_add_u32_e32 v7, 2, v7
	v_cmp_eq_u32_e32 vcc, 1, v24
	v_cndmask_b32_e32 v6, v7, v6, vcc
	v_lshlrev_b32_e32 v6, 2, v6
	ds_write_b32 v6, v4
	v_sub_u32_e32 v4, v13, v10
	v_sub_u32_e32 v6, v9, v4
	v_add_u32_e32 v6, 3, v6
	v_cmp_eq_u32_e32 vcc, 1, v23
	v_cndmask_b32_e32 v4, v6, v4, vcc
	v_lshlrev_b32_e32 v4, 2, v4
	ds_write_b32 v4, v5
	v_sub_u32_e32 v4, v14, v10
	v_sub_u32_e32 v5, v9, v4
	v_add_u32_e32 v5, 4, v5
	v_cmp_eq_u32_e32 vcc, 1, v22
	v_cndmask_b32_e32 v4, v5, v4, vcc
	v_lshlrev_b32_e32 v4, 2, v4
	ds_write_b32 v4, v2
	v_sub_u32_e32 v2, v12, v10
	v_sub_u32_e32 v4, v9, v2
	v_add_u32_e32 v4, 5, v4
	v_cmp_eq_u32_e32 vcc, 1, v21
	v_cndmask_b32_e32 v2, v4, v2, vcc
	v_lshlrev_b32_e32 v2, 2, v2
	ds_write_b32 v2, v3
	v_sub_u32_e32 v2, v11, v10
	v_sub_u32_e32 v3, v9, v2
	v_add_u32_e32 v3, 6, v3
	v_cmp_eq_u32_e32 vcc, 1, v20
	v_cndmask_b32_e32 v2, v3, v2, vcc
	v_lshlrev_b32_e32 v2, 2, v2
	ds_write_b32 v2, v18
	s_waitcnt lgkmcnt(0)
	s_barrier
	ds_read2st64_b32 v[12:13], v1 offset1:4
	ds_read2st64_b32 v[6:7], v1 offset0:8 offset1:12
	ds_read2st64_b32 v[2:3], v1 offset0:16 offset1:20
	ds_read_b32 v9, v1 offset:6144
	v_or_b32_e32 v19, 0x100, v0
	v_or_b32_e32 v18, 0x200, v0
	;; [unrolled: 1-line block ×5, first 2 shown]
	s_andn2_b64 vcc, exec, s[26:27]
	v_or_b32_e32 v14, 0x600, v0
	s_cbranch_vccnz .LBB3005_82
; %bb.74:
	s_lshl_b64 s[0:1], s[22:23], 2
	v_mov_b32_e32 v11, 0
	s_add_u32 s0, s4, s0
	s_addc_u32 s1, s5, s1
	v_lshlrev_b64 v[4:5], 2, v[10:11]
	v_mov_b32_e32 v11, s1
	v_add_co_u32_e32 v4, vcc, s0, v4
	v_addc_co_u32_e32 v5, vcc, v11, v5, vcc
	v_cmp_gt_u32_e32 vcc, v8, v0
	s_and_saveexec_b64 s[0:1], vcc
	s_cbranch_execnz .LBB3005_96
; %bb.75:
	s_or_b64 exec, exec, s[0:1]
	v_cmp_lt_u32_e32 vcc, v19, v8
	s_and_saveexec_b64 s[0:1], vcc
	s_cbranch_execnz .LBB3005_97
.LBB3005_76:
	s_or_b64 exec, exec, s[0:1]
	v_cmp_lt_u32_e32 vcc, v18, v8
	s_and_saveexec_b64 s[0:1], vcc
	s_cbranch_execnz .LBB3005_98
.LBB3005_77:
	s_or_b64 exec, exec, s[0:1]
	v_cmp_lt_u32_e32 vcc, v17, v8
	s_and_saveexec_b64 s[0:1], vcc
	s_cbranch_execnz .LBB3005_99
.LBB3005_78:
	s_or_b64 exec, exec, s[0:1]
	v_cmp_lt_u32_e32 vcc, v16, v8
	s_and_saveexec_b64 s[0:1], vcc
	s_cbranch_execnz .LBB3005_100
.LBB3005_79:
	s_or_b64 exec, exec, s[0:1]
	v_cmp_lt_u32_e32 vcc, v15, v8
	s_and_saveexec_b64 s[0:1], vcc
	s_cbranch_execz .LBB3005_81
.LBB3005_80:
	v_lshlrev_b32_e32 v11, 2, v15
	v_readfirstlane_b32 s2, v4
	v_readfirstlane_b32 s3, v5
	s_waitcnt lgkmcnt(1)
	s_nop 3
	global_store_dword v11, v3, s[2:3]
.LBB3005_81:
	s_or_b64 exec, exec, s[0:1]
	v_cmp_lt_u32_e64 s[0:1], v14, v8
	s_branch .LBB3005_91
.LBB3005_82:
	s_mov_b64 s[0:1], 0
                                        ; implicit-def: $vgpr4_vgpr5
	s_cbranch_execz .LBB3005_91
; %bb.83:
	s_lshl_b64 s[0:1], s[22:23], 2
	v_mov_b32_e32 v11, 0
	s_add_u32 s0, s4, s0
	s_addc_u32 s1, s5, s1
	v_lshlrev_b64 v[4:5], 2, v[10:11]
	v_mov_b32_e32 v11, s1
	v_add_co_u32_e32 v4, vcc, s0, v4
	v_min_u32_e32 v20, s33, v8
	v_addc_co_u32_e32 v5, vcc, v11, v5, vcc
	v_cmp_gt_u32_e32 vcc, v20, v0
	s_and_saveexec_b64 s[0:1], vcc
	s_cbranch_execnz .LBB3005_101
; %bb.84:
	s_or_b64 exec, exec, s[0:1]
	v_cmp_lt_u32_e32 vcc, v19, v20
	s_and_saveexec_b64 s[0:1], vcc
	s_cbranch_execnz .LBB3005_102
.LBB3005_85:
	s_or_b64 exec, exec, s[0:1]
	v_cmp_lt_u32_e32 vcc, v18, v20
	s_and_saveexec_b64 s[0:1], vcc
	s_cbranch_execnz .LBB3005_103
.LBB3005_86:
	s_or_b64 exec, exec, s[0:1]
	v_cmp_lt_u32_e32 vcc, v17, v20
	s_and_saveexec_b64 s[0:1], vcc
	s_cbranch_execnz .LBB3005_104
.LBB3005_87:
	s_or_b64 exec, exec, s[0:1]
	v_cmp_lt_u32_e32 vcc, v16, v20
	s_and_saveexec_b64 s[0:1], vcc
	s_cbranch_execnz .LBB3005_105
.LBB3005_88:
	s_or_b64 exec, exec, s[0:1]
	v_cmp_lt_u32_e32 vcc, v15, v20
	s_and_saveexec_b64 s[0:1], vcc
	s_cbranch_execz .LBB3005_90
.LBB3005_89:
	v_lshlrev_b32_e32 v1, 2, v15
	v_readfirstlane_b32 s2, v4
	v_readfirstlane_b32 s3, v5
	s_waitcnt lgkmcnt(1)
	s_nop 3
	global_store_dword v1, v3, s[2:3]
.LBB3005_90:
	s_or_b64 exec, exec, s[0:1]
	v_cmp_lt_u32_e64 s[0:1], v14, v20
.LBB3005_91:
	s_and_saveexec_b64 s[2:3], s[0:1]
	s_cbranch_execz .LBB3005_93
; %bb.92:
	v_lshlrev_b32_e32 v1, 2, v14
	v_readfirstlane_b32 s0, v4
	v_readfirstlane_b32 s1, v5
	s_waitcnt lgkmcnt(0)
	s_nop 3
	global_store_dword v1, v9, s[0:1]
.LBB3005_93:
	s_or_b64 exec, exec, s[2:3]
	v_cmp_eq_u32_e32 vcc, 0, v0
	s_and_b64 s[0:1], vcc, s[24:25]
	s_and_saveexec_b64 s[2:3], s[0:1]
	s_cbranch_execz .LBB3005_95
; %bb.94:
	v_mov_b32_e32 v0, s23
	v_add_co_u32_e32 v1, vcc, s22, v8
	s_waitcnt lgkmcnt(1)
	v_addc_co_u32_e32 v3, vcc, 0, v0, vcc
	v_add_co_u32_e32 v0, vcc, v1, v10
	v_mov_b32_e32 v2, 0
	v_addc_co_u32_e32 v1, vcc, 0, v3, vcc
	global_store_dwordx2 v2, v[0:1], s[20:21]
.LBB3005_95:
	s_endpgm
.LBB3005_96:
	v_readfirstlane_b32 s2, v4
	v_readfirstlane_b32 s3, v5
	s_waitcnt lgkmcnt(3)
	s_nop 3
	global_store_dword v1, v12, s[2:3]
	s_or_b64 exec, exec, s[0:1]
	v_cmp_lt_u32_e32 vcc, v19, v8
	s_and_saveexec_b64 s[0:1], vcc
	s_cbranch_execz .LBB3005_76
.LBB3005_97:
	v_readfirstlane_b32 s2, v4
	v_readfirstlane_b32 s3, v5
	s_waitcnt lgkmcnt(3)
	s_nop 3
	global_store_dword v1, v13, s[2:3] offset:1024
	s_or_b64 exec, exec, s[0:1]
	v_cmp_lt_u32_e32 vcc, v18, v8
	s_and_saveexec_b64 s[0:1], vcc
	s_cbranch_execz .LBB3005_77
.LBB3005_98:
	v_readfirstlane_b32 s2, v4
	v_readfirstlane_b32 s3, v5
	s_waitcnt lgkmcnt(2)
	s_nop 3
	global_store_dword v1, v6, s[2:3] offset:2048
	s_or_b64 exec, exec, s[0:1]
	v_cmp_lt_u32_e32 vcc, v17, v8
	s_and_saveexec_b64 s[0:1], vcc
	s_cbranch_execz .LBB3005_78
.LBB3005_99:
	v_readfirstlane_b32 s2, v4
	v_readfirstlane_b32 s3, v5
	s_waitcnt lgkmcnt(2)
	s_nop 3
	global_store_dword v1, v7, s[2:3] offset:3072
	s_or_b64 exec, exec, s[0:1]
	v_cmp_lt_u32_e32 vcc, v16, v8
	s_and_saveexec_b64 s[0:1], vcc
	s_cbranch_execz .LBB3005_79
.LBB3005_100:
	v_lshlrev_b32_e32 v11, 2, v16
	v_readfirstlane_b32 s2, v4
	v_readfirstlane_b32 s3, v5
	s_waitcnt lgkmcnt(1)
	s_nop 3
	global_store_dword v11, v2, s[2:3]
	s_or_b64 exec, exec, s[0:1]
	v_cmp_lt_u32_e32 vcc, v15, v8
	s_and_saveexec_b64 s[0:1], vcc
	s_cbranch_execnz .LBB3005_80
	s_branch .LBB3005_81
.LBB3005_101:
	v_readfirstlane_b32 s2, v4
	v_readfirstlane_b32 s3, v5
	s_waitcnt lgkmcnt(3)
	s_nop 3
	global_store_dword v1, v12, s[2:3]
	s_or_b64 exec, exec, s[0:1]
	v_cmp_lt_u32_e32 vcc, v19, v20
	s_and_saveexec_b64 s[0:1], vcc
	s_cbranch_execz .LBB3005_85
.LBB3005_102:
	v_readfirstlane_b32 s2, v4
	v_readfirstlane_b32 s3, v5
	s_waitcnt lgkmcnt(3)
	s_nop 3
	global_store_dword v1, v13, s[2:3] offset:1024
	s_or_b64 exec, exec, s[0:1]
	v_cmp_lt_u32_e32 vcc, v18, v20
	s_and_saveexec_b64 s[0:1], vcc
	s_cbranch_execz .LBB3005_86
.LBB3005_103:
	v_readfirstlane_b32 s2, v4
	v_readfirstlane_b32 s3, v5
	s_waitcnt lgkmcnt(2)
	s_nop 3
	global_store_dword v1, v6, s[2:3] offset:2048
	s_or_b64 exec, exec, s[0:1]
	v_cmp_lt_u32_e32 vcc, v17, v20
	s_and_saveexec_b64 s[0:1], vcc
	s_cbranch_execz .LBB3005_87
.LBB3005_104:
	v_readfirstlane_b32 s2, v4
	v_readfirstlane_b32 s3, v5
	s_waitcnt lgkmcnt(2)
	s_nop 3
	global_store_dword v1, v7, s[2:3] offset:3072
	s_or_b64 exec, exec, s[0:1]
	v_cmp_lt_u32_e32 vcc, v16, v20
	s_and_saveexec_b64 s[0:1], vcc
	s_cbranch_execz .LBB3005_88
.LBB3005_105:
	v_lshlrev_b32_e32 v1, 2, v16
	v_readfirstlane_b32 s2, v4
	v_readfirstlane_b32 s3, v5
	s_waitcnt lgkmcnt(1)
	s_nop 3
	global_store_dword v1, v2, s[2:3]
	s_or_b64 exec, exec, s[0:1]
	v_cmp_lt_u32_e32 vcc, v15, v20
	s_and_saveexec_b64 s[0:1], vcc
	s_cbranch_execnz .LBB3005_89
	s_branch .LBB3005_90
	.section	.rodata,"a",@progbits
	.p2align	6, 0x0
	.amdhsa_kernel _ZN7rocprim17ROCPRIM_400000_NS6detail17trampoline_kernelINS0_14default_configENS1_25partition_config_selectorILNS1_17partition_subalgoE1EjNS0_10empty_typeEbEEZZNS1_14partition_implILS5_1ELb0ES3_jN6thrust23THRUST_200600_302600_NS6detail15normal_iteratorINSA_10device_ptrIjEEEEPS6_NSA_18transform_iteratorI7is_evenIjESF_NSA_11use_defaultESK_EENS0_5tupleIJSF_NSA_16discard_iteratorISK_EEEEENSM_IJSG_SG_EEES6_PlJS6_EEE10hipError_tPvRmT3_T4_T5_T6_T7_T9_mT8_P12ihipStream_tbDpT10_ENKUlT_T0_E_clISt17integral_constantIbLb0EES1B_EEDaS16_S17_EUlS16_E_NS1_11comp_targetILNS1_3genE4ELNS1_11target_archE910ELNS1_3gpuE8ELNS1_3repE0EEENS1_30default_config_static_selectorELNS0_4arch9wavefront6targetE1EEEvT1_
		.amdhsa_group_segment_fixed_size 7176
		.amdhsa_private_segment_fixed_size 0
		.amdhsa_kernarg_size 136
		.amdhsa_user_sgpr_count 6
		.amdhsa_user_sgpr_private_segment_buffer 1
		.amdhsa_user_sgpr_dispatch_ptr 0
		.amdhsa_user_sgpr_queue_ptr 0
		.amdhsa_user_sgpr_kernarg_segment_ptr 1
		.amdhsa_user_sgpr_dispatch_id 0
		.amdhsa_user_sgpr_flat_scratch_init 0
		.amdhsa_user_sgpr_kernarg_preload_length 0
		.amdhsa_user_sgpr_kernarg_preload_offset 0
		.amdhsa_user_sgpr_private_segment_size 0
		.amdhsa_uses_dynamic_stack 0
		.amdhsa_system_sgpr_private_segment_wavefront_offset 0
		.amdhsa_system_sgpr_workgroup_id_x 1
		.amdhsa_system_sgpr_workgroup_id_y 0
		.amdhsa_system_sgpr_workgroup_id_z 0
		.amdhsa_system_sgpr_workgroup_info 0
		.amdhsa_system_vgpr_workitem_id 0
		.amdhsa_next_free_vgpr 47
		.amdhsa_next_free_sgpr 40
		.amdhsa_accum_offset 48
		.amdhsa_reserve_vcc 1
		.amdhsa_reserve_flat_scratch 0
		.amdhsa_float_round_mode_32 0
		.amdhsa_float_round_mode_16_64 0
		.amdhsa_float_denorm_mode_32 3
		.amdhsa_float_denorm_mode_16_64 3
		.amdhsa_dx10_clamp 1
		.amdhsa_ieee_mode 1
		.amdhsa_fp16_overflow 0
		.amdhsa_tg_split 0
		.amdhsa_exception_fp_ieee_invalid_op 0
		.amdhsa_exception_fp_denorm_src 0
		.amdhsa_exception_fp_ieee_div_zero 0
		.amdhsa_exception_fp_ieee_overflow 0
		.amdhsa_exception_fp_ieee_underflow 0
		.amdhsa_exception_fp_ieee_inexact 0
		.amdhsa_exception_int_div_zero 0
	.end_amdhsa_kernel
	.section	.text._ZN7rocprim17ROCPRIM_400000_NS6detail17trampoline_kernelINS0_14default_configENS1_25partition_config_selectorILNS1_17partition_subalgoE1EjNS0_10empty_typeEbEEZZNS1_14partition_implILS5_1ELb0ES3_jN6thrust23THRUST_200600_302600_NS6detail15normal_iteratorINSA_10device_ptrIjEEEEPS6_NSA_18transform_iteratorI7is_evenIjESF_NSA_11use_defaultESK_EENS0_5tupleIJSF_NSA_16discard_iteratorISK_EEEEENSM_IJSG_SG_EEES6_PlJS6_EEE10hipError_tPvRmT3_T4_T5_T6_T7_T9_mT8_P12ihipStream_tbDpT10_ENKUlT_T0_E_clISt17integral_constantIbLb0EES1B_EEDaS16_S17_EUlS16_E_NS1_11comp_targetILNS1_3genE4ELNS1_11target_archE910ELNS1_3gpuE8ELNS1_3repE0EEENS1_30default_config_static_selectorELNS0_4arch9wavefront6targetE1EEEvT1_,"axG",@progbits,_ZN7rocprim17ROCPRIM_400000_NS6detail17trampoline_kernelINS0_14default_configENS1_25partition_config_selectorILNS1_17partition_subalgoE1EjNS0_10empty_typeEbEEZZNS1_14partition_implILS5_1ELb0ES3_jN6thrust23THRUST_200600_302600_NS6detail15normal_iteratorINSA_10device_ptrIjEEEEPS6_NSA_18transform_iteratorI7is_evenIjESF_NSA_11use_defaultESK_EENS0_5tupleIJSF_NSA_16discard_iteratorISK_EEEEENSM_IJSG_SG_EEES6_PlJS6_EEE10hipError_tPvRmT3_T4_T5_T6_T7_T9_mT8_P12ihipStream_tbDpT10_ENKUlT_T0_E_clISt17integral_constantIbLb0EES1B_EEDaS16_S17_EUlS16_E_NS1_11comp_targetILNS1_3genE4ELNS1_11target_archE910ELNS1_3gpuE8ELNS1_3repE0EEENS1_30default_config_static_selectorELNS0_4arch9wavefront6targetE1EEEvT1_,comdat
.Lfunc_end3005:
	.size	_ZN7rocprim17ROCPRIM_400000_NS6detail17trampoline_kernelINS0_14default_configENS1_25partition_config_selectorILNS1_17partition_subalgoE1EjNS0_10empty_typeEbEEZZNS1_14partition_implILS5_1ELb0ES3_jN6thrust23THRUST_200600_302600_NS6detail15normal_iteratorINSA_10device_ptrIjEEEEPS6_NSA_18transform_iteratorI7is_evenIjESF_NSA_11use_defaultESK_EENS0_5tupleIJSF_NSA_16discard_iteratorISK_EEEEENSM_IJSG_SG_EEES6_PlJS6_EEE10hipError_tPvRmT3_T4_T5_T6_T7_T9_mT8_P12ihipStream_tbDpT10_ENKUlT_T0_E_clISt17integral_constantIbLb0EES1B_EEDaS16_S17_EUlS16_E_NS1_11comp_targetILNS1_3genE4ELNS1_11target_archE910ELNS1_3gpuE8ELNS1_3repE0EEENS1_30default_config_static_selectorELNS0_4arch9wavefront6targetE1EEEvT1_, .Lfunc_end3005-_ZN7rocprim17ROCPRIM_400000_NS6detail17trampoline_kernelINS0_14default_configENS1_25partition_config_selectorILNS1_17partition_subalgoE1EjNS0_10empty_typeEbEEZZNS1_14partition_implILS5_1ELb0ES3_jN6thrust23THRUST_200600_302600_NS6detail15normal_iteratorINSA_10device_ptrIjEEEEPS6_NSA_18transform_iteratorI7is_evenIjESF_NSA_11use_defaultESK_EENS0_5tupleIJSF_NSA_16discard_iteratorISK_EEEEENSM_IJSG_SG_EEES6_PlJS6_EEE10hipError_tPvRmT3_T4_T5_T6_T7_T9_mT8_P12ihipStream_tbDpT10_ENKUlT_T0_E_clISt17integral_constantIbLb0EES1B_EEDaS16_S17_EUlS16_E_NS1_11comp_targetILNS1_3genE4ELNS1_11target_archE910ELNS1_3gpuE8ELNS1_3repE0EEENS1_30default_config_static_selectorELNS0_4arch9wavefront6targetE1EEEvT1_
                                        ; -- End function
	.section	.AMDGPU.csdata,"",@progbits
; Kernel info:
; codeLenInByte = 4708
; NumSgprs: 44
; NumVgprs: 47
; NumAgprs: 0
; TotalNumVgprs: 47
; ScratchSize: 0
; MemoryBound: 0
; FloatMode: 240
; IeeeMode: 1
; LDSByteSize: 7176 bytes/workgroup (compile time only)
; SGPRBlocks: 5
; VGPRBlocks: 5
; NumSGPRsForWavesPerEU: 44
; NumVGPRsForWavesPerEU: 47
; AccumOffset: 48
; Occupancy: 8
; WaveLimiterHint : 1
; COMPUTE_PGM_RSRC2:SCRATCH_EN: 0
; COMPUTE_PGM_RSRC2:USER_SGPR: 6
; COMPUTE_PGM_RSRC2:TRAP_HANDLER: 0
; COMPUTE_PGM_RSRC2:TGID_X_EN: 1
; COMPUTE_PGM_RSRC2:TGID_Y_EN: 0
; COMPUTE_PGM_RSRC2:TGID_Z_EN: 0
; COMPUTE_PGM_RSRC2:TIDIG_COMP_CNT: 0
; COMPUTE_PGM_RSRC3_GFX90A:ACCUM_OFFSET: 11
; COMPUTE_PGM_RSRC3_GFX90A:TG_SPLIT: 0
	.section	.text._ZN7rocprim17ROCPRIM_400000_NS6detail17trampoline_kernelINS0_14default_configENS1_25partition_config_selectorILNS1_17partition_subalgoE1EjNS0_10empty_typeEbEEZZNS1_14partition_implILS5_1ELb0ES3_jN6thrust23THRUST_200600_302600_NS6detail15normal_iteratorINSA_10device_ptrIjEEEEPS6_NSA_18transform_iteratorI7is_evenIjESF_NSA_11use_defaultESK_EENS0_5tupleIJSF_NSA_16discard_iteratorISK_EEEEENSM_IJSG_SG_EEES6_PlJS6_EEE10hipError_tPvRmT3_T4_T5_T6_T7_T9_mT8_P12ihipStream_tbDpT10_ENKUlT_T0_E_clISt17integral_constantIbLb0EES1B_EEDaS16_S17_EUlS16_E_NS1_11comp_targetILNS1_3genE3ELNS1_11target_archE908ELNS1_3gpuE7ELNS1_3repE0EEENS1_30default_config_static_selectorELNS0_4arch9wavefront6targetE1EEEvT1_,"axG",@progbits,_ZN7rocprim17ROCPRIM_400000_NS6detail17trampoline_kernelINS0_14default_configENS1_25partition_config_selectorILNS1_17partition_subalgoE1EjNS0_10empty_typeEbEEZZNS1_14partition_implILS5_1ELb0ES3_jN6thrust23THRUST_200600_302600_NS6detail15normal_iteratorINSA_10device_ptrIjEEEEPS6_NSA_18transform_iteratorI7is_evenIjESF_NSA_11use_defaultESK_EENS0_5tupleIJSF_NSA_16discard_iteratorISK_EEEEENSM_IJSG_SG_EEES6_PlJS6_EEE10hipError_tPvRmT3_T4_T5_T6_T7_T9_mT8_P12ihipStream_tbDpT10_ENKUlT_T0_E_clISt17integral_constantIbLb0EES1B_EEDaS16_S17_EUlS16_E_NS1_11comp_targetILNS1_3genE3ELNS1_11target_archE908ELNS1_3gpuE7ELNS1_3repE0EEENS1_30default_config_static_selectorELNS0_4arch9wavefront6targetE1EEEvT1_,comdat
	.protected	_ZN7rocprim17ROCPRIM_400000_NS6detail17trampoline_kernelINS0_14default_configENS1_25partition_config_selectorILNS1_17partition_subalgoE1EjNS0_10empty_typeEbEEZZNS1_14partition_implILS5_1ELb0ES3_jN6thrust23THRUST_200600_302600_NS6detail15normal_iteratorINSA_10device_ptrIjEEEEPS6_NSA_18transform_iteratorI7is_evenIjESF_NSA_11use_defaultESK_EENS0_5tupleIJSF_NSA_16discard_iteratorISK_EEEEENSM_IJSG_SG_EEES6_PlJS6_EEE10hipError_tPvRmT3_T4_T5_T6_T7_T9_mT8_P12ihipStream_tbDpT10_ENKUlT_T0_E_clISt17integral_constantIbLb0EES1B_EEDaS16_S17_EUlS16_E_NS1_11comp_targetILNS1_3genE3ELNS1_11target_archE908ELNS1_3gpuE7ELNS1_3repE0EEENS1_30default_config_static_selectorELNS0_4arch9wavefront6targetE1EEEvT1_ ; -- Begin function _ZN7rocprim17ROCPRIM_400000_NS6detail17trampoline_kernelINS0_14default_configENS1_25partition_config_selectorILNS1_17partition_subalgoE1EjNS0_10empty_typeEbEEZZNS1_14partition_implILS5_1ELb0ES3_jN6thrust23THRUST_200600_302600_NS6detail15normal_iteratorINSA_10device_ptrIjEEEEPS6_NSA_18transform_iteratorI7is_evenIjESF_NSA_11use_defaultESK_EENS0_5tupleIJSF_NSA_16discard_iteratorISK_EEEEENSM_IJSG_SG_EEES6_PlJS6_EEE10hipError_tPvRmT3_T4_T5_T6_T7_T9_mT8_P12ihipStream_tbDpT10_ENKUlT_T0_E_clISt17integral_constantIbLb0EES1B_EEDaS16_S17_EUlS16_E_NS1_11comp_targetILNS1_3genE3ELNS1_11target_archE908ELNS1_3gpuE7ELNS1_3repE0EEENS1_30default_config_static_selectorELNS0_4arch9wavefront6targetE1EEEvT1_
	.globl	_ZN7rocprim17ROCPRIM_400000_NS6detail17trampoline_kernelINS0_14default_configENS1_25partition_config_selectorILNS1_17partition_subalgoE1EjNS0_10empty_typeEbEEZZNS1_14partition_implILS5_1ELb0ES3_jN6thrust23THRUST_200600_302600_NS6detail15normal_iteratorINSA_10device_ptrIjEEEEPS6_NSA_18transform_iteratorI7is_evenIjESF_NSA_11use_defaultESK_EENS0_5tupleIJSF_NSA_16discard_iteratorISK_EEEEENSM_IJSG_SG_EEES6_PlJS6_EEE10hipError_tPvRmT3_T4_T5_T6_T7_T9_mT8_P12ihipStream_tbDpT10_ENKUlT_T0_E_clISt17integral_constantIbLb0EES1B_EEDaS16_S17_EUlS16_E_NS1_11comp_targetILNS1_3genE3ELNS1_11target_archE908ELNS1_3gpuE7ELNS1_3repE0EEENS1_30default_config_static_selectorELNS0_4arch9wavefront6targetE1EEEvT1_
	.p2align	8
	.type	_ZN7rocprim17ROCPRIM_400000_NS6detail17trampoline_kernelINS0_14default_configENS1_25partition_config_selectorILNS1_17partition_subalgoE1EjNS0_10empty_typeEbEEZZNS1_14partition_implILS5_1ELb0ES3_jN6thrust23THRUST_200600_302600_NS6detail15normal_iteratorINSA_10device_ptrIjEEEEPS6_NSA_18transform_iteratorI7is_evenIjESF_NSA_11use_defaultESK_EENS0_5tupleIJSF_NSA_16discard_iteratorISK_EEEEENSM_IJSG_SG_EEES6_PlJS6_EEE10hipError_tPvRmT3_T4_T5_T6_T7_T9_mT8_P12ihipStream_tbDpT10_ENKUlT_T0_E_clISt17integral_constantIbLb0EES1B_EEDaS16_S17_EUlS16_E_NS1_11comp_targetILNS1_3genE3ELNS1_11target_archE908ELNS1_3gpuE7ELNS1_3repE0EEENS1_30default_config_static_selectorELNS0_4arch9wavefront6targetE1EEEvT1_,@function
_ZN7rocprim17ROCPRIM_400000_NS6detail17trampoline_kernelINS0_14default_configENS1_25partition_config_selectorILNS1_17partition_subalgoE1EjNS0_10empty_typeEbEEZZNS1_14partition_implILS5_1ELb0ES3_jN6thrust23THRUST_200600_302600_NS6detail15normal_iteratorINSA_10device_ptrIjEEEEPS6_NSA_18transform_iteratorI7is_evenIjESF_NSA_11use_defaultESK_EENS0_5tupleIJSF_NSA_16discard_iteratorISK_EEEEENSM_IJSG_SG_EEES6_PlJS6_EEE10hipError_tPvRmT3_T4_T5_T6_T7_T9_mT8_P12ihipStream_tbDpT10_ENKUlT_T0_E_clISt17integral_constantIbLb0EES1B_EEDaS16_S17_EUlS16_E_NS1_11comp_targetILNS1_3genE3ELNS1_11target_archE908ELNS1_3gpuE7ELNS1_3repE0EEENS1_30default_config_static_selectorELNS0_4arch9wavefront6targetE1EEEvT1_: ; @_ZN7rocprim17ROCPRIM_400000_NS6detail17trampoline_kernelINS0_14default_configENS1_25partition_config_selectorILNS1_17partition_subalgoE1EjNS0_10empty_typeEbEEZZNS1_14partition_implILS5_1ELb0ES3_jN6thrust23THRUST_200600_302600_NS6detail15normal_iteratorINSA_10device_ptrIjEEEEPS6_NSA_18transform_iteratorI7is_evenIjESF_NSA_11use_defaultESK_EENS0_5tupleIJSF_NSA_16discard_iteratorISK_EEEEENSM_IJSG_SG_EEES6_PlJS6_EEE10hipError_tPvRmT3_T4_T5_T6_T7_T9_mT8_P12ihipStream_tbDpT10_ENKUlT_T0_E_clISt17integral_constantIbLb0EES1B_EEDaS16_S17_EUlS16_E_NS1_11comp_targetILNS1_3genE3ELNS1_11target_archE908ELNS1_3gpuE7ELNS1_3repE0EEENS1_30default_config_static_selectorELNS0_4arch9wavefront6targetE1EEEvT1_
; %bb.0:
	.section	.rodata,"a",@progbits
	.p2align	6, 0x0
	.amdhsa_kernel _ZN7rocprim17ROCPRIM_400000_NS6detail17trampoline_kernelINS0_14default_configENS1_25partition_config_selectorILNS1_17partition_subalgoE1EjNS0_10empty_typeEbEEZZNS1_14partition_implILS5_1ELb0ES3_jN6thrust23THRUST_200600_302600_NS6detail15normal_iteratorINSA_10device_ptrIjEEEEPS6_NSA_18transform_iteratorI7is_evenIjESF_NSA_11use_defaultESK_EENS0_5tupleIJSF_NSA_16discard_iteratorISK_EEEEENSM_IJSG_SG_EEES6_PlJS6_EEE10hipError_tPvRmT3_T4_T5_T6_T7_T9_mT8_P12ihipStream_tbDpT10_ENKUlT_T0_E_clISt17integral_constantIbLb0EES1B_EEDaS16_S17_EUlS16_E_NS1_11comp_targetILNS1_3genE3ELNS1_11target_archE908ELNS1_3gpuE7ELNS1_3repE0EEENS1_30default_config_static_selectorELNS0_4arch9wavefront6targetE1EEEvT1_
		.amdhsa_group_segment_fixed_size 0
		.amdhsa_private_segment_fixed_size 0
		.amdhsa_kernarg_size 136
		.amdhsa_user_sgpr_count 6
		.amdhsa_user_sgpr_private_segment_buffer 1
		.amdhsa_user_sgpr_dispatch_ptr 0
		.amdhsa_user_sgpr_queue_ptr 0
		.amdhsa_user_sgpr_kernarg_segment_ptr 1
		.amdhsa_user_sgpr_dispatch_id 0
		.amdhsa_user_sgpr_flat_scratch_init 0
		.amdhsa_user_sgpr_kernarg_preload_length 0
		.amdhsa_user_sgpr_kernarg_preload_offset 0
		.amdhsa_user_sgpr_private_segment_size 0
		.amdhsa_uses_dynamic_stack 0
		.amdhsa_system_sgpr_private_segment_wavefront_offset 0
		.amdhsa_system_sgpr_workgroup_id_x 1
		.amdhsa_system_sgpr_workgroup_id_y 0
		.amdhsa_system_sgpr_workgroup_id_z 0
		.amdhsa_system_sgpr_workgroup_info 0
		.amdhsa_system_vgpr_workitem_id 0
		.amdhsa_next_free_vgpr 1
		.amdhsa_next_free_sgpr 0
		.amdhsa_accum_offset 4
		.amdhsa_reserve_vcc 0
		.amdhsa_reserve_flat_scratch 0
		.amdhsa_float_round_mode_32 0
		.amdhsa_float_round_mode_16_64 0
		.amdhsa_float_denorm_mode_32 3
		.amdhsa_float_denorm_mode_16_64 3
		.amdhsa_dx10_clamp 1
		.amdhsa_ieee_mode 1
		.amdhsa_fp16_overflow 0
		.amdhsa_tg_split 0
		.amdhsa_exception_fp_ieee_invalid_op 0
		.amdhsa_exception_fp_denorm_src 0
		.amdhsa_exception_fp_ieee_div_zero 0
		.amdhsa_exception_fp_ieee_overflow 0
		.amdhsa_exception_fp_ieee_underflow 0
		.amdhsa_exception_fp_ieee_inexact 0
		.amdhsa_exception_int_div_zero 0
	.end_amdhsa_kernel
	.section	.text._ZN7rocprim17ROCPRIM_400000_NS6detail17trampoline_kernelINS0_14default_configENS1_25partition_config_selectorILNS1_17partition_subalgoE1EjNS0_10empty_typeEbEEZZNS1_14partition_implILS5_1ELb0ES3_jN6thrust23THRUST_200600_302600_NS6detail15normal_iteratorINSA_10device_ptrIjEEEEPS6_NSA_18transform_iteratorI7is_evenIjESF_NSA_11use_defaultESK_EENS0_5tupleIJSF_NSA_16discard_iteratorISK_EEEEENSM_IJSG_SG_EEES6_PlJS6_EEE10hipError_tPvRmT3_T4_T5_T6_T7_T9_mT8_P12ihipStream_tbDpT10_ENKUlT_T0_E_clISt17integral_constantIbLb0EES1B_EEDaS16_S17_EUlS16_E_NS1_11comp_targetILNS1_3genE3ELNS1_11target_archE908ELNS1_3gpuE7ELNS1_3repE0EEENS1_30default_config_static_selectorELNS0_4arch9wavefront6targetE1EEEvT1_,"axG",@progbits,_ZN7rocprim17ROCPRIM_400000_NS6detail17trampoline_kernelINS0_14default_configENS1_25partition_config_selectorILNS1_17partition_subalgoE1EjNS0_10empty_typeEbEEZZNS1_14partition_implILS5_1ELb0ES3_jN6thrust23THRUST_200600_302600_NS6detail15normal_iteratorINSA_10device_ptrIjEEEEPS6_NSA_18transform_iteratorI7is_evenIjESF_NSA_11use_defaultESK_EENS0_5tupleIJSF_NSA_16discard_iteratorISK_EEEEENSM_IJSG_SG_EEES6_PlJS6_EEE10hipError_tPvRmT3_T4_T5_T6_T7_T9_mT8_P12ihipStream_tbDpT10_ENKUlT_T0_E_clISt17integral_constantIbLb0EES1B_EEDaS16_S17_EUlS16_E_NS1_11comp_targetILNS1_3genE3ELNS1_11target_archE908ELNS1_3gpuE7ELNS1_3repE0EEENS1_30default_config_static_selectorELNS0_4arch9wavefront6targetE1EEEvT1_,comdat
.Lfunc_end3006:
	.size	_ZN7rocprim17ROCPRIM_400000_NS6detail17trampoline_kernelINS0_14default_configENS1_25partition_config_selectorILNS1_17partition_subalgoE1EjNS0_10empty_typeEbEEZZNS1_14partition_implILS5_1ELb0ES3_jN6thrust23THRUST_200600_302600_NS6detail15normal_iteratorINSA_10device_ptrIjEEEEPS6_NSA_18transform_iteratorI7is_evenIjESF_NSA_11use_defaultESK_EENS0_5tupleIJSF_NSA_16discard_iteratorISK_EEEEENSM_IJSG_SG_EEES6_PlJS6_EEE10hipError_tPvRmT3_T4_T5_T6_T7_T9_mT8_P12ihipStream_tbDpT10_ENKUlT_T0_E_clISt17integral_constantIbLb0EES1B_EEDaS16_S17_EUlS16_E_NS1_11comp_targetILNS1_3genE3ELNS1_11target_archE908ELNS1_3gpuE7ELNS1_3repE0EEENS1_30default_config_static_selectorELNS0_4arch9wavefront6targetE1EEEvT1_, .Lfunc_end3006-_ZN7rocprim17ROCPRIM_400000_NS6detail17trampoline_kernelINS0_14default_configENS1_25partition_config_selectorILNS1_17partition_subalgoE1EjNS0_10empty_typeEbEEZZNS1_14partition_implILS5_1ELb0ES3_jN6thrust23THRUST_200600_302600_NS6detail15normal_iteratorINSA_10device_ptrIjEEEEPS6_NSA_18transform_iteratorI7is_evenIjESF_NSA_11use_defaultESK_EENS0_5tupleIJSF_NSA_16discard_iteratorISK_EEEEENSM_IJSG_SG_EEES6_PlJS6_EEE10hipError_tPvRmT3_T4_T5_T6_T7_T9_mT8_P12ihipStream_tbDpT10_ENKUlT_T0_E_clISt17integral_constantIbLb0EES1B_EEDaS16_S17_EUlS16_E_NS1_11comp_targetILNS1_3genE3ELNS1_11target_archE908ELNS1_3gpuE7ELNS1_3repE0EEENS1_30default_config_static_selectorELNS0_4arch9wavefront6targetE1EEEvT1_
                                        ; -- End function
	.section	.AMDGPU.csdata,"",@progbits
; Kernel info:
; codeLenInByte = 0
; NumSgprs: 4
; NumVgprs: 0
; NumAgprs: 0
; TotalNumVgprs: 0
; ScratchSize: 0
; MemoryBound: 0
; FloatMode: 240
; IeeeMode: 1
; LDSByteSize: 0 bytes/workgroup (compile time only)
; SGPRBlocks: 0
; VGPRBlocks: 0
; NumSGPRsForWavesPerEU: 4
; NumVGPRsForWavesPerEU: 1
; AccumOffset: 4
; Occupancy: 8
; WaveLimiterHint : 0
; COMPUTE_PGM_RSRC2:SCRATCH_EN: 0
; COMPUTE_PGM_RSRC2:USER_SGPR: 6
; COMPUTE_PGM_RSRC2:TRAP_HANDLER: 0
; COMPUTE_PGM_RSRC2:TGID_X_EN: 1
; COMPUTE_PGM_RSRC2:TGID_Y_EN: 0
; COMPUTE_PGM_RSRC2:TGID_Z_EN: 0
; COMPUTE_PGM_RSRC2:TIDIG_COMP_CNT: 0
; COMPUTE_PGM_RSRC3_GFX90A:ACCUM_OFFSET: 0
; COMPUTE_PGM_RSRC3_GFX90A:TG_SPLIT: 0
	.section	.text._ZN7rocprim17ROCPRIM_400000_NS6detail17trampoline_kernelINS0_14default_configENS1_25partition_config_selectorILNS1_17partition_subalgoE1EjNS0_10empty_typeEbEEZZNS1_14partition_implILS5_1ELb0ES3_jN6thrust23THRUST_200600_302600_NS6detail15normal_iteratorINSA_10device_ptrIjEEEEPS6_NSA_18transform_iteratorI7is_evenIjESF_NSA_11use_defaultESK_EENS0_5tupleIJSF_NSA_16discard_iteratorISK_EEEEENSM_IJSG_SG_EEES6_PlJS6_EEE10hipError_tPvRmT3_T4_T5_T6_T7_T9_mT8_P12ihipStream_tbDpT10_ENKUlT_T0_E_clISt17integral_constantIbLb0EES1B_EEDaS16_S17_EUlS16_E_NS1_11comp_targetILNS1_3genE2ELNS1_11target_archE906ELNS1_3gpuE6ELNS1_3repE0EEENS1_30default_config_static_selectorELNS0_4arch9wavefront6targetE1EEEvT1_,"axG",@progbits,_ZN7rocprim17ROCPRIM_400000_NS6detail17trampoline_kernelINS0_14default_configENS1_25partition_config_selectorILNS1_17partition_subalgoE1EjNS0_10empty_typeEbEEZZNS1_14partition_implILS5_1ELb0ES3_jN6thrust23THRUST_200600_302600_NS6detail15normal_iteratorINSA_10device_ptrIjEEEEPS6_NSA_18transform_iteratorI7is_evenIjESF_NSA_11use_defaultESK_EENS0_5tupleIJSF_NSA_16discard_iteratorISK_EEEEENSM_IJSG_SG_EEES6_PlJS6_EEE10hipError_tPvRmT3_T4_T5_T6_T7_T9_mT8_P12ihipStream_tbDpT10_ENKUlT_T0_E_clISt17integral_constantIbLb0EES1B_EEDaS16_S17_EUlS16_E_NS1_11comp_targetILNS1_3genE2ELNS1_11target_archE906ELNS1_3gpuE6ELNS1_3repE0EEENS1_30default_config_static_selectorELNS0_4arch9wavefront6targetE1EEEvT1_,comdat
	.protected	_ZN7rocprim17ROCPRIM_400000_NS6detail17trampoline_kernelINS0_14default_configENS1_25partition_config_selectorILNS1_17partition_subalgoE1EjNS0_10empty_typeEbEEZZNS1_14partition_implILS5_1ELb0ES3_jN6thrust23THRUST_200600_302600_NS6detail15normal_iteratorINSA_10device_ptrIjEEEEPS6_NSA_18transform_iteratorI7is_evenIjESF_NSA_11use_defaultESK_EENS0_5tupleIJSF_NSA_16discard_iteratorISK_EEEEENSM_IJSG_SG_EEES6_PlJS6_EEE10hipError_tPvRmT3_T4_T5_T6_T7_T9_mT8_P12ihipStream_tbDpT10_ENKUlT_T0_E_clISt17integral_constantIbLb0EES1B_EEDaS16_S17_EUlS16_E_NS1_11comp_targetILNS1_3genE2ELNS1_11target_archE906ELNS1_3gpuE6ELNS1_3repE0EEENS1_30default_config_static_selectorELNS0_4arch9wavefront6targetE1EEEvT1_ ; -- Begin function _ZN7rocprim17ROCPRIM_400000_NS6detail17trampoline_kernelINS0_14default_configENS1_25partition_config_selectorILNS1_17partition_subalgoE1EjNS0_10empty_typeEbEEZZNS1_14partition_implILS5_1ELb0ES3_jN6thrust23THRUST_200600_302600_NS6detail15normal_iteratorINSA_10device_ptrIjEEEEPS6_NSA_18transform_iteratorI7is_evenIjESF_NSA_11use_defaultESK_EENS0_5tupleIJSF_NSA_16discard_iteratorISK_EEEEENSM_IJSG_SG_EEES6_PlJS6_EEE10hipError_tPvRmT3_T4_T5_T6_T7_T9_mT8_P12ihipStream_tbDpT10_ENKUlT_T0_E_clISt17integral_constantIbLb0EES1B_EEDaS16_S17_EUlS16_E_NS1_11comp_targetILNS1_3genE2ELNS1_11target_archE906ELNS1_3gpuE6ELNS1_3repE0EEENS1_30default_config_static_selectorELNS0_4arch9wavefront6targetE1EEEvT1_
	.globl	_ZN7rocprim17ROCPRIM_400000_NS6detail17trampoline_kernelINS0_14default_configENS1_25partition_config_selectorILNS1_17partition_subalgoE1EjNS0_10empty_typeEbEEZZNS1_14partition_implILS5_1ELb0ES3_jN6thrust23THRUST_200600_302600_NS6detail15normal_iteratorINSA_10device_ptrIjEEEEPS6_NSA_18transform_iteratorI7is_evenIjESF_NSA_11use_defaultESK_EENS0_5tupleIJSF_NSA_16discard_iteratorISK_EEEEENSM_IJSG_SG_EEES6_PlJS6_EEE10hipError_tPvRmT3_T4_T5_T6_T7_T9_mT8_P12ihipStream_tbDpT10_ENKUlT_T0_E_clISt17integral_constantIbLb0EES1B_EEDaS16_S17_EUlS16_E_NS1_11comp_targetILNS1_3genE2ELNS1_11target_archE906ELNS1_3gpuE6ELNS1_3repE0EEENS1_30default_config_static_selectorELNS0_4arch9wavefront6targetE1EEEvT1_
	.p2align	8
	.type	_ZN7rocprim17ROCPRIM_400000_NS6detail17trampoline_kernelINS0_14default_configENS1_25partition_config_selectorILNS1_17partition_subalgoE1EjNS0_10empty_typeEbEEZZNS1_14partition_implILS5_1ELb0ES3_jN6thrust23THRUST_200600_302600_NS6detail15normal_iteratorINSA_10device_ptrIjEEEEPS6_NSA_18transform_iteratorI7is_evenIjESF_NSA_11use_defaultESK_EENS0_5tupleIJSF_NSA_16discard_iteratorISK_EEEEENSM_IJSG_SG_EEES6_PlJS6_EEE10hipError_tPvRmT3_T4_T5_T6_T7_T9_mT8_P12ihipStream_tbDpT10_ENKUlT_T0_E_clISt17integral_constantIbLb0EES1B_EEDaS16_S17_EUlS16_E_NS1_11comp_targetILNS1_3genE2ELNS1_11target_archE906ELNS1_3gpuE6ELNS1_3repE0EEENS1_30default_config_static_selectorELNS0_4arch9wavefront6targetE1EEEvT1_,@function
_ZN7rocprim17ROCPRIM_400000_NS6detail17trampoline_kernelINS0_14default_configENS1_25partition_config_selectorILNS1_17partition_subalgoE1EjNS0_10empty_typeEbEEZZNS1_14partition_implILS5_1ELb0ES3_jN6thrust23THRUST_200600_302600_NS6detail15normal_iteratorINSA_10device_ptrIjEEEEPS6_NSA_18transform_iteratorI7is_evenIjESF_NSA_11use_defaultESK_EENS0_5tupleIJSF_NSA_16discard_iteratorISK_EEEEENSM_IJSG_SG_EEES6_PlJS6_EEE10hipError_tPvRmT3_T4_T5_T6_T7_T9_mT8_P12ihipStream_tbDpT10_ENKUlT_T0_E_clISt17integral_constantIbLb0EES1B_EEDaS16_S17_EUlS16_E_NS1_11comp_targetILNS1_3genE2ELNS1_11target_archE906ELNS1_3gpuE6ELNS1_3repE0EEENS1_30default_config_static_selectorELNS0_4arch9wavefront6targetE1EEEvT1_: ; @_ZN7rocprim17ROCPRIM_400000_NS6detail17trampoline_kernelINS0_14default_configENS1_25partition_config_selectorILNS1_17partition_subalgoE1EjNS0_10empty_typeEbEEZZNS1_14partition_implILS5_1ELb0ES3_jN6thrust23THRUST_200600_302600_NS6detail15normal_iteratorINSA_10device_ptrIjEEEEPS6_NSA_18transform_iteratorI7is_evenIjESF_NSA_11use_defaultESK_EENS0_5tupleIJSF_NSA_16discard_iteratorISK_EEEEENSM_IJSG_SG_EEES6_PlJS6_EEE10hipError_tPvRmT3_T4_T5_T6_T7_T9_mT8_P12ihipStream_tbDpT10_ENKUlT_T0_E_clISt17integral_constantIbLb0EES1B_EEDaS16_S17_EUlS16_E_NS1_11comp_targetILNS1_3genE2ELNS1_11target_archE906ELNS1_3gpuE6ELNS1_3repE0EEENS1_30default_config_static_selectorELNS0_4arch9wavefront6targetE1EEEvT1_
; %bb.0:
	.section	.rodata,"a",@progbits
	.p2align	6, 0x0
	.amdhsa_kernel _ZN7rocprim17ROCPRIM_400000_NS6detail17trampoline_kernelINS0_14default_configENS1_25partition_config_selectorILNS1_17partition_subalgoE1EjNS0_10empty_typeEbEEZZNS1_14partition_implILS5_1ELb0ES3_jN6thrust23THRUST_200600_302600_NS6detail15normal_iteratorINSA_10device_ptrIjEEEEPS6_NSA_18transform_iteratorI7is_evenIjESF_NSA_11use_defaultESK_EENS0_5tupleIJSF_NSA_16discard_iteratorISK_EEEEENSM_IJSG_SG_EEES6_PlJS6_EEE10hipError_tPvRmT3_T4_T5_T6_T7_T9_mT8_P12ihipStream_tbDpT10_ENKUlT_T0_E_clISt17integral_constantIbLb0EES1B_EEDaS16_S17_EUlS16_E_NS1_11comp_targetILNS1_3genE2ELNS1_11target_archE906ELNS1_3gpuE6ELNS1_3repE0EEENS1_30default_config_static_selectorELNS0_4arch9wavefront6targetE1EEEvT1_
		.amdhsa_group_segment_fixed_size 0
		.amdhsa_private_segment_fixed_size 0
		.amdhsa_kernarg_size 136
		.amdhsa_user_sgpr_count 6
		.amdhsa_user_sgpr_private_segment_buffer 1
		.amdhsa_user_sgpr_dispatch_ptr 0
		.amdhsa_user_sgpr_queue_ptr 0
		.amdhsa_user_sgpr_kernarg_segment_ptr 1
		.amdhsa_user_sgpr_dispatch_id 0
		.amdhsa_user_sgpr_flat_scratch_init 0
		.amdhsa_user_sgpr_kernarg_preload_length 0
		.amdhsa_user_sgpr_kernarg_preload_offset 0
		.amdhsa_user_sgpr_private_segment_size 0
		.amdhsa_uses_dynamic_stack 0
		.amdhsa_system_sgpr_private_segment_wavefront_offset 0
		.amdhsa_system_sgpr_workgroup_id_x 1
		.amdhsa_system_sgpr_workgroup_id_y 0
		.amdhsa_system_sgpr_workgroup_id_z 0
		.amdhsa_system_sgpr_workgroup_info 0
		.amdhsa_system_vgpr_workitem_id 0
		.amdhsa_next_free_vgpr 1
		.amdhsa_next_free_sgpr 0
		.amdhsa_accum_offset 4
		.amdhsa_reserve_vcc 0
		.amdhsa_reserve_flat_scratch 0
		.amdhsa_float_round_mode_32 0
		.amdhsa_float_round_mode_16_64 0
		.amdhsa_float_denorm_mode_32 3
		.amdhsa_float_denorm_mode_16_64 3
		.amdhsa_dx10_clamp 1
		.amdhsa_ieee_mode 1
		.amdhsa_fp16_overflow 0
		.amdhsa_tg_split 0
		.amdhsa_exception_fp_ieee_invalid_op 0
		.amdhsa_exception_fp_denorm_src 0
		.amdhsa_exception_fp_ieee_div_zero 0
		.amdhsa_exception_fp_ieee_overflow 0
		.amdhsa_exception_fp_ieee_underflow 0
		.amdhsa_exception_fp_ieee_inexact 0
		.amdhsa_exception_int_div_zero 0
	.end_amdhsa_kernel
	.section	.text._ZN7rocprim17ROCPRIM_400000_NS6detail17trampoline_kernelINS0_14default_configENS1_25partition_config_selectorILNS1_17partition_subalgoE1EjNS0_10empty_typeEbEEZZNS1_14partition_implILS5_1ELb0ES3_jN6thrust23THRUST_200600_302600_NS6detail15normal_iteratorINSA_10device_ptrIjEEEEPS6_NSA_18transform_iteratorI7is_evenIjESF_NSA_11use_defaultESK_EENS0_5tupleIJSF_NSA_16discard_iteratorISK_EEEEENSM_IJSG_SG_EEES6_PlJS6_EEE10hipError_tPvRmT3_T4_T5_T6_T7_T9_mT8_P12ihipStream_tbDpT10_ENKUlT_T0_E_clISt17integral_constantIbLb0EES1B_EEDaS16_S17_EUlS16_E_NS1_11comp_targetILNS1_3genE2ELNS1_11target_archE906ELNS1_3gpuE6ELNS1_3repE0EEENS1_30default_config_static_selectorELNS0_4arch9wavefront6targetE1EEEvT1_,"axG",@progbits,_ZN7rocprim17ROCPRIM_400000_NS6detail17trampoline_kernelINS0_14default_configENS1_25partition_config_selectorILNS1_17partition_subalgoE1EjNS0_10empty_typeEbEEZZNS1_14partition_implILS5_1ELb0ES3_jN6thrust23THRUST_200600_302600_NS6detail15normal_iteratorINSA_10device_ptrIjEEEEPS6_NSA_18transform_iteratorI7is_evenIjESF_NSA_11use_defaultESK_EENS0_5tupleIJSF_NSA_16discard_iteratorISK_EEEEENSM_IJSG_SG_EEES6_PlJS6_EEE10hipError_tPvRmT3_T4_T5_T6_T7_T9_mT8_P12ihipStream_tbDpT10_ENKUlT_T0_E_clISt17integral_constantIbLb0EES1B_EEDaS16_S17_EUlS16_E_NS1_11comp_targetILNS1_3genE2ELNS1_11target_archE906ELNS1_3gpuE6ELNS1_3repE0EEENS1_30default_config_static_selectorELNS0_4arch9wavefront6targetE1EEEvT1_,comdat
.Lfunc_end3007:
	.size	_ZN7rocprim17ROCPRIM_400000_NS6detail17trampoline_kernelINS0_14default_configENS1_25partition_config_selectorILNS1_17partition_subalgoE1EjNS0_10empty_typeEbEEZZNS1_14partition_implILS5_1ELb0ES3_jN6thrust23THRUST_200600_302600_NS6detail15normal_iteratorINSA_10device_ptrIjEEEEPS6_NSA_18transform_iteratorI7is_evenIjESF_NSA_11use_defaultESK_EENS0_5tupleIJSF_NSA_16discard_iteratorISK_EEEEENSM_IJSG_SG_EEES6_PlJS6_EEE10hipError_tPvRmT3_T4_T5_T6_T7_T9_mT8_P12ihipStream_tbDpT10_ENKUlT_T0_E_clISt17integral_constantIbLb0EES1B_EEDaS16_S17_EUlS16_E_NS1_11comp_targetILNS1_3genE2ELNS1_11target_archE906ELNS1_3gpuE6ELNS1_3repE0EEENS1_30default_config_static_selectorELNS0_4arch9wavefront6targetE1EEEvT1_, .Lfunc_end3007-_ZN7rocprim17ROCPRIM_400000_NS6detail17trampoline_kernelINS0_14default_configENS1_25partition_config_selectorILNS1_17partition_subalgoE1EjNS0_10empty_typeEbEEZZNS1_14partition_implILS5_1ELb0ES3_jN6thrust23THRUST_200600_302600_NS6detail15normal_iteratorINSA_10device_ptrIjEEEEPS6_NSA_18transform_iteratorI7is_evenIjESF_NSA_11use_defaultESK_EENS0_5tupleIJSF_NSA_16discard_iteratorISK_EEEEENSM_IJSG_SG_EEES6_PlJS6_EEE10hipError_tPvRmT3_T4_T5_T6_T7_T9_mT8_P12ihipStream_tbDpT10_ENKUlT_T0_E_clISt17integral_constantIbLb0EES1B_EEDaS16_S17_EUlS16_E_NS1_11comp_targetILNS1_3genE2ELNS1_11target_archE906ELNS1_3gpuE6ELNS1_3repE0EEENS1_30default_config_static_selectorELNS0_4arch9wavefront6targetE1EEEvT1_
                                        ; -- End function
	.section	.AMDGPU.csdata,"",@progbits
; Kernel info:
; codeLenInByte = 0
; NumSgprs: 4
; NumVgprs: 0
; NumAgprs: 0
; TotalNumVgprs: 0
; ScratchSize: 0
; MemoryBound: 0
; FloatMode: 240
; IeeeMode: 1
; LDSByteSize: 0 bytes/workgroup (compile time only)
; SGPRBlocks: 0
; VGPRBlocks: 0
; NumSGPRsForWavesPerEU: 4
; NumVGPRsForWavesPerEU: 1
; AccumOffset: 4
; Occupancy: 8
; WaveLimiterHint : 0
; COMPUTE_PGM_RSRC2:SCRATCH_EN: 0
; COMPUTE_PGM_RSRC2:USER_SGPR: 6
; COMPUTE_PGM_RSRC2:TRAP_HANDLER: 0
; COMPUTE_PGM_RSRC2:TGID_X_EN: 1
; COMPUTE_PGM_RSRC2:TGID_Y_EN: 0
; COMPUTE_PGM_RSRC2:TGID_Z_EN: 0
; COMPUTE_PGM_RSRC2:TIDIG_COMP_CNT: 0
; COMPUTE_PGM_RSRC3_GFX90A:ACCUM_OFFSET: 0
; COMPUTE_PGM_RSRC3_GFX90A:TG_SPLIT: 0
	.section	.text._ZN7rocprim17ROCPRIM_400000_NS6detail17trampoline_kernelINS0_14default_configENS1_25partition_config_selectorILNS1_17partition_subalgoE1EjNS0_10empty_typeEbEEZZNS1_14partition_implILS5_1ELb0ES3_jN6thrust23THRUST_200600_302600_NS6detail15normal_iteratorINSA_10device_ptrIjEEEEPS6_NSA_18transform_iteratorI7is_evenIjESF_NSA_11use_defaultESK_EENS0_5tupleIJSF_NSA_16discard_iteratorISK_EEEEENSM_IJSG_SG_EEES6_PlJS6_EEE10hipError_tPvRmT3_T4_T5_T6_T7_T9_mT8_P12ihipStream_tbDpT10_ENKUlT_T0_E_clISt17integral_constantIbLb0EES1B_EEDaS16_S17_EUlS16_E_NS1_11comp_targetILNS1_3genE10ELNS1_11target_archE1200ELNS1_3gpuE4ELNS1_3repE0EEENS1_30default_config_static_selectorELNS0_4arch9wavefront6targetE1EEEvT1_,"axG",@progbits,_ZN7rocprim17ROCPRIM_400000_NS6detail17trampoline_kernelINS0_14default_configENS1_25partition_config_selectorILNS1_17partition_subalgoE1EjNS0_10empty_typeEbEEZZNS1_14partition_implILS5_1ELb0ES3_jN6thrust23THRUST_200600_302600_NS6detail15normal_iteratorINSA_10device_ptrIjEEEEPS6_NSA_18transform_iteratorI7is_evenIjESF_NSA_11use_defaultESK_EENS0_5tupleIJSF_NSA_16discard_iteratorISK_EEEEENSM_IJSG_SG_EEES6_PlJS6_EEE10hipError_tPvRmT3_T4_T5_T6_T7_T9_mT8_P12ihipStream_tbDpT10_ENKUlT_T0_E_clISt17integral_constantIbLb0EES1B_EEDaS16_S17_EUlS16_E_NS1_11comp_targetILNS1_3genE10ELNS1_11target_archE1200ELNS1_3gpuE4ELNS1_3repE0EEENS1_30default_config_static_selectorELNS0_4arch9wavefront6targetE1EEEvT1_,comdat
	.protected	_ZN7rocprim17ROCPRIM_400000_NS6detail17trampoline_kernelINS0_14default_configENS1_25partition_config_selectorILNS1_17partition_subalgoE1EjNS0_10empty_typeEbEEZZNS1_14partition_implILS5_1ELb0ES3_jN6thrust23THRUST_200600_302600_NS6detail15normal_iteratorINSA_10device_ptrIjEEEEPS6_NSA_18transform_iteratorI7is_evenIjESF_NSA_11use_defaultESK_EENS0_5tupleIJSF_NSA_16discard_iteratorISK_EEEEENSM_IJSG_SG_EEES6_PlJS6_EEE10hipError_tPvRmT3_T4_T5_T6_T7_T9_mT8_P12ihipStream_tbDpT10_ENKUlT_T0_E_clISt17integral_constantIbLb0EES1B_EEDaS16_S17_EUlS16_E_NS1_11comp_targetILNS1_3genE10ELNS1_11target_archE1200ELNS1_3gpuE4ELNS1_3repE0EEENS1_30default_config_static_selectorELNS0_4arch9wavefront6targetE1EEEvT1_ ; -- Begin function _ZN7rocprim17ROCPRIM_400000_NS6detail17trampoline_kernelINS0_14default_configENS1_25partition_config_selectorILNS1_17partition_subalgoE1EjNS0_10empty_typeEbEEZZNS1_14partition_implILS5_1ELb0ES3_jN6thrust23THRUST_200600_302600_NS6detail15normal_iteratorINSA_10device_ptrIjEEEEPS6_NSA_18transform_iteratorI7is_evenIjESF_NSA_11use_defaultESK_EENS0_5tupleIJSF_NSA_16discard_iteratorISK_EEEEENSM_IJSG_SG_EEES6_PlJS6_EEE10hipError_tPvRmT3_T4_T5_T6_T7_T9_mT8_P12ihipStream_tbDpT10_ENKUlT_T0_E_clISt17integral_constantIbLb0EES1B_EEDaS16_S17_EUlS16_E_NS1_11comp_targetILNS1_3genE10ELNS1_11target_archE1200ELNS1_3gpuE4ELNS1_3repE0EEENS1_30default_config_static_selectorELNS0_4arch9wavefront6targetE1EEEvT1_
	.globl	_ZN7rocprim17ROCPRIM_400000_NS6detail17trampoline_kernelINS0_14default_configENS1_25partition_config_selectorILNS1_17partition_subalgoE1EjNS0_10empty_typeEbEEZZNS1_14partition_implILS5_1ELb0ES3_jN6thrust23THRUST_200600_302600_NS6detail15normal_iteratorINSA_10device_ptrIjEEEEPS6_NSA_18transform_iteratorI7is_evenIjESF_NSA_11use_defaultESK_EENS0_5tupleIJSF_NSA_16discard_iteratorISK_EEEEENSM_IJSG_SG_EEES6_PlJS6_EEE10hipError_tPvRmT3_T4_T5_T6_T7_T9_mT8_P12ihipStream_tbDpT10_ENKUlT_T0_E_clISt17integral_constantIbLb0EES1B_EEDaS16_S17_EUlS16_E_NS1_11comp_targetILNS1_3genE10ELNS1_11target_archE1200ELNS1_3gpuE4ELNS1_3repE0EEENS1_30default_config_static_selectorELNS0_4arch9wavefront6targetE1EEEvT1_
	.p2align	8
	.type	_ZN7rocprim17ROCPRIM_400000_NS6detail17trampoline_kernelINS0_14default_configENS1_25partition_config_selectorILNS1_17partition_subalgoE1EjNS0_10empty_typeEbEEZZNS1_14partition_implILS5_1ELb0ES3_jN6thrust23THRUST_200600_302600_NS6detail15normal_iteratorINSA_10device_ptrIjEEEEPS6_NSA_18transform_iteratorI7is_evenIjESF_NSA_11use_defaultESK_EENS0_5tupleIJSF_NSA_16discard_iteratorISK_EEEEENSM_IJSG_SG_EEES6_PlJS6_EEE10hipError_tPvRmT3_T4_T5_T6_T7_T9_mT8_P12ihipStream_tbDpT10_ENKUlT_T0_E_clISt17integral_constantIbLb0EES1B_EEDaS16_S17_EUlS16_E_NS1_11comp_targetILNS1_3genE10ELNS1_11target_archE1200ELNS1_3gpuE4ELNS1_3repE0EEENS1_30default_config_static_selectorELNS0_4arch9wavefront6targetE1EEEvT1_,@function
_ZN7rocprim17ROCPRIM_400000_NS6detail17trampoline_kernelINS0_14default_configENS1_25partition_config_selectorILNS1_17partition_subalgoE1EjNS0_10empty_typeEbEEZZNS1_14partition_implILS5_1ELb0ES3_jN6thrust23THRUST_200600_302600_NS6detail15normal_iteratorINSA_10device_ptrIjEEEEPS6_NSA_18transform_iteratorI7is_evenIjESF_NSA_11use_defaultESK_EENS0_5tupleIJSF_NSA_16discard_iteratorISK_EEEEENSM_IJSG_SG_EEES6_PlJS6_EEE10hipError_tPvRmT3_T4_T5_T6_T7_T9_mT8_P12ihipStream_tbDpT10_ENKUlT_T0_E_clISt17integral_constantIbLb0EES1B_EEDaS16_S17_EUlS16_E_NS1_11comp_targetILNS1_3genE10ELNS1_11target_archE1200ELNS1_3gpuE4ELNS1_3repE0EEENS1_30default_config_static_selectorELNS0_4arch9wavefront6targetE1EEEvT1_: ; @_ZN7rocprim17ROCPRIM_400000_NS6detail17trampoline_kernelINS0_14default_configENS1_25partition_config_selectorILNS1_17partition_subalgoE1EjNS0_10empty_typeEbEEZZNS1_14partition_implILS5_1ELb0ES3_jN6thrust23THRUST_200600_302600_NS6detail15normal_iteratorINSA_10device_ptrIjEEEEPS6_NSA_18transform_iteratorI7is_evenIjESF_NSA_11use_defaultESK_EENS0_5tupleIJSF_NSA_16discard_iteratorISK_EEEEENSM_IJSG_SG_EEES6_PlJS6_EEE10hipError_tPvRmT3_T4_T5_T6_T7_T9_mT8_P12ihipStream_tbDpT10_ENKUlT_T0_E_clISt17integral_constantIbLb0EES1B_EEDaS16_S17_EUlS16_E_NS1_11comp_targetILNS1_3genE10ELNS1_11target_archE1200ELNS1_3gpuE4ELNS1_3repE0EEENS1_30default_config_static_selectorELNS0_4arch9wavefront6targetE1EEEvT1_
; %bb.0:
	.section	.rodata,"a",@progbits
	.p2align	6, 0x0
	.amdhsa_kernel _ZN7rocprim17ROCPRIM_400000_NS6detail17trampoline_kernelINS0_14default_configENS1_25partition_config_selectorILNS1_17partition_subalgoE1EjNS0_10empty_typeEbEEZZNS1_14partition_implILS5_1ELb0ES3_jN6thrust23THRUST_200600_302600_NS6detail15normal_iteratorINSA_10device_ptrIjEEEEPS6_NSA_18transform_iteratorI7is_evenIjESF_NSA_11use_defaultESK_EENS0_5tupleIJSF_NSA_16discard_iteratorISK_EEEEENSM_IJSG_SG_EEES6_PlJS6_EEE10hipError_tPvRmT3_T4_T5_T6_T7_T9_mT8_P12ihipStream_tbDpT10_ENKUlT_T0_E_clISt17integral_constantIbLb0EES1B_EEDaS16_S17_EUlS16_E_NS1_11comp_targetILNS1_3genE10ELNS1_11target_archE1200ELNS1_3gpuE4ELNS1_3repE0EEENS1_30default_config_static_selectorELNS0_4arch9wavefront6targetE1EEEvT1_
		.amdhsa_group_segment_fixed_size 0
		.amdhsa_private_segment_fixed_size 0
		.amdhsa_kernarg_size 136
		.amdhsa_user_sgpr_count 6
		.amdhsa_user_sgpr_private_segment_buffer 1
		.amdhsa_user_sgpr_dispatch_ptr 0
		.amdhsa_user_sgpr_queue_ptr 0
		.amdhsa_user_sgpr_kernarg_segment_ptr 1
		.amdhsa_user_sgpr_dispatch_id 0
		.amdhsa_user_sgpr_flat_scratch_init 0
		.amdhsa_user_sgpr_kernarg_preload_length 0
		.amdhsa_user_sgpr_kernarg_preload_offset 0
		.amdhsa_user_sgpr_private_segment_size 0
		.amdhsa_uses_dynamic_stack 0
		.amdhsa_system_sgpr_private_segment_wavefront_offset 0
		.amdhsa_system_sgpr_workgroup_id_x 1
		.amdhsa_system_sgpr_workgroup_id_y 0
		.amdhsa_system_sgpr_workgroup_id_z 0
		.amdhsa_system_sgpr_workgroup_info 0
		.amdhsa_system_vgpr_workitem_id 0
		.amdhsa_next_free_vgpr 1
		.amdhsa_next_free_sgpr 0
		.amdhsa_accum_offset 4
		.amdhsa_reserve_vcc 0
		.amdhsa_reserve_flat_scratch 0
		.amdhsa_float_round_mode_32 0
		.amdhsa_float_round_mode_16_64 0
		.amdhsa_float_denorm_mode_32 3
		.amdhsa_float_denorm_mode_16_64 3
		.amdhsa_dx10_clamp 1
		.amdhsa_ieee_mode 1
		.amdhsa_fp16_overflow 0
		.amdhsa_tg_split 0
		.amdhsa_exception_fp_ieee_invalid_op 0
		.amdhsa_exception_fp_denorm_src 0
		.amdhsa_exception_fp_ieee_div_zero 0
		.amdhsa_exception_fp_ieee_overflow 0
		.amdhsa_exception_fp_ieee_underflow 0
		.amdhsa_exception_fp_ieee_inexact 0
		.amdhsa_exception_int_div_zero 0
	.end_amdhsa_kernel
	.section	.text._ZN7rocprim17ROCPRIM_400000_NS6detail17trampoline_kernelINS0_14default_configENS1_25partition_config_selectorILNS1_17partition_subalgoE1EjNS0_10empty_typeEbEEZZNS1_14partition_implILS5_1ELb0ES3_jN6thrust23THRUST_200600_302600_NS6detail15normal_iteratorINSA_10device_ptrIjEEEEPS6_NSA_18transform_iteratorI7is_evenIjESF_NSA_11use_defaultESK_EENS0_5tupleIJSF_NSA_16discard_iteratorISK_EEEEENSM_IJSG_SG_EEES6_PlJS6_EEE10hipError_tPvRmT3_T4_T5_T6_T7_T9_mT8_P12ihipStream_tbDpT10_ENKUlT_T0_E_clISt17integral_constantIbLb0EES1B_EEDaS16_S17_EUlS16_E_NS1_11comp_targetILNS1_3genE10ELNS1_11target_archE1200ELNS1_3gpuE4ELNS1_3repE0EEENS1_30default_config_static_selectorELNS0_4arch9wavefront6targetE1EEEvT1_,"axG",@progbits,_ZN7rocprim17ROCPRIM_400000_NS6detail17trampoline_kernelINS0_14default_configENS1_25partition_config_selectorILNS1_17partition_subalgoE1EjNS0_10empty_typeEbEEZZNS1_14partition_implILS5_1ELb0ES3_jN6thrust23THRUST_200600_302600_NS6detail15normal_iteratorINSA_10device_ptrIjEEEEPS6_NSA_18transform_iteratorI7is_evenIjESF_NSA_11use_defaultESK_EENS0_5tupleIJSF_NSA_16discard_iteratorISK_EEEEENSM_IJSG_SG_EEES6_PlJS6_EEE10hipError_tPvRmT3_T4_T5_T6_T7_T9_mT8_P12ihipStream_tbDpT10_ENKUlT_T0_E_clISt17integral_constantIbLb0EES1B_EEDaS16_S17_EUlS16_E_NS1_11comp_targetILNS1_3genE10ELNS1_11target_archE1200ELNS1_3gpuE4ELNS1_3repE0EEENS1_30default_config_static_selectorELNS0_4arch9wavefront6targetE1EEEvT1_,comdat
.Lfunc_end3008:
	.size	_ZN7rocprim17ROCPRIM_400000_NS6detail17trampoline_kernelINS0_14default_configENS1_25partition_config_selectorILNS1_17partition_subalgoE1EjNS0_10empty_typeEbEEZZNS1_14partition_implILS5_1ELb0ES3_jN6thrust23THRUST_200600_302600_NS6detail15normal_iteratorINSA_10device_ptrIjEEEEPS6_NSA_18transform_iteratorI7is_evenIjESF_NSA_11use_defaultESK_EENS0_5tupleIJSF_NSA_16discard_iteratorISK_EEEEENSM_IJSG_SG_EEES6_PlJS6_EEE10hipError_tPvRmT3_T4_T5_T6_T7_T9_mT8_P12ihipStream_tbDpT10_ENKUlT_T0_E_clISt17integral_constantIbLb0EES1B_EEDaS16_S17_EUlS16_E_NS1_11comp_targetILNS1_3genE10ELNS1_11target_archE1200ELNS1_3gpuE4ELNS1_3repE0EEENS1_30default_config_static_selectorELNS0_4arch9wavefront6targetE1EEEvT1_, .Lfunc_end3008-_ZN7rocprim17ROCPRIM_400000_NS6detail17trampoline_kernelINS0_14default_configENS1_25partition_config_selectorILNS1_17partition_subalgoE1EjNS0_10empty_typeEbEEZZNS1_14partition_implILS5_1ELb0ES3_jN6thrust23THRUST_200600_302600_NS6detail15normal_iteratorINSA_10device_ptrIjEEEEPS6_NSA_18transform_iteratorI7is_evenIjESF_NSA_11use_defaultESK_EENS0_5tupleIJSF_NSA_16discard_iteratorISK_EEEEENSM_IJSG_SG_EEES6_PlJS6_EEE10hipError_tPvRmT3_T4_T5_T6_T7_T9_mT8_P12ihipStream_tbDpT10_ENKUlT_T0_E_clISt17integral_constantIbLb0EES1B_EEDaS16_S17_EUlS16_E_NS1_11comp_targetILNS1_3genE10ELNS1_11target_archE1200ELNS1_3gpuE4ELNS1_3repE0EEENS1_30default_config_static_selectorELNS0_4arch9wavefront6targetE1EEEvT1_
                                        ; -- End function
	.section	.AMDGPU.csdata,"",@progbits
; Kernel info:
; codeLenInByte = 0
; NumSgprs: 4
; NumVgprs: 0
; NumAgprs: 0
; TotalNumVgprs: 0
; ScratchSize: 0
; MemoryBound: 0
; FloatMode: 240
; IeeeMode: 1
; LDSByteSize: 0 bytes/workgroup (compile time only)
; SGPRBlocks: 0
; VGPRBlocks: 0
; NumSGPRsForWavesPerEU: 4
; NumVGPRsForWavesPerEU: 1
; AccumOffset: 4
; Occupancy: 8
; WaveLimiterHint : 0
; COMPUTE_PGM_RSRC2:SCRATCH_EN: 0
; COMPUTE_PGM_RSRC2:USER_SGPR: 6
; COMPUTE_PGM_RSRC2:TRAP_HANDLER: 0
; COMPUTE_PGM_RSRC2:TGID_X_EN: 1
; COMPUTE_PGM_RSRC2:TGID_Y_EN: 0
; COMPUTE_PGM_RSRC2:TGID_Z_EN: 0
; COMPUTE_PGM_RSRC2:TIDIG_COMP_CNT: 0
; COMPUTE_PGM_RSRC3_GFX90A:ACCUM_OFFSET: 0
; COMPUTE_PGM_RSRC3_GFX90A:TG_SPLIT: 0
	.section	.text._ZN7rocprim17ROCPRIM_400000_NS6detail17trampoline_kernelINS0_14default_configENS1_25partition_config_selectorILNS1_17partition_subalgoE1EjNS0_10empty_typeEbEEZZNS1_14partition_implILS5_1ELb0ES3_jN6thrust23THRUST_200600_302600_NS6detail15normal_iteratorINSA_10device_ptrIjEEEEPS6_NSA_18transform_iteratorI7is_evenIjESF_NSA_11use_defaultESK_EENS0_5tupleIJSF_NSA_16discard_iteratorISK_EEEEENSM_IJSG_SG_EEES6_PlJS6_EEE10hipError_tPvRmT3_T4_T5_T6_T7_T9_mT8_P12ihipStream_tbDpT10_ENKUlT_T0_E_clISt17integral_constantIbLb0EES1B_EEDaS16_S17_EUlS16_E_NS1_11comp_targetILNS1_3genE9ELNS1_11target_archE1100ELNS1_3gpuE3ELNS1_3repE0EEENS1_30default_config_static_selectorELNS0_4arch9wavefront6targetE1EEEvT1_,"axG",@progbits,_ZN7rocprim17ROCPRIM_400000_NS6detail17trampoline_kernelINS0_14default_configENS1_25partition_config_selectorILNS1_17partition_subalgoE1EjNS0_10empty_typeEbEEZZNS1_14partition_implILS5_1ELb0ES3_jN6thrust23THRUST_200600_302600_NS6detail15normal_iteratorINSA_10device_ptrIjEEEEPS6_NSA_18transform_iteratorI7is_evenIjESF_NSA_11use_defaultESK_EENS0_5tupleIJSF_NSA_16discard_iteratorISK_EEEEENSM_IJSG_SG_EEES6_PlJS6_EEE10hipError_tPvRmT3_T4_T5_T6_T7_T9_mT8_P12ihipStream_tbDpT10_ENKUlT_T0_E_clISt17integral_constantIbLb0EES1B_EEDaS16_S17_EUlS16_E_NS1_11comp_targetILNS1_3genE9ELNS1_11target_archE1100ELNS1_3gpuE3ELNS1_3repE0EEENS1_30default_config_static_selectorELNS0_4arch9wavefront6targetE1EEEvT1_,comdat
	.protected	_ZN7rocprim17ROCPRIM_400000_NS6detail17trampoline_kernelINS0_14default_configENS1_25partition_config_selectorILNS1_17partition_subalgoE1EjNS0_10empty_typeEbEEZZNS1_14partition_implILS5_1ELb0ES3_jN6thrust23THRUST_200600_302600_NS6detail15normal_iteratorINSA_10device_ptrIjEEEEPS6_NSA_18transform_iteratorI7is_evenIjESF_NSA_11use_defaultESK_EENS0_5tupleIJSF_NSA_16discard_iteratorISK_EEEEENSM_IJSG_SG_EEES6_PlJS6_EEE10hipError_tPvRmT3_T4_T5_T6_T7_T9_mT8_P12ihipStream_tbDpT10_ENKUlT_T0_E_clISt17integral_constantIbLb0EES1B_EEDaS16_S17_EUlS16_E_NS1_11comp_targetILNS1_3genE9ELNS1_11target_archE1100ELNS1_3gpuE3ELNS1_3repE0EEENS1_30default_config_static_selectorELNS0_4arch9wavefront6targetE1EEEvT1_ ; -- Begin function _ZN7rocprim17ROCPRIM_400000_NS6detail17trampoline_kernelINS0_14default_configENS1_25partition_config_selectorILNS1_17partition_subalgoE1EjNS0_10empty_typeEbEEZZNS1_14partition_implILS5_1ELb0ES3_jN6thrust23THRUST_200600_302600_NS6detail15normal_iteratorINSA_10device_ptrIjEEEEPS6_NSA_18transform_iteratorI7is_evenIjESF_NSA_11use_defaultESK_EENS0_5tupleIJSF_NSA_16discard_iteratorISK_EEEEENSM_IJSG_SG_EEES6_PlJS6_EEE10hipError_tPvRmT3_T4_T5_T6_T7_T9_mT8_P12ihipStream_tbDpT10_ENKUlT_T0_E_clISt17integral_constantIbLb0EES1B_EEDaS16_S17_EUlS16_E_NS1_11comp_targetILNS1_3genE9ELNS1_11target_archE1100ELNS1_3gpuE3ELNS1_3repE0EEENS1_30default_config_static_selectorELNS0_4arch9wavefront6targetE1EEEvT1_
	.globl	_ZN7rocprim17ROCPRIM_400000_NS6detail17trampoline_kernelINS0_14default_configENS1_25partition_config_selectorILNS1_17partition_subalgoE1EjNS0_10empty_typeEbEEZZNS1_14partition_implILS5_1ELb0ES3_jN6thrust23THRUST_200600_302600_NS6detail15normal_iteratorINSA_10device_ptrIjEEEEPS6_NSA_18transform_iteratorI7is_evenIjESF_NSA_11use_defaultESK_EENS0_5tupleIJSF_NSA_16discard_iteratorISK_EEEEENSM_IJSG_SG_EEES6_PlJS6_EEE10hipError_tPvRmT3_T4_T5_T6_T7_T9_mT8_P12ihipStream_tbDpT10_ENKUlT_T0_E_clISt17integral_constantIbLb0EES1B_EEDaS16_S17_EUlS16_E_NS1_11comp_targetILNS1_3genE9ELNS1_11target_archE1100ELNS1_3gpuE3ELNS1_3repE0EEENS1_30default_config_static_selectorELNS0_4arch9wavefront6targetE1EEEvT1_
	.p2align	8
	.type	_ZN7rocprim17ROCPRIM_400000_NS6detail17trampoline_kernelINS0_14default_configENS1_25partition_config_selectorILNS1_17partition_subalgoE1EjNS0_10empty_typeEbEEZZNS1_14partition_implILS5_1ELb0ES3_jN6thrust23THRUST_200600_302600_NS6detail15normal_iteratorINSA_10device_ptrIjEEEEPS6_NSA_18transform_iteratorI7is_evenIjESF_NSA_11use_defaultESK_EENS0_5tupleIJSF_NSA_16discard_iteratorISK_EEEEENSM_IJSG_SG_EEES6_PlJS6_EEE10hipError_tPvRmT3_T4_T5_T6_T7_T9_mT8_P12ihipStream_tbDpT10_ENKUlT_T0_E_clISt17integral_constantIbLb0EES1B_EEDaS16_S17_EUlS16_E_NS1_11comp_targetILNS1_3genE9ELNS1_11target_archE1100ELNS1_3gpuE3ELNS1_3repE0EEENS1_30default_config_static_selectorELNS0_4arch9wavefront6targetE1EEEvT1_,@function
_ZN7rocprim17ROCPRIM_400000_NS6detail17trampoline_kernelINS0_14default_configENS1_25partition_config_selectorILNS1_17partition_subalgoE1EjNS0_10empty_typeEbEEZZNS1_14partition_implILS5_1ELb0ES3_jN6thrust23THRUST_200600_302600_NS6detail15normal_iteratorINSA_10device_ptrIjEEEEPS6_NSA_18transform_iteratorI7is_evenIjESF_NSA_11use_defaultESK_EENS0_5tupleIJSF_NSA_16discard_iteratorISK_EEEEENSM_IJSG_SG_EEES6_PlJS6_EEE10hipError_tPvRmT3_T4_T5_T6_T7_T9_mT8_P12ihipStream_tbDpT10_ENKUlT_T0_E_clISt17integral_constantIbLb0EES1B_EEDaS16_S17_EUlS16_E_NS1_11comp_targetILNS1_3genE9ELNS1_11target_archE1100ELNS1_3gpuE3ELNS1_3repE0EEENS1_30default_config_static_selectorELNS0_4arch9wavefront6targetE1EEEvT1_: ; @_ZN7rocprim17ROCPRIM_400000_NS6detail17trampoline_kernelINS0_14default_configENS1_25partition_config_selectorILNS1_17partition_subalgoE1EjNS0_10empty_typeEbEEZZNS1_14partition_implILS5_1ELb0ES3_jN6thrust23THRUST_200600_302600_NS6detail15normal_iteratorINSA_10device_ptrIjEEEEPS6_NSA_18transform_iteratorI7is_evenIjESF_NSA_11use_defaultESK_EENS0_5tupleIJSF_NSA_16discard_iteratorISK_EEEEENSM_IJSG_SG_EEES6_PlJS6_EEE10hipError_tPvRmT3_T4_T5_T6_T7_T9_mT8_P12ihipStream_tbDpT10_ENKUlT_T0_E_clISt17integral_constantIbLb0EES1B_EEDaS16_S17_EUlS16_E_NS1_11comp_targetILNS1_3genE9ELNS1_11target_archE1100ELNS1_3gpuE3ELNS1_3repE0EEENS1_30default_config_static_selectorELNS0_4arch9wavefront6targetE1EEEvT1_
; %bb.0:
	.section	.rodata,"a",@progbits
	.p2align	6, 0x0
	.amdhsa_kernel _ZN7rocprim17ROCPRIM_400000_NS6detail17trampoline_kernelINS0_14default_configENS1_25partition_config_selectorILNS1_17partition_subalgoE1EjNS0_10empty_typeEbEEZZNS1_14partition_implILS5_1ELb0ES3_jN6thrust23THRUST_200600_302600_NS6detail15normal_iteratorINSA_10device_ptrIjEEEEPS6_NSA_18transform_iteratorI7is_evenIjESF_NSA_11use_defaultESK_EENS0_5tupleIJSF_NSA_16discard_iteratorISK_EEEEENSM_IJSG_SG_EEES6_PlJS6_EEE10hipError_tPvRmT3_T4_T5_T6_T7_T9_mT8_P12ihipStream_tbDpT10_ENKUlT_T0_E_clISt17integral_constantIbLb0EES1B_EEDaS16_S17_EUlS16_E_NS1_11comp_targetILNS1_3genE9ELNS1_11target_archE1100ELNS1_3gpuE3ELNS1_3repE0EEENS1_30default_config_static_selectorELNS0_4arch9wavefront6targetE1EEEvT1_
		.amdhsa_group_segment_fixed_size 0
		.amdhsa_private_segment_fixed_size 0
		.amdhsa_kernarg_size 136
		.amdhsa_user_sgpr_count 6
		.amdhsa_user_sgpr_private_segment_buffer 1
		.amdhsa_user_sgpr_dispatch_ptr 0
		.amdhsa_user_sgpr_queue_ptr 0
		.amdhsa_user_sgpr_kernarg_segment_ptr 1
		.amdhsa_user_sgpr_dispatch_id 0
		.amdhsa_user_sgpr_flat_scratch_init 0
		.amdhsa_user_sgpr_kernarg_preload_length 0
		.amdhsa_user_sgpr_kernarg_preload_offset 0
		.amdhsa_user_sgpr_private_segment_size 0
		.amdhsa_uses_dynamic_stack 0
		.amdhsa_system_sgpr_private_segment_wavefront_offset 0
		.amdhsa_system_sgpr_workgroup_id_x 1
		.amdhsa_system_sgpr_workgroup_id_y 0
		.amdhsa_system_sgpr_workgroup_id_z 0
		.amdhsa_system_sgpr_workgroup_info 0
		.amdhsa_system_vgpr_workitem_id 0
		.amdhsa_next_free_vgpr 1
		.amdhsa_next_free_sgpr 0
		.amdhsa_accum_offset 4
		.amdhsa_reserve_vcc 0
		.amdhsa_reserve_flat_scratch 0
		.amdhsa_float_round_mode_32 0
		.amdhsa_float_round_mode_16_64 0
		.amdhsa_float_denorm_mode_32 3
		.amdhsa_float_denorm_mode_16_64 3
		.amdhsa_dx10_clamp 1
		.amdhsa_ieee_mode 1
		.amdhsa_fp16_overflow 0
		.amdhsa_tg_split 0
		.amdhsa_exception_fp_ieee_invalid_op 0
		.amdhsa_exception_fp_denorm_src 0
		.amdhsa_exception_fp_ieee_div_zero 0
		.amdhsa_exception_fp_ieee_overflow 0
		.amdhsa_exception_fp_ieee_underflow 0
		.amdhsa_exception_fp_ieee_inexact 0
		.amdhsa_exception_int_div_zero 0
	.end_amdhsa_kernel
	.section	.text._ZN7rocprim17ROCPRIM_400000_NS6detail17trampoline_kernelINS0_14default_configENS1_25partition_config_selectorILNS1_17partition_subalgoE1EjNS0_10empty_typeEbEEZZNS1_14partition_implILS5_1ELb0ES3_jN6thrust23THRUST_200600_302600_NS6detail15normal_iteratorINSA_10device_ptrIjEEEEPS6_NSA_18transform_iteratorI7is_evenIjESF_NSA_11use_defaultESK_EENS0_5tupleIJSF_NSA_16discard_iteratorISK_EEEEENSM_IJSG_SG_EEES6_PlJS6_EEE10hipError_tPvRmT3_T4_T5_T6_T7_T9_mT8_P12ihipStream_tbDpT10_ENKUlT_T0_E_clISt17integral_constantIbLb0EES1B_EEDaS16_S17_EUlS16_E_NS1_11comp_targetILNS1_3genE9ELNS1_11target_archE1100ELNS1_3gpuE3ELNS1_3repE0EEENS1_30default_config_static_selectorELNS0_4arch9wavefront6targetE1EEEvT1_,"axG",@progbits,_ZN7rocprim17ROCPRIM_400000_NS6detail17trampoline_kernelINS0_14default_configENS1_25partition_config_selectorILNS1_17partition_subalgoE1EjNS0_10empty_typeEbEEZZNS1_14partition_implILS5_1ELb0ES3_jN6thrust23THRUST_200600_302600_NS6detail15normal_iteratorINSA_10device_ptrIjEEEEPS6_NSA_18transform_iteratorI7is_evenIjESF_NSA_11use_defaultESK_EENS0_5tupleIJSF_NSA_16discard_iteratorISK_EEEEENSM_IJSG_SG_EEES6_PlJS6_EEE10hipError_tPvRmT3_T4_T5_T6_T7_T9_mT8_P12ihipStream_tbDpT10_ENKUlT_T0_E_clISt17integral_constantIbLb0EES1B_EEDaS16_S17_EUlS16_E_NS1_11comp_targetILNS1_3genE9ELNS1_11target_archE1100ELNS1_3gpuE3ELNS1_3repE0EEENS1_30default_config_static_selectorELNS0_4arch9wavefront6targetE1EEEvT1_,comdat
.Lfunc_end3009:
	.size	_ZN7rocprim17ROCPRIM_400000_NS6detail17trampoline_kernelINS0_14default_configENS1_25partition_config_selectorILNS1_17partition_subalgoE1EjNS0_10empty_typeEbEEZZNS1_14partition_implILS5_1ELb0ES3_jN6thrust23THRUST_200600_302600_NS6detail15normal_iteratorINSA_10device_ptrIjEEEEPS6_NSA_18transform_iteratorI7is_evenIjESF_NSA_11use_defaultESK_EENS0_5tupleIJSF_NSA_16discard_iteratorISK_EEEEENSM_IJSG_SG_EEES6_PlJS6_EEE10hipError_tPvRmT3_T4_T5_T6_T7_T9_mT8_P12ihipStream_tbDpT10_ENKUlT_T0_E_clISt17integral_constantIbLb0EES1B_EEDaS16_S17_EUlS16_E_NS1_11comp_targetILNS1_3genE9ELNS1_11target_archE1100ELNS1_3gpuE3ELNS1_3repE0EEENS1_30default_config_static_selectorELNS0_4arch9wavefront6targetE1EEEvT1_, .Lfunc_end3009-_ZN7rocprim17ROCPRIM_400000_NS6detail17trampoline_kernelINS0_14default_configENS1_25partition_config_selectorILNS1_17partition_subalgoE1EjNS0_10empty_typeEbEEZZNS1_14partition_implILS5_1ELb0ES3_jN6thrust23THRUST_200600_302600_NS6detail15normal_iteratorINSA_10device_ptrIjEEEEPS6_NSA_18transform_iteratorI7is_evenIjESF_NSA_11use_defaultESK_EENS0_5tupleIJSF_NSA_16discard_iteratorISK_EEEEENSM_IJSG_SG_EEES6_PlJS6_EEE10hipError_tPvRmT3_T4_T5_T6_T7_T9_mT8_P12ihipStream_tbDpT10_ENKUlT_T0_E_clISt17integral_constantIbLb0EES1B_EEDaS16_S17_EUlS16_E_NS1_11comp_targetILNS1_3genE9ELNS1_11target_archE1100ELNS1_3gpuE3ELNS1_3repE0EEENS1_30default_config_static_selectorELNS0_4arch9wavefront6targetE1EEEvT1_
                                        ; -- End function
	.section	.AMDGPU.csdata,"",@progbits
; Kernel info:
; codeLenInByte = 0
; NumSgprs: 4
; NumVgprs: 0
; NumAgprs: 0
; TotalNumVgprs: 0
; ScratchSize: 0
; MemoryBound: 0
; FloatMode: 240
; IeeeMode: 1
; LDSByteSize: 0 bytes/workgroup (compile time only)
; SGPRBlocks: 0
; VGPRBlocks: 0
; NumSGPRsForWavesPerEU: 4
; NumVGPRsForWavesPerEU: 1
; AccumOffset: 4
; Occupancy: 8
; WaveLimiterHint : 0
; COMPUTE_PGM_RSRC2:SCRATCH_EN: 0
; COMPUTE_PGM_RSRC2:USER_SGPR: 6
; COMPUTE_PGM_RSRC2:TRAP_HANDLER: 0
; COMPUTE_PGM_RSRC2:TGID_X_EN: 1
; COMPUTE_PGM_RSRC2:TGID_Y_EN: 0
; COMPUTE_PGM_RSRC2:TGID_Z_EN: 0
; COMPUTE_PGM_RSRC2:TIDIG_COMP_CNT: 0
; COMPUTE_PGM_RSRC3_GFX90A:ACCUM_OFFSET: 0
; COMPUTE_PGM_RSRC3_GFX90A:TG_SPLIT: 0
	.section	.text._ZN7rocprim17ROCPRIM_400000_NS6detail17trampoline_kernelINS0_14default_configENS1_25partition_config_selectorILNS1_17partition_subalgoE1EjNS0_10empty_typeEbEEZZNS1_14partition_implILS5_1ELb0ES3_jN6thrust23THRUST_200600_302600_NS6detail15normal_iteratorINSA_10device_ptrIjEEEEPS6_NSA_18transform_iteratorI7is_evenIjESF_NSA_11use_defaultESK_EENS0_5tupleIJSF_NSA_16discard_iteratorISK_EEEEENSM_IJSG_SG_EEES6_PlJS6_EEE10hipError_tPvRmT3_T4_T5_T6_T7_T9_mT8_P12ihipStream_tbDpT10_ENKUlT_T0_E_clISt17integral_constantIbLb0EES1B_EEDaS16_S17_EUlS16_E_NS1_11comp_targetILNS1_3genE8ELNS1_11target_archE1030ELNS1_3gpuE2ELNS1_3repE0EEENS1_30default_config_static_selectorELNS0_4arch9wavefront6targetE1EEEvT1_,"axG",@progbits,_ZN7rocprim17ROCPRIM_400000_NS6detail17trampoline_kernelINS0_14default_configENS1_25partition_config_selectorILNS1_17partition_subalgoE1EjNS0_10empty_typeEbEEZZNS1_14partition_implILS5_1ELb0ES3_jN6thrust23THRUST_200600_302600_NS6detail15normal_iteratorINSA_10device_ptrIjEEEEPS6_NSA_18transform_iteratorI7is_evenIjESF_NSA_11use_defaultESK_EENS0_5tupleIJSF_NSA_16discard_iteratorISK_EEEEENSM_IJSG_SG_EEES6_PlJS6_EEE10hipError_tPvRmT3_T4_T5_T6_T7_T9_mT8_P12ihipStream_tbDpT10_ENKUlT_T0_E_clISt17integral_constantIbLb0EES1B_EEDaS16_S17_EUlS16_E_NS1_11comp_targetILNS1_3genE8ELNS1_11target_archE1030ELNS1_3gpuE2ELNS1_3repE0EEENS1_30default_config_static_selectorELNS0_4arch9wavefront6targetE1EEEvT1_,comdat
	.protected	_ZN7rocprim17ROCPRIM_400000_NS6detail17trampoline_kernelINS0_14default_configENS1_25partition_config_selectorILNS1_17partition_subalgoE1EjNS0_10empty_typeEbEEZZNS1_14partition_implILS5_1ELb0ES3_jN6thrust23THRUST_200600_302600_NS6detail15normal_iteratorINSA_10device_ptrIjEEEEPS6_NSA_18transform_iteratorI7is_evenIjESF_NSA_11use_defaultESK_EENS0_5tupleIJSF_NSA_16discard_iteratorISK_EEEEENSM_IJSG_SG_EEES6_PlJS6_EEE10hipError_tPvRmT3_T4_T5_T6_T7_T9_mT8_P12ihipStream_tbDpT10_ENKUlT_T0_E_clISt17integral_constantIbLb0EES1B_EEDaS16_S17_EUlS16_E_NS1_11comp_targetILNS1_3genE8ELNS1_11target_archE1030ELNS1_3gpuE2ELNS1_3repE0EEENS1_30default_config_static_selectorELNS0_4arch9wavefront6targetE1EEEvT1_ ; -- Begin function _ZN7rocprim17ROCPRIM_400000_NS6detail17trampoline_kernelINS0_14default_configENS1_25partition_config_selectorILNS1_17partition_subalgoE1EjNS0_10empty_typeEbEEZZNS1_14partition_implILS5_1ELb0ES3_jN6thrust23THRUST_200600_302600_NS6detail15normal_iteratorINSA_10device_ptrIjEEEEPS6_NSA_18transform_iteratorI7is_evenIjESF_NSA_11use_defaultESK_EENS0_5tupleIJSF_NSA_16discard_iteratorISK_EEEEENSM_IJSG_SG_EEES6_PlJS6_EEE10hipError_tPvRmT3_T4_T5_T6_T7_T9_mT8_P12ihipStream_tbDpT10_ENKUlT_T0_E_clISt17integral_constantIbLb0EES1B_EEDaS16_S17_EUlS16_E_NS1_11comp_targetILNS1_3genE8ELNS1_11target_archE1030ELNS1_3gpuE2ELNS1_3repE0EEENS1_30default_config_static_selectorELNS0_4arch9wavefront6targetE1EEEvT1_
	.globl	_ZN7rocprim17ROCPRIM_400000_NS6detail17trampoline_kernelINS0_14default_configENS1_25partition_config_selectorILNS1_17partition_subalgoE1EjNS0_10empty_typeEbEEZZNS1_14partition_implILS5_1ELb0ES3_jN6thrust23THRUST_200600_302600_NS6detail15normal_iteratorINSA_10device_ptrIjEEEEPS6_NSA_18transform_iteratorI7is_evenIjESF_NSA_11use_defaultESK_EENS0_5tupleIJSF_NSA_16discard_iteratorISK_EEEEENSM_IJSG_SG_EEES6_PlJS6_EEE10hipError_tPvRmT3_T4_T5_T6_T7_T9_mT8_P12ihipStream_tbDpT10_ENKUlT_T0_E_clISt17integral_constantIbLb0EES1B_EEDaS16_S17_EUlS16_E_NS1_11comp_targetILNS1_3genE8ELNS1_11target_archE1030ELNS1_3gpuE2ELNS1_3repE0EEENS1_30default_config_static_selectorELNS0_4arch9wavefront6targetE1EEEvT1_
	.p2align	8
	.type	_ZN7rocprim17ROCPRIM_400000_NS6detail17trampoline_kernelINS0_14default_configENS1_25partition_config_selectorILNS1_17partition_subalgoE1EjNS0_10empty_typeEbEEZZNS1_14partition_implILS5_1ELb0ES3_jN6thrust23THRUST_200600_302600_NS6detail15normal_iteratorINSA_10device_ptrIjEEEEPS6_NSA_18transform_iteratorI7is_evenIjESF_NSA_11use_defaultESK_EENS0_5tupleIJSF_NSA_16discard_iteratorISK_EEEEENSM_IJSG_SG_EEES6_PlJS6_EEE10hipError_tPvRmT3_T4_T5_T6_T7_T9_mT8_P12ihipStream_tbDpT10_ENKUlT_T0_E_clISt17integral_constantIbLb0EES1B_EEDaS16_S17_EUlS16_E_NS1_11comp_targetILNS1_3genE8ELNS1_11target_archE1030ELNS1_3gpuE2ELNS1_3repE0EEENS1_30default_config_static_selectorELNS0_4arch9wavefront6targetE1EEEvT1_,@function
_ZN7rocprim17ROCPRIM_400000_NS6detail17trampoline_kernelINS0_14default_configENS1_25partition_config_selectorILNS1_17partition_subalgoE1EjNS0_10empty_typeEbEEZZNS1_14partition_implILS5_1ELb0ES3_jN6thrust23THRUST_200600_302600_NS6detail15normal_iteratorINSA_10device_ptrIjEEEEPS6_NSA_18transform_iteratorI7is_evenIjESF_NSA_11use_defaultESK_EENS0_5tupleIJSF_NSA_16discard_iteratorISK_EEEEENSM_IJSG_SG_EEES6_PlJS6_EEE10hipError_tPvRmT3_T4_T5_T6_T7_T9_mT8_P12ihipStream_tbDpT10_ENKUlT_T0_E_clISt17integral_constantIbLb0EES1B_EEDaS16_S17_EUlS16_E_NS1_11comp_targetILNS1_3genE8ELNS1_11target_archE1030ELNS1_3gpuE2ELNS1_3repE0EEENS1_30default_config_static_selectorELNS0_4arch9wavefront6targetE1EEEvT1_: ; @_ZN7rocprim17ROCPRIM_400000_NS6detail17trampoline_kernelINS0_14default_configENS1_25partition_config_selectorILNS1_17partition_subalgoE1EjNS0_10empty_typeEbEEZZNS1_14partition_implILS5_1ELb0ES3_jN6thrust23THRUST_200600_302600_NS6detail15normal_iteratorINSA_10device_ptrIjEEEEPS6_NSA_18transform_iteratorI7is_evenIjESF_NSA_11use_defaultESK_EENS0_5tupleIJSF_NSA_16discard_iteratorISK_EEEEENSM_IJSG_SG_EEES6_PlJS6_EEE10hipError_tPvRmT3_T4_T5_T6_T7_T9_mT8_P12ihipStream_tbDpT10_ENKUlT_T0_E_clISt17integral_constantIbLb0EES1B_EEDaS16_S17_EUlS16_E_NS1_11comp_targetILNS1_3genE8ELNS1_11target_archE1030ELNS1_3gpuE2ELNS1_3repE0EEENS1_30default_config_static_selectorELNS0_4arch9wavefront6targetE1EEEvT1_
; %bb.0:
	.section	.rodata,"a",@progbits
	.p2align	6, 0x0
	.amdhsa_kernel _ZN7rocprim17ROCPRIM_400000_NS6detail17trampoline_kernelINS0_14default_configENS1_25partition_config_selectorILNS1_17partition_subalgoE1EjNS0_10empty_typeEbEEZZNS1_14partition_implILS5_1ELb0ES3_jN6thrust23THRUST_200600_302600_NS6detail15normal_iteratorINSA_10device_ptrIjEEEEPS6_NSA_18transform_iteratorI7is_evenIjESF_NSA_11use_defaultESK_EENS0_5tupleIJSF_NSA_16discard_iteratorISK_EEEEENSM_IJSG_SG_EEES6_PlJS6_EEE10hipError_tPvRmT3_T4_T5_T6_T7_T9_mT8_P12ihipStream_tbDpT10_ENKUlT_T0_E_clISt17integral_constantIbLb0EES1B_EEDaS16_S17_EUlS16_E_NS1_11comp_targetILNS1_3genE8ELNS1_11target_archE1030ELNS1_3gpuE2ELNS1_3repE0EEENS1_30default_config_static_selectorELNS0_4arch9wavefront6targetE1EEEvT1_
		.amdhsa_group_segment_fixed_size 0
		.amdhsa_private_segment_fixed_size 0
		.amdhsa_kernarg_size 136
		.amdhsa_user_sgpr_count 6
		.amdhsa_user_sgpr_private_segment_buffer 1
		.amdhsa_user_sgpr_dispatch_ptr 0
		.amdhsa_user_sgpr_queue_ptr 0
		.amdhsa_user_sgpr_kernarg_segment_ptr 1
		.amdhsa_user_sgpr_dispatch_id 0
		.amdhsa_user_sgpr_flat_scratch_init 0
		.amdhsa_user_sgpr_kernarg_preload_length 0
		.amdhsa_user_sgpr_kernarg_preload_offset 0
		.amdhsa_user_sgpr_private_segment_size 0
		.amdhsa_uses_dynamic_stack 0
		.amdhsa_system_sgpr_private_segment_wavefront_offset 0
		.amdhsa_system_sgpr_workgroup_id_x 1
		.amdhsa_system_sgpr_workgroup_id_y 0
		.amdhsa_system_sgpr_workgroup_id_z 0
		.amdhsa_system_sgpr_workgroup_info 0
		.amdhsa_system_vgpr_workitem_id 0
		.amdhsa_next_free_vgpr 1
		.amdhsa_next_free_sgpr 0
		.amdhsa_accum_offset 4
		.amdhsa_reserve_vcc 0
		.amdhsa_reserve_flat_scratch 0
		.amdhsa_float_round_mode_32 0
		.amdhsa_float_round_mode_16_64 0
		.amdhsa_float_denorm_mode_32 3
		.amdhsa_float_denorm_mode_16_64 3
		.amdhsa_dx10_clamp 1
		.amdhsa_ieee_mode 1
		.amdhsa_fp16_overflow 0
		.amdhsa_tg_split 0
		.amdhsa_exception_fp_ieee_invalid_op 0
		.amdhsa_exception_fp_denorm_src 0
		.amdhsa_exception_fp_ieee_div_zero 0
		.amdhsa_exception_fp_ieee_overflow 0
		.amdhsa_exception_fp_ieee_underflow 0
		.amdhsa_exception_fp_ieee_inexact 0
		.amdhsa_exception_int_div_zero 0
	.end_amdhsa_kernel
	.section	.text._ZN7rocprim17ROCPRIM_400000_NS6detail17trampoline_kernelINS0_14default_configENS1_25partition_config_selectorILNS1_17partition_subalgoE1EjNS0_10empty_typeEbEEZZNS1_14partition_implILS5_1ELb0ES3_jN6thrust23THRUST_200600_302600_NS6detail15normal_iteratorINSA_10device_ptrIjEEEEPS6_NSA_18transform_iteratorI7is_evenIjESF_NSA_11use_defaultESK_EENS0_5tupleIJSF_NSA_16discard_iteratorISK_EEEEENSM_IJSG_SG_EEES6_PlJS6_EEE10hipError_tPvRmT3_T4_T5_T6_T7_T9_mT8_P12ihipStream_tbDpT10_ENKUlT_T0_E_clISt17integral_constantIbLb0EES1B_EEDaS16_S17_EUlS16_E_NS1_11comp_targetILNS1_3genE8ELNS1_11target_archE1030ELNS1_3gpuE2ELNS1_3repE0EEENS1_30default_config_static_selectorELNS0_4arch9wavefront6targetE1EEEvT1_,"axG",@progbits,_ZN7rocprim17ROCPRIM_400000_NS6detail17trampoline_kernelINS0_14default_configENS1_25partition_config_selectorILNS1_17partition_subalgoE1EjNS0_10empty_typeEbEEZZNS1_14partition_implILS5_1ELb0ES3_jN6thrust23THRUST_200600_302600_NS6detail15normal_iteratorINSA_10device_ptrIjEEEEPS6_NSA_18transform_iteratorI7is_evenIjESF_NSA_11use_defaultESK_EENS0_5tupleIJSF_NSA_16discard_iteratorISK_EEEEENSM_IJSG_SG_EEES6_PlJS6_EEE10hipError_tPvRmT3_T4_T5_T6_T7_T9_mT8_P12ihipStream_tbDpT10_ENKUlT_T0_E_clISt17integral_constantIbLb0EES1B_EEDaS16_S17_EUlS16_E_NS1_11comp_targetILNS1_3genE8ELNS1_11target_archE1030ELNS1_3gpuE2ELNS1_3repE0EEENS1_30default_config_static_selectorELNS0_4arch9wavefront6targetE1EEEvT1_,comdat
.Lfunc_end3010:
	.size	_ZN7rocprim17ROCPRIM_400000_NS6detail17trampoline_kernelINS0_14default_configENS1_25partition_config_selectorILNS1_17partition_subalgoE1EjNS0_10empty_typeEbEEZZNS1_14partition_implILS5_1ELb0ES3_jN6thrust23THRUST_200600_302600_NS6detail15normal_iteratorINSA_10device_ptrIjEEEEPS6_NSA_18transform_iteratorI7is_evenIjESF_NSA_11use_defaultESK_EENS0_5tupleIJSF_NSA_16discard_iteratorISK_EEEEENSM_IJSG_SG_EEES6_PlJS6_EEE10hipError_tPvRmT3_T4_T5_T6_T7_T9_mT8_P12ihipStream_tbDpT10_ENKUlT_T0_E_clISt17integral_constantIbLb0EES1B_EEDaS16_S17_EUlS16_E_NS1_11comp_targetILNS1_3genE8ELNS1_11target_archE1030ELNS1_3gpuE2ELNS1_3repE0EEENS1_30default_config_static_selectorELNS0_4arch9wavefront6targetE1EEEvT1_, .Lfunc_end3010-_ZN7rocprim17ROCPRIM_400000_NS6detail17trampoline_kernelINS0_14default_configENS1_25partition_config_selectorILNS1_17partition_subalgoE1EjNS0_10empty_typeEbEEZZNS1_14partition_implILS5_1ELb0ES3_jN6thrust23THRUST_200600_302600_NS6detail15normal_iteratorINSA_10device_ptrIjEEEEPS6_NSA_18transform_iteratorI7is_evenIjESF_NSA_11use_defaultESK_EENS0_5tupleIJSF_NSA_16discard_iteratorISK_EEEEENSM_IJSG_SG_EEES6_PlJS6_EEE10hipError_tPvRmT3_T4_T5_T6_T7_T9_mT8_P12ihipStream_tbDpT10_ENKUlT_T0_E_clISt17integral_constantIbLb0EES1B_EEDaS16_S17_EUlS16_E_NS1_11comp_targetILNS1_3genE8ELNS1_11target_archE1030ELNS1_3gpuE2ELNS1_3repE0EEENS1_30default_config_static_selectorELNS0_4arch9wavefront6targetE1EEEvT1_
                                        ; -- End function
	.section	.AMDGPU.csdata,"",@progbits
; Kernel info:
; codeLenInByte = 0
; NumSgprs: 4
; NumVgprs: 0
; NumAgprs: 0
; TotalNumVgprs: 0
; ScratchSize: 0
; MemoryBound: 0
; FloatMode: 240
; IeeeMode: 1
; LDSByteSize: 0 bytes/workgroup (compile time only)
; SGPRBlocks: 0
; VGPRBlocks: 0
; NumSGPRsForWavesPerEU: 4
; NumVGPRsForWavesPerEU: 1
; AccumOffset: 4
; Occupancy: 8
; WaveLimiterHint : 0
; COMPUTE_PGM_RSRC2:SCRATCH_EN: 0
; COMPUTE_PGM_RSRC2:USER_SGPR: 6
; COMPUTE_PGM_RSRC2:TRAP_HANDLER: 0
; COMPUTE_PGM_RSRC2:TGID_X_EN: 1
; COMPUTE_PGM_RSRC2:TGID_Y_EN: 0
; COMPUTE_PGM_RSRC2:TGID_Z_EN: 0
; COMPUTE_PGM_RSRC2:TIDIG_COMP_CNT: 0
; COMPUTE_PGM_RSRC3_GFX90A:ACCUM_OFFSET: 0
; COMPUTE_PGM_RSRC3_GFX90A:TG_SPLIT: 0
	.section	.text._ZN7rocprim17ROCPRIM_400000_NS6detail17trampoline_kernelINS0_14default_configENS1_25partition_config_selectorILNS1_17partition_subalgoE1EjNS0_10empty_typeEbEEZZNS1_14partition_implILS5_1ELb0ES3_jN6thrust23THRUST_200600_302600_NS6detail15normal_iteratorINSA_10device_ptrIjEEEEPS6_NSA_18transform_iteratorI7is_evenIjESF_NSA_11use_defaultESK_EENS0_5tupleIJSF_NSA_16discard_iteratorISK_EEEEENSM_IJSG_SG_EEES6_PlJS6_EEE10hipError_tPvRmT3_T4_T5_T6_T7_T9_mT8_P12ihipStream_tbDpT10_ENKUlT_T0_E_clISt17integral_constantIbLb1EES1B_EEDaS16_S17_EUlS16_E_NS1_11comp_targetILNS1_3genE0ELNS1_11target_archE4294967295ELNS1_3gpuE0ELNS1_3repE0EEENS1_30default_config_static_selectorELNS0_4arch9wavefront6targetE1EEEvT1_,"axG",@progbits,_ZN7rocprim17ROCPRIM_400000_NS6detail17trampoline_kernelINS0_14default_configENS1_25partition_config_selectorILNS1_17partition_subalgoE1EjNS0_10empty_typeEbEEZZNS1_14partition_implILS5_1ELb0ES3_jN6thrust23THRUST_200600_302600_NS6detail15normal_iteratorINSA_10device_ptrIjEEEEPS6_NSA_18transform_iteratorI7is_evenIjESF_NSA_11use_defaultESK_EENS0_5tupleIJSF_NSA_16discard_iteratorISK_EEEEENSM_IJSG_SG_EEES6_PlJS6_EEE10hipError_tPvRmT3_T4_T5_T6_T7_T9_mT8_P12ihipStream_tbDpT10_ENKUlT_T0_E_clISt17integral_constantIbLb1EES1B_EEDaS16_S17_EUlS16_E_NS1_11comp_targetILNS1_3genE0ELNS1_11target_archE4294967295ELNS1_3gpuE0ELNS1_3repE0EEENS1_30default_config_static_selectorELNS0_4arch9wavefront6targetE1EEEvT1_,comdat
	.protected	_ZN7rocprim17ROCPRIM_400000_NS6detail17trampoline_kernelINS0_14default_configENS1_25partition_config_selectorILNS1_17partition_subalgoE1EjNS0_10empty_typeEbEEZZNS1_14partition_implILS5_1ELb0ES3_jN6thrust23THRUST_200600_302600_NS6detail15normal_iteratorINSA_10device_ptrIjEEEEPS6_NSA_18transform_iteratorI7is_evenIjESF_NSA_11use_defaultESK_EENS0_5tupleIJSF_NSA_16discard_iteratorISK_EEEEENSM_IJSG_SG_EEES6_PlJS6_EEE10hipError_tPvRmT3_T4_T5_T6_T7_T9_mT8_P12ihipStream_tbDpT10_ENKUlT_T0_E_clISt17integral_constantIbLb1EES1B_EEDaS16_S17_EUlS16_E_NS1_11comp_targetILNS1_3genE0ELNS1_11target_archE4294967295ELNS1_3gpuE0ELNS1_3repE0EEENS1_30default_config_static_selectorELNS0_4arch9wavefront6targetE1EEEvT1_ ; -- Begin function _ZN7rocprim17ROCPRIM_400000_NS6detail17trampoline_kernelINS0_14default_configENS1_25partition_config_selectorILNS1_17partition_subalgoE1EjNS0_10empty_typeEbEEZZNS1_14partition_implILS5_1ELb0ES3_jN6thrust23THRUST_200600_302600_NS6detail15normal_iteratorINSA_10device_ptrIjEEEEPS6_NSA_18transform_iteratorI7is_evenIjESF_NSA_11use_defaultESK_EENS0_5tupleIJSF_NSA_16discard_iteratorISK_EEEEENSM_IJSG_SG_EEES6_PlJS6_EEE10hipError_tPvRmT3_T4_T5_T6_T7_T9_mT8_P12ihipStream_tbDpT10_ENKUlT_T0_E_clISt17integral_constantIbLb1EES1B_EEDaS16_S17_EUlS16_E_NS1_11comp_targetILNS1_3genE0ELNS1_11target_archE4294967295ELNS1_3gpuE0ELNS1_3repE0EEENS1_30default_config_static_selectorELNS0_4arch9wavefront6targetE1EEEvT1_
	.globl	_ZN7rocprim17ROCPRIM_400000_NS6detail17trampoline_kernelINS0_14default_configENS1_25partition_config_selectorILNS1_17partition_subalgoE1EjNS0_10empty_typeEbEEZZNS1_14partition_implILS5_1ELb0ES3_jN6thrust23THRUST_200600_302600_NS6detail15normal_iteratorINSA_10device_ptrIjEEEEPS6_NSA_18transform_iteratorI7is_evenIjESF_NSA_11use_defaultESK_EENS0_5tupleIJSF_NSA_16discard_iteratorISK_EEEEENSM_IJSG_SG_EEES6_PlJS6_EEE10hipError_tPvRmT3_T4_T5_T6_T7_T9_mT8_P12ihipStream_tbDpT10_ENKUlT_T0_E_clISt17integral_constantIbLb1EES1B_EEDaS16_S17_EUlS16_E_NS1_11comp_targetILNS1_3genE0ELNS1_11target_archE4294967295ELNS1_3gpuE0ELNS1_3repE0EEENS1_30default_config_static_selectorELNS0_4arch9wavefront6targetE1EEEvT1_
	.p2align	8
	.type	_ZN7rocprim17ROCPRIM_400000_NS6detail17trampoline_kernelINS0_14default_configENS1_25partition_config_selectorILNS1_17partition_subalgoE1EjNS0_10empty_typeEbEEZZNS1_14partition_implILS5_1ELb0ES3_jN6thrust23THRUST_200600_302600_NS6detail15normal_iteratorINSA_10device_ptrIjEEEEPS6_NSA_18transform_iteratorI7is_evenIjESF_NSA_11use_defaultESK_EENS0_5tupleIJSF_NSA_16discard_iteratorISK_EEEEENSM_IJSG_SG_EEES6_PlJS6_EEE10hipError_tPvRmT3_T4_T5_T6_T7_T9_mT8_P12ihipStream_tbDpT10_ENKUlT_T0_E_clISt17integral_constantIbLb1EES1B_EEDaS16_S17_EUlS16_E_NS1_11comp_targetILNS1_3genE0ELNS1_11target_archE4294967295ELNS1_3gpuE0ELNS1_3repE0EEENS1_30default_config_static_selectorELNS0_4arch9wavefront6targetE1EEEvT1_,@function
_ZN7rocprim17ROCPRIM_400000_NS6detail17trampoline_kernelINS0_14default_configENS1_25partition_config_selectorILNS1_17partition_subalgoE1EjNS0_10empty_typeEbEEZZNS1_14partition_implILS5_1ELb0ES3_jN6thrust23THRUST_200600_302600_NS6detail15normal_iteratorINSA_10device_ptrIjEEEEPS6_NSA_18transform_iteratorI7is_evenIjESF_NSA_11use_defaultESK_EENS0_5tupleIJSF_NSA_16discard_iteratorISK_EEEEENSM_IJSG_SG_EEES6_PlJS6_EEE10hipError_tPvRmT3_T4_T5_T6_T7_T9_mT8_P12ihipStream_tbDpT10_ENKUlT_T0_E_clISt17integral_constantIbLb1EES1B_EEDaS16_S17_EUlS16_E_NS1_11comp_targetILNS1_3genE0ELNS1_11target_archE4294967295ELNS1_3gpuE0ELNS1_3repE0EEENS1_30default_config_static_selectorELNS0_4arch9wavefront6targetE1EEEvT1_: ; @_ZN7rocprim17ROCPRIM_400000_NS6detail17trampoline_kernelINS0_14default_configENS1_25partition_config_selectorILNS1_17partition_subalgoE1EjNS0_10empty_typeEbEEZZNS1_14partition_implILS5_1ELb0ES3_jN6thrust23THRUST_200600_302600_NS6detail15normal_iteratorINSA_10device_ptrIjEEEEPS6_NSA_18transform_iteratorI7is_evenIjESF_NSA_11use_defaultESK_EENS0_5tupleIJSF_NSA_16discard_iteratorISK_EEEEENSM_IJSG_SG_EEES6_PlJS6_EEE10hipError_tPvRmT3_T4_T5_T6_T7_T9_mT8_P12ihipStream_tbDpT10_ENKUlT_T0_E_clISt17integral_constantIbLb1EES1B_EEDaS16_S17_EUlS16_E_NS1_11comp_targetILNS1_3genE0ELNS1_11target_archE4294967295ELNS1_3gpuE0ELNS1_3repE0EEENS1_30default_config_static_selectorELNS0_4arch9wavefront6targetE1EEEvT1_
; %bb.0:
	.section	.rodata,"a",@progbits
	.p2align	6, 0x0
	.amdhsa_kernel _ZN7rocprim17ROCPRIM_400000_NS6detail17trampoline_kernelINS0_14default_configENS1_25partition_config_selectorILNS1_17partition_subalgoE1EjNS0_10empty_typeEbEEZZNS1_14partition_implILS5_1ELb0ES3_jN6thrust23THRUST_200600_302600_NS6detail15normal_iteratorINSA_10device_ptrIjEEEEPS6_NSA_18transform_iteratorI7is_evenIjESF_NSA_11use_defaultESK_EENS0_5tupleIJSF_NSA_16discard_iteratorISK_EEEEENSM_IJSG_SG_EEES6_PlJS6_EEE10hipError_tPvRmT3_T4_T5_T6_T7_T9_mT8_P12ihipStream_tbDpT10_ENKUlT_T0_E_clISt17integral_constantIbLb1EES1B_EEDaS16_S17_EUlS16_E_NS1_11comp_targetILNS1_3genE0ELNS1_11target_archE4294967295ELNS1_3gpuE0ELNS1_3repE0EEENS1_30default_config_static_selectorELNS0_4arch9wavefront6targetE1EEEvT1_
		.amdhsa_group_segment_fixed_size 0
		.amdhsa_private_segment_fixed_size 0
		.amdhsa_kernarg_size 152
		.amdhsa_user_sgpr_count 6
		.amdhsa_user_sgpr_private_segment_buffer 1
		.amdhsa_user_sgpr_dispatch_ptr 0
		.amdhsa_user_sgpr_queue_ptr 0
		.amdhsa_user_sgpr_kernarg_segment_ptr 1
		.amdhsa_user_sgpr_dispatch_id 0
		.amdhsa_user_sgpr_flat_scratch_init 0
		.amdhsa_user_sgpr_kernarg_preload_length 0
		.amdhsa_user_sgpr_kernarg_preload_offset 0
		.amdhsa_user_sgpr_private_segment_size 0
		.amdhsa_uses_dynamic_stack 0
		.amdhsa_system_sgpr_private_segment_wavefront_offset 0
		.amdhsa_system_sgpr_workgroup_id_x 1
		.amdhsa_system_sgpr_workgroup_id_y 0
		.amdhsa_system_sgpr_workgroup_id_z 0
		.amdhsa_system_sgpr_workgroup_info 0
		.amdhsa_system_vgpr_workitem_id 0
		.amdhsa_next_free_vgpr 1
		.amdhsa_next_free_sgpr 0
		.amdhsa_accum_offset 4
		.amdhsa_reserve_vcc 0
		.amdhsa_reserve_flat_scratch 0
		.amdhsa_float_round_mode_32 0
		.amdhsa_float_round_mode_16_64 0
		.amdhsa_float_denorm_mode_32 3
		.amdhsa_float_denorm_mode_16_64 3
		.amdhsa_dx10_clamp 1
		.amdhsa_ieee_mode 1
		.amdhsa_fp16_overflow 0
		.amdhsa_tg_split 0
		.amdhsa_exception_fp_ieee_invalid_op 0
		.amdhsa_exception_fp_denorm_src 0
		.amdhsa_exception_fp_ieee_div_zero 0
		.amdhsa_exception_fp_ieee_overflow 0
		.amdhsa_exception_fp_ieee_underflow 0
		.amdhsa_exception_fp_ieee_inexact 0
		.amdhsa_exception_int_div_zero 0
	.end_amdhsa_kernel
	.section	.text._ZN7rocprim17ROCPRIM_400000_NS6detail17trampoline_kernelINS0_14default_configENS1_25partition_config_selectorILNS1_17partition_subalgoE1EjNS0_10empty_typeEbEEZZNS1_14partition_implILS5_1ELb0ES3_jN6thrust23THRUST_200600_302600_NS6detail15normal_iteratorINSA_10device_ptrIjEEEEPS6_NSA_18transform_iteratorI7is_evenIjESF_NSA_11use_defaultESK_EENS0_5tupleIJSF_NSA_16discard_iteratorISK_EEEEENSM_IJSG_SG_EEES6_PlJS6_EEE10hipError_tPvRmT3_T4_T5_T6_T7_T9_mT8_P12ihipStream_tbDpT10_ENKUlT_T0_E_clISt17integral_constantIbLb1EES1B_EEDaS16_S17_EUlS16_E_NS1_11comp_targetILNS1_3genE0ELNS1_11target_archE4294967295ELNS1_3gpuE0ELNS1_3repE0EEENS1_30default_config_static_selectorELNS0_4arch9wavefront6targetE1EEEvT1_,"axG",@progbits,_ZN7rocprim17ROCPRIM_400000_NS6detail17trampoline_kernelINS0_14default_configENS1_25partition_config_selectorILNS1_17partition_subalgoE1EjNS0_10empty_typeEbEEZZNS1_14partition_implILS5_1ELb0ES3_jN6thrust23THRUST_200600_302600_NS6detail15normal_iteratorINSA_10device_ptrIjEEEEPS6_NSA_18transform_iteratorI7is_evenIjESF_NSA_11use_defaultESK_EENS0_5tupleIJSF_NSA_16discard_iteratorISK_EEEEENSM_IJSG_SG_EEES6_PlJS6_EEE10hipError_tPvRmT3_T4_T5_T6_T7_T9_mT8_P12ihipStream_tbDpT10_ENKUlT_T0_E_clISt17integral_constantIbLb1EES1B_EEDaS16_S17_EUlS16_E_NS1_11comp_targetILNS1_3genE0ELNS1_11target_archE4294967295ELNS1_3gpuE0ELNS1_3repE0EEENS1_30default_config_static_selectorELNS0_4arch9wavefront6targetE1EEEvT1_,comdat
.Lfunc_end3011:
	.size	_ZN7rocprim17ROCPRIM_400000_NS6detail17trampoline_kernelINS0_14default_configENS1_25partition_config_selectorILNS1_17partition_subalgoE1EjNS0_10empty_typeEbEEZZNS1_14partition_implILS5_1ELb0ES3_jN6thrust23THRUST_200600_302600_NS6detail15normal_iteratorINSA_10device_ptrIjEEEEPS6_NSA_18transform_iteratorI7is_evenIjESF_NSA_11use_defaultESK_EENS0_5tupleIJSF_NSA_16discard_iteratorISK_EEEEENSM_IJSG_SG_EEES6_PlJS6_EEE10hipError_tPvRmT3_T4_T5_T6_T7_T9_mT8_P12ihipStream_tbDpT10_ENKUlT_T0_E_clISt17integral_constantIbLb1EES1B_EEDaS16_S17_EUlS16_E_NS1_11comp_targetILNS1_3genE0ELNS1_11target_archE4294967295ELNS1_3gpuE0ELNS1_3repE0EEENS1_30default_config_static_selectorELNS0_4arch9wavefront6targetE1EEEvT1_, .Lfunc_end3011-_ZN7rocprim17ROCPRIM_400000_NS6detail17trampoline_kernelINS0_14default_configENS1_25partition_config_selectorILNS1_17partition_subalgoE1EjNS0_10empty_typeEbEEZZNS1_14partition_implILS5_1ELb0ES3_jN6thrust23THRUST_200600_302600_NS6detail15normal_iteratorINSA_10device_ptrIjEEEEPS6_NSA_18transform_iteratorI7is_evenIjESF_NSA_11use_defaultESK_EENS0_5tupleIJSF_NSA_16discard_iteratorISK_EEEEENSM_IJSG_SG_EEES6_PlJS6_EEE10hipError_tPvRmT3_T4_T5_T6_T7_T9_mT8_P12ihipStream_tbDpT10_ENKUlT_T0_E_clISt17integral_constantIbLb1EES1B_EEDaS16_S17_EUlS16_E_NS1_11comp_targetILNS1_3genE0ELNS1_11target_archE4294967295ELNS1_3gpuE0ELNS1_3repE0EEENS1_30default_config_static_selectorELNS0_4arch9wavefront6targetE1EEEvT1_
                                        ; -- End function
	.section	.AMDGPU.csdata,"",@progbits
; Kernel info:
; codeLenInByte = 0
; NumSgprs: 4
; NumVgprs: 0
; NumAgprs: 0
; TotalNumVgprs: 0
; ScratchSize: 0
; MemoryBound: 0
; FloatMode: 240
; IeeeMode: 1
; LDSByteSize: 0 bytes/workgroup (compile time only)
; SGPRBlocks: 0
; VGPRBlocks: 0
; NumSGPRsForWavesPerEU: 4
; NumVGPRsForWavesPerEU: 1
; AccumOffset: 4
; Occupancy: 8
; WaveLimiterHint : 0
; COMPUTE_PGM_RSRC2:SCRATCH_EN: 0
; COMPUTE_PGM_RSRC2:USER_SGPR: 6
; COMPUTE_PGM_RSRC2:TRAP_HANDLER: 0
; COMPUTE_PGM_RSRC2:TGID_X_EN: 1
; COMPUTE_PGM_RSRC2:TGID_Y_EN: 0
; COMPUTE_PGM_RSRC2:TGID_Z_EN: 0
; COMPUTE_PGM_RSRC2:TIDIG_COMP_CNT: 0
; COMPUTE_PGM_RSRC3_GFX90A:ACCUM_OFFSET: 0
; COMPUTE_PGM_RSRC3_GFX90A:TG_SPLIT: 0
	.section	.text._ZN7rocprim17ROCPRIM_400000_NS6detail17trampoline_kernelINS0_14default_configENS1_25partition_config_selectorILNS1_17partition_subalgoE1EjNS0_10empty_typeEbEEZZNS1_14partition_implILS5_1ELb0ES3_jN6thrust23THRUST_200600_302600_NS6detail15normal_iteratorINSA_10device_ptrIjEEEEPS6_NSA_18transform_iteratorI7is_evenIjESF_NSA_11use_defaultESK_EENS0_5tupleIJSF_NSA_16discard_iteratorISK_EEEEENSM_IJSG_SG_EEES6_PlJS6_EEE10hipError_tPvRmT3_T4_T5_T6_T7_T9_mT8_P12ihipStream_tbDpT10_ENKUlT_T0_E_clISt17integral_constantIbLb1EES1B_EEDaS16_S17_EUlS16_E_NS1_11comp_targetILNS1_3genE5ELNS1_11target_archE942ELNS1_3gpuE9ELNS1_3repE0EEENS1_30default_config_static_selectorELNS0_4arch9wavefront6targetE1EEEvT1_,"axG",@progbits,_ZN7rocprim17ROCPRIM_400000_NS6detail17trampoline_kernelINS0_14default_configENS1_25partition_config_selectorILNS1_17partition_subalgoE1EjNS0_10empty_typeEbEEZZNS1_14partition_implILS5_1ELb0ES3_jN6thrust23THRUST_200600_302600_NS6detail15normal_iteratorINSA_10device_ptrIjEEEEPS6_NSA_18transform_iteratorI7is_evenIjESF_NSA_11use_defaultESK_EENS0_5tupleIJSF_NSA_16discard_iteratorISK_EEEEENSM_IJSG_SG_EEES6_PlJS6_EEE10hipError_tPvRmT3_T4_T5_T6_T7_T9_mT8_P12ihipStream_tbDpT10_ENKUlT_T0_E_clISt17integral_constantIbLb1EES1B_EEDaS16_S17_EUlS16_E_NS1_11comp_targetILNS1_3genE5ELNS1_11target_archE942ELNS1_3gpuE9ELNS1_3repE0EEENS1_30default_config_static_selectorELNS0_4arch9wavefront6targetE1EEEvT1_,comdat
	.protected	_ZN7rocprim17ROCPRIM_400000_NS6detail17trampoline_kernelINS0_14default_configENS1_25partition_config_selectorILNS1_17partition_subalgoE1EjNS0_10empty_typeEbEEZZNS1_14partition_implILS5_1ELb0ES3_jN6thrust23THRUST_200600_302600_NS6detail15normal_iteratorINSA_10device_ptrIjEEEEPS6_NSA_18transform_iteratorI7is_evenIjESF_NSA_11use_defaultESK_EENS0_5tupleIJSF_NSA_16discard_iteratorISK_EEEEENSM_IJSG_SG_EEES6_PlJS6_EEE10hipError_tPvRmT3_T4_T5_T6_T7_T9_mT8_P12ihipStream_tbDpT10_ENKUlT_T0_E_clISt17integral_constantIbLb1EES1B_EEDaS16_S17_EUlS16_E_NS1_11comp_targetILNS1_3genE5ELNS1_11target_archE942ELNS1_3gpuE9ELNS1_3repE0EEENS1_30default_config_static_selectorELNS0_4arch9wavefront6targetE1EEEvT1_ ; -- Begin function _ZN7rocprim17ROCPRIM_400000_NS6detail17trampoline_kernelINS0_14default_configENS1_25partition_config_selectorILNS1_17partition_subalgoE1EjNS0_10empty_typeEbEEZZNS1_14partition_implILS5_1ELb0ES3_jN6thrust23THRUST_200600_302600_NS6detail15normal_iteratorINSA_10device_ptrIjEEEEPS6_NSA_18transform_iteratorI7is_evenIjESF_NSA_11use_defaultESK_EENS0_5tupleIJSF_NSA_16discard_iteratorISK_EEEEENSM_IJSG_SG_EEES6_PlJS6_EEE10hipError_tPvRmT3_T4_T5_T6_T7_T9_mT8_P12ihipStream_tbDpT10_ENKUlT_T0_E_clISt17integral_constantIbLb1EES1B_EEDaS16_S17_EUlS16_E_NS1_11comp_targetILNS1_3genE5ELNS1_11target_archE942ELNS1_3gpuE9ELNS1_3repE0EEENS1_30default_config_static_selectorELNS0_4arch9wavefront6targetE1EEEvT1_
	.globl	_ZN7rocprim17ROCPRIM_400000_NS6detail17trampoline_kernelINS0_14default_configENS1_25partition_config_selectorILNS1_17partition_subalgoE1EjNS0_10empty_typeEbEEZZNS1_14partition_implILS5_1ELb0ES3_jN6thrust23THRUST_200600_302600_NS6detail15normal_iteratorINSA_10device_ptrIjEEEEPS6_NSA_18transform_iteratorI7is_evenIjESF_NSA_11use_defaultESK_EENS0_5tupleIJSF_NSA_16discard_iteratorISK_EEEEENSM_IJSG_SG_EEES6_PlJS6_EEE10hipError_tPvRmT3_T4_T5_T6_T7_T9_mT8_P12ihipStream_tbDpT10_ENKUlT_T0_E_clISt17integral_constantIbLb1EES1B_EEDaS16_S17_EUlS16_E_NS1_11comp_targetILNS1_3genE5ELNS1_11target_archE942ELNS1_3gpuE9ELNS1_3repE0EEENS1_30default_config_static_selectorELNS0_4arch9wavefront6targetE1EEEvT1_
	.p2align	8
	.type	_ZN7rocprim17ROCPRIM_400000_NS6detail17trampoline_kernelINS0_14default_configENS1_25partition_config_selectorILNS1_17partition_subalgoE1EjNS0_10empty_typeEbEEZZNS1_14partition_implILS5_1ELb0ES3_jN6thrust23THRUST_200600_302600_NS6detail15normal_iteratorINSA_10device_ptrIjEEEEPS6_NSA_18transform_iteratorI7is_evenIjESF_NSA_11use_defaultESK_EENS0_5tupleIJSF_NSA_16discard_iteratorISK_EEEEENSM_IJSG_SG_EEES6_PlJS6_EEE10hipError_tPvRmT3_T4_T5_T6_T7_T9_mT8_P12ihipStream_tbDpT10_ENKUlT_T0_E_clISt17integral_constantIbLb1EES1B_EEDaS16_S17_EUlS16_E_NS1_11comp_targetILNS1_3genE5ELNS1_11target_archE942ELNS1_3gpuE9ELNS1_3repE0EEENS1_30default_config_static_selectorELNS0_4arch9wavefront6targetE1EEEvT1_,@function
_ZN7rocprim17ROCPRIM_400000_NS6detail17trampoline_kernelINS0_14default_configENS1_25partition_config_selectorILNS1_17partition_subalgoE1EjNS0_10empty_typeEbEEZZNS1_14partition_implILS5_1ELb0ES3_jN6thrust23THRUST_200600_302600_NS6detail15normal_iteratorINSA_10device_ptrIjEEEEPS6_NSA_18transform_iteratorI7is_evenIjESF_NSA_11use_defaultESK_EENS0_5tupleIJSF_NSA_16discard_iteratorISK_EEEEENSM_IJSG_SG_EEES6_PlJS6_EEE10hipError_tPvRmT3_T4_T5_T6_T7_T9_mT8_P12ihipStream_tbDpT10_ENKUlT_T0_E_clISt17integral_constantIbLb1EES1B_EEDaS16_S17_EUlS16_E_NS1_11comp_targetILNS1_3genE5ELNS1_11target_archE942ELNS1_3gpuE9ELNS1_3repE0EEENS1_30default_config_static_selectorELNS0_4arch9wavefront6targetE1EEEvT1_: ; @_ZN7rocprim17ROCPRIM_400000_NS6detail17trampoline_kernelINS0_14default_configENS1_25partition_config_selectorILNS1_17partition_subalgoE1EjNS0_10empty_typeEbEEZZNS1_14partition_implILS5_1ELb0ES3_jN6thrust23THRUST_200600_302600_NS6detail15normal_iteratorINSA_10device_ptrIjEEEEPS6_NSA_18transform_iteratorI7is_evenIjESF_NSA_11use_defaultESK_EENS0_5tupleIJSF_NSA_16discard_iteratorISK_EEEEENSM_IJSG_SG_EEES6_PlJS6_EEE10hipError_tPvRmT3_T4_T5_T6_T7_T9_mT8_P12ihipStream_tbDpT10_ENKUlT_T0_E_clISt17integral_constantIbLb1EES1B_EEDaS16_S17_EUlS16_E_NS1_11comp_targetILNS1_3genE5ELNS1_11target_archE942ELNS1_3gpuE9ELNS1_3repE0EEENS1_30default_config_static_selectorELNS0_4arch9wavefront6targetE1EEEvT1_
; %bb.0:
	.section	.rodata,"a",@progbits
	.p2align	6, 0x0
	.amdhsa_kernel _ZN7rocprim17ROCPRIM_400000_NS6detail17trampoline_kernelINS0_14default_configENS1_25partition_config_selectorILNS1_17partition_subalgoE1EjNS0_10empty_typeEbEEZZNS1_14partition_implILS5_1ELb0ES3_jN6thrust23THRUST_200600_302600_NS6detail15normal_iteratorINSA_10device_ptrIjEEEEPS6_NSA_18transform_iteratorI7is_evenIjESF_NSA_11use_defaultESK_EENS0_5tupleIJSF_NSA_16discard_iteratorISK_EEEEENSM_IJSG_SG_EEES6_PlJS6_EEE10hipError_tPvRmT3_T4_T5_T6_T7_T9_mT8_P12ihipStream_tbDpT10_ENKUlT_T0_E_clISt17integral_constantIbLb1EES1B_EEDaS16_S17_EUlS16_E_NS1_11comp_targetILNS1_3genE5ELNS1_11target_archE942ELNS1_3gpuE9ELNS1_3repE0EEENS1_30default_config_static_selectorELNS0_4arch9wavefront6targetE1EEEvT1_
		.amdhsa_group_segment_fixed_size 0
		.amdhsa_private_segment_fixed_size 0
		.amdhsa_kernarg_size 152
		.amdhsa_user_sgpr_count 6
		.amdhsa_user_sgpr_private_segment_buffer 1
		.amdhsa_user_sgpr_dispatch_ptr 0
		.amdhsa_user_sgpr_queue_ptr 0
		.amdhsa_user_sgpr_kernarg_segment_ptr 1
		.amdhsa_user_sgpr_dispatch_id 0
		.amdhsa_user_sgpr_flat_scratch_init 0
		.amdhsa_user_sgpr_kernarg_preload_length 0
		.amdhsa_user_sgpr_kernarg_preload_offset 0
		.amdhsa_user_sgpr_private_segment_size 0
		.amdhsa_uses_dynamic_stack 0
		.amdhsa_system_sgpr_private_segment_wavefront_offset 0
		.amdhsa_system_sgpr_workgroup_id_x 1
		.amdhsa_system_sgpr_workgroup_id_y 0
		.amdhsa_system_sgpr_workgroup_id_z 0
		.amdhsa_system_sgpr_workgroup_info 0
		.amdhsa_system_vgpr_workitem_id 0
		.amdhsa_next_free_vgpr 1
		.amdhsa_next_free_sgpr 0
		.amdhsa_accum_offset 4
		.amdhsa_reserve_vcc 0
		.amdhsa_reserve_flat_scratch 0
		.amdhsa_float_round_mode_32 0
		.amdhsa_float_round_mode_16_64 0
		.amdhsa_float_denorm_mode_32 3
		.amdhsa_float_denorm_mode_16_64 3
		.amdhsa_dx10_clamp 1
		.amdhsa_ieee_mode 1
		.amdhsa_fp16_overflow 0
		.amdhsa_tg_split 0
		.amdhsa_exception_fp_ieee_invalid_op 0
		.amdhsa_exception_fp_denorm_src 0
		.amdhsa_exception_fp_ieee_div_zero 0
		.amdhsa_exception_fp_ieee_overflow 0
		.amdhsa_exception_fp_ieee_underflow 0
		.amdhsa_exception_fp_ieee_inexact 0
		.amdhsa_exception_int_div_zero 0
	.end_amdhsa_kernel
	.section	.text._ZN7rocprim17ROCPRIM_400000_NS6detail17trampoline_kernelINS0_14default_configENS1_25partition_config_selectorILNS1_17partition_subalgoE1EjNS0_10empty_typeEbEEZZNS1_14partition_implILS5_1ELb0ES3_jN6thrust23THRUST_200600_302600_NS6detail15normal_iteratorINSA_10device_ptrIjEEEEPS6_NSA_18transform_iteratorI7is_evenIjESF_NSA_11use_defaultESK_EENS0_5tupleIJSF_NSA_16discard_iteratorISK_EEEEENSM_IJSG_SG_EEES6_PlJS6_EEE10hipError_tPvRmT3_T4_T5_T6_T7_T9_mT8_P12ihipStream_tbDpT10_ENKUlT_T0_E_clISt17integral_constantIbLb1EES1B_EEDaS16_S17_EUlS16_E_NS1_11comp_targetILNS1_3genE5ELNS1_11target_archE942ELNS1_3gpuE9ELNS1_3repE0EEENS1_30default_config_static_selectorELNS0_4arch9wavefront6targetE1EEEvT1_,"axG",@progbits,_ZN7rocprim17ROCPRIM_400000_NS6detail17trampoline_kernelINS0_14default_configENS1_25partition_config_selectorILNS1_17partition_subalgoE1EjNS0_10empty_typeEbEEZZNS1_14partition_implILS5_1ELb0ES3_jN6thrust23THRUST_200600_302600_NS6detail15normal_iteratorINSA_10device_ptrIjEEEEPS6_NSA_18transform_iteratorI7is_evenIjESF_NSA_11use_defaultESK_EENS0_5tupleIJSF_NSA_16discard_iteratorISK_EEEEENSM_IJSG_SG_EEES6_PlJS6_EEE10hipError_tPvRmT3_T4_T5_T6_T7_T9_mT8_P12ihipStream_tbDpT10_ENKUlT_T0_E_clISt17integral_constantIbLb1EES1B_EEDaS16_S17_EUlS16_E_NS1_11comp_targetILNS1_3genE5ELNS1_11target_archE942ELNS1_3gpuE9ELNS1_3repE0EEENS1_30default_config_static_selectorELNS0_4arch9wavefront6targetE1EEEvT1_,comdat
.Lfunc_end3012:
	.size	_ZN7rocprim17ROCPRIM_400000_NS6detail17trampoline_kernelINS0_14default_configENS1_25partition_config_selectorILNS1_17partition_subalgoE1EjNS0_10empty_typeEbEEZZNS1_14partition_implILS5_1ELb0ES3_jN6thrust23THRUST_200600_302600_NS6detail15normal_iteratorINSA_10device_ptrIjEEEEPS6_NSA_18transform_iteratorI7is_evenIjESF_NSA_11use_defaultESK_EENS0_5tupleIJSF_NSA_16discard_iteratorISK_EEEEENSM_IJSG_SG_EEES6_PlJS6_EEE10hipError_tPvRmT3_T4_T5_T6_T7_T9_mT8_P12ihipStream_tbDpT10_ENKUlT_T0_E_clISt17integral_constantIbLb1EES1B_EEDaS16_S17_EUlS16_E_NS1_11comp_targetILNS1_3genE5ELNS1_11target_archE942ELNS1_3gpuE9ELNS1_3repE0EEENS1_30default_config_static_selectorELNS0_4arch9wavefront6targetE1EEEvT1_, .Lfunc_end3012-_ZN7rocprim17ROCPRIM_400000_NS6detail17trampoline_kernelINS0_14default_configENS1_25partition_config_selectorILNS1_17partition_subalgoE1EjNS0_10empty_typeEbEEZZNS1_14partition_implILS5_1ELb0ES3_jN6thrust23THRUST_200600_302600_NS6detail15normal_iteratorINSA_10device_ptrIjEEEEPS6_NSA_18transform_iteratorI7is_evenIjESF_NSA_11use_defaultESK_EENS0_5tupleIJSF_NSA_16discard_iteratorISK_EEEEENSM_IJSG_SG_EEES6_PlJS6_EEE10hipError_tPvRmT3_T4_T5_T6_T7_T9_mT8_P12ihipStream_tbDpT10_ENKUlT_T0_E_clISt17integral_constantIbLb1EES1B_EEDaS16_S17_EUlS16_E_NS1_11comp_targetILNS1_3genE5ELNS1_11target_archE942ELNS1_3gpuE9ELNS1_3repE0EEENS1_30default_config_static_selectorELNS0_4arch9wavefront6targetE1EEEvT1_
                                        ; -- End function
	.section	.AMDGPU.csdata,"",@progbits
; Kernel info:
; codeLenInByte = 0
; NumSgprs: 4
; NumVgprs: 0
; NumAgprs: 0
; TotalNumVgprs: 0
; ScratchSize: 0
; MemoryBound: 0
; FloatMode: 240
; IeeeMode: 1
; LDSByteSize: 0 bytes/workgroup (compile time only)
; SGPRBlocks: 0
; VGPRBlocks: 0
; NumSGPRsForWavesPerEU: 4
; NumVGPRsForWavesPerEU: 1
; AccumOffset: 4
; Occupancy: 8
; WaveLimiterHint : 0
; COMPUTE_PGM_RSRC2:SCRATCH_EN: 0
; COMPUTE_PGM_RSRC2:USER_SGPR: 6
; COMPUTE_PGM_RSRC2:TRAP_HANDLER: 0
; COMPUTE_PGM_RSRC2:TGID_X_EN: 1
; COMPUTE_PGM_RSRC2:TGID_Y_EN: 0
; COMPUTE_PGM_RSRC2:TGID_Z_EN: 0
; COMPUTE_PGM_RSRC2:TIDIG_COMP_CNT: 0
; COMPUTE_PGM_RSRC3_GFX90A:ACCUM_OFFSET: 0
; COMPUTE_PGM_RSRC3_GFX90A:TG_SPLIT: 0
	.section	.text._ZN7rocprim17ROCPRIM_400000_NS6detail17trampoline_kernelINS0_14default_configENS1_25partition_config_selectorILNS1_17partition_subalgoE1EjNS0_10empty_typeEbEEZZNS1_14partition_implILS5_1ELb0ES3_jN6thrust23THRUST_200600_302600_NS6detail15normal_iteratorINSA_10device_ptrIjEEEEPS6_NSA_18transform_iteratorI7is_evenIjESF_NSA_11use_defaultESK_EENS0_5tupleIJSF_NSA_16discard_iteratorISK_EEEEENSM_IJSG_SG_EEES6_PlJS6_EEE10hipError_tPvRmT3_T4_T5_T6_T7_T9_mT8_P12ihipStream_tbDpT10_ENKUlT_T0_E_clISt17integral_constantIbLb1EES1B_EEDaS16_S17_EUlS16_E_NS1_11comp_targetILNS1_3genE4ELNS1_11target_archE910ELNS1_3gpuE8ELNS1_3repE0EEENS1_30default_config_static_selectorELNS0_4arch9wavefront6targetE1EEEvT1_,"axG",@progbits,_ZN7rocprim17ROCPRIM_400000_NS6detail17trampoline_kernelINS0_14default_configENS1_25partition_config_selectorILNS1_17partition_subalgoE1EjNS0_10empty_typeEbEEZZNS1_14partition_implILS5_1ELb0ES3_jN6thrust23THRUST_200600_302600_NS6detail15normal_iteratorINSA_10device_ptrIjEEEEPS6_NSA_18transform_iteratorI7is_evenIjESF_NSA_11use_defaultESK_EENS0_5tupleIJSF_NSA_16discard_iteratorISK_EEEEENSM_IJSG_SG_EEES6_PlJS6_EEE10hipError_tPvRmT3_T4_T5_T6_T7_T9_mT8_P12ihipStream_tbDpT10_ENKUlT_T0_E_clISt17integral_constantIbLb1EES1B_EEDaS16_S17_EUlS16_E_NS1_11comp_targetILNS1_3genE4ELNS1_11target_archE910ELNS1_3gpuE8ELNS1_3repE0EEENS1_30default_config_static_selectorELNS0_4arch9wavefront6targetE1EEEvT1_,comdat
	.protected	_ZN7rocprim17ROCPRIM_400000_NS6detail17trampoline_kernelINS0_14default_configENS1_25partition_config_selectorILNS1_17partition_subalgoE1EjNS0_10empty_typeEbEEZZNS1_14partition_implILS5_1ELb0ES3_jN6thrust23THRUST_200600_302600_NS6detail15normal_iteratorINSA_10device_ptrIjEEEEPS6_NSA_18transform_iteratorI7is_evenIjESF_NSA_11use_defaultESK_EENS0_5tupleIJSF_NSA_16discard_iteratorISK_EEEEENSM_IJSG_SG_EEES6_PlJS6_EEE10hipError_tPvRmT3_T4_T5_T6_T7_T9_mT8_P12ihipStream_tbDpT10_ENKUlT_T0_E_clISt17integral_constantIbLb1EES1B_EEDaS16_S17_EUlS16_E_NS1_11comp_targetILNS1_3genE4ELNS1_11target_archE910ELNS1_3gpuE8ELNS1_3repE0EEENS1_30default_config_static_selectorELNS0_4arch9wavefront6targetE1EEEvT1_ ; -- Begin function _ZN7rocprim17ROCPRIM_400000_NS6detail17trampoline_kernelINS0_14default_configENS1_25partition_config_selectorILNS1_17partition_subalgoE1EjNS0_10empty_typeEbEEZZNS1_14partition_implILS5_1ELb0ES3_jN6thrust23THRUST_200600_302600_NS6detail15normal_iteratorINSA_10device_ptrIjEEEEPS6_NSA_18transform_iteratorI7is_evenIjESF_NSA_11use_defaultESK_EENS0_5tupleIJSF_NSA_16discard_iteratorISK_EEEEENSM_IJSG_SG_EEES6_PlJS6_EEE10hipError_tPvRmT3_T4_T5_T6_T7_T9_mT8_P12ihipStream_tbDpT10_ENKUlT_T0_E_clISt17integral_constantIbLb1EES1B_EEDaS16_S17_EUlS16_E_NS1_11comp_targetILNS1_3genE4ELNS1_11target_archE910ELNS1_3gpuE8ELNS1_3repE0EEENS1_30default_config_static_selectorELNS0_4arch9wavefront6targetE1EEEvT1_
	.globl	_ZN7rocprim17ROCPRIM_400000_NS6detail17trampoline_kernelINS0_14default_configENS1_25partition_config_selectorILNS1_17partition_subalgoE1EjNS0_10empty_typeEbEEZZNS1_14partition_implILS5_1ELb0ES3_jN6thrust23THRUST_200600_302600_NS6detail15normal_iteratorINSA_10device_ptrIjEEEEPS6_NSA_18transform_iteratorI7is_evenIjESF_NSA_11use_defaultESK_EENS0_5tupleIJSF_NSA_16discard_iteratorISK_EEEEENSM_IJSG_SG_EEES6_PlJS6_EEE10hipError_tPvRmT3_T4_T5_T6_T7_T9_mT8_P12ihipStream_tbDpT10_ENKUlT_T0_E_clISt17integral_constantIbLb1EES1B_EEDaS16_S17_EUlS16_E_NS1_11comp_targetILNS1_3genE4ELNS1_11target_archE910ELNS1_3gpuE8ELNS1_3repE0EEENS1_30default_config_static_selectorELNS0_4arch9wavefront6targetE1EEEvT1_
	.p2align	8
	.type	_ZN7rocprim17ROCPRIM_400000_NS6detail17trampoline_kernelINS0_14default_configENS1_25partition_config_selectorILNS1_17partition_subalgoE1EjNS0_10empty_typeEbEEZZNS1_14partition_implILS5_1ELb0ES3_jN6thrust23THRUST_200600_302600_NS6detail15normal_iteratorINSA_10device_ptrIjEEEEPS6_NSA_18transform_iteratorI7is_evenIjESF_NSA_11use_defaultESK_EENS0_5tupleIJSF_NSA_16discard_iteratorISK_EEEEENSM_IJSG_SG_EEES6_PlJS6_EEE10hipError_tPvRmT3_T4_T5_T6_T7_T9_mT8_P12ihipStream_tbDpT10_ENKUlT_T0_E_clISt17integral_constantIbLb1EES1B_EEDaS16_S17_EUlS16_E_NS1_11comp_targetILNS1_3genE4ELNS1_11target_archE910ELNS1_3gpuE8ELNS1_3repE0EEENS1_30default_config_static_selectorELNS0_4arch9wavefront6targetE1EEEvT1_,@function
_ZN7rocprim17ROCPRIM_400000_NS6detail17trampoline_kernelINS0_14default_configENS1_25partition_config_selectorILNS1_17partition_subalgoE1EjNS0_10empty_typeEbEEZZNS1_14partition_implILS5_1ELb0ES3_jN6thrust23THRUST_200600_302600_NS6detail15normal_iteratorINSA_10device_ptrIjEEEEPS6_NSA_18transform_iteratorI7is_evenIjESF_NSA_11use_defaultESK_EENS0_5tupleIJSF_NSA_16discard_iteratorISK_EEEEENSM_IJSG_SG_EEES6_PlJS6_EEE10hipError_tPvRmT3_T4_T5_T6_T7_T9_mT8_P12ihipStream_tbDpT10_ENKUlT_T0_E_clISt17integral_constantIbLb1EES1B_EEDaS16_S17_EUlS16_E_NS1_11comp_targetILNS1_3genE4ELNS1_11target_archE910ELNS1_3gpuE8ELNS1_3repE0EEENS1_30default_config_static_selectorELNS0_4arch9wavefront6targetE1EEEvT1_: ; @_ZN7rocprim17ROCPRIM_400000_NS6detail17trampoline_kernelINS0_14default_configENS1_25partition_config_selectorILNS1_17partition_subalgoE1EjNS0_10empty_typeEbEEZZNS1_14partition_implILS5_1ELb0ES3_jN6thrust23THRUST_200600_302600_NS6detail15normal_iteratorINSA_10device_ptrIjEEEEPS6_NSA_18transform_iteratorI7is_evenIjESF_NSA_11use_defaultESK_EENS0_5tupleIJSF_NSA_16discard_iteratorISK_EEEEENSM_IJSG_SG_EEES6_PlJS6_EEE10hipError_tPvRmT3_T4_T5_T6_T7_T9_mT8_P12ihipStream_tbDpT10_ENKUlT_T0_E_clISt17integral_constantIbLb1EES1B_EEDaS16_S17_EUlS16_E_NS1_11comp_targetILNS1_3genE4ELNS1_11target_archE910ELNS1_3gpuE8ELNS1_3repE0EEENS1_30default_config_static_selectorELNS0_4arch9wavefront6targetE1EEEvT1_
; %bb.0:
	s_load_dwordx2 s[6:7], s[4:5], 0x20
	s_load_dwordx2 s[24:25], s[4:5], 0x30
	;; [unrolled: 1-line block ×3, first 2 shown]
	s_load_dwordx4 s[20:23], s[4:5], 0x58
	s_load_dwordx2 s[26:27], s[4:5], 0x78
	v_cmp_eq_u32_e64 s[0:1], 0, v0
	s_and_saveexec_b64 s[8:9], s[0:1]
	s_cbranch_execz .LBB3013_4
; %bb.1:
	s_mov_b64 s[12:13], exec
	v_mbcnt_lo_u32_b32 v1, s12, 0
	v_mbcnt_hi_u32_b32 v1, s13, v1
	v_cmp_eq_u32_e32 vcc, 0, v1
                                        ; implicit-def: $vgpr2
	s_and_saveexec_b64 s[10:11], vcc
	s_cbranch_execz .LBB3013_3
; %bb.2:
	s_load_dwordx2 s[14:15], s[4:5], 0x88
	s_bcnt1_i32_b64 s12, s[12:13]
	v_mov_b32_e32 v2, 0
	v_mov_b32_e32 v3, s12
	s_waitcnt lgkmcnt(0)
	global_atomic_add v2, v2, v3, s[14:15] glc
.LBB3013_3:
	s_or_b64 exec, exec, s[10:11]
	s_waitcnt vmcnt(0)
	v_readfirstlane_b32 s10, v2
	v_add_u32_e32 v1, s10, v1
	v_mov_b32_e32 v2, 0
	ds_write_b32 v2, v1
.LBB3013_4:
	s_or_b64 exec, exec, s[8:9]
	v_mov_b32_e32 v1, 0
	s_load_dwordx4 s[8:11], s[4:5], 0x8
	s_load_dword s12, s[4:5], 0x80
	s_waitcnt lgkmcnt(0)
	s_barrier
	ds_read_b32 v4, v1
	s_waitcnt lgkmcnt(0)
	s_barrier
	global_load_dwordx2 v[10:11], v1, s[22:23]
	s_lshl_b64 s[4:5], s[10:11], 2
	v_mov_b32_e32 v3, s3
	s_add_u32 s13, s8, s4
	s_mul_i32 s3, s12, 0x700
	s_addc_u32 s14, s9, s5
	s_add_i32 s9, s3, s10
	s_sub_i32 s33, s2, s9
	s_add_i32 s15, s12, -1
	s_addk_i32 s33, 0x700
	v_mov_b32_e32 v2, s2
	s_add_u32 s2, s10, s3
	v_readfirstlane_b32 s36, v4
	s_addc_u32 s3, s11, 0
	s_cmp_eq_u32 s36, s15
	s_cselect_b64 s[18:19], -1, 0
	s_cmp_lg_u32 s36, s15
	s_mul_i32 s8, s36, 0x700
	s_mov_b32 s9, 0
	v_cmp_lt_u64_e32 vcc, s[2:3], v[2:3]
	s_cselect_b64 s[2:3], -1, 0
	s_or_b64 s[22:23], vcc, s[2:3]
	s_lshl_b64 s[8:9], s[8:9], 2
	s_add_u32 s12, s13, s8
	s_addc_u32 s13, s14, s9
	s_mov_b64 s[2:3], -1
	s_and_b64 vcc, exec, s[22:23]
	v_lshlrev_b32_e32 v1, 2, v0
	s_cbranch_vccz .LBB3013_6
; %bb.5:
	v_mov_b32_e32 v3, s13
	v_add_co_u32_e32 v2, vcc, s12, v1
	v_addc_co_u32_e32 v3, vcc, 0, v3, vcc
	v_add_co_u32_e32 v4, vcc, 0x1000, v2
	v_addc_co_u32_e32 v5, vcc, 0, v3, vcc
	flat_load_dword v6, v[2:3]
	flat_load_dword v7, v[2:3] offset:1024
	flat_load_dword v8, v[2:3] offset:2048
	;; [unrolled: 1-line block ×3, first 2 shown]
	flat_load_dword v12, v[4:5]
	flat_load_dword v13, v[4:5] offset:1024
	flat_load_dword v14, v[4:5] offset:2048
	s_mov_b64 s[2:3], 0
	s_waitcnt vmcnt(0) lgkmcnt(0)
	ds_write2st64_b32 v1, v6, v7 offset1:4
	ds_write2st64_b32 v1, v8, v9 offset0:8 offset1:12
	ds_write2st64_b32 v1, v12, v13 offset0:16 offset1:20
	ds_write_b32 v1, v14 offset:6144
	s_waitcnt lgkmcnt(0)
	s_barrier
.LBB3013_6:
	s_andn2_b64 vcc, exec, s[2:3]
	v_cmp_gt_u32_e64 s[2:3], s33, v0
	s_cbranch_vccnz .LBB3013_22
; %bb.7:
                                        ; implicit-def: $vgpr2_vgpr3_vgpr4_vgpr5_vgpr6_vgpr7_vgpr8
	s_and_saveexec_b64 s[10:11], s[2:3]
	s_cbranch_execz .LBB3013_9
; %bb.8:
	v_mov_b32_e32 v3, s13
	v_add_co_u32_e32 v2, vcc, s12, v1
	v_addc_co_u32_e32 v3, vcc, 0, v3, vcc
	flat_load_dword v2, v[2:3]
.LBB3013_9:
	s_or_b64 exec, exec, s[10:11]
	v_or_b32_e32 v9, 0x100, v0
	v_cmp_gt_u32_e32 vcc, s33, v9
	s_and_saveexec_b64 s[2:3], vcc
	s_cbranch_execz .LBB3013_11
; %bb.10:
	v_mov_b32_e32 v3, s13
	v_add_co_u32_e32 v12, vcc, s12, v1
	v_addc_co_u32_e32 v13, vcc, 0, v3, vcc
	flat_load_dword v3, v[12:13] offset:1024
.LBB3013_11:
	s_or_b64 exec, exec, s[2:3]
	v_or_b32_e32 v9, 0x200, v0
	v_cmp_gt_u32_e32 vcc, s33, v9
	s_and_saveexec_b64 s[2:3], vcc
	s_cbranch_execz .LBB3013_13
; %bb.12:
	v_mov_b32_e32 v4, s13
	v_add_co_u32_e32 v12, vcc, s12, v1
	v_addc_co_u32_e32 v13, vcc, 0, v4, vcc
	flat_load_dword v4, v[12:13] offset:2048
.LBB3013_13:
	;; [unrolled: 11-line block ×3, first 2 shown]
	s_or_b64 exec, exec, s[2:3]
	v_or_b32_e32 v9, 0x400, v0
	v_cmp_gt_u32_e32 vcc, s33, v9
	s_and_saveexec_b64 s[2:3], vcc
	s_cbranch_execz .LBB3013_17
; %bb.16:
	v_lshlrev_b32_e32 v6, 2, v9
	v_mov_b32_e32 v9, s13
	v_add_co_u32_e32 v12, vcc, s12, v6
	v_addc_co_u32_e32 v13, vcc, 0, v9, vcc
	flat_load_dword v6, v[12:13]
.LBB3013_17:
	s_or_b64 exec, exec, s[2:3]
	v_or_b32_e32 v9, 0x500, v0
	v_cmp_gt_u32_e32 vcc, s33, v9
	s_and_saveexec_b64 s[2:3], vcc
	s_cbranch_execz .LBB3013_19
; %bb.18:
	v_lshlrev_b32_e32 v7, 2, v9
	v_mov_b32_e32 v9, s13
	v_add_co_u32_e32 v12, vcc, s12, v7
	v_addc_co_u32_e32 v13, vcc, 0, v9, vcc
	flat_load_dword v7, v[12:13]
.LBB3013_19:
	;; [unrolled: 12-line block ×3, first 2 shown]
	s_or_b64 exec, exec, s[2:3]
	s_waitcnt vmcnt(0) lgkmcnt(0)
	ds_write2st64_b32 v1, v2, v3 offset1:4
	ds_write2st64_b32 v1, v4, v5 offset0:8 offset1:12
	ds_write2st64_b32 v1, v6, v7 offset0:16 offset1:20
	ds_write_b32 v1, v8 offset:6144
	s_waitcnt lgkmcnt(0)
	s_barrier
.LBB3013_22:
	v_mul_u32_u24_e32 v21, 7, v0
	v_lshlrev_b32_e32 v8, 2, v21
	ds_read2_b32 v[6:7], v8 offset1:1
	ds_read2_b32 v[4:5], v8 offset0:2 offset1:3
	ds_read2_b32 v[2:3], v8 offset0:4 offset1:5
	ds_read_b32 v20, v8 offset:24
	s_add_u32 s2, s6, s4
	s_addc_u32 s3, s7, s5
	s_add_u32 s2, s2, s8
	s_addc_u32 s3, s3, s9
	s_mov_b64 s[4:5], -1
	s_and_b64 vcc, exec, s[22:23]
	s_waitcnt lgkmcnt(0)
	s_barrier
	s_cbranch_vccz .LBB3013_24
; %bb.23:
	v_mov_b32_e32 v9, s3
	v_add_co_u32_e32 v12, vcc, s2, v1
	v_addc_co_u32_e32 v9, vcc, 0, v9, vcc
	s_movk_i32 s4, 0x1000
	v_add_co_u32_e32 v12, vcc, s4, v12
	global_load_dword v14, v1, s[2:3]
	global_load_dword v15, v1, s[2:3] offset:1024
	global_load_dword v16, v1, s[2:3] offset:2048
	;; [unrolled: 1-line block ×3, first 2 shown]
	v_addc_co_u32_e32 v13, vcc, 0, v9, vcc
	global_load_dword v9, v[12:13], off
	global_load_dword v18, v[12:13], off offset:1024
	global_load_dword v19, v[12:13], off offset:2048
	s_mov_b64 s[4:5], 0
	s_waitcnt vmcnt(6)
	v_xor_b32_e32 v12, -1, v14
	s_waitcnt vmcnt(5)
	v_xor_b32_e32 v13, -1, v15
	s_waitcnt vmcnt(4)
	v_xor_b32_e32 v14, -1, v16
	s_waitcnt vmcnt(3)
	v_xor_b32_e32 v15, -1, v17
	v_and_b32_e32 v12, 1, v12
	v_and_b32_e32 v13, 1, v13
	s_waitcnt vmcnt(2)
	v_xor_b32_e32 v9, -1, v9
	v_and_b32_e32 v14, 1, v14
	v_and_b32_e32 v15, 1, v15
	ds_write_b8 v0, v12
	ds_write_b8 v0, v13 offset:256
	ds_write_b8 v0, v14 offset:512
	ds_write_b8 v0, v15 offset:768
	s_waitcnt vmcnt(1)
	v_xor_b32_e32 v12, -1, v18
	s_waitcnt vmcnt(0)
	v_xor_b32_e32 v13, -1, v19
	v_and_b32_e32 v9, 1, v9
	v_and_b32_e32 v12, 1, v12
	;; [unrolled: 1-line block ×3, first 2 shown]
	ds_write_b8 v0, v9 offset:1024
	ds_write_b8 v0, v12 offset:1280
	;; [unrolled: 1-line block ×3, first 2 shown]
	s_waitcnt lgkmcnt(0)
	s_barrier
.LBB3013_24:
	s_andn2_b64 vcc, exec, s[4:5]
	s_cbranch_vccnz .LBB3013_40
; %bb.25:
	v_cmp_gt_u32_e32 vcc, s33, v0
	v_mov_b32_e32 v9, 0
	v_mov_b32_e32 v12, 0
	s_and_saveexec_b64 s[4:5], vcc
	s_cbranch_execz .LBB3013_27
; %bb.26:
	global_load_dword v12, v1, s[2:3]
	s_waitcnt vmcnt(0)
	v_xor_b32_e32 v12, -1, v12
	v_and_b32_e32 v12, 1, v12
.LBB3013_27:
	s_or_b64 exec, exec, s[4:5]
	v_or_b32_e32 v13, 0x100, v0
	v_cmp_gt_u32_e32 vcc, s33, v13
	s_and_saveexec_b64 s[4:5], vcc
	s_cbranch_execz .LBB3013_29
; %bb.28:
	global_load_dword v9, v1, s[2:3] offset:1024
	s_waitcnt vmcnt(0)
	v_xor_b32_e32 v9, -1, v9
	v_and_b32_e32 v9, 1, v9
.LBB3013_29:
	s_or_b64 exec, exec, s[4:5]
	v_or_b32_e32 v13, 0x200, v0
	v_cmp_gt_u32_e32 vcc, s33, v13
	v_mov_b32_e32 v13, 0
	v_mov_b32_e32 v14, 0
	s_and_saveexec_b64 s[4:5], vcc
	s_cbranch_execz .LBB3013_31
; %bb.30:
	global_load_dword v14, v1, s[2:3] offset:2048
	s_waitcnt vmcnt(0)
	v_xor_b32_e32 v14, -1, v14
	v_and_b32_e32 v14, 1, v14
.LBB3013_31:
	s_or_b64 exec, exec, s[4:5]
	v_or_b32_e32 v15, 0x300, v0
	v_cmp_gt_u32_e32 vcc, s33, v15
	s_and_saveexec_b64 s[4:5], vcc
	s_cbranch_execz .LBB3013_33
; %bb.32:
	global_load_dword v13, v1, s[2:3] offset:3072
	s_waitcnt vmcnt(0)
	v_xor_b32_e32 v13, -1, v13
	v_and_b32_e32 v13, 1, v13
.LBB3013_33:
	s_or_b64 exec, exec, s[4:5]
	v_or_b32_e32 v17, 0x400, v0
	v_cmp_gt_u32_e32 vcc, s33, v17
	v_mov_b32_e32 v15, 0
	v_mov_b32_e32 v16, 0
	s_and_saveexec_b64 s[4:5], vcc
	s_cbranch_execz .LBB3013_35
; %bb.34:
	v_lshlrev_b32_e32 v16, 2, v17
	global_load_dword v16, v16, s[2:3]
	s_waitcnt vmcnt(0)
	v_xor_b32_e32 v16, -1, v16
	v_and_b32_e32 v16, 1, v16
.LBB3013_35:
	s_or_b64 exec, exec, s[4:5]
	v_or_b32_e32 v17, 0x500, v0
	v_cmp_gt_u32_e32 vcc, s33, v17
	s_and_saveexec_b64 s[4:5], vcc
	s_cbranch_execz .LBB3013_37
; %bb.36:
	v_lshlrev_b32_e32 v15, 2, v17
	global_load_dword v15, v15, s[2:3]
	s_waitcnt vmcnt(0)
	v_xor_b32_e32 v15, -1, v15
	v_and_b32_e32 v15, 1, v15
.LBB3013_37:
	s_or_b64 exec, exec, s[4:5]
	v_or_b32_e32 v18, 0x600, v0
	v_cmp_gt_u32_e32 vcc, s33, v18
	v_mov_b32_e32 v17, 0
	s_and_saveexec_b64 s[4:5], vcc
	s_cbranch_execz .LBB3013_39
; %bb.38:
	v_lshlrev_b32_e32 v17, 2, v18
	global_load_dword v17, v17, s[2:3]
	s_waitcnt vmcnt(0)
	v_xor_b32_e32 v17, -1, v17
	v_and_b32_e32 v17, 1, v17
.LBB3013_39:
	s_or_b64 exec, exec, s[4:5]
	ds_write_b8 v0, v12
	ds_write_b8 v0, v9 offset:256
	ds_write_b8 v0, v14 offset:512
	ds_write_b8 v0, v13 offset:768
	ds_write_b8 v0, v16 offset:1024
	ds_write_b8 v0, v15 offset:1280
	ds_write_b8 v0, v17 offset:1536
	s_waitcnt lgkmcnt(0)
	s_barrier
.LBB3013_40:
	s_movk_i32 s2, 0xffeb
	v_mad_i32_i24 v30, v0, s2, v8
	ds_read_u8 v8, v30
	ds_read_u8 v9, v30 offset:1
	ds_read_u8 v12, v30 offset:2
	;; [unrolled: 1-line block ×6, first 2 shown]
	s_waitcnt lgkmcnt(6)
	v_and_b32_e32 v28, 1, v8
	s_waitcnt lgkmcnt(5)
	v_and_b32_e32 v27, 1, v9
	;; [unrolled: 2-line block ×5, first 2 shown]
	v_add3_u32 v8, v27, v28, v26
	s_waitcnt lgkmcnt(1)
	v_and_b32_e32 v23, 1, v15
	s_waitcnt lgkmcnt(0)
	v_and_b32_e32 v22, 1, v16
	v_add3_u32 v8, v8, v25, v24
	v_add3_u32 v32, v8, v23, v22
	v_mbcnt_lo_u32_b32 v8, -1, 0
	v_mbcnt_hi_u32_b32 v29, -1, v8
	v_and_b32_e32 v8, 15, v29
	v_cmp_eq_u32_e64 s[14:15], 0, v8
	v_cmp_lt_u32_e64 s[12:13], 1, v8
	v_cmp_lt_u32_e64 s[10:11], 3, v8
	;; [unrolled: 1-line block ×3, first 2 shown]
	v_and_b32_e32 v8, 16, v29
	v_cmp_eq_u32_e64 s[6:7], 0, v8
	v_or_b32_e32 v8, 63, v0
	s_cmp_lg_u32 s36, 0
	v_cmp_lt_u32_e64 s[2:3], 31, v29
	v_lshrrev_b32_e32 v31, 6, v0
	v_cmp_eq_u32_e64 s[4:5], v8, v0
	s_barrier
	s_cbranch_scc0 .LBB3013_71
; %bb.41:
	v_mov_b32_dpp v8, v32 row_shr:1 row_mask:0xf bank_mask:0xf
	v_cndmask_b32_e64 v8, v8, 0, s[14:15]
	v_add_u32_e32 v8, v8, v32
	s_nop 1
	v_mov_b32_dpp v9, v8 row_shr:2 row_mask:0xf bank_mask:0xf
	v_cndmask_b32_e64 v9, 0, v9, s[12:13]
	v_add_u32_e32 v8, v8, v9
	s_nop 1
	;; [unrolled: 4-line block ×4, first 2 shown]
	v_mov_b32_dpp v9, v8 row_bcast:15 row_mask:0xf bank_mask:0xf
	v_cndmask_b32_e64 v9, v9, 0, s[6:7]
	v_add_u32_e32 v8, v8, v9
	s_nop 1
	v_mov_b32_dpp v9, v8 row_bcast:31 row_mask:0xf bank_mask:0xf
	v_cndmask_b32_e64 v9, 0, v9, s[2:3]
	v_add_u32_e32 v8, v8, v9
	s_and_saveexec_b64 s[16:17], s[4:5]
	s_cbranch_execz .LBB3013_43
; %bb.42:
	v_lshlrev_b32_e32 v9, 2, v31
	ds_write_b32 v9, v8
.LBB3013_43:
	s_or_b64 exec, exec, s[16:17]
	v_cmp_gt_u32_e32 vcc, 4, v0
	s_waitcnt lgkmcnt(0)
	s_barrier
	s_and_saveexec_b64 s[16:17], vcc
	s_cbranch_execz .LBB3013_45
; %bb.44:
	ds_read_b32 v9, v1
	v_and_b32_e32 v12, 3, v29
	v_cmp_ne_u32_e32 vcc, 0, v12
	s_waitcnt lgkmcnt(0)
	v_mov_b32_dpp v13, v9 row_shr:1 row_mask:0xf bank_mask:0xf
	v_cndmask_b32_e32 v13, 0, v13, vcc
	v_add_u32_e32 v9, v13, v9
	v_cmp_lt_u32_e32 vcc, 1, v12
	s_nop 0
	v_mov_b32_dpp v13, v9 row_shr:2 row_mask:0xf bank_mask:0xf
	v_cndmask_b32_e32 v12, 0, v13, vcc
	v_add_u32_e32 v9, v9, v12
	ds_write_b32 v1, v9
.LBB3013_45:
	s_or_b64 exec, exec, s[16:17]
	v_cmp_gt_u32_e32 vcc, 64, v0
	v_cmp_lt_u32_e64 s[16:17], 63, v0
	s_waitcnt lgkmcnt(0)
	s_barrier
	s_waitcnt lgkmcnt(0)
                                        ; implicit-def: $vgpr33
	s_and_saveexec_b64 s[28:29], s[16:17]
	s_cbranch_execz .LBB3013_47
; %bb.46:
	v_lshl_add_u32 v9, v31, 2, -4
	ds_read_b32 v33, v9
	s_waitcnt lgkmcnt(0)
	v_add_u32_e32 v8, v33, v8
.LBB3013_47:
	s_or_b64 exec, exec, s[28:29]
	v_add_u32_e32 v9, -1, v29
	v_and_b32_e32 v12, 64, v29
	v_cmp_lt_i32_e64 s[16:17], v9, v12
	v_cndmask_b32_e64 v9, v9, v29, s[16:17]
	v_lshlrev_b32_e32 v9, 2, v9
	ds_bpermute_b32 v34, v9, v8
	v_cmp_eq_u32_e64 s[16:17], 0, v29
	s_and_saveexec_b64 s[28:29], vcc
	s_cbranch_execz .LBB3013_70
; %bb.48:
	v_mov_b32_e32 v19, 0
	ds_read_b32 v8, v19 offset:12
	s_and_saveexec_b64 s[30:31], s[16:17]
	s_cbranch_execz .LBB3013_50
; %bb.49:
	s_add_i32 s34, s36, 64
	s_mov_b32 s35, 0
	s_lshl_b64 s[34:35], s[34:35], 3
	s_add_u32 s34, s26, s34
	v_mov_b32_e32 v9, 1
	s_addc_u32 s35, s27, s35
	s_waitcnt lgkmcnt(0)
	global_store_dwordx2 v19, v[8:9], s[34:35]
.LBB3013_50:
	s_or_b64 exec, exec, s[30:31]
	v_xad_u32 v12, v29, -1, s36
	v_add_u32_e32 v18, 64, v12
	v_lshlrev_b64 v[14:15], 3, v[18:19]
	v_mov_b32_e32 v9, s27
	v_add_co_u32_e32 v14, vcc, s26, v14
	v_addc_co_u32_e32 v15, vcc, v9, v15, vcc
	global_load_dwordx2 v[16:17], v[14:15], off glc
	s_waitcnt vmcnt(0)
	v_cmp_eq_u16_sdwa s[34:35], v17, v19 src0_sel:BYTE_0 src1_sel:DWORD
	s_and_saveexec_b64 s[30:31], s[34:35]
	s_cbranch_execz .LBB3013_56
; %bb.51:
	s_mov_b32 s37, 1
	s_mov_b64 s[34:35], 0
	v_mov_b32_e32 v9, 0
.LBB3013_52:                            ; =>This Loop Header: Depth=1
                                        ;     Child Loop BB3013_53 Depth 2
	s_max_u32 s38, s37, 1
.LBB3013_53:                            ;   Parent Loop BB3013_52 Depth=1
                                        ; =>  This Inner Loop Header: Depth=2
	s_add_i32 s38, s38, -1
	s_cmp_eq_u32 s38, 0
	s_sleep 1
	s_cbranch_scc0 .LBB3013_53
; %bb.54:                               ;   in Loop: Header=BB3013_52 Depth=1
	global_load_dwordx2 v[16:17], v[14:15], off glc
	s_cmp_lt_u32 s37, 32
	s_cselect_b64 s[38:39], -1, 0
	s_cmp_lg_u64 s[38:39], 0
	s_addc_u32 s37, s37, 0
	s_waitcnt vmcnt(0)
	v_cmp_ne_u16_sdwa s[38:39], v17, v9 src0_sel:BYTE_0 src1_sel:DWORD
	s_or_b64 s[34:35], s[38:39], s[34:35]
	s_andn2_b64 exec, exec, s[34:35]
	s_cbranch_execnz .LBB3013_52
; %bb.55:
	s_or_b64 exec, exec, s[34:35]
.LBB3013_56:
	s_or_b64 exec, exec, s[30:31]
	v_and_b32_e32 v36, 63, v29
	v_mov_b32_e32 v35, 2
	v_cmp_ne_u32_e32 vcc, 63, v36
	v_cmp_eq_u16_sdwa s[30:31], v17, v35 src0_sel:BYTE_0 src1_sel:DWORD
	v_lshlrev_b64 v[14:15], v29, -1
	v_addc_co_u32_e32 v18, vcc, 0, v29, vcc
	v_and_b32_e32 v9, s31, v15
	v_lshlrev_b32_e32 v37, 2, v18
	v_or_b32_e32 v9, 0x80000000, v9
	ds_bpermute_b32 v18, v37, v16
	v_and_b32_e32 v13, s30, v14
	v_ffbl_b32_e32 v9, v9
	v_add_u32_e32 v9, 32, v9
	v_ffbl_b32_e32 v13, v13
	v_min_u32_e32 v9, v13, v9
	v_cmp_lt_u32_e32 vcc, v36, v9
	s_waitcnt lgkmcnt(0)
	v_cndmask_b32_e32 v13, 0, v18, vcc
	v_cmp_gt_u32_e32 vcc, 62, v36
	v_add_u32_e32 v13, v13, v16
	v_cndmask_b32_e64 v16, 0, 1, vcc
	v_lshlrev_b32_e32 v16, 1, v16
	v_add_lshl_u32 v38, v16, v29, 2
	ds_bpermute_b32 v16, v38, v13
	v_add_u32_e32 v39, 2, v36
	v_cmp_le_u32_e32 vcc, v39, v9
	v_add_u32_e32 v41, 4, v36
	v_add_u32_e32 v43, 8, v36
	s_waitcnt lgkmcnt(0)
	v_cndmask_b32_e32 v16, 0, v16, vcc
	v_cmp_gt_u32_e32 vcc, 60, v36
	v_add_u32_e32 v13, v13, v16
	v_cndmask_b32_e64 v16, 0, 1, vcc
	v_lshlrev_b32_e32 v16, 2, v16
	v_add_lshl_u32 v40, v16, v29, 2
	ds_bpermute_b32 v16, v40, v13
	v_cmp_le_u32_e32 vcc, v41, v9
	v_add_u32_e32 v45, 16, v36
	v_add_u32_e32 v47, 32, v36
	s_waitcnt lgkmcnt(0)
	v_cndmask_b32_e32 v16, 0, v16, vcc
	v_cmp_gt_u32_e32 vcc, 56, v36
	v_add_u32_e32 v13, v13, v16
	v_cndmask_b32_e64 v16, 0, 1, vcc
	v_lshlrev_b32_e32 v16, 3, v16
	v_add_lshl_u32 v42, v16, v29, 2
	ds_bpermute_b32 v16, v42, v13
	v_cmp_le_u32_e32 vcc, v43, v9
	s_waitcnt lgkmcnt(0)
	v_cndmask_b32_e32 v16, 0, v16, vcc
	v_cmp_gt_u32_e32 vcc, 48, v36
	v_add_u32_e32 v13, v13, v16
	v_cndmask_b32_e64 v16, 0, 1, vcc
	v_lshlrev_b32_e32 v16, 4, v16
	v_add_lshl_u32 v44, v16, v29, 2
	ds_bpermute_b32 v16, v44, v13
	v_cmp_le_u32_e32 vcc, v45, v9
	;; [unrolled: 9-line block ×3, first 2 shown]
	s_waitcnt lgkmcnt(0)
	v_cndmask_b32_e32 v9, 0, v16, vcc
	v_add_u32_e32 v16, v13, v9
	v_mov_b32_e32 v13, 0
	s_branch .LBB3013_58
.LBB3013_57:                            ;   in Loop: Header=BB3013_58 Depth=1
	s_or_b64 exec, exec, s[30:31]
	v_cmp_eq_u16_sdwa s[30:31], v17, v35 src0_sel:BYTE_0 src1_sel:DWORD
	v_and_b32_e32 v18, s31, v15
	v_or_b32_e32 v18, 0x80000000, v18
	ds_bpermute_b32 v48, v37, v16
	v_and_b32_e32 v19, s30, v14
	v_ffbl_b32_e32 v18, v18
	v_add_u32_e32 v18, 32, v18
	v_ffbl_b32_e32 v19, v19
	v_min_u32_e32 v18, v19, v18
	v_cmp_lt_u32_e32 vcc, v36, v18
	s_waitcnt lgkmcnt(0)
	v_cndmask_b32_e32 v19, 0, v48, vcc
	v_add_u32_e32 v16, v19, v16
	ds_bpermute_b32 v19, v38, v16
	v_cmp_le_u32_e32 vcc, v39, v18
	v_subrev_u32_e32 v12, 64, v12
	s_waitcnt lgkmcnt(0)
	v_cndmask_b32_e32 v19, 0, v19, vcc
	v_add_u32_e32 v16, v16, v19
	ds_bpermute_b32 v19, v40, v16
	v_cmp_le_u32_e32 vcc, v41, v18
	s_waitcnt lgkmcnt(0)
	v_cndmask_b32_e32 v19, 0, v19, vcc
	v_add_u32_e32 v16, v16, v19
	ds_bpermute_b32 v19, v42, v16
	v_cmp_le_u32_e32 vcc, v43, v18
	;; [unrolled: 5-line block ×4, first 2 shown]
	s_waitcnt lgkmcnt(0)
	v_cndmask_b32_e32 v18, 0, v19, vcc
	v_add3_u32 v16, v18, v9, v16
.LBB3013_58:                            ; =>This Loop Header: Depth=1
                                        ;     Child Loop BB3013_61 Depth 2
                                        ;       Child Loop BB3013_62 Depth 3
	v_cmp_ne_u16_sdwa s[30:31], v17, v35 src0_sel:BYTE_0 src1_sel:DWORD
	v_cndmask_b32_e64 v9, 0, 1, s[30:31]
	;;#ASMSTART
	;;#ASMEND
	v_cmp_ne_u32_e32 vcc, 0, v9
	s_cmp_lg_u64 vcc, exec
	v_mov_b32_e32 v9, v16
	s_cbranch_scc1 .LBB3013_65
; %bb.59:                               ;   in Loop: Header=BB3013_58 Depth=1
	v_lshlrev_b64 v[16:17], 3, v[12:13]
	v_mov_b32_e32 v19, s27
	v_add_co_u32_e32 v18, vcc, s26, v16
	v_addc_co_u32_e32 v19, vcc, v19, v17, vcc
	global_load_dwordx2 v[16:17], v[18:19], off glc
	s_waitcnt vmcnt(0)
	v_cmp_eq_u16_sdwa s[34:35], v17, v13 src0_sel:BYTE_0 src1_sel:DWORD
	s_and_saveexec_b64 s[30:31], s[34:35]
	s_cbranch_execz .LBB3013_57
; %bb.60:                               ;   in Loop: Header=BB3013_58 Depth=1
	s_mov_b32 s37, 1
	s_mov_b64 s[34:35], 0
.LBB3013_61:                            ;   Parent Loop BB3013_58 Depth=1
                                        ; =>  This Loop Header: Depth=2
                                        ;       Child Loop BB3013_62 Depth 3
	s_max_u32 s38, s37, 1
.LBB3013_62:                            ;   Parent Loop BB3013_58 Depth=1
                                        ;     Parent Loop BB3013_61 Depth=2
                                        ; =>    This Inner Loop Header: Depth=3
	s_add_i32 s38, s38, -1
	s_cmp_eq_u32 s38, 0
	s_sleep 1
	s_cbranch_scc0 .LBB3013_62
; %bb.63:                               ;   in Loop: Header=BB3013_61 Depth=2
	global_load_dwordx2 v[16:17], v[18:19], off glc
	s_cmp_lt_u32 s37, 32
	s_cselect_b64 s[38:39], -1, 0
	s_cmp_lg_u64 s[38:39], 0
	s_addc_u32 s37, s37, 0
	s_waitcnt vmcnt(0)
	v_cmp_ne_u16_sdwa s[38:39], v17, v13 src0_sel:BYTE_0 src1_sel:DWORD
	s_or_b64 s[34:35], s[38:39], s[34:35]
	s_andn2_b64 exec, exec, s[34:35]
	s_cbranch_execnz .LBB3013_61
; %bb.64:                               ;   in Loop: Header=BB3013_58 Depth=1
	s_or_b64 exec, exec, s[34:35]
	s_branch .LBB3013_57
.LBB3013_65:                            ;   in Loop: Header=BB3013_58 Depth=1
                                        ; implicit-def: $vgpr16
                                        ; implicit-def: $vgpr17
	s_cbranch_execz .LBB3013_58
; %bb.66:
	s_and_saveexec_b64 s[30:31], s[16:17]
	s_cbranch_execz .LBB3013_68
; %bb.67:
	s_add_i32 s34, s36, 64
	s_mov_b32 s35, 0
	s_lshl_b64 s[34:35], s[34:35], 3
	s_add_u32 s34, s26, s34
	v_add_u32_e32 v12, v9, v8
	v_mov_b32_e32 v13, 2
	s_addc_u32 s35, s27, s35
	v_mov_b32_e32 v14, 0
	global_store_dwordx2 v14, v[12:13], s[34:35]
	ds_write_b64 v14, v[8:9] offset:7168
.LBB3013_68:
	s_or_b64 exec, exec, s[30:31]
	s_and_b64 exec, exec, s[0:1]
	s_cbranch_execz .LBB3013_70
; %bb.69:
	v_mov_b32_e32 v8, 0
	ds_write_b32 v8, v9 offset:12
.LBB3013_70:
	s_or_b64 exec, exec, s[28:29]
	v_mov_b32_e32 v8, 0
	s_waitcnt lgkmcnt(0)
	s_barrier
	ds_read_b32 v9, v8 offset:12
	v_cndmask_b32_e64 v12, v34, v33, s[16:17]
	v_cndmask_b32_e64 v12, v12, 0, s[0:1]
	s_waitcnt lgkmcnt(0)
	s_barrier
	v_add_u32_e32 v19, v9, v12
	v_add_u32_e32 v18, v19, v28
	ds_read_b64 v[8:9], v8 offset:7168
	v_add_u32_e32 v17, v18, v27
	v_add_u32_e32 v15, v17, v26
	;; [unrolled: 1-line block ×5, first 2 shown]
	s_waitcnt lgkmcnt(0)
	v_mov_b32_e32 v12, v9
	s_branch .LBB3013_81
.LBB3013_71:
                                        ; implicit-def: $vgpr12
                                        ; implicit-def: $vgpr8
                                        ; implicit-def: $vgpr13
                                        ; implicit-def: $vgpr14
                                        ; implicit-def: $vgpr16
                                        ; implicit-def: $vgpr15
                                        ; implicit-def: $vgpr17
                                        ; implicit-def: $vgpr18
                                        ; implicit-def: $vgpr19
	s_cbranch_execz .LBB3013_81
; %bb.72:
	s_nop 0
	v_mov_b32_dpp v8, v32 row_shr:1 row_mask:0xf bank_mask:0xf
	v_cndmask_b32_e64 v8, v8, 0, s[14:15]
	v_add_u32_e32 v8, v8, v32
	s_nop 1
	v_mov_b32_dpp v9, v8 row_shr:2 row_mask:0xf bank_mask:0xf
	v_cndmask_b32_e64 v9, 0, v9, s[12:13]
	v_add_u32_e32 v8, v8, v9
	;; [unrolled: 4-line block ×4, first 2 shown]
	s_nop 1
	v_mov_b32_dpp v9, v8 row_bcast:15 row_mask:0xf bank_mask:0xf
	v_cndmask_b32_e64 v9, v9, 0, s[6:7]
	v_add_u32_e32 v8, v8, v9
	s_nop 1
	v_mov_b32_dpp v9, v8 row_bcast:31 row_mask:0xf bank_mask:0xf
	v_cndmask_b32_e64 v9, 0, v9, s[2:3]
	v_add_u32_e32 v8, v8, v9
	s_and_saveexec_b64 s[2:3], s[4:5]
	s_cbranch_execz .LBB3013_74
; %bb.73:
	v_lshlrev_b32_e32 v9, 2, v31
	ds_write_b32 v9, v8
.LBB3013_74:
	s_or_b64 exec, exec, s[2:3]
	v_cmp_gt_u32_e32 vcc, 4, v0
	s_waitcnt lgkmcnt(0)
	s_barrier
	s_and_saveexec_b64 s[2:3], vcc
	s_cbranch_execz .LBB3013_76
; %bb.75:
	v_mad_i32_i24 v9, v0, -3, v30
	ds_read_b32 v12, v9
	v_and_b32_e32 v13, 3, v29
	v_cmp_ne_u32_e32 vcc, 0, v13
	s_waitcnt lgkmcnt(0)
	v_mov_b32_dpp v14, v12 row_shr:1 row_mask:0xf bank_mask:0xf
	v_cndmask_b32_e32 v14, 0, v14, vcc
	v_add_u32_e32 v12, v14, v12
	v_cmp_lt_u32_e32 vcc, 1, v13
	s_nop 0
	v_mov_b32_dpp v14, v12 row_shr:2 row_mask:0xf bank_mask:0xf
	v_cndmask_b32_e32 v13, 0, v14, vcc
	v_add_u32_e32 v12, v12, v13
	ds_write_b32 v9, v12
.LBB3013_76:
	s_or_b64 exec, exec, s[2:3]
	v_cmp_lt_u32_e32 vcc, 63, v0
	v_mov_b32_e32 v9, 0
	v_mov_b32_e32 v12, 0
	s_waitcnt lgkmcnt(0)
	s_barrier
	s_and_saveexec_b64 s[2:3], vcc
	s_cbranch_execz .LBB3013_78
; %bb.77:
	v_lshl_add_u32 v12, v31, 2, -4
	ds_read_b32 v12, v12
.LBB3013_78:
	s_or_b64 exec, exec, s[2:3]
	v_add_u32_e32 v13, -1, v29
	v_and_b32_e32 v14, 64, v29
	v_cmp_lt_i32_e32 vcc, v13, v14
	v_cndmask_b32_e32 v13, v13, v29, vcc
	s_waitcnt lgkmcnt(0)
	v_add_u32_e32 v8, v12, v8
	v_lshlrev_b32_e32 v13, 2, v13
	ds_bpermute_b32 v13, v13, v8
	ds_read_b32 v8, v9 offset:12
	s_and_saveexec_b64 s[2:3], s[0:1]
	s_cbranch_execz .LBB3013_80
; %bb.79:
	v_mov_b32_e32 v14, 0
	v_mov_b32_e32 v9, 2
	s_waitcnt lgkmcnt(0)
	global_store_dwordx2 v14, v[8:9], s[26:27] offset:512
.LBB3013_80:
	s_or_b64 exec, exec, s[2:3]
	v_cmp_eq_u32_e32 vcc, 0, v29
	s_waitcnt lgkmcnt(1)
	v_cndmask_b32_e32 v9, v13, v12, vcc
	v_cndmask_b32_e64 v19, v9, 0, s[0:1]
	v_add_u32_e32 v18, v19, v28
	v_add_u32_e32 v17, v18, v27
	;; [unrolled: 1-line block ×5, first 2 shown]
	v_mov_b32_e32 v12, 0
	v_add_u32_e32 v13, v14, v23
	s_waitcnt lgkmcnt(0)
	s_barrier
.LBB3013_81:
	v_add_u32_e32 v9, v8, v21
	v_sub_u32_e32 v19, v19, v12
	v_sub_u32_e32 v21, v9, v19
	v_cmp_eq_u32_e32 vcc, 1, v28
	v_cndmask_b32_e32 v19, v21, v19, vcc
	v_lshlrev_b32_e32 v19, 2, v19
	ds_write_b32 v19, v6
	v_sub_u32_e32 v6, v18, v12
	v_sub_u32_e32 v18, v9, v6
	v_add_u32_e32 v18, 1, v18
	v_cmp_eq_u32_e32 vcc, 1, v27
	v_cndmask_b32_e32 v6, v18, v6, vcc
	v_lshlrev_b32_e32 v6, 2, v6
	ds_write_b32 v6, v7
	v_sub_u32_e32 v6, v17, v12
	v_sub_u32_e32 v7, v9, v6
	v_add_u32_e32 v7, 2, v7
	;; [unrolled: 7-line block ×6, first 2 shown]
	v_cmp_eq_u32_e32 vcc, 1, v22
	v_cndmask_b32_e32 v2, v3, v2, vcc
	v_lshlrev_b32_e32 v2, 2, v2
	ds_write_b32 v2, v20
	s_waitcnt lgkmcnt(0)
	s_barrier
	ds_read2st64_b32 v[14:15], v1 offset1:4
	ds_read2st64_b32 v[6:7], v1 offset0:8 offset1:12
	ds_read2st64_b32 v[2:3], v1 offset0:16 offset1:20
	ds_read_b32 v9, v1 offset:6144
	v_or_b32_e32 v23, 0x100, v0
	v_or_b32_e32 v22, 0x200, v0
	;; [unrolled: 1-line block ×6, first 2 shown]
	s_andn2_b64 vcc, exec, s[22:23]
	s_waitcnt vmcnt(0)
	v_lshlrev_b64 v[16:17], 2, v[10:11]
	s_cbranch_vccnz .LBB3013_90
; %bb.82:
	v_mov_b32_e32 v13, 0
	v_mov_b32_e32 v4, s25
	v_add_co_u32_e32 v24, vcc, s24, v16
	v_addc_co_u32_e32 v25, vcc, v4, v17, vcc
	v_lshlrev_b64 v[4:5], 2, v[12:13]
	v_add_co_u32_e32 v4, vcc, v24, v4
	v_addc_co_u32_e32 v5, vcc, v25, v5, vcc
	v_cmp_gt_u32_e32 vcc, v8, v0
	s_and_saveexec_b64 s[2:3], vcc
	s_cbranch_execnz .LBB3013_104
; %bb.83:
	s_or_b64 exec, exec, s[2:3]
	v_cmp_lt_u32_e32 vcc, v23, v8
	s_and_saveexec_b64 s[2:3], vcc
	s_cbranch_execnz .LBB3013_105
.LBB3013_84:
	s_or_b64 exec, exec, s[2:3]
	v_cmp_lt_u32_e32 vcc, v22, v8
	s_and_saveexec_b64 s[2:3], vcc
	s_cbranch_execnz .LBB3013_106
.LBB3013_85:
	s_or_b64 exec, exec, s[2:3]
	v_cmp_lt_u32_e32 vcc, v21, v8
	s_and_saveexec_b64 s[2:3], vcc
	s_cbranch_execnz .LBB3013_107
.LBB3013_86:
	s_or_b64 exec, exec, s[2:3]
	v_cmp_lt_u32_e32 vcc, v20, v8
	s_and_saveexec_b64 s[2:3], vcc
	s_cbranch_execnz .LBB3013_108
.LBB3013_87:
	s_or_b64 exec, exec, s[2:3]
	v_cmp_lt_u32_e32 vcc, v19, v8
	s_and_saveexec_b64 s[2:3], vcc
	s_cbranch_execz .LBB3013_89
.LBB3013_88:
	v_lshlrev_b32_e32 v13, 2, v19
	v_readfirstlane_b32 s4, v4
	v_readfirstlane_b32 s5, v5
	s_waitcnt lgkmcnt(1)
	s_nop 3
	global_store_dword v13, v3, s[4:5]
.LBB3013_89:
	s_or_b64 exec, exec, s[2:3]
	v_cmp_lt_u32_e64 s[2:3], v18, v8
	s_branch .LBB3013_99
.LBB3013_90:
	s_mov_b64 s[2:3], 0
                                        ; implicit-def: $vgpr4_vgpr5
	s_cbranch_execz .LBB3013_99
; %bb.91:
	v_mov_b32_e32 v13, 0
	v_mov_b32_e32 v4, s25
	v_add_co_u32_e32 v16, vcc, s24, v16
	v_addc_co_u32_e32 v17, vcc, v4, v17, vcc
	v_lshlrev_b64 v[4:5], 2, v[12:13]
	v_add_co_u32_e32 v4, vcc, v16, v4
	v_min_u32_e32 v24, s33, v8
	v_addc_co_u32_e32 v5, vcc, v17, v5, vcc
	v_cmp_gt_u32_e32 vcc, v24, v0
	s_and_saveexec_b64 s[2:3], vcc
	s_cbranch_execnz .LBB3013_109
; %bb.92:
	s_or_b64 exec, exec, s[2:3]
	v_cmp_lt_u32_e32 vcc, v23, v24
	s_and_saveexec_b64 s[2:3], vcc
	s_cbranch_execnz .LBB3013_110
.LBB3013_93:
	s_or_b64 exec, exec, s[2:3]
	v_cmp_lt_u32_e32 vcc, v22, v24
	s_and_saveexec_b64 s[2:3], vcc
	s_cbranch_execnz .LBB3013_111
.LBB3013_94:
	s_or_b64 exec, exec, s[2:3]
	v_cmp_lt_u32_e32 vcc, v21, v24
	s_and_saveexec_b64 s[2:3], vcc
	s_cbranch_execnz .LBB3013_112
.LBB3013_95:
	s_or_b64 exec, exec, s[2:3]
	v_cmp_lt_u32_e32 vcc, v20, v24
	s_and_saveexec_b64 s[2:3], vcc
	s_cbranch_execnz .LBB3013_113
.LBB3013_96:
	s_or_b64 exec, exec, s[2:3]
	v_cmp_lt_u32_e32 vcc, v19, v24
	s_and_saveexec_b64 s[2:3], vcc
	s_cbranch_execz .LBB3013_98
.LBB3013_97:
	v_lshlrev_b32_e32 v0, 2, v19
	v_readfirstlane_b32 s4, v4
	v_readfirstlane_b32 s5, v5
	s_waitcnt lgkmcnt(1)
	s_nop 3
	global_store_dword v0, v3, s[4:5]
.LBB3013_98:
	s_or_b64 exec, exec, s[2:3]
	v_cmp_lt_u32_e64 s[2:3], v18, v24
.LBB3013_99:
	s_and_saveexec_b64 s[4:5], s[2:3]
	s_cbranch_execnz .LBB3013_102
; %bb.100:
	s_or_b64 exec, exec, s[4:5]
	s_and_b64 s[0:1], s[0:1], s[18:19]
	s_and_saveexec_b64 s[2:3], s[0:1]
	s_cbranch_execnz .LBB3013_103
.LBB3013_101:
	s_endpgm
.LBB3013_102:
	v_lshlrev_b32_e32 v0, 2, v18
	v_readfirstlane_b32 s2, v4
	v_readfirstlane_b32 s3, v5
	s_waitcnt lgkmcnt(0)
	s_nop 3
	global_store_dword v0, v9, s[2:3]
	s_or_b64 exec, exec, s[4:5]
	s_and_b64 s[0:1], s[0:1], s[18:19]
	s_and_saveexec_b64 s[2:3], s[0:1]
	s_cbranch_execz .LBB3013_101
.LBB3013_103:
	v_add_co_u32_e32 v0, vcc, v10, v8
	v_addc_co_u32_e32 v1, vcc, 0, v11, vcc
	v_add_co_u32_e32 v0, vcc, v0, v12
	s_waitcnt lgkmcnt(1)
	v_mov_b32_e32 v2, 0
	v_addc_co_u32_e32 v1, vcc, 0, v1, vcc
	global_store_dwordx2 v2, v[0:1], s[20:21]
	s_endpgm
.LBB3013_104:
	v_readfirstlane_b32 s4, v4
	v_readfirstlane_b32 s5, v5
	s_waitcnt lgkmcnt(3)
	s_nop 3
	global_store_dword v1, v14, s[4:5]
	s_or_b64 exec, exec, s[2:3]
	v_cmp_lt_u32_e32 vcc, v23, v8
	s_and_saveexec_b64 s[2:3], vcc
	s_cbranch_execz .LBB3013_84
.LBB3013_105:
	v_readfirstlane_b32 s4, v4
	v_readfirstlane_b32 s5, v5
	s_waitcnt lgkmcnt(3)
	s_nop 3
	global_store_dword v1, v15, s[4:5] offset:1024
	s_or_b64 exec, exec, s[2:3]
	v_cmp_lt_u32_e32 vcc, v22, v8
	s_and_saveexec_b64 s[2:3], vcc
	s_cbranch_execz .LBB3013_85
.LBB3013_106:
	v_readfirstlane_b32 s4, v4
	v_readfirstlane_b32 s5, v5
	s_waitcnt lgkmcnt(2)
	s_nop 3
	global_store_dword v1, v6, s[4:5] offset:2048
	s_or_b64 exec, exec, s[2:3]
	v_cmp_lt_u32_e32 vcc, v21, v8
	s_and_saveexec_b64 s[2:3], vcc
	s_cbranch_execz .LBB3013_86
.LBB3013_107:
	v_readfirstlane_b32 s4, v4
	v_readfirstlane_b32 s5, v5
	s_waitcnt lgkmcnt(2)
	s_nop 3
	global_store_dword v1, v7, s[4:5] offset:3072
	s_or_b64 exec, exec, s[2:3]
	v_cmp_lt_u32_e32 vcc, v20, v8
	s_and_saveexec_b64 s[2:3], vcc
	s_cbranch_execz .LBB3013_87
.LBB3013_108:
	v_lshlrev_b32_e32 v13, 2, v20
	v_readfirstlane_b32 s4, v4
	v_readfirstlane_b32 s5, v5
	s_waitcnt lgkmcnt(1)
	s_nop 3
	global_store_dword v13, v2, s[4:5]
	s_or_b64 exec, exec, s[2:3]
	v_cmp_lt_u32_e32 vcc, v19, v8
	s_and_saveexec_b64 s[2:3], vcc
	s_cbranch_execnz .LBB3013_88
	s_branch .LBB3013_89
.LBB3013_109:
	v_readfirstlane_b32 s4, v4
	v_readfirstlane_b32 s5, v5
	s_waitcnt lgkmcnt(3)
	s_nop 3
	global_store_dword v1, v14, s[4:5]
	s_or_b64 exec, exec, s[2:3]
	v_cmp_lt_u32_e32 vcc, v23, v24
	s_and_saveexec_b64 s[2:3], vcc
	s_cbranch_execz .LBB3013_93
.LBB3013_110:
	v_readfirstlane_b32 s4, v4
	v_readfirstlane_b32 s5, v5
	s_waitcnt lgkmcnt(3)
	s_nop 3
	global_store_dword v1, v15, s[4:5] offset:1024
	s_or_b64 exec, exec, s[2:3]
	v_cmp_lt_u32_e32 vcc, v22, v24
	s_and_saveexec_b64 s[2:3], vcc
	s_cbranch_execz .LBB3013_94
.LBB3013_111:
	v_readfirstlane_b32 s4, v4
	v_readfirstlane_b32 s5, v5
	s_waitcnt lgkmcnt(2)
	s_nop 3
	global_store_dword v1, v6, s[4:5] offset:2048
	s_or_b64 exec, exec, s[2:3]
	v_cmp_lt_u32_e32 vcc, v21, v24
	s_and_saveexec_b64 s[2:3], vcc
	s_cbranch_execz .LBB3013_95
.LBB3013_112:
	v_readfirstlane_b32 s4, v4
	v_readfirstlane_b32 s5, v5
	s_waitcnt lgkmcnt(2)
	s_nop 3
	global_store_dword v1, v7, s[4:5] offset:3072
	s_or_b64 exec, exec, s[2:3]
	v_cmp_lt_u32_e32 vcc, v20, v24
	s_and_saveexec_b64 s[2:3], vcc
	s_cbranch_execz .LBB3013_96
.LBB3013_113:
	v_lshlrev_b32_e32 v0, 2, v20
	v_readfirstlane_b32 s4, v4
	v_readfirstlane_b32 s5, v5
	s_waitcnt lgkmcnt(1)
	s_nop 3
	global_store_dword v0, v2, s[4:5]
	s_or_b64 exec, exec, s[2:3]
	v_cmp_lt_u32_e32 vcc, v19, v24
	s_and_saveexec_b64 s[2:3], vcc
	s_cbranch_execnz .LBB3013_97
	s_branch .LBB3013_98
	.section	.rodata,"a",@progbits
	.p2align	6, 0x0
	.amdhsa_kernel _ZN7rocprim17ROCPRIM_400000_NS6detail17trampoline_kernelINS0_14default_configENS1_25partition_config_selectorILNS1_17partition_subalgoE1EjNS0_10empty_typeEbEEZZNS1_14partition_implILS5_1ELb0ES3_jN6thrust23THRUST_200600_302600_NS6detail15normal_iteratorINSA_10device_ptrIjEEEEPS6_NSA_18transform_iteratorI7is_evenIjESF_NSA_11use_defaultESK_EENS0_5tupleIJSF_NSA_16discard_iteratorISK_EEEEENSM_IJSG_SG_EEES6_PlJS6_EEE10hipError_tPvRmT3_T4_T5_T6_T7_T9_mT8_P12ihipStream_tbDpT10_ENKUlT_T0_E_clISt17integral_constantIbLb1EES1B_EEDaS16_S17_EUlS16_E_NS1_11comp_targetILNS1_3genE4ELNS1_11target_archE910ELNS1_3gpuE8ELNS1_3repE0EEENS1_30default_config_static_selectorELNS0_4arch9wavefront6targetE1EEEvT1_
		.amdhsa_group_segment_fixed_size 7176
		.amdhsa_private_segment_fixed_size 0
		.amdhsa_kernarg_size 152
		.amdhsa_user_sgpr_count 6
		.amdhsa_user_sgpr_private_segment_buffer 1
		.amdhsa_user_sgpr_dispatch_ptr 0
		.amdhsa_user_sgpr_queue_ptr 0
		.amdhsa_user_sgpr_kernarg_segment_ptr 1
		.amdhsa_user_sgpr_dispatch_id 0
		.amdhsa_user_sgpr_flat_scratch_init 0
		.amdhsa_user_sgpr_kernarg_preload_length 0
		.amdhsa_user_sgpr_kernarg_preload_offset 0
		.amdhsa_user_sgpr_private_segment_size 0
		.amdhsa_uses_dynamic_stack 0
		.amdhsa_system_sgpr_private_segment_wavefront_offset 0
		.amdhsa_system_sgpr_workgroup_id_x 1
		.amdhsa_system_sgpr_workgroup_id_y 0
		.amdhsa_system_sgpr_workgroup_id_z 0
		.amdhsa_system_sgpr_workgroup_info 0
		.amdhsa_system_vgpr_workitem_id 0
		.amdhsa_next_free_vgpr 49
		.amdhsa_next_free_sgpr 40
		.amdhsa_accum_offset 52
		.amdhsa_reserve_vcc 1
		.amdhsa_reserve_flat_scratch 0
		.amdhsa_float_round_mode_32 0
		.amdhsa_float_round_mode_16_64 0
		.amdhsa_float_denorm_mode_32 3
		.amdhsa_float_denorm_mode_16_64 3
		.amdhsa_dx10_clamp 1
		.amdhsa_ieee_mode 1
		.amdhsa_fp16_overflow 0
		.amdhsa_tg_split 0
		.amdhsa_exception_fp_ieee_invalid_op 0
		.amdhsa_exception_fp_denorm_src 0
		.amdhsa_exception_fp_ieee_div_zero 0
		.amdhsa_exception_fp_ieee_overflow 0
		.amdhsa_exception_fp_ieee_underflow 0
		.amdhsa_exception_fp_ieee_inexact 0
		.amdhsa_exception_int_div_zero 0
	.end_amdhsa_kernel
	.section	.text._ZN7rocprim17ROCPRIM_400000_NS6detail17trampoline_kernelINS0_14default_configENS1_25partition_config_selectorILNS1_17partition_subalgoE1EjNS0_10empty_typeEbEEZZNS1_14partition_implILS5_1ELb0ES3_jN6thrust23THRUST_200600_302600_NS6detail15normal_iteratorINSA_10device_ptrIjEEEEPS6_NSA_18transform_iteratorI7is_evenIjESF_NSA_11use_defaultESK_EENS0_5tupleIJSF_NSA_16discard_iteratorISK_EEEEENSM_IJSG_SG_EEES6_PlJS6_EEE10hipError_tPvRmT3_T4_T5_T6_T7_T9_mT8_P12ihipStream_tbDpT10_ENKUlT_T0_E_clISt17integral_constantIbLb1EES1B_EEDaS16_S17_EUlS16_E_NS1_11comp_targetILNS1_3genE4ELNS1_11target_archE910ELNS1_3gpuE8ELNS1_3repE0EEENS1_30default_config_static_selectorELNS0_4arch9wavefront6targetE1EEEvT1_,"axG",@progbits,_ZN7rocprim17ROCPRIM_400000_NS6detail17trampoline_kernelINS0_14default_configENS1_25partition_config_selectorILNS1_17partition_subalgoE1EjNS0_10empty_typeEbEEZZNS1_14partition_implILS5_1ELb0ES3_jN6thrust23THRUST_200600_302600_NS6detail15normal_iteratorINSA_10device_ptrIjEEEEPS6_NSA_18transform_iteratorI7is_evenIjESF_NSA_11use_defaultESK_EENS0_5tupleIJSF_NSA_16discard_iteratorISK_EEEEENSM_IJSG_SG_EEES6_PlJS6_EEE10hipError_tPvRmT3_T4_T5_T6_T7_T9_mT8_P12ihipStream_tbDpT10_ENKUlT_T0_E_clISt17integral_constantIbLb1EES1B_EEDaS16_S17_EUlS16_E_NS1_11comp_targetILNS1_3genE4ELNS1_11target_archE910ELNS1_3gpuE8ELNS1_3repE0EEENS1_30default_config_static_selectorELNS0_4arch9wavefront6targetE1EEEvT1_,comdat
.Lfunc_end3013:
	.size	_ZN7rocprim17ROCPRIM_400000_NS6detail17trampoline_kernelINS0_14default_configENS1_25partition_config_selectorILNS1_17partition_subalgoE1EjNS0_10empty_typeEbEEZZNS1_14partition_implILS5_1ELb0ES3_jN6thrust23THRUST_200600_302600_NS6detail15normal_iteratorINSA_10device_ptrIjEEEEPS6_NSA_18transform_iteratorI7is_evenIjESF_NSA_11use_defaultESK_EENS0_5tupleIJSF_NSA_16discard_iteratorISK_EEEEENSM_IJSG_SG_EEES6_PlJS6_EEE10hipError_tPvRmT3_T4_T5_T6_T7_T9_mT8_P12ihipStream_tbDpT10_ENKUlT_T0_E_clISt17integral_constantIbLb1EES1B_EEDaS16_S17_EUlS16_E_NS1_11comp_targetILNS1_3genE4ELNS1_11target_archE910ELNS1_3gpuE8ELNS1_3repE0EEENS1_30default_config_static_selectorELNS0_4arch9wavefront6targetE1EEEvT1_, .Lfunc_end3013-_ZN7rocprim17ROCPRIM_400000_NS6detail17trampoline_kernelINS0_14default_configENS1_25partition_config_selectorILNS1_17partition_subalgoE1EjNS0_10empty_typeEbEEZZNS1_14partition_implILS5_1ELb0ES3_jN6thrust23THRUST_200600_302600_NS6detail15normal_iteratorINSA_10device_ptrIjEEEEPS6_NSA_18transform_iteratorI7is_evenIjESF_NSA_11use_defaultESK_EENS0_5tupleIJSF_NSA_16discard_iteratorISK_EEEEENSM_IJSG_SG_EEES6_PlJS6_EEE10hipError_tPvRmT3_T4_T5_T6_T7_T9_mT8_P12ihipStream_tbDpT10_ENKUlT_T0_E_clISt17integral_constantIbLb1EES1B_EEDaS16_S17_EUlS16_E_NS1_11comp_targetILNS1_3genE4ELNS1_11target_archE910ELNS1_3gpuE8ELNS1_3repE0EEENS1_30default_config_static_selectorELNS0_4arch9wavefront6targetE1EEEvT1_
                                        ; -- End function
	.section	.AMDGPU.csdata,"",@progbits
; Kernel info:
; codeLenInByte = 4916
; NumSgprs: 44
; NumVgprs: 49
; NumAgprs: 0
; TotalNumVgprs: 49
; ScratchSize: 0
; MemoryBound: 0
; FloatMode: 240
; IeeeMode: 1
; LDSByteSize: 7176 bytes/workgroup (compile time only)
; SGPRBlocks: 5
; VGPRBlocks: 6
; NumSGPRsForWavesPerEU: 44
; NumVGPRsForWavesPerEU: 49
; AccumOffset: 52
; Occupancy: 8
; WaveLimiterHint : 1
; COMPUTE_PGM_RSRC2:SCRATCH_EN: 0
; COMPUTE_PGM_RSRC2:USER_SGPR: 6
; COMPUTE_PGM_RSRC2:TRAP_HANDLER: 0
; COMPUTE_PGM_RSRC2:TGID_X_EN: 1
; COMPUTE_PGM_RSRC2:TGID_Y_EN: 0
; COMPUTE_PGM_RSRC2:TGID_Z_EN: 0
; COMPUTE_PGM_RSRC2:TIDIG_COMP_CNT: 0
; COMPUTE_PGM_RSRC3_GFX90A:ACCUM_OFFSET: 12
; COMPUTE_PGM_RSRC3_GFX90A:TG_SPLIT: 0
	.section	.text._ZN7rocprim17ROCPRIM_400000_NS6detail17trampoline_kernelINS0_14default_configENS1_25partition_config_selectorILNS1_17partition_subalgoE1EjNS0_10empty_typeEbEEZZNS1_14partition_implILS5_1ELb0ES3_jN6thrust23THRUST_200600_302600_NS6detail15normal_iteratorINSA_10device_ptrIjEEEEPS6_NSA_18transform_iteratorI7is_evenIjESF_NSA_11use_defaultESK_EENS0_5tupleIJSF_NSA_16discard_iteratorISK_EEEEENSM_IJSG_SG_EEES6_PlJS6_EEE10hipError_tPvRmT3_T4_T5_T6_T7_T9_mT8_P12ihipStream_tbDpT10_ENKUlT_T0_E_clISt17integral_constantIbLb1EES1B_EEDaS16_S17_EUlS16_E_NS1_11comp_targetILNS1_3genE3ELNS1_11target_archE908ELNS1_3gpuE7ELNS1_3repE0EEENS1_30default_config_static_selectorELNS0_4arch9wavefront6targetE1EEEvT1_,"axG",@progbits,_ZN7rocprim17ROCPRIM_400000_NS6detail17trampoline_kernelINS0_14default_configENS1_25partition_config_selectorILNS1_17partition_subalgoE1EjNS0_10empty_typeEbEEZZNS1_14partition_implILS5_1ELb0ES3_jN6thrust23THRUST_200600_302600_NS6detail15normal_iteratorINSA_10device_ptrIjEEEEPS6_NSA_18transform_iteratorI7is_evenIjESF_NSA_11use_defaultESK_EENS0_5tupleIJSF_NSA_16discard_iteratorISK_EEEEENSM_IJSG_SG_EEES6_PlJS6_EEE10hipError_tPvRmT3_T4_T5_T6_T7_T9_mT8_P12ihipStream_tbDpT10_ENKUlT_T0_E_clISt17integral_constantIbLb1EES1B_EEDaS16_S17_EUlS16_E_NS1_11comp_targetILNS1_3genE3ELNS1_11target_archE908ELNS1_3gpuE7ELNS1_3repE0EEENS1_30default_config_static_selectorELNS0_4arch9wavefront6targetE1EEEvT1_,comdat
	.protected	_ZN7rocprim17ROCPRIM_400000_NS6detail17trampoline_kernelINS0_14default_configENS1_25partition_config_selectorILNS1_17partition_subalgoE1EjNS0_10empty_typeEbEEZZNS1_14partition_implILS5_1ELb0ES3_jN6thrust23THRUST_200600_302600_NS6detail15normal_iteratorINSA_10device_ptrIjEEEEPS6_NSA_18transform_iteratorI7is_evenIjESF_NSA_11use_defaultESK_EENS0_5tupleIJSF_NSA_16discard_iteratorISK_EEEEENSM_IJSG_SG_EEES6_PlJS6_EEE10hipError_tPvRmT3_T4_T5_T6_T7_T9_mT8_P12ihipStream_tbDpT10_ENKUlT_T0_E_clISt17integral_constantIbLb1EES1B_EEDaS16_S17_EUlS16_E_NS1_11comp_targetILNS1_3genE3ELNS1_11target_archE908ELNS1_3gpuE7ELNS1_3repE0EEENS1_30default_config_static_selectorELNS0_4arch9wavefront6targetE1EEEvT1_ ; -- Begin function _ZN7rocprim17ROCPRIM_400000_NS6detail17trampoline_kernelINS0_14default_configENS1_25partition_config_selectorILNS1_17partition_subalgoE1EjNS0_10empty_typeEbEEZZNS1_14partition_implILS5_1ELb0ES3_jN6thrust23THRUST_200600_302600_NS6detail15normal_iteratorINSA_10device_ptrIjEEEEPS6_NSA_18transform_iteratorI7is_evenIjESF_NSA_11use_defaultESK_EENS0_5tupleIJSF_NSA_16discard_iteratorISK_EEEEENSM_IJSG_SG_EEES6_PlJS6_EEE10hipError_tPvRmT3_T4_T5_T6_T7_T9_mT8_P12ihipStream_tbDpT10_ENKUlT_T0_E_clISt17integral_constantIbLb1EES1B_EEDaS16_S17_EUlS16_E_NS1_11comp_targetILNS1_3genE3ELNS1_11target_archE908ELNS1_3gpuE7ELNS1_3repE0EEENS1_30default_config_static_selectorELNS0_4arch9wavefront6targetE1EEEvT1_
	.globl	_ZN7rocprim17ROCPRIM_400000_NS6detail17trampoline_kernelINS0_14default_configENS1_25partition_config_selectorILNS1_17partition_subalgoE1EjNS0_10empty_typeEbEEZZNS1_14partition_implILS5_1ELb0ES3_jN6thrust23THRUST_200600_302600_NS6detail15normal_iteratorINSA_10device_ptrIjEEEEPS6_NSA_18transform_iteratorI7is_evenIjESF_NSA_11use_defaultESK_EENS0_5tupleIJSF_NSA_16discard_iteratorISK_EEEEENSM_IJSG_SG_EEES6_PlJS6_EEE10hipError_tPvRmT3_T4_T5_T6_T7_T9_mT8_P12ihipStream_tbDpT10_ENKUlT_T0_E_clISt17integral_constantIbLb1EES1B_EEDaS16_S17_EUlS16_E_NS1_11comp_targetILNS1_3genE3ELNS1_11target_archE908ELNS1_3gpuE7ELNS1_3repE0EEENS1_30default_config_static_selectorELNS0_4arch9wavefront6targetE1EEEvT1_
	.p2align	8
	.type	_ZN7rocprim17ROCPRIM_400000_NS6detail17trampoline_kernelINS0_14default_configENS1_25partition_config_selectorILNS1_17partition_subalgoE1EjNS0_10empty_typeEbEEZZNS1_14partition_implILS5_1ELb0ES3_jN6thrust23THRUST_200600_302600_NS6detail15normal_iteratorINSA_10device_ptrIjEEEEPS6_NSA_18transform_iteratorI7is_evenIjESF_NSA_11use_defaultESK_EENS0_5tupleIJSF_NSA_16discard_iteratorISK_EEEEENSM_IJSG_SG_EEES6_PlJS6_EEE10hipError_tPvRmT3_T4_T5_T6_T7_T9_mT8_P12ihipStream_tbDpT10_ENKUlT_T0_E_clISt17integral_constantIbLb1EES1B_EEDaS16_S17_EUlS16_E_NS1_11comp_targetILNS1_3genE3ELNS1_11target_archE908ELNS1_3gpuE7ELNS1_3repE0EEENS1_30default_config_static_selectorELNS0_4arch9wavefront6targetE1EEEvT1_,@function
_ZN7rocprim17ROCPRIM_400000_NS6detail17trampoline_kernelINS0_14default_configENS1_25partition_config_selectorILNS1_17partition_subalgoE1EjNS0_10empty_typeEbEEZZNS1_14partition_implILS5_1ELb0ES3_jN6thrust23THRUST_200600_302600_NS6detail15normal_iteratorINSA_10device_ptrIjEEEEPS6_NSA_18transform_iteratorI7is_evenIjESF_NSA_11use_defaultESK_EENS0_5tupleIJSF_NSA_16discard_iteratorISK_EEEEENSM_IJSG_SG_EEES6_PlJS6_EEE10hipError_tPvRmT3_T4_T5_T6_T7_T9_mT8_P12ihipStream_tbDpT10_ENKUlT_T0_E_clISt17integral_constantIbLb1EES1B_EEDaS16_S17_EUlS16_E_NS1_11comp_targetILNS1_3genE3ELNS1_11target_archE908ELNS1_3gpuE7ELNS1_3repE0EEENS1_30default_config_static_selectorELNS0_4arch9wavefront6targetE1EEEvT1_: ; @_ZN7rocprim17ROCPRIM_400000_NS6detail17trampoline_kernelINS0_14default_configENS1_25partition_config_selectorILNS1_17partition_subalgoE1EjNS0_10empty_typeEbEEZZNS1_14partition_implILS5_1ELb0ES3_jN6thrust23THRUST_200600_302600_NS6detail15normal_iteratorINSA_10device_ptrIjEEEEPS6_NSA_18transform_iteratorI7is_evenIjESF_NSA_11use_defaultESK_EENS0_5tupleIJSF_NSA_16discard_iteratorISK_EEEEENSM_IJSG_SG_EEES6_PlJS6_EEE10hipError_tPvRmT3_T4_T5_T6_T7_T9_mT8_P12ihipStream_tbDpT10_ENKUlT_T0_E_clISt17integral_constantIbLb1EES1B_EEDaS16_S17_EUlS16_E_NS1_11comp_targetILNS1_3genE3ELNS1_11target_archE908ELNS1_3gpuE7ELNS1_3repE0EEENS1_30default_config_static_selectorELNS0_4arch9wavefront6targetE1EEEvT1_
; %bb.0:
	.section	.rodata,"a",@progbits
	.p2align	6, 0x0
	.amdhsa_kernel _ZN7rocprim17ROCPRIM_400000_NS6detail17trampoline_kernelINS0_14default_configENS1_25partition_config_selectorILNS1_17partition_subalgoE1EjNS0_10empty_typeEbEEZZNS1_14partition_implILS5_1ELb0ES3_jN6thrust23THRUST_200600_302600_NS6detail15normal_iteratorINSA_10device_ptrIjEEEEPS6_NSA_18transform_iteratorI7is_evenIjESF_NSA_11use_defaultESK_EENS0_5tupleIJSF_NSA_16discard_iteratorISK_EEEEENSM_IJSG_SG_EEES6_PlJS6_EEE10hipError_tPvRmT3_T4_T5_T6_T7_T9_mT8_P12ihipStream_tbDpT10_ENKUlT_T0_E_clISt17integral_constantIbLb1EES1B_EEDaS16_S17_EUlS16_E_NS1_11comp_targetILNS1_3genE3ELNS1_11target_archE908ELNS1_3gpuE7ELNS1_3repE0EEENS1_30default_config_static_selectorELNS0_4arch9wavefront6targetE1EEEvT1_
		.amdhsa_group_segment_fixed_size 0
		.amdhsa_private_segment_fixed_size 0
		.amdhsa_kernarg_size 152
		.amdhsa_user_sgpr_count 6
		.amdhsa_user_sgpr_private_segment_buffer 1
		.amdhsa_user_sgpr_dispatch_ptr 0
		.amdhsa_user_sgpr_queue_ptr 0
		.amdhsa_user_sgpr_kernarg_segment_ptr 1
		.amdhsa_user_sgpr_dispatch_id 0
		.amdhsa_user_sgpr_flat_scratch_init 0
		.amdhsa_user_sgpr_kernarg_preload_length 0
		.amdhsa_user_sgpr_kernarg_preload_offset 0
		.amdhsa_user_sgpr_private_segment_size 0
		.amdhsa_uses_dynamic_stack 0
		.amdhsa_system_sgpr_private_segment_wavefront_offset 0
		.amdhsa_system_sgpr_workgroup_id_x 1
		.amdhsa_system_sgpr_workgroup_id_y 0
		.amdhsa_system_sgpr_workgroup_id_z 0
		.amdhsa_system_sgpr_workgroup_info 0
		.amdhsa_system_vgpr_workitem_id 0
		.amdhsa_next_free_vgpr 1
		.amdhsa_next_free_sgpr 0
		.amdhsa_accum_offset 4
		.amdhsa_reserve_vcc 0
		.amdhsa_reserve_flat_scratch 0
		.amdhsa_float_round_mode_32 0
		.amdhsa_float_round_mode_16_64 0
		.amdhsa_float_denorm_mode_32 3
		.amdhsa_float_denorm_mode_16_64 3
		.amdhsa_dx10_clamp 1
		.amdhsa_ieee_mode 1
		.amdhsa_fp16_overflow 0
		.amdhsa_tg_split 0
		.amdhsa_exception_fp_ieee_invalid_op 0
		.amdhsa_exception_fp_denorm_src 0
		.amdhsa_exception_fp_ieee_div_zero 0
		.amdhsa_exception_fp_ieee_overflow 0
		.amdhsa_exception_fp_ieee_underflow 0
		.amdhsa_exception_fp_ieee_inexact 0
		.amdhsa_exception_int_div_zero 0
	.end_amdhsa_kernel
	.section	.text._ZN7rocprim17ROCPRIM_400000_NS6detail17trampoline_kernelINS0_14default_configENS1_25partition_config_selectorILNS1_17partition_subalgoE1EjNS0_10empty_typeEbEEZZNS1_14partition_implILS5_1ELb0ES3_jN6thrust23THRUST_200600_302600_NS6detail15normal_iteratorINSA_10device_ptrIjEEEEPS6_NSA_18transform_iteratorI7is_evenIjESF_NSA_11use_defaultESK_EENS0_5tupleIJSF_NSA_16discard_iteratorISK_EEEEENSM_IJSG_SG_EEES6_PlJS6_EEE10hipError_tPvRmT3_T4_T5_T6_T7_T9_mT8_P12ihipStream_tbDpT10_ENKUlT_T0_E_clISt17integral_constantIbLb1EES1B_EEDaS16_S17_EUlS16_E_NS1_11comp_targetILNS1_3genE3ELNS1_11target_archE908ELNS1_3gpuE7ELNS1_3repE0EEENS1_30default_config_static_selectorELNS0_4arch9wavefront6targetE1EEEvT1_,"axG",@progbits,_ZN7rocprim17ROCPRIM_400000_NS6detail17trampoline_kernelINS0_14default_configENS1_25partition_config_selectorILNS1_17partition_subalgoE1EjNS0_10empty_typeEbEEZZNS1_14partition_implILS5_1ELb0ES3_jN6thrust23THRUST_200600_302600_NS6detail15normal_iteratorINSA_10device_ptrIjEEEEPS6_NSA_18transform_iteratorI7is_evenIjESF_NSA_11use_defaultESK_EENS0_5tupleIJSF_NSA_16discard_iteratorISK_EEEEENSM_IJSG_SG_EEES6_PlJS6_EEE10hipError_tPvRmT3_T4_T5_T6_T7_T9_mT8_P12ihipStream_tbDpT10_ENKUlT_T0_E_clISt17integral_constantIbLb1EES1B_EEDaS16_S17_EUlS16_E_NS1_11comp_targetILNS1_3genE3ELNS1_11target_archE908ELNS1_3gpuE7ELNS1_3repE0EEENS1_30default_config_static_selectorELNS0_4arch9wavefront6targetE1EEEvT1_,comdat
.Lfunc_end3014:
	.size	_ZN7rocprim17ROCPRIM_400000_NS6detail17trampoline_kernelINS0_14default_configENS1_25partition_config_selectorILNS1_17partition_subalgoE1EjNS0_10empty_typeEbEEZZNS1_14partition_implILS5_1ELb0ES3_jN6thrust23THRUST_200600_302600_NS6detail15normal_iteratorINSA_10device_ptrIjEEEEPS6_NSA_18transform_iteratorI7is_evenIjESF_NSA_11use_defaultESK_EENS0_5tupleIJSF_NSA_16discard_iteratorISK_EEEEENSM_IJSG_SG_EEES6_PlJS6_EEE10hipError_tPvRmT3_T4_T5_T6_T7_T9_mT8_P12ihipStream_tbDpT10_ENKUlT_T0_E_clISt17integral_constantIbLb1EES1B_EEDaS16_S17_EUlS16_E_NS1_11comp_targetILNS1_3genE3ELNS1_11target_archE908ELNS1_3gpuE7ELNS1_3repE0EEENS1_30default_config_static_selectorELNS0_4arch9wavefront6targetE1EEEvT1_, .Lfunc_end3014-_ZN7rocprim17ROCPRIM_400000_NS6detail17trampoline_kernelINS0_14default_configENS1_25partition_config_selectorILNS1_17partition_subalgoE1EjNS0_10empty_typeEbEEZZNS1_14partition_implILS5_1ELb0ES3_jN6thrust23THRUST_200600_302600_NS6detail15normal_iteratorINSA_10device_ptrIjEEEEPS6_NSA_18transform_iteratorI7is_evenIjESF_NSA_11use_defaultESK_EENS0_5tupleIJSF_NSA_16discard_iteratorISK_EEEEENSM_IJSG_SG_EEES6_PlJS6_EEE10hipError_tPvRmT3_T4_T5_T6_T7_T9_mT8_P12ihipStream_tbDpT10_ENKUlT_T0_E_clISt17integral_constantIbLb1EES1B_EEDaS16_S17_EUlS16_E_NS1_11comp_targetILNS1_3genE3ELNS1_11target_archE908ELNS1_3gpuE7ELNS1_3repE0EEENS1_30default_config_static_selectorELNS0_4arch9wavefront6targetE1EEEvT1_
                                        ; -- End function
	.section	.AMDGPU.csdata,"",@progbits
; Kernel info:
; codeLenInByte = 0
; NumSgprs: 4
; NumVgprs: 0
; NumAgprs: 0
; TotalNumVgprs: 0
; ScratchSize: 0
; MemoryBound: 0
; FloatMode: 240
; IeeeMode: 1
; LDSByteSize: 0 bytes/workgroup (compile time only)
; SGPRBlocks: 0
; VGPRBlocks: 0
; NumSGPRsForWavesPerEU: 4
; NumVGPRsForWavesPerEU: 1
; AccumOffset: 4
; Occupancy: 8
; WaveLimiterHint : 0
; COMPUTE_PGM_RSRC2:SCRATCH_EN: 0
; COMPUTE_PGM_RSRC2:USER_SGPR: 6
; COMPUTE_PGM_RSRC2:TRAP_HANDLER: 0
; COMPUTE_PGM_RSRC2:TGID_X_EN: 1
; COMPUTE_PGM_RSRC2:TGID_Y_EN: 0
; COMPUTE_PGM_RSRC2:TGID_Z_EN: 0
; COMPUTE_PGM_RSRC2:TIDIG_COMP_CNT: 0
; COMPUTE_PGM_RSRC3_GFX90A:ACCUM_OFFSET: 0
; COMPUTE_PGM_RSRC3_GFX90A:TG_SPLIT: 0
	.section	.text._ZN7rocprim17ROCPRIM_400000_NS6detail17trampoline_kernelINS0_14default_configENS1_25partition_config_selectorILNS1_17partition_subalgoE1EjNS0_10empty_typeEbEEZZNS1_14partition_implILS5_1ELb0ES3_jN6thrust23THRUST_200600_302600_NS6detail15normal_iteratorINSA_10device_ptrIjEEEEPS6_NSA_18transform_iteratorI7is_evenIjESF_NSA_11use_defaultESK_EENS0_5tupleIJSF_NSA_16discard_iteratorISK_EEEEENSM_IJSG_SG_EEES6_PlJS6_EEE10hipError_tPvRmT3_T4_T5_T6_T7_T9_mT8_P12ihipStream_tbDpT10_ENKUlT_T0_E_clISt17integral_constantIbLb1EES1B_EEDaS16_S17_EUlS16_E_NS1_11comp_targetILNS1_3genE2ELNS1_11target_archE906ELNS1_3gpuE6ELNS1_3repE0EEENS1_30default_config_static_selectorELNS0_4arch9wavefront6targetE1EEEvT1_,"axG",@progbits,_ZN7rocprim17ROCPRIM_400000_NS6detail17trampoline_kernelINS0_14default_configENS1_25partition_config_selectorILNS1_17partition_subalgoE1EjNS0_10empty_typeEbEEZZNS1_14partition_implILS5_1ELb0ES3_jN6thrust23THRUST_200600_302600_NS6detail15normal_iteratorINSA_10device_ptrIjEEEEPS6_NSA_18transform_iteratorI7is_evenIjESF_NSA_11use_defaultESK_EENS0_5tupleIJSF_NSA_16discard_iteratorISK_EEEEENSM_IJSG_SG_EEES6_PlJS6_EEE10hipError_tPvRmT3_T4_T5_T6_T7_T9_mT8_P12ihipStream_tbDpT10_ENKUlT_T0_E_clISt17integral_constantIbLb1EES1B_EEDaS16_S17_EUlS16_E_NS1_11comp_targetILNS1_3genE2ELNS1_11target_archE906ELNS1_3gpuE6ELNS1_3repE0EEENS1_30default_config_static_selectorELNS0_4arch9wavefront6targetE1EEEvT1_,comdat
	.protected	_ZN7rocprim17ROCPRIM_400000_NS6detail17trampoline_kernelINS0_14default_configENS1_25partition_config_selectorILNS1_17partition_subalgoE1EjNS0_10empty_typeEbEEZZNS1_14partition_implILS5_1ELb0ES3_jN6thrust23THRUST_200600_302600_NS6detail15normal_iteratorINSA_10device_ptrIjEEEEPS6_NSA_18transform_iteratorI7is_evenIjESF_NSA_11use_defaultESK_EENS0_5tupleIJSF_NSA_16discard_iteratorISK_EEEEENSM_IJSG_SG_EEES6_PlJS6_EEE10hipError_tPvRmT3_T4_T5_T6_T7_T9_mT8_P12ihipStream_tbDpT10_ENKUlT_T0_E_clISt17integral_constantIbLb1EES1B_EEDaS16_S17_EUlS16_E_NS1_11comp_targetILNS1_3genE2ELNS1_11target_archE906ELNS1_3gpuE6ELNS1_3repE0EEENS1_30default_config_static_selectorELNS0_4arch9wavefront6targetE1EEEvT1_ ; -- Begin function _ZN7rocprim17ROCPRIM_400000_NS6detail17trampoline_kernelINS0_14default_configENS1_25partition_config_selectorILNS1_17partition_subalgoE1EjNS0_10empty_typeEbEEZZNS1_14partition_implILS5_1ELb0ES3_jN6thrust23THRUST_200600_302600_NS6detail15normal_iteratorINSA_10device_ptrIjEEEEPS6_NSA_18transform_iteratorI7is_evenIjESF_NSA_11use_defaultESK_EENS0_5tupleIJSF_NSA_16discard_iteratorISK_EEEEENSM_IJSG_SG_EEES6_PlJS6_EEE10hipError_tPvRmT3_T4_T5_T6_T7_T9_mT8_P12ihipStream_tbDpT10_ENKUlT_T0_E_clISt17integral_constantIbLb1EES1B_EEDaS16_S17_EUlS16_E_NS1_11comp_targetILNS1_3genE2ELNS1_11target_archE906ELNS1_3gpuE6ELNS1_3repE0EEENS1_30default_config_static_selectorELNS0_4arch9wavefront6targetE1EEEvT1_
	.globl	_ZN7rocprim17ROCPRIM_400000_NS6detail17trampoline_kernelINS0_14default_configENS1_25partition_config_selectorILNS1_17partition_subalgoE1EjNS0_10empty_typeEbEEZZNS1_14partition_implILS5_1ELb0ES3_jN6thrust23THRUST_200600_302600_NS6detail15normal_iteratorINSA_10device_ptrIjEEEEPS6_NSA_18transform_iteratorI7is_evenIjESF_NSA_11use_defaultESK_EENS0_5tupleIJSF_NSA_16discard_iteratorISK_EEEEENSM_IJSG_SG_EEES6_PlJS6_EEE10hipError_tPvRmT3_T4_T5_T6_T7_T9_mT8_P12ihipStream_tbDpT10_ENKUlT_T0_E_clISt17integral_constantIbLb1EES1B_EEDaS16_S17_EUlS16_E_NS1_11comp_targetILNS1_3genE2ELNS1_11target_archE906ELNS1_3gpuE6ELNS1_3repE0EEENS1_30default_config_static_selectorELNS0_4arch9wavefront6targetE1EEEvT1_
	.p2align	8
	.type	_ZN7rocprim17ROCPRIM_400000_NS6detail17trampoline_kernelINS0_14default_configENS1_25partition_config_selectorILNS1_17partition_subalgoE1EjNS0_10empty_typeEbEEZZNS1_14partition_implILS5_1ELb0ES3_jN6thrust23THRUST_200600_302600_NS6detail15normal_iteratorINSA_10device_ptrIjEEEEPS6_NSA_18transform_iteratorI7is_evenIjESF_NSA_11use_defaultESK_EENS0_5tupleIJSF_NSA_16discard_iteratorISK_EEEEENSM_IJSG_SG_EEES6_PlJS6_EEE10hipError_tPvRmT3_T4_T5_T6_T7_T9_mT8_P12ihipStream_tbDpT10_ENKUlT_T0_E_clISt17integral_constantIbLb1EES1B_EEDaS16_S17_EUlS16_E_NS1_11comp_targetILNS1_3genE2ELNS1_11target_archE906ELNS1_3gpuE6ELNS1_3repE0EEENS1_30default_config_static_selectorELNS0_4arch9wavefront6targetE1EEEvT1_,@function
_ZN7rocprim17ROCPRIM_400000_NS6detail17trampoline_kernelINS0_14default_configENS1_25partition_config_selectorILNS1_17partition_subalgoE1EjNS0_10empty_typeEbEEZZNS1_14partition_implILS5_1ELb0ES3_jN6thrust23THRUST_200600_302600_NS6detail15normal_iteratorINSA_10device_ptrIjEEEEPS6_NSA_18transform_iteratorI7is_evenIjESF_NSA_11use_defaultESK_EENS0_5tupleIJSF_NSA_16discard_iteratorISK_EEEEENSM_IJSG_SG_EEES6_PlJS6_EEE10hipError_tPvRmT3_T4_T5_T6_T7_T9_mT8_P12ihipStream_tbDpT10_ENKUlT_T0_E_clISt17integral_constantIbLb1EES1B_EEDaS16_S17_EUlS16_E_NS1_11comp_targetILNS1_3genE2ELNS1_11target_archE906ELNS1_3gpuE6ELNS1_3repE0EEENS1_30default_config_static_selectorELNS0_4arch9wavefront6targetE1EEEvT1_: ; @_ZN7rocprim17ROCPRIM_400000_NS6detail17trampoline_kernelINS0_14default_configENS1_25partition_config_selectorILNS1_17partition_subalgoE1EjNS0_10empty_typeEbEEZZNS1_14partition_implILS5_1ELb0ES3_jN6thrust23THRUST_200600_302600_NS6detail15normal_iteratorINSA_10device_ptrIjEEEEPS6_NSA_18transform_iteratorI7is_evenIjESF_NSA_11use_defaultESK_EENS0_5tupleIJSF_NSA_16discard_iteratorISK_EEEEENSM_IJSG_SG_EEES6_PlJS6_EEE10hipError_tPvRmT3_T4_T5_T6_T7_T9_mT8_P12ihipStream_tbDpT10_ENKUlT_T0_E_clISt17integral_constantIbLb1EES1B_EEDaS16_S17_EUlS16_E_NS1_11comp_targetILNS1_3genE2ELNS1_11target_archE906ELNS1_3gpuE6ELNS1_3repE0EEENS1_30default_config_static_selectorELNS0_4arch9wavefront6targetE1EEEvT1_
; %bb.0:
	.section	.rodata,"a",@progbits
	.p2align	6, 0x0
	.amdhsa_kernel _ZN7rocprim17ROCPRIM_400000_NS6detail17trampoline_kernelINS0_14default_configENS1_25partition_config_selectorILNS1_17partition_subalgoE1EjNS0_10empty_typeEbEEZZNS1_14partition_implILS5_1ELb0ES3_jN6thrust23THRUST_200600_302600_NS6detail15normal_iteratorINSA_10device_ptrIjEEEEPS6_NSA_18transform_iteratorI7is_evenIjESF_NSA_11use_defaultESK_EENS0_5tupleIJSF_NSA_16discard_iteratorISK_EEEEENSM_IJSG_SG_EEES6_PlJS6_EEE10hipError_tPvRmT3_T4_T5_T6_T7_T9_mT8_P12ihipStream_tbDpT10_ENKUlT_T0_E_clISt17integral_constantIbLb1EES1B_EEDaS16_S17_EUlS16_E_NS1_11comp_targetILNS1_3genE2ELNS1_11target_archE906ELNS1_3gpuE6ELNS1_3repE0EEENS1_30default_config_static_selectorELNS0_4arch9wavefront6targetE1EEEvT1_
		.amdhsa_group_segment_fixed_size 0
		.amdhsa_private_segment_fixed_size 0
		.amdhsa_kernarg_size 152
		.amdhsa_user_sgpr_count 6
		.amdhsa_user_sgpr_private_segment_buffer 1
		.amdhsa_user_sgpr_dispatch_ptr 0
		.amdhsa_user_sgpr_queue_ptr 0
		.amdhsa_user_sgpr_kernarg_segment_ptr 1
		.amdhsa_user_sgpr_dispatch_id 0
		.amdhsa_user_sgpr_flat_scratch_init 0
		.amdhsa_user_sgpr_kernarg_preload_length 0
		.amdhsa_user_sgpr_kernarg_preload_offset 0
		.amdhsa_user_sgpr_private_segment_size 0
		.amdhsa_uses_dynamic_stack 0
		.amdhsa_system_sgpr_private_segment_wavefront_offset 0
		.amdhsa_system_sgpr_workgroup_id_x 1
		.amdhsa_system_sgpr_workgroup_id_y 0
		.amdhsa_system_sgpr_workgroup_id_z 0
		.amdhsa_system_sgpr_workgroup_info 0
		.amdhsa_system_vgpr_workitem_id 0
		.amdhsa_next_free_vgpr 1
		.amdhsa_next_free_sgpr 0
		.amdhsa_accum_offset 4
		.amdhsa_reserve_vcc 0
		.amdhsa_reserve_flat_scratch 0
		.amdhsa_float_round_mode_32 0
		.amdhsa_float_round_mode_16_64 0
		.amdhsa_float_denorm_mode_32 3
		.amdhsa_float_denorm_mode_16_64 3
		.amdhsa_dx10_clamp 1
		.amdhsa_ieee_mode 1
		.amdhsa_fp16_overflow 0
		.amdhsa_tg_split 0
		.amdhsa_exception_fp_ieee_invalid_op 0
		.amdhsa_exception_fp_denorm_src 0
		.amdhsa_exception_fp_ieee_div_zero 0
		.amdhsa_exception_fp_ieee_overflow 0
		.amdhsa_exception_fp_ieee_underflow 0
		.amdhsa_exception_fp_ieee_inexact 0
		.amdhsa_exception_int_div_zero 0
	.end_amdhsa_kernel
	.section	.text._ZN7rocprim17ROCPRIM_400000_NS6detail17trampoline_kernelINS0_14default_configENS1_25partition_config_selectorILNS1_17partition_subalgoE1EjNS0_10empty_typeEbEEZZNS1_14partition_implILS5_1ELb0ES3_jN6thrust23THRUST_200600_302600_NS6detail15normal_iteratorINSA_10device_ptrIjEEEEPS6_NSA_18transform_iteratorI7is_evenIjESF_NSA_11use_defaultESK_EENS0_5tupleIJSF_NSA_16discard_iteratorISK_EEEEENSM_IJSG_SG_EEES6_PlJS6_EEE10hipError_tPvRmT3_T4_T5_T6_T7_T9_mT8_P12ihipStream_tbDpT10_ENKUlT_T0_E_clISt17integral_constantIbLb1EES1B_EEDaS16_S17_EUlS16_E_NS1_11comp_targetILNS1_3genE2ELNS1_11target_archE906ELNS1_3gpuE6ELNS1_3repE0EEENS1_30default_config_static_selectorELNS0_4arch9wavefront6targetE1EEEvT1_,"axG",@progbits,_ZN7rocprim17ROCPRIM_400000_NS6detail17trampoline_kernelINS0_14default_configENS1_25partition_config_selectorILNS1_17partition_subalgoE1EjNS0_10empty_typeEbEEZZNS1_14partition_implILS5_1ELb0ES3_jN6thrust23THRUST_200600_302600_NS6detail15normal_iteratorINSA_10device_ptrIjEEEEPS6_NSA_18transform_iteratorI7is_evenIjESF_NSA_11use_defaultESK_EENS0_5tupleIJSF_NSA_16discard_iteratorISK_EEEEENSM_IJSG_SG_EEES6_PlJS6_EEE10hipError_tPvRmT3_T4_T5_T6_T7_T9_mT8_P12ihipStream_tbDpT10_ENKUlT_T0_E_clISt17integral_constantIbLb1EES1B_EEDaS16_S17_EUlS16_E_NS1_11comp_targetILNS1_3genE2ELNS1_11target_archE906ELNS1_3gpuE6ELNS1_3repE0EEENS1_30default_config_static_selectorELNS0_4arch9wavefront6targetE1EEEvT1_,comdat
.Lfunc_end3015:
	.size	_ZN7rocprim17ROCPRIM_400000_NS6detail17trampoline_kernelINS0_14default_configENS1_25partition_config_selectorILNS1_17partition_subalgoE1EjNS0_10empty_typeEbEEZZNS1_14partition_implILS5_1ELb0ES3_jN6thrust23THRUST_200600_302600_NS6detail15normal_iteratorINSA_10device_ptrIjEEEEPS6_NSA_18transform_iteratorI7is_evenIjESF_NSA_11use_defaultESK_EENS0_5tupleIJSF_NSA_16discard_iteratorISK_EEEEENSM_IJSG_SG_EEES6_PlJS6_EEE10hipError_tPvRmT3_T4_T5_T6_T7_T9_mT8_P12ihipStream_tbDpT10_ENKUlT_T0_E_clISt17integral_constantIbLb1EES1B_EEDaS16_S17_EUlS16_E_NS1_11comp_targetILNS1_3genE2ELNS1_11target_archE906ELNS1_3gpuE6ELNS1_3repE0EEENS1_30default_config_static_selectorELNS0_4arch9wavefront6targetE1EEEvT1_, .Lfunc_end3015-_ZN7rocprim17ROCPRIM_400000_NS6detail17trampoline_kernelINS0_14default_configENS1_25partition_config_selectorILNS1_17partition_subalgoE1EjNS0_10empty_typeEbEEZZNS1_14partition_implILS5_1ELb0ES3_jN6thrust23THRUST_200600_302600_NS6detail15normal_iteratorINSA_10device_ptrIjEEEEPS6_NSA_18transform_iteratorI7is_evenIjESF_NSA_11use_defaultESK_EENS0_5tupleIJSF_NSA_16discard_iteratorISK_EEEEENSM_IJSG_SG_EEES6_PlJS6_EEE10hipError_tPvRmT3_T4_T5_T6_T7_T9_mT8_P12ihipStream_tbDpT10_ENKUlT_T0_E_clISt17integral_constantIbLb1EES1B_EEDaS16_S17_EUlS16_E_NS1_11comp_targetILNS1_3genE2ELNS1_11target_archE906ELNS1_3gpuE6ELNS1_3repE0EEENS1_30default_config_static_selectorELNS0_4arch9wavefront6targetE1EEEvT1_
                                        ; -- End function
	.section	.AMDGPU.csdata,"",@progbits
; Kernel info:
; codeLenInByte = 0
; NumSgprs: 4
; NumVgprs: 0
; NumAgprs: 0
; TotalNumVgprs: 0
; ScratchSize: 0
; MemoryBound: 0
; FloatMode: 240
; IeeeMode: 1
; LDSByteSize: 0 bytes/workgroup (compile time only)
; SGPRBlocks: 0
; VGPRBlocks: 0
; NumSGPRsForWavesPerEU: 4
; NumVGPRsForWavesPerEU: 1
; AccumOffset: 4
; Occupancy: 8
; WaveLimiterHint : 0
; COMPUTE_PGM_RSRC2:SCRATCH_EN: 0
; COMPUTE_PGM_RSRC2:USER_SGPR: 6
; COMPUTE_PGM_RSRC2:TRAP_HANDLER: 0
; COMPUTE_PGM_RSRC2:TGID_X_EN: 1
; COMPUTE_PGM_RSRC2:TGID_Y_EN: 0
; COMPUTE_PGM_RSRC2:TGID_Z_EN: 0
; COMPUTE_PGM_RSRC2:TIDIG_COMP_CNT: 0
; COMPUTE_PGM_RSRC3_GFX90A:ACCUM_OFFSET: 0
; COMPUTE_PGM_RSRC3_GFX90A:TG_SPLIT: 0
	.section	.text._ZN7rocprim17ROCPRIM_400000_NS6detail17trampoline_kernelINS0_14default_configENS1_25partition_config_selectorILNS1_17partition_subalgoE1EjNS0_10empty_typeEbEEZZNS1_14partition_implILS5_1ELb0ES3_jN6thrust23THRUST_200600_302600_NS6detail15normal_iteratorINSA_10device_ptrIjEEEEPS6_NSA_18transform_iteratorI7is_evenIjESF_NSA_11use_defaultESK_EENS0_5tupleIJSF_NSA_16discard_iteratorISK_EEEEENSM_IJSG_SG_EEES6_PlJS6_EEE10hipError_tPvRmT3_T4_T5_T6_T7_T9_mT8_P12ihipStream_tbDpT10_ENKUlT_T0_E_clISt17integral_constantIbLb1EES1B_EEDaS16_S17_EUlS16_E_NS1_11comp_targetILNS1_3genE10ELNS1_11target_archE1200ELNS1_3gpuE4ELNS1_3repE0EEENS1_30default_config_static_selectorELNS0_4arch9wavefront6targetE1EEEvT1_,"axG",@progbits,_ZN7rocprim17ROCPRIM_400000_NS6detail17trampoline_kernelINS0_14default_configENS1_25partition_config_selectorILNS1_17partition_subalgoE1EjNS0_10empty_typeEbEEZZNS1_14partition_implILS5_1ELb0ES3_jN6thrust23THRUST_200600_302600_NS6detail15normal_iteratorINSA_10device_ptrIjEEEEPS6_NSA_18transform_iteratorI7is_evenIjESF_NSA_11use_defaultESK_EENS0_5tupleIJSF_NSA_16discard_iteratorISK_EEEEENSM_IJSG_SG_EEES6_PlJS6_EEE10hipError_tPvRmT3_T4_T5_T6_T7_T9_mT8_P12ihipStream_tbDpT10_ENKUlT_T0_E_clISt17integral_constantIbLb1EES1B_EEDaS16_S17_EUlS16_E_NS1_11comp_targetILNS1_3genE10ELNS1_11target_archE1200ELNS1_3gpuE4ELNS1_3repE0EEENS1_30default_config_static_selectorELNS0_4arch9wavefront6targetE1EEEvT1_,comdat
	.protected	_ZN7rocprim17ROCPRIM_400000_NS6detail17trampoline_kernelINS0_14default_configENS1_25partition_config_selectorILNS1_17partition_subalgoE1EjNS0_10empty_typeEbEEZZNS1_14partition_implILS5_1ELb0ES3_jN6thrust23THRUST_200600_302600_NS6detail15normal_iteratorINSA_10device_ptrIjEEEEPS6_NSA_18transform_iteratorI7is_evenIjESF_NSA_11use_defaultESK_EENS0_5tupleIJSF_NSA_16discard_iteratorISK_EEEEENSM_IJSG_SG_EEES6_PlJS6_EEE10hipError_tPvRmT3_T4_T5_T6_T7_T9_mT8_P12ihipStream_tbDpT10_ENKUlT_T0_E_clISt17integral_constantIbLb1EES1B_EEDaS16_S17_EUlS16_E_NS1_11comp_targetILNS1_3genE10ELNS1_11target_archE1200ELNS1_3gpuE4ELNS1_3repE0EEENS1_30default_config_static_selectorELNS0_4arch9wavefront6targetE1EEEvT1_ ; -- Begin function _ZN7rocprim17ROCPRIM_400000_NS6detail17trampoline_kernelINS0_14default_configENS1_25partition_config_selectorILNS1_17partition_subalgoE1EjNS0_10empty_typeEbEEZZNS1_14partition_implILS5_1ELb0ES3_jN6thrust23THRUST_200600_302600_NS6detail15normal_iteratorINSA_10device_ptrIjEEEEPS6_NSA_18transform_iteratorI7is_evenIjESF_NSA_11use_defaultESK_EENS0_5tupleIJSF_NSA_16discard_iteratorISK_EEEEENSM_IJSG_SG_EEES6_PlJS6_EEE10hipError_tPvRmT3_T4_T5_T6_T7_T9_mT8_P12ihipStream_tbDpT10_ENKUlT_T0_E_clISt17integral_constantIbLb1EES1B_EEDaS16_S17_EUlS16_E_NS1_11comp_targetILNS1_3genE10ELNS1_11target_archE1200ELNS1_3gpuE4ELNS1_3repE0EEENS1_30default_config_static_selectorELNS0_4arch9wavefront6targetE1EEEvT1_
	.globl	_ZN7rocprim17ROCPRIM_400000_NS6detail17trampoline_kernelINS0_14default_configENS1_25partition_config_selectorILNS1_17partition_subalgoE1EjNS0_10empty_typeEbEEZZNS1_14partition_implILS5_1ELb0ES3_jN6thrust23THRUST_200600_302600_NS6detail15normal_iteratorINSA_10device_ptrIjEEEEPS6_NSA_18transform_iteratorI7is_evenIjESF_NSA_11use_defaultESK_EENS0_5tupleIJSF_NSA_16discard_iteratorISK_EEEEENSM_IJSG_SG_EEES6_PlJS6_EEE10hipError_tPvRmT3_T4_T5_T6_T7_T9_mT8_P12ihipStream_tbDpT10_ENKUlT_T0_E_clISt17integral_constantIbLb1EES1B_EEDaS16_S17_EUlS16_E_NS1_11comp_targetILNS1_3genE10ELNS1_11target_archE1200ELNS1_3gpuE4ELNS1_3repE0EEENS1_30default_config_static_selectorELNS0_4arch9wavefront6targetE1EEEvT1_
	.p2align	8
	.type	_ZN7rocprim17ROCPRIM_400000_NS6detail17trampoline_kernelINS0_14default_configENS1_25partition_config_selectorILNS1_17partition_subalgoE1EjNS0_10empty_typeEbEEZZNS1_14partition_implILS5_1ELb0ES3_jN6thrust23THRUST_200600_302600_NS6detail15normal_iteratorINSA_10device_ptrIjEEEEPS6_NSA_18transform_iteratorI7is_evenIjESF_NSA_11use_defaultESK_EENS0_5tupleIJSF_NSA_16discard_iteratorISK_EEEEENSM_IJSG_SG_EEES6_PlJS6_EEE10hipError_tPvRmT3_T4_T5_T6_T7_T9_mT8_P12ihipStream_tbDpT10_ENKUlT_T0_E_clISt17integral_constantIbLb1EES1B_EEDaS16_S17_EUlS16_E_NS1_11comp_targetILNS1_3genE10ELNS1_11target_archE1200ELNS1_3gpuE4ELNS1_3repE0EEENS1_30default_config_static_selectorELNS0_4arch9wavefront6targetE1EEEvT1_,@function
_ZN7rocprim17ROCPRIM_400000_NS6detail17trampoline_kernelINS0_14default_configENS1_25partition_config_selectorILNS1_17partition_subalgoE1EjNS0_10empty_typeEbEEZZNS1_14partition_implILS5_1ELb0ES3_jN6thrust23THRUST_200600_302600_NS6detail15normal_iteratorINSA_10device_ptrIjEEEEPS6_NSA_18transform_iteratorI7is_evenIjESF_NSA_11use_defaultESK_EENS0_5tupleIJSF_NSA_16discard_iteratorISK_EEEEENSM_IJSG_SG_EEES6_PlJS6_EEE10hipError_tPvRmT3_T4_T5_T6_T7_T9_mT8_P12ihipStream_tbDpT10_ENKUlT_T0_E_clISt17integral_constantIbLb1EES1B_EEDaS16_S17_EUlS16_E_NS1_11comp_targetILNS1_3genE10ELNS1_11target_archE1200ELNS1_3gpuE4ELNS1_3repE0EEENS1_30default_config_static_selectorELNS0_4arch9wavefront6targetE1EEEvT1_: ; @_ZN7rocprim17ROCPRIM_400000_NS6detail17trampoline_kernelINS0_14default_configENS1_25partition_config_selectorILNS1_17partition_subalgoE1EjNS0_10empty_typeEbEEZZNS1_14partition_implILS5_1ELb0ES3_jN6thrust23THRUST_200600_302600_NS6detail15normal_iteratorINSA_10device_ptrIjEEEEPS6_NSA_18transform_iteratorI7is_evenIjESF_NSA_11use_defaultESK_EENS0_5tupleIJSF_NSA_16discard_iteratorISK_EEEEENSM_IJSG_SG_EEES6_PlJS6_EEE10hipError_tPvRmT3_T4_T5_T6_T7_T9_mT8_P12ihipStream_tbDpT10_ENKUlT_T0_E_clISt17integral_constantIbLb1EES1B_EEDaS16_S17_EUlS16_E_NS1_11comp_targetILNS1_3genE10ELNS1_11target_archE1200ELNS1_3gpuE4ELNS1_3repE0EEENS1_30default_config_static_selectorELNS0_4arch9wavefront6targetE1EEEvT1_
; %bb.0:
	.section	.rodata,"a",@progbits
	.p2align	6, 0x0
	.amdhsa_kernel _ZN7rocprim17ROCPRIM_400000_NS6detail17trampoline_kernelINS0_14default_configENS1_25partition_config_selectorILNS1_17partition_subalgoE1EjNS0_10empty_typeEbEEZZNS1_14partition_implILS5_1ELb0ES3_jN6thrust23THRUST_200600_302600_NS6detail15normal_iteratorINSA_10device_ptrIjEEEEPS6_NSA_18transform_iteratorI7is_evenIjESF_NSA_11use_defaultESK_EENS0_5tupleIJSF_NSA_16discard_iteratorISK_EEEEENSM_IJSG_SG_EEES6_PlJS6_EEE10hipError_tPvRmT3_T4_T5_T6_T7_T9_mT8_P12ihipStream_tbDpT10_ENKUlT_T0_E_clISt17integral_constantIbLb1EES1B_EEDaS16_S17_EUlS16_E_NS1_11comp_targetILNS1_3genE10ELNS1_11target_archE1200ELNS1_3gpuE4ELNS1_3repE0EEENS1_30default_config_static_selectorELNS0_4arch9wavefront6targetE1EEEvT1_
		.amdhsa_group_segment_fixed_size 0
		.amdhsa_private_segment_fixed_size 0
		.amdhsa_kernarg_size 152
		.amdhsa_user_sgpr_count 6
		.amdhsa_user_sgpr_private_segment_buffer 1
		.amdhsa_user_sgpr_dispatch_ptr 0
		.amdhsa_user_sgpr_queue_ptr 0
		.amdhsa_user_sgpr_kernarg_segment_ptr 1
		.amdhsa_user_sgpr_dispatch_id 0
		.amdhsa_user_sgpr_flat_scratch_init 0
		.amdhsa_user_sgpr_kernarg_preload_length 0
		.amdhsa_user_sgpr_kernarg_preload_offset 0
		.amdhsa_user_sgpr_private_segment_size 0
		.amdhsa_uses_dynamic_stack 0
		.amdhsa_system_sgpr_private_segment_wavefront_offset 0
		.amdhsa_system_sgpr_workgroup_id_x 1
		.amdhsa_system_sgpr_workgroup_id_y 0
		.amdhsa_system_sgpr_workgroup_id_z 0
		.amdhsa_system_sgpr_workgroup_info 0
		.amdhsa_system_vgpr_workitem_id 0
		.amdhsa_next_free_vgpr 1
		.amdhsa_next_free_sgpr 0
		.amdhsa_accum_offset 4
		.amdhsa_reserve_vcc 0
		.amdhsa_reserve_flat_scratch 0
		.amdhsa_float_round_mode_32 0
		.amdhsa_float_round_mode_16_64 0
		.amdhsa_float_denorm_mode_32 3
		.amdhsa_float_denorm_mode_16_64 3
		.amdhsa_dx10_clamp 1
		.amdhsa_ieee_mode 1
		.amdhsa_fp16_overflow 0
		.amdhsa_tg_split 0
		.amdhsa_exception_fp_ieee_invalid_op 0
		.amdhsa_exception_fp_denorm_src 0
		.amdhsa_exception_fp_ieee_div_zero 0
		.amdhsa_exception_fp_ieee_overflow 0
		.amdhsa_exception_fp_ieee_underflow 0
		.amdhsa_exception_fp_ieee_inexact 0
		.amdhsa_exception_int_div_zero 0
	.end_amdhsa_kernel
	.section	.text._ZN7rocprim17ROCPRIM_400000_NS6detail17trampoline_kernelINS0_14default_configENS1_25partition_config_selectorILNS1_17partition_subalgoE1EjNS0_10empty_typeEbEEZZNS1_14partition_implILS5_1ELb0ES3_jN6thrust23THRUST_200600_302600_NS6detail15normal_iteratorINSA_10device_ptrIjEEEEPS6_NSA_18transform_iteratorI7is_evenIjESF_NSA_11use_defaultESK_EENS0_5tupleIJSF_NSA_16discard_iteratorISK_EEEEENSM_IJSG_SG_EEES6_PlJS6_EEE10hipError_tPvRmT3_T4_T5_T6_T7_T9_mT8_P12ihipStream_tbDpT10_ENKUlT_T0_E_clISt17integral_constantIbLb1EES1B_EEDaS16_S17_EUlS16_E_NS1_11comp_targetILNS1_3genE10ELNS1_11target_archE1200ELNS1_3gpuE4ELNS1_3repE0EEENS1_30default_config_static_selectorELNS0_4arch9wavefront6targetE1EEEvT1_,"axG",@progbits,_ZN7rocprim17ROCPRIM_400000_NS6detail17trampoline_kernelINS0_14default_configENS1_25partition_config_selectorILNS1_17partition_subalgoE1EjNS0_10empty_typeEbEEZZNS1_14partition_implILS5_1ELb0ES3_jN6thrust23THRUST_200600_302600_NS6detail15normal_iteratorINSA_10device_ptrIjEEEEPS6_NSA_18transform_iteratorI7is_evenIjESF_NSA_11use_defaultESK_EENS0_5tupleIJSF_NSA_16discard_iteratorISK_EEEEENSM_IJSG_SG_EEES6_PlJS6_EEE10hipError_tPvRmT3_T4_T5_T6_T7_T9_mT8_P12ihipStream_tbDpT10_ENKUlT_T0_E_clISt17integral_constantIbLb1EES1B_EEDaS16_S17_EUlS16_E_NS1_11comp_targetILNS1_3genE10ELNS1_11target_archE1200ELNS1_3gpuE4ELNS1_3repE0EEENS1_30default_config_static_selectorELNS0_4arch9wavefront6targetE1EEEvT1_,comdat
.Lfunc_end3016:
	.size	_ZN7rocprim17ROCPRIM_400000_NS6detail17trampoline_kernelINS0_14default_configENS1_25partition_config_selectorILNS1_17partition_subalgoE1EjNS0_10empty_typeEbEEZZNS1_14partition_implILS5_1ELb0ES3_jN6thrust23THRUST_200600_302600_NS6detail15normal_iteratorINSA_10device_ptrIjEEEEPS6_NSA_18transform_iteratorI7is_evenIjESF_NSA_11use_defaultESK_EENS0_5tupleIJSF_NSA_16discard_iteratorISK_EEEEENSM_IJSG_SG_EEES6_PlJS6_EEE10hipError_tPvRmT3_T4_T5_T6_T7_T9_mT8_P12ihipStream_tbDpT10_ENKUlT_T0_E_clISt17integral_constantIbLb1EES1B_EEDaS16_S17_EUlS16_E_NS1_11comp_targetILNS1_3genE10ELNS1_11target_archE1200ELNS1_3gpuE4ELNS1_3repE0EEENS1_30default_config_static_selectorELNS0_4arch9wavefront6targetE1EEEvT1_, .Lfunc_end3016-_ZN7rocprim17ROCPRIM_400000_NS6detail17trampoline_kernelINS0_14default_configENS1_25partition_config_selectorILNS1_17partition_subalgoE1EjNS0_10empty_typeEbEEZZNS1_14partition_implILS5_1ELb0ES3_jN6thrust23THRUST_200600_302600_NS6detail15normal_iteratorINSA_10device_ptrIjEEEEPS6_NSA_18transform_iteratorI7is_evenIjESF_NSA_11use_defaultESK_EENS0_5tupleIJSF_NSA_16discard_iteratorISK_EEEEENSM_IJSG_SG_EEES6_PlJS6_EEE10hipError_tPvRmT3_T4_T5_T6_T7_T9_mT8_P12ihipStream_tbDpT10_ENKUlT_T0_E_clISt17integral_constantIbLb1EES1B_EEDaS16_S17_EUlS16_E_NS1_11comp_targetILNS1_3genE10ELNS1_11target_archE1200ELNS1_3gpuE4ELNS1_3repE0EEENS1_30default_config_static_selectorELNS0_4arch9wavefront6targetE1EEEvT1_
                                        ; -- End function
	.section	.AMDGPU.csdata,"",@progbits
; Kernel info:
; codeLenInByte = 0
; NumSgprs: 4
; NumVgprs: 0
; NumAgprs: 0
; TotalNumVgprs: 0
; ScratchSize: 0
; MemoryBound: 0
; FloatMode: 240
; IeeeMode: 1
; LDSByteSize: 0 bytes/workgroup (compile time only)
; SGPRBlocks: 0
; VGPRBlocks: 0
; NumSGPRsForWavesPerEU: 4
; NumVGPRsForWavesPerEU: 1
; AccumOffset: 4
; Occupancy: 8
; WaveLimiterHint : 0
; COMPUTE_PGM_RSRC2:SCRATCH_EN: 0
; COMPUTE_PGM_RSRC2:USER_SGPR: 6
; COMPUTE_PGM_RSRC2:TRAP_HANDLER: 0
; COMPUTE_PGM_RSRC2:TGID_X_EN: 1
; COMPUTE_PGM_RSRC2:TGID_Y_EN: 0
; COMPUTE_PGM_RSRC2:TGID_Z_EN: 0
; COMPUTE_PGM_RSRC2:TIDIG_COMP_CNT: 0
; COMPUTE_PGM_RSRC3_GFX90A:ACCUM_OFFSET: 0
; COMPUTE_PGM_RSRC3_GFX90A:TG_SPLIT: 0
	.section	.text._ZN7rocprim17ROCPRIM_400000_NS6detail17trampoline_kernelINS0_14default_configENS1_25partition_config_selectorILNS1_17partition_subalgoE1EjNS0_10empty_typeEbEEZZNS1_14partition_implILS5_1ELb0ES3_jN6thrust23THRUST_200600_302600_NS6detail15normal_iteratorINSA_10device_ptrIjEEEEPS6_NSA_18transform_iteratorI7is_evenIjESF_NSA_11use_defaultESK_EENS0_5tupleIJSF_NSA_16discard_iteratorISK_EEEEENSM_IJSG_SG_EEES6_PlJS6_EEE10hipError_tPvRmT3_T4_T5_T6_T7_T9_mT8_P12ihipStream_tbDpT10_ENKUlT_T0_E_clISt17integral_constantIbLb1EES1B_EEDaS16_S17_EUlS16_E_NS1_11comp_targetILNS1_3genE9ELNS1_11target_archE1100ELNS1_3gpuE3ELNS1_3repE0EEENS1_30default_config_static_selectorELNS0_4arch9wavefront6targetE1EEEvT1_,"axG",@progbits,_ZN7rocprim17ROCPRIM_400000_NS6detail17trampoline_kernelINS0_14default_configENS1_25partition_config_selectorILNS1_17partition_subalgoE1EjNS0_10empty_typeEbEEZZNS1_14partition_implILS5_1ELb0ES3_jN6thrust23THRUST_200600_302600_NS6detail15normal_iteratorINSA_10device_ptrIjEEEEPS6_NSA_18transform_iteratorI7is_evenIjESF_NSA_11use_defaultESK_EENS0_5tupleIJSF_NSA_16discard_iteratorISK_EEEEENSM_IJSG_SG_EEES6_PlJS6_EEE10hipError_tPvRmT3_T4_T5_T6_T7_T9_mT8_P12ihipStream_tbDpT10_ENKUlT_T0_E_clISt17integral_constantIbLb1EES1B_EEDaS16_S17_EUlS16_E_NS1_11comp_targetILNS1_3genE9ELNS1_11target_archE1100ELNS1_3gpuE3ELNS1_3repE0EEENS1_30default_config_static_selectorELNS0_4arch9wavefront6targetE1EEEvT1_,comdat
	.protected	_ZN7rocprim17ROCPRIM_400000_NS6detail17trampoline_kernelINS0_14default_configENS1_25partition_config_selectorILNS1_17partition_subalgoE1EjNS0_10empty_typeEbEEZZNS1_14partition_implILS5_1ELb0ES3_jN6thrust23THRUST_200600_302600_NS6detail15normal_iteratorINSA_10device_ptrIjEEEEPS6_NSA_18transform_iteratorI7is_evenIjESF_NSA_11use_defaultESK_EENS0_5tupleIJSF_NSA_16discard_iteratorISK_EEEEENSM_IJSG_SG_EEES6_PlJS6_EEE10hipError_tPvRmT3_T4_T5_T6_T7_T9_mT8_P12ihipStream_tbDpT10_ENKUlT_T0_E_clISt17integral_constantIbLb1EES1B_EEDaS16_S17_EUlS16_E_NS1_11comp_targetILNS1_3genE9ELNS1_11target_archE1100ELNS1_3gpuE3ELNS1_3repE0EEENS1_30default_config_static_selectorELNS0_4arch9wavefront6targetE1EEEvT1_ ; -- Begin function _ZN7rocprim17ROCPRIM_400000_NS6detail17trampoline_kernelINS0_14default_configENS1_25partition_config_selectorILNS1_17partition_subalgoE1EjNS0_10empty_typeEbEEZZNS1_14partition_implILS5_1ELb0ES3_jN6thrust23THRUST_200600_302600_NS6detail15normal_iteratorINSA_10device_ptrIjEEEEPS6_NSA_18transform_iteratorI7is_evenIjESF_NSA_11use_defaultESK_EENS0_5tupleIJSF_NSA_16discard_iteratorISK_EEEEENSM_IJSG_SG_EEES6_PlJS6_EEE10hipError_tPvRmT3_T4_T5_T6_T7_T9_mT8_P12ihipStream_tbDpT10_ENKUlT_T0_E_clISt17integral_constantIbLb1EES1B_EEDaS16_S17_EUlS16_E_NS1_11comp_targetILNS1_3genE9ELNS1_11target_archE1100ELNS1_3gpuE3ELNS1_3repE0EEENS1_30default_config_static_selectorELNS0_4arch9wavefront6targetE1EEEvT1_
	.globl	_ZN7rocprim17ROCPRIM_400000_NS6detail17trampoline_kernelINS0_14default_configENS1_25partition_config_selectorILNS1_17partition_subalgoE1EjNS0_10empty_typeEbEEZZNS1_14partition_implILS5_1ELb0ES3_jN6thrust23THRUST_200600_302600_NS6detail15normal_iteratorINSA_10device_ptrIjEEEEPS6_NSA_18transform_iteratorI7is_evenIjESF_NSA_11use_defaultESK_EENS0_5tupleIJSF_NSA_16discard_iteratorISK_EEEEENSM_IJSG_SG_EEES6_PlJS6_EEE10hipError_tPvRmT3_T4_T5_T6_T7_T9_mT8_P12ihipStream_tbDpT10_ENKUlT_T0_E_clISt17integral_constantIbLb1EES1B_EEDaS16_S17_EUlS16_E_NS1_11comp_targetILNS1_3genE9ELNS1_11target_archE1100ELNS1_3gpuE3ELNS1_3repE0EEENS1_30default_config_static_selectorELNS0_4arch9wavefront6targetE1EEEvT1_
	.p2align	8
	.type	_ZN7rocprim17ROCPRIM_400000_NS6detail17trampoline_kernelINS0_14default_configENS1_25partition_config_selectorILNS1_17partition_subalgoE1EjNS0_10empty_typeEbEEZZNS1_14partition_implILS5_1ELb0ES3_jN6thrust23THRUST_200600_302600_NS6detail15normal_iteratorINSA_10device_ptrIjEEEEPS6_NSA_18transform_iteratorI7is_evenIjESF_NSA_11use_defaultESK_EENS0_5tupleIJSF_NSA_16discard_iteratorISK_EEEEENSM_IJSG_SG_EEES6_PlJS6_EEE10hipError_tPvRmT3_T4_T5_T6_T7_T9_mT8_P12ihipStream_tbDpT10_ENKUlT_T0_E_clISt17integral_constantIbLb1EES1B_EEDaS16_S17_EUlS16_E_NS1_11comp_targetILNS1_3genE9ELNS1_11target_archE1100ELNS1_3gpuE3ELNS1_3repE0EEENS1_30default_config_static_selectorELNS0_4arch9wavefront6targetE1EEEvT1_,@function
_ZN7rocprim17ROCPRIM_400000_NS6detail17trampoline_kernelINS0_14default_configENS1_25partition_config_selectorILNS1_17partition_subalgoE1EjNS0_10empty_typeEbEEZZNS1_14partition_implILS5_1ELb0ES3_jN6thrust23THRUST_200600_302600_NS6detail15normal_iteratorINSA_10device_ptrIjEEEEPS6_NSA_18transform_iteratorI7is_evenIjESF_NSA_11use_defaultESK_EENS0_5tupleIJSF_NSA_16discard_iteratorISK_EEEEENSM_IJSG_SG_EEES6_PlJS6_EEE10hipError_tPvRmT3_T4_T5_T6_T7_T9_mT8_P12ihipStream_tbDpT10_ENKUlT_T0_E_clISt17integral_constantIbLb1EES1B_EEDaS16_S17_EUlS16_E_NS1_11comp_targetILNS1_3genE9ELNS1_11target_archE1100ELNS1_3gpuE3ELNS1_3repE0EEENS1_30default_config_static_selectorELNS0_4arch9wavefront6targetE1EEEvT1_: ; @_ZN7rocprim17ROCPRIM_400000_NS6detail17trampoline_kernelINS0_14default_configENS1_25partition_config_selectorILNS1_17partition_subalgoE1EjNS0_10empty_typeEbEEZZNS1_14partition_implILS5_1ELb0ES3_jN6thrust23THRUST_200600_302600_NS6detail15normal_iteratorINSA_10device_ptrIjEEEEPS6_NSA_18transform_iteratorI7is_evenIjESF_NSA_11use_defaultESK_EENS0_5tupleIJSF_NSA_16discard_iteratorISK_EEEEENSM_IJSG_SG_EEES6_PlJS6_EEE10hipError_tPvRmT3_T4_T5_T6_T7_T9_mT8_P12ihipStream_tbDpT10_ENKUlT_T0_E_clISt17integral_constantIbLb1EES1B_EEDaS16_S17_EUlS16_E_NS1_11comp_targetILNS1_3genE9ELNS1_11target_archE1100ELNS1_3gpuE3ELNS1_3repE0EEENS1_30default_config_static_selectorELNS0_4arch9wavefront6targetE1EEEvT1_
; %bb.0:
	.section	.rodata,"a",@progbits
	.p2align	6, 0x0
	.amdhsa_kernel _ZN7rocprim17ROCPRIM_400000_NS6detail17trampoline_kernelINS0_14default_configENS1_25partition_config_selectorILNS1_17partition_subalgoE1EjNS0_10empty_typeEbEEZZNS1_14partition_implILS5_1ELb0ES3_jN6thrust23THRUST_200600_302600_NS6detail15normal_iteratorINSA_10device_ptrIjEEEEPS6_NSA_18transform_iteratorI7is_evenIjESF_NSA_11use_defaultESK_EENS0_5tupleIJSF_NSA_16discard_iteratorISK_EEEEENSM_IJSG_SG_EEES6_PlJS6_EEE10hipError_tPvRmT3_T4_T5_T6_T7_T9_mT8_P12ihipStream_tbDpT10_ENKUlT_T0_E_clISt17integral_constantIbLb1EES1B_EEDaS16_S17_EUlS16_E_NS1_11comp_targetILNS1_3genE9ELNS1_11target_archE1100ELNS1_3gpuE3ELNS1_3repE0EEENS1_30default_config_static_selectorELNS0_4arch9wavefront6targetE1EEEvT1_
		.amdhsa_group_segment_fixed_size 0
		.amdhsa_private_segment_fixed_size 0
		.amdhsa_kernarg_size 152
		.amdhsa_user_sgpr_count 6
		.amdhsa_user_sgpr_private_segment_buffer 1
		.amdhsa_user_sgpr_dispatch_ptr 0
		.amdhsa_user_sgpr_queue_ptr 0
		.amdhsa_user_sgpr_kernarg_segment_ptr 1
		.amdhsa_user_sgpr_dispatch_id 0
		.amdhsa_user_sgpr_flat_scratch_init 0
		.amdhsa_user_sgpr_kernarg_preload_length 0
		.amdhsa_user_sgpr_kernarg_preload_offset 0
		.amdhsa_user_sgpr_private_segment_size 0
		.amdhsa_uses_dynamic_stack 0
		.amdhsa_system_sgpr_private_segment_wavefront_offset 0
		.amdhsa_system_sgpr_workgroup_id_x 1
		.amdhsa_system_sgpr_workgroup_id_y 0
		.amdhsa_system_sgpr_workgroup_id_z 0
		.amdhsa_system_sgpr_workgroup_info 0
		.amdhsa_system_vgpr_workitem_id 0
		.amdhsa_next_free_vgpr 1
		.amdhsa_next_free_sgpr 0
		.amdhsa_accum_offset 4
		.amdhsa_reserve_vcc 0
		.amdhsa_reserve_flat_scratch 0
		.amdhsa_float_round_mode_32 0
		.amdhsa_float_round_mode_16_64 0
		.amdhsa_float_denorm_mode_32 3
		.amdhsa_float_denorm_mode_16_64 3
		.amdhsa_dx10_clamp 1
		.amdhsa_ieee_mode 1
		.amdhsa_fp16_overflow 0
		.amdhsa_tg_split 0
		.amdhsa_exception_fp_ieee_invalid_op 0
		.amdhsa_exception_fp_denorm_src 0
		.amdhsa_exception_fp_ieee_div_zero 0
		.amdhsa_exception_fp_ieee_overflow 0
		.amdhsa_exception_fp_ieee_underflow 0
		.amdhsa_exception_fp_ieee_inexact 0
		.amdhsa_exception_int_div_zero 0
	.end_amdhsa_kernel
	.section	.text._ZN7rocprim17ROCPRIM_400000_NS6detail17trampoline_kernelINS0_14default_configENS1_25partition_config_selectorILNS1_17partition_subalgoE1EjNS0_10empty_typeEbEEZZNS1_14partition_implILS5_1ELb0ES3_jN6thrust23THRUST_200600_302600_NS6detail15normal_iteratorINSA_10device_ptrIjEEEEPS6_NSA_18transform_iteratorI7is_evenIjESF_NSA_11use_defaultESK_EENS0_5tupleIJSF_NSA_16discard_iteratorISK_EEEEENSM_IJSG_SG_EEES6_PlJS6_EEE10hipError_tPvRmT3_T4_T5_T6_T7_T9_mT8_P12ihipStream_tbDpT10_ENKUlT_T0_E_clISt17integral_constantIbLb1EES1B_EEDaS16_S17_EUlS16_E_NS1_11comp_targetILNS1_3genE9ELNS1_11target_archE1100ELNS1_3gpuE3ELNS1_3repE0EEENS1_30default_config_static_selectorELNS0_4arch9wavefront6targetE1EEEvT1_,"axG",@progbits,_ZN7rocprim17ROCPRIM_400000_NS6detail17trampoline_kernelINS0_14default_configENS1_25partition_config_selectorILNS1_17partition_subalgoE1EjNS0_10empty_typeEbEEZZNS1_14partition_implILS5_1ELb0ES3_jN6thrust23THRUST_200600_302600_NS6detail15normal_iteratorINSA_10device_ptrIjEEEEPS6_NSA_18transform_iteratorI7is_evenIjESF_NSA_11use_defaultESK_EENS0_5tupleIJSF_NSA_16discard_iteratorISK_EEEEENSM_IJSG_SG_EEES6_PlJS6_EEE10hipError_tPvRmT3_T4_T5_T6_T7_T9_mT8_P12ihipStream_tbDpT10_ENKUlT_T0_E_clISt17integral_constantIbLb1EES1B_EEDaS16_S17_EUlS16_E_NS1_11comp_targetILNS1_3genE9ELNS1_11target_archE1100ELNS1_3gpuE3ELNS1_3repE0EEENS1_30default_config_static_selectorELNS0_4arch9wavefront6targetE1EEEvT1_,comdat
.Lfunc_end3017:
	.size	_ZN7rocprim17ROCPRIM_400000_NS6detail17trampoline_kernelINS0_14default_configENS1_25partition_config_selectorILNS1_17partition_subalgoE1EjNS0_10empty_typeEbEEZZNS1_14partition_implILS5_1ELb0ES3_jN6thrust23THRUST_200600_302600_NS6detail15normal_iteratorINSA_10device_ptrIjEEEEPS6_NSA_18transform_iteratorI7is_evenIjESF_NSA_11use_defaultESK_EENS0_5tupleIJSF_NSA_16discard_iteratorISK_EEEEENSM_IJSG_SG_EEES6_PlJS6_EEE10hipError_tPvRmT3_T4_T5_T6_T7_T9_mT8_P12ihipStream_tbDpT10_ENKUlT_T0_E_clISt17integral_constantIbLb1EES1B_EEDaS16_S17_EUlS16_E_NS1_11comp_targetILNS1_3genE9ELNS1_11target_archE1100ELNS1_3gpuE3ELNS1_3repE0EEENS1_30default_config_static_selectorELNS0_4arch9wavefront6targetE1EEEvT1_, .Lfunc_end3017-_ZN7rocprim17ROCPRIM_400000_NS6detail17trampoline_kernelINS0_14default_configENS1_25partition_config_selectorILNS1_17partition_subalgoE1EjNS0_10empty_typeEbEEZZNS1_14partition_implILS5_1ELb0ES3_jN6thrust23THRUST_200600_302600_NS6detail15normal_iteratorINSA_10device_ptrIjEEEEPS6_NSA_18transform_iteratorI7is_evenIjESF_NSA_11use_defaultESK_EENS0_5tupleIJSF_NSA_16discard_iteratorISK_EEEEENSM_IJSG_SG_EEES6_PlJS6_EEE10hipError_tPvRmT3_T4_T5_T6_T7_T9_mT8_P12ihipStream_tbDpT10_ENKUlT_T0_E_clISt17integral_constantIbLb1EES1B_EEDaS16_S17_EUlS16_E_NS1_11comp_targetILNS1_3genE9ELNS1_11target_archE1100ELNS1_3gpuE3ELNS1_3repE0EEENS1_30default_config_static_selectorELNS0_4arch9wavefront6targetE1EEEvT1_
                                        ; -- End function
	.section	.AMDGPU.csdata,"",@progbits
; Kernel info:
; codeLenInByte = 0
; NumSgprs: 4
; NumVgprs: 0
; NumAgprs: 0
; TotalNumVgprs: 0
; ScratchSize: 0
; MemoryBound: 0
; FloatMode: 240
; IeeeMode: 1
; LDSByteSize: 0 bytes/workgroup (compile time only)
; SGPRBlocks: 0
; VGPRBlocks: 0
; NumSGPRsForWavesPerEU: 4
; NumVGPRsForWavesPerEU: 1
; AccumOffset: 4
; Occupancy: 8
; WaveLimiterHint : 0
; COMPUTE_PGM_RSRC2:SCRATCH_EN: 0
; COMPUTE_PGM_RSRC2:USER_SGPR: 6
; COMPUTE_PGM_RSRC2:TRAP_HANDLER: 0
; COMPUTE_PGM_RSRC2:TGID_X_EN: 1
; COMPUTE_PGM_RSRC2:TGID_Y_EN: 0
; COMPUTE_PGM_RSRC2:TGID_Z_EN: 0
; COMPUTE_PGM_RSRC2:TIDIG_COMP_CNT: 0
; COMPUTE_PGM_RSRC3_GFX90A:ACCUM_OFFSET: 0
; COMPUTE_PGM_RSRC3_GFX90A:TG_SPLIT: 0
	.section	.text._ZN7rocprim17ROCPRIM_400000_NS6detail17trampoline_kernelINS0_14default_configENS1_25partition_config_selectorILNS1_17partition_subalgoE1EjNS0_10empty_typeEbEEZZNS1_14partition_implILS5_1ELb0ES3_jN6thrust23THRUST_200600_302600_NS6detail15normal_iteratorINSA_10device_ptrIjEEEEPS6_NSA_18transform_iteratorI7is_evenIjESF_NSA_11use_defaultESK_EENS0_5tupleIJSF_NSA_16discard_iteratorISK_EEEEENSM_IJSG_SG_EEES6_PlJS6_EEE10hipError_tPvRmT3_T4_T5_T6_T7_T9_mT8_P12ihipStream_tbDpT10_ENKUlT_T0_E_clISt17integral_constantIbLb1EES1B_EEDaS16_S17_EUlS16_E_NS1_11comp_targetILNS1_3genE8ELNS1_11target_archE1030ELNS1_3gpuE2ELNS1_3repE0EEENS1_30default_config_static_selectorELNS0_4arch9wavefront6targetE1EEEvT1_,"axG",@progbits,_ZN7rocprim17ROCPRIM_400000_NS6detail17trampoline_kernelINS0_14default_configENS1_25partition_config_selectorILNS1_17partition_subalgoE1EjNS0_10empty_typeEbEEZZNS1_14partition_implILS5_1ELb0ES3_jN6thrust23THRUST_200600_302600_NS6detail15normal_iteratorINSA_10device_ptrIjEEEEPS6_NSA_18transform_iteratorI7is_evenIjESF_NSA_11use_defaultESK_EENS0_5tupleIJSF_NSA_16discard_iteratorISK_EEEEENSM_IJSG_SG_EEES6_PlJS6_EEE10hipError_tPvRmT3_T4_T5_T6_T7_T9_mT8_P12ihipStream_tbDpT10_ENKUlT_T0_E_clISt17integral_constantIbLb1EES1B_EEDaS16_S17_EUlS16_E_NS1_11comp_targetILNS1_3genE8ELNS1_11target_archE1030ELNS1_3gpuE2ELNS1_3repE0EEENS1_30default_config_static_selectorELNS0_4arch9wavefront6targetE1EEEvT1_,comdat
	.protected	_ZN7rocprim17ROCPRIM_400000_NS6detail17trampoline_kernelINS0_14default_configENS1_25partition_config_selectorILNS1_17partition_subalgoE1EjNS0_10empty_typeEbEEZZNS1_14partition_implILS5_1ELb0ES3_jN6thrust23THRUST_200600_302600_NS6detail15normal_iteratorINSA_10device_ptrIjEEEEPS6_NSA_18transform_iteratorI7is_evenIjESF_NSA_11use_defaultESK_EENS0_5tupleIJSF_NSA_16discard_iteratorISK_EEEEENSM_IJSG_SG_EEES6_PlJS6_EEE10hipError_tPvRmT3_T4_T5_T6_T7_T9_mT8_P12ihipStream_tbDpT10_ENKUlT_T0_E_clISt17integral_constantIbLb1EES1B_EEDaS16_S17_EUlS16_E_NS1_11comp_targetILNS1_3genE8ELNS1_11target_archE1030ELNS1_3gpuE2ELNS1_3repE0EEENS1_30default_config_static_selectorELNS0_4arch9wavefront6targetE1EEEvT1_ ; -- Begin function _ZN7rocprim17ROCPRIM_400000_NS6detail17trampoline_kernelINS0_14default_configENS1_25partition_config_selectorILNS1_17partition_subalgoE1EjNS0_10empty_typeEbEEZZNS1_14partition_implILS5_1ELb0ES3_jN6thrust23THRUST_200600_302600_NS6detail15normal_iteratorINSA_10device_ptrIjEEEEPS6_NSA_18transform_iteratorI7is_evenIjESF_NSA_11use_defaultESK_EENS0_5tupleIJSF_NSA_16discard_iteratorISK_EEEEENSM_IJSG_SG_EEES6_PlJS6_EEE10hipError_tPvRmT3_T4_T5_T6_T7_T9_mT8_P12ihipStream_tbDpT10_ENKUlT_T0_E_clISt17integral_constantIbLb1EES1B_EEDaS16_S17_EUlS16_E_NS1_11comp_targetILNS1_3genE8ELNS1_11target_archE1030ELNS1_3gpuE2ELNS1_3repE0EEENS1_30default_config_static_selectorELNS0_4arch9wavefront6targetE1EEEvT1_
	.globl	_ZN7rocprim17ROCPRIM_400000_NS6detail17trampoline_kernelINS0_14default_configENS1_25partition_config_selectorILNS1_17partition_subalgoE1EjNS0_10empty_typeEbEEZZNS1_14partition_implILS5_1ELb0ES3_jN6thrust23THRUST_200600_302600_NS6detail15normal_iteratorINSA_10device_ptrIjEEEEPS6_NSA_18transform_iteratorI7is_evenIjESF_NSA_11use_defaultESK_EENS0_5tupleIJSF_NSA_16discard_iteratorISK_EEEEENSM_IJSG_SG_EEES6_PlJS6_EEE10hipError_tPvRmT3_T4_T5_T6_T7_T9_mT8_P12ihipStream_tbDpT10_ENKUlT_T0_E_clISt17integral_constantIbLb1EES1B_EEDaS16_S17_EUlS16_E_NS1_11comp_targetILNS1_3genE8ELNS1_11target_archE1030ELNS1_3gpuE2ELNS1_3repE0EEENS1_30default_config_static_selectorELNS0_4arch9wavefront6targetE1EEEvT1_
	.p2align	8
	.type	_ZN7rocprim17ROCPRIM_400000_NS6detail17trampoline_kernelINS0_14default_configENS1_25partition_config_selectorILNS1_17partition_subalgoE1EjNS0_10empty_typeEbEEZZNS1_14partition_implILS5_1ELb0ES3_jN6thrust23THRUST_200600_302600_NS6detail15normal_iteratorINSA_10device_ptrIjEEEEPS6_NSA_18transform_iteratorI7is_evenIjESF_NSA_11use_defaultESK_EENS0_5tupleIJSF_NSA_16discard_iteratorISK_EEEEENSM_IJSG_SG_EEES6_PlJS6_EEE10hipError_tPvRmT3_T4_T5_T6_T7_T9_mT8_P12ihipStream_tbDpT10_ENKUlT_T0_E_clISt17integral_constantIbLb1EES1B_EEDaS16_S17_EUlS16_E_NS1_11comp_targetILNS1_3genE8ELNS1_11target_archE1030ELNS1_3gpuE2ELNS1_3repE0EEENS1_30default_config_static_selectorELNS0_4arch9wavefront6targetE1EEEvT1_,@function
_ZN7rocprim17ROCPRIM_400000_NS6detail17trampoline_kernelINS0_14default_configENS1_25partition_config_selectorILNS1_17partition_subalgoE1EjNS0_10empty_typeEbEEZZNS1_14partition_implILS5_1ELb0ES3_jN6thrust23THRUST_200600_302600_NS6detail15normal_iteratorINSA_10device_ptrIjEEEEPS6_NSA_18transform_iteratorI7is_evenIjESF_NSA_11use_defaultESK_EENS0_5tupleIJSF_NSA_16discard_iteratorISK_EEEEENSM_IJSG_SG_EEES6_PlJS6_EEE10hipError_tPvRmT3_T4_T5_T6_T7_T9_mT8_P12ihipStream_tbDpT10_ENKUlT_T0_E_clISt17integral_constantIbLb1EES1B_EEDaS16_S17_EUlS16_E_NS1_11comp_targetILNS1_3genE8ELNS1_11target_archE1030ELNS1_3gpuE2ELNS1_3repE0EEENS1_30default_config_static_selectorELNS0_4arch9wavefront6targetE1EEEvT1_: ; @_ZN7rocprim17ROCPRIM_400000_NS6detail17trampoline_kernelINS0_14default_configENS1_25partition_config_selectorILNS1_17partition_subalgoE1EjNS0_10empty_typeEbEEZZNS1_14partition_implILS5_1ELb0ES3_jN6thrust23THRUST_200600_302600_NS6detail15normal_iteratorINSA_10device_ptrIjEEEEPS6_NSA_18transform_iteratorI7is_evenIjESF_NSA_11use_defaultESK_EENS0_5tupleIJSF_NSA_16discard_iteratorISK_EEEEENSM_IJSG_SG_EEES6_PlJS6_EEE10hipError_tPvRmT3_T4_T5_T6_T7_T9_mT8_P12ihipStream_tbDpT10_ENKUlT_T0_E_clISt17integral_constantIbLb1EES1B_EEDaS16_S17_EUlS16_E_NS1_11comp_targetILNS1_3genE8ELNS1_11target_archE1030ELNS1_3gpuE2ELNS1_3repE0EEENS1_30default_config_static_selectorELNS0_4arch9wavefront6targetE1EEEvT1_
; %bb.0:
	.section	.rodata,"a",@progbits
	.p2align	6, 0x0
	.amdhsa_kernel _ZN7rocprim17ROCPRIM_400000_NS6detail17trampoline_kernelINS0_14default_configENS1_25partition_config_selectorILNS1_17partition_subalgoE1EjNS0_10empty_typeEbEEZZNS1_14partition_implILS5_1ELb0ES3_jN6thrust23THRUST_200600_302600_NS6detail15normal_iteratorINSA_10device_ptrIjEEEEPS6_NSA_18transform_iteratorI7is_evenIjESF_NSA_11use_defaultESK_EENS0_5tupleIJSF_NSA_16discard_iteratorISK_EEEEENSM_IJSG_SG_EEES6_PlJS6_EEE10hipError_tPvRmT3_T4_T5_T6_T7_T9_mT8_P12ihipStream_tbDpT10_ENKUlT_T0_E_clISt17integral_constantIbLb1EES1B_EEDaS16_S17_EUlS16_E_NS1_11comp_targetILNS1_3genE8ELNS1_11target_archE1030ELNS1_3gpuE2ELNS1_3repE0EEENS1_30default_config_static_selectorELNS0_4arch9wavefront6targetE1EEEvT1_
		.amdhsa_group_segment_fixed_size 0
		.amdhsa_private_segment_fixed_size 0
		.amdhsa_kernarg_size 152
		.amdhsa_user_sgpr_count 6
		.amdhsa_user_sgpr_private_segment_buffer 1
		.amdhsa_user_sgpr_dispatch_ptr 0
		.amdhsa_user_sgpr_queue_ptr 0
		.amdhsa_user_sgpr_kernarg_segment_ptr 1
		.amdhsa_user_sgpr_dispatch_id 0
		.amdhsa_user_sgpr_flat_scratch_init 0
		.amdhsa_user_sgpr_kernarg_preload_length 0
		.amdhsa_user_sgpr_kernarg_preload_offset 0
		.amdhsa_user_sgpr_private_segment_size 0
		.amdhsa_uses_dynamic_stack 0
		.amdhsa_system_sgpr_private_segment_wavefront_offset 0
		.amdhsa_system_sgpr_workgroup_id_x 1
		.amdhsa_system_sgpr_workgroup_id_y 0
		.amdhsa_system_sgpr_workgroup_id_z 0
		.amdhsa_system_sgpr_workgroup_info 0
		.amdhsa_system_vgpr_workitem_id 0
		.amdhsa_next_free_vgpr 1
		.amdhsa_next_free_sgpr 0
		.amdhsa_accum_offset 4
		.amdhsa_reserve_vcc 0
		.amdhsa_reserve_flat_scratch 0
		.amdhsa_float_round_mode_32 0
		.amdhsa_float_round_mode_16_64 0
		.amdhsa_float_denorm_mode_32 3
		.amdhsa_float_denorm_mode_16_64 3
		.amdhsa_dx10_clamp 1
		.amdhsa_ieee_mode 1
		.amdhsa_fp16_overflow 0
		.amdhsa_tg_split 0
		.amdhsa_exception_fp_ieee_invalid_op 0
		.amdhsa_exception_fp_denorm_src 0
		.amdhsa_exception_fp_ieee_div_zero 0
		.amdhsa_exception_fp_ieee_overflow 0
		.amdhsa_exception_fp_ieee_underflow 0
		.amdhsa_exception_fp_ieee_inexact 0
		.amdhsa_exception_int_div_zero 0
	.end_amdhsa_kernel
	.section	.text._ZN7rocprim17ROCPRIM_400000_NS6detail17trampoline_kernelINS0_14default_configENS1_25partition_config_selectorILNS1_17partition_subalgoE1EjNS0_10empty_typeEbEEZZNS1_14partition_implILS5_1ELb0ES3_jN6thrust23THRUST_200600_302600_NS6detail15normal_iteratorINSA_10device_ptrIjEEEEPS6_NSA_18transform_iteratorI7is_evenIjESF_NSA_11use_defaultESK_EENS0_5tupleIJSF_NSA_16discard_iteratorISK_EEEEENSM_IJSG_SG_EEES6_PlJS6_EEE10hipError_tPvRmT3_T4_T5_T6_T7_T9_mT8_P12ihipStream_tbDpT10_ENKUlT_T0_E_clISt17integral_constantIbLb1EES1B_EEDaS16_S17_EUlS16_E_NS1_11comp_targetILNS1_3genE8ELNS1_11target_archE1030ELNS1_3gpuE2ELNS1_3repE0EEENS1_30default_config_static_selectorELNS0_4arch9wavefront6targetE1EEEvT1_,"axG",@progbits,_ZN7rocprim17ROCPRIM_400000_NS6detail17trampoline_kernelINS0_14default_configENS1_25partition_config_selectorILNS1_17partition_subalgoE1EjNS0_10empty_typeEbEEZZNS1_14partition_implILS5_1ELb0ES3_jN6thrust23THRUST_200600_302600_NS6detail15normal_iteratorINSA_10device_ptrIjEEEEPS6_NSA_18transform_iteratorI7is_evenIjESF_NSA_11use_defaultESK_EENS0_5tupleIJSF_NSA_16discard_iteratorISK_EEEEENSM_IJSG_SG_EEES6_PlJS6_EEE10hipError_tPvRmT3_T4_T5_T6_T7_T9_mT8_P12ihipStream_tbDpT10_ENKUlT_T0_E_clISt17integral_constantIbLb1EES1B_EEDaS16_S17_EUlS16_E_NS1_11comp_targetILNS1_3genE8ELNS1_11target_archE1030ELNS1_3gpuE2ELNS1_3repE0EEENS1_30default_config_static_selectorELNS0_4arch9wavefront6targetE1EEEvT1_,comdat
.Lfunc_end3018:
	.size	_ZN7rocprim17ROCPRIM_400000_NS6detail17trampoline_kernelINS0_14default_configENS1_25partition_config_selectorILNS1_17partition_subalgoE1EjNS0_10empty_typeEbEEZZNS1_14partition_implILS5_1ELb0ES3_jN6thrust23THRUST_200600_302600_NS6detail15normal_iteratorINSA_10device_ptrIjEEEEPS6_NSA_18transform_iteratorI7is_evenIjESF_NSA_11use_defaultESK_EENS0_5tupleIJSF_NSA_16discard_iteratorISK_EEEEENSM_IJSG_SG_EEES6_PlJS6_EEE10hipError_tPvRmT3_T4_T5_T6_T7_T9_mT8_P12ihipStream_tbDpT10_ENKUlT_T0_E_clISt17integral_constantIbLb1EES1B_EEDaS16_S17_EUlS16_E_NS1_11comp_targetILNS1_3genE8ELNS1_11target_archE1030ELNS1_3gpuE2ELNS1_3repE0EEENS1_30default_config_static_selectorELNS0_4arch9wavefront6targetE1EEEvT1_, .Lfunc_end3018-_ZN7rocprim17ROCPRIM_400000_NS6detail17trampoline_kernelINS0_14default_configENS1_25partition_config_selectorILNS1_17partition_subalgoE1EjNS0_10empty_typeEbEEZZNS1_14partition_implILS5_1ELb0ES3_jN6thrust23THRUST_200600_302600_NS6detail15normal_iteratorINSA_10device_ptrIjEEEEPS6_NSA_18transform_iteratorI7is_evenIjESF_NSA_11use_defaultESK_EENS0_5tupleIJSF_NSA_16discard_iteratorISK_EEEEENSM_IJSG_SG_EEES6_PlJS6_EEE10hipError_tPvRmT3_T4_T5_T6_T7_T9_mT8_P12ihipStream_tbDpT10_ENKUlT_T0_E_clISt17integral_constantIbLb1EES1B_EEDaS16_S17_EUlS16_E_NS1_11comp_targetILNS1_3genE8ELNS1_11target_archE1030ELNS1_3gpuE2ELNS1_3repE0EEENS1_30default_config_static_selectorELNS0_4arch9wavefront6targetE1EEEvT1_
                                        ; -- End function
	.section	.AMDGPU.csdata,"",@progbits
; Kernel info:
; codeLenInByte = 0
; NumSgprs: 4
; NumVgprs: 0
; NumAgprs: 0
; TotalNumVgprs: 0
; ScratchSize: 0
; MemoryBound: 0
; FloatMode: 240
; IeeeMode: 1
; LDSByteSize: 0 bytes/workgroup (compile time only)
; SGPRBlocks: 0
; VGPRBlocks: 0
; NumSGPRsForWavesPerEU: 4
; NumVGPRsForWavesPerEU: 1
; AccumOffset: 4
; Occupancy: 8
; WaveLimiterHint : 0
; COMPUTE_PGM_RSRC2:SCRATCH_EN: 0
; COMPUTE_PGM_RSRC2:USER_SGPR: 6
; COMPUTE_PGM_RSRC2:TRAP_HANDLER: 0
; COMPUTE_PGM_RSRC2:TGID_X_EN: 1
; COMPUTE_PGM_RSRC2:TGID_Y_EN: 0
; COMPUTE_PGM_RSRC2:TGID_Z_EN: 0
; COMPUTE_PGM_RSRC2:TIDIG_COMP_CNT: 0
; COMPUTE_PGM_RSRC3_GFX90A:ACCUM_OFFSET: 0
; COMPUTE_PGM_RSRC3_GFX90A:TG_SPLIT: 0
	.section	.text._ZN7rocprim17ROCPRIM_400000_NS6detail17trampoline_kernelINS0_14default_configENS1_25partition_config_selectorILNS1_17partition_subalgoE1EjNS0_10empty_typeEbEEZZNS1_14partition_implILS5_1ELb0ES3_jN6thrust23THRUST_200600_302600_NS6detail15normal_iteratorINSA_10device_ptrIjEEEEPS6_NSA_18transform_iteratorI7is_evenIjESF_NSA_11use_defaultESK_EENS0_5tupleIJSF_NSA_16discard_iteratorISK_EEEEENSM_IJSG_SG_EEES6_PlJS6_EEE10hipError_tPvRmT3_T4_T5_T6_T7_T9_mT8_P12ihipStream_tbDpT10_ENKUlT_T0_E_clISt17integral_constantIbLb1EES1A_IbLb0EEEEDaS16_S17_EUlS16_E_NS1_11comp_targetILNS1_3genE0ELNS1_11target_archE4294967295ELNS1_3gpuE0ELNS1_3repE0EEENS1_30default_config_static_selectorELNS0_4arch9wavefront6targetE1EEEvT1_,"axG",@progbits,_ZN7rocprim17ROCPRIM_400000_NS6detail17trampoline_kernelINS0_14default_configENS1_25partition_config_selectorILNS1_17partition_subalgoE1EjNS0_10empty_typeEbEEZZNS1_14partition_implILS5_1ELb0ES3_jN6thrust23THRUST_200600_302600_NS6detail15normal_iteratorINSA_10device_ptrIjEEEEPS6_NSA_18transform_iteratorI7is_evenIjESF_NSA_11use_defaultESK_EENS0_5tupleIJSF_NSA_16discard_iteratorISK_EEEEENSM_IJSG_SG_EEES6_PlJS6_EEE10hipError_tPvRmT3_T4_T5_T6_T7_T9_mT8_P12ihipStream_tbDpT10_ENKUlT_T0_E_clISt17integral_constantIbLb1EES1A_IbLb0EEEEDaS16_S17_EUlS16_E_NS1_11comp_targetILNS1_3genE0ELNS1_11target_archE4294967295ELNS1_3gpuE0ELNS1_3repE0EEENS1_30default_config_static_selectorELNS0_4arch9wavefront6targetE1EEEvT1_,comdat
	.protected	_ZN7rocprim17ROCPRIM_400000_NS6detail17trampoline_kernelINS0_14default_configENS1_25partition_config_selectorILNS1_17partition_subalgoE1EjNS0_10empty_typeEbEEZZNS1_14partition_implILS5_1ELb0ES3_jN6thrust23THRUST_200600_302600_NS6detail15normal_iteratorINSA_10device_ptrIjEEEEPS6_NSA_18transform_iteratorI7is_evenIjESF_NSA_11use_defaultESK_EENS0_5tupleIJSF_NSA_16discard_iteratorISK_EEEEENSM_IJSG_SG_EEES6_PlJS6_EEE10hipError_tPvRmT3_T4_T5_T6_T7_T9_mT8_P12ihipStream_tbDpT10_ENKUlT_T0_E_clISt17integral_constantIbLb1EES1A_IbLb0EEEEDaS16_S17_EUlS16_E_NS1_11comp_targetILNS1_3genE0ELNS1_11target_archE4294967295ELNS1_3gpuE0ELNS1_3repE0EEENS1_30default_config_static_selectorELNS0_4arch9wavefront6targetE1EEEvT1_ ; -- Begin function _ZN7rocprim17ROCPRIM_400000_NS6detail17trampoline_kernelINS0_14default_configENS1_25partition_config_selectorILNS1_17partition_subalgoE1EjNS0_10empty_typeEbEEZZNS1_14partition_implILS5_1ELb0ES3_jN6thrust23THRUST_200600_302600_NS6detail15normal_iteratorINSA_10device_ptrIjEEEEPS6_NSA_18transform_iteratorI7is_evenIjESF_NSA_11use_defaultESK_EENS0_5tupleIJSF_NSA_16discard_iteratorISK_EEEEENSM_IJSG_SG_EEES6_PlJS6_EEE10hipError_tPvRmT3_T4_T5_T6_T7_T9_mT8_P12ihipStream_tbDpT10_ENKUlT_T0_E_clISt17integral_constantIbLb1EES1A_IbLb0EEEEDaS16_S17_EUlS16_E_NS1_11comp_targetILNS1_3genE0ELNS1_11target_archE4294967295ELNS1_3gpuE0ELNS1_3repE0EEENS1_30default_config_static_selectorELNS0_4arch9wavefront6targetE1EEEvT1_
	.globl	_ZN7rocprim17ROCPRIM_400000_NS6detail17trampoline_kernelINS0_14default_configENS1_25partition_config_selectorILNS1_17partition_subalgoE1EjNS0_10empty_typeEbEEZZNS1_14partition_implILS5_1ELb0ES3_jN6thrust23THRUST_200600_302600_NS6detail15normal_iteratorINSA_10device_ptrIjEEEEPS6_NSA_18transform_iteratorI7is_evenIjESF_NSA_11use_defaultESK_EENS0_5tupleIJSF_NSA_16discard_iteratorISK_EEEEENSM_IJSG_SG_EEES6_PlJS6_EEE10hipError_tPvRmT3_T4_T5_T6_T7_T9_mT8_P12ihipStream_tbDpT10_ENKUlT_T0_E_clISt17integral_constantIbLb1EES1A_IbLb0EEEEDaS16_S17_EUlS16_E_NS1_11comp_targetILNS1_3genE0ELNS1_11target_archE4294967295ELNS1_3gpuE0ELNS1_3repE0EEENS1_30default_config_static_selectorELNS0_4arch9wavefront6targetE1EEEvT1_
	.p2align	8
	.type	_ZN7rocprim17ROCPRIM_400000_NS6detail17trampoline_kernelINS0_14default_configENS1_25partition_config_selectorILNS1_17partition_subalgoE1EjNS0_10empty_typeEbEEZZNS1_14partition_implILS5_1ELb0ES3_jN6thrust23THRUST_200600_302600_NS6detail15normal_iteratorINSA_10device_ptrIjEEEEPS6_NSA_18transform_iteratorI7is_evenIjESF_NSA_11use_defaultESK_EENS0_5tupleIJSF_NSA_16discard_iteratorISK_EEEEENSM_IJSG_SG_EEES6_PlJS6_EEE10hipError_tPvRmT3_T4_T5_T6_T7_T9_mT8_P12ihipStream_tbDpT10_ENKUlT_T0_E_clISt17integral_constantIbLb1EES1A_IbLb0EEEEDaS16_S17_EUlS16_E_NS1_11comp_targetILNS1_3genE0ELNS1_11target_archE4294967295ELNS1_3gpuE0ELNS1_3repE0EEENS1_30default_config_static_selectorELNS0_4arch9wavefront6targetE1EEEvT1_,@function
_ZN7rocprim17ROCPRIM_400000_NS6detail17trampoline_kernelINS0_14default_configENS1_25partition_config_selectorILNS1_17partition_subalgoE1EjNS0_10empty_typeEbEEZZNS1_14partition_implILS5_1ELb0ES3_jN6thrust23THRUST_200600_302600_NS6detail15normal_iteratorINSA_10device_ptrIjEEEEPS6_NSA_18transform_iteratorI7is_evenIjESF_NSA_11use_defaultESK_EENS0_5tupleIJSF_NSA_16discard_iteratorISK_EEEEENSM_IJSG_SG_EEES6_PlJS6_EEE10hipError_tPvRmT3_T4_T5_T6_T7_T9_mT8_P12ihipStream_tbDpT10_ENKUlT_T0_E_clISt17integral_constantIbLb1EES1A_IbLb0EEEEDaS16_S17_EUlS16_E_NS1_11comp_targetILNS1_3genE0ELNS1_11target_archE4294967295ELNS1_3gpuE0ELNS1_3repE0EEENS1_30default_config_static_selectorELNS0_4arch9wavefront6targetE1EEEvT1_: ; @_ZN7rocprim17ROCPRIM_400000_NS6detail17trampoline_kernelINS0_14default_configENS1_25partition_config_selectorILNS1_17partition_subalgoE1EjNS0_10empty_typeEbEEZZNS1_14partition_implILS5_1ELb0ES3_jN6thrust23THRUST_200600_302600_NS6detail15normal_iteratorINSA_10device_ptrIjEEEEPS6_NSA_18transform_iteratorI7is_evenIjESF_NSA_11use_defaultESK_EENS0_5tupleIJSF_NSA_16discard_iteratorISK_EEEEENSM_IJSG_SG_EEES6_PlJS6_EEE10hipError_tPvRmT3_T4_T5_T6_T7_T9_mT8_P12ihipStream_tbDpT10_ENKUlT_T0_E_clISt17integral_constantIbLb1EES1A_IbLb0EEEEDaS16_S17_EUlS16_E_NS1_11comp_targetILNS1_3genE0ELNS1_11target_archE4294967295ELNS1_3gpuE0ELNS1_3repE0EEENS1_30default_config_static_selectorELNS0_4arch9wavefront6targetE1EEEvT1_
; %bb.0:
	.section	.rodata,"a",@progbits
	.p2align	6, 0x0
	.amdhsa_kernel _ZN7rocprim17ROCPRIM_400000_NS6detail17trampoline_kernelINS0_14default_configENS1_25partition_config_selectorILNS1_17partition_subalgoE1EjNS0_10empty_typeEbEEZZNS1_14partition_implILS5_1ELb0ES3_jN6thrust23THRUST_200600_302600_NS6detail15normal_iteratorINSA_10device_ptrIjEEEEPS6_NSA_18transform_iteratorI7is_evenIjESF_NSA_11use_defaultESK_EENS0_5tupleIJSF_NSA_16discard_iteratorISK_EEEEENSM_IJSG_SG_EEES6_PlJS6_EEE10hipError_tPvRmT3_T4_T5_T6_T7_T9_mT8_P12ihipStream_tbDpT10_ENKUlT_T0_E_clISt17integral_constantIbLb1EES1A_IbLb0EEEEDaS16_S17_EUlS16_E_NS1_11comp_targetILNS1_3genE0ELNS1_11target_archE4294967295ELNS1_3gpuE0ELNS1_3repE0EEENS1_30default_config_static_selectorELNS0_4arch9wavefront6targetE1EEEvT1_
		.amdhsa_group_segment_fixed_size 0
		.amdhsa_private_segment_fixed_size 0
		.amdhsa_kernarg_size 136
		.amdhsa_user_sgpr_count 6
		.amdhsa_user_sgpr_private_segment_buffer 1
		.amdhsa_user_sgpr_dispatch_ptr 0
		.amdhsa_user_sgpr_queue_ptr 0
		.amdhsa_user_sgpr_kernarg_segment_ptr 1
		.amdhsa_user_sgpr_dispatch_id 0
		.amdhsa_user_sgpr_flat_scratch_init 0
		.amdhsa_user_sgpr_kernarg_preload_length 0
		.amdhsa_user_sgpr_kernarg_preload_offset 0
		.amdhsa_user_sgpr_private_segment_size 0
		.amdhsa_uses_dynamic_stack 0
		.amdhsa_system_sgpr_private_segment_wavefront_offset 0
		.amdhsa_system_sgpr_workgroup_id_x 1
		.amdhsa_system_sgpr_workgroup_id_y 0
		.amdhsa_system_sgpr_workgroup_id_z 0
		.amdhsa_system_sgpr_workgroup_info 0
		.amdhsa_system_vgpr_workitem_id 0
		.amdhsa_next_free_vgpr 1
		.amdhsa_next_free_sgpr 0
		.amdhsa_accum_offset 4
		.amdhsa_reserve_vcc 0
		.amdhsa_reserve_flat_scratch 0
		.amdhsa_float_round_mode_32 0
		.amdhsa_float_round_mode_16_64 0
		.amdhsa_float_denorm_mode_32 3
		.amdhsa_float_denorm_mode_16_64 3
		.amdhsa_dx10_clamp 1
		.amdhsa_ieee_mode 1
		.amdhsa_fp16_overflow 0
		.amdhsa_tg_split 0
		.amdhsa_exception_fp_ieee_invalid_op 0
		.amdhsa_exception_fp_denorm_src 0
		.amdhsa_exception_fp_ieee_div_zero 0
		.amdhsa_exception_fp_ieee_overflow 0
		.amdhsa_exception_fp_ieee_underflow 0
		.amdhsa_exception_fp_ieee_inexact 0
		.amdhsa_exception_int_div_zero 0
	.end_amdhsa_kernel
	.section	.text._ZN7rocprim17ROCPRIM_400000_NS6detail17trampoline_kernelINS0_14default_configENS1_25partition_config_selectorILNS1_17partition_subalgoE1EjNS0_10empty_typeEbEEZZNS1_14partition_implILS5_1ELb0ES3_jN6thrust23THRUST_200600_302600_NS6detail15normal_iteratorINSA_10device_ptrIjEEEEPS6_NSA_18transform_iteratorI7is_evenIjESF_NSA_11use_defaultESK_EENS0_5tupleIJSF_NSA_16discard_iteratorISK_EEEEENSM_IJSG_SG_EEES6_PlJS6_EEE10hipError_tPvRmT3_T4_T5_T6_T7_T9_mT8_P12ihipStream_tbDpT10_ENKUlT_T0_E_clISt17integral_constantIbLb1EES1A_IbLb0EEEEDaS16_S17_EUlS16_E_NS1_11comp_targetILNS1_3genE0ELNS1_11target_archE4294967295ELNS1_3gpuE0ELNS1_3repE0EEENS1_30default_config_static_selectorELNS0_4arch9wavefront6targetE1EEEvT1_,"axG",@progbits,_ZN7rocprim17ROCPRIM_400000_NS6detail17trampoline_kernelINS0_14default_configENS1_25partition_config_selectorILNS1_17partition_subalgoE1EjNS0_10empty_typeEbEEZZNS1_14partition_implILS5_1ELb0ES3_jN6thrust23THRUST_200600_302600_NS6detail15normal_iteratorINSA_10device_ptrIjEEEEPS6_NSA_18transform_iteratorI7is_evenIjESF_NSA_11use_defaultESK_EENS0_5tupleIJSF_NSA_16discard_iteratorISK_EEEEENSM_IJSG_SG_EEES6_PlJS6_EEE10hipError_tPvRmT3_T4_T5_T6_T7_T9_mT8_P12ihipStream_tbDpT10_ENKUlT_T0_E_clISt17integral_constantIbLb1EES1A_IbLb0EEEEDaS16_S17_EUlS16_E_NS1_11comp_targetILNS1_3genE0ELNS1_11target_archE4294967295ELNS1_3gpuE0ELNS1_3repE0EEENS1_30default_config_static_selectorELNS0_4arch9wavefront6targetE1EEEvT1_,comdat
.Lfunc_end3019:
	.size	_ZN7rocprim17ROCPRIM_400000_NS6detail17trampoline_kernelINS0_14default_configENS1_25partition_config_selectorILNS1_17partition_subalgoE1EjNS0_10empty_typeEbEEZZNS1_14partition_implILS5_1ELb0ES3_jN6thrust23THRUST_200600_302600_NS6detail15normal_iteratorINSA_10device_ptrIjEEEEPS6_NSA_18transform_iteratorI7is_evenIjESF_NSA_11use_defaultESK_EENS0_5tupleIJSF_NSA_16discard_iteratorISK_EEEEENSM_IJSG_SG_EEES6_PlJS6_EEE10hipError_tPvRmT3_T4_T5_T6_T7_T9_mT8_P12ihipStream_tbDpT10_ENKUlT_T0_E_clISt17integral_constantIbLb1EES1A_IbLb0EEEEDaS16_S17_EUlS16_E_NS1_11comp_targetILNS1_3genE0ELNS1_11target_archE4294967295ELNS1_3gpuE0ELNS1_3repE0EEENS1_30default_config_static_selectorELNS0_4arch9wavefront6targetE1EEEvT1_, .Lfunc_end3019-_ZN7rocprim17ROCPRIM_400000_NS6detail17trampoline_kernelINS0_14default_configENS1_25partition_config_selectorILNS1_17partition_subalgoE1EjNS0_10empty_typeEbEEZZNS1_14partition_implILS5_1ELb0ES3_jN6thrust23THRUST_200600_302600_NS6detail15normal_iteratorINSA_10device_ptrIjEEEEPS6_NSA_18transform_iteratorI7is_evenIjESF_NSA_11use_defaultESK_EENS0_5tupleIJSF_NSA_16discard_iteratorISK_EEEEENSM_IJSG_SG_EEES6_PlJS6_EEE10hipError_tPvRmT3_T4_T5_T6_T7_T9_mT8_P12ihipStream_tbDpT10_ENKUlT_T0_E_clISt17integral_constantIbLb1EES1A_IbLb0EEEEDaS16_S17_EUlS16_E_NS1_11comp_targetILNS1_3genE0ELNS1_11target_archE4294967295ELNS1_3gpuE0ELNS1_3repE0EEENS1_30default_config_static_selectorELNS0_4arch9wavefront6targetE1EEEvT1_
                                        ; -- End function
	.section	.AMDGPU.csdata,"",@progbits
; Kernel info:
; codeLenInByte = 0
; NumSgprs: 4
; NumVgprs: 0
; NumAgprs: 0
; TotalNumVgprs: 0
; ScratchSize: 0
; MemoryBound: 0
; FloatMode: 240
; IeeeMode: 1
; LDSByteSize: 0 bytes/workgroup (compile time only)
; SGPRBlocks: 0
; VGPRBlocks: 0
; NumSGPRsForWavesPerEU: 4
; NumVGPRsForWavesPerEU: 1
; AccumOffset: 4
; Occupancy: 8
; WaveLimiterHint : 0
; COMPUTE_PGM_RSRC2:SCRATCH_EN: 0
; COMPUTE_PGM_RSRC2:USER_SGPR: 6
; COMPUTE_PGM_RSRC2:TRAP_HANDLER: 0
; COMPUTE_PGM_RSRC2:TGID_X_EN: 1
; COMPUTE_PGM_RSRC2:TGID_Y_EN: 0
; COMPUTE_PGM_RSRC2:TGID_Z_EN: 0
; COMPUTE_PGM_RSRC2:TIDIG_COMP_CNT: 0
; COMPUTE_PGM_RSRC3_GFX90A:ACCUM_OFFSET: 0
; COMPUTE_PGM_RSRC3_GFX90A:TG_SPLIT: 0
	.section	.text._ZN7rocprim17ROCPRIM_400000_NS6detail17trampoline_kernelINS0_14default_configENS1_25partition_config_selectorILNS1_17partition_subalgoE1EjNS0_10empty_typeEbEEZZNS1_14partition_implILS5_1ELb0ES3_jN6thrust23THRUST_200600_302600_NS6detail15normal_iteratorINSA_10device_ptrIjEEEEPS6_NSA_18transform_iteratorI7is_evenIjESF_NSA_11use_defaultESK_EENS0_5tupleIJSF_NSA_16discard_iteratorISK_EEEEENSM_IJSG_SG_EEES6_PlJS6_EEE10hipError_tPvRmT3_T4_T5_T6_T7_T9_mT8_P12ihipStream_tbDpT10_ENKUlT_T0_E_clISt17integral_constantIbLb1EES1A_IbLb0EEEEDaS16_S17_EUlS16_E_NS1_11comp_targetILNS1_3genE5ELNS1_11target_archE942ELNS1_3gpuE9ELNS1_3repE0EEENS1_30default_config_static_selectorELNS0_4arch9wavefront6targetE1EEEvT1_,"axG",@progbits,_ZN7rocprim17ROCPRIM_400000_NS6detail17trampoline_kernelINS0_14default_configENS1_25partition_config_selectorILNS1_17partition_subalgoE1EjNS0_10empty_typeEbEEZZNS1_14partition_implILS5_1ELb0ES3_jN6thrust23THRUST_200600_302600_NS6detail15normal_iteratorINSA_10device_ptrIjEEEEPS6_NSA_18transform_iteratorI7is_evenIjESF_NSA_11use_defaultESK_EENS0_5tupleIJSF_NSA_16discard_iteratorISK_EEEEENSM_IJSG_SG_EEES6_PlJS6_EEE10hipError_tPvRmT3_T4_T5_T6_T7_T9_mT8_P12ihipStream_tbDpT10_ENKUlT_T0_E_clISt17integral_constantIbLb1EES1A_IbLb0EEEEDaS16_S17_EUlS16_E_NS1_11comp_targetILNS1_3genE5ELNS1_11target_archE942ELNS1_3gpuE9ELNS1_3repE0EEENS1_30default_config_static_selectorELNS0_4arch9wavefront6targetE1EEEvT1_,comdat
	.protected	_ZN7rocprim17ROCPRIM_400000_NS6detail17trampoline_kernelINS0_14default_configENS1_25partition_config_selectorILNS1_17partition_subalgoE1EjNS0_10empty_typeEbEEZZNS1_14partition_implILS5_1ELb0ES3_jN6thrust23THRUST_200600_302600_NS6detail15normal_iteratorINSA_10device_ptrIjEEEEPS6_NSA_18transform_iteratorI7is_evenIjESF_NSA_11use_defaultESK_EENS0_5tupleIJSF_NSA_16discard_iteratorISK_EEEEENSM_IJSG_SG_EEES6_PlJS6_EEE10hipError_tPvRmT3_T4_T5_T6_T7_T9_mT8_P12ihipStream_tbDpT10_ENKUlT_T0_E_clISt17integral_constantIbLb1EES1A_IbLb0EEEEDaS16_S17_EUlS16_E_NS1_11comp_targetILNS1_3genE5ELNS1_11target_archE942ELNS1_3gpuE9ELNS1_3repE0EEENS1_30default_config_static_selectorELNS0_4arch9wavefront6targetE1EEEvT1_ ; -- Begin function _ZN7rocprim17ROCPRIM_400000_NS6detail17trampoline_kernelINS0_14default_configENS1_25partition_config_selectorILNS1_17partition_subalgoE1EjNS0_10empty_typeEbEEZZNS1_14partition_implILS5_1ELb0ES3_jN6thrust23THRUST_200600_302600_NS6detail15normal_iteratorINSA_10device_ptrIjEEEEPS6_NSA_18transform_iteratorI7is_evenIjESF_NSA_11use_defaultESK_EENS0_5tupleIJSF_NSA_16discard_iteratorISK_EEEEENSM_IJSG_SG_EEES6_PlJS6_EEE10hipError_tPvRmT3_T4_T5_T6_T7_T9_mT8_P12ihipStream_tbDpT10_ENKUlT_T0_E_clISt17integral_constantIbLb1EES1A_IbLb0EEEEDaS16_S17_EUlS16_E_NS1_11comp_targetILNS1_3genE5ELNS1_11target_archE942ELNS1_3gpuE9ELNS1_3repE0EEENS1_30default_config_static_selectorELNS0_4arch9wavefront6targetE1EEEvT1_
	.globl	_ZN7rocprim17ROCPRIM_400000_NS6detail17trampoline_kernelINS0_14default_configENS1_25partition_config_selectorILNS1_17partition_subalgoE1EjNS0_10empty_typeEbEEZZNS1_14partition_implILS5_1ELb0ES3_jN6thrust23THRUST_200600_302600_NS6detail15normal_iteratorINSA_10device_ptrIjEEEEPS6_NSA_18transform_iteratorI7is_evenIjESF_NSA_11use_defaultESK_EENS0_5tupleIJSF_NSA_16discard_iteratorISK_EEEEENSM_IJSG_SG_EEES6_PlJS6_EEE10hipError_tPvRmT3_T4_T5_T6_T7_T9_mT8_P12ihipStream_tbDpT10_ENKUlT_T0_E_clISt17integral_constantIbLb1EES1A_IbLb0EEEEDaS16_S17_EUlS16_E_NS1_11comp_targetILNS1_3genE5ELNS1_11target_archE942ELNS1_3gpuE9ELNS1_3repE0EEENS1_30default_config_static_selectorELNS0_4arch9wavefront6targetE1EEEvT1_
	.p2align	8
	.type	_ZN7rocprim17ROCPRIM_400000_NS6detail17trampoline_kernelINS0_14default_configENS1_25partition_config_selectorILNS1_17partition_subalgoE1EjNS0_10empty_typeEbEEZZNS1_14partition_implILS5_1ELb0ES3_jN6thrust23THRUST_200600_302600_NS6detail15normal_iteratorINSA_10device_ptrIjEEEEPS6_NSA_18transform_iteratorI7is_evenIjESF_NSA_11use_defaultESK_EENS0_5tupleIJSF_NSA_16discard_iteratorISK_EEEEENSM_IJSG_SG_EEES6_PlJS6_EEE10hipError_tPvRmT3_T4_T5_T6_T7_T9_mT8_P12ihipStream_tbDpT10_ENKUlT_T0_E_clISt17integral_constantIbLb1EES1A_IbLb0EEEEDaS16_S17_EUlS16_E_NS1_11comp_targetILNS1_3genE5ELNS1_11target_archE942ELNS1_3gpuE9ELNS1_3repE0EEENS1_30default_config_static_selectorELNS0_4arch9wavefront6targetE1EEEvT1_,@function
_ZN7rocprim17ROCPRIM_400000_NS6detail17trampoline_kernelINS0_14default_configENS1_25partition_config_selectorILNS1_17partition_subalgoE1EjNS0_10empty_typeEbEEZZNS1_14partition_implILS5_1ELb0ES3_jN6thrust23THRUST_200600_302600_NS6detail15normal_iteratorINSA_10device_ptrIjEEEEPS6_NSA_18transform_iteratorI7is_evenIjESF_NSA_11use_defaultESK_EENS0_5tupleIJSF_NSA_16discard_iteratorISK_EEEEENSM_IJSG_SG_EEES6_PlJS6_EEE10hipError_tPvRmT3_T4_T5_T6_T7_T9_mT8_P12ihipStream_tbDpT10_ENKUlT_T0_E_clISt17integral_constantIbLb1EES1A_IbLb0EEEEDaS16_S17_EUlS16_E_NS1_11comp_targetILNS1_3genE5ELNS1_11target_archE942ELNS1_3gpuE9ELNS1_3repE0EEENS1_30default_config_static_selectorELNS0_4arch9wavefront6targetE1EEEvT1_: ; @_ZN7rocprim17ROCPRIM_400000_NS6detail17trampoline_kernelINS0_14default_configENS1_25partition_config_selectorILNS1_17partition_subalgoE1EjNS0_10empty_typeEbEEZZNS1_14partition_implILS5_1ELb0ES3_jN6thrust23THRUST_200600_302600_NS6detail15normal_iteratorINSA_10device_ptrIjEEEEPS6_NSA_18transform_iteratorI7is_evenIjESF_NSA_11use_defaultESK_EENS0_5tupleIJSF_NSA_16discard_iteratorISK_EEEEENSM_IJSG_SG_EEES6_PlJS6_EEE10hipError_tPvRmT3_T4_T5_T6_T7_T9_mT8_P12ihipStream_tbDpT10_ENKUlT_T0_E_clISt17integral_constantIbLb1EES1A_IbLb0EEEEDaS16_S17_EUlS16_E_NS1_11comp_targetILNS1_3genE5ELNS1_11target_archE942ELNS1_3gpuE9ELNS1_3repE0EEENS1_30default_config_static_selectorELNS0_4arch9wavefront6targetE1EEEvT1_
; %bb.0:
	.section	.rodata,"a",@progbits
	.p2align	6, 0x0
	.amdhsa_kernel _ZN7rocprim17ROCPRIM_400000_NS6detail17trampoline_kernelINS0_14default_configENS1_25partition_config_selectorILNS1_17partition_subalgoE1EjNS0_10empty_typeEbEEZZNS1_14partition_implILS5_1ELb0ES3_jN6thrust23THRUST_200600_302600_NS6detail15normal_iteratorINSA_10device_ptrIjEEEEPS6_NSA_18transform_iteratorI7is_evenIjESF_NSA_11use_defaultESK_EENS0_5tupleIJSF_NSA_16discard_iteratorISK_EEEEENSM_IJSG_SG_EEES6_PlJS6_EEE10hipError_tPvRmT3_T4_T5_T6_T7_T9_mT8_P12ihipStream_tbDpT10_ENKUlT_T0_E_clISt17integral_constantIbLb1EES1A_IbLb0EEEEDaS16_S17_EUlS16_E_NS1_11comp_targetILNS1_3genE5ELNS1_11target_archE942ELNS1_3gpuE9ELNS1_3repE0EEENS1_30default_config_static_selectorELNS0_4arch9wavefront6targetE1EEEvT1_
		.amdhsa_group_segment_fixed_size 0
		.amdhsa_private_segment_fixed_size 0
		.amdhsa_kernarg_size 136
		.amdhsa_user_sgpr_count 6
		.amdhsa_user_sgpr_private_segment_buffer 1
		.amdhsa_user_sgpr_dispatch_ptr 0
		.amdhsa_user_sgpr_queue_ptr 0
		.amdhsa_user_sgpr_kernarg_segment_ptr 1
		.amdhsa_user_sgpr_dispatch_id 0
		.amdhsa_user_sgpr_flat_scratch_init 0
		.amdhsa_user_sgpr_kernarg_preload_length 0
		.amdhsa_user_sgpr_kernarg_preload_offset 0
		.amdhsa_user_sgpr_private_segment_size 0
		.amdhsa_uses_dynamic_stack 0
		.amdhsa_system_sgpr_private_segment_wavefront_offset 0
		.amdhsa_system_sgpr_workgroup_id_x 1
		.amdhsa_system_sgpr_workgroup_id_y 0
		.amdhsa_system_sgpr_workgroup_id_z 0
		.amdhsa_system_sgpr_workgroup_info 0
		.amdhsa_system_vgpr_workitem_id 0
		.amdhsa_next_free_vgpr 1
		.amdhsa_next_free_sgpr 0
		.amdhsa_accum_offset 4
		.amdhsa_reserve_vcc 0
		.amdhsa_reserve_flat_scratch 0
		.amdhsa_float_round_mode_32 0
		.amdhsa_float_round_mode_16_64 0
		.amdhsa_float_denorm_mode_32 3
		.amdhsa_float_denorm_mode_16_64 3
		.amdhsa_dx10_clamp 1
		.amdhsa_ieee_mode 1
		.amdhsa_fp16_overflow 0
		.amdhsa_tg_split 0
		.amdhsa_exception_fp_ieee_invalid_op 0
		.amdhsa_exception_fp_denorm_src 0
		.amdhsa_exception_fp_ieee_div_zero 0
		.amdhsa_exception_fp_ieee_overflow 0
		.amdhsa_exception_fp_ieee_underflow 0
		.amdhsa_exception_fp_ieee_inexact 0
		.amdhsa_exception_int_div_zero 0
	.end_amdhsa_kernel
	.section	.text._ZN7rocprim17ROCPRIM_400000_NS6detail17trampoline_kernelINS0_14default_configENS1_25partition_config_selectorILNS1_17partition_subalgoE1EjNS0_10empty_typeEbEEZZNS1_14partition_implILS5_1ELb0ES3_jN6thrust23THRUST_200600_302600_NS6detail15normal_iteratorINSA_10device_ptrIjEEEEPS6_NSA_18transform_iteratorI7is_evenIjESF_NSA_11use_defaultESK_EENS0_5tupleIJSF_NSA_16discard_iteratorISK_EEEEENSM_IJSG_SG_EEES6_PlJS6_EEE10hipError_tPvRmT3_T4_T5_T6_T7_T9_mT8_P12ihipStream_tbDpT10_ENKUlT_T0_E_clISt17integral_constantIbLb1EES1A_IbLb0EEEEDaS16_S17_EUlS16_E_NS1_11comp_targetILNS1_3genE5ELNS1_11target_archE942ELNS1_3gpuE9ELNS1_3repE0EEENS1_30default_config_static_selectorELNS0_4arch9wavefront6targetE1EEEvT1_,"axG",@progbits,_ZN7rocprim17ROCPRIM_400000_NS6detail17trampoline_kernelINS0_14default_configENS1_25partition_config_selectorILNS1_17partition_subalgoE1EjNS0_10empty_typeEbEEZZNS1_14partition_implILS5_1ELb0ES3_jN6thrust23THRUST_200600_302600_NS6detail15normal_iteratorINSA_10device_ptrIjEEEEPS6_NSA_18transform_iteratorI7is_evenIjESF_NSA_11use_defaultESK_EENS0_5tupleIJSF_NSA_16discard_iteratorISK_EEEEENSM_IJSG_SG_EEES6_PlJS6_EEE10hipError_tPvRmT3_T4_T5_T6_T7_T9_mT8_P12ihipStream_tbDpT10_ENKUlT_T0_E_clISt17integral_constantIbLb1EES1A_IbLb0EEEEDaS16_S17_EUlS16_E_NS1_11comp_targetILNS1_3genE5ELNS1_11target_archE942ELNS1_3gpuE9ELNS1_3repE0EEENS1_30default_config_static_selectorELNS0_4arch9wavefront6targetE1EEEvT1_,comdat
.Lfunc_end3020:
	.size	_ZN7rocprim17ROCPRIM_400000_NS6detail17trampoline_kernelINS0_14default_configENS1_25partition_config_selectorILNS1_17partition_subalgoE1EjNS0_10empty_typeEbEEZZNS1_14partition_implILS5_1ELb0ES3_jN6thrust23THRUST_200600_302600_NS6detail15normal_iteratorINSA_10device_ptrIjEEEEPS6_NSA_18transform_iteratorI7is_evenIjESF_NSA_11use_defaultESK_EENS0_5tupleIJSF_NSA_16discard_iteratorISK_EEEEENSM_IJSG_SG_EEES6_PlJS6_EEE10hipError_tPvRmT3_T4_T5_T6_T7_T9_mT8_P12ihipStream_tbDpT10_ENKUlT_T0_E_clISt17integral_constantIbLb1EES1A_IbLb0EEEEDaS16_S17_EUlS16_E_NS1_11comp_targetILNS1_3genE5ELNS1_11target_archE942ELNS1_3gpuE9ELNS1_3repE0EEENS1_30default_config_static_selectorELNS0_4arch9wavefront6targetE1EEEvT1_, .Lfunc_end3020-_ZN7rocprim17ROCPRIM_400000_NS6detail17trampoline_kernelINS0_14default_configENS1_25partition_config_selectorILNS1_17partition_subalgoE1EjNS0_10empty_typeEbEEZZNS1_14partition_implILS5_1ELb0ES3_jN6thrust23THRUST_200600_302600_NS6detail15normal_iteratorINSA_10device_ptrIjEEEEPS6_NSA_18transform_iteratorI7is_evenIjESF_NSA_11use_defaultESK_EENS0_5tupleIJSF_NSA_16discard_iteratorISK_EEEEENSM_IJSG_SG_EEES6_PlJS6_EEE10hipError_tPvRmT3_T4_T5_T6_T7_T9_mT8_P12ihipStream_tbDpT10_ENKUlT_T0_E_clISt17integral_constantIbLb1EES1A_IbLb0EEEEDaS16_S17_EUlS16_E_NS1_11comp_targetILNS1_3genE5ELNS1_11target_archE942ELNS1_3gpuE9ELNS1_3repE0EEENS1_30default_config_static_selectorELNS0_4arch9wavefront6targetE1EEEvT1_
                                        ; -- End function
	.section	.AMDGPU.csdata,"",@progbits
; Kernel info:
; codeLenInByte = 0
; NumSgprs: 4
; NumVgprs: 0
; NumAgprs: 0
; TotalNumVgprs: 0
; ScratchSize: 0
; MemoryBound: 0
; FloatMode: 240
; IeeeMode: 1
; LDSByteSize: 0 bytes/workgroup (compile time only)
; SGPRBlocks: 0
; VGPRBlocks: 0
; NumSGPRsForWavesPerEU: 4
; NumVGPRsForWavesPerEU: 1
; AccumOffset: 4
; Occupancy: 8
; WaveLimiterHint : 0
; COMPUTE_PGM_RSRC2:SCRATCH_EN: 0
; COMPUTE_PGM_RSRC2:USER_SGPR: 6
; COMPUTE_PGM_RSRC2:TRAP_HANDLER: 0
; COMPUTE_PGM_RSRC2:TGID_X_EN: 1
; COMPUTE_PGM_RSRC2:TGID_Y_EN: 0
; COMPUTE_PGM_RSRC2:TGID_Z_EN: 0
; COMPUTE_PGM_RSRC2:TIDIG_COMP_CNT: 0
; COMPUTE_PGM_RSRC3_GFX90A:ACCUM_OFFSET: 0
; COMPUTE_PGM_RSRC3_GFX90A:TG_SPLIT: 0
	.section	.text._ZN7rocprim17ROCPRIM_400000_NS6detail17trampoline_kernelINS0_14default_configENS1_25partition_config_selectorILNS1_17partition_subalgoE1EjNS0_10empty_typeEbEEZZNS1_14partition_implILS5_1ELb0ES3_jN6thrust23THRUST_200600_302600_NS6detail15normal_iteratorINSA_10device_ptrIjEEEEPS6_NSA_18transform_iteratorI7is_evenIjESF_NSA_11use_defaultESK_EENS0_5tupleIJSF_NSA_16discard_iteratorISK_EEEEENSM_IJSG_SG_EEES6_PlJS6_EEE10hipError_tPvRmT3_T4_T5_T6_T7_T9_mT8_P12ihipStream_tbDpT10_ENKUlT_T0_E_clISt17integral_constantIbLb1EES1A_IbLb0EEEEDaS16_S17_EUlS16_E_NS1_11comp_targetILNS1_3genE4ELNS1_11target_archE910ELNS1_3gpuE8ELNS1_3repE0EEENS1_30default_config_static_selectorELNS0_4arch9wavefront6targetE1EEEvT1_,"axG",@progbits,_ZN7rocprim17ROCPRIM_400000_NS6detail17trampoline_kernelINS0_14default_configENS1_25partition_config_selectorILNS1_17partition_subalgoE1EjNS0_10empty_typeEbEEZZNS1_14partition_implILS5_1ELb0ES3_jN6thrust23THRUST_200600_302600_NS6detail15normal_iteratorINSA_10device_ptrIjEEEEPS6_NSA_18transform_iteratorI7is_evenIjESF_NSA_11use_defaultESK_EENS0_5tupleIJSF_NSA_16discard_iteratorISK_EEEEENSM_IJSG_SG_EEES6_PlJS6_EEE10hipError_tPvRmT3_T4_T5_T6_T7_T9_mT8_P12ihipStream_tbDpT10_ENKUlT_T0_E_clISt17integral_constantIbLb1EES1A_IbLb0EEEEDaS16_S17_EUlS16_E_NS1_11comp_targetILNS1_3genE4ELNS1_11target_archE910ELNS1_3gpuE8ELNS1_3repE0EEENS1_30default_config_static_selectorELNS0_4arch9wavefront6targetE1EEEvT1_,comdat
	.protected	_ZN7rocprim17ROCPRIM_400000_NS6detail17trampoline_kernelINS0_14default_configENS1_25partition_config_selectorILNS1_17partition_subalgoE1EjNS0_10empty_typeEbEEZZNS1_14partition_implILS5_1ELb0ES3_jN6thrust23THRUST_200600_302600_NS6detail15normal_iteratorINSA_10device_ptrIjEEEEPS6_NSA_18transform_iteratorI7is_evenIjESF_NSA_11use_defaultESK_EENS0_5tupleIJSF_NSA_16discard_iteratorISK_EEEEENSM_IJSG_SG_EEES6_PlJS6_EEE10hipError_tPvRmT3_T4_T5_T6_T7_T9_mT8_P12ihipStream_tbDpT10_ENKUlT_T0_E_clISt17integral_constantIbLb1EES1A_IbLb0EEEEDaS16_S17_EUlS16_E_NS1_11comp_targetILNS1_3genE4ELNS1_11target_archE910ELNS1_3gpuE8ELNS1_3repE0EEENS1_30default_config_static_selectorELNS0_4arch9wavefront6targetE1EEEvT1_ ; -- Begin function _ZN7rocprim17ROCPRIM_400000_NS6detail17trampoline_kernelINS0_14default_configENS1_25partition_config_selectorILNS1_17partition_subalgoE1EjNS0_10empty_typeEbEEZZNS1_14partition_implILS5_1ELb0ES3_jN6thrust23THRUST_200600_302600_NS6detail15normal_iteratorINSA_10device_ptrIjEEEEPS6_NSA_18transform_iteratorI7is_evenIjESF_NSA_11use_defaultESK_EENS0_5tupleIJSF_NSA_16discard_iteratorISK_EEEEENSM_IJSG_SG_EEES6_PlJS6_EEE10hipError_tPvRmT3_T4_T5_T6_T7_T9_mT8_P12ihipStream_tbDpT10_ENKUlT_T0_E_clISt17integral_constantIbLb1EES1A_IbLb0EEEEDaS16_S17_EUlS16_E_NS1_11comp_targetILNS1_3genE4ELNS1_11target_archE910ELNS1_3gpuE8ELNS1_3repE0EEENS1_30default_config_static_selectorELNS0_4arch9wavefront6targetE1EEEvT1_
	.globl	_ZN7rocprim17ROCPRIM_400000_NS6detail17trampoline_kernelINS0_14default_configENS1_25partition_config_selectorILNS1_17partition_subalgoE1EjNS0_10empty_typeEbEEZZNS1_14partition_implILS5_1ELb0ES3_jN6thrust23THRUST_200600_302600_NS6detail15normal_iteratorINSA_10device_ptrIjEEEEPS6_NSA_18transform_iteratorI7is_evenIjESF_NSA_11use_defaultESK_EENS0_5tupleIJSF_NSA_16discard_iteratorISK_EEEEENSM_IJSG_SG_EEES6_PlJS6_EEE10hipError_tPvRmT3_T4_T5_T6_T7_T9_mT8_P12ihipStream_tbDpT10_ENKUlT_T0_E_clISt17integral_constantIbLb1EES1A_IbLb0EEEEDaS16_S17_EUlS16_E_NS1_11comp_targetILNS1_3genE4ELNS1_11target_archE910ELNS1_3gpuE8ELNS1_3repE0EEENS1_30default_config_static_selectorELNS0_4arch9wavefront6targetE1EEEvT1_
	.p2align	8
	.type	_ZN7rocprim17ROCPRIM_400000_NS6detail17trampoline_kernelINS0_14default_configENS1_25partition_config_selectorILNS1_17partition_subalgoE1EjNS0_10empty_typeEbEEZZNS1_14partition_implILS5_1ELb0ES3_jN6thrust23THRUST_200600_302600_NS6detail15normal_iteratorINSA_10device_ptrIjEEEEPS6_NSA_18transform_iteratorI7is_evenIjESF_NSA_11use_defaultESK_EENS0_5tupleIJSF_NSA_16discard_iteratorISK_EEEEENSM_IJSG_SG_EEES6_PlJS6_EEE10hipError_tPvRmT3_T4_T5_T6_T7_T9_mT8_P12ihipStream_tbDpT10_ENKUlT_T0_E_clISt17integral_constantIbLb1EES1A_IbLb0EEEEDaS16_S17_EUlS16_E_NS1_11comp_targetILNS1_3genE4ELNS1_11target_archE910ELNS1_3gpuE8ELNS1_3repE0EEENS1_30default_config_static_selectorELNS0_4arch9wavefront6targetE1EEEvT1_,@function
_ZN7rocprim17ROCPRIM_400000_NS6detail17trampoline_kernelINS0_14default_configENS1_25partition_config_selectorILNS1_17partition_subalgoE1EjNS0_10empty_typeEbEEZZNS1_14partition_implILS5_1ELb0ES3_jN6thrust23THRUST_200600_302600_NS6detail15normal_iteratorINSA_10device_ptrIjEEEEPS6_NSA_18transform_iteratorI7is_evenIjESF_NSA_11use_defaultESK_EENS0_5tupleIJSF_NSA_16discard_iteratorISK_EEEEENSM_IJSG_SG_EEES6_PlJS6_EEE10hipError_tPvRmT3_T4_T5_T6_T7_T9_mT8_P12ihipStream_tbDpT10_ENKUlT_T0_E_clISt17integral_constantIbLb1EES1A_IbLb0EEEEDaS16_S17_EUlS16_E_NS1_11comp_targetILNS1_3genE4ELNS1_11target_archE910ELNS1_3gpuE8ELNS1_3repE0EEENS1_30default_config_static_selectorELNS0_4arch9wavefront6targetE1EEEvT1_: ; @_ZN7rocprim17ROCPRIM_400000_NS6detail17trampoline_kernelINS0_14default_configENS1_25partition_config_selectorILNS1_17partition_subalgoE1EjNS0_10empty_typeEbEEZZNS1_14partition_implILS5_1ELb0ES3_jN6thrust23THRUST_200600_302600_NS6detail15normal_iteratorINSA_10device_ptrIjEEEEPS6_NSA_18transform_iteratorI7is_evenIjESF_NSA_11use_defaultESK_EENS0_5tupleIJSF_NSA_16discard_iteratorISK_EEEEENSM_IJSG_SG_EEES6_PlJS6_EEE10hipError_tPvRmT3_T4_T5_T6_T7_T9_mT8_P12ihipStream_tbDpT10_ENKUlT_T0_E_clISt17integral_constantIbLb1EES1A_IbLb0EEEEDaS16_S17_EUlS16_E_NS1_11comp_targetILNS1_3genE4ELNS1_11target_archE910ELNS1_3gpuE8ELNS1_3repE0EEENS1_30default_config_static_selectorELNS0_4arch9wavefront6targetE1EEEvT1_
; %bb.0:
	s_load_dwordx2 s[0:1], s[4:5], 0x68
	s_load_dwordx4 s[12:15], s[4:5], 0x8
	s_load_dwordx2 s[2:3], s[4:5], 0x20
	s_load_dwordx4 s[20:23], s[4:5], 0x58
	s_mul_i32 s10, s6, 0x700
	s_waitcnt lgkmcnt(0)
	v_mov_b32_e32 v3, s1
	s_load_dword s1, s[4:5], 0x80
	s_lshl_b64 s[8:9], s[14:15], 2
	s_add_u32 s7, s12, s8
	s_addc_u32 s12, s13, s9
	v_mov_b32_e32 v2, s0
	s_waitcnt lgkmcnt(0)
	s_add_i32 s13, s1, -1
	s_mulk_i32 s1, 0x700
	s_add_i32 s11, s1, s14
	s_sub_i32 s33, s0, s11
	s_addk_i32 s33, 0x700
	s_add_u32 s0, s14, s1
	s_addc_u32 s1, s15, 0
	s_cmp_eq_u32 s6, s13
	s_load_dwordx2 s[22:23], s[22:23], 0x0
	s_cselect_b64 s[24:25], -1, 0
	s_cmp_lg_u32 s6, s13
	s_mov_b32 s11, 0
	v_cmp_lt_u64_e32 vcc, s[0:1], v[2:3]
	s_cselect_b64 s[0:1], -1, 0
	s_or_b64 s[26:27], s[0:1], vcc
	s_lshl_b64 s[10:11], s[10:11], 2
	s_add_u32 s7, s7, s10
	s_addc_u32 s14, s12, s11
	s_mov_b64 s[0:1], -1
	s_and_b64 vcc, exec, s[26:27]
	v_lshlrev_b32_e32 v1, 2, v0
	s_cbranch_vccz .LBB3021_2
; %bb.1:
	v_mov_b32_e32 v3, s14
	v_add_co_u32_e32 v2, vcc, s7, v1
	v_addc_co_u32_e32 v3, vcc, 0, v3, vcc
	v_add_co_u32_e32 v4, vcc, 0x1000, v2
	v_addc_co_u32_e32 v5, vcc, 0, v3, vcc
	flat_load_dword v6, v[2:3]
	flat_load_dword v7, v[2:3] offset:1024
	flat_load_dword v8, v[2:3] offset:2048
	;; [unrolled: 1-line block ×3, first 2 shown]
	flat_load_dword v10, v[4:5]
	flat_load_dword v11, v[4:5] offset:1024
	flat_load_dword v12, v[4:5] offset:2048
	s_mov_b64 s[0:1], 0
	s_waitcnt vmcnt(0) lgkmcnt(0)
	ds_write2st64_b32 v1, v6, v7 offset1:4
	ds_write2st64_b32 v1, v8, v9 offset0:8 offset1:12
	ds_write2st64_b32 v1, v10, v11 offset0:16 offset1:20
	ds_write_b32 v1, v12 offset:6144
	s_waitcnt lgkmcnt(0)
	s_barrier
.LBB3021_2:
	s_andn2_b64 vcc, exec, s[0:1]
	v_cmp_gt_u32_e64 s[0:1], s33, v0
	s_cbranch_vccnz .LBB3021_18
; %bb.3:
                                        ; implicit-def: $vgpr2_vgpr3_vgpr4_vgpr5_vgpr6_vgpr7_vgpr8
	s_and_saveexec_b64 s[12:13], s[0:1]
	s_cbranch_execz .LBB3021_5
; %bb.4:
	v_mov_b32_e32 v3, s14
	v_add_co_u32_e32 v2, vcc, s7, v1
	v_addc_co_u32_e32 v3, vcc, 0, v3, vcc
	flat_load_dword v2, v[2:3]
.LBB3021_5:
	s_or_b64 exec, exec, s[12:13]
	v_or_b32_e32 v9, 0x100, v0
	v_cmp_gt_u32_e32 vcc, s33, v9
	s_and_saveexec_b64 s[0:1], vcc
	s_cbranch_execz .LBB3021_7
; %bb.6:
	v_mov_b32_e32 v3, s14
	v_add_co_u32_e32 v10, vcc, s7, v1
	v_addc_co_u32_e32 v11, vcc, 0, v3, vcc
	flat_load_dword v3, v[10:11] offset:1024
.LBB3021_7:
	s_or_b64 exec, exec, s[0:1]
	v_or_b32_e32 v9, 0x200, v0
	v_cmp_gt_u32_e32 vcc, s33, v9
	s_and_saveexec_b64 s[0:1], vcc
	s_cbranch_execz .LBB3021_9
; %bb.8:
	v_mov_b32_e32 v4, s14
	v_add_co_u32_e32 v10, vcc, s7, v1
	v_addc_co_u32_e32 v11, vcc, 0, v4, vcc
	flat_load_dword v4, v[10:11] offset:2048
.LBB3021_9:
	;; [unrolled: 11-line block ×3, first 2 shown]
	s_or_b64 exec, exec, s[0:1]
	v_or_b32_e32 v9, 0x400, v0
	v_cmp_gt_u32_e32 vcc, s33, v9
	s_and_saveexec_b64 s[0:1], vcc
	s_cbranch_execz .LBB3021_13
; %bb.12:
	v_lshlrev_b32_e32 v6, 2, v9
	v_mov_b32_e32 v9, s14
	v_add_co_u32_e32 v10, vcc, s7, v6
	v_addc_co_u32_e32 v11, vcc, 0, v9, vcc
	flat_load_dword v6, v[10:11]
.LBB3021_13:
	s_or_b64 exec, exec, s[0:1]
	v_or_b32_e32 v9, 0x500, v0
	v_cmp_gt_u32_e32 vcc, s33, v9
	s_and_saveexec_b64 s[0:1], vcc
	s_cbranch_execz .LBB3021_15
; %bb.14:
	v_lshlrev_b32_e32 v7, 2, v9
	v_mov_b32_e32 v9, s14
	v_add_co_u32_e32 v10, vcc, s7, v7
	v_addc_co_u32_e32 v11, vcc, 0, v9, vcc
	flat_load_dword v7, v[10:11]
.LBB3021_15:
	;; [unrolled: 12-line block ×3, first 2 shown]
	s_or_b64 exec, exec, s[0:1]
	s_waitcnt vmcnt(0) lgkmcnt(0)
	ds_write2st64_b32 v1, v2, v3 offset1:4
	ds_write2st64_b32 v1, v4, v5 offset0:8 offset1:12
	ds_write2st64_b32 v1, v6, v7 offset0:16 offset1:20
	ds_write_b32 v1, v8 offset:6144
	s_waitcnt lgkmcnt(0)
	s_barrier
.LBB3021_18:
	v_mul_u32_u24_e32 v19, 7, v0
	v_lshlrev_b32_e32 v8, 2, v19
	s_waitcnt lgkmcnt(0)
	ds_read2_b32 v[6:7], v8 offset1:1
	ds_read2_b32 v[4:5], v8 offset0:2 offset1:3
	ds_read2_b32 v[2:3], v8 offset0:4 offset1:5
	ds_read_b32 v18, v8 offset:24
	s_add_u32 s0, s2, s8
	s_addc_u32 s1, s3, s9
	s_add_u32 s0, s0, s10
	s_addc_u32 s1, s1, s11
	s_mov_b64 s[2:3], -1
	s_and_b64 vcc, exec, s[26:27]
	s_waitcnt lgkmcnt(0)
	s_barrier
	s_cbranch_vccz .LBB3021_20
; %bb.19:
	v_mov_b32_e32 v9, s1
	v_add_co_u32_e32 v10, vcc, s0, v1
	v_addc_co_u32_e32 v9, vcc, 0, v9, vcc
	s_movk_i32 s2, 0x1000
	v_add_co_u32_e32 v10, vcc, s2, v10
	global_load_dword v12, v1, s[0:1]
	global_load_dword v13, v1, s[0:1] offset:1024
	global_load_dword v14, v1, s[0:1] offset:2048
	;; [unrolled: 1-line block ×3, first 2 shown]
	v_addc_co_u32_e32 v11, vcc, 0, v9, vcc
	global_load_dword v9, v[10:11], off
	global_load_dword v16, v[10:11], off offset:1024
	global_load_dword v17, v[10:11], off offset:2048
	s_mov_b64 s[2:3], 0
	s_waitcnt vmcnt(6)
	v_xor_b32_e32 v10, -1, v12
	s_waitcnt vmcnt(5)
	v_xor_b32_e32 v11, -1, v13
	;; [unrolled: 2-line block ×4, first 2 shown]
	v_and_b32_e32 v10, 1, v10
	v_and_b32_e32 v11, 1, v11
	s_waitcnt vmcnt(2)
	v_xor_b32_e32 v9, -1, v9
	v_and_b32_e32 v12, 1, v12
	v_and_b32_e32 v13, 1, v13
	ds_write_b8 v0, v10
	ds_write_b8 v0, v11 offset:256
	ds_write_b8 v0, v12 offset:512
	;; [unrolled: 1-line block ×3, first 2 shown]
	s_waitcnt vmcnt(1)
	v_xor_b32_e32 v10, -1, v16
	s_waitcnt vmcnt(0)
	v_xor_b32_e32 v11, -1, v17
	v_and_b32_e32 v9, 1, v9
	v_and_b32_e32 v10, 1, v10
	;; [unrolled: 1-line block ×3, first 2 shown]
	ds_write_b8 v0, v9 offset:1024
	ds_write_b8 v0, v10 offset:1280
	;; [unrolled: 1-line block ×3, first 2 shown]
	s_waitcnt lgkmcnt(0)
	s_barrier
.LBB3021_20:
	s_load_dwordx2 s[28:29], s[4:5], 0x78
	s_andn2_b64 vcc, exec, s[2:3]
	s_cbranch_vccnz .LBB3021_36
; %bb.21:
	v_cmp_gt_u32_e32 vcc, s33, v0
	v_mov_b32_e32 v9, 0
	v_mov_b32_e32 v10, 0
	s_and_saveexec_b64 s[2:3], vcc
	s_cbranch_execz .LBB3021_23
; %bb.22:
	global_load_dword v10, v1, s[0:1]
	s_waitcnt vmcnt(0)
	v_xor_b32_e32 v10, -1, v10
	v_and_b32_e32 v10, 1, v10
.LBB3021_23:
	s_or_b64 exec, exec, s[2:3]
	v_or_b32_e32 v11, 0x100, v0
	v_cmp_gt_u32_e32 vcc, s33, v11
	s_and_saveexec_b64 s[2:3], vcc
	s_cbranch_execz .LBB3021_25
; %bb.24:
	global_load_dword v9, v1, s[0:1] offset:1024
	s_waitcnt vmcnt(0)
	v_xor_b32_e32 v9, -1, v9
	v_and_b32_e32 v9, 1, v9
.LBB3021_25:
	s_or_b64 exec, exec, s[2:3]
	v_or_b32_e32 v11, 0x200, v0
	v_cmp_gt_u32_e32 vcc, s33, v11
	v_mov_b32_e32 v11, 0
	v_mov_b32_e32 v12, 0
	s_and_saveexec_b64 s[2:3], vcc
	s_cbranch_execz .LBB3021_27
; %bb.26:
	global_load_dword v12, v1, s[0:1] offset:2048
	s_waitcnt vmcnt(0)
	v_xor_b32_e32 v12, -1, v12
	v_and_b32_e32 v12, 1, v12
.LBB3021_27:
	s_or_b64 exec, exec, s[2:3]
	v_or_b32_e32 v13, 0x300, v0
	v_cmp_gt_u32_e32 vcc, s33, v13
	s_and_saveexec_b64 s[2:3], vcc
	s_cbranch_execz .LBB3021_29
; %bb.28:
	global_load_dword v11, v1, s[0:1] offset:3072
	s_waitcnt vmcnt(0)
	v_xor_b32_e32 v11, -1, v11
	v_and_b32_e32 v11, 1, v11
.LBB3021_29:
	s_or_b64 exec, exec, s[2:3]
	v_or_b32_e32 v15, 0x400, v0
	v_cmp_gt_u32_e32 vcc, s33, v15
	v_mov_b32_e32 v13, 0
	v_mov_b32_e32 v14, 0
	s_and_saveexec_b64 s[2:3], vcc
	s_cbranch_execz .LBB3021_31
; %bb.30:
	v_lshlrev_b32_e32 v14, 2, v15
	global_load_dword v14, v14, s[0:1]
	s_waitcnt vmcnt(0)
	v_xor_b32_e32 v14, -1, v14
	v_and_b32_e32 v14, 1, v14
.LBB3021_31:
	s_or_b64 exec, exec, s[2:3]
	v_or_b32_e32 v15, 0x500, v0
	v_cmp_gt_u32_e32 vcc, s33, v15
	s_and_saveexec_b64 s[2:3], vcc
	s_cbranch_execz .LBB3021_33
; %bb.32:
	v_lshlrev_b32_e32 v13, 2, v15
	global_load_dword v13, v13, s[0:1]
	s_waitcnt vmcnt(0)
	v_xor_b32_e32 v13, -1, v13
	v_and_b32_e32 v13, 1, v13
.LBB3021_33:
	s_or_b64 exec, exec, s[2:3]
	v_or_b32_e32 v16, 0x600, v0
	v_cmp_gt_u32_e32 vcc, s33, v16
	v_mov_b32_e32 v15, 0
	s_and_saveexec_b64 s[2:3], vcc
	s_cbranch_execz .LBB3021_35
; %bb.34:
	v_lshlrev_b32_e32 v15, 2, v16
	global_load_dword v15, v15, s[0:1]
	s_waitcnt vmcnt(0)
	v_xor_b32_e32 v15, -1, v15
	v_and_b32_e32 v15, 1, v15
.LBB3021_35:
	s_or_b64 exec, exec, s[2:3]
	ds_write_b8 v0, v10
	ds_write_b8 v0, v9 offset:256
	ds_write_b8 v0, v12 offset:512
	;; [unrolled: 1-line block ×6, first 2 shown]
	s_waitcnt lgkmcnt(0)
	s_barrier
.LBB3021_36:
	s_movk_i32 s0, 0xffeb
	v_mad_i32_i24 v28, v0, s0, v8
	s_waitcnt lgkmcnt(0)
	ds_read_u8 v8, v28
	ds_read_u8 v9, v28 offset:1
	ds_read_u8 v10, v28 offset:2
	;; [unrolled: 1-line block ×6, first 2 shown]
	s_waitcnt lgkmcnt(6)
	v_and_b32_e32 v26, 1, v8
	s_waitcnt lgkmcnt(5)
	v_and_b32_e32 v25, 1, v9
	;; [unrolled: 2-line block ×5, first 2 shown]
	v_add3_u32 v8, v25, v26, v24
	s_waitcnt lgkmcnt(1)
	v_and_b32_e32 v21, 1, v13
	s_waitcnt lgkmcnt(0)
	v_and_b32_e32 v20, 1, v14
	v_add3_u32 v8, v8, v23, v22
	v_add3_u32 v30, v8, v21, v20
	v_mbcnt_lo_u32_b32 v8, -1, 0
	v_mbcnt_hi_u32_b32 v27, -1, v8
	v_and_b32_e32 v8, 15, v27
	v_cmp_eq_u32_e64 s[14:15], 0, v8
	v_cmp_lt_u32_e64 s[12:13], 1, v8
	v_cmp_lt_u32_e64 s[10:11], 3, v8
	;; [unrolled: 1-line block ×3, first 2 shown]
	v_and_b32_e32 v8, 16, v27
	v_cmp_eq_u32_e64 s[18:19], 0, v8
	v_or_b32_e32 v8, 63, v0
	s_cmp_lg_u32 s6, 0
	v_cmp_lt_u32_e64 s[0:1], 31, v27
	v_lshrrev_b32_e32 v29, 6, v0
	v_cmp_eq_u32_e64 s[2:3], v8, v0
	s_barrier
	s_cbranch_scc0 .LBB3021_67
; %bb.37:
	v_mov_b32_dpp v8, v30 row_shr:1 row_mask:0xf bank_mask:0xf
	v_cndmask_b32_e64 v8, v8, 0, s[14:15]
	v_add_u32_e32 v8, v8, v30
	s_nop 1
	v_mov_b32_dpp v9, v8 row_shr:2 row_mask:0xf bank_mask:0xf
	v_cndmask_b32_e64 v9, 0, v9, s[12:13]
	v_add_u32_e32 v8, v8, v9
	s_nop 1
	;; [unrolled: 4-line block ×4, first 2 shown]
	v_mov_b32_dpp v9, v8 row_bcast:15 row_mask:0xf bank_mask:0xf
	v_cndmask_b32_e64 v9, v9, 0, s[18:19]
	v_add_u32_e32 v8, v8, v9
	s_nop 1
	v_mov_b32_dpp v9, v8 row_bcast:31 row_mask:0xf bank_mask:0xf
	v_cndmask_b32_e64 v9, 0, v9, s[0:1]
	v_add_u32_e32 v8, v8, v9
	s_and_saveexec_b64 s[16:17], s[2:3]
	s_cbranch_execz .LBB3021_39
; %bb.38:
	v_lshlrev_b32_e32 v9, 2, v29
	ds_write_b32 v9, v8
.LBB3021_39:
	s_or_b64 exec, exec, s[16:17]
	v_cmp_gt_u32_e32 vcc, 4, v0
	s_waitcnt lgkmcnt(0)
	s_barrier
	s_and_saveexec_b64 s[16:17], vcc
	s_cbranch_execz .LBB3021_41
; %bb.40:
	ds_read_b32 v9, v1
	v_and_b32_e32 v10, 3, v27
	v_cmp_ne_u32_e32 vcc, 0, v10
	s_waitcnt lgkmcnt(0)
	v_mov_b32_dpp v11, v9 row_shr:1 row_mask:0xf bank_mask:0xf
	v_cndmask_b32_e32 v11, 0, v11, vcc
	v_add_u32_e32 v9, v11, v9
	v_cmp_lt_u32_e32 vcc, 1, v10
	s_nop 0
	v_mov_b32_dpp v11, v9 row_shr:2 row_mask:0xf bank_mask:0xf
	v_cndmask_b32_e32 v10, 0, v11, vcc
	v_add_u32_e32 v9, v9, v10
	ds_write_b32 v1, v9
.LBB3021_41:
	s_or_b64 exec, exec, s[16:17]
	v_cmp_gt_u32_e32 vcc, 64, v0
	v_cmp_lt_u32_e64 s[16:17], 63, v0
	s_waitcnt lgkmcnt(0)
	s_barrier
	s_waitcnt lgkmcnt(0)
                                        ; implicit-def: $vgpr31
	s_and_saveexec_b64 s[30:31], s[16:17]
	s_cbranch_execz .LBB3021_43
; %bb.42:
	v_lshl_add_u32 v9, v29, 2, -4
	ds_read_b32 v31, v9
	s_waitcnt lgkmcnt(0)
	v_add_u32_e32 v8, v31, v8
.LBB3021_43:
	s_or_b64 exec, exec, s[30:31]
	v_add_u32_e32 v9, -1, v27
	v_and_b32_e32 v10, 64, v27
	v_cmp_lt_i32_e64 s[16:17], v9, v10
	v_cndmask_b32_e64 v9, v9, v27, s[16:17]
	v_lshlrev_b32_e32 v9, 2, v9
	ds_bpermute_b32 v32, v9, v8
	v_cmp_eq_u32_e64 s[16:17], 0, v27
	s_and_saveexec_b64 s[30:31], vcc
	s_cbranch_execz .LBB3021_66
; %bb.44:
	v_mov_b32_e32 v17, 0
	ds_read_b32 v8, v17 offset:12
	s_and_saveexec_b64 s[34:35], s[16:17]
	s_cbranch_execz .LBB3021_46
; %bb.45:
	s_add_i32 s36, s6, 64
	s_mov_b32 s37, 0
	s_lshl_b64 s[36:37], s[36:37], 3
	s_add_u32 s36, s28, s36
	v_mov_b32_e32 v9, 1
	s_addc_u32 s37, s29, s37
	s_waitcnt lgkmcnt(0)
	global_store_dwordx2 v17, v[8:9], s[36:37]
.LBB3021_46:
	s_or_b64 exec, exec, s[34:35]
	v_xad_u32 v10, v27, -1, s6
	v_add_u32_e32 v16, 64, v10
	v_lshlrev_b64 v[12:13], 3, v[16:17]
	v_mov_b32_e32 v9, s29
	v_add_co_u32_e32 v12, vcc, s28, v12
	v_addc_co_u32_e32 v13, vcc, v9, v13, vcc
	global_load_dwordx2 v[14:15], v[12:13], off glc
	s_waitcnt vmcnt(0)
	v_cmp_eq_u16_sdwa s[36:37], v15, v17 src0_sel:BYTE_0 src1_sel:DWORD
	s_and_saveexec_b64 s[34:35], s[36:37]
	s_cbranch_execz .LBB3021_52
; %bb.47:
	s_mov_b32 s7, 1
	s_mov_b64 s[36:37], 0
	v_mov_b32_e32 v9, 0
.LBB3021_48:                            ; =>This Loop Header: Depth=1
                                        ;     Child Loop BB3021_49 Depth 2
	s_max_u32 s38, s7, 1
.LBB3021_49:                            ;   Parent Loop BB3021_48 Depth=1
                                        ; =>  This Inner Loop Header: Depth=2
	s_add_i32 s38, s38, -1
	s_cmp_eq_u32 s38, 0
	s_sleep 1
	s_cbranch_scc0 .LBB3021_49
; %bb.50:                               ;   in Loop: Header=BB3021_48 Depth=1
	global_load_dwordx2 v[14:15], v[12:13], off glc
	s_cmp_lt_u32 s7, 32
	s_cselect_b64 s[38:39], -1, 0
	s_cmp_lg_u64 s[38:39], 0
	s_addc_u32 s7, s7, 0
	s_waitcnt vmcnt(0)
	v_cmp_ne_u16_sdwa s[38:39], v15, v9 src0_sel:BYTE_0 src1_sel:DWORD
	s_or_b64 s[36:37], s[38:39], s[36:37]
	s_andn2_b64 exec, exec, s[36:37]
	s_cbranch_execnz .LBB3021_48
; %bb.51:
	s_or_b64 exec, exec, s[36:37]
.LBB3021_52:
	s_or_b64 exec, exec, s[34:35]
	v_and_b32_e32 v34, 63, v27
	v_mov_b32_e32 v33, 2
	v_cmp_ne_u32_e32 vcc, 63, v34
	v_cmp_eq_u16_sdwa s[34:35], v15, v33 src0_sel:BYTE_0 src1_sel:DWORD
	v_lshlrev_b64 v[12:13], v27, -1
	v_addc_co_u32_e32 v16, vcc, 0, v27, vcc
	v_and_b32_e32 v9, s35, v13
	v_lshlrev_b32_e32 v35, 2, v16
	v_or_b32_e32 v9, 0x80000000, v9
	ds_bpermute_b32 v16, v35, v14
	v_and_b32_e32 v11, s34, v12
	v_ffbl_b32_e32 v9, v9
	v_add_u32_e32 v9, 32, v9
	v_ffbl_b32_e32 v11, v11
	v_min_u32_e32 v9, v11, v9
	v_cmp_lt_u32_e32 vcc, v34, v9
	s_waitcnt lgkmcnt(0)
	v_cndmask_b32_e32 v11, 0, v16, vcc
	v_cmp_gt_u32_e32 vcc, 62, v34
	v_add_u32_e32 v11, v11, v14
	v_cndmask_b32_e64 v14, 0, 1, vcc
	v_lshlrev_b32_e32 v14, 1, v14
	v_add_lshl_u32 v36, v14, v27, 2
	ds_bpermute_b32 v14, v36, v11
	v_add_u32_e32 v37, 2, v34
	v_cmp_le_u32_e32 vcc, v37, v9
	v_add_u32_e32 v39, 4, v34
	v_add_u32_e32 v41, 8, v34
	s_waitcnt lgkmcnt(0)
	v_cndmask_b32_e32 v14, 0, v14, vcc
	v_cmp_gt_u32_e32 vcc, 60, v34
	v_add_u32_e32 v11, v11, v14
	v_cndmask_b32_e64 v14, 0, 1, vcc
	v_lshlrev_b32_e32 v14, 2, v14
	v_add_lshl_u32 v38, v14, v27, 2
	ds_bpermute_b32 v14, v38, v11
	v_cmp_le_u32_e32 vcc, v39, v9
	v_add_u32_e32 v43, 16, v34
	v_add_u32_e32 v45, 32, v34
	s_waitcnt lgkmcnt(0)
	v_cndmask_b32_e32 v14, 0, v14, vcc
	v_cmp_gt_u32_e32 vcc, 56, v34
	v_add_u32_e32 v11, v11, v14
	v_cndmask_b32_e64 v14, 0, 1, vcc
	v_lshlrev_b32_e32 v14, 3, v14
	v_add_lshl_u32 v40, v14, v27, 2
	ds_bpermute_b32 v14, v40, v11
	v_cmp_le_u32_e32 vcc, v41, v9
	s_waitcnt lgkmcnt(0)
	v_cndmask_b32_e32 v14, 0, v14, vcc
	v_cmp_gt_u32_e32 vcc, 48, v34
	v_add_u32_e32 v11, v11, v14
	v_cndmask_b32_e64 v14, 0, 1, vcc
	v_lshlrev_b32_e32 v14, 4, v14
	v_add_lshl_u32 v42, v14, v27, 2
	ds_bpermute_b32 v14, v42, v11
	v_cmp_le_u32_e32 vcc, v43, v9
	;; [unrolled: 9-line block ×3, first 2 shown]
	s_waitcnt lgkmcnt(0)
	v_cndmask_b32_e32 v9, 0, v14, vcc
	v_add_u32_e32 v14, v11, v9
	v_mov_b32_e32 v11, 0
	s_branch .LBB3021_54
.LBB3021_53:                            ;   in Loop: Header=BB3021_54 Depth=1
	s_or_b64 exec, exec, s[34:35]
	v_cmp_eq_u16_sdwa s[34:35], v15, v33 src0_sel:BYTE_0 src1_sel:DWORD
	v_and_b32_e32 v16, s35, v13
	v_or_b32_e32 v16, 0x80000000, v16
	ds_bpermute_b32 v46, v35, v14
	v_and_b32_e32 v17, s34, v12
	v_ffbl_b32_e32 v16, v16
	v_add_u32_e32 v16, 32, v16
	v_ffbl_b32_e32 v17, v17
	v_min_u32_e32 v16, v17, v16
	v_cmp_lt_u32_e32 vcc, v34, v16
	s_waitcnt lgkmcnt(0)
	v_cndmask_b32_e32 v17, 0, v46, vcc
	v_add_u32_e32 v14, v17, v14
	ds_bpermute_b32 v17, v36, v14
	v_cmp_le_u32_e32 vcc, v37, v16
	v_subrev_u32_e32 v10, 64, v10
	s_waitcnt lgkmcnt(0)
	v_cndmask_b32_e32 v17, 0, v17, vcc
	v_add_u32_e32 v14, v14, v17
	ds_bpermute_b32 v17, v38, v14
	v_cmp_le_u32_e32 vcc, v39, v16
	s_waitcnt lgkmcnt(0)
	v_cndmask_b32_e32 v17, 0, v17, vcc
	v_add_u32_e32 v14, v14, v17
	ds_bpermute_b32 v17, v40, v14
	v_cmp_le_u32_e32 vcc, v41, v16
	;; [unrolled: 5-line block ×4, first 2 shown]
	s_waitcnt lgkmcnt(0)
	v_cndmask_b32_e32 v16, 0, v17, vcc
	v_add3_u32 v14, v16, v9, v14
.LBB3021_54:                            ; =>This Loop Header: Depth=1
                                        ;     Child Loop BB3021_57 Depth 2
                                        ;       Child Loop BB3021_58 Depth 3
	v_cmp_ne_u16_sdwa s[34:35], v15, v33 src0_sel:BYTE_0 src1_sel:DWORD
	v_cndmask_b32_e64 v9, 0, 1, s[34:35]
	;;#ASMSTART
	;;#ASMEND
	v_cmp_ne_u32_e32 vcc, 0, v9
	s_cmp_lg_u64 vcc, exec
	v_mov_b32_e32 v9, v14
	s_cbranch_scc1 .LBB3021_61
; %bb.55:                               ;   in Loop: Header=BB3021_54 Depth=1
	v_lshlrev_b64 v[14:15], 3, v[10:11]
	v_mov_b32_e32 v17, s29
	v_add_co_u32_e32 v16, vcc, s28, v14
	v_addc_co_u32_e32 v17, vcc, v17, v15, vcc
	global_load_dwordx2 v[14:15], v[16:17], off glc
	s_waitcnt vmcnt(0)
	v_cmp_eq_u16_sdwa s[36:37], v15, v11 src0_sel:BYTE_0 src1_sel:DWORD
	s_and_saveexec_b64 s[34:35], s[36:37]
	s_cbranch_execz .LBB3021_53
; %bb.56:                               ;   in Loop: Header=BB3021_54 Depth=1
	s_mov_b32 s7, 1
	s_mov_b64 s[36:37], 0
.LBB3021_57:                            ;   Parent Loop BB3021_54 Depth=1
                                        ; =>  This Loop Header: Depth=2
                                        ;       Child Loop BB3021_58 Depth 3
	s_max_u32 s38, s7, 1
.LBB3021_58:                            ;   Parent Loop BB3021_54 Depth=1
                                        ;     Parent Loop BB3021_57 Depth=2
                                        ; =>    This Inner Loop Header: Depth=3
	s_add_i32 s38, s38, -1
	s_cmp_eq_u32 s38, 0
	s_sleep 1
	s_cbranch_scc0 .LBB3021_58
; %bb.59:                               ;   in Loop: Header=BB3021_57 Depth=2
	global_load_dwordx2 v[14:15], v[16:17], off glc
	s_cmp_lt_u32 s7, 32
	s_cselect_b64 s[38:39], -1, 0
	s_cmp_lg_u64 s[38:39], 0
	s_addc_u32 s7, s7, 0
	s_waitcnt vmcnt(0)
	v_cmp_ne_u16_sdwa s[38:39], v15, v11 src0_sel:BYTE_0 src1_sel:DWORD
	s_or_b64 s[36:37], s[38:39], s[36:37]
	s_andn2_b64 exec, exec, s[36:37]
	s_cbranch_execnz .LBB3021_57
; %bb.60:                               ;   in Loop: Header=BB3021_54 Depth=1
	s_or_b64 exec, exec, s[36:37]
	s_branch .LBB3021_53
.LBB3021_61:                            ;   in Loop: Header=BB3021_54 Depth=1
                                        ; implicit-def: $vgpr14
                                        ; implicit-def: $vgpr15
	s_cbranch_execz .LBB3021_54
; %bb.62:
	s_and_saveexec_b64 s[34:35], s[16:17]
	s_cbranch_execz .LBB3021_64
; %bb.63:
	s_add_i32 s6, s6, 64
	s_mov_b32 s7, 0
	s_lshl_b64 s[6:7], s[6:7], 3
	s_add_u32 s6, s28, s6
	v_add_u32_e32 v10, v9, v8
	v_mov_b32_e32 v11, 2
	s_addc_u32 s7, s29, s7
	v_mov_b32_e32 v12, 0
	global_store_dwordx2 v12, v[10:11], s[6:7]
	ds_write_b64 v12, v[8:9] offset:7168
.LBB3021_64:
	s_or_b64 exec, exec, s[34:35]
	v_cmp_eq_u32_e32 vcc, 0, v0
	s_and_b64 exec, exec, vcc
	s_cbranch_execz .LBB3021_66
; %bb.65:
	v_mov_b32_e32 v8, 0
	ds_write_b32 v8, v9 offset:12
.LBB3021_66:
	s_or_b64 exec, exec, s[30:31]
	v_mov_b32_e32 v8, 0
	s_waitcnt lgkmcnt(0)
	s_barrier
	ds_read_b32 v9, v8 offset:12
	v_cndmask_b32_e64 v10, v32, v31, s[16:17]
	v_cmp_ne_u32_e32 vcc, 0, v0
	v_cndmask_b32_e32 v10, 0, v10, vcc
	s_waitcnt lgkmcnt(0)
	v_add_u32_e32 v17, v9, v10
	v_add_u32_e32 v16, v17, v26
	s_barrier
	ds_read_b64 v[8:9], v8 offset:7168
	v_add_u32_e32 v15, v16, v25
	v_add_u32_e32 v13, v15, v24
	v_add_u32_e32 v14, v13, v23
	v_add_u32_e32 v12, v14, v22
	v_add_u32_e32 v11, v12, v21
	s_waitcnt lgkmcnt(0)
	v_mov_b32_e32 v10, v9
	s_load_dwordx2 s[4:5], s[4:5], 0x30
	s_branch .LBB3021_77
.LBB3021_67:
                                        ; implicit-def: $vgpr10
                                        ; implicit-def: $vgpr8
                                        ; implicit-def: $vgpr11
                                        ; implicit-def: $vgpr12
                                        ; implicit-def: $vgpr14
                                        ; implicit-def: $vgpr13
                                        ; implicit-def: $vgpr15
                                        ; implicit-def: $vgpr16
                                        ; implicit-def: $vgpr17
	s_load_dwordx2 s[4:5], s[4:5], 0x30
	s_cbranch_execz .LBB3021_77
; %bb.68:
	v_mov_b32_dpp v8, v30 row_shr:1 row_mask:0xf bank_mask:0xf
	v_cndmask_b32_e64 v8, v8, 0, s[14:15]
	v_add_u32_e32 v8, v8, v30
	s_nop 1
	v_mov_b32_dpp v9, v8 row_shr:2 row_mask:0xf bank_mask:0xf
	v_cndmask_b32_e64 v9, 0, v9, s[12:13]
	v_add_u32_e32 v8, v8, v9
	s_nop 1
	;; [unrolled: 4-line block ×4, first 2 shown]
	v_mov_b32_dpp v9, v8 row_bcast:15 row_mask:0xf bank_mask:0xf
	v_cndmask_b32_e64 v9, v9, 0, s[18:19]
	v_add_u32_e32 v8, v8, v9
	s_nop 1
	v_mov_b32_dpp v9, v8 row_bcast:31 row_mask:0xf bank_mask:0xf
	v_cndmask_b32_e64 v9, 0, v9, s[0:1]
	v_add_u32_e32 v8, v8, v9
	s_and_saveexec_b64 s[0:1], s[2:3]
	s_cbranch_execz .LBB3021_70
; %bb.69:
	v_lshlrev_b32_e32 v9, 2, v29
	ds_write_b32 v9, v8
.LBB3021_70:
	s_or_b64 exec, exec, s[0:1]
	v_cmp_gt_u32_e32 vcc, 4, v0
	s_waitcnt lgkmcnt(0)
	s_barrier
	s_and_saveexec_b64 s[0:1], vcc
	s_cbranch_execz .LBB3021_72
; %bb.71:
	v_mad_i32_i24 v9, v0, -3, v28
	ds_read_b32 v10, v9
	v_and_b32_e32 v11, 3, v27
	v_cmp_ne_u32_e32 vcc, 0, v11
	s_waitcnt lgkmcnt(0)
	v_mov_b32_dpp v12, v10 row_shr:1 row_mask:0xf bank_mask:0xf
	v_cndmask_b32_e32 v12, 0, v12, vcc
	v_add_u32_e32 v10, v12, v10
	v_cmp_lt_u32_e32 vcc, 1, v11
	s_nop 0
	v_mov_b32_dpp v12, v10 row_shr:2 row_mask:0xf bank_mask:0xf
	v_cndmask_b32_e32 v11, 0, v12, vcc
	v_add_u32_e32 v10, v10, v11
	ds_write_b32 v9, v10
.LBB3021_72:
	s_or_b64 exec, exec, s[0:1]
	v_cmp_lt_u32_e32 vcc, 63, v0
	v_mov_b32_e32 v9, 0
	v_mov_b32_e32 v10, 0
	s_waitcnt lgkmcnt(0)
	s_barrier
	s_and_saveexec_b64 s[0:1], vcc
	s_cbranch_execz .LBB3021_74
; %bb.73:
	v_lshl_add_u32 v10, v29, 2, -4
	ds_read_b32 v10, v10
.LBB3021_74:
	s_or_b64 exec, exec, s[0:1]
	v_add_u32_e32 v11, -1, v27
	v_and_b32_e32 v12, 64, v27
	v_cmp_lt_i32_e32 vcc, v11, v12
	v_cndmask_b32_e32 v11, v11, v27, vcc
	s_waitcnt lgkmcnt(0)
	v_add_u32_e32 v8, v10, v8
	v_lshlrev_b32_e32 v11, 2, v11
	ds_bpermute_b32 v11, v11, v8
	ds_read_b32 v8, v9 offset:12
	v_cmp_eq_u32_e32 vcc, 0, v0
	s_and_saveexec_b64 s[0:1], vcc
	s_cbranch_execz .LBB3021_76
; %bb.75:
	v_mov_b32_e32 v12, 0
	v_mov_b32_e32 v9, 2
	s_waitcnt lgkmcnt(0)
	global_store_dwordx2 v12, v[8:9], s[28:29] offset:512
.LBB3021_76:
	s_or_b64 exec, exec, s[0:1]
	v_cmp_eq_u32_e64 s[0:1], 0, v27
	s_waitcnt lgkmcnt(1)
	v_cndmask_b32_e64 v9, v11, v10, s[0:1]
	v_cndmask_b32_e64 v17, v9, 0, vcc
	v_add_u32_e32 v16, v17, v26
	v_add_u32_e32 v15, v16, v25
	;; [unrolled: 1-line block ×5, first 2 shown]
	v_mov_b32_e32 v10, 0
	v_add_u32_e32 v11, v12, v21
	s_waitcnt lgkmcnt(0)
	s_barrier
.LBB3021_77:
	v_add_u32_e32 v9, v8, v19
	v_sub_u32_e32 v17, v17, v10
	v_sub_u32_e32 v19, v9, v17
	v_cmp_eq_u32_e32 vcc, 1, v26
	v_cndmask_b32_e32 v17, v19, v17, vcc
	v_lshlrev_b32_e32 v17, 2, v17
	ds_write_b32 v17, v6
	v_sub_u32_e32 v6, v16, v10
	v_sub_u32_e32 v16, v9, v6
	v_add_u32_e32 v16, 1, v16
	v_cmp_eq_u32_e32 vcc, 1, v25
	v_cndmask_b32_e32 v6, v16, v6, vcc
	v_lshlrev_b32_e32 v6, 2, v6
	ds_write_b32 v6, v7
	v_sub_u32_e32 v6, v15, v10
	v_sub_u32_e32 v7, v9, v6
	v_add_u32_e32 v7, 2, v7
	;; [unrolled: 7-line block ×6, first 2 shown]
	v_cmp_eq_u32_e32 vcc, 1, v20
	v_cndmask_b32_e32 v2, v3, v2, vcc
	v_lshlrev_b32_e32 v2, 2, v2
	ds_write_b32 v2, v18
	s_waitcnt lgkmcnt(0)
	s_barrier
	ds_read2st64_b32 v[12:13], v1 offset1:4
	ds_read2st64_b32 v[6:7], v1 offset0:8 offset1:12
	ds_read2st64_b32 v[2:3], v1 offset0:16 offset1:20
	ds_read_b32 v9, v1 offset:6144
	v_or_b32_e32 v19, 0x100, v0
	v_or_b32_e32 v18, 0x200, v0
	;; [unrolled: 1-line block ×5, first 2 shown]
	s_andn2_b64 vcc, exec, s[26:27]
	v_or_b32_e32 v14, 0x600, v0
	s_cbranch_vccnz .LBB3021_86
; %bb.78:
	s_lshl_b64 s[0:1], s[22:23], 2
	v_mov_b32_e32 v11, 0
	s_add_u32 s0, s4, s0
	s_addc_u32 s1, s5, s1
	v_lshlrev_b64 v[4:5], 2, v[10:11]
	v_mov_b32_e32 v11, s1
	v_add_co_u32_e32 v4, vcc, s0, v4
	v_addc_co_u32_e32 v5, vcc, v11, v5, vcc
	v_cmp_gt_u32_e32 vcc, v8, v0
	s_and_saveexec_b64 s[0:1], vcc
	s_cbranch_execnz .LBB3021_100
; %bb.79:
	s_or_b64 exec, exec, s[0:1]
	v_cmp_lt_u32_e32 vcc, v19, v8
	s_and_saveexec_b64 s[0:1], vcc
	s_cbranch_execnz .LBB3021_101
.LBB3021_80:
	s_or_b64 exec, exec, s[0:1]
	v_cmp_lt_u32_e32 vcc, v18, v8
	s_and_saveexec_b64 s[0:1], vcc
	s_cbranch_execnz .LBB3021_102
.LBB3021_81:
	s_or_b64 exec, exec, s[0:1]
	v_cmp_lt_u32_e32 vcc, v17, v8
	s_and_saveexec_b64 s[0:1], vcc
	s_cbranch_execnz .LBB3021_103
.LBB3021_82:
	s_or_b64 exec, exec, s[0:1]
	v_cmp_lt_u32_e32 vcc, v16, v8
	s_and_saveexec_b64 s[0:1], vcc
	s_cbranch_execnz .LBB3021_104
.LBB3021_83:
	s_or_b64 exec, exec, s[0:1]
	v_cmp_lt_u32_e32 vcc, v15, v8
	s_and_saveexec_b64 s[0:1], vcc
	s_cbranch_execz .LBB3021_85
.LBB3021_84:
	v_lshlrev_b32_e32 v11, 2, v15
	v_readfirstlane_b32 s2, v4
	v_readfirstlane_b32 s3, v5
	s_waitcnt lgkmcnt(1)
	s_nop 3
	global_store_dword v11, v3, s[2:3]
.LBB3021_85:
	s_or_b64 exec, exec, s[0:1]
	v_cmp_lt_u32_e64 s[0:1], v14, v8
	s_branch .LBB3021_95
.LBB3021_86:
	s_mov_b64 s[0:1], 0
                                        ; implicit-def: $vgpr4_vgpr5
	s_cbranch_execz .LBB3021_95
; %bb.87:
	s_lshl_b64 s[0:1], s[22:23], 2
	v_mov_b32_e32 v11, 0
	s_add_u32 s0, s4, s0
	s_addc_u32 s1, s5, s1
	v_lshlrev_b64 v[4:5], 2, v[10:11]
	v_mov_b32_e32 v11, s1
	v_add_co_u32_e32 v4, vcc, s0, v4
	v_min_u32_e32 v20, s33, v8
	v_addc_co_u32_e32 v5, vcc, v11, v5, vcc
	v_cmp_gt_u32_e32 vcc, v20, v0
	s_and_saveexec_b64 s[0:1], vcc
	s_cbranch_execnz .LBB3021_105
; %bb.88:
	s_or_b64 exec, exec, s[0:1]
	v_cmp_lt_u32_e32 vcc, v19, v20
	s_and_saveexec_b64 s[0:1], vcc
	s_cbranch_execnz .LBB3021_106
.LBB3021_89:
	s_or_b64 exec, exec, s[0:1]
	v_cmp_lt_u32_e32 vcc, v18, v20
	s_and_saveexec_b64 s[0:1], vcc
	s_cbranch_execnz .LBB3021_107
.LBB3021_90:
	s_or_b64 exec, exec, s[0:1]
	v_cmp_lt_u32_e32 vcc, v17, v20
	s_and_saveexec_b64 s[0:1], vcc
	s_cbranch_execnz .LBB3021_108
.LBB3021_91:
	s_or_b64 exec, exec, s[0:1]
	v_cmp_lt_u32_e32 vcc, v16, v20
	s_and_saveexec_b64 s[0:1], vcc
	s_cbranch_execnz .LBB3021_109
.LBB3021_92:
	s_or_b64 exec, exec, s[0:1]
	v_cmp_lt_u32_e32 vcc, v15, v20
	s_and_saveexec_b64 s[0:1], vcc
	s_cbranch_execz .LBB3021_94
.LBB3021_93:
	v_lshlrev_b32_e32 v1, 2, v15
	v_readfirstlane_b32 s2, v4
	v_readfirstlane_b32 s3, v5
	s_waitcnt lgkmcnt(1)
	s_nop 3
	global_store_dword v1, v3, s[2:3]
.LBB3021_94:
	s_or_b64 exec, exec, s[0:1]
	v_cmp_lt_u32_e64 s[0:1], v14, v20
.LBB3021_95:
	s_and_saveexec_b64 s[2:3], s[0:1]
	s_cbranch_execz .LBB3021_97
; %bb.96:
	v_lshlrev_b32_e32 v1, 2, v14
	v_readfirstlane_b32 s0, v4
	v_readfirstlane_b32 s1, v5
	s_waitcnt lgkmcnt(0)
	s_nop 3
	global_store_dword v1, v9, s[0:1]
.LBB3021_97:
	s_or_b64 exec, exec, s[2:3]
	v_cmp_eq_u32_e32 vcc, 0, v0
	s_and_b64 s[0:1], vcc, s[24:25]
	s_and_saveexec_b64 s[2:3], s[0:1]
	s_cbranch_execz .LBB3021_99
; %bb.98:
	v_mov_b32_e32 v0, s23
	v_add_co_u32_e32 v1, vcc, s22, v8
	s_waitcnt lgkmcnt(1)
	v_addc_co_u32_e32 v3, vcc, 0, v0, vcc
	v_add_co_u32_e32 v0, vcc, v1, v10
	v_mov_b32_e32 v2, 0
	v_addc_co_u32_e32 v1, vcc, 0, v3, vcc
	global_store_dwordx2 v2, v[0:1], s[20:21]
.LBB3021_99:
	s_endpgm
.LBB3021_100:
	v_readfirstlane_b32 s2, v4
	v_readfirstlane_b32 s3, v5
	s_waitcnt lgkmcnt(3)
	s_nop 3
	global_store_dword v1, v12, s[2:3]
	s_or_b64 exec, exec, s[0:1]
	v_cmp_lt_u32_e32 vcc, v19, v8
	s_and_saveexec_b64 s[0:1], vcc
	s_cbranch_execz .LBB3021_80
.LBB3021_101:
	v_readfirstlane_b32 s2, v4
	v_readfirstlane_b32 s3, v5
	s_waitcnt lgkmcnt(3)
	s_nop 3
	global_store_dword v1, v13, s[2:3] offset:1024
	s_or_b64 exec, exec, s[0:1]
	v_cmp_lt_u32_e32 vcc, v18, v8
	s_and_saveexec_b64 s[0:1], vcc
	s_cbranch_execz .LBB3021_81
.LBB3021_102:
	v_readfirstlane_b32 s2, v4
	v_readfirstlane_b32 s3, v5
	s_waitcnt lgkmcnt(2)
	s_nop 3
	global_store_dword v1, v6, s[2:3] offset:2048
	s_or_b64 exec, exec, s[0:1]
	v_cmp_lt_u32_e32 vcc, v17, v8
	s_and_saveexec_b64 s[0:1], vcc
	s_cbranch_execz .LBB3021_82
.LBB3021_103:
	v_readfirstlane_b32 s2, v4
	v_readfirstlane_b32 s3, v5
	s_waitcnt lgkmcnt(2)
	s_nop 3
	global_store_dword v1, v7, s[2:3] offset:3072
	s_or_b64 exec, exec, s[0:1]
	v_cmp_lt_u32_e32 vcc, v16, v8
	s_and_saveexec_b64 s[0:1], vcc
	s_cbranch_execz .LBB3021_83
.LBB3021_104:
	v_lshlrev_b32_e32 v11, 2, v16
	v_readfirstlane_b32 s2, v4
	v_readfirstlane_b32 s3, v5
	s_waitcnt lgkmcnt(1)
	s_nop 3
	global_store_dword v11, v2, s[2:3]
	s_or_b64 exec, exec, s[0:1]
	v_cmp_lt_u32_e32 vcc, v15, v8
	s_and_saveexec_b64 s[0:1], vcc
	s_cbranch_execnz .LBB3021_84
	s_branch .LBB3021_85
.LBB3021_105:
	v_readfirstlane_b32 s2, v4
	v_readfirstlane_b32 s3, v5
	s_waitcnt lgkmcnt(3)
	s_nop 3
	global_store_dword v1, v12, s[2:3]
	s_or_b64 exec, exec, s[0:1]
	v_cmp_lt_u32_e32 vcc, v19, v20
	s_and_saveexec_b64 s[0:1], vcc
	s_cbranch_execz .LBB3021_89
.LBB3021_106:
	v_readfirstlane_b32 s2, v4
	v_readfirstlane_b32 s3, v5
	s_waitcnt lgkmcnt(3)
	s_nop 3
	global_store_dword v1, v13, s[2:3] offset:1024
	s_or_b64 exec, exec, s[0:1]
	v_cmp_lt_u32_e32 vcc, v18, v20
	s_and_saveexec_b64 s[0:1], vcc
	s_cbranch_execz .LBB3021_90
.LBB3021_107:
	v_readfirstlane_b32 s2, v4
	v_readfirstlane_b32 s3, v5
	s_waitcnt lgkmcnt(2)
	s_nop 3
	global_store_dword v1, v6, s[2:3] offset:2048
	s_or_b64 exec, exec, s[0:1]
	v_cmp_lt_u32_e32 vcc, v17, v20
	s_and_saveexec_b64 s[0:1], vcc
	s_cbranch_execz .LBB3021_91
.LBB3021_108:
	v_readfirstlane_b32 s2, v4
	v_readfirstlane_b32 s3, v5
	s_waitcnt lgkmcnt(2)
	s_nop 3
	global_store_dword v1, v7, s[2:3] offset:3072
	s_or_b64 exec, exec, s[0:1]
	v_cmp_lt_u32_e32 vcc, v16, v20
	s_and_saveexec_b64 s[0:1], vcc
	s_cbranch_execz .LBB3021_92
.LBB3021_109:
	v_lshlrev_b32_e32 v1, 2, v16
	v_readfirstlane_b32 s2, v4
	v_readfirstlane_b32 s3, v5
	s_waitcnt lgkmcnt(1)
	s_nop 3
	global_store_dword v1, v2, s[2:3]
	s_or_b64 exec, exec, s[0:1]
	v_cmp_lt_u32_e32 vcc, v15, v20
	s_and_saveexec_b64 s[0:1], vcc
	s_cbranch_execnz .LBB3021_93
	s_branch .LBB3021_94
	.section	.rodata,"a",@progbits
	.p2align	6, 0x0
	.amdhsa_kernel _ZN7rocprim17ROCPRIM_400000_NS6detail17trampoline_kernelINS0_14default_configENS1_25partition_config_selectorILNS1_17partition_subalgoE1EjNS0_10empty_typeEbEEZZNS1_14partition_implILS5_1ELb0ES3_jN6thrust23THRUST_200600_302600_NS6detail15normal_iteratorINSA_10device_ptrIjEEEEPS6_NSA_18transform_iteratorI7is_evenIjESF_NSA_11use_defaultESK_EENS0_5tupleIJSF_NSA_16discard_iteratorISK_EEEEENSM_IJSG_SG_EEES6_PlJS6_EEE10hipError_tPvRmT3_T4_T5_T6_T7_T9_mT8_P12ihipStream_tbDpT10_ENKUlT_T0_E_clISt17integral_constantIbLb1EES1A_IbLb0EEEEDaS16_S17_EUlS16_E_NS1_11comp_targetILNS1_3genE4ELNS1_11target_archE910ELNS1_3gpuE8ELNS1_3repE0EEENS1_30default_config_static_selectorELNS0_4arch9wavefront6targetE1EEEvT1_
		.amdhsa_group_segment_fixed_size 7176
		.amdhsa_private_segment_fixed_size 0
		.amdhsa_kernarg_size 136
		.amdhsa_user_sgpr_count 6
		.amdhsa_user_sgpr_private_segment_buffer 1
		.amdhsa_user_sgpr_dispatch_ptr 0
		.amdhsa_user_sgpr_queue_ptr 0
		.amdhsa_user_sgpr_kernarg_segment_ptr 1
		.amdhsa_user_sgpr_dispatch_id 0
		.amdhsa_user_sgpr_flat_scratch_init 0
		.amdhsa_user_sgpr_kernarg_preload_length 0
		.amdhsa_user_sgpr_kernarg_preload_offset 0
		.amdhsa_user_sgpr_private_segment_size 0
		.amdhsa_uses_dynamic_stack 0
		.amdhsa_system_sgpr_private_segment_wavefront_offset 0
		.amdhsa_system_sgpr_workgroup_id_x 1
		.amdhsa_system_sgpr_workgroup_id_y 0
		.amdhsa_system_sgpr_workgroup_id_z 0
		.amdhsa_system_sgpr_workgroup_info 0
		.amdhsa_system_vgpr_workitem_id 0
		.amdhsa_next_free_vgpr 47
		.amdhsa_next_free_sgpr 40
		.amdhsa_accum_offset 48
		.amdhsa_reserve_vcc 1
		.amdhsa_reserve_flat_scratch 0
		.amdhsa_float_round_mode_32 0
		.amdhsa_float_round_mode_16_64 0
		.amdhsa_float_denorm_mode_32 3
		.amdhsa_float_denorm_mode_16_64 3
		.amdhsa_dx10_clamp 1
		.amdhsa_ieee_mode 1
		.amdhsa_fp16_overflow 0
		.amdhsa_tg_split 0
		.amdhsa_exception_fp_ieee_invalid_op 0
		.amdhsa_exception_fp_denorm_src 0
		.amdhsa_exception_fp_ieee_div_zero 0
		.amdhsa_exception_fp_ieee_overflow 0
		.amdhsa_exception_fp_ieee_underflow 0
		.amdhsa_exception_fp_ieee_inexact 0
		.amdhsa_exception_int_div_zero 0
	.end_amdhsa_kernel
	.section	.text._ZN7rocprim17ROCPRIM_400000_NS6detail17trampoline_kernelINS0_14default_configENS1_25partition_config_selectorILNS1_17partition_subalgoE1EjNS0_10empty_typeEbEEZZNS1_14partition_implILS5_1ELb0ES3_jN6thrust23THRUST_200600_302600_NS6detail15normal_iteratorINSA_10device_ptrIjEEEEPS6_NSA_18transform_iteratorI7is_evenIjESF_NSA_11use_defaultESK_EENS0_5tupleIJSF_NSA_16discard_iteratorISK_EEEEENSM_IJSG_SG_EEES6_PlJS6_EEE10hipError_tPvRmT3_T4_T5_T6_T7_T9_mT8_P12ihipStream_tbDpT10_ENKUlT_T0_E_clISt17integral_constantIbLb1EES1A_IbLb0EEEEDaS16_S17_EUlS16_E_NS1_11comp_targetILNS1_3genE4ELNS1_11target_archE910ELNS1_3gpuE8ELNS1_3repE0EEENS1_30default_config_static_selectorELNS0_4arch9wavefront6targetE1EEEvT1_,"axG",@progbits,_ZN7rocprim17ROCPRIM_400000_NS6detail17trampoline_kernelINS0_14default_configENS1_25partition_config_selectorILNS1_17partition_subalgoE1EjNS0_10empty_typeEbEEZZNS1_14partition_implILS5_1ELb0ES3_jN6thrust23THRUST_200600_302600_NS6detail15normal_iteratorINSA_10device_ptrIjEEEEPS6_NSA_18transform_iteratorI7is_evenIjESF_NSA_11use_defaultESK_EENS0_5tupleIJSF_NSA_16discard_iteratorISK_EEEEENSM_IJSG_SG_EEES6_PlJS6_EEE10hipError_tPvRmT3_T4_T5_T6_T7_T9_mT8_P12ihipStream_tbDpT10_ENKUlT_T0_E_clISt17integral_constantIbLb1EES1A_IbLb0EEEEDaS16_S17_EUlS16_E_NS1_11comp_targetILNS1_3genE4ELNS1_11target_archE910ELNS1_3gpuE8ELNS1_3repE0EEENS1_30default_config_static_selectorELNS0_4arch9wavefront6targetE1EEEvT1_,comdat
.Lfunc_end3021:
	.size	_ZN7rocprim17ROCPRIM_400000_NS6detail17trampoline_kernelINS0_14default_configENS1_25partition_config_selectorILNS1_17partition_subalgoE1EjNS0_10empty_typeEbEEZZNS1_14partition_implILS5_1ELb0ES3_jN6thrust23THRUST_200600_302600_NS6detail15normal_iteratorINSA_10device_ptrIjEEEEPS6_NSA_18transform_iteratorI7is_evenIjESF_NSA_11use_defaultESK_EENS0_5tupleIJSF_NSA_16discard_iteratorISK_EEEEENSM_IJSG_SG_EEES6_PlJS6_EEE10hipError_tPvRmT3_T4_T5_T6_T7_T9_mT8_P12ihipStream_tbDpT10_ENKUlT_T0_E_clISt17integral_constantIbLb1EES1A_IbLb0EEEEDaS16_S17_EUlS16_E_NS1_11comp_targetILNS1_3genE4ELNS1_11target_archE910ELNS1_3gpuE8ELNS1_3repE0EEENS1_30default_config_static_selectorELNS0_4arch9wavefront6targetE1EEEvT1_, .Lfunc_end3021-_ZN7rocprim17ROCPRIM_400000_NS6detail17trampoline_kernelINS0_14default_configENS1_25partition_config_selectorILNS1_17partition_subalgoE1EjNS0_10empty_typeEbEEZZNS1_14partition_implILS5_1ELb0ES3_jN6thrust23THRUST_200600_302600_NS6detail15normal_iteratorINSA_10device_ptrIjEEEEPS6_NSA_18transform_iteratorI7is_evenIjESF_NSA_11use_defaultESK_EENS0_5tupleIJSF_NSA_16discard_iteratorISK_EEEEENSM_IJSG_SG_EEES6_PlJS6_EEE10hipError_tPvRmT3_T4_T5_T6_T7_T9_mT8_P12ihipStream_tbDpT10_ENKUlT_T0_E_clISt17integral_constantIbLb1EES1A_IbLb0EEEEDaS16_S17_EUlS16_E_NS1_11comp_targetILNS1_3genE4ELNS1_11target_archE910ELNS1_3gpuE8ELNS1_3repE0EEENS1_30default_config_static_selectorELNS0_4arch9wavefront6targetE1EEEvT1_
                                        ; -- End function
	.section	.AMDGPU.csdata,"",@progbits
; Kernel info:
; codeLenInByte = 4788
; NumSgprs: 44
; NumVgprs: 47
; NumAgprs: 0
; TotalNumVgprs: 47
; ScratchSize: 0
; MemoryBound: 0
; FloatMode: 240
; IeeeMode: 1
; LDSByteSize: 7176 bytes/workgroup (compile time only)
; SGPRBlocks: 5
; VGPRBlocks: 5
; NumSGPRsForWavesPerEU: 44
; NumVGPRsForWavesPerEU: 47
; AccumOffset: 48
; Occupancy: 8
; WaveLimiterHint : 1
; COMPUTE_PGM_RSRC2:SCRATCH_EN: 0
; COMPUTE_PGM_RSRC2:USER_SGPR: 6
; COMPUTE_PGM_RSRC2:TRAP_HANDLER: 0
; COMPUTE_PGM_RSRC2:TGID_X_EN: 1
; COMPUTE_PGM_RSRC2:TGID_Y_EN: 0
; COMPUTE_PGM_RSRC2:TGID_Z_EN: 0
; COMPUTE_PGM_RSRC2:TIDIG_COMP_CNT: 0
; COMPUTE_PGM_RSRC3_GFX90A:ACCUM_OFFSET: 11
; COMPUTE_PGM_RSRC3_GFX90A:TG_SPLIT: 0
	.section	.text._ZN7rocprim17ROCPRIM_400000_NS6detail17trampoline_kernelINS0_14default_configENS1_25partition_config_selectorILNS1_17partition_subalgoE1EjNS0_10empty_typeEbEEZZNS1_14partition_implILS5_1ELb0ES3_jN6thrust23THRUST_200600_302600_NS6detail15normal_iteratorINSA_10device_ptrIjEEEEPS6_NSA_18transform_iteratorI7is_evenIjESF_NSA_11use_defaultESK_EENS0_5tupleIJSF_NSA_16discard_iteratorISK_EEEEENSM_IJSG_SG_EEES6_PlJS6_EEE10hipError_tPvRmT3_T4_T5_T6_T7_T9_mT8_P12ihipStream_tbDpT10_ENKUlT_T0_E_clISt17integral_constantIbLb1EES1A_IbLb0EEEEDaS16_S17_EUlS16_E_NS1_11comp_targetILNS1_3genE3ELNS1_11target_archE908ELNS1_3gpuE7ELNS1_3repE0EEENS1_30default_config_static_selectorELNS0_4arch9wavefront6targetE1EEEvT1_,"axG",@progbits,_ZN7rocprim17ROCPRIM_400000_NS6detail17trampoline_kernelINS0_14default_configENS1_25partition_config_selectorILNS1_17partition_subalgoE1EjNS0_10empty_typeEbEEZZNS1_14partition_implILS5_1ELb0ES3_jN6thrust23THRUST_200600_302600_NS6detail15normal_iteratorINSA_10device_ptrIjEEEEPS6_NSA_18transform_iteratorI7is_evenIjESF_NSA_11use_defaultESK_EENS0_5tupleIJSF_NSA_16discard_iteratorISK_EEEEENSM_IJSG_SG_EEES6_PlJS6_EEE10hipError_tPvRmT3_T4_T5_T6_T7_T9_mT8_P12ihipStream_tbDpT10_ENKUlT_T0_E_clISt17integral_constantIbLb1EES1A_IbLb0EEEEDaS16_S17_EUlS16_E_NS1_11comp_targetILNS1_3genE3ELNS1_11target_archE908ELNS1_3gpuE7ELNS1_3repE0EEENS1_30default_config_static_selectorELNS0_4arch9wavefront6targetE1EEEvT1_,comdat
	.protected	_ZN7rocprim17ROCPRIM_400000_NS6detail17trampoline_kernelINS0_14default_configENS1_25partition_config_selectorILNS1_17partition_subalgoE1EjNS0_10empty_typeEbEEZZNS1_14partition_implILS5_1ELb0ES3_jN6thrust23THRUST_200600_302600_NS6detail15normal_iteratorINSA_10device_ptrIjEEEEPS6_NSA_18transform_iteratorI7is_evenIjESF_NSA_11use_defaultESK_EENS0_5tupleIJSF_NSA_16discard_iteratorISK_EEEEENSM_IJSG_SG_EEES6_PlJS6_EEE10hipError_tPvRmT3_T4_T5_T6_T7_T9_mT8_P12ihipStream_tbDpT10_ENKUlT_T0_E_clISt17integral_constantIbLb1EES1A_IbLb0EEEEDaS16_S17_EUlS16_E_NS1_11comp_targetILNS1_3genE3ELNS1_11target_archE908ELNS1_3gpuE7ELNS1_3repE0EEENS1_30default_config_static_selectorELNS0_4arch9wavefront6targetE1EEEvT1_ ; -- Begin function _ZN7rocprim17ROCPRIM_400000_NS6detail17trampoline_kernelINS0_14default_configENS1_25partition_config_selectorILNS1_17partition_subalgoE1EjNS0_10empty_typeEbEEZZNS1_14partition_implILS5_1ELb0ES3_jN6thrust23THRUST_200600_302600_NS6detail15normal_iteratorINSA_10device_ptrIjEEEEPS6_NSA_18transform_iteratorI7is_evenIjESF_NSA_11use_defaultESK_EENS0_5tupleIJSF_NSA_16discard_iteratorISK_EEEEENSM_IJSG_SG_EEES6_PlJS6_EEE10hipError_tPvRmT3_T4_T5_T6_T7_T9_mT8_P12ihipStream_tbDpT10_ENKUlT_T0_E_clISt17integral_constantIbLb1EES1A_IbLb0EEEEDaS16_S17_EUlS16_E_NS1_11comp_targetILNS1_3genE3ELNS1_11target_archE908ELNS1_3gpuE7ELNS1_3repE0EEENS1_30default_config_static_selectorELNS0_4arch9wavefront6targetE1EEEvT1_
	.globl	_ZN7rocprim17ROCPRIM_400000_NS6detail17trampoline_kernelINS0_14default_configENS1_25partition_config_selectorILNS1_17partition_subalgoE1EjNS0_10empty_typeEbEEZZNS1_14partition_implILS5_1ELb0ES3_jN6thrust23THRUST_200600_302600_NS6detail15normal_iteratorINSA_10device_ptrIjEEEEPS6_NSA_18transform_iteratorI7is_evenIjESF_NSA_11use_defaultESK_EENS0_5tupleIJSF_NSA_16discard_iteratorISK_EEEEENSM_IJSG_SG_EEES6_PlJS6_EEE10hipError_tPvRmT3_T4_T5_T6_T7_T9_mT8_P12ihipStream_tbDpT10_ENKUlT_T0_E_clISt17integral_constantIbLb1EES1A_IbLb0EEEEDaS16_S17_EUlS16_E_NS1_11comp_targetILNS1_3genE3ELNS1_11target_archE908ELNS1_3gpuE7ELNS1_3repE0EEENS1_30default_config_static_selectorELNS0_4arch9wavefront6targetE1EEEvT1_
	.p2align	8
	.type	_ZN7rocprim17ROCPRIM_400000_NS6detail17trampoline_kernelINS0_14default_configENS1_25partition_config_selectorILNS1_17partition_subalgoE1EjNS0_10empty_typeEbEEZZNS1_14partition_implILS5_1ELb0ES3_jN6thrust23THRUST_200600_302600_NS6detail15normal_iteratorINSA_10device_ptrIjEEEEPS6_NSA_18transform_iteratorI7is_evenIjESF_NSA_11use_defaultESK_EENS0_5tupleIJSF_NSA_16discard_iteratorISK_EEEEENSM_IJSG_SG_EEES6_PlJS6_EEE10hipError_tPvRmT3_T4_T5_T6_T7_T9_mT8_P12ihipStream_tbDpT10_ENKUlT_T0_E_clISt17integral_constantIbLb1EES1A_IbLb0EEEEDaS16_S17_EUlS16_E_NS1_11comp_targetILNS1_3genE3ELNS1_11target_archE908ELNS1_3gpuE7ELNS1_3repE0EEENS1_30default_config_static_selectorELNS0_4arch9wavefront6targetE1EEEvT1_,@function
_ZN7rocprim17ROCPRIM_400000_NS6detail17trampoline_kernelINS0_14default_configENS1_25partition_config_selectorILNS1_17partition_subalgoE1EjNS0_10empty_typeEbEEZZNS1_14partition_implILS5_1ELb0ES3_jN6thrust23THRUST_200600_302600_NS6detail15normal_iteratorINSA_10device_ptrIjEEEEPS6_NSA_18transform_iteratorI7is_evenIjESF_NSA_11use_defaultESK_EENS0_5tupleIJSF_NSA_16discard_iteratorISK_EEEEENSM_IJSG_SG_EEES6_PlJS6_EEE10hipError_tPvRmT3_T4_T5_T6_T7_T9_mT8_P12ihipStream_tbDpT10_ENKUlT_T0_E_clISt17integral_constantIbLb1EES1A_IbLb0EEEEDaS16_S17_EUlS16_E_NS1_11comp_targetILNS1_3genE3ELNS1_11target_archE908ELNS1_3gpuE7ELNS1_3repE0EEENS1_30default_config_static_selectorELNS0_4arch9wavefront6targetE1EEEvT1_: ; @_ZN7rocprim17ROCPRIM_400000_NS6detail17trampoline_kernelINS0_14default_configENS1_25partition_config_selectorILNS1_17partition_subalgoE1EjNS0_10empty_typeEbEEZZNS1_14partition_implILS5_1ELb0ES3_jN6thrust23THRUST_200600_302600_NS6detail15normal_iteratorINSA_10device_ptrIjEEEEPS6_NSA_18transform_iteratorI7is_evenIjESF_NSA_11use_defaultESK_EENS0_5tupleIJSF_NSA_16discard_iteratorISK_EEEEENSM_IJSG_SG_EEES6_PlJS6_EEE10hipError_tPvRmT3_T4_T5_T6_T7_T9_mT8_P12ihipStream_tbDpT10_ENKUlT_T0_E_clISt17integral_constantIbLb1EES1A_IbLb0EEEEDaS16_S17_EUlS16_E_NS1_11comp_targetILNS1_3genE3ELNS1_11target_archE908ELNS1_3gpuE7ELNS1_3repE0EEENS1_30default_config_static_selectorELNS0_4arch9wavefront6targetE1EEEvT1_
; %bb.0:
	.section	.rodata,"a",@progbits
	.p2align	6, 0x0
	.amdhsa_kernel _ZN7rocprim17ROCPRIM_400000_NS6detail17trampoline_kernelINS0_14default_configENS1_25partition_config_selectorILNS1_17partition_subalgoE1EjNS0_10empty_typeEbEEZZNS1_14partition_implILS5_1ELb0ES3_jN6thrust23THRUST_200600_302600_NS6detail15normal_iteratorINSA_10device_ptrIjEEEEPS6_NSA_18transform_iteratorI7is_evenIjESF_NSA_11use_defaultESK_EENS0_5tupleIJSF_NSA_16discard_iteratorISK_EEEEENSM_IJSG_SG_EEES6_PlJS6_EEE10hipError_tPvRmT3_T4_T5_T6_T7_T9_mT8_P12ihipStream_tbDpT10_ENKUlT_T0_E_clISt17integral_constantIbLb1EES1A_IbLb0EEEEDaS16_S17_EUlS16_E_NS1_11comp_targetILNS1_3genE3ELNS1_11target_archE908ELNS1_3gpuE7ELNS1_3repE0EEENS1_30default_config_static_selectorELNS0_4arch9wavefront6targetE1EEEvT1_
		.amdhsa_group_segment_fixed_size 0
		.amdhsa_private_segment_fixed_size 0
		.amdhsa_kernarg_size 136
		.amdhsa_user_sgpr_count 6
		.amdhsa_user_sgpr_private_segment_buffer 1
		.amdhsa_user_sgpr_dispatch_ptr 0
		.amdhsa_user_sgpr_queue_ptr 0
		.amdhsa_user_sgpr_kernarg_segment_ptr 1
		.amdhsa_user_sgpr_dispatch_id 0
		.amdhsa_user_sgpr_flat_scratch_init 0
		.amdhsa_user_sgpr_kernarg_preload_length 0
		.amdhsa_user_sgpr_kernarg_preload_offset 0
		.amdhsa_user_sgpr_private_segment_size 0
		.amdhsa_uses_dynamic_stack 0
		.amdhsa_system_sgpr_private_segment_wavefront_offset 0
		.amdhsa_system_sgpr_workgroup_id_x 1
		.amdhsa_system_sgpr_workgroup_id_y 0
		.amdhsa_system_sgpr_workgroup_id_z 0
		.amdhsa_system_sgpr_workgroup_info 0
		.amdhsa_system_vgpr_workitem_id 0
		.amdhsa_next_free_vgpr 1
		.amdhsa_next_free_sgpr 0
		.amdhsa_accum_offset 4
		.amdhsa_reserve_vcc 0
		.amdhsa_reserve_flat_scratch 0
		.amdhsa_float_round_mode_32 0
		.amdhsa_float_round_mode_16_64 0
		.amdhsa_float_denorm_mode_32 3
		.amdhsa_float_denorm_mode_16_64 3
		.amdhsa_dx10_clamp 1
		.amdhsa_ieee_mode 1
		.amdhsa_fp16_overflow 0
		.amdhsa_tg_split 0
		.amdhsa_exception_fp_ieee_invalid_op 0
		.amdhsa_exception_fp_denorm_src 0
		.amdhsa_exception_fp_ieee_div_zero 0
		.amdhsa_exception_fp_ieee_overflow 0
		.amdhsa_exception_fp_ieee_underflow 0
		.amdhsa_exception_fp_ieee_inexact 0
		.amdhsa_exception_int_div_zero 0
	.end_amdhsa_kernel
	.section	.text._ZN7rocprim17ROCPRIM_400000_NS6detail17trampoline_kernelINS0_14default_configENS1_25partition_config_selectorILNS1_17partition_subalgoE1EjNS0_10empty_typeEbEEZZNS1_14partition_implILS5_1ELb0ES3_jN6thrust23THRUST_200600_302600_NS6detail15normal_iteratorINSA_10device_ptrIjEEEEPS6_NSA_18transform_iteratorI7is_evenIjESF_NSA_11use_defaultESK_EENS0_5tupleIJSF_NSA_16discard_iteratorISK_EEEEENSM_IJSG_SG_EEES6_PlJS6_EEE10hipError_tPvRmT3_T4_T5_T6_T7_T9_mT8_P12ihipStream_tbDpT10_ENKUlT_T0_E_clISt17integral_constantIbLb1EES1A_IbLb0EEEEDaS16_S17_EUlS16_E_NS1_11comp_targetILNS1_3genE3ELNS1_11target_archE908ELNS1_3gpuE7ELNS1_3repE0EEENS1_30default_config_static_selectorELNS0_4arch9wavefront6targetE1EEEvT1_,"axG",@progbits,_ZN7rocprim17ROCPRIM_400000_NS6detail17trampoline_kernelINS0_14default_configENS1_25partition_config_selectorILNS1_17partition_subalgoE1EjNS0_10empty_typeEbEEZZNS1_14partition_implILS5_1ELb0ES3_jN6thrust23THRUST_200600_302600_NS6detail15normal_iteratorINSA_10device_ptrIjEEEEPS6_NSA_18transform_iteratorI7is_evenIjESF_NSA_11use_defaultESK_EENS0_5tupleIJSF_NSA_16discard_iteratorISK_EEEEENSM_IJSG_SG_EEES6_PlJS6_EEE10hipError_tPvRmT3_T4_T5_T6_T7_T9_mT8_P12ihipStream_tbDpT10_ENKUlT_T0_E_clISt17integral_constantIbLb1EES1A_IbLb0EEEEDaS16_S17_EUlS16_E_NS1_11comp_targetILNS1_3genE3ELNS1_11target_archE908ELNS1_3gpuE7ELNS1_3repE0EEENS1_30default_config_static_selectorELNS0_4arch9wavefront6targetE1EEEvT1_,comdat
.Lfunc_end3022:
	.size	_ZN7rocprim17ROCPRIM_400000_NS6detail17trampoline_kernelINS0_14default_configENS1_25partition_config_selectorILNS1_17partition_subalgoE1EjNS0_10empty_typeEbEEZZNS1_14partition_implILS5_1ELb0ES3_jN6thrust23THRUST_200600_302600_NS6detail15normal_iteratorINSA_10device_ptrIjEEEEPS6_NSA_18transform_iteratorI7is_evenIjESF_NSA_11use_defaultESK_EENS0_5tupleIJSF_NSA_16discard_iteratorISK_EEEEENSM_IJSG_SG_EEES6_PlJS6_EEE10hipError_tPvRmT3_T4_T5_T6_T7_T9_mT8_P12ihipStream_tbDpT10_ENKUlT_T0_E_clISt17integral_constantIbLb1EES1A_IbLb0EEEEDaS16_S17_EUlS16_E_NS1_11comp_targetILNS1_3genE3ELNS1_11target_archE908ELNS1_3gpuE7ELNS1_3repE0EEENS1_30default_config_static_selectorELNS0_4arch9wavefront6targetE1EEEvT1_, .Lfunc_end3022-_ZN7rocprim17ROCPRIM_400000_NS6detail17trampoline_kernelINS0_14default_configENS1_25partition_config_selectorILNS1_17partition_subalgoE1EjNS0_10empty_typeEbEEZZNS1_14partition_implILS5_1ELb0ES3_jN6thrust23THRUST_200600_302600_NS6detail15normal_iteratorINSA_10device_ptrIjEEEEPS6_NSA_18transform_iteratorI7is_evenIjESF_NSA_11use_defaultESK_EENS0_5tupleIJSF_NSA_16discard_iteratorISK_EEEEENSM_IJSG_SG_EEES6_PlJS6_EEE10hipError_tPvRmT3_T4_T5_T6_T7_T9_mT8_P12ihipStream_tbDpT10_ENKUlT_T0_E_clISt17integral_constantIbLb1EES1A_IbLb0EEEEDaS16_S17_EUlS16_E_NS1_11comp_targetILNS1_3genE3ELNS1_11target_archE908ELNS1_3gpuE7ELNS1_3repE0EEENS1_30default_config_static_selectorELNS0_4arch9wavefront6targetE1EEEvT1_
                                        ; -- End function
	.section	.AMDGPU.csdata,"",@progbits
; Kernel info:
; codeLenInByte = 0
; NumSgprs: 4
; NumVgprs: 0
; NumAgprs: 0
; TotalNumVgprs: 0
; ScratchSize: 0
; MemoryBound: 0
; FloatMode: 240
; IeeeMode: 1
; LDSByteSize: 0 bytes/workgroup (compile time only)
; SGPRBlocks: 0
; VGPRBlocks: 0
; NumSGPRsForWavesPerEU: 4
; NumVGPRsForWavesPerEU: 1
; AccumOffset: 4
; Occupancy: 8
; WaveLimiterHint : 0
; COMPUTE_PGM_RSRC2:SCRATCH_EN: 0
; COMPUTE_PGM_RSRC2:USER_SGPR: 6
; COMPUTE_PGM_RSRC2:TRAP_HANDLER: 0
; COMPUTE_PGM_RSRC2:TGID_X_EN: 1
; COMPUTE_PGM_RSRC2:TGID_Y_EN: 0
; COMPUTE_PGM_RSRC2:TGID_Z_EN: 0
; COMPUTE_PGM_RSRC2:TIDIG_COMP_CNT: 0
; COMPUTE_PGM_RSRC3_GFX90A:ACCUM_OFFSET: 0
; COMPUTE_PGM_RSRC3_GFX90A:TG_SPLIT: 0
	.section	.text._ZN7rocprim17ROCPRIM_400000_NS6detail17trampoline_kernelINS0_14default_configENS1_25partition_config_selectorILNS1_17partition_subalgoE1EjNS0_10empty_typeEbEEZZNS1_14partition_implILS5_1ELb0ES3_jN6thrust23THRUST_200600_302600_NS6detail15normal_iteratorINSA_10device_ptrIjEEEEPS6_NSA_18transform_iteratorI7is_evenIjESF_NSA_11use_defaultESK_EENS0_5tupleIJSF_NSA_16discard_iteratorISK_EEEEENSM_IJSG_SG_EEES6_PlJS6_EEE10hipError_tPvRmT3_T4_T5_T6_T7_T9_mT8_P12ihipStream_tbDpT10_ENKUlT_T0_E_clISt17integral_constantIbLb1EES1A_IbLb0EEEEDaS16_S17_EUlS16_E_NS1_11comp_targetILNS1_3genE2ELNS1_11target_archE906ELNS1_3gpuE6ELNS1_3repE0EEENS1_30default_config_static_selectorELNS0_4arch9wavefront6targetE1EEEvT1_,"axG",@progbits,_ZN7rocprim17ROCPRIM_400000_NS6detail17trampoline_kernelINS0_14default_configENS1_25partition_config_selectorILNS1_17partition_subalgoE1EjNS0_10empty_typeEbEEZZNS1_14partition_implILS5_1ELb0ES3_jN6thrust23THRUST_200600_302600_NS6detail15normal_iteratorINSA_10device_ptrIjEEEEPS6_NSA_18transform_iteratorI7is_evenIjESF_NSA_11use_defaultESK_EENS0_5tupleIJSF_NSA_16discard_iteratorISK_EEEEENSM_IJSG_SG_EEES6_PlJS6_EEE10hipError_tPvRmT3_T4_T5_T6_T7_T9_mT8_P12ihipStream_tbDpT10_ENKUlT_T0_E_clISt17integral_constantIbLb1EES1A_IbLb0EEEEDaS16_S17_EUlS16_E_NS1_11comp_targetILNS1_3genE2ELNS1_11target_archE906ELNS1_3gpuE6ELNS1_3repE0EEENS1_30default_config_static_selectorELNS0_4arch9wavefront6targetE1EEEvT1_,comdat
	.protected	_ZN7rocprim17ROCPRIM_400000_NS6detail17trampoline_kernelINS0_14default_configENS1_25partition_config_selectorILNS1_17partition_subalgoE1EjNS0_10empty_typeEbEEZZNS1_14partition_implILS5_1ELb0ES3_jN6thrust23THRUST_200600_302600_NS6detail15normal_iteratorINSA_10device_ptrIjEEEEPS6_NSA_18transform_iteratorI7is_evenIjESF_NSA_11use_defaultESK_EENS0_5tupleIJSF_NSA_16discard_iteratorISK_EEEEENSM_IJSG_SG_EEES6_PlJS6_EEE10hipError_tPvRmT3_T4_T5_T6_T7_T9_mT8_P12ihipStream_tbDpT10_ENKUlT_T0_E_clISt17integral_constantIbLb1EES1A_IbLb0EEEEDaS16_S17_EUlS16_E_NS1_11comp_targetILNS1_3genE2ELNS1_11target_archE906ELNS1_3gpuE6ELNS1_3repE0EEENS1_30default_config_static_selectorELNS0_4arch9wavefront6targetE1EEEvT1_ ; -- Begin function _ZN7rocprim17ROCPRIM_400000_NS6detail17trampoline_kernelINS0_14default_configENS1_25partition_config_selectorILNS1_17partition_subalgoE1EjNS0_10empty_typeEbEEZZNS1_14partition_implILS5_1ELb0ES3_jN6thrust23THRUST_200600_302600_NS6detail15normal_iteratorINSA_10device_ptrIjEEEEPS6_NSA_18transform_iteratorI7is_evenIjESF_NSA_11use_defaultESK_EENS0_5tupleIJSF_NSA_16discard_iteratorISK_EEEEENSM_IJSG_SG_EEES6_PlJS6_EEE10hipError_tPvRmT3_T4_T5_T6_T7_T9_mT8_P12ihipStream_tbDpT10_ENKUlT_T0_E_clISt17integral_constantIbLb1EES1A_IbLb0EEEEDaS16_S17_EUlS16_E_NS1_11comp_targetILNS1_3genE2ELNS1_11target_archE906ELNS1_3gpuE6ELNS1_3repE0EEENS1_30default_config_static_selectorELNS0_4arch9wavefront6targetE1EEEvT1_
	.globl	_ZN7rocprim17ROCPRIM_400000_NS6detail17trampoline_kernelINS0_14default_configENS1_25partition_config_selectorILNS1_17partition_subalgoE1EjNS0_10empty_typeEbEEZZNS1_14partition_implILS5_1ELb0ES3_jN6thrust23THRUST_200600_302600_NS6detail15normal_iteratorINSA_10device_ptrIjEEEEPS6_NSA_18transform_iteratorI7is_evenIjESF_NSA_11use_defaultESK_EENS0_5tupleIJSF_NSA_16discard_iteratorISK_EEEEENSM_IJSG_SG_EEES6_PlJS6_EEE10hipError_tPvRmT3_T4_T5_T6_T7_T9_mT8_P12ihipStream_tbDpT10_ENKUlT_T0_E_clISt17integral_constantIbLb1EES1A_IbLb0EEEEDaS16_S17_EUlS16_E_NS1_11comp_targetILNS1_3genE2ELNS1_11target_archE906ELNS1_3gpuE6ELNS1_3repE0EEENS1_30default_config_static_selectorELNS0_4arch9wavefront6targetE1EEEvT1_
	.p2align	8
	.type	_ZN7rocprim17ROCPRIM_400000_NS6detail17trampoline_kernelINS0_14default_configENS1_25partition_config_selectorILNS1_17partition_subalgoE1EjNS0_10empty_typeEbEEZZNS1_14partition_implILS5_1ELb0ES3_jN6thrust23THRUST_200600_302600_NS6detail15normal_iteratorINSA_10device_ptrIjEEEEPS6_NSA_18transform_iteratorI7is_evenIjESF_NSA_11use_defaultESK_EENS0_5tupleIJSF_NSA_16discard_iteratorISK_EEEEENSM_IJSG_SG_EEES6_PlJS6_EEE10hipError_tPvRmT3_T4_T5_T6_T7_T9_mT8_P12ihipStream_tbDpT10_ENKUlT_T0_E_clISt17integral_constantIbLb1EES1A_IbLb0EEEEDaS16_S17_EUlS16_E_NS1_11comp_targetILNS1_3genE2ELNS1_11target_archE906ELNS1_3gpuE6ELNS1_3repE0EEENS1_30default_config_static_selectorELNS0_4arch9wavefront6targetE1EEEvT1_,@function
_ZN7rocprim17ROCPRIM_400000_NS6detail17trampoline_kernelINS0_14default_configENS1_25partition_config_selectorILNS1_17partition_subalgoE1EjNS0_10empty_typeEbEEZZNS1_14partition_implILS5_1ELb0ES3_jN6thrust23THRUST_200600_302600_NS6detail15normal_iteratorINSA_10device_ptrIjEEEEPS6_NSA_18transform_iteratorI7is_evenIjESF_NSA_11use_defaultESK_EENS0_5tupleIJSF_NSA_16discard_iteratorISK_EEEEENSM_IJSG_SG_EEES6_PlJS6_EEE10hipError_tPvRmT3_T4_T5_T6_T7_T9_mT8_P12ihipStream_tbDpT10_ENKUlT_T0_E_clISt17integral_constantIbLb1EES1A_IbLb0EEEEDaS16_S17_EUlS16_E_NS1_11comp_targetILNS1_3genE2ELNS1_11target_archE906ELNS1_3gpuE6ELNS1_3repE0EEENS1_30default_config_static_selectorELNS0_4arch9wavefront6targetE1EEEvT1_: ; @_ZN7rocprim17ROCPRIM_400000_NS6detail17trampoline_kernelINS0_14default_configENS1_25partition_config_selectorILNS1_17partition_subalgoE1EjNS0_10empty_typeEbEEZZNS1_14partition_implILS5_1ELb0ES3_jN6thrust23THRUST_200600_302600_NS6detail15normal_iteratorINSA_10device_ptrIjEEEEPS6_NSA_18transform_iteratorI7is_evenIjESF_NSA_11use_defaultESK_EENS0_5tupleIJSF_NSA_16discard_iteratorISK_EEEEENSM_IJSG_SG_EEES6_PlJS6_EEE10hipError_tPvRmT3_T4_T5_T6_T7_T9_mT8_P12ihipStream_tbDpT10_ENKUlT_T0_E_clISt17integral_constantIbLb1EES1A_IbLb0EEEEDaS16_S17_EUlS16_E_NS1_11comp_targetILNS1_3genE2ELNS1_11target_archE906ELNS1_3gpuE6ELNS1_3repE0EEENS1_30default_config_static_selectorELNS0_4arch9wavefront6targetE1EEEvT1_
; %bb.0:
	.section	.rodata,"a",@progbits
	.p2align	6, 0x0
	.amdhsa_kernel _ZN7rocprim17ROCPRIM_400000_NS6detail17trampoline_kernelINS0_14default_configENS1_25partition_config_selectorILNS1_17partition_subalgoE1EjNS0_10empty_typeEbEEZZNS1_14partition_implILS5_1ELb0ES3_jN6thrust23THRUST_200600_302600_NS6detail15normal_iteratorINSA_10device_ptrIjEEEEPS6_NSA_18transform_iteratorI7is_evenIjESF_NSA_11use_defaultESK_EENS0_5tupleIJSF_NSA_16discard_iteratorISK_EEEEENSM_IJSG_SG_EEES6_PlJS6_EEE10hipError_tPvRmT3_T4_T5_T6_T7_T9_mT8_P12ihipStream_tbDpT10_ENKUlT_T0_E_clISt17integral_constantIbLb1EES1A_IbLb0EEEEDaS16_S17_EUlS16_E_NS1_11comp_targetILNS1_3genE2ELNS1_11target_archE906ELNS1_3gpuE6ELNS1_3repE0EEENS1_30default_config_static_selectorELNS0_4arch9wavefront6targetE1EEEvT1_
		.amdhsa_group_segment_fixed_size 0
		.amdhsa_private_segment_fixed_size 0
		.amdhsa_kernarg_size 136
		.amdhsa_user_sgpr_count 6
		.amdhsa_user_sgpr_private_segment_buffer 1
		.amdhsa_user_sgpr_dispatch_ptr 0
		.amdhsa_user_sgpr_queue_ptr 0
		.amdhsa_user_sgpr_kernarg_segment_ptr 1
		.amdhsa_user_sgpr_dispatch_id 0
		.amdhsa_user_sgpr_flat_scratch_init 0
		.amdhsa_user_sgpr_kernarg_preload_length 0
		.amdhsa_user_sgpr_kernarg_preload_offset 0
		.amdhsa_user_sgpr_private_segment_size 0
		.amdhsa_uses_dynamic_stack 0
		.amdhsa_system_sgpr_private_segment_wavefront_offset 0
		.amdhsa_system_sgpr_workgroup_id_x 1
		.amdhsa_system_sgpr_workgroup_id_y 0
		.amdhsa_system_sgpr_workgroup_id_z 0
		.amdhsa_system_sgpr_workgroup_info 0
		.amdhsa_system_vgpr_workitem_id 0
		.amdhsa_next_free_vgpr 1
		.amdhsa_next_free_sgpr 0
		.amdhsa_accum_offset 4
		.amdhsa_reserve_vcc 0
		.amdhsa_reserve_flat_scratch 0
		.amdhsa_float_round_mode_32 0
		.amdhsa_float_round_mode_16_64 0
		.amdhsa_float_denorm_mode_32 3
		.amdhsa_float_denorm_mode_16_64 3
		.amdhsa_dx10_clamp 1
		.amdhsa_ieee_mode 1
		.amdhsa_fp16_overflow 0
		.amdhsa_tg_split 0
		.amdhsa_exception_fp_ieee_invalid_op 0
		.amdhsa_exception_fp_denorm_src 0
		.amdhsa_exception_fp_ieee_div_zero 0
		.amdhsa_exception_fp_ieee_overflow 0
		.amdhsa_exception_fp_ieee_underflow 0
		.amdhsa_exception_fp_ieee_inexact 0
		.amdhsa_exception_int_div_zero 0
	.end_amdhsa_kernel
	.section	.text._ZN7rocprim17ROCPRIM_400000_NS6detail17trampoline_kernelINS0_14default_configENS1_25partition_config_selectorILNS1_17partition_subalgoE1EjNS0_10empty_typeEbEEZZNS1_14partition_implILS5_1ELb0ES3_jN6thrust23THRUST_200600_302600_NS6detail15normal_iteratorINSA_10device_ptrIjEEEEPS6_NSA_18transform_iteratorI7is_evenIjESF_NSA_11use_defaultESK_EENS0_5tupleIJSF_NSA_16discard_iteratorISK_EEEEENSM_IJSG_SG_EEES6_PlJS6_EEE10hipError_tPvRmT3_T4_T5_T6_T7_T9_mT8_P12ihipStream_tbDpT10_ENKUlT_T0_E_clISt17integral_constantIbLb1EES1A_IbLb0EEEEDaS16_S17_EUlS16_E_NS1_11comp_targetILNS1_3genE2ELNS1_11target_archE906ELNS1_3gpuE6ELNS1_3repE0EEENS1_30default_config_static_selectorELNS0_4arch9wavefront6targetE1EEEvT1_,"axG",@progbits,_ZN7rocprim17ROCPRIM_400000_NS6detail17trampoline_kernelINS0_14default_configENS1_25partition_config_selectorILNS1_17partition_subalgoE1EjNS0_10empty_typeEbEEZZNS1_14partition_implILS5_1ELb0ES3_jN6thrust23THRUST_200600_302600_NS6detail15normal_iteratorINSA_10device_ptrIjEEEEPS6_NSA_18transform_iteratorI7is_evenIjESF_NSA_11use_defaultESK_EENS0_5tupleIJSF_NSA_16discard_iteratorISK_EEEEENSM_IJSG_SG_EEES6_PlJS6_EEE10hipError_tPvRmT3_T4_T5_T6_T7_T9_mT8_P12ihipStream_tbDpT10_ENKUlT_T0_E_clISt17integral_constantIbLb1EES1A_IbLb0EEEEDaS16_S17_EUlS16_E_NS1_11comp_targetILNS1_3genE2ELNS1_11target_archE906ELNS1_3gpuE6ELNS1_3repE0EEENS1_30default_config_static_selectorELNS0_4arch9wavefront6targetE1EEEvT1_,comdat
.Lfunc_end3023:
	.size	_ZN7rocprim17ROCPRIM_400000_NS6detail17trampoline_kernelINS0_14default_configENS1_25partition_config_selectorILNS1_17partition_subalgoE1EjNS0_10empty_typeEbEEZZNS1_14partition_implILS5_1ELb0ES3_jN6thrust23THRUST_200600_302600_NS6detail15normal_iteratorINSA_10device_ptrIjEEEEPS6_NSA_18transform_iteratorI7is_evenIjESF_NSA_11use_defaultESK_EENS0_5tupleIJSF_NSA_16discard_iteratorISK_EEEEENSM_IJSG_SG_EEES6_PlJS6_EEE10hipError_tPvRmT3_T4_T5_T6_T7_T9_mT8_P12ihipStream_tbDpT10_ENKUlT_T0_E_clISt17integral_constantIbLb1EES1A_IbLb0EEEEDaS16_S17_EUlS16_E_NS1_11comp_targetILNS1_3genE2ELNS1_11target_archE906ELNS1_3gpuE6ELNS1_3repE0EEENS1_30default_config_static_selectorELNS0_4arch9wavefront6targetE1EEEvT1_, .Lfunc_end3023-_ZN7rocprim17ROCPRIM_400000_NS6detail17trampoline_kernelINS0_14default_configENS1_25partition_config_selectorILNS1_17partition_subalgoE1EjNS0_10empty_typeEbEEZZNS1_14partition_implILS5_1ELb0ES3_jN6thrust23THRUST_200600_302600_NS6detail15normal_iteratorINSA_10device_ptrIjEEEEPS6_NSA_18transform_iteratorI7is_evenIjESF_NSA_11use_defaultESK_EENS0_5tupleIJSF_NSA_16discard_iteratorISK_EEEEENSM_IJSG_SG_EEES6_PlJS6_EEE10hipError_tPvRmT3_T4_T5_T6_T7_T9_mT8_P12ihipStream_tbDpT10_ENKUlT_T0_E_clISt17integral_constantIbLb1EES1A_IbLb0EEEEDaS16_S17_EUlS16_E_NS1_11comp_targetILNS1_3genE2ELNS1_11target_archE906ELNS1_3gpuE6ELNS1_3repE0EEENS1_30default_config_static_selectorELNS0_4arch9wavefront6targetE1EEEvT1_
                                        ; -- End function
	.section	.AMDGPU.csdata,"",@progbits
; Kernel info:
; codeLenInByte = 0
; NumSgprs: 4
; NumVgprs: 0
; NumAgprs: 0
; TotalNumVgprs: 0
; ScratchSize: 0
; MemoryBound: 0
; FloatMode: 240
; IeeeMode: 1
; LDSByteSize: 0 bytes/workgroup (compile time only)
; SGPRBlocks: 0
; VGPRBlocks: 0
; NumSGPRsForWavesPerEU: 4
; NumVGPRsForWavesPerEU: 1
; AccumOffset: 4
; Occupancy: 8
; WaveLimiterHint : 0
; COMPUTE_PGM_RSRC2:SCRATCH_EN: 0
; COMPUTE_PGM_RSRC2:USER_SGPR: 6
; COMPUTE_PGM_RSRC2:TRAP_HANDLER: 0
; COMPUTE_PGM_RSRC2:TGID_X_EN: 1
; COMPUTE_PGM_RSRC2:TGID_Y_EN: 0
; COMPUTE_PGM_RSRC2:TGID_Z_EN: 0
; COMPUTE_PGM_RSRC2:TIDIG_COMP_CNT: 0
; COMPUTE_PGM_RSRC3_GFX90A:ACCUM_OFFSET: 0
; COMPUTE_PGM_RSRC3_GFX90A:TG_SPLIT: 0
	.section	.text._ZN7rocprim17ROCPRIM_400000_NS6detail17trampoline_kernelINS0_14default_configENS1_25partition_config_selectorILNS1_17partition_subalgoE1EjNS0_10empty_typeEbEEZZNS1_14partition_implILS5_1ELb0ES3_jN6thrust23THRUST_200600_302600_NS6detail15normal_iteratorINSA_10device_ptrIjEEEEPS6_NSA_18transform_iteratorI7is_evenIjESF_NSA_11use_defaultESK_EENS0_5tupleIJSF_NSA_16discard_iteratorISK_EEEEENSM_IJSG_SG_EEES6_PlJS6_EEE10hipError_tPvRmT3_T4_T5_T6_T7_T9_mT8_P12ihipStream_tbDpT10_ENKUlT_T0_E_clISt17integral_constantIbLb1EES1A_IbLb0EEEEDaS16_S17_EUlS16_E_NS1_11comp_targetILNS1_3genE10ELNS1_11target_archE1200ELNS1_3gpuE4ELNS1_3repE0EEENS1_30default_config_static_selectorELNS0_4arch9wavefront6targetE1EEEvT1_,"axG",@progbits,_ZN7rocprim17ROCPRIM_400000_NS6detail17trampoline_kernelINS0_14default_configENS1_25partition_config_selectorILNS1_17partition_subalgoE1EjNS0_10empty_typeEbEEZZNS1_14partition_implILS5_1ELb0ES3_jN6thrust23THRUST_200600_302600_NS6detail15normal_iteratorINSA_10device_ptrIjEEEEPS6_NSA_18transform_iteratorI7is_evenIjESF_NSA_11use_defaultESK_EENS0_5tupleIJSF_NSA_16discard_iteratorISK_EEEEENSM_IJSG_SG_EEES6_PlJS6_EEE10hipError_tPvRmT3_T4_T5_T6_T7_T9_mT8_P12ihipStream_tbDpT10_ENKUlT_T0_E_clISt17integral_constantIbLb1EES1A_IbLb0EEEEDaS16_S17_EUlS16_E_NS1_11comp_targetILNS1_3genE10ELNS1_11target_archE1200ELNS1_3gpuE4ELNS1_3repE0EEENS1_30default_config_static_selectorELNS0_4arch9wavefront6targetE1EEEvT1_,comdat
	.protected	_ZN7rocprim17ROCPRIM_400000_NS6detail17trampoline_kernelINS0_14default_configENS1_25partition_config_selectorILNS1_17partition_subalgoE1EjNS0_10empty_typeEbEEZZNS1_14partition_implILS5_1ELb0ES3_jN6thrust23THRUST_200600_302600_NS6detail15normal_iteratorINSA_10device_ptrIjEEEEPS6_NSA_18transform_iteratorI7is_evenIjESF_NSA_11use_defaultESK_EENS0_5tupleIJSF_NSA_16discard_iteratorISK_EEEEENSM_IJSG_SG_EEES6_PlJS6_EEE10hipError_tPvRmT3_T4_T5_T6_T7_T9_mT8_P12ihipStream_tbDpT10_ENKUlT_T0_E_clISt17integral_constantIbLb1EES1A_IbLb0EEEEDaS16_S17_EUlS16_E_NS1_11comp_targetILNS1_3genE10ELNS1_11target_archE1200ELNS1_3gpuE4ELNS1_3repE0EEENS1_30default_config_static_selectorELNS0_4arch9wavefront6targetE1EEEvT1_ ; -- Begin function _ZN7rocprim17ROCPRIM_400000_NS6detail17trampoline_kernelINS0_14default_configENS1_25partition_config_selectorILNS1_17partition_subalgoE1EjNS0_10empty_typeEbEEZZNS1_14partition_implILS5_1ELb0ES3_jN6thrust23THRUST_200600_302600_NS6detail15normal_iteratorINSA_10device_ptrIjEEEEPS6_NSA_18transform_iteratorI7is_evenIjESF_NSA_11use_defaultESK_EENS0_5tupleIJSF_NSA_16discard_iteratorISK_EEEEENSM_IJSG_SG_EEES6_PlJS6_EEE10hipError_tPvRmT3_T4_T5_T6_T7_T9_mT8_P12ihipStream_tbDpT10_ENKUlT_T0_E_clISt17integral_constantIbLb1EES1A_IbLb0EEEEDaS16_S17_EUlS16_E_NS1_11comp_targetILNS1_3genE10ELNS1_11target_archE1200ELNS1_3gpuE4ELNS1_3repE0EEENS1_30default_config_static_selectorELNS0_4arch9wavefront6targetE1EEEvT1_
	.globl	_ZN7rocprim17ROCPRIM_400000_NS6detail17trampoline_kernelINS0_14default_configENS1_25partition_config_selectorILNS1_17partition_subalgoE1EjNS0_10empty_typeEbEEZZNS1_14partition_implILS5_1ELb0ES3_jN6thrust23THRUST_200600_302600_NS6detail15normal_iteratorINSA_10device_ptrIjEEEEPS6_NSA_18transform_iteratorI7is_evenIjESF_NSA_11use_defaultESK_EENS0_5tupleIJSF_NSA_16discard_iteratorISK_EEEEENSM_IJSG_SG_EEES6_PlJS6_EEE10hipError_tPvRmT3_T4_T5_T6_T7_T9_mT8_P12ihipStream_tbDpT10_ENKUlT_T0_E_clISt17integral_constantIbLb1EES1A_IbLb0EEEEDaS16_S17_EUlS16_E_NS1_11comp_targetILNS1_3genE10ELNS1_11target_archE1200ELNS1_3gpuE4ELNS1_3repE0EEENS1_30default_config_static_selectorELNS0_4arch9wavefront6targetE1EEEvT1_
	.p2align	8
	.type	_ZN7rocprim17ROCPRIM_400000_NS6detail17trampoline_kernelINS0_14default_configENS1_25partition_config_selectorILNS1_17partition_subalgoE1EjNS0_10empty_typeEbEEZZNS1_14partition_implILS5_1ELb0ES3_jN6thrust23THRUST_200600_302600_NS6detail15normal_iteratorINSA_10device_ptrIjEEEEPS6_NSA_18transform_iteratorI7is_evenIjESF_NSA_11use_defaultESK_EENS0_5tupleIJSF_NSA_16discard_iteratorISK_EEEEENSM_IJSG_SG_EEES6_PlJS6_EEE10hipError_tPvRmT3_T4_T5_T6_T7_T9_mT8_P12ihipStream_tbDpT10_ENKUlT_T0_E_clISt17integral_constantIbLb1EES1A_IbLb0EEEEDaS16_S17_EUlS16_E_NS1_11comp_targetILNS1_3genE10ELNS1_11target_archE1200ELNS1_3gpuE4ELNS1_3repE0EEENS1_30default_config_static_selectorELNS0_4arch9wavefront6targetE1EEEvT1_,@function
_ZN7rocprim17ROCPRIM_400000_NS6detail17trampoline_kernelINS0_14default_configENS1_25partition_config_selectorILNS1_17partition_subalgoE1EjNS0_10empty_typeEbEEZZNS1_14partition_implILS5_1ELb0ES3_jN6thrust23THRUST_200600_302600_NS6detail15normal_iteratorINSA_10device_ptrIjEEEEPS6_NSA_18transform_iteratorI7is_evenIjESF_NSA_11use_defaultESK_EENS0_5tupleIJSF_NSA_16discard_iteratorISK_EEEEENSM_IJSG_SG_EEES6_PlJS6_EEE10hipError_tPvRmT3_T4_T5_T6_T7_T9_mT8_P12ihipStream_tbDpT10_ENKUlT_T0_E_clISt17integral_constantIbLb1EES1A_IbLb0EEEEDaS16_S17_EUlS16_E_NS1_11comp_targetILNS1_3genE10ELNS1_11target_archE1200ELNS1_3gpuE4ELNS1_3repE0EEENS1_30default_config_static_selectorELNS0_4arch9wavefront6targetE1EEEvT1_: ; @_ZN7rocprim17ROCPRIM_400000_NS6detail17trampoline_kernelINS0_14default_configENS1_25partition_config_selectorILNS1_17partition_subalgoE1EjNS0_10empty_typeEbEEZZNS1_14partition_implILS5_1ELb0ES3_jN6thrust23THRUST_200600_302600_NS6detail15normal_iteratorINSA_10device_ptrIjEEEEPS6_NSA_18transform_iteratorI7is_evenIjESF_NSA_11use_defaultESK_EENS0_5tupleIJSF_NSA_16discard_iteratorISK_EEEEENSM_IJSG_SG_EEES6_PlJS6_EEE10hipError_tPvRmT3_T4_T5_T6_T7_T9_mT8_P12ihipStream_tbDpT10_ENKUlT_T0_E_clISt17integral_constantIbLb1EES1A_IbLb0EEEEDaS16_S17_EUlS16_E_NS1_11comp_targetILNS1_3genE10ELNS1_11target_archE1200ELNS1_3gpuE4ELNS1_3repE0EEENS1_30default_config_static_selectorELNS0_4arch9wavefront6targetE1EEEvT1_
; %bb.0:
	.section	.rodata,"a",@progbits
	.p2align	6, 0x0
	.amdhsa_kernel _ZN7rocprim17ROCPRIM_400000_NS6detail17trampoline_kernelINS0_14default_configENS1_25partition_config_selectorILNS1_17partition_subalgoE1EjNS0_10empty_typeEbEEZZNS1_14partition_implILS5_1ELb0ES3_jN6thrust23THRUST_200600_302600_NS6detail15normal_iteratorINSA_10device_ptrIjEEEEPS6_NSA_18transform_iteratorI7is_evenIjESF_NSA_11use_defaultESK_EENS0_5tupleIJSF_NSA_16discard_iteratorISK_EEEEENSM_IJSG_SG_EEES6_PlJS6_EEE10hipError_tPvRmT3_T4_T5_T6_T7_T9_mT8_P12ihipStream_tbDpT10_ENKUlT_T0_E_clISt17integral_constantIbLb1EES1A_IbLb0EEEEDaS16_S17_EUlS16_E_NS1_11comp_targetILNS1_3genE10ELNS1_11target_archE1200ELNS1_3gpuE4ELNS1_3repE0EEENS1_30default_config_static_selectorELNS0_4arch9wavefront6targetE1EEEvT1_
		.amdhsa_group_segment_fixed_size 0
		.amdhsa_private_segment_fixed_size 0
		.amdhsa_kernarg_size 136
		.amdhsa_user_sgpr_count 6
		.amdhsa_user_sgpr_private_segment_buffer 1
		.amdhsa_user_sgpr_dispatch_ptr 0
		.amdhsa_user_sgpr_queue_ptr 0
		.amdhsa_user_sgpr_kernarg_segment_ptr 1
		.amdhsa_user_sgpr_dispatch_id 0
		.amdhsa_user_sgpr_flat_scratch_init 0
		.amdhsa_user_sgpr_kernarg_preload_length 0
		.amdhsa_user_sgpr_kernarg_preload_offset 0
		.amdhsa_user_sgpr_private_segment_size 0
		.amdhsa_uses_dynamic_stack 0
		.amdhsa_system_sgpr_private_segment_wavefront_offset 0
		.amdhsa_system_sgpr_workgroup_id_x 1
		.amdhsa_system_sgpr_workgroup_id_y 0
		.amdhsa_system_sgpr_workgroup_id_z 0
		.amdhsa_system_sgpr_workgroup_info 0
		.amdhsa_system_vgpr_workitem_id 0
		.amdhsa_next_free_vgpr 1
		.amdhsa_next_free_sgpr 0
		.amdhsa_accum_offset 4
		.amdhsa_reserve_vcc 0
		.amdhsa_reserve_flat_scratch 0
		.amdhsa_float_round_mode_32 0
		.amdhsa_float_round_mode_16_64 0
		.amdhsa_float_denorm_mode_32 3
		.amdhsa_float_denorm_mode_16_64 3
		.amdhsa_dx10_clamp 1
		.amdhsa_ieee_mode 1
		.amdhsa_fp16_overflow 0
		.amdhsa_tg_split 0
		.amdhsa_exception_fp_ieee_invalid_op 0
		.amdhsa_exception_fp_denorm_src 0
		.amdhsa_exception_fp_ieee_div_zero 0
		.amdhsa_exception_fp_ieee_overflow 0
		.amdhsa_exception_fp_ieee_underflow 0
		.amdhsa_exception_fp_ieee_inexact 0
		.amdhsa_exception_int_div_zero 0
	.end_amdhsa_kernel
	.section	.text._ZN7rocprim17ROCPRIM_400000_NS6detail17trampoline_kernelINS0_14default_configENS1_25partition_config_selectorILNS1_17partition_subalgoE1EjNS0_10empty_typeEbEEZZNS1_14partition_implILS5_1ELb0ES3_jN6thrust23THRUST_200600_302600_NS6detail15normal_iteratorINSA_10device_ptrIjEEEEPS6_NSA_18transform_iteratorI7is_evenIjESF_NSA_11use_defaultESK_EENS0_5tupleIJSF_NSA_16discard_iteratorISK_EEEEENSM_IJSG_SG_EEES6_PlJS6_EEE10hipError_tPvRmT3_T4_T5_T6_T7_T9_mT8_P12ihipStream_tbDpT10_ENKUlT_T0_E_clISt17integral_constantIbLb1EES1A_IbLb0EEEEDaS16_S17_EUlS16_E_NS1_11comp_targetILNS1_3genE10ELNS1_11target_archE1200ELNS1_3gpuE4ELNS1_3repE0EEENS1_30default_config_static_selectorELNS0_4arch9wavefront6targetE1EEEvT1_,"axG",@progbits,_ZN7rocprim17ROCPRIM_400000_NS6detail17trampoline_kernelINS0_14default_configENS1_25partition_config_selectorILNS1_17partition_subalgoE1EjNS0_10empty_typeEbEEZZNS1_14partition_implILS5_1ELb0ES3_jN6thrust23THRUST_200600_302600_NS6detail15normal_iteratorINSA_10device_ptrIjEEEEPS6_NSA_18transform_iteratorI7is_evenIjESF_NSA_11use_defaultESK_EENS0_5tupleIJSF_NSA_16discard_iteratorISK_EEEEENSM_IJSG_SG_EEES6_PlJS6_EEE10hipError_tPvRmT3_T4_T5_T6_T7_T9_mT8_P12ihipStream_tbDpT10_ENKUlT_T0_E_clISt17integral_constantIbLb1EES1A_IbLb0EEEEDaS16_S17_EUlS16_E_NS1_11comp_targetILNS1_3genE10ELNS1_11target_archE1200ELNS1_3gpuE4ELNS1_3repE0EEENS1_30default_config_static_selectorELNS0_4arch9wavefront6targetE1EEEvT1_,comdat
.Lfunc_end3024:
	.size	_ZN7rocprim17ROCPRIM_400000_NS6detail17trampoline_kernelINS0_14default_configENS1_25partition_config_selectorILNS1_17partition_subalgoE1EjNS0_10empty_typeEbEEZZNS1_14partition_implILS5_1ELb0ES3_jN6thrust23THRUST_200600_302600_NS6detail15normal_iteratorINSA_10device_ptrIjEEEEPS6_NSA_18transform_iteratorI7is_evenIjESF_NSA_11use_defaultESK_EENS0_5tupleIJSF_NSA_16discard_iteratorISK_EEEEENSM_IJSG_SG_EEES6_PlJS6_EEE10hipError_tPvRmT3_T4_T5_T6_T7_T9_mT8_P12ihipStream_tbDpT10_ENKUlT_T0_E_clISt17integral_constantIbLb1EES1A_IbLb0EEEEDaS16_S17_EUlS16_E_NS1_11comp_targetILNS1_3genE10ELNS1_11target_archE1200ELNS1_3gpuE4ELNS1_3repE0EEENS1_30default_config_static_selectorELNS0_4arch9wavefront6targetE1EEEvT1_, .Lfunc_end3024-_ZN7rocprim17ROCPRIM_400000_NS6detail17trampoline_kernelINS0_14default_configENS1_25partition_config_selectorILNS1_17partition_subalgoE1EjNS0_10empty_typeEbEEZZNS1_14partition_implILS5_1ELb0ES3_jN6thrust23THRUST_200600_302600_NS6detail15normal_iteratorINSA_10device_ptrIjEEEEPS6_NSA_18transform_iteratorI7is_evenIjESF_NSA_11use_defaultESK_EENS0_5tupleIJSF_NSA_16discard_iteratorISK_EEEEENSM_IJSG_SG_EEES6_PlJS6_EEE10hipError_tPvRmT3_T4_T5_T6_T7_T9_mT8_P12ihipStream_tbDpT10_ENKUlT_T0_E_clISt17integral_constantIbLb1EES1A_IbLb0EEEEDaS16_S17_EUlS16_E_NS1_11comp_targetILNS1_3genE10ELNS1_11target_archE1200ELNS1_3gpuE4ELNS1_3repE0EEENS1_30default_config_static_selectorELNS0_4arch9wavefront6targetE1EEEvT1_
                                        ; -- End function
	.section	.AMDGPU.csdata,"",@progbits
; Kernel info:
; codeLenInByte = 0
; NumSgprs: 4
; NumVgprs: 0
; NumAgprs: 0
; TotalNumVgprs: 0
; ScratchSize: 0
; MemoryBound: 0
; FloatMode: 240
; IeeeMode: 1
; LDSByteSize: 0 bytes/workgroup (compile time only)
; SGPRBlocks: 0
; VGPRBlocks: 0
; NumSGPRsForWavesPerEU: 4
; NumVGPRsForWavesPerEU: 1
; AccumOffset: 4
; Occupancy: 8
; WaveLimiterHint : 0
; COMPUTE_PGM_RSRC2:SCRATCH_EN: 0
; COMPUTE_PGM_RSRC2:USER_SGPR: 6
; COMPUTE_PGM_RSRC2:TRAP_HANDLER: 0
; COMPUTE_PGM_RSRC2:TGID_X_EN: 1
; COMPUTE_PGM_RSRC2:TGID_Y_EN: 0
; COMPUTE_PGM_RSRC2:TGID_Z_EN: 0
; COMPUTE_PGM_RSRC2:TIDIG_COMP_CNT: 0
; COMPUTE_PGM_RSRC3_GFX90A:ACCUM_OFFSET: 0
; COMPUTE_PGM_RSRC3_GFX90A:TG_SPLIT: 0
	.section	.text._ZN7rocprim17ROCPRIM_400000_NS6detail17trampoline_kernelINS0_14default_configENS1_25partition_config_selectorILNS1_17partition_subalgoE1EjNS0_10empty_typeEbEEZZNS1_14partition_implILS5_1ELb0ES3_jN6thrust23THRUST_200600_302600_NS6detail15normal_iteratorINSA_10device_ptrIjEEEEPS6_NSA_18transform_iteratorI7is_evenIjESF_NSA_11use_defaultESK_EENS0_5tupleIJSF_NSA_16discard_iteratorISK_EEEEENSM_IJSG_SG_EEES6_PlJS6_EEE10hipError_tPvRmT3_T4_T5_T6_T7_T9_mT8_P12ihipStream_tbDpT10_ENKUlT_T0_E_clISt17integral_constantIbLb1EES1A_IbLb0EEEEDaS16_S17_EUlS16_E_NS1_11comp_targetILNS1_3genE9ELNS1_11target_archE1100ELNS1_3gpuE3ELNS1_3repE0EEENS1_30default_config_static_selectorELNS0_4arch9wavefront6targetE1EEEvT1_,"axG",@progbits,_ZN7rocprim17ROCPRIM_400000_NS6detail17trampoline_kernelINS0_14default_configENS1_25partition_config_selectorILNS1_17partition_subalgoE1EjNS0_10empty_typeEbEEZZNS1_14partition_implILS5_1ELb0ES3_jN6thrust23THRUST_200600_302600_NS6detail15normal_iteratorINSA_10device_ptrIjEEEEPS6_NSA_18transform_iteratorI7is_evenIjESF_NSA_11use_defaultESK_EENS0_5tupleIJSF_NSA_16discard_iteratorISK_EEEEENSM_IJSG_SG_EEES6_PlJS6_EEE10hipError_tPvRmT3_T4_T5_T6_T7_T9_mT8_P12ihipStream_tbDpT10_ENKUlT_T0_E_clISt17integral_constantIbLb1EES1A_IbLb0EEEEDaS16_S17_EUlS16_E_NS1_11comp_targetILNS1_3genE9ELNS1_11target_archE1100ELNS1_3gpuE3ELNS1_3repE0EEENS1_30default_config_static_selectorELNS0_4arch9wavefront6targetE1EEEvT1_,comdat
	.protected	_ZN7rocprim17ROCPRIM_400000_NS6detail17trampoline_kernelINS0_14default_configENS1_25partition_config_selectorILNS1_17partition_subalgoE1EjNS0_10empty_typeEbEEZZNS1_14partition_implILS5_1ELb0ES3_jN6thrust23THRUST_200600_302600_NS6detail15normal_iteratorINSA_10device_ptrIjEEEEPS6_NSA_18transform_iteratorI7is_evenIjESF_NSA_11use_defaultESK_EENS0_5tupleIJSF_NSA_16discard_iteratorISK_EEEEENSM_IJSG_SG_EEES6_PlJS6_EEE10hipError_tPvRmT3_T4_T5_T6_T7_T9_mT8_P12ihipStream_tbDpT10_ENKUlT_T0_E_clISt17integral_constantIbLb1EES1A_IbLb0EEEEDaS16_S17_EUlS16_E_NS1_11comp_targetILNS1_3genE9ELNS1_11target_archE1100ELNS1_3gpuE3ELNS1_3repE0EEENS1_30default_config_static_selectorELNS0_4arch9wavefront6targetE1EEEvT1_ ; -- Begin function _ZN7rocprim17ROCPRIM_400000_NS6detail17trampoline_kernelINS0_14default_configENS1_25partition_config_selectorILNS1_17partition_subalgoE1EjNS0_10empty_typeEbEEZZNS1_14partition_implILS5_1ELb0ES3_jN6thrust23THRUST_200600_302600_NS6detail15normal_iteratorINSA_10device_ptrIjEEEEPS6_NSA_18transform_iteratorI7is_evenIjESF_NSA_11use_defaultESK_EENS0_5tupleIJSF_NSA_16discard_iteratorISK_EEEEENSM_IJSG_SG_EEES6_PlJS6_EEE10hipError_tPvRmT3_T4_T5_T6_T7_T9_mT8_P12ihipStream_tbDpT10_ENKUlT_T0_E_clISt17integral_constantIbLb1EES1A_IbLb0EEEEDaS16_S17_EUlS16_E_NS1_11comp_targetILNS1_3genE9ELNS1_11target_archE1100ELNS1_3gpuE3ELNS1_3repE0EEENS1_30default_config_static_selectorELNS0_4arch9wavefront6targetE1EEEvT1_
	.globl	_ZN7rocprim17ROCPRIM_400000_NS6detail17trampoline_kernelINS0_14default_configENS1_25partition_config_selectorILNS1_17partition_subalgoE1EjNS0_10empty_typeEbEEZZNS1_14partition_implILS5_1ELb0ES3_jN6thrust23THRUST_200600_302600_NS6detail15normal_iteratorINSA_10device_ptrIjEEEEPS6_NSA_18transform_iteratorI7is_evenIjESF_NSA_11use_defaultESK_EENS0_5tupleIJSF_NSA_16discard_iteratorISK_EEEEENSM_IJSG_SG_EEES6_PlJS6_EEE10hipError_tPvRmT3_T4_T5_T6_T7_T9_mT8_P12ihipStream_tbDpT10_ENKUlT_T0_E_clISt17integral_constantIbLb1EES1A_IbLb0EEEEDaS16_S17_EUlS16_E_NS1_11comp_targetILNS1_3genE9ELNS1_11target_archE1100ELNS1_3gpuE3ELNS1_3repE0EEENS1_30default_config_static_selectorELNS0_4arch9wavefront6targetE1EEEvT1_
	.p2align	8
	.type	_ZN7rocprim17ROCPRIM_400000_NS6detail17trampoline_kernelINS0_14default_configENS1_25partition_config_selectorILNS1_17partition_subalgoE1EjNS0_10empty_typeEbEEZZNS1_14partition_implILS5_1ELb0ES3_jN6thrust23THRUST_200600_302600_NS6detail15normal_iteratorINSA_10device_ptrIjEEEEPS6_NSA_18transform_iteratorI7is_evenIjESF_NSA_11use_defaultESK_EENS0_5tupleIJSF_NSA_16discard_iteratorISK_EEEEENSM_IJSG_SG_EEES6_PlJS6_EEE10hipError_tPvRmT3_T4_T5_T6_T7_T9_mT8_P12ihipStream_tbDpT10_ENKUlT_T0_E_clISt17integral_constantIbLb1EES1A_IbLb0EEEEDaS16_S17_EUlS16_E_NS1_11comp_targetILNS1_3genE9ELNS1_11target_archE1100ELNS1_3gpuE3ELNS1_3repE0EEENS1_30default_config_static_selectorELNS0_4arch9wavefront6targetE1EEEvT1_,@function
_ZN7rocprim17ROCPRIM_400000_NS6detail17trampoline_kernelINS0_14default_configENS1_25partition_config_selectorILNS1_17partition_subalgoE1EjNS0_10empty_typeEbEEZZNS1_14partition_implILS5_1ELb0ES3_jN6thrust23THRUST_200600_302600_NS6detail15normal_iteratorINSA_10device_ptrIjEEEEPS6_NSA_18transform_iteratorI7is_evenIjESF_NSA_11use_defaultESK_EENS0_5tupleIJSF_NSA_16discard_iteratorISK_EEEEENSM_IJSG_SG_EEES6_PlJS6_EEE10hipError_tPvRmT3_T4_T5_T6_T7_T9_mT8_P12ihipStream_tbDpT10_ENKUlT_T0_E_clISt17integral_constantIbLb1EES1A_IbLb0EEEEDaS16_S17_EUlS16_E_NS1_11comp_targetILNS1_3genE9ELNS1_11target_archE1100ELNS1_3gpuE3ELNS1_3repE0EEENS1_30default_config_static_selectorELNS0_4arch9wavefront6targetE1EEEvT1_: ; @_ZN7rocprim17ROCPRIM_400000_NS6detail17trampoline_kernelINS0_14default_configENS1_25partition_config_selectorILNS1_17partition_subalgoE1EjNS0_10empty_typeEbEEZZNS1_14partition_implILS5_1ELb0ES3_jN6thrust23THRUST_200600_302600_NS6detail15normal_iteratorINSA_10device_ptrIjEEEEPS6_NSA_18transform_iteratorI7is_evenIjESF_NSA_11use_defaultESK_EENS0_5tupleIJSF_NSA_16discard_iteratorISK_EEEEENSM_IJSG_SG_EEES6_PlJS6_EEE10hipError_tPvRmT3_T4_T5_T6_T7_T9_mT8_P12ihipStream_tbDpT10_ENKUlT_T0_E_clISt17integral_constantIbLb1EES1A_IbLb0EEEEDaS16_S17_EUlS16_E_NS1_11comp_targetILNS1_3genE9ELNS1_11target_archE1100ELNS1_3gpuE3ELNS1_3repE0EEENS1_30default_config_static_selectorELNS0_4arch9wavefront6targetE1EEEvT1_
; %bb.0:
	.section	.rodata,"a",@progbits
	.p2align	6, 0x0
	.amdhsa_kernel _ZN7rocprim17ROCPRIM_400000_NS6detail17trampoline_kernelINS0_14default_configENS1_25partition_config_selectorILNS1_17partition_subalgoE1EjNS0_10empty_typeEbEEZZNS1_14partition_implILS5_1ELb0ES3_jN6thrust23THRUST_200600_302600_NS6detail15normal_iteratorINSA_10device_ptrIjEEEEPS6_NSA_18transform_iteratorI7is_evenIjESF_NSA_11use_defaultESK_EENS0_5tupleIJSF_NSA_16discard_iteratorISK_EEEEENSM_IJSG_SG_EEES6_PlJS6_EEE10hipError_tPvRmT3_T4_T5_T6_T7_T9_mT8_P12ihipStream_tbDpT10_ENKUlT_T0_E_clISt17integral_constantIbLb1EES1A_IbLb0EEEEDaS16_S17_EUlS16_E_NS1_11comp_targetILNS1_3genE9ELNS1_11target_archE1100ELNS1_3gpuE3ELNS1_3repE0EEENS1_30default_config_static_selectorELNS0_4arch9wavefront6targetE1EEEvT1_
		.amdhsa_group_segment_fixed_size 0
		.amdhsa_private_segment_fixed_size 0
		.amdhsa_kernarg_size 136
		.amdhsa_user_sgpr_count 6
		.amdhsa_user_sgpr_private_segment_buffer 1
		.amdhsa_user_sgpr_dispatch_ptr 0
		.amdhsa_user_sgpr_queue_ptr 0
		.amdhsa_user_sgpr_kernarg_segment_ptr 1
		.amdhsa_user_sgpr_dispatch_id 0
		.amdhsa_user_sgpr_flat_scratch_init 0
		.amdhsa_user_sgpr_kernarg_preload_length 0
		.amdhsa_user_sgpr_kernarg_preload_offset 0
		.amdhsa_user_sgpr_private_segment_size 0
		.amdhsa_uses_dynamic_stack 0
		.amdhsa_system_sgpr_private_segment_wavefront_offset 0
		.amdhsa_system_sgpr_workgroup_id_x 1
		.amdhsa_system_sgpr_workgroup_id_y 0
		.amdhsa_system_sgpr_workgroup_id_z 0
		.amdhsa_system_sgpr_workgroup_info 0
		.amdhsa_system_vgpr_workitem_id 0
		.amdhsa_next_free_vgpr 1
		.amdhsa_next_free_sgpr 0
		.amdhsa_accum_offset 4
		.amdhsa_reserve_vcc 0
		.amdhsa_reserve_flat_scratch 0
		.amdhsa_float_round_mode_32 0
		.amdhsa_float_round_mode_16_64 0
		.amdhsa_float_denorm_mode_32 3
		.amdhsa_float_denorm_mode_16_64 3
		.amdhsa_dx10_clamp 1
		.amdhsa_ieee_mode 1
		.amdhsa_fp16_overflow 0
		.amdhsa_tg_split 0
		.amdhsa_exception_fp_ieee_invalid_op 0
		.amdhsa_exception_fp_denorm_src 0
		.amdhsa_exception_fp_ieee_div_zero 0
		.amdhsa_exception_fp_ieee_overflow 0
		.amdhsa_exception_fp_ieee_underflow 0
		.amdhsa_exception_fp_ieee_inexact 0
		.amdhsa_exception_int_div_zero 0
	.end_amdhsa_kernel
	.section	.text._ZN7rocprim17ROCPRIM_400000_NS6detail17trampoline_kernelINS0_14default_configENS1_25partition_config_selectorILNS1_17partition_subalgoE1EjNS0_10empty_typeEbEEZZNS1_14partition_implILS5_1ELb0ES3_jN6thrust23THRUST_200600_302600_NS6detail15normal_iteratorINSA_10device_ptrIjEEEEPS6_NSA_18transform_iteratorI7is_evenIjESF_NSA_11use_defaultESK_EENS0_5tupleIJSF_NSA_16discard_iteratorISK_EEEEENSM_IJSG_SG_EEES6_PlJS6_EEE10hipError_tPvRmT3_T4_T5_T6_T7_T9_mT8_P12ihipStream_tbDpT10_ENKUlT_T0_E_clISt17integral_constantIbLb1EES1A_IbLb0EEEEDaS16_S17_EUlS16_E_NS1_11comp_targetILNS1_3genE9ELNS1_11target_archE1100ELNS1_3gpuE3ELNS1_3repE0EEENS1_30default_config_static_selectorELNS0_4arch9wavefront6targetE1EEEvT1_,"axG",@progbits,_ZN7rocprim17ROCPRIM_400000_NS6detail17trampoline_kernelINS0_14default_configENS1_25partition_config_selectorILNS1_17partition_subalgoE1EjNS0_10empty_typeEbEEZZNS1_14partition_implILS5_1ELb0ES3_jN6thrust23THRUST_200600_302600_NS6detail15normal_iteratorINSA_10device_ptrIjEEEEPS6_NSA_18transform_iteratorI7is_evenIjESF_NSA_11use_defaultESK_EENS0_5tupleIJSF_NSA_16discard_iteratorISK_EEEEENSM_IJSG_SG_EEES6_PlJS6_EEE10hipError_tPvRmT3_T4_T5_T6_T7_T9_mT8_P12ihipStream_tbDpT10_ENKUlT_T0_E_clISt17integral_constantIbLb1EES1A_IbLb0EEEEDaS16_S17_EUlS16_E_NS1_11comp_targetILNS1_3genE9ELNS1_11target_archE1100ELNS1_3gpuE3ELNS1_3repE0EEENS1_30default_config_static_selectorELNS0_4arch9wavefront6targetE1EEEvT1_,comdat
.Lfunc_end3025:
	.size	_ZN7rocprim17ROCPRIM_400000_NS6detail17trampoline_kernelINS0_14default_configENS1_25partition_config_selectorILNS1_17partition_subalgoE1EjNS0_10empty_typeEbEEZZNS1_14partition_implILS5_1ELb0ES3_jN6thrust23THRUST_200600_302600_NS6detail15normal_iteratorINSA_10device_ptrIjEEEEPS6_NSA_18transform_iteratorI7is_evenIjESF_NSA_11use_defaultESK_EENS0_5tupleIJSF_NSA_16discard_iteratorISK_EEEEENSM_IJSG_SG_EEES6_PlJS6_EEE10hipError_tPvRmT3_T4_T5_T6_T7_T9_mT8_P12ihipStream_tbDpT10_ENKUlT_T0_E_clISt17integral_constantIbLb1EES1A_IbLb0EEEEDaS16_S17_EUlS16_E_NS1_11comp_targetILNS1_3genE9ELNS1_11target_archE1100ELNS1_3gpuE3ELNS1_3repE0EEENS1_30default_config_static_selectorELNS0_4arch9wavefront6targetE1EEEvT1_, .Lfunc_end3025-_ZN7rocprim17ROCPRIM_400000_NS6detail17trampoline_kernelINS0_14default_configENS1_25partition_config_selectorILNS1_17partition_subalgoE1EjNS0_10empty_typeEbEEZZNS1_14partition_implILS5_1ELb0ES3_jN6thrust23THRUST_200600_302600_NS6detail15normal_iteratorINSA_10device_ptrIjEEEEPS6_NSA_18transform_iteratorI7is_evenIjESF_NSA_11use_defaultESK_EENS0_5tupleIJSF_NSA_16discard_iteratorISK_EEEEENSM_IJSG_SG_EEES6_PlJS6_EEE10hipError_tPvRmT3_T4_T5_T6_T7_T9_mT8_P12ihipStream_tbDpT10_ENKUlT_T0_E_clISt17integral_constantIbLb1EES1A_IbLb0EEEEDaS16_S17_EUlS16_E_NS1_11comp_targetILNS1_3genE9ELNS1_11target_archE1100ELNS1_3gpuE3ELNS1_3repE0EEENS1_30default_config_static_selectorELNS0_4arch9wavefront6targetE1EEEvT1_
                                        ; -- End function
	.section	.AMDGPU.csdata,"",@progbits
; Kernel info:
; codeLenInByte = 0
; NumSgprs: 4
; NumVgprs: 0
; NumAgprs: 0
; TotalNumVgprs: 0
; ScratchSize: 0
; MemoryBound: 0
; FloatMode: 240
; IeeeMode: 1
; LDSByteSize: 0 bytes/workgroup (compile time only)
; SGPRBlocks: 0
; VGPRBlocks: 0
; NumSGPRsForWavesPerEU: 4
; NumVGPRsForWavesPerEU: 1
; AccumOffset: 4
; Occupancy: 8
; WaveLimiterHint : 0
; COMPUTE_PGM_RSRC2:SCRATCH_EN: 0
; COMPUTE_PGM_RSRC2:USER_SGPR: 6
; COMPUTE_PGM_RSRC2:TRAP_HANDLER: 0
; COMPUTE_PGM_RSRC2:TGID_X_EN: 1
; COMPUTE_PGM_RSRC2:TGID_Y_EN: 0
; COMPUTE_PGM_RSRC2:TGID_Z_EN: 0
; COMPUTE_PGM_RSRC2:TIDIG_COMP_CNT: 0
; COMPUTE_PGM_RSRC3_GFX90A:ACCUM_OFFSET: 0
; COMPUTE_PGM_RSRC3_GFX90A:TG_SPLIT: 0
	.section	.text._ZN7rocprim17ROCPRIM_400000_NS6detail17trampoline_kernelINS0_14default_configENS1_25partition_config_selectorILNS1_17partition_subalgoE1EjNS0_10empty_typeEbEEZZNS1_14partition_implILS5_1ELb0ES3_jN6thrust23THRUST_200600_302600_NS6detail15normal_iteratorINSA_10device_ptrIjEEEEPS6_NSA_18transform_iteratorI7is_evenIjESF_NSA_11use_defaultESK_EENS0_5tupleIJSF_NSA_16discard_iteratorISK_EEEEENSM_IJSG_SG_EEES6_PlJS6_EEE10hipError_tPvRmT3_T4_T5_T6_T7_T9_mT8_P12ihipStream_tbDpT10_ENKUlT_T0_E_clISt17integral_constantIbLb1EES1A_IbLb0EEEEDaS16_S17_EUlS16_E_NS1_11comp_targetILNS1_3genE8ELNS1_11target_archE1030ELNS1_3gpuE2ELNS1_3repE0EEENS1_30default_config_static_selectorELNS0_4arch9wavefront6targetE1EEEvT1_,"axG",@progbits,_ZN7rocprim17ROCPRIM_400000_NS6detail17trampoline_kernelINS0_14default_configENS1_25partition_config_selectorILNS1_17partition_subalgoE1EjNS0_10empty_typeEbEEZZNS1_14partition_implILS5_1ELb0ES3_jN6thrust23THRUST_200600_302600_NS6detail15normal_iteratorINSA_10device_ptrIjEEEEPS6_NSA_18transform_iteratorI7is_evenIjESF_NSA_11use_defaultESK_EENS0_5tupleIJSF_NSA_16discard_iteratorISK_EEEEENSM_IJSG_SG_EEES6_PlJS6_EEE10hipError_tPvRmT3_T4_T5_T6_T7_T9_mT8_P12ihipStream_tbDpT10_ENKUlT_T0_E_clISt17integral_constantIbLb1EES1A_IbLb0EEEEDaS16_S17_EUlS16_E_NS1_11comp_targetILNS1_3genE8ELNS1_11target_archE1030ELNS1_3gpuE2ELNS1_3repE0EEENS1_30default_config_static_selectorELNS0_4arch9wavefront6targetE1EEEvT1_,comdat
	.protected	_ZN7rocprim17ROCPRIM_400000_NS6detail17trampoline_kernelINS0_14default_configENS1_25partition_config_selectorILNS1_17partition_subalgoE1EjNS0_10empty_typeEbEEZZNS1_14partition_implILS5_1ELb0ES3_jN6thrust23THRUST_200600_302600_NS6detail15normal_iteratorINSA_10device_ptrIjEEEEPS6_NSA_18transform_iteratorI7is_evenIjESF_NSA_11use_defaultESK_EENS0_5tupleIJSF_NSA_16discard_iteratorISK_EEEEENSM_IJSG_SG_EEES6_PlJS6_EEE10hipError_tPvRmT3_T4_T5_T6_T7_T9_mT8_P12ihipStream_tbDpT10_ENKUlT_T0_E_clISt17integral_constantIbLb1EES1A_IbLb0EEEEDaS16_S17_EUlS16_E_NS1_11comp_targetILNS1_3genE8ELNS1_11target_archE1030ELNS1_3gpuE2ELNS1_3repE0EEENS1_30default_config_static_selectorELNS0_4arch9wavefront6targetE1EEEvT1_ ; -- Begin function _ZN7rocprim17ROCPRIM_400000_NS6detail17trampoline_kernelINS0_14default_configENS1_25partition_config_selectorILNS1_17partition_subalgoE1EjNS0_10empty_typeEbEEZZNS1_14partition_implILS5_1ELb0ES3_jN6thrust23THRUST_200600_302600_NS6detail15normal_iteratorINSA_10device_ptrIjEEEEPS6_NSA_18transform_iteratorI7is_evenIjESF_NSA_11use_defaultESK_EENS0_5tupleIJSF_NSA_16discard_iteratorISK_EEEEENSM_IJSG_SG_EEES6_PlJS6_EEE10hipError_tPvRmT3_T4_T5_T6_T7_T9_mT8_P12ihipStream_tbDpT10_ENKUlT_T0_E_clISt17integral_constantIbLb1EES1A_IbLb0EEEEDaS16_S17_EUlS16_E_NS1_11comp_targetILNS1_3genE8ELNS1_11target_archE1030ELNS1_3gpuE2ELNS1_3repE0EEENS1_30default_config_static_selectorELNS0_4arch9wavefront6targetE1EEEvT1_
	.globl	_ZN7rocprim17ROCPRIM_400000_NS6detail17trampoline_kernelINS0_14default_configENS1_25partition_config_selectorILNS1_17partition_subalgoE1EjNS0_10empty_typeEbEEZZNS1_14partition_implILS5_1ELb0ES3_jN6thrust23THRUST_200600_302600_NS6detail15normal_iteratorINSA_10device_ptrIjEEEEPS6_NSA_18transform_iteratorI7is_evenIjESF_NSA_11use_defaultESK_EENS0_5tupleIJSF_NSA_16discard_iteratorISK_EEEEENSM_IJSG_SG_EEES6_PlJS6_EEE10hipError_tPvRmT3_T4_T5_T6_T7_T9_mT8_P12ihipStream_tbDpT10_ENKUlT_T0_E_clISt17integral_constantIbLb1EES1A_IbLb0EEEEDaS16_S17_EUlS16_E_NS1_11comp_targetILNS1_3genE8ELNS1_11target_archE1030ELNS1_3gpuE2ELNS1_3repE0EEENS1_30default_config_static_selectorELNS0_4arch9wavefront6targetE1EEEvT1_
	.p2align	8
	.type	_ZN7rocprim17ROCPRIM_400000_NS6detail17trampoline_kernelINS0_14default_configENS1_25partition_config_selectorILNS1_17partition_subalgoE1EjNS0_10empty_typeEbEEZZNS1_14partition_implILS5_1ELb0ES3_jN6thrust23THRUST_200600_302600_NS6detail15normal_iteratorINSA_10device_ptrIjEEEEPS6_NSA_18transform_iteratorI7is_evenIjESF_NSA_11use_defaultESK_EENS0_5tupleIJSF_NSA_16discard_iteratorISK_EEEEENSM_IJSG_SG_EEES6_PlJS6_EEE10hipError_tPvRmT3_T4_T5_T6_T7_T9_mT8_P12ihipStream_tbDpT10_ENKUlT_T0_E_clISt17integral_constantIbLb1EES1A_IbLb0EEEEDaS16_S17_EUlS16_E_NS1_11comp_targetILNS1_3genE8ELNS1_11target_archE1030ELNS1_3gpuE2ELNS1_3repE0EEENS1_30default_config_static_selectorELNS0_4arch9wavefront6targetE1EEEvT1_,@function
_ZN7rocprim17ROCPRIM_400000_NS6detail17trampoline_kernelINS0_14default_configENS1_25partition_config_selectorILNS1_17partition_subalgoE1EjNS0_10empty_typeEbEEZZNS1_14partition_implILS5_1ELb0ES3_jN6thrust23THRUST_200600_302600_NS6detail15normal_iteratorINSA_10device_ptrIjEEEEPS6_NSA_18transform_iteratorI7is_evenIjESF_NSA_11use_defaultESK_EENS0_5tupleIJSF_NSA_16discard_iteratorISK_EEEEENSM_IJSG_SG_EEES6_PlJS6_EEE10hipError_tPvRmT3_T4_T5_T6_T7_T9_mT8_P12ihipStream_tbDpT10_ENKUlT_T0_E_clISt17integral_constantIbLb1EES1A_IbLb0EEEEDaS16_S17_EUlS16_E_NS1_11comp_targetILNS1_3genE8ELNS1_11target_archE1030ELNS1_3gpuE2ELNS1_3repE0EEENS1_30default_config_static_selectorELNS0_4arch9wavefront6targetE1EEEvT1_: ; @_ZN7rocprim17ROCPRIM_400000_NS6detail17trampoline_kernelINS0_14default_configENS1_25partition_config_selectorILNS1_17partition_subalgoE1EjNS0_10empty_typeEbEEZZNS1_14partition_implILS5_1ELb0ES3_jN6thrust23THRUST_200600_302600_NS6detail15normal_iteratorINSA_10device_ptrIjEEEEPS6_NSA_18transform_iteratorI7is_evenIjESF_NSA_11use_defaultESK_EENS0_5tupleIJSF_NSA_16discard_iteratorISK_EEEEENSM_IJSG_SG_EEES6_PlJS6_EEE10hipError_tPvRmT3_T4_T5_T6_T7_T9_mT8_P12ihipStream_tbDpT10_ENKUlT_T0_E_clISt17integral_constantIbLb1EES1A_IbLb0EEEEDaS16_S17_EUlS16_E_NS1_11comp_targetILNS1_3genE8ELNS1_11target_archE1030ELNS1_3gpuE2ELNS1_3repE0EEENS1_30default_config_static_selectorELNS0_4arch9wavefront6targetE1EEEvT1_
; %bb.0:
	.section	.rodata,"a",@progbits
	.p2align	6, 0x0
	.amdhsa_kernel _ZN7rocprim17ROCPRIM_400000_NS6detail17trampoline_kernelINS0_14default_configENS1_25partition_config_selectorILNS1_17partition_subalgoE1EjNS0_10empty_typeEbEEZZNS1_14partition_implILS5_1ELb0ES3_jN6thrust23THRUST_200600_302600_NS6detail15normal_iteratorINSA_10device_ptrIjEEEEPS6_NSA_18transform_iteratorI7is_evenIjESF_NSA_11use_defaultESK_EENS0_5tupleIJSF_NSA_16discard_iteratorISK_EEEEENSM_IJSG_SG_EEES6_PlJS6_EEE10hipError_tPvRmT3_T4_T5_T6_T7_T9_mT8_P12ihipStream_tbDpT10_ENKUlT_T0_E_clISt17integral_constantIbLb1EES1A_IbLb0EEEEDaS16_S17_EUlS16_E_NS1_11comp_targetILNS1_3genE8ELNS1_11target_archE1030ELNS1_3gpuE2ELNS1_3repE0EEENS1_30default_config_static_selectorELNS0_4arch9wavefront6targetE1EEEvT1_
		.amdhsa_group_segment_fixed_size 0
		.amdhsa_private_segment_fixed_size 0
		.amdhsa_kernarg_size 136
		.amdhsa_user_sgpr_count 6
		.amdhsa_user_sgpr_private_segment_buffer 1
		.amdhsa_user_sgpr_dispatch_ptr 0
		.amdhsa_user_sgpr_queue_ptr 0
		.amdhsa_user_sgpr_kernarg_segment_ptr 1
		.amdhsa_user_sgpr_dispatch_id 0
		.amdhsa_user_sgpr_flat_scratch_init 0
		.amdhsa_user_sgpr_kernarg_preload_length 0
		.amdhsa_user_sgpr_kernarg_preload_offset 0
		.amdhsa_user_sgpr_private_segment_size 0
		.amdhsa_uses_dynamic_stack 0
		.amdhsa_system_sgpr_private_segment_wavefront_offset 0
		.amdhsa_system_sgpr_workgroup_id_x 1
		.amdhsa_system_sgpr_workgroup_id_y 0
		.amdhsa_system_sgpr_workgroup_id_z 0
		.amdhsa_system_sgpr_workgroup_info 0
		.amdhsa_system_vgpr_workitem_id 0
		.amdhsa_next_free_vgpr 1
		.amdhsa_next_free_sgpr 0
		.amdhsa_accum_offset 4
		.amdhsa_reserve_vcc 0
		.amdhsa_reserve_flat_scratch 0
		.amdhsa_float_round_mode_32 0
		.amdhsa_float_round_mode_16_64 0
		.amdhsa_float_denorm_mode_32 3
		.amdhsa_float_denorm_mode_16_64 3
		.amdhsa_dx10_clamp 1
		.amdhsa_ieee_mode 1
		.amdhsa_fp16_overflow 0
		.amdhsa_tg_split 0
		.amdhsa_exception_fp_ieee_invalid_op 0
		.amdhsa_exception_fp_denorm_src 0
		.amdhsa_exception_fp_ieee_div_zero 0
		.amdhsa_exception_fp_ieee_overflow 0
		.amdhsa_exception_fp_ieee_underflow 0
		.amdhsa_exception_fp_ieee_inexact 0
		.amdhsa_exception_int_div_zero 0
	.end_amdhsa_kernel
	.section	.text._ZN7rocprim17ROCPRIM_400000_NS6detail17trampoline_kernelINS0_14default_configENS1_25partition_config_selectorILNS1_17partition_subalgoE1EjNS0_10empty_typeEbEEZZNS1_14partition_implILS5_1ELb0ES3_jN6thrust23THRUST_200600_302600_NS6detail15normal_iteratorINSA_10device_ptrIjEEEEPS6_NSA_18transform_iteratorI7is_evenIjESF_NSA_11use_defaultESK_EENS0_5tupleIJSF_NSA_16discard_iteratorISK_EEEEENSM_IJSG_SG_EEES6_PlJS6_EEE10hipError_tPvRmT3_T4_T5_T6_T7_T9_mT8_P12ihipStream_tbDpT10_ENKUlT_T0_E_clISt17integral_constantIbLb1EES1A_IbLb0EEEEDaS16_S17_EUlS16_E_NS1_11comp_targetILNS1_3genE8ELNS1_11target_archE1030ELNS1_3gpuE2ELNS1_3repE0EEENS1_30default_config_static_selectorELNS0_4arch9wavefront6targetE1EEEvT1_,"axG",@progbits,_ZN7rocprim17ROCPRIM_400000_NS6detail17trampoline_kernelINS0_14default_configENS1_25partition_config_selectorILNS1_17partition_subalgoE1EjNS0_10empty_typeEbEEZZNS1_14partition_implILS5_1ELb0ES3_jN6thrust23THRUST_200600_302600_NS6detail15normal_iteratorINSA_10device_ptrIjEEEEPS6_NSA_18transform_iteratorI7is_evenIjESF_NSA_11use_defaultESK_EENS0_5tupleIJSF_NSA_16discard_iteratorISK_EEEEENSM_IJSG_SG_EEES6_PlJS6_EEE10hipError_tPvRmT3_T4_T5_T6_T7_T9_mT8_P12ihipStream_tbDpT10_ENKUlT_T0_E_clISt17integral_constantIbLb1EES1A_IbLb0EEEEDaS16_S17_EUlS16_E_NS1_11comp_targetILNS1_3genE8ELNS1_11target_archE1030ELNS1_3gpuE2ELNS1_3repE0EEENS1_30default_config_static_selectorELNS0_4arch9wavefront6targetE1EEEvT1_,comdat
.Lfunc_end3026:
	.size	_ZN7rocprim17ROCPRIM_400000_NS6detail17trampoline_kernelINS0_14default_configENS1_25partition_config_selectorILNS1_17partition_subalgoE1EjNS0_10empty_typeEbEEZZNS1_14partition_implILS5_1ELb0ES3_jN6thrust23THRUST_200600_302600_NS6detail15normal_iteratorINSA_10device_ptrIjEEEEPS6_NSA_18transform_iteratorI7is_evenIjESF_NSA_11use_defaultESK_EENS0_5tupleIJSF_NSA_16discard_iteratorISK_EEEEENSM_IJSG_SG_EEES6_PlJS6_EEE10hipError_tPvRmT3_T4_T5_T6_T7_T9_mT8_P12ihipStream_tbDpT10_ENKUlT_T0_E_clISt17integral_constantIbLb1EES1A_IbLb0EEEEDaS16_S17_EUlS16_E_NS1_11comp_targetILNS1_3genE8ELNS1_11target_archE1030ELNS1_3gpuE2ELNS1_3repE0EEENS1_30default_config_static_selectorELNS0_4arch9wavefront6targetE1EEEvT1_, .Lfunc_end3026-_ZN7rocprim17ROCPRIM_400000_NS6detail17trampoline_kernelINS0_14default_configENS1_25partition_config_selectorILNS1_17partition_subalgoE1EjNS0_10empty_typeEbEEZZNS1_14partition_implILS5_1ELb0ES3_jN6thrust23THRUST_200600_302600_NS6detail15normal_iteratorINSA_10device_ptrIjEEEEPS6_NSA_18transform_iteratorI7is_evenIjESF_NSA_11use_defaultESK_EENS0_5tupleIJSF_NSA_16discard_iteratorISK_EEEEENSM_IJSG_SG_EEES6_PlJS6_EEE10hipError_tPvRmT3_T4_T5_T6_T7_T9_mT8_P12ihipStream_tbDpT10_ENKUlT_T0_E_clISt17integral_constantIbLb1EES1A_IbLb0EEEEDaS16_S17_EUlS16_E_NS1_11comp_targetILNS1_3genE8ELNS1_11target_archE1030ELNS1_3gpuE2ELNS1_3repE0EEENS1_30default_config_static_selectorELNS0_4arch9wavefront6targetE1EEEvT1_
                                        ; -- End function
	.section	.AMDGPU.csdata,"",@progbits
; Kernel info:
; codeLenInByte = 0
; NumSgprs: 4
; NumVgprs: 0
; NumAgprs: 0
; TotalNumVgprs: 0
; ScratchSize: 0
; MemoryBound: 0
; FloatMode: 240
; IeeeMode: 1
; LDSByteSize: 0 bytes/workgroup (compile time only)
; SGPRBlocks: 0
; VGPRBlocks: 0
; NumSGPRsForWavesPerEU: 4
; NumVGPRsForWavesPerEU: 1
; AccumOffset: 4
; Occupancy: 8
; WaveLimiterHint : 0
; COMPUTE_PGM_RSRC2:SCRATCH_EN: 0
; COMPUTE_PGM_RSRC2:USER_SGPR: 6
; COMPUTE_PGM_RSRC2:TRAP_HANDLER: 0
; COMPUTE_PGM_RSRC2:TGID_X_EN: 1
; COMPUTE_PGM_RSRC2:TGID_Y_EN: 0
; COMPUTE_PGM_RSRC2:TGID_Z_EN: 0
; COMPUTE_PGM_RSRC2:TIDIG_COMP_CNT: 0
; COMPUTE_PGM_RSRC3_GFX90A:ACCUM_OFFSET: 0
; COMPUTE_PGM_RSRC3_GFX90A:TG_SPLIT: 0
	.section	.text._ZN7rocprim17ROCPRIM_400000_NS6detail17trampoline_kernelINS0_14default_configENS1_25partition_config_selectorILNS1_17partition_subalgoE1EjNS0_10empty_typeEbEEZZNS1_14partition_implILS5_1ELb0ES3_jN6thrust23THRUST_200600_302600_NS6detail15normal_iteratorINSA_10device_ptrIjEEEEPS6_NSA_18transform_iteratorI7is_evenIjESF_NSA_11use_defaultESK_EENS0_5tupleIJSF_NSA_16discard_iteratorISK_EEEEENSM_IJSG_SG_EEES6_PlJS6_EEE10hipError_tPvRmT3_T4_T5_T6_T7_T9_mT8_P12ihipStream_tbDpT10_ENKUlT_T0_E_clISt17integral_constantIbLb0EES1A_IbLb1EEEEDaS16_S17_EUlS16_E_NS1_11comp_targetILNS1_3genE0ELNS1_11target_archE4294967295ELNS1_3gpuE0ELNS1_3repE0EEENS1_30default_config_static_selectorELNS0_4arch9wavefront6targetE1EEEvT1_,"axG",@progbits,_ZN7rocprim17ROCPRIM_400000_NS6detail17trampoline_kernelINS0_14default_configENS1_25partition_config_selectorILNS1_17partition_subalgoE1EjNS0_10empty_typeEbEEZZNS1_14partition_implILS5_1ELb0ES3_jN6thrust23THRUST_200600_302600_NS6detail15normal_iteratorINSA_10device_ptrIjEEEEPS6_NSA_18transform_iteratorI7is_evenIjESF_NSA_11use_defaultESK_EENS0_5tupleIJSF_NSA_16discard_iteratorISK_EEEEENSM_IJSG_SG_EEES6_PlJS6_EEE10hipError_tPvRmT3_T4_T5_T6_T7_T9_mT8_P12ihipStream_tbDpT10_ENKUlT_T0_E_clISt17integral_constantIbLb0EES1A_IbLb1EEEEDaS16_S17_EUlS16_E_NS1_11comp_targetILNS1_3genE0ELNS1_11target_archE4294967295ELNS1_3gpuE0ELNS1_3repE0EEENS1_30default_config_static_selectorELNS0_4arch9wavefront6targetE1EEEvT1_,comdat
	.protected	_ZN7rocprim17ROCPRIM_400000_NS6detail17trampoline_kernelINS0_14default_configENS1_25partition_config_selectorILNS1_17partition_subalgoE1EjNS0_10empty_typeEbEEZZNS1_14partition_implILS5_1ELb0ES3_jN6thrust23THRUST_200600_302600_NS6detail15normal_iteratorINSA_10device_ptrIjEEEEPS6_NSA_18transform_iteratorI7is_evenIjESF_NSA_11use_defaultESK_EENS0_5tupleIJSF_NSA_16discard_iteratorISK_EEEEENSM_IJSG_SG_EEES6_PlJS6_EEE10hipError_tPvRmT3_T4_T5_T6_T7_T9_mT8_P12ihipStream_tbDpT10_ENKUlT_T0_E_clISt17integral_constantIbLb0EES1A_IbLb1EEEEDaS16_S17_EUlS16_E_NS1_11comp_targetILNS1_3genE0ELNS1_11target_archE4294967295ELNS1_3gpuE0ELNS1_3repE0EEENS1_30default_config_static_selectorELNS0_4arch9wavefront6targetE1EEEvT1_ ; -- Begin function _ZN7rocprim17ROCPRIM_400000_NS6detail17trampoline_kernelINS0_14default_configENS1_25partition_config_selectorILNS1_17partition_subalgoE1EjNS0_10empty_typeEbEEZZNS1_14partition_implILS5_1ELb0ES3_jN6thrust23THRUST_200600_302600_NS6detail15normal_iteratorINSA_10device_ptrIjEEEEPS6_NSA_18transform_iteratorI7is_evenIjESF_NSA_11use_defaultESK_EENS0_5tupleIJSF_NSA_16discard_iteratorISK_EEEEENSM_IJSG_SG_EEES6_PlJS6_EEE10hipError_tPvRmT3_T4_T5_T6_T7_T9_mT8_P12ihipStream_tbDpT10_ENKUlT_T0_E_clISt17integral_constantIbLb0EES1A_IbLb1EEEEDaS16_S17_EUlS16_E_NS1_11comp_targetILNS1_3genE0ELNS1_11target_archE4294967295ELNS1_3gpuE0ELNS1_3repE0EEENS1_30default_config_static_selectorELNS0_4arch9wavefront6targetE1EEEvT1_
	.globl	_ZN7rocprim17ROCPRIM_400000_NS6detail17trampoline_kernelINS0_14default_configENS1_25partition_config_selectorILNS1_17partition_subalgoE1EjNS0_10empty_typeEbEEZZNS1_14partition_implILS5_1ELb0ES3_jN6thrust23THRUST_200600_302600_NS6detail15normal_iteratorINSA_10device_ptrIjEEEEPS6_NSA_18transform_iteratorI7is_evenIjESF_NSA_11use_defaultESK_EENS0_5tupleIJSF_NSA_16discard_iteratorISK_EEEEENSM_IJSG_SG_EEES6_PlJS6_EEE10hipError_tPvRmT3_T4_T5_T6_T7_T9_mT8_P12ihipStream_tbDpT10_ENKUlT_T0_E_clISt17integral_constantIbLb0EES1A_IbLb1EEEEDaS16_S17_EUlS16_E_NS1_11comp_targetILNS1_3genE0ELNS1_11target_archE4294967295ELNS1_3gpuE0ELNS1_3repE0EEENS1_30default_config_static_selectorELNS0_4arch9wavefront6targetE1EEEvT1_
	.p2align	8
	.type	_ZN7rocprim17ROCPRIM_400000_NS6detail17trampoline_kernelINS0_14default_configENS1_25partition_config_selectorILNS1_17partition_subalgoE1EjNS0_10empty_typeEbEEZZNS1_14partition_implILS5_1ELb0ES3_jN6thrust23THRUST_200600_302600_NS6detail15normal_iteratorINSA_10device_ptrIjEEEEPS6_NSA_18transform_iteratorI7is_evenIjESF_NSA_11use_defaultESK_EENS0_5tupleIJSF_NSA_16discard_iteratorISK_EEEEENSM_IJSG_SG_EEES6_PlJS6_EEE10hipError_tPvRmT3_T4_T5_T6_T7_T9_mT8_P12ihipStream_tbDpT10_ENKUlT_T0_E_clISt17integral_constantIbLb0EES1A_IbLb1EEEEDaS16_S17_EUlS16_E_NS1_11comp_targetILNS1_3genE0ELNS1_11target_archE4294967295ELNS1_3gpuE0ELNS1_3repE0EEENS1_30default_config_static_selectorELNS0_4arch9wavefront6targetE1EEEvT1_,@function
_ZN7rocprim17ROCPRIM_400000_NS6detail17trampoline_kernelINS0_14default_configENS1_25partition_config_selectorILNS1_17partition_subalgoE1EjNS0_10empty_typeEbEEZZNS1_14partition_implILS5_1ELb0ES3_jN6thrust23THRUST_200600_302600_NS6detail15normal_iteratorINSA_10device_ptrIjEEEEPS6_NSA_18transform_iteratorI7is_evenIjESF_NSA_11use_defaultESK_EENS0_5tupleIJSF_NSA_16discard_iteratorISK_EEEEENSM_IJSG_SG_EEES6_PlJS6_EEE10hipError_tPvRmT3_T4_T5_T6_T7_T9_mT8_P12ihipStream_tbDpT10_ENKUlT_T0_E_clISt17integral_constantIbLb0EES1A_IbLb1EEEEDaS16_S17_EUlS16_E_NS1_11comp_targetILNS1_3genE0ELNS1_11target_archE4294967295ELNS1_3gpuE0ELNS1_3repE0EEENS1_30default_config_static_selectorELNS0_4arch9wavefront6targetE1EEEvT1_: ; @_ZN7rocprim17ROCPRIM_400000_NS6detail17trampoline_kernelINS0_14default_configENS1_25partition_config_selectorILNS1_17partition_subalgoE1EjNS0_10empty_typeEbEEZZNS1_14partition_implILS5_1ELb0ES3_jN6thrust23THRUST_200600_302600_NS6detail15normal_iteratorINSA_10device_ptrIjEEEEPS6_NSA_18transform_iteratorI7is_evenIjESF_NSA_11use_defaultESK_EENS0_5tupleIJSF_NSA_16discard_iteratorISK_EEEEENSM_IJSG_SG_EEES6_PlJS6_EEE10hipError_tPvRmT3_T4_T5_T6_T7_T9_mT8_P12ihipStream_tbDpT10_ENKUlT_T0_E_clISt17integral_constantIbLb0EES1A_IbLb1EEEEDaS16_S17_EUlS16_E_NS1_11comp_targetILNS1_3genE0ELNS1_11target_archE4294967295ELNS1_3gpuE0ELNS1_3repE0EEENS1_30default_config_static_selectorELNS0_4arch9wavefront6targetE1EEEvT1_
; %bb.0:
	.section	.rodata,"a",@progbits
	.p2align	6, 0x0
	.amdhsa_kernel _ZN7rocprim17ROCPRIM_400000_NS6detail17trampoline_kernelINS0_14default_configENS1_25partition_config_selectorILNS1_17partition_subalgoE1EjNS0_10empty_typeEbEEZZNS1_14partition_implILS5_1ELb0ES3_jN6thrust23THRUST_200600_302600_NS6detail15normal_iteratorINSA_10device_ptrIjEEEEPS6_NSA_18transform_iteratorI7is_evenIjESF_NSA_11use_defaultESK_EENS0_5tupleIJSF_NSA_16discard_iteratorISK_EEEEENSM_IJSG_SG_EEES6_PlJS6_EEE10hipError_tPvRmT3_T4_T5_T6_T7_T9_mT8_P12ihipStream_tbDpT10_ENKUlT_T0_E_clISt17integral_constantIbLb0EES1A_IbLb1EEEEDaS16_S17_EUlS16_E_NS1_11comp_targetILNS1_3genE0ELNS1_11target_archE4294967295ELNS1_3gpuE0ELNS1_3repE0EEENS1_30default_config_static_selectorELNS0_4arch9wavefront6targetE1EEEvT1_
		.amdhsa_group_segment_fixed_size 0
		.amdhsa_private_segment_fixed_size 0
		.amdhsa_kernarg_size 152
		.amdhsa_user_sgpr_count 6
		.amdhsa_user_sgpr_private_segment_buffer 1
		.amdhsa_user_sgpr_dispatch_ptr 0
		.amdhsa_user_sgpr_queue_ptr 0
		.amdhsa_user_sgpr_kernarg_segment_ptr 1
		.amdhsa_user_sgpr_dispatch_id 0
		.amdhsa_user_sgpr_flat_scratch_init 0
		.amdhsa_user_sgpr_kernarg_preload_length 0
		.amdhsa_user_sgpr_kernarg_preload_offset 0
		.amdhsa_user_sgpr_private_segment_size 0
		.amdhsa_uses_dynamic_stack 0
		.amdhsa_system_sgpr_private_segment_wavefront_offset 0
		.amdhsa_system_sgpr_workgroup_id_x 1
		.amdhsa_system_sgpr_workgroup_id_y 0
		.amdhsa_system_sgpr_workgroup_id_z 0
		.amdhsa_system_sgpr_workgroup_info 0
		.amdhsa_system_vgpr_workitem_id 0
		.amdhsa_next_free_vgpr 1
		.amdhsa_next_free_sgpr 0
		.amdhsa_accum_offset 4
		.amdhsa_reserve_vcc 0
		.amdhsa_reserve_flat_scratch 0
		.amdhsa_float_round_mode_32 0
		.amdhsa_float_round_mode_16_64 0
		.amdhsa_float_denorm_mode_32 3
		.amdhsa_float_denorm_mode_16_64 3
		.amdhsa_dx10_clamp 1
		.amdhsa_ieee_mode 1
		.amdhsa_fp16_overflow 0
		.amdhsa_tg_split 0
		.amdhsa_exception_fp_ieee_invalid_op 0
		.amdhsa_exception_fp_denorm_src 0
		.amdhsa_exception_fp_ieee_div_zero 0
		.amdhsa_exception_fp_ieee_overflow 0
		.amdhsa_exception_fp_ieee_underflow 0
		.amdhsa_exception_fp_ieee_inexact 0
		.amdhsa_exception_int_div_zero 0
	.end_amdhsa_kernel
	.section	.text._ZN7rocprim17ROCPRIM_400000_NS6detail17trampoline_kernelINS0_14default_configENS1_25partition_config_selectorILNS1_17partition_subalgoE1EjNS0_10empty_typeEbEEZZNS1_14partition_implILS5_1ELb0ES3_jN6thrust23THRUST_200600_302600_NS6detail15normal_iteratorINSA_10device_ptrIjEEEEPS6_NSA_18transform_iteratorI7is_evenIjESF_NSA_11use_defaultESK_EENS0_5tupleIJSF_NSA_16discard_iteratorISK_EEEEENSM_IJSG_SG_EEES6_PlJS6_EEE10hipError_tPvRmT3_T4_T5_T6_T7_T9_mT8_P12ihipStream_tbDpT10_ENKUlT_T0_E_clISt17integral_constantIbLb0EES1A_IbLb1EEEEDaS16_S17_EUlS16_E_NS1_11comp_targetILNS1_3genE0ELNS1_11target_archE4294967295ELNS1_3gpuE0ELNS1_3repE0EEENS1_30default_config_static_selectorELNS0_4arch9wavefront6targetE1EEEvT1_,"axG",@progbits,_ZN7rocprim17ROCPRIM_400000_NS6detail17trampoline_kernelINS0_14default_configENS1_25partition_config_selectorILNS1_17partition_subalgoE1EjNS0_10empty_typeEbEEZZNS1_14partition_implILS5_1ELb0ES3_jN6thrust23THRUST_200600_302600_NS6detail15normal_iteratorINSA_10device_ptrIjEEEEPS6_NSA_18transform_iteratorI7is_evenIjESF_NSA_11use_defaultESK_EENS0_5tupleIJSF_NSA_16discard_iteratorISK_EEEEENSM_IJSG_SG_EEES6_PlJS6_EEE10hipError_tPvRmT3_T4_T5_T6_T7_T9_mT8_P12ihipStream_tbDpT10_ENKUlT_T0_E_clISt17integral_constantIbLb0EES1A_IbLb1EEEEDaS16_S17_EUlS16_E_NS1_11comp_targetILNS1_3genE0ELNS1_11target_archE4294967295ELNS1_3gpuE0ELNS1_3repE0EEENS1_30default_config_static_selectorELNS0_4arch9wavefront6targetE1EEEvT1_,comdat
.Lfunc_end3027:
	.size	_ZN7rocprim17ROCPRIM_400000_NS6detail17trampoline_kernelINS0_14default_configENS1_25partition_config_selectorILNS1_17partition_subalgoE1EjNS0_10empty_typeEbEEZZNS1_14partition_implILS5_1ELb0ES3_jN6thrust23THRUST_200600_302600_NS6detail15normal_iteratorINSA_10device_ptrIjEEEEPS6_NSA_18transform_iteratorI7is_evenIjESF_NSA_11use_defaultESK_EENS0_5tupleIJSF_NSA_16discard_iteratorISK_EEEEENSM_IJSG_SG_EEES6_PlJS6_EEE10hipError_tPvRmT3_T4_T5_T6_T7_T9_mT8_P12ihipStream_tbDpT10_ENKUlT_T0_E_clISt17integral_constantIbLb0EES1A_IbLb1EEEEDaS16_S17_EUlS16_E_NS1_11comp_targetILNS1_3genE0ELNS1_11target_archE4294967295ELNS1_3gpuE0ELNS1_3repE0EEENS1_30default_config_static_selectorELNS0_4arch9wavefront6targetE1EEEvT1_, .Lfunc_end3027-_ZN7rocprim17ROCPRIM_400000_NS6detail17trampoline_kernelINS0_14default_configENS1_25partition_config_selectorILNS1_17partition_subalgoE1EjNS0_10empty_typeEbEEZZNS1_14partition_implILS5_1ELb0ES3_jN6thrust23THRUST_200600_302600_NS6detail15normal_iteratorINSA_10device_ptrIjEEEEPS6_NSA_18transform_iteratorI7is_evenIjESF_NSA_11use_defaultESK_EENS0_5tupleIJSF_NSA_16discard_iteratorISK_EEEEENSM_IJSG_SG_EEES6_PlJS6_EEE10hipError_tPvRmT3_T4_T5_T6_T7_T9_mT8_P12ihipStream_tbDpT10_ENKUlT_T0_E_clISt17integral_constantIbLb0EES1A_IbLb1EEEEDaS16_S17_EUlS16_E_NS1_11comp_targetILNS1_3genE0ELNS1_11target_archE4294967295ELNS1_3gpuE0ELNS1_3repE0EEENS1_30default_config_static_selectorELNS0_4arch9wavefront6targetE1EEEvT1_
                                        ; -- End function
	.section	.AMDGPU.csdata,"",@progbits
; Kernel info:
; codeLenInByte = 0
; NumSgprs: 4
; NumVgprs: 0
; NumAgprs: 0
; TotalNumVgprs: 0
; ScratchSize: 0
; MemoryBound: 0
; FloatMode: 240
; IeeeMode: 1
; LDSByteSize: 0 bytes/workgroup (compile time only)
; SGPRBlocks: 0
; VGPRBlocks: 0
; NumSGPRsForWavesPerEU: 4
; NumVGPRsForWavesPerEU: 1
; AccumOffset: 4
; Occupancy: 8
; WaveLimiterHint : 0
; COMPUTE_PGM_RSRC2:SCRATCH_EN: 0
; COMPUTE_PGM_RSRC2:USER_SGPR: 6
; COMPUTE_PGM_RSRC2:TRAP_HANDLER: 0
; COMPUTE_PGM_RSRC2:TGID_X_EN: 1
; COMPUTE_PGM_RSRC2:TGID_Y_EN: 0
; COMPUTE_PGM_RSRC2:TGID_Z_EN: 0
; COMPUTE_PGM_RSRC2:TIDIG_COMP_CNT: 0
; COMPUTE_PGM_RSRC3_GFX90A:ACCUM_OFFSET: 0
; COMPUTE_PGM_RSRC3_GFX90A:TG_SPLIT: 0
	.section	.text._ZN7rocprim17ROCPRIM_400000_NS6detail17trampoline_kernelINS0_14default_configENS1_25partition_config_selectorILNS1_17partition_subalgoE1EjNS0_10empty_typeEbEEZZNS1_14partition_implILS5_1ELb0ES3_jN6thrust23THRUST_200600_302600_NS6detail15normal_iteratorINSA_10device_ptrIjEEEEPS6_NSA_18transform_iteratorI7is_evenIjESF_NSA_11use_defaultESK_EENS0_5tupleIJSF_NSA_16discard_iteratorISK_EEEEENSM_IJSG_SG_EEES6_PlJS6_EEE10hipError_tPvRmT3_T4_T5_T6_T7_T9_mT8_P12ihipStream_tbDpT10_ENKUlT_T0_E_clISt17integral_constantIbLb0EES1A_IbLb1EEEEDaS16_S17_EUlS16_E_NS1_11comp_targetILNS1_3genE5ELNS1_11target_archE942ELNS1_3gpuE9ELNS1_3repE0EEENS1_30default_config_static_selectorELNS0_4arch9wavefront6targetE1EEEvT1_,"axG",@progbits,_ZN7rocprim17ROCPRIM_400000_NS6detail17trampoline_kernelINS0_14default_configENS1_25partition_config_selectorILNS1_17partition_subalgoE1EjNS0_10empty_typeEbEEZZNS1_14partition_implILS5_1ELb0ES3_jN6thrust23THRUST_200600_302600_NS6detail15normal_iteratorINSA_10device_ptrIjEEEEPS6_NSA_18transform_iteratorI7is_evenIjESF_NSA_11use_defaultESK_EENS0_5tupleIJSF_NSA_16discard_iteratorISK_EEEEENSM_IJSG_SG_EEES6_PlJS6_EEE10hipError_tPvRmT3_T4_T5_T6_T7_T9_mT8_P12ihipStream_tbDpT10_ENKUlT_T0_E_clISt17integral_constantIbLb0EES1A_IbLb1EEEEDaS16_S17_EUlS16_E_NS1_11comp_targetILNS1_3genE5ELNS1_11target_archE942ELNS1_3gpuE9ELNS1_3repE0EEENS1_30default_config_static_selectorELNS0_4arch9wavefront6targetE1EEEvT1_,comdat
	.protected	_ZN7rocprim17ROCPRIM_400000_NS6detail17trampoline_kernelINS0_14default_configENS1_25partition_config_selectorILNS1_17partition_subalgoE1EjNS0_10empty_typeEbEEZZNS1_14partition_implILS5_1ELb0ES3_jN6thrust23THRUST_200600_302600_NS6detail15normal_iteratorINSA_10device_ptrIjEEEEPS6_NSA_18transform_iteratorI7is_evenIjESF_NSA_11use_defaultESK_EENS0_5tupleIJSF_NSA_16discard_iteratorISK_EEEEENSM_IJSG_SG_EEES6_PlJS6_EEE10hipError_tPvRmT3_T4_T5_T6_T7_T9_mT8_P12ihipStream_tbDpT10_ENKUlT_T0_E_clISt17integral_constantIbLb0EES1A_IbLb1EEEEDaS16_S17_EUlS16_E_NS1_11comp_targetILNS1_3genE5ELNS1_11target_archE942ELNS1_3gpuE9ELNS1_3repE0EEENS1_30default_config_static_selectorELNS0_4arch9wavefront6targetE1EEEvT1_ ; -- Begin function _ZN7rocprim17ROCPRIM_400000_NS6detail17trampoline_kernelINS0_14default_configENS1_25partition_config_selectorILNS1_17partition_subalgoE1EjNS0_10empty_typeEbEEZZNS1_14partition_implILS5_1ELb0ES3_jN6thrust23THRUST_200600_302600_NS6detail15normal_iteratorINSA_10device_ptrIjEEEEPS6_NSA_18transform_iteratorI7is_evenIjESF_NSA_11use_defaultESK_EENS0_5tupleIJSF_NSA_16discard_iteratorISK_EEEEENSM_IJSG_SG_EEES6_PlJS6_EEE10hipError_tPvRmT3_T4_T5_T6_T7_T9_mT8_P12ihipStream_tbDpT10_ENKUlT_T0_E_clISt17integral_constantIbLb0EES1A_IbLb1EEEEDaS16_S17_EUlS16_E_NS1_11comp_targetILNS1_3genE5ELNS1_11target_archE942ELNS1_3gpuE9ELNS1_3repE0EEENS1_30default_config_static_selectorELNS0_4arch9wavefront6targetE1EEEvT1_
	.globl	_ZN7rocprim17ROCPRIM_400000_NS6detail17trampoline_kernelINS0_14default_configENS1_25partition_config_selectorILNS1_17partition_subalgoE1EjNS0_10empty_typeEbEEZZNS1_14partition_implILS5_1ELb0ES3_jN6thrust23THRUST_200600_302600_NS6detail15normal_iteratorINSA_10device_ptrIjEEEEPS6_NSA_18transform_iteratorI7is_evenIjESF_NSA_11use_defaultESK_EENS0_5tupleIJSF_NSA_16discard_iteratorISK_EEEEENSM_IJSG_SG_EEES6_PlJS6_EEE10hipError_tPvRmT3_T4_T5_T6_T7_T9_mT8_P12ihipStream_tbDpT10_ENKUlT_T0_E_clISt17integral_constantIbLb0EES1A_IbLb1EEEEDaS16_S17_EUlS16_E_NS1_11comp_targetILNS1_3genE5ELNS1_11target_archE942ELNS1_3gpuE9ELNS1_3repE0EEENS1_30default_config_static_selectorELNS0_4arch9wavefront6targetE1EEEvT1_
	.p2align	8
	.type	_ZN7rocprim17ROCPRIM_400000_NS6detail17trampoline_kernelINS0_14default_configENS1_25partition_config_selectorILNS1_17partition_subalgoE1EjNS0_10empty_typeEbEEZZNS1_14partition_implILS5_1ELb0ES3_jN6thrust23THRUST_200600_302600_NS6detail15normal_iteratorINSA_10device_ptrIjEEEEPS6_NSA_18transform_iteratorI7is_evenIjESF_NSA_11use_defaultESK_EENS0_5tupleIJSF_NSA_16discard_iteratorISK_EEEEENSM_IJSG_SG_EEES6_PlJS6_EEE10hipError_tPvRmT3_T4_T5_T6_T7_T9_mT8_P12ihipStream_tbDpT10_ENKUlT_T0_E_clISt17integral_constantIbLb0EES1A_IbLb1EEEEDaS16_S17_EUlS16_E_NS1_11comp_targetILNS1_3genE5ELNS1_11target_archE942ELNS1_3gpuE9ELNS1_3repE0EEENS1_30default_config_static_selectorELNS0_4arch9wavefront6targetE1EEEvT1_,@function
_ZN7rocprim17ROCPRIM_400000_NS6detail17trampoline_kernelINS0_14default_configENS1_25partition_config_selectorILNS1_17partition_subalgoE1EjNS0_10empty_typeEbEEZZNS1_14partition_implILS5_1ELb0ES3_jN6thrust23THRUST_200600_302600_NS6detail15normal_iteratorINSA_10device_ptrIjEEEEPS6_NSA_18transform_iteratorI7is_evenIjESF_NSA_11use_defaultESK_EENS0_5tupleIJSF_NSA_16discard_iteratorISK_EEEEENSM_IJSG_SG_EEES6_PlJS6_EEE10hipError_tPvRmT3_T4_T5_T6_T7_T9_mT8_P12ihipStream_tbDpT10_ENKUlT_T0_E_clISt17integral_constantIbLb0EES1A_IbLb1EEEEDaS16_S17_EUlS16_E_NS1_11comp_targetILNS1_3genE5ELNS1_11target_archE942ELNS1_3gpuE9ELNS1_3repE0EEENS1_30default_config_static_selectorELNS0_4arch9wavefront6targetE1EEEvT1_: ; @_ZN7rocprim17ROCPRIM_400000_NS6detail17trampoline_kernelINS0_14default_configENS1_25partition_config_selectorILNS1_17partition_subalgoE1EjNS0_10empty_typeEbEEZZNS1_14partition_implILS5_1ELb0ES3_jN6thrust23THRUST_200600_302600_NS6detail15normal_iteratorINSA_10device_ptrIjEEEEPS6_NSA_18transform_iteratorI7is_evenIjESF_NSA_11use_defaultESK_EENS0_5tupleIJSF_NSA_16discard_iteratorISK_EEEEENSM_IJSG_SG_EEES6_PlJS6_EEE10hipError_tPvRmT3_T4_T5_T6_T7_T9_mT8_P12ihipStream_tbDpT10_ENKUlT_T0_E_clISt17integral_constantIbLb0EES1A_IbLb1EEEEDaS16_S17_EUlS16_E_NS1_11comp_targetILNS1_3genE5ELNS1_11target_archE942ELNS1_3gpuE9ELNS1_3repE0EEENS1_30default_config_static_selectorELNS0_4arch9wavefront6targetE1EEEvT1_
; %bb.0:
	.section	.rodata,"a",@progbits
	.p2align	6, 0x0
	.amdhsa_kernel _ZN7rocprim17ROCPRIM_400000_NS6detail17trampoline_kernelINS0_14default_configENS1_25partition_config_selectorILNS1_17partition_subalgoE1EjNS0_10empty_typeEbEEZZNS1_14partition_implILS5_1ELb0ES3_jN6thrust23THRUST_200600_302600_NS6detail15normal_iteratorINSA_10device_ptrIjEEEEPS6_NSA_18transform_iteratorI7is_evenIjESF_NSA_11use_defaultESK_EENS0_5tupleIJSF_NSA_16discard_iteratorISK_EEEEENSM_IJSG_SG_EEES6_PlJS6_EEE10hipError_tPvRmT3_T4_T5_T6_T7_T9_mT8_P12ihipStream_tbDpT10_ENKUlT_T0_E_clISt17integral_constantIbLb0EES1A_IbLb1EEEEDaS16_S17_EUlS16_E_NS1_11comp_targetILNS1_3genE5ELNS1_11target_archE942ELNS1_3gpuE9ELNS1_3repE0EEENS1_30default_config_static_selectorELNS0_4arch9wavefront6targetE1EEEvT1_
		.amdhsa_group_segment_fixed_size 0
		.amdhsa_private_segment_fixed_size 0
		.amdhsa_kernarg_size 152
		.amdhsa_user_sgpr_count 6
		.amdhsa_user_sgpr_private_segment_buffer 1
		.amdhsa_user_sgpr_dispatch_ptr 0
		.amdhsa_user_sgpr_queue_ptr 0
		.amdhsa_user_sgpr_kernarg_segment_ptr 1
		.amdhsa_user_sgpr_dispatch_id 0
		.amdhsa_user_sgpr_flat_scratch_init 0
		.amdhsa_user_sgpr_kernarg_preload_length 0
		.amdhsa_user_sgpr_kernarg_preload_offset 0
		.amdhsa_user_sgpr_private_segment_size 0
		.amdhsa_uses_dynamic_stack 0
		.amdhsa_system_sgpr_private_segment_wavefront_offset 0
		.amdhsa_system_sgpr_workgroup_id_x 1
		.amdhsa_system_sgpr_workgroup_id_y 0
		.amdhsa_system_sgpr_workgroup_id_z 0
		.amdhsa_system_sgpr_workgroup_info 0
		.amdhsa_system_vgpr_workitem_id 0
		.amdhsa_next_free_vgpr 1
		.amdhsa_next_free_sgpr 0
		.amdhsa_accum_offset 4
		.amdhsa_reserve_vcc 0
		.amdhsa_reserve_flat_scratch 0
		.amdhsa_float_round_mode_32 0
		.amdhsa_float_round_mode_16_64 0
		.amdhsa_float_denorm_mode_32 3
		.amdhsa_float_denorm_mode_16_64 3
		.amdhsa_dx10_clamp 1
		.amdhsa_ieee_mode 1
		.amdhsa_fp16_overflow 0
		.amdhsa_tg_split 0
		.amdhsa_exception_fp_ieee_invalid_op 0
		.amdhsa_exception_fp_denorm_src 0
		.amdhsa_exception_fp_ieee_div_zero 0
		.amdhsa_exception_fp_ieee_overflow 0
		.amdhsa_exception_fp_ieee_underflow 0
		.amdhsa_exception_fp_ieee_inexact 0
		.amdhsa_exception_int_div_zero 0
	.end_amdhsa_kernel
	.section	.text._ZN7rocprim17ROCPRIM_400000_NS6detail17trampoline_kernelINS0_14default_configENS1_25partition_config_selectorILNS1_17partition_subalgoE1EjNS0_10empty_typeEbEEZZNS1_14partition_implILS5_1ELb0ES3_jN6thrust23THRUST_200600_302600_NS6detail15normal_iteratorINSA_10device_ptrIjEEEEPS6_NSA_18transform_iteratorI7is_evenIjESF_NSA_11use_defaultESK_EENS0_5tupleIJSF_NSA_16discard_iteratorISK_EEEEENSM_IJSG_SG_EEES6_PlJS6_EEE10hipError_tPvRmT3_T4_T5_T6_T7_T9_mT8_P12ihipStream_tbDpT10_ENKUlT_T0_E_clISt17integral_constantIbLb0EES1A_IbLb1EEEEDaS16_S17_EUlS16_E_NS1_11comp_targetILNS1_3genE5ELNS1_11target_archE942ELNS1_3gpuE9ELNS1_3repE0EEENS1_30default_config_static_selectorELNS0_4arch9wavefront6targetE1EEEvT1_,"axG",@progbits,_ZN7rocprim17ROCPRIM_400000_NS6detail17trampoline_kernelINS0_14default_configENS1_25partition_config_selectorILNS1_17partition_subalgoE1EjNS0_10empty_typeEbEEZZNS1_14partition_implILS5_1ELb0ES3_jN6thrust23THRUST_200600_302600_NS6detail15normal_iteratorINSA_10device_ptrIjEEEEPS6_NSA_18transform_iteratorI7is_evenIjESF_NSA_11use_defaultESK_EENS0_5tupleIJSF_NSA_16discard_iteratorISK_EEEEENSM_IJSG_SG_EEES6_PlJS6_EEE10hipError_tPvRmT3_T4_T5_T6_T7_T9_mT8_P12ihipStream_tbDpT10_ENKUlT_T0_E_clISt17integral_constantIbLb0EES1A_IbLb1EEEEDaS16_S17_EUlS16_E_NS1_11comp_targetILNS1_3genE5ELNS1_11target_archE942ELNS1_3gpuE9ELNS1_3repE0EEENS1_30default_config_static_selectorELNS0_4arch9wavefront6targetE1EEEvT1_,comdat
.Lfunc_end3028:
	.size	_ZN7rocprim17ROCPRIM_400000_NS6detail17trampoline_kernelINS0_14default_configENS1_25partition_config_selectorILNS1_17partition_subalgoE1EjNS0_10empty_typeEbEEZZNS1_14partition_implILS5_1ELb0ES3_jN6thrust23THRUST_200600_302600_NS6detail15normal_iteratorINSA_10device_ptrIjEEEEPS6_NSA_18transform_iteratorI7is_evenIjESF_NSA_11use_defaultESK_EENS0_5tupleIJSF_NSA_16discard_iteratorISK_EEEEENSM_IJSG_SG_EEES6_PlJS6_EEE10hipError_tPvRmT3_T4_T5_T6_T7_T9_mT8_P12ihipStream_tbDpT10_ENKUlT_T0_E_clISt17integral_constantIbLb0EES1A_IbLb1EEEEDaS16_S17_EUlS16_E_NS1_11comp_targetILNS1_3genE5ELNS1_11target_archE942ELNS1_3gpuE9ELNS1_3repE0EEENS1_30default_config_static_selectorELNS0_4arch9wavefront6targetE1EEEvT1_, .Lfunc_end3028-_ZN7rocprim17ROCPRIM_400000_NS6detail17trampoline_kernelINS0_14default_configENS1_25partition_config_selectorILNS1_17partition_subalgoE1EjNS0_10empty_typeEbEEZZNS1_14partition_implILS5_1ELb0ES3_jN6thrust23THRUST_200600_302600_NS6detail15normal_iteratorINSA_10device_ptrIjEEEEPS6_NSA_18transform_iteratorI7is_evenIjESF_NSA_11use_defaultESK_EENS0_5tupleIJSF_NSA_16discard_iteratorISK_EEEEENSM_IJSG_SG_EEES6_PlJS6_EEE10hipError_tPvRmT3_T4_T5_T6_T7_T9_mT8_P12ihipStream_tbDpT10_ENKUlT_T0_E_clISt17integral_constantIbLb0EES1A_IbLb1EEEEDaS16_S17_EUlS16_E_NS1_11comp_targetILNS1_3genE5ELNS1_11target_archE942ELNS1_3gpuE9ELNS1_3repE0EEENS1_30default_config_static_selectorELNS0_4arch9wavefront6targetE1EEEvT1_
                                        ; -- End function
	.section	.AMDGPU.csdata,"",@progbits
; Kernel info:
; codeLenInByte = 0
; NumSgprs: 4
; NumVgprs: 0
; NumAgprs: 0
; TotalNumVgprs: 0
; ScratchSize: 0
; MemoryBound: 0
; FloatMode: 240
; IeeeMode: 1
; LDSByteSize: 0 bytes/workgroup (compile time only)
; SGPRBlocks: 0
; VGPRBlocks: 0
; NumSGPRsForWavesPerEU: 4
; NumVGPRsForWavesPerEU: 1
; AccumOffset: 4
; Occupancy: 8
; WaveLimiterHint : 0
; COMPUTE_PGM_RSRC2:SCRATCH_EN: 0
; COMPUTE_PGM_RSRC2:USER_SGPR: 6
; COMPUTE_PGM_RSRC2:TRAP_HANDLER: 0
; COMPUTE_PGM_RSRC2:TGID_X_EN: 1
; COMPUTE_PGM_RSRC2:TGID_Y_EN: 0
; COMPUTE_PGM_RSRC2:TGID_Z_EN: 0
; COMPUTE_PGM_RSRC2:TIDIG_COMP_CNT: 0
; COMPUTE_PGM_RSRC3_GFX90A:ACCUM_OFFSET: 0
; COMPUTE_PGM_RSRC3_GFX90A:TG_SPLIT: 0
	.section	.text._ZN7rocprim17ROCPRIM_400000_NS6detail17trampoline_kernelINS0_14default_configENS1_25partition_config_selectorILNS1_17partition_subalgoE1EjNS0_10empty_typeEbEEZZNS1_14partition_implILS5_1ELb0ES3_jN6thrust23THRUST_200600_302600_NS6detail15normal_iteratorINSA_10device_ptrIjEEEEPS6_NSA_18transform_iteratorI7is_evenIjESF_NSA_11use_defaultESK_EENS0_5tupleIJSF_NSA_16discard_iteratorISK_EEEEENSM_IJSG_SG_EEES6_PlJS6_EEE10hipError_tPvRmT3_T4_T5_T6_T7_T9_mT8_P12ihipStream_tbDpT10_ENKUlT_T0_E_clISt17integral_constantIbLb0EES1A_IbLb1EEEEDaS16_S17_EUlS16_E_NS1_11comp_targetILNS1_3genE4ELNS1_11target_archE910ELNS1_3gpuE8ELNS1_3repE0EEENS1_30default_config_static_selectorELNS0_4arch9wavefront6targetE1EEEvT1_,"axG",@progbits,_ZN7rocprim17ROCPRIM_400000_NS6detail17trampoline_kernelINS0_14default_configENS1_25partition_config_selectorILNS1_17partition_subalgoE1EjNS0_10empty_typeEbEEZZNS1_14partition_implILS5_1ELb0ES3_jN6thrust23THRUST_200600_302600_NS6detail15normal_iteratorINSA_10device_ptrIjEEEEPS6_NSA_18transform_iteratorI7is_evenIjESF_NSA_11use_defaultESK_EENS0_5tupleIJSF_NSA_16discard_iteratorISK_EEEEENSM_IJSG_SG_EEES6_PlJS6_EEE10hipError_tPvRmT3_T4_T5_T6_T7_T9_mT8_P12ihipStream_tbDpT10_ENKUlT_T0_E_clISt17integral_constantIbLb0EES1A_IbLb1EEEEDaS16_S17_EUlS16_E_NS1_11comp_targetILNS1_3genE4ELNS1_11target_archE910ELNS1_3gpuE8ELNS1_3repE0EEENS1_30default_config_static_selectorELNS0_4arch9wavefront6targetE1EEEvT1_,comdat
	.protected	_ZN7rocprim17ROCPRIM_400000_NS6detail17trampoline_kernelINS0_14default_configENS1_25partition_config_selectorILNS1_17partition_subalgoE1EjNS0_10empty_typeEbEEZZNS1_14partition_implILS5_1ELb0ES3_jN6thrust23THRUST_200600_302600_NS6detail15normal_iteratorINSA_10device_ptrIjEEEEPS6_NSA_18transform_iteratorI7is_evenIjESF_NSA_11use_defaultESK_EENS0_5tupleIJSF_NSA_16discard_iteratorISK_EEEEENSM_IJSG_SG_EEES6_PlJS6_EEE10hipError_tPvRmT3_T4_T5_T6_T7_T9_mT8_P12ihipStream_tbDpT10_ENKUlT_T0_E_clISt17integral_constantIbLb0EES1A_IbLb1EEEEDaS16_S17_EUlS16_E_NS1_11comp_targetILNS1_3genE4ELNS1_11target_archE910ELNS1_3gpuE8ELNS1_3repE0EEENS1_30default_config_static_selectorELNS0_4arch9wavefront6targetE1EEEvT1_ ; -- Begin function _ZN7rocprim17ROCPRIM_400000_NS6detail17trampoline_kernelINS0_14default_configENS1_25partition_config_selectorILNS1_17partition_subalgoE1EjNS0_10empty_typeEbEEZZNS1_14partition_implILS5_1ELb0ES3_jN6thrust23THRUST_200600_302600_NS6detail15normal_iteratorINSA_10device_ptrIjEEEEPS6_NSA_18transform_iteratorI7is_evenIjESF_NSA_11use_defaultESK_EENS0_5tupleIJSF_NSA_16discard_iteratorISK_EEEEENSM_IJSG_SG_EEES6_PlJS6_EEE10hipError_tPvRmT3_T4_T5_T6_T7_T9_mT8_P12ihipStream_tbDpT10_ENKUlT_T0_E_clISt17integral_constantIbLb0EES1A_IbLb1EEEEDaS16_S17_EUlS16_E_NS1_11comp_targetILNS1_3genE4ELNS1_11target_archE910ELNS1_3gpuE8ELNS1_3repE0EEENS1_30default_config_static_selectorELNS0_4arch9wavefront6targetE1EEEvT1_
	.globl	_ZN7rocprim17ROCPRIM_400000_NS6detail17trampoline_kernelINS0_14default_configENS1_25partition_config_selectorILNS1_17partition_subalgoE1EjNS0_10empty_typeEbEEZZNS1_14partition_implILS5_1ELb0ES3_jN6thrust23THRUST_200600_302600_NS6detail15normal_iteratorINSA_10device_ptrIjEEEEPS6_NSA_18transform_iteratorI7is_evenIjESF_NSA_11use_defaultESK_EENS0_5tupleIJSF_NSA_16discard_iteratorISK_EEEEENSM_IJSG_SG_EEES6_PlJS6_EEE10hipError_tPvRmT3_T4_T5_T6_T7_T9_mT8_P12ihipStream_tbDpT10_ENKUlT_T0_E_clISt17integral_constantIbLb0EES1A_IbLb1EEEEDaS16_S17_EUlS16_E_NS1_11comp_targetILNS1_3genE4ELNS1_11target_archE910ELNS1_3gpuE8ELNS1_3repE0EEENS1_30default_config_static_selectorELNS0_4arch9wavefront6targetE1EEEvT1_
	.p2align	8
	.type	_ZN7rocprim17ROCPRIM_400000_NS6detail17trampoline_kernelINS0_14default_configENS1_25partition_config_selectorILNS1_17partition_subalgoE1EjNS0_10empty_typeEbEEZZNS1_14partition_implILS5_1ELb0ES3_jN6thrust23THRUST_200600_302600_NS6detail15normal_iteratorINSA_10device_ptrIjEEEEPS6_NSA_18transform_iteratorI7is_evenIjESF_NSA_11use_defaultESK_EENS0_5tupleIJSF_NSA_16discard_iteratorISK_EEEEENSM_IJSG_SG_EEES6_PlJS6_EEE10hipError_tPvRmT3_T4_T5_T6_T7_T9_mT8_P12ihipStream_tbDpT10_ENKUlT_T0_E_clISt17integral_constantIbLb0EES1A_IbLb1EEEEDaS16_S17_EUlS16_E_NS1_11comp_targetILNS1_3genE4ELNS1_11target_archE910ELNS1_3gpuE8ELNS1_3repE0EEENS1_30default_config_static_selectorELNS0_4arch9wavefront6targetE1EEEvT1_,@function
_ZN7rocprim17ROCPRIM_400000_NS6detail17trampoline_kernelINS0_14default_configENS1_25partition_config_selectorILNS1_17partition_subalgoE1EjNS0_10empty_typeEbEEZZNS1_14partition_implILS5_1ELb0ES3_jN6thrust23THRUST_200600_302600_NS6detail15normal_iteratorINSA_10device_ptrIjEEEEPS6_NSA_18transform_iteratorI7is_evenIjESF_NSA_11use_defaultESK_EENS0_5tupleIJSF_NSA_16discard_iteratorISK_EEEEENSM_IJSG_SG_EEES6_PlJS6_EEE10hipError_tPvRmT3_T4_T5_T6_T7_T9_mT8_P12ihipStream_tbDpT10_ENKUlT_T0_E_clISt17integral_constantIbLb0EES1A_IbLb1EEEEDaS16_S17_EUlS16_E_NS1_11comp_targetILNS1_3genE4ELNS1_11target_archE910ELNS1_3gpuE8ELNS1_3repE0EEENS1_30default_config_static_selectorELNS0_4arch9wavefront6targetE1EEEvT1_: ; @_ZN7rocprim17ROCPRIM_400000_NS6detail17trampoline_kernelINS0_14default_configENS1_25partition_config_selectorILNS1_17partition_subalgoE1EjNS0_10empty_typeEbEEZZNS1_14partition_implILS5_1ELb0ES3_jN6thrust23THRUST_200600_302600_NS6detail15normal_iteratorINSA_10device_ptrIjEEEEPS6_NSA_18transform_iteratorI7is_evenIjESF_NSA_11use_defaultESK_EENS0_5tupleIJSF_NSA_16discard_iteratorISK_EEEEENSM_IJSG_SG_EEES6_PlJS6_EEE10hipError_tPvRmT3_T4_T5_T6_T7_T9_mT8_P12ihipStream_tbDpT10_ENKUlT_T0_E_clISt17integral_constantIbLb0EES1A_IbLb1EEEEDaS16_S17_EUlS16_E_NS1_11comp_targetILNS1_3genE4ELNS1_11target_archE910ELNS1_3gpuE8ELNS1_3repE0EEENS1_30default_config_static_selectorELNS0_4arch9wavefront6targetE1EEEvT1_
; %bb.0:
	s_load_dwordx2 s[6:7], s[4:5], 0x20
	s_load_dwordx2 s[24:25], s[4:5], 0x30
	;; [unrolled: 1-line block ×3, first 2 shown]
	s_load_dwordx4 s[20:23], s[4:5], 0x58
	s_load_dwordx2 s[26:27], s[4:5], 0x78
	v_cmp_eq_u32_e64 s[0:1], 0, v0
	s_and_saveexec_b64 s[8:9], s[0:1]
	s_cbranch_execz .LBB3029_4
; %bb.1:
	s_mov_b64 s[12:13], exec
	v_mbcnt_lo_u32_b32 v1, s12, 0
	v_mbcnt_hi_u32_b32 v1, s13, v1
	v_cmp_eq_u32_e32 vcc, 0, v1
                                        ; implicit-def: $vgpr2
	s_and_saveexec_b64 s[10:11], vcc
	s_cbranch_execz .LBB3029_3
; %bb.2:
	s_load_dwordx2 s[14:15], s[4:5], 0x88
	s_bcnt1_i32_b64 s12, s[12:13]
	v_mov_b32_e32 v2, 0
	v_mov_b32_e32 v3, s12
	s_waitcnt lgkmcnt(0)
	global_atomic_add v2, v2, v3, s[14:15] glc
.LBB3029_3:
	s_or_b64 exec, exec, s[10:11]
	s_waitcnt vmcnt(0)
	v_readfirstlane_b32 s10, v2
	v_add_u32_e32 v1, s10, v1
	v_mov_b32_e32 v2, 0
	ds_write_b32 v2, v1
.LBB3029_4:
	s_or_b64 exec, exec, s[8:9]
	v_mov_b32_e32 v1, 0
	s_load_dwordx4 s[8:11], s[4:5], 0x8
	s_load_dword s12, s[4:5], 0x80
	s_waitcnt lgkmcnt(0)
	s_barrier
	ds_read_b32 v4, v1
	s_waitcnt lgkmcnt(0)
	s_barrier
	global_load_dwordx2 v[10:11], v1, s[22:23]
	s_lshl_b64 s[4:5], s[10:11], 2
	v_mov_b32_e32 v3, s3
	s_add_u32 s13, s8, s4
	s_mul_i32 s3, s12, 0x700
	s_addc_u32 s14, s9, s5
	s_add_i32 s9, s3, s10
	s_sub_i32 s33, s2, s9
	s_add_i32 s15, s12, -1
	s_addk_i32 s33, 0x700
	v_mov_b32_e32 v2, s2
	s_add_u32 s2, s10, s3
	v_readfirstlane_b32 s36, v4
	s_addc_u32 s3, s11, 0
	s_cmp_eq_u32 s36, s15
	s_cselect_b64 s[18:19], -1, 0
	s_cmp_lg_u32 s36, s15
	s_mul_i32 s8, s36, 0x700
	s_mov_b32 s9, 0
	v_cmp_lt_u64_e32 vcc, s[2:3], v[2:3]
	s_cselect_b64 s[2:3], -1, 0
	s_or_b64 s[22:23], vcc, s[2:3]
	s_lshl_b64 s[8:9], s[8:9], 2
	s_add_u32 s12, s13, s8
	s_addc_u32 s13, s14, s9
	s_mov_b64 s[2:3], -1
	s_and_b64 vcc, exec, s[22:23]
	v_lshlrev_b32_e32 v1, 2, v0
	s_cbranch_vccz .LBB3029_6
; %bb.5:
	v_mov_b32_e32 v3, s13
	v_add_co_u32_e32 v2, vcc, s12, v1
	v_addc_co_u32_e32 v3, vcc, 0, v3, vcc
	v_add_co_u32_e32 v4, vcc, 0x1000, v2
	v_addc_co_u32_e32 v5, vcc, 0, v3, vcc
	flat_load_dword v6, v[2:3]
	flat_load_dword v7, v[2:3] offset:1024
	flat_load_dword v8, v[2:3] offset:2048
	;; [unrolled: 1-line block ×3, first 2 shown]
	flat_load_dword v12, v[4:5]
	flat_load_dword v13, v[4:5] offset:1024
	flat_load_dword v14, v[4:5] offset:2048
	s_mov_b64 s[2:3], 0
	s_waitcnt vmcnt(0) lgkmcnt(0)
	ds_write2st64_b32 v1, v6, v7 offset1:4
	ds_write2st64_b32 v1, v8, v9 offset0:8 offset1:12
	ds_write2st64_b32 v1, v12, v13 offset0:16 offset1:20
	ds_write_b32 v1, v14 offset:6144
	s_waitcnt lgkmcnt(0)
	s_barrier
.LBB3029_6:
	s_andn2_b64 vcc, exec, s[2:3]
	v_cmp_gt_u32_e64 s[2:3], s33, v0
	s_cbranch_vccnz .LBB3029_22
; %bb.7:
                                        ; implicit-def: $vgpr2_vgpr3_vgpr4_vgpr5_vgpr6_vgpr7_vgpr8
	s_and_saveexec_b64 s[10:11], s[2:3]
	s_cbranch_execz .LBB3029_9
; %bb.8:
	v_mov_b32_e32 v3, s13
	v_add_co_u32_e32 v2, vcc, s12, v1
	v_addc_co_u32_e32 v3, vcc, 0, v3, vcc
	flat_load_dword v2, v[2:3]
.LBB3029_9:
	s_or_b64 exec, exec, s[10:11]
	v_or_b32_e32 v9, 0x100, v0
	v_cmp_gt_u32_e32 vcc, s33, v9
	s_and_saveexec_b64 s[2:3], vcc
	s_cbranch_execz .LBB3029_11
; %bb.10:
	v_mov_b32_e32 v3, s13
	v_add_co_u32_e32 v12, vcc, s12, v1
	v_addc_co_u32_e32 v13, vcc, 0, v3, vcc
	flat_load_dword v3, v[12:13] offset:1024
.LBB3029_11:
	s_or_b64 exec, exec, s[2:3]
	v_or_b32_e32 v9, 0x200, v0
	v_cmp_gt_u32_e32 vcc, s33, v9
	s_and_saveexec_b64 s[2:3], vcc
	s_cbranch_execz .LBB3029_13
; %bb.12:
	v_mov_b32_e32 v4, s13
	v_add_co_u32_e32 v12, vcc, s12, v1
	v_addc_co_u32_e32 v13, vcc, 0, v4, vcc
	flat_load_dword v4, v[12:13] offset:2048
.LBB3029_13:
	;; [unrolled: 11-line block ×3, first 2 shown]
	s_or_b64 exec, exec, s[2:3]
	v_or_b32_e32 v9, 0x400, v0
	v_cmp_gt_u32_e32 vcc, s33, v9
	s_and_saveexec_b64 s[2:3], vcc
	s_cbranch_execz .LBB3029_17
; %bb.16:
	v_lshlrev_b32_e32 v6, 2, v9
	v_mov_b32_e32 v9, s13
	v_add_co_u32_e32 v12, vcc, s12, v6
	v_addc_co_u32_e32 v13, vcc, 0, v9, vcc
	flat_load_dword v6, v[12:13]
.LBB3029_17:
	s_or_b64 exec, exec, s[2:3]
	v_or_b32_e32 v9, 0x500, v0
	v_cmp_gt_u32_e32 vcc, s33, v9
	s_and_saveexec_b64 s[2:3], vcc
	s_cbranch_execz .LBB3029_19
; %bb.18:
	v_lshlrev_b32_e32 v7, 2, v9
	v_mov_b32_e32 v9, s13
	v_add_co_u32_e32 v12, vcc, s12, v7
	v_addc_co_u32_e32 v13, vcc, 0, v9, vcc
	flat_load_dword v7, v[12:13]
.LBB3029_19:
	;; [unrolled: 12-line block ×3, first 2 shown]
	s_or_b64 exec, exec, s[2:3]
	s_waitcnt vmcnt(0) lgkmcnt(0)
	ds_write2st64_b32 v1, v2, v3 offset1:4
	ds_write2st64_b32 v1, v4, v5 offset0:8 offset1:12
	ds_write2st64_b32 v1, v6, v7 offset0:16 offset1:20
	ds_write_b32 v1, v8 offset:6144
	s_waitcnt lgkmcnt(0)
	s_barrier
.LBB3029_22:
	v_mul_u32_u24_e32 v21, 7, v0
	v_lshlrev_b32_e32 v8, 2, v21
	ds_read2_b32 v[6:7], v8 offset1:1
	ds_read2_b32 v[4:5], v8 offset0:2 offset1:3
	ds_read2_b32 v[2:3], v8 offset0:4 offset1:5
	ds_read_b32 v20, v8 offset:24
	s_add_u32 s2, s6, s4
	s_addc_u32 s3, s7, s5
	s_add_u32 s2, s2, s8
	s_addc_u32 s3, s3, s9
	s_mov_b64 s[4:5], -1
	s_and_b64 vcc, exec, s[22:23]
	s_waitcnt lgkmcnt(0)
	s_barrier
	s_cbranch_vccz .LBB3029_24
; %bb.23:
	v_mov_b32_e32 v9, s3
	v_add_co_u32_e32 v12, vcc, s2, v1
	v_addc_co_u32_e32 v9, vcc, 0, v9, vcc
	s_movk_i32 s4, 0x1000
	v_add_co_u32_e32 v12, vcc, s4, v12
	global_load_dword v14, v1, s[2:3]
	global_load_dword v15, v1, s[2:3] offset:1024
	global_load_dword v16, v1, s[2:3] offset:2048
	;; [unrolled: 1-line block ×3, first 2 shown]
	v_addc_co_u32_e32 v13, vcc, 0, v9, vcc
	global_load_dword v9, v[12:13], off
	global_load_dword v18, v[12:13], off offset:1024
	global_load_dword v19, v[12:13], off offset:2048
	s_mov_b64 s[4:5], 0
	s_waitcnt vmcnt(6)
	v_xor_b32_e32 v12, -1, v14
	s_waitcnt vmcnt(5)
	v_xor_b32_e32 v13, -1, v15
	;; [unrolled: 2-line block ×4, first 2 shown]
	v_and_b32_e32 v12, 1, v12
	v_and_b32_e32 v13, 1, v13
	s_waitcnt vmcnt(2)
	v_xor_b32_e32 v9, -1, v9
	v_and_b32_e32 v14, 1, v14
	v_and_b32_e32 v15, 1, v15
	ds_write_b8 v0, v12
	ds_write_b8 v0, v13 offset:256
	ds_write_b8 v0, v14 offset:512
	;; [unrolled: 1-line block ×3, first 2 shown]
	s_waitcnt vmcnt(1)
	v_xor_b32_e32 v12, -1, v18
	s_waitcnt vmcnt(0)
	v_xor_b32_e32 v13, -1, v19
	v_and_b32_e32 v9, 1, v9
	v_and_b32_e32 v12, 1, v12
	;; [unrolled: 1-line block ×3, first 2 shown]
	ds_write_b8 v0, v9 offset:1024
	ds_write_b8 v0, v12 offset:1280
	;; [unrolled: 1-line block ×3, first 2 shown]
	s_waitcnt lgkmcnt(0)
	s_barrier
.LBB3029_24:
	s_andn2_b64 vcc, exec, s[4:5]
	s_cbranch_vccnz .LBB3029_40
; %bb.25:
	v_cmp_gt_u32_e32 vcc, s33, v0
	v_mov_b32_e32 v9, 0
	v_mov_b32_e32 v12, 0
	s_and_saveexec_b64 s[4:5], vcc
	s_cbranch_execz .LBB3029_27
; %bb.26:
	global_load_dword v12, v1, s[2:3]
	s_waitcnt vmcnt(0)
	v_xor_b32_e32 v12, -1, v12
	v_and_b32_e32 v12, 1, v12
.LBB3029_27:
	s_or_b64 exec, exec, s[4:5]
	v_or_b32_e32 v13, 0x100, v0
	v_cmp_gt_u32_e32 vcc, s33, v13
	s_and_saveexec_b64 s[4:5], vcc
	s_cbranch_execz .LBB3029_29
; %bb.28:
	global_load_dword v9, v1, s[2:3] offset:1024
	s_waitcnt vmcnt(0)
	v_xor_b32_e32 v9, -1, v9
	v_and_b32_e32 v9, 1, v9
.LBB3029_29:
	s_or_b64 exec, exec, s[4:5]
	v_or_b32_e32 v13, 0x200, v0
	v_cmp_gt_u32_e32 vcc, s33, v13
	v_mov_b32_e32 v13, 0
	v_mov_b32_e32 v14, 0
	s_and_saveexec_b64 s[4:5], vcc
	s_cbranch_execz .LBB3029_31
; %bb.30:
	global_load_dword v14, v1, s[2:3] offset:2048
	s_waitcnt vmcnt(0)
	v_xor_b32_e32 v14, -1, v14
	v_and_b32_e32 v14, 1, v14
.LBB3029_31:
	s_or_b64 exec, exec, s[4:5]
	v_or_b32_e32 v15, 0x300, v0
	v_cmp_gt_u32_e32 vcc, s33, v15
	s_and_saveexec_b64 s[4:5], vcc
	s_cbranch_execz .LBB3029_33
; %bb.32:
	global_load_dword v13, v1, s[2:3] offset:3072
	s_waitcnt vmcnt(0)
	v_xor_b32_e32 v13, -1, v13
	v_and_b32_e32 v13, 1, v13
.LBB3029_33:
	s_or_b64 exec, exec, s[4:5]
	v_or_b32_e32 v17, 0x400, v0
	v_cmp_gt_u32_e32 vcc, s33, v17
	v_mov_b32_e32 v15, 0
	v_mov_b32_e32 v16, 0
	s_and_saveexec_b64 s[4:5], vcc
	s_cbranch_execz .LBB3029_35
; %bb.34:
	v_lshlrev_b32_e32 v16, 2, v17
	global_load_dword v16, v16, s[2:3]
	s_waitcnt vmcnt(0)
	v_xor_b32_e32 v16, -1, v16
	v_and_b32_e32 v16, 1, v16
.LBB3029_35:
	s_or_b64 exec, exec, s[4:5]
	v_or_b32_e32 v17, 0x500, v0
	v_cmp_gt_u32_e32 vcc, s33, v17
	s_and_saveexec_b64 s[4:5], vcc
	s_cbranch_execz .LBB3029_37
; %bb.36:
	v_lshlrev_b32_e32 v15, 2, v17
	global_load_dword v15, v15, s[2:3]
	s_waitcnt vmcnt(0)
	v_xor_b32_e32 v15, -1, v15
	v_and_b32_e32 v15, 1, v15
.LBB3029_37:
	s_or_b64 exec, exec, s[4:5]
	v_or_b32_e32 v18, 0x600, v0
	v_cmp_gt_u32_e32 vcc, s33, v18
	v_mov_b32_e32 v17, 0
	s_and_saveexec_b64 s[4:5], vcc
	s_cbranch_execz .LBB3029_39
; %bb.38:
	v_lshlrev_b32_e32 v17, 2, v18
	global_load_dword v17, v17, s[2:3]
	s_waitcnt vmcnt(0)
	v_xor_b32_e32 v17, -1, v17
	v_and_b32_e32 v17, 1, v17
.LBB3029_39:
	s_or_b64 exec, exec, s[4:5]
	ds_write_b8 v0, v12
	ds_write_b8 v0, v9 offset:256
	ds_write_b8 v0, v14 offset:512
	;; [unrolled: 1-line block ×6, first 2 shown]
	s_waitcnt lgkmcnt(0)
	s_barrier
.LBB3029_40:
	s_movk_i32 s2, 0xffeb
	v_mad_i32_i24 v30, v0, s2, v8
	ds_read_u8 v8, v30
	ds_read_u8 v9, v30 offset:1
	ds_read_u8 v12, v30 offset:2
	;; [unrolled: 1-line block ×6, first 2 shown]
	s_waitcnt lgkmcnt(6)
	v_and_b32_e32 v28, 1, v8
	s_waitcnt lgkmcnt(5)
	v_and_b32_e32 v27, 1, v9
	;; [unrolled: 2-line block ×5, first 2 shown]
	v_add3_u32 v8, v27, v28, v26
	s_waitcnt lgkmcnt(1)
	v_and_b32_e32 v23, 1, v15
	s_waitcnt lgkmcnt(0)
	v_and_b32_e32 v22, 1, v16
	v_add3_u32 v8, v8, v25, v24
	v_add3_u32 v32, v8, v23, v22
	v_mbcnt_lo_u32_b32 v8, -1, 0
	v_mbcnt_hi_u32_b32 v29, -1, v8
	v_and_b32_e32 v8, 15, v29
	v_cmp_eq_u32_e64 s[14:15], 0, v8
	v_cmp_lt_u32_e64 s[12:13], 1, v8
	v_cmp_lt_u32_e64 s[10:11], 3, v8
	;; [unrolled: 1-line block ×3, first 2 shown]
	v_and_b32_e32 v8, 16, v29
	v_cmp_eq_u32_e64 s[6:7], 0, v8
	v_or_b32_e32 v8, 63, v0
	s_cmp_lg_u32 s36, 0
	v_cmp_lt_u32_e64 s[2:3], 31, v29
	v_lshrrev_b32_e32 v31, 6, v0
	v_cmp_eq_u32_e64 s[4:5], v8, v0
	s_barrier
	s_cbranch_scc0 .LBB3029_67
; %bb.41:
	v_mov_b32_dpp v8, v32 row_shr:1 row_mask:0xf bank_mask:0xf
	v_cndmask_b32_e64 v8, v8, 0, s[14:15]
	v_add_u32_e32 v8, v8, v32
	s_nop 1
	v_mov_b32_dpp v9, v8 row_shr:2 row_mask:0xf bank_mask:0xf
	v_cndmask_b32_e64 v9, 0, v9, s[12:13]
	v_add_u32_e32 v8, v8, v9
	s_nop 1
	;; [unrolled: 4-line block ×4, first 2 shown]
	v_mov_b32_dpp v9, v8 row_bcast:15 row_mask:0xf bank_mask:0xf
	v_cndmask_b32_e64 v9, v9, 0, s[6:7]
	v_add_u32_e32 v8, v8, v9
	s_nop 1
	v_mov_b32_dpp v9, v8 row_bcast:31 row_mask:0xf bank_mask:0xf
	v_cndmask_b32_e64 v9, 0, v9, s[2:3]
	v_add_u32_e32 v8, v8, v9
	s_and_saveexec_b64 s[16:17], s[4:5]
	s_cbranch_execz .LBB3029_43
; %bb.42:
	v_lshlrev_b32_e32 v9, 2, v31
	ds_write_b32 v9, v8
.LBB3029_43:
	s_or_b64 exec, exec, s[16:17]
	v_cmp_gt_u32_e32 vcc, 4, v0
	s_waitcnt lgkmcnt(0)
	s_barrier
	s_and_saveexec_b64 s[16:17], vcc
	s_cbranch_execz .LBB3029_45
; %bb.44:
	ds_read_b32 v9, v1
	v_and_b32_e32 v12, 3, v29
	v_cmp_ne_u32_e32 vcc, 0, v12
	s_waitcnt lgkmcnt(0)
	v_mov_b32_dpp v13, v9 row_shr:1 row_mask:0xf bank_mask:0xf
	v_cndmask_b32_e32 v13, 0, v13, vcc
	v_add_u32_e32 v9, v13, v9
	v_cmp_lt_u32_e32 vcc, 1, v12
	s_nop 0
	v_mov_b32_dpp v13, v9 row_shr:2 row_mask:0xf bank_mask:0xf
	v_cndmask_b32_e32 v12, 0, v13, vcc
	v_add_u32_e32 v9, v9, v12
	ds_write_b32 v1, v9
.LBB3029_45:
	s_or_b64 exec, exec, s[16:17]
	v_cmp_gt_u32_e32 vcc, 64, v0
	v_cmp_lt_u32_e64 s[16:17], 63, v0
	s_waitcnt lgkmcnt(0)
	s_barrier
	s_waitcnt lgkmcnt(0)
                                        ; implicit-def: $vgpr33
	s_and_saveexec_b64 s[28:29], s[16:17]
	s_cbranch_execz .LBB3029_47
; %bb.46:
	v_lshl_add_u32 v9, v31, 2, -4
	ds_read_b32 v33, v9
	s_waitcnt lgkmcnt(0)
	v_add_u32_e32 v8, v33, v8
.LBB3029_47:
	s_or_b64 exec, exec, s[28:29]
	v_add_u32_e32 v9, -1, v29
	v_and_b32_e32 v12, 64, v29
	v_cmp_lt_i32_e64 s[16:17], v9, v12
	v_cndmask_b32_e64 v9, v9, v29, s[16:17]
	v_lshlrev_b32_e32 v9, 2, v9
	ds_bpermute_b32 v34, v9, v8
	v_cmp_eq_u32_e64 s[16:17], 0, v29
	s_and_saveexec_b64 s[28:29], vcc
	s_cbranch_execz .LBB3029_66
; %bb.48:
	v_mov_b32_e32 v17, 0
	ds_read_b32 v8, v17 offset:12
	s_and_saveexec_b64 s[30:31], s[16:17]
	s_cbranch_execz .LBB3029_50
; %bb.49:
	s_add_i32 s34, s36, 64
	s_mov_b32 s35, 0
	s_lshl_b64 s[34:35], s[34:35], 3
	s_add_u32 s34, s26, s34
	v_mov_b32_e32 v9, 1
	s_addc_u32 s35, s27, s35
	s_waitcnt lgkmcnt(0)
	global_store_dwordx2 v17, v[8:9], s[34:35]
.LBB3029_50:
	s_or_b64 exec, exec, s[30:31]
	v_xad_u32 v12, v29, -1, s36
	v_add_u32_e32 v16, 64, v12
	v_lshlrev_b64 v[14:15], 3, v[16:17]
	v_mov_b32_e32 v9, s27
	v_add_co_u32_e32 v18, vcc, s26, v14
	v_addc_co_u32_e32 v19, vcc, v9, v15, vcc
	global_load_dwordx2 v[14:15], v[18:19], off glc
	s_waitcnt vmcnt(0)
	v_cmp_eq_u16_sdwa s[34:35], v15, v17 src0_sel:BYTE_0 src1_sel:DWORD
	s_and_saveexec_b64 s[30:31], s[34:35]
	s_cbranch_execz .LBB3029_54
; %bb.51:
	s_mov_b64 s[34:35], 0
	v_mov_b32_e32 v9, 0
.LBB3029_52:                            ; =>This Inner Loop Header: Depth=1
	global_load_dwordx2 v[14:15], v[18:19], off glc
	s_waitcnt vmcnt(0)
	v_cmp_ne_u16_sdwa s[38:39], v15, v9 src0_sel:BYTE_0 src1_sel:DWORD
	s_or_b64 s[34:35], s[38:39], s[34:35]
	s_andn2_b64 exec, exec, s[34:35]
	s_cbranch_execnz .LBB3029_52
; %bb.53:
	s_or_b64 exec, exec, s[34:35]
.LBB3029_54:
	s_or_b64 exec, exec, s[30:31]
	v_and_b32_e32 v36, 63, v29
	v_mov_b32_e32 v35, 2
	v_cmp_ne_u32_e32 vcc, 63, v36
	v_cmp_eq_u16_sdwa s[30:31], v15, v35 src0_sel:BYTE_0 src1_sel:DWORD
	v_lshlrev_b64 v[16:17], v29, -1
	v_addc_co_u32_e32 v18, vcc, 0, v29, vcc
	v_and_b32_e32 v9, s31, v17
	v_lshlrev_b32_e32 v37, 2, v18
	v_or_b32_e32 v9, 0x80000000, v9
	ds_bpermute_b32 v18, v37, v14
	v_and_b32_e32 v13, s30, v16
	v_ffbl_b32_e32 v9, v9
	v_add_u32_e32 v9, 32, v9
	v_ffbl_b32_e32 v13, v13
	v_min_u32_e32 v9, v13, v9
	v_cmp_lt_u32_e32 vcc, v36, v9
	s_waitcnt lgkmcnt(0)
	v_cndmask_b32_e32 v13, 0, v18, vcc
	v_cmp_gt_u32_e32 vcc, 62, v36
	v_add_u32_e32 v13, v13, v14
	v_cndmask_b32_e64 v14, 0, 1, vcc
	v_lshlrev_b32_e32 v14, 1, v14
	v_add_lshl_u32 v38, v14, v29, 2
	ds_bpermute_b32 v14, v38, v13
	v_add_u32_e32 v39, 2, v36
	v_cmp_le_u32_e32 vcc, v39, v9
	v_add_u32_e32 v41, 4, v36
	v_add_u32_e32 v43, 8, v36
	s_waitcnt lgkmcnt(0)
	v_cndmask_b32_e32 v14, 0, v14, vcc
	v_cmp_gt_u32_e32 vcc, 60, v36
	v_add_u32_e32 v13, v13, v14
	v_cndmask_b32_e64 v14, 0, 1, vcc
	v_lshlrev_b32_e32 v14, 2, v14
	v_add_lshl_u32 v40, v14, v29, 2
	ds_bpermute_b32 v14, v40, v13
	v_cmp_le_u32_e32 vcc, v41, v9
	v_add_u32_e32 v45, 16, v36
	v_add_u32_e32 v47, 32, v36
	s_waitcnt lgkmcnt(0)
	v_cndmask_b32_e32 v14, 0, v14, vcc
	v_cmp_gt_u32_e32 vcc, 56, v36
	v_add_u32_e32 v13, v13, v14
	v_cndmask_b32_e64 v14, 0, 1, vcc
	v_lshlrev_b32_e32 v14, 3, v14
	v_add_lshl_u32 v42, v14, v29, 2
	ds_bpermute_b32 v14, v42, v13
	v_cmp_le_u32_e32 vcc, v43, v9
	s_waitcnt lgkmcnt(0)
	v_cndmask_b32_e32 v14, 0, v14, vcc
	v_cmp_gt_u32_e32 vcc, 48, v36
	v_add_u32_e32 v13, v13, v14
	v_cndmask_b32_e64 v14, 0, 1, vcc
	v_lshlrev_b32_e32 v14, 4, v14
	v_add_lshl_u32 v44, v14, v29, 2
	ds_bpermute_b32 v14, v44, v13
	v_cmp_le_u32_e32 vcc, v45, v9
	;; [unrolled: 9-line block ×3, first 2 shown]
	s_waitcnt lgkmcnt(0)
	v_cndmask_b32_e32 v9, 0, v14, vcc
	v_add_u32_e32 v14, v13, v9
	v_mov_b32_e32 v13, 0
	s_branch .LBB3029_56
.LBB3029_55:                            ;   in Loop: Header=BB3029_56 Depth=1
	s_or_b64 exec, exec, s[30:31]
	v_cmp_eq_u16_sdwa s[30:31], v15, v35 src0_sel:BYTE_0 src1_sel:DWORD
	v_and_b32_e32 v18, s31, v17
	v_or_b32_e32 v18, 0x80000000, v18
	ds_bpermute_b32 v48, v37, v14
	v_and_b32_e32 v19, s30, v16
	v_ffbl_b32_e32 v18, v18
	v_add_u32_e32 v18, 32, v18
	v_ffbl_b32_e32 v19, v19
	v_min_u32_e32 v18, v19, v18
	v_cmp_lt_u32_e32 vcc, v36, v18
	s_waitcnt lgkmcnt(0)
	v_cndmask_b32_e32 v19, 0, v48, vcc
	v_add_u32_e32 v14, v19, v14
	ds_bpermute_b32 v19, v38, v14
	v_cmp_le_u32_e32 vcc, v39, v18
	v_subrev_u32_e32 v12, 64, v12
	s_waitcnt lgkmcnt(0)
	v_cndmask_b32_e32 v19, 0, v19, vcc
	v_add_u32_e32 v14, v14, v19
	ds_bpermute_b32 v19, v40, v14
	v_cmp_le_u32_e32 vcc, v41, v18
	s_waitcnt lgkmcnt(0)
	v_cndmask_b32_e32 v19, 0, v19, vcc
	v_add_u32_e32 v14, v14, v19
	ds_bpermute_b32 v19, v42, v14
	v_cmp_le_u32_e32 vcc, v43, v18
	;; [unrolled: 5-line block ×4, first 2 shown]
	s_waitcnt lgkmcnt(0)
	v_cndmask_b32_e32 v18, 0, v19, vcc
	v_add3_u32 v14, v18, v9, v14
.LBB3029_56:                            ; =>This Loop Header: Depth=1
                                        ;     Child Loop BB3029_59 Depth 2
	v_cmp_ne_u16_sdwa s[30:31], v15, v35 src0_sel:BYTE_0 src1_sel:DWORD
	v_cndmask_b32_e64 v9, 0, 1, s[30:31]
	;;#ASMSTART
	;;#ASMEND
	v_cmp_ne_u32_e32 vcc, 0, v9
	s_cmp_lg_u64 vcc, exec
	v_mov_b32_e32 v9, v14
	s_cbranch_scc1 .LBB3029_61
; %bb.57:                               ;   in Loop: Header=BB3029_56 Depth=1
	v_lshlrev_b64 v[14:15], 3, v[12:13]
	v_mov_b32_e32 v19, s27
	v_add_co_u32_e32 v18, vcc, s26, v14
	v_addc_co_u32_e32 v19, vcc, v19, v15, vcc
	global_load_dwordx2 v[14:15], v[18:19], off glc
	s_waitcnt vmcnt(0)
	v_cmp_eq_u16_sdwa s[34:35], v15, v13 src0_sel:BYTE_0 src1_sel:DWORD
	s_and_saveexec_b64 s[30:31], s[34:35]
	s_cbranch_execz .LBB3029_55
; %bb.58:                               ;   in Loop: Header=BB3029_56 Depth=1
	s_mov_b64 s[34:35], 0
.LBB3029_59:                            ;   Parent Loop BB3029_56 Depth=1
                                        ; =>  This Inner Loop Header: Depth=2
	global_load_dwordx2 v[14:15], v[18:19], off glc
	s_waitcnt vmcnt(0)
	v_cmp_ne_u16_sdwa s[38:39], v15, v13 src0_sel:BYTE_0 src1_sel:DWORD
	s_or_b64 s[34:35], s[38:39], s[34:35]
	s_andn2_b64 exec, exec, s[34:35]
	s_cbranch_execnz .LBB3029_59
; %bb.60:                               ;   in Loop: Header=BB3029_56 Depth=1
	s_or_b64 exec, exec, s[34:35]
	s_branch .LBB3029_55
.LBB3029_61:                            ;   in Loop: Header=BB3029_56 Depth=1
                                        ; implicit-def: $vgpr14
                                        ; implicit-def: $vgpr15
	s_cbranch_execz .LBB3029_56
; %bb.62:
	s_and_saveexec_b64 s[30:31], s[16:17]
	s_cbranch_execz .LBB3029_64
; %bb.63:
	s_add_i32 s34, s36, 64
	s_mov_b32 s35, 0
	s_lshl_b64 s[34:35], s[34:35], 3
	s_add_u32 s34, s26, s34
	v_add_u32_e32 v12, v9, v8
	v_mov_b32_e32 v13, 2
	s_addc_u32 s35, s27, s35
	v_mov_b32_e32 v14, 0
	global_store_dwordx2 v14, v[12:13], s[34:35]
	ds_write_b64 v14, v[8:9] offset:7168
.LBB3029_64:
	s_or_b64 exec, exec, s[30:31]
	s_and_b64 exec, exec, s[0:1]
	s_cbranch_execz .LBB3029_66
; %bb.65:
	v_mov_b32_e32 v8, 0
	ds_write_b32 v8, v9 offset:12
.LBB3029_66:
	s_or_b64 exec, exec, s[28:29]
	v_mov_b32_e32 v8, 0
	s_waitcnt lgkmcnt(0)
	s_barrier
	ds_read_b32 v9, v8 offset:12
	v_cndmask_b32_e64 v12, v34, v33, s[16:17]
	v_cndmask_b32_e64 v12, v12, 0, s[0:1]
	s_waitcnt lgkmcnt(0)
	s_barrier
	v_add_u32_e32 v19, v9, v12
	v_add_u32_e32 v18, v19, v28
	ds_read_b64 v[8:9], v8 offset:7168
	v_add_u32_e32 v17, v18, v27
	v_add_u32_e32 v15, v17, v26
	;; [unrolled: 1-line block ×5, first 2 shown]
	s_waitcnt lgkmcnt(0)
	v_mov_b32_e32 v12, v9
	s_branch .LBB3029_77
.LBB3029_67:
                                        ; implicit-def: $vgpr12
                                        ; implicit-def: $vgpr8
                                        ; implicit-def: $vgpr13
                                        ; implicit-def: $vgpr14
                                        ; implicit-def: $vgpr16
                                        ; implicit-def: $vgpr15
                                        ; implicit-def: $vgpr17
                                        ; implicit-def: $vgpr18
                                        ; implicit-def: $vgpr19
	s_cbranch_execz .LBB3029_77
; %bb.68:
	s_nop 0
	v_mov_b32_dpp v8, v32 row_shr:1 row_mask:0xf bank_mask:0xf
	v_cndmask_b32_e64 v8, v8, 0, s[14:15]
	v_add_u32_e32 v8, v8, v32
	s_nop 1
	v_mov_b32_dpp v9, v8 row_shr:2 row_mask:0xf bank_mask:0xf
	v_cndmask_b32_e64 v9, 0, v9, s[12:13]
	v_add_u32_e32 v8, v8, v9
	;; [unrolled: 4-line block ×4, first 2 shown]
	s_nop 1
	v_mov_b32_dpp v9, v8 row_bcast:15 row_mask:0xf bank_mask:0xf
	v_cndmask_b32_e64 v9, v9, 0, s[6:7]
	v_add_u32_e32 v8, v8, v9
	s_nop 1
	v_mov_b32_dpp v9, v8 row_bcast:31 row_mask:0xf bank_mask:0xf
	v_cndmask_b32_e64 v9, 0, v9, s[2:3]
	v_add_u32_e32 v8, v8, v9
	s_and_saveexec_b64 s[2:3], s[4:5]
	s_cbranch_execz .LBB3029_70
; %bb.69:
	v_lshlrev_b32_e32 v9, 2, v31
	ds_write_b32 v9, v8
.LBB3029_70:
	s_or_b64 exec, exec, s[2:3]
	v_cmp_gt_u32_e32 vcc, 4, v0
	s_waitcnt lgkmcnt(0)
	s_barrier
	s_and_saveexec_b64 s[2:3], vcc
	s_cbranch_execz .LBB3029_72
; %bb.71:
	v_mad_i32_i24 v9, v0, -3, v30
	ds_read_b32 v12, v9
	v_and_b32_e32 v13, 3, v29
	v_cmp_ne_u32_e32 vcc, 0, v13
	s_waitcnt lgkmcnt(0)
	v_mov_b32_dpp v14, v12 row_shr:1 row_mask:0xf bank_mask:0xf
	v_cndmask_b32_e32 v14, 0, v14, vcc
	v_add_u32_e32 v12, v14, v12
	v_cmp_lt_u32_e32 vcc, 1, v13
	s_nop 0
	v_mov_b32_dpp v14, v12 row_shr:2 row_mask:0xf bank_mask:0xf
	v_cndmask_b32_e32 v13, 0, v14, vcc
	v_add_u32_e32 v12, v12, v13
	ds_write_b32 v9, v12
.LBB3029_72:
	s_or_b64 exec, exec, s[2:3]
	v_cmp_lt_u32_e32 vcc, 63, v0
	v_mov_b32_e32 v9, 0
	v_mov_b32_e32 v12, 0
	s_waitcnt lgkmcnt(0)
	s_barrier
	s_and_saveexec_b64 s[2:3], vcc
	s_cbranch_execz .LBB3029_74
; %bb.73:
	v_lshl_add_u32 v12, v31, 2, -4
	ds_read_b32 v12, v12
.LBB3029_74:
	s_or_b64 exec, exec, s[2:3]
	v_add_u32_e32 v13, -1, v29
	v_and_b32_e32 v14, 64, v29
	v_cmp_lt_i32_e32 vcc, v13, v14
	v_cndmask_b32_e32 v13, v13, v29, vcc
	s_waitcnt lgkmcnt(0)
	v_add_u32_e32 v8, v12, v8
	v_lshlrev_b32_e32 v13, 2, v13
	ds_bpermute_b32 v13, v13, v8
	ds_read_b32 v8, v9 offset:12
	s_and_saveexec_b64 s[2:3], s[0:1]
	s_cbranch_execz .LBB3029_76
; %bb.75:
	v_mov_b32_e32 v14, 0
	v_mov_b32_e32 v9, 2
	s_waitcnt lgkmcnt(0)
	global_store_dwordx2 v14, v[8:9], s[26:27] offset:512
.LBB3029_76:
	s_or_b64 exec, exec, s[2:3]
	v_cmp_eq_u32_e32 vcc, 0, v29
	s_waitcnt lgkmcnt(1)
	v_cndmask_b32_e32 v9, v13, v12, vcc
	v_cndmask_b32_e64 v19, v9, 0, s[0:1]
	v_add_u32_e32 v18, v19, v28
	v_add_u32_e32 v17, v18, v27
	;; [unrolled: 1-line block ×5, first 2 shown]
	v_mov_b32_e32 v12, 0
	v_add_u32_e32 v13, v14, v23
	s_waitcnt lgkmcnt(0)
	s_barrier
.LBB3029_77:
	v_add_u32_e32 v9, v8, v21
	v_sub_u32_e32 v19, v19, v12
	v_sub_u32_e32 v21, v9, v19
	v_cmp_eq_u32_e32 vcc, 1, v28
	v_cndmask_b32_e32 v19, v21, v19, vcc
	v_lshlrev_b32_e32 v19, 2, v19
	ds_write_b32 v19, v6
	v_sub_u32_e32 v6, v18, v12
	v_sub_u32_e32 v18, v9, v6
	v_add_u32_e32 v18, 1, v18
	v_cmp_eq_u32_e32 vcc, 1, v27
	v_cndmask_b32_e32 v6, v18, v6, vcc
	v_lshlrev_b32_e32 v6, 2, v6
	ds_write_b32 v6, v7
	v_sub_u32_e32 v6, v17, v12
	v_sub_u32_e32 v7, v9, v6
	v_add_u32_e32 v7, 2, v7
	;; [unrolled: 7-line block ×6, first 2 shown]
	v_cmp_eq_u32_e32 vcc, 1, v22
	v_cndmask_b32_e32 v2, v3, v2, vcc
	v_lshlrev_b32_e32 v2, 2, v2
	ds_write_b32 v2, v20
	s_waitcnt lgkmcnt(0)
	s_barrier
	ds_read2st64_b32 v[14:15], v1 offset1:4
	ds_read2st64_b32 v[6:7], v1 offset0:8 offset1:12
	ds_read2st64_b32 v[2:3], v1 offset0:16 offset1:20
	ds_read_b32 v9, v1 offset:6144
	v_or_b32_e32 v23, 0x100, v0
	v_or_b32_e32 v22, 0x200, v0
	;; [unrolled: 1-line block ×6, first 2 shown]
	s_andn2_b64 vcc, exec, s[22:23]
	s_waitcnt vmcnt(0)
	v_lshlrev_b64 v[16:17], 2, v[10:11]
	s_cbranch_vccnz .LBB3029_86
; %bb.78:
	v_mov_b32_e32 v13, 0
	v_mov_b32_e32 v4, s25
	v_add_co_u32_e32 v24, vcc, s24, v16
	v_addc_co_u32_e32 v25, vcc, v4, v17, vcc
	v_lshlrev_b64 v[4:5], 2, v[12:13]
	v_add_co_u32_e32 v4, vcc, v24, v4
	v_addc_co_u32_e32 v5, vcc, v25, v5, vcc
	v_cmp_gt_u32_e32 vcc, v8, v0
	s_and_saveexec_b64 s[2:3], vcc
	s_cbranch_execnz .LBB3029_100
; %bb.79:
	s_or_b64 exec, exec, s[2:3]
	v_cmp_lt_u32_e32 vcc, v23, v8
	s_and_saveexec_b64 s[2:3], vcc
	s_cbranch_execnz .LBB3029_101
.LBB3029_80:
	s_or_b64 exec, exec, s[2:3]
	v_cmp_lt_u32_e32 vcc, v22, v8
	s_and_saveexec_b64 s[2:3], vcc
	s_cbranch_execnz .LBB3029_102
.LBB3029_81:
	s_or_b64 exec, exec, s[2:3]
	v_cmp_lt_u32_e32 vcc, v21, v8
	s_and_saveexec_b64 s[2:3], vcc
	s_cbranch_execnz .LBB3029_103
.LBB3029_82:
	s_or_b64 exec, exec, s[2:3]
	v_cmp_lt_u32_e32 vcc, v20, v8
	s_and_saveexec_b64 s[2:3], vcc
	s_cbranch_execnz .LBB3029_104
.LBB3029_83:
	s_or_b64 exec, exec, s[2:3]
	v_cmp_lt_u32_e32 vcc, v19, v8
	s_and_saveexec_b64 s[2:3], vcc
	s_cbranch_execz .LBB3029_85
.LBB3029_84:
	v_lshlrev_b32_e32 v13, 2, v19
	v_readfirstlane_b32 s4, v4
	v_readfirstlane_b32 s5, v5
	s_waitcnt lgkmcnt(1)
	s_nop 3
	global_store_dword v13, v3, s[4:5]
.LBB3029_85:
	s_or_b64 exec, exec, s[2:3]
	v_cmp_lt_u32_e64 s[2:3], v18, v8
	s_branch .LBB3029_95
.LBB3029_86:
	s_mov_b64 s[2:3], 0
                                        ; implicit-def: $vgpr4_vgpr5
	s_cbranch_execz .LBB3029_95
; %bb.87:
	v_mov_b32_e32 v13, 0
	v_mov_b32_e32 v4, s25
	v_add_co_u32_e32 v16, vcc, s24, v16
	v_addc_co_u32_e32 v17, vcc, v4, v17, vcc
	v_lshlrev_b64 v[4:5], 2, v[12:13]
	v_add_co_u32_e32 v4, vcc, v16, v4
	v_min_u32_e32 v24, s33, v8
	v_addc_co_u32_e32 v5, vcc, v17, v5, vcc
	v_cmp_gt_u32_e32 vcc, v24, v0
	s_and_saveexec_b64 s[2:3], vcc
	s_cbranch_execnz .LBB3029_105
; %bb.88:
	s_or_b64 exec, exec, s[2:3]
	v_cmp_lt_u32_e32 vcc, v23, v24
	s_and_saveexec_b64 s[2:3], vcc
	s_cbranch_execnz .LBB3029_106
.LBB3029_89:
	s_or_b64 exec, exec, s[2:3]
	v_cmp_lt_u32_e32 vcc, v22, v24
	s_and_saveexec_b64 s[2:3], vcc
	s_cbranch_execnz .LBB3029_107
.LBB3029_90:
	s_or_b64 exec, exec, s[2:3]
	v_cmp_lt_u32_e32 vcc, v21, v24
	s_and_saveexec_b64 s[2:3], vcc
	s_cbranch_execnz .LBB3029_108
.LBB3029_91:
	s_or_b64 exec, exec, s[2:3]
	v_cmp_lt_u32_e32 vcc, v20, v24
	s_and_saveexec_b64 s[2:3], vcc
	s_cbranch_execnz .LBB3029_109
.LBB3029_92:
	s_or_b64 exec, exec, s[2:3]
	v_cmp_lt_u32_e32 vcc, v19, v24
	s_and_saveexec_b64 s[2:3], vcc
	s_cbranch_execz .LBB3029_94
.LBB3029_93:
	v_lshlrev_b32_e32 v0, 2, v19
	v_readfirstlane_b32 s4, v4
	v_readfirstlane_b32 s5, v5
	s_waitcnt lgkmcnt(1)
	s_nop 3
	global_store_dword v0, v3, s[4:5]
.LBB3029_94:
	s_or_b64 exec, exec, s[2:3]
	v_cmp_lt_u32_e64 s[2:3], v18, v24
.LBB3029_95:
	s_and_saveexec_b64 s[4:5], s[2:3]
	s_cbranch_execnz .LBB3029_98
; %bb.96:
	s_or_b64 exec, exec, s[4:5]
	s_and_b64 s[0:1], s[0:1], s[18:19]
	s_and_saveexec_b64 s[2:3], s[0:1]
	s_cbranch_execnz .LBB3029_99
.LBB3029_97:
	s_endpgm
.LBB3029_98:
	v_lshlrev_b32_e32 v0, 2, v18
	v_readfirstlane_b32 s2, v4
	v_readfirstlane_b32 s3, v5
	s_waitcnt lgkmcnt(0)
	s_nop 3
	global_store_dword v0, v9, s[2:3]
	s_or_b64 exec, exec, s[4:5]
	s_and_b64 s[0:1], s[0:1], s[18:19]
	s_and_saveexec_b64 s[2:3], s[0:1]
	s_cbranch_execz .LBB3029_97
.LBB3029_99:
	v_add_co_u32_e32 v0, vcc, v10, v8
	v_addc_co_u32_e32 v1, vcc, 0, v11, vcc
	v_add_co_u32_e32 v0, vcc, v0, v12
	s_waitcnt lgkmcnt(1)
	v_mov_b32_e32 v2, 0
	v_addc_co_u32_e32 v1, vcc, 0, v1, vcc
	global_store_dwordx2 v2, v[0:1], s[20:21]
	s_endpgm
.LBB3029_100:
	v_readfirstlane_b32 s4, v4
	v_readfirstlane_b32 s5, v5
	s_waitcnt lgkmcnt(3)
	s_nop 3
	global_store_dword v1, v14, s[4:5]
	s_or_b64 exec, exec, s[2:3]
	v_cmp_lt_u32_e32 vcc, v23, v8
	s_and_saveexec_b64 s[2:3], vcc
	s_cbranch_execz .LBB3029_80
.LBB3029_101:
	v_readfirstlane_b32 s4, v4
	v_readfirstlane_b32 s5, v5
	s_waitcnt lgkmcnt(3)
	s_nop 3
	global_store_dword v1, v15, s[4:5] offset:1024
	s_or_b64 exec, exec, s[2:3]
	v_cmp_lt_u32_e32 vcc, v22, v8
	s_and_saveexec_b64 s[2:3], vcc
	s_cbranch_execz .LBB3029_81
.LBB3029_102:
	v_readfirstlane_b32 s4, v4
	v_readfirstlane_b32 s5, v5
	s_waitcnt lgkmcnt(2)
	s_nop 3
	global_store_dword v1, v6, s[4:5] offset:2048
	s_or_b64 exec, exec, s[2:3]
	v_cmp_lt_u32_e32 vcc, v21, v8
	s_and_saveexec_b64 s[2:3], vcc
	s_cbranch_execz .LBB3029_82
.LBB3029_103:
	v_readfirstlane_b32 s4, v4
	v_readfirstlane_b32 s5, v5
	s_waitcnt lgkmcnt(2)
	s_nop 3
	global_store_dword v1, v7, s[4:5] offset:3072
	s_or_b64 exec, exec, s[2:3]
	v_cmp_lt_u32_e32 vcc, v20, v8
	s_and_saveexec_b64 s[2:3], vcc
	s_cbranch_execz .LBB3029_83
.LBB3029_104:
	v_lshlrev_b32_e32 v13, 2, v20
	v_readfirstlane_b32 s4, v4
	v_readfirstlane_b32 s5, v5
	s_waitcnt lgkmcnt(1)
	s_nop 3
	global_store_dword v13, v2, s[4:5]
	s_or_b64 exec, exec, s[2:3]
	v_cmp_lt_u32_e32 vcc, v19, v8
	s_and_saveexec_b64 s[2:3], vcc
	s_cbranch_execnz .LBB3029_84
	s_branch .LBB3029_85
.LBB3029_105:
	v_readfirstlane_b32 s4, v4
	v_readfirstlane_b32 s5, v5
	s_waitcnt lgkmcnt(3)
	s_nop 3
	global_store_dword v1, v14, s[4:5]
	s_or_b64 exec, exec, s[2:3]
	v_cmp_lt_u32_e32 vcc, v23, v24
	s_and_saveexec_b64 s[2:3], vcc
	s_cbranch_execz .LBB3029_89
.LBB3029_106:
	v_readfirstlane_b32 s4, v4
	v_readfirstlane_b32 s5, v5
	s_waitcnt lgkmcnt(3)
	s_nop 3
	global_store_dword v1, v15, s[4:5] offset:1024
	s_or_b64 exec, exec, s[2:3]
	v_cmp_lt_u32_e32 vcc, v22, v24
	s_and_saveexec_b64 s[2:3], vcc
	s_cbranch_execz .LBB3029_90
.LBB3029_107:
	v_readfirstlane_b32 s4, v4
	v_readfirstlane_b32 s5, v5
	s_waitcnt lgkmcnt(2)
	s_nop 3
	global_store_dword v1, v6, s[4:5] offset:2048
	s_or_b64 exec, exec, s[2:3]
	v_cmp_lt_u32_e32 vcc, v21, v24
	s_and_saveexec_b64 s[2:3], vcc
	s_cbranch_execz .LBB3029_91
.LBB3029_108:
	v_readfirstlane_b32 s4, v4
	v_readfirstlane_b32 s5, v5
	s_waitcnt lgkmcnt(2)
	s_nop 3
	global_store_dword v1, v7, s[4:5] offset:3072
	s_or_b64 exec, exec, s[2:3]
	v_cmp_lt_u32_e32 vcc, v20, v24
	s_and_saveexec_b64 s[2:3], vcc
	s_cbranch_execz .LBB3029_92
.LBB3029_109:
	v_lshlrev_b32_e32 v0, 2, v20
	v_readfirstlane_b32 s4, v4
	v_readfirstlane_b32 s5, v5
	s_waitcnt lgkmcnt(1)
	s_nop 3
	global_store_dword v0, v2, s[4:5]
	s_or_b64 exec, exec, s[2:3]
	v_cmp_lt_u32_e32 vcc, v19, v24
	s_and_saveexec_b64 s[2:3], vcc
	s_cbranch_execnz .LBB3029_93
	s_branch .LBB3029_94
	.section	.rodata,"a",@progbits
	.p2align	6, 0x0
	.amdhsa_kernel _ZN7rocprim17ROCPRIM_400000_NS6detail17trampoline_kernelINS0_14default_configENS1_25partition_config_selectorILNS1_17partition_subalgoE1EjNS0_10empty_typeEbEEZZNS1_14partition_implILS5_1ELb0ES3_jN6thrust23THRUST_200600_302600_NS6detail15normal_iteratorINSA_10device_ptrIjEEEEPS6_NSA_18transform_iteratorI7is_evenIjESF_NSA_11use_defaultESK_EENS0_5tupleIJSF_NSA_16discard_iteratorISK_EEEEENSM_IJSG_SG_EEES6_PlJS6_EEE10hipError_tPvRmT3_T4_T5_T6_T7_T9_mT8_P12ihipStream_tbDpT10_ENKUlT_T0_E_clISt17integral_constantIbLb0EES1A_IbLb1EEEEDaS16_S17_EUlS16_E_NS1_11comp_targetILNS1_3genE4ELNS1_11target_archE910ELNS1_3gpuE8ELNS1_3repE0EEENS1_30default_config_static_selectorELNS0_4arch9wavefront6targetE1EEEvT1_
		.amdhsa_group_segment_fixed_size 7176
		.amdhsa_private_segment_fixed_size 0
		.amdhsa_kernarg_size 152
		.amdhsa_user_sgpr_count 6
		.amdhsa_user_sgpr_private_segment_buffer 1
		.amdhsa_user_sgpr_dispatch_ptr 0
		.amdhsa_user_sgpr_queue_ptr 0
		.amdhsa_user_sgpr_kernarg_segment_ptr 1
		.amdhsa_user_sgpr_dispatch_id 0
		.amdhsa_user_sgpr_flat_scratch_init 0
		.amdhsa_user_sgpr_kernarg_preload_length 0
		.amdhsa_user_sgpr_kernarg_preload_offset 0
		.amdhsa_user_sgpr_private_segment_size 0
		.amdhsa_uses_dynamic_stack 0
		.amdhsa_system_sgpr_private_segment_wavefront_offset 0
		.amdhsa_system_sgpr_workgroup_id_x 1
		.amdhsa_system_sgpr_workgroup_id_y 0
		.amdhsa_system_sgpr_workgroup_id_z 0
		.amdhsa_system_sgpr_workgroup_info 0
		.amdhsa_system_vgpr_workitem_id 0
		.amdhsa_next_free_vgpr 49
		.amdhsa_next_free_sgpr 40
		.amdhsa_accum_offset 52
		.amdhsa_reserve_vcc 1
		.amdhsa_reserve_flat_scratch 0
		.amdhsa_float_round_mode_32 0
		.amdhsa_float_round_mode_16_64 0
		.amdhsa_float_denorm_mode_32 3
		.amdhsa_float_denorm_mode_16_64 3
		.amdhsa_dx10_clamp 1
		.amdhsa_ieee_mode 1
		.amdhsa_fp16_overflow 0
		.amdhsa_tg_split 0
		.amdhsa_exception_fp_ieee_invalid_op 0
		.amdhsa_exception_fp_denorm_src 0
		.amdhsa_exception_fp_ieee_div_zero 0
		.amdhsa_exception_fp_ieee_overflow 0
		.amdhsa_exception_fp_ieee_underflow 0
		.amdhsa_exception_fp_ieee_inexact 0
		.amdhsa_exception_int_div_zero 0
	.end_amdhsa_kernel
	.section	.text._ZN7rocprim17ROCPRIM_400000_NS6detail17trampoline_kernelINS0_14default_configENS1_25partition_config_selectorILNS1_17partition_subalgoE1EjNS0_10empty_typeEbEEZZNS1_14partition_implILS5_1ELb0ES3_jN6thrust23THRUST_200600_302600_NS6detail15normal_iteratorINSA_10device_ptrIjEEEEPS6_NSA_18transform_iteratorI7is_evenIjESF_NSA_11use_defaultESK_EENS0_5tupleIJSF_NSA_16discard_iteratorISK_EEEEENSM_IJSG_SG_EEES6_PlJS6_EEE10hipError_tPvRmT3_T4_T5_T6_T7_T9_mT8_P12ihipStream_tbDpT10_ENKUlT_T0_E_clISt17integral_constantIbLb0EES1A_IbLb1EEEEDaS16_S17_EUlS16_E_NS1_11comp_targetILNS1_3genE4ELNS1_11target_archE910ELNS1_3gpuE8ELNS1_3repE0EEENS1_30default_config_static_selectorELNS0_4arch9wavefront6targetE1EEEvT1_,"axG",@progbits,_ZN7rocprim17ROCPRIM_400000_NS6detail17trampoline_kernelINS0_14default_configENS1_25partition_config_selectorILNS1_17partition_subalgoE1EjNS0_10empty_typeEbEEZZNS1_14partition_implILS5_1ELb0ES3_jN6thrust23THRUST_200600_302600_NS6detail15normal_iteratorINSA_10device_ptrIjEEEEPS6_NSA_18transform_iteratorI7is_evenIjESF_NSA_11use_defaultESK_EENS0_5tupleIJSF_NSA_16discard_iteratorISK_EEEEENSM_IJSG_SG_EEES6_PlJS6_EEE10hipError_tPvRmT3_T4_T5_T6_T7_T9_mT8_P12ihipStream_tbDpT10_ENKUlT_T0_E_clISt17integral_constantIbLb0EES1A_IbLb1EEEEDaS16_S17_EUlS16_E_NS1_11comp_targetILNS1_3genE4ELNS1_11target_archE910ELNS1_3gpuE8ELNS1_3repE0EEENS1_30default_config_static_selectorELNS0_4arch9wavefront6targetE1EEEvT1_,comdat
.Lfunc_end3029:
	.size	_ZN7rocprim17ROCPRIM_400000_NS6detail17trampoline_kernelINS0_14default_configENS1_25partition_config_selectorILNS1_17partition_subalgoE1EjNS0_10empty_typeEbEEZZNS1_14partition_implILS5_1ELb0ES3_jN6thrust23THRUST_200600_302600_NS6detail15normal_iteratorINSA_10device_ptrIjEEEEPS6_NSA_18transform_iteratorI7is_evenIjESF_NSA_11use_defaultESK_EENS0_5tupleIJSF_NSA_16discard_iteratorISK_EEEEENSM_IJSG_SG_EEES6_PlJS6_EEE10hipError_tPvRmT3_T4_T5_T6_T7_T9_mT8_P12ihipStream_tbDpT10_ENKUlT_T0_E_clISt17integral_constantIbLb0EES1A_IbLb1EEEEDaS16_S17_EUlS16_E_NS1_11comp_targetILNS1_3genE4ELNS1_11target_archE910ELNS1_3gpuE8ELNS1_3repE0EEENS1_30default_config_static_selectorELNS0_4arch9wavefront6targetE1EEEvT1_, .Lfunc_end3029-_ZN7rocprim17ROCPRIM_400000_NS6detail17trampoline_kernelINS0_14default_configENS1_25partition_config_selectorILNS1_17partition_subalgoE1EjNS0_10empty_typeEbEEZZNS1_14partition_implILS5_1ELb0ES3_jN6thrust23THRUST_200600_302600_NS6detail15normal_iteratorINSA_10device_ptrIjEEEEPS6_NSA_18transform_iteratorI7is_evenIjESF_NSA_11use_defaultESK_EENS0_5tupleIJSF_NSA_16discard_iteratorISK_EEEEENSM_IJSG_SG_EEES6_PlJS6_EEE10hipError_tPvRmT3_T4_T5_T6_T7_T9_mT8_P12ihipStream_tbDpT10_ENKUlT_T0_E_clISt17integral_constantIbLb0EES1A_IbLb1EEEEDaS16_S17_EUlS16_E_NS1_11comp_targetILNS1_3genE4ELNS1_11target_archE910ELNS1_3gpuE8ELNS1_3repE0EEENS1_30default_config_static_selectorELNS0_4arch9wavefront6targetE1EEEvT1_
                                        ; -- End function
	.section	.AMDGPU.csdata,"",@progbits
; Kernel info:
; codeLenInByte = 4836
; NumSgprs: 44
; NumVgprs: 49
; NumAgprs: 0
; TotalNumVgprs: 49
; ScratchSize: 0
; MemoryBound: 0
; FloatMode: 240
; IeeeMode: 1
; LDSByteSize: 7176 bytes/workgroup (compile time only)
; SGPRBlocks: 5
; VGPRBlocks: 6
; NumSGPRsForWavesPerEU: 44
; NumVGPRsForWavesPerEU: 49
; AccumOffset: 52
; Occupancy: 8
; WaveLimiterHint : 1
; COMPUTE_PGM_RSRC2:SCRATCH_EN: 0
; COMPUTE_PGM_RSRC2:USER_SGPR: 6
; COMPUTE_PGM_RSRC2:TRAP_HANDLER: 0
; COMPUTE_PGM_RSRC2:TGID_X_EN: 1
; COMPUTE_PGM_RSRC2:TGID_Y_EN: 0
; COMPUTE_PGM_RSRC2:TGID_Z_EN: 0
; COMPUTE_PGM_RSRC2:TIDIG_COMP_CNT: 0
; COMPUTE_PGM_RSRC3_GFX90A:ACCUM_OFFSET: 12
; COMPUTE_PGM_RSRC3_GFX90A:TG_SPLIT: 0
	.section	.text._ZN7rocprim17ROCPRIM_400000_NS6detail17trampoline_kernelINS0_14default_configENS1_25partition_config_selectorILNS1_17partition_subalgoE1EjNS0_10empty_typeEbEEZZNS1_14partition_implILS5_1ELb0ES3_jN6thrust23THRUST_200600_302600_NS6detail15normal_iteratorINSA_10device_ptrIjEEEEPS6_NSA_18transform_iteratorI7is_evenIjESF_NSA_11use_defaultESK_EENS0_5tupleIJSF_NSA_16discard_iteratorISK_EEEEENSM_IJSG_SG_EEES6_PlJS6_EEE10hipError_tPvRmT3_T4_T5_T6_T7_T9_mT8_P12ihipStream_tbDpT10_ENKUlT_T0_E_clISt17integral_constantIbLb0EES1A_IbLb1EEEEDaS16_S17_EUlS16_E_NS1_11comp_targetILNS1_3genE3ELNS1_11target_archE908ELNS1_3gpuE7ELNS1_3repE0EEENS1_30default_config_static_selectorELNS0_4arch9wavefront6targetE1EEEvT1_,"axG",@progbits,_ZN7rocprim17ROCPRIM_400000_NS6detail17trampoline_kernelINS0_14default_configENS1_25partition_config_selectorILNS1_17partition_subalgoE1EjNS0_10empty_typeEbEEZZNS1_14partition_implILS5_1ELb0ES3_jN6thrust23THRUST_200600_302600_NS6detail15normal_iteratorINSA_10device_ptrIjEEEEPS6_NSA_18transform_iteratorI7is_evenIjESF_NSA_11use_defaultESK_EENS0_5tupleIJSF_NSA_16discard_iteratorISK_EEEEENSM_IJSG_SG_EEES6_PlJS6_EEE10hipError_tPvRmT3_T4_T5_T6_T7_T9_mT8_P12ihipStream_tbDpT10_ENKUlT_T0_E_clISt17integral_constantIbLb0EES1A_IbLb1EEEEDaS16_S17_EUlS16_E_NS1_11comp_targetILNS1_3genE3ELNS1_11target_archE908ELNS1_3gpuE7ELNS1_3repE0EEENS1_30default_config_static_selectorELNS0_4arch9wavefront6targetE1EEEvT1_,comdat
	.protected	_ZN7rocprim17ROCPRIM_400000_NS6detail17trampoline_kernelINS0_14default_configENS1_25partition_config_selectorILNS1_17partition_subalgoE1EjNS0_10empty_typeEbEEZZNS1_14partition_implILS5_1ELb0ES3_jN6thrust23THRUST_200600_302600_NS6detail15normal_iteratorINSA_10device_ptrIjEEEEPS6_NSA_18transform_iteratorI7is_evenIjESF_NSA_11use_defaultESK_EENS0_5tupleIJSF_NSA_16discard_iteratorISK_EEEEENSM_IJSG_SG_EEES6_PlJS6_EEE10hipError_tPvRmT3_T4_T5_T6_T7_T9_mT8_P12ihipStream_tbDpT10_ENKUlT_T0_E_clISt17integral_constantIbLb0EES1A_IbLb1EEEEDaS16_S17_EUlS16_E_NS1_11comp_targetILNS1_3genE3ELNS1_11target_archE908ELNS1_3gpuE7ELNS1_3repE0EEENS1_30default_config_static_selectorELNS0_4arch9wavefront6targetE1EEEvT1_ ; -- Begin function _ZN7rocprim17ROCPRIM_400000_NS6detail17trampoline_kernelINS0_14default_configENS1_25partition_config_selectorILNS1_17partition_subalgoE1EjNS0_10empty_typeEbEEZZNS1_14partition_implILS5_1ELb0ES3_jN6thrust23THRUST_200600_302600_NS6detail15normal_iteratorINSA_10device_ptrIjEEEEPS6_NSA_18transform_iteratorI7is_evenIjESF_NSA_11use_defaultESK_EENS0_5tupleIJSF_NSA_16discard_iteratorISK_EEEEENSM_IJSG_SG_EEES6_PlJS6_EEE10hipError_tPvRmT3_T4_T5_T6_T7_T9_mT8_P12ihipStream_tbDpT10_ENKUlT_T0_E_clISt17integral_constantIbLb0EES1A_IbLb1EEEEDaS16_S17_EUlS16_E_NS1_11comp_targetILNS1_3genE3ELNS1_11target_archE908ELNS1_3gpuE7ELNS1_3repE0EEENS1_30default_config_static_selectorELNS0_4arch9wavefront6targetE1EEEvT1_
	.globl	_ZN7rocprim17ROCPRIM_400000_NS6detail17trampoline_kernelINS0_14default_configENS1_25partition_config_selectorILNS1_17partition_subalgoE1EjNS0_10empty_typeEbEEZZNS1_14partition_implILS5_1ELb0ES3_jN6thrust23THRUST_200600_302600_NS6detail15normal_iteratorINSA_10device_ptrIjEEEEPS6_NSA_18transform_iteratorI7is_evenIjESF_NSA_11use_defaultESK_EENS0_5tupleIJSF_NSA_16discard_iteratorISK_EEEEENSM_IJSG_SG_EEES6_PlJS6_EEE10hipError_tPvRmT3_T4_T5_T6_T7_T9_mT8_P12ihipStream_tbDpT10_ENKUlT_T0_E_clISt17integral_constantIbLb0EES1A_IbLb1EEEEDaS16_S17_EUlS16_E_NS1_11comp_targetILNS1_3genE3ELNS1_11target_archE908ELNS1_3gpuE7ELNS1_3repE0EEENS1_30default_config_static_selectorELNS0_4arch9wavefront6targetE1EEEvT1_
	.p2align	8
	.type	_ZN7rocprim17ROCPRIM_400000_NS6detail17trampoline_kernelINS0_14default_configENS1_25partition_config_selectorILNS1_17partition_subalgoE1EjNS0_10empty_typeEbEEZZNS1_14partition_implILS5_1ELb0ES3_jN6thrust23THRUST_200600_302600_NS6detail15normal_iteratorINSA_10device_ptrIjEEEEPS6_NSA_18transform_iteratorI7is_evenIjESF_NSA_11use_defaultESK_EENS0_5tupleIJSF_NSA_16discard_iteratorISK_EEEEENSM_IJSG_SG_EEES6_PlJS6_EEE10hipError_tPvRmT3_T4_T5_T6_T7_T9_mT8_P12ihipStream_tbDpT10_ENKUlT_T0_E_clISt17integral_constantIbLb0EES1A_IbLb1EEEEDaS16_S17_EUlS16_E_NS1_11comp_targetILNS1_3genE3ELNS1_11target_archE908ELNS1_3gpuE7ELNS1_3repE0EEENS1_30default_config_static_selectorELNS0_4arch9wavefront6targetE1EEEvT1_,@function
_ZN7rocprim17ROCPRIM_400000_NS6detail17trampoline_kernelINS0_14default_configENS1_25partition_config_selectorILNS1_17partition_subalgoE1EjNS0_10empty_typeEbEEZZNS1_14partition_implILS5_1ELb0ES3_jN6thrust23THRUST_200600_302600_NS6detail15normal_iteratorINSA_10device_ptrIjEEEEPS6_NSA_18transform_iteratorI7is_evenIjESF_NSA_11use_defaultESK_EENS0_5tupleIJSF_NSA_16discard_iteratorISK_EEEEENSM_IJSG_SG_EEES6_PlJS6_EEE10hipError_tPvRmT3_T4_T5_T6_T7_T9_mT8_P12ihipStream_tbDpT10_ENKUlT_T0_E_clISt17integral_constantIbLb0EES1A_IbLb1EEEEDaS16_S17_EUlS16_E_NS1_11comp_targetILNS1_3genE3ELNS1_11target_archE908ELNS1_3gpuE7ELNS1_3repE0EEENS1_30default_config_static_selectorELNS0_4arch9wavefront6targetE1EEEvT1_: ; @_ZN7rocprim17ROCPRIM_400000_NS6detail17trampoline_kernelINS0_14default_configENS1_25partition_config_selectorILNS1_17partition_subalgoE1EjNS0_10empty_typeEbEEZZNS1_14partition_implILS5_1ELb0ES3_jN6thrust23THRUST_200600_302600_NS6detail15normal_iteratorINSA_10device_ptrIjEEEEPS6_NSA_18transform_iteratorI7is_evenIjESF_NSA_11use_defaultESK_EENS0_5tupleIJSF_NSA_16discard_iteratorISK_EEEEENSM_IJSG_SG_EEES6_PlJS6_EEE10hipError_tPvRmT3_T4_T5_T6_T7_T9_mT8_P12ihipStream_tbDpT10_ENKUlT_T0_E_clISt17integral_constantIbLb0EES1A_IbLb1EEEEDaS16_S17_EUlS16_E_NS1_11comp_targetILNS1_3genE3ELNS1_11target_archE908ELNS1_3gpuE7ELNS1_3repE0EEENS1_30default_config_static_selectorELNS0_4arch9wavefront6targetE1EEEvT1_
; %bb.0:
	.section	.rodata,"a",@progbits
	.p2align	6, 0x0
	.amdhsa_kernel _ZN7rocprim17ROCPRIM_400000_NS6detail17trampoline_kernelINS0_14default_configENS1_25partition_config_selectorILNS1_17partition_subalgoE1EjNS0_10empty_typeEbEEZZNS1_14partition_implILS5_1ELb0ES3_jN6thrust23THRUST_200600_302600_NS6detail15normal_iteratorINSA_10device_ptrIjEEEEPS6_NSA_18transform_iteratorI7is_evenIjESF_NSA_11use_defaultESK_EENS0_5tupleIJSF_NSA_16discard_iteratorISK_EEEEENSM_IJSG_SG_EEES6_PlJS6_EEE10hipError_tPvRmT3_T4_T5_T6_T7_T9_mT8_P12ihipStream_tbDpT10_ENKUlT_T0_E_clISt17integral_constantIbLb0EES1A_IbLb1EEEEDaS16_S17_EUlS16_E_NS1_11comp_targetILNS1_3genE3ELNS1_11target_archE908ELNS1_3gpuE7ELNS1_3repE0EEENS1_30default_config_static_selectorELNS0_4arch9wavefront6targetE1EEEvT1_
		.amdhsa_group_segment_fixed_size 0
		.amdhsa_private_segment_fixed_size 0
		.amdhsa_kernarg_size 152
		.amdhsa_user_sgpr_count 6
		.amdhsa_user_sgpr_private_segment_buffer 1
		.amdhsa_user_sgpr_dispatch_ptr 0
		.amdhsa_user_sgpr_queue_ptr 0
		.amdhsa_user_sgpr_kernarg_segment_ptr 1
		.amdhsa_user_sgpr_dispatch_id 0
		.amdhsa_user_sgpr_flat_scratch_init 0
		.amdhsa_user_sgpr_kernarg_preload_length 0
		.amdhsa_user_sgpr_kernarg_preload_offset 0
		.amdhsa_user_sgpr_private_segment_size 0
		.amdhsa_uses_dynamic_stack 0
		.amdhsa_system_sgpr_private_segment_wavefront_offset 0
		.amdhsa_system_sgpr_workgroup_id_x 1
		.amdhsa_system_sgpr_workgroup_id_y 0
		.amdhsa_system_sgpr_workgroup_id_z 0
		.amdhsa_system_sgpr_workgroup_info 0
		.amdhsa_system_vgpr_workitem_id 0
		.amdhsa_next_free_vgpr 1
		.amdhsa_next_free_sgpr 0
		.amdhsa_accum_offset 4
		.amdhsa_reserve_vcc 0
		.amdhsa_reserve_flat_scratch 0
		.amdhsa_float_round_mode_32 0
		.amdhsa_float_round_mode_16_64 0
		.amdhsa_float_denorm_mode_32 3
		.amdhsa_float_denorm_mode_16_64 3
		.amdhsa_dx10_clamp 1
		.amdhsa_ieee_mode 1
		.amdhsa_fp16_overflow 0
		.amdhsa_tg_split 0
		.amdhsa_exception_fp_ieee_invalid_op 0
		.amdhsa_exception_fp_denorm_src 0
		.amdhsa_exception_fp_ieee_div_zero 0
		.amdhsa_exception_fp_ieee_overflow 0
		.amdhsa_exception_fp_ieee_underflow 0
		.amdhsa_exception_fp_ieee_inexact 0
		.amdhsa_exception_int_div_zero 0
	.end_amdhsa_kernel
	.section	.text._ZN7rocprim17ROCPRIM_400000_NS6detail17trampoline_kernelINS0_14default_configENS1_25partition_config_selectorILNS1_17partition_subalgoE1EjNS0_10empty_typeEbEEZZNS1_14partition_implILS5_1ELb0ES3_jN6thrust23THRUST_200600_302600_NS6detail15normal_iteratorINSA_10device_ptrIjEEEEPS6_NSA_18transform_iteratorI7is_evenIjESF_NSA_11use_defaultESK_EENS0_5tupleIJSF_NSA_16discard_iteratorISK_EEEEENSM_IJSG_SG_EEES6_PlJS6_EEE10hipError_tPvRmT3_T4_T5_T6_T7_T9_mT8_P12ihipStream_tbDpT10_ENKUlT_T0_E_clISt17integral_constantIbLb0EES1A_IbLb1EEEEDaS16_S17_EUlS16_E_NS1_11comp_targetILNS1_3genE3ELNS1_11target_archE908ELNS1_3gpuE7ELNS1_3repE0EEENS1_30default_config_static_selectorELNS0_4arch9wavefront6targetE1EEEvT1_,"axG",@progbits,_ZN7rocprim17ROCPRIM_400000_NS6detail17trampoline_kernelINS0_14default_configENS1_25partition_config_selectorILNS1_17partition_subalgoE1EjNS0_10empty_typeEbEEZZNS1_14partition_implILS5_1ELb0ES3_jN6thrust23THRUST_200600_302600_NS6detail15normal_iteratorINSA_10device_ptrIjEEEEPS6_NSA_18transform_iteratorI7is_evenIjESF_NSA_11use_defaultESK_EENS0_5tupleIJSF_NSA_16discard_iteratorISK_EEEEENSM_IJSG_SG_EEES6_PlJS6_EEE10hipError_tPvRmT3_T4_T5_T6_T7_T9_mT8_P12ihipStream_tbDpT10_ENKUlT_T0_E_clISt17integral_constantIbLb0EES1A_IbLb1EEEEDaS16_S17_EUlS16_E_NS1_11comp_targetILNS1_3genE3ELNS1_11target_archE908ELNS1_3gpuE7ELNS1_3repE0EEENS1_30default_config_static_selectorELNS0_4arch9wavefront6targetE1EEEvT1_,comdat
.Lfunc_end3030:
	.size	_ZN7rocprim17ROCPRIM_400000_NS6detail17trampoline_kernelINS0_14default_configENS1_25partition_config_selectorILNS1_17partition_subalgoE1EjNS0_10empty_typeEbEEZZNS1_14partition_implILS5_1ELb0ES3_jN6thrust23THRUST_200600_302600_NS6detail15normal_iteratorINSA_10device_ptrIjEEEEPS6_NSA_18transform_iteratorI7is_evenIjESF_NSA_11use_defaultESK_EENS0_5tupleIJSF_NSA_16discard_iteratorISK_EEEEENSM_IJSG_SG_EEES6_PlJS6_EEE10hipError_tPvRmT3_T4_T5_T6_T7_T9_mT8_P12ihipStream_tbDpT10_ENKUlT_T0_E_clISt17integral_constantIbLb0EES1A_IbLb1EEEEDaS16_S17_EUlS16_E_NS1_11comp_targetILNS1_3genE3ELNS1_11target_archE908ELNS1_3gpuE7ELNS1_3repE0EEENS1_30default_config_static_selectorELNS0_4arch9wavefront6targetE1EEEvT1_, .Lfunc_end3030-_ZN7rocprim17ROCPRIM_400000_NS6detail17trampoline_kernelINS0_14default_configENS1_25partition_config_selectorILNS1_17partition_subalgoE1EjNS0_10empty_typeEbEEZZNS1_14partition_implILS5_1ELb0ES3_jN6thrust23THRUST_200600_302600_NS6detail15normal_iteratorINSA_10device_ptrIjEEEEPS6_NSA_18transform_iteratorI7is_evenIjESF_NSA_11use_defaultESK_EENS0_5tupleIJSF_NSA_16discard_iteratorISK_EEEEENSM_IJSG_SG_EEES6_PlJS6_EEE10hipError_tPvRmT3_T4_T5_T6_T7_T9_mT8_P12ihipStream_tbDpT10_ENKUlT_T0_E_clISt17integral_constantIbLb0EES1A_IbLb1EEEEDaS16_S17_EUlS16_E_NS1_11comp_targetILNS1_3genE3ELNS1_11target_archE908ELNS1_3gpuE7ELNS1_3repE0EEENS1_30default_config_static_selectorELNS0_4arch9wavefront6targetE1EEEvT1_
                                        ; -- End function
	.section	.AMDGPU.csdata,"",@progbits
; Kernel info:
; codeLenInByte = 0
; NumSgprs: 4
; NumVgprs: 0
; NumAgprs: 0
; TotalNumVgprs: 0
; ScratchSize: 0
; MemoryBound: 0
; FloatMode: 240
; IeeeMode: 1
; LDSByteSize: 0 bytes/workgroup (compile time only)
; SGPRBlocks: 0
; VGPRBlocks: 0
; NumSGPRsForWavesPerEU: 4
; NumVGPRsForWavesPerEU: 1
; AccumOffset: 4
; Occupancy: 8
; WaveLimiterHint : 0
; COMPUTE_PGM_RSRC2:SCRATCH_EN: 0
; COMPUTE_PGM_RSRC2:USER_SGPR: 6
; COMPUTE_PGM_RSRC2:TRAP_HANDLER: 0
; COMPUTE_PGM_RSRC2:TGID_X_EN: 1
; COMPUTE_PGM_RSRC2:TGID_Y_EN: 0
; COMPUTE_PGM_RSRC2:TGID_Z_EN: 0
; COMPUTE_PGM_RSRC2:TIDIG_COMP_CNT: 0
; COMPUTE_PGM_RSRC3_GFX90A:ACCUM_OFFSET: 0
; COMPUTE_PGM_RSRC3_GFX90A:TG_SPLIT: 0
	.section	.text._ZN7rocprim17ROCPRIM_400000_NS6detail17trampoline_kernelINS0_14default_configENS1_25partition_config_selectorILNS1_17partition_subalgoE1EjNS0_10empty_typeEbEEZZNS1_14partition_implILS5_1ELb0ES3_jN6thrust23THRUST_200600_302600_NS6detail15normal_iteratorINSA_10device_ptrIjEEEEPS6_NSA_18transform_iteratorI7is_evenIjESF_NSA_11use_defaultESK_EENS0_5tupleIJSF_NSA_16discard_iteratorISK_EEEEENSM_IJSG_SG_EEES6_PlJS6_EEE10hipError_tPvRmT3_T4_T5_T6_T7_T9_mT8_P12ihipStream_tbDpT10_ENKUlT_T0_E_clISt17integral_constantIbLb0EES1A_IbLb1EEEEDaS16_S17_EUlS16_E_NS1_11comp_targetILNS1_3genE2ELNS1_11target_archE906ELNS1_3gpuE6ELNS1_3repE0EEENS1_30default_config_static_selectorELNS0_4arch9wavefront6targetE1EEEvT1_,"axG",@progbits,_ZN7rocprim17ROCPRIM_400000_NS6detail17trampoline_kernelINS0_14default_configENS1_25partition_config_selectorILNS1_17partition_subalgoE1EjNS0_10empty_typeEbEEZZNS1_14partition_implILS5_1ELb0ES3_jN6thrust23THRUST_200600_302600_NS6detail15normal_iteratorINSA_10device_ptrIjEEEEPS6_NSA_18transform_iteratorI7is_evenIjESF_NSA_11use_defaultESK_EENS0_5tupleIJSF_NSA_16discard_iteratorISK_EEEEENSM_IJSG_SG_EEES6_PlJS6_EEE10hipError_tPvRmT3_T4_T5_T6_T7_T9_mT8_P12ihipStream_tbDpT10_ENKUlT_T0_E_clISt17integral_constantIbLb0EES1A_IbLb1EEEEDaS16_S17_EUlS16_E_NS1_11comp_targetILNS1_3genE2ELNS1_11target_archE906ELNS1_3gpuE6ELNS1_3repE0EEENS1_30default_config_static_selectorELNS0_4arch9wavefront6targetE1EEEvT1_,comdat
	.protected	_ZN7rocprim17ROCPRIM_400000_NS6detail17trampoline_kernelINS0_14default_configENS1_25partition_config_selectorILNS1_17partition_subalgoE1EjNS0_10empty_typeEbEEZZNS1_14partition_implILS5_1ELb0ES3_jN6thrust23THRUST_200600_302600_NS6detail15normal_iteratorINSA_10device_ptrIjEEEEPS6_NSA_18transform_iteratorI7is_evenIjESF_NSA_11use_defaultESK_EENS0_5tupleIJSF_NSA_16discard_iteratorISK_EEEEENSM_IJSG_SG_EEES6_PlJS6_EEE10hipError_tPvRmT3_T4_T5_T6_T7_T9_mT8_P12ihipStream_tbDpT10_ENKUlT_T0_E_clISt17integral_constantIbLb0EES1A_IbLb1EEEEDaS16_S17_EUlS16_E_NS1_11comp_targetILNS1_3genE2ELNS1_11target_archE906ELNS1_3gpuE6ELNS1_3repE0EEENS1_30default_config_static_selectorELNS0_4arch9wavefront6targetE1EEEvT1_ ; -- Begin function _ZN7rocprim17ROCPRIM_400000_NS6detail17trampoline_kernelINS0_14default_configENS1_25partition_config_selectorILNS1_17partition_subalgoE1EjNS0_10empty_typeEbEEZZNS1_14partition_implILS5_1ELb0ES3_jN6thrust23THRUST_200600_302600_NS6detail15normal_iteratorINSA_10device_ptrIjEEEEPS6_NSA_18transform_iteratorI7is_evenIjESF_NSA_11use_defaultESK_EENS0_5tupleIJSF_NSA_16discard_iteratorISK_EEEEENSM_IJSG_SG_EEES6_PlJS6_EEE10hipError_tPvRmT3_T4_T5_T6_T7_T9_mT8_P12ihipStream_tbDpT10_ENKUlT_T0_E_clISt17integral_constantIbLb0EES1A_IbLb1EEEEDaS16_S17_EUlS16_E_NS1_11comp_targetILNS1_3genE2ELNS1_11target_archE906ELNS1_3gpuE6ELNS1_3repE0EEENS1_30default_config_static_selectorELNS0_4arch9wavefront6targetE1EEEvT1_
	.globl	_ZN7rocprim17ROCPRIM_400000_NS6detail17trampoline_kernelINS0_14default_configENS1_25partition_config_selectorILNS1_17partition_subalgoE1EjNS0_10empty_typeEbEEZZNS1_14partition_implILS5_1ELb0ES3_jN6thrust23THRUST_200600_302600_NS6detail15normal_iteratorINSA_10device_ptrIjEEEEPS6_NSA_18transform_iteratorI7is_evenIjESF_NSA_11use_defaultESK_EENS0_5tupleIJSF_NSA_16discard_iteratorISK_EEEEENSM_IJSG_SG_EEES6_PlJS6_EEE10hipError_tPvRmT3_T4_T5_T6_T7_T9_mT8_P12ihipStream_tbDpT10_ENKUlT_T0_E_clISt17integral_constantIbLb0EES1A_IbLb1EEEEDaS16_S17_EUlS16_E_NS1_11comp_targetILNS1_3genE2ELNS1_11target_archE906ELNS1_3gpuE6ELNS1_3repE0EEENS1_30default_config_static_selectorELNS0_4arch9wavefront6targetE1EEEvT1_
	.p2align	8
	.type	_ZN7rocprim17ROCPRIM_400000_NS6detail17trampoline_kernelINS0_14default_configENS1_25partition_config_selectorILNS1_17partition_subalgoE1EjNS0_10empty_typeEbEEZZNS1_14partition_implILS5_1ELb0ES3_jN6thrust23THRUST_200600_302600_NS6detail15normal_iteratorINSA_10device_ptrIjEEEEPS6_NSA_18transform_iteratorI7is_evenIjESF_NSA_11use_defaultESK_EENS0_5tupleIJSF_NSA_16discard_iteratorISK_EEEEENSM_IJSG_SG_EEES6_PlJS6_EEE10hipError_tPvRmT3_T4_T5_T6_T7_T9_mT8_P12ihipStream_tbDpT10_ENKUlT_T0_E_clISt17integral_constantIbLb0EES1A_IbLb1EEEEDaS16_S17_EUlS16_E_NS1_11comp_targetILNS1_3genE2ELNS1_11target_archE906ELNS1_3gpuE6ELNS1_3repE0EEENS1_30default_config_static_selectorELNS0_4arch9wavefront6targetE1EEEvT1_,@function
_ZN7rocprim17ROCPRIM_400000_NS6detail17trampoline_kernelINS0_14default_configENS1_25partition_config_selectorILNS1_17partition_subalgoE1EjNS0_10empty_typeEbEEZZNS1_14partition_implILS5_1ELb0ES3_jN6thrust23THRUST_200600_302600_NS6detail15normal_iteratorINSA_10device_ptrIjEEEEPS6_NSA_18transform_iteratorI7is_evenIjESF_NSA_11use_defaultESK_EENS0_5tupleIJSF_NSA_16discard_iteratorISK_EEEEENSM_IJSG_SG_EEES6_PlJS6_EEE10hipError_tPvRmT3_T4_T5_T6_T7_T9_mT8_P12ihipStream_tbDpT10_ENKUlT_T0_E_clISt17integral_constantIbLb0EES1A_IbLb1EEEEDaS16_S17_EUlS16_E_NS1_11comp_targetILNS1_3genE2ELNS1_11target_archE906ELNS1_3gpuE6ELNS1_3repE0EEENS1_30default_config_static_selectorELNS0_4arch9wavefront6targetE1EEEvT1_: ; @_ZN7rocprim17ROCPRIM_400000_NS6detail17trampoline_kernelINS0_14default_configENS1_25partition_config_selectorILNS1_17partition_subalgoE1EjNS0_10empty_typeEbEEZZNS1_14partition_implILS5_1ELb0ES3_jN6thrust23THRUST_200600_302600_NS6detail15normal_iteratorINSA_10device_ptrIjEEEEPS6_NSA_18transform_iteratorI7is_evenIjESF_NSA_11use_defaultESK_EENS0_5tupleIJSF_NSA_16discard_iteratorISK_EEEEENSM_IJSG_SG_EEES6_PlJS6_EEE10hipError_tPvRmT3_T4_T5_T6_T7_T9_mT8_P12ihipStream_tbDpT10_ENKUlT_T0_E_clISt17integral_constantIbLb0EES1A_IbLb1EEEEDaS16_S17_EUlS16_E_NS1_11comp_targetILNS1_3genE2ELNS1_11target_archE906ELNS1_3gpuE6ELNS1_3repE0EEENS1_30default_config_static_selectorELNS0_4arch9wavefront6targetE1EEEvT1_
; %bb.0:
	.section	.rodata,"a",@progbits
	.p2align	6, 0x0
	.amdhsa_kernel _ZN7rocprim17ROCPRIM_400000_NS6detail17trampoline_kernelINS0_14default_configENS1_25partition_config_selectorILNS1_17partition_subalgoE1EjNS0_10empty_typeEbEEZZNS1_14partition_implILS5_1ELb0ES3_jN6thrust23THRUST_200600_302600_NS6detail15normal_iteratorINSA_10device_ptrIjEEEEPS6_NSA_18transform_iteratorI7is_evenIjESF_NSA_11use_defaultESK_EENS0_5tupleIJSF_NSA_16discard_iteratorISK_EEEEENSM_IJSG_SG_EEES6_PlJS6_EEE10hipError_tPvRmT3_T4_T5_T6_T7_T9_mT8_P12ihipStream_tbDpT10_ENKUlT_T0_E_clISt17integral_constantIbLb0EES1A_IbLb1EEEEDaS16_S17_EUlS16_E_NS1_11comp_targetILNS1_3genE2ELNS1_11target_archE906ELNS1_3gpuE6ELNS1_3repE0EEENS1_30default_config_static_selectorELNS0_4arch9wavefront6targetE1EEEvT1_
		.amdhsa_group_segment_fixed_size 0
		.amdhsa_private_segment_fixed_size 0
		.amdhsa_kernarg_size 152
		.amdhsa_user_sgpr_count 6
		.amdhsa_user_sgpr_private_segment_buffer 1
		.amdhsa_user_sgpr_dispatch_ptr 0
		.amdhsa_user_sgpr_queue_ptr 0
		.amdhsa_user_sgpr_kernarg_segment_ptr 1
		.amdhsa_user_sgpr_dispatch_id 0
		.amdhsa_user_sgpr_flat_scratch_init 0
		.amdhsa_user_sgpr_kernarg_preload_length 0
		.amdhsa_user_sgpr_kernarg_preload_offset 0
		.amdhsa_user_sgpr_private_segment_size 0
		.amdhsa_uses_dynamic_stack 0
		.amdhsa_system_sgpr_private_segment_wavefront_offset 0
		.amdhsa_system_sgpr_workgroup_id_x 1
		.amdhsa_system_sgpr_workgroup_id_y 0
		.amdhsa_system_sgpr_workgroup_id_z 0
		.amdhsa_system_sgpr_workgroup_info 0
		.amdhsa_system_vgpr_workitem_id 0
		.amdhsa_next_free_vgpr 1
		.amdhsa_next_free_sgpr 0
		.amdhsa_accum_offset 4
		.amdhsa_reserve_vcc 0
		.amdhsa_reserve_flat_scratch 0
		.amdhsa_float_round_mode_32 0
		.amdhsa_float_round_mode_16_64 0
		.amdhsa_float_denorm_mode_32 3
		.amdhsa_float_denorm_mode_16_64 3
		.amdhsa_dx10_clamp 1
		.amdhsa_ieee_mode 1
		.amdhsa_fp16_overflow 0
		.amdhsa_tg_split 0
		.amdhsa_exception_fp_ieee_invalid_op 0
		.amdhsa_exception_fp_denorm_src 0
		.amdhsa_exception_fp_ieee_div_zero 0
		.amdhsa_exception_fp_ieee_overflow 0
		.amdhsa_exception_fp_ieee_underflow 0
		.amdhsa_exception_fp_ieee_inexact 0
		.amdhsa_exception_int_div_zero 0
	.end_amdhsa_kernel
	.section	.text._ZN7rocprim17ROCPRIM_400000_NS6detail17trampoline_kernelINS0_14default_configENS1_25partition_config_selectorILNS1_17partition_subalgoE1EjNS0_10empty_typeEbEEZZNS1_14partition_implILS5_1ELb0ES3_jN6thrust23THRUST_200600_302600_NS6detail15normal_iteratorINSA_10device_ptrIjEEEEPS6_NSA_18transform_iteratorI7is_evenIjESF_NSA_11use_defaultESK_EENS0_5tupleIJSF_NSA_16discard_iteratorISK_EEEEENSM_IJSG_SG_EEES6_PlJS6_EEE10hipError_tPvRmT3_T4_T5_T6_T7_T9_mT8_P12ihipStream_tbDpT10_ENKUlT_T0_E_clISt17integral_constantIbLb0EES1A_IbLb1EEEEDaS16_S17_EUlS16_E_NS1_11comp_targetILNS1_3genE2ELNS1_11target_archE906ELNS1_3gpuE6ELNS1_3repE0EEENS1_30default_config_static_selectorELNS0_4arch9wavefront6targetE1EEEvT1_,"axG",@progbits,_ZN7rocprim17ROCPRIM_400000_NS6detail17trampoline_kernelINS0_14default_configENS1_25partition_config_selectorILNS1_17partition_subalgoE1EjNS0_10empty_typeEbEEZZNS1_14partition_implILS5_1ELb0ES3_jN6thrust23THRUST_200600_302600_NS6detail15normal_iteratorINSA_10device_ptrIjEEEEPS6_NSA_18transform_iteratorI7is_evenIjESF_NSA_11use_defaultESK_EENS0_5tupleIJSF_NSA_16discard_iteratorISK_EEEEENSM_IJSG_SG_EEES6_PlJS6_EEE10hipError_tPvRmT3_T4_T5_T6_T7_T9_mT8_P12ihipStream_tbDpT10_ENKUlT_T0_E_clISt17integral_constantIbLb0EES1A_IbLb1EEEEDaS16_S17_EUlS16_E_NS1_11comp_targetILNS1_3genE2ELNS1_11target_archE906ELNS1_3gpuE6ELNS1_3repE0EEENS1_30default_config_static_selectorELNS0_4arch9wavefront6targetE1EEEvT1_,comdat
.Lfunc_end3031:
	.size	_ZN7rocprim17ROCPRIM_400000_NS6detail17trampoline_kernelINS0_14default_configENS1_25partition_config_selectorILNS1_17partition_subalgoE1EjNS0_10empty_typeEbEEZZNS1_14partition_implILS5_1ELb0ES3_jN6thrust23THRUST_200600_302600_NS6detail15normal_iteratorINSA_10device_ptrIjEEEEPS6_NSA_18transform_iteratorI7is_evenIjESF_NSA_11use_defaultESK_EENS0_5tupleIJSF_NSA_16discard_iteratorISK_EEEEENSM_IJSG_SG_EEES6_PlJS6_EEE10hipError_tPvRmT3_T4_T5_T6_T7_T9_mT8_P12ihipStream_tbDpT10_ENKUlT_T0_E_clISt17integral_constantIbLb0EES1A_IbLb1EEEEDaS16_S17_EUlS16_E_NS1_11comp_targetILNS1_3genE2ELNS1_11target_archE906ELNS1_3gpuE6ELNS1_3repE0EEENS1_30default_config_static_selectorELNS0_4arch9wavefront6targetE1EEEvT1_, .Lfunc_end3031-_ZN7rocprim17ROCPRIM_400000_NS6detail17trampoline_kernelINS0_14default_configENS1_25partition_config_selectorILNS1_17partition_subalgoE1EjNS0_10empty_typeEbEEZZNS1_14partition_implILS5_1ELb0ES3_jN6thrust23THRUST_200600_302600_NS6detail15normal_iteratorINSA_10device_ptrIjEEEEPS6_NSA_18transform_iteratorI7is_evenIjESF_NSA_11use_defaultESK_EENS0_5tupleIJSF_NSA_16discard_iteratorISK_EEEEENSM_IJSG_SG_EEES6_PlJS6_EEE10hipError_tPvRmT3_T4_T5_T6_T7_T9_mT8_P12ihipStream_tbDpT10_ENKUlT_T0_E_clISt17integral_constantIbLb0EES1A_IbLb1EEEEDaS16_S17_EUlS16_E_NS1_11comp_targetILNS1_3genE2ELNS1_11target_archE906ELNS1_3gpuE6ELNS1_3repE0EEENS1_30default_config_static_selectorELNS0_4arch9wavefront6targetE1EEEvT1_
                                        ; -- End function
	.section	.AMDGPU.csdata,"",@progbits
; Kernel info:
; codeLenInByte = 0
; NumSgprs: 4
; NumVgprs: 0
; NumAgprs: 0
; TotalNumVgprs: 0
; ScratchSize: 0
; MemoryBound: 0
; FloatMode: 240
; IeeeMode: 1
; LDSByteSize: 0 bytes/workgroup (compile time only)
; SGPRBlocks: 0
; VGPRBlocks: 0
; NumSGPRsForWavesPerEU: 4
; NumVGPRsForWavesPerEU: 1
; AccumOffset: 4
; Occupancy: 8
; WaveLimiterHint : 0
; COMPUTE_PGM_RSRC2:SCRATCH_EN: 0
; COMPUTE_PGM_RSRC2:USER_SGPR: 6
; COMPUTE_PGM_RSRC2:TRAP_HANDLER: 0
; COMPUTE_PGM_RSRC2:TGID_X_EN: 1
; COMPUTE_PGM_RSRC2:TGID_Y_EN: 0
; COMPUTE_PGM_RSRC2:TGID_Z_EN: 0
; COMPUTE_PGM_RSRC2:TIDIG_COMP_CNT: 0
; COMPUTE_PGM_RSRC3_GFX90A:ACCUM_OFFSET: 0
; COMPUTE_PGM_RSRC3_GFX90A:TG_SPLIT: 0
	.section	.text._ZN7rocprim17ROCPRIM_400000_NS6detail17trampoline_kernelINS0_14default_configENS1_25partition_config_selectorILNS1_17partition_subalgoE1EjNS0_10empty_typeEbEEZZNS1_14partition_implILS5_1ELb0ES3_jN6thrust23THRUST_200600_302600_NS6detail15normal_iteratorINSA_10device_ptrIjEEEEPS6_NSA_18transform_iteratorI7is_evenIjESF_NSA_11use_defaultESK_EENS0_5tupleIJSF_NSA_16discard_iteratorISK_EEEEENSM_IJSG_SG_EEES6_PlJS6_EEE10hipError_tPvRmT3_T4_T5_T6_T7_T9_mT8_P12ihipStream_tbDpT10_ENKUlT_T0_E_clISt17integral_constantIbLb0EES1A_IbLb1EEEEDaS16_S17_EUlS16_E_NS1_11comp_targetILNS1_3genE10ELNS1_11target_archE1200ELNS1_3gpuE4ELNS1_3repE0EEENS1_30default_config_static_selectorELNS0_4arch9wavefront6targetE1EEEvT1_,"axG",@progbits,_ZN7rocprim17ROCPRIM_400000_NS6detail17trampoline_kernelINS0_14default_configENS1_25partition_config_selectorILNS1_17partition_subalgoE1EjNS0_10empty_typeEbEEZZNS1_14partition_implILS5_1ELb0ES3_jN6thrust23THRUST_200600_302600_NS6detail15normal_iteratorINSA_10device_ptrIjEEEEPS6_NSA_18transform_iteratorI7is_evenIjESF_NSA_11use_defaultESK_EENS0_5tupleIJSF_NSA_16discard_iteratorISK_EEEEENSM_IJSG_SG_EEES6_PlJS6_EEE10hipError_tPvRmT3_T4_T5_T6_T7_T9_mT8_P12ihipStream_tbDpT10_ENKUlT_T0_E_clISt17integral_constantIbLb0EES1A_IbLb1EEEEDaS16_S17_EUlS16_E_NS1_11comp_targetILNS1_3genE10ELNS1_11target_archE1200ELNS1_3gpuE4ELNS1_3repE0EEENS1_30default_config_static_selectorELNS0_4arch9wavefront6targetE1EEEvT1_,comdat
	.protected	_ZN7rocprim17ROCPRIM_400000_NS6detail17trampoline_kernelINS0_14default_configENS1_25partition_config_selectorILNS1_17partition_subalgoE1EjNS0_10empty_typeEbEEZZNS1_14partition_implILS5_1ELb0ES3_jN6thrust23THRUST_200600_302600_NS6detail15normal_iteratorINSA_10device_ptrIjEEEEPS6_NSA_18transform_iteratorI7is_evenIjESF_NSA_11use_defaultESK_EENS0_5tupleIJSF_NSA_16discard_iteratorISK_EEEEENSM_IJSG_SG_EEES6_PlJS6_EEE10hipError_tPvRmT3_T4_T5_T6_T7_T9_mT8_P12ihipStream_tbDpT10_ENKUlT_T0_E_clISt17integral_constantIbLb0EES1A_IbLb1EEEEDaS16_S17_EUlS16_E_NS1_11comp_targetILNS1_3genE10ELNS1_11target_archE1200ELNS1_3gpuE4ELNS1_3repE0EEENS1_30default_config_static_selectorELNS0_4arch9wavefront6targetE1EEEvT1_ ; -- Begin function _ZN7rocprim17ROCPRIM_400000_NS6detail17trampoline_kernelINS0_14default_configENS1_25partition_config_selectorILNS1_17partition_subalgoE1EjNS0_10empty_typeEbEEZZNS1_14partition_implILS5_1ELb0ES3_jN6thrust23THRUST_200600_302600_NS6detail15normal_iteratorINSA_10device_ptrIjEEEEPS6_NSA_18transform_iteratorI7is_evenIjESF_NSA_11use_defaultESK_EENS0_5tupleIJSF_NSA_16discard_iteratorISK_EEEEENSM_IJSG_SG_EEES6_PlJS6_EEE10hipError_tPvRmT3_T4_T5_T6_T7_T9_mT8_P12ihipStream_tbDpT10_ENKUlT_T0_E_clISt17integral_constantIbLb0EES1A_IbLb1EEEEDaS16_S17_EUlS16_E_NS1_11comp_targetILNS1_3genE10ELNS1_11target_archE1200ELNS1_3gpuE4ELNS1_3repE0EEENS1_30default_config_static_selectorELNS0_4arch9wavefront6targetE1EEEvT1_
	.globl	_ZN7rocprim17ROCPRIM_400000_NS6detail17trampoline_kernelINS0_14default_configENS1_25partition_config_selectorILNS1_17partition_subalgoE1EjNS0_10empty_typeEbEEZZNS1_14partition_implILS5_1ELb0ES3_jN6thrust23THRUST_200600_302600_NS6detail15normal_iteratorINSA_10device_ptrIjEEEEPS6_NSA_18transform_iteratorI7is_evenIjESF_NSA_11use_defaultESK_EENS0_5tupleIJSF_NSA_16discard_iteratorISK_EEEEENSM_IJSG_SG_EEES6_PlJS6_EEE10hipError_tPvRmT3_T4_T5_T6_T7_T9_mT8_P12ihipStream_tbDpT10_ENKUlT_T0_E_clISt17integral_constantIbLb0EES1A_IbLb1EEEEDaS16_S17_EUlS16_E_NS1_11comp_targetILNS1_3genE10ELNS1_11target_archE1200ELNS1_3gpuE4ELNS1_3repE0EEENS1_30default_config_static_selectorELNS0_4arch9wavefront6targetE1EEEvT1_
	.p2align	8
	.type	_ZN7rocprim17ROCPRIM_400000_NS6detail17trampoline_kernelINS0_14default_configENS1_25partition_config_selectorILNS1_17partition_subalgoE1EjNS0_10empty_typeEbEEZZNS1_14partition_implILS5_1ELb0ES3_jN6thrust23THRUST_200600_302600_NS6detail15normal_iteratorINSA_10device_ptrIjEEEEPS6_NSA_18transform_iteratorI7is_evenIjESF_NSA_11use_defaultESK_EENS0_5tupleIJSF_NSA_16discard_iteratorISK_EEEEENSM_IJSG_SG_EEES6_PlJS6_EEE10hipError_tPvRmT3_T4_T5_T6_T7_T9_mT8_P12ihipStream_tbDpT10_ENKUlT_T0_E_clISt17integral_constantIbLb0EES1A_IbLb1EEEEDaS16_S17_EUlS16_E_NS1_11comp_targetILNS1_3genE10ELNS1_11target_archE1200ELNS1_3gpuE4ELNS1_3repE0EEENS1_30default_config_static_selectorELNS0_4arch9wavefront6targetE1EEEvT1_,@function
_ZN7rocprim17ROCPRIM_400000_NS6detail17trampoline_kernelINS0_14default_configENS1_25partition_config_selectorILNS1_17partition_subalgoE1EjNS0_10empty_typeEbEEZZNS1_14partition_implILS5_1ELb0ES3_jN6thrust23THRUST_200600_302600_NS6detail15normal_iteratorINSA_10device_ptrIjEEEEPS6_NSA_18transform_iteratorI7is_evenIjESF_NSA_11use_defaultESK_EENS0_5tupleIJSF_NSA_16discard_iteratorISK_EEEEENSM_IJSG_SG_EEES6_PlJS6_EEE10hipError_tPvRmT3_T4_T5_T6_T7_T9_mT8_P12ihipStream_tbDpT10_ENKUlT_T0_E_clISt17integral_constantIbLb0EES1A_IbLb1EEEEDaS16_S17_EUlS16_E_NS1_11comp_targetILNS1_3genE10ELNS1_11target_archE1200ELNS1_3gpuE4ELNS1_3repE0EEENS1_30default_config_static_selectorELNS0_4arch9wavefront6targetE1EEEvT1_: ; @_ZN7rocprim17ROCPRIM_400000_NS6detail17trampoline_kernelINS0_14default_configENS1_25partition_config_selectorILNS1_17partition_subalgoE1EjNS0_10empty_typeEbEEZZNS1_14partition_implILS5_1ELb0ES3_jN6thrust23THRUST_200600_302600_NS6detail15normal_iteratorINSA_10device_ptrIjEEEEPS6_NSA_18transform_iteratorI7is_evenIjESF_NSA_11use_defaultESK_EENS0_5tupleIJSF_NSA_16discard_iteratorISK_EEEEENSM_IJSG_SG_EEES6_PlJS6_EEE10hipError_tPvRmT3_T4_T5_T6_T7_T9_mT8_P12ihipStream_tbDpT10_ENKUlT_T0_E_clISt17integral_constantIbLb0EES1A_IbLb1EEEEDaS16_S17_EUlS16_E_NS1_11comp_targetILNS1_3genE10ELNS1_11target_archE1200ELNS1_3gpuE4ELNS1_3repE0EEENS1_30default_config_static_selectorELNS0_4arch9wavefront6targetE1EEEvT1_
; %bb.0:
	.section	.rodata,"a",@progbits
	.p2align	6, 0x0
	.amdhsa_kernel _ZN7rocprim17ROCPRIM_400000_NS6detail17trampoline_kernelINS0_14default_configENS1_25partition_config_selectorILNS1_17partition_subalgoE1EjNS0_10empty_typeEbEEZZNS1_14partition_implILS5_1ELb0ES3_jN6thrust23THRUST_200600_302600_NS6detail15normal_iteratorINSA_10device_ptrIjEEEEPS6_NSA_18transform_iteratorI7is_evenIjESF_NSA_11use_defaultESK_EENS0_5tupleIJSF_NSA_16discard_iteratorISK_EEEEENSM_IJSG_SG_EEES6_PlJS6_EEE10hipError_tPvRmT3_T4_T5_T6_T7_T9_mT8_P12ihipStream_tbDpT10_ENKUlT_T0_E_clISt17integral_constantIbLb0EES1A_IbLb1EEEEDaS16_S17_EUlS16_E_NS1_11comp_targetILNS1_3genE10ELNS1_11target_archE1200ELNS1_3gpuE4ELNS1_3repE0EEENS1_30default_config_static_selectorELNS0_4arch9wavefront6targetE1EEEvT1_
		.amdhsa_group_segment_fixed_size 0
		.amdhsa_private_segment_fixed_size 0
		.amdhsa_kernarg_size 152
		.amdhsa_user_sgpr_count 6
		.amdhsa_user_sgpr_private_segment_buffer 1
		.amdhsa_user_sgpr_dispatch_ptr 0
		.amdhsa_user_sgpr_queue_ptr 0
		.amdhsa_user_sgpr_kernarg_segment_ptr 1
		.amdhsa_user_sgpr_dispatch_id 0
		.amdhsa_user_sgpr_flat_scratch_init 0
		.amdhsa_user_sgpr_kernarg_preload_length 0
		.amdhsa_user_sgpr_kernarg_preload_offset 0
		.amdhsa_user_sgpr_private_segment_size 0
		.amdhsa_uses_dynamic_stack 0
		.amdhsa_system_sgpr_private_segment_wavefront_offset 0
		.amdhsa_system_sgpr_workgroup_id_x 1
		.amdhsa_system_sgpr_workgroup_id_y 0
		.amdhsa_system_sgpr_workgroup_id_z 0
		.amdhsa_system_sgpr_workgroup_info 0
		.amdhsa_system_vgpr_workitem_id 0
		.amdhsa_next_free_vgpr 1
		.amdhsa_next_free_sgpr 0
		.amdhsa_accum_offset 4
		.amdhsa_reserve_vcc 0
		.amdhsa_reserve_flat_scratch 0
		.amdhsa_float_round_mode_32 0
		.amdhsa_float_round_mode_16_64 0
		.amdhsa_float_denorm_mode_32 3
		.amdhsa_float_denorm_mode_16_64 3
		.amdhsa_dx10_clamp 1
		.amdhsa_ieee_mode 1
		.amdhsa_fp16_overflow 0
		.amdhsa_tg_split 0
		.amdhsa_exception_fp_ieee_invalid_op 0
		.amdhsa_exception_fp_denorm_src 0
		.amdhsa_exception_fp_ieee_div_zero 0
		.amdhsa_exception_fp_ieee_overflow 0
		.amdhsa_exception_fp_ieee_underflow 0
		.amdhsa_exception_fp_ieee_inexact 0
		.amdhsa_exception_int_div_zero 0
	.end_amdhsa_kernel
	.section	.text._ZN7rocprim17ROCPRIM_400000_NS6detail17trampoline_kernelINS0_14default_configENS1_25partition_config_selectorILNS1_17partition_subalgoE1EjNS0_10empty_typeEbEEZZNS1_14partition_implILS5_1ELb0ES3_jN6thrust23THRUST_200600_302600_NS6detail15normal_iteratorINSA_10device_ptrIjEEEEPS6_NSA_18transform_iteratorI7is_evenIjESF_NSA_11use_defaultESK_EENS0_5tupleIJSF_NSA_16discard_iteratorISK_EEEEENSM_IJSG_SG_EEES6_PlJS6_EEE10hipError_tPvRmT3_T4_T5_T6_T7_T9_mT8_P12ihipStream_tbDpT10_ENKUlT_T0_E_clISt17integral_constantIbLb0EES1A_IbLb1EEEEDaS16_S17_EUlS16_E_NS1_11comp_targetILNS1_3genE10ELNS1_11target_archE1200ELNS1_3gpuE4ELNS1_3repE0EEENS1_30default_config_static_selectorELNS0_4arch9wavefront6targetE1EEEvT1_,"axG",@progbits,_ZN7rocprim17ROCPRIM_400000_NS6detail17trampoline_kernelINS0_14default_configENS1_25partition_config_selectorILNS1_17partition_subalgoE1EjNS0_10empty_typeEbEEZZNS1_14partition_implILS5_1ELb0ES3_jN6thrust23THRUST_200600_302600_NS6detail15normal_iteratorINSA_10device_ptrIjEEEEPS6_NSA_18transform_iteratorI7is_evenIjESF_NSA_11use_defaultESK_EENS0_5tupleIJSF_NSA_16discard_iteratorISK_EEEEENSM_IJSG_SG_EEES6_PlJS6_EEE10hipError_tPvRmT3_T4_T5_T6_T7_T9_mT8_P12ihipStream_tbDpT10_ENKUlT_T0_E_clISt17integral_constantIbLb0EES1A_IbLb1EEEEDaS16_S17_EUlS16_E_NS1_11comp_targetILNS1_3genE10ELNS1_11target_archE1200ELNS1_3gpuE4ELNS1_3repE0EEENS1_30default_config_static_selectorELNS0_4arch9wavefront6targetE1EEEvT1_,comdat
.Lfunc_end3032:
	.size	_ZN7rocprim17ROCPRIM_400000_NS6detail17trampoline_kernelINS0_14default_configENS1_25partition_config_selectorILNS1_17partition_subalgoE1EjNS0_10empty_typeEbEEZZNS1_14partition_implILS5_1ELb0ES3_jN6thrust23THRUST_200600_302600_NS6detail15normal_iteratorINSA_10device_ptrIjEEEEPS6_NSA_18transform_iteratorI7is_evenIjESF_NSA_11use_defaultESK_EENS0_5tupleIJSF_NSA_16discard_iteratorISK_EEEEENSM_IJSG_SG_EEES6_PlJS6_EEE10hipError_tPvRmT3_T4_T5_T6_T7_T9_mT8_P12ihipStream_tbDpT10_ENKUlT_T0_E_clISt17integral_constantIbLb0EES1A_IbLb1EEEEDaS16_S17_EUlS16_E_NS1_11comp_targetILNS1_3genE10ELNS1_11target_archE1200ELNS1_3gpuE4ELNS1_3repE0EEENS1_30default_config_static_selectorELNS0_4arch9wavefront6targetE1EEEvT1_, .Lfunc_end3032-_ZN7rocprim17ROCPRIM_400000_NS6detail17trampoline_kernelINS0_14default_configENS1_25partition_config_selectorILNS1_17partition_subalgoE1EjNS0_10empty_typeEbEEZZNS1_14partition_implILS5_1ELb0ES3_jN6thrust23THRUST_200600_302600_NS6detail15normal_iteratorINSA_10device_ptrIjEEEEPS6_NSA_18transform_iteratorI7is_evenIjESF_NSA_11use_defaultESK_EENS0_5tupleIJSF_NSA_16discard_iteratorISK_EEEEENSM_IJSG_SG_EEES6_PlJS6_EEE10hipError_tPvRmT3_T4_T5_T6_T7_T9_mT8_P12ihipStream_tbDpT10_ENKUlT_T0_E_clISt17integral_constantIbLb0EES1A_IbLb1EEEEDaS16_S17_EUlS16_E_NS1_11comp_targetILNS1_3genE10ELNS1_11target_archE1200ELNS1_3gpuE4ELNS1_3repE0EEENS1_30default_config_static_selectorELNS0_4arch9wavefront6targetE1EEEvT1_
                                        ; -- End function
	.section	.AMDGPU.csdata,"",@progbits
; Kernel info:
; codeLenInByte = 0
; NumSgprs: 4
; NumVgprs: 0
; NumAgprs: 0
; TotalNumVgprs: 0
; ScratchSize: 0
; MemoryBound: 0
; FloatMode: 240
; IeeeMode: 1
; LDSByteSize: 0 bytes/workgroup (compile time only)
; SGPRBlocks: 0
; VGPRBlocks: 0
; NumSGPRsForWavesPerEU: 4
; NumVGPRsForWavesPerEU: 1
; AccumOffset: 4
; Occupancy: 8
; WaveLimiterHint : 0
; COMPUTE_PGM_RSRC2:SCRATCH_EN: 0
; COMPUTE_PGM_RSRC2:USER_SGPR: 6
; COMPUTE_PGM_RSRC2:TRAP_HANDLER: 0
; COMPUTE_PGM_RSRC2:TGID_X_EN: 1
; COMPUTE_PGM_RSRC2:TGID_Y_EN: 0
; COMPUTE_PGM_RSRC2:TGID_Z_EN: 0
; COMPUTE_PGM_RSRC2:TIDIG_COMP_CNT: 0
; COMPUTE_PGM_RSRC3_GFX90A:ACCUM_OFFSET: 0
; COMPUTE_PGM_RSRC3_GFX90A:TG_SPLIT: 0
	.section	.text._ZN7rocprim17ROCPRIM_400000_NS6detail17trampoline_kernelINS0_14default_configENS1_25partition_config_selectorILNS1_17partition_subalgoE1EjNS0_10empty_typeEbEEZZNS1_14partition_implILS5_1ELb0ES3_jN6thrust23THRUST_200600_302600_NS6detail15normal_iteratorINSA_10device_ptrIjEEEEPS6_NSA_18transform_iteratorI7is_evenIjESF_NSA_11use_defaultESK_EENS0_5tupleIJSF_NSA_16discard_iteratorISK_EEEEENSM_IJSG_SG_EEES6_PlJS6_EEE10hipError_tPvRmT3_T4_T5_T6_T7_T9_mT8_P12ihipStream_tbDpT10_ENKUlT_T0_E_clISt17integral_constantIbLb0EES1A_IbLb1EEEEDaS16_S17_EUlS16_E_NS1_11comp_targetILNS1_3genE9ELNS1_11target_archE1100ELNS1_3gpuE3ELNS1_3repE0EEENS1_30default_config_static_selectorELNS0_4arch9wavefront6targetE1EEEvT1_,"axG",@progbits,_ZN7rocprim17ROCPRIM_400000_NS6detail17trampoline_kernelINS0_14default_configENS1_25partition_config_selectorILNS1_17partition_subalgoE1EjNS0_10empty_typeEbEEZZNS1_14partition_implILS5_1ELb0ES3_jN6thrust23THRUST_200600_302600_NS6detail15normal_iteratorINSA_10device_ptrIjEEEEPS6_NSA_18transform_iteratorI7is_evenIjESF_NSA_11use_defaultESK_EENS0_5tupleIJSF_NSA_16discard_iteratorISK_EEEEENSM_IJSG_SG_EEES6_PlJS6_EEE10hipError_tPvRmT3_T4_T5_T6_T7_T9_mT8_P12ihipStream_tbDpT10_ENKUlT_T0_E_clISt17integral_constantIbLb0EES1A_IbLb1EEEEDaS16_S17_EUlS16_E_NS1_11comp_targetILNS1_3genE9ELNS1_11target_archE1100ELNS1_3gpuE3ELNS1_3repE0EEENS1_30default_config_static_selectorELNS0_4arch9wavefront6targetE1EEEvT1_,comdat
	.protected	_ZN7rocprim17ROCPRIM_400000_NS6detail17trampoline_kernelINS0_14default_configENS1_25partition_config_selectorILNS1_17partition_subalgoE1EjNS0_10empty_typeEbEEZZNS1_14partition_implILS5_1ELb0ES3_jN6thrust23THRUST_200600_302600_NS6detail15normal_iteratorINSA_10device_ptrIjEEEEPS6_NSA_18transform_iteratorI7is_evenIjESF_NSA_11use_defaultESK_EENS0_5tupleIJSF_NSA_16discard_iteratorISK_EEEEENSM_IJSG_SG_EEES6_PlJS6_EEE10hipError_tPvRmT3_T4_T5_T6_T7_T9_mT8_P12ihipStream_tbDpT10_ENKUlT_T0_E_clISt17integral_constantIbLb0EES1A_IbLb1EEEEDaS16_S17_EUlS16_E_NS1_11comp_targetILNS1_3genE9ELNS1_11target_archE1100ELNS1_3gpuE3ELNS1_3repE0EEENS1_30default_config_static_selectorELNS0_4arch9wavefront6targetE1EEEvT1_ ; -- Begin function _ZN7rocprim17ROCPRIM_400000_NS6detail17trampoline_kernelINS0_14default_configENS1_25partition_config_selectorILNS1_17partition_subalgoE1EjNS0_10empty_typeEbEEZZNS1_14partition_implILS5_1ELb0ES3_jN6thrust23THRUST_200600_302600_NS6detail15normal_iteratorINSA_10device_ptrIjEEEEPS6_NSA_18transform_iteratorI7is_evenIjESF_NSA_11use_defaultESK_EENS0_5tupleIJSF_NSA_16discard_iteratorISK_EEEEENSM_IJSG_SG_EEES6_PlJS6_EEE10hipError_tPvRmT3_T4_T5_T6_T7_T9_mT8_P12ihipStream_tbDpT10_ENKUlT_T0_E_clISt17integral_constantIbLb0EES1A_IbLb1EEEEDaS16_S17_EUlS16_E_NS1_11comp_targetILNS1_3genE9ELNS1_11target_archE1100ELNS1_3gpuE3ELNS1_3repE0EEENS1_30default_config_static_selectorELNS0_4arch9wavefront6targetE1EEEvT1_
	.globl	_ZN7rocprim17ROCPRIM_400000_NS6detail17trampoline_kernelINS0_14default_configENS1_25partition_config_selectorILNS1_17partition_subalgoE1EjNS0_10empty_typeEbEEZZNS1_14partition_implILS5_1ELb0ES3_jN6thrust23THRUST_200600_302600_NS6detail15normal_iteratorINSA_10device_ptrIjEEEEPS6_NSA_18transform_iteratorI7is_evenIjESF_NSA_11use_defaultESK_EENS0_5tupleIJSF_NSA_16discard_iteratorISK_EEEEENSM_IJSG_SG_EEES6_PlJS6_EEE10hipError_tPvRmT3_T4_T5_T6_T7_T9_mT8_P12ihipStream_tbDpT10_ENKUlT_T0_E_clISt17integral_constantIbLb0EES1A_IbLb1EEEEDaS16_S17_EUlS16_E_NS1_11comp_targetILNS1_3genE9ELNS1_11target_archE1100ELNS1_3gpuE3ELNS1_3repE0EEENS1_30default_config_static_selectorELNS0_4arch9wavefront6targetE1EEEvT1_
	.p2align	8
	.type	_ZN7rocprim17ROCPRIM_400000_NS6detail17trampoline_kernelINS0_14default_configENS1_25partition_config_selectorILNS1_17partition_subalgoE1EjNS0_10empty_typeEbEEZZNS1_14partition_implILS5_1ELb0ES3_jN6thrust23THRUST_200600_302600_NS6detail15normal_iteratorINSA_10device_ptrIjEEEEPS6_NSA_18transform_iteratorI7is_evenIjESF_NSA_11use_defaultESK_EENS0_5tupleIJSF_NSA_16discard_iteratorISK_EEEEENSM_IJSG_SG_EEES6_PlJS6_EEE10hipError_tPvRmT3_T4_T5_T6_T7_T9_mT8_P12ihipStream_tbDpT10_ENKUlT_T0_E_clISt17integral_constantIbLb0EES1A_IbLb1EEEEDaS16_S17_EUlS16_E_NS1_11comp_targetILNS1_3genE9ELNS1_11target_archE1100ELNS1_3gpuE3ELNS1_3repE0EEENS1_30default_config_static_selectorELNS0_4arch9wavefront6targetE1EEEvT1_,@function
_ZN7rocprim17ROCPRIM_400000_NS6detail17trampoline_kernelINS0_14default_configENS1_25partition_config_selectorILNS1_17partition_subalgoE1EjNS0_10empty_typeEbEEZZNS1_14partition_implILS5_1ELb0ES3_jN6thrust23THRUST_200600_302600_NS6detail15normal_iteratorINSA_10device_ptrIjEEEEPS6_NSA_18transform_iteratorI7is_evenIjESF_NSA_11use_defaultESK_EENS0_5tupleIJSF_NSA_16discard_iteratorISK_EEEEENSM_IJSG_SG_EEES6_PlJS6_EEE10hipError_tPvRmT3_T4_T5_T6_T7_T9_mT8_P12ihipStream_tbDpT10_ENKUlT_T0_E_clISt17integral_constantIbLb0EES1A_IbLb1EEEEDaS16_S17_EUlS16_E_NS1_11comp_targetILNS1_3genE9ELNS1_11target_archE1100ELNS1_3gpuE3ELNS1_3repE0EEENS1_30default_config_static_selectorELNS0_4arch9wavefront6targetE1EEEvT1_: ; @_ZN7rocprim17ROCPRIM_400000_NS6detail17trampoline_kernelINS0_14default_configENS1_25partition_config_selectorILNS1_17partition_subalgoE1EjNS0_10empty_typeEbEEZZNS1_14partition_implILS5_1ELb0ES3_jN6thrust23THRUST_200600_302600_NS6detail15normal_iteratorINSA_10device_ptrIjEEEEPS6_NSA_18transform_iteratorI7is_evenIjESF_NSA_11use_defaultESK_EENS0_5tupleIJSF_NSA_16discard_iteratorISK_EEEEENSM_IJSG_SG_EEES6_PlJS6_EEE10hipError_tPvRmT3_T4_T5_T6_T7_T9_mT8_P12ihipStream_tbDpT10_ENKUlT_T0_E_clISt17integral_constantIbLb0EES1A_IbLb1EEEEDaS16_S17_EUlS16_E_NS1_11comp_targetILNS1_3genE9ELNS1_11target_archE1100ELNS1_3gpuE3ELNS1_3repE0EEENS1_30default_config_static_selectorELNS0_4arch9wavefront6targetE1EEEvT1_
; %bb.0:
	.section	.rodata,"a",@progbits
	.p2align	6, 0x0
	.amdhsa_kernel _ZN7rocprim17ROCPRIM_400000_NS6detail17trampoline_kernelINS0_14default_configENS1_25partition_config_selectorILNS1_17partition_subalgoE1EjNS0_10empty_typeEbEEZZNS1_14partition_implILS5_1ELb0ES3_jN6thrust23THRUST_200600_302600_NS6detail15normal_iteratorINSA_10device_ptrIjEEEEPS6_NSA_18transform_iteratorI7is_evenIjESF_NSA_11use_defaultESK_EENS0_5tupleIJSF_NSA_16discard_iteratorISK_EEEEENSM_IJSG_SG_EEES6_PlJS6_EEE10hipError_tPvRmT3_T4_T5_T6_T7_T9_mT8_P12ihipStream_tbDpT10_ENKUlT_T0_E_clISt17integral_constantIbLb0EES1A_IbLb1EEEEDaS16_S17_EUlS16_E_NS1_11comp_targetILNS1_3genE9ELNS1_11target_archE1100ELNS1_3gpuE3ELNS1_3repE0EEENS1_30default_config_static_selectorELNS0_4arch9wavefront6targetE1EEEvT1_
		.amdhsa_group_segment_fixed_size 0
		.amdhsa_private_segment_fixed_size 0
		.amdhsa_kernarg_size 152
		.amdhsa_user_sgpr_count 6
		.amdhsa_user_sgpr_private_segment_buffer 1
		.amdhsa_user_sgpr_dispatch_ptr 0
		.amdhsa_user_sgpr_queue_ptr 0
		.amdhsa_user_sgpr_kernarg_segment_ptr 1
		.amdhsa_user_sgpr_dispatch_id 0
		.amdhsa_user_sgpr_flat_scratch_init 0
		.amdhsa_user_sgpr_kernarg_preload_length 0
		.amdhsa_user_sgpr_kernarg_preload_offset 0
		.amdhsa_user_sgpr_private_segment_size 0
		.amdhsa_uses_dynamic_stack 0
		.amdhsa_system_sgpr_private_segment_wavefront_offset 0
		.amdhsa_system_sgpr_workgroup_id_x 1
		.amdhsa_system_sgpr_workgroup_id_y 0
		.amdhsa_system_sgpr_workgroup_id_z 0
		.amdhsa_system_sgpr_workgroup_info 0
		.amdhsa_system_vgpr_workitem_id 0
		.amdhsa_next_free_vgpr 1
		.amdhsa_next_free_sgpr 0
		.amdhsa_accum_offset 4
		.amdhsa_reserve_vcc 0
		.amdhsa_reserve_flat_scratch 0
		.amdhsa_float_round_mode_32 0
		.amdhsa_float_round_mode_16_64 0
		.amdhsa_float_denorm_mode_32 3
		.amdhsa_float_denorm_mode_16_64 3
		.amdhsa_dx10_clamp 1
		.amdhsa_ieee_mode 1
		.amdhsa_fp16_overflow 0
		.amdhsa_tg_split 0
		.amdhsa_exception_fp_ieee_invalid_op 0
		.amdhsa_exception_fp_denorm_src 0
		.amdhsa_exception_fp_ieee_div_zero 0
		.amdhsa_exception_fp_ieee_overflow 0
		.amdhsa_exception_fp_ieee_underflow 0
		.amdhsa_exception_fp_ieee_inexact 0
		.amdhsa_exception_int_div_zero 0
	.end_amdhsa_kernel
	.section	.text._ZN7rocprim17ROCPRIM_400000_NS6detail17trampoline_kernelINS0_14default_configENS1_25partition_config_selectorILNS1_17partition_subalgoE1EjNS0_10empty_typeEbEEZZNS1_14partition_implILS5_1ELb0ES3_jN6thrust23THRUST_200600_302600_NS6detail15normal_iteratorINSA_10device_ptrIjEEEEPS6_NSA_18transform_iteratorI7is_evenIjESF_NSA_11use_defaultESK_EENS0_5tupleIJSF_NSA_16discard_iteratorISK_EEEEENSM_IJSG_SG_EEES6_PlJS6_EEE10hipError_tPvRmT3_T4_T5_T6_T7_T9_mT8_P12ihipStream_tbDpT10_ENKUlT_T0_E_clISt17integral_constantIbLb0EES1A_IbLb1EEEEDaS16_S17_EUlS16_E_NS1_11comp_targetILNS1_3genE9ELNS1_11target_archE1100ELNS1_3gpuE3ELNS1_3repE0EEENS1_30default_config_static_selectorELNS0_4arch9wavefront6targetE1EEEvT1_,"axG",@progbits,_ZN7rocprim17ROCPRIM_400000_NS6detail17trampoline_kernelINS0_14default_configENS1_25partition_config_selectorILNS1_17partition_subalgoE1EjNS0_10empty_typeEbEEZZNS1_14partition_implILS5_1ELb0ES3_jN6thrust23THRUST_200600_302600_NS6detail15normal_iteratorINSA_10device_ptrIjEEEEPS6_NSA_18transform_iteratorI7is_evenIjESF_NSA_11use_defaultESK_EENS0_5tupleIJSF_NSA_16discard_iteratorISK_EEEEENSM_IJSG_SG_EEES6_PlJS6_EEE10hipError_tPvRmT3_T4_T5_T6_T7_T9_mT8_P12ihipStream_tbDpT10_ENKUlT_T0_E_clISt17integral_constantIbLb0EES1A_IbLb1EEEEDaS16_S17_EUlS16_E_NS1_11comp_targetILNS1_3genE9ELNS1_11target_archE1100ELNS1_3gpuE3ELNS1_3repE0EEENS1_30default_config_static_selectorELNS0_4arch9wavefront6targetE1EEEvT1_,comdat
.Lfunc_end3033:
	.size	_ZN7rocprim17ROCPRIM_400000_NS6detail17trampoline_kernelINS0_14default_configENS1_25partition_config_selectorILNS1_17partition_subalgoE1EjNS0_10empty_typeEbEEZZNS1_14partition_implILS5_1ELb0ES3_jN6thrust23THRUST_200600_302600_NS6detail15normal_iteratorINSA_10device_ptrIjEEEEPS6_NSA_18transform_iteratorI7is_evenIjESF_NSA_11use_defaultESK_EENS0_5tupleIJSF_NSA_16discard_iteratorISK_EEEEENSM_IJSG_SG_EEES6_PlJS6_EEE10hipError_tPvRmT3_T4_T5_T6_T7_T9_mT8_P12ihipStream_tbDpT10_ENKUlT_T0_E_clISt17integral_constantIbLb0EES1A_IbLb1EEEEDaS16_S17_EUlS16_E_NS1_11comp_targetILNS1_3genE9ELNS1_11target_archE1100ELNS1_3gpuE3ELNS1_3repE0EEENS1_30default_config_static_selectorELNS0_4arch9wavefront6targetE1EEEvT1_, .Lfunc_end3033-_ZN7rocprim17ROCPRIM_400000_NS6detail17trampoline_kernelINS0_14default_configENS1_25partition_config_selectorILNS1_17partition_subalgoE1EjNS0_10empty_typeEbEEZZNS1_14partition_implILS5_1ELb0ES3_jN6thrust23THRUST_200600_302600_NS6detail15normal_iteratorINSA_10device_ptrIjEEEEPS6_NSA_18transform_iteratorI7is_evenIjESF_NSA_11use_defaultESK_EENS0_5tupleIJSF_NSA_16discard_iteratorISK_EEEEENSM_IJSG_SG_EEES6_PlJS6_EEE10hipError_tPvRmT3_T4_T5_T6_T7_T9_mT8_P12ihipStream_tbDpT10_ENKUlT_T0_E_clISt17integral_constantIbLb0EES1A_IbLb1EEEEDaS16_S17_EUlS16_E_NS1_11comp_targetILNS1_3genE9ELNS1_11target_archE1100ELNS1_3gpuE3ELNS1_3repE0EEENS1_30default_config_static_selectorELNS0_4arch9wavefront6targetE1EEEvT1_
                                        ; -- End function
	.section	.AMDGPU.csdata,"",@progbits
; Kernel info:
; codeLenInByte = 0
; NumSgprs: 4
; NumVgprs: 0
; NumAgprs: 0
; TotalNumVgprs: 0
; ScratchSize: 0
; MemoryBound: 0
; FloatMode: 240
; IeeeMode: 1
; LDSByteSize: 0 bytes/workgroup (compile time only)
; SGPRBlocks: 0
; VGPRBlocks: 0
; NumSGPRsForWavesPerEU: 4
; NumVGPRsForWavesPerEU: 1
; AccumOffset: 4
; Occupancy: 8
; WaveLimiterHint : 0
; COMPUTE_PGM_RSRC2:SCRATCH_EN: 0
; COMPUTE_PGM_RSRC2:USER_SGPR: 6
; COMPUTE_PGM_RSRC2:TRAP_HANDLER: 0
; COMPUTE_PGM_RSRC2:TGID_X_EN: 1
; COMPUTE_PGM_RSRC2:TGID_Y_EN: 0
; COMPUTE_PGM_RSRC2:TGID_Z_EN: 0
; COMPUTE_PGM_RSRC2:TIDIG_COMP_CNT: 0
; COMPUTE_PGM_RSRC3_GFX90A:ACCUM_OFFSET: 0
; COMPUTE_PGM_RSRC3_GFX90A:TG_SPLIT: 0
	.section	.text._ZN7rocprim17ROCPRIM_400000_NS6detail17trampoline_kernelINS0_14default_configENS1_25partition_config_selectorILNS1_17partition_subalgoE1EjNS0_10empty_typeEbEEZZNS1_14partition_implILS5_1ELb0ES3_jN6thrust23THRUST_200600_302600_NS6detail15normal_iteratorINSA_10device_ptrIjEEEEPS6_NSA_18transform_iteratorI7is_evenIjESF_NSA_11use_defaultESK_EENS0_5tupleIJSF_NSA_16discard_iteratorISK_EEEEENSM_IJSG_SG_EEES6_PlJS6_EEE10hipError_tPvRmT3_T4_T5_T6_T7_T9_mT8_P12ihipStream_tbDpT10_ENKUlT_T0_E_clISt17integral_constantIbLb0EES1A_IbLb1EEEEDaS16_S17_EUlS16_E_NS1_11comp_targetILNS1_3genE8ELNS1_11target_archE1030ELNS1_3gpuE2ELNS1_3repE0EEENS1_30default_config_static_selectorELNS0_4arch9wavefront6targetE1EEEvT1_,"axG",@progbits,_ZN7rocprim17ROCPRIM_400000_NS6detail17trampoline_kernelINS0_14default_configENS1_25partition_config_selectorILNS1_17partition_subalgoE1EjNS0_10empty_typeEbEEZZNS1_14partition_implILS5_1ELb0ES3_jN6thrust23THRUST_200600_302600_NS6detail15normal_iteratorINSA_10device_ptrIjEEEEPS6_NSA_18transform_iteratorI7is_evenIjESF_NSA_11use_defaultESK_EENS0_5tupleIJSF_NSA_16discard_iteratorISK_EEEEENSM_IJSG_SG_EEES6_PlJS6_EEE10hipError_tPvRmT3_T4_T5_T6_T7_T9_mT8_P12ihipStream_tbDpT10_ENKUlT_T0_E_clISt17integral_constantIbLb0EES1A_IbLb1EEEEDaS16_S17_EUlS16_E_NS1_11comp_targetILNS1_3genE8ELNS1_11target_archE1030ELNS1_3gpuE2ELNS1_3repE0EEENS1_30default_config_static_selectorELNS0_4arch9wavefront6targetE1EEEvT1_,comdat
	.protected	_ZN7rocprim17ROCPRIM_400000_NS6detail17trampoline_kernelINS0_14default_configENS1_25partition_config_selectorILNS1_17partition_subalgoE1EjNS0_10empty_typeEbEEZZNS1_14partition_implILS5_1ELb0ES3_jN6thrust23THRUST_200600_302600_NS6detail15normal_iteratorINSA_10device_ptrIjEEEEPS6_NSA_18transform_iteratorI7is_evenIjESF_NSA_11use_defaultESK_EENS0_5tupleIJSF_NSA_16discard_iteratorISK_EEEEENSM_IJSG_SG_EEES6_PlJS6_EEE10hipError_tPvRmT3_T4_T5_T6_T7_T9_mT8_P12ihipStream_tbDpT10_ENKUlT_T0_E_clISt17integral_constantIbLb0EES1A_IbLb1EEEEDaS16_S17_EUlS16_E_NS1_11comp_targetILNS1_3genE8ELNS1_11target_archE1030ELNS1_3gpuE2ELNS1_3repE0EEENS1_30default_config_static_selectorELNS0_4arch9wavefront6targetE1EEEvT1_ ; -- Begin function _ZN7rocprim17ROCPRIM_400000_NS6detail17trampoline_kernelINS0_14default_configENS1_25partition_config_selectorILNS1_17partition_subalgoE1EjNS0_10empty_typeEbEEZZNS1_14partition_implILS5_1ELb0ES3_jN6thrust23THRUST_200600_302600_NS6detail15normal_iteratorINSA_10device_ptrIjEEEEPS6_NSA_18transform_iteratorI7is_evenIjESF_NSA_11use_defaultESK_EENS0_5tupleIJSF_NSA_16discard_iteratorISK_EEEEENSM_IJSG_SG_EEES6_PlJS6_EEE10hipError_tPvRmT3_T4_T5_T6_T7_T9_mT8_P12ihipStream_tbDpT10_ENKUlT_T0_E_clISt17integral_constantIbLb0EES1A_IbLb1EEEEDaS16_S17_EUlS16_E_NS1_11comp_targetILNS1_3genE8ELNS1_11target_archE1030ELNS1_3gpuE2ELNS1_3repE0EEENS1_30default_config_static_selectorELNS0_4arch9wavefront6targetE1EEEvT1_
	.globl	_ZN7rocprim17ROCPRIM_400000_NS6detail17trampoline_kernelINS0_14default_configENS1_25partition_config_selectorILNS1_17partition_subalgoE1EjNS0_10empty_typeEbEEZZNS1_14partition_implILS5_1ELb0ES3_jN6thrust23THRUST_200600_302600_NS6detail15normal_iteratorINSA_10device_ptrIjEEEEPS6_NSA_18transform_iteratorI7is_evenIjESF_NSA_11use_defaultESK_EENS0_5tupleIJSF_NSA_16discard_iteratorISK_EEEEENSM_IJSG_SG_EEES6_PlJS6_EEE10hipError_tPvRmT3_T4_T5_T6_T7_T9_mT8_P12ihipStream_tbDpT10_ENKUlT_T0_E_clISt17integral_constantIbLb0EES1A_IbLb1EEEEDaS16_S17_EUlS16_E_NS1_11comp_targetILNS1_3genE8ELNS1_11target_archE1030ELNS1_3gpuE2ELNS1_3repE0EEENS1_30default_config_static_selectorELNS0_4arch9wavefront6targetE1EEEvT1_
	.p2align	8
	.type	_ZN7rocprim17ROCPRIM_400000_NS6detail17trampoline_kernelINS0_14default_configENS1_25partition_config_selectorILNS1_17partition_subalgoE1EjNS0_10empty_typeEbEEZZNS1_14partition_implILS5_1ELb0ES3_jN6thrust23THRUST_200600_302600_NS6detail15normal_iteratorINSA_10device_ptrIjEEEEPS6_NSA_18transform_iteratorI7is_evenIjESF_NSA_11use_defaultESK_EENS0_5tupleIJSF_NSA_16discard_iteratorISK_EEEEENSM_IJSG_SG_EEES6_PlJS6_EEE10hipError_tPvRmT3_T4_T5_T6_T7_T9_mT8_P12ihipStream_tbDpT10_ENKUlT_T0_E_clISt17integral_constantIbLb0EES1A_IbLb1EEEEDaS16_S17_EUlS16_E_NS1_11comp_targetILNS1_3genE8ELNS1_11target_archE1030ELNS1_3gpuE2ELNS1_3repE0EEENS1_30default_config_static_selectorELNS0_4arch9wavefront6targetE1EEEvT1_,@function
_ZN7rocprim17ROCPRIM_400000_NS6detail17trampoline_kernelINS0_14default_configENS1_25partition_config_selectorILNS1_17partition_subalgoE1EjNS0_10empty_typeEbEEZZNS1_14partition_implILS5_1ELb0ES3_jN6thrust23THRUST_200600_302600_NS6detail15normal_iteratorINSA_10device_ptrIjEEEEPS6_NSA_18transform_iteratorI7is_evenIjESF_NSA_11use_defaultESK_EENS0_5tupleIJSF_NSA_16discard_iteratorISK_EEEEENSM_IJSG_SG_EEES6_PlJS6_EEE10hipError_tPvRmT3_T4_T5_T6_T7_T9_mT8_P12ihipStream_tbDpT10_ENKUlT_T0_E_clISt17integral_constantIbLb0EES1A_IbLb1EEEEDaS16_S17_EUlS16_E_NS1_11comp_targetILNS1_3genE8ELNS1_11target_archE1030ELNS1_3gpuE2ELNS1_3repE0EEENS1_30default_config_static_selectorELNS0_4arch9wavefront6targetE1EEEvT1_: ; @_ZN7rocprim17ROCPRIM_400000_NS6detail17trampoline_kernelINS0_14default_configENS1_25partition_config_selectorILNS1_17partition_subalgoE1EjNS0_10empty_typeEbEEZZNS1_14partition_implILS5_1ELb0ES3_jN6thrust23THRUST_200600_302600_NS6detail15normal_iteratorINSA_10device_ptrIjEEEEPS6_NSA_18transform_iteratorI7is_evenIjESF_NSA_11use_defaultESK_EENS0_5tupleIJSF_NSA_16discard_iteratorISK_EEEEENSM_IJSG_SG_EEES6_PlJS6_EEE10hipError_tPvRmT3_T4_T5_T6_T7_T9_mT8_P12ihipStream_tbDpT10_ENKUlT_T0_E_clISt17integral_constantIbLb0EES1A_IbLb1EEEEDaS16_S17_EUlS16_E_NS1_11comp_targetILNS1_3genE8ELNS1_11target_archE1030ELNS1_3gpuE2ELNS1_3repE0EEENS1_30default_config_static_selectorELNS0_4arch9wavefront6targetE1EEEvT1_
; %bb.0:
	.section	.rodata,"a",@progbits
	.p2align	6, 0x0
	.amdhsa_kernel _ZN7rocprim17ROCPRIM_400000_NS6detail17trampoline_kernelINS0_14default_configENS1_25partition_config_selectorILNS1_17partition_subalgoE1EjNS0_10empty_typeEbEEZZNS1_14partition_implILS5_1ELb0ES3_jN6thrust23THRUST_200600_302600_NS6detail15normal_iteratorINSA_10device_ptrIjEEEEPS6_NSA_18transform_iteratorI7is_evenIjESF_NSA_11use_defaultESK_EENS0_5tupleIJSF_NSA_16discard_iteratorISK_EEEEENSM_IJSG_SG_EEES6_PlJS6_EEE10hipError_tPvRmT3_T4_T5_T6_T7_T9_mT8_P12ihipStream_tbDpT10_ENKUlT_T0_E_clISt17integral_constantIbLb0EES1A_IbLb1EEEEDaS16_S17_EUlS16_E_NS1_11comp_targetILNS1_3genE8ELNS1_11target_archE1030ELNS1_3gpuE2ELNS1_3repE0EEENS1_30default_config_static_selectorELNS0_4arch9wavefront6targetE1EEEvT1_
		.amdhsa_group_segment_fixed_size 0
		.amdhsa_private_segment_fixed_size 0
		.amdhsa_kernarg_size 152
		.amdhsa_user_sgpr_count 6
		.amdhsa_user_sgpr_private_segment_buffer 1
		.amdhsa_user_sgpr_dispatch_ptr 0
		.amdhsa_user_sgpr_queue_ptr 0
		.amdhsa_user_sgpr_kernarg_segment_ptr 1
		.amdhsa_user_sgpr_dispatch_id 0
		.amdhsa_user_sgpr_flat_scratch_init 0
		.amdhsa_user_sgpr_kernarg_preload_length 0
		.amdhsa_user_sgpr_kernarg_preload_offset 0
		.amdhsa_user_sgpr_private_segment_size 0
		.amdhsa_uses_dynamic_stack 0
		.amdhsa_system_sgpr_private_segment_wavefront_offset 0
		.amdhsa_system_sgpr_workgroup_id_x 1
		.amdhsa_system_sgpr_workgroup_id_y 0
		.amdhsa_system_sgpr_workgroup_id_z 0
		.amdhsa_system_sgpr_workgroup_info 0
		.amdhsa_system_vgpr_workitem_id 0
		.amdhsa_next_free_vgpr 1
		.amdhsa_next_free_sgpr 0
		.amdhsa_accum_offset 4
		.amdhsa_reserve_vcc 0
		.amdhsa_reserve_flat_scratch 0
		.amdhsa_float_round_mode_32 0
		.amdhsa_float_round_mode_16_64 0
		.amdhsa_float_denorm_mode_32 3
		.amdhsa_float_denorm_mode_16_64 3
		.amdhsa_dx10_clamp 1
		.amdhsa_ieee_mode 1
		.amdhsa_fp16_overflow 0
		.amdhsa_tg_split 0
		.amdhsa_exception_fp_ieee_invalid_op 0
		.amdhsa_exception_fp_denorm_src 0
		.amdhsa_exception_fp_ieee_div_zero 0
		.amdhsa_exception_fp_ieee_overflow 0
		.amdhsa_exception_fp_ieee_underflow 0
		.amdhsa_exception_fp_ieee_inexact 0
		.amdhsa_exception_int_div_zero 0
	.end_amdhsa_kernel
	.section	.text._ZN7rocprim17ROCPRIM_400000_NS6detail17trampoline_kernelINS0_14default_configENS1_25partition_config_selectorILNS1_17partition_subalgoE1EjNS0_10empty_typeEbEEZZNS1_14partition_implILS5_1ELb0ES3_jN6thrust23THRUST_200600_302600_NS6detail15normal_iteratorINSA_10device_ptrIjEEEEPS6_NSA_18transform_iteratorI7is_evenIjESF_NSA_11use_defaultESK_EENS0_5tupleIJSF_NSA_16discard_iteratorISK_EEEEENSM_IJSG_SG_EEES6_PlJS6_EEE10hipError_tPvRmT3_T4_T5_T6_T7_T9_mT8_P12ihipStream_tbDpT10_ENKUlT_T0_E_clISt17integral_constantIbLb0EES1A_IbLb1EEEEDaS16_S17_EUlS16_E_NS1_11comp_targetILNS1_3genE8ELNS1_11target_archE1030ELNS1_3gpuE2ELNS1_3repE0EEENS1_30default_config_static_selectorELNS0_4arch9wavefront6targetE1EEEvT1_,"axG",@progbits,_ZN7rocprim17ROCPRIM_400000_NS6detail17trampoline_kernelINS0_14default_configENS1_25partition_config_selectorILNS1_17partition_subalgoE1EjNS0_10empty_typeEbEEZZNS1_14partition_implILS5_1ELb0ES3_jN6thrust23THRUST_200600_302600_NS6detail15normal_iteratorINSA_10device_ptrIjEEEEPS6_NSA_18transform_iteratorI7is_evenIjESF_NSA_11use_defaultESK_EENS0_5tupleIJSF_NSA_16discard_iteratorISK_EEEEENSM_IJSG_SG_EEES6_PlJS6_EEE10hipError_tPvRmT3_T4_T5_T6_T7_T9_mT8_P12ihipStream_tbDpT10_ENKUlT_T0_E_clISt17integral_constantIbLb0EES1A_IbLb1EEEEDaS16_S17_EUlS16_E_NS1_11comp_targetILNS1_3genE8ELNS1_11target_archE1030ELNS1_3gpuE2ELNS1_3repE0EEENS1_30default_config_static_selectorELNS0_4arch9wavefront6targetE1EEEvT1_,comdat
.Lfunc_end3034:
	.size	_ZN7rocprim17ROCPRIM_400000_NS6detail17trampoline_kernelINS0_14default_configENS1_25partition_config_selectorILNS1_17partition_subalgoE1EjNS0_10empty_typeEbEEZZNS1_14partition_implILS5_1ELb0ES3_jN6thrust23THRUST_200600_302600_NS6detail15normal_iteratorINSA_10device_ptrIjEEEEPS6_NSA_18transform_iteratorI7is_evenIjESF_NSA_11use_defaultESK_EENS0_5tupleIJSF_NSA_16discard_iteratorISK_EEEEENSM_IJSG_SG_EEES6_PlJS6_EEE10hipError_tPvRmT3_T4_T5_T6_T7_T9_mT8_P12ihipStream_tbDpT10_ENKUlT_T0_E_clISt17integral_constantIbLb0EES1A_IbLb1EEEEDaS16_S17_EUlS16_E_NS1_11comp_targetILNS1_3genE8ELNS1_11target_archE1030ELNS1_3gpuE2ELNS1_3repE0EEENS1_30default_config_static_selectorELNS0_4arch9wavefront6targetE1EEEvT1_, .Lfunc_end3034-_ZN7rocprim17ROCPRIM_400000_NS6detail17trampoline_kernelINS0_14default_configENS1_25partition_config_selectorILNS1_17partition_subalgoE1EjNS0_10empty_typeEbEEZZNS1_14partition_implILS5_1ELb0ES3_jN6thrust23THRUST_200600_302600_NS6detail15normal_iteratorINSA_10device_ptrIjEEEEPS6_NSA_18transform_iteratorI7is_evenIjESF_NSA_11use_defaultESK_EENS0_5tupleIJSF_NSA_16discard_iteratorISK_EEEEENSM_IJSG_SG_EEES6_PlJS6_EEE10hipError_tPvRmT3_T4_T5_T6_T7_T9_mT8_P12ihipStream_tbDpT10_ENKUlT_T0_E_clISt17integral_constantIbLb0EES1A_IbLb1EEEEDaS16_S17_EUlS16_E_NS1_11comp_targetILNS1_3genE8ELNS1_11target_archE1030ELNS1_3gpuE2ELNS1_3repE0EEENS1_30default_config_static_selectorELNS0_4arch9wavefront6targetE1EEEvT1_
                                        ; -- End function
	.section	.AMDGPU.csdata,"",@progbits
; Kernel info:
; codeLenInByte = 0
; NumSgprs: 4
; NumVgprs: 0
; NumAgprs: 0
; TotalNumVgprs: 0
; ScratchSize: 0
; MemoryBound: 0
; FloatMode: 240
; IeeeMode: 1
; LDSByteSize: 0 bytes/workgroup (compile time only)
; SGPRBlocks: 0
; VGPRBlocks: 0
; NumSGPRsForWavesPerEU: 4
; NumVGPRsForWavesPerEU: 1
; AccumOffset: 4
; Occupancy: 8
; WaveLimiterHint : 0
; COMPUTE_PGM_RSRC2:SCRATCH_EN: 0
; COMPUTE_PGM_RSRC2:USER_SGPR: 6
; COMPUTE_PGM_RSRC2:TRAP_HANDLER: 0
; COMPUTE_PGM_RSRC2:TGID_X_EN: 1
; COMPUTE_PGM_RSRC2:TGID_Y_EN: 0
; COMPUTE_PGM_RSRC2:TGID_Z_EN: 0
; COMPUTE_PGM_RSRC2:TIDIG_COMP_CNT: 0
; COMPUTE_PGM_RSRC3_GFX90A:ACCUM_OFFSET: 0
; COMPUTE_PGM_RSRC3_GFX90A:TG_SPLIT: 0
	.section	.text._ZN7rocprim17ROCPRIM_400000_NS6detail17trampoline_kernelINS0_14default_configENS1_25partition_config_selectorILNS1_17partition_subalgoE1EjNS0_10empty_typeEbEEZZNS1_14partition_implILS5_1ELb0ES3_jN6thrust23THRUST_200600_302600_NS6detail15normal_iteratorINSA_10device_ptrIjEEEEPS6_NSA_18transform_iteratorI7is_evenIjESF_NSA_11use_defaultESK_EENS0_5tupleIJNSA_16discard_iteratorISK_EESF_EEENSM_IJSG_SG_EEES6_PlJS6_EEE10hipError_tPvRmT3_T4_T5_T6_T7_T9_mT8_P12ihipStream_tbDpT10_ENKUlT_T0_E_clISt17integral_constantIbLb0EES1B_EEDaS16_S17_EUlS16_E_NS1_11comp_targetILNS1_3genE0ELNS1_11target_archE4294967295ELNS1_3gpuE0ELNS1_3repE0EEENS1_30default_config_static_selectorELNS0_4arch9wavefront6targetE1EEEvT1_,"axG",@progbits,_ZN7rocprim17ROCPRIM_400000_NS6detail17trampoline_kernelINS0_14default_configENS1_25partition_config_selectorILNS1_17partition_subalgoE1EjNS0_10empty_typeEbEEZZNS1_14partition_implILS5_1ELb0ES3_jN6thrust23THRUST_200600_302600_NS6detail15normal_iteratorINSA_10device_ptrIjEEEEPS6_NSA_18transform_iteratorI7is_evenIjESF_NSA_11use_defaultESK_EENS0_5tupleIJNSA_16discard_iteratorISK_EESF_EEENSM_IJSG_SG_EEES6_PlJS6_EEE10hipError_tPvRmT3_T4_T5_T6_T7_T9_mT8_P12ihipStream_tbDpT10_ENKUlT_T0_E_clISt17integral_constantIbLb0EES1B_EEDaS16_S17_EUlS16_E_NS1_11comp_targetILNS1_3genE0ELNS1_11target_archE4294967295ELNS1_3gpuE0ELNS1_3repE0EEENS1_30default_config_static_selectorELNS0_4arch9wavefront6targetE1EEEvT1_,comdat
	.protected	_ZN7rocprim17ROCPRIM_400000_NS6detail17trampoline_kernelINS0_14default_configENS1_25partition_config_selectorILNS1_17partition_subalgoE1EjNS0_10empty_typeEbEEZZNS1_14partition_implILS5_1ELb0ES3_jN6thrust23THRUST_200600_302600_NS6detail15normal_iteratorINSA_10device_ptrIjEEEEPS6_NSA_18transform_iteratorI7is_evenIjESF_NSA_11use_defaultESK_EENS0_5tupleIJNSA_16discard_iteratorISK_EESF_EEENSM_IJSG_SG_EEES6_PlJS6_EEE10hipError_tPvRmT3_T4_T5_T6_T7_T9_mT8_P12ihipStream_tbDpT10_ENKUlT_T0_E_clISt17integral_constantIbLb0EES1B_EEDaS16_S17_EUlS16_E_NS1_11comp_targetILNS1_3genE0ELNS1_11target_archE4294967295ELNS1_3gpuE0ELNS1_3repE0EEENS1_30default_config_static_selectorELNS0_4arch9wavefront6targetE1EEEvT1_ ; -- Begin function _ZN7rocprim17ROCPRIM_400000_NS6detail17trampoline_kernelINS0_14default_configENS1_25partition_config_selectorILNS1_17partition_subalgoE1EjNS0_10empty_typeEbEEZZNS1_14partition_implILS5_1ELb0ES3_jN6thrust23THRUST_200600_302600_NS6detail15normal_iteratorINSA_10device_ptrIjEEEEPS6_NSA_18transform_iteratorI7is_evenIjESF_NSA_11use_defaultESK_EENS0_5tupleIJNSA_16discard_iteratorISK_EESF_EEENSM_IJSG_SG_EEES6_PlJS6_EEE10hipError_tPvRmT3_T4_T5_T6_T7_T9_mT8_P12ihipStream_tbDpT10_ENKUlT_T0_E_clISt17integral_constantIbLb0EES1B_EEDaS16_S17_EUlS16_E_NS1_11comp_targetILNS1_3genE0ELNS1_11target_archE4294967295ELNS1_3gpuE0ELNS1_3repE0EEENS1_30default_config_static_selectorELNS0_4arch9wavefront6targetE1EEEvT1_
	.globl	_ZN7rocprim17ROCPRIM_400000_NS6detail17trampoline_kernelINS0_14default_configENS1_25partition_config_selectorILNS1_17partition_subalgoE1EjNS0_10empty_typeEbEEZZNS1_14partition_implILS5_1ELb0ES3_jN6thrust23THRUST_200600_302600_NS6detail15normal_iteratorINSA_10device_ptrIjEEEEPS6_NSA_18transform_iteratorI7is_evenIjESF_NSA_11use_defaultESK_EENS0_5tupleIJNSA_16discard_iteratorISK_EESF_EEENSM_IJSG_SG_EEES6_PlJS6_EEE10hipError_tPvRmT3_T4_T5_T6_T7_T9_mT8_P12ihipStream_tbDpT10_ENKUlT_T0_E_clISt17integral_constantIbLb0EES1B_EEDaS16_S17_EUlS16_E_NS1_11comp_targetILNS1_3genE0ELNS1_11target_archE4294967295ELNS1_3gpuE0ELNS1_3repE0EEENS1_30default_config_static_selectorELNS0_4arch9wavefront6targetE1EEEvT1_
	.p2align	8
	.type	_ZN7rocprim17ROCPRIM_400000_NS6detail17trampoline_kernelINS0_14default_configENS1_25partition_config_selectorILNS1_17partition_subalgoE1EjNS0_10empty_typeEbEEZZNS1_14partition_implILS5_1ELb0ES3_jN6thrust23THRUST_200600_302600_NS6detail15normal_iteratorINSA_10device_ptrIjEEEEPS6_NSA_18transform_iteratorI7is_evenIjESF_NSA_11use_defaultESK_EENS0_5tupleIJNSA_16discard_iteratorISK_EESF_EEENSM_IJSG_SG_EEES6_PlJS6_EEE10hipError_tPvRmT3_T4_T5_T6_T7_T9_mT8_P12ihipStream_tbDpT10_ENKUlT_T0_E_clISt17integral_constantIbLb0EES1B_EEDaS16_S17_EUlS16_E_NS1_11comp_targetILNS1_3genE0ELNS1_11target_archE4294967295ELNS1_3gpuE0ELNS1_3repE0EEENS1_30default_config_static_selectorELNS0_4arch9wavefront6targetE1EEEvT1_,@function
_ZN7rocprim17ROCPRIM_400000_NS6detail17trampoline_kernelINS0_14default_configENS1_25partition_config_selectorILNS1_17partition_subalgoE1EjNS0_10empty_typeEbEEZZNS1_14partition_implILS5_1ELb0ES3_jN6thrust23THRUST_200600_302600_NS6detail15normal_iteratorINSA_10device_ptrIjEEEEPS6_NSA_18transform_iteratorI7is_evenIjESF_NSA_11use_defaultESK_EENS0_5tupleIJNSA_16discard_iteratorISK_EESF_EEENSM_IJSG_SG_EEES6_PlJS6_EEE10hipError_tPvRmT3_T4_T5_T6_T7_T9_mT8_P12ihipStream_tbDpT10_ENKUlT_T0_E_clISt17integral_constantIbLb0EES1B_EEDaS16_S17_EUlS16_E_NS1_11comp_targetILNS1_3genE0ELNS1_11target_archE4294967295ELNS1_3gpuE0ELNS1_3repE0EEENS1_30default_config_static_selectorELNS0_4arch9wavefront6targetE1EEEvT1_: ; @_ZN7rocprim17ROCPRIM_400000_NS6detail17trampoline_kernelINS0_14default_configENS1_25partition_config_selectorILNS1_17partition_subalgoE1EjNS0_10empty_typeEbEEZZNS1_14partition_implILS5_1ELb0ES3_jN6thrust23THRUST_200600_302600_NS6detail15normal_iteratorINSA_10device_ptrIjEEEEPS6_NSA_18transform_iteratorI7is_evenIjESF_NSA_11use_defaultESK_EENS0_5tupleIJNSA_16discard_iteratorISK_EESF_EEENSM_IJSG_SG_EEES6_PlJS6_EEE10hipError_tPvRmT3_T4_T5_T6_T7_T9_mT8_P12ihipStream_tbDpT10_ENKUlT_T0_E_clISt17integral_constantIbLb0EES1B_EEDaS16_S17_EUlS16_E_NS1_11comp_targetILNS1_3genE0ELNS1_11target_archE4294967295ELNS1_3gpuE0ELNS1_3repE0EEENS1_30default_config_static_selectorELNS0_4arch9wavefront6targetE1EEEvT1_
; %bb.0:
	.section	.rodata,"a",@progbits
	.p2align	6, 0x0
	.amdhsa_kernel _ZN7rocprim17ROCPRIM_400000_NS6detail17trampoline_kernelINS0_14default_configENS1_25partition_config_selectorILNS1_17partition_subalgoE1EjNS0_10empty_typeEbEEZZNS1_14partition_implILS5_1ELb0ES3_jN6thrust23THRUST_200600_302600_NS6detail15normal_iteratorINSA_10device_ptrIjEEEEPS6_NSA_18transform_iteratorI7is_evenIjESF_NSA_11use_defaultESK_EENS0_5tupleIJNSA_16discard_iteratorISK_EESF_EEENSM_IJSG_SG_EEES6_PlJS6_EEE10hipError_tPvRmT3_T4_T5_T6_T7_T9_mT8_P12ihipStream_tbDpT10_ENKUlT_T0_E_clISt17integral_constantIbLb0EES1B_EEDaS16_S17_EUlS16_E_NS1_11comp_targetILNS1_3genE0ELNS1_11target_archE4294967295ELNS1_3gpuE0ELNS1_3repE0EEENS1_30default_config_static_selectorELNS0_4arch9wavefront6targetE1EEEvT1_
		.amdhsa_group_segment_fixed_size 0
		.amdhsa_private_segment_fixed_size 0
		.amdhsa_kernarg_size 136
		.amdhsa_user_sgpr_count 6
		.amdhsa_user_sgpr_private_segment_buffer 1
		.amdhsa_user_sgpr_dispatch_ptr 0
		.amdhsa_user_sgpr_queue_ptr 0
		.amdhsa_user_sgpr_kernarg_segment_ptr 1
		.amdhsa_user_sgpr_dispatch_id 0
		.amdhsa_user_sgpr_flat_scratch_init 0
		.amdhsa_user_sgpr_kernarg_preload_length 0
		.amdhsa_user_sgpr_kernarg_preload_offset 0
		.amdhsa_user_sgpr_private_segment_size 0
		.amdhsa_uses_dynamic_stack 0
		.amdhsa_system_sgpr_private_segment_wavefront_offset 0
		.amdhsa_system_sgpr_workgroup_id_x 1
		.amdhsa_system_sgpr_workgroup_id_y 0
		.amdhsa_system_sgpr_workgroup_id_z 0
		.amdhsa_system_sgpr_workgroup_info 0
		.amdhsa_system_vgpr_workitem_id 0
		.amdhsa_next_free_vgpr 1
		.amdhsa_next_free_sgpr 0
		.amdhsa_accum_offset 4
		.amdhsa_reserve_vcc 0
		.amdhsa_reserve_flat_scratch 0
		.amdhsa_float_round_mode_32 0
		.amdhsa_float_round_mode_16_64 0
		.amdhsa_float_denorm_mode_32 3
		.amdhsa_float_denorm_mode_16_64 3
		.amdhsa_dx10_clamp 1
		.amdhsa_ieee_mode 1
		.amdhsa_fp16_overflow 0
		.amdhsa_tg_split 0
		.amdhsa_exception_fp_ieee_invalid_op 0
		.amdhsa_exception_fp_denorm_src 0
		.amdhsa_exception_fp_ieee_div_zero 0
		.amdhsa_exception_fp_ieee_overflow 0
		.amdhsa_exception_fp_ieee_underflow 0
		.amdhsa_exception_fp_ieee_inexact 0
		.amdhsa_exception_int_div_zero 0
	.end_amdhsa_kernel
	.section	.text._ZN7rocprim17ROCPRIM_400000_NS6detail17trampoline_kernelINS0_14default_configENS1_25partition_config_selectorILNS1_17partition_subalgoE1EjNS0_10empty_typeEbEEZZNS1_14partition_implILS5_1ELb0ES3_jN6thrust23THRUST_200600_302600_NS6detail15normal_iteratorINSA_10device_ptrIjEEEEPS6_NSA_18transform_iteratorI7is_evenIjESF_NSA_11use_defaultESK_EENS0_5tupleIJNSA_16discard_iteratorISK_EESF_EEENSM_IJSG_SG_EEES6_PlJS6_EEE10hipError_tPvRmT3_T4_T5_T6_T7_T9_mT8_P12ihipStream_tbDpT10_ENKUlT_T0_E_clISt17integral_constantIbLb0EES1B_EEDaS16_S17_EUlS16_E_NS1_11comp_targetILNS1_3genE0ELNS1_11target_archE4294967295ELNS1_3gpuE0ELNS1_3repE0EEENS1_30default_config_static_selectorELNS0_4arch9wavefront6targetE1EEEvT1_,"axG",@progbits,_ZN7rocprim17ROCPRIM_400000_NS6detail17trampoline_kernelINS0_14default_configENS1_25partition_config_selectorILNS1_17partition_subalgoE1EjNS0_10empty_typeEbEEZZNS1_14partition_implILS5_1ELb0ES3_jN6thrust23THRUST_200600_302600_NS6detail15normal_iteratorINSA_10device_ptrIjEEEEPS6_NSA_18transform_iteratorI7is_evenIjESF_NSA_11use_defaultESK_EENS0_5tupleIJNSA_16discard_iteratorISK_EESF_EEENSM_IJSG_SG_EEES6_PlJS6_EEE10hipError_tPvRmT3_T4_T5_T6_T7_T9_mT8_P12ihipStream_tbDpT10_ENKUlT_T0_E_clISt17integral_constantIbLb0EES1B_EEDaS16_S17_EUlS16_E_NS1_11comp_targetILNS1_3genE0ELNS1_11target_archE4294967295ELNS1_3gpuE0ELNS1_3repE0EEENS1_30default_config_static_selectorELNS0_4arch9wavefront6targetE1EEEvT1_,comdat
.Lfunc_end3035:
	.size	_ZN7rocprim17ROCPRIM_400000_NS6detail17trampoline_kernelINS0_14default_configENS1_25partition_config_selectorILNS1_17partition_subalgoE1EjNS0_10empty_typeEbEEZZNS1_14partition_implILS5_1ELb0ES3_jN6thrust23THRUST_200600_302600_NS6detail15normal_iteratorINSA_10device_ptrIjEEEEPS6_NSA_18transform_iteratorI7is_evenIjESF_NSA_11use_defaultESK_EENS0_5tupleIJNSA_16discard_iteratorISK_EESF_EEENSM_IJSG_SG_EEES6_PlJS6_EEE10hipError_tPvRmT3_T4_T5_T6_T7_T9_mT8_P12ihipStream_tbDpT10_ENKUlT_T0_E_clISt17integral_constantIbLb0EES1B_EEDaS16_S17_EUlS16_E_NS1_11comp_targetILNS1_3genE0ELNS1_11target_archE4294967295ELNS1_3gpuE0ELNS1_3repE0EEENS1_30default_config_static_selectorELNS0_4arch9wavefront6targetE1EEEvT1_, .Lfunc_end3035-_ZN7rocprim17ROCPRIM_400000_NS6detail17trampoline_kernelINS0_14default_configENS1_25partition_config_selectorILNS1_17partition_subalgoE1EjNS0_10empty_typeEbEEZZNS1_14partition_implILS5_1ELb0ES3_jN6thrust23THRUST_200600_302600_NS6detail15normal_iteratorINSA_10device_ptrIjEEEEPS6_NSA_18transform_iteratorI7is_evenIjESF_NSA_11use_defaultESK_EENS0_5tupleIJNSA_16discard_iteratorISK_EESF_EEENSM_IJSG_SG_EEES6_PlJS6_EEE10hipError_tPvRmT3_T4_T5_T6_T7_T9_mT8_P12ihipStream_tbDpT10_ENKUlT_T0_E_clISt17integral_constantIbLb0EES1B_EEDaS16_S17_EUlS16_E_NS1_11comp_targetILNS1_3genE0ELNS1_11target_archE4294967295ELNS1_3gpuE0ELNS1_3repE0EEENS1_30default_config_static_selectorELNS0_4arch9wavefront6targetE1EEEvT1_
                                        ; -- End function
	.section	.AMDGPU.csdata,"",@progbits
; Kernel info:
; codeLenInByte = 0
; NumSgprs: 4
; NumVgprs: 0
; NumAgprs: 0
; TotalNumVgprs: 0
; ScratchSize: 0
; MemoryBound: 0
; FloatMode: 240
; IeeeMode: 1
; LDSByteSize: 0 bytes/workgroup (compile time only)
; SGPRBlocks: 0
; VGPRBlocks: 0
; NumSGPRsForWavesPerEU: 4
; NumVGPRsForWavesPerEU: 1
; AccumOffset: 4
; Occupancy: 8
; WaveLimiterHint : 0
; COMPUTE_PGM_RSRC2:SCRATCH_EN: 0
; COMPUTE_PGM_RSRC2:USER_SGPR: 6
; COMPUTE_PGM_RSRC2:TRAP_HANDLER: 0
; COMPUTE_PGM_RSRC2:TGID_X_EN: 1
; COMPUTE_PGM_RSRC2:TGID_Y_EN: 0
; COMPUTE_PGM_RSRC2:TGID_Z_EN: 0
; COMPUTE_PGM_RSRC2:TIDIG_COMP_CNT: 0
; COMPUTE_PGM_RSRC3_GFX90A:ACCUM_OFFSET: 0
; COMPUTE_PGM_RSRC3_GFX90A:TG_SPLIT: 0
	.section	.text._ZN7rocprim17ROCPRIM_400000_NS6detail17trampoline_kernelINS0_14default_configENS1_25partition_config_selectorILNS1_17partition_subalgoE1EjNS0_10empty_typeEbEEZZNS1_14partition_implILS5_1ELb0ES3_jN6thrust23THRUST_200600_302600_NS6detail15normal_iteratorINSA_10device_ptrIjEEEEPS6_NSA_18transform_iteratorI7is_evenIjESF_NSA_11use_defaultESK_EENS0_5tupleIJNSA_16discard_iteratorISK_EESF_EEENSM_IJSG_SG_EEES6_PlJS6_EEE10hipError_tPvRmT3_T4_T5_T6_T7_T9_mT8_P12ihipStream_tbDpT10_ENKUlT_T0_E_clISt17integral_constantIbLb0EES1B_EEDaS16_S17_EUlS16_E_NS1_11comp_targetILNS1_3genE5ELNS1_11target_archE942ELNS1_3gpuE9ELNS1_3repE0EEENS1_30default_config_static_selectorELNS0_4arch9wavefront6targetE1EEEvT1_,"axG",@progbits,_ZN7rocprim17ROCPRIM_400000_NS6detail17trampoline_kernelINS0_14default_configENS1_25partition_config_selectorILNS1_17partition_subalgoE1EjNS0_10empty_typeEbEEZZNS1_14partition_implILS5_1ELb0ES3_jN6thrust23THRUST_200600_302600_NS6detail15normal_iteratorINSA_10device_ptrIjEEEEPS6_NSA_18transform_iteratorI7is_evenIjESF_NSA_11use_defaultESK_EENS0_5tupleIJNSA_16discard_iteratorISK_EESF_EEENSM_IJSG_SG_EEES6_PlJS6_EEE10hipError_tPvRmT3_T4_T5_T6_T7_T9_mT8_P12ihipStream_tbDpT10_ENKUlT_T0_E_clISt17integral_constantIbLb0EES1B_EEDaS16_S17_EUlS16_E_NS1_11comp_targetILNS1_3genE5ELNS1_11target_archE942ELNS1_3gpuE9ELNS1_3repE0EEENS1_30default_config_static_selectorELNS0_4arch9wavefront6targetE1EEEvT1_,comdat
	.protected	_ZN7rocprim17ROCPRIM_400000_NS6detail17trampoline_kernelINS0_14default_configENS1_25partition_config_selectorILNS1_17partition_subalgoE1EjNS0_10empty_typeEbEEZZNS1_14partition_implILS5_1ELb0ES3_jN6thrust23THRUST_200600_302600_NS6detail15normal_iteratorINSA_10device_ptrIjEEEEPS6_NSA_18transform_iteratorI7is_evenIjESF_NSA_11use_defaultESK_EENS0_5tupleIJNSA_16discard_iteratorISK_EESF_EEENSM_IJSG_SG_EEES6_PlJS6_EEE10hipError_tPvRmT3_T4_T5_T6_T7_T9_mT8_P12ihipStream_tbDpT10_ENKUlT_T0_E_clISt17integral_constantIbLb0EES1B_EEDaS16_S17_EUlS16_E_NS1_11comp_targetILNS1_3genE5ELNS1_11target_archE942ELNS1_3gpuE9ELNS1_3repE0EEENS1_30default_config_static_selectorELNS0_4arch9wavefront6targetE1EEEvT1_ ; -- Begin function _ZN7rocprim17ROCPRIM_400000_NS6detail17trampoline_kernelINS0_14default_configENS1_25partition_config_selectorILNS1_17partition_subalgoE1EjNS0_10empty_typeEbEEZZNS1_14partition_implILS5_1ELb0ES3_jN6thrust23THRUST_200600_302600_NS6detail15normal_iteratorINSA_10device_ptrIjEEEEPS6_NSA_18transform_iteratorI7is_evenIjESF_NSA_11use_defaultESK_EENS0_5tupleIJNSA_16discard_iteratorISK_EESF_EEENSM_IJSG_SG_EEES6_PlJS6_EEE10hipError_tPvRmT3_T4_T5_T6_T7_T9_mT8_P12ihipStream_tbDpT10_ENKUlT_T0_E_clISt17integral_constantIbLb0EES1B_EEDaS16_S17_EUlS16_E_NS1_11comp_targetILNS1_3genE5ELNS1_11target_archE942ELNS1_3gpuE9ELNS1_3repE0EEENS1_30default_config_static_selectorELNS0_4arch9wavefront6targetE1EEEvT1_
	.globl	_ZN7rocprim17ROCPRIM_400000_NS6detail17trampoline_kernelINS0_14default_configENS1_25partition_config_selectorILNS1_17partition_subalgoE1EjNS0_10empty_typeEbEEZZNS1_14partition_implILS5_1ELb0ES3_jN6thrust23THRUST_200600_302600_NS6detail15normal_iteratorINSA_10device_ptrIjEEEEPS6_NSA_18transform_iteratorI7is_evenIjESF_NSA_11use_defaultESK_EENS0_5tupleIJNSA_16discard_iteratorISK_EESF_EEENSM_IJSG_SG_EEES6_PlJS6_EEE10hipError_tPvRmT3_T4_T5_T6_T7_T9_mT8_P12ihipStream_tbDpT10_ENKUlT_T0_E_clISt17integral_constantIbLb0EES1B_EEDaS16_S17_EUlS16_E_NS1_11comp_targetILNS1_3genE5ELNS1_11target_archE942ELNS1_3gpuE9ELNS1_3repE0EEENS1_30default_config_static_selectorELNS0_4arch9wavefront6targetE1EEEvT1_
	.p2align	8
	.type	_ZN7rocprim17ROCPRIM_400000_NS6detail17trampoline_kernelINS0_14default_configENS1_25partition_config_selectorILNS1_17partition_subalgoE1EjNS0_10empty_typeEbEEZZNS1_14partition_implILS5_1ELb0ES3_jN6thrust23THRUST_200600_302600_NS6detail15normal_iteratorINSA_10device_ptrIjEEEEPS6_NSA_18transform_iteratorI7is_evenIjESF_NSA_11use_defaultESK_EENS0_5tupleIJNSA_16discard_iteratorISK_EESF_EEENSM_IJSG_SG_EEES6_PlJS6_EEE10hipError_tPvRmT3_T4_T5_T6_T7_T9_mT8_P12ihipStream_tbDpT10_ENKUlT_T0_E_clISt17integral_constantIbLb0EES1B_EEDaS16_S17_EUlS16_E_NS1_11comp_targetILNS1_3genE5ELNS1_11target_archE942ELNS1_3gpuE9ELNS1_3repE0EEENS1_30default_config_static_selectorELNS0_4arch9wavefront6targetE1EEEvT1_,@function
_ZN7rocprim17ROCPRIM_400000_NS6detail17trampoline_kernelINS0_14default_configENS1_25partition_config_selectorILNS1_17partition_subalgoE1EjNS0_10empty_typeEbEEZZNS1_14partition_implILS5_1ELb0ES3_jN6thrust23THRUST_200600_302600_NS6detail15normal_iteratorINSA_10device_ptrIjEEEEPS6_NSA_18transform_iteratorI7is_evenIjESF_NSA_11use_defaultESK_EENS0_5tupleIJNSA_16discard_iteratorISK_EESF_EEENSM_IJSG_SG_EEES6_PlJS6_EEE10hipError_tPvRmT3_T4_T5_T6_T7_T9_mT8_P12ihipStream_tbDpT10_ENKUlT_T0_E_clISt17integral_constantIbLb0EES1B_EEDaS16_S17_EUlS16_E_NS1_11comp_targetILNS1_3genE5ELNS1_11target_archE942ELNS1_3gpuE9ELNS1_3repE0EEENS1_30default_config_static_selectorELNS0_4arch9wavefront6targetE1EEEvT1_: ; @_ZN7rocprim17ROCPRIM_400000_NS6detail17trampoline_kernelINS0_14default_configENS1_25partition_config_selectorILNS1_17partition_subalgoE1EjNS0_10empty_typeEbEEZZNS1_14partition_implILS5_1ELb0ES3_jN6thrust23THRUST_200600_302600_NS6detail15normal_iteratorINSA_10device_ptrIjEEEEPS6_NSA_18transform_iteratorI7is_evenIjESF_NSA_11use_defaultESK_EENS0_5tupleIJNSA_16discard_iteratorISK_EESF_EEENSM_IJSG_SG_EEES6_PlJS6_EEE10hipError_tPvRmT3_T4_T5_T6_T7_T9_mT8_P12ihipStream_tbDpT10_ENKUlT_T0_E_clISt17integral_constantIbLb0EES1B_EEDaS16_S17_EUlS16_E_NS1_11comp_targetILNS1_3genE5ELNS1_11target_archE942ELNS1_3gpuE9ELNS1_3repE0EEENS1_30default_config_static_selectorELNS0_4arch9wavefront6targetE1EEEvT1_
; %bb.0:
	.section	.rodata,"a",@progbits
	.p2align	6, 0x0
	.amdhsa_kernel _ZN7rocprim17ROCPRIM_400000_NS6detail17trampoline_kernelINS0_14default_configENS1_25partition_config_selectorILNS1_17partition_subalgoE1EjNS0_10empty_typeEbEEZZNS1_14partition_implILS5_1ELb0ES3_jN6thrust23THRUST_200600_302600_NS6detail15normal_iteratorINSA_10device_ptrIjEEEEPS6_NSA_18transform_iteratorI7is_evenIjESF_NSA_11use_defaultESK_EENS0_5tupleIJNSA_16discard_iteratorISK_EESF_EEENSM_IJSG_SG_EEES6_PlJS6_EEE10hipError_tPvRmT3_T4_T5_T6_T7_T9_mT8_P12ihipStream_tbDpT10_ENKUlT_T0_E_clISt17integral_constantIbLb0EES1B_EEDaS16_S17_EUlS16_E_NS1_11comp_targetILNS1_3genE5ELNS1_11target_archE942ELNS1_3gpuE9ELNS1_3repE0EEENS1_30default_config_static_selectorELNS0_4arch9wavefront6targetE1EEEvT1_
		.amdhsa_group_segment_fixed_size 0
		.amdhsa_private_segment_fixed_size 0
		.amdhsa_kernarg_size 136
		.amdhsa_user_sgpr_count 6
		.amdhsa_user_sgpr_private_segment_buffer 1
		.amdhsa_user_sgpr_dispatch_ptr 0
		.amdhsa_user_sgpr_queue_ptr 0
		.amdhsa_user_sgpr_kernarg_segment_ptr 1
		.amdhsa_user_sgpr_dispatch_id 0
		.amdhsa_user_sgpr_flat_scratch_init 0
		.amdhsa_user_sgpr_kernarg_preload_length 0
		.amdhsa_user_sgpr_kernarg_preload_offset 0
		.amdhsa_user_sgpr_private_segment_size 0
		.amdhsa_uses_dynamic_stack 0
		.amdhsa_system_sgpr_private_segment_wavefront_offset 0
		.amdhsa_system_sgpr_workgroup_id_x 1
		.amdhsa_system_sgpr_workgroup_id_y 0
		.amdhsa_system_sgpr_workgroup_id_z 0
		.amdhsa_system_sgpr_workgroup_info 0
		.amdhsa_system_vgpr_workitem_id 0
		.amdhsa_next_free_vgpr 1
		.amdhsa_next_free_sgpr 0
		.amdhsa_accum_offset 4
		.amdhsa_reserve_vcc 0
		.amdhsa_reserve_flat_scratch 0
		.amdhsa_float_round_mode_32 0
		.amdhsa_float_round_mode_16_64 0
		.amdhsa_float_denorm_mode_32 3
		.amdhsa_float_denorm_mode_16_64 3
		.amdhsa_dx10_clamp 1
		.amdhsa_ieee_mode 1
		.amdhsa_fp16_overflow 0
		.amdhsa_tg_split 0
		.amdhsa_exception_fp_ieee_invalid_op 0
		.amdhsa_exception_fp_denorm_src 0
		.amdhsa_exception_fp_ieee_div_zero 0
		.amdhsa_exception_fp_ieee_overflow 0
		.amdhsa_exception_fp_ieee_underflow 0
		.amdhsa_exception_fp_ieee_inexact 0
		.amdhsa_exception_int_div_zero 0
	.end_amdhsa_kernel
	.section	.text._ZN7rocprim17ROCPRIM_400000_NS6detail17trampoline_kernelINS0_14default_configENS1_25partition_config_selectorILNS1_17partition_subalgoE1EjNS0_10empty_typeEbEEZZNS1_14partition_implILS5_1ELb0ES3_jN6thrust23THRUST_200600_302600_NS6detail15normal_iteratorINSA_10device_ptrIjEEEEPS6_NSA_18transform_iteratorI7is_evenIjESF_NSA_11use_defaultESK_EENS0_5tupleIJNSA_16discard_iteratorISK_EESF_EEENSM_IJSG_SG_EEES6_PlJS6_EEE10hipError_tPvRmT3_T4_T5_T6_T7_T9_mT8_P12ihipStream_tbDpT10_ENKUlT_T0_E_clISt17integral_constantIbLb0EES1B_EEDaS16_S17_EUlS16_E_NS1_11comp_targetILNS1_3genE5ELNS1_11target_archE942ELNS1_3gpuE9ELNS1_3repE0EEENS1_30default_config_static_selectorELNS0_4arch9wavefront6targetE1EEEvT1_,"axG",@progbits,_ZN7rocprim17ROCPRIM_400000_NS6detail17trampoline_kernelINS0_14default_configENS1_25partition_config_selectorILNS1_17partition_subalgoE1EjNS0_10empty_typeEbEEZZNS1_14partition_implILS5_1ELb0ES3_jN6thrust23THRUST_200600_302600_NS6detail15normal_iteratorINSA_10device_ptrIjEEEEPS6_NSA_18transform_iteratorI7is_evenIjESF_NSA_11use_defaultESK_EENS0_5tupleIJNSA_16discard_iteratorISK_EESF_EEENSM_IJSG_SG_EEES6_PlJS6_EEE10hipError_tPvRmT3_T4_T5_T6_T7_T9_mT8_P12ihipStream_tbDpT10_ENKUlT_T0_E_clISt17integral_constantIbLb0EES1B_EEDaS16_S17_EUlS16_E_NS1_11comp_targetILNS1_3genE5ELNS1_11target_archE942ELNS1_3gpuE9ELNS1_3repE0EEENS1_30default_config_static_selectorELNS0_4arch9wavefront6targetE1EEEvT1_,comdat
.Lfunc_end3036:
	.size	_ZN7rocprim17ROCPRIM_400000_NS6detail17trampoline_kernelINS0_14default_configENS1_25partition_config_selectorILNS1_17partition_subalgoE1EjNS0_10empty_typeEbEEZZNS1_14partition_implILS5_1ELb0ES3_jN6thrust23THRUST_200600_302600_NS6detail15normal_iteratorINSA_10device_ptrIjEEEEPS6_NSA_18transform_iteratorI7is_evenIjESF_NSA_11use_defaultESK_EENS0_5tupleIJNSA_16discard_iteratorISK_EESF_EEENSM_IJSG_SG_EEES6_PlJS6_EEE10hipError_tPvRmT3_T4_T5_T6_T7_T9_mT8_P12ihipStream_tbDpT10_ENKUlT_T0_E_clISt17integral_constantIbLb0EES1B_EEDaS16_S17_EUlS16_E_NS1_11comp_targetILNS1_3genE5ELNS1_11target_archE942ELNS1_3gpuE9ELNS1_3repE0EEENS1_30default_config_static_selectorELNS0_4arch9wavefront6targetE1EEEvT1_, .Lfunc_end3036-_ZN7rocprim17ROCPRIM_400000_NS6detail17trampoline_kernelINS0_14default_configENS1_25partition_config_selectorILNS1_17partition_subalgoE1EjNS0_10empty_typeEbEEZZNS1_14partition_implILS5_1ELb0ES3_jN6thrust23THRUST_200600_302600_NS6detail15normal_iteratorINSA_10device_ptrIjEEEEPS6_NSA_18transform_iteratorI7is_evenIjESF_NSA_11use_defaultESK_EENS0_5tupleIJNSA_16discard_iteratorISK_EESF_EEENSM_IJSG_SG_EEES6_PlJS6_EEE10hipError_tPvRmT3_T4_T5_T6_T7_T9_mT8_P12ihipStream_tbDpT10_ENKUlT_T0_E_clISt17integral_constantIbLb0EES1B_EEDaS16_S17_EUlS16_E_NS1_11comp_targetILNS1_3genE5ELNS1_11target_archE942ELNS1_3gpuE9ELNS1_3repE0EEENS1_30default_config_static_selectorELNS0_4arch9wavefront6targetE1EEEvT1_
                                        ; -- End function
	.section	.AMDGPU.csdata,"",@progbits
; Kernel info:
; codeLenInByte = 0
; NumSgprs: 4
; NumVgprs: 0
; NumAgprs: 0
; TotalNumVgprs: 0
; ScratchSize: 0
; MemoryBound: 0
; FloatMode: 240
; IeeeMode: 1
; LDSByteSize: 0 bytes/workgroup (compile time only)
; SGPRBlocks: 0
; VGPRBlocks: 0
; NumSGPRsForWavesPerEU: 4
; NumVGPRsForWavesPerEU: 1
; AccumOffset: 4
; Occupancy: 8
; WaveLimiterHint : 0
; COMPUTE_PGM_RSRC2:SCRATCH_EN: 0
; COMPUTE_PGM_RSRC2:USER_SGPR: 6
; COMPUTE_PGM_RSRC2:TRAP_HANDLER: 0
; COMPUTE_PGM_RSRC2:TGID_X_EN: 1
; COMPUTE_PGM_RSRC2:TGID_Y_EN: 0
; COMPUTE_PGM_RSRC2:TGID_Z_EN: 0
; COMPUTE_PGM_RSRC2:TIDIG_COMP_CNT: 0
; COMPUTE_PGM_RSRC3_GFX90A:ACCUM_OFFSET: 0
; COMPUTE_PGM_RSRC3_GFX90A:TG_SPLIT: 0
	.section	.text._ZN7rocprim17ROCPRIM_400000_NS6detail17trampoline_kernelINS0_14default_configENS1_25partition_config_selectorILNS1_17partition_subalgoE1EjNS0_10empty_typeEbEEZZNS1_14partition_implILS5_1ELb0ES3_jN6thrust23THRUST_200600_302600_NS6detail15normal_iteratorINSA_10device_ptrIjEEEEPS6_NSA_18transform_iteratorI7is_evenIjESF_NSA_11use_defaultESK_EENS0_5tupleIJNSA_16discard_iteratorISK_EESF_EEENSM_IJSG_SG_EEES6_PlJS6_EEE10hipError_tPvRmT3_T4_T5_T6_T7_T9_mT8_P12ihipStream_tbDpT10_ENKUlT_T0_E_clISt17integral_constantIbLb0EES1B_EEDaS16_S17_EUlS16_E_NS1_11comp_targetILNS1_3genE4ELNS1_11target_archE910ELNS1_3gpuE8ELNS1_3repE0EEENS1_30default_config_static_selectorELNS0_4arch9wavefront6targetE1EEEvT1_,"axG",@progbits,_ZN7rocprim17ROCPRIM_400000_NS6detail17trampoline_kernelINS0_14default_configENS1_25partition_config_selectorILNS1_17partition_subalgoE1EjNS0_10empty_typeEbEEZZNS1_14partition_implILS5_1ELb0ES3_jN6thrust23THRUST_200600_302600_NS6detail15normal_iteratorINSA_10device_ptrIjEEEEPS6_NSA_18transform_iteratorI7is_evenIjESF_NSA_11use_defaultESK_EENS0_5tupleIJNSA_16discard_iteratorISK_EESF_EEENSM_IJSG_SG_EEES6_PlJS6_EEE10hipError_tPvRmT3_T4_T5_T6_T7_T9_mT8_P12ihipStream_tbDpT10_ENKUlT_T0_E_clISt17integral_constantIbLb0EES1B_EEDaS16_S17_EUlS16_E_NS1_11comp_targetILNS1_3genE4ELNS1_11target_archE910ELNS1_3gpuE8ELNS1_3repE0EEENS1_30default_config_static_selectorELNS0_4arch9wavefront6targetE1EEEvT1_,comdat
	.protected	_ZN7rocprim17ROCPRIM_400000_NS6detail17trampoline_kernelINS0_14default_configENS1_25partition_config_selectorILNS1_17partition_subalgoE1EjNS0_10empty_typeEbEEZZNS1_14partition_implILS5_1ELb0ES3_jN6thrust23THRUST_200600_302600_NS6detail15normal_iteratorINSA_10device_ptrIjEEEEPS6_NSA_18transform_iteratorI7is_evenIjESF_NSA_11use_defaultESK_EENS0_5tupleIJNSA_16discard_iteratorISK_EESF_EEENSM_IJSG_SG_EEES6_PlJS6_EEE10hipError_tPvRmT3_T4_T5_T6_T7_T9_mT8_P12ihipStream_tbDpT10_ENKUlT_T0_E_clISt17integral_constantIbLb0EES1B_EEDaS16_S17_EUlS16_E_NS1_11comp_targetILNS1_3genE4ELNS1_11target_archE910ELNS1_3gpuE8ELNS1_3repE0EEENS1_30default_config_static_selectorELNS0_4arch9wavefront6targetE1EEEvT1_ ; -- Begin function _ZN7rocprim17ROCPRIM_400000_NS6detail17trampoline_kernelINS0_14default_configENS1_25partition_config_selectorILNS1_17partition_subalgoE1EjNS0_10empty_typeEbEEZZNS1_14partition_implILS5_1ELb0ES3_jN6thrust23THRUST_200600_302600_NS6detail15normal_iteratorINSA_10device_ptrIjEEEEPS6_NSA_18transform_iteratorI7is_evenIjESF_NSA_11use_defaultESK_EENS0_5tupleIJNSA_16discard_iteratorISK_EESF_EEENSM_IJSG_SG_EEES6_PlJS6_EEE10hipError_tPvRmT3_T4_T5_T6_T7_T9_mT8_P12ihipStream_tbDpT10_ENKUlT_T0_E_clISt17integral_constantIbLb0EES1B_EEDaS16_S17_EUlS16_E_NS1_11comp_targetILNS1_3genE4ELNS1_11target_archE910ELNS1_3gpuE8ELNS1_3repE0EEENS1_30default_config_static_selectorELNS0_4arch9wavefront6targetE1EEEvT1_
	.globl	_ZN7rocprim17ROCPRIM_400000_NS6detail17trampoline_kernelINS0_14default_configENS1_25partition_config_selectorILNS1_17partition_subalgoE1EjNS0_10empty_typeEbEEZZNS1_14partition_implILS5_1ELb0ES3_jN6thrust23THRUST_200600_302600_NS6detail15normal_iteratorINSA_10device_ptrIjEEEEPS6_NSA_18transform_iteratorI7is_evenIjESF_NSA_11use_defaultESK_EENS0_5tupleIJNSA_16discard_iteratorISK_EESF_EEENSM_IJSG_SG_EEES6_PlJS6_EEE10hipError_tPvRmT3_T4_T5_T6_T7_T9_mT8_P12ihipStream_tbDpT10_ENKUlT_T0_E_clISt17integral_constantIbLb0EES1B_EEDaS16_S17_EUlS16_E_NS1_11comp_targetILNS1_3genE4ELNS1_11target_archE910ELNS1_3gpuE8ELNS1_3repE0EEENS1_30default_config_static_selectorELNS0_4arch9wavefront6targetE1EEEvT1_
	.p2align	8
	.type	_ZN7rocprim17ROCPRIM_400000_NS6detail17trampoline_kernelINS0_14default_configENS1_25partition_config_selectorILNS1_17partition_subalgoE1EjNS0_10empty_typeEbEEZZNS1_14partition_implILS5_1ELb0ES3_jN6thrust23THRUST_200600_302600_NS6detail15normal_iteratorINSA_10device_ptrIjEEEEPS6_NSA_18transform_iteratorI7is_evenIjESF_NSA_11use_defaultESK_EENS0_5tupleIJNSA_16discard_iteratorISK_EESF_EEENSM_IJSG_SG_EEES6_PlJS6_EEE10hipError_tPvRmT3_T4_T5_T6_T7_T9_mT8_P12ihipStream_tbDpT10_ENKUlT_T0_E_clISt17integral_constantIbLb0EES1B_EEDaS16_S17_EUlS16_E_NS1_11comp_targetILNS1_3genE4ELNS1_11target_archE910ELNS1_3gpuE8ELNS1_3repE0EEENS1_30default_config_static_selectorELNS0_4arch9wavefront6targetE1EEEvT1_,@function
_ZN7rocprim17ROCPRIM_400000_NS6detail17trampoline_kernelINS0_14default_configENS1_25partition_config_selectorILNS1_17partition_subalgoE1EjNS0_10empty_typeEbEEZZNS1_14partition_implILS5_1ELb0ES3_jN6thrust23THRUST_200600_302600_NS6detail15normal_iteratorINSA_10device_ptrIjEEEEPS6_NSA_18transform_iteratorI7is_evenIjESF_NSA_11use_defaultESK_EENS0_5tupleIJNSA_16discard_iteratorISK_EESF_EEENSM_IJSG_SG_EEES6_PlJS6_EEE10hipError_tPvRmT3_T4_T5_T6_T7_T9_mT8_P12ihipStream_tbDpT10_ENKUlT_T0_E_clISt17integral_constantIbLb0EES1B_EEDaS16_S17_EUlS16_E_NS1_11comp_targetILNS1_3genE4ELNS1_11target_archE910ELNS1_3gpuE8ELNS1_3repE0EEENS1_30default_config_static_selectorELNS0_4arch9wavefront6targetE1EEEvT1_: ; @_ZN7rocprim17ROCPRIM_400000_NS6detail17trampoline_kernelINS0_14default_configENS1_25partition_config_selectorILNS1_17partition_subalgoE1EjNS0_10empty_typeEbEEZZNS1_14partition_implILS5_1ELb0ES3_jN6thrust23THRUST_200600_302600_NS6detail15normal_iteratorINSA_10device_ptrIjEEEEPS6_NSA_18transform_iteratorI7is_evenIjESF_NSA_11use_defaultESK_EENS0_5tupleIJNSA_16discard_iteratorISK_EESF_EEENSM_IJSG_SG_EEES6_PlJS6_EEE10hipError_tPvRmT3_T4_T5_T6_T7_T9_mT8_P12ihipStream_tbDpT10_ENKUlT_T0_E_clISt17integral_constantIbLb0EES1B_EEDaS16_S17_EUlS16_E_NS1_11comp_targetILNS1_3genE4ELNS1_11target_archE910ELNS1_3gpuE8ELNS1_3repE0EEENS1_30default_config_static_selectorELNS0_4arch9wavefront6targetE1EEEvT1_
; %bb.0:
	s_load_dwordx2 s[0:1], s[4:5], 0x68
	s_load_dwordx4 s[24:27], s[4:5], 0x8
	s_load_dwordx2 s[2:3], s[4:5], 0x20
	s_load_dwordx4 s[20:23], s[4:5], 0x58
	s_mul_i32 s10, s6, 0x700
	s_waitcnt lgkmcnt(0)
	v_mov_b32_e32 v3, s1
	s_load_dword s1, s[4:5], 0x80
	s_lshl_b64 s[8:9], s[26:27], 2
	s_add_u32 s7, s24, s8
	s_addc_u32 s12, s25, s9
	v_mov_b32_e32 v2, s0
	s_waitcnt lgkmcnt(0)
	s_add_i32 s13, s1, -1
	s_mulk_i32 s1, 0x700
	s_add_i32 s11, s1, s26
	s_sub_i32 s33, s0, s11
	s_addk_i32 s33, 0x700
	s_add_u32 s0, s26, s1
	s_addc_u32 s1, s27, 0
	s_cmp_eq_u32 s6, s13
	s_load_dwordx2 s[28:29], s[22:23], 0x0
	s_cselect_b64 s[22:23], -1, 0
	s_cmp_lg_u32 s6, s13
	s_mov_b32 s11, 0
	v_cmp_lt_u64_e32 vcc, s[0:1], v[2:3]
	s_cselect_b64 s[0:1], -1, 0
	s_or_b64 s[24:25], s[0:1], vcc
	s_lshl_b64 s[30:31], s[10:11], 2
	s_add_u32 s7, s7, s30
	s_addc_u32 s12, s12, s31
	s_mov_b64 s[0:1], -1
	s_and_b64 vcc, exec, s[24:25]
	v_lshlrev_b32_e32 v18, 2, v0
	s_cbranch_vccz .LBB3037_2
; %bb.1:
	v_mov_b32_e32 v1, s12
	v_add_co_u32_e32 v2, vcc, s7, v18
	v_addc_co_u32_e32 v3, vcc, 0, v1, vcc
	v_add_co_u32_e32 v4, vcc, 0x1000, v2
	v_addc_co_u32_e32 v5, vcc, 0, v3, vcc
	flat_load_dword v1, v[2:3]
	flat_load_dword v6, v[2:3] offset:1024
	flat_load_dword v7, v[2:3] offset:2048
	;; [unrolled: 1-line block ×3, first 2 shown]
	flat_load_dword v9, v[4:5]
	flat_load_dword v10, v[4:5] offset:1024
	flat_load_dword v11, v[4:5] offset:2048
	s_mov_b64 s[0:1], 0
	s_waitcnt vmcnt(0) lgkmcnt(0)
	ds_write2st64_b32 v18, v1, v6 offset1:4
	ds_write2st64_b32 v18, v7, v8 offset0:8 offset1:12
	ds_write2st64_b32 v18, v9, v10 offset0:16 offset1:20
	ds_write_b32 v18, v11 offset:6144
	s_waitcnt lgkmcnt(0)
	s_barrier
.LBB3037_2:
	s_andn2_b64 vcc, exec, s[0:1]
	v_cmp_gt_u32_e64 s[0:1], s33, v0
	s_cbranch_vccnz .LBB3037_18
; %bb.3:
                                        ; implicit-def: $vgpr2_vgpr3_vgpr4_vgpr5_vgpr6_vgpr7_vgpr8
	s_and_saveexec_b64 s[10:11], s[0:1]
	s_cbranch_execz .LBB3037_5
; %bb.4:
	v_mov_b32_e32 v1, s12
	v_add_co_u32_e32 v2, vcc, s7, v18
	v_addc_co_u32_e32 v3, vcc, 0, v1, vcc
	flat_load_dword v2, v[2:3]
.LBB3037_5:
	s_or_b64 exec, exec, s[10:11]
	v_or_b32_e32 v1, 0x100, v0
	v_cmp_gt_u32_e32 vcc, s33, v1
	s_and_saveexec_b64 s[0:1], vcc
	s_cbranch_execz .LBB3037_7
; %bb.6:
	v_mov_b32_e32 v1, s12
	v_add_co_u32_e32 v10, vcc, s7, v18
	v_addc_co_u32_e32 v11, vcc, 0, v1, vcc
	flat_load_dword v3, v[10:11] offset:1024
.LBB3037_7:
	s_or_b64 exec, exec, s[0:1]
	v_or_b32_e32 v1, 0x200, v0
	v_cmp_gt_u32_e32 vcc, s33, v1
	s_and_saveexec_b64 s[0:1], vcc
	s_cbranch_execz .LBB3037_9
; %bb.8:
	v_mov_b32_e32 v1, s12
	v_add_co_u32_e32 v10, vcc, s7, v18
	v_addc_co_u32_e32 v11, vcc, 0, v1, vcc
	flat_load_dword v4, v[10:11] offset:2048
.LBB3037_9:
	;; [unrolled: 11-line block ×3, first 2 shown]
	s_or_b64 exec, exec, s[0:1]
	v_or_b32_e32 v1, 0x400, v0
	v_cmp_gt_u32_e32 vcc, s33, v1
	s_and_saveexec_b64 s[0:1], vcc
	s_cbranch_execz .LBB3037_13
; %bb.12:
	v_lshlrev_b32_e32 v1, 2, v1
	v_mov_b32_e32 v6, s12
	v_add_co_u32_e32 v10, vcc, s7, v1
	v_addc_co_u32_e32 v11, vcc, 0, v6, vcc
	flat_load_dword v6, v[10:11]
.LBB3037_13:
	s_or_b64 exec, exec, s[0:1]
	v_or_b32_e32 v1, 0x500, v0
	v_cmp_gt_u32_e32 vcc, s33, v1
	s_and_saveexec_b64 s[0:1], vcc
	s_cbranch_execz .LBB3037_15
; %bb.14:
	v_lshlrev_b32_e32 v1, 2, v1
	v_mov_b32_e32 v7, s12
	v_add_co_u32_e32 v10, vcc, s7, v1
	v_addc_co_u32_e32 v11, vcc, 0, v7, vcc
	flat_load_dword v7, v[10:11]
.LBB3037_15:
	;; [unrolled: 12-line block ×3, first 2 shown]
	s_or_b64 exec, exec, s[0:1]
	s_waitcnt vmcnt(0) lgkmcnt(0)
	ds_write2st64_b32 v18, v2, v3 offset1:4
	ds_write2st64_b32 v18, v4, v5 offset0:8 offset1:12
	ds_write2st64_b32 v18, v6, v7 offset0:16 offset1:20
	ds_write_b32 v18, v8 offset:6144
	s_waitcnt lgkmcnt(0)
	s_barrier
.LBB3037_18:
	v_mul_u32_u24_e32 v19, 7, v0
	v_lshlrev_b32_e32 v8, 2, v19
	s_waitcnt lgkmcnt(0)
	ds_read2_b32 v[6:7], v8 offset1:1
	ds_read2_b32 v[4:5], v8 offset0:2 offset1:3
	ds_read2_b32 v[2:3], v8 offset0:4 offset1:5
	ds_read_b32 v1, v8 offset:24
	s_add_u32 s0, s2, s8
	s_addc_u32 s1, s3, s9
	s_add_u32 s0, s0, s30
	s_addc_u32 s1, s1, s31
	s_mov_b64 s[2:3], -1
	s_and_b64 vcc, exec, s[24:25]
	s_waitcnt lgkmcnt(0)
	s_barrier
	s_cbranch_vccz .LBB3037_20
; %bb.19:
	v_mov_b32_e32 v9, s1
	v_add_co_u32_e32 v10, vcc, s0, v18
	v_addc_co_u32_e32 v9, vcc, 0, v9, vcc
	s_movk_i32 s2, 0x1000
	v_add_co_u32_e32 v10, vcc, s2, v10
	global_load_dword v12, v18, s[0:1]
	global_load_dword v13, v18, s[0:1] offset:1024
	global_load_dword v14, v18, s[0:1] offset:2048
	;; [unrolled: 1-line block ×3, first 2 shown]
	v_addc_co_u32_e32 v11, vcc, 0, v9, vcc
	global_load_dword v9, v[10:11], off
	global_load_dword v16, v[10:11], off offset:1024
	global_load_dword v17, v[10:11], off offset:2048
	s_mov_b64 s[2:3], 0
	s_waitcnt vmcnt(6)
	v_xor_b32_e32 v10, -1, v12
	s_waitcnt vmcnt(5)
	v_xor_b32_e32 v11, -1, v13
	s_waitcnt vmcnt(4)
	v_xor_b32_e32 v12, -1, v14
	s_waitcnt vmcnt(3)
	v_xor_b32_e32 v13, -1, v15
	v_and_b32_e32 v10, 1, v10
	v_and_b32_e32 v11, 1, v11
	s_waitcnt vmcnt(2)
	v_xor_b32_e32 v9, -1, v9
	v_and_b32_e32 v12, 1, v12
	v_and_b32_e32 v13, 1, v13
	ds_write_b8 v0, v10
	ds_write_b8 v0, v11 offset:256
	ds_write_b8 v0, v12 offset:512
	;; [unrolled: 1-line block ×3, first 2 shown]
	s_waitcnt vmcnt(1)
	v_xor_b32_e32 v10, -1, v16
	s_waitcnt vmcnt(0)
	v_xor_b32_e32 v11, -1, v17
	v_and_b32_e32 v9, 1, v9
	v_and_b32_e32 v10, 1, v10
	;; [unrolled: 1-line block ×3, first 2 shown]
	ds_write_b8 v0, v9 offset:1024
	ds_write_b8 v0, v10 offset:1280
	;; [unrolled: 1-line block ×3, first 2 shown]
	s_waitcnt lgkmcnt(0)
	s_barrier
.LBB3037_20:
	s_load_dwordx2 s[34:35], s[4:5], 0x78
	s_andn2_b64 vcc, exec, s[2:3]
	s_cbranch_vccnz .LBB3037_36
; %bb.21:
	v_cmp_gt_u32_e32 vcc, s33, v0
	v_mov_b32_e32 v9, 0
	v_mov_b32_e32 v10, 0
	s_and_saveexec_b64 s[2:3], vcc
	s_cbranch_execz .LBB3037_23
; %bb.22:
	global_load_dword v10, v18, s[0:1]
	s_waitcnt vmcnt(0)
	v_xor_b32_e32 v10, -1, v10
	v_and_b32_e32 v10, 1, v10
.LBB3037_23:
	s_or_b64 exec, exec, s[2:3]
	v_or_b32_e32 v11, 0x100, v0
	v_cmp_gt_u32_e32 vcc, s33, v11
	s_and_saveexec_b64 s[2:3], vcc
	s_cbranch_execz .LBB3037_25
; %bb.24:
	global_load_dword v9, v18, s[0:1] offset:1024
	s_waitcnt vmcnt(0)
	v_xor_b32_e32 v9, -1, v9
	v_and_b32_e32 v9, 1, v9
.LBB3037_25:
	s_or_b64 exec, exec, s[2:3]
	v_or_b32_e32 v11, 0x200, v0
	v_cmp_gt_u32_e32 vcc, s33, v11
	v_mov_b32_e32 v11, 0
	v_mov_b32_e32 v12, 0
	s_and_saveexec_b64 s[2:3], vcc
	s_cbranch_execz .LBB3037_27
; %bb.26:
	global_load_dword v12, v18, s[0:1] offset:2048
	s_waitcnt vmcnt(0)
	v_xor_b32_e32 v12, -1, v12
	v_and_b32_e32 v12, 1, v12
.LBB3037_27:
	s_or_b64 exec, exec, s[2:3]
	v_or_b32_e32 v13, 0x300, v0
	v_cmp_gt_u32_e32 vcc, s33, v13
	s_and_saveexec_b64 s[2:3], vcc
	s_cbranch_execz .LBB3037_29
; %bb.28:
	global_load_dword v11, v18, s[0:1] offset:3072
	s_waitcnt vmcnt(0)
	v_xor_b32_e32 v11, -1, v11
	v_and_b32_e32 v11, 1, v11
.LBB3037_29:
	s_or_b64 exec, exec, s[2:3]
	v_or_b32_e32 v15, 0x400, v0
	v_cmp_gt_u32_e32 vcc, s33, v15
	v_mov_b32_e32 v13, 0
	v_mov_b32_e32 v14, 0
	s_and_saveexec_b64 s[2:3], vcc
	s_cbranch_execz .LBB3037_31
; %bb.30:
	v_lshlrev_b32_e32 v14, 2, v15
	global_load_dword v14, v14, s[0:1]
	s_waitcnt vmcnt(0)
	v_xor_b32_e32 v14, -1, v14
	v_and_b32_e32 v14, 1, v14
.LBB3037_31:
	s_or_b64 exec, exec, s[2:3]
	v_or_b32_e32 v15, 0x500, v0
	v_cmp_gt_u32_e32 vcc, s33, v15
	s_and_saveexec_b64 s[2:3], vcc
	s_cbranch_execz .LBB3037_33
; %bb.32:
	v_lshlrev_b32_e32 v13, 2, v15
	global_load_dword v13, v13, s[0:1]
	s_waitcnt vmcnt(0)
	v_xor_b32_e32 v13, -1, v13
	v_and_b32_e32 v13, 1, v13
.LBB3037_33:
	s_or_b64 exec, exec, s[2:3]
	v_or_b32_e32 v16, 0x600, v0
	v_cmp_gt_u32_e32 vcc, s33, v16
	v_mov_b32_e32 v15, 0
	s_and_saveexec_b64 s[2:3], vcc
	s_cbranch_execz .LBB3037_35
; %bb.34:
	v_lshlrev_b32_e32 v15, 2, v16
	global_load_dword v15, v15, s[0:1]
	s_waitcnt vmcnt(0)
	v_xor_b32_e32 v15, -1, v15
	v_and_b32_e32 v15, 1, v15
.LBB3037_35:
	s_or_b64 exec, exec, s[2:3]
	ds_write_b8 v0, v10
	ds_write_b8 v0, v9 offset:256
	ds_write_b8 v0, v12 offset:512
	;; [unrolled: 1-line block ×6, first 2 shown]
	s_waitcnt lgkmcnt(0)
	s_barrier
.LBB3037_36:
	s_movk_i32 s0, 0xffeb
	v_mad_i32_i24 v28, v0, s0, v8
	s_waitcnt lgkmcnt(0)
	ds_read_u8 v8, v28
	ds_read_u8 v9, v28 offset:1
	ds_read_u8 v10, v28 offset:2
	;; [unrolled: 1-line block ×6, first 2 shown]
	s_waitcnt lgkmcnt(6)
	v_and_b32_e32 v26, 1, v8
	s_waitcnt lgkmcnt(5)
	v_and_b32_e32 v25, 1, v9
	;; [unrolled: 2-line block ×5, first 2 shown]
	v_add3_u32 v8, v25, v26, v24
	s_waitcnt lgkmcnt(1)
	v_and_b32_e32 v21, 1, v13
	s_waitcnt lgkmcnt(0)
	v_and_b32_e32 v20, 1, v14
	v_add3_u32 v8, v8, v23, v22
	v_add3_u32 v30, v8, v21, v20
	v_mbcnt_lo_u32_b32 v8, -1, 0
	v_mbcnt_hi_u32_b32 v27, -1, v8
	v_and_b32_e32 v8, 15, v27
	v_cmp_eq_u32_e64 s[14:15], 0, v8
	v_cmp_lt_u32_e64 s[12:13], 1, v8
	v_cmp_lt_u32_e64 s[10:11], 3, v8
	;; [unrolled: 1-line block ×3, first 2 shown]
	v_and_b32_e32 v8, 16, v27
	v_cmp_eq_u32_e64 s[18:19], 0, v8
	v_or_b32_e32 v8, 63, v0
	s_cmp_lg_u32 s6, 0
	v_cmp_lt_u32_e64 s[0:1], 31, v27
	v_lshrrev_b32_e32 v29, 6, v0
	v_cmp_eq_u32_e64 s[2:3], v8, v0
	s_barrier
	s_cbranch_scc0 .LBB3037_63
; %bb.37:
	v_mov_b32_dpp v8, v30 row_shr:1 row_mask:0xf bank_mask:0xf
	v_cndmask_b32_e64 v8, v8, 0, s[14:15]
	v_add_u32_e32 v8, v8, v30
	s_nop 1
	v_mov_b32_dpp v9, v8 row_shr:2 row_mask:0xf bank_mask:0xf
	v_cndmask_b32_e64 v9, 0, v9, s[12:13]
	v_add_u32_e32 v8, v8, v9
	s_nop 1
	;; [unrolled: 4-line block ×4, first 2 shown]
	v_mov_b32_dpp v9, v8 row_bcast:15 row_mask:0xf bank_mask:0xf
	v_cndmask_b32_e64 v9, v9, 0, s[18:19]
	v_add_u32_e32 v8, v8, v9
	s_nop 1
	v_mov_b32_dpp v9, v8 row_bcast:31 row_mask:0xf bank_mask:0xf
	v_cndmask_b32_e64 v9, 0, v9, s[0:1]
	v_add_u32_e32 v8, v8, v9
	s_and_saveexec_b64 s[16:17], s[2:3]
	s_cbranch_execz .LBB3037_39
; %bb.38:
	v_lshlrev_b32_e32 v9, 2, v29
	ds_write_b32 v9, v8
.LBB3037_39:
	s_or_b64 exec, exec, s[16:17]
	v_cmp_gt_u32_e32 vcc, 4, v0
	s_waitcnt lgkmcnt(0)
	s_barrier
	s_and_saveexec_b64 s[16:17], vcc
	s_cbranch_execz .LBB3037_41
; %bb.40:
	ds_read_b32 v9, v18
	v_and_b32_e32 v10, 3, v27
	v_cmp_ne_u32_e32 vcc, 0, v10
	s_waitcnt lgkmcnt(0)
	v_mov_b32_dpp v11, v9 row_shr:1 row_mask:0xf bank_mask:0xf
	v_cndmask_b32_e32 v11, 0, v11, vcc
	v_add_u32_e32 v9, v11, v9
	v_cmp_lt_u32_e32 vcc, 1, v10
	s_nop 0
	v_mov_b32_dpp v11, v9 row_shr:2 row_mask:0xf bank_mask:0xf
	v_cndmask_b32_e32 v10, 0, v11, vcc
	v_add_u32_e32 v9, v9, v10
	ds_write_b32 v18, v9
.LBB3037_41:
	s_or_b64 exec, exec, s[16:17]
	v_cmp_gt_u32_e32 vcc, 64, v0
	v_cmp_lt_u32_e64 s[16:17], 63, v0
	s_waitcnt lgkmcnt(0)
	s_barrier
	s_waitcnt lgkmcnt(0)
                                        ; implicit-def: $vgpr31
	s_and_saveexec_b64 s[36:37], s[16:17]
	s_cbranch_execz .LBB3037_43
; %bb.42:
	v_lshl_add_u32 v9, v29, 2, -4
	ds_read_b32 v31, v9
	s_waitcnt lgkmcnt(0)
	v_add_u32_e32 v8, v31, v8
.LBB3037_43:
	s_or_b64 exec, exec, s[36:37]
	v_add_u32_e32 v9, -1, v27
	v_and_b32_e32 v10, 64, v27
	v_cmp_lt_i32_e64 s[16:17], v9, v10
	v_cndmask_b32_e64 v9, v9, v27, s[16:17]
	v_lshlrev_b32_e32 v9, 2, v9
	ds_bpermute_b32 v32, v9, v8
	v_cmp_eq_u32_e64 s[16:17], 0, v27
	s_and_saveexec_b64 s[36:37], vcc
	s_cbranch_execz .LBB3037_62
; %bb.44:
	v_mov_b32_e32 v15, 0
	ds_read_b32 v8, v15 offset:12
	s_and_saveexec_b64 s[38:39], s[16:17]
	s_cbranch_execz .LBB3037_46
; %bb.45:
	s_add_i32 s40, s6, 64
	s_mov_b32 s41, 0
	s_lshl_b64 s[40:41], s[40:41], 3
	s_add_u32 s40, s34, s40
	v_mov_b32_e32 v9, 1
	s_addc_u32 s41, s35, s41
	s_waitcnt lgkmcnt(0)
	global_store_dwordx2 v15, v[8:9], s[40:41]
.LBB3037_46:
	s_or_b64 exec, exec, s[38:39]
	v_xad_u32 v10, v27, -1, s6
	v_add_u32_e32 v14, 64, v10
	v_lshlrev_b64 v[12:13], 3, v[14:15]
	v_mov_b32_e32 v9, s35
	v_add_co_u32_e32 v16, vcc, s34, v12
	v_addc_co_u32_e32 v17, vcc, v9, v13, vcc
	global_load_dwordx2 v[12:13], v[16:17], off glc
	s_waitcnt vmcnt(0)
	v_cmp_eq_u16_sdwa s[40:41], v13, v15 src0_sel:BYTE_0 src1_sel:DWORD
	s_and_saveexec_b64 s[38:39], s[40:41]
	s_cbranch_execz .LBB3037_50
; %bb.47:
	s_mov_b64 s[40:41], 0
	v_mov_b32_e32 v9, 0
.LBB3037_48:                            ; =>This Inner Loop Header: Depth=1
	global_load_dwordx2 v[12:13], v[16:17], off glc
	s_waitcnt vmcnt(0)
	v_cmp_ne_u16_sdwa s[42:43], v13, v9 src0_sel:BYTE_0 src1_sel:DWORD
	s_or_b64 s[40:41], s[42:43], s[40:41]
	s_andn2_b64 exec, exec, s[40:41]
	s_cbranch_execnz .LBB3037_48
; %bb.49:
	s_or_b64 exec, exec, s[40:41]
.LBB3037_50:
	s_or_b64 exec, exec, s[38:39]
	v_and_b32_e32 v34, 63, v27
	v_mov_b32_e32 v33, 2
	v_cmp_ne_u32_e32 vcc, 63, v34
	v_cmp_eq_u16_sdwa s[38:39], v13, v33 src0_sel:BYTE_0 src1_sel:DWORD
	v_lshlrev_b64 v[14:15], v27, -1
	v_addc_co_u32_e32 v16, vcc, 0, v27, vcc
	v_and_b32_e32 v9, s39, v15
	v_lshlrev_b32_e32 v35, 2, v16
	v_or_b32_e32 v9, 0x80000000, v9
	ds_bpermute_b32 v16, v35, v12
	v_and_b32_e32 v11, s38, v14
	v_ffbl_b32_e32 v9, v9
	v_add_u32_e32 v9, 32, v9
	v_ffbl_b32_e32 v11, v11
	v_min_u32_e32 v9, v11, v9
	v_cmp_lt_u32_e32 vcc, v34, v9
	s_waitcnt lgkmcnt(0)
	v_cndmask_b32_e32 v11, 0, v16, vcc
	v_cmp_gt_u32_e32 vcc, 62, v34
	v_add_u32_e32 v11, v11, v12
	v_cndmask_b32_e64 v12, 0, 1, vcc
	v_lshlrev_b32_e32 v12, 1, v12
	v_add_lshl_u32 v36, v12, v27, 2
	ds_bpermute_b32 v12, v36, v11
	v_add_u32_e32 v37, 2, v34
	v_cmp_le_u32_e32 vcc, v37, v9
	v_add_u32_e32 v39, 4, v34
	v_add_u32_e32 v41, 8, v34
	s_waitcnt lgkmcnt(0)
	v_cndmask_b32_e32 v12, 0, v12, vcc
	v_cmp_gt_u32_e32 vcc, 60, v34
	v_add_u32_e32 v11, v11, v12
	v_cndmask_b32_e64 v12, 0, 1, vcc
	v_lshlrev_b32_e32 v12, 2, v12
	v_add_lshl_u32 v38, v12, v27, 2
	ds_bpermute_b32 v12, v38, v11
	v_cmp_le_u32_e32 vcc, v39, v9
	v_add_u32_e32 v43, 16, v34
	v_add_u32_e32 v45, 32, v34
	s_waitcnt lgkmcnt(0)
	v_cndmask_b32_e32 v12, 0, v12, vcc
	v_cmp_gt_u32_e32 vcc, 56, v34
	v_add_u32_e32 v11, v11, v12
	v_cndmask_b32_e64 v12, 0, 1, vcc
	v_lshlrev_b32_e32 v12, 3, v12
	v_add_lshl_u32 v40, v12, v27, 2
	ds_bpermute_b32 v12, v40, v11
	v_cmp_le_u32_e32 vcc, v41, v9
	s_waitcnt lgkmcnt(0)
	v_cndmask_b32_e32 v12, 0, v12, vcc
	v_cmp_gt_u32_e32 vcc, 48, v34
	v_add_u32_e32 v11, v11, v12
	v_cndmask_b32_e64 v12, 0, 1, vcc
	v_lshlrev_b32_e32 v12, 4, v12
	v_add_lshl_u32 v42, v12, v27, 2
	ds_bpermute_b32 v12, v42, v11
	v_cmp_le_u32_e32 vcc, v43, v9
	;; [unrolled: 9-line block ×3, first 2 shown]
	s_waitcnt lgkmcnt(0)
	v_cndmask_b32_e32 v9, 0, v12, vcc
	v_add_u32_e32 v12, v11, v9
	v_mov_b32_e32 v11, 0
	s_branch .LBB3037_52
.LBB3037_51:                            ;   in Loop: Header=BB3037_52 Depth=1
	s_or_b64 exec, exec, s[38:39]
	v_cmp_eq_u16_sdwa s[38:39], v13, v33 src0_sel:BYTE_0 src1_sel:DWORD
	v_and_b32_e32 v16, s39, v15
	v_or_b32_e32 v16, 0x80000000, v16
	ds_bpermute_b32 v46, v35, v12
	v_and_b32_e32 v17, s38, v14
	v_ffbl_b32_e32 v16, v16
	v_add_u32_e32 v16, 32, v16
	v_ffbl_b32_e32 v17, v17
	v_min_u32_e32 v16, v17, v16
	v_cmp_lt_u32_e32 vcc, v34, v16
	s_waitcnt lgkmcnt(0)
	v_cndmask_b32_e32 v17, 0, v46, vcc
	v_add_u32_e32 v12, v17, v12
	ds_bpermute_b32 v17, v36, v12
	v_cmp_le_u32_e32 vcc, v37, v16
	v_subrev_u32_e32 v10, 64, v10
	s_waitcnt lgkmcnt(0)
	v_cndmask_b32_e32 v17, 0, v17, vcc
	v_add_u32_e32 v12, v12, v17
	ds_bpermute_b32 v17, v38, v12
	v_cmp_le_u32_e32 vcc, v39, v16
	s_waitcnt lgkmcnt(0)
	v_cndmask_b32_e32 v17, 0, v17, vcc
	v_add_u32_e32 v12, v12, v17
	ds_bpermute_b32 v17, v40, v12
	v_cmp_le_u32_e32 vcc, v41, v16
	;; [unrolled: 5-line block ×4, first 2 shown]
	s_waitcnt lgkmcnt(0)
	v_cndmask_b32_e32 v16, 0, v17, vcc
	v_add3_u32 v12, v16, v9, v12
.LBB3037_52:                            ; =>This Loop Header: Depth=1
                                        ;     Child Loop BB3037_55 Depth 2
	v_cmp_ne_u16_sdwa s[38:39], v13, v33 src0_sel:BYTE_0 src1_sel:DWORD
	v_cndmask_b32_e64 v9, 0, 1, s[38:39]
	;;#ASMSTART
	;;#ASMEND
	v_cmp_ne_u32_e32 vcc, 0, v9
	s_cmp_lg_u64 vcc, exec
	v_mov_b32_e32 v9, v12
	s_cbranch_scc1 .LBB3037_57
; %bb.53:                               ;   in Loop: Header=BB3037_52 Depth=1
	v_lshlrev_b64 v[12:13], 3, v[10:11]
	v_mov_b32_e32 v17, s35
	v_add_co_u32_e32 v16, vcc, s34, v12
	v_addc_co_u32_e32 v17, vcc, v17, v13, vcc
	global_load_dwordx2 v[12:13], v[16:17], off glc
	s_waitcnt vmcnt(0)
	v_cmp_eq_u16_sdwa s[40:41], v13, v11 src0_sel:BYTE_0 src1_sel:DWORD
	s_and_saveexec_b64 s[38:39], s[40:41]
	s_cbranch_execz .LBB3037_51
; %bb.54:                               ;   in Loop: Header=BB3037_52 Depth=1
	s_mov_b64 s[40:41], 0
.LBB3037_55:                            ;   Parent Loop BB3037_52 Depth=1
                                        ; =>  This Inner Loop Header: Depth=2
	global_load_dwordx2 v[12:13], v[16:17], off glc
	s_waitcnt vmcnt(0)
	v_cmp_ne_u16_sdwa s[42:43], v13, v11 src0_sel:BYTE_0 src1_sel:DWORD
	s_or_b64 s[40:41], s[42:43], s[40:41]
	s_andn2_b64 exec, exec, s[40:41]
	s_cbranch_execnz .LBB3037_55
; %bb.56:                               ;   in Loop: Header=BB3037_52 Depth=1
	s_or_b64 exec, exec, s[40:41]
	s_branch .LBB3037_51
.LBB3037_57:                            ;   in Loop: Header=BB3037_52 Depth=1
                                        ; implicit-def: $vgpr12
                                        ; implicit-def: $vgpr13
	s_cbranch_execz .LBB3037_52
; %bb.58:
	s_and_saveexec_b64 s[38:39], s[16:17]
	s_cbranch_execz .LBB3037_60
; %bb.59:
	s_add_i32 s6, s6, 64
	s_mov_b32 s7, 0
	s_lshl_b64 s[6:7], s[6:7], 3
	s_add_u32 s6, s34, s6
	v_add_u32_e32 v10, v9, v8
	v_mov_b32_e32 v11, 2
	s_addc_u32 s7, s35, s7
	v_mov_b32_e32 v12, 0
	global_store_dwordx2 v12, v[10:11], s[6:7]
	ds_write_b64 v12, v[8:9] offset:7168
.LBB3037_60:
	s_or_b64 exec, exec, s[38:39]
	v_cmp_eq_u32_e32 vcc, 0, v0
	s_and_b64 exec, exec, vcc
	s_cbranch_execz .LBB3037_62
; %bb.61:
	v_mov_b32_e32 v8, 0
	ds_write_b32 v8, v9 offset:12
.LBB3037_62:
	s_or_b64 exec, exec, s[36:37]
	v_mov_b32_e32 v8, 0
	s_waitcnt lgkmcnt(0)
	s_barrier
	ds_read_b32 v9, v8 offset:12
	v_cndmask_b32_e64 v10, v32, v31, s[16:17]
	v_cmp_ne_u32_e32 vcc, 0, v0
	v_cndmask_b32_e32 v10, 0, v10, vcc
	s_waitcnt lgkmcnt(0)
	v_add_u32_e32 v16, v9, v10
	v_add_u32_e32 v15, v16, v26
	;; [unrolled: 1-line block ×3, first 2 shown]
	s_barrier
	ds_read_b64 v[8:9], v8 offset:7168
	v_add_u32_e32 v12, v14, v24
	v_add_u32_e32 v13, v12, v23
	;; [unrolled: 1-line block ×4, first 2 shown]
	s_load_dwordx2 s[4:5], s[4:5], 0x40
	s_branch .LBB3037_73
.LBB3037_63:
                                        ; implicit-def: $vgpr9
                                        ; implicit-def: $vgpr10
                                        ; implicit-def: $vgpr11
                                        ; implicit-def: $vgpr13
                                        ; implicit-def: $vgpr12
                                        ; implicit-def: $vgpr14
                                        ; implicit-def: $vgpr15
                                        ; implicit-def: $vgpr16
	s_load_dwordx2 s[4:5], s[4:5], 0x40
	s_cbranch_execz .LBB3037_73
; %bb.64:
	s_waitcnt lgkmcnt(0)
	v_mov_b32_dpp v8, v30 row_shr:1 row_mask:0xf bank_mask:0xf
	v_cndmask_b32_e64 v8, v8, 0, s[14:15]
	v_add_u32_e32 v8, v8, v30
	s_nop 1
	v_mov_b32_dpp v9, v8 row_shr:2 row_mask:0xf bank_mask:0xf
	v_cndmask_b32_e64 v9, 0, v9, s[12:13]
	v_add_u32_e32 v8, v8, v9
	s_nop 1
	;; [unrolled: 4-line block ×4, first 2 shown]
	v_mov_b32_dpp v9, v8 row_bcast:15 row_mask:0xf bank_mask:0xf
	v_cndmask_b32_e64 v9, v9, 0, s[18:19]
	v_add_u32_e32 v8, v8, v9
	s_nop 1
	v_mov_b32_dpp v9, v8 row_bcast:31 row_mask:0xf bank_mask:0xf
	v_cndmask_b32_e64 v9, 0, v9, s[0:1]
	v_add_u32_e32 v8, v8, v9
	s_and_saveexec_b64 s[0:1], s[2:3]
	s_cbranch_execz .LBB3037_66
; %bb.65:
	v_lshlrev_b32_e32 v9, 2, v29
	ds_write_b32 v9, v8
.LBB3037_66:
	s_or_b64 exec, exec, s[0:1]
	v_cmp_gt_u32_e32 vcc, 4, v0
	s_waitcnt lgkmcnt(0)
	s_barrier
	s_and_saveexec_b64 s[0:1], vcc
	s_cbranch_execz .LBB3037_68
; %bb.67:
	v_mad_i32_i24 v9, v0, -3, v28
	ds_read_b32 v10, v9
	v_and_b32_e32 v11, 3, v27
	v_cmp_ne_u32_e32 vcc, 0, v11
	s_waitcnt lgkmcnt(0)
	v_mov_b32_dpp v12, v10 row_shr:1 row_mask:0xf bank_mask:0xf
	v_cndmask_b32_e32 v12, 0, v12, vcc
	v_add_u32_e32 v10, v12, v10
	v_cmp_lt_u32_e32 vcc, 1, v11
	s_nop 0
	v_mov_b32_dpp v12, v10 row_shr:2 row_mask:0xf bank_mask:0xf
	v_cndmask_b32_e32 v11, 0, v12, vcc
	v_add_u32_e32 v10, v10, v11
	ds_write_b32 v9, v10
.LBB3037_68:
	s_or_b64 exec, exec, s[0:1]
	v_cmp_lt_u32_e32 vcc, 63, v0
	v_mov_b32_e32 v9, 0
	v_mov_b32_e32 v10, 0
	s_waitcnt lgkmcnt(0)
	s_barrier
	s_and_saveexec_b64 s[0:1], vcc
	s_cbranch_execz .LBB3037_70
; %bb.69:
	v_lshl_add_u32 v10, v29, 2, -4
	ds_read_b32 v10, v10
.LBB3037_70:
	s_or_b64 exec, exec, s[0:1]
	v_add_u32_e32 v11, -1, v27
	v_and_b32_e32 v12, 64, v27
	v_cmp_lt_i32_e32 vcc, v11, v12
	v_cndmask_b32_e32 v11, v11, v27, vcc
	s_waitcnt lgkmcnt(0)
	v_add_u32_e32 v8, v10, v8
	v_lshlrev_b32_e32 v11, 2, v11
	ds_bpermute_b32 v11, v11, v8
	ds_read_b32 v8, v9 offset:12
	v_cmp_eq_u32_e32 vcc, 0, v0
	s_and_saveexec_b64 s[0:1], vcc
	s_cbranch_execz .LBB3037_72
; %bb.71:
	v_mov_b32_e32 v12, 0
	v_mov_b32_e32 v9, 2
	s_waitcnt lgkmcnt(0)
	global_store_dwordx2 v12, v[8:9], s[34:35] offset:512
.LBB3037_72:
	s_or_b64 exec, exec, s[0:1]
	v_cmp_eq_u32_e64 s[0:1], 0, v27
	s_waitcnt lgkmcnt(1)
	v_cndmask_b32_e64 v10, v11, v10, s[0:1]
	v_cndmask_b32_e64 v16, v10, 0, vcc
	v_add_u32_e32 v15, v16, v26
	v_add_u32_e32 v14, v15, v25
	;; [unrolled: 1-line block ×5, first 2 shown]
	v_mov_b32_e32 v9, 0
	v_add_u32_e32 v10, v11, v21
	s_waitcnt lgkmcnt(0)
	s_barrier
.LBB3037_73:
	s_waitcnt lgkmcnt(0)
	v_add_u32_e32 v17, v8, v19
	v_sub_u32_e32 v16, v16, v9
	v_sub_u32_e32 v19, v17, v16
	v_cmp_eq_u32_e32 vcc, 1, v26
	v_cndmask_b32_e32 v16, v19, v16, vcc
	v_lshlrev_b32_e32 v16, 2, v16
	ds_write_b32 v16, v6
	v_sub_u32_e32 v6, v15, v9
	v_sub_u32_e32 v15, v17, v6
	v_add_u32_e32 v15, 1, v15
	v_cmp_eq_u32_e32 vcc, 1, v25
	v_cndmask_b32_e32 v6, v15, v6, vcc
	v_lshlrev_b32_e32 v6, 2, v6
	ds_write_b32 v6, v7
	v_sub_u32_e32 v6, v14, v9
	v_sub_u32_e32 v7, v17, v6
	v_add_u32_e32 v7, 2, v7
	;; [unrolled: 7-line block ×6, first 2 shown]
	v_cmp_eq_u32_e32 vcc, 1, v20
	v_cndmask_b32_e32 v2, v3, v2, vcc
	v_lshlrev_b32_e32 v2, 2, v2
	ds_write_b32 v2, v1
	v_mov_b32_e32 v1, s29
	v_add_co_u32_e32 v2, vcc, s28, v8
	v_addc_co_u32_e32 v1, vcc, 0, v1, vcc
	v_add_co_u32_e32 v2, vcc, v2, v9
	v_addc_co_u32_e32 v3, vcc, 0, v1, vcc
	v_mov_b32_e32 v1, s27
	v_sub_co_u32_e32 v22, vcc, s26, v2
	v_subb_co_u32_e32 v23, vcc, v1, v3, vcc
	v_lshlrev_b64 v[22:23], 2, v[22:23]
	s_waitcnt lgkmcnt(0)
	s_barrier
	ds_read2st64_b32 v[12:13], v18 offset1:4
	ds_read2st64_b32 v[10:11], v18 offset0:8 offset1:12
	ds_read2st64_b32 v[4:5], v18 offset0:16 offset1:20
	ds_read_b32 v7, v18 offset:6144
	v_mov_b32_e32 v1, s5
	v_add_co_u32_e32 v6, vcc, s4, v22
	v_addc_co_u32_e32 v1, vcc, v1, v23, vcc
	v_mov_b32_e32 v9, s31
	v_add_co_u32_e32 v6, vcc, s30, v6
	v_addc_co_u32_e32 v1, vcc, v1, v9, vcc
	v_or_b32_e32 v20, 0x100, v0
	v_or_b32_e32 v19, 0x200, v0
	;; [unrolled: 1-line block ×6, first 2 shown]
	s_andn2_b64 vcc, exec, s[24:25]
	v_cmp_le_u32_e64 s[0:1], v8, v0
	s_cbranch_vccnz .LBB3037_82
; %bb.74:
	s_and_saveexec_b64 s[2:3], s[0:1]
	s_cbranch_execnz .LBB3037_101
; %bb.75:
	s_or_b64 exec, exec, s[2:3]
	v_cmp_ge_u32_e32 vcc, v20, v8
	s_and_saveexec_b64 s[0:1], vcc
	s_cbranch_execnz .LBB3037_102
.LBB3037_76:
	s_or_b64 exec, exec, s[0:1]
	v_cmp_ge_u32_e32 vcc, v19, v8
	s_and_saveexec_b64 s[0:1], vcc
	s_cbranch_execnz .LBB3037_103
.LBB3037_77:
	s_or_b64 exec, exec, s[0:1]
	v_cmp_ge_u32_e32 vcc, v17, v8
	s_and_saveexec_b64 s[0:1], vcc
	s_cbranch_execnz .LBB3037_104
.LBB3037_78:
	s_or_b64 exec, exec, s[0:1]
	v_cmp_ge_u32_e32 vcc, v16, v8
	s_and_saveexec_b64 s[0:1], vcc
	s_cbranch_execnz .LBB3037_105
.LBB3037_79:
	s_or_b64 exec, exec, s[0:1]
	v_cmp_ge_u32_e32 vcc, v15, v8
	s_and_saveexec_b64 s[0:1], vcc
	s_cbranch_execz .LBB3037_81
.LBB3037_80:
	v_lshlrev_b32_e32 v9, 2, v15
	v_readfirstlane_b32 s2, v6
	v_readfirstlane_b32 s3, v1
	s_waitcnt lgkmcnt(1)
	s_nop 3
	global_store_dword v9, v5, s[2:3]
.LBB3037_81:
	s_or_b64 exec, exec, s[0:1]
	v_cmp_ge_u32_e64 s[0:1], v14, v8
	s_branch .LBB3037_96
.LBB3037_82:
	s_mov_b64 s[0:1], 0
	s_cbranch_execz .LBB3037_96
; %bb.83:
	v_cmp_gt_u32_e32 vcc, s33, v0
	v_cmp_le_u32_e64 s[0:1], v8, v0
	s_and_b64 s[2:3], vcc, s[0:1]
	s_and_saveexec_b64 s[0:1], s[2:3]
	s_cbranch_execz .LBB3037_85
; %bb.84:
	v_readfirstlane_b32 s2, v6
	v_readfirstlane_b32 s3, v1
	s_waitcnt lgkmcnt(3)
	s_nop 3
	global_store_dword v18, v12, s[2:3]
.LBB3037_85:
	s_or_b64 exec, exec, s[0:1]
	v_cmp_gt_u32_e32 vcc, s33, v20
	v_cmp_ge_u32_e64 s[0:1], v20, v8
	s_and_b64 s[2:3], vcc, s[0:1]
	s_and_saveexec_b64 s[0:1], s[2:3]
	s_cbranch_execz .LBB3037_87
; %bb.86:
	v_readfirstlane_b32 s2, v6
	v_readfirstlane_b32 s3, v1
	s_waitcnt lgkmcnt(3)
	s_nop 3
	global_store_dword v18, v13, s[2:3] offset:1024
.LBB3037_87:
	s_or_b64 exec, exec, s[0:1]
	v_cmp_gt_u32_e32 vcc, s33, v19
	v_cmp_ge_u32_e64 s[0:1], v19, v8
	s_and_b64 s[2:3], vcc, s[0:1]
	s_and_saveexec_b64 s[0:1], s[2:3]
	s_cbranch_execz .LBB3037_89
; %bb.88:
	v_readfirstlane_b32 s2, v6
	v_readfirstlane_b32 s3, v1
	s_waitcnt lgkmcnt(2)
	s_nop 3
	global_store_dword v18, v10, s[2:3] offset:2048
.LBB3037_89:
	;; [unrolled: 13-line block ×3, first 2 shown]
	s_or_b64 exec, exec, s[0:1]
	v_cmp_gt_u32_e32 vcc, s33, v16
	v_cmp_ge_u32_e64 s[0:1], v16, v8
	s_and_b64 s[2:3], vcc, s[0:1]
	s_and_saveexec_b64 s[0:1], s[2:3]
	s_cbranch_execz .LBB3037_93
; %bb.92:
	v_lshlrev_b32_e32 v9, 2, v16
	v_readfirstlane_b32 s2, v6
	v_readfirstlane_b32 s3, v1
	s_waitcnt lgkmcnt(1)
	s_nop 3
	global_store_dword v9, v4, s[2:3]
.LBB3037_93:
	s_or_b64 exec, exec, s[0:1]
	v_cmp_gt_u32_e32 vcc, s33, v15
	v_cmp_ge_u32_e64 s[0:1], v15, v8
	s_and_b64 s[2:3], vcc, s[0:1]
	s_and_saveexec_b64 s[0:1], s[2:3]
	s_cbranch_execz .LBB3037_95
; %bb.94:
	s_waitcnt lgkmcnt(1)
	v_lshlrev_b32_e32 v4, 2, v15
	v_readfirstlane_b32 s2, v6
	v_readfirstlane_b32 s3, v1
	s_nop 4
	global_store_dword v4, v5, s[2:3]
.LBB3037_95:
	s_or_b64 exec, exec, s[0:1]
	v_cmp_gt_u32_e32 vcc, s33, v14
	v_cmp_ge_u32_e64 s[0:1], v14, v8
	s_and_b64 s[0:1], vcc, s[0:1]
.LBB3037_96:
	s_and_saveexec_b64 s[2:3], s[0:1]
	s_cbranch_execz .LBB3037_98
; %bb.97:
	s_waitcnt lgkmcnt(1)
	v_lshlrev_b32_e32 v4, 2, v14
	v_readfirstlane_b32 s0, v6
	v_readfirstlane_b32 s1, v1
	s_waitcnt lgkmcnt(0)
	s_nop 3
	global_store_dword v4, v7, s[0:1]
.LBB3037_98:
	s_or_b64 exec, exec, s[2:3]
	v_cmp_eq_u32_e32 vcc, 0, v0
	s_and_b64 s[0:1], vcc, s[22:23]
	s_and_saveexec_b64 s[2:3], s[0:1]
	s_cbranch_execz .LBB3037_100
; %bb.99:
	v_mov_b32_e32 v0, 0
	global_store_dwordx2 v0, v[2:3], s[20:21]
.LBB3037_100:
	s_endpgm
.LBB3037_101:
	v_readfirstlane_b32 s0, v6
	v_readfirstlane_b32 s1, v1
	s_waitcnt lgkmcnt(3)
	s_nop 3
	global_store_dword v18, v12, s[0:1]
	s_or_b64 exec, exec, s[2:3]
	v_cmp_ge_u32_e32 vcc, v20, v8
	s_and_saveexec_b64 s[0:1], vcc
	s_cbranch_execz .LBB3037_76
.LBB3037_102:
	v_readfirstlane_b32 s2, v6
	v_readfirstlane_b32 s3, v1
	s_waitcnt lgkmcnt(3)
	s_nop 3
	global_store_dword v18, v13, s[2:3] offset:1024
	s_or_b64 exec, exec, s[0:1]
	v_cmp_ge_u32_e32 vcc, v19, v8
	s_and_saveexec_b64 s[0:1], vcc
	s_cbranch_execz .LBB3037_77
.LBB3037_103:
	v_readfirstlane_b32 s2, v6
	v_readfirstlane_b32 s3, v1
	s_waitcnt lgkmcnt(2)
	s_nop 3
	global_store_dword v18, v10, s[2:3] offset:2048
	s_or_b64 exec, exec, s[0:1]
	v_cmp_ge_u32_e32 vcc, v17, v8
	s_and_saveexec_b64 s[0:1], vcc
	s_cbranch_execz .LBB3037_78
.LBB3037_104:
	v_readfirstlane_b32 s2, v6
	v_readfirstlane_b32 s3, v1
	s_waitcnt lgkmcnt(2)
	s_nop 3
	global_store_dword v18, v11, s[2:3] offset:3072
	s_or_b64 exec, exec, s[0:1]
	v_cmp_ge_u32_e32 vcc, v16, v8
	s_and_saveexec_b64 s[0:1], vcc
	s_cbranch_execz .LBB3037_79
.LBB3037_105:
	v_lshlrev_b32_e32 v9, 2, v16
	v_readfirstlane_b32 s2, v6
	v_readfirstlane_b32 s3, v1
	s_waitcnt lgkmcnt(1)
	s_nop 3
	global_store_dword v9, v4, s[2:3]
	s_or_b64 exec, exec, s[0:1]
	v_cmp_ge_u32_e32 vcc, v15, v8
	s_and_saveexec_b64 s[0:1], vcc
	s_cbranch_execnz .LBB3037_80
	s_branch .LBB3037_81
	.section	.rodata,"a",@progbits
	.p2align	6, 0x0
	.amdhsa_kernel _ZN7rocprim17ROCPRIM_400000_NS6detail17trampoline_kernelINS0_14default_configENS1_25partition_config_selectorILNS1_17partition_subalgoE1EjNS0_10empty_typeEbEEZZNS1_14partition_implILS5_1ELb0ES3_jN6thrust23THRUST_200600_302600_NS6detail15normal_iteratorINSA_10device_ptrIjEEEEPS6_NSA_18transform_iteratorI7is_evenIjESF_NSA_11use_defaultESK_EENS0_5tupleIJNSA_16discard_iteratorISK_EESF_EEENSM_IJSG_SG_EEES6_PlJS6_EEE10hipError_tPvRmT3_T4_T5_T6_T7_T9_mT8_P12ihipStream_tbDpT10_ENKUlT_T0_E_clISt17integral_constantIbLb0EES1B_EEDaS16_S17_EUlS16_E_NS1_11comp_targetILNS1_3genE4ELNS1_11target_archE910ELNS1_3gpuE8ELNS1_3repE0EEENS1_30default_config_static_selectorELNS0_4arch9wavefront6targetE1EEEvT1_
		.amdhsa_group_segment_fixed_size 7176
		.amdhsa_private_segment_fixed_size 0
		.amdhsa_kernarg_size 136
		.amdhsa_user_sgpr_count 6
		.amdhsa_user_sgpr_private_segment_buffer 1
		.amdhsa_user_sgpr_dispatch_ptr 0
		.amdhsa_user_sgpr_queue_ptr 0
		.amdhsa_user_sgpr_kernarg_segment_ptr 1
		.amdhsa_user_sgpr_dispatch_id 0
		.amdhsa_user_sgpr_flat_scratch_init 0
		.amdhsa_user_sgpr_kernarg_preload_length 0
		.amdhsa_user_sgpr_kernarg_preload_offset 0
		.amdhsa_user_sgpr_private_segment_size 0
		.amdhsa_uses_dynamic_stack 0
		.amdhsa_system_sgpr_private_segment_wavefront_offset 0
		.amdhsa_system_sgpr_workgroup_id_x 1
		.amdhsa_system_sgpr_workgroup_id_y 0
		.amdhsa_system_sgpr_workgroup_id_z 0
		.amdhsa_system_sgpr_workgroup_info 0
		.amdhsa_system_vgpr_workitem_id 0
		.amdhsa_next_free_vgpr 47
		.amdhsa_next_free_sgpr 44
		.amdhsa_accum_offset 48
		.amdhsa_reserve_vcc 1
		.amdhsa_reserve_flat_scratch 0
		.amdhsa_float_round_mode_32 0
		.amdhsa_float_round_mode_16_64 0
		.amdhsa_float_denorm_mode_32 3
		.amdhsa_float_denorm_mode_16_64 3
		.amdhsa_dx10_clamp 1
		.amdhsa_ieee_mode 1
		.amdhsa_fp16_overflow 0
		.amdhsa_tg_split 0
		.amdhsa_exception_fp_ieee_invalid_op 0
		.amdhsa_exception_fp_denorm_src 0
		.amdhsa_exception_fp_ieee_div_zero 0
		.amdhsa_exception_fp_ieee_overflow 0
		.amdhsa_exception_fp_ieee_underflow 0
		.amdhsa_exception_fp_ieee_inexact 0
		.amdhsa_exception_int_div_zero 0
	.end_amdhsa_kernel
	.section	.text._ZN7rocprim17ROCPRIM_400000_NS6detail17trampoline_kernelINS0_14default_configENS1_25partition_config_selectorILNS1_17partition_subalgoE1EjNS0_10empty_typeEbEEZZNS1_14partition_implILS5_1ELb0ES3_jN6thrust23THRUST_200600_302600_NS6detail15normal_iteratorINSA_10device_ptrIjEEEEPS6_NSA_18transform_iteratorI7is_evenIjESF_NSA_11use_defaultESK_EENS0_5tupleIJNSA_16discard_iteratorISK_EESF_EEENSM_IJSG_SG_EEES6_PlJS6_EEE10hipError_tPvRmT3_T4_T5_T6_T7_T9_mT8_P12ihipStream_tbDpT10_ENKUlT_T0_E_clISt17integral_constantIbLb0EES1B_EEDaS16_S17_EUlS16_E_NS1_11comp_targetILNS1_3genE4ELNS1_11target_archE910ELNS1_3gpuE8ELNS1_3repE0EEENS1_30default_config_static_selectorELNS0_4arch9wavefront6targetE1EEEvT1_,"axG",@progbits,_ZN7rocprim17ROCPRIM_400000_NS6detail17trampoline_kernelINS0_14default_configENS1_25partition_config_selectorILNS1_17partition_subalgoE1EjNS0_10empty_typeEbEEZZNS1_14partition_implILS5_1ELb0ES3_jN6thrust23THRUST_200600_302600_NS6detail15normal_iteratorINSA_10device_ptrIjEEEEPS6_NSA_18transform_iteratorI7is_evenIjESF_NSA_11use_defaultESK_EENS0_5tupleIJNSA_16discard_iteratorISK_EESF_EEENSM_IJSG_SG_EEES6_PlJS6_EEE10hipError_tPvRmT3_T4_T5_T6_T7_T9_mT8_P12ihipStream_tbDpT10_ENKUlT_T0_E_clISt17integral_constantIbLb0EES1B_EEDaS16_S17_EUlS16_E_NS1_11comp_targetILNS1_3genE4ELNS1_11target_archE910ELNS1_3gpuE8ELNS1_3repE0EEENS1_30default_config_static_selectorELNS0_4arch9wavefront6targetE1EEEvT1_,comdat
.Lfunc_end3037:
	.size	_ZN7rocprim17ROCPRIM_400000_NS6detail17trampoline_kernelINS0_14default_configENS1_25partition_config_selectorILNS1_17partition_subalgoE1EjNS0_10empty_typeEbEEZZNS1_14partition_implILS5_1ELb0ES3_jN6thrust23THRUST_200600_302600_NS6detail15normal_iteratorINSA_10device_ptrIjEEEEPS6_NSA_18transform_iteratorI7is_evenIjESF_NSA_11use_defaultESK_EENS0_5tupleIJNSA_16discard_iteratorISK_EESF_EEENSM_IJSG_SG_EEES6_PlJS6_EEE10hipError_tPvRmT3_T4_T5_T6_T7_T9_mT8_P12ihipStream_tbDpT10_ENKUlT_T0_E_clISt17integral_constantIbLb0EES1B_EEDaS16_S17_EUlS16_E_NS1_11comp_targetILNS1_3genE4ELNS1_11target_archE910ELNS1_3gpuE8ELNS1_3repE0EEENS1_30default_config_static_selectorELNS0_4arch9wavefront6targetE1EEEvT1_, .Lfunc_end3037-_ZN7rocprim17ROCPRIM_400000_NS6detail17trampoline_kernelINS0_14default_configENS1_25partition_config_selectorILNS1_17partition_subalgoE1EjNS0_10empty_typeEbEEZZNS1_14partition_implILS5_1ELb0ES3_jN6thrust23THRUST_200600_302600_NS6detail15normal_iteratorINSA_10device_ptrIjEEEEPS6_NSA_18transform_iteratorI7is_evenIjESF_NSA_11use_defaultESK_EENS0_5tupleIJNSA_16discard_iteratorISK_EESF_EEENSM_IJSG_SG_EEES6_PlJS6_EEE10hipError_tPvRmT3_T4_T5_T6_T7_T9_mT8_P12ihipStream_tbDpT10_ENKUlT_T0_E_clISt17integral_constantIbLb0EES1B_EEDaS16_S17_EUlS16_E_NS1_11comp_targetILNS1_3genE4ELNS1_11target_archE910ELNS1_3gpuE8ELNS1_3repE0EEENS1_30default_config_static_selectorELNS0_4arch9wavefront6targetE1EEEvT1_
                                        ; -- End function
	.section	.AMDGPU.csdata,"",@progbits
; Kernel info:
; codeLenInByte = 4676
; NumSgprs: 48
; NumVgprs: 47
; NumAgprs: 0
; TotalNumVgprs: 47
; ScratchSize: 0
; MemoryBound: 0
; FloatMode: 240
; IeeeMode: 1
; LDSByteSize: 7176 bytes/workgroup (compile time only)
; SGPRBlocks: 5
; VGPRBlocks: 5
; NumSGPRsForWavesPerEU: 48
; NumVGPRsForWavesPerEU: 47
; AccumOffset: 48
; Occupancy: 8
; WaveLimiterHint : 1
; COMPUTE_PGM_RSRC2:SCRATCH_EN: 0
; COMPUTE_PGM_RSRC2:USER_SGPR: 6
; COMPUTE_PGM_RSRC2:TRAP_HANDLER: 0
; COMPUTE_PGM_RSRC2:TGID_X_EN: 1
; COMPUTE_PGM_RSRC2:TGID_Y_EN: 0
; COMPUTE_PGM_RSRC2:TGID_Z_EN: 0
; COMPUTE_PGM_RSRC2:TIDIG_COMP_CNT: 0
; COMPUTE_PGM_RSRC3_GFX90A:ACCUM_OFFSET: 11
; COMPUTE_PGM_RSRC3_GFX90A:TG_SPLIT: 0
	.section	.text._ZN7rocprim17ROCPRIM_400000_NS6detail17trampoline_kernelINS0_14default_configENS1_25partition_config_selectorILNS1_17partition_subalgoE1EjNS0_10empty_typeEbEEZZNS1_14partition_implILS5_1ELb0ES3_jN6thrust23THRUST_200600_302600_NS6detail15normal_iteratorINSA_10device_ptrIjEEEEPS6_NSA_18transform_iteratorI7is_evenIjESF_NSA_11use_defaultESK_EENS0_5tupleIJNSA_16discard_iteratorISK_EESF_EEENSM_IJSG_SG_EEES6_PlJS6_EEE10hipError_tPvRmT3_T4_T5_T6_T7_T9_mT8_P12ihipStream_tbDpT10_ENKUlT_T0_E_clISt17integral_constantIbLb0EES1B_EEDaS16_S17_EUlS16_E_NS1_11comp_targetILNS1_3genE3ELNS1_11target_archE908ELNS1_3gpuE7ELNS1_3repE0EEENS1_30default_config_static_selectorELNS0_4arch9wavefront6targetE1EEEvT1_,"axG",@progbits,_ZN7rocprim17ROCPRIM_400000_NS6detail17trampoline_kernelINS0_14default_configENS1_25partition_config_selectorILNS1_17partition_subalgoE1EjNS0_10empty_typeEbEEZZNS1_14partition_implILS5_1ELb0ES3_jN6thrust23THRUST_200600_302600_NS6detail15normal_iteratorINSA_10device_ptrIjEEEEPS6_NSA_18transform_iteratorI7is_evenIjESF_NSA_11use_defaultESK_EENS0_5tupleIJNSA_16discard_iteratorISK_EESF_EEENSM_IJSG_SG_EEES6_PlJS6_EEE10hipError_tPvRmT3_T4_T5_T6_T7_T9_mT8_P12ihipStream_tbDpT10_ENKUlT_T0_E_clISt17integral_constantIbLb0EES1B_EEDaS16_S17_EUlS16_E_NS1_11comp_targetILNS1_3genE3ELNS1_11target_archE908ELNS1_3gpuE7ELNS1_3repE0EEENS1_30default_config_static_selectorELNS0_4arch9wavefront6targetE1EEEvT1_,comdat
	.protected	_ZN7rocprim17ROCPRIM_400000_NS6detail17trampoline_kernelINS0_14default_configENS1_25partition_config_selectorILNS1_17partition_subalgoE1EjNS0_10empty_typeEbEEZZNS1_14partition_implILS5_1ELb0ES3_jN6thrust23THRUST_200600_302600_NS6detail15normal_iteratorINSA_10device_ptrIjEEEEPS6_NSA_18transform_iteratorI7is_evenIjESF_NSA_11use_defaultESK_EENS0_5tupleIJNSA_16discard_iteratorISK_EESF_EEENSM_IJSG_SG_EEES6_PlJS6_EEE10hipError_tPvRmT3_T4_T5_T6_T7_T9_mT8_P12ihipStream_tbDpT10_ENKUlT_T0_E_clISt17integral_constantIbLb0EES1B_EEDaS16_S17_EUlS16_E_NS1_11comp_targetILNS1_3genE3ELNS1_11target_archE908ELNS1_3gpuE7ELNS1_3repE0EEENS1_30default_config_static_selectorELNS0_4arch9wavefront6targetE1EEEvT1_ ; -- Begin function _ZN7rocprim17ROCPRIM_400000_NS6detail17trampoline_kernelINS0_14default_configENS1_25partition_config_selectorILNS1_17partition_subalgoE1EjNS0_10empty_typeEbEEZZNS1_14partition_implILS5_1ELb0ES3_jN6thrust23THRUST_200600_302600_NS6detail15normal_iteratorINSA_10device_ptrIjEEEEPS6_NSA_18transform_iteratorI7is_evenIjESF_NSA_11use_defaultESK_EENS0_5tupleIJNSA_16discard_iteratorISK_EESF_EEENSM_IJSG_SG_EEES6_PlJS6_EEE10hipError_tPvRmT3_T4_T5_T6_T7_T9_mT8_P12ihipStream_tbDpT10_ENKUlT_T0_E_clISt17integral_constantIbLb0EES1B_EEDaS16_S17_EUlS16_E_NS1_11comp_targetILNS1_3genE3ELNS1_11target_archE908ELNS1_3gpuE7ELNS1_3repE0EEENS1_30default_config_static_selectorELNS0_4arch9wavefront6targetE1EEEvT1_
	.globl	_ZN7rocprim17ROCPRIM_400000_NS6detail17trampoline_kernelINS0_14default_configENS1_25partition_config_selectorILNS1_17partition_subalgoE1EjNS0_10empty_typeEbEEZZNS1_14partition_implILS5_1ELb0ES3_jN6thrust23THRUST_200600_302600_NS6detail15normal_iteratorINSA_10device_ptrIjEEEEPS6_NSA_18transform_iteratorI7is_evenIjESF_NSA_11use_defaultESK_EENS0_5tupleIJNSA_16discard_iteratorISK_EESF_EEENSM_IJSG_SG_EEES6_PlJS6_EEE10hipError_tPvRmT3_T4_T5_T6_T7_T9_mT8_P12ihipStream_tbDpT10_ENKUlT_T0_E_clISt17integral_constantIbLb0EES1B_EEDaS16_S17_EUlS16_E_NS1_11comp_targetILNS1_3genE3ELNS1_11target_archE908ELNS1_3gpuE7ELNS1_3repE0EEENS1_30default_config_static_selectorELNS0_4arch9wavefront6targetE1EEEvT1_
	.p2align	8
	.type	_ZN7rocprim17ROCPRIM_400000_NS6detail17trampoline_kernelINS0_14default_configENS1_25partition_config_selectorILNS1_17partition_subalgoE1EjNS0_10empty_typeEbEEZZNS1_14partition_implILS5_1ELb0ES3_jN6thrust23THRUST_200600_302600_NS6detail15normal_iteratorINSA_10device_ptrIjEEEEPS6_NSA_18transform_iteratorI7is_evenIjESF_NSA_11use_defaultESK_EENS0_5tupleIJNSA_16discard_iteratorISK_EESF_EEENSM_IJSG_SG_EEES6_PlJS6_EEE10hipError_tPvRmT3_T4_T5_T6_T7_T9_mT8_P12ihipStream_tbDpT10_ENKUlT_T0_E_clISt17integral_constantIbLb0EES1B_EEDaS16_S17_EUlS16_E_NS1_11comp_targetILNS1_3genE3ELNS1_11target_archE908ELNS1_3gpuE7ELNS1_3repE0EEENS1_30default_config_static_selectorELNS0_4arch9wavefront6targetE1EEEvT1_,@function
_ZN7rocprim17ROCPRIM_400000_NS6detail17trampoline_kernelINS0_14default_configENS1_25partition_config_selectorILNS1_17partition_subalgoE1EjNS0_10empty_typeEbEEZZNS1_14partition_implILS5_1ELb0ES3_jN6thrust23THRUST_200600_302600_NS6detail15normal_iteratorINSA_10device_ptrIjEEEEPS6_NSA_18transform_iteratorI7is_evenIjESF_NSA_11use_defaultESK_EENS0_5tupleIJNSA_16discard_iteratorISK_EESF_EEENSM_IJSG_SG_EEES6_PlJS6_EEE10hipError_tPvRmT3_T4_T5_T6_T7_T9_mT8_P12ihipStream_tbDpT10_ENKUlT_T0_E_clISt17integral_constantIbLb0EES1B_EEDaS16_S17_EUlS16_E_NS1_11comp_targetILNS1_3genE3ELNS1_11target_archE908ELNS1_3gpuE7ELNS1_3repE0EEENS1_30default_config_static_selectorELNS0_4arch9wavefront6targetE1EEEvT1_: ; @_ZN7rocprim17ROCPRIM_400000_NS6detail17trampoline_kernelINS0_14default_configENS1_25partition_config_selectorILNS1_17partition_subalgoE1EjNS0_10empty_typeEbEEZZNS1_14partition_implILS5_1ELb0ES3_jN6thrust23THRUST_200600_302600_NS6detail15normal_iteratorINSA_10device_ptrIjEEEEPS6_NSA_18transform_iteratorI7is_evenIjESF_NSA_11use_defaultESK_EENS0_5tupleIJNSA_16discard_iteratorISK_EESF_EEENSM_IJSG_SG_EEES6_PlJS6_EEE10hipError_tPvRmT3_T4_T5_T6_T7_T9_mT8_P12ihipStream_tbDpT10_ENKUlT_T0_E_clISt17integral_constantIbLb0EES1B_EEDaS16_S17_EUlS16_E_NS1_11comp_targetILNS1_3genE3ELNS1_11target_archE908ELNS1_3gpuE7ELNS1_3repE0EEENS1_30default_config_static_selectorELNS0_4arch9wavefront6targetE1EEEvT1_
; %bb.0:
	.section	.rodata,"a",@progbits
	.p2align	6, 0x0
	.amdhsa_kernel _ZN7rocprim17ROCPRIM_400000_NS6detail17trampoline_kernelINS0_14default_configENS1_25partition_config_selectorILNS1_17partition_subalgoE1EjNS0_10empty_typeEbEEZZNS1_14partition_implILS5_1ELb0ES3_jN6thrust23THRUST_200600_302600_NS6detail15normal_iteratorINSA_10device_ptrIjEEEEPS6_NSA_18transform_iteratorI7is_evenIjESF_NSA_11use_defaultESK_EENS0_5tupleIJNSA_16discard_iteratorISK_EESF_EEENSM_IJSG_SG_EEES6_PlJS6_EEE10hipError_tPvRmT3_T4_T5_T6_T7_T9_mT8_P12ihipStream_tbDpT10_ENKUlT_T0_E_clISt17integral_constantIbLb0EES1B_EEDaS16_S17_EUlS16_E_NS1_11comp_targetILNS1_3genE3ELNS1_11target_archE908ELNS1_3gpuE7ELNS1_3repE0EEENS1_30default_config_static_selectorELNS0_4arch9wavefront6targetE1EEEvT1_
		.amdhsa_group_segment_fixed_size 0
		.amdhsa_private_segment_fixed_size 0
		.amdhsa_kernarg_size 136
		.amdhsa_user_sgpr_count 6
		.amdhsa_user_sgpr_private_segment_buffer 1
		.amdhsa_user_sgpr_dispatch_ptr 0
		.amdhsa_user_sgpr_queue_ptr 0
		.amdhsa_user_sgpr_kernarg_segment_ptr 1
		.amdhsa_user_sgpr_dispatch_id 0
		.amdhsa_user_sgpr_flat_scratch_init 0
		.amdhsa_user_sgpr_kernarg_preload_length 0
		.amdhsa_user_sgpr_kernarg_preload_offset 0
		.amdhsa_user_sgpr_private_segment_size 0
		.amdhsa_uses_dynamic_stack 0
		.amdhsa_system_sgpr_private_segment_wavefront_offset 0
		.amdhsa_system_sgpr_workgroup_id_x 1
		.amdhsa_system_sgpr_workgroup_id_y 0
		.amdhsa_system_sgpr_workgroup_id_z 0
		.amdhsa_system_sgpr_workgroup_info 0
		.amdhsa_system_vgpr_workitem_id 0
		.amdhsa_next_free_vgpr 1
		.amdhsa_next_free_sgpr 0
		.amdhsa_accum_offset 4
		.amdhsa_reserve_vcc 0
		.amdhsa_reserve_flat_scratch 0
		.amdhsa_float_round_mode_32 0
		.amdhsa_float_round_mode_16_64 0
		.amdhsa_float_denorm_mode_32 3
		.amdhsa_float_denorm_mode_16_64 3
		.amdhsa_dx10_clamp 1
		.amdhsa_ieee_mode 1
		.amdhsa_fp16_overflow 0
		.amdhsa_tg_split 0
		.amdhsa_exception_fp_ieee_invalid_op 0
		.amdhsa_exception_fp_denorm_src 0
		.amdhsa_exception_fp_ieee_div_zero 0
		.amdhsa_exception_fp_ieee_overflow 0
		.amdhsa_exception_fp_ieee_underflow 0
		.amdhsa_exception_fp_ieee_inexact 0
		.amdhsa_exception_int_div_zero 0
	.end_amdhsa_kernel
	.section	.text._ZN7rocprim17ROCPRIM_400000_NS6detail17trampoline_kernelINS0_14default_configENS1_25partition_config_selectorILNS1_17partition_subalgoE1EjNS0_10empty_typeEbEEZZNS1_14partition_implILS5_1ELb0ES3_jN6thrust23THRUST_200600_302600_NS6detail15normal_iteratorINSA_10device_ptrIjEEEEPS6_NSA_18transform_iteratorI7is_evenIjESF_NSA_11use_defaultESK_EENS0_5tupleIJNSA_16discard_iteratorISK_EESF_EEENSM_IJSG_SG_EEES6_PlJS6_EEE10hipError_tPvRmT3_T4_T5_T6_T7_T9_mT8_P12ihipStream_tbDpT10_ENKUlT_T0_E_clISt17integral_constantIbLb0EES1B_EEDaS16_S17_EUlS16_E_NS1_11comp_targetILNS1_3genE3ELNS1_11target_archE908ELNS1_3gpuE7ELNS1_3repE0EEENS1_30default_config_static_selectorELNS0_4arch9wavefront6targetE1EEEvT1_,"axG",@progbits,_ZN7rocprim17ROCPRIM_400000_NS6detail17trampoline_kernelINS0_14default_configENS1_25partition_config_selectorILNS1_17partition_subalgoE1EjNS0_10empty_typeEbEEZZNS1_14partition_implILS5_1ELb0ES3_jN6thrust23THRUST_200600_302600_NS6detail15normal_iteratorINSA_10device_ptrIjEEEEPS6_NSA_18transform_iteratorI7is_evenIjESF_NSA_11use_defaultESK_EENS0_5tupleIJNSA_16discard_iteratorISK_EESF_EEENSM_IJSG_SG_EEES6_PlJS6_EEE10hipError_tPvRmT3_T4_T5_T6_T7_T9_mT8_P12ihipStream_tbDpT10_ENKUlT_T0_E_clISt17integral_constantIbLb0EES1B_EEDaS16_S17_EUlS16_E_NS1_11comp_targetILNS1_3genE3ELNS1_11target_archE908ELNS1_3gpuE7ELNS1_3repE0EEENS1_30default_config_static_selectorELNS0_4arch9wavefront6targetE1EEEvT1_,comdat
.Lfunc_end3038:
	.size	_ZN7rocprim17ROCPRIM_400000_NS6detail17trampoline_kernelINS0_14default_configENS1_25partition_config_selectorILNS1_17partition_subalgoE1EjNS0_10empty_typeEbEEZZNS1_14partition_implILS5_1ELb0ES3_jN6thrust23THRUST_200600_302600_NS6detail15normal_iteratorINSA_10device_ptrIjEEEEPS6_NSA_18transform_iteratorI7is_evenIjESF_NSA_11use_defaultESK_EENS0_5tupleIJNSA_16discard_iteratorISK_EESF_EEENSM_IJSG_SG_EEES6_PlJS6_EEE10hipError_tPvRmT3_T4_T5_T6_T7_T9_mT8_P12ihipStream_tbDpT10_ENKUlT_T0_E_clISt17integral_constantIbLb0EES1B_EEDaS16_S17_EUlS16_E_NS1_11comp_targetILNS1_3genE3ELNS1_11target_archE908ELNS1_3gpuE7ELNS1_3repE0EEENS1_30default_config_static_selectorELNS0_4arch9wavefront6targetE1EEEvT1_, .Lfunc_end3038-_ZN7rocprim17ROCPRIM_400000_NS6detail17trampoline_kernelINS0_14default_configENS1_25partition_config_selectorILNS1_17partition_subalgoE1EjNS0_10empty_typeEbEEZZNS1_14partition_implILS5_1ELb0ES3_jN6thrust23THRUST_200600_302600_NS6detail15normal_iteratorINSA_10device_ptrIjEEEEPS6_NSA_18transform_iteratorI7is_evenIjESF_NSA_11use_defaultESK_EENS0_5tupleIJNSA_16discard_iteratorISK_EESF_EEENSM_IJSG_SG_EEES6_PlJS6_EEE10hipError_tPvRmT3_T4_T5_T6_T7_T9_mT8_P12ihipStream_tbDpT10_ENKUlT_T0_E_clISt17integral_constantIbLb0EES1B_EEDaS16_S17_EUlS16_E_NS1_11comp_targetILNS1_3genE3ELNS1_11target_archE908ELNS1_3gpuE7ELNS1_3repE0EEENS1_30default_config_static_selectorELNS0_4arch9wavefront6targetE1EEEvT1_
                                        ; -- End function
	.section	.AMDGPU.csdata,"",@progbits
; Kernel info:
; codeLenInByte = 0
; NumSgprs: 4
; NumVgprs: 0
; NumAgprs: 0
; TotalNumVgprs: 0
; ScratchSize: 0
; MemoryBound: 0
; FloatMode: 240
; IeeeMode: 1
; LDSByteSize: 0 bytes/workgroup (compile time only)
; SGPRBlocks: 0
; VGPRBlocks: 0
; NumSGPRsForWavesPerEU: 4
; NumVGPRsForWavesPerEU: 1
; AccumOffset: 4
; Occupancy: 8
; WaveLimiterHint : 0
; COMPUTE_PGM_RSRC2:SCRATCH_EN: 0
; COMPUTE_PGM_RSRC2:USER_SGPR: 6
; COMPUTE_PGM_RSRC2:TRAP_HANDLER: 0
; COMPUTE_PGM_RSRC2:TGID_X_EN: 1
; COMPUTE_PGM_RSRC2:TGID_Y_EN: 0
; COMPUTE_PGM_RSRC2:TGID_Z_EN: 0
; COMPUTE_PGM_RSRC2:TIDIG_COMP_CNT: 0
; COMPUTE_PGM_RSRC3_GFX90A:ACCUM_OFFSET: 0
; COMPUTE_PGM_RSRC3_GFX90A:TG_SPLIT: 0
	.section	.text._ZN7rocprim17ROCPRIM_400000_NS6detail17trampoline_kernelINS0_14default_configENS1_25partition_config_selectorILNS1_17partition_subalgoE1EjNS0_10empty_typeEbEEZZNS1_14partition_implILS5_1ELb0ES3_jN6thrust23THRUST_200600_302600_NS6detail15normal_iteratorINSA_10device_ptrIjEEEEPS6_NSA_18transform_iteratorI7is_evenIjESF_NSA_11use_defaultESK_EENS0_5tupleIJNSA_16discard_iteratorISK_EESF_EEENSM_IJSG_SG_EEES6_PlJS6_EEE10hipError_tPvRmT3_T4_T5_T6_T7_T9_mT8_P12ihipStream_tbDpT10_ENKUlT_T0_E_clISt17integral_constantIbLb0EES1B_EEDaS16_S17_EUlS16_E_NS1_11comp_targetILNS1_3genE2ELNS1_11target_archE906ELNS1_3gpuE6ELNS1_3repE0EEENS1_30default_config_static_selectorELNS0_4arch9wavefront6targetE1EEEvT1_,"axG",@progbits,_ZN7rocprim17ROCPRIM_400000_NS6detail17trampoline_kernelINS0_14default_configENS1_25partition_config_selectorILNS1_17partition_subalgoE1EjNS0_10empty_typeEbEEZZNS1_14partition_implILS5_1ELb0ES3_jN6thrust23THRUST_200600_302600_NS6detail15normal_iteratorINSA_10device_ptrIjEEEEPS6_NSA_18transform_iteratorI7is_evenIjESF_NSA_11use_defaultESK_EENS0_5tupleIJNSA_16discard_iteratorISK_EESF_EEENSM_IJSG_SG_EEES6_PlJS6_EEE10hipError_tPvRmT3_T4_T5_T6_T7_T9_mT8_P12ihipStream_tbDpT10_ENKUlT_T0_E_clISt17integral_constantIbLb0EES1B_EEDaS16_S17_EUlS16_E_NS1_11comp_targetILNS1_3genE2ELNS1_11target_archE906ELNS1_3gpuE6ELNS1_3repE0EEENS1_30default_config_static_selectorELNS0_4arch9wavefront6targetE1EEEvT1_,comdat
	.protected	_ZN7rocprim17ROCPRIM_400000_NS6detail17trampoline_kernelINS0_14default_configENS1_25partition_config_selectorILNS1_17partition_subalgoE1EjNS0_10empty_typeEbEEZZNS1_14partition_implILS5_1ELb0ES3_jN6thrust23THRUST_200600_302600_NS6detail15normal_iteratorINSA_10device_ptrIjEEEEPS6_NSA_18transform_iteratorI7is_evenIjESF_NSA_11use_defaultESK_EENS0_5tupleIJNSA_16discard_iteratorISK_EESF_EEENSM_IJSG_SG_EEES6_PlJS6_EEE10hipError_tPvRmT3_T4_T5_T6_T7_T9_mT8_P12ihipStream_tbDpT10_ENKUlT_T0_E_clISt17integral_constantIbLb0EES1B_EEDaS16_S17_EUlS16_E_NS1_11comp_targetILNS1_3genE2ELNS1_11target_archE906ELNS1_3gpuE6ELNS1_3repE0EEENS1_30default_config_static_selectorELNS0_4arch9wavefront6targetE1EEEvT1_ ; -- Begin function _ZN7rocprim17ROCPRIM_400000_NS6detail17trampoline_kernelINS0_14default_configENS1_25partition_config_selectorILNS1_17partition_subalgoE1EjNS0_10empty_typeEbEEZZNS1_14partition_implILS5_1ELb0ES3_jN6thrust23THRUST_200600_302600_NS6detail15normal_iteratorINSA_10device_ptrIjEEEEPS6_NSA_18transform_iteratorI7is_evenIjESF_NSA_11use_defaultESK_EENS0_5tupleIJNSA_16discard_iteratorISK_EESF_EEENSM_IJSG_SG_EEES6_PlJS6_EEE10hipError_tPvRmT3_T4_T5_T6_T7_T9_mT8_P12ihipStream_tbDpT10_ENKUlT_T0_E_clISt17integral_constantIbLb0EES1B_EEDaS16_S17_EUlS16_E_NS1_11comp_targetILNS1_3genE2ELNS1_11target_archE906ELNS1_3gpuE6ELNS1_3repE0EEENS1_30default_config_static_selectorELNS0_4arch9wavefront6targetE1EEEvT1_
	.globl	_ZN7rocprim17ROCPRIM_400000_NS6detail17trampoline_kernelINS0_14default_configENS1_25partition_config_selectorILNS1_17partition_subalgoE1EjNS0_10empty_typeEbEEZZNS1_14partition_implILS5_1ELb0ES3_jN6thrust23THRUST_200600_302600_NS6detail15normal_iteratorINSA_10device_ptrIjEEEEPS6_NSA_18transform_iteratorI7is_evenIjESF_NSA_11use_defaultESK_EENS0_5tupleIJNSA_16discard_iteratorISK_EESF_EEENSM_IJSG_SG_EEES6_PlJS6_EEE10hipError_tPvRmT3_T4_T5_T6_T7_T9_mT8_P12ihipStream_tbDpT10_ENKUlT_T0_E_clISt17integral_constantIbLb0EES1B_EEDaS16_S17_EUlS16_E_NS1_11comp_targetILNS1_3genE2ELNS1_11target_archE906ELNS1_3gpuE6ELNS1_3repE0EEENS1_30default_config_static_selectorELNS0_4arch9wavefront6targetE1EEEvT1_
	.p2align	8
	.type	_ZN7rocprim17ROCPRIM_400000_NS6detail17trampoline_kernelINS0_14default_configENS1_25partition_config_selectorILNS1_17partition_subalgoE1EjNS0_10empty_typeEbEEZZNS1_14partition_implILS5_1ELb0ES3_jN6thrust23THRUST_200600_302600_NS6detail15normal_iteratorINSA_10device_ptrIjEEEEPS6_NSA_18transform_iteratorI7is_evenIjESF_NSA_11use_defaultESK_EENS0_5tupleIJNSA_16discard_iteratorISK_EESF_EEENSM_IJSG_SG_EEES6_PlJS6_EEE10hipError_tPvRmT3_T4_T5_T6_T7_T9_mT8_P12ihipStream_tbDpT10_ENKUlT_T0_E_clISt17integral_constantIbLb0EES1B_EEDaS16_S17_EUlS16_E_NS1_11comp_targetILNS1_3genE2ELNS1_11target_archE906ELNS1_3gpuE6ELNS1_3repE0EEENS1_30default_config_static_selectorELNS0_4arch9wavefront6targetE1EEEvT1_,@function
_ZN7rocprim17ROCPRIM_400000_NS6detail17trampoline_kernelINS0_14default_configENS1_25partition_config_selectorILNS1_17partition_subalgoE1EjNS0_10empty_typeEbEEZZNS1_14partition_implILS5_1ELb0ES3_jN6thrust23THRUST_200600_302600_NS6detail15normal_iteratorINSA_10device_ptrIjEEEEPS6_NSA_18transform_iteratorI7is_evenIjESF_NSA_11use_defaultESK_EENS0_5tupleIJNSA_16discard_iteratorISK_EESF_EEENSM_IJSG_SG_EEES6_PlJS6_EEE10hipError_tPvRmT3_T4_T5_T6_T7_T9_mT8_P12ihipStream_tbDpT10_ENKUlT_T0_E_clISt17integral_constantIbLb0EES1B_EEDaS16_S17_EUlS16_E_NS1_11comp_targetILNS1_3genE2ELNS1_11target_archE906ELNS1_3gpuE6ELNS1_3repE0EEENS1_30default_config_static_selectorELNS0_4arch9wavefront6targetE1EEEvT1_: ; @_ZN7rocprim17ROCPRIM_400000_NS6detail17trampoline_kernelINS0_14default_configENS1_25partition_config_selectorILNS1_17partition_subalgoE1EjNS0_10empty_typeEbEEZZNS1_14partition_implILS5_1ELb0ES3_jN6thrust23THRUST_200600_302600_NS6detail15normal_iteratorINSA_10device_ptrIjEEEEPS6_NSA_18transform_iteratorI7is_evenIjESF_NSA_11use_defaultESK_EENS0_5tupleIJNSA_16discard_iteratorISK_EESF_EEENSM_IJSG_SG_EEES6_PlJS6_EEE10hipError_tPvRmT3_T4_T5_T6_T7_T9_mT8_P12ihipStream_tbDpT10_ENKUlT_T0_E_clISt17integral_constantIbLb0EES1B_EEDaS16_S17_EUlS16_E_NS1_11comp_targetILNS1_3genE2ELNS1_11target_archE906ELNS1_3gpuE6ELNS1_3repE0EEENS1_30default_config_static_selectorELNS0_4arch9wavefront6targetE1EEEvT1_
; %bb.0:
	.section	.rodata,"a",@progbits
	.p2align	6, 0x0
	.amdhsa_kernel _ZN7rocprim17ROCPRIM_400000_NS6detail17trampoline_kernelINS0_14default_configENS1_25partition_config_selectorILNS1_17partition_subalgoE1EjNS0_10empty_typeEbEEZZNS1_14partition_implILS5_1ELb0ES3_jN6thrust23THRUST_200600_302600_NS6detail15normal_iteratorINSA_10device_ptrIjEEEEPS6_NSA_18transform_iteratorI7is_evenIjESF_NSA_11use_defaultESK_EENS0_5tupleIJNSA_16discard_iteratorISK_EESF_EEENSM_IJSG_SG_EEES6_PlJS6_EEE10hipError_tPvRmT3_T4_T5_T6_T7_T9_mT8_P12ihipStream_tbDpT10_ENKUlT_T0_E_clISt17integral_constantIbLb0EES1B_EEDaS16_S17_EUlS16_E_NS1_11comp_targetILNS1_3genE2ELNS1_11target_archE906ELNS1_3gpuE6ELNS1_3repE0EEENS1_30default_config_static_selectorELNS0_4arch9wavefront6targetE1EEEvT1_
		.amdhsa_group_segment_fixed_size 0
		.amdhsa_private_segment_fixed_size 0
		.amdhsa_kernarg_size 136
		.amdhsa_user_sgpr_count 6
		.amdhsa_user_sgpr_private_segment_buffer 1
		.amdhsa_user_sgpr_dispatch_ptr 0
		.amdhsa_user_sgpr_queue_ptr 0
		.amdhsa_user_sgpr_kernarg_segment_ptr 1
		.amdhsa_user_sgpr_dispatch_id 0
		.amdhsa_user_sgpr_flat_scratch_init 0
		.amdhsa_user_sgpr_kernarg_preload_length 0
		.amdhsa_user_sgpr_kernarg_preload_offset 0
		.amdhsa_user_sgpr_private_segment_size 0
		.amdhsa_uses_dynamic_stack 0
		.amdhsa_system_sgpr_private_segment_wavefront_offset 0
		.amdhsa_system_sgpr_workgroup_id_x 1
		.amdhsa_system_sgpr_workgroup_id_y 0
		.amdhsa_system_sgpr_workgroup_id_z 0
		.amdhsa_system_sgpr_workgroup_info 0
		.amdhsa_system_vgpr_workitem_id 0
		.amdhsa_next_free_vgpr 1
		.amdhsa_next_free_sgpr 0
		.amdhsa_accum_offset 4
		.amdhsa_reserve_vcc 0
		.amdhsa_reserve_flat_scratch 0
		.amdhsa_float_round_mode_32 0
		.amdhsa_float_round_mode_16_64 0
		.amdhsa_float_denorm_mode_32 3
		.amdhsa_float_denorm_mode_16_64 3
		.amdhsa_dx10_clamp 1
		.amdhsa_ieee_mode 1
		.amdhsa_fp16_overflow 0
		.amdhsa_tg_split 0
		.amdhsa_exception_fp_ieee_invalid_op 0
		.amdhsa_exception_fp_denorm_src 0
		.amdhsa_exception_fp_ieee_div_zero 0
		.amdhsa_exception_fp_ieee_overflow 0
		.amdhsa_exception_fp_ieee_underflow 0
		.amdhsa_exception_fp_ieee_inexact 0
		.amdhsa_exception_int_div_zero 0
	.end_amdhsa_kernel
	.section	.text._ZN7rocprim17ROCPRIM_400000_NS6detail17trampoline_kernelINS0_14default_configENS1_25partition_config_selectorILNS1_17partition_subalgoE1EjNS0_10empty_typeEbEEZZNS1_14partition_implILS5_1ELb0ES3_jN6thrust23THRUST_200600_302600_NS6detail15normal_iteratorINSA_10device_ptrIjEEEEPS6_NSA_18transform_iteratorI7is_evenIjESF_NSA_11use_defaultESK_EENS0_5tupleIJNSA_16discard_iteratorISK_EESF_EEENSM_IJSG_SG_EEES6_PlJS6_EEE10hipError_tPvRmT3_T4_T5_T6_T7_T9_mT8_P12ihipStream_tbDpT10_ENKUlT_T0_E_clISt17integral_constantIbLb0EES1B_EEDaS16_S17_EUlS16_E_NS1_11comp_targetILNS1_3genE2ELNS1_11target_archE906ELNS1_3gpuE6ELNS1_3repE0EEENS1_30default_config_static_selectorELNS0_4arch9wavefront6targetE1EEEvT1_,"axG",@progbits,_ZN7rocprim17ROCPRIM_400000_NS6detail17trampoline_kernelINS0_14default_configENS1_25partition_config_selectorILNS1_17partition_subalgoE1EjNS0_10empty_typeEbEEZZNS1_14partition_implILS5_1ELb0ES3_jN6thrust23THRUST_200600_302600_NS6detail15normal_iteratorINSA_10device_ptrIjEEEEPS6_NSA_18transform_iteratorI7is_evenIjESF_NSA_11use_defaultESK_EENS0_5tupleIJNSA_16discard_iteratorISK_EESF_EEENSM_IJSG_SG_EEES6_PlJS6_EEE10hipError_tPvRmT3_T4_T5_T6_T7_T9_mT8_P12ihipStream_tbDpT10_ENKUlT_T0_E_clISt17integral_constantIbLb0EES1B_EEDaS16_S17_EUlS16_E_NS1_11comp_targetILNS1_3genE2ELNS1_11target_archE906ELNS1_3gpuE6ELNS1_3repE0EEENS1_30default_config_static_selectorELNS0_4arch9wavefront6targetE1EEEvT1_,comdat
.Lfunc_end3039:
	.size	_ZN7rocprim17ROCPRIM_400000_NS6detail17trampoline_kernelINS0_14default_configENS1_25partition_config_selectorILNS1_17partition_subalgoE1EjNS0_10empty_typeEbEEZZNS1_14partition_implILS5_1ELb0ES3_jN6thrust23THRUST_200600_302600_NS6detail15normal_iteratorINSA_10device_ptrIjEEEEPS6_NSA_18transform_iteratorI7is_evenIjESF_NSA_11use_defaultESK_EENS0_5tupleIJNSA_16discard_iteratorISK_EESF_EEENSM_IJSG_SG_EEES6_PlJS6_EEE10hipError_tPvRmT3_T4_T5_T6_T7_T9_mT8_P12ihipStream_tbDpT10_ENKUlT_T0_E_clISt17integral_constantIbLb0EES1B_EEDaS16_S17_EUlS16_E_NS1_11comp_targetILNS1_3genE2ELNS1_11target_archE906ELNS1_3gpuE6ELNS1_3repE0EEENS1_30default_config_static_selectorELNS0_4arch9wavefront6targetE1EEEvT1_, .Lfunc_end3039-_ZN7rocprim17ROCPRIM_400000_NS6detail17trampoline_kernelINS0_14default_configENS1_25partition_config_selectorILNS1_17partition_subalgoE1EjNS0_10empty_typeEbEEZZNS1_14partition_implILS5_1ELb0ES3_jN6thrust23THRUST_200600_302600_NS6detail15normal_iteratorINSA_10device_ptrIjEEEEPS6_NSA_18transform_iteratorI7is_evenIjESF_NSA_11use_defaultESK_EENS0_5tupleIJNSA_16discard_iteratorISK_EESF_EEENSM_IJSG_SG_EEES6_PlJS6_EEE10hipError_tPvRmT3_T4_T5_T6_T7_T9_mT8_P12ihipStream_tbDpT10_ENKUlT_T0_E_clISt17integral_constantIbLb0EES1B_EEDaS16_S17_EUlS16_E_NS1_11comp_targetILNS1_3genE2ELNS1_11target_archE906ELNS1_3gpuE6ELNS1_3repE0EEENS1_30default_config_static_selectorELNS0_4arch9wavefront6targetE1EEEvT1_
                                        ; -- End function
	.section	.AMDGPU.csdata,"",@progbits
; Kernel info:
; codeLenInByte = 0
; NumSgprs: 4
; NumVgprs: 0
; NumAgprs: 0
; TotalNumVgprs: 0
; ScratchSize: 0
; MemoryBound: 0
; FloatMode: 240
; IeeeMode: 1
; LDSByteSize: 0 bytes/workgroup (compile time only)
; SGPRBlocks: 0
; VGPRBlocks: 0
; NumSGPRsForWavesPerEU: 4
; NumVGPRsForWavesPerEU: 1
; AccumOffset: 4
; Occupancy: 8
; WaveLimiterHint : 0
; COMPUTE_PGM_RSRC2:SCRATCH_EN: 0
; COMPUTE_PGM_RSRC2:USER_SGPR: 6
; COMPUTE_PGM_RSRC2:TRAP_HANDLER: 0
; COMPUTE_PGM_RSRC2:TGID_X_EN: 1
; COMPUTE_PGM_RSRC2:TGID_Y_EN: 0
; COMPUTE_PGM_RSRC2:TGID_Z_EN: 0
; COMPUTE_PGM_RSRC2:TIDIG_COMP_CNT: 0
; COMPUTE_PGM_RSRC3_GFX90A:ACCUM_OFFSET: 0
; COMPUTE_PGM_RSRC3_GFX90A:TG_SPLIT: 0
	.section	.text._ZN7rocprim17ROCPRIM_400000_NS6detail17trampoline_kernelINS0_14default_configENS1_25partition_config_selectorILNS1_17partition_subalgoE1EjNS0_10empty_typeEbEEZZNS1_14partition_implILS5_1ELb0ES3_jN6thrust23THRUST_200600_302600_NS6detail15normal_iteratorINSA_10device_ptrIjEEEEPS6_NSA_18transform_iteratorI7is_evenIjESF_NSA_11use_defaultESK_EENS0_5tupleIJNSA_16discard_iteratorISK_EESF_EEENSM_IJSG_SG_EEES6_PlJS6_EEE10hipError_tPvRmT3_T4_T5_T6_T7_T9_mT8_P12ihipStream_tbDpT10_ENKUlT_T0_E_clISt17integral_constantIbLb0EES1B_EEDaS16_S17_EUlS16_E_NS1_11comp_targetILNS1_3genE10ELNS1_11target_archE1200ELNS1_3gpuE4ELNS1_3repE0EEENS1_30default_config_static_selectorELNS0_4arch9wavefront6targetE1EEEvT1_,"axG",@progbits,_ZN7rocprim17ROCPRIM_400000_NS6detail17trampoline_kernelINS0_14default_configENS1_25partition_config_selectorILNS1_17partition_subalgoE1EjNS0_10empty_typeEbEEZZNS1_14partition_implILS5_1ELb0ES3_jN6thrust23THRUST_200600_302600_NS6detail15normal_iteratorINSA_10device_ptrIjEEEEPS6_NSA_18transform_iteratorI7is_evenIjESF_NSA_11use_defaultESK_EENS0_5tupleIJNSA_16discard_iteratorISK_EESF_EEENSM_IJSG_SG_EEES6_PlJS6_EEE10hipError_tPvRmT3_T4_T5_T6_T7_T9_mT8_P12ihipStream_tbDpT10_ENKUlT_T0_E_clISt17integral_constantIbLb0EES1B_EEDaS16_S17_EUlS16_E_NS1_11comp_targetILNS1_3genE10ELNS1_11target_archE1200ELNS1_3gpuE4ELNS1_3repE0EEENS1_30default_config_static_selectorELNS0_4arch9wavefront6targetE1EEEvT1_,comdat
	.protected	_ZN7rocprim17ROCPRIM_400000_NS6detail17trampoline_kernelINS0_14default_configENS1_25partition_config_selectorILNS1_17partition_subalgoE1EjNS0_10empty_typeEbEEZZNS1_14partition_implILS5_1ELb0ES3_jN6thrust23THRUST_200600_302600_NS6detail15normal_iteratorINSA_10device_ptrIjEEEEPS6_NSA_18transform_iteratorI7is_evenIjESF_NSA_11use_defaultESK_EENS0_5tupleIJNSA_16discard_iteratorISK_EESF_EEENSM_IJSG_SG_EEES6_PlJS6_EEE10hipError_tPvRmT3_T4_T5_T6_T7_T9_mT8_P12ihipStream_tbDpT10_ENKUlT_T0_E_clISt17integral_constantIbLb0EES1B_EEDaS16_S17_EUlS16_E_NS1_11comp_targetILNS1_3genE10ELNS1_11target_archE1200ELNS1_3gpuE4ELNS1_3repE0EEENS1_30default_config_static_selectorELNS0_4arch9wavefront6targetE1EEEvT1_ ; -- Begin function _ZN7rocprim17ROCPRIM_400000_NS6detail17trampoline_kernelINS0_14default_configENS1_25partition_config_selectorILNS1_17partition_subalgoE1EjNS0_10empty_typeEbEEZZNS1_14partition_implILS5_1ELb0ES3_jN6thrust23THRUST_200600_302600_NS6detail15normal_iteratorINSA_10device_ptrIjEEEEPS6_NSA_18transform_iteratorI7is_evenIjESF_NSA_11use_defaultESK_EENS0_5tupleIJNSA_16discard_iteratorISK_EESF_EEENSM_IJSG_SG_EEES6_PlJS6_EEE10hipError_tPvRmT3_T4_T5_T6_T7_T9_mT8_P12ihipStream_tbDpT10_ENKUlT_T0_E_clISt17integral_constantIbLb0EES1B_EEDaS16_S17_EUlS16_E_NS1_11comp_targetILNS1_3genE10ELNS1_11target_archE1200ELNS1_3gpuE4ELNS1_3repE0EEENS1_30default_config_static_selectorELNS0_4arch9wavefront6targetE1EEEvT1_
	.globl	_ZN7rocprim17ROCPRIM_400000_NS6detail17trampoline_kernelINS0_14default_configENS1_25partition_config_selectorILNS1_17partition_subalgoE1EjNS0_10empty_typeEbEEZZNS1_14partition_implILS5_1ELb0ES3_jN6thrust23THRUST_200600_302600_NS6detail15normal_iteratorINSA_10device_ptrIjEEEEPS6_NSA_18transform_iteratorI7is_evenIjESF_NSA_11use_defaultESK_EENS0_5tupleIJNSA_16discard_iteratorISK_EESF_EEENSM_IJSG_SG_EEES6_PlJS6_EEE10hipError_tPvRmT3_T4_T5_T6_T7_T9_mT8_P12ihipStream_tbDpT10_ENKUlT_T0_E_clISt17integral_constantIbLb0EES1B_EEDaS16_S17_EUlS16_E_NS1_11comp_targetILNS1_3genE10ELNS1_11target_archE1200ELNS1_3gpuE4ELNS1_3repE0EEENS1_30default_config_static_selectorELNS0_4arch9wavefront6targetE1EEEvT1_
	.p2align	8
	.type	_ZN7rocprim17ROCPRIM_400000_NS6detail17trampoline_kernelINS0_14default_configENS1_25partition_config_selectorILNS1_17partition_subalgoE1EjNS0_10empty_typeEbEEZZNS1_14partition_implILS5_1ELb0ES3_jN6thrust23THRUST_200600_302600_NS6detail15normal_iteratorINSA_10device_ptrIjEEEEPS6_NSA_18transform_iteratorI7is_evenIjESF_NSA_11use_defaultESK_EENS0_5tupleIJNSA_16discard_iteratorISK_EESF_EEENSM_IJSG_SG_EEES6_PlJS6_EEE10hipError_tPvRmT3_T4_T5_T6_T7_T9_mT8_P12ihipStream_tbDpT10_ENKUlT_T0_E_clISt17integral_constantIbLb0EES1B_EEDaS16_S17_EUlS16_E_NS1_11comp_targetILNS1_3genE10ELNS1_11target_archE1200ELNS1_3gpuE4ELNS1_3repE0EEENS1_30default_config_static_selectorELNS0_4arch9wavefront6targetE1EEEvT1_,@function
_ZN7rocprim17ROCPRIM_400000_NS6detail17trampoline_kernelINS0_14default_configENS1_25partition_config_selectorILNS1_17partition_subalgoE1EjNS0_10empty_typeEbEEZZNS1_14partition_implILS5_1ELb0ES3_jN6thrust23THRUST_200600_302600_NS6detail15normal_iteratorINSA_10device_ptrIjEEEEPS6_NSA_18transform_iteratorI7is_evenIjESF_NSA_11use_defaultESK_EENS0_5tupleIJNSA_16discard_iteratorISK_EESF_EEENSM_IJSG_SG_EEES6_PlJS6_EEE10hipError_tPvRmT3_T4_T5_T6_T7_T9_mT8_P12ihipStream_tbDpT10_ENKUlT_T0_E_clISt17integral_constantIbLb0EES1B_EEDaS16_S17_EUlS16_E_NS1_11comp_targetILNS1_3genE10ELNS1_11target_archE1200ELNS1_3gpuE4ELNS1_3repE0EEENS1_30default_config_static_selectorELNS0_4arch9wavefront6targetE1EEEvT1_: ; @_ZN7rocprim17ROCPRIM_400000_NS6detail17trampoline_kernelINS0_14default_configENS1_25partition_config_selectorILNS1_17partition_subalgoE1EjNS0_10empty_typeEbEEZZNS1_14partition_implILS5_1ELb0ES3_jN6thrust23THRUST_200600_302600_NS6detail15normal_iteratorINSA_10device_ptrIjEEEEPS6_NSA_18transform_iteratorI7is_evenIjESF_NSA_11use_defaultESK_EENS0_5tupleIJNSA_16discard_iteratorISK_EESF_EEENSM_IJSG_SG_EEES6_PlJS6_EEE10hipError_tPvRmT3_T4_T5_T6_T7_T9_mT8_P12ihipStream_tbDpT10_ENKUlT_T0_E_clISt17integral_constantIbLb0EES1B_EEDaS16_S17_EUlS16_E_NS1_11comp_targetILNS1_3genE10ELNS1_11target_archE1200ELNS1_3gpuE4ELNS1_3repE0EEENS1_30default_config_static_selectorELNS0_4arch9wavefront6targetE1EEEvT1_
; %bb.0:
	.section	.rodata,"a",@progbits
	.p2align	6, 0x0
	.amdhsa_kernel _ZN7rocprim17ROCPRIM_400000_NS6detail17trampoline_kernelINS0_14default_configENS1_25partition_config_selectorILNS1_17partition_subalgoE1EjNS0_10empty_typeEbEEZZNS1_14partition_implILS5_1ELb0ES3_jN6thrust23THRUST_200600_302600_NS6detail15normal_iteratorINSA_10device_ptrIjEEEEPS6_NSA_18transform_iteratorI7is_evenIjESF_NSA_11use_defaultESK_EENS0_5tupleIJNSA_16discard_iteratorISK_EESF_EEENSM_IJSG_SG_EEES6_PlJS6_EEE10hipError_tPvRmT3_T4_T5_T6_T7_T9_mT8_P12ihipStream_tbDpT10_ENKUlT_T0_E_clISt17integral_constantIbLb0EES1B_EEDaS16_S17_EUlS16_E_NS1_11comp_targetILNS1_3genE10ELNS1_11target_archE1200ELNS1_3gpuE4ELNS1_3repE0EEENS1_30default_config_static_selectorELNS0_4arch9wavefront6targetE1EEEvT1_
		.amdhsa_group_segment_fixed_size 0
		.amdhsa_private_segment_fixed_size 0
		.amdhsa_kernarg_size 136
		.amdhsa_user_sgpr_count 6
		.amdhsa_user_sgpr_private_segment_buffer 1
		.amdhsa_user_sgpr_dispatch_ptr 0
		.amdhsa_user_sgpr_queue_ptr 0
		.amdhsa_user_sgpr_kernarg_segment_ptr 1
		.amdhsa_user_sgpr_dispatch_id 0
		.amdhsa_user_sgpr_flat_scratch_init 0
		.amdhsa_user_sgpr_kernarg_preload_length 0
		.amdhsa_user_sgpr_kernarg_preload_offset 0
		.amdhsa_user_sgpr_private_segment_size 0
		.amdhsa_uses_dynamic_stack 0
		.amdhsa_system_sgpr_private_segment_wavefront_offset 0
		.amdhsa_system_sgpr_workgroup_id_x 1
		.amdhsa_system_sgpr_workgroup_id_y 0
		.amdhsa_system_sgpr_workgroup_id_z 0
		.amdhsa_system_sgpr_workgroup_info 0
		.amdhsa_system_vgpr_workitem_id 0
		.amdhsa_next_free_vgpr 1
		.amdhsa_next_free_sgpr 0
		.amdhsa_accum_offset 4
		.amdhsa_reserve_vcc 0
		.amdhsa_reserve_flat_scratch 0
		.amdhsa_float_round_mode_32 0
		.amdhsa_float_round_mode_16_64 0
		.amdhsa_float_denorm_mode_32 3
		.amdhsa_float_denorm_mode_16_64 3
		.amdhsa_dx10_clamp 1
		.amdhsa_ieee_mode 1
		.amdhsa_fp16_overflow 0
		.amdhsa_tg_split 0
		.amdhsa_exception_fp_ieee_invalid_op 0
		.amdhsa_exception_fp_denorm_src 0
		.amdhsa_exception_fp_ieee_div_zero 0
		.amdhsa_exception_fp_ieee_overflow 0
		.amdhsa_exception_fp_ieee_underflow 0
		.amdhsa_exception_fp_ieee_inexact 0
		.amdhsa_exception_int_div_zero 0
	.end_amdhsa_kernel
	.section	.text._ZN7rocprim17ROCPRIM_400000_NS6detail17trampoline_kernelINS0_14default_configENS1_25partition_config_selectorILNS1_17partition_subalgoE1EjNS0_10empty_typeEbEEZZNS1_14partition_implILS5_1ELb0ES3_jN6thrust23THRUST_200600_302600_NS6detail15normal_iteratorINSA_10device_ptrIjEEEEPS6_NSA_18transform_iteratorI7is_evenIjESF_NSA_11use_defaultESK_EENS0_5tupleIJNSA_16discard_iteratorISK_EESF_EEENSM_IJSG_SG_EEES6_PlJS6_EEE10hipError_tPvRmT3_T4_T5_T6_T7_T9_mT8_P12ihipStream_tbDpT10_ENKUlT_T0_E_clISt17integral_constantIbLb0EES1B_EEDaS16_S17_EUlS16_E_NS1_11comp_targetILNS1_3genE10ELNS1_11target_archE1200ELNS1_3gpuE4ELNS1_3repE0EEENS1_30default_config_static_selectorELNS0_4arch9wavefront6targetE1EEEvT1_,"axG",@progbits,_ZN7rocprim17ROCPRIM_400000_NS6detail17trampoline_kernelINS0_14default_configENS1_25partition_config_selectorILNS1_17partition_subalgoE1EjNS0_10empty_typeEbEEZZNS1_14partition_implILS5_1ELb0ES3_jN6thrust23THRUST_200600_302600_NS6detail15normal_iteratorINSA_10device_ptrIjEEEEPS6_NSA_18transform_iteratorI7is_evenIjESF_NSA_11use_defaultESK_EENS0_5tupleIJNSA_16discard_iteratorISK_EESF_EEENSM_IJSG_SG_EEES6_PlJS6_EEE10hipError_tPvRmT3_T4_T5_T6_T7_T9_mT8_P12ihipStream_tbDpT10_ENKUlT_T0_E_clISt17integral_constantIbLb0EES1B_EEDaS16_S17_EUlS16_E_NS1_11comp_targetILNS1_3genE10ELNS1_11target_archE1200ELNS1_3gpuE4ELNS1_3repE0EEENS1_30default_config_static_selectorELNS0_4arch9wavefront6targetE1EEEvT1_,comdat
.Lfunc_end3040:
	.size	_ZN7rocprim17ROCPRIM_400000_NS6detail17trampoline_kernelINS0_14default_configENS1_25partition_config_selectorILNS1_17partition_subalgoE1EjNS0_10empty_typeEbEEZZNS1_14partition_implILS5_1ELb0ES3_jN6thrust23THRUST_200600_302600_NS6detail15normal_iteratorINSA_10device_ptrIjEEEEPS6_NSA_18transform_iteratorI7is_evenIjESF_NSA_11use_defaultESK_EENS0_5tupleIJNSA_16discard_iteratorISK_EESF_EEENSM_IJSG_SG_EEES6_PlJS6_EEE10hipError_tPvRmT3_T4_T5_T6_T7_T9_mT8_P12ihipStream_tbDpT10_ENKUlT_T0_E_clISt17integral_constantIbLb0EES1B_EEDaS16_S17_EUlS16_E_NS1_11comp_targetILNS1_3genE10ELNS1_11target_archE1200ELNS1_3gpuE4ELNS1_3repE0EEENS1_30default_config_static_selectorELNS0_4arch9wavefront6targetE1EEEvT1_, .Lfunc_end3040-_ZN7rocprim17ROCPRIM_400000_NS6detail17trampoline_kernelINS0_14default_configENS1_25partition_config_selectorILNS1_17partition_subalgoE1EjNS0_10empty_typeEbEEZZNS1_14partition_implILS5_1ELb0ES3_jN6thrust23THRUST_200600_302600_NS6detail15normal_iteratorINSA_10device_ptrIjEEEEPS6_NSA_18transform_iteratorI7is_evenIjESF_NSA_11use_defaultESK_EENS0_5tupleIJNSA_16discard_iteratorISK_EESF_EEENSM_IJSG_SG_EEES6_PlJS6_EEE10hipError_tPvRmT3_T4_T5_T6_T7_T9_mT8_P12ihipStream_tbDpT10_ENKUlT_T0_E_clISt17integral_constantIbLb0EES1B_EEDaS16_S17_EUlS16_E_NS1_11comp_targetILNS1_3genE10ELNS1_11target_archE1200ELNS1_3gpuE4ELNS1_3repE0EEENS1_30default_config_static_selectorELNS0_4arch9wavefront6targetE1EEEvT1_
                                        ; -- End function
	.section	.AMDGPU.csdata,"",@progbits
; Kernel info:
; codeLenInByte = 0
; NumSgprs: 4
; NumVgprs: 0
; NumAgprs: 0
; TotalNumVgprs: 0
; ScratchSize: 0
; MemoryBound: 0
; FloatMode: 240
; IeeeMode: 1
; LDSByteSize: 0 bytes/workgroup (compile time only)
; SGPRBlocks: 0
; VGPRBlocks: 0
; NumSGPRsForWavesPerEU: 4
; NumVGPRsForWavesPerEU: 1
; AccumOffset: 4
; Occupancy: 8
; WaveLimiterHint : 0
; COMPUTE_PGM_RSRC2:SCRATCH_EN: 0
; COMPUTE_PGM_RSRC2:USER_SGPR: 6
; COMPUTE_PGM_RSRC2:TRAP_HANDLER: 0
; COMPUTE_PGM_RSRC2:TGID_X_EN: 1
; COMPUTE_PGM_RSRC2:TGID_Y_EN: 0
; COMPUTE_PGM_RSRC2:TGID_Z_EN: 0
; COMPUTE_PGM_RSRC2:TIDIG_COMP_CNT: 0
; COMPUTE_PGM_RSRC3_GFX90A:ACCUM_OFFSET: 0
; COMPUTE_PGM_RSRC3_GFX90A:TG_SPLIT: 0
	.section	.text._ZN7rocprim17ROCPRIM_400000_NS6detail17trampoline_kernelINS0_14default_configENS1_25partition_config_selectorILNS1_17partition_subalgoE1EjNS0_10empty_typeEbEEZZNS1_14partition_implILS5_1ELb0ES3_jN6thrust23THRUST_200600_302600_NS6detail15normal_iteratorINSA_10device_ptrIjEEEEPS6_NSA_18transform_iteratorI7is_evenIjESF_NSA_11use_defaultESK_EENS0_5tupleIJNSA_16discard_iteratorISK_EESF_EEENSM_IJSG_SG_EEES6_PlJS6_EEE10hipError_tPvRmT3_T4_T5_T6_T7_T9_mT8_P12ihipStream_tbDpT10_ENKUlT_T0_E_clISt17integral_constantIbLb0EES1B_EEDaS16_S17_EUlS16_E_NS1_11comp_targetILNS1_3genE9ELNS1_11target_archE1100ELNS1_3gpuE3ELNS1_3repE0EEENS1_30default_config_static_selectorELNS0_4arch9wavefront6targetE1EEEvT1_,"axG",@progbits,_ZN7rocprim17ROCPRIM_400000_NS6detail17trampoline_kernelINS0_14default_configENS1_25partition_config_selectorILNS1_17partition_subalgoE1EjNS0_10empty_typeEbEEZZNS1_14partition_implILS5_1ELb0ES3_jN6thrust23THRUST_200600_302600_NS6detail15normal_iteratorINSA_10device_ptrIjEEEEPS6_NSA_18transform_iteratorI7is_evenIjESF_NSA_11use_defaultESK_EENS0_5tupleIJNSA_16discard_iteratorISK_EESF_EEENSM_IJSG_SG_EEES6_PlJS6_EEE10hipError_tPvRmT3_T4_T5_T6_T7_T9_mT8_P12ihipStream_tbDpT10_ENKUlT_T0_E_clISt17integral_constantIbLb0EES1B_EEDaS16_S17_EUlS16_E_NS1_11comp_targetILNS1_3genE9ELNS1_11target_archE1100ELNS1_3gpuE3ELNS1_3repE0EEENS1_30default_config_static_selectorELNS0_4arch9wavefront6targetE1EEEvT1_,comdat
	.protected	_ZN7rocprim17ROCPRIM_400000_NS6detail17trampoline_kernelINS0_14default_configENS1_25partition_config_selectorILNS1_17partition_subalgoE1EjNS0_10empty_typeEbEEZZNS1_14partition_implILS5_1ELb0ES3_jN6thrust23THRUST_200600_302600_NS6detail15normal_iteratorINSA_10device_ptrIjEEEEPS6_NSA_18transform_iteratorI7is_evenIjESF_NSA_11use_defaultESK_EENS0_5tupleIJNSA_16discard_iteratorISK_EESF_EEENSM_IJSG_SG_EEES6_PlJS6_EEE10hipError_tPvRmT3_T4_T5_T6_T7_T9_mT8_P12ihipStream_tbDpT10_ENKUlT_T0_E_clISt17integral_constantIbLb0EES1B_EEDaS16_S17_EUlS16_E_NS1_11comp_targetILNS1_3genE9ELNS1_11target_archE1100ELNS1_3gpuE3ELNS1_3repE0EEENS1_30default_config_static_selectorELNS0_4arch9wavefront6targetE1EEEvT1_ ; -- Begin function _ZN7rocprim17ROCPRIM_400000_NS6detail17trampoline_kernelINS0_14default_configENS1_25partition_config_selectorILNS1_17partition_subalgoE1EjNS0_10empty_typeEbEEZZNS1_14partition_implILS5_1ELb0ES3_jN6thrust23THRUST_200600_302600_NS6detail15normal_iteratorINSA_10device_ptrIjEEEEPS6_NSA_18transform_iteratorI7is_evenIjESF_NSA_11use_defaultESK_EENS0_5tupleIJNSA_16discard_iteratorISK_EESF_EEENSM_IJSG_SG_EEES6_PlJS6_EEE10hipError_tPvRmT3_T4_T5_T6_T7_T9_mT8_P12ihipStream_tbDpT10_ENKUlT_T0_E_clISt17integral_constantIbLb0EES1B_EEDaS16_S17_EUlS16_E_NS1_11comp_targetILNS1_3genE9ELNS1_11target_archE1100ELNS1_3gpuE3ELNS1_3repE0EEENS1_30default_config_static_selectorELNS0_4arch9wavefront6targetE1EEEvT1_
	.globl	_ZN7rocprim17ROCPRIM_400000_NS6detail17trampoline_kernelINS0_14default_configENS1_25partition_config_selectorILNS1_17partition_subalgoE1EjNS0_10empty_typeEbEEZZNS1_14partition_implILS5_1ELb0ES3_jN6thrust23THRUST_200600_302600_NS6detail15normal_iteratorINSA_10device_ptrIjEEEEPS6_NSA_18transform_iteratorI7is_evenIjESF_NSA_11use_defaultESK_EENS0_5tupleIJNSA_16discard_iteratorISK_EESF_EEENSM_IJSG_SG_EEES6_PlJS6_EEE10hipError_tPvRmT3_T4_T5_T6_T7_T9_mT8_P12ihipStream_tbDpT10_ENKUlT_T0_E_clISt17integral_constantIbLb0EES1B_EEDaS16_S17_EUlS16_E_NS1_11comp_targetILNS1_3genE9ELNS1_11target_archE1100ELNS1_3gpuE3ELNS1_3repE0EEENS1_30default_config_static_selectorELNS0_4arch9wavefront6targetE1EEEvT1_
	.p2align	8
	.type	_ZN7rocprim17ROCPRIM_400000_NS6detail17trampoline_kernelINS0_14default_configENS1_25partition_config_selectorILNS1_17partition_subalgoE1EjNS0_10empty_typeEbEEZZNS1_14partition_implILS5_1ELb0ES3_jN6thrust23THRUST_200600_302600_NS6detail15normal_iteratorINSA_10device_ptrIjEEEEPS6_NSA_18transform_iteratorI7is_evenIjESF_NSA_11use_defaultESK_EENS0_5tupleIJNSA_16discard_iteratorISK_EESF_EEENSM_IJSG_SG_EEES6_PlJS6_EEE10hipError_tPvRmT3_T4_T5_T6_T7_T9_mT8_P12ihipStream_tbDpT10_ENKUlT_T0_E_clISt17integral_constantIbLb0EES1B_EEDaS16_S17_EUlS16_E_NS1_11comp_targetILNS1_3genE9ELNS1_11target_archE1100ELNS1_3gpuE3ELNS1_3repE0EEENS1_30default_config_static_selectorELNS0_4arch9wavefront6targetE1EEEvT1_,@function
_ZN7rocprim17ROCPRIM_400000_NS6detail17trampoline_kernelINS0_14default_configENS1_25partition_config_selectorILNS1_17partition_subalgoE1EjNS0_10empty_typeEbEEZZNS1_14partition_implILS5_1ELb0ES3_jN6thrust23THRUST_200600_302600_NS6detail15normal_iteratorINSA_10device_ptrIjEEEEPS6_NSA_18transform_iteratorI7is_evenIjESF_NSA_11use_defaultESK_EENS0_5tupleIJNSA_16discard_iteratorISK_EESF_EEENSM_IJSG_SG_EEES6_PlJS6_EEE10hipError_tPvRmT3_T4_T5_T6_T7_T9_mT8_P12ihipStream_tbDpT10_ENKUlT_T0_E_clISt17integral_constantIbLb0EES1B_EEDaS16_S17_EUlS16_E_NS1_11comp_targetILNS1_3genE9ELNS1_11target_archE1100ELNS1_3gpuE3ELNS1_3repE0EEENS1_30default_config_static_selectorELNS0_4arch9wavefront6targetE1EEEvT1_: ; @_ZN7rocprim17ROCPRIM_400000_NS6detail17trampoline_kernelINS0_14default_configENS1_25partition_config_selectorILNS1_17partition_subalgoE1EjNS0_10empty_typeEbEEZZNS1_14partition_implILS5_1ELb0ES3_jN6thrust23THRUST_200600_302600_NS6detail15normal_iteratorINSA_10device_ptrIjEEEEPS6_NSA_18transform_iteratorI7is_evenIjESF_NSA_11use_defaultESK_EENS0_5tupleIJNSA_16discard_iteratorISK_EESF_EEENSM_IJSG_SG_EEES6_PlJS6_EEE10hipError_tPvRmT3_T4_T5_T6_T7_T9_mT8_P12ihipStream_tbDpT10_ENKUlT_T0_E_clISt17integral_constantIbLb0EES1B_EEDaS16_S17_EUlS16_E_NS1_11comp_targetILNS1_3genE9ELNS1_11target_archE1100ELNS1_3gpuE3ELNS1_3repE0EEENS1_30default_config_static_selectorELNS0_4arch9wavefront6targetE1EEEvT1_
; %bb.0:
	.section	.rodata,"a",@progbits
	.p2align	6, 0x0
	.amdhsa_kernel _ZN7rocprim17ROCPRIM_400000_NS6detail17trampoline_kernelINS0_14default_configENS1_25partition_config_selectorILNS1_17partition_subalgoE1EjNS0_10empty_typeEbEEZZNS1_14partition_implILS5_1ELb0ES3_jN6thrust23THRUST_200600_302600_NS6detail15normal_iteratorINSA_10device_ptrIjEEEEPS6_NSA_18transform_iteratorI7is_evenIjESF_NSA_11use_defaultESK_EENS0_5tupleIJNSA_16discard_iteratorISK_EESF_EEENSM_IJSG_SG_EEES6_PlJS6_EEE10hipError_tPvRmT3_T4_T5_T6_T7_T9_mT8_P12ihipStream_tbDpT10_ENKUlT_T0_E_clISt17integral_constantIbLb0EES1B_EEDaS16_S17_EUlS16_E_NS1_11comp_targetILNS1_3genE9ELNS1_11target_archE1100ELNS1_3gpuE3ELNS1_3repE0EEENS1_30default_config_static_selectorELNS0_4arch9wavefront6targetE1EEEvT1_
		.amdhsa_group_segment_fixed_size 0
		.amdhsa_private_segment_fixed_size 0
		.amdhsa_kernarg_size 136
		.amdhsa_user_sgpr_count 6
		.amdhsa_user_sgpr_private_segment_buffer 1
		.amdhsa_user_sgpr_dispatch_ptr 0
		.amdhsa_user_sgpr_queue_ptr 0
		.amdhsa_user_sgpr_kernarg_segment_ptr 1
		.amdhsa_user_sgpr_dispatch_id 0
		.amdhsa_user_sgpr_flat_scratch_init 0
		.amdhsa_user_sgpr_kernarg_preload_length 0
		.amdhsa_user_sgpr_kernarg_preload_offset 0
		.amdhsa_user_sgpr_private_segment_size 0
		.amdhsa_uses_dynamic_stack 0
		.amdhsa_system_sgpr_private_segment_wavefront_offset 0
		.amdhsa_system_sgpr_workgroup_id_x 1
		.amdhsa_system_sgpr_workgroup_id_y 0
		.amdhsa_system_sgpr_workgroup_id_z 0
		.amdhsa_system_sgpr_workgroup_info 0
		.amdhsa_system_vgpr_workitem_id 0
		.amdhsa_next_free_vgpr 1
		.amdhsa_next_free_sgpr 0
		.amdhsa_accum_offset 4
		.amdhsa_reserve_vcc 0
		.amdhsa_reserve_flat_scratch 0
		.amdhsa_float_round_mode_32 0
		.amdhsa_float_round_mode_16_64 0
		.amdhsa_float_denorm_mode_32 3
		.amdhsa_float_denorm_mode_16_64 3
		.amdhsa_dx10_clamp 1
		.amdhsa_ieee_mode 1
		.amdhsa_fp16_overflow 0
		.amdhsa_tg_split 0
		.amdhsa_exception_fp_ieee_invalid_op 0
		.amdhsa_exception_fp_denorm_src 0
		.amdhsa_exception_fp_ieee_div_zero 0
		.amdhsa_exception_fp_ieee_overflow 0
		.amdhsa_exception_fp_ieee_underflow 0
		.amdhsa_exception_fp_ieee_inexact 0
		.amdhsa_exception_int_div_zero 0
	.end_amdhsa_kernel
	.section	.text._ZN7rocprim17ROCPRIM_400000_NS6detail17trampoline_kernelINS0_14default_configENS1_25partition_config_selectorILNS1_17partition_subalgoE1EjNS0_10empty_typeEbEEZZNS1_14partition_implILS5_1ELb0ES3_jN6thrust23THRUST_200600_302600_NS6detail15normal_iteratorINSA_10device_ptrIjEEEEPS6_NSA_18transform_iteratorI7is_evenIjESF_NSA_11use_defaultESK_EENS0_5tupleIJNSA_16discard_iteratorISK_EESF_EEENSM_IJSG_SG_EEES6_PlJS6_EEE10hipError_tPvRmT3_T4_T5_T6_T7_T9_mT8_P12ihipStream_tbDpT10_ENKUlT_T0_E_clISt17integral_constantIbLb0EES1B_EEDaS16_S17_EUlS16_E_NS1_11comp_targetILNS1_3genE9ELNS1_11target_archE1100ELNS1_3gpuE3ELNS1_3repE0EEENS1_30default_config_static_selectorELNS0_4arch9wavefront6targetE1EEEvT1_,"axG",@progbits,_ZN7rocprim17ROCPRIM_400000_NS6detail17trampoline_kernelINS0_14default_configENS1_25partition_config_selectorILNS1_17partition_subalgoE1EjNS0_10empty_typeEbEEZZNS1_14partition_implILS5_1ELb0ES3_jN6thrust23THRUST_200600_302600_NS6detail15normal_iteratorINSA_10device_ptrIjEEEEPS6_NSA_18transform_iteratorI7is_evenIjESF_NSA_11use_defaultESK_EENS0_5tupleIJNSA_16discard_iteratorISK_EESF_EEENSM_IJSG_SG_EEES6_PlJS6_EEE10hipError_tPvRmT3_T4_T5_T6_T7_T9_mT8_P12ihipStream_tbDpT10_ENKUlT_T0_E_clISt17integral_constantIbLb0EES1B_EEDaS16_S17_EUlS16_E_NS1_11comp_targetILNS1_3genE9ELNS1_11target_archE1100ELNS1_3gpuE3ELNS1_3repE0EEENS1_30default_config_static_selectorELNS0_4arch9wavefront6targetE1EEEvT1_,comdat
.Lfunc_end3041:
	.size	_ZN7rocprim17ROCPRIM_400000_NS6detail17trampoline_kernelINS0_14default_configENS1_25partition_config_selectorILNS1_17partition_subalgoE1EjNS0_10empty_typeEbEEZZNS1_14partition_implILS5_1ELb0ES3_jN6thrust23THRUST_200600_302600_NS6detail15normal_iteratorINSA_10device_ptrIjEEEEPS6_NSA_18transform_iteratorI7is_evenIjESF_NSA_11use_defaultESK_EENS0_5tupleIJNSA_16discard_iteratorISK_EESF_EEENSM_IJSG_SG_EEES6_PlJS6_EEE10hipError_tPvRmT3_T4_T5_T6_T7_T9_mT8_P12ihipStream_tbDpT10_ENKUlT_T0_E_clISt17integral_constantIbLb0EES1B_EEDaS16_S17_EUlS16_E_NS1_11comp_targetILNS1_3genE9ELNS1_11target_archE1100ELNS1_3gpuE3ELNS1_3repE0EEENS1_30default_config_static_selectorELNS0_4arch9wavefront6targetE1EEEvT1_, .Lfunc_end3041-_ZN7rocprim17ROCPRIM_400000_NS6detail17trampoline_kernelINS0_14default_configENS1_25partition_config_selectorILNS1_17partition_subalgoE1EjNS0_10empty_typeEbEEZZNS1_14partition_implILS5_1ELb0ES3_jN6thrust23THRUST_200600_302600_NS6detail15normal_iteratorINSA_10device_ptrIjEEEEPS6_NSA_18transform_iteratorI7is_evenIjESF_NSA_11use_defaultESK_EENS0_5tupleIJNSA_16discard_iteratorISK_EESF_EEENSM_IJSG_SG_EEES6_PlJS6_EEE10hipError_tPvRmT3_T4_T5_T6_T7_T9_mT8_P12ihipStream_tbDpT10_ENKUlT_T0_E_clISt17integral_constantIbLb0EES1B_EEDaS16_S17_EUlS16_E_NS1_11comp_targetILNS1_3genE9ELNS1_11target_archE1100ELNS1_3gpuE3ELNS1_3repE0EEENS1_30default_config_static_selectorELNS0_4arch9wavefront6targetE1EEEvT1_
                                        ; -- End function
	.section	.AMDGPU.csdata,"",@progbits
; Kernel info:
; codeLenInByte = 0
; NumSgprs: 4
; NumVgprs: 0
; NumAgprs: 0
; TotalNumVgprs: 0
; ScratchSize: 0
; MemoryBound: 0
; FloatMode: 240
; IeeeMode: 1
; LDSByteSize: 0 bytes/workgroup (compile time only)
; SGPRBlocks: 0
; VGPRBlocks: 0
; NumSGPRsForWavesPerEU: 4
; NumVGPRsForWavesPerEU: 1
; AccumOffset: 4
; Occupancy: 8
; WaveLimiterHint : 0
; COMPUTE_PGM_RSRC2:SCRATCH_EN: 0
; COMPUTE_PGM_RSRC2:USER_SGPR: 6
; COMPUTE_PGM_RSRC2:TRAP_HANDLER: 0
; COMPUTE_PGM_RSRC2:TGID_X_EN: 1
; COMPUTE_PGM_RSRC2:TGID_Y_EN: 0
; COMPUTE_PGM_RSRC2:TGID_Z_EN: 0
; COMPUTE_PGM_RSRC2:TIDIG_COMP_CNT: 0
; COMPUTE_PGM_RSRC3_GFX90A:ACCUM_OFFSET: 0
; COMPUTE_PGM_RSRC3_GFX90A:TG_SPLIT: 0
	.section	.text._ZN7rocprim17ROCPRIM_400000_NS6detail17trampoline_kernelINS0_14default_configENS1_25partition_config_selectorILNS1_17partition_subalgoE1EjNS0_10empty_typeEbEEZZNS1_14partition_implILS5_1ELb0ES3_jN6thrust23THRUST_200600_302600_NS6detail15normal_iteratorINSA_10device_ptrIjEEEEPS6_NSA_18transform_iteratorI7is_evenIjESF_NSA_11use_defaultESK_EENS0_5tupleIJNSA_16discard_iteratorISK_EESF_EEENSM_IJSG_SG_EEES6_PlJS6_EEE10hipError_tPvRmT3_T4_T5_T6_T7_T9_mT8_P12ihipStream_tbDpT10_ENKUlT_T0_E_clISt17integral_constantIbLb0EES1B_EEDaS16_S17_EUlS16_E_NS1_11comp_targetILNS1_3genE8ELNS1_11target_archE1030ELNS1_3gpuE2ELNS1_3repE0EEENS1_30default_config_static_selectorELNS0_4arch9wavefront6targetE1EEEvT1_,"axG",@progbits,_ZN7rocprim17ROCPRIM_400000_NS6detail17trampoline_kernelINS0_14default_configENS1_25partition_config_selectorILNS1_17partition_subalgoE1EjNS0_10empty_typeEbEEZZNS1_14partition_implILS5_1ELb0ES3_jN6thrust23THRUST_200600_302600_NS6detail15normal_iteratorINSA_10device_ptrIjEEEEPS6_NSA_18transform_iteratorI7is_evenIjESF_NSA_11use_defaultESK_EENS0_5tupleIJNSA_16discard_iteratorISK_EESF_EEENSM_IJSG_SG_EEES6_PlJS6_EEE10hipError_tPvRmT3_T4_T5_T6_T7_T9_mT8_P12ihipStream_tbDpT10_ENKUlT_T0_E_clISt17integral_constantIbLb0EES1B_EEDaS16_S17_EUlS16_E_NS1_11comp_targetILNS1_3genE8ELNS1_11target_archE1030ELNS1_3gpuE2ELNS1_3repE0EEENS1_30default_config_static_selectorELNS0_4arch9wavefront6targetE1EEEvT1_,comdat
	.protected	_ZN7rocprim17ROCPRIM_400000_NS6detail17trampoline_kernelINS0_14default_configENS1_25partition_config_selectorILNS1_17partition_subalgoE1EjNS0_10empty_typeEbEEZZNS1_14partition_implILS5_1ELb0ES3_jN6thrust23THRUST_200600_302600_NS6detail15normal_iteratorINSA_10device_ptrIjEEEEPS6_NSA_18transform_iteratorI7is_evenIjESF_NSA_11use_defaultESK_EENS0_5tupleIJNSA_16discard_iteratorISK_EESF_EEENSM_IJSG_SG_EEES6_PlJS6_EEE10hipError_tPvRmT3_T4_T5_T6_T7_T9_mT8_P12ihipStream_tbDpT10_ENKUlT_T0_E_clISt17integral_constantIbLb0EES1B_EEDaS16_S17_EUlS16_E_NS1_11comp_targetILNS1_3genE8ELNS1_11target_archE1030ELNS1_3gpuE2ELNS1_3repE0EEENS1_30default_config_static_selectorELNS0_4arch9wavefront6targetE1EEEvT1_ ; -- Begin function _ZN7rocprim17ROCPRIM_400000_NS6detail17trampoline_kernelINS0_14default_configENS1_25partition_config_selectorILNS1_17partition_subalgoE1EjNS0_10empty_typeEbEEZZNS1_14partition_implILS5_1ELb0ES3_jN6thrust23THRUST_200600_302600_NS6detail15normal_iteratorINSA_10device_ptrIjEEEEPS6_NSA_18transform_iteratorI7is_evenIjESF_NSA_11use_defaultESK_EENS0_5tupleIJNSA_16discard_iteratorISK_EESF_EEENSM_IJSG_SG_EEES6_PlJS6_EEE10hipError_tPvRmT3_T4_T5_T6_T7_T9_mT8_P12ihipStream_tbDpT10_ENKUlT_T0_E_clISt17integral_constantIbLb0EES1B_EEDaS16_S17_EUlS16_E_NS1_11comp_targetILNS1_3genE8ELNS1_11target_archE1030ELNS1_3gpuE2ELNS1_3repE0EEENS1_30default_config_static_selectorELNS0_4arch9wavefront6targetE1EEEvT1_
	.globl	_ZN7rocprim17ROCPRIM_400000_NS6detail17trampoline_kernelINS0_14default_configENS1_25partition_config_selectorILNS1_17partition_subalgoE1EjNS0_10empty_typeEbEEZZNS1_14partition_implILS5_1ELb0ES3_jN6thrust23THRUST_200600_302600_NS6detail15normal_iteratorINSA_10device_ptrIjEEEEPS6_NSA_18transform_iteratorI7is_evenIjESF_NSA_11use_defaultESK_EENS0_5tupleIJNSA_16discard_iteratorISK_EESF_EEENSM_IJSG_SG_EEES6_PlJS6_EEE10hipError_tPvRmT3_T4_T5_T6_T7_T9_mT8_P12ihipStream_tbDpT10_ENKUlT_T0_E_clISt17integral_constantIbLb0EES1B_EEDaS16_S17_EUlS16_E_NS1_11comp_targetILNS1_3genE8ELNS1_11target_archE1030ELNS1_3gpuE2ELNS1_3repE0EEENS1_30default_config_static_selectorELNS0_4arch9wavefront6targetE1EEEvT1_
	.p2align	8
	.type	_ZN7rocprim17ROCPRIM_400000_NS6detail17trampoline_kernelINS0_14default_configENS1_25partition_config_selectorILNS1_17partition_subalgoE1EjNS0_10empty_typeEbEEZZNS1_14partition_implILS5_1ELb0ES3_jN6thrust23THRUST_200600_302600_NS6detail15normal_iteratorINSA_10device_ptrIjEEEEPS6_NSA_18transform_iteratorI7is_evenIjESF_NSA_11use_defaultESK_EENS0_5tupleIJNSA_16discard_iteratorISK_EESF_EEENSM_IJSG_SG_EEES6_PlJS6_EEE10hipError_tPvRmT3_T4_T5_T6_T7_T9_mT8_P12ihipStream_tbDpT10_ENKUlT_T0_E_clISt17integral_constantIbLb0EES1B_EEDaS16_S17_EUlS16_E_NS1_11comp_targetILNS1_3genE8ELNS1_11target_archE1030ELNS1_3gpuE2ELNS1_3repE0EEENS1_30default_config_static_selectorELNS0_4arch9wavefront6targetE1EEEvT1_,@function
_ZN7rocprim17ROCPRIM_400000_NS6detail17trampoline_kernelINS0_14default_configENS1_25partition_config_selectorILNS1_17partition_subalgoE1EjNS0_10empty_typeEbEEZZNS1_14partition_implILS5_1ELb0ES3_jN6thrust23THRUST_200600_302600_NS6detail15normal_iteratorINSA_10device_ptrIjEEEEPS6_NSA_18transform_iteratorI7is_evenIjESF_NSA_11use_defaultESK_EENS0_5tupleIJNSA_16discard_iteratorISK_EESF_EEENSM_IJSG_SG_EEES6_PlJS6_EEE10hipError_tPvRmT3_T4_T5_T6_T7_T9_mT8_P12ihipStream_tbDpT10_ENKUlT_T0_E_clISt17integral_constantIbLb0EES1B_EEDaS16_S17_EUlS16_E_NS1_11comp_targetILNS1_3genE8ELNS1_11target_archE1030ELNS1_3gpuE2ELNS1_3repE0EEENS1_30default_config_static_selectorELNS0_4arch9wavefront6targetE1EEEvT1_: ; @_ZN7rocprim17ROCPRIM_400000_NS6detail17trampoline_kernelINS0_14default_configENS1_25partition_config_selectorILNS1_17partition_subalgoE1EjNS0_10empty_typeEbEEZZNS1_14partition_implILS5_1ELb0ES3_jN6thrust23THRUST_200600_302600_NS6detail15normal_iteratorINSA_10device_ptrIjEEEEPS6_NSA_18transform_iteratorI7is_evenIjESF_NSA_11use_defaultESK_EENS0_5tupleIJNSA_16discard_iteratorISK_EESF_EEENSM_IJSG_SG_EEES6_PlJS6_EEE10hipError_tPvRmT3_T4_T5_T6_T7_T9_mT8_P12ihipStream_tbDpT10_ENKUlT_T0_E_clISt17integral_constantIbLb0EES1B_EEDaS16_S17_EUlS16_E_NS1_11comp_targetILNS1_3genE8ELNS1_11target_archE1030ELNS1_3gpuE2ELNS1_3repE0EEENS1_30default_config_static_selectorELNS0_4arch9wavefront6targetE1EEEvT1_
; %bb.0:
	.section	.rodata,"a",@progbits
	.p2align	6, 0x0
	.amdhsa_kernel _ZN7rocprim17ROCPRIM_400000_NS6detail17trampoline_kernelINS0_14default_configENS1_25partition_config_selectorILNS1_17partition_subalgoE1EjNS0_10empty_typeEbEEZZNS1_14partition_implILS5_1ELb0ES3_jN6thrust23THRUST_200600_302600_NS6detail15normal_iteratorINSA_10device_ptrIjEEEEPS6_NSA_18transform_iteratorI7is_evenIjESF_NSA_11use_defaultESK_EENS0_5tupleIJNSA_16discard_iteratorISK_EESF_EEENSM_IJSG_SG_EEES6_PlJS6_EEE10hipError_tPvRmT3_T4_T5_T6_T7_T9_mT8_P12ihipStream_tbDpT10_ENKUlT_T0_E_clISt17integral_constantIbLb0EES1B_EEDaS16_S17_EUlS16_E_NS1_11comp_targetILNS1_3genE8ELNS1_11target_archE1030ELNS1_3gpuE2ELNS1_3repE0EEENS1_30default_config_static_selectorELNS0_4arch9wavefront6targetE1EEEvT1_
		.amdhsa_group_segment_fixed_size 0
		.amdhsa_private_segment_fixed_size 0
		.amdhsa_kernarg_size 136
		.amdhsa_user_sgpr_count 6
		.amdhsa_user_sgpr_private_segment_buffer 1
		.amdhsa_user_sgpr_dispatch_ptr 0
		.amdhsa_user_sgpr_queue_ptr 0
		.amdhsa_user_sgpr_kernarg_segment_ptr 1
		.amdhsa_user_sgpr_dispatch_id 0
		.amdhsa_user_sgpr_flat_scratch_init 0
		.amdhsa_user_sgpr_kernarg_preload_length 0
		.amdhsa_user_sgpr_kernarg_preload_offset 0
		.amdhsa_user_sgpr_private_segment_size 0
		.amdhsa_uses_dynamic_stack 0
		.amdhsa_system_sgpr_private_segment_wavefront_offset 0
		.amdhsa_system_sgpr_workgroup_id_x 1
		.amdhsa_system_sgpr_workgroup_id_y 0
		.amdhsa_system_sgpr_workgroup_id_z 0
		.amdhsa_system_sgpr_workgroup_info 0
		.amdhsa_system_vgpr_workitem_id 0
		.amdhsa_next_free_vgpr 1
		.amdhsa_next_free_sgpr 0
		.amdhsa_accum_offset 4
		.amdhsa_reserve_vcc 0
		.amdhsa_reserve_flat_scratch 0
		.amdhsa_float_round_mode_32 0
		.amdhsa_float_round_mode_16_64 0
		.amdhsa_float_denorm_mode_32 3
		.amdhsa_float_denorm_mode_16_64 3
		.amdhsa_dx10_clamp 1
		.amdhsa_ieee_mode 1
		.amdhsa_fp16_overflow 0
		.amdhsa_tg_split 0
		.amdhsa_exception_fp_ieee_invalid_op 0
		.amdhsa_exception_fp_denorm_src 0
		.amdhsa_exception_fp_ieee_div_zero 0
		.amdhsa_exception_fp_ieee_overflow 0
		.amdhsa_exception_fp_ieee_underflow 0
		.amdhsa_exception_fp_ieee_inexact 0
		.amdhsa_exception_int_div_zero 0
	.end_amdhsa_kernel
	.section	.text._ZN7rocprim17ROCPRIM_400000_NS6detail17trampoline_kernelINS0_14default_configENS1_25partition_config_selectorILNS1_17partition_subalgoE1EjNS0_10empty_typeEbEEZZNS1_14partition_implILS5_1ELb0ES3_jN6thrust23THRUST_200600_302600_NS6detail15normal_iteratorINSA_10device_ptrIjEEEEPS6_NSA_18transform_iteratorI7is_evenIjESF_NSA_11use_defaultESK_EENS0_5tupleIJNSA_16discard_iteratorISK_EESF_EEENSM_IJSG_SG_EEES6_PlJS6_EEE10hipError_tPvRmT3_T4_T5_T6_T7_T9_mT8_P12ihipStream_tbDpT10_ENKUlT_T0_E_clISt17integral_constantIbLb0EES1B_EEDaS16_S17_EUlS16_E_NS1_11comp_targetILNS1_3genE8ELNS1_11target_archE1030ELNS1_3gpuE2ELNS1_3repE0EEENS1_30default_config_static_selectorELNS0_4arch9wavefront6targetE1EEEvT1_,"axG",@progbits,_ZN7rocprim17ROCPRIM_400000_NS6detail17trampoline_kernelINS0_14default_configENS1_25partition_config_selectorILNS1_17partition_subalgoE1EjNS0_10empty_typeEbEEZZNS1_14partition_implILS5_1ELb0ES3_jN6thrust23THRUST_200600_302600_NS6detail15normal_iteratorINSA_10device_ptrIjEEEEPS6_NSA_18transform_iteratorI7is_evenIjESF_NSA_11use_defaultESK_EENS0_5tupleIJNSA_16discard_iteratorISK_EESF_EEENSM_IJSG_SG_EEES6_PlJS6_EEE10hipError_tPvRmT3_T4_T5_T6_T7_T9_mT8_P12ihipStream_tbDpT10_ENKUlT_T0_E_clISt17integral_constantIbLb0EES1B_EEDaS16_S17_EUlS16_E_NS1_11comp_targetILNS1_3genE8ELNS1_11target_archE1030ELNS1_3gpuE2ELNS1_3repE0EEENS1_30default_config_static_selectorELNS0_4arch9wavefront6targetE1EEEvT1_,comdat
.Lfunc_end3042:
	.size	_ZN7rocprim17ROCPRIM_400000_NS6detail17trampoline_kernelINS0_14default_configENS1_25partition_config_selectorILNS1_17partition_subalgoE1EjNS0_10empty_typeEbEEZZNS1_14partition_implILS5_1ELb0ES3_jN6thrust23THRUST_200600_302600_NS6detail15normal_iteratorINSA_10device_ptrIjEEEEPS6_NSA_18transform_iteratorI7is_evenIjESF_NSA_11use_defaultESK_EENS0_5tupleIJNSA_16discard_iteratorISK_EESF_EEENSM_IJSG_SG_EEES6_PlJS6_EEE10hipError_tPvRmT3_T4_T5_T6_T7_T9_mT8_P12ihipStream_tbDpT10_ENKUlT_T0_E_clISt17integral_constantIbLb0EES1B_EEDaS16_S17_EUlS16_E_NS1_11comp_targetILNS1_3genE8ELNS1_11target_archE1030ELNS1_3gpuE2ELNS1_3repE0EEENS1_30default_config_static_selectorELNS0_4arch9wavefront6targetE1EEEvT1_, .Lfunc_end3042-_ZN7rocprim17ROCPRIM_400000_NS6detail17trampoline_kernelINS0_14default_configENS1_25partition_config_selectorILNS1_17partition_subalgoE1EjNS0_10empty_typeEbEEZZNS1_14partition_implILS5_1ELb0ES3_jN6thrust23THRUST_200600_302600_NS6detail15normal_iteratorINSA_10device_ptrIjEEEEPS6_NSA_18transform_iteratorI7is_evenIjESF_NSA_11use_defaultESK_EENS0_5tupleIJNSA_16discard_iteratorISK_EESF_EEENSM_IJSG_SG_EEES6_PlJS6_EEE10hipError_tPvRmT3_T4_T5_T6_T7_T9_mT8_P12ihipStream_tbDpT10_ENKUlT_T0_E_clISt17integral_constantIbLb0EES1B_EEDaS16_S17_EUlS16_E_NS1_11comp_targetILNS1_3genE8ELNS1_11target_archE1030ELNS1_3gpuE2ELNS1_3repE0EEENS1_30default_config_static_selectorELNS0_4arch9wavefront6targetE1EEEvT1_
                                        ; -- End function
	.section	.AMDGPU.csdata,"",@progbits
; Kernel info:
; codeLenInByte = 0
; NumSgprs: 4
; NumVgprs: 0
; NumAgprs: 0
; TotalNumVgprs: 0
; ScratchSize: 0
; MemoryBound: 0
; FloatMode: 240
; IeeeMode: 1
; LDSByteSize: 0 bytes/workgroup (compile time only)
; SGPRBlocks: 0
; VGPRBlocks: 0
; NumSGPRsForWavesPerEU: 4
; NumVGPRsForWavesPerEU: 1
; AccumOffset: 4
; Occupancy: 8
; WaveLimiterHint : 0
; COMPUTE_PGM_RSRC2:SCRATCH_EN: 0
; COMPUTE_PGM_RSRC2:USER_SGPR: 6
; COMPUTE_PGM_RSRC2:TRAP_HANDLER: 0
; COMPUTE_PGM_RSRC2:TGID_X_EN: 1
; COMPUTE_PGM_RSRC2:TGID_Y_EN: 0
; COMPUTE_PGM_RSRC2:TGID_Z_EN: 0
; COMPUTE_PGM_RSRC2:TIDIG_COMP_CNT: 0
; COMPUTE_PGM_RSRC3_GFX90A:ACCUM_OFFSET: 0
; COMPUTE_PGM_RSRC3_GFX90A:TG_SPLIT: 0
	.section	.text._ZN7rocprim17ROCPRIM_400000_NS6detail17trampoline_kernelINS0_14default_configENS1_25partition_config_selectorILNS1_17partition_subalgoE1EjNS0_10empty_typeEbEEZZNS1_14partition_implILS5_1ELb0ES3_jN6thrust23THRUST_200600_302600_NS6detail15normal_iteratorINSA_10device_ptrIjEEEEPS6_NSA_18transform_iteratorI7is_evenIjESF_NSA_11use_defaultESK_EENS0_5tupleIJNSA_16discard_iteratorISK_EESF_EEENSM_IJSG_SG_EEES6_PlJS6_EEE10hipError_tPvRmT3_T4_T5_T6_T7_T9_mT8_P12ihipStream_tbDpT10_ENKUlT_T0_E_clISt17integral_constantIbLb1EES1B_EEDaS16_S17_EUlS16_E_NS1_11comp_targetILNS1_3genE0ELNS1_11target_archE4294967295ELNS1_3gpuE0ELNS1_3repE0EEENS1_30default_config_static_selectorELNS0_4arch9wavefront6targetE1EEEvT1_,"axG",@progbits,_ZN7rocprim17ROCPRIM_400000_NS6detail17trampoline_kernelINS0_14default_configENS1_25partition_config_selectorILNS1_17partition_subalgoE1EjNS0_10empty_typeEbEEZZNS1_14partition_implILS5_1ELb0ES3_jN6thrust23THRUST_200600_302600_NS6detail15normal_iteratorINSA_10device_ptrIjEEEEPS6_NSA_18transform_iteratorI7is_evenIjESF_NSA_11use_defaultESK_EENS0_5tupleIJNSA_16discard_iteratorISK_EESF_EEENSM_IJSG_SG_EEES6_PlJS6_EEE10hipError_tPvRmT3_T4_T5_T6_T7_T9_mT8_P12ihipStream_tbDpT10_ENKUlT_T0_E_clISt17integral_constantIbLb1EES1B_EEDaS16_S17_EUlS16_E_NS1_11comp_targetILNS1_3genE0ELNS1_11target_archE4294967295ELNS1_3gpuE0ELNS1_3repE0EEENS1_30default_config_static_selectorELNS0_4arch9wavefront6targetE1EEEvT1_,comdat
	.protected	_ZN7rocprim17ROCPRIM_400000_NS6detail17trampoline_kernelINS0_14default_configENS1_25partition_config_selectorILNS1_17partition_subalgoE1EjNS0_10empty_typeEbEEZZNS1_14partition_implILS5_1ELb0ES3_jN6thrust23THRUST_200600_302600_NS6detail15normal_iteratorINSA_10device_ptrIjEEEEPS6_NSA_18transform_iteratorI7is_evenIjESF_NSA_11use_defaultESK_EENS0_5tupleIJNSA_16discard_iteratorISK_EESF_EEENSM_IJSG_SG_EEES6_PlJS6_EEE10hipError_tPvRmT3_T4_T5_T6_T7_T9_mT8_P12ihipStream_tbDpT10_ENKUlT_T0_E_clISt17integral_constantIbLb1EES1B_EEDaS16_S17_EUlS16_E_NS1_11comp_targetILNS1_3genE0ELNS1_11target_archE4294967295ELNS1_3gpuE0ELNS1_3repE0EEENS1_30default_config_static_selectorELNS0_4arch9wavefront6targetE1EEEvT1_ ; -- Begin function _ZN7rocprim17ROCPRIM_400000_NS6detail17trampoline_kernelINS0_14default_configENS1_25partition_config_selectorILNS1_17partition_subalgoE1EjNS0_10empty_typeEbEEZZNS1_14partition_implILS5_1ELb0ES3_jN6thrust23THRUST_200600_302600_NS6detail15normal_iteratorINSA_10device_ptrIjEEEEPS6_NSA_18transform_iteratorI7is_evenIjESF_NSA_11use_defaultESK_EENS0_5tupleIJNSA_16discard_iteratorISK_EESF_EEENSM_IJSG_SG_EEES6_PlJS6_EEE10hipError_tPvRmT3_T4_T5_T6_T7_T9_mT8_P12ihipStream_tbDpT10_ENKUlT_T0_E_clISt17integral_constantIbLb1EES1B_EEDaS16_S17_EUlS16_E_NS1_11comp_targetILNS1_3genE0ELNS1_11target_archE4294967295ELNS1_3gpuE0ELNS1_3repE0EEENS1_30default_config_static_selectorELNS0_4arch9wavefront6targetE1EEEvT1_
	.globl	_ZN7rocprim17ROCPRIM_400000_NS6detail17trampoline_kernelINS0_14default_configENS1_25partition_config_selectorILNS1_17partition_subalgoE1EjNS0_10empty_typeEbEEZZNS1_14partition_implILS5_1ELb0ES3_jN6thrust23THRUST_200600_302600_NS6detail15normal_iteratorINSA_10device_ptrIjEEEEPS6_NSA_18transform_iteratorI7is_evenIjESF_NSA_11use_defaultESK_EENS0_5tupleIJNSA_16discard_iteratorISK_EESF_EEENSM_IJSG_SG_EEES6_PlJS6_EEE10hipError_tPvRmT3_T4_T5_T6_T7_T9_mT8_P12ihipStream_tbDpT10_ENKUlT_T0_E_clISt17integral_constantIbLb1EES1B_EEDaS16_S17_EUlS16_E_NS1_11comp_targetILNS1_3genE0ELNS1_11target_archE4294967295ELNS1_3gpuE0ELNS1_3repE0EEENS1_30default_config_static_selectorELNS0_4arch9wavefront6targetE1EEEvT1_
	.p2align	8
	.type	_ZN7rocprim17ROCPRIM_400000_NS6detail17trampoline_kernelINS0_14default_configENS1_25partition_config_selectorILNS1_17partition_subalgoE1EjNS0_10empty_typeEbEEZZNS1_14partition_implILS5_1ELb0ES3_jN6thrust23THRUST_200600_302600_NS6detail15normal_iteratorINSA_10device_ptrIjEEEEPS6_NSA_18transform_iteratorI7is_evenIjESF_NSA_11use_defaultESK_EENS0_5tupleIJNSA_16discard_iteratorISK_EESF_EEENSM_IJSG_SG_EEES6_PlJS6_EEE10hipError_tPvRmT3_T4_T5_T6_T7_T9_mT8_P12ihipStream_tbDpT10_ENKUlT_T0_E_clISt17integral_constantIbLb1EES1B_EEDaS16_S17_EUlS16_E_NS1_11comp_targetILNS1_3genE0ELNS1_11target_archE4294967295ELNS1_3gpuE0ELNS1_3repE0EEENS1_30default_config_static_selectorELNS0_4arch9wavefront6targetE1EEEvT1_,@function
_ZN7rocprim17ROCPRIM_400000_NS6detail17trampoline_kernelINS0_14default_configENS1_25partition_config_selectorILNS1_17partition_subalgoE1EjNS0_10empty_typeEbEEZZNS1_14partition_implILS5_1ELb0ES3_jN6thrust23THRUST_200600_302600_NS6detail15normal_iteratorINSA_10device_ptrIjEEEEPS6_NSA_18transform_iteratorI7is_evenIjESF_NSA_11use_defaultESK_EENS0_5tupleIJNSA_16discard_iteratorISK_EESF_EEENSM_IJSG_SG_EEES6_PlJS6_EEE10hipError_tPvRmT3_T4_T5_T6_T7_T9_mT8_P12ihipStream_tbDpT10_ENKUlT_T0_E_clISt17integral_constantIbLb1EES1B_EEDaS16_S17_EUlS16_E_NS1_11comp_targetILNS1_3genE0ELNS1_11target_archE4294967295ELNS1_3gpuE0ELNS1_3repE0EEENS1_30default_config_static_selectorELNS0_4arch9wavefront6targetE1EEEvT1_: ; @_ZN7rocprim17ROCPRIM_400000_NS6detail17trampoline_kernelINS0_14default_configENS1_25partition_config_selectorILNS1_17partition_subalgoE1EjNS0_10empty_typeEbEEZZNS1_14partition_implILS5_1ELb0ES3_jN6thrust23THRUST_200600_302600_NS6detail15normal_iteratorINSA_10device_ptrIjEEEEPS6_NSA_18transform_iteratorI7is_evenIjESF_NSA_11use_defaultESK_EENS0_5tupleIJNSA_16discard_iteratorISK_EESF_EEENSM_IJSG_SG_EEES6_PlJS6_EEE10hipError_tPvRmT3_T4_T5_T6_T7_T9_mT8_P12ihipStream_tbDpT10_ENKUlT_T0_E_clISt17integral_constantIbLb1EES1B_EEDaS16_S17_EUlS16_E_NS1_11comp_targetILNS1_3genE0ELNS1_11target_archE4294967295ELNS1_3gpuE0ELNS1_3repE0EEENS1_30default_config_static_selectorELNS0_4arch9wavefront6targetE1EEEvT1_
; %bb.0:
	.section	.rodata,"a",@progbits
	.p2align	6, 0x0
	.amdhsa_kernel _ZN7rocprim17ROCPRIM_400000_NS6detail17trampoline_kernelINS0_14default_configENS1_25partition_config_selectorILNS1_17partition_subalgoE1EjNS0_10empty_typeEbEEZZNS1_14partition_implILS5_1ELb0ES3_jN6thrust23THRUST_200600_302600_NS6detail15normal_iteratorINSA_10device_ptrIjEEEEPS6_NSA_18transform_iteratorI7is_evenIjESF_NSA_11use_defaultESK_EENS0_5tupleIJNSA_16discard_iteratorISK_EESF_EEENSM_IJSG_SG_EEES6_PlJS6_EEE10hipError_tPvRmT3_T4_T5_T6_T7_T9_mT8_P12ihipStream_tbDpT10_ENKUlT_T0_E_clISt17integral_constantIbLb1EES1B_EEDaS16_S17_EUlS16_E_NS1_11comp_targetILNS1_3genE0ELNS1_11target_archE4294967295ELNS1_3gpuE0ELNS1_3repE0EEENS1_30default_config_static_selectorELNS0_4arch9wavefront6targetE1EEEvT1_
		.amdhsa_group_segment_fixed_size 0
		.amdhsa_private_segment_fixed_size 0
		.amdhsa_kernarg_size 152
		.amdhsa_user_sgpr_count 6
		.amdhsa_user_sgpr_private_segment_buffer 1
		.amdhsa_user_sgpr_dispatch_ptr 0
		.amdhsa_user_sgpr_queue_ptr 0
		.amdhsa_user_sgpr_kernarg_segment_ptr 1
		.amdhsa_user_sgpr_dispatch_id 0
		.amdhsa_user_sgpr_flat_scratch_init 0
		.amdhsa_user_sgpr_kernarg_preload_length 0
		.amdhsa_user_sgpr_kernarg_preload_offset 0
		.amdhsa_user_sgpr_private_segment_size 0
		.amdhsa_uses_dynamic_stack 0
		.amdhsa_system_sgpr_private_segment_wavefront_offset 0
		.amdhsa_system_sgpr_workgroup_id_x 1
		.amdhsa_system_sgpr_workgroup_id_y 0
		.amdhsa_system_sgpr_workgroup_id_z 0
		.amdhsa_system_sgpr_workgroup_info 0
		.amdhsa_system_vgpr_workitem_id 0
		.amdhsa_next_free_vgpr 1
		.amdhsa_next_free_sgpr 0
		.amdhsa_accum_offset 4
		.amdhsa_reserve_vcc 0
		.amdhsa_reserve_flat_scratch 0
		.amdhsa_float_round_mode_32 0
		.amdhsa_float_round_mode_16_64 0
		.amdhsa_float_denorm_mode_32 3
		.amdhsa_float_denorm_mode_16_64 3
		.amdhsa_dx10_clamp 1
		.amdhsa_ieee_mode 1
		.amdhsa_fp16_overflow 0
		.amdhsa_tg_split 0
		.amdhsa_exception_fp_ieee_invalid_op 0
		.amdhsa_exception_fp_denorm_src 0
		.amdhsa_exception_fp_ieee_div_zero 0
		.amdhsa_exception_fp_ieee_overflow 0
		.amdhsa_exception_fp_ieee_underflow 0
		.amdhsa_exception_fp_ieee_inexact 0
		.amdhsa_exception_int_div_zero 0
	.end_amdhsa_kernel
	.section	.text._ZN7rocprim17ROCPRIM_400000_NS6detail17trampoline_kernelINS0_14default_configENS1_25partition_config_selectorILNS1_17partition_subalgoE1EjNS0_10empty_typeEbEEZZNS1_14partition_implILS5_1ELb0ES3_jN6thrust23THRUST_200600_302600_NS6detail15normal_iteratorINSA_10device_ptrIjEEEEPS6_NSA_18transform_iteratorI7is_evenIjESF_NSA_11use_defaultESK_EENS0_5tupleIJNSA_16discard_iteratorISK_EESF_EEENSM_IJSG_SG_EEES6_PlJS6_EEE10hipError_tPvRmT3_T4_T5_T6_T7_T9_mT8_P12ihipStream_tbDpT10_ENKUlT_T0_E_clISt17integral_constantIbLb1EES1B_EEDaS16_S17_EUlS16_E_NS1_11comp_targetILNS1_3genE0ELNS1_11target_archE4294967295ELNS1_3gpuE0ELNS1_3repE0EEENS1_30default_config_static_selectorELNS0_4arch9wavefront6targetE1EEEvT1_,"axG",@progbits,_ZN7rocprim17ROCPRIM_400000_NS6detail17trampoline_kernelINS0_14default_configENS1_25partition_config_selectorILNS1_17partition_subalgoE1EjNS0_10empty_typeEbEEZZNS1_14partition_implILS5_1ELb0ES3_jN6thrust23THRUST_200600_302600_NS6detail15normal_iteratorINSA_10device_ptrIjEEEEPS6_NSA_18transform_iteratorI7is_evenIjESF_NSA_11use_defaultESK_EENS0_5tupleIJNSA_16discard_iteratorISK_EESF_EEENSM_IJSG_SG_EEES6_PlJS6_EEE10hipError_tPvRmT3_T4_T5_T6_T7_T9_mT8_P12ihipStream_tbDpT10_ENKUlT_T0_E_clISt17integral_constantIbLb1EES1B_EEDaS16_S17_EUlS16_E_NS1_11comp_targetILNS1_3genE0ELNS1_11target_archE4294967295ELNS1_3gpuE0ELNS1_3repE0EEENS1_30default_config_static_selectorELNS0_4arch9wavefront6targetE1EEEvT1_,comdat
.Lfunc_end3043:
	.size	_ZN7rocprim17ROCPRIM_400000_NS6detail17trampoline_kernelINS0_14default_configENS1_25partition_config_selectorILNS1_17partition_subalgoE1EjNS0_10empty_typeEbEEZZNS1_14partition_implILS5_1ELb0ES3_jN6thrust23THRUST_200600_302600_NS6detail15normal_iteratorINSA_10device_ptrIjEEEEPS6_NSA_18transform_iteratorI7is_evenIjESF_NSA_11use_defaultESK_EENS0_5tupleIJNSA_16discard_iteratorISK_EESF_EEENSM_IJSG_SG_EEES6_PlJS6_EEE10hipError_tPvRmT3_T4_T5_T6_T7_T9_mT8_P12ihipStream_tbDpT10_ENKUlT_T0_E_clISt17integral_constantIbLb1EES1B_EEDaS16_S17_EUlS16_E_NS1_11comp_targetILNS1_3genE0ELNS1_11target_archE4294967295ELNS1_3gpuE0ELNS1_3repE0EEENS1_30default_config_static_selectorELNS0_4arch9wavefront6targetE1EEEvT1_, .Lfunc_end3043-_ZN7rocprim17ROCPRIM_400000_NS6detail17trampoline_kernelINS0_14default_configENS1_25partition_config_selectorILNS1_17partition_subalgoE1EjNS0_10empty_typeEbEEZZNS1_14partition_implILS5_1ELb0ES3_jN6thrust23THRUST_200600_302600_NS6detail15normal_iteratorINSA_10device_ptrIjEEEEPS6_NSA_18transform_iteratorI7is_evenIjESF_NSA_11use_defaultESK_EENS0_5tupleIJNSA_16discard_iteratorISK_EESF_EEENSM_IJSG_SG_EEES6_PlJS6_EEE10hipError_tPvRmT3_T4_T5_T6_T7_T9_mT8_P12ihipStream_tbDpT10_ENKUlT_T0_E_clISt17integral_constantIbLb1EES1B_EEDaS16_S17_EUlS16_E_NS1_11comp_targetILNS1_3genE0ELNS1_11target_archE4294967295ELNS1_3gpuE0ELNS1_3repE0EEENS1_30default_config_static_selectorELNS0_4arch9wavefront6targetE1EEEvT1_
                                        ; -- End function
	.section	.AMDGPU.csdata,"",@progbits
; Kernel info:
; codeLenInByte = 0
; NumSgprs: 4
; NumVgprs: 0
; NumAgprs: 0
; TotalNumVgprs: 0
; ScratchSize: 0
; MemoryBound: 0
; FloatMode: 240
; IeeeMode: 1
; LDSByteSize: 0 bytes/workgroup (compile time only)
; SGPRBlocks: 0
; VGPRBlocks: 0
; NumSGPRsForWavesPerEU: 4
; NumVGPRsForWavesPerEU: 1
; AccumOffset: 4
; Occupancy: 8
; WaveLimiterHint : 0
; COMPUTE_PGM_RSRC2:SCRATCH_EN: 0
; COMPUTE_PGM_RSRC2:USER_SGPR: 6
; COMPUTE_PGM_RSRC2:TRAP_HANDLER: 0
; COMPUTE_PGM_RSRC2:TGID_X_EN: 1
; COMPUTE_PGM_RSRC2:TGID_Y_EN: 0
; COMPUTE_PGM_RSRC2:TGID_Z_EN: 0
; COMPUTE_PGM_RSRC2:TIDIG_COMP_CNT: 0
; COMPUTE_PGM_RSRC3_GFX90A:ACCUM_OFFSET: 0
; COMPUTE_PGM_RSRC3_GFX90A:TG_SPLIT: 0
	.section	.text._ZN7rocprim17ROCPRIM_400000_NS6detail17trampoline_kernelINS0_14default_configENS1_25partition_config_selectorILNS1_17partition_subalgoE1EjNS0_10empty_typeEbEEZZNS1_14partition_implILS5_1ELb0ES3_jN6thrust23THRUST_200600_302600_NS6detail15normal_iteratorINSA_10device_ptrIjEEEEPS6_NSA_18transform_iteratorI7is_evenIjESF_NSA_11use_defaultESK_EENS0_5tupleIJNSA_16discard_iteratorISK_EESF_EEENSM_IJSG_SG_EEES6_PlJS6_EEE10hipError_tPvRmT3_T4_T5_T6_T7_T9_mT8_P12ihipStream_tbDpT10_ENKUlT_T0_E_clISt17integral_constantIbLb1EES1B_EEDaS16_S17_EUlS16_E_NS1_11comp_targetILNS1_3genE5ELNS1_11target_archE942ELNS1_3gpuE9ELNS1_3repE0EEENS1_30default_config_static_selectorELNS0_4arch9wavefront6targetE1EEEvT1_,"axG",@progbits,_ZN7rocprim17ROCPRIM_400000_NS6detail17trampoline_kernelINS0_14default_configENS1_25partition_config_selectorILNS1_17partition_subalgoE1EjNS0_10empty_typeEbEEZZNS1_14partition_implILS5_1ELb0ES3_jN6thrust23THRUST_200600_302600_NS6detail15normal_iteratorINSA_10device_ptrIjEEEEPS6_NSA_18transform_iteratorI7is_evenIjESF_NSA_11use_defaultESK_EENS0_5tupleIJNSA_16discard_iteratorISK_EESF_EEENSM_IJSG_SG_EEES6_PlJS6_EEE10hipError_tPvRmT3_T4_T5_T6_T7_T9_mT8_P12ihipStream_tbDpT10_ENKUlT_T0_E_clISt17integral_constantIbLb1EES1B_EEDaS16_S17_EUlS16_E_NS1_11comp_targetILNS1_3genE5ELNS1_11target_archE942ELNS1_3gpuE9ELNS1_3repE0EEENS1_30default_config_static_selectorELNS0_4arch9wavefront6targetE1EEEvT1_,comdat
	.protected	_ZN7rocprim17ROCPRIM_400000_NS6detail17trampoline_kernelINS0_14default_configENS1_25partition_config_selectorILNS1_17partition_subalgoE1EjNS0_10empty_typeEbEEZZNS1_14partition_implILS5_1ELb0ES3_jN6thrust23THRUST_200600_302600_NS6detail15normal_iteratorINSA_10device_ptrIjEEEEPS6_NSA_18transform_iteratorI7is_evenIjESF_NSA_11use_defaultESK_EENS0_5tupleIJNSA_16discard_iteratorISK_EESF_EEENSM_IJSG_SG_EEES6_PlJS6_EEE10hipError_tPvRmT3_T4_T5_T6_T7_T9_mT8_P12ihipStream_tbDpT10_ENKUlT_T0_E_clISt17integral_constantIbLb1EES1B_EEDaS16_S17_EUlS16_E_NS1_11comp_targetILNS1_3genE5ELNS1_11target_archE942ELNS1_3gpuE9ELNS1_3repE0EEENS1_30default_config_static_selectorELNS0_4arch9wavefront6targetE1EEEvT1_ ; -- Begin function _ZN7rocprim17ROCPRIM_400000_NS6detail17trampoline_kernelINS0_14default_configENS1_25partition_config_selectorILNS1_17partition_subalgoE1EjNS0_10empty_typeEbEEZZNS1_14partition_implILS5_1ELb0ES3_jN6thrust23THRUST_200600_302600_NS6detail15normal_iteratorINSA_10device_ptrIjEEEEPS6_NSA_18transform_iteratorI7is_evenIjESF_NSA_11use_defaultESK_EENS0_5tupleIJNSA_16discard_iteratorISK_EESF_EEENSM_IJSG_SG_EEES6_PlJS6_EEE10hipError_tPvRmT3_T4_T5_T6_T7_T9_mT8_P12ihipStream_tbDpT10_ENKUlT_T0_E_clISt17integral_constantIbLb1EES1B_EEDaS16_S17_EUlS16_E_NS1_11comp_targetILNS1_3genE5ELNS1_11target_archE942ELNS1_3gpuE9ELNS1_3repE0EEENS1_30default_config_static_selectorELNS0_4arch9wavefront6targetE1EEEvT1_
	.globl	_ZN7rocprim17ROCPRIM_400000_NS6detail17trampoline_kernelINS0_14default_configENS1_25partition_config_selectorILNS1_17partition_subalgoE1EjNS0_10empty_typeEbEEZZNS1_14partition_implILS5_1ELb0ES3_jN6thrust23THRUST_200600_302600_NS6detail15normal_iteratorINSA_10device_ptrIjEEEEPS6_NSA_18transform_iteratorI7is_evenIjESF_NSA_11use_defaultESK_EENS0_5tupleIJNSA_16discard_iteratorISK_EESF_EEENSM_IJSG_SG_EEES6_PlJS6_EEE10hipError_tPvRmT3_T4_T5_T6_T7_T9_mT8_P12ihipStream_tbDpT10_ENKUlT_T0_E_clISt17integral_constantIbLb1EES1B_EEDaS16_S17_EUlS16_E_NS1_11comp_targetILNS1_3genE5ELNS1_11target_archE942ELNS1_3gpuE9ELNS1_3repE0EEENS1_30default_config_static_selectorELNS0_4arch9wavefront6targetE1EEEvT1_
	.p2align	8
	.type	_ZN7rocprim17ROCPRIM_400000_NS6detail17trampoline_kernelINS0_14default_configENS1_25partition_config_selectorILNS1_17partition_subalgoE1EjNS0_10empty_typeEbEEZZNS1_14partition_implILS5_1ELb0ES3_jN6thrust23THRUST_200600_302600_NS6detail15normal_iteratorINSA_10device_ptrIjEEEEPS6_NSA_18transform_iteratorI7is_evenIjESF_NSA_11use_defaultESK_EENS0_5tupleIJNSA_16discard_iteratorISK_EESF_EEENSM_IJSG_SG_EEES6_PlJS6_EEE10hipError_tPvRmT3_T4_T5_T6_T7_T9_mT8_P12ihipStream_tbDpT10_ENKUlT_T0_E_clISt17integral_constantIbLb1EES1B_EEDaS16_S17_EUlS16_E_NS1_11comp_targetILNS1_3genE5ELNS1_11target_archE942ELNS1_3gpuE9ELNS1_3repE0EEENS1_30default_config_static_selectorELNS0_4arch9wavefront6targetE1EEEvT1_,@function
_ZN7rocprim17ROCPRIM_400000_NS6detail17trampoline_kernelINS0_14default_configENS1_25partition_config_selectorILNS1_17partition_subalgoE1EjNS0_10empty_typeEbEEZZNS1_14partition_implILS5_1ELb0ES3_jN6thrust23THRUST_200600_302600_NS6detail15normal_iteratorINSA_10device_ptrIjEEEEPS6_NSA_18transform_iteratorI7is_evenIjESF_NSA_11use_defaultESK_EENS0_5tupleIJNSA_16discard_iteratorISK_EESF_EEENSM_IJSG_SG_EEES6_PlJS6_EEE10hipError_tPvRmT3_T4_T5_T6_T7_T9_mT8_P12ihipStream_tbDpT10_ENKUlT_T0_E_clISt17integral_constantIbLb1EES1B_EEDaS16_S17_EUlS16_E_NS1_11comp_targetILNS1_3genE5ELNS1_11target_archE942ELNS1_3gpuE9ELNS1_3repE0EEENS1_30default_config_static_selectorELNS0_4arch9wavefront6targetE1EEEvT1_: ; @_ZN7rocprim17ROCPRIM_400000_NS6detail17trampoline_kernelINS0_14default_configENS1_25partition_config_selectorILNS1_17partition_subalgoE1EjNS0_10empty_typeEbEEZZNS1_14partition_implILS5_1ELb0ES3_jN6thrust23THRUST_200600_302600_NS6detail15normal_iteratorINSA_10device_ptrIjEEEEPS6_NSA_18transform_iteratorI7is_evenIjESF_NSA_11use_defaultESK_EENS0_5tupleIJNSA_16discard_iteratorISK_EESF_EEENSM_IJSG_SG_EEES6_PlJS6_EEE10hipError_tPvRmT3_T4_T5_T6_T7_T9_mT8_P12ihipStream_tbDpT10_ENKUlT_T0_E_clISt17integral_constantIbLb1EES1B_EEDaS16_S17_EUlS16_E_NS1_11comp_targetILNS1_3genE5ELNS1_11target_archE942ELNS1_3gpuE9ELNS1_3repE0EEENS1_30default_config_static_selectorELNS0_4arch9wavefront6targetE1EEEvT1_
; %bb.0:
	.section	.rodata,"a",@progbits
	.p2align	6, 0x0
	.amdhsa_kernel _ZN7rocprim17ROCPRIM_400000_NS6detail17trampoline_kernelINS0_14default_configENS1_25partition_config_selectorILNS1_17partition_subalgoE1EjNS0_10empty_typeEbEEZZNS1_14partition_implILS5_1ELb0ES3_jN6thrust23THRUST_200600_302600_NS6detail15normal_iteratorINSA_10device_ptrIjEEEEPS6_NSA_18transform_iteratorI7is_evenIjESF_NSA_11use_defaultESK_EENS0_5tupleIJNSA_16discard_iteratorISK_EESF_EEENSM_IJSG_SG_EEES6_PlJS6_EEE10hipError_tPvRmT3_T4_T5_T6_T7_T9_mT8_P12ihipStream_tbDpT10_ENKUlT_T0_E_clISt17integral_constantIbLb1EES1B_EEDaS16_S17_EUlS16_E_NS1_11comp_targetILNS1_3genE5ELNS1_11target_archE942ELNS1_3gpuE9ELNS1_3repE0EEENS1_30default_config_static_selectorELNS0_4arch9wavefront6targetE1EEEvT1_
		.amdhsa_group_segment_fixed_size 0
		.amdhsa_private_segment_fixed_size 0
		.amdhsa_kernarg_size 152
		.amdhsa_user_sgpr_count 6
		.amdhsa_user_sgpr_private_segment_buffer 1
		.amdhsa_user_sgpr_dispatch_ptr 0
		.amdhsa_user_sgpr_queue_ptr 0
		.amdhsa_user_sgpr_kernarg_segment_ptr 1
		.amdhsa_user_sgpr_dispatch_id 0
		.amdhsa_user_sgpr_flat_scratch_init 0
		.amdhsa_user_sgpr_kernarg_preload_length 0
		.amdhsa_user_sgpr_kernarg_preload_offset 0
		.amdhsa_user_sgpr_private_segment_size 0
		.amdhsa_uses_dynamic_stack 0
		.amdhsa_system_sgpr_private_segment_wavefront_offset 0
		.amdhsa_system_sgpr_workgroup_id_x 1
		.amdhsa_system_sgpr_workgroup_id_y 0
		.amdhsa_system_sgpr_workgroup_id_z 0
		.amdhsa_system_sgpr_workgroup_info 0
		.amdhsa_system_vgpr_workitem_id 0
		.amdhsa_next_free_vgpr 1
		.amdhsa_next_free_sgpr 0
		.amdhsa_accum_offset 4
		.amdhsa_reserve_vcc 0
		.amdhsa_reserve_flat_scratch 0
		.amdhsa_float_round_mode_32 0
		.amdhsa_float_round_mode_16_64 0
		.amdhsa_float_denorm_mode_32 3
		.amdhsa_float_denorm_mode_16_64 3
		.amdhsa_dx10_clamp 1
		.amdhsa_ieee_mode 1
		.amdhsa_fp16_overflow 0
		.amdhsa_tg_split 0
		.amdhsa_exception_fp_ieee_invalid_op 0
		.amdhsa_exception_fp_denorm_src 0
		.amdhsa_exception_fp_ieee_div_zero 0
		.amdhsa_exception_fp_ieee_overflow 0
		.amdhsa_exception_fp_ieee_underflow 0
		.amdhsa_exception_fp_ieee_inexact 0
		.amdhsa_exception_int_div_zero 0
	.end_amdhsa_kernel
	.section	.text._ZN7rocprim17ROCPRIM_400000_NS6detail17trampoline_kernelINS0_14default_configENS1_25partition_config_selectorILNS1_17partition_subalgoE1EjNS0_10empty_typeEbEEZZNS1_14partition_implILS5_1ELb0ES3_jN6thrust23THRUST_200600_302600_NS6detail15normal_iteratorINSA_10device_ptrIjEEEEPS6_NSA_18transform_iteratorI7is_evenIjESF_NSA_11use_defaultESK_EENS0_5tupleIJNSA_16discard_iteratorISK_EESF_EEENSM_IJSG_SG_EEES6_PlJS6_EEE10hipError_tPvRmT3_T4_T5_T6_T7_T9_mT8_P12ihipStream_tbDpT10_ENKUlT_T0_E_clISt17integral_constantIbLb1EES1B_EEDaS16_S17_EUlS16_E_NS1_11comp_targetILNS1_3genE5ELNS1_11target_archE942ELNS1_3gpuE9ELNS1_3repE0EEENS1_30default_config_static_selectorELNS0_4arch9wavefront6targetE1EEEvT1_,"axG",@progbits,_ZN7rocprim17ROCPRIM_400000_NS6detail17trampoline_kernelINS0_14default_configENS1_25partition_config_selectorILNS1_17partition_subalgoE1EjNS0_10empty_typeEbEEZZNS1_14partition_implILS5_1ELb0ES3_jN6thrust23THRUST_200600_302600_NS6detail15normal_iteratorINSA_10device_ptrIjEEEEPS6_NSA_18transform_iteratorI7is_evenIjESF_NSA_11use_defaultESK_EENS0_5tupleIJNSA_16discard_iteratorISK_EESF_EEENSM_IJSG_SG_EEES6_PlJS6_EEE10hipError_tPvRmT3_T4_T5_T6_T7_T9_mT8_P12ihipStream_tbDpT10_ENKUlT_T0_E_clISt17integral_constantIbLb1EES1B_EEDaS16_S17_EUlS16_E_NS1_11comp_targetILNS1_3genE5ELNS1_11target_archE942ELNS1_3gpuE9ELNS1_3repE0EEENS1_30default_config_static_selectorELNS0_4arch9wavefront6targetE1EEEvT1_,comdat
.Lfunc_end3044:
	.size	_ZN7rocprim17ROCPRIM_400000_NS6detail17trampoline_kernelINS0_14default_configENS1_25partition_config_selectorILNS1_17partition_subalgoE1EjNS0_10empty_typeEbEEZZNS1_14partition_implILS5_1ELb0ES3_jN6thrust23THRUST_200600_302600_NS6detail15normal_iteratorINSA_10device_ptrIjEEEEPS6_NSA_18transform_iteratorI7is_evenIjESF_NSA_11use_defaultESK_EENS0_5tupleIJNSA_16discard_iteratorISK_EESF_EEENSM_IJSG_SG_EEES6_PlJS6_EEE10hipError_tPvRmT3_T4_T5_T6_T7_T9_mT8_P12ihipStream_tbDpT10_ENKUlT_T0_E_clISt17integral_constantIbLb1EES1B_EEDaS16_S17_EUlS16_E_NS1_11comp_targetILNS1_3genE5ELNS1_11target_archE942ELNS1_3gpuE9ELNS1_3repE0EEENS1_30default_config_static_selectorELNS0_4arch9wavefront6targetE1EEEvT1_, .Lfunc_end3044-_ZN7rocprim17ROCPRIM_400000_NS6detail17trampoline_kernelINS0_14default_configENS1_25partition_config_selectorILNS1_17partition_subalgoE1EjNS0_10empty_typeEbEEZZNS1_14partition_implILS5_1ELb0ES3_jN6thrust23THRUST_200600_302600_NS6detail15normal_iteratorINSA_10device_ptrIjEEEEPS6_NSA_18transform_iteratorI7is_evenIjESF_NSA_11use_defaultESK_EENS0_5tupleIJNSA_16discard_iteratorISK_EESF_EEENSM_IJSG_SG_EEES6_PlJS6_EEE10hipError_tPvRmT3_T4_T5_T6_T7_T9_mT8_P12ihipStream_tbDpT10_ENKUlT_T0_E_clISt17integral_constantIbLb1EES1B_EEDaS16_S17_EUlS16_E_NS1_11comp_targetILNS1_3genE5ELNS1_11target_archE942ELNS1_3gpuE9ELNS1_3repE0EEENS1_30default_config_static_selectorELNS0_4arch9wavefront6targetE1EEEvT1_
                                        ; -- End function
	.section	.AMDGPU.csdata,"",@progbits
; Kernel info:
; codeLenInByte = 0
; NumSgprs: 4
; NumVgprs: 0
; NumAgprs: 0
; TotalNumVgprs: 0
; ScratchSize: 0
; MemoryBound: 0
; FloatMode: 240
; IeeeMode: 1
; LDSByteSize: 0 bytes/workgroup (compile time only)
; SGPRBlocks: 0
; VGPRBlocks: 0
; NumSGPRsForWavesPerEU: 4
; NumVGPRsForWavesPerEU: 1
; AccumOffset: 4
; Occupancy: 8
; WaveLimiterHint : 0
; COMPUTE_PGM_RSRC2:SCRATCH_EN: 0
; COMPUTE_PGM_RSRC2:USER_SGPR: 6
; COMPUTE_PGM_RSRC2:TRAP_HANDLER: 0
; COMPUTE_PGM_RSRC2:TGID_X_EN: 1
; COMPUTE_PGM_RSRC2:TGID_Y_EN: 0
; COMPUTE_PGM_RSRC2:TGID_Z_EN: 0
; COMPUTE_PGM_RSRC2:TIDIG_COMP_CNT: 0
; COMPUTE_PGM_RSRC3_GFX90A:ACCUM_OFFSET: 0
; COMPUTE_PGM_RSRC3_GFX90A:TG_SPLIT: 0
	.section	.text._ZN7rocprim17ROCPRIM_400000_NS6detail17trampoline_kernelINS0_14default_configENS1_25partition_config_selectorILNS1_17partition_subalgoE1EjNS0_10empty_typeEbEEZZNS1_14partition_implILS5_1ELb0ES3_jN6thrust23THRUST_200600_302600_NS6detail15normal_iteratorINSA_10device_ptrIjEEEEPS6_NSA_18transform_iteratorI7is_evenIjESF_NSA_11use_defaultESK_EENS0_5tupleIJNSA_16discard_iteratorISK_EESF_EEENSM_IJSG_SG_EEES6_PlJS6_EEE10hipError_tPvRmT3_T4_T5_T6_T7_T9_mT8_P12ihipStream_tbDpT10_ENKUlT_T0_E_clISt17integral_constantIbLb1EES1B_EEDaS16_S17_EUlS16_E_NS1_11comp_targetILNS1_3genE4ELNS1_11target_archE910ELNS1_3gpuE8ELNS1_3repE0EEENS1_30default_config_static_selectorELNS0_4arch9wavefront6targetE1EEEvT1_,"axG",@progbits,_ZN7rocprim17ROCPRIM_400000_NS6detail17trampoline_kernelINS0_14default_configENS1_25partition_config_selectorILNS1_17partition_subalgoE1EjNS0_10empty_typeEbEEZZNS1_14partition_implILS5_1ELb0ES3_jN6thrust23THRUST_200600_302600_NS6detail15normal_iteratorINSA_10device_ptrIjEEEEPS6_NSA_18transform_iteratorI7is_evenIjESF_NSA_11use_defaultESK_EENS0_5tupleIJNSA_16discard_iteratorISK_EESF_EEENSM_IJSG_SG_EEES6_PlJS6_EEE10hipError_tPvRmT3_T4_T5_T6_T7_T9_mT8_P12ihipStream_tbDpT10_ENKUlT_T0_E_clISt17integral_constantIbLb1EES1B_EEDaS16_S17_EUlS16_E_NS1_11comp_targetILNS1_3genE4ELNS1_11target_archE910ELNS1_3gpuE8ELNS1_3repE0EEENS1_30default_config_static_selectorELNS0_4arch9wavefront6targetE1EEEvT1_,comdat
	.protected	_ZN7rocprim17ROCPRIM_400000_NS6detail17trampoline_kernelINS0_14default_configENS1_25partition_config_selectorILNS1_17partition_subalgoE1EjNS0_10empty_typeEbEEZZNS1_14partition_implILS5_1ELb0ES3_jN6thrust23THRUST_200600_302600_NS6detail15normal_iteratorINSA_10device_ptrIjEEEEPS6_NSA_18transform_iteratorI7is_evenIjESF_NSA_11use_defaultESK_EENS0_5tupleIJNSA_16discard_iteratorISK_EESF_EEENSM_IJSG_SG_EEES6_PlJS6_EEE10hipError_tPvRmT3_T4_T5_T6_T7_T9_mT8_P12ihipStream_tbDpT10_ENKUlT_T0_E_clISt17integral_constantIbLb1EES1B_EEDaS16_S17_EUlS16_E_NS1_11comp_targetILNS1_3genE4ELNS1_11target_archE910ELNS1_3gpuE8ELNS1_3repE0EEENS1_30default_config_static_selectorELNS0_4arch9wavefront6targetE1EEEvT1_ ; -- Begin function _ZN7rocprim17ROCPRIM_400000_NS6detail17trampoline_kernelINS0_14default_configENS1_25partition_config_selectorILNS1_17partition_subalgoE1EjNS0_10empty_typeEbEEZZNS1_14partition_implILS5_1ELb0ES3_jN6thrust23THRUST_200600_302600_NS6detail15normal_iteratorINSA_10device_ptrIjEEEEPS6_NSA_18transform_iteratorI7is_evenIjESF_NSA_11use_defaultESK_EENS0_5tupleIJNSA_16discard_iteratorISK_EESF_EEENSM_IJSG_SG_EEES6_PlJS6_EEE10hipError_tPvRmT3_T4_T5_T6_T7_T9_mT8_P12ihipStream_tbDpT10_ENKUlT_T0_E_clISt17integral_constantIbLb1EES1B_EEDaS16_S17_EUlS16_E_NS1_11comp_targetILNS1_3genE4ELNS1_11target_archE910ELNS1_3gpuE8ELNS1_3repE0EEENS1_30default_config_static_selectorELNS0_4arch9wavefront6targetE1EEEvT1_
	.globl	_ZN7rocprim17ROCPRIM_400000_NS6detail17trampoline_kernelINS0_14default_configENS1_25partition_config_selectorILNS1_17partition_subalgoE1EjNS0_10empty_typeEbEEZZNS1_14partition_implILS5_1ELb0ES3_jN6thrust23THRUST_200600_302600_NS6detail15normal_iteratorINSA_10device_ptrIjEEEEPS6_NSA_18transform_iteratorI7is_evenIjESF_NSA_11use_defaultESK_EENS0_5tupleIJNSA_16discard_iteratorISK_EESF_EEENSM_IJSG_SG_EEES6_PlJS6_EEE10hipError_tPvRmT3_T4_T5_T6_T7_T9_mT8_P12ihipStream_tbDpT10_ENKUlT_T0_E_clISt17integral_constantIbLb1EES1B_EEDaS16_S17_EUlS16_E_NS1_11comp_targetILNS1_3genE4ELNS1_11target_archE910ELNS1_3gpuE8ELNS1_3repE0EEENS1_30default_config_static_selectorELNS0_4arch9wavefront6targetE1EEEvT1_
	.p2align	8
	.type	_ZN7rocprim17ROCPRIM_400000_NS6detail17trampoline_kernelINS0_14default_configENS1_25partition_config_selectorILNS1_17partition_subalgoE1EjNS0_10empty_typeEbEEZZNS1_14partition_implILS5_1ELb0ES3_jN6thrust23THRUST_200600_302600_NS6detail15normal_iteratorINSA_10device_ptrIjEEEEPS6_NSA_18transform_iteratorI7is_evenIjESF_NSA_11use_defaultESK_EENS0_5tupleIJNSA_16discard_iteratorISK_EESF_EEENSM_IJSG_SG_EEES6_PlJS6_EEE10hipError_tPvRmT3_T4_T5_T6_T7_T9_mT8_P12ihipStream_tbDpT10_ENKUlT_T0_E_clISt17integral_constantIbLb1EES1B_EEDaS16_S17_EUlS16_E_NS1_11comp_targetILNS1_3genE4ELNS1_11target_archE910ELNS1_3gpuE8ELNS1_3repE0EEENS1_30default_config_static_selectorELNS0_4arch9wavefront6targetE1EEEvT1_,@function
_ZN7rocprim17ROCPRIM_400000_NS6detail17trampoline_kernelINS0_14default_configENS1_25partition_config_selectorILNS1_17partition_subalgoE1EjNS0_10empty_typeEbEEZZNS1_14partition_implILS5_1ELb0ES3_jN6thrust23THRUST_200600_302600_NS6detail15normal_iteratorINSA_10device_ptrIjEEEEPS6_NSA_18transform_iteratorI7is_evenIjESF_NSA_11use_defaultESK_EENS0_5tupleIJNSA_16discard_iteratorISK_EESF_EEENSM_IJSG_SG_EEES6_PlJS6_EEE10hipError_tPvRmT3_T4_T5_T6_T7_T9_mT8_P12ihipStream_tbDpT10_ENKUlT_T0_E_clISt17integral_constantIbLb1EES1B_EEDaS16_S17_EUlS16_E_NS1_11comp_targetILNS1_3genE4ELNS1_11target_archE910ELNS1_3gpuE8ELNS1_3repE0EEENS1_30default_config_static_selectorELNS0_4arch9wavefront6targetE1EEEvT1_: ; @_ZN7rocprim17ROCPRIM_400000_NS6detail17trampoline_kernelINS0_14default_configENS1_25partition_config_selectorILNS1_17partition_subalgoE1EjNS0_10empty_typeEbEEZZNS1_14partition_implILS5_1ELb0ES3_jN6thrust23THRUST_200600_302600_NS6detail15normal_iteratorINSA_10device_ptrIjEEEEPS6_NSA_18transform_iteratorI7is_evenIjESF_NSA_11use_defaultESK_EENS0_5tupleIJNSA_16discard_iteratorISK_EESF_EEENSM_IJSG_SG_EEES6_PlJS6_EEE10hipError_tPvRmT3_T4_T5_T6_T7_T9_mT8_P12ihipStream_tbDpT10_ENKUlT_T0_E_clISt17integral_constantIbLb1EES1B_EEDaS16_S17_EUlS16_E_NS1_11comp_targetILNS1_3genE4ELNS1_11target_archE910ELNS1_3gpuE8ELNS1_3repE0EEENS1_30default_config_static_selectorELNS0_4arch9wavefront6targetE1EEEvT1_
; %bb.0:
	s_load_dwordx2 s[6:7], s[4:5], 0x20
	s_load_dwordx2 s[24:25], s[4:5], 0x40
	;; [unrolled: 1-line block ×3, first 2 shown]
	s_load_dwordx4 s[20:23], s[4:5], 0x58
	s_load_dwordx2 s[28:29], s[4:5], 0x78
	v_cmp_eq_u32_e64 s[0:1], 0, v0
	s_and_saveexec_b64 s[8:9], s[0:1]
	s_cbranch_execz .LBB3045_4
; %bb.1:
	s_mov_b64 s[12:13], exec
	v_mbcnt_lo_u32_b32 v1, s12, 0
	v_mbcnt_hi_u32_b32 v1, s13, v1
	v_cmp_eq_u32_e32 vcc, 0, v1
                                        ; implicit-def: $vgpr2
	s_and_saveexec_b64 s[10:11], vcc
	s_cbranch_execz .LBB3045_3
; %bb.2:
	s_load_dwordx2 s[14:15], s[4:5], 0x88
	s_bcnt1_i32_b64 s12, s[12:13]
	v_mov_b32_e32 v2, 0
	v_mov_b32_e32 v3, s12
	s_waitcnt lgkmcnt(0)
	global_atomic_add v2, v2, v3, s[14:15] glc
.LBB3045_3:
	s_or_b64 exec, exec, s[10:11]
	s_waitcnt vmcnt(0)
	v_readfirstlane_b32 s10, v2
	v_add_u32_e32 v1, s10, v1
	v_mov_b32_e32 v2, 0
	ds_write_b32 v2, v1
.LBB3045_4:
	s_or_b64 exec, exec, s[8:9]
	v_mov_b32_e32 v3, 0
	s_load_dwordx4 s[16:19], s[4:5], 0x8
	s_load_dword s8, s[4:5], 0x80
	s_waitcnt lgkmcnt(0)
	s_barrier
	ds_read_b32 v1, v3
	s_waitcnt lgkmcnt(0)
	s_barrier
	global_load_dwordx2 v[10:11], v3, s[22:23]
	v_mov_b32_e32 v5, s3
	s_lshl_b64 s[4:5], s[18:19], 2
	s_movk_i32 s3, 0x700
	s_add_u32 s9, s16, s4
	v_mul_lo_u32 v2, v1, s3
	s_mul_i32 s3, s8, 0x700
	s_addc_u32 s10, s17, s5
	s_add_i32 s11, s8, -1
	s_add_i32 s8, s3, s18
	s_sub_i32 s33, s2, s8
	s_addk_i32 s33, 0x700
	v_mov_b32_e32 v4, s2
	s_add_u32 s2, s18, s3
	v_readfirstlane_b32 s38, v1
	s_addc_u32 s3, s19, 0
	s_cmp_eq_u32 s38, s11
	s_cselect_b64 s[22:23], -1, 0
	s_cmp_lg_u32 s38, s11
	v_cmp_lt_u64_e32 vcc, s[2:3], v[4:5]
	s_cselect_b64 s[2:3], -1, 0
	v_lshlrev_b64 v[12:13], 2, v[2:3]
	s_or_b64 s[26:27], vcc, s[2:3]
	v_mov_b32_e32 v2, s10
	v_add_co_u32_e32 v1, vcc, s9, v12
	v_addc_co_u32_e32 v9, vcc, v2, v13, vcc
	s_mov_b64 s[2:3], -1
	s_and_b64 vcc, exec, s[26:27]
	v_lshlrev_b32_e32 v22, 2, v0
	s_cbranch_vccz .LBB3045_6
; %bb.5:
	v_add_co_u32_e32 v2, vcc, v1, v22
	v_addc_co_u32_e32 v3, vcc, 0, v9, vcc
	v_add_co_u32_e32 v4, vcc, 0x1000, v2
	v_addc_co_u32_e32 v5, vcc, 0, v3, vcc
	flat_load_dword v6, v[2:3]
	flat_load_dword v7, v[2:3] offset:1024
	flat_load_dword v8, v[2:3] offset:2048
	;; [unrolled: 1-line block ×3, first 2 shown]
	flat_load_dword v15, v[4:5]
	flat_load_dword v16, v[4:5] offset:1024
	flat_load_dword v17, v[4:5] offset:2048
	s_mov_b64 s[2:3], 0
	s_waitcnt vmcnt(0) lgkmcnt(0)
	ds_write2st64_b32 v22, v6, v7 offset1:4
	ds_write2st64_b32 v22, v8, v14 offset0:8 offset1:12
	ds_write2st64_b32 v22, v15, v16 offset0:16 offset1:20
	ds_write_b32 v22, v17 offset:6144
	s_waitcnt lgkmcnt(0)
	s_barrier
.LBB3045_6:
	s_andn2_b64 vcc, exec, s[2:3]
	v_cmp_gt_u32_e64 s[2:3], s33, v0
	s_cbranch_vccnz .LBB3045_22
; %bb.7:
                                        ; implicit-def: $vgpr2_vgpr3_vgpr4_vgpr5_vgpr6_vgpr7_vgpr8
	s_and_saveexec_b64 s[8:9], s[2:3]
	s_cbranch_execz .LBB3045_9
; %bb.8:
	v_add_co_u32_e32 v2, vcc, v1, v22
	v_addc_co_u32_e32 v3, vcc, 0, v9, vcc
	flat_load_dword v2, v[2:3]
.LBB3045_9:
	s_or_b64 exec, exec, s[8:9]
	v_or_b32_e32 v14, 0x100, v0
	v_cmp_gt_u32_e32 vcc, s33, v14
	s_and_saveexec_b64 s[2:3], vcc
	s_cbranch_execz .LBB3045_11
; %bb.10:
	v_add_co_u32_e32 v14, vcc, v1, v22
	v_addc_co_u32_e32 v15, vcc, 0, v9, vcc
	flat_load_dword v3, v[14:15] offset:1024
.LBB3045_11:
	s_or_b64 exec, exec, s[2:3]
	v_or_b32_e32 v14, 0x200, v0
	v_cmp_gt_u32_e32 vcc, s33, v14
	s_and_saveexec_b64 s[2:3], vcc
	s_cbranch_execz .LBB3045_13
; %bb.12:
	v_add_co_u32_e32 v14, vcc, v1, v22
	v_addc_co_u32_e32 v15, vcc, 0, v9, vcc
	flat_load_dword v4, v[14:15] offset:2048
.LBB3045_13:
	;; [unrolled: 10-line block ×3, first 2 shown]
	s_or_b64 exec, exec, s[2:3]
	v_or_b32_e32 v14, 0x400, v0
	v_cmp_gt_u32_e32 vcc, s33, v14
	s_and_saveexec_b64 s[2:3], vcc
	s_cbranch_execz .LBB3045_17
; %bb.16:
	v_lshlrev_b32_e32 v6, 2, v14
	v_add_co_u32_e32 v14, vcc, v1, v6
	v_addc_co_u32_e32 v15, vcc, 0, v9, vcc
	flat_load_dword v6, v[14:15]
.LBB3045_17:
	s_or_b64 exec, exec, s[2:3]
	v_or_b32_e32 v14, 0x500, v0
	v_cmp_gt_u32_e32 vcc, s33, v14
	s_and_saveexec_b64 s[2:3], vcc
	s_cbranch_execz .LBB3045_19
; %bb.18:
	v_lshlrev_b32_e32 v7, 2, v14
	v_add_co_u32_e32 v14, vcc, v1, v7
	v_addc_co_u32_e32 v15, vcc, 0, v9, vcc
	flat_load_dword v7, v[14:15]
.LBB3045_19:
	;; [unrolled: 11-line block ×3, first 2 shown]
	s_or_b64 exec, exec, s[2:3]
	s_waitcnt vmcnt(0) lgkmcnt(0)
	ds_write2st64_b32 v22, v2, v3 offset1:4
	ds_write2st64_b32 v22, v4, v5 offset0:8 offset1:12
	ds_write2st64_b32 v22, v6, v7 offset0:16 offset1:20
	ds_write_b32 v22, v8 offset:6144
	s_waitcnt lgkmcnt(0)
	s_barrier
.LBB3045_22:
	v_mul_u32_u24_e32 v24, 7, v0
	v_lshlrev_b32_e32 v9, 2, v24
	ds_read2_b32 v[6:7], v9 offset1:1
	ds_read2_b32 v[4:5], v9 offset0:2 offset1:3
	ds_read2_b32 v[2:3], v9 offset0:4 offset1:5
	ds_read_b32 v23, v9 offset:24
	s_add_u32 s2, s6, s4
	s_addc_u32 s3, s7, s5
	v_mov_b32_e32 v1, s3
	v_add_co_u32_e32 v8, vcc, s2, v12
	v_addc_co_u32_e32 v1, vcc, v1, v13, vcc
	s_mov_b64 s[2:3], -1
	s_and_b64 vcc, exec, s[26:27]
	s_waitcnt lgkmcnt(0)
	s_barrier
	s_cbranch_vccz .LBB3045_24
; %bb.23:
	v_add_co_u32_e32 v14, vcc, v8, v22
	v_readfirstlane_b32 s2, v8
	v_readfirstlane_b32 s3, v1
	v_addc_co_u32_e32 v15, vcc, 0, v1, vcc
	s_nop 3
	global_load_dword v16, v22, s[2:3]
	global_load_dword v17, v22, s[2:3] offset:1024
	global_load_dword v18, v22, s[2:3] offset:2048
	;; [unrolled: 1-line block ×3, first 2 shown]
	s_movk_i32 s2, 0x1000
	v_add_co_u32_e32 v14, vcc, s2, v14
	v_addc_co_u32_e32 v15, vcc, 0, v15, vcc
	global_load_dword v20, v[14:15], off
	global_load_dword v21, v[14:15], off offset:1024
	global_load_dword v25, v[14:15], off offset:2048
	s_mov_b64 s[2:3], 0
	s_waitcnt vmcnt(6)
	v_xor_b32_e32 v14, -1, v16
	s_waitcnt vmcnt(5)
	v_xor_b32_e32 v15, -1, v17
	s_waitcnt vmcnt(4)
	v_xor_b32_e32 v16, -1, v18
	s_waitcnt vmcnt(3)
	v_xor_b32_e32 v17, -1, v19
	v_and_b32_e32 v14, 1, v14
	v_and_b32_e32 v15, 1, v15
	;; [unrolled: 1-line block ×3, first 2 shown]
	s_waitcnt vmcnt(2)
	v_xor_b32_e32 v18, -1, v20
	s_waitcnt vmcnt(1)
	v_xor_b32_e32 v19, -1, v21
	;; [unrolled: 2-line block ×3, first 2 shown]
	v_and_b32_e32 v17, 1, v17
	v_and_b32_e32 v18, 1, v18
	;; [unrolled: 1-line block ×4, first 2 shown]
	ds_write_b8 v0, v14
	ds_write_b8 v0, v15 offset:256
	ds_write_b8 v0, v16 offset:512
	;; [unrolled: 1-line block ×6, first 2 shown]
	s_waitcnt lgkmcnt(0)
	s_barrier
.LBB3045_24:
	s_andn2_b64 vcc, exec, s[2:3]
	s_cbranch_vccnz .LBB3045_40
; %bb.25:
	v_cmp_gt_u32_e32 vcc, s33, v0
	v_mov_b32_e32 v14, 0
	v_mov_b32_e32 v15, 0
	s_and_saveexec_b64 s[2:3], vcc
	s_cbranch_execz .LBB3045_27
; %bb.26:
	v_readfirstlane_b32 s4, v8
	v_readfirstlane_b32 s5, v1
	s_nop 4
	global_load_dword v15, v22, s[4:5]
	s_waitcnt vmcnt(0)
	v_xor_b32_e32 v15, -1, v15
	v_and_b32_e32 v15, 1, v15
.LBB3045_27:
	s_or_b64 exec, exec, s[2:3]
	v_or_b32_e32 v16, 0x100, v0
	v_cmp_gt_u32_e32 vcc, s33, v16
	s_and_saveexec_b64 s[2:3], vcc
	s_cbranch_execz .LBB3045_29
; %bb.28:
	v_readfirstlane_b32 s4, v8
	v_readfirstlane_b32 s5, v1
	s_nop 4
	global_load_dword v14, v22, s[4:5] offset:1024
	s_waitcnt vmcnt(0)
	v_xor_b32_e32 v14, -1, v14
	v_and_b32_e32 v14, 1, v14
.LBB3045_29:
	s_or_b64 exec, exec, s[2:3]
	v_or_b32_e32 v16, 0x200, v0
	v_cmp_gt_u32_e32 vcc, s33, v16
	v_mov_b32_e32 v16, 0
	v_mov_b32_e32 v17, 0
	s_and_saveexec_b64 s[2:3], vcc
	s_cbranch_execz .LBB3045_31
; %bb.30:
	v_readfirstlane_b32 s4, v8
	v_readfirstlane_b32 s5, v1
	s_nop 4
	global_load_dword v17, v22, s[4:5] offset:2048
	s_waitcnt vmcnt(0)
	v_xor_b32_e32 v17, -1, v17
	v_and_b32_e32 v17, 1, v17
.LBB3045_31:
	s_or_b64 exec, exec, s[2:3]
	v_or_b32_e32 v18, 0x300, v0
	v_cmp_gt_u32_e32 vcc, s33, v18
	s_and_saveexec_b64 s[2:3], vcc
	s_cbranch_execz .LBB3045_33
; %bb.32:
	v_readfirstlane_b32 s4, v8
	v_readfirstlane_b32 s5, v1
	s_nop 4
	global_load_dword v16, v22, s[4:5] offset:3072
	s_waitcnt vmcnt(0)
	v_xor_b32_e32 v16, -1, v16
	v_and_b32_e32 v16, 1, v16
.LBB3045_33:
	s_or_b64 exec, exec, s[2:3]
	v_or_b32_e32 v20, 0x400, v0
	v_cmp_gt_u32_e32 vcc, s33, v20
	v_mov_b32_e32 v18, 0
	v_mov_b32_e32 v19, 0
	s_and_saveexec_b64 s[2:3], vcc
	s_cbranch_execz .LBB3045_35
; %bb.34:
	v_lshlrev_b32_e32 v19, 2, v20
	v_readfirstlane_b32 s4, v8
	v_readfirstlane_b32 s5, v1
	s_nop 4
	global_load_dword v19, v19, s[4:5]
	s_waitcnt vmcnt(0)
	v_xor_b32_e32 v19, -1, v19
	v_and_b32_e32 v19, 1, v19
.LBB3045_35:
	s_or_b64 exec, exec, s[2:3]
	v_or_b32_e32 v20, 0x500, v0
	v_cmp_gt_u32_e32 vcc, s33, v20
	s_and_saveexec_b64 s[2:3], vcc
	s_cbranch_execz .LBB3045_37
; %bb.36:
	v_lshlrev_b32_e32 v18, 2, v20
	v_readfirstlane_b32 s4, v8
	v_readfirstlane_b32 s5, v1
	s_nop 4
	global_load_dword v18, v18, s[4:5]
	s_waitcnt vmcnt(0)
	v_xor_b32_e32 v18, -1, v18
	v_and_b32_e32 v18, 1, v18
.LBB3045_37:
	s_or_b64 exec, exec, s[2:3]
	v_or_b32_e32 v21, 0x600, v0
	v_cmp_gt_u32_e32 vcc, s33, v21
	v_mov_b32_e32 v20, 0
	s_and_saveexec_b64 s[2:3], vcc
	s_cbranch_execz .LBB3045_39
; %bb.38:
	v_lshlrev_b32_e32 v20, 2, v21
	v_readfirstlane_b32 s4, v8
	v_readfirstlane_b32 s5, v1
	s_nop 4
	global_load_dword v1, v20, s[4:5]
	s_waitcnt vmcnt(0)
	v_xor_b32_e32 v1, -1, v1
	v_and_b32_e32 v20, 1, v1
.LBB3045_39:
	s_or_b64 exec, exec, s[2:3]
	ds_write_b8 v0, v15
	ds_write_b8 v0, v14 offset:256
	ds_write_b8 v0, v17 offset:512
	;; [unrolled: 1-line block ×6, first 2 shown]
	s_waitcnt lgkmcnt(0)
	s_barrier
.LBB3045_40:
	s_movk_i32 s2, 0xffeb
	v_mad_i32_i24 v32, v0, s2, v9
	ds_read_u8 v1, v32
	ds_read_u8 v8, v32 offset:1
	ds_read_u8 v9, v32 offset:2
	;; [unrolled: 1-line block ×6, first 2 shown]
	s_waitcnt lgkmcnt(6)
	v_and_b32_e32 v30, 1, v1
	s_waitcnt lgkmcnt(5)
	v_and_b32_e32 v29, 1, v8
	;; [unrolled: 2-line block ×5, first 2 shown]
	v_add3_u32 v8, v29, v30, v28
	s_waitcnt lgkmcnt(1)
	v_and_b32_e32 v25, 1, v16
	s_waitcnt lgkmcnt(0)
	v_and_b32_e32 v1, 1, v17
	v_add3_u32 v8, v8, v27, v26
	v_add3_u32 v34, v8, v25, v1
	v_mbcnt_lo_u32_b32 v8, -1, 0
	v_mbcnt_hi_u32_b32 v31, -1, v8
	v_and_b32_e32 v8, 15, v31
	v_cmp_eq_u32_e64 s[14:15], 0, v8
	v_cmp_lt_u32_e64 s[12:13], 1, v8
	v_cmp_lt_u32_e64 s[10:11], 3, v8
	;; [unrolled: 1-line block ×3, first 2 shown]
	v_and_b32_e32 v8, 16, v31
	v_cmp_eq_u32_e64 s[6:7], 0, v8
	v_or_b32_e32 v8, 63, v0
	s_cmp_lg_u32 s38, 0
	v_cmp_lt_u32_e64 s[2:3], 31, v31
	v_lshrrev_b32_e32 v33, 6, v0
	v_cmp_eq_u32_e64 s[4:5], v8, v0
	s_barrier
	s_cbranch_scc0 .LBB3045_71
; %bb.41:
	v_mov_b32_dpp v8, v34 row_shr:1 row_mask:0xf bank_mask:0xf
	v_cndmask_b32_e64 v8, v8, 0, s[14:15]
	v_add_u32_e32 v8, v8, v34
	s_nop 1
	v_mov_b32_dpp v9, v8 row_shr:2 row_mask:0xf bank_mask:0xf
	v_cndmask_b32_e64 v9, 0, v9, s[12:13]
	v_add_u32_e32 v8, v8, v9
	s_nop 1
	;; [unrolled: 4-line block ×4, first 2 shown]
	v_mov_b32_dpp v9, v8 row_bcast:15 row_mask:0xf bank_mask:0xf
	v_cndmask_b32_e64 v9, v9, 0, s[6:7]
	v_add_u32_e32 v8, v8, v9
	s_nop 1
	v_mov_b32_dpp v9, v8 row_bcast:31 row_mask:0xf bank_mask:0xf
	v_cndmask_b32_e64 v9, 0, v9, s[2:3]
	v_add_u32_e32 v8, v8, v9
	s_and_saveexec_b64 s[16:17], s[4:5]
	s_cbranch_execz .LBB3045_43
; %bb.42:
	v_lshlrev_b32_e32 v9, 2, v33
	ds_write_b32 v9, v8
.LBB3045_43:
	s_or_b64 exec, exec, s[16:17]
	v_cmp_gt_u32_e32 vcc, 4, v0
	s_waitcnt lgkmcnt(0)
	s_barrier
	s_and_saveexec_b64 s[16:17], vcc
	s_cbranch_execz .LBB3045_45
; %bb.44:
	ds_read_b32 v9, v22
	v_and_b32_e32 v14, 3, v31
	v_cmp_ne_u32_e32 vcc, 0, v14
	s_waitcnt lgkmcnt(0)
	v_mov_b32_dpp v15, v9 row_shr:1 row_mask:0xf bank_mask:0xf
	v_cndmask_b32_e32 v15, 0, v15, vcc
	v_add_u32_e32 v9, v15, v9
	v_cmp_lt_u32_e32 vcc, 1, v14
	s_nop 0
	v_mov_b32_dpp v15, v9 row_shr:2 row_mask:0xf bank_mask:0xf
	v_cndmask_b32_e32 v14, 0, v15, vcc
	v_add_u32_e32 v9, v9, v14
	ds_write_b32 v22, v9
.LBB3045_45:
	s_or_b64 exec, exec, s[16:17]
	v_cmp_gt_u32_e32 vcc, 64, v0
	v_cmp_lt_u32_e64 s[16:17], 63, v0
	s_waitcnt lgkmcnt(0)
	s_barrier
	s_waitcnt lgkmcnt(0)
                                        ; implicit-def: $vgpr35
	s_and_saveexec_b64 s[30:31], s[16:17]
	s_cbranch_execz .LBB3045_47
; %bb.46:
	v_lshl_add_u32 v9, v33, 2, -4
	ds_read_b32 v35, v9
	s_waitcnt lgkmcnt(0)
	v_add_u32_e32 v8, v35, v8
.LBB3045_47:
	s_or_b64 exec, exec, s[30:31]
	v_add_u32_e32 v9, -1, v31
	v_and_b32_e32 v14, 64, v31
	v_cmp_lt_i32_e64 s[16:17], v9, v14
	v_cndmask_b32_e64 v9, v9, v31, s[16:17]
	v_lshlrev_b32_e32 v9, 2, v9
	ds_bpermute_b32 v36, v9, v8
	v_cmp_eq_u32_e64 s[16:17], 0, v31
	s_and_saveexec_b64 s[30:31], vcc
	s_cbranch_execz .LBB3045_70
; %bb.48:
	v_mov_b32_e32 v21, 0
	ds_read_b32 v8, v21 offset:12
	s_and_saveexec_b64 s[34:35], s[16:17]
	s_cbranch_execz .LBB3045_50
; %bb.49:
	s_add_i32 s36, s38, 64
	s_mov_b32 s37, 0
	s_lshl_b64 s[36:37], s[36:37], 3
	s_add_u32 s36, s28, s36
	v_mov_b32_e32 v9, 1
	s_addc_u32 s37, s29, s37
	s_waitcnt lgkmcnt(0)
	global_store_dwordx2 v21, v[8:9], s[36:37]
.LBB3045_50:
	s_or_b64 exec, exec, s[34:35]
	v_xad_u32 v14, v31, -1, s38
	v_add_u32_e32 v20, 64, v14
	v_lshlrev_b64 v[16:17], 3, v[20:21]
	v_mov_b32_e32 v9, s29
	v_add_co_u32_e32 v16, vcc, s28, v16
	v_addc_co_u32_e32 v17, vcc, v9, v17, vcc
	global_load_dwordx2 v[18:19], v[16:17], off glc
	s_waitcnt vmcnt(0)
	v_cmp_eq_u16_sdwa s[36:37], v19, v21 src0_sel:BYTE_0 src1_sel:DWORD
	s_and_saveexec_b64 s[34:35], s[36:37]
	s_cbranch_execz .LBB3045_56
; %bb.51:
	s_mov_b32 s39, 1
	s_mov_b64 s[36:37], 0
	v_mov_b32_e32 v9, 0
.LBB3045_52:                            ; =>This Loop Header: Depth=1
                                        ;     Child Loop BB3045_53 Depth 2
	s_max_u32 s40, s39, 1
.LBB3045_53:                            ;   Parent Loop BB3045_52 Depth=1
                                        ; =>  This Inner Loop Header: Depth=2
	s_add_i32 s40, s40, -1
	s_cmp_eq_u32 s40, 0
	s_sleep 1
	s_cbranch_scc0 .LBB3045_53
; %bb.54:                               ;   in Loop: Header=BB3045_52 Depth=1
	global_load_dwordx2 v[18:19], v[16:17], off glc
	s_cmp_lt_u32 s39, 32
	s_cselect_b64 s[40:41], -1, 0
	s_cmp_lg_u64 s[40:41], 0
	s_addc_u32 s39, s39, 0
	s_waitcnt vmcnt(0)
	v_cmp_ne_u16_sdwa s[40:41], v19, v9 src0_sel:BYTE_0 src1_sel:DWORD
	s_or_b64 s[36:37], s[40:41], s[36:37]
	s_andn2_b64 exec, exec, s[36:37]
	s_cbranch_execnz .LBB3045_52
; %bb.55:
	s_or_b64 exec, exec, s[36:37]
.LBB3045_56:
	s_or_b64 exec, exec, s[34:35]
	v_and_b32_e32 v38, 63, v31
	v_mov_b32_e32 v37, 2
	v_cmp_ne_u32_e32 vcc, 63, v38
	v_cmp_eq_u16_sdwa s[34:35], v19, v37 src0_sel:BYTE_0 src1_sel:DWORD
	v_lshlrev_b64 v[16:17], v31, -1
	v_addc_co_u32_e32 v20, vcc, 0, v31, vcc
	v_and_b32_e32 v9, s35, v17
	v_lshlrev_b32_e32 v39, 2, v20
	v_or_b32_e32 v9, 0x80000000, v9
	ds_bpermute_b32 v20, v39, v18
	v_and_b32_e32 v15, s34, v16
	v_ffbl_b32_e32 v9, v9
	v_add_u32_e32 v9, 32, v9
	v_ffbl_b32_e32 v15, v15
	v_min_u32_e32 v9, v15, v9
	v_cmp_lt_u32_e32 vcc, v38, v9
	s_waitcnt lgkmcnt(0)
	v_cndmask_b32_e32 v15, 0, v20, vcc
	v_cmp_gt_u32_e32 vcc, 62, v38
	v_add_u32_e32 v15, v15, v18
	v_cndmask_b32_e64 v18, 0, 1, vcc
	v_lshlrev_b32_e32 v18, 1, v18
	v_add_lshl_u32 v40, v18, v31, 2
	ds_bpermute_b32 v18, v40, v15
	v_add_u32_e32 v41, 2, v38
	v_cmp_le_u32_e32 vcc, v41, v9
	v_add_u32_e32 v43, 4, v38
	v_add_u32_e32 v45, 8, v38
	s_waitcnt lgkmcnt(0)
	v_cndmask_b32_e32 v18, 0, v18, vcc
	v_cmp_gt_u32_e32 vcc, 60, v38
	v_add_u32_e32 v15, v15, v18
	v_cndmask_b32_e64 v18, 0, 1, vcc
	v_lshlrev_b32_e32 v18, 2, v18
	v_add_lshl_u32 v42, v18, v31, 2
	ds_bpermute_b32 v18, v42, v15
	v_cmp_le_u32_e32 vcc, v43, v9
	v_add_u32_e32 v47, 16, v38
	v_add_u32_e32 v49, 32, v38
	s_waitcnt lgkmcnt(0)
	v_cndmask_b32_e32 v18, 0, v18, vcc
	v_cmp_gt_u32_e32 vcc, 56, v38
	v_add_u32_e32 v15, v15, v18
	v_cndmask_b32_e64 v18, 0, 1, vcc
	v_lshlrev_b32_e32 v18, 3, v18
	v_add_lshl_u32 v44, v18, v31, 2
	ds_bpermute_b32 v18, v44, v15
	v_cmp_le_u32_e32 vcc, v45, v9
	s_waitcnt lgkmcnt(0)
	v_cndmask_b32_e32 v18, 0, v18, vcc
	v_cmp_gt_u32_e32 vcc, 48, v38
	v_add_u32_e32 v15, v15, v18
	v_cndmask_b32_e64 v18, 0, 1, vcc
	v_lshlrev_b32_e32 v18, 4, v18
	v_add_lshl_u32 v46, v18, v31, 2
	ds_bpermute_b32 v18, v46, v15
	v_cmp_le_u32_e32 vcc, v47, v9
	;; [unrolled: 9-line block ×3, first 2 shown]
	s_waitcnt lgkmcnt(0)
	v_cndmask_b32_e32 v9, 0, v18, vcc
	v_add_u32_e32 v18, v15, v9
	v_mov_b32_e32 v15, 0
	s_branch .LBB3045_58
.LBB3045_57:                            ;   in Loop: Header=BB3045_58 Depth=1
	s_or_b64 exec, exec, s[34:35]
	v_cmp_eq_u16_sdwa s[34:35], v19, v37 src0_sel:BYTE_0 src1_sel:DWORD
	v_and_b32_e32 v20, s35, v17
	v_or_b32_e32 v20, 0x80000000, v20
	ds_bpermute_b32 v50, v39, v18
	v_and_b32_e32 v21, s34, v16
	v_ffbl_b32_e32 v20, v20
	v_add_u32_e32 v20, 32, v20
	v_ffbl_b32_e32 v21, v21
	v_min_u32_e32 v20, v21, v20
	v_cmp_lt_u32_e32 vcc, v38, v20
	s_waitcnt lgkmcnt(0)
	v_cndmask_b32_e32 v21, 0, v50, vcc
	v_add_u32_e32 v18, v21, v18
	ds_bpermute_b32 v21, v40, v18
	v_cmp_le_u32_e32 vcc, v41, v20
	v_subrev_u32_e32 v14, 64, v14
	s_waitcnt lgkmcnt(0)
	v_cndmask_b32_e32 v21, 0, v21, vcc
	v_add_u32_e32 v18, v18, v21
	ds_bpermute_b32 v21, v42, v18
	v_cmp_le_u32_e32 vcc, v43, v20
	s_waitcnt lgkmcnt(0)
	v_cndmask_b32_e32 v21, 0, v21, vcc
	v_add_u32_e32 v18, v18, v21
	ds_bpermute_b32 v21, v44, v18
	v_cmp_le_u32_e32 vcc, v45, v20
	;; [unrolled: 5-line block ×4, first 2 shown]
	s_waitcnt lgkmcnt(0)
	v_cndmask_b32_e32 v20, 0, v21, vcc
	v_add3_u32 v18, v20, v9, v18
.LBB3045_58:                            ; =>This Loop Header: Depth=1
                                        ;     Child Loop BB3045_61 Depth 2
                                        ;       Child Loop BB3045_62 Depth 3
	v_cmp_ne_u16_sdwa s[34:35], v19, v37 src0_sel:BYTE_0 src1_sel:DWORD
	v_cndmask_b32_e64 v9, 0, 1, s[34:35]
	;;#ASMSTART
	;;#ASMEND
	v_cmp_ne_u32_e32 vcc, 0, v9
	s_cmp_lg_u64 vcc, exec
	v_mov_b32_e32 v9, v18
	s_cbranch_scc1 .LBB3045_65
; %bb.59:                               ;   in Loop: Header=BB3045_58 Depth=1
	v_lshlrev_b64 v[18:19], 3, v[14:15]
	v_mov_b32_e32 v21, s29
	v_add_co_u32_e32 v20, vcc, s28, v18
	v_addc_co_u32_e32 v21, vcc, v21, v19, vcc
	global_load_dwordx2 v[18:19], v[20:21], off glc
	s_waitcnt vmcnt(0)
	v_cmp_eq_u16_sdwa s[36:37], v19, v15 src0_sel:BYTE_0 src1_sel:DWORD
	s_and_saveexec_b64 s[34:35], s[36:37]
	s_cbranch_execz .LBB3045_57
; %bb.60:                               ;   in Loop: Header=BB3045_58 Depth=1
	s_mov_b32 s39, 1
	s_mov_b64 s[36:37], 0
.LBB3045_61:                            ;   Parent Loop BB3045_58 Depth=1
                                        ; =>  This Loop Header: Depth=2
                                        ;       Child Loop BB3045_62 Depth 3
	s_max_u32 s40, s39, 1
.LBB3045_62:                            ;   Parent Loop BB3045_58 Depth=1
                                        ;     Parent Loop BB3045_61 Depth=2
                                        ; =>    This Inner Loop Header: Depth=3
	s_add_i32 s40, s40, -1
	s_cmp_eq_u32 s40, 0
	s_sleep 1
	s_cbranch_scc0 .LBB3045_62
; %bb.63:                               ;   in Loop: Header=BB3045_61 Depth=2
	global_load_dwordx2 v[18:19], v[20:21], off glc
	s_cmp_lt_u32 s39, 32
	s_cselect_b64 s[40:41], -1, 0
	s_cmp_lg_u64 s[40:41], 0
	s_addc_u32 s39, s39, 0
	s_waitcnt vmcnt(0)
	v_cmp_ne_u16_sdwa s[40:41], v19, v15 src0_sel:BYTE_0 src1_sel:DWORD
	s_or_b64 s[36:37], s[40:41], s[36:37]
	s_andn2_b64 exec, exec, s[36:37]
	s_cbranch_execnz .LBB3045_61
; %bb.64:                               ;   in Loop: Header=BB3045_58 Depth=1
	s_or_b64 exec, exec, s[36:37]
	s_branch .LBB3045_57
.LBB3045_65:                            ;   in Loop: Header=BB3045_58 Depth=1
                                        ; implicit-def: $vgpr18
                                        ; implicit-def: $vgpr19
	s_cbranch_execz .LBB3045_58
; %bb.66:
	s_and_saveexec_b64 s[34:35], s[16:17]
	s_cbranch_execz .LBB3045_68
; %bb.67:
	s_add_i32 s36, s38, 64
	s_mov_b32 s37, 0
	s_lshl_b64 s[36:37], s[36:37], 3
	s_add_u32 s36, s28, s36
	v_add_u32_e32 v14, v9, v8
	v_mov_b32_e32 v15, 2
	s_addc_u32 s37, s29, s37
	v_mov_b32_e32 v16, 0
	global_store_dwordx2 v16, v[14:15], s[36:37]
	ds_write_b64 v16, v[8:9] offset:7168
.LBB3045_68:
	s_or_b64 exec, exec, s[34:35]
	s_and_b64 exec, exec, s[0:1]
	s_cbranch_execz .LBB3045_70
; %bb.69:
	v_mov_b32_e32 v8, 0
	ds_write_b32 v8, v9 offset:12
.LBB3045_70:
	s_or_b64 exec, exec, s[30:31]
	v_mov_b32_e32 v8, 0
	s_waitcnt lgkmcnt(0)
	s_barrier
	ds_read_b32 v9, v8 offset:12
	v_cndmask_b32_e64 v14, v36, v35, s[16:17]
	v_cndmask_b32_e64 v14, v14, 0, s[0:1]
	s_waitcnt lgkmcnt(0)
	s_barrier
	v_add_u32_e32 v20, v9, v14
	v_add_u32_e32 v19, v20, v30
	v_add_u32_e32 v18, v19, v29
	ds_read_b64 v[8:9], v8 offset:7168
	v_add_u32_e32 v16, v18, v28
	v_add_u32_e32 v17, v16, v27
	;; [unrolled: 1-line block ×4, first 2 shown]
	s_branch .LBB3045_81
.LBB3045_71:
                                        ; implicit-def: $vgpr9
                                        ; implicit-def: $vgpr14
                                        ; implicit-def: $vgpr15
                                        ; implicit-def: $vgpr17
                                        ; implicit-def: $vgpr16
                                        ; implicit-def: $vgpr18
                                        ; implicit-def: $vgpr19
                                        ; implicit-def: $vgpr20
	s_cbranch_execz .LBB3045_81
; %bb.72:
	s_waitcnt lgkmcnt(0)
	v_mov_b32_dpp v8, v34 row_shr:1 row_mask:0xf bank_mask:0xf
	v_cndmask_b32_e64 v8, v8, 0, s[14:15]
	v_add_u32_e32 v8, v8, v34
	s_nop 1
	v_mov_b32_dpp v9, v8 row_shr:2 row_mask:0xf bank_mask:0xf
	v_cndmask_b32_e64 v9, 0, v9, s[12:13]
	v_add_u32_e32 v8, v8, v9
	s_nop 1
	;; [unrolled: 4-line block ×4, first 2 shown]
	v_mov_b32_dpp v9, v8 row_bcast:15 row_mask:0xf bank_mask:0xf
	v_cndmask_b32_e64 v9, v9, 0, s[6:7]
	v_add_u32_e32 v8, v8, v9
	s_nop 1
	v_mov_b32_dpp v9, v8 row_bcast:31 row_mask:0xf bank_mask:0xf
	v_cndmask_b32_e64 v9, 0, v9, s[2:3]
	v_add_u32_e32 v8, v8, v9
	s_and_saveexec_b64 s[2:3], s[4:5]
	s_cbranch_execz .LBB3045_74
; %bb.73:
	v_lshlrev_b32_e32 v9, 2, v33
	ds_write_b32 v9, v8
.LBB3045_74:
	s_or_b64 exec, exec, s[2:3]
	v_cmp_gt_u32_e32 vcc, 4, v0
	s_waitcnt lgkmcnt(0)
	s_barrier
	s_and_saveexec_b64 s[2:3], vcc
	s_cbranch_execz .LBB3045_76
; %bb.75:
	v_mad_i32_i24 v9, v0, -3, v32
	ds_read_b32 v14, v9
	v_and_b32_e32 v15, 3, v31
	v_cmp_ne_u32_e32 vcc, 0, v15
	s_waitcnt lgkmcnt(0)
	v_mov_b32_dpp v16, v14 row_shr:1 row_mask:0xf bank_mask:0xf
	v_cndmask_b32_e32 v16, 0, v16, vcc
	v_add_u32_e32 v14, v16, v14
	v_cmp_lt_u32_e32 vcc, 1, v15
	s_nop 0
	v_mov_b32_dpp v16, v14 row_shr:2 row_mask:0xf bank_mask:0xf
	v_cndmask_b32_e32 v15, 0, v16, vcc
	v_add_u32_e32 v14, v14, v15
	ds_write_b32 v9, v14
.LBB3045_76:
	s_or_b64 exec, exec, s[2:3]
	v_cmp_lt_u32_e32 vcc, 63, v0
	v_mov_b32_e32 v9, 0
	v_mov_b32_e32 v14, 0
	s_waitcnt lgkmcnt(0)
	s_barrier
	s_and_saveexec_b64 s[2:3], vcc
	s_cbranch_execz .LBB3045_78
; %bb.77:
	v_lshl_add_u32 v14, v33, 2, -4
	ds_read_b32 v14, v14
.LBB3045_78:
	s_or_b64 exec, exec, s[2:3]
	v_add_u32_e32 v15, -1, v31
	v_and_b32_e32 v16, 64, v31
	v_cmp_lt_i32_e32 vcc, v15, v16
	v_cndmask_b32_e32 v15, v15, v31, vcc
	s_waitcnt lgkmcnt(0)
	v_add_u32_e32 v8, v14, v8
	v_lshlrev_b32_e32 v15, 2, v15
	ds_bpermute_b32 v15, v15, v8
	ds_read_b32 v8, v9 offset:12
	s_and_saveexec_b64 s[2:3], s[0:1]
	s_cbranch_execz .LBB3045_80
; %bb.79:
	v_mov_b32_e32 v16, 0
	v_mov_b32_e32 v9, 2
	s_waitcnt lgkmcnt(0)
	global_store_dwordx2 v16, v[8:9], s[28:29] offset:512
.LBB3045_80:
	s_or_b64 exec, exec, s[2:3]
	v_cmp_eq_u32_e32 vcc, 0, v31
	s_waitcnt lgkmcnt(1)
	v_cndmask_b32_e32 v14, v15, v14, vcc
	v_cndmask_b32_e64 v20, v14, 0, s[0:1]
	v_add_u32_e32 v19, v20, v30
	v_add_u32_e32 v18, v19, v29
	;; [unrolled: 1-line block ×5, first 2 shown]
	v_mov_b32_e32 v9, 0
	v_add_u32_e32 v14, v15, v25
	s_waitcnt lgkmcnt(0)
	s_barrier
.LBB3045_81:
	s_waitcnt lgkmcnt(0)
	v_add_u32_e32 v21, v8, v24
	v_sub_u32_e32 v20, v20, v9
	v_sub_u32_e32 v24, v21, v20
	v_cmp_eq_u32_e32 vcc, 1, v30
	v_cndmask_b32_e32 v20, v24, v20, vcc
	v_lshlrev_b32_e32 v20, 2, v20
	ds_write_b32 v20, v6
	v_sub_u32_e32 v6, v19, v9
	v_sub_u32_e32 v19, v21, v6
	v_add_u32_e32 v19, 1, v19
	v_cmp_eq_u32_e32 vcc, 1, v29
	v_cndmask_b32_e32 v6, v19, v6, vcc
	v_lshlrev_b32_e32 v6, 2, v6
	ds_write_b32 v6, v7
	v_sub_u32_e32 v6, v18, v9
	v_sub_u32_e32 v7, v21, v6
	v_add_u32_e32 v7, 2, v7
	;; [unrolled: 7-line block ×6, first 2 shown]
	v_cmp_eq_u32_e32 vcc, 1, v1
	v_cndmask_b32_e32 v1, v3, v2, vcc
	v_lshlrev_b32_e32 v1, 2, v1
	ds_write_b32 v1, v23
	s_waitcnt vmcnt(0)
	v_add_co_u32_e32 v1, vcc, v10, v8
	v_addc_co_u32_e32 v3, vcc, 0, v11, vcc
	v_add_co_u32_e32 v2, vcc, v1, v9
	v_addc_co_u32_e32 v3, vcc, 0, v3, vcc
	v_mov_b32_e32 v1, s19
	v_sub_co_u32_e32 v10, vcc, s18, v2
	v_subb_co_u32_e32 v11, vcc, v1, v3, vcc
	v_lshlrev_b64 v[10:11], 2, v[10:11]
	s_waitcnt lgkmcnt(0)
	s_barrier
	ds_read2st64_b32 v[16:17], v22 offset1:4
	ds_read2st64_b32 v[14:15], v22 offset0:8 offset1:12
	ds_read2st64_b32 v[4:5], v22 offset0:16 offset1:20
	ds_read_b32 v7, v22 offset:6144
	v_mov_b32_e32 v1, s25
	v_add_co_u32_e32 v6, vcc, s24, v10
	v_addc_co_u32_e32 v1, vcc, v1, v11, vcc
	v_add_co_u32_e32 v6, vcc, v6, v12
	v_addc_co_u32_e32 v1, vcc, v1, v13, vcc
	v_or_b32_e32 v24, 0x100, v0
	v_or_b32_e32 v23, 0x200, v0
	v_or_b32_e32 v21, 0x300, v0
	v_or_b32_e32 v20, 0x400, v0
	v_or_b32_e32 v19, 0x500, v0
	v_or_b32_e32 v18, 0x600, v0
	s_andn2_b64 vcc, exec, s[26:27]
	v_cmp_le_u32_e64 s[2:3], v8, v0
	s_cbranch_vccnz .LBB3045_90
; %bb.82:
	s_and_saveexec_b64 s[4:5], s[2:3]
	s_cbranch_execnz .LBB3045_109
; %bb.83:
	s_or_b64 exec, exec, s[4:5]
	v_cmp_ge_u32_e32 vcc, v24, v8
	s_and_saveexec_b64 s[2:3], vcc
	s_cbranch_execnz .LBB3045_110
.LBB3045_84:
	s_or_b64 exec, exec, s[2:3]
	v_cmp_ge_u32_e32 vcc, v23, v8
	s_and_saveexec_b64 s[2:3], vcc
	s_cbranch_execnz .LBB3045_111
.LBB3045_85:
	s_or_b64 exec, exec, s[2:3]
	v_cmp_ge_u32_e32 vcc, v21, v8
	s_and_saveexec_b64 s[2:3], vcc
	s_cbranch_execnz .LBB3045_112
.LBB3045_86:
	s_or_b64 exec, exec, s[2:3]
	v_cmp_ge_u32_e32 vcc, v20, v8
	s_and_saveexec_b64 s[2:3], vcc
	s_cbranch_execnz .LBB3045_113
.LBB3045_87:
	s_or_b64 exec, exec, s[2:3]
	v_cmp_ge_u32_e32 vcc, v19, v8
	s_and_saveexec_b64 s[2:3], vcc
	s_cbranch_execz .LBB3045_89
.LBB3045_88:
	v_lshlrev_b32_e32 v9, 2, v19
	v_readfirstlane_b32 s4, v6
	v_readfirstlane_b32 s5, v1
	s_waitcnt lgkmcnt(1)
	s_nop 3
	global_store_dword v9, v5, s[4:5]
.LBB3045_89:
	s_or_b64 exec, exec, s[2:3]
	v_cmp_ge_u32_e64 s[2:3], v18, v8
	s_branch .LBB3045_104
.LBB3045_90:
	s_mov_b64 s[2:3], 0
	s_cbranch_execz .LBB3045_104
; %bb.91:
	v_cmp_gt_u32_e32 vcc, s33, v0
	v_cmp_le_u32_e64 s[2:3], v8, v0
	s_and_b64 s[4:5], vcc, s[2:3]
	s_and_saveexec_b64 s[2:3], s[4:5]
	s_cbranch_execz .LBB3045_93
; %bb.92:
	v_readfirstlane_b32 s4, v6
	v_readfirstlane_b32 s5, v1
	s_waitcnt lgkmcnt(3)
	s_nop 3
	global_store_dword v22, v16, s[4:5]
.LBB3045_93:
	s_or_b64 exec, exec, s[2:3]
	v_cmp_gt_u32_e32 vcc, s33, v24
	v_cmp_ge_u32_e64 s[2:3], v24, v8
	s_and_b64 s[4:5], vcc, s[2:3]
	s_and_saveexec_b64 s[2:3], s[4:5]
	s_cbranch_execz .LBB3045_95
; %bb.94:
	v_readfirstlane_b32 s4, v6
	v_readfirstlane_b32 s5, v1
	s_waitcnt lgkmcnt(3)
	s_nop 3
	global_store_dword v22, v17, s[4:5] offset:1024
.LBB3045_95:
	s_or_b64 exec, exec, s[2:3]
	v_cmp_gt_u32_e32 vcc, s33, v23
	v_cmp_ge_u32_e64 s[2:3], v23, v8
	s_and_b64 s[4:5], vcc, s[2:3]
	s_and_saveexec_b64 s[2:3], s[4:5]
	s_cbranch_execz .LBB3045_97
; %bb.96:
	v_readfirstlane_b32 s4, v6
	v_readfirstlane_b32 s5, v1
	s_waitcnt lgkmcnt(2)
	s_nop 3
	global_store_dword v22, v14, s[4:5] offset:2048
.LBB3045_97:
	;; [unrolled: 13-line block ×3, first 2 shown]
	s_or_b64 exec, exec, s[2:3]
	v_cmp_gt_u32_e32 vcc, s33, v20
	v_cmp_ge_u32_e64 s[2:3], v20, v8
	s_and_b64 s[4:5], vcc, s[2:3]
	s_and_saveexec_b64 s[2:3], s[4:5]
	s_cbranch_execz .LBB3045_101
; %bb.100:
	v_lshlrev_b32_e32 v0, 2, v20
	v_readfirstlane_b32 s4, v6
	v_readfirstlane_b32 s5, v1
	s_waitcnt lgkmcnt(1)
	s_nop 3
	global_store_dword v0, v4, s[4:5]
.LBB3045_101:
	s_or_b64 exec, exec, s[2:3]
	v_cmp_gt_u32_e32 vcc, s33, v19
	v_cmp_ge_u32_e64 s[2:3], v19, v8
	s_and_b64 s[4:5], vcc, s[2:3]
	s_and_saveexec_b64 s[2:3], s[4:5]
	s_cbranch_execz .LBB3045_103
; %bb.102:
	v_lshlrev_b32_e32 v0, 2, v19
	v_readfirstlane_b32 s4, v6
	v_readfirstlane_b32 s5, v1
	s_waitcnt lgkmcnt(1)
	s_nop 3
	global_store_dword v0, v5, s[4:5]
.LBB3045_103:
	s_or_b64 exec, exec, s[2:3]
	v_cmp_gt_u32_e32 vcc, s33, v18
	v_cmp_ge_u32_e64 s[2:3], v18, v8
	s_and_b64 s[2:3], vcc, s[2:3]
.LBB3045_104:
	s_and_saveexec_b64 s[4:5], s[2:3]
	s_cbranch_execnz .LBB3045_107
; %bb.105:
	s_or_b64 exec, exec, s[4:5]
	s_and_b64 s[0:1], s[0:1], s[22:23]
	s_and_saveexec_b64 s[2:3], s[0:1]
	s_cbranch_execnz .LBB3045_108
.LBB3045_106:
	s_endpgm
.LBB3045_107:
	v_lshlrev_b32_e32 v0, 2, v18
	v_readfirstlane_b32 s2, v6
	v_readfirstlane_b32 s3, v1
	s_waitcnt lgkmcnt(0)
	s_nop 3
	global_store_dword v0, v7, s[2:3]
	s_or_b64 exec, exec, s[4:5]
	s_and_b64 s[0:1], s[0:1], s[22:23]
	s_and_saveexec_b64 s[2:3], s[0:1]
	s_cbranch_execz .LBB3045_106
.LBB3045_108:
	v_mov_b32_e32 v0, 0
	global_store_dwordx2 v0, v[2:3], s[20:21]
	s_endpgm
.LBB3045_109:
	v_readfirstlane_b32 s2, v6
	v_readfirstlane_b32 s3, v1
	s_waitcnt lgkmcnt(3)
	s_nop 3
	global_store_dword v22, v16, s[2:3]
	s_or_b64 exec, exec, s[4:5]
	v_cmp_ge_u32_e32 vcc, v24, v8
	s_and_saveexec_b64 s[2:3], vcc
	s_cbranch_execz .LBB3045_84
.LBB3045_110:
	v_readfirstlane_b32 s4, v6
	v_readfirstlane_b32 s5, v1
	s_waitcnt lgkmcnt(3)
	s_nop 3
	global_store_dword v22, v17, s[4:5] offset:1024
	s_or_b64 exec, exec, s[2:3]
	v_cmp_ge_u32_e32 vcc, v23, v8
	s_and_saveexec_b64 s[2:3], vcc
	s_cbranch_execz .LBB3045_85
.LBB3045_111:
	v_readfirstlane_b32 s4, v6
	v_readfirstlane_b32 s5, v1
	s_waitcnt lgkmcnt(2)
	s_nop 3
	global_store_dword v22, v14, s[4:5] offset:2048
	s_or_b64 exec, exec, s[2:3]
	v_cmp_ge_u32_e32 vcc, v21, v8
	s_and_saveexec_b64 s[2:3], vcc
	s_cbranch_execz .LBB3045_86
.LBB3045_112:
	v_readfirstlane_b32 s4, v6
	v_readfirstlane_b32 s5, v1
	s_waitcnt lgkmcnt(2)
	s_nop 3
	global_store_dword v22, v15, s[4:5] offset:3072
	s_or_b64 exec, exec, s[2:3]
	v_cmp_ge_u32_e32 vcc, v20, v8
	s_and_saveexec_b64 s[2:3], vcc
	s_cbranch_execz .LBB3045_87
.LBB3045_113:
	v_lshlrev_b32_e32 v9, 2, v20
	v_readfirstlane_b32 s4, v6
	v_readfirstlane_b32 s5, v1
	s_waitcnt lgkmcnt(1)
	s_nop 3
	global_store_dword v9, v4, s[4:5]
	s_or_b64 exec, exec, s[2:3]
	v_cmp_ge_u32_e32 vcc, v19, v8
	s_and_saveexec_b64 s[2:3], vcc
	s_cbranch_execnz .LBB3045_88
	s_branch .LBB3045_89
	.section	.rodata,"a",@progbits
	.p2align	6, 0x0
	.amdhsa_kernel _ZN7rocprim17ROCPRIM_400000_NS6detail17trampoline_kernelINS0_14default_configENS1_25partition_config_selectorILNS1_17partition_subalgoE1EjNS0_10empty_typeEbEEZZNS1_14partition_implILS5_1ELb0ES3_jN6thrust23THRUST_200600_302600_NS6detail15normal_iteratorINSA_10device_ptrIjEEEEPS6_NSA_18transform_iteratorI7is_evenIjESF_NSA_11use_defaultESK_EENS0_5tupleIJNSA_16discard_iteratorISK_EESF_EEENSM_IJSG_SG_EEES6_PlJS6_EEE10hipError_tPvRmT3_T4_T5_T6_T7_T9_mT8_P12ihipStream_tbDpT10_ENKUlT_T0_E_clISt17integral_constantIbLb1EES1B_EEDaS16_S17_EUlS16_E_NS1_11comp_targetILNS1_3genE4ELNS1_11target_archE910ELNS1_3gpuE8ELNS1_3repE0EEENS1_30default_config_static_selectorELNS0_4arch9wavefront6targetE1EEEvT1_
		.amdhsa_group_segment_fixed_size 7176
		.amdhsa_private_segment_fixed_size 0
		.amdhsa_kernarg_size 152
		.amdhsa_user_sgpr_count 6
		.amdhsa_user_sgpr_private_segment_buffer 1
		.amdhsa_user_sgpr_dispatch_ptr 0
		.amdhsa_user_sgpr_queue_ptr 0
		.amdhsa_user_sgpr_kernarg_segment_ptr 1
		.amdhsa_user_sgpr_dispatch_id 0
		.amdhsa_user_sgpr_flat_scratch_init 0
		.amdhsa_user_sgpr_kernarg_preload_length 0
		.amdhsa_user_sgpr_kernarg_preload_offset 0
		.amdhsa_user_sgpr_private_segment_size 0
		.amdhsa_uses_dynamic_stack 0
		.amdhsa_system_sgpr_private_segment_wavefront_offset 0
		.amdhsa_system_sgpr_workgroup_id_x 1
		.amdhsa_system_sgpr_workgroup_id_y 0
		.amdhsa_system_sgpr_workgroup_id_z 0
		.amdhsa_system_sgpr_workgroup_info 0
		.amdhsa_system_vgpr_workitem_id 0
		.amdhsa_next_free_vgpr 51
		.amdhsa_next_free_sgpr 42
		.amdhsa_accum_offset 52
		.amdhsa_reserve_vcc 1
		.amdhsa_reserve_flat_scratch 0
		.amdhsa_float_round_mode_32 0
		.amdhsa_float_round_mode_16_64 0
		.amdhsa_float_denorm_mode_32 3
		.amdhsa_float_denorm_mode_16_64 3
		.amdhsa_dx10_clamp 1
		.amdhsa_ieee_mode 1
		.amdhsa_fp16_overflow 0
		.amdhsa_tg_split 0
		.amdhsa_exception_fp_ieee_invalid_op 0
		.amdhsa_exception_fp_denorm_src 0
		.amdhsa_exception_fp_ieee_div_zero 0
		.amdhsa_exception_fp_ieee_overflow 0
		.amdhsa_exception_fp_ieee_underflow 0
		.amdhsa_exception_fp_ieee_inexact 0
		.amdhsa_exception_int_div_zero 0
	.end_amdhsa_kernel
	.section	.text._ZN7rocprim17ROCPRIM_400000_NS6detail17trampoline_kernelINS0_14default_configENS1_25partition_config_selectorILNS1_17partition_subalgoE1EjNS0_10empty_typeEbEEZZNS1_14partition_implILS5_1ELb0ES3_jN6thrust23THRUST_200600_302600_NS6detail15normal_iteratorINSA_10device_ptrIjEEEEPS6_NSA_18transform_iteratorI7is_evenIjESF_NSA_11use_defaultESK_EENS0_5tupleIJNSA_16discard_iteratorISK_EESF_EEENSM_IJSG_SG_EEES6_PlJS6_EEE10hipError_tPvRmT3_T4_T5_T6_T7_T9_mT8_P12ihipStream_tbDpT10_ENKUlT_T0_E_clISt17integral_constantIbLb1EES1B_EEDaS16_S17_EUlS16_E_NS1_11comp_targetILNS1_3genE4ELNS1_11target_archE910ELNS1_3gpuE8ELNS1_3repE0EEENS1_30default_config_static_selectorELNS0_4arch9wavefront6targetE1EEEvT1_,"axG",@progbits,_ZN7rocprim17ROCPRIM_400000_NS6detail17trampoline_kernelINS0_14default_configENS1_25partition_config_selectorILNS1_17partition_subalgoE1EjNS0_10empty_typeEbEEZZNS1_14partition_implILS5_1ELb0ES3_jN6thrust23THRUST_200600_302600_NS6detail15normal_iteratorINSA_10device_ptrIjEEEEPS6_NSA_18transform_iteratorI7is_evenIjESF_NSA_11use_defaultESK_EENS0_5tupleIJNSA_16discard_iteratorISK_EESF_EEENSM_IJSG_SG_EEES6_PlJS6_EEE10hipError_tPvRmT3_T4_T5_T6_T7_T9_mT8_P12ihipStream_tbDpT10_ENKUlT_T0_E_clISt17integral_constantIbLb1EES1B_EEDaS16_S17_EUlS16_E_NS1_11comp_targetILNS1_3genE4ELNS1_11target_archE910ELNS1_3gpuE8ELNS1_3repE0EEENS1_30default_config_static_selectorELNS0_4arch9wavefront6targetE1EEEvT1_,comdat
.Lfunc_end3045:
	.size	_ZN7rocprim17ROCPRIM_400000_NS6detail17trampoline_kernelINS0_14default_configENS1_25partition_config_selectorILNS1_17partition_subalgoE1EjNS0_10empty_typeEbEEZZNS1_14partition_implILS5_1ELb0ES3_jN6thrust23THRUST_200600_302600_NS6detail15normal_iteratorINSA_10device_ptrIjEEEEPS6_NSA_18transform_iteratorI7is_evenIjESF_NSA_11use_defaultESK_EENS0_5tupleIJNSA_16discard_iteratorISK_EESF_EEENSM_IJSG_SG_EEES6_PlJS6_EEE10hipError_tPvRmT3_T4_T5_T6_T7_T9_mT8_P12ihipStream_tbDpT10_ENKUlT_T0_E_clISt17integral_constantIbLb1EES1B_EEDaS16_S17_EUlS16_E_NS1_11comp_targetILNS1_3genE4ELNS1_11target_archE910ELNS1_3gpuE8ELNS1_3repE0EEENS1_30default_config_static_selectorELNS0_4arch9wavefront6targetE1EEEvT1_, .Lfunc_end3045-_ZN7rocprim17ROCPRIM_400000_NS6detail17trampoline_kernelINS0_14default_configENS1_25partition_config_selectorILNS1_17partition_subalgoE1EjNS0_10empty_typeEbEEZZNS1_14partition_implILS5_1ELb0ES3_jN6thrust23THRUST_200600_302600_NS6detail15normal_iteratorINSA_10device_ptrIjEEEEPS6_NSA_18transform_iteratorI7is_evenIjESF_NSA_11use_defaultESK_EENS0_5tupleIJNSA_16discard_iteratorISK_EESF_EEENSM_IJSG_SG_EEES6_PlJS6_EEE10hipError_tPvRmT3_T4_T5_T6_T7_T9_mT8_P12ihipStream_tbDpT10_ENKUlT_T0_E_clISt17integral_constantIbLb1EES1B_EEDaS16_S17_EUlS16_E_NS1_11comp_targetILNS1_3genE4ELNS1_11target_archE910ELNS1_3gpuE8ELNS1_3repE0EEENS1_30default_config_static_selectorELNS0_4arch9wavefront6targetE1EEEvT1_
                                        ; -- End function
	.section	.AMDGPU.csdata,"",@progbits
; Kernel info:
; codeLenInByte = 4944
; NumSgprs: 46
; NumVgprs: 51
; NumAgprs: 0
; TotalNumVgprs: 51
; ScratchSize: 0
; MemoryBound: 0
; FloatMode: 240
; IeeeMode: 1
; LDSByteSize: 7176 bytes/workgroup (compile time only)
; SGPRBlocks: 5
; VGPRBlocks: 6
; NumSGPRsForWavesPerEU: 46
; NumVGPRsForWavesPerEU: 51
; AccumOffset: 52
; Occupancy: 8
; WaveLimiterHint : 1
; COMPUTE_PGM_RSRC2:SCRATCH_EN: 0
; COMPUTE_PGM_RSRC2:USER_SGPR: 6
; COMPUTE_PGM_RSRC2:TRAP_HANDLER: 0
; COMPUTE_PGM_RSRC2:TGID_X_EN: 1
; COMPUTE_PGM_RSRC2:TGID_Y_EN: 0
; COMPUTE_PGM_RSRC2:TGID_Z_EN: 0
; COMPUTE_PGM_RSRC2:TIDIG_COMP_CNT: 0
; COMPUTE_PGM_RSRC3_GFX90A:ACCUM_OFFSET: 12
; COMPUTE_PGM_RSRC3_GFX90A:TG_SPLIT: 0
	.section	.text._ZN7rocprim17ROCPRIM_400000_NS6detail17trampoline_kernelINS0_14default_configENS1_25partition_config_selectorILNS1_17partition_subalgoE1EjNS0_10empty_typeEbEEZZNS1_14partition_implILS5_1ELb0ES3_jN6thrust23THRUST_200600_302600_NS6detail15normal_iteratorINSA_10device_ptrIjEEEEPS6_NSA_18transform_iteratorI7is_evenIjESF_NSA_11use_defaultESK_EENS0_5tupleIJNSA_16discard_iteratorISK_EESF_EEENSM_IJSG_SG_EEES6_PlJS6_EEE10hipError_tPvRmT3_T4_T5_T6_T7_T9_mT8_P12ihipStream_tbDpT10_ENKUlT_T0_E_clISt17integral_constantIbLb1EES1B_EEDaS16_S17_EUlS16_E_NS1_11comp_targetILNS1_3genE3ELNS1_11target_archE908ELNS1_3gpuE7ELNS1_3repE0EEENS1_30default_config_static_selectorELNS0_4arch9wavefront6targetE1EEEvT1_,"axG",@progbits,_ZN7rocprim17ROCPRIM_400000_NS6detail17trampoline_kernelINS0_14default_configENS1_25partition_config_selectorILNS1_17partition_subalgoE1EjNS0_10empty_typeEbEEZZNS1_14partition_implILS5_1ELb0ES3_jN6thrust23THRUST_200600_302600_NS6detail15normal_iteratorINSA_10device_ptrIjEEEEPS6_NSA_18transform_iteratorI7is_evenIjESF_NSA_11use_defaultESK_EENS0_5tupleIJNSA_16discard_iteratorISK_EESF_EEENSM_IJSG_SG_EEES6_PlJS6_EEE10hipError_tPvRmT3_T4_T5_T6_T7_T9_mT8_P12ihipStream_tbDpT10_ENKUlT_T0_E_clISt17integral_constantIbLb1EES1B_EEDaS16_S17_EUlS16_E_NS1_11comp_targetILNS1_3genE3ELNS1_11target_archE908ELNS1_3gpuE7ELNS1_3repE0EEENS1_30default_config_static_selectorELNS0_4arch9wavefront6targetE1EEEvT1_,comdat
	.protected	_ZN7rocprim17ROCPRIM_400000_NS6detail17trampoline_kernelINS0_14default_configENS1_25partition_config_selectorILNS1_17partition_subalgoE1EjNS0_10empty_typeEbEEZZNS1_14partition_implILS5_1ELb0ES3_jN6thrust23THRUST_200600_302600_NS6detail15normal_iteratorINSA_10device_ptrIjEEEEPS6_NSA_18transform_iteratorI7is_evenIjESF_NSA_11use_defaultESK_EENS0_5tupleIJNSA_16discard_iteratorISK_EESF_EEENSM_IJSG_SG_EEES6_PlJS6_EEE10hipError_tPvRmT3_T4_T5_T6_T7_T9_mT8_P12ihipStream_tbDpT10_ENKUlT_T0_E_clISt17integral_constantIbLb1EES1B_EEDaS16_S17_EUlS16_E_NS1_11comp_targetILNS1_3genE3ELNS1_11target_archE908ELNS1_3gpuE7ELNS1_3repE0EEENS1_30default_config_static_selectorELNS0_4arch9wavefront6targetE1EEEvT1_ ; -- Begin function _ZN7rocprim17ROCPRIM_400000_NS6detail17trampoline_kernelINS0_14default_configENS1_25partition_config_selectorILNS1_17partition_subalgoE1EjNS0_10empty_typeEbEEZZNS1_14partition_implILS5_1ELb0ES3_jN6thrust23THRUST_200600_302600_NS6detail15normal_iteratorINSA_10device_ptrIjEEEEPS6_NSA_18transform_iteratorI7is_evenIjESF_NSA_11use_defaultESK_EENS0_5tupleIJNSA_16discard_iteratorISK_EESF_EEENSM_IJSG_SG_EEES6_PlJS6_EEE10hipError_tPvRmT3_T4_T5_T6_T7_T9_mT8_P12ihipStream_tbDpT10_ENKUlT_T0_E_clISt17integral_constantIbLb1EES1B_EEDaS16_S17_EUlS16_E_NS1_11comp_targetILNS1_3genE3ELNS1_11target_archE908ELNS1_3gpuE7ELNS1_3repE0EEENS1_30default_config_static_selectorELNS0_4arch9wavefront6targetE1EEEvT1_
	.globl	_ZN7rocprim17ROCPRIM_400000_NS6detail17trampoline_kernelINS0_14default_configENS1_25partition_config_selectorILNS1_17partition_subalgoE1EjNS0_10empty_typeEbEEZZNS1_14partition_implILS5_1ELb0ES3_jN6thrust23THRUST_200600_302600_NS6detail15normal_iteratorINSA_10device_ptrIjEEEEPS6_NSA_18transform_iteratorI7is_evenIjESF_NSA_11use_defaultESK_EENS0_5tupleIJNSA_16discard_iteratorISK_EESF_EEENSM_IJSG_SG_EEES6_PlJS6_EEE10hipError_tPvRmT3_T4_T5_T6_T7_T9_mT8_P12ihipStream_tbDpT10_ENKUlT_T0_E_clISt17integral_constantIbLb1EES1B_EEDaS16_S17_EUlS16_E_NS1_11comp_targetILNS1_3genE3ELNS1_11target_archE908ELNS1_3gpuE7ELNS1_3repE0EEENS1_30default_config_static_selectorELNS0_4arch9wavefront6targetE1EEEvT1_
	.p2align	8
	.type	_ZN7rocprim17ROCPRIM_400000_NS6detail17trampoline_kernelINS0_14default_configENS1_25partition_config_selectorILNS1_17partition_subalgoE1EjNS0_10empty_typeEbEEZZNS1_14partition_implILS5_1ELb0ES3_jN6thrust23THRUST_200600_302600_NS6detail15normal_iteratorINSA_10device_ptrIjEEEEPS6_NSA_18transform_iteratorI7is_evenIjESF_NSA_11use_defaultESK_EENS0_5tupleIJNSA_16discard_iteratorISK_EESF_EEENSM_IJSG_SG_EEES6_PlJS6_EEE10hipError_tPvRmT3_T4_T5_T6_T7_T9_mT8_P12ihipStream_tbDpT10_ENKUlT_T0_E_clISt17integral_constantIbLb1EES1B_EEDaS16_S17_EUlS16_E_NS1_11comp_targetILNS1_3genE3ELNS1_11target_archE908ELNS1_3gpuE7ELNS1_3repE0EEENS1_30default_config_static_selectorELNS0_4arch9wavefront6targetE1EEEvT1_,@function
_ZN7rocprim17ROCPRIM_400000_NS6detail17trampoline_kernelINS0_14default_configENS1_25partition_config_selectorILNS1_17partition_subalgoE1EjNS0_10empty_typeEbEEZZNS1_14partition_implILS5_1ELb0ES3_jN6thrust23THRUST_200600_302600_NS6detail15normal_iteratorINSA_10device_ptrIjEEEEPS6_NSA_18transform_iteratorI7is_evenIjESF_NSA_11use_defaultESK_EENS0_5tupleIJNSA_16discard_iteratorISK_EESF_EEENSM_IJSG_SG_EEES6_PlJS6_EEE10hipError_tPvRmT3_T4_T5_T6_T7_T9_mT8_P12ihipStream_tbDpT10_ENKUlT_T0_E_clISt17integral_constantIbLb1EES1B_EEDaS16_S17_EUlS16_E_NS1_11comp_targetILNS1_3genE3ELNS1_11target_archE908ELNS1_3gpuE7ELNS1_3repE0EEENS1_30default_config_static_selectorELNS0_4arch9wavefront6targetE1EEEvT1_: ; @_ZN7rocprim17ROCPRIM_400000_NS6detail17trampoline_kernelINS0_14default_configENS1_25partition_config_selectorILNS1_17partition_subalgoE1EjNS0_10empty_typeEbEEZZNS1_14partition_implILS5_1ELb0ES3_jN6thrust23THRUST_200600_302600_NS6detail15normal_iteratorINSA_10device_ptrIjEEEEPS6_NSA_18transform_iteratorI7is_evenIjESF_NSA_11use_defaultESK_EENS0_5tupleIJNSA_16discard_iteratorISK_EESF_EEENSM_IJSG_SG_EEES6_PlJS6_EEE10hipError_tPvRmT3_T4_T5_T6_T7_T9_mT8_P12ihipStream_tbDpT10_ENKUlT_T0_E_clISt17integral_constantIbLb1EES1B_EEDaS16_S17_EUlS16_E_NS1_11comp_targetILNS1_3genE3ELNS1_11target_archE908ELNS1_3gpuE7ELNS1_3repE0EEENS1_30default_config_static_selectorELNS0_4arch9wavefront6targetE1EEEvT1_
; %bb.0:
	.section	.rodata,"a",@progbits
	.p2align	6, 0x0
	.amdhsa_kernel _ZN7rocprim17ROCPRIM_400000_NS6detail17trampoline_kernelINS0_14default_configENS1_25partition_config_selectorILNS1_17partition_subalgoE1EjNS0_10empty_typeEbEEZZNS1_14partition_implILS5_1ELb0ES3_jN6thrust23THRUST_200600_302600_NS6detail15normal_iteratorINSA_10device_ptrIjEEEEPS6_NSA_18transform_iteratorI7is_evenIjESF_NSA_11use_defaultESK_EENS0_5tupleIJNSA_16discard_iteratorISK_EESF_EEENSM_IJSG_SG_EEES6_PlJS6_EEE10hipError_tPvRmT3_T4_T5_T6_T7_T9_mT8_P12ihipStream_tbDpT10_ENKUlT_T0_E_clISt17integral_constantIbLb1EES1B_EEDaS16_S17_EUlS16_E_NS1_11comp_targetILNS1_3genE3ELNS1_11target_archE908ELNS1_3gpuE7ELNS1_3repE0EEENS1_30default_config_static_selectorELNS0_4arch9wavefront6targetE1EEEvT1_
		.amdhsa_group_segment_fixed_size 0
		.amdhsa_private_segment_fixed_size 0
		.amdhsa_kernarg_size 152
		.amdhsa_user_sgpr_count 6
		.amdhsa_user_sgpr_private_segment_buffer 1
		.amdhsa_user_sgpr_dispatch_ptr 0
		.amdhsa_user_sgpr_queue_ptr 0
		.amdhsa_user_sgpr_kernarg_segment_ptr 1
		.amdhsa_user_sgpr_dispatch_id 0
		.amdhsa_user_sgpr_flat_scratch_init 0
		.amdhsa_user_sgpr_kernarg_preload_length 0
		.amdhsa_user_sgpr_kernarg_preload_offset 0
		.amdhsa_user_sgpr_private_segment_size 0
		.amdhsa_uses_dynamic_stack 0
		.amdhsa_system_sgpr_private_segment_wavefront_offset 0
		.amdhsa_system_sgpr_workgroup_id_x 1
		.amdhsa_system_sgpr_workgroup_id_y 0
		.amdhsa_system_sgpr_workgroup_id_z 0
		.amdhsa_system_sgpr_workgroup_info 0
		.amdhsa_system_vgpr_workitem_id 0
		.amdhsa_next_free_vgpr 1
		.amdhsa_next_free_sgpr 0
		.amdhsa_accum_offset 4
		.amdhsa_reserve_vcc 0
		.amdhsa_reserve_flat_scratch 0
		.amdhsa_float_round_mode_32 0
		.amdhsa_float_round_mode_16_64 0
		.amdhsa_float_denorm_mode_32 3
		.amdhsa_float_denorm_mode_16_64 3
		.amdhsa_dx10_clamp 1
		.amdhsa_ieee_mode 1
		.amdhsa_fp16_overflow 0
		.amdhsa_tg_split 0
		.amdhsa_exception_fp_ieee_invalid_op 0
		.amdhsa_exception_fp_denorm_src 0
		.amdhsa_exception_fp_ieee_div_zero 0
		.amdhsa_exception_fp_ieee_overflow 0
		.amdhsa_exception_fp_ieee_underflow 0
		.amdhsa_exception_fp_ieee_inexact 0
		.amdhsa_exception_int_div_zero 0
	.end_amdhsa_kernel
	.section	.text._ZN7rocprim17ROCPRIM_400000_NS6detail17trampoline_kernelINS0_14default_configENS1_25partition_config_selectorILNS1_17partition_subalgoE1EjNS0_10empty_typeEbEEZZNS1_14partition_implILS5_1ELb0ES3_jN6thrust23THRUST_200600_302600_NS6detail15normal_iteratorINSA_10device_ptrIjEEEEPS6_NSA_18transform_iteratorI7is_evenIjESF_NSA_11use_defaultESK_EENS0_5tupleIJNSA_16discard_iteratorISK_EESF_EEENSM_IJSG_SG_EEES6_PlJS6_EEE10hipError_tPvRmT3_T4_T5_T6_T7_T9_mT8_P12ihipStream_tbDpT10_ENKUlT_T0_E_clISt17integral_constantIbLb1EES1B_EEDaS16_S17_EUlS16_E_NS1_11comp_targetILNS1_3genE3ELNS1_11target_archE908ELNS1_3gpuE7ELNS1_3repE0EEENS1_30default_config_static_selectorELNS0_4arch9wavefront6targetE1EEEvT1_,"axG",@progbits,_ZN7rocprim17ROCPRIM_400000_NS6detail17trampoline_kernelINS0_14default_configENS1_25partition_config_selectorILNS1_17partition_subalgoE1EjNS0_10empty_typeEbEEZZNS1_14partition_implILS5_1ELb0ES3_jN6thrust23THRUST_200600_302600_NS6detail15normal_iteratorINSA_10device_ptrIjEEEEPS6_NSA_18transform_iteratorI7is_evenIjESF_NSA_11use_defaultESK_EENS0_5tupleIJNSA_16discard_iteratorISK_EESF_EEENSM_IJSG_SG_EEES6_PlJS6_EEE10hipError_tPvRmT3_T4_T5_T6_T7_T9_mT8_P12ihipStream_tbDpT10_ENKUlT_T0_E_clISt17integral_constantIbLb1EES1B_EEDaS16_S17_EUlS16_E_NS1_11comp_targetILNS1_3genE3ELNS1_11target_archE908ELNS1_3gpuE7ELNS1_3repE0EEENS1_30default_config_static_selectorELNS0_4arch9wavefront6targetE1EEEvT1_,comdat
.Lfunc_end3046:
	.size	_ZN7rocprim17ROCPRIM_400000_NS6detail17trampoline_kernelINS0_14default_configENS1_25partition_config_selectorILNS1_17partition_subalgoE1EjNS0_10empty_typeEbEEZZNS1_14partition_implILS5_1ELb0ES3_jN6thrust23THRUST_200600_302600_NS6detail15normal_iteratorINSA_10device_ptrIjEEEEPS6_NSA_18transform_iteratorI7is_evenIjESF_NSA_11use_defaultESK_EENS0_5tupleIJNSA_16discard_iteratorISK_EESF_EEENSM_IJSG_SG_EEES6_PlJS6_EEE10hipError_tPvRmT3_T4_T5_T6_T7_T9_mT8_P12ihipStream_tbDpT10_ENKUlT_T0_E_clISt17integral_constantIbLb1EES1B_EEDaS16_S17_EUlS16_E_NS1_11comp_targetILNS1_3genE3ELNS1_11target_archE908ELNS1_3gpuE7ELNS1_3repE0EEENS1_30default_config_static_selectorELNS0_4arch9wavefront6targetE1EEEvT1_, .Lfunc_end3046-_ZN7rocprim17ROCPRIM_400000_NS6detail17trampoline_kernelINS0_14default_configENS1_25partition_config_selectorILNS1_17partition_subalgoE1EjNS0_10empty_typeEbEEZZNS1_14partition_implILS5_1ELb0ES3_jN6thrust23THRUST_200600_302600_NS6detail15normal_iteratorINSA_10device_ptrIjEEEEPS6_NSA_18transform_iteratorI7is_evenIjESF_NSA_11use_defaultESK_EENS0_5tupleIJNSA_16discard_iteratorISK_EESF_EEENSM_IJSG_SG_EEES6_PlJS6_EEE10hipError_tPvRmT3_T4_T5_T6_T7_T9_mT8_P12ihipStream_tbDpT10_ENKUlT_T0_E_clISt17integral_constantIbLb1EES1B_EEDaS16_S17_EUlS16_E_NS1_11comp_targetILNS1_3genE3ELNS1_11target_archE908ELNS1_3gpuE7ELNS1_3repE0EEENS1_30default_config_static_selectorELNS0_4arch9wavefront6targetE1EEEvT1_
                                        ; -- End function
	.section	.AMDGPU.csdata,"",@progbits
; Kernel info:
; codeLenInByte = 0
; NumSgprs: 4
; NumVgprs: 0
; NumAgprs: 0
; TotalNumVgprs: 0
; ScratchSize: 0
; MemoryBound: 0
; FloatMode: 240
; IeeeMode: 1
; LDSByteSize: 0 bytes/workgroup (compile time only)
; SGPRBlocks: 0
; VGPRBlocks: 0
; NumSGPRsForWavesPerEU: 4
; NumVGPRsForWavesPerEU: 1
; AccumOffset: 4
; Occupancy: 8
; WaveLimiterHint : 0
; COMPUTE_PGM_RSRC2:SCRATCH_EN: 0
; COMPUTE_PGM_RSRC2:USER_SGPR: 6
; COMPUTE_PGM_RSRC2:TRAP_HANDLER: 0
; COMPUTE_PGM_RSRC2:TGID_X_EN: 1
; COMPUTE_PGM_RSRC2:TGID_Y_EN: 0
; COMPUTE_PGM_RSRC2:TGID_Z_EN: 0
; COMPUTE_PGM_RSRC2:TIDIG_COMP_CNT: 0
; COMPUTE_PGM_RSRC3_GFX90A:ACCUM_OFFSET: 0
; COMPUTE_PGM_RSRC3_GFX90A:TG_SPLIT: 0
	.section	.text._ZN7rocprim17ROCPRIM_400000_NS6detail17trampoline_kernelINS0_14default_configENS1_25partition_config_selectorILNS1_17partition_subalgoE1EjNS0_10empty_typeEbEEZZNS1_14partition_implILS5_1ELb0ES3_jN6thrust23THRUST_200600_302600_NS6detail15normal_iteratorINSA_10device_ptrIjEEEEPS6_NSA_18transform_iteratorI7is_evenIjESF_NSA_11use_defaultESK_EENS0_5tupleIJNSA_16discard_iteratorISK_EESF_EEENSM_IJSG_SG_EEES6_PlJS6_EEE10hipError_tPvRmT3_T4_T5_T6_T7_T9_mT8_P12ihipStream_tbDpT10_ENKUlT_T0_E_clISt17integral_constantIbLb1EES1B_EEDaS16_S17_EUlS16_E_NS1_11comp_targetILNS1_3genE2ELNS1_11target_archE906ELNS1_3gpuE6ELNS1_3repE0EEENS1_30default_config_static_selectorELNS0_4arch9wavefront6targetE1EEEvT1_,"axG",@progbits,_ZN7rocprim17ROCPRIM_400000_NS6detail17trampoline_kernelINS0_14default_configENS1_25partition_config_selectorILNS1_17partition_subalgoE1EjNS0_10empty_typeEbEEZZNS1_14partition_implILS5_1ELb0ES3_jN6thrust23THRUST_200600_302600_NS6detail15normal_iteratorINSA_10device_ptrIjEEEEPS6_NSA_18transform_iteratorI7is_evenIjESF_NSA_11use_defaultESK_EENS0_5tupleIJNSA_16discard_iteratorISK_EESF_EEENSM_IJSG_SG_EEES6_PlJS6_EEE10hipError_tPvRmT3_T4_T5_T6_T7_T9_mT8_P12ihipStream_tbDpT10_ENKUlT_T0_E_clISt17integral_constantIbLb1EES1B_EEDaS16_S17_EUlS16_E_NS1_11comp_targetILNS1_3genE2ELNS1_11target_archE906ELNS1_3gpuE6ELNS1_3repE0EEENS1_30default_config_static_selectorELNS0_4arch9wavefront6targetE1EEEvT1_,comdat
	.protected	_ZN7rocprim17ROCPRIM_400000_NS6detail17trampoline_kernelINS0_14default_configENS1_25partition_config_selectorILNS1_17partition_subalgoE1EjNS0_10empty_typeEbEEZZNS1_14partition_implILS5_1ELb0ES3_jN6thrust23THRUST_200600_302600_NS6detail15normal_iteratorINSA_10device_ptrIjEEEEPS6_NSA_18transform_iteratorI7is_evenIjESF_NSA_11use_defaultESK_EENS0_5tupleIJNSA_16discard_iteratorISK_EESF_EEENSM_IJSG_SG_EEES6_PlJS6_EEE10hipError_tPvRmT3_T4_T5_T6_T7_T9_mT8_P12ihipStream_tbDpT10_ENKUlT_T0_E_clISt17integral_constantIbLb1EES1B_EEDaS16_S17_EUlS16_E_NS1_11comp_targetILNS1_3genE2ELNS1_11target_archE906ELNS1_3gpuE6ELNS1_3repE0EEENS1_30default_config_static_selectorELNS0_4arch9wavefront6targetE1EEEvT1_ ; -- Begin function _ZN7rocprim17ROCPRIM_400000_NS6detail17trampoline_kernelINS0_14default_configENS1_25partition_config_selectorILNS1_17partition_subalgoE1EjNS0_10empty_typeEbEEZZNS1_14partition_implILS5_1ELb0ES3_jN6thrust23THRUST_200600_302600_NS6detail15normal_iteratorINSA_10device_ptrIjEEEEPS6_NSA_18transform_iteratorI7is_evenIjESF_NSA_11use_defaultESK_EENS0_5tupleIJNSA_16discard_iteratorISK_EESF_EEENSM_IJSG_SG_EEES6_PlJS6_EEE10hipError_tPvRmT3_T4_T5_T6_T7_T9_mT8_P12ihipStream_tbDpT10_ENKUlT_T0_E_clISt17integral_constantIbLb1EES1B_EEDaS16_S17_EUlS16_E_NS1_11comp_targetILNS1_3genE2ELNS1_11target_archE906ELNS1_3gpuE6ELNS1_3repE0EEENS1_30default_config_static_selectorELNS0_4arch9wavefront6targetE1EEEvT1_
	.globl	_ZN7rocprim17ROCPRIM_400000_NS6detail17trampoline_kernelINS0_14default_configENS1_25partition_config_selectorILNS1_17partition_subalgoE1EjNS0_10empty_typeEbEEZZNS1_14partition_implILS5_1ELb0ES3_jN6thrust23THRUST_200600_302600_NS6detail15normal_iteratorINSA_10device_ptrIjEEEEPS6_NSA_18transform_iteratorI7is_evenIjESF_NSA_11use_defaultESK_EENS0_5tupleIJNSA_16discard_iteratorISK_EESF_EEENSM_IJSG_SG_EEES6_PlJS6_EEE10hipError_tPvRmT3_T4_T5_T6_T7_T9_mT8_P12ihipStream_tbDpT10_ENKUlT_T0_E_clISt17integral_constantIbLb1EES1B_EEDaS16_S17_EUlS16_E_NS1_11comp_targetILNS1_3genE2ELNS1_11target_archE906ELNS1_3gpuE6ELNS1_3repE0EEENS1_30default_config_static_selectorELNS0_4arch9wavefront6targetE1EEEvT1_
	.p2align	8
	.type	_ZN7rocprim17ROCPRIM_400000_NS6detail17trampoline_kernelINS0_14default_configENS1_25partition_config_selectorILNS1_17partition_subalgoE1EjNS0_10empty_typeEbEEZZNS1_14partition_implILS5_1ELb0ES3_jN6thrust23THRUST_200600_302600_NS6detail15normal_iteratorINSA_10device_ptrIjEEEEPS6_NSA_18transform_iteratorI7is_evenIjESF_NSA_11use_defaultESK_EENS0_5tupleIJNSA_16discard_iteratorISK_EESF_EEENSM_IJSG_SG_EEES6_PlJS6_EEE10hipError_tPvRmT3_T4_T5_T6_T7_T9_mT8_P12ihipStream_tbDpT10_ENKUlT_T0_E_clISt17integral_constantIbLb1EES1B_EEDaS16_S17_EUlS16_E_NS1_11comp_targetILNS1_3genE2ELNS1_11target_archE906ELNS1_3gpuE6ELNS1_3repE0EEENS1_30default_config_static_selectorELNS0_4arch9wavefront6targetE1EEEvT1_,@function
_ZN7rocprim17ROCPRIM_400000_NS6detail17trampoline_kernelINS0_14default_configENS1_25partition_config_selectorILNS1_17partition_subalgoE1EjNS0_10empty_typeEbEEZZNS1_14partition_implILS5_1ELb0ES3_jN6thrust23THRUST_200600_302600_NS6detail15normal_iteratorINSA_10device_ptrIjEEEEPS6_NSA_18transform_iteratorI7is_evenIjESF_NSA_11use_defaultESK_EENS0_5tupleIJNSA_16discard_iteratorISK_EESF_EEENSM_IJSG_SG_EEES6_PlJS6_EEE10hipError_tPvRmT3_T4_T5_T6_T7_T9_mT8_P12ihipStream_tbDpT10_ENKUlT_T0_E_clISt17integral_constantIbLb1EES1B_EEDaS16_S17_EUlS16_E_NS1_11comp_targetILNS1_3genE2ELNS1_11target_archE906ELNS1_3gpuE6ELNS1_3repE0EEENS1_30default_config_static_selectorELNS0_4arch9wavefront6targetE1EEEvT1_: ; @_ZN7rocprim17ROCPRIM_400000_NS6detail17trampoline_kernelINS0_14default_configENS1_25partition_config_selectorILNS1_17partition_subalgoE1EjNS0_10empty_typeEbEEZZNS1_14partition_implILS5_1ELb0ES3_jN6thrust23THRUST_200600_302600_NS6detail15normal_iteratorINSA_10device_ptrIjEEEEPS6_NSA_18transform_iteratorI7is_evenIjESF_NSA_11use_defaultESK_EENS0_5tupleIJNSA_16discard_iteratorISK_EESF_EEENSM_IJSG_SG_EEES6_PlJS6_EEE10hipError_tPvRmT3_T4_T5_T6_T7_T9_mT8_P12ihipStream_tbDpT10_ENKUlT_T0_E_clISt17integral_constantIbLb1EES1B_EEDaS16_S17_EUlS16_E_NS1_11comp_targetILNS1_3genE2ELNS1_11target_archE906ELNS1_3gpuE6ELNS1_3repE0EEENS1_30default_config_static_selectorELNS0_4arch9wavefront6targetE1EEEvT1_
; %bb.0:
	.section	.rodata,"a",@progbits
	.p2align	6, 0x0
	.amdhsa_kernel _ZN7rocprim17ROCPRIM_400000_NS6detail17trampoline_kernelINS0_14default_configENS1_25partition_config_selectorILNS1_17partition_subalgoE1EjNS0_10empty_typeEbEEZZNS1_14partition_implILS5_1ELb0ES3_jN6thrust23THRUST_200600_302600_NS6detail15normal_iteratorINSA_10device_ptrIjEEEEPS6_NSA_18transform_iteratorI7is_evenIjESF_NSA_11use_defaultESK_EENS0_5tupleIJNSA_16discard_iteratorISK_EESF_EEENSM_IJSG_SG_EEES6_PlJS6_EEE10hipError_tPvRmT3_T4_T5_T6_T7_T9_mT8_P12ihipStream_tbDpT10_ENKUlT_T0_E_clISt17integral_constantIbLb1EES1B_EEDaS16_S17_EUlS16_E_NS1_11comp_targetILNS1_3genE2ELNS1_11target_archE906ELNS1_3gpuE6ELNS1_3repE0EEENS1_30default_config_static_selectorELNS0_4arch9wavefront6targetE1EEEvT1_
		.amdhsa_group_segment_fixed_size 0
		.amdhsa_private_segment_fixed_size 0
		.amdhsa_kernarg_size 152
		.amdhsa_user_sgpr_count 6
		.amdhsa_user_sgpr_private_segment_buffer 1
		.amdhsa_user_sgpr_dispatch_ptr 0
		.amdhsa_user_sgpr_queue_ptr 0
		.amdhsa_user_sgpr_kernarg_segment_ptr 1
		.amdhsa_user_sgpr_dispatch_id 0
		.amdhsa_user_sgpr_flat_scratch_init 0
		.amdhsa_user_sgpr_kernarg_preload_length 0
		.amdhsa_user_sgpr_kernarg_preload_offset 0
		.amdhsa_user_sgpr_private_segment_size 0
		.amdhsa_uses_dynamic_stack 0
		.amdhsa_system_sgpr_private_segment_wavefront_offset 0
		.amdhsa_system_sgpr_workgroup_id_x 1
		.amdhsa_system_sgpr_workgroup_id_y 0
		.amdhsa_system_sgpr_workgroup_id_z 0
		.amdhsa_system_sgpr_workgroup_info 0
		.amdhsa_system_vgpr_workitem_id 0
		.amdhsa_next_free_vgpr 1
		.amdhsa_next_free_sgpr 0
		.amdhsa_accum_offset 4
		.amdhsa_reserve_vcc 0
		.amdhsa_reserve_flat_scratch 0
		.amdhsa_float_round_mode_32 0
		.amdhsa_float_round_mode_16_64 0
		.amdhsa_float_denorm_mode_32 3
		.amdhsa_float_denorm_mode_16_64 3
		.amdhsa_dx10_clamp 1
		.amdhsa_ieee_mode 1
		.amdhsa_fp16_overflow 0
		.amdhsa_tg_split 0
		.amdhsa_exception_fp_ieee_invalid_op 0
		.amdhsa_exception_fp_denorm_src 0
		.amdhsa_exception_fp_ieee_div_zero 0
		.amdhsa_exception_fp_ieee_overflow 0
		.amdhsa_exception_fp_ieee_underflow 0
		.amdhsa_exception_fp_ieee_inexact 0
		.amdhsa_exception_int_div_zero 0
	.end_amdhsa_kernel
	.section	.text._ZN7rocprim17ROCPRIM_400000_NS6detail17trampoline_kernelINS0_14default_configENS1_25partition_config_selectorILNS1_17partition_subalgoE1EjNS0_10empty_typeEbEEZZNS1_14partition_implILS5_1ELb0ES3_jN6thrust23THRUST_200600_302600_NS6detail15normal_iteratorINSA_10device_ptrIjEEEEPS6_NSA_18transform_iteratorI7is_evenIjESF_NSA_11use_defaultESK_EENS0_5tupleIJNSA_16discard_iteratorISK_EESF_EEENSM_IJSG_SG_EEES6_PlJS6_EEE10hipError_tPvRmT3_T4_T5_T6_T7_T9_mT8_P12ihipStream_tbDpT10_ENKUlT_T0_E_clISt17integral_constantIbLb1EES1B_EEDaS16_S17_EUlS16_E_NS1_11comp_targetILNS1_3genE2ELNS1_11target_archE906ELNS1_3gpuE6ELNS1_3repE0EEENS1_30default_config_static_selectorELNS0_4arch9wavefront6targetE1EEEvT1_,"axG",@progbits,_ZN7rocprim17ROCPRIM_400000_NS6detail17trampoline_kernelINS0_14default_configENS1_25partition_config_selectorILNS1_17partition_subalgoE1EjNS0_10empty_typeEbEEZZNS1_14partition_implILS5_1ELb0ES3_jN6thrust23THRUST_200600_302600_NS6detail15normal_iteratorINSA_10device_ptrIjEEEEPS6_NSA_18transform_iteratorI7is_evenIjESF_NSA_11use_defaultESK_EENS0_5tupleIJNSA_16discard_iteratorISK_EESF_EEENSM_IJSG_SG_EEES6_PlJS6_EEE10hipError_tPvRmT3_T4_T5_T6_T7_T9_mT8_P12ihipStream_tbDpT10_ENKUlT_T0_E_clISt17integral_constantIbLb1EES1B_EEDaS16_S17_EUlS16_E_NS1_11comp_targetILNS1_3genE2ELNS1_11target_archE906ELNS1_3gpuE6ELNS1_3repE0EEENS1_30default_config_static_selectorELNS0_4arch9wavefront6targetE1EEEvT1_,comdat
.Lfunc_end3047:
	.size	_ZN7rocprim17ROCPRIM_400000_NS6detail17trampoline_kernelINS0_14default_configENS1_25partition_config_selectorILNS1_17partition_subalgoE1EjNS0_10empty_typeEbEEZZNS1_14partition_implILS5_1ELb0ES3_jN6thrust23THRUST_200600_302600_NS6detail15normal_iteratorINSA_10device_ptrIjEEEEPS6_NSA_18transform_iteratorI7is_evenIjESF_NSA_11use_defaultESK_EENS0_5tupleIJNSA_16discard_iteratorISK_EESF_EEENSM_IJSG_SG_EEES6_PlJS6_EEE10hipError_tPvRmT3_T4_T5_T6_T7_T9_mT8_P12ihipStream_tbDpT10_ENKUlT_T0_E_clISt17integral_constantIbLb1EES1B_EEDaS16_S17_EUlS16_E_NS1_11comp_targetILNS1_3genE2ELNS1_11target_archE906ELNS1_3gpuE6ELNS1_3repE0EEENS1_30default_config_static_selectorELNS0_4arch9wavefront6targetE1EEEvT1_, .Lfunc_end3047-_ZN7rocprim17ROCPRIM_400000_NS6detail17trampoline_kernelINS0_14default_configENS1_25partition_config_selectorILNS1_17partition_subalgoE1EjNS0_10empty_typeEbEEZZNS1_14partition_implILS5_1ELb0ES3_jN6thrust23THRUST_200600_302600_NS6detail15normal_iteratorINSA_10device_ptrIjEEEEPS6_NSA_18transform_iteratorI7is_evenIjESF_NSA_11use_defaultESK_EENS0_5tupleIJNSA_16discard_iteratorISK_EESF_EEENSM_IJSG_SG_EEES6_PlJS6_EEE10hipError_tPvRmT3_T4_T5_T6_T7_T9_mT8_P12ihipStream_tbDpT10_ENKUlT_T0_E_clISt17integral_constantIbLb1EES1B_EEDaS16_S17_EUlS16_E_NS1_11comp_targetILNS1_3genE2ELNS1_11target_archE906ELNS1_3gpuE6ELNS1_3repE0EEENS1_30default_config_static_selectorELNS0_4arch9wavefront6targetE1EEEvT1_
                                        ; -- End function
	.section	.AMDGPU.csdata,"",@progbits
; Kernel info:
; codeLenInByte = 0
; NumSgprs: 4
; NumVgprs: 0
; NumAgprs: 0
; TotalNumVgprs: 0
; ScratchSize: 0
; MemoryBound: 0
; FloatMode: 240
; IeeeMode: 1
; LDSByteSize: 0 bytes/workgroup (compile time only)
; SGPRBlocks: 0
; VGPRBlocks: 0
; NumSGPRsForWavesPerEU: 4
; NumVGPRsForWavesPerEU: 1
; AccumOffset: 4
; Occupancy: 8
; WaveLimiterHint : 0
; COMPUTE_PGM_RSRC2:SCRATCH_EN: 0
; COMPUTE_PGM_RSRC2:USER_SGPR: 6
; COMPUTE_PGM_RSRC2:TRAP_HANDLER: 0
; COMPUTE_PGM_RSRC2:TGID_X_EN: 1
; COMPUTE_PGM_RSRC2:TGID_Y_EN: 0
; COMPUTE_PGM_RSRC2:TGID_Z_EN: 0
; COMPUTE_PGM_RSRC2:TIDIG_COMP_CNT: 0
; COMPUTE_PGM_RSRC3_GFX90A:ACCUM_OFFSET: 0
; COMPUTE_PGM_RSRC3_GFX90A:TG_SPLIT: 0
	.section	.text._ZN7rocprim17ROCPRIM_400000_NS6detail17trampoline_kernelINS0_14default_configENS1_25partition_config_selectorILNS1_17partition_subalgoE1EjNS0_10empty_typeEbEEZZNS1_14partition_implILS5_1ELb0ES3_jN6thrust23THRUST_200600_302600_NS6detail15normal_iteratorINSA_10device_ptrIjEEEEPS6_NSA_18transform_iteratorI7is_evenIjESF_NSA_11use_defaultESK_EENS0_5tupleIJNSA_16discard_iteratorISK_EESF_EEENSM_IJSG_SG_EEES6_PlJS6_EEE10hipError_tPvRmT3_T4_T5_T6_T7_T9_mT8_P12ihipStream_tbDpT10_ENKUlT_T0_E_clISt17integral_constantIbLb1EES1B_EEDaS16_S17_EUlS16_E_NS1_11comp_targetILNS1_3genE10ELNS1_11target_archE1200ELNS1_3gpuE4ELNS1_3repE0EEENS1_30default_config_static_selectorELNS0_4arch9wavefront6targetE1EEEvT1_,"axG",@progbits,_ZN7rocprim17ROCPRIM_400000_NS6detail17trampoline_kernelINS0_14default_configENS1_25partition_config_selectorILNS1_17partition_subalgoE1EjNS0_10empty_typeEbEEZZNS1_14partition_implILS5_1ELb0ES3_jN6thrust23THRUST_200600_302600_NS6detail15normal_iteratorINSA_10device_ptrIjEEEEPS6_NSA_18transform_iteratorI7is_evenIjESF_NSA_11use_defaultESK_EENS0_5tupleIJNSA_16discard_iteratorISK_EESF_EEENSM_IJSG_SG_EEES6_PlJS6_EEE10hipError_tPvRmT3_T4_T5_T6_T7_T9_mT8_P12ihipStream_tbDpT10_ENKUlT_T0_E_clISt17integral_constantIbLb1EES1B_EEDaS16_S17_EUlS16_E_NS1_11comp_targetILNS1_3genE10ELNS1_11target_archE1200ELNS1_3gpuE4ELNS1_3repE0EEENS1_30default_config_static_selectorELNS0_4arch9wavefront6targetE1EEEvT1_,comdat
	.protected	_ZN7rocprim17ROCPRIM_400000_NS6detail17trampoline_kernelINS0_14default_configENS1_25partition_config_selectorILNS1_17partition_subalgoE1EjNS0_10empty_typeEbEEZZNS1_14partition_implILS5_1ELb0ES3_jN6thrust23THRUST_200600_302600_NS6detail15normal_iteratorINSA_10device_ptrIjEEEEPS6_NSA_18transform_iteratorI7is_evenIjESF_NSA_11use_defaultESK_EENS0_5tupleIJNSA_16discard_iteratorISK_EESF_EEENSM_IJSG_SG_EEES6_PlJS6_EEE10hipError_tPvRmT3_T4_T5_T6_T7_T9_mT8_P12ihipStream_tbDpT10_ENKUlT_T0_E_clISt17integral_constantIbLb1EES1B_EEDaS16_S17_EUlS16_E_NS1_11comp_targetILNS1_3genE10ELNS1_11target_archE1200ELNS1_3gpuE4ELNS1_3repE0EEENS1_30default_config_static_selectorELNS0_4arch9wavefront6targetE1EEEvT1_ ; -- Begin function _ZN7rocprim17ROCPRIM_400000_NS6detail17trampoline_kernelINS0_14default_configENS1_25partition_config_selectorILNS1_17partition_subalgoE1EjNS0_10empty_typeEbEEZZNS1_14partition_implILS5_1ELb0ES3_jN6thrust23THRUST_200600_302600_NS6detail15normal_iteratorINSA_10device_ptrIjEEEEPS6_NSA_18transform_iteratorI7is_evenIjESF_NSA_11use_defaultESK_EENS0_5tupleIJNSA_16discard_iteratorISK_EESF_EEENSM_IJSG_SG_EEES6_PlJS6_EEE10hipError_tPvRmT3_T4_T5_T6_T7_T9_mT8_P12ihipStream_tbDpT10_ENKUlT_T0_E_clISt17integral_constantIbLb1EES1B_EEDaS16_S17_EUlS16_E_NS1_11comp_targetILNS1_3genE10ELNS1_11target_archE1200ELNS1_3gpuE4ELNS1_3repE0EEENS1_30default_config_static_selectorELNS0_4arch9wavefront6targetE1EEEvT1_
	.globl	_ZN7rocprim17ROCPRIM_400000_NS6detail17trampoline_kernelINS0_14default_configENS1_25partition_config_selectorILNS1_17partition_subalgoE1EjNS0_10empty_typeEbEEZZNS1_14partition_implILS5_1ELb0ES3_jN6thrust23THRUST_200600_302600_NS6detail15normal_iteratorINSA_10device_ptrIjEEEEPS6_NSA_18transform_iteratorI7is_evenIjESF_NSA_11use_defaultESK_EENS0_5tupleIJNSA_16discard_iteratorISK_EESF_EEENSM_IJSG_SG_EEES6_PlJS6_EEE10hipError_tPvRmT3_T4_T5_T6_T7_T9_mT8_P12ihipStream_tbDpT10_ENKUlT_T0_E_clISt17integral_constantIbLb1EES1B_EEDaS16_S17_EUlS16_E_NS1_11comp_targetILNS1_3genE10ELNS1_11target_archE1200ELNS1_3gpuE4ELNS1_3repE0EEENS1_30default_config_static_selectorELNS0_4arch9wavefront6targetE1EEEvT1_
	.p2align	8
	.type	_ZN7rocprim17ROCPRIM_400000_NS6detail17trampoline_kernelINS0_14default_configENS1_25partition_config_selectorILNS1_17partition_subalgoE1EjNS0_10empty_typeEbEEZZNS1_14partition_implILS5_1ELb0ES3_jN6thrust23THRUST_200600_302600_NS6detail15normal_iteratorINSA_10device_ptrIjEEEEPS6_NSA_18transform_iteratorI7is_evenIjESF_NSA_11use_defaultESK_EENS0_5tupleIJNSA_16discard_iteratorISK_EESF_EEENSM_IJSG_SG_EEES6_PlJS6_EEE10hipError_tPvRmT3_T4_T5_T6_T7_T9_mT8_P12ihipStream_tbDpT10_ENKUlT_T0_E_clISt17integral_constantIbLb1EES1B_EEDaS16_S17_EUlS16_E_NS1_11comp_targetILNS1_3genE10ELNS1_11target_archE1200ELNS1_3gpuE4ELNS1_3repE0EEENS1_30default_config_static_selectorELNS0_4arch9wavefront6targetE1EEEvT1_,@function
_ZN7rocprim17ROCPRIM_400000_NS6detail17trampoline_kernelINS0_14default_configENS1_25partition_config_selectorILNS1_17partition_subalgoE1EjNS0_10empty_typeEbEEZZNS1_14partition_implILS5_1ELb0ES3_jN6thrust23THRUST_200600_302600_NS6detail15normal_iteratorINSA_10device_ptrIjEEEEPS6_NSA_18transform_iteratorI7is_evenIjESF_NSA_11use_defaultESK_EENS0_5tupleIJNSA_16discard_iteratorISK_EESF_EEENSM_IJSG_SG_EEES6_PlJS6_EEE10hipError_tPvRmT3_T4_T5_T6_T7_T9_mT8_P12ihipStream_tbDpT10_ENKUlT_T0_E_clISt17integral_constantIbLb1EES1B_EEDaS16_S17_EUlS16_E_NS1_11comp_targetILNS1_3genE10ELNS1_11target_archE1200ELNS1_3gpuE4ELNS1_3repE0EEENS1_30default_config_static_selectorELNS0_4arch9wavefront6targetE1EEEvT1_: ; @_ZN7rocprim17ROCPRIM_400000_NS6detail17trampoline_kernelINS0_14default_configENS1_25partition_config_selectorILNS1_17partition_subalgoE1EjNS0_10empty_typeEbEEZZNS1_14partition_implILS5_1ELb0ES3_jN6thrust23THRUST_200600_302600_NS6detail15normal_iteratorINSA_10device_ptrIjEEEEPS6_NSA_18transform_iteratorI7is_evenIjESF_NSA_11use_defaultESK_EENS0_5tupleIJNSA_16discard_iteratorISK_EESF_EEENSM_IJSG_SG_EEES6_PlJS6_EEE10hipError_tPvRmT3_T4_T5_T6_T7_T9_mT8_P12ihipStream_tbDpT10_ENKUlT_T0_E_clISt17integral_constantIbLb1EES1B_EEDaS16_S17_EUlS16_E_NS1_11comp_targetILNS1_3genE10ELNS1_11target_archE1200ELNS1_3gpuE4ELNS1_3repE0EEENS1_30default_config_static_selectorELNS0_4arch9wavefront6targetE1EEEvT1_
; %bb.0:
	.section	.rodata,"a",@progbits
	.p2align	6, 0x0
	.amdhsa_kernel _ZN7rocprim17ROCPRIM_400000_NS6detail17trampoline_kernelINS0_14default_configENS1_25partition_config_selectorILNS1_17partition_subalgoE1EjNS0_10empty_typeEbEEZZNS1_14partition_implILS5_1ELb0ES3_jN6thrust23THRUST_200600_302600_NS6detail15normal_iteratorINSA_10device_ptrIjEEEEPS6_NSA_18transform_iteratorI7is_evenIjESF_NSA_11use_defaultESK_EENS0_5tupleIJNSA_16discard_iteratorISK_EESF_EEENSM_IJSG_SG_EEES6_PlJS6_EEE10hipError_tPvRmT3_T4_T5_T6_T7_T9_mT8_P12ihipStream_tbDpT10_ENKUlT_T0_E_clISt17integral_constantIbLb1EES1B_EEDaS16_S17_EUlS16_E_NS1_11comp_targetILNS1_3genE10ELNS1_11target_archE1200ELNS1_3gpuE4ELNS1_3repE0EEENS1_30default_config_static_selectorELNS0_4arch9wavefront6targetE1EEEvT1_
		.amdhsa_group_segment_fixed_size 0
		.amdhsa_private_segment_fixed_size 0
		.amdhsa_kernarg_size 152
		.amdhsa_user_sgpr_count 6
		.amdhsa_user_sgpr_private_segment_buffer 1
		.amdhsa_user_sgpr_dispatch_ptr 0
		.amdhsa_user_sgpr_queue_ptr 0
		.amdhsa_user_sgpr_kernarg_segment_ptr 1
		.amdhsa_user_sgpr_dispatch_id 0
		.amdhsa_user_sgpr_flat_scratch_init 0
		.amdhsa_user_sgpr_kernarg_preload_length 0
		.amdhsa_user_sgpr_kernarg_preload_offset 0
		.amdhsa_user_sgpr_private_segment_size 0
		.amdhsa_uses_dynamic_stack 0
		.amdhsa_system_sgpr_private_segment_wavefront_offset 0
		.amdhsa_system_sgpr_workgroup_id_x 1
		.amdhsa_system_sgpr_workgroup_id_y 0
		.amdhsa_system_sgpr_workgroup_id_z 0
		.amdhsa_system_sgpr_workgroup_info 0
		.amdhsa_system_vgpr_workitem_id 0
		.amdhsa_next_free_vgpr 1
		.amdhsa_next_free_sgpr 0
		.amdhsa_accum_offset 4
		.amdhsa_reserve_vcc 0
		.amdhsa_reserve_flat_scratch 0
		.amdhsa_float_round_mode_32 0
		.amdhsa_float_round_mode_16_64 0
		.amdhsa_float_denorm_mode_32 3
		.amdhsa_float_denorm_mode_16_64 3
		.amdhsa_dx10_clamp 1
		.amdhsa_ieee_mode 1
		.amdhsa_fp16_overflow 0
		.amdhsa_tg_split 0
		.amdhsa_exception_fp_ieee_invalid_op 0
		.amdhsa_exception_fp_denorm_src 0
		.amdhsa_exception_fp_ieee_div_zero 0
		.amdhsa_exception_fp_ieee_overflow 0
		.amdhsa_exception_fp_ieee_underflow 0
		.amdhsa_exception_fp_ieee_inexact 0
		.amdhsa_exception_int_div_zero 0
	.end_amdhsa_kernel
	.section	.text._ZN7rocprim17ROCPRIM_400000_NS6detail17trampoline_kernelINS0_14default_configENS1_25partition_config_selectorILNS1_17partition_subalgoE1EjNS0_10empty_typeEbEEZZNS1_14partition_implILS5_1ELb0ES3_jN6thrust23THRUST_200600_302600_NS6detail15normal_iteratorINSA_10device_ptrIjEEEEPS6_NSA_18transform_iteratorI7is_evenIjESF_NSA_11use_defaultESK_EENS0_5tupleIJNSA_16discard_iteratorISK_EESF_EEENSM_IJSG_SG_EEES6_PlJS6_EEE10hipError_tPvRmT3_T4_T5_T6_T7_T9_mT8_P12ihipStream_tbDpT10_ENKUlT_T0_E_clISt17integral_constantIbLb1EES1B_EEDaS16_S17_EUlS16_E_NS1_11comp_targetILNS1_3genE10ELNS1_11target_archE1200ELNS1_3gpuE4ELNS1_3repE0EEENS1_30default_config_static_selectorELNS0_4arch9wavefront6targetE1EEEvT1_,"axG",@progbits,_ZN7rocprim17ROCPRIM_400000_NS6detail17trampoline_kernelINS0_14default_configENS1_25partition_config_selectorILNS1_17partition_subalgoE1EjNS0_10empty_typeEbEEZZNS1_14partition_implILS5_1ELb0ES3_jN6thrust23THRUST_200600_302600_NS6detail15normal_iteratorINSA_10device_ptrIjEEEEPS6_NSA_18transform_iteratorI7is_evenIjESF_NSA_11use_defaultESK_EENS0_5tupleIJNSA_16discard_iteratorISK_EESF_EEENSM_IJSG_SG_EEES6_PlJS6_EEE10hipError_tPvRmT3_T4_T5_T6_T7_T9_mT8_P12ihipStream_tbDpT10_ENKUlT_T0_E_clISt17integral_constantIbLb1EES1B_EEDaS16_S17_EUlS16_E_NS1_11comp_targetILNS1_3genE10ELNS1_11target_archE1200ELNS1_3gpuE4ELNS1_3repE0EEENS1_30default_config_static_selectorELNS0_4arch9wavefront6targetE1EEEvT1_,comdat
.Lfunc_end3048:
	.size	_ZN7rocprim17ROCPRIM_400000_NS6detail17trampoline_kernelINS0_14default_configENS1_25partition_config_selectorILNS1_17partition_subalgoE1EjNS0_10empty_typeEbEEZZNS1_14partition_implILS5_1ELb0ES3_jN6thrust23THRUST_200600_302600_NS6detail15normal_iteratorINSA_10device_ptrIjEEEEPS6_NSA_18transform_iteratorI7is_evenIjESF_NSA_11use_defaultESK_EENS0_5tupleIJNSA_16discard_iteratorISK_EESF_EEENSM_IJSG_SG_EEES6_PlJS6_EEE10hipError_tPvRmT3_T4_T5_T6_T7_T9_mT8_P12ihipStream_tbDpT10_ENKUlT_T0_E_clISt17integral_constantIbLb1EES1B_EEDaS16_S17_EUlS16_E_NS1_11comp_targetILNS1_3genE10ELNS1_11target_archE1200ELNS1_3gpuE4ELNS1_3repE0EEENS1_30default_config_static_selectorELNS0_4arch9wavefront6targetE1EEEvT1_, .Lfunc_end3048-_ZN7rocprim17ROCPRIM_400000_NS6detail17trampoline_kernelINS0_14default_configENS1_25partition_config_selectorILNS1_17partition_subalgoE1EjNS0_10empty_typeEbEEZZNS1_14partition_implILS5_1ELb0ES3_jN6thrust23THRUST_200600_302600_NS6detail15normal_iteratorINSA_10device_ptrIjEEEEPS6_NSA_18transform_iteratorI7is_evenIjESF_NSA_11use_defaultESK_EENS0_5tupleIJNSA_16discard_iteratorISK_EESF_EEENSM_IJSG_SG_EEES6_PlJS6_EEE10hipError_tPvRmT3_T4_T5_T6_T7_T9_mT8_P12ihipStream_tbDpT10_ENKUlT_T0_E_clISt17integral_constantIbLb1EES1B_EEDaS16_S17_EUlS16_E_NS1_11comp_targetILNS1_3genE10ELNS1_11target_archE1200ELNS1_3gpuE4ELNS1_3repE0EEENS1_30default_config_static_selectorELNS0_4arch9wavefront6targetE1EEEvT1_
                                        ; -- End function
	.section	.AMDGPU.csdata,"",@progbits
; Kernel info:
; codeLenInByte = 0
; NumSgprs: 4
; NumVgprs: 0
; NumAgprs: 0
; TotalNumVgprs: 0
; ScratchSize: 0
; MemoryBound: 0
; FloatMode: 240
; IeeeMode: 1
; LDSByteSize: 0 bytes/workgroup (compile time only)
; SGPRBlocks: 0
; VGPRBlocks: 0
; NumSGPRsForWavesPerEU: 4
; NumVGPRsForWavesPerEU: 1
; AccumOffset: 4
; Occupancy: 8
; WaveLimiterHint : 0
; COMPUTE_PGM_RSRC2:SCRATCH_EN: 0
; COMPUTE_PGM_RSRC2:USER_SGPR: 6
; COMPUTE_PGM_RSRC2:TRAP_HANDLER: 0
; COMPUTE_PGM_RSRC2:TGID_X_EN: 1
; COMPUTE_PGM_RSRC2:TGID_Y_EN: 0
; COMPUTE_PGM_RSRC2:TGID_Z_EN: 0
; COMPUTE_PGM_RSRC2:TIDIG_COMP_CNT: 0
; COMPUTE_PGM_RSRC3_GFX90A:ACCUM_OFFSET: 0
; COMPUTE_PGM_RSRC3_GFX90A:TG_SPLIT: 0
	.section	.text._ZN7rocprim17ROCPRIM_400000_NS6detail17trampoline_kernelINS0_14default_configENS1_25partition_config_selectorILNS1_17partition_subalgoE1EjNS0_10empty_typeEbEEZZNS1_14partition_implILS5_1ELb0ES3_jN6thrust23THRUST_200600_302600_NS6detail15normal_iteratorINSA_10device_ptrIjEEEEPS6_NSA_18transform_iteratorI7is_evenIjESF_NSA_11use_defaultESK_EENS0_5tupleIJNSA_16discard_iteratorISK_EESF_EEENSM_IJSG_SG_EEES6_PlJS6_EEE10hipError_tPvRmT3_T4_T5_T6_T7_T9_mT8_P12ihipStream_tbDpT10_ENKUlT_T0_E_clISt17integral_constantIbLb1EES1B_EEDaS16_S17_EUlS16_E_NS1_11comp_targetILNS1_3genE9ELNS1_11target_archE1100ELNS1_3gpuE3ELNS1_3repE0EEENS1_30default_config_static_selectorELNS0_4arch9wavefront6targetE1EEEvT1_,"axG",@progbits,_ZN7rocprim17ROCPRIM_400000_NS6detail17trampoline_kernelINS0_14default_configENS1_25partition_config_selectorILNS1_17partition_subalgoE1EjNS0_10empty_typeEbEEZZNS1_14partition_implILS5_1ELb0ES3_jN6thrust23THRUST_200600_302600_NS6detail15normal_iteratorINSA_10device_ptrIjEEEEPS6_NSA_18transform_iteratorI7is_evenIjESF_NSA_11use_defaultESK_EENS0_5tupleIJNSA_16discard_iteratorISK_EESF_EEENSM_IJSG_SG_EEES6_PlJS6_EEE10hipError_tPvRmT3_T4_T5_T6_T7_T9_mT8_P12ihipStream_tbDpT10_ENKUlT_T0_E_clISt17integral_constantIbLb1EES1B_EEDaS16_S17_EUlS16_E_NS1_11comp_targetILNS1_3genE9ELNS1_11target_archE1100ELNS1_3gpuE3ELNS1_3repE0EEENS1_30default_config_static_selectorELNS0_4arch9wavefront6targetE1EEEvT1_,comdat
	.protected	_ZN7rocprim17ROCPRIM_400000_NS6detail17trampoline_kernelINS0_14default_configENS1_25partition_config_selectorILNS1_17partition_subalgoE1EjNS0_10empty_typeEbEEZZNS1_14partition_implILS5_1ELb0ES3_jN6thrust23THRUST_200600_302600_NS6detail15normal_iteratorINSA_10device_ptrIjEEEEPS6_NSA_18transform_iteratorI7is_evenIjESF_NSA_11use_defaultESK_EENS0_5tupleIJNSA_16discard_iteratorISK_EESF_EEENSM_IJSG_SG_EEES6_PlJS6_EEE10hipError_tPvRmT3_T4_T5_T6_T7_T9_mT8_P12ihipStream_tbDpT10_ENKUlT_T0_E_clISt17integral_constantIbLb1EES1B_EEDaS16_S17_EUlS16_E_NS1_11comp_targetILNS1_3genE9ELNS1_11target_archE1100ELNS1_3gpuE3ELNS1_3repE0EEENS1_30default_config_static_selectorELNS0_4arch9wavefront6targetE1EEEvT1_ ; -- Begin function _ZN7rocprim17ROCPRIM_400000_NS6detail17trampoline_kernelINS0_14default_configENS1_25partition_config_selectorILNS1_17partition_subalgoE1EjNS0_10empty_typeEbEEZZNS1_14partition_implILS5_1ELb0ES3_jN6thrust23THRUST_200600_302600_NS6detail15normal_iteratorINSA_10device_ptrIjEEEEPS6_NSA_18transform_iteratorI7is_evenIjESF_NSA_11use_defaultESK_EENS0_5tupleIJNSA_16discard_iteratorISK_EESF_EEENSM_IJSG_SG_EEES6_PlJS6_EEE10hipError_tPvRmT3_T4_T5_T6_T7_T9_mT8_P12ihipStream_tbDpT10_ENKUlT_T0_E_clISt17integral_constantIbLb1EES1B_EEDaS16_S17_EUlS16_E_NS1_11comp_targetILNS1_3genE9ELNS1_11target_archE1100ELNS1_3gpuE3ELNS1_3repE0EEENS1_30default_config_static_selectorELNS0_4arch9wavefront6targetE1EEEvT1_
	.globl	_ZN7rocprim17ROCPRIM_400000_NS6detail17trampoline_kernelINS0_14default_configENS1_25partition_config_selectorILNS1_17partition_subalgoE1EjNS0_10empty_typeEbEEZZNS1_14partition_implILS5_1ELb0ES3_jN6thrust23THRUST_200600_302600_NS6detail15normal_iteratorINSA_10device_ptrIjEEEEPS6_NSA_18transform_iteratorI7is_evenIjESF_NSA_11use_defaultESK_EENS0_5tupleIJNSA_16discard_iteratorISK_EESF_EEENSM_IJSG_SG_EEES6_PlJS6_EEE10hipError_tPvRmT3_T4_T5_T6_T7_T9_mT8_P12ihipStream_tbDpT10_ENKUlT_T0_E_clISt17integral_constantIbLb1EES1B_EEDaS16_S17_EUlS16_E_NS1_11comp_targetILNS1_3genE9ELNS1_11target_archE1100ELNS1_3gpuE3ELNS1_3repE0EEENS1_30default_config_static_selectorELNS0_4arch9wavefront6targetE1EEEvT1_
	.p2align	8
	.type	_ZN7rocprim17ROCPRIM_400000_NS6detail17trampoline_kernelINS0_14default_configENS1_25partition_config_selectorILNS1_17partition_subalgoE1EjNS0_10empty_typeEbEEZZNS1_14partition_implILS5_1ELb0ES3_jN6thrust23THRUST_200600_302600_NS6detail15normal_iteratorINSA_10device_ptrIjEEEEPS6_NSA_18transform_iteratorI7is_evenIjESF_NSA_11use_defaultESK_EENS0_5tupleIJNSA_16discard_iteratorISK_EESF_EEENSM_IJSG_SG_EEES6_PlJS6_EEE10hipError_tPvRmT3_T4_T5_T6_T7_T9_mT8_P12ihipStream_tbDpT10_ENKUlT_T0_E_clISt17integral_constantIbLb1EES1B_EEDaS16_S17_EUlS16_E_NS1_11comp_targetILNS1_3genE9ELNS1_11target_archE1100ELNS1_3gpuE3ELNS1_3repE0EEENS1_30default_config_static_selectorELNS0_4arch9wavefront6targetE1EEEvT1_,@function
_ZN7rocprim17ROCPRIM_400000_NS6detail17trampoline_kernelINS0_14default_configENS1_25partition_config_selectorILNS1_17partition_subalgoE1EjNS0_10empty_typeEbEEZZNS1_14partition_implILS5_1ELb0ES3_jN6thrust23THRUST_200600_302600_NS6detail15normal_iteratorINSA_10device_ptrIjEEEEPS6_NSA_18transform_iteratorI7is_evenIjESF_NSA_11use_defaultESK_EENS0_5tupleIJNSA_16discard_iteratorISK_EESF_EEENSM_IJSG_SG_EEES6_PlJS6_EEE10hipError_tPvRmT3_T4_T5_T6_T7_T9_mT8_P12ihipStream_tbDpT10_ENKUlT_T0_E_clISt17integral_constantIbLb1EES1B_EEDaS16_S17_EUlS16_E_NS1_11comp_targetILNS1_3genE9ELNS1_11target_archE1100ELNS1_3gpuE3ELNS1_3repE0EEENS1_30default_config_static_selectorELNS0_4arch9wavefront6targetE1EEEvT1_: ; @_ZN7rocprim17ROCPRIM_400000_NS6detail17trampoline_kernelINS0_14default_configENS1_25partition_config_selectorILNS1_17partition_subalgoE1EjNS0_10empty_typeEbEEZZNS1_14partition_implILS5_1ELb0ES3_jN6thrust23THRUST_200600_302600_NS6detail15normal_iteratorINSA_10device_ptrIjEEEEPS6_NSA_18transform_iteratorI7is_evenIjESF_NSA_11use_defaultESK_EENS0_5tupleIJNSA_16discard_iteratorISK_EESF_EEENSM_IJSG_SG_EEES6_PlJS6_EEE10hipError_tPvRmT3_T4_T5_T6_T7_T9_mT8_P12ihipStream_tbDpT10_ENKUlT_T0_E_clISt17integral_constantIbLb1EES1B_EEDaS16_S17_EUlS16_E_NS1_11comp_targetILNS1_3genE9ELNS1_11target_archE1100ELNS1_3gpuE3ELNS1_3repE0EEENS1_30default_config_static_selectorELNS0_4arch9wavefront6targetE1EEEvT1_
; %bb.0:
	.section	.rodata,"a",@progbits
	.p2align	6, 0x0
	.amdhsa_kernel _ZN7rocprim17ROCPRIM_400000_NS6detail17trampoline_kernelINS0_14default_configENS1_25partition_config_selectorILNS1_17partition_subalgoE1EjNS0_10empty_typeEbEEZZNS1_14partition_implILS5_1ELb0ES3_jN6thrust23THRUST_200600_302600_NS6detail15normal_iteratorINSA_10device_ptrIjEEEEPS6_NSA_18transform_iteratorI7is_evenIjESF_NSA_11use_defaultESK_EENS0_5tupleIJNSA_16discard_iteratorISK_EESF_EEENSM_IJSG_SG_EEES6_PlJS6_EEE10hipError_tPvRmT3_T4_T5_T6_T7_T9_mT8_P12ihipStream_tbDpT10_ENKUlT_T0_E_clISt17integral_constantIbLb1EES1B_EEDaS16_S17_EUlS16_E_NS1_11comp_targetILNS1_3genE9ELNS1_11target_archE1100ELNS1_3gpuE3ELNS1_3repE0EEENS1_30default_config_static_selectorELNS0_4arch9wavefront6targetE1EEEvT1_
		.amdhsa_group_segment_fixed_size 0
		.amdhsa_private_segment_fixed_size 0
		.amdhsa_kernarg_size 152
		.amdhsa_user_sgpr_count 6
		.amdhsa_user_sgpr_private_segment_buffer 1
		.amdhsa_user_sgpr_dispatch_ptr 0
		.amdhsa_user_sgpr_queue_ptr 0
		.amdhsa_user_sgpr_kernarg_segment_ptr 1
		.amdhsa_user_sgpr_dispatch_id 0
		.amdhsa_user_sgpr_flat_scratch_init 0
		.amdhsa_user_sgpr_kernarg_preload_length 0
		.amdhsa_user_sgpr_kernarg_preload_offset 0
		.amdhsa_user_sgpr_private_segment_size 0
		.amdhsa_uses_dynamic_stack 0
		.amdhsa_system_sgpr_private_segment_wavefront_offset 0
		.amdhsa_system_sgpr_workgroup_id_x 1
		.amdhsa_system_sgpr_workgroup_id_y 0
		.amdhsa_system_sgpr_workgroup_id_z 0
		.amdhsa_system_sgpr_workgroup_info 0
		.amdhsa_system_vgpr_workitem_id 0
		.amdhsa_next_free_vgpr 1
		.amdhsa_next_free_sgpr 0
		.amdhsa_accum_offset 4
		.amdhsa_reserve_vcc 0
		.amdhsa_reserve_flat_scratch 0
		.amdhsa_float_round_mode_32 0
		.amdhsa_float_round_mode_16_64 0
		.amdhsa_float_denorm_mode_32 3
		.amdhsa_float_denorm_mode_16_64 3
		.amdhsa_dx10_clamp 1
		.amdhsa_ieee_mode 1
		.amdhsa_fp16_overflow 0
		.amdhsa_tg_split 0
		.amdhsa_exception_fp_ieee_invalid_op 0
		.amdhsa_exception_fp_denorm_src 0
		.amdhsa_exception_fp_ieee_div_zero 0
		.amdhsa_exception_fp_ieee_overflow 0
		.amdhsa_exception_fp_ieee_underflow 0
		.amdhsa_exception_fp_ieee_inexact 0
		.amdhsa_exception_int_div_zero 0
	.end_amdhsa_kernel
	.section	.text._ZN7rocprim17ROCPRIM_400000_NS6detail17trampoline_kernelINS0_14default_configENS1_25partition_config_selectorILNS1_17partition_subalgoE1EjNS0_10empty_typeEbEEZZNS1_14partition_implILS5_1ELb0ES3_jN6thrust23THRUST_200600_302600_NS6detail15normal_iteratorINSA_10device_ptrIjEEEEPS6_NSA_18transform_iteratorI7is_evenIjESF_NSA_11use_defaultESK_EENS0_5tupleIJNSA_16discard_iteratorISK_EESF_EEENSM_IJSG_SG_EEES6_PlJS6_EEE10hipError_tPvRmT3_T4_T5_T6_T7_T9_mT8_P12ihipStream_tbDpT10_ENKUlT_T0_E_clISt17integral_constantIbLb1EES1B_EEDaS16_S17_EUlS16_E_NS1_11comp_targetILNS1_3genE9ELNS1_11target_archE1100ELNS1_3gpuE3ELNS1_3repE0EEENS1_30default_config_static_selectorELNS0_4arch9wavefront6targetE1EEEvT1_,"axG",@progbits,_ZN7rocprim17ROCPRIM_400000_NS6detail17trampoline_kernelINS0_14default_configENS1_25partition_config_selectorILNS1_17partition_subalgoE1EjNS0_10empty_typeEbEEZZNS1_14partition_implILS5_1ELb0ES3_jN6thrust23THRUST_200600_302600_NS6detail15normal_iteratorINSA_10device_ptrIjEEEEPS6_NSA_18transform_iteratorI7is_evenIjESF_NSA_11use_defaultESK_EENS0_5tupleIJNSA_16discard_iteratorISK_EESF_EEENSM_IJSG_SG_EEES6_PlJS6_EEE10hipError_tPvRmT3_T4_T5_T6_T7_T9_mT8_P12ihipStream_tbDpT10_ENKUlT_T0_E_clISt17integral_constantIbLb1EES1B_EEDaS16_S17_EUlS16_E_NS1_11comp_targetILNS1_3genE9ELNS1_11target_archE1100ELNS1_3gpuE3ELNS1_3repE0EEENS1_30default_config_static_selectorELNS0_4arch9wavefront6targetE1EEEvT1_,comdat
.Lfunc_end3049:
	.size	_ZN7rocprim17ROCPRIM_400000_NS6detail17trampoline_kernelINS0_14default_configENS1_25partition_config_selectorILNS1_17partition_subalgoE1EjNS0_10empty_typeEbEEZZNS1_14partition_implILS5_1ELb0ES3_jN6thrust23THRUST_200600_302600_NS6detail15normal_iteratorINSA_10device_ptrIjEEEEPS6_NSA_18transform_iteratorI7is_evenIjESF_NSA_11use_defaultESK_EENS0_5tupleIJNSA_16discard_iteratorISK_EESF_EEENSM_IJSG_SG_EEES6_PlJS6_EEE10hipError_tPvRmT3_T4_T5_T6_T7_T9_mT8_P12ihipStream_tbDpT10_ENKUlT_T0_E_clISt17integral_constantIbLb1EES1B_EEDaS16_S17_EUlS16_E_NS1_11comp_targetILNS1_3genE9ELNS1_11target_archE1100ELNS1_3gpuE3ELNS1_3repE0EEENS1_30default_config_static_selectorELNS0_4arch9wavefront6targetE1EEEvT1_, .Lfunc_end3049-_ZN7rocprim17ROCPRIM_400000_NS6detail17trampoline_kernelINS0_14default_configENS1_25partition_config_selectorILNS1_17partition_subalgoE1EjNS0_10empty_typeEbEEZZNS1_14partition_implILS5_1ELb0ES3_jN6thrust23THRUST_200600_302600_NS6detail15normal_iteratorINSA_10device_ptrIjEEEEPS6_NSA_18transform_iteratorI7is_evenIjESF_NSA_11use_defaultESK_EENS0_5tupleIJNSA_16discard_iteratorISK_EESF_EEENSM_IJSG_SG_EEES6_PlJS6_EEE10hipError_tPvRmT3_T4_T5_T6_T7_T9_mT8_P12ihipStream_tbDpT10_ENKUlT_T0_E_clISt17integral_constantIbLb1EES1B_EEDaS16_S17_EUlS16_E_NS1_11comp_targetILNS1_3genE9ELNS1_11target_archE1100ELNS1_3gpuE3ELNS1_3repE0EEENS1_30default_config_static_selectorELNS0_4arch9wavefront6targetE1EEEvT1_
                                        ; -- End function
	.section	.AMDGPU.csdata,"",@progbits
; Kernel info:
; codeLenInByte = 0
; NumSgprs: 4
; NumVgprs: 0
; NumAgprs: 0
; TotalNumVgprs: 0
; ScratchSize: 0
; MemoryBound: 0
; FloatMode: 240
; IeeeMode: 1
; LDSByteSize: 0 bytes/workgroup (compile time only)
; SGPRBlocks: 0
; VGPRBlocks: 0
; NumSGPRsForWavesPerEU: 4
; NumVGPRsForWavesPerEU: 1
; AccumOffset: 4
; Occupancy: 8
; WaveLimiterHint : 0
; COMPUTE_PGM_RSRC2:SCRATCH_EN: 0
; COMPUTE_PGM_RSRC2:USER_SGPR: 6
; COMPUTE_PGM_RSRC2:TRAP_HANDLER: 0
; COMPUTE_PGM_RSRC2:TGID_X_EN: 1
; COMPUTE_PGM_RSRC2:TGID_Y_EN: 0
; COMPUTE_PGM_RSRC2:TGID_Z_EN: 0
; COMPUTE_PGM_RSRC2:TIDIG_COMP_CNT: 0
; COMPUTE_PGM_RSRC3_GFX90A:ACCUM_OFFSET: 0
; COMPUTE_PGM_RSRC3_GFX90A:TG_SPLIT: 0
	.section	.text._ZN7rocprim17ROCPRIM_400000_NS6detail17trampoline_kernelINS0_14default_configENS1_25partition_config_selectorILNS1_17partition_subalgoE1EjNS0_10empty_typeEbEEZZNS1_14partition_implILS5_1ELb0ES3_jN6thrust23THRUST_200600_302600_NS6detail15normal_iteratorINSA_10device_ptrIjEEEEPS6_NSA_18transform_iteratorI7is_evenIjESF_NSA_11use_defaultESK_EENS0_5tupleIJNSA_16discard_iteratorISK_EESF_EEENSM_IJSG_SG_EEES6_PlJS6_EEE10hipError_tPvRmT3_T4_T5_T6_T7_T9_mT8_P12ihipStream_tbDpT10_ENKUlT_T0_E_clISt17integral_constantIbLb1EES1B_EEDaS16_S17_EUlS16_E_NS1_11comp_targetILNS1_3genE8ELNS1_11target_archE1030ELNS1_3gpuE2ELNS1_3repE0EEENS1_30default_config_static_selectorELNS0_4arch9wavefront6targetE1EEEvT1_,"axG",@progbits,_ZN7rocprim17ROCPRIM_400000_NS6detail17trampoline_kernelINS0_14default_configENS1_25partition_config_selectorILNS1_17partition_subalgoE1EjNS0_10empty_typeEbEEZZNS1_14partition_implILS5_1ELb0ES3_jN6thrust23THRUST_200600_302600_NS6detail15normal_iteratorINSA_10device_ptrIjEEEEPS6_NSA_18transform_iteratorI7is_evenIjESF_NSA_11use_defaultESK_EENS0_5tupleIJNSA_16discard_iteratorISK_EESF_EEENSM_IJSG_SG_EEES6_PlJS6_EEE10hipError_tPvRmT3_T4_T5_T6_T7_T9_mT8_P12ihipStream_tbDpT10_ENKUlT_T0_E_clISt17integral_constantIbLb1EES1B_EEDaS16_S17_EUlS16_E_NS1_11comp_targetILNS1_3genE8ELNS1_11target_archE1030ELNS1_3gpuE2ELNS1_3repE0EEENS1_30default_config_static_selectorELNS0_4arch9wavefront6targetE1EEEvT1_,comdat
	.protected	_ZN7rocprim17ROCPRIM_400000_NS6detail17trampoline_kernelINS0_14default_configENS1_25partition_config_selectorILNS1_17partition_subalgoE1EjNS0_10empty_typeEbEEZZNS1_14partition_implILS5_1ELb0ES3_jN6thrust23THRUST_200600_302600_NS6detail15normal_iteratorINSA_10device_ptrIjEEEEPS6_NSA_18transform_iteratorI7is_evenIjESF_NSA_11use_defaultESK_EENS0_5tupleIJNSA_16discard_iteratorISK_EESF_EEENSM_IJSG_SG_EEES6_PlJS6_EEE10hipError_tPvRmT3_T4_T5_T6_T7_T9_mT8_P12ihipStream_tbDpT10_ENKUlT_T0_E_clISt17integral_constantIbLb1EES1B_EEDaS16_S17_EUlS16_E_NS1_11comp_targetILNS1_3genE8ELNS1_11target_archE1030ELNS1_3gpuE2ELNS1_3repE0EEENS1_30default_config_static_selectorELNS0_4arch9wavefront6targetE1EEEvT1_ ; -- Begin function _ZN7rocprim17ROCPRIM_400000_NS6detail17trampoline_kernelINS0_14default_configENS1_25partition_config_selectorILNS1_17partition_subalgoE1EjNS0_10empty_typeEbEEZZNS1_14partition_implILS5_1ELb0ES3_jN6thrust23THRUST_200600_302600_NS6detail15normal_iteratorINSA_10device_ptrIjEEEEPS6_NSA_18transform_iteratorI7is_evenIjESF_NSA_11use_defaultESK_EENS0_5tupleIJNSA_16discard_iteratorISK_EESF_EEENSM_IJSG_SG_EEES6_PlJS6_EEE10hipError_tPvRmT3_T4_T5_T6_T7_T9_mT8_P12ihipStream_tbDpT10_ENKUlT_T0_E_clISt17integral_constantIbLb1EES1B_EEDaS16_S17_EUlS16_E_NS1_11comp_targetILNS1_3genE8ELNS1_11target_archE1030ELNS1_3gpuE2ELNS1_3repE0EEENS1_30default_config_static_selectorELNS0_4arch9wavefront6targetE1EEEvT1_
	.globl	_ZN7rocprim17ROCPRIM_400000_NS6detail17trampoline_kernelINS0_14default_configENS1_25partition_config_selectorILNS1_17partition_subalgoE1EjNS0_10empty_typeEbEEZZNS1_14partition_implILS5_1ELb0ES3_jN6thrust23THRUST_200600_302600_NS6detail15normal_iteratorINSA_10device_ptrIjEEEEPS6_NSA_18transform_iteratorI7is_evenIjESF_NSA_11use_defaultESK_EENS0_5tupleIJNSA_16discard_iteratorISK_EESF_EEENSM_IJSG_SG_EEES6_PlJS6_EEE10hipError_tPvRmT3_T4_T5_T6_T7_T9_mT8_P12ihipStream_tbDpT10_ENKUlT_T0_E_clISt17integral_constantIbLb1EES1B_EEDaS16_S17_EUlS16_E_NS1_11comp_targetILNS1_3genE8ELNS1_11target_archE1030ELNS1_3gpuE2ELNS1_3repE0EEENS1_30default_config_static_selectorELNS0_4arch9wavefront6targetE1EEEvT1_
	.p2align	8
	.type	_ZN7rocprim17ROCPRIM_400000_NS6detail17trampoline_kernelINS0_14default_configENS1_25partition_config_selectorILNS1_17partition_subalgoE1EjNS0_10empty_typeEbEEZZNS1_14partition_implILS5_1ELb0ES3_jN6thrust23THRUST_200600_302600_NS6detail15normal_iteratorINSA_10device_ptrIjEEEEPS6_NSA_18transform_iteratorI7is_evenIjESF_NSA_11use_defaultESK_EENS0_5tupleIJNSA_16discard_iteratorISK_EESF_EEENSM_IJSG_SG_EEES6_PlJS6_EEE10hipError_tPvRmT3_T4_T5_T6_T7_T9_mT8_P12ihipStream_tbDpT10_ENKUlT_T0_E_clISt17integral_constantIbLb1EES1B_EEDaS16_S17_EUlS16_E_NS1_11comp_targetILNS1_3genE8ELNS1_11target_archE1030ELNS1_3gpuE2ELNS1_3repE0EEENS1_30default_config_static_selectorELNS0_4arch9wavefront6targetE1EEEvT1_,@function
_ZN7rocprim17ROCPRIM_400000_NS6detail17trampoline_kernelINS0_14default_configENS1_25partition_config_selectorILNS1_17partition_subalgoE1EjNS0_10empty_typeEbEEZZNS1_14partition_implILS5_1ELb0ES3_jN6thrust23THRUST_200600_302600_NS6detail15normal_iteratorINSA_10device_ptrIjEEEEPS6_NSA_18transform_iteratorI7is_evenIjESF_NSA_11use_defaultESK_EENS0_5tupleIJNSA_16discard_iteratorISK_EESF_EEENSM_IJSG_SG_EEES6_PlJS6_EEE10hipError_tPvRmT3_T4_T5_T6_T7_T9_mT8_P12ihipStream_tbDpT10_ENKUlT_T0_E_clISt17integral_constantIbLb1EES1B_EEDaS16_S17_EUlS16_E_NS1_11comp_targetILNS1_3genE8ELNS1_11target_archE1030ELNS1_3gpuE2ELNS1_3repE0EEENS1_30default_config_static_selectorELNS0_4arch9wavefront6targetE1EEEvT1_: ; @_ZN7rocprim17ROCPRIM_400000_NS6detail17trampoline_kernelINS0_14default_configENS1_25partition_config_selectorILNS1_17partition_subalgoE1EjNS0_10empty_typeEbEEZZNS1_14partition_implILS5_1ELb0ES3_jN6thrust23THRUST_200600_302600_NS6detail15normal_iteratorINSA_10device_ptrIjEEEEPS6_NSA_18transform_iteratorI7is_evenIjESF_NSA_11use_defaultESK_EENS0_5tupleIJNSA_16discard_iteratorISK_EESF_EEENSM_IJSG_SG_EEES6_PlJS6_EEE10hipError_tPvRmT3_T4_T5_T6_T7_T9_mT8_P12ihipStream_tbDpT10_ENKUlT_T0_E_clISt17integral_constantIbLb1EES1B_EEDaS16_S17_EUlS16_E_NS1_11comp_targetILNS1_3genE8ELNS1_11target_archE1030ELNS1_3gpuE2ELNS1_3repE0EEENS1_30default_config_static_selectorELNS0_4arch9wavefront6targetE1EEEvT1_
; %bb.0:
	.section	.rodata,"a",@progbits
	.p2align	6, 0x0
	.amdhsa_kernel _ZN7rocprim17ROCPRIM_400000_NS6detail17trampoline_kernelINS0_14default_configENS1_25partition_config_selectorILNS1_17partition_subalgoE1EjNS0_10empty_typeEbEEZZNS1_14partition_implILS5_1ELb0ES3_jN6thrust23THRUST_200600_302600_NS6detail15normal_iteratorINSA_10device_ptrIjEEEEPS6_NSA_18transform_iteratorI7is_evenIjESF_NSA_11use_defaultESK_EENS0_5tupleIJNSA_16discard_iteratorISK_EESF_EEENSM_IJSG_SG_EEES6_PlJS6_EEE10hipError_tPvRmT3_T4_T5_T6_T7_T9_mT8_P12ihipStream_tbDpT10_ENKUlT_T0_E_clISt17integral_constantIbLb1EES1B_EEDaS16_S17_EUlS16_E_NS1_11comp_targetILNS1_3genE8ELNS1_11target_archE1030ELNS1_3gpuE2ELNS1_3repE0EEENS1_30default_config_static_selectorELNS0_4arch9wavefront6targetE1EEEvT1_
		.amdhsa_group_segment_fixed_size 0
		.amdhsa_private_segment_fixed_size 0
		.amdhsa_kernarg_size 152
		.amdhsa_user_sgpr_count 6
		.amdhsa_user_sgpr_private_segment_buffer 1
		.amdhsa_user_sgpr_dispatch_ptr 0
		.amdhsa_user_sgpr_queue_ptr 0
		.amdhsa_user_sgpr_kernarg_segment_ptr 1
		.amdhsa_user_sgpr_dispatch_id 0
		.amdhsa_user_sgpr_flat_scratch_init 0
		.amdhsa_user_sgpr_kernarg_preload_length 0
		.amdhsa_user_sgpr_kernarg_preload_offset 0
		.amdhsa_user_sgpr_private_segment_size 0
		.amdhsa_uses_dynamic_stack 0
		.amdhsa_system_sgpr_private_segment_wavefront_offset 0
		.amdhsa_system_sgpr_workgroup_id_x 1
		.amdhsa_system_sgpr_workgroup_id_y 0
		.amdhsa_system_sgpr_workgroup_id_z 0
		.amdhsa_system_sgpr_workgroup_info 0
		.amdhsa_system_vgpr_workitem_id 0
		.amdhsa_next_free_vgpr 1
		.amdhsa_next_free_sgpr 0
		.amdhsa_accum_offset 4
		.amdhsa_reserve_vcc 0
		.amdhsa_reserve_flat_scratch 0
		.amdhsa_float_round_mode_32 0
		.amdhsa_float_round_mode_16_64 0
		.amdhsa_float_denorm_mode_32 3
		.amdhsa_float_denorm_mode_16_64 3
		.amdhsa_dx10_clamp 1
		.amdhsa_ieee_mode 1
		.amdhsa_fp16_overflow 0
		.amdhsa_tg_split 0
		.amdhsa_exception_fp_ieee_invalid_op 0
		.amdhsa_exception_fp_denorm_src 0
		.amdhsa_exception_fp_ieee_div_zero 0
		.amdhsa_exception_fp_ieee_overflow 0
		.amdhsa_exception_fp_ieee_underflow 0
		.amdhsa_exception_fp_ieee_inexact 0
		.amdhsa_exception_int_div_zero 0
	.end_amdhsa_kernel
	.section	.text._ZN7rocprim17ROCPRIM_400000_NS6detail17trampoline_kernelINS0_14default_configENS1_25partition_config_selectorILNS1_17partition_subalgoE1EjNS0_10empty_typeEbEEZZNS1_14partition_implILS5_1ELb0ES3_jN6thrust23THRUST_200600_302600_NS6detail15normal_iteratorINSA_10device_ptrIjEEEEPS6_NSA_18transform_iteratorI7is_evenIjESF_NSA_11use_defaultESK_EENS0_5tupleIJNSA_16discard_iteratorISK_EESF_EEENSM_IJSG_SG_EEES6_PlJS6_EEE10hipError_tPvRmT3_T4_T5_T6_T7_T9_mT8_P12ihipStream_tbDpT10_ENKUlT_T0_E_clISt17integral_constantIbLb1EES1B_EEDaS16_S17_EUlS16_E_NS1_11comp_targetILNS1_3genE8ELNS1_11target_archE1030ELNS1_3gpuE2ELNS1_3repE0EEENS1_30default_config_static_selectorELNS0_4arch9wavefront6targetE1EEEvT1_,"axG",@progbits,_ZN7rocprim17ROCPRIM_400000_NS6detail17trampoline_kernelINS0_14default_configENS1_25partition_config_selectorILNS1_17partition_subalgoE1EjNS0_10empty_typeEbEEZZNS1_14partition_implILS5_1ELb0ES3_jN6thrust23THRUST_200600_302600_NS6detail15normal_iteratorINSA_10device_ptrIjEEEEPS6_NSA_18transform_iteratorI7is_evenIjESF_NSA_11use_defaultESK_EENS0_5tupleIJNSA_16discard_iteratorISK_EESF_EEENSM_IJSG_SG_EEES6_PlJS6_EEE10hipError_tPvRmT3_T4_T5_T6_T7_T9_mT8_P12ihipStream_tbDpT10_ENKUlT_T0_E_clISt17integral_constantIbLb1EES1B_EEDaS16_S17_EUlS16_E_NS1_11comp_targetILNS1_3genE8ELNS1_11target_archE1030ELNS1_3gpuE2ELNS1_3repE0EEENS1_30default_config_static_selectorELNS0_4arch9wavefront6targetE1EEEvT1_,comdat
.Lfunc_end3050:
	.size	_ZN7rocprim17ROCPRIM_400000_NS6detail17trampoline_kernelINS0_14default_configENS1_25partition_config_selectorILNS1_17partition_subalgoE1EjNS0_10empty_typeEbEEZZNS1_14partition_implILS5_1ELb0ES3_jN6thrust23THRUST_200600_302600_NS6detail15normal_iteratorINSA_10device_ptrIjEEEEPS6_NSA_18transform_iteratorI7is_evenIjESF_NSA_11use_defaultESK_EENS0_5tupleIJNSA_16discard_iteratorISK_EESF_EEENSM_IJSG_SG_EEES6_PlJS6_EEE10hipError_tPvRmT3_T4_T5_T6_T7_T9_mT8_P12ihipStream_tbDpT10_ENKUlT_T0_E_clISt17integral_constantIbLb1EES1B_EEDaS16_S17_EUlS16_E_NS1_11comp_targetILNS1_3genE8ELNS1_11target_archE1030ELNS1_3gpuE2ELNS1_3repE0EEENS1_30default_config_static_selectorELNS0_4arch9wavefront6targetE1EEEvT1_, .Lfunc_end3050-_ZN7rocprim17ROCPRIM_400000_NS6detail17trampoline_kernelINS0_14default_configENS1_25partition_config_selectorILNS1_17partition_subalgoE1EjNS0_10empty_typeEbEEZZNS1_14partition_implILS5_1ELb0ES3_jN6thrust23THRUST_200600_302600_NS6detail15normal_iteratorINSA_10device_ptrIjEEEEPS6_NSA_18transform_iteratorI7is_evenIjESF_NSA_11use_defaultESK_EENS0_5tupleIJNSA_16discard_iteratorISK_EESF_EEENSM_IJSG_SG_EEES6_PlJS6_EEE10hipError_tPvRmT3_T4_T5_T6_T7_T9_mT8_P12ihipStream_tbDpT10_ENKUlT_T0_E_clISt17integral_constantIbLb1EES1B_EEDaS16_S17_EUlS16_E_NS1_11comp_targetILNS1_3genE8ELNS1_11target_archE1030ELNS1_3gpuE2ELNS1_3repE0EEENS1_30default_config_static_selectorELNS0_4arch9wavefront6targetE1EEEvT1_
                                        ; -- End function
	.section	.AMDGPU.csdata,"",@progbits
; Kernel info:
; codeLenInByte = 0
; NumSgprs: 4
; NumVgprs: 0
; NumAgprs: 0
; TotalNumVgprs: 0
; ScratchSize: 0
; MemoryBound: 0
; FloatMode: 240
; IeeeMode: 1
; LDSByteSize: 0 bytes/workgroup (compile time only)
; SGPRBlocks: 0
; VGPRBlocks: 0
; NumSGPRsForWavesPerEU: 4
; NumVGPRsForWavesPerEU: 1
; AccumOffset: 4
; Occupancy: 8
; WaveLimiterHint : 0
; COMPUTE_PGM_RSRC2:SCRATCH_EN: 0
; COMPUTE_PGM_RSRC2:USER_SGPR: 6
; COMPUTE_PGM_RSRC2:TRAP_HANDLER: 0
; COMPUTE_PGM_RSRC2:TGID_X_EN: 1
; COMPUTE_PGM_RSRC2:TGID_Y_EN: 0
; COMPUTE_PGM_RSRC2:TGID_Z_EN: 0
; COMPUTE_PGM_RSRC2:TIDIG_COMP_CNT: 0
; COMPUTE_PGM_RSRC3_GFX90A:ACCUM_OFFSET: 0
; COMPUTE_PGM_RSRC3_GFX90A:TG_SPLIT: 0
	.section	.text._ZN7rocprim17ROCPRIM_400000_NS6detail17trampoline_kernelINS0_14default_configENS1_25partition_config_selectorILNS1_17partition_subalgoE1EjNS0_10empty_typeEbEEZZNS1_14partition_implILS5_1ELb0ES3_jN6thrust23THRUST_200600_302600_NS6detail15normal_iteratorINSA_10device_ptrIjEEEEPS6_NSA_18transform_iteratorI7is_evenIjESF_NSA_11use_defaultESK_EENS0_5tupleIJNSA_16discard_iteratorISK_EESF_EEENSM_IJSG_SG_EEES6_PlJS6_EEE10hipError_tPvRmT3_T4_T5_T6_T7_T9_mT8_P12ihipStream_tbDpT10_ENKUlT_T0_E_clISt17integral_constantIbLb1EES1A_IbLb0EEEEDaS16_S17_EUlS16_E_NS1_11comp_targetILNS1_3genE0ELNS1_11target_archE4294967295ELNS1_3gpuE0ELNS1_3repE0EEENS1_30default_config_static_selectorELNS0_4arch9wavefront6targetE1EEEvT1_,"axG",@progbits,_ZN7rocprim17ROCPRIM_400000_NS6detail17trampoline_kernelINS0_14default_configENS1_25partition_config_selectorILNS1_17partition_subalgoE1EjNS0_10empty_typeEbEEZZNS1_14partition_implILS5_1ELb0ES3_jN6thrust23THRUST_200600_302600_NS6detail15normal_iteratorINSA_10device_ptrIjEEEEPS6_NSA_18transform_iteratorI7is_evenIjESF_NSA_11use_defaultESK_EENS0_5tupleIJNSA_16discard_iteratorISK_EESF_EEENSM_IJSG_SG_EEES6_PlJS6_EEE10hipError_tPvRmT3_T4_T5_T6_T7_T9_mT8_P12ihipStream_tbDpT10_ENKUlT_T0_E_clISt17integral_constantIbLb1EES1A_IbLb0EEEEDaS16_S17_EUlS16_E_NS1_11comp_targetILNS1_3genE0ELNS1_11target_archE4294967295ELNS1_3gpuE0ELNS1_3repE0EEENS1_30default_config_static_selectorELNS0_4arch9wavefront6targetE1EEEvT1_,comdat
	.protected	_ZN7rocprim17ROCPRIM_400000_NS6detail17trampoline_kernelINS0_14default_configENS1_25partition_config_selectorILNS1_17partition_subalgoE1EjNS0_10empty_typeEbEEZZNS1_14partition_implILS5_1ELb0ES3_jN6thrust23THRUST_200600_302600_NS6detail15normal_iteratorINSA_10device_ptrIjEEEEPS6_NSA_18transform_iteratorI7is_evenIjESF_NSA_11use_defaultESK_EENS0_5tupleIJNSA_16discard_iteratorISK_EESF_EEENSM_IJSG_SG_EEES6_PlJS6_EEE10hipError_tPvRmT3_T4_T5_T6_T7_T9_mT8_P12ihipStream_tbDpT10_ENKUlT_T0_E_clISt17integral_constantIbLb1EES1A_IbLb0EEEEDaS16_S17_EUlS16_E_NS1_11comp_targetILNS1_3genE0ELNS1_11target_archE4294967295ELNS1_3gpuE0ELNS1_3repE0EEENS1_30default_config_static_selectorELNS0_4arch9wavefront6targetE1EEEvT1_ ; -- Begin function _ZN7rocprim17ROCPRIM_400000_NS6detail17trampoline_kernelINS0_14default_configENS1_25partition_config_selectorILNS1_17partition_subalgoE1EjNS0_10empty_typeEbEEZZNS1_14partition_implILS5_1ELb0ES3_jN6thrust23THRUST_200600_302600_NS6detail15normal_iteratorINSA_10device_ptrIjEEEEPS6_NSA_18transform_iteratorI7is_evenIjESF_NSA_11use_defaultESK_EENS0_5tupleIJNSA_16discard_iteratorISK_EESF_EEENSM_IJSG_SG_EEES6_PlJS6_EEE10hipError_tPvRmT3_T4_T5_T6_T7_T9_mT8_P12ihipStream_tbDpT10_ENKUlT_T0_E_clISt17integral_constantIbLb1EES1A_IbLb0EEEEDaS16_S17_EUlS16_E_NS1_11comp_targetILNS1_3genE0ELNS1_11target_archE4294967295ELNS1_3gpuE0ELNS1_3repE0EEENS1_30default_config_static_selectorELNS0_4arch9wavefront6targetE1EEEvT1_
	.globl	_ZN7rocprim17ROCPRIM_400000_NS6detail17trampoline_kernelINS0_14default_configENS1_25partition_config_selectorILNS1_17partition_subalgoE1EjNS0_10empty_typeEbEEZZNS1_14partition_implILS5_1ELb0ES3_jN6thrust23THRUST_200600_302600_NS6detail15normal_iteratorINSA_10device_ptrIjEEEEPS6_NSA_18transform_iteratorI7is_evenIjESF_NSA_11use_defaultESK_EENS0_5tupleIJNSA_16discard_iteratorISK_EESF_EEENSM_IJSG_SG_EEES6_PlJS6_EEE10hipError_tPvRmT3_T4_T5_T6_T7_T9_mT8_P12ihipStream_tbDpT10_ENKUlT_T0_E_clISt17integral_constantIbLb1EES1A_IbLb0EEEEDaS16_S17_EUlS16_E_NS1_11comp_targetILNS1_3genE0ELNS1_11target_archE4294967295ELNS1_3gpuE0ELNS1_3repE0EEENS1_30default_config_static_selectorELNS0_4arch9wavefront6targetE1EEEvT1_
	.p2align	8
	.type	_ZN7rocprim17ROCPRIM_400000_NS6detail17trampoline_kernelINS0_14default_configENS1_25partition_config_selectorILNS1_17partition_subalgoE1EjNS0_10empty_typeEbEEZZNS1_14partition_implILS5_1ELb0ES3_jN6thrust23THRUST_200600_302600_NS6detail15normal_iteratorINSA_10device_ptrIjEEEEPS6_NSA_18transform_iteratorI7is_evenIjESF_NSA_11use_defaultESK_EENS0_5tupleIJNSA_16discard_iteratorISK_EESF_EEENSM_IJSG_SG_EEES6_PlJS6_EEE10hipError_tPvRmT3_T4_T5_T6_T7_T9_mT8_P12ihipStream_tbDpT10_ENKUlT_T0_E_clISt17integral_constantIbLb1EES1A_IbLb0EEEEDaS16_S17_EUlS16_E_NS1_11comp_targetILNS1_3genE0ELNS1_11target_archE4294967295ELNS1_3gpuE0ELNS1_3repE0EEENS1_30default_config_static_selectorELNS0_4arch9wavefront6targetE1EEEvT1_,@function
_ZN7rocprim17ROCPRIM_400000_NS6detail17trampoline_kernelINS0_14default_configENS1_25partition_config_selectorILNS1_17partition_subalgoE1EjNS0_10empty_typeEbEEZZNS1_14partition_implILS5_1ELb0ES3_jN6thrust23THRUST_200600_302600_NS6detail15normal_iteratorINSA_10device_ptrIjEEEEPS6_NSA_18transform_iteratorI7is_evenIjESF_NSA_11use_defaultESK_EENS0_5tupleIJNSA_16discard_iteratorISK_EESF_EEENSM_IJSG_SG_EEES6_PlJS6_EEE10hipError_tPvRmT3_T4_T5_T6_T7_T9_mT8_P12ihipStream_tbDpT10_ENKUlT_T0_E_clISt17integral_constantIbLb1EES1A_IbLb0EEEEDaS16_S17_EUlS16_E_NS1_11comp_targetILNS1_3genE0ELNS1_11target_archE4294967295ELNS1_3gpuE0ELNS1_3repE0EEENS1_30default_config_static_selectorELNS0_4arch9wavefront6targetE1EEEvT1_: ; @_ZN7rocprim17ROCPRIM_400000_NS6detail17trampoline_kernelINS0_14default_configENS1_25partition_config_selectorILNS1_17partition_subalgoE1EjNS0_10empty_typeEbEEZZNS1_14partition_implILS5_1ELb0ES3_jN6thrust23THRUST_200600_302600_NS6detail15normal_iteratorINSA_10device_ptrIjEEEEPS6_NSA_18transform_iteratorI7is_evenIjESF_NSA_11use_defaultESK_EENS0_5tupleIJNSA_16discard_iteratorISK_EESF_EEENSM_IJSG_SG_EEES6_PlJS6_EEE10hipError_tPvRmT3_T4_T5_T6_T7_T9_mT8_P12ihipStream_tbDpT10_ENKUlT_T0_E_clISt17integral_constantIbLb1EES1A_IbLb0EEEEDaS16_S17_EUlS16_E_NS1_11comp_targetILNS1_3genE0ELNS1_11target_archE4294967295ELNS1_3gpuE0ELNS1_3repE0EEENS1_30default_config_static_selectorELNS0_4arch9wavefront6targetE1EEEvT1_
; %bb.0:
	.section	.rodata,"a",@progbits
	.p2align	6, 0x0
	.amdhsa_kernel _ZN7rocprim17ROCPRIM_400000_NS6detail17trampoline_kernelINS0_14default_configENS1_25partition_config_selectorILNS1_17partition_subalgoE1EjNS0_10empty_typeEbEEZZNS1_14partition_implILS5_1ELb0ES3_jN6thrust23THRUST_200600_302600_NS6detail15normal_iteratorINSA_10device_ptrIjEEEEPS6_NSA_18transform_iteratorI7is_evenIjESF_NSA_11use_defaultESK_EENS0_5tupleIJNSA_16discard_iteratorISK_EESF_EEENSM_IJSG_SG_EEES6_PlJS6_EEE10hipError_tPvRmT3_T4_T5_T6_T7_T9_mT8_P12ihipStream_tbDpT10_ENKUlT_T0_E_clISt17integral_constantIbLb1EES1A_IbLb0EEEEDaS16_S17_EUlS16_E_NS1_11comp_targetILNS1_3genE0ELNS1_11target_archE4294967295ELNS1_3gpuE0ELNS1_3repE0EEENS1_30default_config_static_selectorELNS0_4arch9wavefront6targetE1EEEvT1_
		.amdhsa_group_segment_fixed_size 0
		.amdhsa_private_segment_fixed_size 0
		.amdhsa_kernarg_size 136
		.amdhsa_user_sgpr_count 6
		.amdhsa_user_sgpr_private_segment_buffer 1
		.amdhsa_user_sgpr_dispatch_ptr 0
		.amdhsa_user_sgpr_queue_ptr 0
		.amdhsa_user_sgpr_kernarg_segment_ptr 1
		.amdhsa_user_sgpr_dispatch_id 0
		.amdhsa_user_sgpr_flat_scratch_init 0
		.amdhsa_user_sgpr_kernarg_preload_length 0
		.amdhsa_user_sgpr_kernarg_preload_offset 0
		.amdhsa_user_sgpr_private_segment_size 0
		.amdhsa_uses_dynamic_stack 0
		.amdhsa_system_sgpr_private_segment_wavefront_offset 0
		.amdhsa_system_sgpr_workgroup_id_x 1
		.amdhsa_system_sgpr_workgroup_id_y 0
		.amdhsa_system_sgpr_workgroup_id_z 0
		.amdhsa_system_sgpr_workgroup_info 0
		.amdhsa_system_vgpr_workitem_id 0
		.amdhsa_next_free_vgpr 1
		.amdhsa_next_free_sgpr 0
		.amdhsa_accum_offset 4
		.amdhsa_reserve_vcc 0
		.amdhsa_reserve_flat_scratch 0
		.amdhsa_float_round_mode_32 0
		.amdhsa_float_round_mode_16_64 0
		.amdhsa_float_denorm_mode_32 3
		.amdhsa_float_denorm_mode_16_64 3
		.amdhsa_dx10_clamp 1
		.amdhsa_ieee_mode 1
		.amdhsa_fp16_overflow 0
		.amdhsa_tg_split 0
		.amdhsa_exception_fp_ieee_invalid_op 0
		.amdhsa_exception_fp_denorm_src 0
		.amdhsa_exception_fp_ieee_div_zero 0
		.amdhsa_exception_fp_ieee_overflow 0
		.amdhsa_exception_fp_ieee_underflow 0
		.amdhsa_exception_fp_ieee_inexact 0
		.amdhsa_exception_int_div_zero 0
	.end_amdhsa_kernel
	.section	.text._ZN7rocprim17ROCPRIM_400000_NS6detail17trampoline_kernelINS0_14default_configENS1_25partition_config_selectorILNS1_17partition_subalgoE1EjNS0_10empty_typeEbEEZZNS1_14partition_implILS5_1ELb0ES3_jN6thrust23THRUST_200600_302600_NS6detail15normal_iteratorINSA_10device_ptrIjEEEEPS6_NSA_18transform_iteratorI7is_evenIjESF_NSA_11use_defaultESK_EENS0_5tupleIJNSA_16discard_iteratorISK_EESF_EEENSM_IJSG_SG_EEES6_PlJS6_EEE10hipError_tPvRmT3_T4_T5_T6_T7_T9_mT8_P12ihipStream_tbDpT10_ENKUlT_T0_E_clISt17integral_constantIbLb1EES1A_IbLb0EEEEDaS16_S17_EUlS16_E_NS1_11comp_targetILNS1_3genE0ELNS1_11target_archE4294967295ELNS1_3gpuE0ELNS1_3repE0EEENS1_30default_config_static_selectorELNS0_4arch9wavefront6targetE1EEEvT1_,"axG",@progbits,_ZN7rocprim17ROCPRIM_400000_NS6detail17trampoline_kernelINS0_14default_configENS1_25partition_config_selectorILNS1_17partition_subalgoE1EjNS0_10empty_typeEbEEZZNS1_14partition_implILS5_1ELb0ES3_jN6thrust23THRUST_200600_302600_NS6detail15normal_iteratorINSA_10device_ptrIjEEEEPS6_NSA_18transform_iteratorI7is_evenIjESF_NSA_11use_defaultESK_EENS0_5tupleIJNSA_16discard_iteratorISK_EESF_EEENSM_IJSG_SG_EEES6_PlJS6_EEE10hipError_tPvRmT3_T4_T5_T6_T7_T9_mT8_P12ihipStream_tbDpT10_ENKUlT_T0_E_clISt17integral_constantIbLb1EES1A_IbLb0EEEEDaS16_S17_EUlS16_E_NS1_11comp_targetILNS1_3genE0ELNS1_11target_archE4294967295ELNS1_3gpuE0ELNS1_3repE0EEENS1_30default_config_static_selectorELNS0_4arch9wavefront6targetE1EEEvT1_,comdat
.Lfunc_end3051:
	.size	_ZN7rocprim17ROCPRIM_400000_NS6detail17trampoline_kernelINS0_14default_configENS1_25partition_config_selectorILNS1_17partition_subalgoE1EjNS0_10empty_typeEbEEZZNS1_14partition_implILS5_1ELb0ES3_jN6thrust23THRUST_200600_302600_NS6detail15normal_iteratorINSA_10device_ptrIjEEEEPS6_NSA_18transform_iteratorI7is_evenIjESF_NSA_11use_defaultESK_EENS0_5tupleIJNSA_16discard_iteratorISK_EESF_EEENSM_IJSG_SG_EEES6_PlJS6_EEE10hipError_tPvRmT3_T4_T5_T6_T7_T9_mT8_P12ihipStream_tbDpT10_ENKUlT_T0_E_clISt17integral_constantIbLb1EES1A_IbLb0EEEEDaS16_S17_EUlS16_E_NS1_11comp_targetILNS1_3genE0ELNS1_11target_archE4294967295ELNS1_3gpuE0ELNS1_3repE0EEENS1_30default_config_static_selectorELNS0_4arch9wavefront6targetE1EEEvT1_, .Lfunc_end3051-_ZN7rocprim17ROCPRIM_400000_NS6detail17trampoline_kernelINS0_14default_configENS1_25partition_config_selectorILNS1_17partition_subalgoE1EjNS0_10empty_typeEbEEZZNS1_14partition_implILS5_1ELb0ES3_jN6thrust23THRUST_200600_302600_NS6detail15normal_iteratorINSA_10device_ptrIjEEEEPS6_NSA_18transform_iteratorI7is_evenIjESF_NSA_11use_defaultESK_EENS0_5tupleIJNSA_16discard_iteratorISK_EESF_EEENSM_IJSG_SG_EEES6_PlJS6_EEE10hipError_tPvRmT3_T4_T5_T6_T7_T9_mT8_P12ihipStream_tbDpT10_ENKUlT_T0_E_clISt17integral_constantIbLb1EES1A_IbLb0EEEEDaS16_S17_EUlS16_E_NS1_11comp_targetILNS1_3genE0ELNS1_11target_archE4294967295ELNS1_3gpuE0ELNS1_3repE0EEENS1_30default_config_static_selectorELNS0_4arch9wavefront6targetE1EEEvT1_
                                        ; -- End function
	.section	.AMDGPU.csdata,"",@progbits
; Kernel info:
; codeLenInByte = 0
; NumSgprs: 4
; NumVgprs: 0
; NumAgprs: 0
; TotalNumVgprs: 0
; ScratchSize: 0
; MemoryBound: 0
; FloatMode: 240
; IeeeMode: 1
; LDSByteSize: 0 bytes/workgroup (compile time only)
; SGPRBlocks: 0
; VGPRBlocks: 0
; NumSGPRsForWavesPerEU: 4
; NumVGPRsForWavesPerEU: 1
; AccumOffset: 4
; Occupancy: 8
; WaveLimiterHint : 0
; COMPUTE_PGM_RSRC2:SCRATCH_EN: 0
; COMPUTE_PGM_RSRC2:USER_SGPR: 6
; COMPUTE_PGM_RSRC2:TRAP_HANDLER: 0
; COMPUTE_PGM_RSRC2:TGID_X_EN: 1
; COMPUTE_PGM_RSRC2:TGID_Y_EN: 0
; COMPUTE_PGM_RSRC2:TGID_Z_EN: 0
; COMPUTE_PGM_RSRC2:TIDIG_COMP_CNT: 0
; COMPUTE_PGM_RSRC3_GFX90A:ACCUM_OFFSET: 0
; COMPUTE_PGM_RSRC3_GFX90A:TG_SPLIT: 0
	.section	.text._ZN7rocprim17ROCPRIM_400000_NS6detail17trampoline_kernelINS0_14default_configENS1_25partition_config_selectorILNS1_17partition_subalgoE1EjNS0_10empty_typeEbEEZZNS1_14partition_implILS5_1ELb0ES3_jN6thrust23THRUST_200600_302600_NS6detail15normal_iteratorINSA_10device_ptrIjEEEEPS6_NSA_18transform_iteratorI7is_evenIjESF_NSA_11use_defaultESK_EENS0_5tupleIJNSA_16discard_iteratorISK_EESF_EEENSM_IJSG_SG_EEES6_PlJS6_EEE10hipError_tPvRmT3_T4_T5_T6_T7_T9_mT8_P12ihipStream_tbDpT10_ENKUlT_T0_E_clISt17integral_constantIbLb1EES1A_IbLb0EEEEDaS16_S17_EUlS16_E_NS1_11comp_targetILNS1_3genE5ELNS1_11target_archE942ELNS1_3gpuE9ELNS1_3repE0EEENS1_30default_config_static_selectorELNS0_4arch9wavefront6targetE1EEEvT1_,"axG",@progbits,_ZN7rocprim17ROCPRIM_400000_NS6detail17trampoline_kernelINS0_14default_configENS1_25partition_config_selectorILNS1_17partition_subalgoE1EjNS0_10empty_typeEbEEZZNS1_14partition_implILS5_1ELb0ES3_jN6thrust23THRUST_200600_302600_NS6detail15normal_iteratorINSA_10device_ptrIjEEEEPS6_NSA_18transform_iteratorI7is_evenIjESF_NSA_11use_defaultESK_EENS0_5tupleIJNSA_16discard_iteratorISK_EESF_EEENSM_IJSG_SG_EEES6_PlJS6_EEE10hipError_tPvRmT3_T4_T5_T6_T7_T9_mT8_P12ihipStream_tbDpT10_ENKUlT_T0_E_clISt17integral_constantIbLb1EES1A_IbLb0EEEEDaS16_S17_EUlS16_E_NS1_11comp_targetILNS1_3genE5ELNS1_11target_archE942ELNS1_3gpuE9ELNS1_3repE0EEENS1_30default_config_static_selectorELNS0_4arch9wavefront6targetE1EEEvT1_,comdat
	.protected	_ZN7rocprim17ROCPRIM_400000_NS6detail17trampoline_kernelINS0_14default_configENS1_25partition_config_selectorILNS1_17partition_subalgoE1EjNS0_10empty_typeEbEEZZNS1_14partition_implILS5_1ELb0ES3_jN6thrust23THRUST_200600_302600_NS6detail15normal_iteratorINSA_10device_ptrIjEEEEPS6_NSA_18transform_iteratorI7is_evenIjESF_NSA_11use_defaultESK_EENS0_5tupleIJNSA_16discard_iteratorISK_EESF_EEENSM_IJSG_SG_EEES6_PlJS6_EEE10hipError_tPvRmT3_T4_T5_T6_T7_T9_mT8_P12ihipStream_tbDpT10_ENKUlT_T0_E_clISt17integral_constantIbLb1EES1A_IbLb0EEEEDaS16_S17_EUlS16_E_NS1_11comp_targetILNS1_3genE5ELNS1_11target_archE942ELNS1_3gpuE9ELNS1_3repE0EEENS1_30default_config_static_selectorELNS0_4arch9wavefront6targetE1EEEvT1_ ; -- Begin function _ZN7rocprim17ROCPRIM_400000_NS6detail17trampoline_kernelINS0_14default_configENS1_25partition_config_selectorILNS1_17partition_subalgoE1EjNS0_10empty_typeEbEEZZNS1_14partition_implILS5_1ELb0ES3_jN6thrust23THRUST_200600_302600_NS6detail15normal_iteratorINSA_10device_ptrIjEEEEPS6_NSA_18transform_iteratorI7is_evenIjESF_NSA_11use_defaultESK_EENS0_5tupleIJNSA_16discard_iteratorISK_EESF_EEENSM_IJSG_SG_EEES6_PlJS6_EEE10hipError_tPvRmT3_T4_T5_T6_T7_T9_mT8_P12ihipStream_tbDpT10_ENKUlT_T0_E_clISt17integral_constantIbLb1EES1A_IbLb0EEEEDaS16_S17_EUlS16_E_NS1_11comp_targetILNS1_3genE5ELNS1_11target_archE942ELNS1_3gpuE9ELNS1_3repE0EEENS1_30default_config_static_selectorELNS0_4arch9wavefront6targetE1EEEvT1_
	.globl	_ZN7rocprim17ROCPRIM_400000_NS6detail17trampoline_kernelINS0_14default_configENS1_25partition_config_selectorILNS1_17partition_subalgoE1EjNS0_10empty_typeEbEEZZNS1_14partition_implILS5_1ELb0ES3_jN6thrust23THRUST_200600_302600_NS6detail15normal_iteratorINSA_10device_ptrIjEEEEPS6_NSA_18transform_iteratorI7is_evenIjESF_NSA_11use_defaultESK_EENS0_5tupleIJNSA_16discard_iteratorISK_EESF_EEENSM_IJSG_SG_EEES6_PlJS6_EEE10hipError_tPvRmT3_T4_T5_T6_T7_T9_mT8_P12ihipStream_tbDpT10_ENKUlT_T0_E_clISt17integral_constantIbLb1EES1A_IbLb0EEEEDaS16_S17_EUlS16_E_NS1_11comp_targetILNS1_3genE5ELNS1_11target_archE942ELNS1_3gpuE9ELNS1_3repE0EEENS1_30default_config_static_selectorELNS0_4arch9wavefront6targetE1EEEvT1_
	.p2align	8
	.type	_ZN7rocprim17ROCPRIM_400000_NS6detail17trampoline_kernelINS0_14default_configENS1_25partition_config_selectorILNS1_17partition_subalgoE1EjNS0_10empty_typeEbEEZZNS1_14partition_implILS5_1ELb0ES3_jN6thrust23THRUST_200600_302600_NS6detail15normal_iteratorINSA_10device_ptrIjEEEEPS6_NSA_18transform_iteratorI7is_evenIjESF_NSA_11use_defaultESK_EENS0_5tupleIJNSA_16discard_iteratorISK_EESF_EEENSM_IJSG_SG_EEES6_PlJS6_EEE10hipError_tPvRmT3_T4_T5_T6_T7_T9_mT8_P12ihipStream_tbDpT10_ENKUlT_T0_E_clISt17integral_constantIbLb1EES1A_IbLb0EEEEDaS16_S17_EUlS16_E_NS1_11comp_targetILNS1_3genE5ELNS1_11target_archE942ELNS1_3gpuE9ELNS1_3repE0EEENS1_30default_config_static_selectorELNS0_4arch9wavefront6targetE1EEEvT1_,@function
_ZN7rocprim17ROCPRIM_400000_NS6detail17trampoline_kernelINS0_14default_configENS1_25partition_config_selectorILNS1_17partition_subalgoE1EjNS0_10empty_typeEbEEZZNS1_14partition_implILS5_1ELb0ES3_jN6thrust23THRUST_200600_302600_NS6detail15normal_iteratorINSA_10device_ptrIjEEEEPS6_NSA_18transform_iteratorI7is_evenIjESF_NSA_11use_defaultESK_EENS0_5tupleIJNSA_16discard_iteratorISK_EESF_EEENSM_IJSG_SG_EEES6_PlJS6_EEE10hipError_tPvRmT3_T4_T5_T6_T7_T9_mT8_P12ihipStream_tbDpT10_ENKUlT_T0_E_clISt17integral_constantIbLb1EES1A_IbLb0EEEEDaS16_S17_EUlS16_E_NS1_11comp_targetILNS1_3genE5ELNS1_11target_archE942ELNS1_3gpuE9ELNS1_3repE0EEENS1_30default_config_static_selectorELNS0_4arch9wavefront6targetE1EEEvT1_: ; @_ZN7rocprim17ROCPRIM_400000_NS6detail17trampoline_kernelINS0_14default_configENS1_25partition_config_selectorILNS1_17partition_subalgoE1EjNS0_10empty_typeEbEEZZNS1_14partition_implILS5_1ELb0ES3_jN6thrust23THRUST_200600_302600_NS6detail15normal_iteratorINSA_10device_ptrIjEEEEPS6_NSA_18transform_iteratorI7is_evenIjESF_NSA_11use_defaultESK_EENS0_5tupleIJNSA_16discard_iteratorISK_EESF_EEENSM_IJSG_SG_EEES6_PlJS6_EEE10hipError_tPvRmT3_T4_T5_T6_T7_T9_mT8_P12ihipStream_tbDpT10_ENKUlT_T0_E_clISt17integral_constantIbLb1EES1A_IbLb0EEEEDaS16_S17_EUlS16_E_NS1_11comp_targetILNS1_3genE5ELNS1_11target_archE942ELNS1_3gpuE9ELNS1_3repE0EEENS1_30default_config_static_selectorELNS0_4arch9wavefront6targetE1EEEvT1_
; %bb.0:
	.section	.rodata,"a",@progbits
	.p2align	6, 0x0
	.amdhsa_kernel _ZN7rocprim17ROCPRIM_400000_NS6detail17trampoline_kernelINS0_14default_configENS1_25partition_config_selectorILNS1_17partition_subalgoE1EjNS0_10empty_typeEbEEZZNS1_14partition_implILS5_1ELb0ES3_jN6thrust23THRUST_200600_302600_NS6detail15normal_iteratorINSA_10device_ptrIjEEEEPS6_NSA_18transform_iteratorI7is_evenIjESF_NSA_11use_defaultESK_EENS0_5tupleIJNSA_16discard_iteratorISK_EESF_EEENSM_IJSG_SG_EEES6_PlJS6_EEE10hipError_tPvRmT3_T4_T5_T6_T7_T9_mT8_P12ihipStream_tbDpT10_ENKUlT_T0_E_clISt17integral_constantIbLb1EES1A_IbLb0EEEEDaS16_S17_EUlS16_E_NS1_11comp_targetILNS1_3genE5ELNS1_11target_archE942ELNS1_3gpuE9ELNS1_3repE0EEENS1_30default_config_static_selectorELNS0_4arch9wavefront6targetE1EEEvT1_
		.amdhsa_group_segment_fixed_size 0
		.amdhsa_private_segment_fixed_size 0
		.amdhsa_kernarg_size 136
		.amdhsa_user_sgpr_count 6
		.amdhsa_user_sgpr_private_segment_buffer 1
		.amdhsa_user_sgpr_dispatch_ptr 0
		.amdhsa_user_sgpr_queue_ptr 0
		.amdhsa_user_sgpr_kernarg_segment_ptr 1
		.amdhsa_user_sgpr_dispatch_id 0
		.amdhsa_user_sgpr_flat_scratch_init 0
		.amdhsa_user_sgpr_kernarg_preload_length 0
		.amdhsa_user_sgpr_kernarg_preload_offset 0
		.amdhsa_user_sgpr_private_segment_size 0
		.amdhsa_uses_dynamic_stack 0
		.amdhsa_system_sgpr_private_segment_wavefront_offset 0
		.amdhsa_system_sgpr_workgroup_id_x 1
		.amdhsa_system_sgpr_workgroup_id_y 0
		.amdhsa_system_sgpr_workgroup_id_z 0
		.amdhsa_system_sgpr_workgroup_info 0
		.amdhsa_system_vgpr_workitem_id 0
		.amdhsa_next_free_vgpr 1
		.amdhsa_next_free_sgpr 0
		.amdhsa_accum_offset 4
		.amdhsa_reserve_vcc 0
		.amdhsa_reserve_flat_scratch 0
		.amdhsa_float_round_mode_32 0
		.amdhsa_float_round_mode_16_64 0
		.amdhsa_float_denorm_mode_32 3
		.amdhsa_float_denorm_mode_16_64 3
		.amdhsa_dx10_clamp 1
		.amdhsa_ieee_mode 1
		.amdhsa_fp16_overflow 0
		.amdhsa_tg_split 0
		.amdhsa_exception_fp_ieee_invalid_op 0
		.amdhsa_exception_fp_denorm_src 0
		.amdhsa_exception_fp_ieee_div_zero 0
		.amdhsa_exception_fp_ieee_overflow 0
		.amdhsa_exception_fp_ieee_underflow 0
		.amdhsa_exception_fp_ieee_inexact 0
		.amdhsa_exception_int_div_zero 0
	.end_amdhsa_kernel
	.section	.text._ZN7rocprim17ROCPRIM_400000_NS6detail17trampoline_kernelINS0_14default_configENS1_25partition_config_selectorILNS1_17partition_subalgoE1EjNS0_10empty_typeEbEEZZNS1_14partition_implILS5_1ELb0ES3_jN6thrust23THRUST_200600_302600_NS6detail15normal_iteratorINSA_10device_ptrIjEEEEPS6_NSA_18transform_iteratorI7is_evenIjESF_NSA_11use_defaultESK_EENS0_5tupleIJNSA_16discard_iteratorISK_EESF_EEENSM_IJSG_SG_EEES6_PlJS6_EEE10hipError_tPvRmT3_T4_T5_T6_T7_T9_mT8_P12ihipStream_tbDpT10_ENKUlT_T0_E_clISt17integral_constantIbLb1EES1A_IbLb0EEEEDaS16_S17_EUlS16_E_NS1_11comp_targetILNS1_3genE5ELNS1_11target_archE942ELNS1_3gpuE9ELNS1_3repE0EEENS1_30default_config_static_selectorELNS0_4arch9wavefront6targetE1EEEvT1_,"axG",@progbits,_ZN7rocprim17ROCPRIM_400000_NS6detail17trampoline_kernelINS0_14default_configENS1_25partition_config_selectorILNS1_17partition_subalgoE1EjNS0_10empty_typeEbEEZZNS1_14partition_implILS5_1ELb0ES3_jN6thrust23THRUST_200600_302600_NS6detail15normal_iteratorINSA_10device_ptrIjEEEEPS6_NSA_18transform_iteratorI7is_evenIjESF_NSA_11use_defaultESK_EENS0_5tupleIJNSA_16discard_iteratorISK_EESF_EEENSM_IJSG_SG_EEES6_PlJS6_EEE10hipError_tPvRmT3_T4_T5_T6_T7_T9_mT8_P12ihipStream_tbDpT10_ENKUlT_T0_E_clISt17integral_constantIbLb1EES1A_IbLb0EEEEDaS16_S17_EUlS16_E_NS1_11comp_targetILNS1_3genE5ELNS1_11target_archE942ELNS1_3gpuE9ELNS1_3repE0EEENS1_30default_config_static_selectorELNS0_4arch9wavefront6targetE1EEEvT1_,comdat
.Lfunc_end3052:
	.size	_ZN7rocprim17ROCPRIM_400000_NS6detail17trampoline_kernelINS0_14default_configENS1_25partition_config_selectorILNS1_17partition_subalgoE1EjNS0_10empty_typeEbEEZZNS1_14partition_implILS5_1ELb0ES3_jN6thrust23THRUST_200600_302600_NS6detail15normal_iteratorINSA_10device_ptrIjEEEEPS6_NSA_18transform_iteratorI7is_evenIjESF_NSA_11use_defaultESK_EENS0_5tupleIJNSA_16discard_iteratorISK_EESF_EEENSM_IJSG_SG_EEES6_PlJS6_EEE10hipError_tPvRmT3_T4_T5_T6_T7_T9_mT8_P12ihipStream_tbDpT10_ENKUlT_T0_E_clISt17integral_constantIbLb1EES1A_IbLb0EEEEDaS16_S17_EUlS16_E_NS1_11comp_targetILNS1_3genE5ELNS1_11target_archE942ELNS1_3gpuE9ELNS1_3repE0EEENS1_30default_config_static_selectorELNS0_4arch9wavefront6targetE1EEEvT1_, .Lfunc_end3052-_ZN7rocprim17ROCPRIM_400000_NS6detail17trampoline_kernelINS0_14default_configENS1_25partition_config_selectorILNS1_17partition_subalgoE1EjNS0_10empty_typeEbEEZZNS1_14partition_implILS5_1ELb0ES3_jN6thrust23THRUST_200600_302600_NS6detail15normal_iteratorINSA_10device_ptrIjEEEEPS6_NSA_18transform_iteratorI7is_evenIjESF_NSA_11use_defaultESK_EENS0_5tupleIJNSA_16discard_iteratorISK_EESF_EEENSM_IJSG_SG_EEES6_PlJS6_EEE10hipError_tPvRmT3_T4_T5_T6_T7_T9_mT8_P12ihipStream_tbDpT10_ENKUlT_T0_E_clISt17integral_constantIbLb1EES1A_IbLb0EEEEDaS16_S17_EUlS16_E_NS1_11comp_targetILNS1_3genE5ELNS1_11target_archE942ELNS1_3gpuE9ELNS1_3repE0EEENS1_30default_config_static_selectorELNS0_4arch9wavefront6targetE1EEEvT1_
                                        ; -- End function
	.section	.AMDGPU.csdata,"",@progbits
; Kernel info:
; codeLenInByte = 0
; NumSgprs: 4
; NumVgprs: 0
; NumAgprs: 0
; TotalNumVgprs: 0
; ScratchSize: 0
; MemoryBound: 0
; FloatMode: 240
; IeeeMode: 1
; LDSByteSize: 0 bytes/workgroup (compile time only)
; SGPRBlocks: 0
; VGPRBlocks: 0
; NumSGPRsForWavesPerEU: 4
; NumVGPRsForWavesPerEU: 1
; AccumOffset: 4
; Occupancy: 8
; WaveLimiterHint : 0
; COMPUTE_PGM_RSRC2:SCRATCH_EN: 0
; COMPUTE_PGM_RSRC2:USER_SGPR: 6
; COMPUTE_PGM_RSRC2:TRAP_HANDLER: 0
; COMPUTE_PGM_RSRC2:TGID_X_EN: 1
; COMPUTE_PGM_RSRC2:TGID_Y_EN: 0
; COMPUTE_PGM_RSRC2:TGID_Z_EN: 0
; COMPUTE_PGM_RSRC2:TIDIG_COMP_CNT: 0
; COMPUTE_PGM_RSRC3_GFX90A:ACCUM_OFFSET: 0
; COMPUTE_PGM_RSRC3_GFX90A:TG_SPLIT: 0
	.section	.text._ZN7rocprim17ROCPRIM_400000_NS6detail17trampoline_kernelINS0_14default_configENS1_25partition_config_selectorILNS1_17partition_subalgoE1EjNS0_10empty_typeEbEEZZNS1_14partition_implILS5_1ELb0ES3_jN6thrust23THRUST_200600_302600_NS6detail15normal_iteratorINSA_10device_ptrIjEEEEPS6_NSA_18transform_iteratorI7is_evenIjESF_NSA_11use_defaultESK_EENS0_5tupleIJNSA_16discard_iteratorISK_EESF_EEENSM_IJSG_SG_EEES6_PlJS6_EEE10hipError_tPvRmT3_T4_T5_T6_T7_T9_mT8_P12ihipStream_tbDpT10_ENKUlT_T0_E_clISt17integral_constantIbLb1EES1A_IbLb0EEEEDaS16_S17_EUlS16_E_NS1_11comp_targetILNS1_3genE4ELNS1_11target_archE910ELNS1_3gpuE8ELNS1_3repE0EEENS1_30default_config_static_selectorELNS0_4arch9wavefront6targetE1EEEvT1_,"axG",@progbits,_ZN7rocprim17ROCPRIM_400000_NS6detail17trampoline_kernelINS0_14default_configENS1_25partition_config_selectorILNS1_17partition_subalgoE1EjNS0_10empty_typeEbEEZZNS1_14partition_implILS5_1ELb0ES3_jN6thrust23THRUST_200600_302600_NS6detail15normal_iteratorINSA_10device_ptrIjEEEEPS6_NSA_18transform_iteratorI7is_evenIjESF_NSA_11use_defaultESK_EENS0_5tupleIJNSA_16discard_iteratorISK_EESF_EEENSM_IJSG_SG_EEES6_PlJS6_EEE10hipError_tPvRmT3_T4_T5_T6_T7_T9_mT8_P12ihipStream_tbDpT10_ENKUlT_T0_E_clISt17integral_constantIbLb1EES1A_IbLb0EEEEDaS16_S17_EUlS16_E_NS1_11comp_targetILNS1_3genE4ELNS1_11target_archE910ELNS1_3gpuE8ELNS1_3repE0EEENS1_30default_config_static_selectorELNS0_4arch9wavefront6targetE1EEEvT1_,comdat
	.protected	_ZN7rocprim17ROCPRIM_400000_NS6detail17trampoline_kernelINS0_14default_configENS1_25partition_config_selectorILNS1_17partition_subalgoE1EjNS0_10empty_typeEbEEZZNS1_14partition_implILS5_1ELb0ES3_jN6thrust23THRUST_200600_302600_NS6detail15normal_iteratorINSA_10device_ptrIjEEEEPS6_NSA_18transform_iteratorI7is_evenIjESF_NSA_11use_defaultESK_EENS0_5tupleIJNSA_16discard_iteratorISK_EESF_EEENSM_IJSG_SG_EEES6_PlJS6_EEE10hipError_tPvRmT3_T4_T5_T6_T7_T9_mT8_P12ihipStream_tbDpT10_ENKUlT_T0_E_clISt17integral_constantIbLb1EES1A_IbLb0EEEEDaS16_S17_EUlS16_E_NS1_11comp_targetILNS1_3genE4ELNS1_11target_archE910ELNS1_3gpuE8ELNS1_3repE0EEENS1_30default_config_static_selectorELNS0_4arch9wavefront6targetE1EEEvT1_ ; -- Begin function _ZN7rocprim17ROCPRIM_400000_NS6detail17trampoline_kernelINS0_14default_configENS1_25partition_config_selectorILNS1_17partition_subalgoE1EjNS0_10empty_typeEbEEZZNS1_14partition_implILS5_1ELb0ES3_jN6thrust23THRUST_200600_302600_NS6detail15normal_iteratorINSA_10device_ptrIjEEEEPS6_NSA_18transform_iteratorI7is_evenIjESF_NSA_11use_defaultESK_EENS0_5tupleIJNSA_16discard_iteratorISK_EESF_EEENSM_IJSG_SG_EEES6_PlJS6_EEE10hipError_tPvRmT3_T4_T5_T6_T7_T9_mT8_P12ihipStream_tbDpT10_ENKUlT_T0_E_clISt17integral_constantIbLb1EES1A_IbLb0EEEEDaS16_S17_EUlS16_E_NS1_11comp_targetILNS1_3genE4ELNS1_11target_archE910ELNS1_3gpuE8ELNS1_3repE0EEENS1_30default_config_static_selectorELNS0_4arch9wavefront6targetE1EEEvT1_
	.globl	_ZN7rocprim17ROCPRIM_400000_NS6detail17trampoline_kernelINS0_14default_configENS1_25partition_config_selectorILNS1_17partition_subalgoE1EjNS0_10empty_typeEbEEZZNS1_14partition_implILS5_1ELb0ES3_jN6thrust23THRUST_200600_302600_NS6detail15normal_iteratorINSA_10device_ptrIjEEEEPS6_NSA_18transform_iteratorI7is_evenIjESF_NSA_11use_defaultESK_EENS0_5tupleIJNSA_16discard_iteratorISK_EESF_EEENSM_IJSG_SG_EEES6_PlJS6_EEE10hipError_tPvRmT3_T4_T5_T6_T7_T9_mT8_P12ihipStream_tbDpT10_ENKUlT_T0_E_clISt17integral_constantIbLb1EES1A_IbLb0EEEEDaS16_S17_EUlS16_E_NS1_11comp_targetILNS1_3genE4ELNS1_11target_archE910ELNS1_3gpuE8ELNS1_3repE0EEENS1_30default_config_static_selectorELNS0_4arch9wavefront6targetE1EEEvT1_
	.p2align	8
	.type	_ZN7rocprim17ROCPRIM_400000_NS6detail17trampoline_kernelINS0_14default_configENS1_25partition_config_selectorILNS1_17partition_subalgoE1EjNS0_10empty_typeEbEEZZNS1_14partition_implILS5_1ELb0ES3_jN6thrust23THRUST_200600_302600_NS6detail15normal_iteratorINSA_10device_ptrIjEEEEPS6_NSA_18transform_iteratorI7is_evenIjESF_NSA_11use_defaultESK_EENS0_5tupleIJNSA_16discard_iteratorISK_EESF_EEENSM_IJSG_SG_EEES6_PlJS6_EEE10hipError_tPvRmT3_T4_T5_T6_T7_T9_mT8_P12ihipStream_tbDpT10_ENKUlT_T0_E_clISt17integral_constantIbLb1EES1A_IbLb0EEEEDaS16_S17_EUlS16_E_NS1_11comp_targetILNS1_3genE4ELNS1_11target_archE910ELNS1_3gpuE8ELNS1_3repE0EEENS1_30default_config_static_selectorELNS0_4arch9wavefront6targetE1EEEvT1_,@function
_ZN7rocprim17ROCPRIM_400000_NS6detail17trampoline_kernelINS0_14default_configENS1_25partition_config_selectorILNS1_17partition_subalgoE1EjNS0_10empty_typeEbEEZZNS1_14partition_implILS5_1ELb0ES3_jN6thrust23THRUST_200600_302600_NS6detail15normal_iteratorINSA_10device_ptrIjEEEEPS6_NSA_18transform_iteratorI7is_evenIjESF_NSA_11use_defaultESK_EENS0_5tupleIJNSA_16discard_iteratorISK_EESF_EEENSM_IJSG_SG_EEES6_PlJS6_EEE10hipError_tPvRmT3_T4_T5_T6_T7_T9_mT8_P12ihipStream_tbDpT10_ENKUlT_T0_E_clISt17integral_constantIbLb1EES1A_IbLb0EEEEDaS16_S17_EUlS16_E_NS1_11comp_targetILNS1_3genE4ELNS1_11target_archE910ELNS1_3gpuE8ELNS1_3repE0EEENS1_30default_config_static_selectorELNS0_4arch9wavefront6targetE1EEEvT1_: ; @_ZN7rocprim17ROCPRIM_400000_NS6detail17trampoline_kernelINS0_14default_configENS1_25partition_config_selectorILNS1_17partition_subalgoE1EjNS0_10empty_typeEbEEZZNS1_14partition_implILS5_1ELb0ES3_jN6thrust23THRUST_200600_302600_NS6detail15normal_iteratorINSA_10device_ptrIjEEEEPS6_NSA_18transform_iteratorI7is_evenIjESF_NSA_11use_defaultESK_EENS0_5tupleIJNSA_16discard_iteratorISK_EESF_EEENSM_IJSG_SG_EEES6_PlJS6_EEE10hipError_tPvRmT3_T4_T5_T6_T7_T9_mT8_P12ihipStream_tbDpT10_ENKUlT_T0_E_clISt17integral_constantIbLb1EES1A_IbLb0EEEEDaS16_S17_EUlS16_E_NS1_11comp_targetILNS1_3genE4ELNS1_11target_archE910ELNS1_3gpuE8ELNS1_3repE0EEENS1_30default_config_static_selectorELNS0_4arch9wavefront6targetE1EEEvT1_
; %bb.0:
	s_load_dwordx2 s[0:1], s[4:5], 0x68
	s_load_dwordx4 s[24:27], s[4:5], 0x8
	s_load_dwordx2 s[2:3], s[4:5], 0x20
	s_load_dwordx4 s[20:23], s[4:5], 0x58
	s_mul_i32 s10, s6, 0x700
	s_waitcnt lgkmcnt(0)
	v_mov_b32_e32 v3, s1
	s_load_dword s1, s[4:5], 0x80
	s_lshl_b64 s[8:9], s[26:27], 2
	s_add_u32 s7, s24, s8
	s_addc_u32 s12, s25, s9
	v_mov_b32_e32 v2, s0
	s_waitcnt lgkmcnt(0)
	s_add_i32 s13, s1, -1
	s_mulk_i32 s1, 0x700
	s_add_i32 s11, s1, s26
	s_sub_i32 s33, s0, s11
	s_addk_i32 s33, 0x700
	s_add_u32 s0, s26, s1
	s_addc_u32 s1, s27, 0
	s_cmp_eq_u32 s6, s13
	s_load_dwordx2 s[28:29], s[22:23], 0x0
	s_cselect_b64 s[22:23], -1, 0
	s_cmp_lg_u32 s6, s13
	s_mov_b32 s11, 0
	v_cmp_lt_u64_e32 vcc, s[0:1], v[2:3]
	s_cselect_b64 s[0:1], -1, 0
	s_or_b64 s[24:25], s[0:1], vcc
	s_lshl_b64 s[30:31], s[10:11], 2
	s_add_u32 s7, s7, s30
	s_addc_u32 s12, s12, s31
	s_mov_b64 s[0:1], -1
	s_and_b64 vcc, exec, s[24:25]
	v_lshlrev_b32_e32 v18, 2, v0
	s_cbranch_vccz .LBB3053_2
; %bb.1:
	v_mov_b32_e32 v1, s12
	v_add_co_u32_e32 v2, vcc, s7, v18
	v_addc_co_u32_e32 v3, vcc, 0, v1, vcc
	v_add_co_u32_e32 v4, vcc, 0x1000, v2
	v_addc_co_u32_e32 v5, vcc, 0, v3, vcc
	flat_load_dword v1, v[2:3]
	flat_load_dword v6, v[2:3] offset:1024
	flat_load_dword v7, v[2:3] offset:2048
	flat_load_dword v8, v[2:3] offset:3072
	flat_load_dword v9, v[4:5]
	flat_load_dword v10, v[4:5] offset:1024
	flat_load_dword v11, v[4:5] offset:2048
	s_mov_b64 s[0:1], 0
	s_waitcnt vmcnt(0) lgkmcnt(0)
	ds_write2st64_b32 v18, v1, v6 offset1:4
	ds_write2st64_b32 v18, v7, v8 offset0:8 offset1:12
	ds_write2st64_b32 v18, v9, v10 offset0:16 offset1:20
	ds_write_b32 v18, v11 offset:6144
	s_waitcnt lgkmcnt(0)
	s_barrier
.LBB3053_2:
	s_andn2_b64 vcc, exec, s[0:1]
	v_cmp_gt_u32_e64 s[0:1], s33, v0
	s_cbranch_vccnz .LBB3053_18
; %bb.3:
                                        ; implicit-def: $vgpr2_vgpr3_vgpr4_vgpr5_vgpr6_vgpr7_vgpr8
	s_and_saveexec_b64 s[10:11], s[0:1]
	s_cbranch_execz .LBB3053_5
; %bb.4:
	v_mov_b32_e32 v1, s12
	v_add_co_u32_e32 v2, vcc, s7, v18
	v_addc_co_u32_e32 v3, vcc, 0, v1, vcc
	flat_load_dword v2, v[2:3]
.LBB3053_5:
	s_or_b64 exec, exec, s[10:11]
	v_or_b32_e32 v1, 0x100, v0
	v_cmp_gt_u32_e32 vcc, s33, v1
	s_and_saveexec_b64 s[0:1], vcc
	s_cbranch_execz .LBB3053_7
; %bb.6:
	v_mov_b32_e32 v1, s12
	v_add_co_u32_e32 v10, vcc, s7, v18
	v_addc_co_u32_e32 v11, vcc, 0, v1, vcc
	flat_load_dword v3, v[10:11] offset:1024
.LBB3053_7:
	s_or_b64 exec, exec, s[0:1]
	v_or_b32_e32 v1, 0x200, v0
	v_cmp_gt_u32_e32 vcc, s33, v1
	s_and_saveexec_b64 s[0:1], vcc
	s_cbranch_execz .LBB3053_9
; %bb.8:
	v_mov_b32_e32 v1, s12
	v_add_co_u32_e32 v10, vcc, s7, v18
	v_addc_co_u32_e32 v11, vcc, 0, v1, vcc
	flat_load_dword v4, v[10:11] offset:2048
.LBB3053_9:
	;; [unrolled: 11-line block ×3, first 2 shown]
	s_or_b64 exec, exec, s[0:1]
	v_or_b32_e32 v1, 0x400, v0
	v_cmp_gt_u32_e32 vcc, s33, v1
	s_and_saveexec_b64 s[0:1], vcc
	s_cbranch_execz .LBB3053_13
; %bb.12:
	v_lshlrev_b32_e32 v1, 2, v1
	v_mov_b32_e32 v6, s12
	v_add_co_u32_e32 v10, vcc, s7, v1
	v_addc_co_u32_e32 v11, vcc, 0, v6, vcc
	flat_load_dword v6, v[10:11]
.LBB3053_13:
	s_or_b64 exec, exec, s[0:1]
	v_or_b32_e32 v1, 0x500, v0
	v_cmp_gt_u32_e32 vcc, s33, v1
	s_and_saveexec_b64 s[0:1], vcc
	s_cbranch_execz .LBB3053_15
; %bb.14:
	v_lshlrev_b32_e32 v1, 2, v1
	v_mov_b32_e32 v7, s12
	v_add_co_u32_e32 v10, vcc, s7, v1
	v_addc_co_u32_e32 v11, vcc, 0, v7, vcc
	flat_load_dword v7, v[10:11]
.LBB3053_15:
	;; [unrolled: 12-line block ×3, first 2 shown]
	s_or_b64 exec, exec, s[0:1]
	s_waitcnt vmcnt(0) lgkmcnt(0)
	ds_write2st64_b32 v18, v2, v3 offset1:4
	ds_write2st64_b32 v18, v4, v5 offset0:8 offset1:12
	ds_write2st64_b32 v18, v6, v7 offset0:16 offset1:20
	ds_write_b32 v18, v8 offset:6144
	s_waitcnt lgkmcnt(0)
	s_barrier
.LBB3053_18:
	v_mul_u32_u24_e32 v19, 7, v0
	v_lshlrev_b32_e32 v8, 2, v19
	s_waitcnt lgkmcnt(0)
	ds_read2_b32 v[6:7], v8 offset1:1
	ds_read2_b32 v[4:5], v8 offset0:2 offset1:3
	ds_read2_b32 v[2:3], v8 offset0:4 offset1:5
	ds_read_b32 v1, v8 offset:24
	s_add_u32 s0, s2, s8
	s_addc_u32 s1, s3, s9
	s_add_u32 s0, s0, s30
	s_addc_u32 s1, s1, s31
	s_mov_b64 s[2:3], -1
	s_and_b64 vcc, exec, s[24:25]
	s_waitcnt lgkmcnt(0)
	s_barrier
	s_cbranch_vccz .LBB3053_20
; %bb.19:
	v_mov_b32_e32 v9, s1
	v_add_co_u32_e32 v10, vcc, s0, v18
	v_addc_co_u32_e32 v9, vcc, 0, v9, vcc
	s_movk_i32 s2, 0x1000
	v_add_co_u32_e32 v10, vcc, s2, v10
	global_load_dword v12, v18, s[0:1]
	global_load_dword v13, v18, s[0:1] offset:1024
	global_load_dword v14, v18, s[0:1] offset:2048
	;; [unrolled: 1-line block ×3, first 2 shown]
	v_addc_co_u32_e32 v11, vcc, 0, v9, vcc
	global_load_dword v9, v[10:11], off
	global_load_dword v16, v[10:11], off offset:1024
	global_load_dword v17, v[10:11], off offset:2048
	s_mov_b64 s[2:3], 0
	s_waitcnt vmcnt(6)
	v_xor_b32_e32 v10, -1, v12
	s_waitcnt vmcnt(5)
	v_xor_b32_e32 v11, -1, v13
	;; [unrolled: 2-line block ×4, first 2 shown]
	v_and_b32_e32 v10, 1, v10
	v_and_b32_e32 v11, 1, v11
	s_waitcnt vmcnt(2)
	v_xor_b32_e32 v9, -1, v9
	v_and_b32_e32 v12, 1, v12
	v_and_b32_e32 v13, 1, v13
	ds_write_b8 v0, v10
	ds_write_b8 v0, v11 offset:256
	ds_write_b8 v0, v12 offset:512
	;; [unrolled: 1-line block ×3, first 2 shown]
	s_waitcnt vmcnt(1)
	v_xor_b32_e32 v10, -1, v16
	s_waitcnt vmcnt(0)
	v_xor_b32_e32 v11, -1, v17
	v_and_b32_e32 v9, 1, v9
	v_and_b32_e32 v10, 1, v10
	;; [unrolled: 1-line block ×3, first 2 shown]
	ds_write_b8 v0, v9 offset:1024
	ds_write_b8 v0, v10 offset:1280
	ds_write_b8 v0, v11 offset:1536
	s_waitcnt lgkmcnt(0)
	s_barrier
.LBB3053_20:
	s_load_dwordx2 s[34:35], s[4:5], 0x78
	s_andn2_b64 vcc, exec, s[2:3]
	s_cbranch_vccnz .LBB3053_36
; %bb.21:
	v_cmp_gt_u32_e32 vcc, s33, v0
	v_mov_b32_e32 v9, 0
	v_mov_b32_e32 v10, 0
	s_and_saveexec_b64 s[2:3], vcc
	s_cbranch_execz .LBB3053_23
; %bb.22:
	global_load_dword v10, v18, s[0:1]
	s_waitcnt vmcnt(0)
	v_xor_b32_e32 v10, -1, v10
	v_and_b32_e32 v10, 1, v10
.LBB3053_23:
	s_or_b64 exec, exec, s[2:3]
	v_or_b32_e32 v11, 0x100, v0
	v_cmp_gt_u32_e32 vcc, s33, v11
	s_and_saveexec_b64 s[2:3], vcc
	s_cbranch_execz .LBB3053_25
; %bb.24:
	global_load_dword v9, v18, s[0:1] offset:1024
	s_waitcnt vmcnt(0)
	v_xor_b32_e32 v9, -1, v9
	v_and_b32_e32 v9, 1, v9
.LBB3053_25:
	s_or_b64 exec, exec, s[2:3]
	v_or_b32_e32 v11, 0x200, v0
	v_cmp_gt_u32_e32 vcc, s33, v11
	v_mov_b32_e32 v11, 0
	v_mov_b32_e32 v12, 0
	s_and_saveexec_b64 s[2:3], vcc
	s_cbranch_execz .LBB3053_27
; %bb.26:
	global_load_dword v12, v18, s[0:1] offset:2048
	s_waitcnt vmcnt(0)
	v_xor_b32_e32 v12, -1, v12
	v_and_b32_e32 v12, 1, v12
.LBB3053_27:
	s_or_b64 exec, exec, s[2:3]
	v_or_b32_e32 v13, 0x300, v0
	v_cmp_gt_u32_e32 vcc, s33, v13
	s_and_saveexec_b64 s[2:3], vcc
	s_cbranch_execz .LBB3053_29
; %bb.28:
	global_load_dword v11, v18, s[0:1] offset:3072
	s_waitcnt vmcnt(0)
	v_xor_b32_e32 v11, -1, v11
	v_and_b32_e32 v11, 1, v11
.LBB3053_29:
	s_or_b64 exec, exec, s[2:3]
	v_or_b32_e32 v15, 0x400, v0
	v_cmp_gt_u32_e32 vcc, s33, v15
	v_mov_b32_e32 v13, 0
	v_mov_b32_e32 v14, 0
	s_and_saveexec_b64 s[2:3], vcc
	s_cbranch_execz .LBB3053_31
; %bb.30:
	v_lshlrev_b32_e32 v14, 2, v15
	global_load_dword v14, v14, s[0:1]
	s_waitcnt vmcnt(0)
	v_xor_b32_e32 v14, -1, v14
	v_and_b32_e32 v14, 1, v14
.LBB3053_31:
	s_or_b64 exec, exec, s[2:3]
	v_or_b32_e32 v15, 0x500, v0
	v_cmp_gt_u32_e32 vcc, s33, v15
	s_and_saveexec_b64 s[2:3], vcc
	s_cbranch_execz .LBB3053_33
; %bb.32:
	v_lshlrev_b32_e32 v13, 2, v15
	global_load_dword v13, v13, s[0:1]
	s_waitcnt vmcnt(0)
	v_xor_b32_e32 v13, -1, v13
	v_and_b32_e32 v13, 1, v13
.LBB3053_33:
	s_or_b64 exec, exec, s[2:3]
	v_or_b32_e32 v16, 0x600, v0
	v_cmp_gt_u32_e32 vcc, s33, v16
	v_mov_b32_e32 v15, 0
	s_and_saveexec_b64 s[2:3], vcc
	s_cbranch_execz .LBB3053_35
; %bb.34:
	v_lshlrev_b32_e32 v15, 2, v16
	global_load_dword v15, v15, s[0:1]
	s_waitcnt vmcnt(0)
	v_xor_b32_e32 v15, -1, v15
	v_and_b32_e32 v15, 1, v15
.LBB3053_35:
	s_or_b64 exec, exec, s[2:3]
	ds_write_b8 v0, v10
	ds_write_b8 v0, v9 offset:256
	ds_write_b8 v0, v12 offset:512
	;; [unrolled: 1-line block ×6, first 2 shown]
	s_waitcnt lgkmcnt(0)
	s_barrier
.LBB3053_36:
	s_movk_i32 s0, 0xffeb
	v_mad_i32_i24 v28, v0, s0, v8
	s_waitcnt lgkmcnt(0)
	ds_read_u8 v8, v28
	ds_read_u8 v9, v28 offset:1
	ds_read_u8 v10, v28 offset:2
	ds_read_u8 v11, v28 offset:3
	ds_read_u8 v12, v28 offset:4
	ds_read_u8 v13, v28 offset:5
	ds_read_u8 v14, v28 offset:6
	s_waitcnt lgkmcnt(6)
	v_and_b32_e32 v26, 1, v8
	s_waitcnt lgkmcnt(5)
	v_and_b32_e32 v25, 1, v9
	;; [unrolled: 2-line block ×5, first 2 shown]
	v_add3_u32 v8, v25, v26, v24
	s_waitcnt lgkmcnt(1)
	v_and_b32_e32 v21, 1, v13
	s_waitcnt lgkmcnt(0)
	v_and_b32_e32 v20, 1, v14
	v_add3_u32 v8, v8, v23, v22
	v_add3_u32 v30, v8, v21, v20
	v_mbcnt_lo_u32_b32 v8, -1, 0
	v_mbcnt_hi_u32_b32 v27, -1, v8
	v_and_b32_e32 v8, 15, v27
	v_cmp_eq_u32_e64 s[14:15], 0, v8
	v_cmp_lt_u32_e64 s[12:13], 1, v8
	v_cmp_lt_u32_e64 s[10:11], 3, v8
	;; [unrolled: 1-line block ×3, first 2 shown]
	v_and_b32_e32 v8, 16, v27
	v_cmp_eq_u32_e64 s[18:19], 0, v8
	v_or_b32_e32 v8, 63, v0
	s_cmp_lg_u32 s6, 0
	v_cmp_lt_u32_e64 s[0:1], 31, v27
	v_lshrrev_b32_e32 v29, 6, v0
	v_cmp_eq_u32_e64 s[2:3], v8, v0
	s_barrier
	s_cbranch_scc0 .LBB3053_67
; %bb.37:
	v_mov_b32_dpp v8, v30 row_shr:1 row_mask:0xf bank_mask:0xf
	v_cndmask_b32_e64 v8, v8, 0, s[14:15]
	v_add_u32_e32 v8, v8, v30
	s_nop 1
	v_mov_b32_dpp v9, v8 row_shr:2 row_mask:0xf bank_mask:0xf
	v_cndmask_b32_e64 v9, 0, v9, s[12:13]
	v_add_u32_e32 v8, v8, v9
	s_nop 1
	;; [unrolled: 4-line block ×4, first 2 shown]
	v_mov_b32_dpp v9, v8 row_bcast:15 row_mask:0xf bank_mask:0xf
	v_cndmask_b32_e64 v9, v9, 0, s[18:19]
	v_add_u32_e32 v8, v8, v9
	s_nop 1
	v_mov_b32_dpp v9, v8 row_bcast:31 row_mask:0xf bank_mask:0xf
	v_cndmask_b32_e64 v9, 0, v9, s[0:1]
	v_add_u32_e32 v8, v8, v9
	s_and_saveexec_b64 s[16:17], s[2:3]
	s_cbranch_execz .LBB3053_39
; %bb.38:
	v_lshlrev_b32_e32 v9, 2, v29
	ds_write_b32 v9, v8
.LBB3053_39:
	s_or_b64 exec, exec, s[16:17]
	v_cmp_gt_u32_e32 vcc, 4, v0
	s_waitcnt lgkmcnt(0)
	s_barrier
	s_and_saveexec_b64 s[16:17], vcc
	s_cbranch_execz .LBB3053_41
; %bb.40:
	ds_read_b32 v9, v18
	v_and_b32_e32 v10, 3, v27
	v_cmp_ne_u32_e32 vcc, 0, v10
	s_waitcnt lgkmcnt(0)
	v_mov_b32_dpp v11, v9 row_shr:1 row_mask:0xf bank_mask:0xf
	v_cndmask_b32_e32 v11, 0, v11, vcc
	v_add_u32_e32 v9, v11, v9
	v_cmp_lt_u32_e32 vcc, 1, v10
	s_nop 0
	v_mov_b32_dpp v11, v9 row_shr:2 row_mask:0xf bank_mask:0xf
	v_cndmask_b32_e32 v10, 0, v11, vcc
	v_add_u32_e32 v9, v9, v10
	ds_write_b32 v18, v9
.LBB3053_41:
	s_or_b64 exec, exec, s[16:17]
	v_cmp_gt_u32_e32 vcc, 64, v0
	v_cmp_lt_u32_e64 s[16:17], 63, v0
	s_waitcnt lgkmcnt(0)
	s_barrier
	s_waitcnt lgkmcnt(0)
                                        ; implicit-def: $vgpr31
	s_and_saveexec_b64 s[36:37], s[16:17]
	s_cbranch_execz .LBB3053_43
; %bb.42:
	v_lshl_add_u32 v9, v29, 2, -4
	ds_read_b32 v31, v9
	s_waitcnt lgkmcnt(0)
	v_add_u32_e32 v8, v31, v8
.LBB3053_43:
	s_or_b64 exec, exec, s[36:37]
	v_add_u32_e32 v9, -1, v27
	v_and_b32_e32 v10, 64, v27
	v_cmp_lt_i32_e64 s[16:17], v9, v10
	v_cndmask_b32_e64 v9, v9, v27, s[16:17]
	v_lshlrev_b32_e32 v9, 2, v9
	ds_bpermute_b32 v32, v9, v8
	v_cmp_eq_u32_e64 s[16:17], 0, v27
	s_and_saveexec_b64 s[36:37], vcc
	s_cbranch_execz .LBB3053_66
; %bb.44:
	v_mov_b32_e32 v17, 0
	ds_read_b32 v8, v17 offset:12
	s_and_saveexec_b64 s[38:39], s[16:17]
	s_cbranch_execz .LBB3053_46
; %bb.45:
	s_add_i32 s40, s6, 64
	s_mov_b32 s41, 0
	s_lshl_b64 s[40:41], s[40:41], 3
	s_add_u32 s40, s34, s40
	v_mov_b32_e32 v9, 1
	s_addc_u32 s41, s35, s41
	s_waitcnt lgkmcnt(0)
	global_store_dwordx2 v17, v[8:9], s[40:41]
.LBB3053_46:
	s_or_b64 exec, exec, s[38:39]
	v_xad_u32 v10, v27, -1, s6
	v_add_u32_e32 v16, 64, v10
	v_lshlrev_b64 v[12:13], 3, v[16:17]
	v_mov_b32_e32 v9, s35
	v_add_co_u32_e32 v12, vcc, s34, v12
	v_addc_co_u32_e32 v13, vcc, v9, v13, vcc
	global_load_dwordx2 v[14:15], v[12:13], off glc
	s_waitcnt vmcnt(0)
	v_cmp_eq_u16_sdwa s[40:41], v15, v17 src0_sel:BYTE_0 src1_sel:DWORD
	s_and_saveexec_b64 s[38:39], s[40:41]
	s_cbranch_execz .LBB3053_52
; %bb.47:
	s_mov_b32 s7, 1
	s_mov_b64 s[40:41], 0
	v_mov_b32_e32 v9, 0
.LBB3053_48:                            ; =>This Loop Header: Depth=1
                                        ;     Child Loop BB3053_49 Depth 2
	s_max_u32 s42, s7, 1
.LBB3053_49:                            ;   Parent Loop BB3053_48 Depth=1
                                        ; =>  This Inner Loop Header: Depth=2
	s_add_i32 s42, s42, -1
	s_cmp_eq_u32 s42, 0
	s_sleep 1
	s_cbranch_scc0 .LBB3053_49
; %bb.50:                               ;   in Loop: Header=BB3053_48 Depth=1
	global_load_dwordx2 v[14:15], v[12:13], off glc
	s_cmp_lt_u32 s7, 32
	s_cselect_b64 s[42:43], -1, 0
	s_cmp_lg_u64 s[42:43], 0
	s_addc_u32 s7, s7, 0
	s_waitcnt vmcnt(0)
	v_cmp_ne_u16_sdwa s[42:43], v15, v9 src0_sel:BYTE_0 src1_sel:DWORD
	s_or_b64 s[40:41], s[42:43], s[40:41]
	s_andn2_b64 exec, exec, s[40:41]
	s_cbranch_execnz .LBB3053_48
; %bb.51:
	s_or_b64 exec, exec, s[40:41]
.LBB3053_52:
	s_or_b64 exec, exec, s[38:39]
	v_and_b32_e32 v34, 63, v27
	v_mov_b32_e32 v33, 2
	v_cmp_ne_u32_e32 vcc, 63, v34
	v_cmp_eq_u16_sdwa s[38:39], v15, v33 src0_sel:BYTE_0 src1_sel:DWORD
	v_lshlrev_b64 v[12:13], v27, -1
	v_addc_co_u32_e32 v16, vcc, 0, v27, vcc
	v_and_b32_e32 v9, s39, v13
	v_lshlrev_b32_e32 v35, 2, v16
	v_or_b32_e32 v9, 0x80000000, v9
	ds_bpermute_b32 v16, v35, v14
	v_and_b32_e32 v11, s38, v12
	v_ffbl_b32_e32 v9, v9
	v_add_u32_e32 v9, 32, v9
	v_ffbl_b32_e32 v11, v11
	v_min_u32_e32 v9, v11, v9
	v_cmp_lt_u32_e32 vcc, v34, v9
	s_waitcnt lgkmcnt(0)
	v_cndmask_b32_e32 v11, 0, v16, vcc
	v_cmp_gt_u32_e32 vcc, 62, v34
	v_add_u32_e32 v11, v11, v14
	v_cndmask_b32_e64 v14, 0, 1, vcc
	v_lshlrev_b32_e32 v14, 1, v14
	v_add_lshl_u32 v36, v14, v27, 2
	ds_bpermute_b32 v14, v36, v11
	v_add_u32_e32 v37, 2, v34
	v_cmp_le_u32_e32 vcc, v37, v9
	v_add_u32_e32 v39, 4, v34
	v_add_u32_e32 v41, 8, v34
	s_waitcnt lgkmcnt(0)
	v_cndmask_b32_e32 v14, 0, v14, vcc
	v_cmp_gt_u32_e32 vcc, 60, v34
	v_add_u32_e32 v11, v11, v14
	v_cndmask_b32_e64 v14, 0, 1, vcc
	v_lshlrev_b32_e32 v14, 2, v14
	v_add_lshl_u32 v38, v14, v27, 2
	ds_bpermute_b32 v14, v38, v11
	v_cmp_le_u32_e32 vcc, v39, v9
	v_add_u32_e32 v43, 16, v34
	v_add_u32_e32 v45, 32, v34
	s_waitcnt lgkmcnt(0)
	v_cndmask_b32_e32 v14, 0, v14, vcc
	v_cmp_gt_u32_e32 vcc, 56, v34
	v_add_u32_e32 v11, v11, v14
	v_cndmask_b32_e64 v14, 0, 1, vcc
	v_lshlrev_b32_e32 v14, 3, v14
	v_add_lshl_u32 v40, v14, v27, 2
	ds_bpermute_b32 v14, v40, v11
	v_cmp_le_u32_e32 vcc, v41, v9
	s_waitcnt lgkmcnt(0)
	v_cndmask_b32_e32 v14, 0, v14, vcc
	v_cmp_gt_u32_e32 vcc, 48, v34
	v_add_u32_e32 v11, v11, v14
	v_cndmask_b32_e64 v14, 0, 1, vcc
	v_lshlrev_b32_e32 v14, 4, v14
	v_add_lshl_u32 v42, v14, v27, 2
	ds_bpermute_b32 v14, v42, v11
	v_cmp_le_u32_e32 vcc, v43, v9
	;; [unrolled: 9-line block ×3, first 2 shown]
	s_waitcnt lgkmcnt(0)
	v_cndmask_b32_e32 v9, 0, v14, vcc
	v_add_u32_e32 v14, v11, v9
	v_mov_b32_e32 v11, 0
	s_branch .LBB3053_54
.LBB3053_53:                            ;   in Loop: Header=BB3053_54 Depth=1
	s_or_b64 exec, exec, s[38:39]
	v_cmp_eq_u16_sdwa s[38:39], v15, v33 src0_sel:BYTE_0 src1_sel:DWORD
	v_and_b32_e32 v16, s39, v13
	v_or_b32_e32 v16, 0x80000000, v16
	ds_bpermute_b32 v46, v35, v14
	v_and_b32_e32 v17, s38, v12
	v_ffbl_b32_e32 v16, v16
	v_add_u32_e32 v16, 32, v16
	v_ffbl_b32_e32 v17, v17
	v_min_u32_e32 v16, v17, v16
	v_cmp_lt_u32_e32 vcc, v34, v16
	s_waitcnt lgkmcnt(0)
	v_cndmask_b32_e32 v17, 0, v46, vcc
	v_add_u32_e32 v14, v17, v14
	ds_bpermute_b32 v17, v36, v14
	v_cmp_le_u32_e32 vcc, v37, v16
	v_subrev_u32_e32 v10, 64, v10
	s_waitcnt lgkmcnt(0)
	v_cndmask_b32_e32 v17, 0, v17, vcc
	v_add_u32_e32 v14, v14, v17
	ds_bpermute_b32 v17, v38, v14
	v_cmp_le_u32_e32 vcc, v39, v16
	s_waitcnt lgkmcnt(0)
	v_cndmask_b32_e32 v17, 0, v17, vcc
	v_add_u32_e32 v14, v14, v17
	ds_bpermute_b32 v17, v40, v14
	v_cmp_le_u32_e32 vcc, v41, v16
	;; [unrolled: 5-line block ×4, first 2 shown]
	s_waitcnt lgkmcnt(0)
	v_cndmask_b32_e32 v16, 0, v17, vcc
	v_add3_u32 v14, v16, v9, v14
.LBB3053_54:                            ; =>This Loop Header: Depth=1
                                        ;     Child Loop BB3053_57 Depth 2
                                        ;       Child Loop BB3053_58 Depth 3
	v_cmp_ne_u16_sdwa s[38:39], v15, v33 src0_sel:BYTE_0 src1_sel:DWORD
	v_cndmask_b32_e64 v9, 0, 1, s[38:39]
	;;#ASMSTART
	;;#ASMEND
	v_cmp_ne_u32_e32 vcc, 0, v9
	s_cmp_lg_u64 vcc, exec
	v_mov_b32_e32 v9, v14
	s_cbranch_scc1 .LBB3053_61
; %bb.55:                               ;   in Loop: Header=BB3053_54 Depth=1
	v_lshlrev_b64 v[14:15], 3, v[10:11]
	v_mov_b32_e32 v17, s35
	v_add_co_u32_e32 v16, vcc, s34, v14
	v_addc_co_u32_e32 v17, vcc, v17, v15, vcc
	global_load_dwordx2 v[14:15], v[16:17], off glc
	s_waitcnt vmcnt(0)
	v_cmp_eq_u16_sdwa s[40:41], v15, v11 src0_sel:BYTE_0 src1_sel:DWORD
	s_and_saveexec_b64 s[38:39], s[40:41]
	s_cbranch_execz .LBB3053_53
; %bb.56:                               ;   in Loop: Header=BB3053_54 Depth=1
	s_mov_b32 s7, 1
	s_mov_b64 s[40:41], 0
.LBB3053_57:                            ;   Parent Loop BB3053_54 Depth=1
                                        ; =>  This Loop Header: Depth=2
                                        ;       Child Loop BB3053_58 Depth 3
	s_max_u32 s42, s7, 1
.LBB3053_58:                            ;   Parent Loop BB3053_54 Depth=1
                                        ;     Parent Loop BB3053_57 Depth=2
                                        ; =>    This Inner Loop Header: Depth=3
	s_add_i32 s42, s42, -1
	s_cmp_eq_u32 s42, 0
	s_sleep 1
	s_cbranch_scc0 .LBB3053_58
; %bb.59:                               ;   in Loop: Header=BB3053_57 Depth=2
	global_load_dwordx2 v[14:15], v[16:17], off glc
	s_cmp_lt_u32 s7, 32
	s_cselect_b64 s[42:43], -1, 0
	s_cmp_lg_u64 s[42:43], 0
	s_addc_u32 s7, s7, 0
	s_waitcnt vmcnt(0)
	v_cmp_ne_u16_sdwa s[42:43], v15, v11 src0_sel:BYTE_0 src1_sel:DWORD
	s_or_b64 s[40:41], s[42:43], s[40:41]
	s_andn2_b64 exec, exec, s[40:41]
	s_cbranch_execnz .LBB3053_57
; %bb.60:                               ;   in Loop: Header=BB3053_54 Depth=1
	s_or_b64 exec, exec, s[40:41]
	s_branch .LBB3053_53
.LBB3053_61:                            ;   in Loop: Header=BB3053_54 Depth=1
                                        ; implicit-def: $vgpr14
                                        ; implicit-def: $vgpr15
	s_cbranch_execz .LBB3053_54
; %bb.62:
	s_and_saveexec_b64 s[38:39], s[16:17]
	s_cbranch_execz .LBB3053_64
; %bb.63:
	s_add_i32 s6, s6, 64
	s_mov_b32 s7, 0
	s_lshl_b64 s[6:7], s[6:7], 3
	s_add_u32 s6, s34, s6
	v_add_u32_e32 v10, v9, v8
	v_mov_b32_e32 v11, 2
	s_addc_u32 s7, s35, s7
	v_mov_b32_e32 v12, 0
	global_store_dwordx2 v12, v[10:11], s[6:7]
	ds_write_b64 v12, v[8:9] offset:7168
.LBB3053_64:
	s_or_b64 exec, exec, s[38:39]
	v_cmp_eq_u32_e32 vcc, 0, v0
	s_and_b64 exec, exec, vcc
	s_cbranch_execz .LBB3053_66
; %bb.65:
	v_mov_b32_e32 v8, 0
	ds_write_b32 v8, v9 offset:12
.LBB3053_66:
	s_or_b64 exec, exec, s[36:37]
	v_mov_b32_e32 v8, 0
	s_waitcnt lgkmcnt(0)
	s_barrier
	ds_read_b32 v9, v8 offset:12
	v_cndmask_b32_e64 v10, v32, v31, s[16:17]
	v_cmp_ne_u32_e32 vcc, 0, v0
	v_cndmask_b32_e32 v10, 0, v10, vcc
	s_waitcnt lgkmcnt(0)
	v_add_u32_e32 v16, v9, v10
	v_add_u32_e32 v15, v16, v26
	;; [unrolled: 1-line block ×3, first 2 shown]
	s_barrier
	ds_read_b64 v[8:9], v8 offset:7168
	v_add_u32_e32 v12, v14, v24
	v_add_u32_e32 v13, v12, v23
	;; [unrolled: 1-line block ×4, first 2 shown]
	s_load_dwordx2 s[4:5], s[4:5], 0x40
	s_branch .LBB3053_77
.LBB3053_67:
                                        ; implicit-def: $vgpr9
                                        ; implicit-def: $vgpr10
                                        ; implicit-def: $vgpr11
                                        ; implicit-def: $vgpr13
                                        ; implicit-def: $vgpr12
                                        ; implicit-def: $vgpr14
                                        ; implicit-def: $vgpr15
                                        ; implicit-def: $vgpr16
	s_load_dwordx2 s[4:5], s[4:5], 0x40
	s_cbranch_execz .LBB3053_77
; %bb.68:
	s_waitcnt lgkmcnt(0)
	v_mov_b32_dpp v8, v30 row_shr:1 row_mask:0xf bank_mask:0xf
	v_cndmask_b32_e64 v8, v8, 0, s[14:15]
	v_add_u32_e32 v8, v8, v30
	s_nop 1
	v_mov_b32_dpp v9, v8 row_shr:2 row_mask:0xf bank_mask:0xf
	v_cndmask_b32_e64 v9, 0, v9, s[12:13]
	v_add_u32_e32 v8, v8, v9
	s_nop 1
	;; [unrolled: 4-line block ×4, first 2 shown]
	v_mov_b32_dpp v9, v8 row_bcast:15 row_mask:0xf bank_mask:0xf
	v_cndmask_b32_e64 v9, v9, 0, s[18:19]
	v_add_u32_e32 v8, v8, v9
	s_nop 1
	v_mov_b32_dpp v9, v8 row_bcast:31 row_mask:0xf bank_mask:0xf
	v_cndmask_b32_e64 v9, 0, v9, s[0:1]
	v_add_u32_e32 v8, v8, v9
	s_and_saveexec_b64 s[0:1], s[2:3]
	s_cbranch_execz .LBB3053_70
; %bb.69:
	v_lshlrev_b32_e32 v9, 2, v29
	ds_write_b32 v9, v8
.LBB3053_70:
	s_or_b64 exec, exec, s[0:1]
	v_cmp_gt_u32_e32 vcc, 4, v0
	s_waitcnt lgkmcnt(0)
	s_barrier
	s_and_saveexec_b64 s[0:1], vcc
	s_cbranch_execz .LBB3053_72
; %bb.71:
	v_mad_i32_i24 v9, v0, -3, v28
	ds_read_b32 v10, v9
	v_and_b32_e32 v11, 3, v27
	v_cmp_ne_u32_e32 vcc, 0, v11
	s_waitcnt lgkmcnt(0)
	v_mov_b32_dpp v12, v10 row_shr:1 row_mask:0xf bank_mask:0xf
	v_cndmask_b32_e32 v12, 0, v12, vcc
	v_add_u32_e32 v10, v12, v10
	v_cmp_lt_u32_e32 vcc, 1, v11
	s_nop 0
	v_mov_b32_dpp v12, v10 row_shr:2 row_mask:0xf bank_mask:0xf
	v_cndmask_b32_e32 v11, 0, v12, vcc
	v_add_u32_e32 v10, v10, v11
	ds_write_b32 v9, v10
.LBB3053_72:
	s_or_b64 exec, exec, s[0:1]
	v_cmp_lt_u32_e32 vcc, 63, v0
	v_mov_b32_e32 v9, 0
	v_mov_b32_e32 v10, 0
	s_waitcnt lgkmcnt(0)
	s_barrier
	s_and_saveexec_b64 s[0:1], vcc
	s_cbranch_execz .LBB3053_74
; %bb.73:
	v_lshl_add_u32 v10, v29, 2, -4
	ds_read_b32 v10, v10
.LBB3053_74:
	s_or_b64 exec, exec, s[0:1]
	v_add_u32_e32 v11, -1, v27
	v_and_b32_e32 v12, 64, v27
	v_cmp_lt_i32_e32 vcc, v11, v12
	v_cndmask_b32_e32 v11, v11, v27, vcc
	s_waitcnt lgkmcnt(0)
	v_add_u32_e32 v8, v10, v8
	v_lshlrev_b32_e32 v11, 2, v11
	ds_bpermute_b32 v11, v11, v8
	ds_read_b32 v8, v9 offset:12
	v_cmp_eq_u32_e32 vcc, 0, v0
	s_and_saveexec_b64 s[0:1], vcc
	s_cbranch_execz .LBB3053_76
; %bb.75:
	v_mov_b32_e32 v12, 0
	v_mov_b32_e32 v9, 2
	s_waitcnt lgkmcnt(0)
	global_store_dwordx2 v12, v[8:9], s[34:35] offset:512
.LBB3053_76:
	s_or_b64 exec, exec, s[0:1]
	v_cmp_eq_u32_e64 s[0:1], 0, v27
	s_waitcnt lgkmcnt(1)
	v_cndmask_b32_e64 v10, v11, v10, s[0:1]
	v_cndmask_b32_e64 v16, v10, 0, vcc
	v_add_u32_e32 v15, v16, v26
	v_add_u32_e32 v14, v15, v25
	;; [unrolled: 1-line block ×5, first 2 shown]
	v_mov_b32_e32 v9, 0
	v_add_u32_e32 v10, v11, v21
	s_waitcnt lgkmcnt(0)
	s_barrier
.LBB3053_77:
	s_waitcnt lgkmcnt(0)
	v_add_u32_e32 v17, v8, v19
	v_sub_u32_e32 v16, v16, v9
	v_sub_u32_e32 v19, v17, v16
	v_cmp_eq_u32_e32 vcc, 1, v26
	v_cndmask_b32_e32 v16, v19, v16, vcc
	v_lshlrev_b32_e32 v16, 2, v16
	ds_write_b32 v16, v6
	v_sub_u32_e32 v6, v15, v9
	v_sub_u32_e32 v15, v17, v6
	v_add_u32_e32 v15, 1, v15
	v_cmp_eq_u32_e32 vcc, 1, v25
	v_cndmask_b32_e32 v6, v15, v6, vcc
	v_lshlrev_b32_e32 v6, 2, v6
	ds_write_b32 v6, v7
	v_sub_u32_e32 v6, v14, v9
	v_sub_u32_e32 v7, v17, v6
	v_add_u32_e32 v7, 2, v7
	;; [unrolled: 7-line block ×6, first 2 shown]
	v_cmp_eq_u32_e32 vcc, 1, v20
	v_cndmask_b32_e32 v2, v3, v2, vcc
	v_lshlrev_b32_e32 v2, 2, v2
	ds_write_b32 v2, v1
	v_mov_b32_e32 v1, s29
	v_add_co_u32_e32 v2, vcc, s28, v8
	v_addc_co_u32_e32 v1, vcc, 0, v1, vcc
	v_add_co_u32_e32 v2, vcc, v2, v9
	v_addc_co_u32_e32 v3, vcc, 0, v1, vcc
	v_mov_b32_e32 v1, s27
	v_sub_co_u32_e32 v22, vcc, s26, v2
	v_subb_co_u32_e32 v23, vcc, v1, v3, vcc
	v_lshlrev_b64 v[22:23], 2, v[22:23]
	s_waitcnt lgkmcnt(0)
	s_barrier
	ds_read2st64_b32 v[12:13], v18 offset1:4
	ds_read2st64_b32 v[10:11], v18 offset0:8 offset1:12
	ds_read2st64_b32 v[4:5], v18 offset0:16 offset1:20
	ds_read_b32 v7, v18 offset:6144
	v_mov_b32_e32 v1, s5
	v_add_co_u32_e32 v6, vcc, s4, v22
	v_addc_co_u32_e32 v1, vcc, v1, v23, vcc
	v_mov_b32_e32 v9, s31
	v_add_co_u32_e32 v6, vcc, s30, v6
	v_addc_co_u32_e32 v1, vcc, v1, v9, vcc
	v_or_b32_e32 v20, 0x100, v0
	v_or_b32_e32 v19, 0x200, v0
	v_or_b32_e32 v17, 0x300, v0
	v_or_b32_e32 v16, 0x400, v0
	v_or_b32_e32 v15, 0x500, v0
	v_or_b32_e32 v14, 0x600, v0
	s_andn2_b64 vcc, exec, s[24:25]
	v_cmp_le_u32_e64 s[0:1], v8, v0
	s_cbranch_vccnz .LBB3053_86
; %bb.78:
	s_and_saveexec_b64 s[2:3], s[0:1]
	s_cbranch_execnz .LBB3053_105
; %bb.79:
	s_or_b64 exec, exec, s[2:3]
	v_cmp_ge_u32_e32 vcc, v20, v8
	s_and_saveexec_b64 s[0:1], vcc
	s_cbranch_execnz .LBB3053_106
.LBB3053_80:
	s_or_b64 exec, exec, s[0:1]
	v_cmp_ge_u32_e32 vcc, v19, v8
	s_and_saveexec_b64 s[0:1], vcc
	s_cbranch_execnz .LBB3053_107
.LBB3053_81:
	s_or_b64 exec, exec, s[0:1]
	v_cmp_ge_u32_e32 vcc, v17, v8
	s_and_saveexec_b64 s[0:1], vcc
	s_cbranch_execnz .LBB3053_108
.LBB3053_82:
	s_or_b64 exec, exec, s[0:1]
	v_cmp_ge_u32_e32 vcc, v16, v8
	s_and_saveexec_b64 s[0:1], vcc
	s_cbranch_execnz .LBB3053_109
.LBB3053_83:
	s_or_b64 exec, exec, s[0:1]
	v_cmp_ge_u32_e32 vcc, v15, v8
	s_and_saveexec_b64 s[0:1], vcc
	s_cbranch_execz .LBB3053_85
.LBB3053_84:
	v_lshlrev_b32_e32 v9, 2, v15
	v_readfirstlane_b32 s2, v6
	v_readfirstlane_b32 s3, v1
	s_waitcnt lgkmcnt(1)
	s_nop 3
	global_store_dword v9, v5, s[2:3]
.LBB3053_85:
	s_or_b64 exec, exec, s[0:1]
	v_cmp_ge_u32_e64 s[0:1], v14, v8
	s_branch .LBB3053_100
.LBB3053_86:
	s_mov_b64 s[0:1], 0
	s_cbranch_execz .LBB3053_100
; %bb.87:
	v_cmp_gt_u32_e32 vcc, s33, v0
	v_cmp_le_u32_e64 s[0:1], v8, v0
	s_and_b64 s[2:3], vcc, s[0:1]
	s_and_saveexec_b64 s[0:1], s[2:3]
	s_cbranch_execz .LBB3053_89
; %bb.88:
	v_readfirstlane_b32 s2, v6
	v_readfirstlane_b32 s3, v1
	s_waitcnt lgkmcnt(3)
	s_nop 3
	global_store_dword v18, v12, s[2:3]
.LBB3053_89:
	s_or_b64 exec, exec, s[0:1]
	v_cmp_gt_u32_e32 vcc, s33, v20
	v_cmp_ge_u32_e64 s[0:1], v20, v8
	s_and_b64 s[2:3], vcc, s[0:1]
	s_and_saveexec_b64 s[0:1], s[2:3]
	s_cbranch_execz .LBB3053_91
; %bb.90:
	v_readfirstlane_b32 s2, v6
	v_readfirstlane_b32 s3, v1
	s_waitcnt lgkmcnt(3)
	s_nop 3
	global_store_dword v18, v13, s[2:3] offset:1024
.LBB3053_91:
	s_or_b64 exec, exec, s[0:1]
	v_cmp_gt_u32_e32 vcc, s33, v19
	v_cmp_ge_u32_e64 s[0:1], v19, v8
	s_and_b64 s[2:3], vcc, s[0:1]
	s_and_saveexec_b64 s[0:1], s[2:3]
	s_cbranch_execz .LBB3053_93
; %bb.92:
	v_readfirstlane_b32 s2, v6
	v_readfirstlane_b32 s3, v1
	s_waitcnt lgkmcnt(2)
	s_nop 3
	global_store_dword v18, v10, s[2:3] offset:2048
.LBB3053_93:
	;; [unrolled: 13-line block ×3, first 2 shown]
	s_or_b64 exec, exec, s[0:1]
	v_cmp_gt_u32_e32 vcc, s33, v16
	v_cmp_ge_u32_e64 s[0:1], v16, v8
	s_and_b64 s[2:3], vcc, s[0:1]
	s_and_saveexec_b64 s[0:1], s[2:3]
	s_cbranch_execz .LBB3053_97
; %bb.96:
	v_lshlrev_b32_e32 v9, 2, v16
	v_readfirstlane_b32 s2, v6
	v_readfirstlane_b32 s3, v1
	s_waitcnt lgkmcnt(1)
	s_nop 3
	global_store_dword v9, v4, s[2:3]
.LBB3053_97:
	s_or_b64 exec, exec, s[0:1]
	v_cmp_gt_u32_e32 vcc, s33, v15
	v_cmp_ge_u32_e64 s[0:1], v15, v8
	s_and_b64 s[2:3], vcc, s[0:1]
	s_and_saveexec_b64 s[0:1], s[2:3]
	s_cbranch_execz .LBB3053_99
; %bb.98:
	s_waitcnt lgkmcnt(1)
	v_lshlrev_b32_e32 v4, 2, v15
	v_readfirstlane_b32 s2, v6
	v_readfirstlane_b32 s3, v1
	s_nop 4
	global_store_dword v4, v5, s[2:3]
.LBB3053_99:
	s_or_b64 exec, exec, s[0:1]
	v_cmp_gt_u32_e32 vcc, s33, v14
	v_cmp_ge_u32_e64 s[0:1], v14, v8
	s_and_b64 s[0:1], vcc, s[0:1]
.LBB3053_100:
	s_and_saveexec_b64 s[2:3], s[0:1]
	s_cbranch_execz .LBB3053_102
; %bb.101:
	s_waitcnt lgkmcnt(1)
	v_lshlrev_b32_e32 v4, 2, v14
	v_readfirstlane_b32 s0, v6
	v_readfirstlane_b32 s1, v1
	s_waitcnt lgkmcnt(0)
	s_nop 3
	global_store_dword v4, v7, s[0:1]
.LBB3053_102:
	s_or_b64 exec, exec, s[2:3]
	v_cmp_eq_u32_e32 vcc, 0, v0
	s_and_b64 s[0:1], vcc, s[22:23]
	s_and_saveexec_b64 s[2:3], s[0:1]
	s_cbranch_execz .LBB3053_104
; %bb.103:
	v_mov_b32_e32 v0, 0
	global_store_dwordx2 v0, v[2:3], s[20:21]
.LBB3053_104:
	s_endpgm
.LBB3053_105:
	v_readfirstlane_b32 s0, v6
	v_readfirstlane_b32 s1, v1
	s_waitcnt lgkmcnt(3)
	s_nop 3
	global_store_dword v18, v12, s[0:1]
	s_or_b64 exec, exec, s[2:3]
	v_cmp_ge_u32_e32 vcc, v20, v8
	s_and_saveexec_b64 s[0:1], vcc
	s_cbranch_execz .LBB3053_80
.LBB3053_106:
	v_readfirstlane_b32 s2, v6
	v_readfirstlane_b32 s3, v1
	s_waitcnt lgkmcnt(3)
	s_nop 3
	global_store_dword v18, v13, s[2:3] offset:1024
	s_or_b64 exec, exec, s[0:1]
	v_cmp_ge_u32_e32 vcc, v19, v8
	s_and_saveexec_b64 s[0:1], vcc
	s_cbranch_execz .LBB3053_81
.LBB3053_107:
	v_readfirstlane_b32 s2, v6
	v_readfirstlane_b32 s3, v1
	s_waitcnt lgkmcnt(2)
	s_nop 3
	global_store_dword v18, v10, s[2:3] offset:2048
	s_or_b64 exec, exec, s[0:1]
	v_cmp_ge_u32_e32 vcc, v17, v8
	s_and_saveexec_b64 s[0:1], vcc
	s_cbranch_execz .LBB3053_82
.LBB3053_108:
	v_readfirstlane_b32 s2, v6
	v_readfirstlane_b32 s3, v1
	s_waitcnt lgkmcnt(2)
	s_nop 3
	global_store_dword v18, v11, s[2:3] offset:3072
	s_or_b64 exec, exec, s[0:1]
	v_cmp_ge_u32_e32 vcc, v16, v8
	s_and_saveexec_b64 s[0:1], vcc
	s_cbranch_execz .LBB3053_83
.LBB3053_109:
	v_lshlrev_b32_e32 v9, 2, v16
	v_readfirstlane_b32 s2, v6
	v_readfirstlane_b32 s3, v1
	s_waitcnt lgkmcnt(1)
	s_nop 3
	global_store_dword v9, v4, s[2:3]
	s_or_b64 exec, exec, s[0:1]
	v_cmp_ge_u32_e32 vcc, v15, v8
	s_and_saveexec_b64 s[0:1], vcc
	s_cbranch_execnz .LBB3053_84
	s_branch .LBB3053_85
	.section	.rodata,"a",@progbits
	.p2align	6, 0x0
	.amdhsa_kernel _ZN7rocprim17ROCPRIM_400000_NS6detail17trampoline_kernelINS0_14default_configENS1_25partition_config_selectorILNS1_17partition_subalgoE1EjNS0_10empty_typeEbEEZZNS1_14partition_implILS5_1ELb0ES3_jN6thrust23THRUST_200600_302600_NS6detail15normal_iteratorINSA_10device_ptrIjEEEEPS6_NSA_18transform_iteratorI7is_evenIjESF_NSA_11use_defaultESK_EENS0_5tupleIJNSA_16discard_iteratorISK_EESF_EEENSM_IJSG_SG_EEES6_PlJS6_EEE10hipError_tPvRmT3_T4_T5_T6_T7_T9_mT8_P12ihipStream_tbDpT10_ENKUlT_T0_E_clISt17integral_constantIbLb1EES1A_IbLb0EEEEDaS16_S17_EUlS16_E_NS1_11comp_targetILNS1_3genE4ELNS1_11target_archE910ELNS1_3gpuE8ELNS1_3repE0EEENS1_30default_config_static_selectorELNS0_4arch9wavefront6targetE1EEEvT1_
		.amdhsa_group_segment_fixed_size 7176
		.amdhsa_private_segment_fixed_size 0
		.amdhsa_kernarg_size 136
		.amdhsa_user_sgpr_count 6
		.amdhsa_user_sgpr_private_segment_buffer 1
		.amdhsa_user_sgpr_dispatch_ptr 0
		.amdhsa_user_sgpr_queue_ptr 0
		.amdhsa_user_sgpr_kernarg_segment_ptr 1
		.amdhsa_user_sgpr_dispatch_id 0
		.amdhsa_user_sgpr_flat_scratch_init 0
		.amdhsa_user_sgpr_kernarg_preload_length 0
		.amdhsa_user_sgpr_kernarg_preload_offset 0
		.amdhsa_user_sgpr_private_segment_size 0
		.amdhsa_uses_dynamic_stack 0
		.amdhsa_system_sgpr_private_segment_wavefront_offset 0
		.amdhsa_system_sgpr_workgroup_id_x 1
		.amdhsa_system_sgpr_workgroup_id_y 0
		.amdhsa_system_sgpr_workgroup_id_z 0
		.amdhsa_system_sgpr_workgroup_info 0
		.amdhsa_system_vgpr_workitem_id 0
		.amdhsa_next_free_vgpr 47
		.amdhsa_next_free_sgpr 44
		.amdhsa_accum_offset 48
		.amdhsa_reserve_vcc 1
		.amdhsa_reserve_flat_scratch 0
		.amdhsa_float_round_mode_32 0
		.amdhsa_float_round_mode_16_64 0
		.amdhsa_float_denorm_mode_32 3
		.amdhsa_float_denorm_mode_16_64 3
		.amdhsa_dx10_clamp 1
		.amdhsa_ieee_mode 1
		.amdhsa_fp16_overflow 0
		.amdhsa_tg_split 0
		.amdhsa_exception_fp_ieee_invalid_op 0
		.amdhsa_exception_fp_denorm_src 0
		.amdhsa_exception_fp_ieee_div_zero 0
		.amdhsa_exception_fp_ieee_overflow 0
		.amdhsa_exception_fp_ieee_underflow 0
		.amdhsa_exception_fp_ieee_inexact 0
		.amdhsa_exception_int_div_zero 0
	.end_amdhsa_kernel
	.section	.text._ZN7rocprim17ROCPRIM_400000_NS6detail17trampoline_kernelINS0_14default_configENS1_25partition_config_selectorILNS1_17partition_subalgoE1EjNS0_10empty_typeEbEEZZNS1_14partition_implILS5_1ELb0ES3_jN6thrust23THRUST_200600_302600_NS6detail15normal_iteratorINSA_10device_ptrIjEEEEPS6_NSA_18transform_iteratorI7is_evenIjESF_NSA_11use_defaultESK_EENS0_5tupleIJNSA_16discard_iteratorISK_EESF_EEENSM_IJSG_SG_EEES6_PlJS6_EEE10hipError_tPvRmT3_T4_T5_T6_T7_T9_mT8_P12ihipStream_tbDpT10_ENKUlT_T0_E_clISt17integral_constantIbLb1EES1A_IbLb0EEEEDaS16_S17_EUlS16_E_NS1_11comp_targetILNS1_3genE4ELNS1_11target_archE910ELNS1_3gpuE8ELNS1_3repE0EEENS1_30default_config_static_selectorELNS0_4arch9wavefront6targetE1EEEvT1_,"axG",@progbits,_ZN7rocprim17ROCPRIM_400000_NS6detail17trampoline_kernelINS0_14default_configENS1_25partition_config_selectorILNS1_17partition_subalgoE1EjNS0_10empty_typeEbEEZZNS1_14partition_implILS5_1ELb0ES3_jN6thrust23THRUST_200600_302600_NS6detail15normal_iteratorINSA_10device_ptrIjEEEEPS6_NSA_18transform_iteratorI7is_evenIjESF_NSA_11use_defaultESK_EENS0_5tupleIJNSA_16discard_iteratorISK_EESF_EEENSM_IJSG_SG_EEES6_PlJS6_EEE10hipError_tPvRmT3_T4_T5_T6_T7_T9_mT8_P12ihipStream_tbDpT10_ENKUlT_T0_E_clISt17integral_constantIbLb1EES1A_IbLb0EEEEDaS16_S17_EUlS16_E_NS1_11comp_targetILNS1_3genE4ELNS1_11target_archE910ELNS1_3gpuE8ELNS1_3repE0EEENS1_30default_config_static_selectorELNS0_4arch9wavefront6targetE1EEEvT1_,comdat
.Lfunc_end3053:
	.size	_ZN7rocprim17ROCPRIM_400000_NS6detail17trampoline_kernelINS0_14default_configENS1_25partition_config_selectorILNS1_17partition_subalgoE1EjNS0_10empty_typeEbEEZZNS1_14partition_implILS5_1ELb0ES3_jN6thrust23THRUST_200600_302600_NS6detail15normal_iteratorINSA_10device_ptrIjEEEEPS6_NSA_18transform_iteratorI7is_evenIjESF_NSA_11use_defaultESK_EENS0_5tupleIJNSA_16discard_iteratorISK_EESF_EEENSM_IJSG_SG_EEES6_PlJS6_EEE10hipError_tPvRmT3_T4_T5_T6_T7_T9_mT8_P12ihipStream_tbDpT10_ENKUlT_T0_E_clISt17integral_constantIbLb1EES1A_IbLb0EEEEDaS16_S17_EUlS16_E_NS1_11comp_targetILNS1_3genE4ELNS1_11target_archE910ELNS1_3gpuE8ELNS1_3repE0EEENS1_30default_config_static_selectorELNS0_4arch9wavefront6targetE1EEEvT1_, .Lfunc_end3053-_ZN7rocprim17ROCPRIM_400000_NS6detail17trampoline_kernelINS0_14default_configENS1_25partition_config_selectorILNS1_17partition_subalgoE1EjNS0_10empty_typeEbEEZZNS1_14partition_implILS5_1ELb0ES3_jN6thrust23THRUST_200600_302600_NS6detail15normal_iteratorINSA_10device_ptrIjEEEEPS6_NSA_18transform_iteratorI7is_evenIjESF_NSA_11use_defaultESK_EENS0_5tupleIJNSA_16discard_iteratorISK_EESF_EEENSM_IJSG_SG_EEES6_PlJS6_EEE10hipError_tPvRmT3_T4_T5_T6_T7_T9_mT8_P12ihipStream_tbDpT10_ENKUlT_T0_E_clISt17integral_constantIbLb1EES1A_IbLb0EEEEDaS16_S17_EUlS16_E_NS1_11comp_targetILNS1_3genE4ELNS1_11target_archE910ELNS1_3gpuE8ELNS1_3repE0EEENS1_30default_config_static_selectorELNS0_4arch9wavefront6targetE1EEEvT1_
                                        ; -- End function
	.section	.AMDGPU.csdata,"",@progbits
; Kernel info:
; codeLenInByte = 4756
; NumSgprs: 48
; NumVgprs: 47
; NumAgprs: 0
; TotalNumVgprs: 47
; ScratchSize: 0
; MemoryBound: 0
; FloatMode: 240
; IeeeMode: 1
; LDSByteSize: 7176 bytes/workgroup (compile time only)
; SGPRBlocks: 5
; VGPRBlocks: 5
; NumSGPRsForWavesPerEU: 48
; NumVGPRsForWavesPerEU: 47
; AccumOffset: 48
; Occupancy: 8
; WaveLimiterHint : 1
; COMPUTE_PGM_RSRC2:SCRATCH_EN: 0
; COMPUTE_PGM_RSRC2:USER_SGPR: 6
; COMPUTE_PGM_RSRC2:TRAP_HANDLER: 0
; COMPUTE_PGM_RSRC2:TGID_X_EN: 1
; COMPUTE_PGM_RSRC2:TGID_Y_EN: 0
; COMPUTE_PGM_RSRC2:TGID_Z_EN: 0
; COMPUTE_PGM_RSRC2:TIDIG_COMP_CNT: 0
; COMPUTE_PGM_RSRC3_GFX90A:ACCUM_OFFSET: 11
; COMPUTE_PGM_RSRC3_GFX90A:TG_SPLIT: 0
	.section	.text._ZN7rocprim17ROCPRIM_400000_NS6detail17trampoline_kernelINS0_14default_configENS1_25partition_config_selectorILNS1_17partition_subalgoE1EjNS0_10empty_typeEbEEZZNS1_14partition_implILS5_1ELb0ES3_jN6thrust23THRUST_200600_302600_NS6detail15normal_iteratorINSA_10device_ptrIjEEEEPS6_NSA_18transform_iteratorI7is_evenIjESF_NSA_11use_defaultESK_EENS0_5tupleIJNSA_16discard_iteratorISK_EESF_EEENSM_IJSG_SG_EEES6_PlJS6_EEE10hipError_tPvRmT3_T4_T5_T6_T7_T9_mT8_P12ihipStream_tbDpT10_ENKUlT_T0_E_clISt17integral_constantIbLb1EES1A_IbLb0EEEEDaS16_S17_EUlS16_E_NS1_11comp_targetILNS1_3genE3ELNS1_11target_archE908ELNS1_3gpuE7ELNS1_3repE0EEENS1_30default_config_static_selectorELNS0_4arch9wavefront6targetE1EEEvT1_,"axG",@progbits,_ZN7rocprim17ROCPRIM_400000_NS6detail17trampoline_kernelINS0_14default_configENS1_25partition_config_selectorILNS1_17partition_subalgoE1EjNS0_10empty_typeEbEEZZNS1_14partition_implILS5_1ELb0ES3_jN6thrust23THRUST_200600_302600_NS6detail15normal_iteratorINSA_10device_ptrIjEEEEPS6_NSA_18transform_iteratorI7is_evenIjESF_NSA_11use_defaultESK_EENS0_5tupleIJNSA_16discard_iteratorISK_EESF_EEENSM_IJSG_SG_EEES6_PlJS6_EEE10hipError_tPvRmT3_T4_T5_T6_T7_T9_mT8_P12ihipStream_tbDpT10_ENKUlT_T0_E_clISt17integral_constantIbLb1EES1A_IbLb0EEEEDaS16_S17_EUlS16_E_NS1_11comp_targetILNS1_3genE3ELNS1_11target_archE908ELNS1_3gpuE7ELNS1_3repE0EEENS1_30default_config_static_selectorELNS0_4arch9wavefront6targetE1EEEvT1_,comdat
	.protected	_ZN7rocprim17ROCPRIM_400000_NS6detail17trampoline_kernelINS0_14default_configENS1_25partition_config_selectorILNS1_17partition_subalgoE1EjNS0_10empty_typeEbEEZZNS1_14partition_implILS5_1ELb0ES3_jN6thrust23THRUST_200600_302600_NS6detail15normal_iteratorINSA_10device_ptrIjEEEEPS6_NSA_18transform_iteratorI7is_evenIjESF_NSA_11use_defaultESK_EENS0_5tupleIJNSA_16discard_iteratorISK_EESF_EEENSM_IJSG_SG_EEES6_PlJS6_EEE10hipError_tPvRmT3_T4_T5_T6_T7_T9_mT8_P12ihipStream_tbDpT10_ENKUlT_T0_E_clISt17integral_constantIbLb1EES1A_IbLb0EEEEDaS16_S17_EUlS16_E_NS1_11comp_targetILNS1_3genE3ELNS1_11target_archE908ELNS1_3gpuE7ELNS1_3repE0EEENS1_30default_config_static_selectorELNS0_4arch9wavefront6targetE1EEEvT1_ ; -- Begin function _ZN7rocprim17ROCPRIM_400000_NS6detail17trampoline_kernelINS0_14default_configENS1_25partition_config_selectorILNS1_17partition_subalgoE1EjNS0_10empty_typeEbEEZZNS1_14partition_implILS5_1ELb0ES3_jN6thrust23THRUST_200600_302600_NS6detail15normal_iteratorINSA_10device_ptrIjEEEEPS6_NSA_18transform_iteratorI7is_evenIjESF_NSA_11use_defaultESK_EENS0_5tupleIJNSA_16discard_iteratorISK_EESF_EEENSM_IJSG_SG_EEES6_PlJS6_EEE10hipError_tPvRmT3_T4_T5_T6_T7_T9_mT8_P12ihipStream_tbDpT10_ENKUlT_T0_E_clISt17integral_constantIbLb1EES1A_IbLb0EEEEDaS16_S17_EUlS16_E_NS1_11comp_targetILNS1_3genE3ELNS1_11target_archE908ELNS1_3gpuE7ELNS1_3repE0EEENS1_30default_config_static_selectorELNS0_4arch9wavefront6targetE1EEEvT1_
	.globl	_ZN7rocprim17ROCPRIM_400000_NS6detail17trampoline_kernelINS0_14default_configENS1_25partition_config_selectorILNS1_17partition_subalgoE1EjNS0_10empty_typeEbEEZZNS1_14partition_implILS5_1ELb0ES3_jN6thrust23THRUST_200600_302600_NS6detail15normal_iteratorINSA_10device_ptrIjEEEEPS6_NSA_18transform_iteratorI7is_evenIjESF_NSA_11use_defaultESK_EENS0_5tupleIJNSA_16discard_iteratorISK_EESF_EEENSM_IJSG_SG_EEES6_PlJS6_EEE10hipError_tPvRmT3_T4_T5_T6_T7_T9_mT8_P12ihipStream_tbDpT10_ENKUlT_T0_E_clISt17integral_constantIbLb1EES1A_IbLb0EEEEDaS16_S17_EUlS16_E_NS1_11comp_targetILNS1_3genE3ELNS1_11target_archE908ELNS1_3gpuE7ELNS1_3repE0EEENS1_30default_config_static_selectorELNS0_4arch9wavefront6targetE1EEEvT1_
	.p2align	8
	.type	_ZN7rocprim17ROCPRIM_400000_NS6detail17trampoline_kernelINS0_14default_configENS1_25partition_config_selectorILNS1_17partition_subalgoE1EjNS0_10empty_typeEbEEZZNS1_14partition_implILS5_1ELb0ES3_jN6thrust23THRUST_200600_302600_NS6detail15normal_iteratorINSA_10device_ptrIjEEEEPS6_NSA_18transform_iteratorI7is_evenIjESF_NSA_11use_defaultESK_EENS0_5tupleIJNSA_16discard_iteratorISK_EESF_EEENSM_IJSG_SG_EEES6_PlJS6_EEE10hipError_tPvRmT3_T4_T5_T6_T7_T9_mT8_P12ihipStream_tbDpT10_ENKUlT_T0_E_clISt17integral_constantIbLb1EES1A_IbLb0EEEEDaS16_S17_EUlS16_E_NS1_11comp_targetILNS1_3genE3ELNS1_11target_archE908ELNS1_3gpuE7ELNS1_3repE0EEENS1_30default_config_static_selectorELNS0_4arch9wavefront6targetE1EEEvT1_,@function
_ZN7rocprim17ROCPRIM_400000_NS6detail17trampoline_kernelINS0_14default_configENS1_25partition_config_selectorILNS1_17partition_subalgoE1EjNS0_10empty_typeEbEEZZNS1_14partition_implILS5_1ELb0ES3_jN6thrust23THRUST_200600_302600_NS6detail15normal_iteratorINSA_10device_ptrIjEEEEPS6_NSA_18transform_iteratorI7is_evenIjESF_NSA_11use_defaultESK_EENS0_5tupleIJNSA_16discard_iteratorISK_EESF_EEENSM_IJSG_SG_EEES6_PlJS6_EEE10hipError_tPvRmT3_T4_T5_T6_T7_T9_mT8_P12ihipStream_tbDpT10_ENKUlT_T0_E_clISt17integral_constantIbLb1EES1A_IbLb0EEEEDaS16_S17_EUlS16_E_NS1_11comp_targetILNS1_3genE3ELNS1_11target_archE908ELNS1_3gpuE7ELNS1_3repE0EEENS1_30default_config_static_selectorELNS0_4arch9wavefront6targetE1EEEvT1_: ; @_ZN7rocprim17ROCPRIM_400000_NS6detail17trampoline_kernelINS0_14default_configENS1_25partition_config_selectorILNS1_17partition_subalgoE1EjNS0_10empty_typeEbEEZZNS1_14partition_implILS5_1ELb0ES3_jN6thrust23THRUST_200600_302600_NS6detail15normal_iteratorINSA_10device_ptrIjEEEEPS6_NSA_18transform_iteratorI7is_evenIjESF_NSA_11use_defaultESK_EENS0_5tupleIJNSA_16discard_iteratorISK_EESF_EEENSM_IJSG_SG_EEES6_PlJS6_EEE10hipError_tPvRmT3_T4_T5_T6_T7_T9_mT8_P12ihipStream_tbDpT10_ENKUlT_T0_E_clISt17integral_constantIbLb1EES1A_IbLb0EEEEDaS16_S17_EUlS16_E_NS1_11comp_targetILNS1_3genE3ELNS1_11target_archE908ELNS1_3gpuE7ELNS1_3repE0EEENS1_30default_config_static_selectorELNS0_4arch9wavefront6targetE1EEEvT1_
; %bb.0:
	.section	.rodata,"a",@progbits
	.p2align	6, 0x0
	.amdhsa_kernel _ZN7rocprim17ROCPRIM_400000_NS6detail17trampoline_kernelINS0_14default_configENS1_25partition_config_selectorILNS1_17partition_subalgoE1EjNS0_10empty_typeEbEEZZNS1_14partition_implILS5_1ELb0ES3_jN6thrust23THRUST_200600_302600_NS6detail15normal_iteratorINSA_10device_ptrIjEEEEPS6_NSA_18transform_iteratorI7is_evenIjESF_NSA_11use_defaultESK_EENS0_5tupleIJNSA_16discard_iteratorISK_EESF_EEENSM_IJSG_SG_EEES6_PlJS6_EEE10hipError_tPvRmT3_T4_T5_T6_T7_T9_mT8_P12ihipStream_tbDpT10_ENKUlT_T0_E_clISt17integral_constantIbLb1EES1A_IbLb0EEEEDaS16_S17_EUlS16_E_NS1_11comp_targetILNS1_3genE3ELNS1_11target_archE908ELNS1_3gpuE7ELNS1_3repE0EEENS1_30default_config_static_selectorELNS0_4arch9wavefront6targetE1EEEvT1_
		.amdhsa_group_segment_fixed_size 0
		.amdhsa_private_segment_fixed_size 0
		.amdhsa_kernarg_size 136
		.amdhsa_user_sgpr_count 6
		.amdhsa_user_sgpr_private_segment_buffer 1
		.amdhsa_user_sgpr_dispatch_ptr 0
		.amdhsa_user_sgpr_queue_ptr 0
		.amdhsa_user_sgpr_kernarg_segment_ptr 1
		.amdhsa_user_sgpr_dispatch_id 0
		.amdhsa_user_sgpr_flat_scratch_init 0
		.amdhsa_user_sgpr_kernarg_preload_length 0
		.amdhsa_user_sgpr_kernarg_preload_offset 0
		.amdhsa_user_sgpr_private_segment_size 0
		.amdhsa_uses_dynamic_stack 0
		.amdhsa_system_sgpr_private_segment_wavefront_offset 0
		.amdhsa_system_sgpr_workgroup_id_x 1
		.amdhsa_system_sgpr_workgroup_id_y 0
		.amdhsa_system_sgpr_workgroup_id_z 0
		.amdhsa_system_sgpr_workgroup_info 0
		.amdhsa_system_vgpr_workitem_id 0
		.amdhsa_next_free_vgpr 1
		.amdhsa_next_free_sgpr 0
		.amdhsa_accum_offset 4
		.amdhsa_reserve_vcc 0
		.amdhsa_reserve_flat_scratch 0
		.amdhsa_float_round_mode_32 0
		.amdhsa_float_round_mode_16_64 0
		.amdhsa_float_denorm_mode_32 3
		.amdhsa_float_denorm_mode_16_64 3
		.amdhsa_dx10_clamp 1
		.amdhsa_ieee_mode 1
		.amdhsa_fp16_overflow 0
		.amdhsa_tg_split 0
		.amdhsa_exception_fp_ieee_invalid_op 0
		.amdhsa_exception_fp_denorm_src 0
		.amdhsa_exception_fp_ieee_div_zero 0
		.amdhsa_exception_fp_ieee_overflow 0
		.amdhsa_exception_fp_ieee_underflow 0
		.amdhsa_exception_fp_ieee_inexact 0
		.amdhsa_exception_int_div_zero 0
	.end_amdhsa_kernel
	.section	.text._ZN7rocprim17ROCPRIM_400000_NS6detail17trampoline_kernelINS0_14default_configENS1_25partition_config_selectorILNS1_17partition_subalgoE1EjNS0_10empty_typeEbEEZZNS1_14partition_implILS5_1ELb0ES3_jN6thrust23THRUST_200600_302600_NS6detail15normal_iteratorINSA_10device_ptrIjEEEEPS6_NSA_18transform_iteratorI7is_evenIjESF_NSA_11use_defaultESK_EENS0_5tupleIJNSA_16discard_iteratorISK_EESF_EEENSM_IJSG_SG_EEES6_PlJS6_EEE10hipError_tPvRmT3_T4_T5_T6_T7_T9_mT8_P12ihipStream_tbDpT10_ENKUlT_T0_E_clISt17integral_constantIbLb1EES1A_IbLb0EEEEDaS16_S17_EUlS16_E_NS1_11comp_targetILNS1_3genE3ELNS1_11target_archE908ELNS1_3gpuE7ELNS1_3repE0EEENS1_30default_config_static_selectorELNS0_4arch9wavefront6targetE1EEEvT1_,"axG",@progbits,_ZN7rocprim17ROCPRIM_400000_NS6detail17trampoline_kernelINS0_14default_configENS1_25partition_config_selectorILNS1_17partition_subalgoE1EjNS0_10empty_typeEbEEZZNS1_14partition_implILS5_1ELb0ES3_jN6thrust23THRUST_200600_302600_NS6detail15normal_iteratorINSA_10device_ptrIjEEEEPS6_NSA_18transform_iteratorI7is_evenIjESF_NSA_11use_defaultESK_EENS0_5tupleIJNSA_16discard_iteratorISK_EESF_EEENSM_IJSG_SG_EEES6_PlJS6_EEE10hipError_tPvRmT3_T4_T5_T6_T7_T9_mT8_P12ihipStream_tbDpT10_ENKUlT_T0_E_clISt17integral_constantIbLb1EES1A_IbLb0EEEEDaS16_S17_EUlS16_E_NS1_11comp_targetILNS1_3genE3ELNS1_11target_archE908ELNS1_3gpuE7ELNS1_3repE0EEENS1_30default_config_static_selectorELNS0_4arch9wavefront6targetE1EEEvT1_,comdat
.Lfunc_end3054:
	.size	_ZN7rocprim17ROCPRIM_400000_NS6detail17trampoline_kernelINS0_14default_configENS1_25partition_config_selectorILNS1_17partition_subalgoE1EjNS0_10empty_typeEbEEZZNS1_14partition_implILS5_1ELb0ES3_jN6thrust23THRUST_200600_302600_NS6detail15normal_iteratorINSA_10device_ptrIjEEEEPS6_NSA_18transform_iteratorI7is_evenIjESF_NSA_11use_defaultESK_EENS0_5tupleIJNSA_16discard_iteratorISK_EESF_EEENSM_IJSG_SG_EEES6_PlJS6_EEE10hipError_tPvRmT3_T4_T5_T6_T7_T9_mT8_P12ihipStream_tbDpT10_ENKUlT_T0_E_clISt17integral_constantIbLb1EES1A_IbLb0EEEEDaS16_S17_EUlS16_E_NS1_11comp_targetILNS1_3genE3ELNS1_11target_archE908ELNS1_3gpuE7ELNS1_3repE0EEENS1_30default_config_static_selectorELNS0_4arch9wavefront6targetE1EEEvT1_, .Lfunc_end3054-_ZN7rocprim17ROCPRIM_400000_NS6detail17trampoline_kernelINS0_14default_configENS1_25partition_config_selectorILNS1_17partition_subalgoE1EjNS0_10empty_typeEbEEZZNS1_14partition_implILS5_1ELb0ES3_jN6thrust23THRUST_200600_302600_NS6detail15normal_iteratorINSA_10device_ptrIjEEEEPS6_NSA_18transform_iteratorI7is_evenIjESF_NSA_11use_defaultESK_EENS0_5tupleIJNSA_16discard_iteratorISK_EESF_EEENSM_IJSG_SG_EEES6_PlJS6_EEE10hipError_tPvRmT3_T4_T5_T6_T7_T9_mT8_P12ihipStream_tbDpT10_ENKUlT_T0_E_clISt17integral_constantIbLb1EES1A_IbLb0EEEEDaS16_S17_EUlS16_E_NS1_11comp_targetILNS1_3genE3ELNS1_11target_archE908ELNS1_3gpuE7ELNS1_3repE0EEENS1_30default_config_static_selectorELNS0_4arch9wavefront6targetE1EEEvT1_
                                        ; -- End function
	.section	.AMDGPU.csdata,"",@progbits
; Kernel info:
; codeLenInByte = 0
; NumSgprs: 4
; NumVgprs: 0
; NumAgprs: 0
; TotalNumVgprs: 0
; ScratchSize: 0
; MemoryBound: 0
; FloatMode: 240
; IeeeMode: 1
; LDSByteSize: 0 bytes/workgroup (compile time only)
; SGPRBlocks: 0
; VGPRBlocks: 0
; NumSGPRsForWavesPerEU: 4
; NumVGPRsForWavesPerEU: 1
; AccumOffset: 4
; Occupancy: 8
; WaveLimiterHint : 0
; COMPUTE_PGM_RSRC2:SCRATCH_EN: 0
; COMPUTE_PGM_RSRC2:USER_SGPR: 6
; COMPUTE_PGM_RSRC2:TRAP_HANDLER: 0
; COMPUTE_PGM_RSRC2:TGID_X_EN: 1
; COMPUTE_PGM_RSRC2:TGID_Y_EN: 0
; COMPUTE_PGM_RSRC2:TGID_Z_EN: 0
; COMPUTE_PGM_RSRC2:TIDIG_COMP_CNT: 0
; COMPUTE_PGM_RSRC3_GFX90A:ACCUM_OFFSET: 0
; COMPUTE_PGM_RSRC3_GFX90A:TG_SPLIT: 0
	.section	.text._ZN7rocprim17ROCPRIM_400000_NS6detail17trampoline_kernelINS0_14default_configENS1_25partition_config_selectorILNS1_17partition_subalgoE1EjNS0_10empty_typeEbEEZZNS1_14partition_implILS5_1ELb0ES3_jN6thrust23THRUST_200600_302600_NS6detail15normal_iteratorINSA_10device_ptrIjEEEEPS6_NSA_18transform_iteratorI7is_evenIjESF_NSA_11use_defaultESK_EENS0_5tupleIJNSA_16discard_iteratorISK_EESF_EEENSM_IJSG_SG_EEES6_PlJS6_EEE10hipError_tPvRmT3_T4_T5_T6_T7_T9_mT8_P12ihipStream_tbDpT10_ENKUlT_T0_E_clISt17integral_constantIbLb1EES1A_IbLb0EEEEDaS16_S17_EUlS16_E_NS1_11comp_targetILNS1_3genE2ELNS1_11target_archE906ELNS1_3gpuE6ELNS1_3repE0EEENS1_30default_config_static_selectorELNS0_4arch9wavefront6targetE1EEEvT1_,"axG",@progbits,_ZN7rocprim17ROCPRIM_400000_NS6detail17trampoline_kernelINS0_14default_configENS1_25partition_config_selectorILNS1_17partition_subalgoE1EjNS0_10empty_typeEbEEZZNS1_14partition_implILS5_1ELb0ES3_jN6thrust23THRUST_200600_302600_NS6detail15normal_iteratorINSA_10device_ptrIjEEEEPS6_NSA_18transform_iteratorI7is_evenIjESF_NSA_11use_defaultESK_EENS0_5tupleIJNSA_16discard_iteratorISK_EESF_EEENSM_IJSG_SG_EEES6_PlJS6_EEE10hipError_tPvRmT3_T4_T5_T6_T7_T9_mT8_P12ihipStream_tbDpT10_ENKUlT_T0_E_clISt17integral_constantIbLb1EES1A_IbLb0EEEEDaS16_S17_EUlS16_E_NS1_11comp_targetILNS1_3genE2ELNS1_11target_archE906ELNS1_3gpuE6ELNS1_3repE0EEENS1_30default_config_static_selectorELNS0_4arch9wavefront6targetE1EEEvT1_,comdat
	.protected	_ZN7rocprim17ROCPRIM_400000_NS6detail17trampoline_kernelINS0_14default_configENS1_25partition_config_selectorILNS1_17partition_subalgoE1EjNS0_10empty_typeEbEEZZNS1_14partition_implILS5_1ELb0ES3_jN6thrust23THRUST_200600_302600_NS6detail15normal_iteratorINSA_10device_ptrIjEEEEPS6_NSA_18transform_iteratorI7is_evenIjESF_NSA_11use_defaultESK_EENS0_5tupleIJNSA_16discard_iteratorISK_EESF_EEENSM_IJSG_SG_EEES6_PlJS6_EEE10hipError_tPvRmT3_T4_T5_T6_T7_T9_mT8_P12ihipStream_tbDpT10_ENKUlT_T0_E_clISt17integral_constantIbLb1EES1A_IbLb0EEEEDaS16_S17_EUlS16_E_NS1_11comp_targetILNS1_3genE2ELNS1_11target_archE906ELNS1_3gpuE6ELNS1_3repE0EEENS1_30default_config_static_selectorELNS0_4arch9wavefront6targetE1EEEvT1_ ; -- Begin function _ZN7rocprim17ROCPRIM_400000_NS6detail17trampoline_kernelINS0_14default_configENS1_25partition_config_selectorILNS1_17partition_subalgoE1EjNS0_10empty_typeEbEEZZNS1_14partition_implILS5_1ELb0ES3_jN6thrust23THRUST_200600_302600_NS6detail15normal_iteratorINSA_10device_ptrIjEEEEPS6_NSA_18transform_iteratorI7is_evenIjESF_NSA_11use_defaultESK_EENS0_5tupleIJNSA_16discard_iteratorISK_EESF_EEENSM_IJSG_SG_EEES6_PlJS6_EEE10hipError_tPvRmT3_T4_T5_T6_T7_T9_mT8_P12ihipStream_tbDpT10_ENKUlT_T0_E_clISt17integral_constantIbLb1EES1A_IbLb0EEEEDaS16_S17_EUlS16_E_NS1_11comp_targetILNS1_3genE2ELNS1_11target_archE906ELNS1_3gpuE6ELNS1_3repE0EEENS1_30default_config_static_selectorELNS0_4arch9wavefront6targetE1EEEvT1_
	.globl	_ZN7rocprim17ROCPRIM_400000_NS6detail17trampoline_kernelINS0_14default_configENS1_25partition_config_selectorILNS1_17partition_subalgoE1EjNS0_10empty_typeEbEEZZNS1_14partition_implILS5_1ELb0ES3_jN6thrust23THRUST_200600_302600_NS6detail15normal_iteratorINSA_10device_ptrIjEEEEPS6_NSA_18transform_iteratorI7is_evenIjESF_NSA_11use_defaultESK_EENS0_5tupleIJNSA_16discard_iteratorISK_EESF_EEENSM_IJSG_SG_EEES6_PlJS6_EEE10hipError_tPvRmT3_T4_T5_T6_T7_T9_mT8_P12ihipStream_tbDpT10_ENKUlT_T0_E_clISt17integral_constantIbLb1EES1A_IbLb0EEEEDaS16_S17_EUlS16_E_NS1_11comp_targetILNS1_3genE2ELNS1_11target_archE906ELNS1_3gpuE6ELNS1_3repE0EEENS1_30default_config_static_selectorELNS0_4arch9wavefront6targetE1EEEvT1_
	.p2align	8
	.type	_ZN7rocprim17ROCPRIM_400000_NS6detail17trampoline_kernelINS0_14default_configENS1_25partition_config_selectorILNS1_17partition_subalgoE1EjNS0_10empty_typeEbEEZZNS1_14partition_implILS5_1ELb0ES3_jN6thrust23THRUST_200600_302600_NS6detail15normal_iteratorINSA_10device_ptrIjEEEEPS6_NSA_18transform_iteratorI7is_evenIjESF_NSA_11use_defaultESK_EENS0_5tupleIJNSA_16discard_iteratorISK_EESF_EEENSM_IJSG_SG_EEES6_PlJS6_EEE10hipError_tPvRmT3_T4_T5_T6_T7_T9_mT8_P12ihipStream_tbDpT10_ENKUlT_T0_E_clISt17integral_constantIbLb1EES1A_IbLb0EEEEDaS16_S17_EUlS16_E_NS1_11comp_targetILNS1_3genE2ELNS1_11target_archE906ELNS1_3gpuE6ELNS1_3repE0EEENS1_30default_config_static_selectorELNS0_4arch9wavefront6targetE1EEEvT1_,@function
_ZN7rocprim17ROCPRIM_400000_NS6detail17trampoline_kernelINS0_14default_configENS1_25partition_config_selectorILNS1_17partition_subalgoE1EjNS0_10empty_typeEbEEZZNS1_14partition_implILS5_1ELb0ES3_jN6thrust23THRUST_200600_302600_NS6detail15normal_iteratorINSA_10device_ptrIjEEEEPS6_NSA_18transform_iteratorI7is_evenIjESF_NSA_11use_defaultESK_EENS0_5tupleIJNSA_16discard_iteratorISK_EESF_EEENSM_IJSG_SG_EEES6_PlJS6_EEE10hipError_tPvRmT3_T4_T5_T6_T7_T9_mT8_P12ihipStream_tbDpT10_ENKUlT_T0_E_clISt17integral_constantIbLb1EES1A_IbLb0EEEEDaS16_S17_EUlS16_E_NS1_11comp_targetILNS1_3genE2ELNS1_11target_archE906ELNS1_3gpuE6ELNS1_3repE0EEENS1_30default_config_static_selectorELNS0_4arch9wavefront6targetE1EEEvT1_: ; @_ZN7rocprim17ROCPRIM_400000_NS6detail17trampoline_kernelINS0_14default_configENS1_25partition_config_selectorILNS1_17partition_subalgoE1EjNS0_10empty_typeEbEEZZNS1_14partition_implILS5_1ELb0ES3_jN6thrust23THRUST_200600_302600_NS6detail15normal_iteratorINSA_10device_ptrIjEEEEPS6_NSA_18transform_iteratorI7is_evenIjESF_NSA_11use_defaultESK_EENS0_5tupleIJNSA_16discard_iteratorISK_EESF_EEENSM_IJSG_SG_EEES6_PlJS6_EEE10hipError_tPvRmT3_T4_T5_T6_T7_T9_mT8_P12ihipStream_tbDpT10_ENKUlT_T0_E_clISt17integral_constantIbLb1EES1A_IbLb0EEEEDaS16_S17_EUlS16_E_NS1_11comp_targetILNS1_3genE2ELNS1_11target_archE906ELNS1_3gpuE6ELNS1_3repE0EEENS1_30default_config_static_selectorELNS0_4arch9wavefront6targetE1EEEvT1_
; %bb.0:
	.section	.rodata,"a",@progbits
	.p2align	6, 0x0
	.amdhsa_kernel _ZN7rocprim17ROCPRIM_400000_NS6detail17trampoline_kernelINS0_14default_configENS1_25partition_config_selectorILNS1_17partition_subalgoE1EjNS0_10empty_typeEbEEZZNS1_14partition_implILS5_1ELb0ES3_jN6thrust23THRUST_200600_302600_NS6detail15normal_iteratorINSA_10device_ptrIjEEEEPS6_NSA_18transform_iteratorI7is_evenIjESF_NSA_11use_defaultESK_EENS0_5tupleIJNSA_16discard_iteratorISK_EESF_EEENSM_IJSG_SG_EEES6_PlJS6_EEE10hipError_tPvRmT3_T4_T5_T6_T7_T9_mT8_P12ihipStream_tbDpT10_ENKUlT_T0_E_clISt17integral_constantIbLb1EES1A_IbLb0EEEEDaS16_S17_EUlS16_E_NS1_11comp_targetILNS1_3genE2ELNS1_11target_archE906ELNS1_3gpuE6ELNS1_3repE0EEENS1_30default_config_static_selectorELNS0_4arch9wavefront6targetE1EEEvT1_
		.amdhsa_group_segment_fixed_size 0
		.amdhsa_private_segment_fixed_size 0
		.amdhsa_kernarg_size 136
		.amdhsa_user_sgpr_count 6
		.amdhsa_user_sgpr_private_segment_buffer 1
		.amdhsa_user_sgpr_dispatch_ptr 0
		.amdhsa_user_sgpr_queue_ptr 0
		.amdhsa_user_sgpr_kernarg_segment_ptr 1
		.amdhsa_user_sgpr_dispatch_id 0
		.amdhsa_user_sgpr_flat_scratch_init 0
		.amdhsa_user_sgpr_kernarg_preload_length 0
		.amdhsa_user_sgpr_kernarg_preload_offset 0
		.amdhsa_user_sgpr_private_segment_size 0
		.amdhsa_uses_dynamic_stack 0
		.amdhsa_system_sgpr_private_segment_wavefront_offset 0
		.amdhsa_system_sgpr_workgroup_id_x 1
		.amdhsa_system_sgpr_workgroup_id_y 0
		.amdhsa_system_sgpr_workgroup_id_z 0
		.amdhsa_system_sgpr_workgroup_info 0
		.amdhsa_system_vgpr_workitem_id 0
		.amdhsa_next_free_vgpr 1
		.amdhsa_next_free_sgpr 0
		.amdhsa_accum_offset 4
		.amdhsa_reserve_vcc 0
		.amdhsa_reserve_flat_scratch 0
		.amdhsa_float_round_mode_32 0
		.amdhsa_float_round_mode_16_64 0
		.amdhsa_float_denorm_mode_32 3
		.amdhsa_float_denorm_mode_16_64 3
		.amdhsa_dx10_clamp 1
		.amdhsa_ieee_mode 1
		.amdhsa_fp16_overflow 0
		.amdhsa_tg_split 0
		.amdhsa_exception_fp_ieee_invalid_op 0
		.amdhsa_exception_fp_denorm_src 0
		.amdhsa_exception_fp_ieee_div_zero 0
		.amdhsa_exception_fp_ieee_overflow 0
		.amdhsa_exception_fp_ieee_underflow 0
		.amdhsa_exception_fp_ieee_inexact 0
		.amdhsa_exception_int_div_zero 0
	.end_amdhsa_kernel
	.section	.text._ZN7rocprim17ROCPRIM_400000_NS6detail17trampoline_kernelINS0_14default_configENS1_25partition_config_selectorILNS1_17partition_subalgoE1EjNS0_10empty_typeEbEEZZNS1_14partition_implILS5_1ELb0ES3_jN6thrust23THRUST_200600_302600_NS6detail15normal_iteratorINSA_10device_ptrIjEEEEPS6_NSA_18transform_iteratorI7is_evenIjESF_NSA_11use_defaultESK_EENS0_5tupleIJNSA_16discard_iteratorISK_EESF_EEENSM_IJSG_SG_EEES6_PlJS6_EEE10hipError_tPvRmT3_T4_T5_T6_T7_T9_mT8_P12ihipStream_tbDpT10_ENKUlT_T0_E_clISt17integral_constantIbLb1EES1A_IbLb0EEEEDaS16_S17_EUlS16_E_NS1_11comp_targetILNS1_3genE2ELNS1_11target_archE906ELNS1_3gpuE6ELNS1_3repE0EEENS1_30default_config_static_selectorELNS0_4arch9wavefront6targetE1EEEvT1_,"axG",@progbits,_ZN7rocprim17ROCPRIM_400000_NS6detail17trampoline_kernelINS0_14default_configENS1_25partition_config_selectorILNS1_17partition_subalgoE1EjNS0_10empty_typeEbEEZZNS1_14partition_implILS5_1ELb0ES3_jN6thrust23THRUST_200600_302600_NS6detail15normal_iteratorINSA_10device_ptrIjEEEEPS6_NSA_18transform_iteratorI7is_evenIjESF_NSA_11use_defaultESK_EENS0_5tupleIJNSA_16discard_iteratorISK_EESF_EEENSM_IJSG_SG_EEES6_PlJS6_EEE10hipError_tPvRmT3_T4_T5_T6_T7_T9_mT8_P12ihipStream_tbDpT10_ENKUlT_T0_E_clISt17integral_constantIbLb1EES1A_IbLb0EEEEDaS16_S17_EUlS16_E_NS1_11comp_targetILNS1_3genE2ELNS1_11target_archE906ELNS1_3gpuE6ELNS1_3repE0EEENS1_30default_config_static_selectorELNS0_4arch9wavefront6targetE1EEEvT1_,comdat
.Lfunc_end3055:
	.size	_ZN7rocprim17ROCPRIM_400000_NS6detail17trampoline_kernelINS0_14default_configENS1_25partition_config_selectorILNS1_17partition_subalgoE1EjNS0_10empty_typeEbEEZZNS1_14partition_implILS5_1ELb0ES3_jN6thrust23THRUST_200600_302600_NS6detail15normal_iteratorINSA_10device_ptrIjEEEEPS6_NSA_18transform_iteratorI7is_evenIjESF_NSA_11use_defaultESK_EENS0_5tupleIJNSA_16discard_iteratorISK_EESF_EEENSM_IJSG_SG_EEES6_PlJS6_EEE10hipError_tPvRmT3_T4_T5_T6_T7_T9_mT8_P12ihipStream_tbDpT10_ENKUlT_T0_E_clISt17integral_constantIbLb1EES1A_IbLb0EEEEDaS16_S17_EUlS16_E_NS1_11comp_targetILNS1_3genE2ELNS1_11target_archE906ELNS1_3gpuE6ELNS1_3repE0EEENS1_30default_config_static_selectorELNS0_4arch9wavefront6targetE1EEEvT1_, .Lfunc_end3055-_ZN7rocprim17ROCPRIM_400000_NS6detail17trampoline_kernelINS0_14default_configENS1_25partition_config_selectorILNS1_17partition_subalgoE1EjNS0_10empty_typeEbEEZZNS1_14partition_implILS5_1ELb0ES3_jN6thrust23THRUST_200600_302600_NS6detail15normal_iteratorINSA_10device_ptrIjEEEEPS6_NSA_18transform_iteratorI7is_evenIjESF_NSA_11use_defaultESK_EENS0_5tupleIJNSA_16discard_iteratorISK_EESF_EEENSM_IJSG_SG_EEES6_PlJS6_EEE10hipError_tPvRmT3_T4_T5_T6_T7_T9_mT8_P12ihipStream_tbDpT10_ENKUlT_T0_E_clISt17integral_constantIbLb1EES1A_IbLb0EEEEDaS16_S17_EUlS16_E_NS1_11comp_targetILNS1_3genE2ELNS1_11target_archE906ELNS1_3gpuE6ELNS1_3repE0EEENS1_30default_config_static_selectorELNS0_4arch9wavefront6targetE1EEEvT1_
                                        ; -- End function
	.section	.AMDGPU.csdata,"",@progbits
; Kernel info:
; codeLenInByte = 0
; NumSgprs: 4
; NumVgprs: 0
; NumAgprs: 0
; TotalNumVgprs: 0
; ScratchSize: 0
; MemoryBound: 0
; FloatMode: 240
; IeeeMode: 1
; LDSByteSize: 0 bytes/workgroup (compile time only)
; SGPRBlocks: 0
; VGPRBlocks: 0
; NumSGPRsForWavesPerEU: 4
; NumVGPRsForWavesPerEU: 1
; AccumOffset: 4
; Occupancy: 8
; WaveLimiterHint : 0
; COMPUTE_PGM_RSRC2:SCRATCH_EN: 0
; COMPUTE_PGM_RSRC2:USER_SGPR: 6
; COMPUTE_PGM_RSRC2:TRAP_HANDLER: 0
; COMPUTE_PGM_RSRC2:TGID_X_EN: 1
; COMPUTE_PGM_RSRC2:TGID_Y_EN: 0
; COMPUTE_PGM_RSRC2:TGID_Z_EN: 0
; COMPUTE_PGM_RSRC2:TIDIG_COMP_CNT: 0
; COMPUTE_PGM_RSRC3_GFX90A:ACCUM_OFFSET: 0
; COMPUTE_PGM_RSRC3_GFX90A:TG_SPLIT: 0
	.section	.text._ZN7rocprim17ROCPRIM_400000_NS6detail17trampoline_kernelINS0_14default_configENS1_25partition_config_selectorILNS1_17partition_subalgoE1EjNS0_10empty_typeEbEEZZNS1_14partition_implILS5_1ELb0ES3_jN6thrust23THRUST_200600_302600_NS6detail15normal_iteratorINSA_10device_ptrIjEEEEPS6_NSA_18transform_iteratorI7is_evenIjESF_NSA_11use_defaultESK_EENS0_5tupleIJNSA_16discard_iteratorISK_EESF_EEENSM_IJSG_SG_EEES6_PlJS6_EEE10hipError_tPvRmT3_T4_T5_T6_T7_T9_mT8_P12ihipStream_tbDpT10_ENKUlT_T0_E_clISt17integral_constantIbLb1EES1A_IbLb0EEEEDaS16_S17_EUlS16_E_NS1_11comp_targetILNS1_3genE10ELNS1_11target_archE1200ELNS1_3gpuE4ELNS1_3repE0EEENS1_30default_config_static_selectorELNS0_4arch9wavefront6targetE1EEEvT1_,"axG",@progbits,_ZN7rocprim17ROCPRIM_400000_NS6detail17trampoline_kernelINS0_14default_configENS1_25partition_config_selectorILNS1_17partition_subalgoE1EjNS0_10empty_typeEbEEZZNS1_14partition_implILS5_1ELb0ES3_jN6thrust23THRUST_200600_302600_NS6detail15normal_iteratorINSA_10device_ptrIjEEEEPS6_NSA_18transform_iteratorI7is_evenIjESF_NSA_11use_defaultESK_EENS0_5tupleIJNSA_16discard_iteratorISK_EESF_EEENSM_IJSG_SG_EEES6_PlJS6_EEE10hipError_tPvRmT3_T4_T5_T6_T7_T9_mT8_P12ihipStream_tbDpT10_ENKUlT_T0_E_clISt17integral_constantIbLb1EES1A_IbLb0EEEEDaS16_S17_EUlS16_E_NS1_11comp_targetILNS1_3genE10ELNS1_11target_archE1200ELNS1_3gpuE4ELNS1_3repE0EEENS1_30default_config_static_selectorELNS0_4arch9wavefront6targetE1EEEvT1_,comdat
	.protected	_ZN7rocprim17ROCPRIM_400000_NS6detail17trampoline_kernelINS0_14default_configENS1_25partition_config_selectorILNS1_17partition_subalgoE1EjNS0_10empty_typeEbEEZZNS1_14partition_implILS5_1ELb0ES3_jN6thrust23THRUST_200600_302600_NS6detail15normal_iteratorINSA_10device_ptrIjEEEEPS6_NSA_18transform_iteratorI7is_evenIjESF_NSA_11use_defaultESK_EENS0_5tupleIJNSA_16discard_iteratorISK_EESF_EEENSM_IJSG_SG_EEES6_PlJS6_EEE10hipError_tPvRmT3_T4_T5_T6_T7_T9_mT8_P12ihipStream_tbDpT10_ENKUlT_T0_E_clISt17integral_constantIbLb1EES1A_IbLb0EEEEDaS16_S17_EUlS16_E_NS1_11comp_targetILNS1_3genE10ELNS1_11target_archE1200ELNS1_3gpuE4ELNS1_3repE0EEENS1_30default_config_static_selectorELNS0_4arch9wavefront6targetE1EEEvT1_ ; -- Begin function _ZN7rocprim17ROCPRIM_400000_NS6detail17trampoline_kernelINS0_14default_configENS1_25partition_config_selectorILNS1_17partition_subalgoE1EjNS0_10empty_typeEbEEZZNS1_14partition_implILS5_1ELb0ES3_jN6thrust23THRUST_200600_302600_NS6detail15normal_iteratorINSA_10device_ptrIjEEEEPS6_NSA_18transform_iteratorI7is_evenIjESF_NSA_11use_defaultESK_EENS0_5tupleIJNSA_16discard_iteratorISK_EESF_EEENSM_IJSG_SG_EEES6_PlJS6_EEE10hipError_tPvRmT3_T4_T5_T6_T7_T9_mT8_P12ihipStream_tbDpT10_ENKUlT_T0_E_clISt17integral_constantIbLb1EES1A_IbLb0EEEEDaS16_S17_EUlS16_E_NS1_11comp_targetILNS1_3genE10ELNS1_11target_archE1200ELNS1_3gpuE4ELNS1_3repE0EEENS1_30default_config_static_selectorELNS0_4arch9wavefront6targetE1EEEvT1_
	.globl	_ZN7rocprim17ROCPRIM_400000_NS6detail17trampoline_kernelINS0_14default_configENS1_25partition_config_selectorILNS1_17partition_subalgoE1EjNS0_10empty_typeEbEEZZNS1_14partition_implILS5_1ELb0ES3_jN6thrust23THRUST_200600_302600_NS6detail15normal_iteratorINSA_10device_ptrIjEEEEPS6_NSA_18transform_iteratorI7is_evenIjESF_NSA_11use_defaultESK_EENS0_5tupleIJNSA_16discard_iteratorISK_EESF_EEENSM_IJSG_SG_EEES6_PlJS6_EEE10hipError_tPvRmT3_T4_T5_T6_T7_T9_mT8_P12ihipStream_tbDpT10_ENKUlT_T0_E_clISt17integral_constantIbLb1EES1A_IbLb0EEEEDaS16_S17_EUlS16_E_NS1_11comp_targetILNS1_3genE10ELNS1_11target_archE1200ELNS1_3gpuE4ELNS1_3repE0EEENS1_30default_config_static_selectorELNS0_4arch9wavefront6targetE1EEEvT1_
	.p2align	8
	.type	_ZN7rocprim17ROCPRIM_400000_NS6detail17trampoline_kernelINS0_14default_configENS1_25partition_config_selectorILNS1_17partition_subalgoE1EjNS0_10empty_typeEbEEZZNS1_14partition_implILS5_1ELb0ES3_jN6thrust23THRUST_200600_302600_NS6detail15normal_iteratorINSA_10device_ptrIjEEEEPS6_NSA_18transform_iteratorI7is_evenIjESF_NSA_11use_defaultESK_EENS0_5tupleIJNSA_16discard_iteratorISK_EESF_EEENSM_IJSG_SG_EEES6_PlJS6_EEE10hipError_tPvRmT3_T4_T5_T6_T7_T9_mT8_P12ihipStream_tbDpT10_ENKUlT_T0_E_clISt17integral_constantIbLb1EES1A_IbLb0EEEEDaS16_S17_EUlS16_E_NS1_11comp_targetILNS1_3genE10ELNS1_11target_archE1200ELNS1_3gpuE4ELNS1_3repE0EEENS1_30default_config_static_selectorELNS0_4arch9wavefront6targetE1EEEvT1_,@function
_ZN7rocprim17ROCPRIM_400000_NS6detail17trampoline_kernelINS0_14default_configENS1_25partition_config_selectorILNS1_17partition_subalgoE1EjNS0_10empty_typeEbEEZZNS1_14partition_implILS5_1ELb0ES3_jN6thrust23THRUST_200600_302600_NS6detail15normal_iteratorINSA_10device_ptrIjEEEEPS6_NSA_18transform_iteratorI7is_evenIjESF_NSA_11use_defaultESK_EENS0_5tupleIJNSA_16discard_iteratorISK_EESF_EEENSM_IJSG_SG_EEES6_PlJS6_EEE10hipError_tPvRmT3_T4_T5_T6_T7_T9_mT8_P12ihipStream_tbDpT10_ENKUlT_T0_E_clISt17integral_constantIbLb1EES1A_IbLb0EEEEDaS16_S17_EUlS16_E_NS1_11comp_targetILNS1_3genE10ELNS1_11target_archE1200ELNS1_3gpuE4ELNS1_3repE0EEENS1_30default_config_static_selectorELNS0_4arch9wavefront6targetE1EEEvT1_: ; @_ZN7rocprim17ROCPRIM_400000_NS6detail17trampoline_kernelINS0_14default_configENS1_25partition_config_selectorILNS1_17partition_subalgoE1EjNS0_10empty_typeEbEEZZNS1_14partition_implILS5_1ELb0ES3_jN6thrust23THRUST_200600_302600_NS6detail15normal_iteratorINSA_10device_ptrIjEEEEPS6_NSA_18transform_iteratorI7is_evenIjESF_NSA_11use_defaultESK_EENS0_5tupleIJNSA_16discard_iteratorISK_EESF_EEENSM_IJSG_SG_EEES6_PlJS6_EEE10hipError_tPvRmT3_T4_T5_T6_T7_T9_mT8_P12ihipStream_tbDpT10_ENKUlT_T0_E_clISt17integral_constantIbLb1EES1A_IbLb0EEEEDaS16_S17_EUlS16_E_NS1_11comp_targetILNS1_3genE10ELNS1_11target_archE1200ELNS1_3gpuE4ELNS1_3repE0EEENS1_30default_config_static_selectorELNS0_4arch9wavefront6targetE1EEEvT1_
; %bb.0:
	.section	.rodata,"a",@progbits
	.p2align	6, 0x0
	.amdhsa_kernel _ZN7rocprim17ROCPRIM_400000_NS6detail17trampoline_kernelINS0_14default_configENS1_25partition_config_selectorILNS1_17partition_subalgoE1EjNS0_10empty_typeEbEEZZNS1_14partition_implILS5_1ELb0ES3_jN6thrust23THRUST_200600_302600_NS6detail15normal_iteratorINSA_10device_ptrIjEEEEPS6_NSA_18transform_iteratorI7is_evenIjESF_NSA_11use_defaultESK_EENS0_5tupleIJNSA_16discard_iteratorISK_EESF_EEENSM_IJSG_SG_EEES6_PlJS6_EEE10hipError_tPvRmT3_T4_T5_T6_T7_T9_mT8_P12ihipStream_tbDpT10_ENKUlT_T0_E_clISt17integral_constantIbLb1EES1A_IbLb0EEEEDaS16_S17_EUlS16_E_NS1_11comp_targetILNS1_3genE10ELNS1_11target_archE1200ELNS1_3gpuE4ELNS1_3repE0EEENS1_30default_config_static_selectorELNS0_4arch9wavefront6targetE1EEEvT1_
		.amdhsa_group_segment_fixed_size 0
		.amdhsa_private_segment_fixed_size 0
		.amdhsa_kernarg_size 136
		.amdhsa_user_sgpr_count 6
		.amdhsa_user_sgpr_private_segment_buffer 1
		.amdhsa_user_sgpr_dispatch_ptr 0
		.amdhsa_user_sgpr_queue_ptr 0
		.amdhsa_user_sgpr_kernarg_segment_ptr 1
		.amdhsa_user_sgpr_dispatch_id 0
		.amdhsa_user_sgpr_flat_scratch_init 0
		.amdhsa_user_sgpr_kernarg_preload_length 0
		.amdhsa_user_sgpr_kernarg_preload_offset 0
		.amdhsa_user_sgpr_private_segment_size 0
		.amdhsa_uses_dynamic_stack 0
		.amdhsa_system_sgpr_private_segment_wavefront_offset 0
		.amdhsa_system_sgpr_workgroup_id_x 1
		.amdhsa_system_sgpr_workgroup_id_y 0
		.amdhsa_system_sgpr_workgroup_id_z 0
		.amdhsa_system_sgpr_workgroup_info 0
		.amdhsa_system_vgpr_workitem_id 0
		.amdhsa_next_free_vgpr 1
		.amdhsa_next_free_sgpr 0
		.amdhsa_accum_offset 4
		.amdhsa_reserve_vcc 0
		.amdhsa_reserve_flat_scratch 0
		.amdhsa_float_round_mode_32 0
		.amdhsa_float_round_mode_16_64 0
		.amdhsa_float_denorm_mode_32 3
		.amdhsa_float_denorm_mode_16_64 3
		.amdhsa_dx10_clamp 1
		.amdhsa_ieee_mode 1
		.amdhsa_fp16_overflow 0
		.amdhsa_tg_split 0
		.amdhsa_exception_fp_ieee_invalid_op 0
		.amdhsa_exception_fp_denorm_src 0
		.amdhsa_exception_fp_ieee_div_zero 0
		.amdhsa_exception_fp_ieee_overflow 0
		.amdhsa_exception_fp_ieee_underflow 0
		.amdhsa_exception_fp_ieee_inexact 0
		.amdhsa_exception_int_div_zero 0
	.end_amdhsa_kernel
	.section	.text._ZN7rocprim17ROCPRIM_400000_NS6detail17trampoline_kernelINS0_14default_configENS1_25partition_config_selectorILNS1_17partition_subalgoE1EjNS0_10empty_typeEbEEZZNS1_14partition_implILS5_1ELb0ES3_jN6thrust23THRUST_200600_302600_NS6detail15normal_iteratorINSA_10device_ptrIjEEEEPS6_NSA_18transform_iteratorI7is_evenIjESF_NSA_11use_defaultESK_EENS0_5tupleIJNSA_16discard_iteratorISK_EESF_EEENSM_IJSG_SG_EEES6_PlJS6_EEE10hipError_tPvRmT3_T4_T5_T6_T7_T9_mT8_P12ihipStream_tbDpT10_ENKUlT_T0_E_clISt17integral_constantIbLb1EES1A_IbLb0EEEEDaS16_S17_EUlS16_E_NS1_11comp_targetILNS1_3genE10ELNS1_11target_archE1200ELNS1_3gpuE4ELNS1_3repE0EEENS1_30default_config_static_selectorELNS0_4arch9wavefront6targetE1EEEvT1_,"axG",@progbits,_ZN7rocprim17ROCPRIM_400000_NS6detail17trampoline_kernelINS0_14default_configENS1_25partition_config_selectorILNS1_17partition_subalgoE1EjNS0_10empty_typeEbEEZZNS1_14partition_implILS5_1ELb0ES3_jN6thrust23THRUST_200600_302600_NS6detail15normal_iteratorINSA_10device_ptrIjEEEEPS6_NSA_18transform_iteratorI7is_evenIjESF_NSA_11use_defaultESK_EENS0_5tupleIJNSA_16discard_iteratorISK_EESF_EEENSM_IJSG_SG_EEES6_PlJS6_EEE10hipError_tPvRmT3_T4_T5_T6_T7_T9_mT8_P12ihipStream_tbDpT10_ENKUlT_T0_E_clISt17integral_constantIbLb1EES1A_IbLb0EEEEDaS16_S17_EUlS16_E_NS1_11comp_targetILNS1_3genE10ELNS1_11target_archE1200ELNS1_3gpuE4ELNS1_3repE0EEENS1_30default_config_static_selectorELNS0_4arch9wavefront6targetE1EEEvT1_,comdat
.Lfunc_end3056:
	.size	_ZN7rocprim17ROCPRIM_400000_NS6detail17trampoline_kernelINS0_14default_configENS1_25partition_config_selectorILNS1_17partition_subalgoE1EjNS0_10empty_typeEbEEZZNS1_14partition_implILS5_1ELb0ES3_jN6thrust23THRUST_200600_302600_NS6detail15normal_iteratorINSA_10device_ptrIjEEEEPS6_NSA_18transform_iteratorI7is_evenIjESF_NSA_11use_defaultESK_EENS0_5tupleIJNSA_16discard_iteratorISK_EESF_EEENSM_IJSG_SG_EEES6_PlJS6_EEE10hipError_tPvRmT3_T4_T5_T6_T7_T9_mT8_P12ihipStream_tbDpT10_ENKUlT_T0_E_clISt17integral_constantIbLb1EES1A_IbLb0EEEEDaS16_S17_EUlS16_E_NS1_11comp_targetILNS1_3genE10ELNS1_11target_archE1200ELNS1_3gpuE4ELNS1_3repE0EEENS1_30default_config_static_selectorELNS0_4arch9wavefront6targetE1EEEvT1_, .Lfunc_end3056-_ZN7rocprim17ROCPRIM_400000_NS6detail17trampoline_kernelINS0_14default_configENS1_25partition_config_selectorILNS1_17partition_subalgoE1EjNS0_10empty_typeEbEEZZNS1_14partition_implILS5_1ELb0ES3_jN6thrust23THRUST_200600_302600_NS6detail15normal_iteratorINSA_10device_ptrIjEEEEPS6_NSA_18transform_iteratorI7is_evenIjESF_NSA_11use_defaultESK_EENS0_5tupleIJNSA_16discard_iteratorISK_EESF_EEENSM_IJSG_SG_EEES6_PlJS6_EEE10hipError_tPvRmT3_T4_T5_T6_T7_T9_mT8_P12ihipStream_tbDpT10_ENKUlT_T0_E_clISt17integral_constantIbLb1EES1A_IbLb0EEEEDaS16_S17_EUlS16_E_NS1_11comp_targetILNS1_3genE10ELNS1_11target_archE1200ELNS1_3gpuE4ELNS1_3repE0EEENS1_30default_config_static_selectorELNS0_4arch9wavefront6targetE1EEEvT1_
                                        ; -- End function
	.section	.AMDGPU.csdata,"",@progbits
; Kernel info:
; codeLenInByte = 0
; NumSgprs: 4
; NumVgprs: 0
; NumAgprs: 0
; TotalNumVgprs: 0
; ScratchSize: 0
; MemoryBound: 0
; FloatMode: 240
; IeeeMode: 1
; LDSByteSize: 0 bytes/workgroup (compile time only)
; SGPRBlocks: 0
; VGPRBlocks: 0
; NumSGPRsForWavesPerEU: 4
; NumVGPRsForWavesPerEU: 1
; AccumOffset: 4
; Occupancy: 8
; WaveLimiterHint : 0
; COMPUTE_PGM_RSRC2:SCRATCH_EN: 0
; COMPUTE_PGM_RSRC2:USER_SGPR: 6
; COMPUTE_PGM_RSRC2:TRAP_HANDLER: 0
; COMPUTE_PGM_RSRC2:TGID_X_EN: 1
; COMPUTE_PGM_RSRC2:TGID_Y_EN: 0
; COMPUTE_PGM_RSRC2:TGID_Z_EN: 0
; COMPUTE_PGM_RSRC2:TIDIG_COMP_CNT: 0
; COMPUTE_PGM_RSRC3_GFX90A:ACCUM_OFFSET: 0
; COMPUTE_PGM_RSRC3_GFX90A:TG_SPLIT: 0
	.section	.text._ZN7rocprim17ROCPRIM_400000_NS6detail17trampoline_kernelINS0_14default_configENS1_25partition_config_selectorILNS1_17partition_subalgoE1EjNS0_10empty_typeEbEEZZNS1_14partition_implILS5_1ELb0ES3_jN6thrust23THRUST_200600_302600_NS6detail15normal_iteratorINSA_10device_ptrIjEEEEPS6_NSA_18transform_iteratorI7is_evenIjESF_NSA_11use_defaultESK_EENS0_5tupleIJNSA_16discard_iteratorISK_EESF_EEENSM_IJSG_SG_EEES6_PlJS6_EEE10hipError_tPvRmT3_T4_T5_T6_T7_T9_mT8_P12ihipStream_tbDpT10_ENKUlT_T0_E_clISt17integral_constantIbLb1EES1A_IbLb0EEEEDaS16_S17_EUlS16_E_NS1_11comp_targetILNS1_3genE9ELNS1_11target_archE1100ELNS1_3gpuE3ELNS1_3repE0EEENS1_30default_config_static_selectorELNS0_4arch9wavefront6targetE1EEEvT1_,"axG",@progbits,_ZN7rocprim17ROCPRIM_400000_NS6detail17trampoline_kernelINS0_14default_configENS1_25partition_config_selectorILNS1_17partition_subalgoE1EjNS0_10empty_typeEbEEZZNS1_14partition_implILS5_1ELb0ES3_jN6thrust23THRUST_200600_302600_NS6detail15normal_iteratorINSA_10device_ptrIjEEEEPS6_NSA_18transform_iteratorI7is_evenIjESF_NSA_11use_defaultESK_EENS0_5tupleIJNSA_16discard_iteratorISK_EESF_EEENSM_IJSG_SG_EEES6_PlJS6_EEE10hipError_tPvRmT3_T4_T5_T6_T7_T9_mT8_P12ihipStream_tbDpT10_ENKUlT_T0_E_clISt17integral_constantIbLb1EES1A_IbLb0EEEEDaS16_S17_EUlS16_E_NS1_11comp_targetILNS1_3genE9ELNS1_11target_archE1100ELNS1_3gpuE3ELNS1_3repE0EEENS1_30default_config_static_selectorELNS0_4arch9wavefront6targetE1EEEvT1_,comdat
	.protected	_ZN7rocprim17ROCPRIM_400000_NS6detail17trampoline_kernelINS0_14default_configENS1_25partition_config_selectorILNS1_17partition_subalgoE1EjNS0_10empty_typeEbEEZZNS1_14partition_implILS5_1ELb0ES3_jN6thrust23THRUST_200600_302600_NS6detail15normal_iteratorINSA_10device_ptrIjEEEEPS6_NSA_18transform_iteratorI7is_evenIjESF_NSA_11use_defaultESK_EENS0_5tupleIJNSA_16discard_iteratorISK_EESF_EEENSM_IJSG_SG_EEES6_PlJS6_EEE10hipError_tPvRmT3_T4_T5_T6_T7_T9_mT8_P12ihipStream_tbDpT10_ENKUlT_T0_E_clISt17integral_constantIbLb1EES1A_IbLb0EEEEDaS16_S17_EUlS16_E_NS1_11comp_targetILNS1_3genE9ELNS1_11target_archE1100ELNS1_3gpuE3ELNS1_3repE0EEENS1_30default_config_static_selectorELNS0_4arch9wavefront6targetE1EEEvT1_ ; -- Begin function _ZN7rocprim17ROCPRIM_400000_NS6detail17trampoline_kernelINS0_14default_configENS1_25partition_config_selectorILNS1_17partition_subalgoE1EjNS0_10empty_typeEbEEZZNS1_14partition_implILS5_1ELb0ES3_jN6thrust23THRUST_200600_302600_NS6detail15normal_iteratorINSA_10device_ptrIjEEEEPS6_NSA_18transform_iteratorI7is_evenIjESF_NSA_11use_defaultESK_EENS0_5tupleIJNSA_16discard_iteratorISK_EESF_EEENSM_IJSG_SG_EEES6_PlJS6_EEE10hipError_tPvRmT3_T4_T5_T6_T7_T9_mT8_P12ihipStream_tbDpT10_ENKUlT_T0_E_clISt17integral_constantIbLb1EES1A_IbLb0EEEEDaS16_S17_EUlS16_E_NS1_11comp_targetILNS1_3genE9ELNS1_11target_archE1100ELNS1_3gpuE3ELNS1_3repE0EEENS1_30default_config_static_selectorELNS0_4arch9wavefront6targetE1EEEvT1_
	.globl	_ZN7rocprim17ROCPRIM_400000_NS6detail17trampoline_kernelINS0_14default_configENS1_25partition_config_selectorILNS1_17partition_subalgoE1EjNS0_10empty_typeEbEEZZNS1_14partition_implILS5_1ELb0ES3_jN6thrust23THRUST_200600_302600_NS6detail15normal_iteratorINSA_10device_ptrIjEEEEPS6_NSA_18transform_iteratorI7is_evenIjESF_NSA_11use_defaultESK_EENS0_5tupleIJNSA_16discard_iteratorISK_EESF_EEENSM_IJSG_SG_EEES6_PlJS6_EEE10hipError_tPvRmT3_T4_T5_T6_T7_T9_mT8_P12ihipStream_tbDpT10_ENKUlT_T0_E_clISt17integral_constantIbLb1EES1A_IbLb0EEEEDaS16_S17_EUlS16_E_NS1_11comp_targetILNS1_3genE9ELNS1_11target_archE1100ELNS1_3gpuE3ELNS1_3repE0EEENS1_30default_config_static_selectorELNS0_4arch9wavefront6targetE1EEEvT1_
	.p2align	8
	.type	_ZN7rocprim17ROCPRIM_400000_NS6detail17trampoline_kernelINS0_14default_configENS1_25partition_config_selectorILNS1_17partition_subalgoE1EjNS0_10empty_typeEbEEZZNS1_14partition_implILS5_1ELb0ES3_jN6thrust23THRUST_200600_302600_NS6detail15normal_iteratorINSA_10device_ptrIjEEEEPS6_NSA_18transform_iteratorI7is_evenIjESF_NSA_11use_defaultESK_EENS0_5tupleIJNSA_16discard_iteratorISK_EESF_EEENSM_IJSG_SG_EEES6_PlJS6_EEE10hipError_tPvRmT3_T4_T5_T6_T7_T9_mT8_P12ihipStream_tbDpT10_ENKUlT_T0_E_clISt17integral_constantIbLb1EES1A_IbLb0EEEEDaS16_S17_EUlS16_E_NS1_11comp_targetILNS1_3genE9ELNS1_11target_archE1100ELNS1_3gpuE3ELNS1_3repE0EEENS1_30default_config_static_selectorELNS0_4arch9wavefront6targetE1EEEvT1_,@function
_ZN7rocprim17ROCPRIM_400000_NS6detail17trampoline_kernelINS0_14default_configENS1_25partition_config_selectorILNS1_17partition_subalgoE1EjNS0_10empty_typeEbEEZZNS1_14partition_implILS5_1ELb0ES3_jN6thrust23THRUST_200600_302600_NS6detail15normal_iteratorINSA_10device_ptrIjEEEEPS6_NSA_18transform_iteratorI7is_evenIjESF_NSA_11use_defaultESK_EENS0_5tupleIJNSA_16discard_iteratorISK_EESF_EEENSM_IJSG_SG_EEES6_PlJS6_EEE10hipError_tPvRmT3_T4_T5_T6_T7_T9_mT8_P12ihipStream_tbDpT10_ENKUlT_T0_E_clISt17integral_constantIbLb1EES1A_IbLb0EEEEDaS16_S17_EUlS16_E_NS1_11comp_targetILNS1_3genE9ELNS1_11target_archE1100ELNS1_3gpuE3ELNS1_3repE0EEENS1_30default_config_static_selectorELNS0_4arch9wavefront6targetE1EEEvT1_: ; @_ZN7rocprim17ROCPRIM_400000_NS6detail17trampoline_kernelINS0_14default_configENS1_25partition_config_selectorILNS1_17partition_subalgoE1EjNS0_10empty_typeEbEEZZNS1_14partition_implILS5_1ELb0ES3_jN6thrust23THRUST_200600_302600_NS6detail15normal_iteratorINSA_10device_ptrIjEEEEPS6_NSA_18transform_iteratorI7is_evenIjESF_NSA_11use_defaultESK_EENS0_5tupleIJNSA_16discard_iteratorISK_EESF_EEENSM_IJSG_SG_EEES6_PlJS6_EEE10hipError_tPvRmT3_T4_T5_T6_T7_T9_mT8_P12ihipStream_tbDpT10_ENKUlT_T0_E_clISt17integral_constantIbLb1EES1A_IbLb0EEEEDaS16_S17_EUlS16_E_NS1_11comp_targetILNS1_3genE9ELNS1_11target_archE1100ELNS1_3gpuE3ELNS1_3repE0EEENS1_30default_config_static_selectorELNS0_4arch9wavefront6targetE1EEEvT1_
; %bb.0:
	.section	.rodata,"a",@progbits
	.p2align	6, 0x0
	.amdhsa_kernel _ZN7rocprim17ROCPRIM_400000_NS6detail17trampoline_kernelINS0_14default_configENS1_25partition_config_selectorILNS1_17partition_subalgoE1EjNS0_10empty_typeEbEEZZNS1_14partition_implILS5_1ELb0ES3_jN6thrust23THRUST_200600_302600_NS6detail15normal_iteratorINSA_10device_ptrIjEEEEPS6_NSA_18transform_iteratorI7is_evenIjESF_NSA_11use_defaultESK_EENS0_5tupleIJNSA_16discard_iteratorISK_EESF_EEENSM_IJSG_SG_EEES6_PlJS6_EEE10hipError_tPvRmT3_T4_T5_T6_T7_T9_mT8_P12ihipStream_tbDpT10_ENKUlT_T0_E_clISt17integral_constantIbLb1EES1A_IbLb0EEEEDaS16_S17_EUlS16_E_NS1_11comp_targetILNS1_3genE9ELNS1_11target_archE1100ELNS1_3gpuE3ELNS1_3repE0EEENS1_30default_config_static_selectorELNS0_4arch9wavefront6targetE1EEEvT1_
		.amdhsa_group_segment_fixed_size 0
		.amdhsa_private_segment_fixed_size 0
		.amdhsa_kernarg_size 136
		.amdhsa_user_sgpr_count 6
		.amdhsa_user_sgpr_private_segment_buffer 1
		.amdhsa_user_sgpr_dispatch_ptr 0
		.amdhsa_user_sgpr_queue_ptr 0
		.amdhsa_user_sgpr_kernarg_segment_ptr 1
		.amdhsa_user_sgpr_dispatch_id 0
		.amdhsa_user_sgpr_flat_scratch_init 0
		.amdhsa_user_sgpr_kernarg_preload_length 0
		.amdhsa_user_sgpr_kernarg_preload_offset 0
		.amdhsa_user_sgpr_private_segment_size 0
		.amdhsa_uses_dynamic_stack 0
		.amdhsa_system_sgpr_private_segment_wavefront_offset 0
		.amdhsa_system_sgpr_workgroup_id_x 1
		.amdhsa_system_sgpr_workgroup_id_y 0
		.amdhsa_system_sgpr_workgroup_id_z 0
		.amdhsa_system_sgpr_workgroup_info 0
		.amdhsa_system_vgpr_workitem_id 0
		.amdhsa_next_free_vgpr 1
		.amdhsa_next_free_sgpr 0
		.amdhsa_accum_offset 4
		.amdhsa_reserve_vcc 0
		.amdhsa_reserve_flat_scratch 0
		.amdhsa_float_round_mode_32 0
		.amdhsa_float_round_mode_16_64 0
		.amdhsa_float_denorm_mode_32 3
		.amdhsa_float_denorm_mode_16_64 3
		.amdhsa_dx10_clamp 1
		.amdhsa_ieee_mode 1
		.amdhsa_fp16_overflow 0
		.amdhsa_tg_split 0
		.amdhsa_exception_fp_ieee_invalid_op 0
		.amdhsa_exception_fp_denorm_src 0
		.amdhsa_exception_fp_ieee_div_zero 0
		.amdhsa_exception_fp_ieee_overflow 0
		.amdhsa_exception_fp_ieee_underflow 0
		.amdhsa_exception_fp_ieee_inexact 0
		.amdhsa_exception_int_div_zero 0
	.end_amdhsa_kernel
	.section	.text._ZN7rocprim17ROCPRIM_400000_NS6detail17trampoline_kernelINS0_14default_configENS1_25partition_config_selectorILNS1_17partition_subalgoE1EjNS0_10empty_typeEbEEZZNS1_14partition_implILS5_1ELb0ES3_jN6thrust23THRUST_200600_302600_NS6detail15normal_iteratorINSA_10device_ptrIjEEEEPS6_NSA_18transform_iteratorI7is_evenIjESF_NSA_11use_defaultESK_EENS0_5tupleIJNSA_16discard_iteratorISK_EESF_EEENSM_IJSG_SG_EEES6_PlJS6_EEE10hipError_tPvRmT3_T4_T5_T6_T7_T9_mT8_P12ihipStream_tbDpT10_ENKUlT_T0_E_clISt17integral_constantIbLb1EES1A_IbLb0EEEEDaS16_S17_EUlS16_E_NS1_11comp_targetILNS1_3genE9ELNS1_11target_archE1100ELNS1_3gpuE3ELNS1_3repE0EEENS1_30default_config_static_selectorELNS0_4arch9wavefront6targetE1EEEvT1_,"axG",@progbits,_ZN7rocprim17ROCPRIM_400000_NS6detail17trampoline_kernelINS0_14default_configENS1_25partition_config_selectorILNS1_17partition_subalgoE1EjNS0_10empty_typeEbEEZZNS1_14partition_implILS5_1ELb0ES3_jN6thrust23THRUST_200600_302600_NS6detail15normal_iteratorINSA_10device_ptrIjEEEEPS6_NSA_18transform_iteratorI7is_evenIjESF_NSA_11use_defaultESK_EENS0_5tupleIJNSA_16discard_iteratorISK_EESF_EEENSM_IJSG_SG_EEES6_PlJS6_EEE10hipError_tPvRmT3_T4_T5_T6_T7_T9_mT8_P12ihipStream_tbDpT10_ENKUlT_T0_E_clISt17integral_constantIbLb1EES1A_IbLb0EEEEDaS16_S17_EUlS16_E_NS1_11comp_targetILNS1_3genE9ELNS1_11target_archE1100ELNS1_3gpuE3ELNS1_3repE0EEENS1_30default_config_static_selectorELNS0_4arch9wavefront6targetE1EEEvT1_,comdat
.Lfunc_end3057:
	.size	_ZN7rocprim17ROCPRIM_400000_NS6detail17trampoline_kernelINS0_14default_configENS1_25partition_config_selectorILNS1_17partition_subalgoE1EjNS0_10empty_typeEbEEZZNS1_14partition_implILS5_1ELb0ES3_jN6thrust23THRUST_200600_302600_NS6detail15normal_iteratorINSA_10device_ptrIjEEEEPS6_NSA_18transform_iteratorI7is_evenIjESF_NSA_11use_defaultESK_EENS0_5tupleIJNSA_16discard_iteratorISK_EESF_EEENSM_IJSG_SG_EEES6_PlJS6_EEE10hipError_tPvRmT3_T4_T5_T6_T7_T9_mT8_P12ihipStream_tbDpT10_ENKUlT_T0_E_clISt17integral_constantIbLb1EES1A_IbLb0EEEEDaS16_S17_EUlS16_E_NS1_11comp_targetILNS1_3genE9ELNS1_11target_archE1100ELNS1_3gpuE3ELNS1_3repE0EEENS1_30default_config_static_selectorELNS0_4arch9wavefront6targetE1EEEvT1_, .Lfunc_end3057-_ZN7rocprim17ROCPRIM_400000_NS6detail17trampoline_kernelINS0_14default_configENS1_25partition_config_selectorILNS1_17partition_subalgoE1EjNS0_10empty_typeEbEEZZNS1_14partition_implILS5_1ELb0ES3_jN6thrust23THRUST_200600_302600_NS6detail15normal_iteratorINSA_10device_ptrIjEEEEPS6_NSA_18transform_iteratorI7is_evenIjESF_NSA_11use_defaultESK_EENS0_5tupleIJNSA_16discard_iteratorISK_EESF_EEENSM_IJSG_SG_EEES6_PlJS6_EEE10hipError_tPvRmT3_T4_T5_T6_T7_T9_mT8_P12ihipStream_tbDpT10_ENKUlT_T0_E_clISt17integral_constantIbLb1EES1A_IbLb0EEEEDaS16_S17_EUlS16_E_NS1_11comp_targetILNS1_3genE9ELNS1_11target_archE1100ELNS1_3gpuE3ELNS1_3repE0EEENS1_30default_config_static_selectorELNS0_4arch9wavefront6targetE1EEEvT1_
                                        ; -- End function
	.section	.AMDGPU.csdata,"",@progbits
; Kernel info:
; codeLenInByte = 0
; NumSgprs: 4
; NumVgprs: 0
; NumAgprs: 0
; TotalNumVgprs: 0
; ScratchSize: 0
; MemoryBound: 0
; FloatMode: 240
; IeeeMode: 1
; LDSByteSize: 0 bytes/workgroup (compile time only)
; SGPRBlocks: 0
; VGPRBlocks: 0
; NumSGPRsForWavesPerEU: 4
; NumVGPRsForWavesPerEU: 1
; AccumOffset: 4
; Occupancy: 8
; WaveLimiterHint : 0
; COMPUTE_PGM_RSRC2:SCRATCH_EN: 0
; COMPUTE_PGM_RSRC2:USER_SGPR: 6
; COMPUTE_PGM_RSRC2:TRAP_HANDLER: 0
; COMPUTE_PGM_RSRC2:TGID_X_EN: 1
; COMPUTE_PGM_RSRC2:TGID_Y_EN: 0
; COMPUTE_PGM_RSRC2:TGID_Z_EN: 0
; COMPUTE_PGM_RSRC2:TIDIG_COMP_CNT: 0
; COMPUTE_PGM_RSRC3_GFX90A:ACCUM_OFFSET: 0
; COMPUTE_PGM_RSRC3_GFX90A:TG_SPLIT: 0
	.section	.text._ZN7rocprim17ROCPRIM_400000_NS6detail17trampoline_kernelINS0_14default_configENS1_25partition_config_selectorILNS1_17partition_subalgoE1EjNS0_10empty_typeEbEEZZNS1_14partition_implILS5_1ELb0ES3_jN6thrust23THRUST_200600_302600_NS6detail15normal_iteratorINSA_10device_ptrIjEEEEPS6_NSA_18transform_iteratorI7is_evenIjESF_NSA_11use_defaultESK_EENS0_5tupleIJNSA_16discard_iteratorISK_EESF_EEENSM_IJSG_SG_EEES6_PlJS6_EEE10hipError_tPvRmT3_T4_T5_T6_T7_T9_mT8_P12ihipStream_tbDpT10_ENKUlT_T0_E_clISt17integral_constantIbLb1EES1A_IbLb0EEEEDaS16_S17_EUlS16_E_NS1_11comp_targetILNS1_3genE8ELNS1_11target_archE1030ELNS1_3gpuE2ELNS1_3repE0EEENS1_30default_config_static_selectorELNS0_4arch9wavefront6targetE1EEEvT1_,"axG",@progbits,_ZN7rocprim17ROCPRIM_400000_NS6detail17trampoline_kernelINS0_14default_configENS1_25partition_config_selectorILNS1_17partition_subalgoE1EjNS0_10empty_typeEbEEZZNS1_14partition_implILS5_1ELb0ES3_jN6thrust23THRUST_200600_302600_NS6detail15normal_iteratorINSA_10device_ptrIjEEEEPS6_NSA_18transform_iteratorI7is_evenIjESF_NSA_11use_defaultESK_EENS0_5tupleIJNSA_16discard_iteratorISK_EESF_EEENSM_IJSG_SG_EEES6_PlJS6_EEE10hipError_tPvRmT3_T4_T5_T6_T7_T9_mT8_P12ihipStream_tbDpT10_ENKUlT_T0_E_clISt17integral_constantIbLb1EES1A_IbLb0EEEEDaS16_S17_EUlS16_E_NS1_11comp_targetILNS1_3genE8ELNS1_11target_archE1030ELNS1_3gpuE2ELNS1_3repE0EEENS1_30default_config_static_selectorELNS0_4arch9wavefront6targetE1EEEvT1_,comdat
	.protected	_ZN7rocprim17ROCPRIM_400000_NS6detail17trampoline_kernelINS0_14default_configENS1_25partition_config_selectorILNS1_17partition_subalgoE1EjNS0_10empty_typeEbEEZZNS1_14partition_implILS5_1ELb0ES3_jN6thrust23THRUST_200600_302600_NS6detail15normal_iteratorINSA_10device_ptrIjEEEEPS6_NSA_18transform_iteratorI7is_evenIjESF_NSA_11use_defaultESK_EENS0_5tupleIJNSA_16discard_iteratorISK_EESF_EEENSM_IJSG_SG_EEES6_PlJS6_EEE10hipError_tPvRmT3_T4_T5_T6_T7_T9_mT8_P12ihipStream_tbDpT10_ENKUlT_T0_E_clISt17integral_constantIbLb1EES1A_IbLb0EEEEDaS16_S17_EUlS16_E_NS1_11comp_targetILNS1_3genE8ELNS1_11target_archE1030ELNS1_3gpuE2ELNS1_3repE0EEENS1_30default_config_static_selectorELNS0_4arch9wavefront6targetE1EEEvT1_ ; -- Begin function _ZN7rocprim17ROCPRIM_400000_NS6detail17trampoline_kernelINS0_14default_configENS1_25partition_config_selectorILNS1_17partition_subalgoE1EjNS0_10empty_typeEbEEZZNS1_14partition_implILS5_1ELb0ES3_jN6thrust23THRUST_200600_302600_NS6detail15normal_iteratorINSA_10device_ptrIjEEEEPS6_NSA_18transform_iteratorI7is_evenIjESF_NSA_11use_defaultESK_EENS0_5tupleIJNSA_16discard_iteratorISK_EESF_EEENSM_IJSG_SG_EEES6_PlJS6_EEE10hipError_tPvRmT3_T4_T5_T6_T7_T9_mT8_P12ihipStream_tbDpT10_ENKUlT_T0_E_clISt17integral_constantIbLb1EES1A_IbLb0EEEEDaS16_S17_EUlS16_E_NS1_11comp_targetILNS1_3genE8ELNS1_11target_archE1030ELNS1_3gpuE2ELNS1_3repE0EEENS1_30default_config_static_selectorELNS0_4arch9wavefront6targetE1EEEvT1_
	.globl	_ZN7rocprim17ROCPRIM_400000_NS6detail17trampoline_kernelINS0_14default_configENS1_25partition_config_selectorILNS1_17partition_subalgoE1EjNS0_10empty_typeEbEEZZNS1_14partition_implILS5_1ELb0ES3_jN6thrust23THRUST_200600_302600_NS6detail15normal_iteratorINSA_10device_ptrIjEEEEPS6_NSA_18transform_iteratorI7is_evenIjESF_NSA_11use_defaultESK_EENS0_5tupleIJNSA_16discard_iteratorISK_EESF_EEENSM_IJSG_SG_EEES6_PlJS6_EEE10hipError_tPvRmT3_T4_T5_T6_T7_T9_mT8_P12ihipStream_tbDpT10_ENKUlT_T0_E_clISt17integral_constantIbLb1EES1A_IbLb0EEEEDaS16_S17_EUlS16_E_NS1_11comp_targetILNS1_3genE8ELNS1_11target_archE1030ELNS1_3gpuE2ELNS1_3repE0EEENS1_30default_config_static_selectorELNS0_4arch9wavefront6targetE1EEEvT1_
	.p2align	8
	.type	_ZN7rocprim17ROCPRIM_400000_NS6detail17trampoline_kernelINS0_14default_configENS1_25partition_config_selectorILNS1_17partition_subalgoE1EjNS0_10empty_typeEbEEZZNS1_14partition_implILS5_1ELb0ES3_jN6thrust23THRUST_200600_302600_NS6detail15normal_iteratorINSA_10device_ptrIjEEEEPS6_NSA_18transform_iteratorI7is_evenIjESF_NSA_11use_defaultESK_EENS0_5tupleIJNSA_16discard_iteratorISK_EESF_EEENSM_IJSG_SG_EEES6_PlJS6_EEE10hipError_tPvRmT3_T4_T5_T6_T7_T9_mT8_P12ihipStream_tbDpT10_ENKUlT_T0_E_clISt17integral_constantIbLb1EES1A_IbLb0EEEEDaS16_S17_EUlS16_E_NS1_11comp_targetILNS1_3genE8ELNS1_11target_archE1030ELNS1_3gpuE2ELNS1_3repE0EEENS1_30default_config_static_selectorELNS0_4arch9wavefront6targetE1EEEvT1_,@function
_ZN7rocprim17ROCPRIM_400000_NS6detail17trampoline_kernelINS0_14default_configENS1_25partition_config_selectorILNS1_17partition_subalgoE1EjNS0_10empty_typeEbEEZZNS1_14partition_implILS5_1ELb0ES3_jN6thrust23THRUST_200600_302600_NS6detail15normal_iteratorINSA_10device_ptrIjEEEEPS6_NSA_18transform_iteratorI7is_evenIjESF_NSA_11use_defaultESK_EENS0_5tupleIJNSA_16discard_iteratorISK_EESF_EEENSM_IJSG_SG_EEES6_PlJS6_EEE10hipError_tPvRmT3_T4_T5_T6_T7_T9_mT8_P12ihipStream_tbDpT10_ENKUlT_T0_E_clISt17integral_constantIbLb1EES1A_IbLb0EEEEDaS16_S17_EUlS16_E_NS1_11comp_targetILNS1_3genE8ELNS1_11target_archE1030ELNS1_3gpuE2ELNS1_3repE0EEENS1_30default_config_static_selectorELNS0_4arch9wavefront6targetE1EEEvT1_: ; @_ZN7rocprim17ROCPRIM_400000_NS6detail17trampoline_kernelINS0_14default_configENS1_25partition_config_selectorILNS1_17partition_subalgoE1EjNS0_10empty_typeEbEEZZNS1_14partition_implILS5_1ELb0ES3_jN6thrust23THRUST_200600_302600_NS6detail15normal_iteratorINSA_10device_ptrIjEEEEPS6_NSA_18transform_iteratorI7is_evenIjESF_NSA_11use_defaultESK_EENS0_5tupleIJNSA_16discard_iteratorISK_EESF_EEENSM_IJSG_SG_EEES6_PlJS6_EEE10hipError_tPvRmT3_T4_T5_T6_T7_T9_mT8_P12ihipStream_tbDpT10_ENKUlT_T0_E_clISt17integral_constantIbLb1EES1A_IbLb0EEEEDaS16_S17_EUlS16_E_NS1_11comp_targetILNS1_3genE8ELNS1_11target_archE1030ELNS1_3gpuE2ELNS1_3repE0EEENS1_30default_config_static_selectorELNS0_4arch9wavefront6targetE1EEEvT1_
; %bb.0:
	.section	.rodata,"a",@progbits
	.p2align	6, 0x0
	.amdhsa_kernel _ZN7rocprim17ROCPRIM_400000_NS6detail17trampoline_kernelINS0_14default_configENS1_25partition_config_selectorILNS1_17partition_subalgoE1EjNS0_10empty_typeEbEEZZNS1_14partition_implILS5_1ELb0ES3_jN6thrust23THRUST_200600_302600_NS6detail15normal_iteratorINSA_10device_ptrIjEEEEPS6_NSA_18transform_iteratorI7is_evenIjESF_NSA_11use_defaultESK_EENS0_5tupleIJNSA_16discard_iteratorISK_EESF_EEENSM_IJSG_SG_EEES6_PlJS6_EEE10hipError_tPvRmT3_T4_T5_T6_T7_T9_mT8_P12ihipStream_tbDpT10_ENKUlT_T0_E_clISt17integral_constantIbLb1EES1A_IbLb0EEEEDaS16_S17_EUlS16_E_NS1_11comp_targetILNS1_3genE8ELNS1_11target_archE1030ELNS1_3gpuE2ELNS1_3repE0EEENS1_30default_config_static_selectorELNS0_4arch9wavefront6targetE1EEEvT1_
		.amdhsa_group_segment_fixed_size 0
		.amdhsa_private_segment_fixed_size 0
		.amdhsa_kernarg_size 136
		.amdhsa_user_sgpr_count 6
		.amdhsa_user_sgpr_private_segment_buffer 1
		.amdhsa_user_sgpr_dispatch_ptr 0
		.amdhsa_user_sgpr_queue_ptr 0
		.amdhsa_user_sgpr_kernarg_segment_ptr 1
		.amdhsa_user_sgpr_dispatch_id 0
		.amdhsa_user_sgpr_flat_scratch_init 0
		.amdhsa_user_sgpr_kernarg_preload_length 0
		.amdhsa_user_sgpr_kernarg_preload_offset 0
		.amdhsa_user_sgpr_private_segment_size 0
		.amdhsa_uses_dynamic_stack 0
		.amdhsa_system_sgpr_private_segment_wavefront_offset 0
		.amdhsa_system_sgpr_workgroup_id_x 1
		.amdhsa_system_sgpr_workgroup_id_y 0
		.amdhsa_system_sgpr_workgroup_id_z 0
		.amdhsa_system_sgpr_workgroup_info 0
		.amdhsa_system_vgpr_workitem_id 0
		.amdhsa_next_free_vgpr 1
		.amdhsa_next_free_sgpr 0
		.amdhsa_accum_offset 4
		.amdhsa_reserve_vcc 0
		.amdhsa_reserve_flat_scratch 0
		.amdhsa_float_round_mode_32 0
		.amdhsa_float_round_mode_16_64 0
		.amdhsa_float_denorm_mode_32 3
		.amdhsa_float_denorm_mode_16_64 3
		.amdhsa_dx10_clamp 1
		.amdhsa_ieee_mode 1
		.amdhsa_fp16_overflow 0
		.amdhsa_tg_split 0
		.amdhsa_exception_fp_ieee_invalid_op 0
		.amdhsa_exception_fp_denorm_src 0
		.amdhsa_exception_fp_ieee_div_zero 0
		.amdhsa_exception_fp_ieee_overflow 0
		.amdhsa_exception_fp_ieee_underflow 0
		.amdhsa_exception_fp_ieee_inexact 0
		.amdhsa_exception_int_div_zero 0
	.end_amdhsa_kernel
	.section	.text._ZN7rocprim17ROCPRIM_400000_NS6detail17trampoline_kernelINS0_14default_configENS1_25partition_config_selectorILNS1_17partition_subalgoE1EjNS0_10empty_typeEbEEZZNS1_14partition_implILS5_1ELb0ES3_jN6thrust23THRUST_200600_302600_NS6detail15normal_iteratorINSA_10device_ptrIjEEEEPS6_NSA_18transform_iteratorI7is_evenIjESF_NSA_11use_defaultESK_EENS0_5tupleIJNSA_16discard_iteratorISK_EESF_EEENSM_IJSG_SG_EEES6_PlJS6_EEE10hipError_tPvRmT3_T4_T5_T6_T7_T9_mT8_P12ihipStream_tbDpT10_ENKUlT_T0_E_clISt17integral_constantIbLb1EES1A_IbLb0EEEEDaS16_S17_EUlS16_E_NS1_11comp_targetILNS1_3genE8ELNS1_11target_archE1030ELNS1_3gpuE2ELNS1_3repE0EEENS1_30default_config_static_selectorELNS0_4arch9wavefront6targetE1EEEvT1_,"axG",@progbits,_ZN7rocprim17ROCPRIM_400000_NS6detail17trampoline_kernelINS0_14default_configENS1_25partition_config_selectorILNS1_17partition_subalgoE1EjNS0_10empty_typeEbEEZZNS1_14partition_implILS5_1ELb0ES3_jN6thrust23THRUST_200600_302600_NS6detail15normal_iteratorINSA_10device_ptrIjEEEEPS6_NSA_18transform_iteratorI7is_evenIjESF_NSA_11use_defaultESK_EENS0_5tupleIJNSA_16discard_iteratorISK_EESF_EEENSM_IJSG_SG_EEES6_PlJS6_EEE10hipError_tPvRmT3_T4_T5_T6_T7_T9_mT8_P12ihipStream_tbDpT10_ENKUlT_T0_E_clISt17integral_constantIbLb1EES1A_IbLb0EEEEDaS16_S17_EUlS16_E_NS1_11comp_targetILNS1_3genE8ELNS1_11target_archE1030ELNS1_3gpuE2ELNS1_3repE0EEENS1_30default_config_static_selectorELNS0_4arch9wavefront6targetE1EEEvT1_,comdat
.Lfunc_end3058:
	.size	_ZN7rocprim17ROCPRIM_400000_NS6detail17trampoline_kernelINS0_14default_configENS1_25partition_config_selectorILNS1_17partition_subalgoE1EjNS0_10empty_typeEbEEZZNS1_14partition_implILS5_1ELb0ES3_jN6thrust23THRUST_200600_302600_NS6detail15normal_iteratorINSA_10device_ptrIjEEEEPS6_NSA_18transform_iteratorI7is_evenIjESF_NSA_11use_defaultESK_EENS0_5tupleIJNSA_16discard_iteratorISK_EESF_EEENSM_IJSG_SG_EEES6_PlJS6_EEE10hipError_tPvRmT3_T4_T5_T6_T7_T9_mT8_P12ihipStream_tbDpT10_ENKUlT_T0_E_clISt17integral_constantIbLb1EES1A_IbLb0EEEEDaS16_S17_EUlS16_E_NS1_11comp_targetILNS1_3genE8ELNS1_11target_archE1030ELNS1_3gpuE2ELNS1_3repE0EEENS1_30default_config_static_selectorELNS0_4arch9wavefront6targetE1EEEvT1_, .Lfunc_end3058-_ZN7rocprim17ROCPRIM_400000_NS6detail17trampoline_kernelINS0_14default_configENS1_25partition_config_selectorILNS1_17partition_subalgoE1EjNS0_10empty_typeEbEEZZNS1_14partition_implILS5_1ELb0ES3_jN6thrust23THRUST_200600_302600_NS6detail15normal_iteratorINSA_10device_ptrIjEEEEPS6_NSA_18transform_iteratorI7is_evenIjESF_NSA_11use_defaultESK_EENS0_5tupleIJNSA_16discard_iteratorISK_EESF_EEENSM_IJSG_SG_EEES6_PlJS6_EEE10hipError_tPvRmT3_T4_T5_T6_T7_T9_mT8_P12ihipStream_tbDpT10_ENKUlT_T0_E_clISt17integral_constantIbLb1EES1A_IbLb0EEEEDaS16_S17_EUlS16_E_NS1_11comp_targetILNS1_3genE8ELNS1_11target_archE1030ELNS1_3gpuE2ELNS1_3repE0EEENS1_30default_config_static_selectorELNS0_4arch9wavefront6targetE1EEEvT1_
                                        ; -- End function
	.section	.AMDGPU.csdata,"",@progbits
; Kernel info:
; codeLenInByte = 0
; NumSgprs: 4
; NumVgprs: 0
; NumAgprs: 0
; TotalNumVgprs: 0
; ScratchSize: 0
; MemoryBound: 0
; FloatMode: 240
; IeeeMode: 1
; LDSByteSize: 0 bytes/workgroup (compile time only)
; SGPRBlocks: 0
; VGPRBlocks: 0
; NumSGPRsForWavesPerEU: 4
; NumVGPRsForWavesPerEU: 1
; AccumOffset: 4
; Occupancy: 8
; WaveLimiterHint : 0
; COMPUTE_PGM_RSRC2:SCRATCH_EN: 0
; COMPUTE_PGM_RSRC2:USER_SGPR: 6
; COMPUTE_PGM_RSRC2:TRAP_HANDLER: 0
; COMPUTE_PGM_RSRC2:TGID_X_EN: 1
; COMPUTE_PGM_RSRC2:TGID_Y_EN: 0
; COMPUTE_PGM_RSRC2:TGID_Z_EN: 0
; COMPUTE_PGM_RSRC2:TIDIG_COMP_CNT: 0
; COMPUTE_PGM_RSRC3_GFX90A:ACCUM_OFFSET: 0
; COMPUTE_PGM_RSRC3_GFX90A:TG_SPLIT: 0
	.section	.text._ZN7rocprim17ROCPRIM_400000_NS6detail17trampoline_kernelINS0_14default_configENS1_25partition_config_selectorILNS1_17partition_subalgoE1EjNS0_10empty_typeEbEEZZNS1_14partition_implILS5_1ELb0ES3_jN6thrust23THRUST_200600_302600_NS6detail15normal_iteratorINSA_10device_ptrIjEEEEPS6_NSA_18transform_iteratorI7is_evenIjESF_NSA_11use_defaultESK_EENS0_5tupleIJNSA_16discard_iteratorISK_EESF_EEENSM_IJSG_SG_EEES6_PlJS6_EEE10hipError_tPvRmT3_T4_T5_T6_T7_T9_mT8_P12ihipStream_tbDpT10_ENKUlT_T0_E_clISt17integral_constantIbLb0EES1A_IbLb1EEEEDaS16_S17_EUlS16_E_NS1_11comp_targetILNS1_3genE0ELNS1_11target_archE4294967295ELNS1_3gpuE0ELNS1_3repE0EEENS1_30default_config_static_selectorELNS0_4arch9wavefront6targetE1EEEvT1_,"axG",@progbits,_ZN7rocprim17ROCPRIM_400000_NS6detail17trampoline_kernelINS0_14default_configENS1_25partition_config_selectorILNS1_17partition_subalgoE1EjNS0_10empty_typeEbEEZZNS1_14partition_implILS5_1ELb0ES3_jN6thrust23THRUST_200600_302600_NS6detail15normal_iteratorINSA_10device_ptrIjEEEEPS6_NSA_18transform_iteratorI7is_evenIjESF_NSA_11use_defaultESK_EENS0_5tupleIJNSA_16discard_iteratorISK_EESF_EEENSM_IJSG_SG_EEES6_PlJS6_EEE10hipError_tPvRmT3_T4_T5_T6_T7_T9_mT8_P12ihipStream_tbDpT10_ENKUlT_T0_E_clISt17integral_constantIbLb0EES1A_IbLb1EEEEDaS16_S17_EUlS16_E_NS1_11comp_targetILNS1_3genE0ELNS1_11target_archE4294967295ELNS1_3gpuE0ELNS1_3repE0EEENS1_30default_config_static_selectorELNS0_4arch9wavefront6targetE1EEEvT1_,comdat
	.protected	_ZN7rocprim17ROCPRIM_400000_NS6detail17trampoline_kernelINS0_14default_configENS1_25partition_config_selectorILNS1_17partition_subalgoE1EjNS0_10empty_typeEbEEZZNS1_14partition_implILS5_1ELb0ES3_jN6thrust23THRUST_200600_302600_NS6detail15normal_iteratorINSA_10device_ptrIjEEEEPS6_NSA_18transform_iteratorI7is_evenIjESF_NSA_11use_defaultESK_EENS0_5tupleIJNSA_16discard_iteratorISK_EESF_EEENSM_IJSG_SG_EEES6_PlJS6_EEE10hipError_tPvRmT3_T4_T5_T6_T7_T9_mT8_P12ihipStream_tbDpT10_ENKUlT_T0_E_clISt17integral_constantIbLb0EES1A_IbLb1EEEEDaS16_S17_EUlS16_E_NS1_11comp_targetILNS1_3genE0ELNS1_11target_archE4294967295ELNS1_3gpuE0ELNS1_3repE0EEENS1_30default_config_static_selectorELNS0_4arch9wavefront6targetE1EEEvT1_ ; -- Begin function _ZN7rocprim17ROCPRIM_400000_NS6detail17trampoline_kernelINS0_14default_configENS1_25partition_config_selectorILNS1_17partition_subalgoE1EjNS0_10empty_typeEbEEZZNS1_14partition_implILS5_1ELb0ES3_jN6thrust23THRUST_200600_302600_NS6detail15normal_iteratorINSA_10device_ptrIjEEEEPS6_NSA_18transform_iteratorI7is_evenIjESF_NSA_11use_defaultESK_EENS0_5tupleIJNSA_16discard_iteratorISK_EESF_EEENSM_IJSG_SG_EEES6_PlJS6_EEE10hipError_tPvRmT3_T4_T5_T6_T7_T9_mT8_P12ihipStream_tbDpT10_ENKUlT_T0_E_clISt17integral_constantIbLb0EES1A_IbLb1EEEEDaS16_S17_EUlS16_E_NS1_11comp_targetILNS1_3genE0ELNS1_11target_archE4294967295ELNS1_3gpuE0ELNS1_3repE0EEENS1_30default_config_static_selectorELNS0_4arch9wavefront6targetE1EEEvT1_
	.globl	_ZN7rocprim17ROCPRIM_400000_NS6detail17trampoline_kernelINS0_14default_configENS1_25partition_config_selectorILNS1_17partition_subalgoE1EjNS0_10empty_typeEbEEZZNS1_14partition_implILS5_1ELb0ES3_jN6thrust23THRUST_200600_302600_NS6detail15normal_iteratorINSA_10device_ptrIjEEEEPS6_NSA_18transform_iteratorI7is_evenIjESF_NSA_11use_defaultESK_EENS0_5tupleIJNSA_16discard_iteratorISK_EESF_EEENSM_IJSG_SG_EEES6_PlJS6_EEE10hipError_tPvRmT3_T4_T5_T6_T7_T9_mT8_P12ihipStream_tbDpT10_ENKUlT_T0_E_clISt17integral_constantIbLb0EES1A_IbLb1EEEEDaS16_S17_EUlS16_E_NS1_11comp_targetILNS1_3genE0ELNS1_11target_archE4294967295ELNS1_3gpuE0ELNS1_3repE0EEENS1_30default_config_static_selectorELNS0_4arch9wavefront6targetE1EEEvT1_
	.p2align	8
	.type	_ZN7rocprim17ROCPRIM_400000_NS6detail17trampoline_kernelINS0_14default_configENS1_25partition_config_selectorILNS1_17partition_subalgoE1EjNS0_10empty_typeEbEEZZNS1_14partition_implILS5_1ELb0ES3_jN6thrust23THRUST_200600_302600_NS6detail15normal_iteratorINSA_10device_ptrIjEEEEPS6_NSA_18transform_iteratorI7is_evenIjESF_NSA_11use_defaultESK_EENS0_5tupleIJNSA_16discard_iteratorISK_EESF_EEENSM_IJSG_SG_EEES6_PlJS6_EEE10hipError_tPvRmT3_T4_T5_T6_T7_T9_mT8_P12ihipStream_tbDpT10_ENKUlT_T0_E_clISt17integral_constantIbLb0EES1A_IbLb1EEEEDaS16_S17_EUlS16_E_NS1_11comp_targetILNS1_3genE0ELNS1_11target_archE4294967295ELNS1_3gpuE0ELNS1_3repE0EEENS1_30default_config_static_selectorELNS0_4arch9wavefront6targetE1EEEvT1_,@function
_ZN7rocprim17ROCPRIM_400000_NS6detail17trampoline_kernelINS0_14default_configENS1_25partition_config_selectorILNS1_17partition_subalgoE1EjNS0_10empty_typeEbEEZZNS1_14partition_implILS5_1ELb0ES3_jN6thrust23THRUST_200600_302600_NS6detail15normal_iteratorINSA_10device_ptrIjEEEEPS6_NSA_18transform_iteratorI7is_evenIjESF_NSA_11use_defaultESK_EENS0_5tupleIJNSA_16discard_iteratorISK_EESF_EEENSM_IJSG_SG_EEES6_PlJS6_EEE10hipError_tPvRmT3_T4_T5_T6_T7_T9_mT8_P12ihipStream_tbDpT10_ENKUlT_T0_E_clISt17integral_constantIbLb0EES1A_IbLb1EEEEDaS16_S17_EUlS16_E_NS1_11comp_targetILNS1_3genE0ELNS1_11target_archE4294967295ELNS1_3gpuE0ELNS1_3repE0EEENS1_30default_config_static_selectorELNS0_4arch9wavefront6targetE1EEEvT1_: ; @_ZN7rocprim17ROCPRIM_400000_NS6detail17trampoline_kernelINS0_14default_configENS1_25partition_config_selectorILNS1_17partition_subalgoE1EjNS0_10empty_typeEbEEZZNS1_14partition_implILS5_1ELb0ES3_jN6thrust23THRUST_200600_302600_NS6detail15normal_iteratorINSA_10device_ptrIjEEEEPS6_NSA_18transform_iteratorI7is_evenIjESF_NSA_11use_defaultESK_EENS0_5tupleIJNSA_16discard_iteratorISK_EESF_EEENSM_IJSG_SG_EEES6_PlJS6_EEE10hipError_tPvRmT3_T4_T5_T6_T7_T9_mT8_P12ihipStream_tbDpT10_ENKUlT_T0_E_clISt17integral_constantIbLb0EES1A_IbLb1EEEEDaS16_S17_EUlS16_E_NS1_11comp_targetILNS1_3genE0ELNS1_11target_archE4294967295ELNS1_3gpuE0ELNS1_3repE0EEENS1_30default_config_static_selectorELNS0_4arch9wavefront6targetE1EEEvT1_
; %bb.0:
	.section	.rodata,"a",@progbits
	.p2align	6, 0x0
	.amdhsa_kernel _ZN7rocprim17ROCPRIM_400000_NS6detail17trampoline_kernelINS0_14default_configENS1_25partition_config_selectorILNS1_17partition_subalgoE1EjNS0_10empty_typeEbEEZZNS1_14partition_implILS5_1ELb0ES3_jN6thrust23THRUST_200600_302600_NS6detail15normal_iteratorINSA_10device_ptrIjEEEEPS6_NSA_18transform_iteratorI7is_evenIjESF_NSA_11use_defaultESK_EENS0_5tupleIJNSA_16discard_iteratorISK_EESF_EEENSM_IJSG_SG_EEES6_PlJS6_EEE10hipError_tPvRmT3_T4_T5_T6_T7_T9_mT8_P12ihipStream_tbDpT10_ENKUlT_T0_E_clISt17integral_constantIbLb0EES1A_IbLb1EEEEDaS16_S17_EUlS16_E_NS1_11comp_targetILNS1_3genE0ELNS1_11target_archE4294967295ELNS1_3gpuE0ELNS1_3repE0EEENS1_30default_config_static_selectorELNS0_4arch9wavefront6targetE1EEEvT1_
		.amdhsa_group_segment_fixed_size 0
		.amdhsa_private_segment_fixed_size 0
		.amdhsa_kernarg_size 152
		.amdhsa_user_sgpr_count 6
		.amdhsa_user_sgpr_private_segment_buffer 1
		.amdhsa_user_sgpr_dispatch_ptr 0
		.amdhsa_user_sgpr_queue_ptr 0
		.amdhsa_user_sgpr_kernarg_segment_ptr 1
		.amdhsa_user_sgpr_dispatch_id 0
		.amdhsa_user_sgpr_flat_scratch_init 0
		.amdhsa_user_sgpr_kernarg_preload_length 0
		.amdhsa_user_sgpr_kernarg_preload_offset 0
		.amdhsa_user_sgpr_private_segment_size 0
		.amdhsa_uses_dynamic_stack 0
		.amdhsa_system_sgpr_private_segment_wavefront_offset 0
		.amdhsa_system_sgpr_workgroup_id_x 1
		.amdhsa_system_sgpr_workgroup_id_y 0
		.amdhsa_system_sgpr_workgroup_id_z 0
		.amdhsa_system_sgpr_workgroup_info 0
		.amdhsa_system_vgpr_workitem_id 0
		.amdhsa_next_free_vgpr 1
		.amdhsa_next_free_sgpr 0
		.amdhsa_accum_offset 4
		.amdhsa_reserve_vcc 0
		.amdhsa_reserve_flat_scratch 0
		.amdhsa_float_round_mode_32 0
		.amdhsa_float_round_mode_16_64 0
		.amdhsa_float_denorm_mode_32 3
		.amdhsa_float_denorm_mode_16_64 3
		.amdhsa_dx10_clamp 1
		.amdhsa_ieee_mode 1
		.amdhsa_fp16_overflow 0
		.amdhsa_tg_split 0
		.amdhsa_exception_fp_ieee_invalid_op 0
		.amdhsa_exception_fp_denorm_src 0
		.amdhsa_exception_fp_ieee_div_zero 0
		.amdhsa_exception_fp_ieee_overflow 0
		.amdhsa_exception_fp_ieee_underflow 0
		.amdhsa_exception_fp_ieee_inexact 0
		.amdhsa_exception_int_div_zero 0
	.end_amdhsa_kernel
	.section	.text._ZN7rocprim17ROCPRIM_400000_NS6detail17trampoline_kernelINS0_14default_configENS1_25partition_config_selectorILNS1_17partition_subalgoE1EjNS0_10empty_typeEbEEZZNS1_14partition_implILS5_1ELb0ES3_jN6thrust23THRUST_200600_302600_NS6detail15normal_iteratorINSA_10device_ptrIjEEEEPS6_NSA_18transform_iteratorI7is_evenIjESF_NSA_11use_defaultESK_EENS0_5tupleIJNSA_16discard_iteratorISK_EESF_EEENSM_IJSG_SG_EEES6_PlJS6_EEE10hipError_tPvRmT3_T4_T5_T6_T7_T9_mT8_P12ihipStream_tbDpT10_ENKUlT_T0_E_clISt17integral_constantIbLb0EES1A_IbLb1EEEEDaS16_S17_EUlS16_E_NS1_11comp_targetILNS1_3genE0ELNS1_11target_archE4294967295ELNS1_3gpuE0ELNS1_3repE0EEENS1_30default_config_static_selectorELNS0_4arch9wavefront6targetE1EEEvT1_,"axG",@progbits,_ZN7rocprim17ROCPRIM_400000_NS6detail17trampoline_kernelINS0_14default_configENS1_25partition_config_selectorILNS1_17partition_subalgoE1EjNS0_10empty_typeEbEEZZNS1_14partition_implILS5_1ELb0ES3_jN6thrust23THRUST_200600_302600_NS6detail15normal_iteratorINSA_10device_ptrIjEEEEPS6_NSA_18transform_iteratorI7is_evenIjESF_NSA_11use_defaultESK_EENS0_5tupleIJNSA_16discard_iteratorISK_EESF_EEENSM_IJSG_SG_EEES6_PlJS6_EEE10hipError_tPvRmT3_T4_T5_T6_T7_T9_mT8_P12ihipStream_tbDpT10_ENKUlT_T0_E_clISt17integral_constantIbLb0EES1A_IbLb1EEEEDaS16_S17_EUlS16_E_NS1_11comp_targetILNS1_3genE0ELNS1_11target_archE4294967295ELNS1_3gpuE0ELNS1_3repE0EEENS1_30default_config_static_selectorELNS0_4arch9wavefront6targetE1EEEvT1_,comdat
.Lfunc_end3059:
	.size	_ZN7rocprim17ROCPRIM_400000_NS6detail17trampoline_kernelINS0_14default_configENS1_25partition_config_selectorILNS1_17partition_subalgoE1EjNS0_10empty_typeEbEEZZNS1_14partition_implILS5_1ELb0ES3_jN6thrust23THRUST_200600_302600_NS6detail15normal_iteratorINSA_10device_ptrIjEEEEPS6_NSA_18transform_iteratorI7is_evenIjESF_NSA_11use_defaultESK_EENS0_5tupleIJNSA_16discard_iteratorISK_EESF_EEENSM_IJSG_SG_EEES6_PlJS6_EEE10hipError_tPvRmT3_T4_T5_T6_T7_T9_mT8_P12ihipStream_tbDpT10_ENKUlT_T0_E_clISt17integral_constantIbLb0EES1A_IbLb1EEEEDaS16_S17_EUlS16_E_NS1_11comp_targetILNS1_3genE0ELNS1_11target_archE4294967295ELNS1_3gpuE0ELNS1_3repE0EEENS1_30default_config_static_selectorELNS0_4arch9wavefront6targetE1EEEvT1_, .Lfunc_end3059-_ZN7rocprim17ROCPRIM_400000_NS6detail17trampoline_kernelINS0_14default_configENS1_25partition_config_selectorILNS1_17partition_subalgoE1EjNS0_10empty_typeEbEEZZNS1_14partition_implILS5_1ELb0ES3_jN6thrust23THRUST_200600_302600_NS6detail15normal_iteratorINSA_10device_ptrIjEEEEPS6_NSA_18transform_iteratorI7is_evenIjESF_NSA_11use_defaultESK_EENS0_5tupleIJNSA_16discard_iteratorISK_EESF_EEENSM_IJSG_SG_EEES6_PlJS6_EEE10hipError_tPvRmT3_T4_T5_T6_T7_T9_mT8_P12ihipStream_tbDpT10_ENKUlT_T0_E_clISt17integral_constantIbLb0EES1A_IbLb1EEEEDaS16_S17_EUlS16_E_NS1_11comp_targetILNS1_3genE0ELNS1_11target_archE4294967295ELNS1_3gpuE0ELNS1_3repE0EEENS1_30default_config_static_selectorELNS0_4arch9wavefront6targetE1EEEvT1_
                                        ; -- End function
	.section	.AMDGPU.csdata,"",@progbits
; Kernel info:
; codeLenInByte = 0
; NumSgprs: 4
; NumVgprs: 0
; NumAgprs: 0
; TotalNumVgprs: 0
; ScratchSize: 0
; MemoryBound: 0
; FloatMode: 240
; IeeeMode: 1
; LDSByteSize: 0 bytes/workgroup (compile time only)
; SGPRBlocks: 0
; VGPRBlocks: 0
; NumSGPRsForWavesPerEU: 4
; NumVGPRsForWavesPerEU: 1
; AccumOffset: 4
; Occupancy: 8
; WaveLimiterHint : 0
; COMPUTE_PGM_RSRC2:SCRATCH_EN: 0
; COMPUTE_PGM_RSRC2:USER_SGPR: 6
; COMPUTE_PGM_RSRC2:TRAP_HANDLER: 0
; COMPUTE_PGM_RSRC2:TGID_X_EN: 1
; COMPUTE_PGM_RSRC2:TGID_Y_EN: 0
; COMPUTE_PGM_RSRC2:TGID_Z_EN: 0
; COMPUTE_PGM_RSRC2:TIDIG_COMP_CNT: 0
; COMPUTE_PGM_RSRC3_GFX90A:ACCUM_OFFSET: 0
; COMPUTE_PGM_RSRC3_GFX90A:TG_SPLIT: 0
	.section	.text._ZN7rocprim17ROCPRIM_400000_NS6detail17trampoline_kernelINS0_14default_configENS1_25partition_config_selectorILNS1_17partition_subalgoE1EjNS0_10empty_typeEbEEZZNS1_14partition_implILS5_1ELb0ES3_jN6thrust23THRUST_200600_302600_NS6detail15normal_iteratorINSA_10device_ptrIjEEEEPS6_NSA_18transform_iteratorI7is_evenIjESF_NSA_11use_defaultESK_EENS0_5tupleIJNSA_16discard_iteratorISK_EESF_EEENSM_IJSG_SG_EEES6_PlJS6_EEE10hipError_tPvRmT3_T4_T5_T6_T7_T9_mT8_P12ihipStream_tbDpT10_ENKUlT_T0_E_clISt17integral_constantIbLb0EES1A_IbLb1EEEEDaS16_S17_EUlS16_E_NS1_11comp_targetILNS1_3genE5ELNS1_11target_archE942ELNS1_3gpuE9ELNS1_3repE0EEENS1_30default_config_static_selectorELNS0_4arch9wavefront6targetE1EEEvT1_,"axG",@progbits,_ZN7rocprim17ROCPRIM_400000_NS6detail17trampoline_kernelINS0_14default_configENS1_25partition_config_selectorILNS1_17partition_subalgoE1EjNS0_10empty_typeEbEEZZNS1_14partition_implILS5_1ELb0ES3_jN6thrust23THRUST_200600_302600_NS6detail15normal_iteratorINSA_10device_ptrIjEEEEPS6_NSA_18transform_iteratorI7is_evenIjESF_NSA_11use_defaultESK_EENS0_5tupleIJNSA_16discard_iteratorISK_EESF_EEENSM_IJSG_SG_EEES6_PlJS6_EEE10hipError_tPvRmT3_T4_T5_T6_T7_T9_mT8_P12ihipStream_tbDpT10_ENKUlT_T0_E_clISt17integral_constantIbLb0EES1A_IbLb1EEEEDaS16_S17_EUlS16_E_NS1_11comp_targetILNS1_3genE5ELNS1_11target_archE942ELNS1_3gpuE9ELNS1_3repE0EEENS1_30default_config_static_selectorELNS0_4arch9wavefront6targetE1EEEvT1_,comdat
	.protected	_ZN7rocprim17ROCPRIM_400000_NS6detail17trampoline_kernelINS0_14default_configENS1_25partition_config_selectorILNS1_17partition_subalgoE1EjNS0_10empty_typeEbEEZZNS1_14partition_implILS5_1ELb0ES3_jN6thrust23THRUST_200600_302600_NS6detail15normal_iteratorINSA_10device_ptrIjEEEEPS6_NSA_18transform_iteratorI7is_evenIjESF_NSA_11use_defaultESK_EENS0_5tupleIJNSA_16discard_iteratorISK_EESF_EEENSM_IJSG_SG_EEES6_PlJS6_EEE10hipError_tPvRmT3_T4_T5_T6_T7_T9_mT8_P12ihipStream_tbDpT10_ENKUlT_T0_E_clISt17integral_constantIbLb0EES1A_IbLb1EEEEDaS16_S17_EUlS16_E_NS1_11comp_targetILNS1_3genE5ELNS1_11target_archE942ELNS1_3gpuE9ELNS1_3repE0EEENS1_30default_config_static_selectorELNS0_4arch9wavefront6targetE1EEEvT1_ ; -- Begin function _ZN7rocprim17ROCPRIM_400000_NS6detail17trampoline_kernelINS0_14default_configENS1_25partition_config_selectorILNS1_17partition_subalgoE1EjNS0_10empty_typeEbEEZZNS1_14partition_implILS5_1ELb0ES3_jN6thrust23THRUST_200600_302600_NS6detail15normal_iteratorINSA_10device_ptrIjEEEEPS6_NSA_18transform_iteratorI7is_evenIjESF_NSA_11use_defaultESK_EENS0_5tupleIJNSA_16discard_iteratorISK_EESF_EEENSM_IJSG_SG_EEES6_PlJS6_EEE10hipError_tPvRmT3_T4_T5_T6_T7_T9_mT8_P12ihipStream_tbDpT10_ENKUlT_T0_E_clISt17integral_constantIbLb0EES1A_IbLb1EEEEDaS16_S17_EUlS16_E_NS1_11comp_targetILNS1_3genE5ELNS1_11target_archE942ELNS1_3gpuE9ELNS1_3repE0EEENS1_30default_config_static_selectorELNS0_4arch9wavefront6targetE1EEEvT1_
	.globl	_ZN7rocprim17ROCPRIM_400000_NS6detail17trampoline_kernelINS0_14default_configENS1_25partition_config_selectorILNS1_17partition_subalgoE1EjNS0_10empty_typeEbEEZZNS1_14partition_implILS5_1ELb0ES3_jN6thrust23THRUST_200600_302600_NS6detail15normal_iteratorINSA_10device_ptrIjEEEEPS6_NSA_18transform_iteratorI7is_evenIjESF_NSA_11use_defaultESK_EENS0_5tupleIJNSA_16discard_iteratorISK_EESF_EEENSM_IJSG_SG_EEES6_PlJS6_EEE10hipError_tPvRmT3_T4_T5_T6_T7_T9_mT8_P12ihipStream_tbDpT10_ENKUlT_T0_E_clISt17integral_constantIbLb0EES1A_IbLb1EEEEDaS16_S17_EUlS16_E_NS1_11comp_targetILNS1_3genE5ELNS1_11target_archE942ELNS1_3gpuE9ELNS1_3repE0EEENS1_30default_config_static_selectorELNS0_4arch9wavefront6targetE1EEEvT1_
	.p2align	8
	.type	_ZN7rocprim17ROCPRIM_400000_NS6detail17trampoline_kernelINS0_14default_configENS1_25partition_config_selectorILNS1_17partition_subalgoE1EjNS0_10empty_typeEbEEZZNS1_14partition_implILS5_1ELb0ES3_jN6thrust23THRUST_200600_302600_NS6detail15normal_iteratorINSA_10device_ptrIjEEEEPS6_NSA_18transform_iteratorI7is_evenIjESF_NSA_11use_defaultESK_EENS0_5tupleIJNSA_16discard_iteratorISK_EESF_EEENSM_IJSG_SG_EEES6_PlJS6_EEE10hipError_tPvRmT3_T4_T5_T6_T7_T9_mT8_P12ihipStream_tbDpT10_ENKUlT_T0_E_clISt17integral_constantIbLb0EES1A_IbLb1EEEEDaS16_S17_EUlS16_E_NS1_11comp_targetILNS1_3genE5ELNS1_11target_archE942ELNS1_3gpuE9ELNS1_3repE0EEENS1_30default_config_static_selectorELNS0_4arch9wavefront6targetE1EEEvT1_,@function
_ZN7rocprim17ROCPRIM_400000_NS6detail17trampoline_kernelINS0_14default_configENS1_25partition_config_selectorILNS1_17partition_subalgoE1EjNS0_10empty_typeEbEEZZNS1_14partition_implILS5_1ELb0ES3_jN6thrust23THRUST_200600_302600_NS6detail15normal_iteratorINSA_10device_ptrIjEEEEPS6_NSA_18transform_iteratorI7is_evenIjESF_NSA_11use_defaultESK_EENS0_5tupleIJNSA_16discard_iteratorISK_EESF_EEENSM_IJSG_SG_EEES6_PlJS6_EEE10hipError_tPvRmT3_T4_T5_T6_T7_T9_mT8_P12ihipStream_tbDpT10_ENKUlT_T0_E_clISt17integral_constantIbLb0EES1A_IbLb1EEEEDaS16_S17_EUlS16_E_NS1_11comp_targetILNS1_3genE5ELNS1_11target_archE942ELNS1_3gpuE9ELNS1_3repE0EEENS1_30default_config_static_selectorELNS0_4arch9wavefront6targetE1EEEvT1_: ; @_ZN7rocprim17ROCPRIM_400000_NS6detail17trampoline_kernelINS0_14default_configENS1_25partition_config_selectorILNS1_17partition_subalgoE1EjNS0_10empty_typeEbEEZZNS1_14partition_implILS5_1ELb0ES3_jN6thrust23THRUST_200600_302600_NS6detail15normal_iteratorINSA_10device_ptrIjEEEEPS6_NSA_18transform_iteratorI7is_evenIjESF_NSA_11use_defaultESK_EENS0_5tupleIJNSA_16discard_iteratorISK_EESF_EEENSM_IJSG_SG_EEES6_PlJS6_EEE10hipError_tPvRmT3_T4_T5_T6_T7_T9_mT8_P12ihipStream_tbDpT10_ENKUlT_T0_E_clISt17integral_constantIbLb0EES1A_IbLb1EEEEDaS16_S17_EUlS16_E_NS1_11comp_targetILNS1_3genE5ELNS1_11target_archE942ELNS1_3gpuE9ELNS1_3repE0EEENS1_30default_config_static_selectorELNS0_4arch9wavefront6targetE1EEEvT1_
; %bb.0:
	.section	.rodata,"a",@progbits
	.p2align	6, 0x0
	.amdhsa_kernel _ZN7rocprim17ROCPRIM_400000_NS6detail17trampoline_kernelINS0_14default_configENS1_25partition_config_selectorILNS1_17partition_subalgoE1EjNS0_10empty_typeEbEEZZNS1_14partition_implILS5_1ELb0ES3_jN6thrust23THRUST_200600_302600_NS6detail15normal_iteratorINSA_10device_ptrIjEEEEPS6_NSA_18transform_iteratorI7is_evenIjESF_NSA_11use_defaultESK_EENS0_5tupleIJNSA_16discard_iteratorISK_EESF_EEENSM_IJSG_SG_EEES6_PlJS6_EEE10hipError_tPvRmT3_T4_T5_T6_T7_T9_mT8_P12ihipStream_tbDpT10_ENKUlT_T0_E_clISt17integral_constantIbLb0EES1A_IbLb1EEEEDaS16_S17_EUlS16_E_NS1_11comp_targetILNS1_3genE5ELNS1_11target_archE942ELNS1_3gpuE9ELNS1_3repE0EEENS1_30default_config_static_selectorELNS0_4arch9wavefront6targetE1EEEvT1_
		.amdhsa_group_segment_fixed_size 0
		.amdhsa_private_segment_fixed_size 0
		.amdhsa_kernarg_size 152
		.amdhsa_user_sgpr_count 6
		.amdhsa_user_sgpr_private_segment_buffer 1
		.amdhsa_user_sgpr_dispatch_ptr 0
		.amdhsa_user_sgpr_queue_ptr 0
		.amdhsa_user_sgpr_kernarg_segment_ptr 1
		.amdhsa_user_sgpr_dispatch_id 0
		.amdhsa_user_sgpr_flat_scratch_init 0
		.amdhsa_user_sgpr_kernarg_preload_length 0
		.amdhsa_user_sgpr_kernarg_preload_offset 0
		.amdhsa_user_sgpr_private_segment_size 0
		.amdhsa_uses_dynamic_stack 0
		.amdhsa_system_sgpr_private_segment_wavefront_offset 0
		.amdhsa_system_sgpr_workgroup_id_x 1
		.amdhsa_system_sgpr_workgroup_id_y 0
		.amdhsa_system_sgpr_workgroup_id_z 0
		.amdhsa_system_sgpr_workgroup_info 0
		.amdhsa_system_vgpr_workitem_id 0
		.amdhsa_next_free_vgpr 1
		.amdhsa_next_free_sgpr 0
		.amdhsa_accum_offset 4
		.amdhsa_reserve_vcc 0
		.amdhsa_reserve_flat_scratch 0
		.amdhsa_float_round_mode_32 0
		.amdhsa_float_round_mode_16_64 0
		.amdhsa_float_denorm_mode_32 3
		.amdhsa_float_denorm_mode_16_64 3
		.amdhsa_dx10_clamp 1
		.amdhsa_ieee_mode 1
		.amdhsa_fp16_overflow 0
		.amdhsa_tg_split 0
		.amdhsa_exception_fp_ieee_invalid_op 0
		.amdhsa_exception_fp_denorm_src 0
		.amdhsa_exception_fp_ieee_div_zero 0
		.amdhsa_exception_fp_ieee_overflow 0
		.amdhsa_exception_fp_ieee_underflow 0
		.amdhsa_exception_fp_ieee_inexact 0
		.amdhsa_exception_int_div_zero 0
	.end_amdhsa_kernel
	.section	.text._ZN7rocprim17ROCPRIM_400000_NS6detail17trampoline_kernelINS0_14default_configENS1_25partition_config_selectorILNS1_17partition_subalgoE1EjNS0_10empty_typeEbEEZZNS1_14partition_implILS5_1ELb0ES3_jN6thrust23THRUST_200600_302600_NS6detail15normal_iteratorINSA_10device_ptrIjEEEEPS6_NSA_18transform_iteratorI7is_evenIjESF_NSA_11use_defaultESK_EENS0_5tupleIJNSA_16discard_iteratorISK_EESF_EEENSM_IJSG_SG_EEES6_PlJS6_EEE10hipError_tPvRmT3_T4_T5_T6_T7_T9_mT8_P12ihipStream_tbDpT10_ENKUlT_T0_E_clISt17integral_constantIbLb0EES1A_IbLb1EEEEDaS16_S17_EUlS16_E_NS1_11comp_targetILNS1_3genE5ELNS1_11target_archE942ELNS1_3gpuE9ELNS1_3repE0EEENS1_30default_config_static_selectorELNS0_4arch9wavefront6targetE1EEEvT1_,"axG",@progbits,_ZN7rocprim17ROCPRIM_400000_NS6detail17trampoline_kernelINS0_14default_configENS1_25partition_config_selectorILNS1_17partition_subalgoE1EjNS0_10empty_typeEbEEZZNS1_14partition_implILS5_1ELb0ES3_jN6thrust23THRUST_200600_302600_NS6detail15normal_iteratorINSA_10device_ptrIjEEEEPS6_NSA_18transform_iteratorI7is_evenIjESF_NSA_11use_defaultESK_EENS0_5tupleIJNSA_16discard_iteratorISK_EESF_EEENSM_IJSG_SG_EEES6_PlJS6_EEE10hipError_tPvRmT3_T4_T5_T6_T7_T9_mT8_P12ihipStream_tbDpT10_ENKUlT_T0_E_clISt17integral_constantIbLb0EES1A_IbLb1EEEEDaS16_S17_EUlS16_E_NS1_11comp_targetILNS1_3genE5ELNS1_11target_archE942ELNS1_3gpuE9ELNS1_3repE0EEENS1_30default_config_static_selectorELNS0_4arch9wavefront6targetE1EEEvT1_,comdat
.Lfunc_end3060:
	.size	_ZN7rocprim17ROCPRIM_400000_NS6detail17trampoline_kernelINS0_14default_configENS1_25partition_config_selectorILNS1_17partition_subalgoE1EjNS0_10empty_typeEbEEZZNS1_14partition_implILS5_1ELb0ES3_jN6thrust23THRUST_200600_302600_NS6detail15normal_iteratorINSA_10device_ptrIjEEEEPS6_NSA_18transform_iteratorI7is_evenIjESF_NSA_11use_defaultESK_EENS0_5tupleIJNSA_16discard_iteratorISK_EESF_EEENSM_IJSG_SG_EEES6_PlJS6_EEE10hipError_tPvRmT3_T4_T5_T6_T7_T9_mT8_P12ihipStream_tbDpT10_ENKUlT_T0_E_clISt17integral_constantIbLb0EES1A_IbLb1EEEEDaS16_S17_EUlS16_E_NS1_11comp_targetILNS1_3genE5ELNS1_11target_archE942ELNS1_3gpuE9ELNS1_3repE0EEENS1_30default_config_static_selectorELNS0_4arch9wavefront6targetE1EEEvT1_, .Lfunc_end3060-_ZN7rocprim17ROCPRIM_400000_NS6detail17trampoline_kernelINS0_14default_configENS1_25partition_config_selectorILNS1_17partition_subalgoE1EjNS0_10empty_typeEbEEZZNS1_14partition_implILS5_1ELb0ES3_jN6thrust23THRUST_200600_302600_NS6detail15normal_iteratorINSA_10device_ptrIjEEEEPS6_NSA_18transform_iteratorI7is_evenIjESF_NSA_11use_defaultESK_EENS0_5tupleIJNSA_16discard_iteratorISK_EESF_EEENSM_IJSG_SG_EEES6_PlJS6_EEE10hipError_tPvRmT3_T4_T5_T6_T7_T9_mT8_P12ihipStream_tbDpT10_ENKUlT_T0_E_clISt17integral_constantIbLb0EES1A_IbLb1EEEEDaS16_S17_EUlS16_E_NS1_11comp_targetILNS1_3genE5ELNS1_11target_archE942ELNS1_3gpuE9ELNS1_3repE0EEENS1_30default_config_static_selectorELNS0_4arch9wavefront6targetE1EEEvT1_
                                        ; -- End function
	.section	.AMDGPU.csdata,"",@progbits
; Kernel info:
; codeLenInByte = 0
; NumSgprs: 4
; NumVgprs: 0
; NumAgprs: 0
; TotalNumVgprs: 0
; ScratchSize: 0
; MemoryBound: 0
; FloatMode: 240
; IeeeMode: 1
; LDSByteSize: 0 bytes/workgroup (compile time only)
; SGPRBlocks: 0
; VGPRBlocks: 0
; NumSGPRsForWavesPerEU: 4
; NumVGPRsForWavesPerEU: 1
; AccumOffset: 4
; Occupancy: 8
; WaveLimiterHint : 0
; COMPUTE_PGM_RSRC2:SCRATCH_EN: 0
; COMPUTE_PGM_RSRC2:USER_SGPR: 6
; COMPUTE_PGM_RSRC2:TRAP_HANDLER: 0
; COMPUTE_PGM_RSRC2:TGID_X_EN: 1
; COMPUTE_PGM_RSRC2:TGID_Y_EN: 0
; COMPUTE_PGM_RSRC2:TGID_Z_EN: 0
; COMPUTE_PGM_RSRC2:TIDIG_COMP_CNT: 0
; COMPUTE_PGM_RSRC3_GFX90A:ACCUM_OFFSET: 0
; COMPUTE_PGM_RSRC3_GFX90A:TG_SPLIT: 0
	.section	.text._ZN7rocprim17ROCPRIM_400000_NS6detail17trampoline_kernelINS0_14default_configENS1_25partition_config_selectorILNS1_17partition_subalgoE1EjNS0_10empty_typeEbEEZZNS1_14partition_implILS5_1ELb0ES3_jN6thrust23THRUST_200600_302600_NS6detail15normal_iteratorINSA_10device_ptrIjEEEEPS6_NSA_18transform_iteratorI7is_evenIjESF_NSA_11use_defaultESK_EENS0_5tupleIJNSA_16discard_iteratorISK_EESF_EEENSM_IJSG_SG_EEES6_PlJS6_EEE10hipError_tPvRmT3_T4_T5_T6_T7_T9_mT8_P12ihipStream_tbDpT10_ENKUlT_T0_E_clISt17integral_constantIbLb0EES1A_IbLb1EEEEDaS16_S17_EUlS16_E_NS1_11comp_targetILNS1_3genE4ELNS1_11target_archE910ELNS1_3gpuE8ELNS1_3repE0EEENS1_30default_config_static_selectorELNS0_4arch9wavefront6targetE1EEEvT1_,"axG",@progbits,_ZN7rocprim17ROCPRIM_400000_NS6detail17trampoline_kernelINS0_14default_configENS1_25partition_config_selectorILNS1_17partition_subalgoE1EjNS0_10empty_typeEbEEZZNS1_14partition_implILS5_1ELb0ES3_jN6thrust23THRUST_200600_302600_NS6detail15normal_iteratorINSA_10device_ptrIjEEEEPS6_NSA_18transform_iteratorI7is_evenIjESF_NSA_11use_defaultESK_EENS0_5tupleIJNSA_16discard_iteratorISK_EESF_EEENSM_IJSG_SG_EEES6_PlJS6_EEE10hipError_tPvRmT3_T4_T5_T6_T7_T9_mT8_P12ihipStream_tbDpT10_ENKUlT_T0_E_clISt17integral_constantIbLb0EES1A_IbLb1EEEEDaS16_S17_EUlS16_E_NS1_11comp_targetILNS1_3genE4ELNS1_11target_archE910ELNS1_3gpuE8ELNS1_3repE0EEENS1_30default_config_static_selectorELNS0_4arch9wavefront6targetE1EEEvT1_,comdat
	.protected	_ZN7rocprim17ROCPRIM_400000_NS6detail17trampoline_kernelINS0_14default_configENS1_25partition_config_selectorILNS1_17partition_subalgoE1EjNS0_10empty_typeEbEEZZNS1_14partition_implILS5_1ELb0ES3_jN6thrust23THRUST_200600_302600_NS6detail15normal_iteratorINSA_10device_ptrIjEEEEPS6_NSA_18transform_iteratorI7is_evenIjESF_NSA_11use_defaultESK_EENS0_5tupleIJNSA_16discard_iteratorISK_EESF_EEENSM_IJSG_SG_EEES6_PlJS6_EEE10hipError_tPvRmT3_T4_T5_T6_T7_T9_mT8_P12ihipStream_tbDpT10_ENKUlT_T0_E_clISt17integral_constantIbLb0EES1A_IbLb1EEEEDaS16_S17_EUlS16_E_NS1_11comp_targetILNS1_3genE4ELNS1_11target_archE910ELNS1_3gpuE8ELNS1_3repE0EEENS1_30default_config_static_selectorELNS0_4arch9wavefront6targetE1EEEvT1_ ; -- Begin function _ZN7rocprim17ROCPRIM_400000_NS6detail17trampoline_kernelINS0_14default_configENS1_25partition_config_selectorILNS1_17partition_subalgoE1EjNS0_10empty_typeEbEEZZNS1_14partition_implILS5_1ELb0ES3_jN6thrust23THRUST_200600_302600_NS6detail15normal_iteratorINSA_10device_ptrIjEEEEPS6_NSA_18transform_iteratorI7is_evenIjESF_NSA_11use_defaultESK_EENS0_5tupleIJNSA_16discard_iteratorISK_EESF_EEENSM_IJSG_SG_EEES6_PlJS6_EEE10hipError_tPvRmT3_T4_T5_T6_T7_T9_mT8_P12ihipStream_tbDpT10_ENKUlT_T0_E_clISt17integral_constantIbLb0EES1A_IbLb1EEEEDaS16_S17_EUlS16_E_NS1_11comp_targetILNS1_3genE4ELNS1_11target_archE910ELNS1_3gpuE8ELNS1_3repE0EEENS1_30default_config_static_selectorELNS0_4arch9wavefront6targetE1EEEvT1_
	.globl	_ZN7rocprim17ROCPRIM_400000_NS6detail17trampoline_kernelINS0_14default_configENS1_25partition_config_selectorILNS1_17partition_subalgoE1EjNS0_10empty_typeEbEEZZNS1_14partition_implILS5_1ELb0ES3_jN6thrust23THRUST_200600_302600_NS6detail15normal_iteratorINSA_10device_ptrIjEEEEPS6_NSA_18transform_iteratorI7is_evenIjESF_NSA_11use_defaultESK_EENS0_5tupleIJNSA_16discard_iteratorISK_EESF_EEENSM_IJSG_SG_EEES6_PlJS6_EEE10hipError_tPvRmT3_T4_T5_T6_T7_T9_mT8_P12ihipStream_tbDpT10_ENKUlT_T0_E_clISt17integral_constantIbLb0EES1A_IbLb1EEEEDaS16_S17_EUlS16_E_NS1_11comp_targetILNS1_3genE4ELNS1_11target_archE910ELNS1_3gpuE8ELNS1_3repE0EEENS1_30default_config_static_selectorELNS0_4arch9wavefront6targetE1EEEvT1_
	.p2align	8
	.type	_ZN7rocprim17ROCPRIM_400000_NS6detail17trampoline_kernelINS0_14default_configENS1_25partition_config_selectorILNS1_17partition_subalgoE1EjNS0_10empty_typeEbEEZZNS1_14partition_implILS5_1ELb0ES3_jN6thrust23THRUST_200600_302600_NS6detail15normal_iteratorINSA_10device_ptrIjEEEEPS6_NSA_18transform_iteratorI7is_evenIjESF_NSA_11use_defaultESK_EENS0_5tupleIJNSA_16discard_iteratorISK_EESF_EEENSM_IJSG_SG_EEES6_PlJS6_EEE10hipError_tPvRmT3_T4_T5_T6_T7_T9_mT8_P12ihipStream_tbDpT10_ENKUlT_T0_E_clISt17integral_constantIbLb0EES1A_IbLb1EEEEDaS16_S17_EUlS16_E_NS1_11comp_targetILNS1_3genE4ELNS1_11target_archE910ELNS1_3gpuE8ELNS1_3repE0EEENS1_30default_config_static_selectorELNS0_4arch9wavefront6targetE1EEEvT1_,@function
_ZN7rocprim17ROCPRIM_400000_NS6detail17trampoline_kernelINS0_14default_configENS1_25partition_config_selectorILNS1_17partition_subalgoE1EjNS0_10empty_typeEbEEZZNS1_14partition_implILS5_1ELb0ES3_jN6thrust23THRUST_200600_302600_NS6detail15normal_iteratorINSA_10device_ptrIjEEEEPS6_NSA_18transform_iteratorI7is_evenIjESF_NSA_11use_defaultESK_EENS0_5tupleIJNSA_16discard_iteratorISK_EESF_EEENSM_IJSG_SG_EEES6_PlJS6_EEE10hipError_tPvRmT3_T4_T5_T6_T7_T9_mT8_P12ihipStream_tbDpT10_ENKUlT_T0_E_clISt17integral_constantIbLb0EES1A_IbLb1EEEEDaS16_S17_EUlS16_E_NS1_11comp_targetILNS1_3genE4ELNS1_11target_archE910ELNS1_3gpuE8ELNS1_3repE0EEENS1_30default_config_static_selectorELNS0_4arch9wavefront6targetE1EEEvT1_: ; @_ZN7rocprim17ROCPRIM_400000_NS6detail17trampoline_kernelINS0_14default_configENS1_25partition_config_selectorILNS1_17partition_subalgoE1EjNS0_10empty_typeEbEEZZNS1_14partition_implILS5_1ELb0ES3_jN6thrust23THRUST_200600_302600_NS6detail15normal_iteratorINSA_10device_ptrIjEEEEPS6_NSA_18transform_iteratorI7is_evenIjESF_NSA_11use_defaultESK_EENS0_5tupleIJNSA_16discard_iteratorISK_EESF_EEENSM_IJSG_SG_EEES6_PlJS6_EEE10hipError_tPvRmT3_T4_T5_T6_T7_T9_mT8_P12ihipStream_tbDpT10_ENKUlT_T0_E_clISt17integral_constantIbLb0EES1A_IbLb1EEEEDaS16_S17_EUlS16_E_NS1_11comp_targetILNS1_3genE4ELNS1_11target_archE910ELNS1_3gpuE8ELNS1_3repE0EEENS1_30default_config_static_selectorELNS0_4arch9wavefront6targetE1EEEvT1_
; %bb.0:
	s_load_dwordx2 s[6:7], s[4:5], 0x20
	s_load_dwordx2 s[24:25], s[4:5], 0x40
	;; [unrolled: 1-line block ×3, first 2 shown]
	s_load_dwordx4 s[20:23], s[4:5], 0x58
	s_load_dwordx2 s[28:29], s[4:5], 0x78
	v_cmp_eq_u32_e64 s[0:1], 0, v0
	s_and_saveexec_b64 s[8:9], s[0:1]
	s_cbranch_execz .LBB3061_4
; %bb.1:
	s_mov_b64 s[12:13], exec
	v_mbcnt_lo_u32_b32 v1, s12, 0
	v_mbcnt_hi_u32_b32 v1, s13, v1
	v_cmp_eq_u32_e32 vcc, 0, v1
                                        ; implicit-def: $vgpr2
	s_and_saveexec_b64 s[10:11], vcc
	s_cbranch_execz .LBB3061_3
; %bb.2:
	s_load_dwordx2 s[14:15], s[4:5], 0x88
	s_bcnt1_i32_b64 s12, s[12:13]
	v_mov_b32_e32 v2, 0
	v_mov_b32_e32 v3, s12
	s_waitcnt lgkmcnt(0)
	global_atomic_add v2, v2, v3, s[14:15] glc
.LBB3061_3:
	s_or_b64 exec, exec, s[10:11]
	s_waitcnt vmcnt(0)
	v_readfirstlane_b32 s10, v2
	v_add_u32_e32 v1, s10, v1
	v_mov_b32_e32 v2, 0
	ds_write_b32 v2, v1
.LBB3061_4:
	s_or_b64 exec, exec, s[8:9]
	v_mov_b32_e32 v3, 0
	s_load_dwordx4 s[16:19], s[4:5], 0x8
	s_load_dword s8, s[4:5], 0x80
	s_waitcnt lgkmcnt(0)
	s_barrier
	ds_read_b32 v1, v3
	s_waitcnt lgkmcnt(0)
	s_barrier
	global_load_dwordx2 v[10:11], v3, s[22:23]
	v_mov_b32_e32 v5, s3
	s_lshl_b64 s[4:5], s[18:19], 2
	s_movk_i32 s3, 0x700
	s_add_u32 s9, s16, s4
	v_mul_lo_u32 v2, v1, s3
	s_mul_i32 s3, s8, 0x700
	s_addc_u32 s10, s17, s5
	s_add_i32 s11, s8, -1
	s_add_i32 s8, s3, s18
	s_sub_i32 s33, s2, s8
	s_addk_i32 s33, 0x700
	v_mov_b32_e32 v4, s2
	s_add_u32 s2, s18, s3
	v_readfirstlane_b32 s38, v1
	s_addc_u32 s3, s19, 0
	s_cmp_eq_u32 s38, s11
	s_cselect_b64 s[22:23], -1, 0
	s_cmp_lg_u32 s38, s11
	v_cmp_lt_u64_e32 vcc, s[2:3], v[4:5]
	s_cselect_b64 s[2:3], -1, 0
	v_lshlrev_b64 v[12:13], 2, v[2:3]
	s_or_b64 s[26:27], vcc, s[2:3]
	v_mov_b32_e32 v2, s10
	v_add_co_u32_e32 v1, vcc, s9, v12
	v_addc_co_u32_e32 v9, vcc, v2, v13, vcc
	s_mov_b64 s[2:3], -1
	s_and_b64 vcc, exec, s[26:27]
	v_lshlrev_b32_e32 v22, 2, v0
	s_cbranch_vccz .LBB3061_6
; %bb.5:
	v_add_co_u32_e32 v2, vcc, v1, v22
	v_addc_co_u32_e32 v3, vcc, 0, v9, vcc
	v_add_co_u32_e32 v4, vcc, 0x1000, v2
	v_addc_co_u32_e32 v5, vcc, 0, v3, vcc
	flat_load_dword v6, v[2:3]
	flat_load_dword v7, v[2:3] offset:1024
	flat_load_dword v8, v[2:3] offset:2048
	;; [unrolled: 1-line block ×3, first 2 shown]
	flat_load_dword v15, v[4:5]
	flat_load_dword v16, v[4:5] offset:1024
	flat_load_dword v17, v[4:5] offset:2048
	s_mov_b64 s[2:3], 0
	s_waitcnt vmcnt(0) lgkmcnt(0)
	ds_write2st64_b32 v22, v6, v7 offset1:4
	ds_write2st64_b32 v22, v8, v14 offset0:8 offset1:12
	ds_write2st64_b32 v22, v15, v16 offset0:16 offset1:20
	ds_write_b32 v22, v17 offset:6144
	s_waitcnt lgkmcnt(0)
	s_barrier
.LBB3061_6:
	s_andn2_b64 vcc, exec, s[2:3]
	v_cmp_gt_u32_e64 s[2:3], s33, v0
	s_cbranch_vccnz .LBB3061_22
; %bb.7:
                                        ; implicit-def: $vgpr2_vgpr3_vgpr4_vgpr5_vgpr6_vgpr7_vgpr8
	s_and_saveexec_b64 s[8:9], s[2:3]
	s_cbranch_execz .LBB3061_9
; %bb.8:
	v_add_co_u32_e32 v2, vcc, v1, v22
	v_addc_co_u32_e32 v3, vcc, 0, v9, vcc
	flat_load_dword v2, v[2:3]
.LBB3061_9:
	s_or_b64 exec, exec, s[8:9]
	v_or_b32_e32 v14, 0x100, v0
	v_cmp_gt_u32_e32 vcc, s33, v14
	s_and_saveexec_b64 s[2:3], vcc
	s_cbranch_execz .LBB3061_11
; %bb.10:
	v_add_co_u32_e32 v14, vcc, v1, v22
	v_addc_co_u32_e32 v15, vcc, 0, v9, vcc
	flat_load_dword v3, v[14:15] offset:1024
.LBB3061_11:
	s_or_b64 exec, exec, s[2:3]
	v_or_b32_e32 v14, 0x200, v0
	v_cmp_gt_u32_e32 vcc, s33, v14
	s_and_saveexec_b64 s[2:3], vcc
	s_cbranch_execz .LBB3061_13
; %bb.12:
	v_add_co_u32_e32 v14, vcc, v1, v22
	v_addc_co_u32_e32 v15, vcc, 0, v9, vcc
	flat_load_dword v4, v[14:15] offset:2048
.LBB3061_13:
	;; [unrolled: 10-line block ×3, first 2 shown]
	s_or_b64 exec, exec, s[2:3]
	v_or_b32_e32 v14, 0x400, v0
	v_cmp_gt_u32_e32 vcc, s33, v14
	s_and_saveexec_b64 s[2:3], vcc
	s_cbranch_execz .LBB3061_17
; %bb.16:
	v_lshlrev_b32_e32 v6, 2, v14
	v_add_co_u32_e32 v14, vcc, v1, v6
	v_addc_co_u32_e32 v15, vcc, 0, v9, vcc
	flat_load_dword v6, v[14:15]
.LBB3061_17:
	s_or_b64 exec, exec, s[2:3]
	v_or_b32_e32 v14, 0x500, v0
	v_cmp_gt_u32_e32 vcc, s33, v14
	s_and_saveexec_b64 s[2:3], vcc
	s_cbranch_execz .LBB3061_19
; %bb.18:
	v_lshlrev_b32_e32 v7, 2, v14
	v_add_co_u32_e32 v14, vcc, v1, v7
	v_addc_co_u32_e32 v15, vcc, 0, v9, vcc
	flat_load_dword v7, v[14:15]
.LBB3061_19:
	;; [unrolled: 11-line block ×3, first 2 shown]
	s_or_b64 exec, exec, s[2:3]
	s_waitcnt vmcnt(0) lgkmcnt(0)
	ds_write2st64_b32 v22, v2, v3 offset1:4
	ds_write2st64_b32 v22, v4, v5 offset0:8 offset1:12
	ds_write2st64_b32 v22, v6, v7 offset0:16 offset1:20
	ds_write_b32 v22, v8 offset:6144
	s_waitcnt lgkmcnt(0)
	s_barrier
.LBB3061_22:
	v_mul_u32_u24_e32 v24, 7, v0
	v_lshlrev_b32_e32 v9, 2, v24
	ds_read2_b32 v[6:7], v9 offset1:1
	ds_read2_b32 v[4:5], v9 offset0:2 offset1:3
	ds_read2_b32 v[2:3], v9 offset0:4 offset1:5
	ds_read_b32 v23, v9 offset:24
	s_add_u32 s2, s6, s4
	s_addc_u32 s3, s7, s5
	v_mov_b32_e32 v1, s3
	v_add_co_u32_e32 v8, vcc, s2, v12
	v_addc_co_u32_e32 v1, vcc, v1, v13, vcc
	s_mov_b64 s[2:3], -1
	s_and_b64 vcc, exec, s[26:27]
	s_waitcnt lgkmcnt(0)
	s_barrier
	s_cbranch_vccz .LBB3061_24
; %bb.23:
	v_add_co_u32_e32 v14, vcc, v8, v22
	v_readfirstlane_b32 s2, v8
	v_readfirstlane_b32 s3, v1
	v_addc_co_u32_e32 v15, vcc, 0, v1, vcc
	s_nop 3
	global_load_dword v16, v22, s[2:3]
	global_load_dword v17, v22, s[2:3] offset:1024
	global_load_dword v18, v22, s[2:3] offset:2048
	;; [unrolled: 1-line block ×3, first 2 shown]
	s_movk_i32 s2, 0x1000
	v_add_co_u32_e32 v14, vcc, s2, v14
	v_addc_co_u32_e32 v15, vcc, 0, v15, vcc
	global_load_dword v20, v[14:15], off
	global_load_dword v21, v[14:15], off offset:1024
	global_load_dword v25, v[14:15], off offset:2048
	s_mov_b64 s[2:3], 0
	s_waitcnt vmcnt(6)
	v_xor_b32_e32 v14, -1, v16
	s_waitcnt vmcnt(5)
	v_xor_b32_e32 v15, -1, v17
	;; [unrolled: 2-line block ×4, first 2 shown]
	v_and_b32_e32 v14, 1, v14
	v_and_b32_e32 v15, 1, v15
	;; [unrolled: 1-line block ×3, first 2 shown]
	s_waitcnt vmcnt(2)
	v_xor_b32_e32 v18, -1, v20
	s_waitcnt vmcnt(1)
	v_xor_b32_e32 v19, -1, v21
	;; [unrolled: 2-line block ×3, first 2 shown]
	v_and_b32_e32 v17, 1, v17
	v_and_b32_e32 v18, 1, v18
	;; [unrolled: 1-line block ×4, first 2 shown]
	ds_write_b8 v0, v14
	ds_write_b8 v0, v15 offset:256
	ds_write_b8 v0, v16 offset:512
	;; [unrolled: 1-line block ×6, first 2 shown]
	s_waitcnt lgkmcnt(0)
	s_barrier
.LBB3061_24:
	s_andn2_b64 vcc, exec, s[2:3]
	s_cbranch_vccnz .LBB3061_40
; %bb.25:
	v_cmp_gt_u32_e32 vcc, s33, v0
	v_mov_b32_e32 v14, 0
	v_mov_b32_e32 v15, 0
	s_and_saveexec_b64 s[2:3], vcc
	s_cbranch_execz .LBB3061_27
; %bb.26:
	v_readfirstlane_b32 s4, v8
	v_readfirstlane_b32 s5, v1
	s_nop 4
	global_load_dword v15, v22, s[4:5]
	s_waitcnt vmcnt(0)
	v_xor_b32_e32 v15, -1, v15
	v_and_b32_e32 v15, 1, v15
.LBB3061_27:
	s_or_b64 exec, exec, s[2:3]
	v_or_b32_e32 v16, 0x100, v0
	v_cmp_gt_u32_e32 vcc, s33, v16
	s_and_saveexec_b64 s[2:3], vcc
	s_cbranch_execz .LBB3061_29
; %bb.28:
	v_readfirstlane_b32 s4, v8
	v_readfirstlane_b32 s5, v1
	s_nop 4
	global_load_dword v14, v22, s[4:5] offset:1024
	s_waitcnt vmcnt(0)
	v_xor_b32_e32 v14, -1, v14
	v_and_b32_e32 v14, 1, v14
.LBB3061_29:
	s_or_b64 exec, exec, s[2:3]
	v_or_b32_e32 v16, 0x200, v0
	v_cmp_gt_u32_e32 vcc, s33, v16
	v_mov_b32_e32 v16, 0
	v_mov_b32_e32 v17, 0
	s_and_saveexec_b64 s[2:3], vcc
	s_cbranch_execz .LBB3061_31
; %bb.30:
	v_readfirstlane_b32 s4, v8
	v_readfirstlane_b32 s5, v1
	s_nop 4
	global_load_dword v17, v22, s[4:5] offset:2048
	s_waitcnt vmcnt(0)
	v_xor_b32_e32 v17, -1, v17
	v_and_b32_e32 v17, 1, v17
.LBB3061_31:
	s_or_b64 exec, exec, s[2:3]
	v_or_b32_e32 v18, 0x300, v0
	v_cmp_gt_u32_e32 vcc, s33, v18
	s_and_saveexec_b64 s[2:3], vcc
	s_cbranch_execz .LBB3061_33
; %bb.32:
	v_readfirstlane_b32 s4, v8
	v_readfirstlane_b32 s5, v1
	s_nop 4
	global_load_dword v16, v22, s[4:5] offset:3072
	s_waitcnt vmcnt(0)
	v_xor_b32_e32 v16, -1, v16
	v_and_b32_e32 v16, 1, v16
.LBB3061_33:
	s_or_b64 exec, exec, s[2:3]
	v_or_b32_e32 v20, 0x400, v0
	v_cmp_gt_u32_e32 vcc, s33, v20
	v_mov_b32_e32 v18, 0
	v_mov_b32_e32 v19, 0
	s_and_saveexec_b64 s[2:3], vcc
	s_cbranch_execz .LBB3061_35
; %bb.34:
	v_lshlrev_b32_e32 v19, 2, v20
	v_readfirstlane_b32 s4, v8
	v_readfirstlane_b32 s5, v1
	s_nop 4
	global_load_dword v19, v19, s[4:5]
	s_waitcnt vmcnt(0)
	v_xor_b32_e32 v19, -1, v19
	v_and_b32_e32 v19, 1, v19
.LBB3061_35:
	s_or_b64 exec, exec, s[2:3]
	v_or_b32_e32 v20, 0x500, v0
	v_cmp_gt_u32_e32 vcc, s33, v20
	s_and_saveexec_b64 s[2:3], vcc
	s_cbranch_execz .LBB3061_37
; %bb.36:
	v_lshlrev_b32_e32 v18, 2, v20
	v_readfirstlane_b32 s4, v8
	v_readfirstlane_b32 s5, v1
	s_nop 4
	global_load_dword v18, v18, s[4:5]
	s_waitcnt vmcnt(0)
	v_xor_b32_e32 v18, -1, v18
	v_and_b32_e32 v18, 1, v18
.LBB3061_37:
	s_or_b64 exec, exec, s[2:3]
	v_or_b32_e32 v21, 0x600, v0
	v_cmp_gt_u32_e32 vcc, s33, v21
	v_mov_b32_e32 v20, 0
	s_and_saveexec_b64 s[2:3], vcc
	s_cbranch_execz .LBB3061_39
; %bb.38:
	v_lshlrev_b32_e32 v20, 2, v21
	v_readfirstlane_b32 s4, v8
	v_readfirstlane_b32 s5, v1
	s_nop 4
	global_load_dword v1, v20, s[4:5]
	s_waitcnt vmcnt(0)
	v_xor_b32_e32 v1, -1, v1
	v_and_b32_e32 v20, 1, v1
.LBB3061_39:
	s_or_b64 exec, exec, s[2:3]
	ds_write_b8 v0, v15
	ds_write_b8 v0, v14 offset:256
	ds_write_b8 v0, v17 offset:512
	;; [unrolled: 1-line block ×6, first 2 shown]
	s_waitcnt lgkmcnt(0)
	s_barrier
.LBB3061_40:
	s_movk_i32 s2, 0xffeb
	v_mad_i32_i24 v32, v0, s2, v9
	ds_read_u8 v1, v32
	ds_read_u8 v8, v32 offset:1
	ds_read_u8 v9, v32 offset:2
	;; [unrolled: 1-line block ×6, first 2 shown]
	s_waitcnt lgkmcnt(6)
	v_and_b32_e32 v30, 1, v1
	s_waitcnt lgkmcnt(5)
	v_and_b32_e32 v29, 1, v8
	;; [unrolled: 2-line block ×5, first 2 shown]
	v_add3_u32 v8, v29, v30, v28
	s_waitcnt lgkmcnt(1)
	v_and_b32_e32 v25, 1, v16
	s_waitcnt lgkmcnt(0)
	v_and_b32_e32 v1, 1, v17
	v_add3_u32 v8, v8, v27, v26
	v_add3_u32 v34, v8, v25, v1
	v_mbcnt_lo_u32_b32 v8, -1, 0
	v_mbcnt_hi_u32_b32 v31, -1, v8
	v_and_b32_e32 v8, 15, v31
	v_cmp_eq_u32_e64 s[14:15], 0, v8
	v_cmp_lt_u32_e64 s[12:13], 1, v8
	v_cmp_lt_u32_e64 s[10:11], 3, v8
	;; [unrolled: 1-line block ×3, first 2 shown]
	v_and_b32_e32 v8, 16, v31
	v_cmp_eq_u32_e64 s[6:7], 0, v8
	v_or_b32_e32 v8, 63, v0
	s_cmp_lg_u32 s38, 0
	v_cmp_lt_u32_e64 s[2:3], 31, v31
	v_lshrrev_b32_e32 v33, 6, v0
	v_cmp_eq_u32_e64 s[4:5], v8, v0
	s_barrier
	s_cbranch_scc0 .LBB3061_67
; %bb.41:
	v_mov_b32_dpp v8, v34 row_shr:1 row_mask:0xf bank_mask:0xf
	v_cndmask_b32_e64 v8, v8, 0, s[14:15]
	v_add_u32_e32 v8, v8, v34
	s_nop 1
	v_mov_b32_dpp v9, v8 row_shr:2 row_mask:0xf bank_mask:0xf
	v_cndmask_b32_e64 v9, 0, v9, s[12:13]
	v_add_u32_e32 v8, v8, v9
	s_nop 1
	;; [unrolled: 4-line block ×4, first 2 shown]
	v_mov_b32_dpp v9, v8 row_bcast:15 row_mask:0xf bank_mask:0xf
	v_cndmask_b32_e64 v9, v9, 0, s[6:7]
	v_add_u32_e32 v8, v8, v9
	s_nop 1
	v_mov_b32_dpp v9, v8 row_bcast:31 row_mask:0xf bank_mask:0xf
	v_cndmask_b32_e64 v9, 0, v9, s[2:3]
	v_add_u32_e32 v8, v8, v9
	s_and_saveexec_b64 s[16:17], s[4:5]
	s_cbranch_execz .LBB3061_43
; %bb.42:
	v_lshlrev_b32_e32 v9, 2, v33
	ds_write_b32 v9, v8
.LBB3061_43:
	s_or_b64 exec, exec, s[16:17]
	v_cmp_gt_u32_e32 vcc, 4, v0
	s_waitcnt lgkmcnt(0)
	s_barrier
	s_and_saveexec_b64 s[16:17], vcc
	s_cbranch_execz .LBB3061_45
; %bb.44:
	ds_read_b32 v9, v22
	v_and_b32_e32 v14, 3, v31
	v_cmp_ne_u32_e32 vcc, 0, v14
	s_waitcnt lgkmcnt(0)
	v_mov_b32_dpp v15, v9 row_shr:1 row_mask:0xf bank_mask:0xf
	v_cndmask_b32_e32 v15, 0, v15, vcc
	v_add_u32_e32 v9, v15, v9
	v_cmp_lt_u32_e32 vcc, 1, v14
	s_nop 0
	v_mov_b32_dpp v15, v9 row_shr:2 row_mask:0xf bank_mask:0xf
	v_cndmask_b32_e32 v14, 0, v15, vcc
	v_add_u32_e32 v9, v9, v14
	ds_write_b32 v22, v9
.LBB3061_45:
	s_or_b64 exec, exec, s[16:17]
	v_cmp_gt_u32_e32 vcc, 64, v0
	v_cmp_lt_u32_e64 s[16:17], 63, v0
	s_waitcnt lgkmcnt(0)
	s_barrier
	s_waitcnt lgkmcnt(0)
                                        ; implicit-def: $vgpr35
	s_and_saveexec_b64 s[30:31], s[16:17]
	s_cbranch_execz .LBB3061_47
; %bb.46:
	v_lshl_add_u32 v9, v33, 2, -4
	ds_read_b32 v35, v9
	s_waitcnt lgkmcnt(0)
	v_add_u32_e32 v8, v35, v8
.LBB3061_47:
	s_or_b64 exec, exec, s[30:31]
	v_add_u32_e32 v9, -1, v31
	v_and_b32_e32 v14, 64, v31
	v_cmp_lt_i32_e64 s[16:17], v9, v14
	v_cndmask_b32_e64 v9, v9, v31, s[16:17]
	v_lshlrev_b32_e32 v9, 2, v9
	ds_bpermute_b32 v36, v9, v8
	v_cmp_eq_u32_e64 s[16:17], 0, v31
	s_and_saveexec_b64 s[30:31], vcc
	s_cbranch_execz .LBB3061_66
; %bb.48:
	v_mov_b32_e32 v19, 0
	ds_read_b32 v8, v19 offset:12
	s_and_saveexec_b64 s[34:35], s[16:17]
	s_cbranch_execz .LBB3061_50
; %bb.49:
	s_add_i32 s36, s38, 64
	s_mov_b32 s37, 0
	s_lshl_b64 s[36:37], s[36:37], 3
	s_add_u32 s36, s28, s36
	v_mov_b32_e32 v9, 1
	s_addc_u32 s37, s29, s37
	s_waitcnt lgkmcnt(0)
	global_store_dwordx2 v19, v[8:9], s[36:37]
.LBB3061_50:
	s_or_b64 exec, exec, s[34:35]
	v_xad_u32 v14, v31, -1, s38
	v_add_u32_e32 v18, 64, v14
	v_lshlrev_b64 v[16:17], 3, v[18:19]
	v_mov_b32_e32 v9, s29
	v_add_co_u32_e32 v20, vcc, s28, v16
	v_addc_co_u32_e32 v21, vcc, v9, v17, vcc
	global_load_dwordx2 v[16:17], v[20:21], off glc
	s_waitcnt vmcnt(0)
	v_cmp_eq_u16_sdwa s[36:37], v17, v19 src0_sel:BYTE_0 src1_sel:DWORD
	s_and_saveexec_b64 s[34:35], s[36:37]
	s_cbranch_execz .LBB3061_54
; %bb.51:
	s_mov_b64 s[36:37], 0
	v_mov_b32_e32 v9, 0
.LBB3061_52:                            ; =>This Inner Loop Header: Depth=1
	global_load_dwordx2 v[16:17], v[20:21], off glc
	s_waitcnt vmcnt(0)
	v_cmp_ne_u16_sdwa s[40:41], v17, v9 src0_sel:BYTE_0 src1_sel:DWORD
	s_or_b64 s[36:37], s[40:41], s[36:37]
	s_andn2_b64 exec, exec, s[36:37]
	s_cbranch_execnz .LBB3061_52
; %bb.53:
	s_or_b64 exec, exec, s[36:37]
.LBB3061_54:
	s_or_b64 exec, exec, s[34:35]
	v_and_b32_e32 v38, 63, v31
	v_mov_b32_e32 v37, 2
	v_cmp_ne_u32_e32 vcc, 63, v38
	v_cmp_eq_u16_sdwa s[34:35], v17, v37 src0_sel:BYTE_0 src1_sel:DWORD
	v_lshlrev_b64 v[18:19], v31, -1
	v_addc_co_u32_e32 v20, vcc, 0, v31, vcc
	v_and_b32_e32 v9, s35, v19
	v_lshlrev_b32_e32 v39, 2, v20
	v_or_b32_e32 v9, 0x80000000, v9
	ds_bpermute_b32 v20, v39, v16
	v_and_b32_e32 v15, s34, v18
	v_ffbl_b32_e32 v9, v9
	v_add_u32_e32 v9, 32, v9
	v_ffbl_b32_e32 v15, v15
	v_min_u32_e32 v9, v15, v9
	v_cmp_lt_u32_e32 vcc, v38, v9
	s_waitcnt lgkmcnt(0)
	v_cndmask_b32_e32 v15, 0, v20, vcc
	v_cmp_gt_u32_e32 vcc, 62, v38
	v_add_u32_e32 v15, v15, v16
	v_cndmask_b32_e64 v16, 0, 1, vcc
	v_lshlrev_b32_e32 v16, 1, v16
	v_add_lshl_u32 v40, v16, v31, 2
	ds_bpermute_b32 v16, v40, v15
	v_add_u32_e32 v41, 2, v38
	v_cmp_le_u32_e32 vcc, v41, v9
	v_add_u32_e32 v43, 4, v38
	v_add_u32_e32 v45, 8, v38
	s_waitcnt lgkmcnt(0)
	v_cndmask_b32_e32 v16, 0, v16, vcc
	v_cmp_gt_u32_e32 vcc, 60, v38
	v_add_u32_e32 v15, v15, v16
	v_cndmask_b32_e64 v16, 0, 1, vcc
	v_lshlrev_b32_e32 v16, 2, v16
	v_add_lshl_u32 v42, v16, v31, 2
	ds_bpermute_b32 v16, v42, v15
	v_cmp_le_u32_e32 vcc, v43, v9
	v_add_u32_e32 v47, 16, v38
	v_add_u32_e32 v49, 32, v38
	s_waitcnt lgkmcnt(0)
	v_cndmask_b32_e32 v16, 0, v16, vcc
	v_cmp_gt_u32_e32 vcc, 56, v38
	v_add_u32_e32 v15, v15, v16
	v_cndmask_b32_e64 v16, 0, 1, vcc
	v_lshlrev_b32_e32 v16, 3, v16
	v_add_lshl_u32 v44, v16, v31, 2
	ds_bpermute_b32 v16, v44, v15
	v_cmp_le_u32_e32 vcc, v45, v9
	s_waitcnt lgkmcnt(0)
	v_cndmask_b32_e32 v16, 0, v16, vcc
	v_cmp_gt_u32_e32 vcc, 48, v38
	v_add_u32_e32 v15, v15, v16
	v_cndmask_b32_e64 v16, 0, 1, vcc
	v_lshlrev_b32_e32 v16, 4, v16
	v_add_lshl_u32 v46, v16, v31, 2
	ds_bpermute_b32 v16, v46, v15
	v_cmp_le_u32_e32 vcc, v47, v9
	;; [unrolled: 9-line block ×3, first 2 shown]
	s_waitcnt lgkmcnt(0)
	v_cndmask_b32_e32 v9, 0, v16, vcc
	v_add_u32_e32 v16, v15, v9
	v_mov_b32_e32 v15, 0
	s_branch .LBB3061_56
.LBB3061_55:                            ;   in Loop: Header=BB3061_56 Depth=1
	s_or_b64 exec, exec, s[34:35]
	v_cmp_eq_u16_sdwa s[34:35], v17, v37 src0_sel:BYTE_0 src1_sel:DWORD
	v_and_b32_e32 v20, s35, v19
	v_or_b32_e32 v20, 0x80000000, v20
	ds_bpermute_b32 v50, v39, v16
	v_and_b32_e32 v21, s34, v18
	v_ffbl_b32_e32 v20, v20
	v_add_u32_e32 v20, 32, v20
	v_ffbl_b32_e32 v21, v21
	v_min_u32_e32 v20, v21, v20
	v_cmp_lt_u32_e32 vcc, v38, v20
	s_waitcnt lgkmcnt(0)
	v_cndmask_b32_e32 v21, 0, v50, vcc
	v_add_u32_e32 v16, v21, v16
	ds_bpermute_b32 v21, v40, v16
	v_cmp_le_u32_e32 vcc, v41, v20
	v_subrev_u32_e32 v14, 64, v14
	s_waitcnt lgkmcnt(0)
	v_cndmask_b32_e32 v21, 0, v21, vcc
	v_add_u32_e32 v16, v16, v21
	ds_bpermute_b32 v21, v42, v16
	v_cmp_le_u32_e32 vcc, v43, v20
	s_waitcnt lgkmcnt(0)
	v_cndmask_b32_e32 v21, 0, v21, vcc
	v_add_u32_e32 v16, v16, v21
	ds_bpermute_b32 v21, v44, v16
	v_cmp_le_u32_e32 vcc, v45, v20
	;; [unrolled: 5-line block ×4, first 2 shown]
	s_waitcnt lgkmcnt(0)
	v_cndmask_b32_e32 v20, 0, v21, vcc
	v_add3_u32 v16, v20, v9, v16
.LBB3061_56:                            ; =>This Loop Header: Depth=1
                                        ;     Child Loop BB3061_59 Depth 2
	v_cmp_ne_u16_sdwa s[34:35], v17, v37 src0_sel:BYTE_0 src1_sel:DWORD
	v_cndmask_b32_e64 v9, 0, 1, s[34:35]
	;;#ASMSTART
	;;#ASMEND
	v_cmp_ne_u32_e32 vcc, 0, v9
	s_cmp_lg_u64 vcc, exec
	v_mov_b32_e32 v9, v16
	s_cbranch_scc1 .LBB3061_61
; %bb.57:                               ;   in Loop: Header=BB3061_56 Depth=1
	v_lshlrev_b64 v[16:17], 3, v[14:15]
	v_mov_b32_e32 v21, s29
	v_add_co_u32_e32 v20, vcc, s28, v16
	v_addc_co_u32_e32 v21, vcc, v21, v17, vcc
	global_load_dwordx2 v[16:17], v[20:21], off glc
	s_waitcnt vmcnt(0)
	v_cmp_eq_u16_sdwa s[36:37], v17, v15 src0_sel:BYTE_0 src1_sel:DWORD
	s_and_saveexec_b64 s[34:35], s[36:37]
	s_cbranch_execz .LBB3061_55
; %bb.58:                               ;   in Loop: Header=BB3061_56 Depth=1
	s_mov_b64 s[36:37], 0
.LBB3061_59:                            ;   Parent Loop BB3061_56 Depth=1
                                        ; =>  This Inner Loop Header: Depth=2
	global_load_dwordx2 v[16:17], v[20:21], off glc
	s_waitcnt vmcnt(0)
	v_cmp_ne_u16_sdwa s[40:41], v17, v15 src0_sel:BYTE_0 src1_sel:DWORD
	s_or_b64 s[36:37], s[40:41], s[36:37]
	s_andn2_b64 exec, exec, s[36:37]
	s_cbranch_execnz .LBB3061_59
; %bb.60:                               ;   in Loop: Header=BB3061_56 Depth=1
	s_or_b64 exec, exec, s[36:37]
	s_branch .LBB3061_55
.LBB3061_61:                            ;   in Loop: Header=BB3061_56 Depth=1
                                        ; implicit-def: $vgpr16
                                        ; implicit-def: $vgpr17
	s_cbranch_execz .LBB3061_56
; %bb.62:
	s_and_saveexec_b64 s[34:35], s[16:17]
	s_cbranch_execz .LBB3061_64
; %bb.63:
	s_add_i32 s36, s38, 64
	s_mov_b32 s37, 0
	s_lshl_b64 s[36:37], s[36:37], 3
	s_add_u32 s36, s28, s36
	v_add_u32_e32 v14, v9, v8
	v_mov_b32_e32 v15, 2
	s_addc_u32 s37, s29, s37
	v_mov_b32_e32 v16, 0
	global_store_dwordx2 v16, v[14:15], s[36:37]
	ds_write_b64 v16, v[8:9] offset:7168
.LBB3061_64:
	s_or_b64 exec, exec, s[34:35]
	s_and_b64 exec, exec, s[0:1]
	s_cbranch_execz .LBB3061_66
; %bb.65:
	v_mov_b32_e32 v8, 0
	ds_write_b32 v8, v9 offset:12
.LBB3061_66:
	s_or_b64 exec, exec, s[30:31]
	v_mov_b32_e32 v8, 0
	s_waitcnt lgkmcnt(0)
	s_barrier
	ds_read_b32 v9, v8 offset:12
	v_cndmask_b32_e64 v14, v36, v35, s[16:17]
	v_cndmask_b32_e64 v14, v14, 0, s[0:1]
	s_waitcnt lgkmcnt(0)
	s_barrier
	v_add_u32_e32 v20, v9, v14
	v_add_u32_e32 v19, v20, v30
	;; [unrolled: 1-line block ×3, first 2 shown]
	ds_read_b64 v[8:9], v8 offset:7168
	v_add_u32_e32 v16, v18, v28
	v_add_u32_e32 v17, v16, v27
	;; [unrolled: 1-line block ×4, first 2 shown]
	s_branch .LBB3061_77
.LBB3061_67:
                                        ; implicit-def: $vgpr9
                                        ; implicit-def: $vgpr14
                                        ; implicit-def: $vgpr15
                                        ; implicit-def: $vgpr17
                                        ; implicit-def: $vgpr16
                                        ; implicit-def: $vgpr18
                                        ; implicit-def: $vgpr19
                                        ; implicit-def: $vgpr20
	s_cbranch_execz .LBB3061_77
; %bb.68:
	s_waitcnt lgkmcnt(0)
	v_mov_b32_dpp v8, v34 row_shr:1 row_mask:0xf bank_mask:0xf
	v_cndmask_b32_e64 v8, v8, 0, s[14:15]
	v_add_u32_e32 v8, v8, v34
	s_nop 1
	v_mov_b32_dpp v9, v8 row_shr:2 row_mask:0xf bank_mask:0xf
	v_cndmask_b32_e64 v9, 0, v9, s[12:13]
	v_add_u32_e32 v8, v8, v9
	s_nop 1
	;; [unrolled: 4-line block ×4, first 2 shown]
	v_mov_b32_dpp v9, v8 row_bcast:15 row_mask:0xf bank_mask:0xf
	v_cndmask_b32_e64 v9, v9, 0, s[6:7]
	v_add_u32_e32 v8, v8, v9
	s_nop 1
	v_mov_b32_dpp v9, v8 row_bcast:31 row_mask:0xf bank_mask:0xf
	v_cndmask_b32_e64 v9, 0, v9, s[2:3]
	v_add_u32_e32 v8, v8, v9
	s_and_saveexec_b64 s[2:3], s[4:5]
	s_cbranch_execz .LBB3061_70
; %bb.69:
	v_lshlrev_b32_e32 v9, 2, v33
	ds_write_b32 v9, v8
.LBB3061_70:
	s_or_b64 exec, exec, s[2:3]
	v_cmp_gt_u32_e32 vcc, 4, v0
	s_waitcnt lgkmcnt(0)
	s_barrier
	s_and_saveexec_b64 s[2:3], vcc
	s_cbranch_execz .LBB3061_72
; %bb.71:
	v_mad_i32_i24 v9, v0, -3, v32
	ds_read_b32 v14, v9
	v_and_b32_e32 v15, 3, v31
	v_cmp_ne_u32_e32 vcc, 0, v15
	s_waitcnt lgkmcnt(0)
	v_mov_b32_dpp v16, v14 row_shr:1 row_mask:0xf bank_mask:0xf
	v_cndmask_b32_e32 v16, 0, v16, vcc
	v_add_u32_e32 v14, v16, v14
	v_cmp_lt_u32_e32 vcc, 1, v15
	s_nop 0
	v_mov_b32_dpp v16, v14 row_shr:2 row_mask:0xf bank_mask:0xf
	v_cndmask_b32_e32 v15, 0, v16, vcc
	v_add_u32_e32 v14, v14, v15
	ds_write_b32 v9, v14
.LBB3061_72:
	s_or_b64 exec, exec, s[2:3]
	v_cmp_lt_u32_e32 vcc, 63, v0
	v_mov_b32_e32 v9, 0
	v_mov_b32_e32 v14, 0
	s_waitcnt lgkmcnt(0)
	s_barrier
	s_and_saveexec_b64 s[2:3], vcc
	s_cbranch_execz .LBB3061_74
; %bb.73:
	v_lshl_add_u32 v14, v33, 2, -4
	ds_read_b32 v14, v14
.LBB3061_74:
	s_or_b64 exec, exec, s[2:3]
	v_add_u32_e32 v15, -1, v31
	v_and_b32_e32 v16, 64, v31
	v_cmp_lt_i32_e32 vcc, v15, v16
	v_cndmask_b32_e32 v15, v15, v31, vcc
	s_waitcnt lgkmcnt(0)
	v_add_u32_e32 v8, v14, v8
	v_lshlrev_b32_e32 v15, 2, v15
	ds_bpermute_b32 v15, v15, v8
	ds_read_b32 v8, v9 offset:12
	s_and_saveexec_b64 s[2:3], s[0:1]
	s_cbranch_execz .LBB3061_76
; %bb.75:
	v_mov_b32_e32 v16, 0
	v_mov_b32_e32 v9, 2
	s_waitcnt lgkmcnt(0)
	global_store_dwordx2 v16, v[8:9], s[28:29] offset:512
.LBB3061_76:
	s_or_b64 exec, exec, s[2:3]
	v_cmp_eq_u32_e32 vcc, 0, v31
	s_waitcnt lgkmcnt(1)
	v_cndmask_b32_e32 v14, v15, v14, vcc
	v_cndmask_b32_e64 v20, v14, 0, s[0:1]
	v_add_u32_e32 v19, v20, v30
	v_add_u32_e32 v18, v19, v29
	;; [unrolled: 1-line block ×5, first 2 shown]
	v_mov_b32_e32 v9, 0
	v_add_u32_e32 v14, v15, v25
	s_waitcnt lgkmcnt(0)
	s_barrier
.LBB3061_77:
	s_waitcnt lgkmcnt(0)
	v_add_u32_e32 v21, v8, v24
	v_sub_u32_e32 v20, v20, v9
	v_sub_u32_e32 v24, v21, v20
	v_cmp_eq_u32_e32 vcc, 1, v30
	v_cndmask_b32_e32 v20, v24, v20, vcc
	v_lshlrev_b32_e32 v20, 2, v20
	ds_write_b32 v20, v6
	v_sub_u32_e32 v6, v19, v9
	v_sub_u32_e32 v19, v21, v6
	v_add_u32_e32 v19, 1, v19
	v_cmp_eq_u32_e32 vcc, 1, v29
	v_cndmask_b32_e32 v6, v19, v6, vcc
	v_lshlrev_b32_e32 v6, 2, v6
	ds_write_b32 v6, v7
	v_sub_u32_e32 v6, v18, v9
	v_sub_u32_e32 v7, v21, v6
	v_add_u32_e32 v7, 2, v7
	;; [unrolled: 7-line block ×6, first 2 shown]
	v_cmp_eq_u32_e32 vcc, 1, v1
	v_cndmask_b32_e32 v1, v3, v2, vcc
	v_lshlrev_b32_e32 v1, 2, v1
	ds_write_b32 v1, v23
	s_waitcnt vmcnt(0)
	v_add_co_u32_e32 v1, vcc, v10, v8
	v_addc_co_u32_e32 v3, vcc, 0, v11, vcc
	v_add_co_u32_e32 v2, vcc, v1, v9
	v_addc_co_u32_e32 v3, vcc, 0, v3, vcc
	v_mov_b32_e32 v1, s19
	v_sub_co_u32_e32 v10, vcc, s18, v2
	v_subb_co_u32_e32 v11, vcc, v1, v3, vcc
	v_lshlrev_b64 v[10:11], 2, v[10:11]
	s_waitcnt lgkmcnt(0)
	s_barrier
	ds_read2st64_b32 v[16:17], v22 offset1:4
	ds_read2st64_b32 v[14:15], v22 offset0:8 offset1:12
	ds_read2st64_b32 v[4:5], v22 offset0:16 offset1:20
	ds_read_b32 v7, v22 offset:6144
	v_mov_b32_e32 v1, s25
	v_add_co_u32_e32 v6, vcc, s24, v10
	v_addc_co_u32_e32 v1, vcc, v1, v11, vcc
	v_add_co_u32_e32 v6, vcc, v6, v12
	v_addc_co_u32_e32 v1, vcc, v1, v13, vcc
	v_or_b32_e32 v24, 0x100, v0
	v_or_b32_e32 v23, 0x200, v0
	;; [unrolled: 1-line block ×6, first 2 shown]
	s_andn2_b64 vcc, exec, s[26:27]
	v_cmp_le_u32_e64 s[2:3], v8, v0
	s_cbranch_vccnz .LBB3061_86
; %bb.78:
	s_and_saveexec_b64 s[4:5], s[2:3]
	s_cbranch_execnz .LBB3061_105
; %bb.79:
	s_or_b64 exec, exec, s[4:5]
	v_cmp_ge_u32_e32 vcc, v24, v8
	s_and_saveexec_b64 s[2:3], vcc
	s_cbranch_execnz .LBB3061_106
.LBB3061_80:
	s_or_b64 exec, exec, s[2:3]
	v_cmp_ge_u32_e32 vcc, v23, v8
	s_and_saveexec_b64 s[2:3], vcc
	s_cbranch_execnz .LBB3061_107
.LBB3061_81:
	s_or_b64 exec, exec, s[2:3]
	v_cmp_ge_u32_e32 vcc, v21, v8
	s_and_saveexec_b64 s[2:3], vcc
	s_cbranch_execnz .LBB3061_108
.LBB3061_82:
	s_or_b64 exec, exec, s[2:3]
	v_cmp_ge_u32_e32 vcc, v20, v8
	s_and_saveexec_b64 s[2:3], vcc
	s_cbranch_execnz .LBB3061_109
.LBB3061_83:
	s_or_b64 exec, exec, s[2:3]
	v_cmp_ge_u32_e32 vcc, v19, v8
	s_and_saveexec_b64 s[2:3], vcc
	s_cbranch_execz .LBB3061_85
.LBB3061_84:
	v_lshlrev_b32_e32 v9, 2, v19
	v_readfirstlane_b32 s4, v6
	v_readfirstlane_b32 s5, v1
	s_waitcnt lgkmcnt(1)
	s_nop 3
	global_store_dword v9, v5, s[4:5]
.LBB3061_85:
	s_or_b64 exec, exec, s[2:3]
	v_cmp_ge_u32_e64 s[2:3], v18, v8
	s_branch .LBB3061_100
.LBB3061_86:
	s_mov_b64 s[2:3], 0
	s_cbranch_execz .LBB3061_100
; %bb.87:
	v_cmp_gt_u32_e32 vcc, s33, v0
	v_cmp_le_u32_e64 s[2:3], v8, v0
	s_and_b64 s[4:5], vcc, s[2:3]
	s_and_saveexec_b64 s[2:3], s[4:5]
	s_cbranch_execz .LBB3061_89
; %bb.88:
	v_readfirstlane_b32 s4, v6
	v_readfirstlane_b32 s5, v1
	s_waitcnt lgkmcnt(3)
	s_nop 3
	global_store_dword v22, v16, s[4:5]
.LBB3061_89:
	s_or_b64 exec, exec, s[2:3]
	v_cmp_gt_u32_e32 vcc, s33, v24
	v_cmp_ge_u32_e64 s[2:3], v24, v8
	s_and_b64 s[4:5], vcc, s[2:3]
	s_and_saveexec_b64 s[2:3], s[4:5]
	s_cbranch_execz .LBB3061_91
; %bb.90:
	v_readfirstlane_b32 s4, v6
	v_readfirstlane_b32 s5, v1
	s_waitcnt lgkmcnt(3)
	s_nop 3
	global_store_dword v22, v17, s[4:5] offset:1024
.LBB3061_91:
	s_or_b64 exec, exec, s[2:3]
	v_cmp_gt_u32_e32 vcc, s33, v23
	v_cmp_ge_u32_e64 s[2:3], v23, v8
	s_and_b64 s[4:5], vcc, s[2:3]
	s_and_saveexec_b64 s[2:3], s[4:5]
	s_cbranch_execz .LBB3061_93
; %bb.92:
	v_readfirstlane_b32 s4, v6
	v_readfirstlane_b32 s5, v1
	s_waitcnt lgkmcnt(2)
	s_nop 3
	global_store_dword v22, v14, s[4:5] offset:2048
.LBB3061_93:
	s_or_b64 exec, exec, s[2:3]
	v_cmp_gt_u32_e32 vcc, s33, v21
	v_cmp_ge_u32_e64 s[2:3], v21, v8
	s_and_b64 s[4:5], vcc, s[2:3]
	s_and_saveexec_b64 s[2:3], s[4:5]
	s_cbranch_execz .LBB3061_95
; %bb.94:
	v_readfirstlane_b32 s4, v6
	v_readfirstlane_b32 s5, v1
	s_waitcnt lgkmcnt(2)
	s_nop 3
	global_store_dword v22, v15, s[4:5] offset:3072
.LBB3061_95:
	s_or_b64 exec, exec, s[2:3]
	v_cmp_gt_u32_e32 vcc, s33, v20
	v_cmp_ge_u32_e64 s[2:3], v20, v8
	s_and_b64 s[4:5], vcc, s[2:3]
	s_and_saveexec_b64 s[2:3], s[4:5]
	s_cbranch_execz .LBB3061_97
; %bb.96:
	v_lshlrev_b32_e32 v0, 2, v20
	v_readfirstlane_b32 s4, v6
	v_readfirstlane_b32 s5, v1
	s_waitcnt lgkmcnt(1)
	s_nop 3
	global_store_dword v0, v4, s[4:5]
.LBB3061_97:
	s_or_b64 exec, exec, s[2:3]
	v_cmp_gt_u32_e32 vcc, s33, v19
	v_cmp_ge_u32_e64 s[2:3], v19, v8
	s_and_b64 s[4:5], vcc, s[2:3]
	s_and_saveexec_b64 s[2:3], s[4:5]
	s_cbranch_execz .LBB3061_99
; %bb.98:
	v_lshlrev_b32_e32 v0, 2, v19
	v_readfirstlane_b32 s4, v6
	v_readfirstlane_b32 s5, v1
	s_waitcnt lgkmcnt(1)
	s_nop 3
	global_store_dword v0, v5, s[4:5]
.LBB3061_99:
	s_or_b64 exec, exec, s[2:3]
	v_cmp_gt_u32_e32 vcc, s33, v18
	v_cmp_ge_u32_e64 s[2:3], v18, v8
	s_and_b64 s[2:3], vcc, s[2:3]
.LBB3061_100:
	s_and_saveexec_b64 s[4:5], s[2:3]
	s_cbranch_execnz .LBB3061_103
; %bb.101:
	s_or_b64 exec, exec, s[4:5]
	s_and_b64 s[0:1], s[0:1], s[22:23]
	s_and_saveexec_b64 s[2:3], s[0:1]
	s_cbranch_execnz .LBB3061_104
.LBB3061_102:
	s_endpgm
.LBB3061_103:
	v_lshlrev_b32_e32 v0, 2, v18
	v_readfirstlane_b32 s2, v6
	v_readfirstlane_b32 s3, v1
	s_waitcnt lgkmcnt(0)
	s_nop 3
	global_store_dword v0, v7, s[2:3]
	s_or_b64 exec, exec, s[4:5]
	s_and_b64 s[0:1], s[0:1], s[22:23]
	s_and_saveexec_b64 s[2:3], s[0:1]
	s_cbranch_execz .LBB3061_102
.LBB3061_104:
	v_mov_b32_e32 v0, 0
	global_store_dwordx2 v0, v[2:3], s[20:21]
	s_endpgm
.LBB3061_105:
	v_readfirstlane_b32 s2, v6
	v_readfirstlane_b32 s3, v1
	s_waitcnt lgkmcnt(3)
	s_nop 3
	global_store_dword v22, v16, s[2:3]
	s_or_b64 exec, exec, s[4:5]
	v_cmp_ge_u32_e32 vcc, v24, v8
	s_and_saveexec_b64 s[2:3], vcc
	s_cbranch_execz .LBB3061_80
.LBB3061_106:
	v_readfirstlane_b32 s4, v6
	v_readfirstlane_b32 s5, v1
	s_waitcnt lgkmcnt(3)
	s_nop 3
	global_store_dword v22, v17, s[4:5] offset:1024
	s_or_b64 exec, exec, s[2:3]
	v_cmp_ge_u32_e32 vcc, v23, v8
	s_and_saveexec_b64 s[2:3], vcc
	s_cbranch_execz .LBB3061_81
.LBB3061_107:
	v_readfirstlane_b32 s4, v6
	v_readfirstlane_b32 s5, v1
	s_waitcnt lgkmcnt(2)
	s_nop 3
	global_store_dword v22, v14, s[4:5] offset:2048
	s_or_b64 exec, exec, s[2:3]
	v_cmp_ge_u32_e32 vcc, v21, v8
	s_and_saveexec_b64 s[2:3], vcc
	s_cbranch_execz .LBB3061_82
.LBB3061_108:
	v_readfirstlane_b32 s4, v6
	v_readfirstlane_b32 s5, v1
	s_waitcnt lgkmcnt(2)
	s_nop 3
	global_store_dword v22, v15, s[4:5] offset:3072
	s_or_b64 exec, exec, s[2:3]
	v_cmp_ge_u32_e32 vcc, v20, v8
	s_and_saveexec_b64 s[2:3], vcc
	s_cbranch_execz .LBB3061_83
.LBB3061_109:
	v_lshlrev_b32_e32 v9, 2, v20
	v_readfirstlane_b32 s4, v6
	v_readfirstlane_b32 s5, v1
	s_waitcnt lgkmcnt(1)
	s_nop 3
	global_store_dword v9, v4, s[4:5]
	s_or_b64 exec, exec, s[2:3]
	v_cmp_ge_u32_e32 vcc, v19, v8
	s_and_saveexec_b64 s[2:3], vcc
	s_cbranch_execnz .LBB3061_84
	s_branch .LBB3061_85
	.section	.rodata,"a",@progbits
	.p2align	6, 0x0
	.amdhsa_kernel _ZN7rocprim17ROCPRIM_400000_NS6detail17trampoline_kernelINS0_14default_configENS1_25partition_config_selectorILNS1_17partition_subalgoE1EjNS0_10empty_typeEbEEZZNS1_14partition_implILS5_1ELb0ES3_jN6thrust23THRUST_200600_302600_NS6detail15normal_iteratorINSA_10device_ptrIjEEEEPS6_NSA_18transform_iteratorI7is_evenIjESF_NSA_11use_defaultESK_EENS0_5tupleIJNSA_16discard_iteratorISK_EESF_EEENSM_IJSG_SG_EEES6_PlJS6_EEE10hipError_tPvRmT3_T4_T5_T6_T7_T9_mT8_P12ihipStream_tbDpT10_ENKUlT_T0_E_clISt17integral_constantIbLb0EES1A_IbLb1EEEEDaS16_S17_EUlS16_E_NS1_11comp_targetILNS1_3genE4ELNS1_11target_archE910ELNS1_3gpuE8ELNS1_3repE0EEENS1_30default_config_static_selectorELNS0_4arch9wavefront6targetE1EEEvT1_
		.amdhsa_group_segment_fixed_size 7176
		.amdhsa_private_segment_fixed_size 0
		.amdhsa_kernarg_size 152
		.amdhsa_user_sgpr_count 6
		.amdhsa_user_sgpr_private_segment_buffer 1
		.amdhsa_user_sgpr_dispatch_ptr 0
		.amdhsa_user_sgpr_queue_ptr 0
		.amdhsa_user_sgpr_kernarg_segment_ptr 1
		.amdhsa_user_sgpr_dispatch_id 0
		.amdhsa_user_sgpr_flat_scratch_init 0
		.amdhsa_user_sgpr_kernarg_preload_length 0
		.amdhsa_user_sgpr_kernarg_preload_offset 0
		.amdhsa_user_sgpr_private_segment_size 0
		.amdhsa_uses_dynamic_stack 0
		.amdhsa_system_sgpr_private_segment_wavefront_offset 0
		.amdhsa_system_sgpr_workgroup_id_x 1
		.amdhsa_system_sgpr_workgroup_id_y 0
		.amdhsa_system_sgpr_workgroup_id_z 0
		.amdhsa_system_sgpr_workgroup_info 0
		.amdhsa_system_vgpr_workitem_id 0
		.amdhsa_next_free_vgpr 51
		.amdhsa_next_free_sgpr 42
		.amdhsa_accum_offset 52
		.amdhsa_reserve_vcc 1
		.amdhsa_reserve_flat_scratch 0
		.amdhsa_float_round_mode_32 0
		.amdhsa_float_round_mode_16_64 0
		.amdhsa_float_denorm_mode_32 3
		.amdhsa_float_denorm_mode_16_64 3
		.amdhsa_dx10_clamp 1
		.amdhsa_ieee_mode 1
		.amdhsa_fp16_overflow 0
		.amdhsa_tg_split 0
		.amdhsa_exception_fp_ieee_invalid_op 0
		.amdhsa_exception_fp_denorm_src 0
		.amdhsa_exception_fp_ieee_div_zero 0
		.amdhsa_exception_fp_ieee_overflow 0
		.amdhsa_exception_fp_ieee_underflow 0
		.amdhsa_exception_fp_ieee_inexact 0
		.amdhsa_exception_int_div_zero 0
	.end_amdhsa_kernel
	.section	.text._ZN7rocprim17ROCPRIM_400000_NS6detail17trampoline_kernelINS0_14default_configENS1_25partition_config_selectorILNS1_17partition_subalgoE1EjNS0_10empty_typeEbEEZZNS1_14partition_implILS5_1ELb0ES3_jN6thrust23THRUST_200600_302600_NS6detail15normal_iteratorINSA_10device_ptrIjEEEEPS6_NSA_18transform_iteratorI7is_evenIjESF_NSA_11use_defaultESK_EENS0_5tupleIJNSA_16discard_iteratorISK_EESF_EEENSM_IJSG_SG_EEES6_PlJS6_EEE10hipError_tPvRmT3_T4_T5_T6_T7_T9_mT8_P12ihipStream_tbDpT10_ENKUlT_T0_E_clISt17integral_constantIbLb0EES1A_IbLb1EEEEDaS16_S17_EUlS16_E_NS1_11comp_targetILNS1_3genE4ELNS1_11target_archE910ELNS1_3gpuE8ELNS1_3repE0EEENS1_30default_config_static_selectorELNS0_4arch9wavefront6targetE1EEEvT1_,"axG",@progbits,_ZN7rocprim17ROCPRIM_400000_NS6detail17trampoline_kernelINS0_14default_configENS1_25partition_config_selectorILNS1_17partition_subalgoE1EjNS0_10empty_typeEbEEZZNS1_14partition_implILS5_1ELb0ES3_jN6thrust23THRUST_200600_302600_NS6detail15normal_iteratorINSA_10device_ptrIjEEEEPS6_NSA_18transform_iteratorI7is_evenIjESF_NSA_11use_defaultESK_EENS0_5tupleIJNSA_16discard_iteratorISK_EESF_EEENSM_IJSG_SG_EEES6_PlJS6_EEE10hipError_tPvRmT3_T4_T5_T6_T7_T9_mT8_P12ihipStream_tbDpT10_ENKUlT_T0_E_clISt17integral_constantIbLb0EES1A_IbLb1EEEEDaS16_S17_EUlS16_E_NS1_11comp_targetILNS1_3genE4ELNS1_11target_archE910ELNS1_3gpuE8ELNS1_3repE0EEENS1_30default_config_static_selectorELNS0_4arch9wavefront6targetE1EEEvT1_,comdat
.Lfunc_end3061:
	.size	_ZN7rocprim17ROCPRIM_400000_NS6detail17trampoline_kernelINS0_14default_configENS1_25partition_config_selectorILNS1_17partition_subalgoE1EjNS0_10empty_typeEbEEZZNS1_14partition_implILS5_1ELb0ES3_jN6thrust23THRUST_200600_302600_NS6detail15normal_iteratorINSA_10device_ptrIjEEEEPS6_NSA_18transform_iteratorI7is_evenIjESF_NSA_11use_defaultESK_EENS0_5tupleIJNSA_16discard_iteratorISK_EESF_EEENSM_IJSG_SG_EEES6_PlJS6_EEE10hipError_tPvRmT3_T4_T5_T6_T7_T9_mT8_P12ihipStream_tbDpT10_ENKUlT_T0_E_clISt17integral_constantIbLb0EES1A_IbLb1EEEEDaS16_S17_EUlS16_E_NS1_11comp_targetILNS1_3genE4ELNS1_11target_archE910ELNS1_3gpuE8ELNS1_3repE0EEENS1_30default_config_static_selectorELNS0_4arch9wavefront6targetE1EEEvT1_, .Lfunc_end3061-_ZN7rocprim17ROCPRIM_400000_NS6detail17trampoline_kernelINS0_14default_configENS1_25partition_config_selectorILNS1_17partition_subalgoE1EjNS0_10empty_typeEbEEZZNS1_14partition_implILS5_1ELb0ES3_jN6thrust23THRUST_200600_302600_NS6detail15normal_iteratorINSA_10device_ptrIjEEEEPS6_NSA_18transform_iteratorI7is_evenIjESF_NSA_11use_defaultESK_EENS0_5tupleIJNSA_16discard_iteratorISK_EESF_EEENSM_IJSG_SG_EEES6_PlJS6_EEE10hipError_tPvRmT3_T4_T5_T6_T7_T9_mT8_P12ihipStream_tbDpT10_ENKUlT_T0_E_clISt17integral_constantIbLb0EES1A_IbLb1EEEEDaS16_S17_EUlS16_E_NS1_11comp_targetILNS1_3genE4ELNS1_11target_archE910ELNS1_3gpuE8ELNS1_3repE0EEENS1_30default_config_static_selectorELNS0_4arch9wavefront6targetE1EEEvT1_
                                        ; -- End function
	.section	.AMDGPU.csdata,"",@progbits
; Kernel info:
; codeLenInByte = 4864
; NumSgprs: 46
; NumVgprs: 51
; NumAgprs: 0
; TotalNumVgprs: 51
; ScratchSize: 0
; MemoryBound: 0
; FloatMode: 240
; IeeeMode: 1
; LDSByteSize: 7176 bytes/workgroup (compile time only)
; SGPRBlocks: 5
; VGPRBlocks: 6
; NumSGPRsForWavesPerEU: 46
; NumVGPRsForWavesPerEU: 51
; AccumOffset: 52
; Occupancy: 8
; WaveLimiterHint : 1
; COMPUTE_PGM_RSRC2:SCRATCH_EN: 0
; COMPUTE_PGM_RSRC2:USER_SGPR: 6
; COMPUTE_PGM_RSRC2:TRAP_HANDLER: 0
; COMPUTE_PGM_RSRC2:TGID_X_EN: 1
; COMPUTE_PGM_RSRC2:TGID_Y_EN: 0
; COMPUTE_PGM_RSRC2:TGID_Z_EN: 0
; COMPUTE_PGM_RSRC2:TIDIG_COMP_CNT: 0
; COMPUTE_PGM_RSRC3_GFX90A:ACCUM_OFFSET: 12
; COMPUTE_PGM_RSRC3_GFX90A:TG_SPLIT: 0
	.section	.text._ZN7rocprim17ROCPRIM_400000_NS6detail17trampoline_kernelINS0_14default_configENS1_25partition_config_selectorILNS1_17partition_subalgoE1EjNS0_10empty_typeEbEEZZNS1_14partition_implILS5_1ELb0ES3_jN6thrust23THRUST_200600_302600_NS6detail15normal_iteratorINSA_10device_ptrIjEEEEPS6_NSA_18transform_iteratorI7is_evenIjESF_NSA_11use_defaultESK_EENS0_5tupleIJNSA_16discard_iteratorISK_EESF_EEENSM_IJSG_SG_EEES6_PlJS6_EEE10hipError_tPvRmT3_T4_T5_T6_T7_T9_mT8_P12ihipStream_tbDpT10_ENKUlT_T0_E_clISt17integral_constantIbLb0EES1A_IbLb1EEEEDaS16_S17_EUlS16_E_NS1_11comp_targetILNS1_3genE3ELNS1_11target_archE908ELNS1_3gpuE7ELNS1_3repE0EEENS1_30default_config_static_selectorELNS0_4arch9wavefront6targetE1EEEvT1_,"axG",@progbits,_ZN7rocprim17ROCPRIM_400000_NS6detail17trampoline_kernelINS0_14default_configENS1_25partition_config_selectorILNS1_17partition_subalgoE1EjNS0_10empty_typeEbEEZZNS1_14partition_implILS5_1ELb0ES3_jN6thrust23THRUST_200600_302600_NS6detail15normal_iteratorINSA_10device_ptrIjEEEEPS6_NSA_18transform_iteratorI7is_evenIjESF_NSA_11use_defaultESK_EENS0_5tupleIJNSA_16discard_iteratorISK_EESF_EEENSM_IJSG_SG_EEES6_PlJS6_EEE10hipError_tPvRmT3_T4_T5_T6_T7_T9_mT8_P12ihipStream_tbDpT10_ENKUlT_T0_E_clISt17integral_constantIbLb0EES1A_IbLb1EEEEDaS16_S17_EUlS16_E_NS1_11comp_targetILNS1_3genE3ELNS1_11target_archE908ELNS1_3gpuE7ELNS1_3repE0EEENS1_30default_config_static_selectorELNS0_4arch9wavefront6targetE1EEEvT1_,comdat
	.protected	_ZN7rocprim17ROCPRIM_400000_NS6detail17trampoline_kernelINS0_14default_configENS1_25partition_config_selectorILNS1_17partition_subalgoE1EjNS0_10empty_typeEbEEZZNS1_14partition_implILS5_1ELb0ES3_jN6thrust23THRUST_200600_302600_NS6detail15normal_iteratorINSA_10device_ptrIjEEEEPS6_NSA_18transform_iteratorI7is_evenIjESF_NSA_11use_defaultESK_EENS0_5tupleIJNSA_16discard_iteratorISK_EESF_EEENSM_IJSG_SG_EEES6_PlJS6_EEE10hipError_tPvRmT3_T4_T5_T6_T7_T9_mT8_P12ihipStream_tbDpT10_ENKUlT_T0_E_clISt17integral_constantIbLb0EES1A_IbLb1EEEEDaS16_S17_EUlS16_E_NS1_11comp_targetILNS1_3genE3ELNS1_11target_archE908ELNS1_3gpuE7ELNS1_3repE0EEENS1_30default_config_static_selectorELNS0_4arch9wavefront6targetE1EEEvT1_ ; -- Begin function _ZN7rocprim17ROCPRIM_400000_NS6detail17trampoline_kernelINS0_14default_configENS1_25partition_config_selectorILNS1_17partition_subalgoE1EjNS0_10empty_typeEbEEZZNS1_14partition_implILS5_1ELb0ES3_jN6thrust23THRUST_200600_302600_NS6detail15normal_iteratorINSA_10device_ptrIjEEEEPS6_NSA_18transform_iteratorI7is_evenIjESF_NSA_11use_defaultESK_EENS0_5tupleIJNSA_16discard_iteratorISK_EESF_EEENSM_IJSG_SG_EEES6_PlJS6_EEE10hipError_tPvRmT3_T4_T5_T6_T7_T9_mT8_P12ihipStream_tbDpT10_ENKUlT_T0_E_clISt17integral_constantIbLb0EES1A_IbLb1EEEEDaS16_S17_EUlS16_E_NS1_11comp_targetILNS1_3genE3ELNS1_11target_archE908ELNS1_3gpuE7ELNS1_3repE0EEENS1_30default_config_static_selectorELNS0_4arch9wavefront6targetE1EEEvT1_
	.globl	_ZN7rocprim17ROCPRIM_400000_NS6detail17trampoline_kernelINS0_14default_configENS1_25partition_config_selectorILNS1_17partition_subalgoE1EjNS0_10empty_typeEbEEZZNS1_14partition_implILS5_1ELb0ES3_jN6thrust23THRUST_200600_302600_NS6detail15normal_iteratorINSA_10device_ptrIjEEEEPS6_NSA_18transform_iteratorI7is_evenIjESF_NSA_11use_defaultESK_EENS0_5tupleIJNSA_16discard_iteratorISK_EESF_EEENSM_IJSG_SG_EEES6_PlJS6_EEE10hipError_tPvRmT3_T4_T5_T6_T7_T9_mT8_P12ihipStream_tbDpT10_ENKUlT_T0_E_clISt17integral_constantIbLb0EES1A_IbLb1EEEEDaS16_S17_EUlS16_E_NS1_11comp_targetILNS1_3genE3ELNS1_11target_archE908ELNS1_3gpuE7ELNS1_3repE0EEENS1_30default_config_static_selectorELNS0_4arch9wavefront6targetE1EEEvT1_
	.p2align	8
	.type	_ZN7rocprim17ROCPRIM_400000_NS6detail17trampoline_kernelINS0_14default_configENS1_25partition_config_selectorILNS1_17partition_subalgoE1EjNS0_10empty_typeEbEEZZNS1_14partition_implILS5_1ELb0ES3_jN6thrust23THRUST_200600_302600_NS6detail15normal_iteratorINSA_10device_ptrIjEEEEPS6_NSA_18transform_iteratorI7is_evenIjESF_NSA_11use_defaultESK_EENS0_5tupleIJNSA_16discard_iteratorISK_EESF_EEENSM_IJSG_SG_EEES6_PlJS6_EEE10hipError_tPvRmT3_T4_T5_T6_T7_T9_mT8_P12ihipStream_tbDpT10_ENKUlT_T0_E_clISt17integral_constantIbLb0EES1A_IbLb1EEEEDaS16_S17_EUlS16_E_NS1_11comp_targetILNS1_3genE3ELNS1_11target_archE908ELNS1_3gpuE7ELNS1_3repE0EEENS1_30default_config_static_selectorELNS0_4arch9wavefront6targetE1EEEvT1_,@function
_ZN7rocprim17ROCPRIM_400000_NS6detail17trampoline_kernelINS0_14default_configENS1_25partition_config_selectorILNS1_17partition_subalgoE1EjNS0_10empty_typeEbEEZZNS1_14partition_implILS5_1ELb0ES3_jN6thrust23THRUST_200600_302600_NS6detail15normal_iteratorINSA_10device_ptrIjEEEEPS6_NSA_18transform_iteratorI7is_evenIjESF_NSA_11use_defaultESK_EENS0_5tupleIJNSA_16discard_iteratorISK_EESF_EEENSM_IJSG_SG_EEES6_PlJS6_EEE10hipError_tPvRmT3_T4_T5_T6_T7_T9_mT8_P12ihipStream_tbDpT10_ENKUlT_T0_E_clISt17integral_constantIbLb0EES1A_IbLb1EEEEDaS16_S17_EUlS16_E_NS1_11comp_targetILNS1_3genE3ELNS1_11target_archE908ELNS1_3gpuE7ELNS1_3repE0EEENS1_30default_config_static_selectorELNS0_4arch9wavefront6targetE1EEEvT1_: ; @_ZN7rocprim17ROCPRIM_400000_NS6detail17trampoline_kernelINS0_14default_configENS1_25partition_config_selectorILNS1_17partition_subalgoE1EjNS0_10empty_typeEbEEZZNS1_14partition_implILS5_1ELb0ES3_jN6thrust23THRUST_200600_302600_NS6detail15normal_iteratorINSA_10device_ptrIjEEEEPS6_NSA_18transform_iteratorI7is_evenIjESF_NSA_11use_defaultESK_EENS0_5tupleIJNSA_16discard_iteratorISK_EESF_EEENSM_IJSG_SG_EEES6_PlJS6_EEE10hipError_tPvRmT3_T4_T5_T6_T7_T9_mT8_P12ihipStream_tbDpT10_ENKUlT_T0_E_clISt17integral_constantIbLb0EES1A_IbLb1EEEEDaS16_S17_EUlS16_E_NS1_11comp_targetILNS1_3genE3ELNS1_11target_archE908ELNS1_3gpuE7ELNS1_3repE0EEENS1_30default_config_static_selectorELNS0_4arch9wavefront6targetE1EEEvT1_
; %bb.0:
	.section	.rodata,"a",@progbits
	.p2align	6, 0x0
	.amdhsa_kernel _ZN7rocprim17ROCPRIM_400000_NS6detail17trampoline_kernelINS0_14default_configENS1_25partition_config_selectorILNS1_17partition_subalgoE1EjNS0_10empty_typeEbEEZZNS1_14partition_implILS5_1ELb0ES3_jN6thrust23THRUST_200600_302600_NS6detail15normal_iteratorINSA_10device_ptrIjEEEEPS6_NSA_18transform_iteratorI7is_evenIjESF_NSA_11use_defaultESK_EENS0_5tupleIJNSA_16discard_iteratorISK_EESF_EEENSM_IJSG_SG_EEES6_PlJS6_EEE10hipError_tPvRmT3_T4_T5_T6_T7_T9_mT8_P12ihipStream_tbDpT10_ENKUlT_T0_E_clISt17integral_constantIbLb0EES1A_IbLb1EEEEDaS16_S17_EUlS16_E_NS1_11comp_targetILNS1_3genE3ELNS1_11target_archE908ELNS1_3gpuE7ELNS1_3repE0EEENS1_30default_config_static_selectorELNS0_4arch9wavefront6targetE1EEEvT1_
		.amdhsa_group_segment_fixed_size 0
		.amdhsa_private_segment_fixed_size 0
		.amdhsa_kernarg_size 152
		.amdhsa_user_sgpr_count 6
		.amdhsa_user_sgpr_private_segment_buffer 1
		.amdhsa_user_sgpr_dispatch_ptr 0
		.amdhsa_user_sgpr_queue_ptr 0
		.amdhsa_user_sgpr_kernarg_segment_ptr 1
		.amdhsa_user_sgpr_dispatch_id 0
		.amdhsa_user_sgpr_flat_scratch_init 0
		.amdhsa_user_sgpr_kernarg_preload_length 0
		.amdhsa_user_sgpr_kernarg_preload_offset 0
		.amdhsa_user_sgpr_private_segment_size 0
		.amdhsa_uses_dynamic_stack 0
		.amdhsa_system_sgpr_private_segment_wavefront_offset 0
		.amdhsa_system_sgpr_workgroup_id_x 1
		.amdhsa_system_sgpr_workgroup_id_y 0
		.amdhsa_system_sgpr_workgroup_id_z 0
		.amdhsa_system_sgpr_workgroup_info 0
		.amdhsa_system_vgpr_workitem_id 0
		.amdhsa_next_free_vgpr 1
		.amdhsa_next_free_sgpr 0
		.amdhsa_accum_offset 4
		.amdhsa_reserve_vcc 0
		.amdhsa_reserve_flat_scratch 0
		.amdhsa_float_round_mode_32 0
		.amdhsa_float_round_mode_16_64 0
		.amdhsa_float_denorm_mode_32 3
		.amdhsa_float_denorm_mode_16_64 3
		.amdhsa_dx10_clamp 1
		.amdhsa_ieee_mode 1
		.amdhsa_fp16_overflow 0
		.amdhsa_tg_split 0
		.amdhsa_exception_fp_ieee_invalid_op 0
		.amdhsa_exception_fp_denorm_src 0
		.amdhsa_exception_fp_ieee_div_zero 0
		.amdhsa_exception_fp_ieee_overflow 0
		.amdhsa_exception_fp_ieee_underflow 0
		.amdhsa_exception_fp_ieee_inexact 0
		.amdhsa_exception_int_div_zero 0
	.end_amdhsa_kernel
	.section	.text._ZN7rocprim17ROCPRIM_400000_NS6detail17trampoline_kernelINS0_14default_configENS1_25partition_config_selectorILNS1_17partition_subalgoE1EjNS0_10empty_typeEbEEZZNS1_14partition_implILS5_1ELb0ES3_jN6thrust23THRUST_200600_302600_NS6detail15normal_iteratorINSA_10device_ptrIjEEEEPS6_NSA_18transform_iteratorI7is_evenIjESF_NSA_11use_defaultESK_EENS0_5tupleIJNSA_16discard_iteratorISK_EESF_EEENSM_IJSG_SG_EEES6_PlJS6_EEE10hipError_tPvRmT3_T4_T5_T6_T7_T9_mT8_P12ihipStream_tbDpT10_ENKUlT_T0_E_clISt17integral_constantIbLb0EES1A_IbLb1EEEEDaS16_S17_EUlS16_E_NS1_11comp_targetILNS1_3genE3ELNS1_11target_archE908ELNS1_3gpuE7ELNS1_3repE0EEENS1_30default_config_static_selectorELNS0_4arch9wavefront6targetE1EEEvT1_,"axG",@progbits,_ZN7rocprim17ROCPRIM_400000_NS6detail17trampoline_kernelINS0_14default_configENS1_25partition_config_selectorILNS1_17partition_subalgoE1EjNS0_10empty_typeEbEEZZNS1_14partition_implILS5_1ELb0ES3_jN6thrust23THRUST_200600_302600_NS6detail15normal_iteratorINSA_10device_ptrIjEEEEPS6_NSA_18transform_iteratorI7is_evenIjESF_NSA_11use_defaultESK_EENS0_5tupleIJNSA_16discard_iteratorISK_EESF_EEENSM_IJSG_SG_EEES6_PlJS6_EEE10hipError_tPvRmT3_T4_T5_T6_T7_T9_mT8_P12ihipStream_tbDpT10_ENKUlT_T0_E_clISt17integral_constantIbLb0EES1A_IbLb1EEEEDaS16_S17_EUlS16_E_NS1_11comp_targetILNS1_3genE3ELNS1_11target_archE908ELNS1_3gpuE7ELNS1_3repE0EEENS1_30default_config_static_selectorELNS0_4arch9wavefront6targetE1EEEvT1_,comdat
.Lfunc_end3062:
	.size	_ZN7rocprim17ROCPRIM_400000_NS6detail17trampoline_kernelINS0_14default_configENS1_25partition_config_selectorILNS1_17partition_subalgoE1EjNS0_10empty_typeEbEEZZNS1_14partition_implILS5_1ELb0ES3_jN6thrust23THRUST_200600_302600_NS6detail15normal_iteratorINSA_10device_ptrIjEEEEPS6_NSA_18transform_iteratorI7is_evenIjESF_NSA_11use_defaultESK_EENS0_5tupleIJNSA_16discard_iteratorISK_EESF_EEENSM_IJSG_SG_EEES6_PlJS6_EEE10hipError_tPvRmT3_T4_T5_T6_T7_T9_mT8_P12ihipStream_tbDpT10_ENKUlT_T0_E_clISt17integral_constantIbLb0EES1A_IbLb1EEEEDaS16_S17_EUlS16_E_NS1_11comp_targetILNS1_3genE3ELNS1_11target_archE908ELNS1_3gpuE7ELNS1_3repE0EEENS1_30default_config_static_selectorELNS0_4arch9wavefront6targetE1EEEvT1_, .Lfunc_end3062-_ZN7rocprim17ROCPRIM_400000_NS6detail17trampoline_kernelINS0_14default_configENS1_25partition_config_selectorILNS1_17partition_subalgoE1EjNS0_10empty_typeEbEEZZNS1_14partition_implILS5_1ELb0ES3_jN6thrust23THRUST_200600_302600_NS6detail15normal_iteratorINSA_10device_ptrIjEEEEPS6_NSA_18transform_iteratorI7is_evenIjESF_NSA_11use_defaultESK_EENS0_5tupleIJNSA_16discard_iteratorISK_EESF_EEENSM_IJSG_SG_EEES6_PlJS6_EEE10hipError_tPvRmT3_T4_T5_T6_T7_T9_mT8_P12ihipStream_tbDpT10_ENKUlT_T0_E_clISt17integral_constantIbLb0EES1A_IbLb1EEEEDaS16_S17_EUlS16_E_NS1_11comp_targetILNS1_3genE3ELNS1_11target_archE908ELNS1_3gpuE7ELNS1_3repE0EEENS1_30default_config_static_selectorELNS0_4arch9wavefront6targetE1EEEvT1_
                                        ; -- End function
	.section	.AMDGPU.csdata,"",@progbits
; Kernel info:
; codeLenInByte = 0
; NumSgprs: 4
; NumVgprs: 0
; NumAgprs: 0
; TotalNumVgprs: 0
; ScratchSize: 0
; MemoryBound: 0
; FloatMode: 240
; IeeeMode: 1
; LDSByteSize: 0 bytes/workgroup (compile time only)
; SGPRBlocks: 0
; VGPRBlocks: 0
; NumSGPRsForWavesPerEU: 4
; NumVGPRsForWavesPerEU: 1
; AccumOffset: 4
; Occupancy: 8
; WaveLimiterHint : 0
; COMPUTE_PGM_RSRC2:SCRATCH_EN: 0
; COMPUTE_PGM_RSRC2:USER_SGPR: 6
; COMPUTE_PGM_RSRC2:TRAP_HANDLER: 0
; COMPUTE_PGM_RSRC2:TGID_X_EN: 1
; COMPUTE_PGM_RSRC2:TGID_Y_EN: 0
; COMPUTE_PGM_RSRC2:TGID_Z_EN: 0
; COMPUTE_PGM_RSRC2:TIDIG_COMP_CNT: 0
; COMPUTE_PGM_RSRC3_GFX90A:ACCUM_OFFSET: 0
; COMPUTE_PGM_RSRC3_GFX90A:TG_SPLIT: 0
	.section	.text._ZN7rocprim17ROCPRIM_400000_NS6detail17trampoline_kernelINS0_14default_configENS1_25partition_config_selectorILNS1_17partition_subalgoE1EjNS0_10empty_typeEbEEZZNS1_14partition_implILS5_1ELb0ES3_jN6thrust23THRUST_200600_302600_NS6detail15normal_iteratorINSA_10device_ptrIjEEEEPS6_NSA_18transform_iteratorI7is_evenIjESF_NSA_11use_defaultESK_EENS0_5tupleIJNSA_16discard_iteratorISK_EESF_EEENSM_IJSG_SG_EEES6_PlJS6_EEE10hipError_tPvRmT3_T4_T5_T6_T7_T9_mT8_P12ihipStream_tbDpT10_ENKUlT_T0_E_clISt17integral_constantIbLb0EES1A_IbLb1EEEEDaS16_S17_EUlS16_E_NS1_11comp_targetILNS1_3genE2ELNS1_11target_archE906ELNS1_3gpuE6ELNS1_3repE0EEENS1_30default_config_static_selectorELNS0_4arch9wavefront6targetE1EEEvT1_,"axG",@progbits,_ZN7rocprim17ROCPRIM_400000_NS6detail17trampoline_kernelINS0_14default_configENS1_25partition_config_selectorILNS1_17partition_subalgoE1EjNS0_10empty_typeEbEEZZNS1_14partition_implILS5_1ELb0ES3_jN6thrust23THRUST_200600_302600_NS6detail15normal_iteratorINSA_10device_ptrIjEEEEPS6_NSA_18transform_iteratorI7is_evenIjESF_NSA_11use_defaultESK_EENS0_5tupleIJNSA_16discard_iteratorISK_EESF_EEENSM_IJSG_SG_EEES6_PlJS6_EEE10hipError_tPvRmT3_T4_T5_T6_T7_T9_mT8_P12ihipStream_tbDpT10_ENKUlT_T0_E_clISt17integral_constantIbLb0EES1A_IbLb1EEEEDaS16_S17_EUlS16_E_NS1_11comp_targetILNS1_3genE2ELNS1_11target_archE906ELNS1_3gpuE6ELNS1_3repE0EEENS1_30default_config_static_selectorELNS0_4arch9wavefront6targetE1EEEvT1_,comdat
	.protected	_ZN7rocprim17ROCPRIM_400000_NS6detail17trampoline_kernelINS0_14default_configENS1_25partition_config_selectorILNS1_17partition_subalgoE1EjNS0_10empty_typeEbEEZZNS1_14partition_implILS5_1ELb0ES3_jN6thrust23THRUST_200600_302600_NS6detail15normal_iteratorINSA_10device_ptrIjEEEEPS6_NSA_18transform_iteratorI7is_evenIjESF_NSA_11use_defaultESK_EENS0_5tupleIJNSA_16discard_iteratorISK_EESF_EEENSM_IJSG_SG_EEES6_PlJS6_EEE10hipError_tPvRmT3_T4_T5_T6_T7_T9_mT8_P12ihipStream_tbDpT10_ENKUlT_T0_E_clISt17integral_constantIbLb0EES1A_IbLb1EEEEDaS16_S17_EUlS16_E_NS1_11comp_targetILNS1_3genE2ELNS1_11target_archE906ELNS1_3gpuE6ELNS1_3repE0EEENS1_30default_config_static_selectorELNS0_4arch9wavefront6targetE1EEEvT1_ ; -- Begin function _ZN7rocprim17ROCPRIM_400000_NS6detail17trampoline_kernelINS0_14default_configENS1_25partition_config_selectorILNS1_17partition_subalgoE1EjNS0_10empty_typeEbEEZZNS1_14partition_implILS5_1ELb0ES3_jN6thrust23THRUST_200600_302600_NS6detail15normal_iteratorINSA_10device_ptrIjEEEEPS6_NSA_18transform_iteratorI7is_evenIjESF_NSA_11use_defaultESK_EENS0_5tupleIJNSA_16discard_iteratorISK_EESF_EEENSM_IJSG_SG_EEES6_PlJS6_EEE10hipError_tPvRmT3_T4_T5_T6_T7_T9_mT8_P12ihipStream_tbDpT10_ENKUlT_T0_E_clISt17integral_constantIbLb0EES1A_IbLb1EEEEDaS16_S17_EUlS16_E_NS1_11comp_targetILNS1_3genE2ELNS1_11target_archE906ELNS1_3gpuE6ELNS1_3repE0EEENS1_30default_config_static_selectorELNS0_4arch9wavefront6targetE1EEEvT1_
	.globl	_ZN7rocprim17ROCPRIM_400000_NS6detail17trampoline_kernelINS0_14default_configENS1_25partition_config_selectorILNS1_17partition_subalgoE1EjNS0_10empty_typeEbEEZZNS1_14partition_implILS5_1ELb0ES3_jN6thrust23THRUST_200600_302600_NS6detail15normal_iteratorINSA_10device_ptrIjEEEEPS6_NSA_18transform_iteratorI7is_evenIjESF_NSA_11use_defaultESK_EENS0_5tupleIJNSA_16discard_iteratorISK_EESF_EEENSM_IJSG_SG_EEES6_PlJS6_EEE10hipError_tPvRmT3_T4_T5_T6_T7_T9_mT8_P12ihipStream_tbDpT10_ENKUlT_T0_E_clISt17integral_constantIbLb0EES1A_IbLb1EEEEDaS16_S17_EUlS16_E_NS1_11comp_targetILNS1_3genE2ELNS1_11target_archE906ELNS1_3gpuE6ELNS1_3repE0EEENS1_30default_config_static_selectorELNS0_4arch9wavefront6targetE1EEEvT1_
	.p2align	8
	.type	_ZN7rocprim17ROCPRIM_400000_NS6detail17trampoline_kernelINS0_14default_configENS1_25partition_config_selectorILNS1_17partition_subalgoE1EjNS0_10empty_typeEbEEZZNS1_14partition_implILS5_1ELb0ES3_jN6thrust23THRUST_200600_302600_NS6detail15normal_iteratorINSA_10device_ptrIjEEEEPS6_NSA_18transform_iteratorI7is_evenIjESF_NSA_11use_defaultESK_EENS0_5tupleIJNSA_16discard_iteratorISK_EESF_EEENSM_IJSG_SG_EEES6_PlJS6_EEE10hipError_tPvRmT3_T4_T5_T6_T7_T9_mT8_P12ihipStream_tbDpT10_ENKUlT_T0_E_clISt17integral_constantIbLb0EES1A_IbLb1EEEEDaS16_S17_EUlS16_E_NS1_11comp_targetILNS1_3genE2ELNS1_11target_archE906ELNS1_3gpuE6ELNS1_3repE0EEENS1_30default_config_static_selectorELNS0_4arch9wavefront6targetE1EEEvT1_,@function
_ZN7rocprim17ROCPRIM_400000_NS6detail17trampoline_kernelINS0_14default_configENS1_25partition_config_selectorILNS1_17partition_subalgoE1EjNS0_10empty_typeEbEEZZNS1_14partition_implILS5_1ELb0ES3_jN6thrust23THRUST_200600_302600_NS6detail15normal_iteratorINSA_10device_ptrIjEEEEPS6_NSA_18transform_iteratorI7is_evenIjESF_NSA_11use_defaultESK_EENS0_5tupleIJNSA_16discard_iteratorISK_EESF_EEENSM_IJSG_SG_EEES6_PlJS6_EEE10hipError_tPvRmT3_T4_T5_T6_T7_T9_mT8_P12ihipStream_tbDpT10_ENKUlT_T0_E_clISt17integral_constantIbLb0EES1A_IbLb1EEEEDaS16_S17_EUlS16_E_NS1_11comp_targetILNS1_3genE2ELNS1_11target_archE906ELNS1_3gpuE6ELNS1_3repE0EEENS1_30default_config_static_selectorELNS0_4arch9wavefront6targetE1EEEvT1_: ; @_ZN7rocprim17ROCPRIM_400000_NS6detail17trampoline_kernelINS0_14default_configENS1_25partition_config_selectorILNS1_17partition_subalgoE1EjNS0_10empty_typeEbEEZZNS1_14partition_implILS5_1ELb0ES3_jN6thrust23THRUST_200600_302600_NS6detail15normal_iteratorINSA_10device_ptrIjEEEEPS6_NSA_18transform_iteratorI7is_evenIjESF_NSA_11use_defaultESK_EENS0_5tupleIJNSA_16discard_iteratorISK_EESF_EEENSM_IJSG_SG_EEES6_PlJS6_EEE10hipError_tPvRmT3_T4_T5_T6_T7_T9_mT8_P12ihipStream_tbDpT10_ENKUlT_T0_E_clISt17integral_constantIbLb0EES1A_IbLb1EEEEDaS16_S17_EUlS16_E_NS1_11comp_targetILNS1_3genE2ELNS1_11target_archE906ELNS1_3gpuE6ELNS1_3repE0EEENS1_30default_config_static_selectorELNS0_4arch9wavefront6targetE1EEEvT1_
; %bb.0:
	.section	.rodata,"a",@progbits
	.p2align	6, 0x0
	.amdhsa_kernel _ZN7rocprim17ROCPRIM_400000_NS6detail17trampoline_kernelINS0_14default_configENS1_25partition_config_selectorILNS1_17partition_subalgoE1EjNS0_10empty_typeEbEEZZNS1_14partition_implILS5_1ELb0ES3_jN6thrust23THRUST_200600_302600_NS6detail15normal_iteratorINSA_10device_ptrIjEEEEPS6_NSA_18transform_iteratorI7is_evenIjESF_NSA_11use_defaultESK_EENS0_5tupleIJNSA_16discard_iteratorISK_EESF_EEENSM_IJSG_SG_EEES6_PlJS6_EEE10hipError_tPvRmT3_T4_T5_T6_T7_T9_mT8_P12ihipStream_tbDpT10_ENKUlT_T0_E_clISt17integral_constantIbLb0EES1A_IbLb1EEEEDaS16_S17_EUlS16_E_NS1_11comp_targetILNS1_3genE2ELNS1_11target_archE906ELNS1_3gpuE6ELNS1_3repE0EEENS1_30default_config_static_selectorELNS0_4arch9wavefront6targetE1EEEvT1_
		.amdhsa_group_segment_fixed_size 0
		.amdhsa_private_segment_fixed_size 0
		.amdhsa_kernarg_size 152
		.amdhsa_user_sgpr_count 6
		.amdhsa_user_sgpr_private_segment_buffer 1
		.amdhsa_user_sgpr_dispatch_ptr 0
		.amdhsa_user_sgpr_queue_ptr 0
		.amdhsa_user_sgpr_kernarg_segment_ptr 1
		.amdhsa_user_sgpr_dispatch_id 0
		.amdhsa_user_sgpr_flat_scratch_init 0
		.amdhsa_user_sgpr_kernarg_preload_length 0
		.amdhsa_user_sgpr_kernarg_preload_offset 0
		.amdhsa_user_sgpr_private_segment_size 0
		.amdhsa_uses_dynamic_stack 0
		.amdhsa_system_sgpr_private_segment_wavefront_offset 0
		.amdhsa_system_sgpr_workgroup_id_x 1
		.amdhsa_system_sgpr_workgroup_id_y 0
		.amdhsa_system_sgpr_workgroup_id_z 0
		.amdhsa_system_sgpr_workgroup_info 0
		.amdhsa_system_vgpr_workitem_id 0
		.amdhsa_next_free_vgpr 1
		.amdhsa_next_free_sgpr 0
		.amdhsa_accum_offset 4
		.amdhsa_reserve_vcc 0
		.amdhsa_reserve_flat_scratch 0
		.amdhsa_float_round_mode_32 0
		.amdhsa_float_round_mode_16_64 0
		.amdhsa_float_denorm_mode_32 3
		.amdhsa_float_denorm_mode_16_64 3
		.amdhsa_dx10_clamp 1
		.amdhsa_ieee_mode 1
		.amdhsa_fp16_overflow 0
		.amdhsa_tg_split 0
		.amdhsa_exception_fp_ieee_invalid_op 0
		.amdhsa_exception_fp_denorm_src 0
		.amdhsa_exception_fp_ieee_div_zero 0
		.amdhsa_exception_fp_ieee_overflow 0
		.amdhsa_exception_fp_ieee_underflow 0
		.amdhsa_exception_fp_ieee_inexact 0
		.amdhsa_exception_int_div_zero 0
	.end_amdhsa_kernel
	.section	.text._ZN7rocprim17ROCPRIM_400000_NS6detail17trampoline_kernelINS0_14default_configENS1_25partition_config_selectorILNS1_17partition_subalgoE1EjNS0_10empty_typeEbEEZZNS1_14partition_implILS5_1ELb0ES3_jN6thrust23THRUST_200600_302600_NS6detail15normal_iteratorINSA_10device_ptrIjEEEEPS6_NSA_18transform_iteratorI7is_evenIjESF_NSA_11use_defaultESK_EENS0_5tupleIJNSA_16discard_iteratorISK_EESF_EEENSM_IJSG_SG_EEES6_PlJS6_EEE10hipError_tPvRmT3_T4_T5_T6_T7_T9_mT8_P12ihipStream_tbDpT10_ENKUlT_T0_E_clISt17integral_constantIbLb0EES1A_IbLb1EEEEDaS16_S17_EUlS16_E_NS1_11comp_targetILNS1_3genE2ELNS1_11target_archE906ELNS1_3gpuE6ELNS1_3repE0EEENS1_30default_config_static_selectorELNS0_4arch9wavefront6targetE1EEEvT1_,"axG",@progbits,_ZN7rocprim17ROCPRIM_400000_NS6detail17trampoline_kernelINS0_14default_configENS1_25partition_config_selectorILNS1_17partition_subalgoE1EjNS0_10empty_typeEbEEZZNS1_14partition_implILS5_1ELb0ES3_jN6thrust23THRUST_200600_302600_NS6detail15normal_iteratorINSA_10device_ptrIjEEEEPS6_NSA_18transform_iteratorI7is_evenIjESF_NSA_11use_defaultESK_EENS0_5tupleIJNSA_16discard_iteratorISK_EESF_EEENSM_IJSG_SG_EEES6_PlJS6_EEE10hipError_tPvRmT3_T4_T5_T6_T7_T9_mT8_P12ihipStream_tbDpT10_ENKUlT_T0_E_clISt17integral_constantIbLb0EES1A_IbLb1EEEEDaS16_S17_EUlS16_E_NS1_11comp_targetILNS1_3genE2ELNS1_11target_archE906ELNS1_3gpuE6ELNS1_3repE0EEENS1_30default_config_static_selectorELNS0_4arch9wavefront6targetE1EEEvT1_,comdat
.Lfunc_end3063:
	.size	_ZN7rocprim17ROCPRIM_400000_NS6detail17trampoline_kernelINS0_14default_configENS1_25partition_config_selectorILNS1_17partition_subalgoE1EjNS0_10empty_typeEbEEZZNS1_14partition_implILS5_1ELb0ES3_jN6thrust23THRUST_200600_302600_NS6detail15normal_iteratorINSA_10device_ptrIjEEEEPS6_NSA_18transform_iteratorI7is_evenIjESF_NSA_11use_defaultESK_EENS0_5tupleIJNSA_16discard_iteratorISK_EESF_EEENSM_IJSG_SG_EEES6_PlJS6_EEE10hipError_tPvRmT3_T4_T5_T6_T7_T9_mT8_P12ihipStream_tbDpT10_ENKUlT_T0_E_clISt17integral_constantIbLb0EES1A_IbLb1EEEEDaS16_S17_EUlS16_E_NS1_11comp_targetILNS1_3genE2ELNS1_11target_archE906ELNS1_3gpuE6ELNS1_3repE0EEENS1_30default_config_static_selectorELNS0_4arch9wavefront6targetE1EEEvT1_, .Lfunc_end3063-_ZN7rocprim17ROCPRIM_400000_NS6detail17trampoline_kernelINS0_14default_configENS1_25partition_config_selectorILNS1_17partition_subalgoE1EjNS0_10empty_typeEbEEZZNS1_14partition_implILS5_1ELb0ES3_jN6thrust23THRUST_200600_302600_NS6detail15normal_iteratorINSA_10device_ptrIjEEEEPS6_NSA_18transform_iteratorI7is_evenIjESF_NSA_11use_defaultESK_EENS0_5tupleIJNSA_16discard_iteratorISK_EESF_EEENSM_IJSG_SG_EEES6_PlJS6_EEE10hipError_tPvRmT3_T4_T5_T6_T7_T9_mT8_P12ihipStream_tbDpT10_ENKUlT_T0_E_clISt17integral_constantIbLb0EES1A_IbLb1EEEEDaS16_S17_EUlS16_E_NS1_11comp_targetILNS1_3genE2ELNS1_11target_archE906ELNS1_3gpuE6ELNS1_3repE0EEENS1_30default_config_static_selectorELNS0_4arch9wavefront6targetE1EEEvT1_
                                        ; -- End function
	.section	.AMDGPU.csdata,"",@progbits
; Kernel info:
; codeLenInByte = 0
; NumSgprs: 4
; NumVgprs: 0
; NumAgprs: 0
; TotalNumVgprs: 0
; ScratchSize: 0
; MemoryBound: 0
; FloatMode: 240
; IeeeMode: 1
; LDSByteSize: 0 bytes/workgroup (compile time only)
; SGPRBlocks: 0
; VGPRBlocks: 0
; NumSGPRsForWavesPerEU: 4
; NumVGPRsForWavesPerEU: 1
; AccumOffset: 4
; Occupancy: 8
; WaveLimiterHint : 0
; COMPUTE_PGM_RSRC2:SCRATCH_EN: 0
; COMPUTE_PGM_RSRC2:USER_SGPR: 6
; COMPUTE_PGM_RSRC2:TRAP_HANDLER: 0
; COMPUTE_PGM_RSRC2:TGID_X_EN: 1
; COMPUTE_PGM_RSRC2:TGID_Y_EN: 0
; COMPUTE_PGM_RSRC2:TGID_Z_EN: 0
; COMPUTE_PGM_RSRC2:TIDIG_COMP_CNT: 0
; COMPUTE_PGM_RSRC3_GFX90A:ACCUM_OFFSET: 0
; COMPUTE_PGM_RSRC3_GFX90A:TG_SPLIT: 0
	.section	.text._ZN7rocprim17ROCPRIM_400000_NS6detail17trampoline_kernelINS0_14default_configENS1_25partition_config_selectorILNS1_17partition_subalgoE1EjNS0_10empty_typeEbEEZZNS1_14partition_implILS5_1ELb0ES3_jN6thrust23THRUST_200600_302600_NS6detail15normal_iteratorINSA_10device_ptrIjEEEEPS6_NSA_18transform_iteratorI7is_evenIjESF_NSA_11use_defaultESK_EENS0_5tupleIJNSA_16discard_iteratorISK_EESF_EEENSM_IJSG_SG_EEES6_PlJS6_EEE10hipError_tPvRmT3_T4_T5_T6_T7_T9_mT8_P12ihipStream_tbDpT10_ENKUlT_T0_E_clISt17integral_constantIbLb0EES1A_IbLb1EEEEDaS16_S17_EUlS16_E_NS1_11comp_targetILNS1_3genE10ELNS1_11target_archE1200ELNS1_3gpuE4ELNS1_3repE0EEENS1_30default_config_static_selectorELNS0_4arch9wavefront6targetE1EEEvT1_,"axG",@progbits,_ZN7rocprim17ROCPRIM_400000_NS6detail17trampoline_kernelINS0_14default_configENS1_25partition_config_selectorILNS1_17partition_subalgoE1EjNS0_10empty_typeEbEEZZNS1_14partition_implILS5_1ELb0ES3_jN6thrust23THRUST_200600_302600_NS6detail15normal_iteratorINSA_10device_ptrIjEEEEPS6_NSA_18transform_iteratorI7is_evenIjESF_NSA_11use_defaultESK_EENS0_5tupleIJNSA_16discard_iteratorISK_EESF_EEENSM_IJSG_SG_EEES6_PlJS6_EEE10hipError_tPvRmT3_T4_T5_T6_T7_T9_mT8_P12ihipStream_tbDpT10_ENKUlT_T0_E_clISt17integral_constantIbLb0EES1A_IbLb1EEEEDaS16_S17_EUlS16_E_NS1_11comp_targetILNS1_3genE10ELNS1_11target_archE1200ELNS1_3gpuE4ELNS1_3repE0EEENS1_30default_config_static_selectorELNS0_4arch9wavefront6targetE1EEEvT1_,comdat
	.protected	_ZN7rocprim17ROCPRIM_400000_NS6detail17trampoline_kernelINS0_14default_configENS1_25partition_config_selectorILNS1_17partition_subalgoE1EjNS0_10empty_typeEbEEZZNS1_14partition_implILS5_1ELb0ES3_jN6thrust23THRUST_200600_302600_NS6detail15normal_iteratorINSA_10device_ptrIjEEEEPS6_NSA_18transform_iteratorI7is_evenIjESF_NSA_11use_defaultESK_EENS0_5tupleIJNSA_16discard_iteratorISK_EESF_EEENSM_IJSG_SG_EEES6_PlJS6_EEE10hipError_tPvRmT3_T4_T5_T6_T7_T9_mT8_P12ihipStream_tbDpT10_ENKUlT_T0_E_clISt17integral_constantIbLb0EES1A_IbLb1EEEEDaS16_S17_EUlS16_E_NS1_11comp_targetILNS1_3genE10ELNS1_11target_archE1200ELNS1_3gpuE4ELNS1_3repE0EEENS1_30default_config_static_selectorELNS0_4arch9wavefront6targetE1EEEvT1_ ; -- Begin function _ZN7rocprim17ROCPRIM_400000_NS6detail17trampoline_kernelINS0_14default_configENS1_25partition_config_selectorILNS1_17partition_subalgoE1EjNS0_10empty_typeEbEEZZNS1_14partition_implILS5_1ELb0ES3_jN6thrust23THRUST_200600_302600_NS6detail15normal_iteratorINSA_10device_ptrIjEEEEPS6_NSA_18transform_iteratorI7is_evenIjESF_NSA_11use_defaultESK_EENS0_5tupleIJNSA_16discard_iteratorISK_EESF_EEENSM_IJSG_SG_EEES6_PlJS6_EEE10hipError_tPvRmT3_T4_T5_T6_T7_T9_mT8_P12ihipStream_tbDpT10_ENKUlT_T0_E_clISt17integral_constantIbLb0EES1A_IbLb1EEEEDaS16_S17_EUlS16_E_NS1_11comp_targetILNS1_3genE10ELNS1_11target_archE1200ELNS1_3gpuE4ELNS1_3repE0EEENS1_30default_config_static_selectorELNS0_4arch9wavefront6targetE1EEEvT1_
	.globl	_ZN7rocprim17ROCPRIM_400000_NS6detail17trampoline_kernelINS0_14default_configENS1_25partition_config_selectorILNS1_17partition_subalgoE1EjNS0_10empty_typeEbEEZZNS1_14partition_implILS5_1ELb0ES3_jN6thrust23THRUST_200600_302600_NS6detail15normal_iteratorINSA_10device_ptrIjEEEEPS6_NSA_18transform_iteratorI7is_evenIjESF_NSA_11use_defaultESK_EENS0_5tupleIJNSA_16discard_iteratorISK_EESF_EEENSM_IJSG_SG_EEES6_PlJS6_EEE10hipError_tPvRmT3_T4_T5_T6_T7_T9_mT8_P12ihipStream_tbDpT10_ENKUlT_T0_E_clISt17integral_constantIbLb0EES1A_IbLb1EEEEDaS16_S17_EUlS16_E_NS1_11comp_targetILNS1_3genE10ELNS1_11target_archE1200ELNS1_3gpuE4ELNS1_3repE0EEENS1_30default_config_static_selectorELNS0_4arch9wavefront6targetE1EEEvT1_
	.p2align	8
	.type	_ZN7rocprim17ROCPRIM_400000_NS6detail17trampoline_kernelINS0_14default_configENS1_25partition_config_selectorILNS1_17partition_subalgoE1EjNS0_10empty_typeEbEEZZNS1_14partition_implILS5_1ELb0ES3_jN6thrust23THRUST_200600_302600_NS6detail15normal_iteratorINSA_10device_ptrIjEEEEPS6_NSA_18transform_iteratorI7is_evenIjESF_NSA_11use_defaultESK_EENS0_5tupleIJNSA_16discard_iteratorISK_EESF_EEENSM_IJSG_SG_EEES6_PlJS6_EEE10hipError_tPvRmT3_T4_T5_T6_T7_T9_mT8_P12ihipStream_tbDpT10_ENKUlT_T0_E_clISt17integral_constantIbLb0EES1A_IbLb1EEEEDaS16_S17_EUlS16_E_NS1_11comp_targetILNS1_3genE10ELNS1_11target_archE1200ELNS1_3gpuE4ELNS1_3repE0EEENS1_30default_config_static_selectorELNS0_4arch9wavefront6targetE1EEEvT1_,@function
_ZN7rocprim17ROCPRIM_400000_NS6detail17trampoline_kernelINS0_14default_configENS1_25partition_config_selectorILNS1_17partition_subalgoE1EjNS0_10empty_typeEbEEZZNS1_14partition_implILS5_1ELb0ES3_jN6thrust23THRUST_200600_302600_NS6detail15normal_iteratorINSA_10device_ptrIjEEEEPS6_NSA_18transform_iteratorI7is_evenIjESF_NSA_11use_defaultESK_EENS0_5tupleIJNSA_16discard_iteratorISK_EESF_EEENSM_IJSG_SG_EEES6_PlJS6_EEE10hipError_tPvRmT3_T4_T5_T6_T7_T9_mT8_P12ihipStream_tbDpT10_ENKUlT_T0_E_clISt17integral_constantIbLb0EES1A_IbLb1EEEEDaS16_S17_EUlS16_E_NS1_11comp_targetILNS1_3genE10ELNS1_11target_archE1200ELNS1_3gpuE4ELNS1_3repE0EEENS1_30default_config_static_selectorELNS0_4arch9wavefront6targetE1EEEvT1_: ; @_ZN7rocprim17ROCPRIM_400000_NS6detail17trampoline_kernelINS0_14default_configENS1_25partition_config_selectorILNS1_17partition_subalgoE1EjNS0_10empty_typeEbEEZZNS1_14partition_implILS5_1ELb0ES3_jN6thrust23THRUST_200600_302600_NS6detail15normal_iteratorINSA_10device_ptrIjEEEEPS6_NSA_18transform_iteratorI7is_evenIjESF_NSA_11use_defaultESK_EENS0_5tupleIJNSA_16discard_iteratorISK_EESF_EEENSM_IJSG_SG_EEES6_PlJS6_EEE10hipError_tPvRmT3_T4_T5_T6_T7_T9_mT8_P12ihipStream_tbDpT10_ENKUlT_T0_E_clISt17integral_constantIbLb0EES1A_IbLb1EEEEDaS16_S17_EUlS16_E_NS1_11comp_targetILNS1_3genE10ELNS1_11target_archE1200ELNS1_3gpuE4ELNS1_3repE0EEENS1_30default_config_static_selectorELNS0_4arch9wavefront6targetE1EEEvT1_
; %bb.0:
	.section	.rodata,"a",@progbits
	.p2align	6, 0x0
	.amdhsa_kernel _ZN7rocprim17ROCPRIM_400000_NS6detail17trampoline_kernelINS0_14default_configENS1_25partition_config_selectorILNS1_17partition_subalgoE1EjNS0_10empty_typeEbEEZZNS1_14partition_implILS5_1ELb0ES3_jN6thrust23THRUST_200600_302600_NS6detail15normal_iteratorINSA_10device_ptrIjEEEEPS6_NSA_18transform_iteratorI7is_evenIjESF_NSA_11use_defaultESK_EENS0_5tupleIJNSA_16discard_iteratorISK_EESF_EEENSM_IJSG_SG_EEES6_PlJS6_EEE10hipError_tPvRmT3_T4_T5_T6_T7_T9_mT8_P12ihipStream_tbDpT10_ENKUlT_T0_E_clISt17integral_constantIbLb0EES1A_IbLb1EEEEDaS16_S17_EUlS16_E_NS1_11comp_targetILNS1_3genE10ELNS1_11target_archE1200ELNS1_3gpuE4ELNS1_3repE0EEENS1_30default_config_static_selectorELNS0_4arch9wavefront6targetE1EEEvT1_
		.amdhsa_group_segment_fixed_size 0
		.amdhsa_private_segment_fixed_size 0
		.amdhsa_kernarg_size 152
		.amdhsa_user_sgpr_count 6
		.amdhsa_user_sgpr_private_segment_buffer 1
		.amdhsa_user_sgpr_dispatch_ptr 0
		.amdhsa_user_sgpr_queue_ptr 0
		.amdhsa_user_sgpr_kernarg_segment_ptr 1
		.amdhsa_user_sgpr_dispatch_id 0
		.amdhsa_user_sgpr_flat_scratch_init 0
		.amdhsa_user_sgpr_kernarg_preload_length 0
		.amdhsa_user_sgpr_kernarg_preload_offset 0
		.amdhsa_user_sgpr_private_segment_size 0
		.amdhsa_uses_dynamic_stack 0
		.amdhsa_system_sgpr_private_segment_wavefront_offset 0
		.amdhsa_system_sgpr_workgroup_id_x 1
		.amdhsa_system_sgpr_workgroup_id_y 0
		.amdhsa_system_sgpr_workgroup_id_z 0
		.amdhsa_system_sgpr_workgroup_info 0
		.amdhsa_system_vgpr_workitem_id 0
		.amdhsa_next_free_vgpr 1
		.amdhsa_next_free_sgpr 0
		.amdhsa_accum_offset 4
		.amdhsa_reserve_vcc 0
		.amdhsa_reserve_flat_scratch 0
		.amdhsa_float_round_mode_32 0
		.amdhsa_float_round_mode_16_64 0
		.amdhsa_float_denorm_mode_32 3
		.amdhsa_float_denorm_mode_16_64 3
		.amdhsa_dx10_clamp 1
		.amdhsa_ieee_mode 1
		.amdhsa_fp16_overflow 0
		.amdhsa_tg_split 0
		.amdhsa_exception_fp_ieee_invalid_op 0
		.amdhsa_exception_fp_denorm_src 0
		.amdhsa_exception_fp_ieee_div_zero 0
		.amdhsa_exception_fp_ieee_overflow 0
		.amdhsa_exception_fp_ieee_underflow 0
		.amdhsa_exception_fp_ieee_inexact 0
		.amdhsa_exception_int_div_zero 0
	.end_amdhsa_kernel
	.section	.text._ZN7rocprim17ROCPRIM_400000_NS6detail17trampoline_kernelINS0_14default_configENS1_25partition_config_selectorILNS1_17partition_subalgoE1EjNS0_10empty_typeEbEEZZNS1_14partition_implILS5_1ELb0ES3_jN6thrust23THRUST_200600_302600_NS6detail15normal_iteratorINSA_10device_ptrIjEEEEPS6_NSA_18transform_iteratorI7is_evenIjESF_NSA_11use_defaultESK_EENS0_5tupleIJNSA_16discard_iteratorISK_EESF_EEENSM_IJSG_SG_EEES6_PlJS6_EEE10hipError_tPvRmT3_T4_T5_T6_T7_T9_mT8_P12ihipStream_tbDpT10_ENKUlT_T0_E_clISt17integral_constantIbLb0EES1A_IbLb1EEEEDaS16_S17_EUlS16_E_NS1_11comp_targetILNS1_3genE10ELNS1_11target_archE1200ELNS1_3gpuE4ELNS1_3repE0EEENS1_30default_config_static_selectorELNS0_4arch9wavefront6targetE1EEEvT1_,"axG",@progbits,_ZN7rocprim17ROCPRIM_400000_NS6detail17trampoline_kernelINS0_14default_configENS1_25partition_config_selectorILNS1_17partition_subalgoE1EjNS0_10empty_typeEbEEZZNS1_14partition_implILS5_1ELb0ES3_jN6thrust23THRUST_200600_302600_NS6detail15normal_iteratorINSA_10device_ptrIjEEEEPS6_NSA_18transform_iteratorI7is_evenIjESF_NSA_11use_defaultESK_EENS0_5tupleIJNSA_16discard_iteratorISK_EESF_EEENSM_IJSG_SG_EEES6_PlJS6_EEE10hipError_tPvRmT3_T4_T5_T6_T7_T9_mT8_P12ihipStream_tbDpT10_ENKUlT_T0_E_clISt17integral_constantIbLb0EES1A_IbLb1EEEEDaS16_S17_EUlS16_E_NS1_11comp_targetILNS1_3genE10ELNS1_11target_archE1200ELNS1_3gpuE4ELNS1_3repE0EEENS1_30default_config_static_selectorELNS0_4arch9wavefront6targetE1EEEvT1_,comdat
.Lfunc_end3064:
	.size	_ZN7rocprim17ROCPRIM_400000_NS6detail17trampoline_kernelINS0_14default_configENS1_25partition_config_selectorILNS1_17partition_subalgoE1EjNS0_10empty_typeEbEEZZNS1_14partition_implILS5_1ELb0ES3_jN6thrust23THRUST_200600_302600_NS6detail15normal_iteratorINSA_10device_ptrIjEEEEPS6_NSA_18transform_iteratorI7is_evenIjESF_NSA_11use_defaultESK_EENS0_5tupleIJNSA_16discard_iteratorISK_EESF_EEENSM_IJSG_SG_EEES6_PlJS6_EEE10hipError_tPvRmT3_T4_T5_T6_T7_T9_mT8_P12ihipStream_tbDpT10_ENKUlT_T0_E_clISt17integral_constantIbLb0EES1A_IbLb1EEEEDaS16_S17_EUlS16_E_NS1_11comp_targetILNS1_3genE10ELNS1_11target_archE1200ELNS1_3gpuE4ELNS1_3repE0EEENS1_30default_config_static_selectorELNS0_4arch9wavefront6targetE1EEEvT1_, .Lfunc_end3064-_ZN7rocprim17ROCPRIM_400000_NS6detail17trampoline_kernelINS0_14default_configENS1_25partition_config_selectorILNS1_17partition_subalgoE1EjNS0_10empty_typeEbEEZZNS1_14partition_implILS5_1ELb0ES3_jN6thrust23THRUST_200600_302600_NS6detail15normal_iteratorINSA_10device_ptrIjEEEEPS6_NSA_18transform_iteratorI7is_evenIjESF_NSA_11use_defaultESK_EENS0_5tupleIJNSA_16discard_iteratorISK_EESF_EEENSM_IJSG_SG_EEES6_PlJS6_EEE10hipError_tPvRmT3_T4_T5_T6_T7_T9_mT8_P12ihipStream_tbDpT10_ENKUlT_T0_E_clISt17integral_constantIbLb0EES1A_IbLb1EEEEDaS16_S17_EUlS16_E_NS1_11comp_targetILNS1_3genE10ELNS1_11target_archE1200ELNS1_3gpuE4ELNS1_3repE0EEENS1_30default_config_static_selectorELNS0_4arch9wavefront6targetE1EEEvT1_
                                        ; -- End function
	.section	.AMDGPU.csdata,"",@progbits
; Kernel info:
; codeLenInByte = 0
; NumSgprs: 4
; NumVgprs: 0
; NumAgprs: 0
; TotalNumVgprs: 0
; ScratchSize: 0
; MemoryBound: 0
; FloatMode: 240
; IeeeMode: 1
; LDSByteSize: 0 bytes/workgroup (compile time only)
; SGPRBlocks: 0
; VGPRBlocks: 0
; NumSGPRsForWavesPerEU: 4
; NumVGPRsForWavesPerEU: 1
; AccumOffset: 4
; Occupancy: 8
; WaveLimiterHint : 0
; COMPUTE_PGM_RSRC2:SCRATCH_EN: 0
; COMPUTE_PGM_RSRC2:USER_SGPR: 6
; COMPUTE_PGM_RSRC2:TRAP_HANDLER: 0
; COMPUTE_PGM_RSRC2:TGID_X_EN: 1
; COMPUTE_PGM_RSRC2:TGID_Y_EN: 0
; COMPUTE_PGM_RSRC2:TGID_Z_EN: 0
; COMPUTE_PGM_RSRC2:TIDIG_COMP_CNT: 0
; COMPUTE_PGM_RSRC3_GFX90A:ACCUM_OFFSET: 0
; COMPUTE_PGM_RSRC3_GFX90A:TG_SPLIT: 0
	.section	.text._ZN7rocprim17ROCPRIM_400000_NS6detail17trampoline_kernelINS0_14default_configENS1_25partition_config_selectorILNS1_17partition_subalgoE1EjNS0_10empty_typeEbEEZZNS1_14partition_implILS5_1ELb0ES3_jN6thrust23THRUST_200600_302600_NS6detail15normal_iteratorINSA_10device_ptrIjEEEEPS6_NSA_18transform_iteratorI7is_evenIjESF_NSA_11use_defaultESK_EENS0_5tupleIJNSA_16discard_iteratorISK_EESF_EEENSM_IJSG_SG_EEES6_PlJS6_EEE10hipError_tPvRmT3_T4_T5_T6_T7_T9_mT8_P12ihipStream_tbDpT10_ENKUlT_T0_E_clISt17integral_constantIbLb0EES1A_IbLb1EEEEDaS16_S17_EUlS16_E_NS1_11comp_targetILNS1_3genE9ELNS1_11target_archE1100ELNS1_3gpuE3ELNS1_3repE0EEENS1_30default_config_static_selectorELNS0_4arch9wavefront6targetE1EEEvT1_,"axG",@progbits,_ZN7rocprim17ROCPRIM_400000_NS6detail17trampoline_kernelINS0_14default_configENS1_25partition_config_selectorILNS1_17partition_subalgoE1EjNS0_10empty_typeEbEEZZNS1_14partition_implILS5_1ELb0ES3_jN6thrust23THRUST_200600_302600_NS6detail15normal_iteratorINSA_10device_ptrIjEEEEPS6_NSA_18transform_iteratorI7is_evenIjESF_NSA_11use_defaultESK_EENS0_5tupleIJNSA_16discard_iteratorISK_EESF_EEENSM_IJSG_SG_EEES6_PlJS6_EEE10hipError_tPvRmT3_T4_T5_T6_T7_T9_mT8_P12ihipStream_tbDpT10_ENKUlT_T0_E_clISt17integral_constantIbLb0EES1A_IbLb1EEEEDaS16_S17_EUlS16_E_NS1_11comp_targetILNS1_3genE9ELNS1_11target_archE1100ELNS1_3gpuE3ELNS1_3repE0EEENS1_30default_config_static_selectorELNS0_4arch9wavefront6targetE1EEEvT1_,comdat
	.protected	_ZN7rocprim17ROCPRIM_400000_NS6detail17trampoline_kernelINS0_14default_configENS1_25partition_config_selectorILNS1_17partition_subalgoE1EjNS0_10empty_typeEbEEZZNS1_14partition_implILS5_1ELb0ES3_jN6thrust23THRUST_200600_302600_NS6detail15normal_iteratorINSA_10device_ptrIjEEEEPS6_NSA_18transform_iteratorI7is_evenIjESF_NSA_11use_defaultESK_EENS0_5tupleIJNSA_16discard_iteratorISK_EESF_EEENSM_IJSG_SG_EEES6_PlJS6_EEE10hipError_tPvRmT3_T4_T5_T6_T7_T9_mT8_P12ihipStream_tbDpT10_ENKUlT_T0_E_clISt17integral_constantIbLb0EES1A_IbLb1EEEEDaS16_S17_EUlS16_E_NS1_11comp_targetILNS1_3genE9ELNS1_11target_archE1100ELNS1_3gpuE3ELNS1_3repE0EEENS1_30default_config_static_selectorELNS0_4arch9wavefront6targetE1EEEvT1_ ; -- Begin function _ZN7rocprim17ROCPRIM_400000_NS6detail17trampoline_kernelINS0_14default_configENS1_25partition_config_selectorILNS1_17partition_subalgoE1EjNS0_10empty_typeEbEEZZNS1_14partition_implILS5_1ELb0ES3_jN6thrust23THRUST_200600_302600_NS6detail15normal_iteratorINSA_10device_ptrIjEEEEPS6_NSA_18transform_iteratorI7is_evenIjESF_NSA_11use_defaultESK_EENS0_5tupleIJNSA_16discard_iteratorISK_EESF_EEENSM_IJSG_SG_EEES6_PlJS6_EEE10hipError_tPvRmT3_T4_T5_T6_T7_T9_mT8_P12ihipStream_tbDpT10_ENKUlT_T0_E_clISt17integral_constantIbLb0EES1A_IbLb1EEEEDaS16_S17_EUlS16_E_NS1_11comp_targetILNS1_3genE9ELNS1_11target_archE1100ELNS1_3gpuE3ELNS1_3repE0EEENS1_30default_config_static_selectorELNS0_4arch9wavefront6targetE1EEEvT1_
	.globl	_ZN7rocprim17ROCPRIM_400000_NS6detail17trampoline_kernelINS0_14default_configENS1_25partition_config_selectorILNS1_17partition_subalgoE1EjNS0_10empty_typeEbEEZZNS1_14partition_implILS5_1ELb0ES3_jN6thrust23THRUST_200600_302600_NS6detail15normal_iteratorINSA_10device_ptrIjEEEEPS6_NSA_18transform_iteratorI7is_evenIjESF_NSA_11use_defaultESK_EENS0_5tupleIJNSA_16discard_iteratorISK_EESF_EEENSM_IJSG_SG_EEES6_PlJS6_EEE10hipError_tPvRmT3_T4_T5_T6_T7_T9_mT8_P12ihipStream_tbDpT10_ENKUlT_T0_E_clISt17integral_constantIbLb0EES1A_IbLb1EEEEDaS16_S17_EUlS16_E_NS1_11comp_targetILNS1_3genE9ELNS1_11target_archE1100ELNS1_3gpuE3ELNS1_3repE0EEENS1_30default_config_static_selectorELNS0_4arch9wavefront6targetE1EEEvT1_
	.p2align	8
	.type	_ZN7rocprim17ROCPRIM_400000_NS6detail17trampoline_kernelINS0_14default_configENS1_25partition_config_selectorILNS1_17partition_subalgoE1EjNS0_10empty_typeEbEEZZNS1_14partition_implILS5_1ELb0ES3_jN6thrust23THRUST_200600_302600_NS6detail15normal_iteratorINSA_10device_ptrIjEEEEPS6_NSA_18transform_iteratorI7is_evenIjESF_NSA_11use_defaultESK_EENS0_5tupleIJNSA_16discard_iteratorISK_EESF_EEENSM_IJSG_SG_EEES6_PlJS6_EEE10hipError_tPvRmT3_T4_T5_T6_T7_T9_mT8_P12ihipStream_tbDpT10_ENKUlT_T0_E_clISt17integral_constantIbLb0EES1A_IbLb1EEEEDaS16_S17_EUlS16_E_NS1_11comp_targetILNS1_3genE9ELNS1_11target_archE1100ELNS1_3gpuE3ELNS1_3repE0EEENS1_30default_config_static_selectorELNS0_4arch9wavefront6targetE1EEEvT1_,@function
_ZN7rocprim17ROCPRIM_400000_NS6detail17trampoline_kernelINS0_14default_configENS1_25partition_config_selectorILNS1_17partition_subalgoE1EjNS0_10empty_typeEbEEZZNS1_14partition_implILS5_1ELb0ES3_jN6thrust23THRUST_200600_302600_NS6detail15normal_iteratorINSA_10device_ptrIjEEEEPS6_NSA_18transform_iteratorI7is_evenIjESF_NSA_11use_defaultESK_EENS0_5tupleIJNSA_16discard_iteratorISK_EESF_EEENSM_IJSG_SG_EEES6_PlJS6_EEE10hipError_tPvRmT3_T4_T5_T6_T7_T9_mT8_P12ihipStream_tbDpT10_ENKUlT_T0_E_clISt17integral_constantIbLb0EES1A_IbLb1EEEEDaS16_S17_EUlS16_E_NS1_11comp_targetILNS1_3genE9ELNS1_11target_archE1100ELNS1_3gpuE3ELNS1_3repE0EEENS1_30default_config_static_selectorELNS0_4arch9wavefront6targetE1EEEvT1_: ; @_ZN7rocprim17ROCPRIM_400000_NS6detail17trampoline_kernelINS0_14default_configENS1_25partition_config_selectorILNS1_17partition_subalgoE1EjNS0_10empty_typeEbEEZZNS1_14partition_implILS5_1ELb0ES3_jN6thrust23THRUST_200600_302600_NS6detail15normal_iteratorINSA_10device_ptrIjEEEEPS6_NSA_18transform_iteratorI7is_evenIjESF_NSA_11use_defaultESK_EENS0_5tupleIJNSA_16discard_iteratorISK_EESF_EEENSM_IJSG_SG_EEES6_PlJS6_EEE10hipError_tPvRmT3_T4_T5_T6_T7_T9_mT8_P12ihipStream_tbDpT10_ENKUlT_T0_E_clISt17integral_constantIbLb0EES1A_IbLb1EEEEDaS16_S17_EUlS16_E_NS1_11comp_targetILNS1_3genE9ELNS1_11target_archE1100ELNS1_3gpuE3ELNS1_3repE0EEENS1_30default_config_static_selectorELNS0_4arch9wavefront6targetE1EEEvT1_
; %bb.0:
	.section	.rodata,"a",@progbits
	.p2align	6, 0x0
	.amdhsa_kernel _ZN7rocprim17ROCPRIM_400000_NS6detail17trampoline_kernelINS0_14default_configENS1_25partition_config_selectorILNS1_17partition_subalgoE1EjNS0_10empty_typeEbEEZZNS1_14partition_implILS5_1ELb0ES3_jN6thrust23THRUST_200600_302600_NS6detail15normal_iteratorINSA_10device_ptrIjEEEEPS6_NSA_18transform_iteratorI7is_evenIjESF_NSA_11use_defaultESK_EENS0_5tupleIJNSA_16discard_iteratorISK_EESF_EEENSM_IJSG_SG_EEES6_PlJS6_EEE10hipError_tPvRmT3_T4_T5_T6_T7_T9_mT8_P12ihipStream_tbDpT10_ENKUlT_T0_E_clISt17integral_constantIbLb0EES1A_IbLb1EEEEDaS16_S17_EUlS16_E_NS1_11comp_targetILNS1_3genE9ELNS1_11target_archE1100ELNS1_3gpuE3ELNS1_3repE0EEENS1_30default_config_static_selectorELNS0_4arch9wavefront6targetE1EEEvT1_
		.amdhsa_group_segment_fixed_size 0
		.amdhsa_private_segment_fixed_size 0
		.amdhsa_kernarg_size 152
		.amdhsa_user_sgpr_count 6
		.amdhsa_user_sgpr_private_segment_buffer 1
		.amdhsa_user_sgpr_dispatch_ptr 0
		.amdhsa_user_sgpr_queue_ptr 0
		.amdhsa_user_sgpr_kernarg_segment_ptr 1
		.amdhsa_user_sgpr_dispatch_id 0
		.amdhsa_user_sgpr_flat_scratch_init 0
		.amdhsa_user_sgpr_kernarg_preload_length 0
		.amdhsa_user_sgpr_kernarg_preload_offset 0
		.amdhsa_user_sgpr_private_segment_size 0
		.amdhsa_uses_dynamic_stack 0
		.amdhsa_system_sgpr_private_segment_wavefront_offset 0
		.amdhsa_system_sgpr_workgroup_id_x 1
		.amdhsa_system_sgpr_workgroup_id_y 0
		.amdhsa_system_sgpr_workgroup_id_z 0
		.amdhsa_system_sgpr_workgroup_info 0
		.amdhsa_system_vgpr_workitem_id 0
		.amdhsa_next_free_vgpr 1
		.amdhsa_next_free_sgpr 0
		.amdhsa_accum_offset 4
		.amdhsa_reserve_vcc 0
		.amdhsa_reserve_flat_scratch 0
		.amdhsa_float_round_mode_32 0
		.amdhsa_float_round_mode_16_64 0
		.amdhsa_float_denorm_mode_32 3
		.amdhsa_float_denorm_mode_16_64 3
		.amdhsa_dx10_clamp 1
		.amdhsa_ieee_mode 1
		.amdhsa_fp16_overflow 0
		.amdhsa_tg_split 0
		.amdhsa_exception_fp_ieee_invalid_op 0
		.amdhsa_exception_fp_denorm_src 0
		.amdhsa_exception_fp_ieee_div_zero 0
		.amdhsa_exception_fp_ieee_overflow 0
		.amdhsa_exception_fp_ieee_underflow 0
		.amdhsa_exception_fp_ieee_inexact 0
		.amdhsa_exception_int_div_zero 0
	.end_amdhsa_kernel
	.section	.text._ZN7rocprim17ROCPRIM_400000_NS6detail17trampoline_kernelINS0_14default_configENS1_25partition_config_selectorILNS1_17partition_subalgoE1EjNS0_10empty_typeEbEEZZNS1_14partition_implILS5_1ELb0ES3_jN6thrust23THRUST_200600_302600_NS6detail15normal_iteratorINSA_10device_ptrIjEEEEPS6_NSA_18transform_iteratorI7is_evenIjESF_NSA_11use_defaultESK_EENS0_5tupleIJNSA_16discard_iteratorISK_EESF_EEENSM_IJSG_SG_EEES6_PlJS6_EEE10hipError_tPvRmT3_T4_T5_T6_T7_T9_mT8_P12ihipStream_tbDpT10_ENKUlT_T0_E_clISt17integral_constantIbLb0EES1A_IbLb1EEEEDaS16_S17_EUlS16_E_NS1_11comp_targetILNS1_3genE9ELNS1_11target_archE1100ELNS1_3gpuE3ELNS1_3repE0EEENS1_30default_config_static_selectorELNS0_4arch9wavefront6targetE1EEEvT1_,"axG",@progbits,_ZN7rocprim17ROCPRIM_400000_NS6detail17trampoline_kernelINS0_14default_configENS1_25partition_config_selectorILNS1_17partition_subalgoE1EjNS0_10empty_typeEbEEZZNS1_14partition_implILS5_1ELb0ES3_jN6thrust23THRUST_200600_302600_NS6detail15normal_iteratorINSA_10device_ptrIjEEEEPS6_NSA_18transform_iteratorI7is_evenIjESF_NSA_11use_defaultESK_EENS0_5tupleIJNSA_16discard_iteratorISK_EESF_EEENSM_IJSG_SG_EEES6_PlJS6_EEE10hipError_tPvRmT3_T4_T5_T6_T7_T9_mT8_P12ihipStream_tbDpT10_ENKUlT_T0_E_clISt17integral_constantIbLb0EES1A_IbLb1EEEEDaS16_S17_EUlS16_E_NS1_11comp_targetILNS1_3genE9ELNS1_11target_archE1100ELNS1_3gpuE3ELNS1_3repE0EEENS1_30default_config_static_selectorELNS0_4arch9wavefront6targetE1EEEvT1_,comdat
.Lfunc_end3065:
	.size	_ZN7rocprim17ROCPRIM_400000_NS6detail17trampoline_kernelINS0_14default_configENS1_25partition_config_selectorILNS1_17partition_subalgoE1EjNS0_10empty_typeEbEEZZNS1_14partition_implILS5_1ELb0ES3_jN6thrust23THRUST_200600_302600_NS6detail15normal_iteratorINSA_10device_ptrIjEEEEPS6_NSA_18transform_iteratorI7is_evenIjESF_NSA_11use_defaultESK_EENS0_5tupleIJNSA_16discard_iteratorISK_EESF_EEENSM_IJSG_SG_EEES6_PlJS6_EEE10hipError_tPvRmT3_T4_T5_T6_T7_T9_mT8_P12ihipStream_tbDpT10_ENKUlT_T0_E_clISt17integral_constantIbLb0EES1A_IbLb1EEEEDaS16_S17_EUlS16_E_NS1_11comp_targetILNS1_3genE9ELNS1_11target_archE1100ELNS1_3gpuE3ELNS1_3repE0EEENS1_30default_config_static_selectorELNS0_4arch9wavefront6targetE1EEEvT1_, .Lfunc_end3065-_ZN7rocprim17ROCPRIM_400000_NS6detail17trampoline_kernelINS0_14default_configENS1_25partition_config_selectorILNS1_17partition_subalgoE1EjNS0_10empty_typeEbEEZZNS1_14partition_implILS5_1ELb0ES3_jN6thrust23THRUST_200600_302600_NS6detail15normal_iteratorINSA_10device_ptrIjEEEEPS6_NSA_18transform_iteratorI7is_evenIjESF_NSA_11use_defaultESK_EENS0_5tupleIJNSA_16discard_iteratorISK_EESF_EEENSM_IJSG_SG_EEES6_PlJS6_EEE10hipError_tPvRmT3_T4_T5_T6_T7_T9_mT8_P12ihipStream_tbDpT10_ENKUlT_T0_E_clISt17integral_constantIbLb0EES1A_IbLb1EEEEDaS16_S17_EUlS16_E_NS1_11comp_targetILNS1_3genE9ELNS1_11target_archE1100ELNS1_3gpuE3ELNS1_3repE0EEENS1_30default_config_static_selectorELNS0_4arch9wavefront6targetE1EEEvT1_
                                        ; -- End function
	.section	.AMDGPU.csdata,"",@progbits
; Kernel info:
; codeLenInByte = 0
; NumSgprs: 4
; NumVgprs: 0
; NumAgprs: 0
; TotalNumVgprs: 0
; ScratchSize: 0
; MemoryBound: 0
; FloatMode: 240
; IeeeMode: 1
; LDSByteSize: 0 bytes/workgroup (compile time only)
; SGPRBlocks: 0
; VGPRBlocks: 0
; NumSGPRsForWavesPerEU: 4
; NumVGPRsForWavesPerEU: 1
; AccumOffset: 4
; Occupancy: 8
; WaveLimiterHint : 0
; COMPUTE_PGM_RSRC2:SCRATCH_EN: 0
; COMPUTE_PGM_RSRC2:USER_SGPR: 6
; COMPUTE_PGM_RSRC2:TRAP_HANDLER: 0
; COMPUTE_PGM_RSRC2:TGID_X_EN: 1
; COMPUTE_PGM_RSRC2:TGID_Y_EN: 0
; COMPUTE_PGM_RSRC2:TGID_Z_EN: 0
; COMPUTE_PGM_RSRC2:TIDIG_COMP_CNT: 0
; COMPUTE_PGM_RSRC3_GFX90A:ACCUM_OFFSET: 0
; COMPUTE_PGM_RSRC3_GFX90A:TG_SPLIT: 0
	.section	.text._ZN7rocprim17ROCPRIM_400000_NS6detail17trampoline_kernelINS0_14default_configENS1_25partition_config_selectorILNS1_17partition_subalgoE1EjNS0_10empty_typeEbEEZZNS1_14partition_implILS5_1ELb0ES3_jN6thrust23THRUST_200600_302600_NS6detail15normal_iteratorINSA_10device_ptrIjEEEEPS6_NSA_18transform_iteratorI7is_evenIjESF_NSA_11use_defaultESK_EENS0_5tupleIJNSA_16discard_iteratorISK_EESF_EEENSM_IJSG_SG_EEES6_PlJS6_EEE10hipError_tPvRmT3_T4_T5_T6_T7_T9_mT8_P12ihipStream_tbDpT10_ENKUlT_T0_E_clISt17integral_constantIbLb0EES1A_IbLb1EEEEDaS16_S17_EUlS16_E_NS1_11comp_targetILNS1_3genE8ELNS1_11target_archE1030ELNS1_3gpuE2ELNS1_3repE0EEENS1_30default_config_static_selectorELNS0_4arch9wavefront6targetE1EEEvT1_,"axG",@progbits,_ZN7rocprim17ROCPRIM_400000_NS6detail17trampoline_kernelINS0_14default_configENS1_25partition_config_selectorILNS1_17partition_subalgoE1EjNS0_10empty_typeEbEEZZNS1_14partition_implILS5_1ELb0ES3_jN6thrust23THRUST_200600_302600_NS6detail15normal_iteratorINSA_10device_ptrIjEEEEPS6_NSA_18transform_iteratorI7is_evenIjESF_NSA_11use_defaultESK_EENS0_5tupleIJNSA_16discard_iteratorISK_EESF_EEENSM_IJSG_SG_EEES6_PlJS6_EEE10hipError_tPvRmT3_T4_T5_T6_T7_T9_mT8_P12ihipStream_tbDpT10_ENKUlT_T0_E_clISt17integral_constantIbLb0EES1A_IbLb1EEEEDaS16_S17_EUlS16_E_NS1_11comp_targetILNS1_3genE8ELNS1_11target_archE1030ELNS1_3gpuE2ELNS1_3repE0EEENS1_30default_config_static_selectorELNS0_4arch9wavefront6targetE1EEEvT1_,comdat
	.protected	_ZN7rocprim17ROCPRIM_400000_NS6detail17trampoline_kernelINS0_14default_configENS1_25partition_config_selectorILNS1_17partition_subalgoE1EjNS0_10empty_typeEbEEZZNS1_14partition_implILS5_1ELb0ES3_jN6thrust23THRUST_200600_302600_NS6detail15normal_iteratorINSA_10device_ptrIjEEEEPS6_NSA_18transform_iteratorI7is_evenIjESF_NSA_11use_defaultESK_EENS0_5tupleIJNSA_16discard_iteratorISK_EESF_EEENSM_IJSG_SG_EEES6_PlJS6_EEE10hipError_tPvRmT3_T4_T5_T6_T7_T9_mT8_P12ihipStream_tbDpT10_ENKUlT_T0_E_clISt17integral_constantIbLb0EES1A_IbLb1EEEEDaS16_S17_EUlS16_E_NS1_11comp_targetILNS1_3genE8ELNS1_11target_archE1030ELNS1_3gpuE2ELNS1_3repE0EEENS1_30default_config_static_selectorELNS0_4arch9wavefront6targetE1EEEvT1_ ; -- Begin function _ZN7rocprim17ROCPRIM_400000_NS6detail17trampoline_kernelINS0_14default_configENS1_25partition_config_selectorILNS1_17partition_subalgoE1EjNS0_10empty_typeEbEEZZNS1_14partition_implILS5_1ELb0ES3_jN6thrust23THRUST_200600_302600_NS6detail15normal_iteratorINSA_10device_ptrIjEEEEPS6_NSA_18transform_iteratorI7is_evenIjESF_NSA_11use_defaultESK_EENS0_5tupleIJNSA_16discard_iteratorISK_EESF_EEENSM_IJSG_SG_EEES6_PlJS6_EEE10hipError_tPvRmT3_T4_T5_T6_T7_T9_mT8_P12ihipStream_tbDpT10_ENKUlT_T0_E_clISt17integral_constantIbLb0EES1A_IbLb1EEEEDaS16_S17_EUlS16_E_NS1_11comp_targetILNS1_3genE8ELNS1_11target_archE1030ELNS1_3gpuE2ELNS1_3repE0EEENS1_30default_config_static_selectorELNS0_4arch9wavefront6targetE1EEEvT1_
	.globl	_ZN7rocprim17ROCPRIM_400000_NS6detail17trampoline_kernelINS0_14default_configENS1_25partition_config_selectorILNS1_17partition_subalgoE1EjNS0_10empty_typeEbEEZZNS1_14partition_implILS5_1ELb0ES3_jN6thrust23THRUST_200600_302600_NS6detail15normal_iteratorINSA_10device_ptrIjEEEEPS6_NSA_18transform_iteratorI7is_evenIjESF_NSA_11use_defaultESK_EENS0_5tupleIJNSA_16discard_iteratorISK_EESF_EEENSM_IJSG_SG_EEES6_PlJS6_EEE10hipError_tPvRmT3_T4_T5_T6_T7_T9_mT8_P12ihipStream_tbDpT10_ENKUlT_T0_E_clISt17integral_constantIbLb0EES1A_IbLb1EEEEDaS16_S17_EUlS16_E_NS1_11comp_targetILNS1_3genE8ELNS1_11target_archE1030ELNS1_3gpuE2ELNS1_3repE0EEENS1_30default_config_static_selectorELNS0_4arch9wavefront6targetE1EEEvT1_
	.p2align	8
	.type	_ZN7rocprim17ROCPRIM_400000_NS6detail17trampoline_kernelINS0_14default_configENS1_25partition_config_selectorILNS1_17partition_subalgoE1EjNS0_10empty_typeEbEEZZNS1_14partition_implILS5_1ELb0ES3_jN6thrust23THRUST_200600_302600_NS6detail15normal_iteratorINSA_10device_ptrIjEEEEPS6_NSA_18transform_iteratorI7is_evenIjESF_NSA_11use_defaultESK_EENS0_5tupleIJNSA_16discard_iteratorISK_EESF_EEENSM_IJSG_SG_EEES6_PlJS6_EEE10hipError_tPvRmT3_T4_T5_T6_T7_T9_mT8_P12ihipStream_tbDpT10_ENKUlT_T0_E_clISt17integral_constantIbLb0EES1A_IbLb1EEEEDaS16_S17_EUlS16_E_NS1_11comp_targetILNS1_3genE8ELNS1_11target_archE1030ELNS1_3gpuE2ELNS1_3repE0EEENS1_30default_config_static_selectorELNS0_4arch9wavefront6targetE1EEEvT1_,@function
_ZN7rocprim17ROCPRIM_400000_NS6detail17trampoline_kernelINS0_14default_configENS1_25partition_config_selectorILNS1_17partition_subalgoE1EjNS0_10empty_typeEbEEZZNS1_14partition_implILS5_1ELb0ES3_jN6thrust23THRUST_200600_302600_NS6detail15normal_iteratorINSA_10device_ptrIjEEEEPS6_NSA_18transform_iteratorI7is_evenIjESF_NSA_11use_defaultESK_EENS0_5tupleIJNSA_16discard_iteratorISK_EESF_EEENSM_IJSG_SG_EEES6_PlJS6_EEE10hipError_tPvRmT3_T4_T5_T6_T7_T9_mT8_P12ihipStream_tbDpT10_ENKUlT_T0_E_clISt17integral_constantIbLb0EES1A_IbLb1EEEEDaS16_S17_EUlS16_E_NS1_11comp_targetILNS1_3genE8ELNS1_11target_archE1030ELNS1_3gpuE2ELNS1_3repE0EEENS1_30default_config_static_selectorELNS0_4arch9wavefront6targetE1EEEvT1_: ; @_ZN7rocprim17ROCPRIM_400000_NS6detail17trampoline_kernelINS0_14default_configENS1_25partition_config_selectorILNS1_17partition_subalgoE1EjNS0_10empty_typeEbEEZZNS1_14partition_implILS5_1ELb0ES3_jN6thrust23THRUST_200600_302600_NS6detail15normal_iteratorINSA_10device_ptrIjEEEEPS6_NSA_18transform_iteratorI7is_evenIjESF_NSA_11use_defaultESK_EENS0_5tupleIJNSA_16discard_iteratorISK_EESF_EEENSM_IJSG_SG_EEES6_PlJS6_EEE10hipError_tPvRmT3_T4_T5_T6_T7_T9_mT8_P12ihipStream_tbDpT10_ENKUlT_T0_E_clISt17integral_constantIbLb0EES1A_IbLb1EEEEDaS16_S17_EUlS16_E_NS1_11comp_targetILNS1_3genE8ELNS1_11target_archE1030ELNS1_3gpuE2ELNS1_3repE0EEENS1_30default_config_static_selectorELNS0_4arch9wavefront6targetE1EEEvT1_
; %bb.0:
	.section	.rodata,"a",@progbits
	.p2align	6, 0x0
	.amdhsa_kernel _ZN7rocprim17ROCPRIM_400000_NS6detail17trampoline_kernelINS0_14default_configENS1_25partition_config_selectorILNS1_17partition_subalgoE1EjNS0_10empty_typeEbEEZZNS1_14partition_implILS5_1ELb0ES3_jN6thrust23THRUST_200600_302600_NS6detail15normal_iteratorINSA_10device_ptrIjEEEEPS6_NSA_18transform_iteratorI7is_evenIjESF_NSA_11use_defaultESK_EENS0_5tupleIJNSA_16discard_iteratorISK_EESF_EEENSM_IJSG_SG_EEES6_PlJS6_EEE10hipError_tPvRmT3_T4_T5_T6_T7_T9_mT8_P12ihipStream_tbDpT10_ENKUlT_T0_E_clISt17integral_constantIbLb0EES1A_IbLb1EEEEDaS16_S17_EUlS16_E_NS1_11comp_targetILNS1_3genE8ELNS1_11target_archE1030ELNS1_3gpuE2ELNS1_3repE0EEENS1_30default_config_static_selectorELNS0_4arch9wavefront6targetE1EEEvT1_
		.amdhsa_group_segment_fixed_size 0
		.amdhsa_private_segment_fixed_size 0
		.amdhsa_kernarg_size 152
		.amdhsa_user_sgpr_count 6
		.amdhsa_user_sgpr_private_segment_buffer 1
		.amdhsa_user_sgpr_dispatch_ptr 0
		.amdhsa_user_sgpr_queue_ptr 0
		.amdhsa_user_sgpr_kernarg_segment_ptr 1
		.amdhsa_user_sgpr_dispatch_id 0
		.amdhsa_user_sgpr_flat_scratch_init 0
		.amdhsa_user_sgpr_kernarg_preload_length 0
		.amdhsa_user_sgpr_kernarg_preload_offset 0
		.amdhsa_user_sgpr_private_segment_size 0
		.amdhsa_uses_dynamic_stack 0
		.amdhsa_system_sgpr_private_segment_wavefront_offset 0
		.amdhsa_system_sgpr_workgroup_id_x 1
		.amdhsa_system_sgpr_workgroup_id_y 0
		.amdhsa_system_sgpr_workgroup_id_z 0
		.amdhsa_system_sgpr_workgroup_info 0
		.amdhsa_system_vgpr_workitem_id 0
		.amdhsa_next_free_vgpr 1
		.amdhsa_next_free_sgpr 0
		.amdhsa_accum_offset 4
		.amdhsa_reserve_vcc 0
		.amdhsa_reserve_flat_scratch 0
		.amdhsa_float_round_mode_32 0
		.amdhsa_float_round_mode_16_64 0
		.amdhsa_float_denorm_mode_32 3
		.amdhsa_float_denorm_mode_16_64 3
		.amdhsa_dx10_clamp 1
		.amdhsa_ieee_mode 1
		.amdhsa_fp16_overflow 0
		.amdhsa_tg_split 0
		.amdhsa_exception_fp_ieee_invalid_op 0
		.amdhsa_exception_fp_denorm_src 0
		.amdhsa_exception_fp_ieee_div_zero 0
		.amdhsa_exception_fp_ieee_overflow 0
		.amdhsa_exception_fp_ieee_underflow 0
		.amdhsa_exception_fp_ieee_inexact 0
		.amdhsa_exception_int_div_zero 0
	.end_amdhsa_kernel
	.section	.text._ZN7rocprim17ROCPRIM_400000_NS6detail17trampoline_kernelINS0_14default_configENS1_25partition_config_selectorILNS1_17partition_subalgoE1EjNS0_10empty_typeEbEEZZNS1_14partition_implILS5_1ELb0ES3_jN6thrust23THRUST_200600_302600_NS6detail15normal_iteratorINSA_10device_ptrIjEEEEPS6_NSA_18transform_iteratorI7is_evenIjESF_NSA_11use_defaultESK_EENS0_5tupleIJNSA_16discard_iteratorISK_EESF_EEENSM_IJSG_SG_EEES6_PlJS6_EEE10hipError_tPvRmT3_T4_T5_T6_T7_T9_mT8_P12ihipStream_tbDpT10_ENKUlT_T0_E_clISt17integral_constantIbLb0EES1A_IbLb1EEEEDaS16_S17_EUlS16_E_NS1_11comp_targetILNS1_3genE8ELNS1_11target_archE1030ELNS1_3gpuE2ELNS1_3repE0EEENS1_30default_config_static_selectorELNS0_4arch9wavefront6targetE1EEEvT1_,"axG",@progbits,_ZN7rocprim17ROCPRIM_400000_NS6detail17trampoline_kernelINS0_14default_configENS1_25partition_config_selectorILNS1_17partition_subalgoE1EjNS0_10empty_typeEbEEZZNS1_14partition_implILS5_1ELb0ES3_jN6thrust23THRUST_200600_302600_NS6detail15normal_iteratorINSA_10device_ptrIjEEEEPS6_NSA_18transform_iteratorI7is_evenIjESF_NSA_11use_defaultESK_EENS0_5tupleIJNSA_16discard_iteratorISK_EESF_EEENSM_IJSG_SG_EEES6_PlJS6_EEE10hipError_tPvRmT3_T4_T5_T6_T7_T9_mT8_P12ihipStream_tbDpT10_ENKUlT_T0_E_clISt17integral_constantIbLb0EES1A_IbLb1EEEEDaS16_S17_EUlS16_E_NS1_11comp_targetILNS1_3genE8ELNS1_11target_archE1030ELNS1_3gpuE2ELNS1_3repE0EEENS1_30default_config_static_selectorELNS0_4arch9wavefront6targetE1EEEvT1_,comdat
.Lfunc_end3066:
	.size	_ZN7rocprim17ROCPRIM_400000_NS6detail17trampoline_kernelINS0_14default_configENS1_25partition_config_selectorILNS1_17partition_subalgoE1EjNS0_10empty_typeEbEEZZNS1_14partition_implILS5_1ELb0ES3_jN6thrust23THRUST_200600_302600_NS6detail15normal_iteratorINSA_10device_ptrIjEEEEPS6_NSA_18transform_iteratorI7is_evenIjESF_NSA_11use_defaultESK_EENS0_5tupleIJNSA_16discard_iteratorISK_EESF_EEENSM_IJSG_SG_EEES6_PlJS6_EEE10hipError_tPvRmT3_T4_T5_T6_T7_T9_mT8_P12ihipStream_tbDpT10_ENKUlT_T0_E_clISt17integral_constantIbLb0EES1A_IbLb1EEEEDaS16_S17_EUlS16_E_NS1_11comp_targetILNS1_3genE8ELNS1_11target_archE1030ELNS1_3gpuE2ELNS1_3repE0EEENS1_30default_config_static_selectorELNS0_4arch9wavefront6targetE1EEEvT1_, .Lfunc_end3066-_ZN7rocprim17ROCPRIM_400000_NS6detail17trampoline_kernelINS0_14default_configENS1_25partition_config_selectorILNS1_17partition_subalgoE1EjNS0_10empty_typeEbEEZZNS1_14partition_implILS5_1ELb0ES3_jN6thrust23THRUST_200600_302600_NS6detail15normal_iteratorINSA_10device_ptrIjEEEEPS6_NSA_18transform_iteratorI7is_evenIjESF_NSA_11use_defaultESK_EENS0_5tupleIJNSA_16discard_iteratorISK_EESF_EEENSM_IJSG_SG_EEES6_PlJS6_EEE10hipError_tPvRmT3_T4_T5_T6_T7_T9_mT8_P12ihipStream_tbDpT10_ENKUlT_T0_E_clISt17integral_constantIbLb0EES1A_IbLb1EEEEDaS16_S17_EUlS16_E_NS1_11comp_targetILNS1_3genE8ELNS1_11target_archE1030ELNS1_3gpuE2ELNS1_3repE0EEENS1_30default_config_static_selectorELNS0_4arch9wavefront6targetE1EEEvT1_
                                        ; -- End function
	.section	.AMDGPU.csdata,"",@progbits
; Kernel info:
; codeLenInByte = 0
; NumSgprs: 4
; NumVgprs: 0
; NumAgprs: 0
; TotalNumVgprs: 0
; ScratchSize: 0
; MemoryBound: 0
; FloatMode: 240
; IeeeMode: 1
; LDSByteSize: 0 bytes/workgroup (compile time only)
; SGPRBlocks: 0
; VGPRBlocks: 0
; NumSGPRsForWavesPerEU: 4
; NumVGPRsForWavesPerEU: 1
; AccumOffset: 4
; Occupancy: 8
; WaveLimiterHint : 0
; COMPUTE_PGM_RSRC2:SCRATCH_EN: 0
; COMPUTE_PGM_RSRC2:USER_SGPR: 6
; COMPUTE_PGM_RSRC2:TRAP_HANDLER: 0
; COMPUTE_PGM_RSRC2:TGID_X_EN: 1
; COMPUTE_PGM_RSRC2:TGID_Y_EN: 0
; COMPUTE_PGM_RSRC2:TGID_Z_EN: 0
; COMPUTE_PGM_RSRC2:TIDIG_COMP_CNT: 0
; COMPUTE_PGM_RSRC3_GFX90A:ACCUM_OFFSET: 0
; COMPUTE_PGM_RSRC3_GFX90A:TG_SPLIT: 0
	.section	.text._ZN7rocprim17ROCPRIM_400000_NS6detail17trampoline_kernelINS0_14default_configENS1_25partition_config_selectorILNS1_17partition_subalgoE1EtNS0_10empty_typeEbEEZZNS1_14partition_implILS5_1ELb0ES3_jN6thrust23THRUST_200600_302600_NS6detail15normal_iteratorINSA_10device_ptrItEEEEPS6_NSA_18transform_iteratorI7is_evenItESF_NSA_11use_defaultESK_EENS0_5tupleIJNSA_16discard_iteratorISK_EESO_EEENSM_IJSG_SG_EEES6_PlJS6_EEE10hipError_tPvRmT3_T4_T5_T6_T7_T9_mT8_P12ihipStream_tbDpT10_ENKUlT_T0_E_clISt17integral_constantIbLb0EES1B_EEDaS16_S17_EUlS16_E_NS1_11comp_targetILNS1_3genE0ELNS1_11target_archE4294967295ELNS1_3gpuE0ELNS1_3repE0EEENS1_30default_config_static_selectorELNS0_4arch9wavefront6targetE1EEEvT1_,"axG",@progbits,_ZN7rocprim17ROCPRIM_400000_NS6detail17trampoline_kernelINS0_14default_configENS1_25partition_config_selectorILNS1_17partition_subalgoE1EtNS0_10empty_typeEbEEZZNS1_14partition_implILS5_1ELb0ES3_jN6thrust23THRUST_200600_302600_NS6detail15normal_iteratorINSA_10device_ptrItEEEEPS6_NSA_18transform_iteratorI7is_evenItESF_NSA_11use_defaultESK_EENS0_5tupleIJNSA_16discard_iteratorISK_EESO_EEENSM_IJSG_SG_EEES6_PlJS6_EEE10hipError_tPvRmT3_T4_T5_T6_T7_T9_mT8_P12ihipStream_tbDpT10_ENKUlT_T0_E_clISt17integral_constantIbLb0EES1B_EEDaS16_S17_EUlS16_E_NS1_11comp_targetILNS1_3genE0ELNS1_11target_archE4294967295ELNS1_3gpuE0ELNS1_3repE0EEENS1_30default_config_static_selectorELNS0_4arch9wavefront6targetE1EEEvT1_,comdat
	.protected	_ZN7rocprim17ROCPRIM_400000_NS6detail17trampoline_kernelINS0_14default_configENS1_25partition_config_selectorILNS1_17partition_subalgoE1EtNS0_10empty_typeEbEEZZNS1_14partition_implILS5_1ELb0ES3_jN6thrust23THRUST_200600_302600_NS6detail15normal_iteratorINSA_10device_ptrItEEEEPS6_NSA_18transform_iteratorI7is_evenItESF_NSA_11use_defaultESK_EENS0_5tupleIJNSA_16discard_iteratorISK_EESO_EEENSM_IJSG_SG_EEES6_PlJS6_EEE10hipError_tPvRmT3_T4_T5_T6_T7_T9_mT8_P12ihipStream_tbDpT10_ENKUlT_T0_E_clISt17integral_constantIbLb0EES1B_EEDaS16_S17_EUlS16_E_NS1_11comp_targetILNS1_3genE0ELNS1_11target_archE4294967295ELNS1_3gpuE0ELNS1_3repE0EEENS1_30default_config_static_selectorELNS0_4arch9wavefront6targetE1EEEvT1_ ; -- Begin function _ZN7rocprim17ROCPRIM_400000_NS6detail17trampoline_kernelINS0_14default_configENS1_25partition_config_selectorILNS1_17partition_subalgoE1EtNS0_10empty_typeEbEEZZNS1_14partition_implILS5_1ELb0ES3_jN6thrust23THRUST_200600_302600_NS6detail15normal_iteratorINSA_10device_ptrItEEEEPS6_NSA_18transform_iteratorI7is_evenItESF_NSA_11use_defaultESK_EENS0_5tupleIJNSA_16discard_iteratorISK_EESO_EEENSM_IJSG_SG_EEES6_PlJS6_EEE10hipError_tPvRmT3_T4_T5_T6_T7_T9_mT8_P12ihipStream_tbDpT10_ENKUlT_T0_E_clISt17integral_constantIbLb0EES1B_EEDaS16_S17_EUlS16_E_NS1_11comp_targetILNS1_3genE0ELNS1_11target_archE4294967295ELNS1_3gpuE0ELNS1_3repE0EEENS1_30default_config_static_selectorELNS0_4arch9wavefront6targetE1EEEvT1_
	.globl	_ZN7rocprim17ROCPRIM_400000_NS6detail17trampoline_kernelINS0_14default_configENS1_25partition_config_selectorILNS1_17partition_subalgoE1EtNS0_10empty_typeEbEEZZNS1_14partition_implILS5_1ELb0ES3_jN6thrust23THRUST_200600_302600_NS6detail15normal_iteratorINSA_10device_ptrItEEEEPS6_NSA_18transform_iteratorI7is_evenItESF_NSA_11use_defaultESK_EENS0_5tupleIJNSA_16discard_iteratorISK_EESO_EEENSM_IJSG_SG_EEES6_PlJS6_EEE10hipError_tPvRmT3_T4_T5_T6_T7_T9_mT8_P12ihipStream_tbDpT10_ENKUlT_T0_E_clISt17integral_constantIbLb0EES1B_EEDaS16_S17_EUlS16_E_NS1_11comp_targetILNS1_3genE0ELNS1_11target_archE4294967295ELNS1_3gpuE0ELNS1_3repE0EEENS1_30default_config_static_selectorELNS0_4arch9wavefront6targetE1EEEvT1_
	.p2align	8
	.type	_ZN7rocprim17ROCPRIM_400000_NS6detail17trampoline_kernelINS0_14default_configENS1_25partition_config_selectorILNS1_17partition_subalgoE1EtNS0_10empty_typeEbEEZZNS1_14partition_implILS5_1ELb0ES3_jN6thrust23THRUST_200600_302600_NS6detail15normal_iteratorINSA_10device_ptrItEEEEPS6_NSA_18transform_iteratorI7is_evenItESF_NSA_11use_defaultESK_EENS0_5tupleIJNSA_16discard_iteratorISK_EESO_EEENSM_IJSG_SG_EEES6_PlJS6_EEE10hipError_tPvRmT3_T4_T5_T6_T7_T9_mT8_P12ihipStream_tbDpT10_ENKUlT_T0_E_clISt17integral_constantIbLb0EES1B_EEDaS16_S17_EUlS16_E_NS1_11comp_targetILNS1_3genE0ELNS1_11target_archE4294967295ELNS1_3gpuE0ELNS1_3repE0EEENS1_30default_config_static_selectorELNS0_4arch9wavefront6targetE1EEEvT1_,@function
_ZN7rocprim17ROCPRIM_400000_NS6detail17trampoline_kernelINS0_14default_configENS1_25partition_config_selectorILNS1_17partition_subalgoE1EtNS0_10empty_typeEbEEZZNS1_14partition_implILS5_1ELb0ES3_jN6thrust23THRUST_200600_302600_NS6detail15normal_iteratorINSA_10device_ptrItEEEEPS6_NSA_18transform_iteratorI7is_evenItESF_NSA_11use_defaultESK_EENS0_5tupleIJNSA_16discard_iteratorISK_EESO_EEENSM_IJSG_SG_EEES6_PlJS6_EEE10hipError_tPvRmT3_T4_T5_T6_T7_T9_mT8_P12ihipStream_tbDpT10_ENKUlT_T0_E_clISt17integral_constantIbLb0EES1B_EEDaS16_S17_EUlS16_E_NS1_11comp_targetILNS1_3genE0ELNS1_11target_archE4294967295ELNS1_3gpuE0ELNS1_3repE0EEENS1_30default_config_static_selectorELNS0_4arch9wavefront6targetE1EEEvT1_: ; @_ZN7rocprim17ROCPRIM_400000_NS6detail17trampoline_kernelINS0_14default_configENS1_25partition_config_selectorILNS1_17partition_subalgoE1EtNS0_10empty_typeEbEEZZNS1_14partition_implILS5_1ELb0ES3_jN6thrust23THRUST_200600_302600_NS6detail15normal_iteratorINSA_10device_ptrItEEEEPS6_NSA_18transform_iteratorI7is_evenItESF_NSA_11use_defaultESK_EENS0_5tupleIJNSA_16discard_iteratorISK_EESO_EEENSM_IJSG_SG_EEES6_PlJS6_EEE10hipError_tPvRmT3_T4_T5_T6_T7_T9_mT8_P12ihipStream_tbDpT10_ENKUlT_T0_E_clISt17integral_constantIbLb0EES1B_EEDaS16_S17_EUlS16_E_NS1_11comp_targetILNS1_3genE0ELNS1_11target_archE4294967295ELNS1_3gpuE0ELNS1_3repE0EEENS1_30default_config_static_selectorELNS0_4arch9wavefront6targetE1EEEvT1_
; %bb.0:
	.section	.rodata,"a",@progbits
	.p2align	6, 0x0
	.amdhsa_kernel _ZN7rocprim17ROCPRIM_400000_NS6detail17trampoline_kernelINS0_14default_configENS1_25partition_config_selectorILNS1_17partition_subalgoE1EtNS0_10empty_typeEbEEZZNS1_14partition_implILS5_1ELb0ES3_jN6thrust23THRUST_200600_302600_NS6detail15normal_iteratorINSA_10device_ptrItEEEEPS6_NSA_18transform_iteratorI7is_evenItESF_NSA_11use_defaultESK_EENS0_5tupleIJNSA_16discard_iteratorISK_EESO_EEENSM_IJSG_SG_EEES6_PlJS6_EEE10hipError_tPvRmT3_T4_T5_T6_T7_T9_mT8_P12ihipStream_tbDpT10_ENKUlT_T0_E_clISt17integral_constantIbLb0EES1B_EEDaS16_S17_EUlS16_E_NS1_11comp_targetILNS1_3genE0ELNS1_11target_archE4294967295ELNS1_3gpuE0ELNS1_3repE0EEENS1_30default_config_static_selectorELNS0_4arch9wavefront6targetE1EEEvT1_
		.amdhsa_group_segment_fixed_size 0
		.amdhsa_private_segment_fixed_size 0
		.amdhsa_kernarg_size 144
		.amdhsa_user_sgpr_count 6
		.amdhsa_user_sgpr_private_segment_buffer 1
		.amdhsa_user_sgpr_dispatch_ptr 0
		.amdhsa_user_sgpr_queue_ptr 0
		.amdhsa_user_sgpr_kernarg_segment_ptr 1
		.amdhsa_user_sgpr_dispatch_id 0
		.amdhsa_user_sgpr_flat_scratch_init 0
		.amdhsa_user_sgpr_kernarg_preload_length 0
		.amdhsa_user_sgpr_kernarg_preload_offset 0
		.amdhsa_user_sgpr_private_segment_size 0
		.amdhsa_uses_dynamic_stack 0
		.amdhsa_system_sgpr_private_segment_wavefront_offset 0
		.amdhsa_system_sgpr_workgroup_id_x 1
		.amdhsa_system_sgpr_workgroup_id_y 0
		.amdhsa_system_sgpr_workgroup_id_z 0
		.amdhsa_system_sgpr_workgroup_info 0
		.amdhsa_system_vgpr_workitem_id 0
		.amdhsa_next_free_vgpr 1
		.amdhsa_next_free_sgpr 0
		.amdhsa_accum_offset 4
		.amdhsa_reserve_vcc 0
		.amdhsa_reserve_flat_scratch 0
		.amdhsa_float_round_mode_32 0
		.amdhsa_float_round_mode_16_64 0
		.amdhsa_float_denorm_mode_32 3
		.amdhsa_float_denorm_mode_16_64 3
		.amdhsa_dx10_clamp 1
		.amdhsa_ieee_mode 1
		.amdhsa_fp16_overflow 0
		.amdhsa_tg_split 0
		.amdhsa_exception_fp_ieee_invalid_op 0
		.amdhsa_exception_fp_denorm_src 0
		.amdhsa_exception_fp_ieee_div_zero 0
		.amdhsa_exception_fp_ieee_overflow 0
		.amdhsa_exception_fp_ieee_underflow 0
		.amdhsa_exception_fp_ieee_inexact 0
		.amdhsa_exception_int_div_zero 0
	.end_amdhsa_kernel
	.section	.text._ZN7rocprim17ROCPRIM_400000_NS6detail17trampoline_kernelINS0_14default_configENS1_25partition_config_selectorILNS1_17partition_subalgoE1EtNS0_10empty_typeEbEEZZNS1_14partition_implILS5_1ELb0ES3_jN6thrust23THRUST_200600_302600_NS6detail15normal_iteratorINSA_10device_ptrItEEEEPS6_NSA_18transform_iteratorI7is_evenItESF_NSA_11use_defaultESK_EENS0_5tupleIJNSA_16discard_iteratorISK_EESO_EEENSM_IJSG_SG_EEES6_PlJS6_EEE10hipError_tPvRmT3_T4_T5_T6_T7_T9_mT8_P12ihipStream_tbDpT10_ENKUlT_T0_E_clISt17integral_constantIbLb0EES1B_EEDaS16_S17_EUlS16_E_NS1_11comp_targetILNS1_3genE0ELNS1_11target_archE4294967295ELNS1_3gpuE0ELNS1_3repE0EEENS1_30default_config_static_selectorELNS0_4arch9wavefront6targetE1EEEvT1_,"axG",@progbits,_ZN7rocprim17ROCPRIM_400000_NS6detail17trampoline_kernelINS0_14default_configENS1_25partition_config_selectorILNS1_17partition_subalgoE1EtNS0_10empty_typeEbEEZZNS1_14partition_implILS5_1ELb0ES3_jN6thrust23THRUST_200600_302600_NS6detail15normal_iteratorINSA_10device_ptrItEEEEPS6_NSA_18transform_iteratorI7is_evenItESF_NSA_11use_defaultESK_EENS0_5tupleIJNSA_16discard_iteratorISK_EESO_EEENSM_IJSG_SG_EEES6_PlJS6_EEE10hipError_tPvRmT3_T4_T5_T6_T7_T9_mT8_P12ihipStream_tbDpT10_ENKUlT_T0_E_clISt17integral_constantIbLb0EES1B_EEDaS16_S17_EUlS16_E_NS1_11comp_targetILNS1_3genE0ELNS1_11target_archE4294967295ELNS1_3gpuE0ELNS1_3repE0EEENS1_30default_config_static_selectorELNS0_4arch9wavefront6targetE1EEEvT1_,comdat
.Lfunc_end3067:
	.size	_ZN7rocprim17ROCPRIM_400000_NS6detail17trampoline_kernelINS0_14default_configENS1_25partition_config_selectorILNS1_17partition_subalgoE1EtNS0_10empty_typeEbEEZZNS1_14partition_implILS5_1ELb0ES3_jN6thrust23THRUST_200600_302600_NS6detail15normal_iteratorINSA_10device_ptrItEEEEPS6_NSA_18transform_iteratorI7is_evenItESF_NSA_11use_defaultESK_EENS0_5tupleIJNSA_16discard_iteratorISK_EESO_EEENSM_IJSG_SG_EEES6_PlJS6_EEE10hipError_tPvRmT3_T4_T5_T6_T7_T9_mT8_P12ihipStream_tbDpT10_ENKUlT_T0_E_clISt17integral_constantIbLb0EES1B_EEDaS16_S17_EUlS16_E_NS1_11comp_targetILNS1_3genE0ELNS1_11target_archE4294967295ELNS1_3gpuE0ELNS1_3repE0EEENS1_30default_config_static_selectorELNS0_4arch9wavefront6targetE1EEEvT1_, .Lfunc_end3067-_ZN7rocprim17ROCPRIM_400000_NS6detail17trampoline_kernelINS0_14default_configENS1_25partition_config_selectorILNS1_17partition_subalgoE1EtNS0_10empty_typeEbEEZZNS1_14partition_implILS5_1ELb0ES3_jN6thrust23THRUST_200600_302600_NS6detail15normal_iteratorINSA_10device_ptrItEEEEPS6_NSA_18transform_iteratorI7is_evenItESF_NSA_11use_defaultESK_EENS0_5tupleIJNSA_16discard_iteratorISK_EESO_EEENSM_IJSG_SG_EEES6_PlJS6_EEE10hipError_tPvRmT3_T4_T5_T6_T7_T9_mT8_P12ihipStream_tbDpT10_ENKUlT_T0_E_clISt17integral_constantIbLb0EES1B_EEDaS16_S17_EUlS16_E_NS1_11comp_targetILNS1_3genE0ELNS1_11target_archE4294967295ELNS1_3gpuE0ELNS1_3repE0EEENS1_30default_config_static_selectorELNS0_4arch9wavefront6targetE1EEEvT1_
                                        ; -- End function
	.section	.AMDGPU.csdata,"",@progbits
; Kernel info:
; codeLenInByte = 0
; NumSgprs: 4
; NumVgprs: 0
; NumAgprs: 0
; TotalNumVgprs: 0
; ScratchSize: 0
; MemoryBound: 0
; FloatMode: 240
; IeeeMode: 1
; LDSByteSize: 0 bytes/workgroup (compile time only)
; SGPRBlocks: 0
; VGPRBlocks: 0
; NumSGPRsForWavesPerEU: 4
; NumVGPRsForWavesPerEU: 1
; AccumOffset: 4
; Occupancy: 8
; WaveLimiterHint : 0
; COMPUTE_PGM_RSRC2:SCRATCH_EN: 0
; COMPUTE_PGM_RSRC2:USER_SGPR: 6
; COMPUTE_PGM_RSRC2:TRAP_HANDLER: 0
; COMPUTE_PGM_RSRC2:TGID_X_EN: 1
; COMPUTE_PGM_RSRC2:TGID_Y_EN: 0
; COMPUTE_PGM_RSRC2:TGID_Z_EN: 0
; COMPUTE_PGM_RSRC2:TIDIG_COMP_CNT: 0
; COMPUTE_PGM_RSRC3_GFX90A:ACCUM_OFFSET: 0
; COMPUTE_PGM_RSRC3_GFX90A:TG_SPLIT: 0
	.section	.text._ZN7rocprim17ROCPRIM_400000_NS6detail17trampoline_kernelINS0_14default_configENS1_25partition_config_selectorILNS1_17partition_subalgoE1EtNS0_10empty_typeEbEEZZNS1_14partition_implILS5_1ELb0ES3_jN6thrust23THRUST_200600_302600_NS6detail15normal_iteratorINSA_10device_ptrItEEEEPS6_NSA_18transform_iteratorI7is_evenItESF_NSA_11use_defaultESK_EENS0_5tupleIJNSA_16discard_iteratorISK_EESO_EEENSM_IJSG_SG_EEES6_PlJS6_EEE10hipError_tPvRmT3_T4_T5_T6_T7_T9_mT8_P12ihipStream_tbDpT10_ENKUlT_T0_E_clISt17integral_constantIbLb0EES1B_EEDaS16_S17_EUlS16_E_NS1_11comp_targetILNS1_3genE5ELNS1_11target_archE942ELNS1_3gpuE9ELNS1_3repE0EEENS1_30default_config_static_selectorELNS0_4arch9wavefront6targetE1EEEvT1_,"axG",@progbits,_ZN7rocprim17ROCPRIM_400000_NS6detail17trampoline_kernelINS0_14default_configENS1_25partition_config_selectorILNS1_17partition_subalgoE1EtNS0_10empty_typeEbEEZZNS1_14partition_implILS5_1ELb0ES3_jN6thrust23THRUST_200600_302600_NS6detail15normal_iteratorINSA_10device_ptrItEEEEPS6_NSA_18transform_iteratorI7is_evenItESF_NSA_11use_defaultESK_EENS0_5tupleIJNSA_16discard_iteratorISK_EESO_EEENSM_IJSG_SG_EEES6_PlJS6_EEE10hipError_tPvRmT3_T4_T5_T6_T7_T9_mT8_P12ihipStream_tbDpT10_ENKUlT_T0_E_clISt17integral_constantIbLb0EES1B_EEDaS16_S17_EUlS16_E_NS1_11comp_targetILNS1_3genE5ELNS1_11target_archE942ELNS1_3gpuE9ELNS1_3repE0EEENS1_30default_config_static_selectorELNS0_4arch9wavefront6targetE1EEEvT1_,comdat
	.protected	_ZN7rocprim17ROCPRIM_400000_NS6detail17trampoline_kernelINS0_14default_configENS1_25partition_config_selectorILNS1_17partition_subalgoE1EtNS0_10empty_typeEbEEZZNS1_14partition_implILS5_1ELb0ES3_jN6thrust23THRUST_200600_302600_NS6detail15normal_iteratorINSA_10device_ptrItEEEEPS6_NSA_18transform_iteratorI7is_evenItESF_NSA_11use_defaultESK_EENS0_5tupleIJNSA_16discard_iteratorISK_EESO_EEENSM_IJSG_SG_EEES6_PlJS6_EEE10hipError_tPvRmT3_T4_T5_T6_T7_T9_mT8_P12ihipStream_tbDpT10_ENKUlT_T0_E_clISt17integral_constantIbLb0EES1B_EEDaS16_S17_EUlS16_E_NS1_11comp_targetILNS1_3genE5ELNS1_11target_archE942ELNS1_3gpuE9ELNS1_3repE0EEENS1_30default_config_static_selectorELNS0_4arch9wavefront6targetE1EEEvT1_ ; -- Begin function _ZN7rocprim17ROCPRIM_400000_NS6detail17trampoline_kernelINS0_14default_configENS1_25partition_config_selectorILNS1_17partition_subalgoE1EtNS0_10empty_typeEbEEZZNS1_14partition_implILS5_1ELb0ES3_jN6thrust23THRUST_200600_302600_NS6detail15normal_iteratorINSA_10device_ptrItEEEEPS6_NSA_18transform_iteratorI7is_evenItESF_NSA_11use_defaultESK_EENS0_5tupleIJNSA_16discard_iteratorISK_EESO_EEENSM_IJSG_SG_EEES6_PlJS6_EEE10hipError_tPvRmT3_T4_T5_T6_T7_T9_mT8_P12ihipStream_tbDpT10_ENKUlT_T0_E_clISt17integral_constantIbLb0EES1B_EEDaS16_S17_EUlS16_E_NS1_11comp_targetILNS1_3genE5ELNS1_11target_archE942ELNS1_3gpuE9ELNS1_3repE0EEENS1_30default_config_static_selectorELNS0_4arch9wavefront6targetE1EEEvT1_
	.globl	_ZN7rocprim17ROCPRIM_400000_NS6detail17trampoline_kernelINS0_14default_configENS1_25partition_config_selectorILNS1_17partition_subalgoE1EtNS0_10empty_typeEbEEZZNS1_14partition_implILS5_1ELb0ES3_jN6thrust23THRUST_200600_302600_NS6detail15normal_iteratorINSA_10device_ptrItEEEEPS6_NSA_18transform_iteratorI7is_evenItESF_NSA_11use_defaultESK_EENS0_5tupleIJNSA_16discard_iteratorISK_EESO_EEENSM_IJSG_SG_EEES6_PlJS6_EEE10hipError_tPvRmT3_T4_T5_T6_T7_T9_mT8_P12ihipStream_tbDpT10_ENKUlT_T0_E_clISt17integral_constantIbLb0EES1B_EEDaS16_S17_EUlS16_E_NS1_11comp_targetILNS1_3genE5ELNS1_11target_archE942ELNS1_3gpuE9ELNS1_3repE0EEENS1_30default_config_static_selectorELNS0_4arch9wavefront6targetE1EEEvT1_
	.p2align	8
	.type	_ZN7rocprim17ROCPRIM_400000_NS6detail17trampoline_kernelINS0_14default_configENS1_25partition_config_selectorILNS1_17partition_subalgoE1EtNS0_10empty_typeEbEEZZNS1_14partition_implILS5_1ELb0ES3_jN6thrust23THRUST_200600_302600_NS6detail15normal_iteratorINSA_10device_ptrItEEEEPS6_NSA_18transform_iteratorI7is_evenItESF_NSA_11use_defaultESK_EENS0_5tupleIJNSA_16discard_iteratorISK_EESO_EEENSM_IJSG_SG_EEES6_PlJS6_EEE10hipError_tPvRmT3_T4_T5_T6_T7_T9_mT8_P12ihipStream_tbDpT10_ENKUlT_T0_E_clISt17integral_constantIbLb0EES1B_EEDaS16_S17_EUlS16_E_NS1_11comp_targetILNS1_3genE5ELNS1_11target_archE942ELNS1_3gpuE9ELNS1_3repE0EEENS1_30default_config_static_selectorELNS0_4arch9wavefront6targetE1EEEvT1_,@function
_ZN7rocprim17ROCPRIM_400000_NS6detail17trampoline_kernelINS0_14default_configENS1_25partition_config_selectorILNS1_17partition_subalgoE1EtNS0_10empty_typeEbEEZZNS1_14partition_implILS5_1ELb0ES3_jN6thrust23THRUST_200600_302600_NS6detail15normal_iteratorINSA_10device_ptrItEEEEPS6_NSA_18transform_iteratorI7is_evenItESF_NSA_11use_defaultESK_EENS0_5tupleIJNSA_16discard_iteratorISK_EESO_EEENSM_IJSG_SG_EEES6_PlJS6_EEE10hipError_tPvRmT3_T4_T5_T6_T7_T9_mT8_P12ihipStream_tbDpT10_ENKUlT_T0_E_clISt17integral_constantIbLb0EES1B_EEDaS16_S17_EUlS16_E_NS1_11comp_targetILNS1_3genE5ELNS1_11target_archE942ELNS1_3gpuE9ELNS1_3repE0EEENS1_30default_config_static_selectorELNS0_4arch9wavefront6targetE1EEEvT1_: ; @_ZN7rocprim17ROCPRIM_400000_NS6detail17trampoline_kernelINS0_14default_configENS1_25partition_config_selectorILNS1_17partition_subalgoE1EtNS0_10empty_typeEbEEZZNS1_14partition_implILS5_1ELb0ES3_jN6thrust23THRUST_200600_302600_NS6detail15normal_iteratorINSA_10device_ptrItEEEEPS6_NSA_18transform_iteratorI7is_evenItESF_NSA_11use_defaultESK_EENS0_5tupleIJNSA_16discard_iteratorISK_EESO_EEENSM_IJSG_SG_EEES6_PlJS6_EEE10hipError_tPvRmT3_T4_T5_T6_T7_T9_mT8_P12ihipStream_tbDpT10_ENKUlT_T0_E_clISt17integral_constantIbLb0EES1B_EEDaS16_S17_EUlS16_E_NS1_11comp_targetILNS1_3genE5ELNS1_11target_archE942ELNS1_3gpuE9ELNS1_3repE0EEENS1_30default_config_static_selectorELNS0_4arch9wavefront6targetE1EEEvT1_
; %bb.0:
	.section	.rodata,"a",@progbits
	.p2align	6, 0x0
	.amdhsa_kernel _ZN7rocprim17ROCPRIM_400000_NS6detail17trampoline_kernelINS0_14default_configENS1_25partition_config_selectorILNS1_17partition_subalgoE1EtNS0_10empty_typeEbEEZZNS1_14partition_implILS5_1ELb0ES3_jN6thrust23THRUST_200600_302600_NS6detail15normal_iteratorINSA_10device_ptrItEEEEPS6_NSA_18transform_iteratorI7is_evenItESF_NSA_11use_defaultESK_EENS0_5tupleIJNSA_16discard_iteratorISK_EESO_EEENSM_IJSG_SG_EEES6_PlJS6_EEE10hipError_tPvRmT3_T4_T5_T6_T7_T9_mT8_P12ihipStream_tbDpT10_ENKUlT_T0_E_clISt17integral_constantIbLb0EES1B_EEDaS16_S17_EUlS16_E_NS1_11comp_targetILNS1_3genE5ELNS1_11target_archE942ELNS1_3gpuE9ELNS1_3repE0EEENS1_30default_config_static_selectorELNS0_4arch9wavefront6targetE1EEEvT1_
		.amdhsa_group_segment_fixed_size 0
		.amdhsa_private_segment_fixed_size 0
		.amdhsa_kernarg_size 144
		.amdhsa_user_sgpr_count 6
		.amdhsa_user_sgpr_private_segment_buffer 1
		.amdhsa_user_sgpr_dispatch_ptr 0
		.amdhsa_user_sgpr_queue_ptr 0
		.amdhsa_user_sgpr_kernarg_segment_ptr 1
		.amdhsa_user_sgpr_dispatch_id 0
		.amdhsa_user_sgpr_flat_scratch_init 0
		.amdhsa_user_sgpr_kernarg_preload_length 0
		.amdhsa_user_sgpr_kernarg_preload_offset 0
		.amdhsa_user_sgpr_private_segment_size 0
		.amdhsa_uses_dynamic_stack 0
		.amdhsa_system_sgpr_private_segment_wavefront_offset 0
		.amdhsa_system_sgpr_workgroup_id_x 1
		.amdhsa_system_sgpr_workgroup_id_y 0
		.amdhsa_system_sgpr_workgroup_id_z 0
		.amdhsa_system_sgpr_workgroup_info 0
		.amdhsa_system_vgpr_workitem_id 0
		.amdhsa_next_free_vgpr 1
		.amdhsa_next_free_sgpr 0
		.amdhsa_accum_offset 4
		.amdhsa_reserve_vcc 0
		.amdhsa_reserve_flat_scratch 0
		.amdhsa_float_round_mode_32 0
		.amdhsa_float_round_mode_16_64 0
		.amdhsa_float_denorm_mode_32 3
		.amdhsa_float_denorm_mode_16_64 3
		.amdhsa_dx10_clamp 1
		.amdhsa_ieee_mode 1
		.amdhsa_fp16_overflow 0
		.amdhsa_tg_split 0
		.amdhsa_exception_fp_ieee_invalid_op 0
		.amdhsa_exception_fp_denorm_src 0
		.amdhsa_exception_fp_ieee_div_zero 0
		.amdhsa_exception_fp_ieee_overflow 0
		.amdhsa_exception_fp_ieee_underflow 0
		.amdhsa_exception_fp_ieee_inexact 0
		.amdhsa_exception_int_div_zero 0
	.end_amdhsa_kernel
	.section	.text._ZN7rocprim17ROCPRIM_400000_NS6detail17trampoline_kernelINS0_14default_configENS1_25partition_config_selectorILNS1_17partition_subalgoE1EtNS0_10empty_typeEbEEZZNS1_14partition_implILS5_1ELb0ES3_jN6thrust23THRUST_200600_302600_NS6detail15normal_iteratorINSA_10device_ptrItEEEEPS6_NSA_18transform_iteratorI7is_evenItESF_NSA_11use_defaultESK_EENS0_5tupleIJNSA_16discard_iteratorISK_EESO_EEENSM_IJSG_SG_EEES6_PlJS6_EEE10hipError_tPvRmT3_T4_T5_T6_T7_T9_mT8_P12ihipStream_tbDpT10_ENKUlT_T0_E_clISt17integral_constantIbLb0EES1B_EEDaS16_S17_EUlS16_E_NS1_11comp_targetILNS1_3genE5ELNS1_11target_archE942ELNS1_3gpuE9ELNS1_3repE0EEENS1_30default_config_static_selectorELNS0_4arch9wavefront6targetE1EEEvT1_,"axG",@progbits,_ZN7rocprim17ROCPRIM_400000_NS6detail17trampoline_kernelINS0_14default_configENS1_25partition_config_selectorILNS1_17partition_subalgoE1EtNS0_10empty_typeEbEEZZNS1_14partition_implILS5_1ELb0ES3_jN6thrust23THRUST_200600_302600_NS6detail15normal_iteratorINSA_10device_ptrItEEEEPS6_NSA_18transform_iteratorI7is_evenItESF_NSA_11use_defaultESK_EENS0_5tupleIJNSA_16discard_iteratorISK_EESO_EEENSM_IJSG_SG_EEES6_PlJS6_EEE10hipError_tPvRmT3_T4_T5_T6_T7_T9_mT8_P12ihipStream_tbDpT10_ENKUlT_T0_E_clISt17integral_constantIbLb0EES1B_EEDaS16_S17_EUlS16_E_NS1_11comp_targetILNS1_3genE5ELNS1_11target_archE942ELNS1_3gpuE9ELNS1_3repE0EEENS1_30default_config_static_selectorELNS0_4arch9wavefront6targetE1EEEvT1_,comdat
.Lfunc_end3068:
	.size	_ZN7rocprim17ROCPRIM_400000_NS6detail17trampoline_kernelINS0_14default_configENS1_25partition_config_selectorILNS1_17partition_subalgoE1EtNS0_10empty_typeEbEEZZNS1_14partition_implILS5_1ELb0ES3_jN6thrust23THRUST_200600_302600_NS6detail15normal_iteratorINSA_10device_ptrItEEEEPS6_NSA_18transform_iteratorI7is_evenItESF_NSA_11use_defaultESK_EENS0_5tupleIJNSA_16discard_iteratorISK_EESO_EEENSM_IJSG_SG_EEES6_PlJS6_EEE10hipError_tPvRmT3_T4_T5_T6_T7_T9_mT8_P12ihipStream_tbDpT10_ENKUlT_T0_E_clISt17integral_constantIbLb0EES1B_EEDaS16_S17_EUlS16_E_NS1_11comp_targetILNS1_3genE5ELNS1_11target_archE942ELNS1_3gpuE9ELNS1_3repE0EEENS1_30default_config_static_selectorELNS0_4arch9wavefront6targetE1EEEvT1_, .Lfunc_end3068-_ZN7rocprim17ROCPRIM_400000_NS6detail17trampoline_kernelINS0_14default_configENS1_25partition_config_selectorILNS1_17partition_subalgoE1EtNS0_10empty_typeEbEEZZNS1_14partition_implILS5_1ELb0ES3_jN6thrust23THRUST_200600_302600_NS6detail15normal_iteratorINSA_10device_ptrItEEEEPS6_NSA_18transform_iteratorI7is_evenItESF_NSA_11use_defaultESK_EENS0_5tupleIJNSA_16discard_iteratorISK_EESO_EEENSM_IJSG_SG_EEES6_PlJS6_EEE10hipError_tPvRmT3_T4_T5_T6_T7_T9_mT8_P12ihipStream_tbDpT10_ENKUlT_T0_E_clISt17integral_constantIbLb0EES1B_EEDaS16_S17_EUlS16_E_NS1_11comp_targetILNS1_3genE5ELNS1_11target_archE942ELNS1_3gpuE9ELNS1_3repE0EEENS1_30default_config_static_selectorELNS0_4arch9wavefront6targetE1EEEvT1_
                                        ; -- End function
	.section	.AMDGPU.csdata,"",@progbits
; Kernel info:
; codeLenInByte = 0
; NumSgprs: 4
; NumVgprs: 0
; NumAgprs: 0
; TotalNumVgprs: 0
; ScratchSize: 0
; MemoryBound: 0
; FloatMode: 240
; IeeeMode: 1
; LDSByteSize: 0 bytes/workgroup (compile time only)
; SGPRBlocks: 0
; VGPRBlocks: 0
; NumSGPRsForWavesPerEU: 4
; NumVGPRsForWavesPerEU: 1
; AccumOffset: 4
; Occupancy: 8
; WaveLimiterHint : 0
; COMPUTE_PGM_RSRC2:SCRATCH_EN: 0
; COMPUTE_PGM_RSRC2:USER_SGPR: 6
; COMPUTE_PGM_RSRC2:TRAP_HANDLER: 0
; COMPUTE_PGM_RSRC2:TGID_X_EN: 1
; COMPUTE_PGM_RSRC2:TGID_Y_EN: 0
; COMPUTE_PGM_RSRC2:TGID_Z_EN: 0
; COMPUTE_PGM_RSRC2:TIDIG_COMP_CNT: 0
; COMPUTE_PGM_RSRC3_GFX90A:ACCUM_OFFSET: 0
; COMPUTE_PGM_RSRC3_GFX90A:TG_SPLIT: 0
	.section	.text._ZN7rocprim17ROCPRIM_400000_NS6detail17trampoline_kernelINS0_14default_configENS1_25partition_config_selectorILNS1_17partition_subalgoE1EtNS0_10empty_typeEbEEZZNS1_14partition_implILS5_1ELb0ES3_jN6thrust23THRUST_200600_302600_NS6detail15normal_iteratorINSA_10device_ptrItEEEEPS6_NSA_18transform_iteratorI7is_evenItESF_NSA_11use_defaultESK_EENS0_5tupleIJNSA_16discard_iteratorISK_EESO_EEENSM_IJSG_SG_EEES6_PlJS6_EEE10hipError_tPvRmT3_T4_T5_T6_T7_T9_mT8_P12ihipStream_tbDpT10_ENKUlT_T0_E_clISt17integral_constantIbLb0EES1B_EEDaS16_S17_EUlS16_E_NS1_11comp_targetILNS1_3genE4ELNS1_11target_archE910ELNS1_3gpuE8ELNS1_3repE0EEENS1_30default_config_static_selectorELNS0_4arch9wavefront6targetE1EEEvT1_,"axG",@progbits,_ZN7rocprim17ROCPRIM_400000_NS6detail17trampoline_kernelINS0_14default_configENS1_25partition_config_selectorILNS1_17partition_subalgoE1EtNS0_10empty_typeEbEEZZNS1_14partition_implILS5_1ELb0ES3_jN6thrust23THRUST_200600_302600_NS6detail15normal_iteratorINSA_10device_ptrItEEEEPS6_NSA_18transform_iteratorI7is_evenItESF_NSA_11use_defaultESK_EENS0_5tupleIJNSA_16discard_iteratorISK_EESO_EEENSM_IJSG_SG_EEES6_PlJS6_EEE10hipError_tPvRmT3_T4_T5_T6_T7_T9_mT8_P12ihipStream_tbDpT10_ENKUlT_T0_E_clISt17integral_constantIbLb0EES1B_EEDaS16_S17_EUlS16_E_NS1_11comp_targetILNS1_3genE4ELNS1_11target_archE910ELNS1_3gpuE8ELNS1_3repE0EEENS1_30default_config_static_selectorELNS0_4arch9wavefront6targetE1EEEvT1_,comdat
	.protected	_ZN7rocprim17ROCPRIM_400000_NS6detail17trampoline_kernelINS0_14default_configENS1_25partition_config_selectorILNS1_17partition_subalgoE1EtNS0_10empty_typeEbEEZZNS1_14partition_implILS5_1ELb0ES3_jN6thrust23THRUST_200600_302600_NS6detail15normal_iteratorINSA_10device_ptrItEEEEPS6_NSA_18transform_iteratorI7is_evenItESF_NSA_11use_defaultESK_EENS0_5tupleIJNSA_16discard_iteratorISK_EESO_EEENSM_IJSG_SG_EEES6_PlJS6_EEE10hipError_tPvRmT3_T4_T5_T6_T7_T9_mT8_P12ihipStream_tbDpT10_ENKUlT_T0_E_clISt17integral_constantIbLb0EES1B_EEDaS16_S17_EUlS16_E_NS1_11comp_targetILNS1_3genE4ELNS1_11target_archE910ELNS1_3gpuE8ELNS1_3repE0EEENS1_30default_config_static_selectorELNS0_4arch9wavefront6targetE1EEEvT1_ ; -- Begin function _ZN7rocprim17ROCPRIM_400000_NS6detail17trampoline_kernelINS0_14default_configENS1_25partition_config_selectorILNS1_17partition_subalgoE1EtNS0_10empty_typeEbEEZZNS1_14partition_implILS5_1ELb0ES3_jN6thrust23THRUST_200600_302600_NS6detail15normal_iteratorINSA_10device_ptrItEEEEPS6_NSA_18transform_iteratorI7is_evenItESF_NSA_11use_defaultESK_EENS0_5tupleIJNSA_16discard_iteratorISK_EESO_EEENSM_IJSG_SG_EEES6_PlJS6_EEE10hipError_tPvRmT3_T4_T5_T6_T7_T9_mT8_P12ihipStream_tbDpT10_ENKUlT_T0_E_clISt17integral_constantIbLb0EES1B_EEDaS16_S17_EUlS16_E_NS1_11comp_targetILNS1_3genE4ELNS1_11target_archE910ELNS1_3gpuE8ELNS1_3repE0EEENS1_30default_config_static_selectorELNS0_4arch9wavefront6targetE1EEEvT1_
	.globl	_ZN7rocprim17ROCPRIM_400000_NS6detail17trampoline_kernelINS0_14default_configENS1_25partition_config_selectorILNS1_17partition_subalgoE1EtNS0_10empty_typeEbEEZZNS1_14partition_implILS5_1ELb0ES3_jN6thrust23THRUST_200600_302600_NS6detail15normal_iteratorINSA_10device_ptrItEEEEPS6_NSA_18transform_iteratorI7is_evenItESF_NSA_11use_defaultESK_EENS0_5tupleIJNSA_16discard_iteratorISK_EESO_EEENSM_IJSG_SG_EEES6_PlJS6_EEE10hipError_tPvRmT3_T4_T5_T6_T7_T9_mT8_P12ihipStream_tbDpT10_ENKUlT_T0_E_clISt17integral_constantIbLb0EES1B_EEDaS16_S17_EUlS16_E_NS1_11comp_targetILNS1_3genE4ELNS1_11target_archE910ELNS1_3gpuE8ELNS1_3repE0EEENS1_30default_config_static_selectorELNS0_4arch9wavefront6targetE1EEEvT1_
	.p2align	8
	.type	_ZN7rocprim17ROCPRIM_400000_NS6detail17trampoline_kernelINS0_14default_configENS1_25partition_config_selectorILNS1_17partition_subalgoE1EtNS0_10empty_typeEbEEZZNS1_14partition_implILS5_1ELb0ES3_jN6thrust23THRUST_200600_302600_NS6detail15normal_iteratorINSA_10device_ptrItEEEEPS6_NSA_18transform_iteratorI7is_evenItESF_NSA_11use_defaultESK_EENS0_5tupleIJNSA_16discard_iteratorISK_EESO_EEENSM_IJSG_SG_EEES6_PlJS6_EEE10hipError_tPvRmT3_T4_T5_T6_T7_T9_mT8_P12ihipStream_tbDpT10_ENKUlT_T0_E_clISt17integral_constantIbLb0EES1B_EEDaS16_S17_EUlS16_E_NS1_11comp_targetILNS1_3genE4ELNS1_11target_archE910ELNS1_3gpuE8ELNS1_3repE0EEENS1_30default_config_static_selectorELNS0_4arch9wavefront6targetE1EEEvT1_,@function
_ZN7rocprim17ROCPRIM_400000_NS6detail17trampoline_kernelINS0_14default_configENS1_25partition_config_selectorILNS1_17partition_subalgoE1EtNS0_10empty_typeEbEEZZNS1_14partition_implILS5_1ELb0ES3_jN6thrust23THRUST_200600_302600_NS6detail15normal_iteratorINSA_10device_ptrItEEEEPS6_NSA_18transform_iteratorI7is_evenItESF_NSA_11use_defaultESK_EENS0_5tupleIJNSA_16discard_iteratorISK_EESO_EEENSM_IJSG_SG_EEES6_PlJS6_EEE10hipError_tPvRmT3_T4_T5_T6_T7_T9_mT8_P12ihipStream_tbDpT10_ENKUlT_T0_E_clISt17integral_constantIbLb0EES1B_EEDaS16_S17_EUlS16_E_NS1_11comp_targetILNS1_3genE4ELNS1_11target_archE910ELNS1_3gpuE8ELNS1_3repE0EEENS1_30default_config_static_selectorELNS0_4arch9wavefront6targetE1EEEvT1_: ; @_ZN7rocprim17ROCPRIM_400000_NS6detail17trampoline_kernelINS0_14default_configENS1_25partition_config_selectorILNS1_17partition_subalgoE1EtNS0_10empty_typeEbEEZZNS1_14partition_implILS5_1ELb0ES3_jN6thrust23THRUST_200600_302600_NS6detail15normal_iteratorINSA_10device_ptrItEEEEPS6_NSA_18transform_iteratorI7is_evenItESF_NSA_11use_defaultESK_EENS0_5tupleIJNSA_16discard_iteratorISK_EESO_EEENSM_IJSG_SG_EEES6_PlJS6_EEE10hipError_tPvRmT3_T4_T5_T6_T7_T9_mT8_P12ihipStream_tbDpT10_ENKUlT_T0_E_clISt17integral_constantIbLb0EES1B_EEDaS16_S17_EUlS16_E_NS1_11comp_targetILNS1_3genE4ELNS1_11target_archE910ELNS1_3gpuE8ELNS1_3repE0EEENS1_30default_config_static_selectorELNS0_4arch9wavefront6targetE1EEEvT1_
; %bb.0:
	s_load_dwordx2 s[0:1], s[4:5], 0x70
	s_load_dwordx4 s[12:15], s[4:5], 0x8
	s_load_dwordx2 s[2:3], s[4:5], 0x20
	s_load_dwordx4 s[20:23], s[4:5], 0x60
	v_lshlrev_b32_e32 v12, 1, v0
	s_waitcnt lgkmcnt(0)
	v_mov_b32_e32 v3, s1
	s_load_dword s1, s[4:5], 0x88
	s_lshl_b64 s[8:9], s[14:15], 1
	s_add_u32 s16, s12, s8
	s_addc_u32 s17, s13, s9
	v_mov_b32_e32 v2, s0
	s_waitcnt lgkmcnt(0)
	s_add_i32 s10, s1, -1
	s_mulk_i32 s1, 0x1400
	s_add_i32 s7, s1, s14
	s_sub_i32 s7, s0, s7
	s_addk_i32 s7, 0x1400
	s_add_u32 s0, s14, s1
	s_addc_u32 s1, s15, 0
	s_cmp_eq_u32 s6, s10
	s_load_dwordx2 s[18:19], s[22:23], 0x0
	s_cselect_b64 s[22:23], -1, 0
	s_cmp_lg_u32 s6, s10
	s_mul_i32 s12, s6, 0x1400
	s_mov_b32 s13, 0
	v_cmp_lt_u64_e32 vcc, s[0:1], v[2:3]
	s_cselect_b64 s[0:1], -1, 0
	s_or_b64 s[10:11], s[0:1], vcc
	s_lshl_b64 s[12:13], s[12:13], 1
	s_add_u32 s16, s16, s12
	s_addc_u32 s17, s17, s13
	s_mov_b64 s[0:1], -1
	s_and_b64 vcc, exec, s[10:11]
	s_cbranch_vccz .LBB3069_2
; %bb.1:
	v_mov_b32_e32 v1, s17
	v_add_co_u32_e32 v2, vcc, s16, v12
	v_addc_co_u32_e32 v3, vcc, 0, v1, vcc
	v_add_co_u32_e32 v4, vcc, 0x1000, v2
	v_addc_co_u32_e32 v5, vcc, 0, v3, vcc
	flat_load_ushort v1, v[2:3]
	flat_load_ushort v6, v[2:3] offset:512
	flat_load_ushort v7, v[2:3] offset:1024
	flat_load_ushort v8, v[2:3] offset:1536
	flat_load_ushort v9, v[2:3] offset:2048
	flat_load_ushort v10, v[2:3] offset:2560
	flat_load_ushort v11, v[2:3] offset:3072
	flat_load_ushort v13, v[2:3] offset:3584
	v_add_co_u32_e32 v2, vcc, 0x2000, v2
	v_addc_co_u32_e32 v3, vcc, 0, v3, vcc
	flat_load_ushort v14, v[4:5]
	flat_load_ushort v15, v[4:5] offset:512
	flat_load_ushort v16, v[4:5] offset:1024
	;; [unrolled: 1-line block ×7, first 2 shown]
	s_nop 0
	flat_load_ushort v4, v[2:3]
	flat_load_ushort v5, v[2:3] offset:512
	flat_load_ushort v22, v[2:3] offset:1024
	;; [unrolled: 1-line block ×3, first 2 shown]
	s_mov_b64 s[0:1], 0
	s_waitcnt vmcnt(0) lgkmcnt(0)
	ds_write_b16 v12, v1
	ds_write_b16 v12, v6 offset:512
	ds_write_b16 v12, v7 offset:1024
	ds_write_b16 v12, v8 offset:1536
	ds_write_b16 v12, v9 offset:2048
	ds_write_b16 v12, v10 offset:2560
	ds_write_b16 v12, v11 offset:3072
	ds_write_b16 v12, v13 offset:3584
	ds_write_b16 v12, v14 offset:4096
	ds_write_b16 v12, v15 offset:4608
	ds_write_b16 v12, v16 offset:5120
	ds_write_b16 v12, v17 offset:5632
	ds_write_b16 v12, v18 offset:6144
	ds_write_b16 v12, v19 offset:6656
	ds_write_b16 v12, v20 offset:7168
	ds_write_b16 v12, v21 offset:7680
	ds_write_b16 v12, v4 offset:8192
	ds_write_b16 v12, v5 offset:8704
	ds_write_b16 v12, v22 offset:9216
	ds_write_b16 v12, v23 offset:9728
	s_waitcnt lgkmcnt(0)
	s_barrier
.LBB3069_2:
	s_andn2_b64 vcc, exec, s[0:1]
	v_cmp_gt_u32_e64 s[0:1], s7, v0
	s_cbranch_vccnz .LBB3069_44
; %bb.3:
                                        ; implicit-def: $vgpr1
	s_and_saveexec_b64 s[14:15], s[0:1]
	s_cbranch_execz .LBB3069_5
; %bb.4:
	v_mov_b32_e32 v1, s17
	v_add_co_u32_e32 v2, vcc, s16, v12
	v_addc_co_u32_e32 v3, vcc, 0, v1, vcc
	flat_load_ushort v1, v[2:3]
.LBB3069_5:
	s_or_b64 exec, exec, s[14:15]
	v_or_b32_e32 v2, 0x100, v0
	v_cmp_gt_u32_e32 vcc, s7, v2
                                        ; implicit-def: $vgpr2
	s_and_saveexec_b64 s[0:1], vcc
	s_cbranch_execz .LBB3069_7
; %bb.6:
	v_mov_b32_e32 v3, s17
	v_add_co_u32_e32 v2, vcc, s16, v12
	v_addc_co_u32_e32 v3, vcc, 0, v3, vcc
	flat_load_ushort v2, v[2:3] offset:512
.LBB3069_7:
	s_or_b64 exec, exec, s[0:1]
	v_or_b32_e32 v3, 0x200, v0
	v_cmp_gt_u32_e32 vcc, s7, v3
                                        ; implicit-def: $vgpr3
	s_and_saveexec_b64 s[0:1], vcc
	s_cbranch_execz .LBB3069_9
; %bb.8:
	v_mov_b32_e32 v3, s17
	v_add_co_u32_e32 v4, vcc, s16, v12
	v_addc_co_u32_e32 v5, vcc, 0, v3, vcc
	flat_load_ushort v3, v[4:5] offset:1024
.LBB3069_9:
	s_or_b64 exec, exec, s[0:1]
	v_or_b32_e32 v4, 0x300, v0
	v_cmp_gt_u32_e32 vcc, s7, v4
                                        ; implicit-def: $vgpr4
	s_and_saveexec_b64 s[0:1], vcc
	s_cbranch_execz .LBB3069_11
; %bb.10:
	v_mov_b32_e32 v5, s17
	v_add_co_u32_e32 v4, vcc, s16, v12
	v_addc_co_u32_e32 v5, vcc, 0, v5, vcc
	flat_load_ushort v4, v[4:5] offset:1536
.LBB3069_11:
	s_or_b64 exec, exec, s[0:1]
	v_or_b32_e32 v5, 0x400, v0
	v_cmp_gt_u32_e32 vcc, s7, v5
                                        ; implicit-def: $vgpr5
	s_and_saveexec_b64 s[0:1], vcc
	s_cbranch_execz .LBB3069_13
; %bb.12:
	v_mov_b32_e32 v5, s17
	v_add_co_u32_e32 v6, vcc, s16, v12
	v_addc_co_u32_e32 v7, vcc, 0, v5, vcc
	flat_load_ushort v5, v[6:7] offset:2048
.LBB3069_13:
	s_or_b64 exec, exec, s[0:1]
	v_or_b32_e32 v6, 0x500, v0
	v_cmp_gt_u32_e32 vcc, s7, v6
                                        ; implicit-def: $vgpr6
	s_and_saveexec_b64 s[0:1], vcc
	s_cbranch_execz .LBB3069_15
; %bb.14:
	v_mov_b32_e32 v7, s17
	v_add_co_u32_e32 v6, vcc, s16, v12
	v_addc_co_u32_e32 v7, vcc, 0, v7, vcc
	flat_load_ushort v6, v[6:7] offset:2560
.LBB3069_15:
	s_or_b64 exec, exec, s[0:1]
	v_or_b32_e32 v7, 0x600, v0
	v_cmp_gt_u32_e32 vcc, s7, v7
                                        ; implicit-def: $vgpr7
	s_and_saveexec_b64 s[0:1], vcc
	s_cbranch_execz .LBB3069_17
; %bb.16:
	v_mov_b32_e32 v7, s17
	v_add_co_u32_e32 v8, vcc, s16, v12
	v_addc_co_u32_e32 v9, vcc, 0, v7, vcc
	flat_load_ushort v7, v[8:9] offset:3072
.LBB3069_17:
	s_or_b64 exec, exec, s[0:1]
	v_or_b32_e32 v8, 0x700, v0
	v_cmp_gt_u32_e32 vcc, s7, v8
                                        ; implicit-def: $vgpr8
	s_and_saveexec_b64 s[0:1], vcc
	s_cbranch_execz .LBB3069_19
; %bb.18:
	v_mov_b32_e32 v9, s17
	v_add_co_u32_e32 v8, vcc, s16, v12
	v_addc_co_u32_e32 v9, vcc, 0, v9, vcc
	flat_load_ushort v8, v[8:9] offset:3584
.LBB3069_19:
	s_or_b64 exec, exec, s[0:1]
	v_or_b32_e32 v10, 0x800, v0
	v_cmp_gt_u32_e32 vcc, s7, v10
                                        ; implicit-def: $vgpr9
	s_and_saveexec_b64 s[0:1], vcc
	s_cbranch_execz .LBB3069_21
; %bb.20:
	v_lshlrev_b32_e32 v9, 1, v10
	v_mov_b32_e32 v11, s17
	v_add_co_u32_e32 v10, vcc, s16, v9
	v_addc_co_u32_e32 v11, vcc, 0, v11, vcc
	flat_load_ushort v9, v[10:11]
.LBB3069_21:
	s_or_b64 exec, exec, s[0:1]
	v_or_b32_e32 v11, 0x900, v0
	v_cmp_gt_u32_e32 vcc, s7, v11
                                        ; implicit-def: $vgpr10
	s_and_saveexec_b64 s[0:1], vcc
	s_cbranch_execz .LBB3069_23
; %bb.22:
	v_lshlrev_b32_e32 v10, 1, v11
	v_mov_b32_e32 v11, s17
	v_add_co_u32_e32 v10, vcc, s16, v10
	v_addc_co_u32_e32 v11, vcc, 0, v11, vcc
	flat_load_ushort v10, v[10:11]
.LBB3069_23:
	s_or_b64 exec, exec, s[0:1]
	v_or_b32_e32 v13, 0xa00, v0
	v_cmp_gt_u32_e32 vcc, s7, v13
                                        ; implicit-def: $vgpr11
	s_and_saveexec_b64 s[0:1], vcc
	s_cbranch_execz .LBB3069_25
; %bb.24:
	v_lshlrev_b32_e32 v11, 1, v13
	v_mov_b32_e32 v13, s17
	v_add_co_u32_e32 v14, vcc, s16, v11
	v_addc_co_u32_e32 v15, vcc, 0, v13, vcc
	flat_load_ushort v11, v[14:15]
.LBB3069_25:
	s_or_b64 exec, exec, s[0:1]
	v_or_b32_e32 v14, 0xb00, v0
	v_cmp_gt_u32_e32 vcc, s7, v14
                                        ; implicit-def: $vgpr13
	s_and_saveexec_b64 s[0:1], vcc
	s_cbranch_execz .LBB3069_27
; %bb.26:
	v_lshlrev_b32_e32 v13, 1, v14
	v_mov_b32_e32 v15, s17
	v_add_co_u32_e32 v14, vcc, s16, v13
	v_addc_co_u32_e32 v15, vcc, 0, v15, vcc
	flat_load_ushort v13, v[14:15]
.LBB3069_27:
	s_or_b64 exec, exec, s[0:1]
	v_or_b32_e32 v15, 0xc00, v0
	v_cmp_gt_u32_e32 vcc, s7, v15
                                        ; implicit-def: $vgpr14
	s_and_saveexec_b64 s[0:1], vcc
	s_cbranch_execz .LBB3069_29
; %bb.28:
	v_lshlrev_b32_e32 v14, 1, v15
	v_mov_b32_e32 v15, s17
	v_add_co_u32_e32 v14, vcc, s16, v14
	v_addc_co_u32_e32 v15, vcc, 0, v15, vcc
	flat_load_ushort v14, v[14:15]
.LBB3069_29:
	s_or_b64 exec, exec, s[0:1]
	v_or_b32_e32 v16, 0xd00, v0
	v_cmp_gt_u32_e32 vcc, s7, v16
                                        ; implicit-def: $vgpr15
	s_and_saveexec_b64 s[0:1], vcc
	s_cbranch_execz .LBB3069_31
; %bb.30:
	v_lshlrev_b32_e32 v15, 1, v16
	v_mov_b32_e32 v17, s17
	v_add_co_u32_e32 v16, vcc, s16, v15
	v_addc_co_u32_e32 v17, vcc, 0, v17, vcc
	flat_load_ushort v15, v[16:17]
.LBB3069_31:
	s_or_b64 exec, exec, s[0:1]
	v_or_b32_e32 v17, 0xe00, v0
	v_cmp_gt_u32_e32 vcc, s7, v17
                                        ; implicit-def: $vgpr16
	s_and_saveexec_b64 s[0:1], vcc
	s_cbranch_execz .LBB3069_33
; %bb.32:
	v_lshlrev_b32_e32 v16, 1, v17
	v_mov_b32_e32 v17, s17
	v_add_co_u32_e32 v16, vcc, s16, v16
	v_addc_co_u32_e32 v17, vcc, 0, v17, vcc
	flat_load_ushort v16, v[16:17]
.LBB3069_33:
	s_or_b64 exec, exec, s[0:1]
	v_or_b32_e32 v18, 0xf00, v0
	v_cmp_gt_u32_e32 vcc, s7, v18
                                        ; implicit-def: $vgpr17
	s_and_saveexec_b64 s[0:1], vcc
	s_cbranch_execz .LBB3069_35
; %bb.34:
	v_lshlrev_b32_e32 v17, 1, v18
	v_mov_b32_e32 v19, s17
	v_add_co_u32_e32 v18, vcc, s16, v17
	v_addc_co_u32_e32 v19, vcc, 0, v19, vcc
	flat_load_ushort v17, v[18:19]
.LBB3069_35:
	s_or_b64 exec, exec, s[0:1]
	v_or_b32_e32 v19, 0x1000, v0
	v_cmp_gt_u32_e32 vcc, s7, v19
                                        ; implicit-def: $vgpr18
	s_and_saveexec_b64 s[0:1], vcc
	s_cbranch_execz .LBB3069_37
; %bb.36:
	v_lshlrev_b32_e32 v18, 1, v19
	v_mov_b32_e32 v19, s17
	v_add_co_u32_e32 v18, vcc, s16, v18
	v_addc_co_u32_e32 v19, vcc, 0, v19, vcc
	flat_load_ushort v18, v[18:19]
.LBB3069_37:
	s_or_b64 exec, exec, s[0:1]
	v_or_b32_e32 v20, 0x1100, v0
	v_cmp_gt_u32_e32 vcc, s7, v20
                                        ; implicit-def: $vgpr19
	s_and_saveexec_b64 s[0:1], vcc
	s_cbranch_execz .LBB3069_39
; %bb.38:
	v_lshlrev_b32_e32 v19, 1, v20
	v_mov_b32_e32 v21, s17
	v_add_co_u32_e32 v20, vcc, s16, v19
	v_addc_co_u32_e32 v21, vcc, 0, v21, vcc
	flat_load_ushort v19, v[20:21]
.LBB3069_39:
	s_or_b64 exec, exec, s[0:1]
	v_or_b32_e32 v21, 0x1200, v0
	v_cmp_gt_u32_e32 vcc, s7, v21
                                        ; implicit-def: $vgpr20
	s_and_saveexec_b64 s[0:1], vcc
	s_cbranch_execz .LBB3069_41
; %bb.40:
	v_lshlrev_b32_e32 v20, 1, v21
	v_mov_b32_e32 v21, s17
	v_add_co_u32_e32 v20, vcc, s16, v20
	v_addc_co_u32_e32 v21, vcc, 0, v21, vcc
	flat_load_ushort v20, v[20:21]
.LBB3069_41:
	s_or_b64 exec, exec, s[0:1]
	v_or_b32_e32 v22, 0x1300, v0
	v_cmp_gt_u32_e32 vcc, s7, v22
                                        ; implicit-def: $vgpr21
	s_and_saveexec_b64 s[0:1], vcc
	s_cbranch_execz .LBB3069_43
; %bb.42:
	v_lshlrev_b32_e32 v21, 1, v22
	v_mov_b32_e32 v23, s17
	v_add_co_u32_e32 v22, vcc, s16, v21
	v_addc_co_u32_e32 v23, vcc, 0, v23, vcc
	flat_load_ushort v21, v[22:23]
.LBB3069_43:
	s_or_b64 exec, exec, s[0:1]
	s_waitcnt vmcnt(0) lgkmcnt(0)
	ds_write_b16 v12, v1
	ds_write_b16 v12, v2 offset:512
	ds_write_b16 v12, v3 offset:1024
	ds_write_b16 v12, v4 offset:1536
	ds_write_b16 v12, v5 offset:2048
	ds_write_b16 v12, v6 offset:2560
	ds_write_b16 v12, v7 offset:3072
	ds_write_b16 v12, v8 offset:3584
	ds_write_b16 v12, v9 offset:4096
	ds_write_b16 v12, v10 offset:4608
	ds_write_b16 v12, v11 offset:5120
	ds_write_b16 v12, v13 offset:5632
	ds_write_b16 v12, v14 offset:6144
	ds_write_b16 v12, v15 offset:6656
	ds_write_b16 v12, v16 offset:7168
	ds_write_b16 v12, v17 offset:7680
	ds_write_b16 v12, v18 offset:8192
	ds_write_b16 v12, v19 offset:8704
	ds_write_b16 v12, v20 offset:9216
	ds_write_b16 v12, v21 offset:9728
	s_waitcnt lgkmcnt(0)
	s_barrier
.LBB3069_44:
	v_mul_u32_u24_e32 v1, 20, v0
	v_lshlrev_b32_e32 v6, 1, v1
	s_waitcnt lgkmcnt(0)
	ds_read_b64 v[10:11], v6 offset:32
	ds_read2_b64 v[2:5], v6 offset0:2 offset1:3
	ds_read2_b64 v[6:9], v6 offset1:1
	s_add_u32 s0, s2, s8
	s_addc_u32 s1, s3, s9
	s_add_u32 s0, s0, s12
	s_addc_u32 s1, s1, s13
	s_mov_b64 s[2:3], -1
	s_and_b64 vcc, exec, s[10:11]
	s_waitcnt lgkmcnt(0)
	s_barrier
	s_cbranch_vccz .LBB3069_46
; %bb.45:
	v_mov_b32_e32 v14, s1
	v_add_co_u32_e32 v16, vcc, s0, v12
	s_movk_i32 s2, 0x1000
	v_addc_co_u32_e32 v17, vcc, 0, v14, vcc
	v_add_co_u32_e32 v14, vcc, s2, v16
	s_movk_i32 s3, 0x2000
	v_addc_co_u32_e32 v15, vcc, 0, v17, vcc
	global_load_ubyte v13, v12, s[0:1]
	global_load_ubyte v18, v12, s[0:1] offset:512
	global_load_ubyte v19, v12, s[0:1] offset:1024
	;; [unrolled: 1-line block ×7, first 2 shown]
	v_add_co_u32_e32 v16, vcc, s3, v16
	v_addc_co_u32_e32 v17, vcc, 0, v17, vcc
	global_load_ubyte v25, v[16:17], off offset:-4096
	global_load_ubyte v26, v[14:15], off offset:512
	global_load_ubyte v27, v[14:15], off offset:1024
	;; [unrolled: 1-line block ×7, first 2 shown]
	global_load_ubyte v33, v[16:17], off
	global_load_ubyte v34, v[16:17], off offset:512
	global_load_ubyte v35, v[16:17], off offset:1024
	;; [unrolled: 1-line block ×3, first 2 shown]
	s_mov_b64 s[2:3], 0
	s_waitcnt vmcnt(19)
	v_xor_b32_e32 v13, -1, v13
	s_waitcnt vmcnt(18)
	v_xor_b32_e32 v14, -1, v18
	;; [unrolled: 2-line block ×8, first 2 shown]
	v_and_b32_e32 v13, 1, v13
	v_and_b32_e32 v14, 1, v14
	;; [unrolled: 1-line block ×8, first 2 shown]
	ds_write_b8 v0, v13
	ds_write_b8 v0, v14 offset:256
	ds_write_b8 v0, v15 offset:512
	;; [unrolled: 1-line block ×7, first 2 shown]
	s_waitcnt vmcnt(11)
	v_xor_b32_e32 v13, -1, v25
	s_waitcnt vmcnt(10)
	v_xor_b32_e32 v14, -1, v26
	;; [unrolled: 2-line block ×12, first 2 shown]
	v_and_b32_e32 v13, 1, v13
	v_and_b32_e32 v14, 1, v14
	v_and_b32_e32 v15, 1, v15
	v_and_b32_e32 v16, 1, v16
	v_and_b32_e32 v17, 1, v17
	v_and_b32_e32 v18, 1, v18
	v_and_b32_e32 v19, 1, v19
	v_and_b32_e32 v20, 1, v20
	v_and_b32_e32 v21, 1, v21
	v_and_b32_e32 v22, 1, v22
	v_and_b32_e32 v23, 1, v23
	v_and_b32_e32 v24, 1, v24
	ds_write_b8 v0, v13 offset:2048
	ds_write_b8 v0, v14 offset:2304
	;; [unrolled: 1-line block ×12, first 2 shown]
	s_waitcnt lgkmcnt(0)
	s_barrier
.LBB3069_46:
	s_load_dwordx2 s[24:25], s[4:5], 0x80
	s_andn2_b64 vcc, exec, s[2:3]
	s_cbranch_vccnz .LBB3069_88
; %bb.47:
	v_cmp_gt_u32_e32 vcc, s7, v0
	v_mov_b32_e32 v13, 0
	v_mov_b32_e32 v14, 0
	s_and_saveexec_b64 s[2:3], vcc
	s_cbranch_execz .LBB3069_49
; %bb.48:
	global_load_ubyte v14, v12, s[0:1]
	s_waitcnt vmcnt(0)
	v_xor_b32_e32 v14, -1, v14
	v_and_b32_e32 v14, 1, v14
.LBB3069_49:
	s_or_b64 exec, exec, s[2:3]
	v_or_b32_e32 v15, 0x100, v0
	v_cmp_gt_u32_e32 vcc, s7, v15
	s_and_saveexec_b64 s[2:3], vcc
	s_cbranch_execz .LBB3069_51
; %bb.50:
	global_load_ubyte v13, v12, s[0:1] offset:512
	s_waitcnt vmcnt(0)
	v_xor_b32_e32 v13, -1, v13
	v_and_b32_e32 v13, 1, v13
.LBB3069_51:
	s_or_b64 exec, exec, s[2:3]
	v_or_b32_e32 v15, 0x200, v0
	v_cmp_gt_u32_e32 vcc, s7, v15
	v_mov_b32_e32 v15, 0
	v_mov_b32_e32 v16, 0
	s_and_saveexec_b64 s[2:3], vcc
	s_cbranch_execz .LBB3069_53
; %bb.52:
	global_load_ubyte v16, v12, s[0:1] offset:1024
	s_waitcnt vmcnt(0)
	v_xor_b32_e32 v16, -1, v16
	v_and_b32_e32 v16, 1, v16
.LBB3069_53:
	s_or_b64 exec, exec, s[2:3]
	v_or_b32_e32 v17, 0x300, v0
	v_cmp_gt_u32_e32 vcc, s7, v17
	s_and_saveexec_b64 s[2:3], vcc
	s_cbranch_execz .LBB3069_55
; %bb.54:
	global_load_ubyte v15, v12, s[0:1] offset:1536
	s_waitcnt vmcnt(0)
	v_xor_b32_e32 v15, -1, v15
	v_and_b32_e32 v15, 1, v15
.LBB3069_55:
	s_or_b64 exec, exec, s[2:3]
	v_or_b32_e32 v17, 0x400, v0
	v_cmp_gt_u32_e32 vcc, s7, v17
	v_mov_b32_e32 v17, 0
	v_mov_b32_e32 v18, 0
	s_and_saveexec_b64 s[2:3], vcc
	s_cbranch_execz .LBB3069_57
; %bb.56:
	global_load_ubyte v18, v12, s[0:1] offset:2048
	s_waitcnt vmcnt(0)
	v_xor_b32_e32 v18, -1, v18
	v_and_b32_e32 v18, 1, v18
.LBB3069_57:
	;; [unrolled: 24-line block ×3, first 2 shown]
	s_or_b64 exec, exec, s[2:3]
	v_or_b32_e32 v21, 0x700, v0
	v_cmp_gt_u32_e32 vcc, s7, v21
	s_and_saveexec_b64 s[2:3], vcc
	s_cbranch_execz .LBB3069_63
; %bb.62:
	global_load_ubyte v12, v12, s[0:1] offset:3584
	s_waitcnt vmcnt(0)
	v_xor_b32_e32 v12, -1, v12
	v_and_b32_e32 v19, 1, v12
.LBB3069_63:
	s_or_b64 exec, exec, s[2:3]
	v_or_b32_e32 v22, 0x800, v0
	v_cmp_gt_u32_e32 vcc, s7, v22
	v_mov_b32_e32 v12, 0
	v_mov_b32_e32 v21, 0
	s_and_saveexec_b64 s[2:3], vcc
	s_cbranch_execz .LBB3069_65
; %bb.64:
	v_lshlrev_b32_e32 v21, 1, v22
	global_load_ubyte v21, v21, s[0:1]
	s_waitcnt vmcnt(0)
	v_xor_b32_e32 v21, -1, v21
	v_and_b32_e32 v21, 1, v21
.LBB3069_65:
	s_or_b64 exec, exec, s[2:3]
	v_or_b32_e32 v22, 0x900, v0
	v_cmp_gt_u32_e32 vcc, s7, v22
	s_and_saveexec_b64 s[2:3], vcc
	s_cbranch_execz .LBB3069_67
; %bb.66:
	v_lshlrev_b32_e32 v12, 1, v22
	global_load_ubyte v12, v12, s[0:1]
	s_waitcnt vmcnt(0)
	v_xor_b32_e32 v12, -1, v12
	v_and_b32_e32 v12, 1, v12
.LBB3069_67:
	s_or_b64 exec, exec, s[2:3]
	v_or_b32_e32 v24, 0xa00, v0
	v_cmp_gt_u32_e32 vcc, s7, v24
	v_mov_b32_e32 v22, 0
	v_mov_b32_e32 v23, 0
	s_and_saveexec_b64 s[2:3], vcc
	s_cbranch_execz .LBB3069_69
; %bb.68:
	v_lshlrev_b32_e32 v23, 1, v24
	global_load_ubyte v23, v23, s[0:1]
	s_waitcnt vmcnt(0)
	v_xor_b32_e32 v23, -1, v23
	v_and_b32_e32 v23, 1, v23
.LBB3069_69:
	s_or_b64 exec, exec, s[2:3]
	v_or_b32_e32 v24, 0xb00, v0
	v_cmp_gt_u32_e32 vcc, s7, v24
	s_and_saveexec_b64 s[2:3], vcc
	s_cbranch_execz .LBB3069_71
; %bb.70:
	v_lshlrev_b32_e32 v22, 1, v24
	global_load_ubyte v22, v22, s[0:1]
	s_waitcnt vmcnt(0)
	v_xor_b32_e32 v22, -1, v22
	v_and_b32_e32 v22, 1, v22
.LBB3069_71:
	;; [unrolled: 26-line block ×6, first 2 shown]
	s_or_b64 exec, exec, s[2:3]
	ds_write_b8 v0, v14
	ds_write_b8 v0, v13 offset:256
	ds_write_b8 v0, v16 offset:512
	;; [unrolled: 1-line block ×19, first 2 shown]
	s_waitcnt lgkmcnt(0)
	s_barrier
.LBB3069_88:
	s_waitcnt lgkmcnt(0)
	ds_read2_b32 v[14:15], v1 offset1:1
	ds_read2_b32 v[12:13], v1 offset0:2 offset1:3
	ds_read_b32 v27, v1 offset:16
	s_cmp_lg_u32 s6, 0
	v_lshrrev_b32_e32 v46, 6, v0
	s_waitcnt lgkmcnt(2)
	v_lshrrev_b32_e32 v32, 24, v14
	v_bfe_u32 v44, v14, 16, 8
	v_add_u32_sdwa v16, v14, v14 dst_sel:DWORD dst_unused:UNUSED_PAD src0_sel:BYTE_1 src1_sel:BYTE_0
	v_and_b32_e32 v41, 0xff, v15
	v_bfe_u32 v42, v15, 8, 8
	v_add3_u32 v16, v16, v44, v32
	v_lshrrev_b32_e32 v31, 24, v15
	v_bfe_u32 v43, v15, 16, 8
	v_add3_u32 v16, v16, v41, v42
	s_waitcnt lgkmcnt(1)
	v_and_b32_e32 v38, 0xff, v12
	v_bfe_u32 v39, v12, 8, 8
	v_add3_u32 v16, v16, v43, v31
	v_lshrrev_b32_e32 v30, 24, v12
	v_bfe_u32 v40, v12, 16, 8
	v_add3_u32 v16, v16, v38, v39
	v_and_b32_e32 v35, 0xff, v13
	v_bfe_u32 v36, v13, 8, 8
	v_add3_u32 v16, v16, v40, v30
	v_lshrrev_b32_e32 v29, 24, v13
	v_bfe_u32 v37, v13, 16, 8
	v_add3_u32 v16, v16, v35, v36
	s_waitcnt lgkmcnt(0)
	v_and_b32_e32 v33, 0xff, v27
	v_bfe_u32 v34, v27, 8, 8
	v_add3_u32 v16, v16, v37, v29
	v_lshrrev_b32_e32 v26, 24, v27
	v_bfe_u32 v28, v27, 16, 8
	v_add3_u32 v16, v16, v33, v34
	v_add3_u32 v47, v16, v28, v26
	v_mbcnt_lo_u32_b32 v16, -1, 0
	v_mbcnt_hi_u32_b32 v45, -1, v16
	v_and_b32_e32 v16, 15, v45
	v_cmp_eq_u32_e64 s[12:13], 0, v16
	v_cmp_lt_u32_e64 s[10:11], 1, v16
	v_cmp_lt_u32_e64 s[8:9], 3, v16
	;; [unrolled: 1-line block ×3, first 2 shown]
	v_and_b32_e32 v16, 16, v45
	v_cmp_eq_u32_e64 s[4:5], 0, v16
	v_or_b32_e32 v16, 63, v0
	v_cmp_lt_u32_e64 s[0:1], 31, v45
	v_cmp_eq_u32_e64 s[2:3], v16, v0
	s_barrier
	s_cbranch_scc0 .LBB3069_115
; %bb.89:
	v_mov_b32_dpp v16, v47 row_shr:1 row_mask:0xf bank_mask:0xf
	v_cndmask_b32_e64 v16, v16, 0, s[12:13]
	v_add_u32_e32 v16, v16, v47
	s_nop 1
	v_mov_b32_dpp v17, v16 row_shr:2 row_mask:0xf bank_mask:0xf
	v_cndmask_b32_e64 v17, 0, v17, s[10:11]
	v_add_u32_e32 v16, v16, v17
	s_nop 1
	;; [unrolled: 4-line block ×4, first 2 shown]
	v_mov_b32_dpp v17, v16 row_bcast:15 row_mask:0xf bank_mask:0xf
	v_cndmask_b32_e64 v17, v17, 0, s[4:5]
	v_add_u32_e32 v16, v16, v17
	s_nop 1
	v_mov_b32_dpp v17, v16 row_bcast:31 row_mask:0xf bank_mask:0xf
	v_cndmask_b32_e64 v17, 0, v17, s[0:1]
	v_add_u32_e32 v16, v16, v17
	s_and_saveexec_b64 s[14:15], s[2:3]
	s_cbranch_execz .LBB3069_91
; %bb.90:
	v_lshlrev_b32_e32 v17, 2, v46
	ds_write_b32 v17, v16
.LBB3069_91:
	s_or_b64 exec, exec, s[14:15]
	v_cmp_gt_u32_e32 vcc, 4, v0
	s_waitcnt lgkmcnt(0)
	s_barrier
	s_and_saveexec_b64 s[14:15], vcc
	s_cbranch_execz .LBB3069_93
; %bb.92:
	v_lshlrev_b32_e32 v17, 2, v0
	ds_read_b32 v18, v17
	v_and_b32_e32 v19, 3, v45
	v_cmp_ne_u32_e32 vcc, 0, v19
	s_waitcnt lgkmcnt(0)
	v_mov_b32_dpp v20, v18 row_shr:1 row_mask:0xf bank_mask:0xf
	v_cndmask_b32_e32 v20, 0, v20, vcc
	v_add_u32_e32 v18, v20, v18
	v_cmp_lt_u32_e32 vcc, 1, v19
	s_nop 0
	v_mov_b32_dpp v20, v18 row_shr:2 row_mask:0xf bank_mask:0xf
	v_cndmask_b32_e32 v19, 0, v20, vcc
	v_add_u32_e32 v18, v18, v19
	ds_write_b32 v17, v18
.LBB3069_93:
	s_or_b64 exec, exec, s[14:15]
	v_cmp_gt_u32_e32 vcc, 64, v0
	v_cmp_lt_u32_e64 s[14:15], 63, v0
	s_waitcnt lgkmcnt(0)
	s_barrier
	s_waitcnt lgkmcnt(0)
                                        ; implicit-def: $vgpr48
	s_and_saveexec_b64 s[26:27], s[14:15]
	s_cbranch_execz .LBB3069_95
; %bb.94:
	v_lshl_add_u32 v17, v46, 2, -4
	ds_read_b32 v48, v17
	s_waitcnt lgkmcnt(0)
	v_add_u32_e32 v16, v48, v16
.LBB3069_95:
	s_or_b64 exec, exec, s[26:27]
	v_add_u32_e32 v17, -1, v45
	v_and_b32_e32 v18, 64, v45
	v_cmp_lt_i32_e64 s[14:15], v17, v18
	v_cndmask_b32_e64 v17, v17, v45, s[14:15]
	v_lshlrev_b32_e32 v17, 2, v17
	ds_bpermute_b32 v49, v17, v16
	v_cmp_eq_u32_e64 s[14:15], 0, v45
	s_and_saveexec_b64 s[26:27], vcc
	s_cbranch_execz .LBB3069_114
; %bb.96:
	v_mov_b32_e32 v23, 0
	ds_read_b32 v16, v23 offset:12
	s_and_saveexec_b64 s[28:29], s[14:15]
	s_cbranch_execz .LBB3069_98
; %bb.97:
	s_add_i32 s30, s6, 64
	s_mov_b32 s31, 0
	s_lshl_b64 s[30:31], s[30:31], 3
	s_add_u32 s30, s24, s30
	v_mov_b32_e32 v17, 1
	s_addc_u32 s31, s25, s31
	s_waitcnt lgkmcnt(0)
	global_store_dwordx2 v23, v[16:17], s[30:31]
.LBB3069_98:
	s_or_b64 exec, exec, s[28:29]
	v_xad_u32 v18, v45, -1, s6
	v_add_u32_e32 v22, 64, v18
	v_lshlrev_b64 v[20:21], 3, v[22:23]
	v_mov_b32_e32 v17, s25
	v_add_co_u32_e32 v24, vcc, s24, v20
	v_addc_co_u32_e32 v25, vcc, v17, v21, vcc
	global_load_dwordx2 v[20:21], v[24:25], off glc
	s_waitcnt vmcnt(0)
	v_cmp_eq_u16_sdwa s[30:31], v21, v23 src0_sel:BYTE_0 src1_sel:DWORD
	s_and_saveexec_b64 s[28:29], s[30:31]
	s_cbranch_execz .LBB3069_102
; %bb.99:
	s_mov_b64 s[30:31], 0
	v_mov_b32_e32 v17, 0
.LBB3069_100:                           ; =>This Inner Loop Header: Depth=1
	global_load_dwordx2 v[20:21], v[24:25], off glc
	s_waitcnt vmcnt(0)
	v_cmp_ne_u16_sdwa s[34:35], v21, v17 src0_sel:BYTE_0 src1_sel:DWORD
	s_or_b64 s[30:31], s[34:35], s[30:31]
	s_andn2_b64 exec, exec, s[30:31]
	s_cbranch_execnz .LBB3069_100
; %bb.101:
	s_or_b64 exec, exec, s[30:31]
.LBB3069_102:
	s_or_b64 exec, exec, s[28:29]
	v_and_b32_e32 v51, 63, v45
	v_mov_b32_e32 v50, 2
	v_cmp_ne_u32_e32 vcc, 63, v51
	v_cmp_eq_u16_sdwa s[28:29], v21, v50 src0_sel:BYTE_0 src1_sel:DWORD
	v_lshlrev_b64 v[22:23], v45, -1
	v_addc_co_u32_e32 v24, vcc, 0, v45, vcc
	v_and_b32_e32 v17, s29, v23
	v_lshlrev_b32_e32 v52, 2, v24
	v_or_b32_e32 v17, 0x80000000, v17
	ds_bpermute_b32 v24, v52, v20
	v_and_b32_e32 v19, s28, v22
	v_ffbl_b32_e32 v17, v17
	v_add_u32_e32 v17, 32, v17
	v_ffbl_b32_e32 v19, v19
	v_min_u32_e32 v17, v19, v17
	v_cmp_lt_u32_e32 vcc, v51, v17
	s_waitcnt lgkmcnt(0)
	v_cndmask_b32_e32 v19, 0, v24, vcc
	v_cmp_gt_u32_e32 vcc, 62, v51
	v_add_u32_e32 v19, v19, v20
	v_cndmask_b32_e64 v20, 0, 1, vcc
	v_lshlrev_b32_e32 v20, 1, v20
	v_add_lshl_u32 v53, v20, v45, 2
	ds_bpermute_b32 v20, v53, v19
	v_add_u32_e32 v54, 2, v51
	v_cmp_le_u32_e32 vcc, v54, v17
	v_add_u32_e32 v56, 4, v51
	v_add_u32_e32 v58, 8, v51
	s_waitcnt lgkmcnt(0)
	v_cndmask_b32_e32 v20, 0, v20, vcc
	v_cmp_gt_u32_e32 vcc, 60, v51
	v_add_u32_e32 v19, v19, v20
	v_cndmask_b32_e64 v20, 0, 1, vcc
	v_lshlrev_b32_e32 v20, 2, v20
	v_add_lshl_u32 v55, v20, v45, 2
	ds_bpermute_b32 v20, v55, v19
	v_cmp_le_u32_e32 vcc, v56, v17
	v_add_u32_e32 v60, 16, v51
	v_add_u32_e32 v62, 32, v51
	s_waitcnt lgkmcnt(0)
	v_cndmask_b32_e32 v20, 0, v20, vcc
	v_cmp_gt_u32_e32 vcc, 56, v51
	v_add_u32_e32 v19, v19, v20
	v_cndmask_b32_e64 v20, 0, 1, vcc
	v_lshlrev_b32_e32 v20, 3, v20
	v_add_lshl_u32 v57, v20, v45, 2
	ds_bpermute_b32 v20, v57, v19
	v_cmp_le_u32_e32 vcc, v58, v17
	s_waitcnt lgkmcnt(0)
	v_cndmask_b32_e32 v20, 0, v20, vcc
	v_cmp_gt_u32_e32 vcc, 48, v51
	v_add_u32_e32 v19, v19, v20
	v_cndmask_b32_e64 v20, 0, 1, vcc
	v_lshlrev_b32_e32 v20, 4, v20
	v_add_lshl_u32 v59, v20, v45, 2
	ds_bpermute_b32 v20, v59, v19
	v_cmp_le_u32_e32 vcc, v60, v17
	;; [unrolled: 9-line block ×3, first 2 shown]
	s_waitcnt lgkmcnt(0)
	v_cndmask_b32_e32 v17, 0, v20, vcc
	v_add_u32_e32 v20, v19, v17
	v_mov_b32_e32 v19, 0
	s_branch .LBB3069_104
.LBB3069_103:                           ;   in Loop: Header=BB3069_104 Depth=1
	s_or_b64 exec, exec, s[28:29]
	v_cmp_eq_u16_sdwa s[28:29], v21, v50 src0_sel:BYTE_0 src1_sel:DWORD
	v_and_b32_e32 v24, s29, v23
	v_or_b32_e32 v24, 0x80000000, v24
	ds_bpermute_b32 v63, v52, v20
	v_and_b32_e32 v25, s28, v22
	v_ffbl_b32_e32 v24, v24
	v_add_u32_e32 v24, 32, v24
	v_ffbl_b32_e32 v25, v25
	v_min_u32_e32 v24, v25, v24
	v_cmp_lt_u32_e32 vcc, v51, v24
	s_waitcnt lgkmcnt(0)
	v_cndmask_b32_e32 v25, 0, v63, vcc
	v_add_u32_e32 v20, v25, v20
	ds_bpermute_b32 v25, v53, v20
	v_cmp_le_u32_e32 vcc, v54, v24
	v_subrev_u32_e32 v18, 64, v18
	s_waitcnt lgkmcnt(0)
	v_cndmask_b32_e32 v25, 0, v25, vcc
	v_add_u32_e32 v20, v20, v25
	ds_bpermute_b32 v25, v55, v20
	v_cmp_le_u32_e32 vcc, v56, v24
	s_waitcnt lgkmcnt(0)
	v_cndmask_b32_e32 v25, 0, v25, vcc
	v_add_u32_e32 v20, v20, v25
	ds_bpermute_b32 v25, v57, v20
	v_cmp_le_u32_e32 vcc, v58, v24
	;; [unrolled: 5-line block ×4, first 2 shown]
	s_waitcnt lgkmcnt(0)
	v_cndmask_b32_e32 v24, 0, v25, vcc
	v_add3_u32 v20, v24, v17, v20
.LBB3069_104:                           ; =>This Loop Header: Depth=1
                                        ;     Child Loop BB3069_107 Depth 2
	v_cmp_ne_u16_sdwa s[28:29], v21, v50 src0_sel:BYTE_0 src1_sel:DWORD
	v_cndmask_b32_e64 v17, 0, 1, s[28:29]
	;;#ASMSTART
	;;#ASMEND
	v_cmp_ne_u32_e32 vcc, 0, v17
	s_cmp_lg_u64 vcc, exec
	v_mov_b32_e32 v17, v20
	s_cbranch_scc1 .LBB3069_109
; %bb.105:                              ;   in Loop: Header=BB3069_104 Depth=1
	v_lshlrev_b64 v[20:21], 3, v[18:19]
	v_mov_b32_e32 v25, s25
	v_add_co_u32_e32 v24, vcc, s24, v20
	v_addc_co_u32_e32 v25, vcc, v25, v21, vcc
	global_load_dwordx2 v[20:21], v[24:25], off glc
	s_waitcnt vmcnt(0)
	v_cmp_eq_u16_sdwa s[30:31], v21, v19 src0_sel:BYTE_0 src1_sel:DWORD
	s_and_saveexec_b64 s[28:29], s[30:31]
	s_cbranch_execz .LBB3069_103
; %bb.106:                              ;   in Loop: Header=BB3069_104 Depth=1
	s_mov_b64 s[30:31], 0
.LBB3069_107:                           ;   Parent Loop BB3069_104 Depth=1
                                        ; =>  This Inner Loop Header: Depth=2
	global_load_dwordx2 v[20:21], v[24:25], off glc
	s_waitcnt vmcnt(0)
	v_cmp_ne_u16_sdwa s[34:35], v21, v19 src0_sel:BYTE_0 src1_sel:DWORD
	s_or_b64 s[30:31], s[34:35], s[30:31]
	s_andn2_b64 exec, exec, s[30:31]
	s_cbranch_execnz .LBB3069_107
; %bb.108:                              ;   in Loop: Header=BB3069_104 Depth=1
	s_or_b64 exec, exec, s[30:31]
	s_branch .LBB3069_103
.LBB3069_109:                           ;   in Loop: Header=BB3069_104 Depth=1
                                        ; implicit-def: $vgpr20
                                        ; implicit-def: $vgpr21
	s_cbranch_execz .LBB3069_104
; %bb.110:
	s_and_saveexec_b64 s[28:29], s[14:15]
	s_cbranch_execz .LBB3069_112
; %bb.111:
	s_add_i32 s6, s6, 64
	s_mov_b32 s7, 0
	s_lshl_b64 s[6:7], s[6:7], 3
	s_add_u32 s6, s24, s6
	v_add_u32_e32 v18, v17, v16
	v_mov_b32_e32 v19, 2
	s_addc_u32 s7, s25, s7
	v_mov_b32_e32 v20, 0
	global_store_dwordx2 v20, v[18:19], s[6:7]
	ds_write_b64 v20, v[16:17] offset:10240
.LBB3069_112:
	s_or_b64 exec, exec, s[28:29]
	v_cmp_eq_u32_e32 vcc, 0, v0
	s_and_b64 exec, exec, vcc
	s_cbranch_execz .LBB3069_114
; %bb.113:
	v_mov_b32_e32 v16, 0
	ds_write_b32 v16, v17 offset:12
.LBB3069_114:
	s_or_b64 exec, exec, s[26:27]
	v_mov_b32_e32 v16, 0
	s_waitcnt lgkmcnt(0)
	s_barrier
	ds_read_b32 v19, v16 offset:12
	s_waitcnt lgkmcnt(0)
	s_barrier
	ds_read_b64 v[16:17], v16 offset:10240
	v_cndmask_b32_e64 v18, v49, v48, s[14:15]
	v_cmp_ne_u32_e32 vcc, 0, v0
	v_cndmask_b32_e32 v18, 0, v18, vcc
	v_add_u32_e32 v22, v19, v18
	s_branch .LBB3069_125
.LBB3069_115:
                                        ; implicit-def: $vgpr17
                                        ; implicit-def: $vgpr22
	s_cbranch_execz .LBB3069_125
; %bb.116:
	s_waitcnt lgkmcnt(0)
	v_mov_b32_dpp v16, v47 row_shr:1 row_mask:0xf bank_mask:0xf
	v_cndmask_b32_e64 v16, v16, 0, s[12:13]
	v_add_u32_e32 v16, v16, v47
	s_nop 1
	v_mov_b32_dpp v17, v16 row_shr:2 row_mask:0xf bank_mask:0xf
	v_cndmask_b32_e64 v17, 0, v17, s[10:11]
	v_add_u32_e32 v16, v16, v17
	s_nop 1
	v_mov_b32_dpp v17, v16 row_shr:4 row_mask:0xf bank_mask:0xf
	v_cndmask_b32_e64 v17, 0, v17, s[8:9]
	v_add_u32_e32 v16, v16, v17
	s_nop 1
	v_mov_b32_dpp v17, v16 row_shr:8 row_mask:0xf bank_mask:0xf
	v_cndmask_b32_e64 v17, 0, v17, s[16:17]
	v_add_u32_e32 v16, v16, v17
	s_nop 1
	v_mov_b32_dpp v17, v16 row_bcast:15 row_mask:0xf bank_mask:0xf
	v_cndmask_b32_e64 v17, v17, 0, s[4:5]
	v_add_u32_e32 v16, v16, v17
	s_nop 1
	v_mov_b32_dpp v17, v16 row_bcast:31 row_mask:0xf bank_mask:0xf
	v_cndmask_b32_e64 v17, 0, v17, s[0:1]
	v_add_u32_e32 v16, v16, v17
	s_and_saveexec_b64 s[0:1], s[2:3]
	s_cbranch_execz .LBB3069_118
; %bb.117:
	v_lshlrev_b32_e32 v17, 2, v46
	ds_write_b32 v17, v16
.LBB3069_118:
	s_or_b64 exec, exec, s[0:1]
	v_cmp_gt_u32_e32 vcc, 4, v0
	s_waitcnt lgkmcnt(0)
	s_barrier
	s_and_saveexec_b64 s[0:1], vcc
	s_cbranch_execz .LBB3069_120
; %bb.119:
	v_lshlrev_b32_e32 v17, 2, v0
	ds_read_b32 v18, v17
	v_and_b32_e32 v19, 3, v45
	v_cmp_ne_u32_e32 vcc, 0, v19
	s_waitcnt lgkmcnt(0)
	v_mov_b32_dpp v20, v18 row_shr:1 row_mask:0xf bank_mask:0xf
	v_cndmask_b32_e32 v20, 0, v20, vcc
	v_add_u32_e32 v18, v20, v18
	v_cmp_lt_u32_e32 vcc, 1, v19
	s_nop 0
	v_mov_b32_dpp v20, v18 row_shr:2 row_mask:0xf bank_mask:0xf
	v_cndmask_b32_e32 v19, 0, v20, vcc
	v_add_u32_e32 v18, v18, v19
	ds_write_b32 v17, v18
.LBB3069_120:
	s_or_b64 exec, exec, s[0:1]
	v_cmp_lt_u32_e32 vcc, 63, v0
	v_mov_b32_e32 v17, 0
	v_mov_b32_e32 v18, 0
	s_waitcnt lgkmcnt(0)
	s_barrier
	s_and_saveexec_b64 s[0:1], vcc
	s_cbranch_execz .LBB3069_122
; %bb.121:
	v_lshl_add_u32 v18, v46, 2, -4
	ds_read_b32 v18, v18
.LBB3069_122:
	s_or_b64 exec, exec, s[0:1]
	v_add_u32_e32 v19, -1, v45
	v_and_b32_e32 v20, 64, v45
	v_cmp_lt_i32_e32 vcc, v19, v20
	v_cndmask_b32_e32 v19, v19, v45, vcc
	s_waitcnt lgkmcnt(0)
	v_add_u32_e32 v16, v18, v16
	v_lshlrev_b32_e32 v19, 2, v19
	ds_bpermute_b32 v19, v19, v16
	ds_read_b32 v16, v17 offset:12
	v_cmp_eq_u32_e32 vcc, 0, v0
	s_and_saveexec_b64 s[0:1], vcc
	s_cbranch_execz .LBB3069_124
; %bb.123:
	v_mov_b32_e32 v20, 0
	v_mov_b32_e32 v17, 2
	s_waitcnt lgkmcnt(0)
	global_store_dwordx2 v20, v[16:17], s[24:25] offset:512
.LBB3069_124:
	s_or_b64 exec, exec, s[0:1]
	v_cmp_eq_u32_e64 s[0:1], 0, v45
	s_waitcnt lgkmcnt(1)
	v_cndmask_b32_e64 v18, v19, v18, s[0:1]
	v_mov_b32_e32 v17, 0
	v_cndmask_b32_e64 v22, v18, 0, vcc
	s_waitcnt lgkmcnt(0)
	s_barrier
.LBB3069_125:
	v_add_u32_sdwa v24, v22, v14 dst_sel:DWORD dst_unused:UNUSED_PAD src0_sel:DWORD src1_sel:BYTE_0
	s_waitcnt lgkmcnt(0)
	v_add_u32_e32 v1, v16, v1
	v_sub_u32_e32 v22, v22, v17
	v_and_b32_e32 v50, 1, v14
	v_sub_u32_e32 v49, v1, v22
	v_cmp_eq_u32_e32 vcc, 1, v50
	v_cndmask_b32_e32 v22, v49, v22, vcc
	v_lshlrev_b32_e32 v22, 1, v22
	v_lshrrev_b32_e32 v23, 8, v14
	ds_write_b16 v22, v6
	v_sub_u32_e32 v22, v24, v17
	v_add_u32_sdwa v25, v24, v14 dst_sel:DWORD dst_unused:UNUSED_PAD src0_sel:DWORD src1_sel:BYTE_1
	v_sub_u32_e32 v24, v1, v22
	v_and_b32_e32 v23, 1, v23
	v_add_u32_e32 v24, 1, v24
	v_cmp_eq_u32_e32 vcc, 1, v23
	v_cndmask_b32_e32 v22, v24, v22, vcc
	v_lshlrev_b32_e32 v22, 1, v22
	ds_write_b16_d16_hi v22, v6
	v_sub_u32_e32 v6, v25, v17
	v_mov_b32_e32 v23, 1
	v_sub_u32_e32 v22, v1, v6
	v_and_b32_sdwa v14, v23, v14 dst_sel:DWORD dst_unused:UNUSED_PAD src0_sel:DWORD src1_sel:WORD_1
	v_add_u32_e32 v22, 2, v22
	v_cmp_eq_u32_e32 vcc, 1, v14
	v_cndmask_b32_e32 v6, v22, v6, vcc
	v_add_u32_e32 v44, v25, v44
	v_lshlrev_b32_e32 v6, 1, v6
	ds_write_b16 v6, v7
	v_sub_u32_e32 v6, v44, v17
	v_sub_u32_e32 v14, v1, v6
	v_and_b32_e32 v22, 1, v32
	v_add_u32_e32 v14, 3, v14
	v_cmp_eq_u32_e32 vcc, 1, v22
	v_cndmask_b32_e32 v6, v14, v6, vcc
	v_add_u32_e32 v45, v44, v32
	v_lshlrev_b32_e32 v6, 1, v6
	ds_write_b16_d16_hi v6, v7
	v_sub_u32_e32 v6, v45, v17
	v_sub_u32_e32 v7, v1, v6
	v_and_b32_e32 v14, 1, v15
	v_add_u32_e32 v7, 4, v7
	v_cmp_eq_u32_e32 vcc, 1, v14
	v_cndmask_b32_e32 v6, v7, v6, vcc
	v_add_u32_e32 v41, v45, v41
	v_lshlrev_b32_e32 v6, 1, v6
	v_lshrrev_b32_e32 v21, 8, v15
	ds_write_b16 v6, v8
	v_sub_u32_e32 v6, v41, v17
	v_sub_u32_e32 v7, v1, v6
	v_and_b32_e32 v14, 1, v21
	v_add_u32_e32 v7, 5, v7
	v_cmp_eq_u32_e32 vcc, 1, v14
	v_cndmask_b32_e32 v6, v7, v6, vcc
	v_add_u32_e32 v42, v41, v42
	v_lshlrev_b32_e32 v6, 1, v6
	ds_write_b16_d16_hi v6, v8
	v_sub_u32_e32 v6, v42, v17
	v_sub_u32_e32 v7, v1, v6
	v_and_b32_sdwa v8, v23, v15 dst_sel:DWORD dst_unused:UNUSED_PAD src0_sel:DWORD src1_sel:WORD_1
	v_add_u32_e32 v7, 6, v7
	v_cmp_eq_u32_e32 vcc, 1, v8
	v_cndmask_b32_e32 v6, v7, v6, vcc
	v_add_u32_e32 v43, v42, v43
	v_lshlrev_b32_e32 v6, 1, v6
	ds_write_b16 v6, v9
	v_sub_u32_e32 v6, v43, v17
	v_sub_u32_e32 v7, v1, v6
	v_and_b32_e32 v8, 1, v31
	v_add_u32_e32 v7, 7, v7
	v_cmp_eq_u32_e32 vcc, 1, v8
	v_cndmask_b32_e32 v6, v7, v6, vcc
	v_add_u32_e32 v46, v43, v31
	v_lshlrev_b32_e32 v6, 1, v6
	ds_write_b16_d16_hi v6, v9
	v_sub_u32_e32 v6, v46, v17
	v_sub_u32_e32 v7, v1, v6
	v_and_b32_e32 v8, 1, v12
	v_add_u32_e32 v7, 8, v7
	v_cmp_eq_u32_e32 vcc, 1, v8
	v_cndmask_b32_e32 v6, v7, v6, vcc
	v_add_u32_e32 v38, v46, v38
	v_lshlrev_b32_e32 v6, 1, v6
	v_lshrrev_b32_e32 v20, 8, v12
	ds_write_b16 v6, v2
	v_sub_u32_e32 v6, v38, v17
	v_sub_u32_e32 v7, v1, v6
	v_and_b32_e32 v8, 1, v20
	v_add_u32_e32 v7, 9, v7
	v_cmp_eq_u32_e32 vcc, 1, v8
	v_cndmask_b32_e32 v6, v7, v6, vcc
	v_add_u32_e32 v39, v38, v39
	v_lshlrev_b32_e32 v6, 1, v6
	ds_write_b16_d16_hi v6, v2
	v_sub_u32_e32 v2, v39, v17
	;; [unrolled: 37-line block ×4, first 2 shown]
	v_sub_u32_e32 v3, v1, v2
	v_and_b32_sdwa v4, v23, v27 dst_sel:DWORD dst_unused:UNUSED_PAD src0_sel:DWORD src1_sel:WORD_1
	v_add_u32_e32 v3, 18, v3
	v_cmp_eq_u32_e32 vcc, 1, v4
	v_cndmask_b32_e32 v2, v3, v2, vcc
	v_lshlrev_b32_e32 v2, 1, v2
	ds_write_b16 v2, v11
	v_sub_u32_e32 v2, v28, v17
	v_add_u32_e32 v2, v34, v2
	v_sub_u32_e32 v1, v1, v2
	v_and_b32_e32 v3, 1, v26
	v_add_u32_e32 v1, 19, v1
	v_cmp_eq_u32_e32 vcc, 1, v3
	v_cndmask_b32_e32 v1, v1, v2, vcc
	v_cmp_eq_u32_e32 vcc, 0, v0
	v_lshlrev_b32_e32 v1, 1, v1
	s_and_b64 s[0:1], vcc, s[22:23]
	ds_write_b16_d16_hi v1, v11
	s_waitcnt lgkmcnt(0)
	s_barrier
	s_and_saveexec_b64 s[2:3], s[0:1]
	s_cbranch_execz .LBB3069_127
; %bb.126:
	v_mov_b32_e32 v0, s19
	v_add_co_u32_e32 v1, vcc, s18, v16
	v_addc_co_u32_e32 v3, vcc, 0, v0, vcc
	v_add_co_u32_e32 v0, vcc, v1, v17
	v_mov_b32_e32 v2, 0
	v_addc_co_u32_e32 v1, vcc, 0, v3, vcc
	global_store_dwordx2 v2, v[0:1], s[20:21]
.LBB3069_127:
	s_endpgm
	.section	.rodata,"a",@progbits
	.p2align	6, 0x0
	.amdhsa_kernel _ZN7rocprim17ROCPRIM_400000_NS6detail17trampoline_kernelINS0_14default_configENS1_25partition_config_selectorILNS1_17partition_subalgoE1EtNS0_10empty_typeEbEEZZNS1_14partition_implILS5_1ELb0ES3_jN6thrust23THRUST_200600_302600_NS6detail15normal_iteratorINSA_10device_ptrItEEEEPS6_NSA_18transform_iteratorI7is_evenItESF_NSA_11use_defaultESK_EENS0_5tupleIJNSA_16discard_iteratorISK_EESO_EEENSM_IJSG_SG_EEES6_PlJS6_EEE10hipError_tPvRmT3_T4_T5_T6_T7_T9_mT8_P12ihipStream_tbDpT10_ENKUlT_T0_E_clISt17integral_constantIbLb0EES1B_EEDaS16_S17_EUlS16_E_NS1_11comp_targetILNS1_3genE4ELNS1_11target_archE910ELNS1_3gpuE8ELNS1_3repE0EEENS1_30default_config_static_selectorELNS0_4arch9wavefront6targetE1EEEvT1_
		.amdhsa_group_segment_fixed_size 10248
		.amdhsa_private_segment_fixed_size 0
		.amdhsa_kernarg_size 144
		.amdhsa_user_sgpr_count 6
		.amdhsa_user_sgpr_private_segment_buffer 1
		.amdhsa_user_sgpr_dispatch_ptr 0
		.amdhsa_user_sgpr_queue_ptr 0
		.amdhsa_user_sgpr_kernarg_segment_ptr 1
		.amdhsa_user_sgpr_dispatch_id 0
		.amdhsa_user_sgpr_flat_scratch_init 0
		.amdhsa_user_sgpr_kernarg_preload_length 0
		.amdhsa_user_sgpr_kernarg_preload_offset 0
		.amdhsa_user_sgpr_private_segment_size 0
		.amdhsa_uses_dynamic_stack 0
		.amdhsa_system_sgpr_private_segment_wavefront_offset 0
		.amdhsa_system_sgpr_workgroup_id_x 1
		.amdhsa_system_sgpr_workgroup_id_y 0
		.amdhsa_system_sgpr_workgroup_id_z 0
		.amdhsa_system_sgpr_workgroup_info 0
		.amdhsa_system_vgpr_workitem_id 0
		.amdhsa_next_free_vgpr 64
		.amdhsa_next_free_sgpr 36
		.amdhsa_accum_offset 64
		.amdhsa_reserve_vcc 1
		.amdhsa_reserve_flat_scratch 0
		.amdhsa_float_round_mode_32 0
		.amdhsa_float_round_mode_16_64 0
		.amdhsa_float_denorm_mode_32 3
		.amdhsa_float_denorm_mode_16_64 3
		.amdhsa_dx10_clamp 1
		.amdhsa_ieee_mode 1
		.amdhsa_fp16_overflow 0
		.amdhsa_tg_split 0
		.amdhsa_exception_fp_ieee_invalid_op 0
		.amdhsa_exception_fp_denorm_src 0
		.amdhsa_exception_fp_ieee_div_zero 0
		.amdhsa_exception_fp_ieee_overflow 0
		.amdhsa_exception_fp_ieee_underflow 0
		.amdhsa_exception_fp_ieee_inexact 0
		.amdhsa_exception_int_div_zero 0
	.end_amdhsa_kernel
	.section	.text._ZN7rocprim17ROCPRIM_400000_NS6detail17trampoline_kernelINS0_14default_configENS1_25partition_config_selectorILNS1_17partition_subalgoE1EtNS0_10empty_typeEbEEZZNS1_14partition_implILS5_1ELb0ES3_jN6thrust23THRUST_200600_302600_NS6detail15normal_iteratorINSA_10device_ptrItEEEEPS6_NSA_18transform_iteratorI7is_evenItESF_NSA_11use_defaultESK_EENS0_5tupleIJNSA_16discard_iteratorISK_EESO_EEENSM_IJSG_SG_EEES6_PlJS6_EEE10hipError_tPvRmT3_T4_T5_T6_T7_T9_mT8_P12ihipStream_tbDpT10_ENKUlT_T0_E_clISt17integral_constantIbLb0EES1B_EEDaS16_S17_EUlS16_E_NS1_11comp_targetILNS1_3genE4ELNS1_11target_archE910ELNS1_3gpuE8ELNS1_3repE0EEENS1_30default_config_static_selectorELNS0_4arch9wavefront6targetE1EEEvT1_,"axG",@progbits,_ZN7rocprim17ROCPRIM_400000_NS6detail17trampoline_kernelINS0_14default_configENS1_25partition_config_selectorILNS1_17partition_subalgoE1EtNS0_10empty_typeEbEEZZNS1_14partition_implILS5_1ELb0ES3_jN6thrust23THRUST_200600_302600_NS6detail15normal_iteratorINSA_10device_ptrItEEEEPS6_NSA_18transform_iteratorI7is_evenItESF_NSA_11use_defaultESK_EENS0_5tupleIJNSA_16discard_iteratorISK_EESO_EEENSM_IJSG_SG_EEES6_PlJS6_EEE10hipError_tPvRmT3_T4_T5_T6_T7_T9_mT8_P12ihipStream_tbDpT10_ENKUlT_T0_E_clISt17integral_constantIbLb0EES1B_EEDaS16_S17_EUlS16_E_NS1_11comp_targetILNS1_3genE4ELNS1_11target_archE910ELNS1_3gpuE8ELNS1_3repE0EEENS1_30default_config_static_selectorELNS0_4arch9wavefront6targetE1EEEvT1_,comdat
.Lfunc_end3069:
	.size	_ZN7rocprim17ROCPRIM_400000_NS6detail17trampoline_kernelINS0_14default_configENS1_25partition_config_selectorILNS1_17partition_subalgoE1EtNS0_10empty_typeEbEEZZNS1_14partition_implILS5_1ELb0ES3_jN6thrust23THRUST_200600_302600_NS6detail15normal_iteratorINSA_10device_ptrItEEEEPS6_NSA_18transform_iteratorI7is_evenItESF_NSA_11use_defaultESK_EENS0_5tupleIJNSA_16discard_iteratorISK_EESO_EEENSM_IJSG_SG_EEES6_PlJS6_EEE10hipError_tPvRmT3_T4_T5_T6_T7_T9_mT8_P12ihipStream_tbDpT10_ENKUlT_T0_E_clISt17integral_constantIbLb0EES1B_EEDaS16_S17_EUlS16_E_NS1_11comp_targetILNS1_3genE4ELNS1_11target_archE910ELNS1_3gpuE8ELNS1_3repE0EEENS1_30default_config_static_selectorELNS0_4arch9wavefront6targetE1EEEvT1_, .Lfunc_end3069-_ZN7rocprim17ROCPRIM_400000_NS6detail17trampoline_kernelINS0_14default_configENS1_25partition_config_selectorILNS1_17partition_subalgoE1EtNS0_10empty_typeEbEEZZNS1_14partition_implILS5_1ELb0ES3_jN6thrust23THRUST_200600_302600_NS6detail15normal_iteratorINSA_10device_ptrItEEEEPS6_NSA_18transform_iteratorI7is_evenItESF_NSA_11use_defaultESK_EENS0_5tupleIJNSA_16discard_iteratorISK_EESO_EEENSM_IJSG_SG_EEES6_PlJS6_EEE10hipError_tPvRmT3_T4_T5_T6_T7_T9_mT8_P12ihipStream_tbDpT10_ENKUlT_T0_E_clISt17integral_constantIbLb0EES1B_EEDaS16_S17_EUlS16_E_NS1_11comp_targetILNS1_3genE4ELNS1_11target_archE910ELNS1_3gpuE8ELNS1_3repE0EEENS1_30default_config_static_selectorELNS0_4arch9wavefront6targetE1EEEvT1_
                                        ; -- End function
	.section	.AMDGPU.csdata,"",@progbits
; Kernel info:
; codeLenInByte = 6576
; NumSgprs: 40
; NumVgprs: 64
; NumAgprs: 0
; TotalNumVgprs: 64
; ScratchSize: 0
; MemoryBound: 0
; FloatMode: 240
; IeeeMode: 1
; LDSByteSize: 10248 bytes/workgroup (compile time only)
; SGPRBlocks: 4
; VGPRBlocks: 7
; NumSGPRsForWavesPerEU: 40
; NumVGPRsForWavesPerEU: 64
; AccumOffset: 64
; Occupancy: 6
; WaveLimiterHint : 1
; COMPUTE_PGM_RSRC2:SCRATCH_EN: 0
; COMPUTE_PGM_RSRC2:USER_SGPR: 6
; COMPUTE_PGM_RSRC2:TRAP_HANDLER: 0
; COMPUTE_PGM_RSRC2:TGID_X_EN: 1
; COMPUTE_PGM_RSRC2:TGID_Y_EN: 0
; COMPUTE_PGM_RSRC2:TGID_Z_EN: 0
; COMPUTE_PGM_RSRC2:TIDIG_COMP_CNT: 0
; COMPUTE_PGM_RSRC3_GFX90A:ACCUM_OFFSET: 15
; COMPUTE_PGM_RSRC3_GFX90A:TG_SPLIT: 0
	.section	.text._ZN7rocprim17ROCPRIM_400000_NS6detail17trampoline_kernelINS0_14default_configENS1_25partition_config_selectorILNS1_17partition_subalgoE1EtNS0_10empty_typeEbEEZZNS1_14partition_implILS5_1ELb0ES3_jN6thrust23THRUST_200600_302600_NS6detail15normal_iteratorINSA_10device_ptrItEEEEPS6_NSA_18transform_iteratorI7is_evenItESF_NSA_11use_defaultESK_EENS0_5tupleIJNSA_16discard_iteratorISK_EESO_EEENSM_IJSG_SG_EEES6_PlJS6_EEE10hipError_tPvRmT3_T4_T5_T6_T7_T9_mT8_P12ihipStream_tbDpT10_ENKUlT_T0_E_clISt17integral_constantIbLb0EES1B_EEDaS16_S17_EUlS16_E_NS1_11comp_targetILNS1_3genE3ELNS1_11target_archE908ELNS1_3gpuE7ELNS1_3repE0EEENS1_30default_config_static_selectorELNS0_4arch9wavefront6targetE1EEEvT1_,"axG",@progbits,_ZN7rocprim17ROCPRIM_400000_NS6detail17trampoline_kernelINS0_14default_configENS1_25partition_config_selectorILNS1_17partition_subalgoE1EtNS0_10empty_typeEbEEZZNS1_14partition_implILS5_1ELb0ES3_jN6thrust23THRUST_200600_302600_NS6detail15normal_iteratorINSA_10device_ptrItEEEEPS6_NSA_18transform_iteratorI7is_evenItESF_NSA_11use_defaultESK_EENS0_5tupleIJNSA_16discard_iteratorISK_EESO_EEENSM_IJSG_SG_EEES6_PlJS6_EEE10hipError_tPvRmT3_T4_T5_T6_T7_T9_mT8_P12ihipStream_tbDpT10_ENKUlT_T0_E_clISt17integral_constantIbLb0EES1B_EEDaS16_S17_EUlS16_E_NS1_11comp_targetILNS1_3genE3ELNS1_11target_archE908ELNS1_3gpuE7ELNS1_3repE0EEENS1_30default_config_static_selectorELNS0_4arch9wavefront6targetE1EEEvT1_,comdat
	.protected	_ZN7rocprim17ROCPRIM_400000_NS6detail17trampoline_kernelINS0_14default_configENS1_25partition_config_selectorILNS1_17partition_subalgoE1EtNS0_10empty_typeEbEEZZNS1_14partition_implILS5_1ELb0ES3_jN6thrust23THRUST_200600_302600_NS6detail15normal_iteratorINSA_10device_ptrItEEEEPS6_NSA_18transform_iteratorI7is_evenItESF_NSA_11use_defaultESK_EENS0_5tupleIJNSA_16discard_iteratorISK_EESO_EEENSM_IJSG_SG_EEES6_PlJS6_EEE10hipError_tPvRmT3_T4_T5_T6_T7_T9_mT8_P12ihipStream_tbDpT10_ENKUlT_T0_E_clISt17integral_constantIbLb0EES1B_EEDaS16_S17_EUlS16_E_NS1_11comp_targetILNS1_3genE3ELNS1_11target_archE908ELNS1_3gpuE7ELNS1_3repE0EEENS1_30default_config_static_selectorELNS0_4arch9wavefront6targetE1EEEvT1_ ; -- Begin function _ZN7rocprim17ROCPRIM_400000_NS6detail17trampoline_kernelINS0_14default_configENS1_25partition_config_selectorILNS1_17partition_subalgoE1EtNS0_10empty_typeEbEEZZNS1_14partition_implILS5_1ELb0ES3_jN6thrust23THRUST_200600_302600_NS6detail15normal_iteratorINSA_10device_ptrItEEEEPS6_NSA_18transform_iteratorI7is_evenItESF_NSA_11use_defaultESK_EENS0_5tupleIJNSA_16discard_iteratorISK_EESO_EEENSM_IJSG_SG_EEES6_PlJS6_EEE10hipError_tPvRmT3_T4_T5_T6_T7_T9_mT8_P12ihipStream_tbDpT10_ENKUlT_T0_E_clISt17integral_constantIbLb0EES1B_EEDaS16_S17_EUlS16_E_NS1_11comp_targetILNS1_3genE3ELNS1_11target_archE908ELNS1_3gpuE7ELNS1_3repE0EEENS1_30default_config_static_selectorELNS0_4arch9wavefront6targetE1EEEvT1_
	.globl	_ZN7rocprim17ROCPRIM_400000_NS6detail17trampoline_kernelINS0_14default_configENS1_25partition_config_selectorILNS1_17partition_subalgoE1EtNS0_10empty_typeEbEEZZNS1_14partition_implILS5_1ELb0ES3_jN6thrust23THRUST_200600_302600_NS6detail15normal_iteratorINSA_10device_ptrItEEEEPS6_NSA_18transform_iteratorI7is_evenItESF_NSA_11use_defaultESK_EENS0_5tupleIJNSA_16discard_iteratorISK_EESO_EEENSM_IJSG_SG_EEES6_PlJS6_EEE10hipError_tPvRmT3_T4_T5_T6_T7_T9_mT8_P12ihipStream_tbDpT10_ENKUlT_T0_E_clISt17integral_constantIbLb0EES1B_EEDaS16_S17_EUlS16_E_NS1_11comp_targetILNS1_3genE3ELNS1_11target_archE908ELNS1_3gpuE7ELNS1_3repE0EEENS1_30default_config_static_selectorELNS0_4arch9wavefront6targetE1EEEvT1_
	.p2align	8
	.type	_ZN7rocprim17ROCPRIM_400000_NS6detail17trampoline_kernelINS0_14default_configENS1_25partition_config_selectorILNS1_17partition_subalgoE1EtNS0_10empty_typeEbEEZZNS1_14partition_implILS5_1ELb0ES3_jN6thrust23THRUST_200600_302600_NS6detail15normal_iteratorINSA_10device_ptrItEEEEPS6_NSA_18transform_iteratorI7is_evenItESF_NSA_11use_defaultESK_EENS0_5tupleIJNSA_16discard_iteratorISK_EESO_EEENSM_IJSG_SG_EEES6_PlJS6_EEE10hipError_tPvRmT3_T4_T5_T6_T7_T9_mT8_P12ihipStream_tbDpT10_ENKUlT_T0_E_clISt17integral_constantIbLb0EES1B_EEDaS16_S17_EUlS16_E_NS1_11comp_targetILNS1_3genE3ELNS1_11target_archE908ELNS1_3gpuE7ELNS1_3repE0EEENS1_30default_config_static_selectorELNS0_4arch9wavefront6targetE1EEEvT1_,@function
_ZN7rocprim17ROCPRIM_400000_NS6detail17trampoline_kernelINS0_14default_configENS1_25partition_config_selectorILNS1_17partition_subalgoE1EtNS0_10empty_typeEbEEZZNS1_14partition_implILS5_1ELb0ES3_jN6thrust23THRUST_200600_302600_NS6detail15normal_iteratorINSA_10device_ptrItEEEEPS6_NSA_18transform_iteratorI7is_evenItESF_NSA_11use_defaultESK_EENS0_5tupleIJNSA_16discard_iteratorISK_EESO_EEENSM_IJSG_SG_EEES6_PlJS6_EEE10hipError_tPvRmT3_T4_T5_T6_T7_T9_mT8_P12ihipStream_tbDpT10_ENKUlT_T0_E_clISt17integral_constantIbLb0EES1B_EEDaS16_S17_EUlS16_E_NS1_11comp_targetILNS1_3genE3ELNS1_11target_archE908ELNS1_3gpuE7ELNS1_3repE0EEENS1_30default_config_static_selectorELNS0_4arch9wavefront6targetE1EEEvT1_: ; @_ZN7rocprim17ROCPRIM_400000_NS6detail17trampoline_kernelINS0_14default_configENS1_25partition_config_selectorILNS1_17partition_subalgoE1EtNS0_10empty_typeEbEEZZNS1_14partition_implILS5_1ELb0ES3_jN6thrust23THRUST_200600_302600_NS6detail15normal_iteratorINSA_10device_ptrItEEEEPS6_NSA_18transform_iteratorI7is_evenItESF_NSA_11use_defaultESK_EENS0_5tupleIJNSA_16discard_iteratorISK_EESO_EEENSM_IJSG_SG_EEES6_PlJS6_EEE10hipError_tPvRmT3_T4_T5_T6_T7_T9_mT8_P12ihipStream_tbDpT10_ENKUlT_T0_E_clISt17integral_constantIbLb0EES1B_EEDaS16_S17_EUlS16_E_NS1_11comp_targetILNS1_3genE3ELNS1_11target_archE908ELNS1_3gpuE7ELNS1_3repE0EEENS1_30default_config_static_selectorELNS0_4arch9wavefront6targetE1EEEvT1_
; %bb.0:
	.section	.rodata,"a",@progbits
	.p2align	6, 0x0
	.amdhsa_kernel _ZN7rocprim17ROCPRIM_400000_NS6detail17trampoline_kernelINS0_14default_configENS1_25partition_config_selectorILNS1_17partition_subalgoE1EtNS0_10empty_typeEbEEZZNS1_14partition_implILS5_1ELb0ES3_jN6thrust23THRUST_200600_302600_NS6detail15normal_iteratorINSA_10device_ptrItEEEEPS6_NSA_18transform_iteratorI7is_evenItESF_NSA_11use_defaultESK_EENS0_5tupleIJNSA_16discard_iteratorISK_EESO_EEENSM_IJSG_SG_EEES6_PlJS6_EEE10hipError_tPvRmT3_T4_T5_T6_T7_T9_mT8_P12ihipStream_tbDpT10_ENKUlT_T0_E_clISt17integral_constantIbLb0EES1B_EEDaS16_S17_EUlS16_E_NS1_11comp_targetILNS1_3genE3ELNS1_11target_archE908ELNS1_3gpuE7ELNS1_3repE0EEENS1_30default_config_static_selectorELNS0_4arch9wavefront6targetE1EEEvT1_
		.amdhsa_group_segment_fixed_size 0
		.amdhsa_private_segment_fixed_size 0
		.amdhsa_kernarg_size 144
		.amdhsa_user_sgpr_count 6
		.amdhsa_user_sgpr_private_segment_buffer 1
		.amdhsa_user_sgpr_dispatch_ptr 0
		.amdhsa_user_sgpr_queue_ptr 0
		.amdhsa_user_sgpr_kernarg_segment_ptr 1
		.amdhsa_user_sgpr_dispatch_id 0
		.amdhsa_user_sgpr_flat_scratch_init 0
		.amdhsa_user_sgpr_kernarg_preload_length 0
		.amdhsa_user_sgpr_kernarg_preload_offset 0
		.amdhsa_user_sgpr_private_segment_size 0
		.amdhsa_uses_dynamic_stack 0
		.amdhsa_system_sgpr_private_segment_wavefront_offset 0
		.amdhsa_system_sgpr_workgroup_id_x 1
		.amdhsa_system_sgpr_workgroup_id_y 0
		.amdhsa_system_sgpr_workgroup_id_z 0
		.amdhsa_system_sgpr_workgroup_info 0
		.amdhsa_system_vgpr_workitem_id 0
		.amdhsa_next_free_vgpr 1
		.amdhsa_next_free_sgpr 0
		.amdhsa_accum_offset 4
		.amdhsa_reserve_vcc 0
		.amdhsa_reserve_flat_scratch 0
		.amdhsa_float_round_mode_32 0
		.amdhsa_float_round_mode_16_64 0
		.amdhsa_float_denorm_mode_32 3
		.amdhsa_float_denorm_mode_16_64 3
		.amdhsa_dx10_clamp 1
		.amdhsa_ieee_mode 1
		.amdhsa_fp16_overflow 0
		.amdhsa_tg_split 0
		.amdhsa_exception_fp_ieee_invalid_op 0
		.amdhsa_exception_fp_denorm_src 0
		.amdhsa_exception_fp_ieee_div_zero 0
		.amdhsa_exception_fp_ieee_overflow 0
		.amdhsa_exception_fp_ieee_underflow 0
		.amdhsa_exception_fp_ieee_inexact 0
		.amdhsa_exception_int_div_zero 0
	.end_amdhsa_kernel
	.section	.text._ZN7rocprim17ROCPRIM_400000_NS6detail17trampoline_kernelINS0_14default_configENS1_25partition_config_selectorILNS1_17partition_subalgoE1EtNS0_10empty_typeEbEEZZNS1_14partition_implILS5_1ELb0ES3_jN6thrust23THRUST_200600_302600_NS6detail15normal_iteratorINSA_10device_ptrItEEEEPS6_NSA_18transform_iteratorI7is_evenItESF_NSA_11use_defaultESK_EENS0_5tupleIJNSA_16discard_iteratorISK_EESO_EEENSM_IJSG_SG_EEES6_PlJS6_EEE10hipError_tPvRmT3_T4_T5_T6_T7_T9_mT8_P12ihipStream_tbDpT10_ENKUlT_T0_E_clISt17integral_constantIbLb0EES1B_EEDaS16_S17_EUlS16_E_NS1_11comp_targetILNS1_3genE3ELNS1_11target_archE908ELNS1_3gpuE7ELNS1_3repE0EEENS1_30default_config_static_selectorELNS0_4arch9wavefront6targetE1EEEvT1_,"axG",@progbits,_ZN7rocprim17ROCPRIM_400000_NS6detail17trampoline_kernelINS0_14default_configENS1_25partition_config_selectorILNS1_17partition_subalgoE1EtNS0_10empty_typeEbEEZZNS1_14partition_implILS5_1ELb0ES3_jN6thrust23THRUST_200600_302600_NS6detail15normal_iteratorINSA_10device_ptrItEEEEPS6_NSA_18transform_iteratorI7is_evenItESF_NSA_11use_defaultESK_EENS0_5tupleIJNSA_16discard_iteratorISK_EESO_EEENSM_IJSG_SG_EEES6_PlJS6_EEE10hipError_tPvRmT3_T4_T5_T6_T7_T9_mT8_P12ihipStream_tbDpT10_ENKUlT_T0_E_clISt17integral_constantIbLb0EES1B_EEDaS16_S17_EUlS16_E_NS1_11comp_targetILNS1_3genE3ELNS1_11target_archE908ELNS1_3gpuE7ELNS1_3repE0EEENS1_30default_config_static_selectorELNS0_4arch9wavefront6targetE1EEEvT1_,comdat
.Lfunc_end3070:
	.size	_ZN7rocprim17ROCPRIM_400000_NS6detail17trampoline_kernelINS0_14default_configENS1_25partition_config_selectorILNS1_17partition_subalgoE1EtNS0_10empty_typeEbEEZZNS1_14partition_implILS5_1ELb0ES3_jN6thrust23THRUST_200600_302600_NS6detail15normal_iteratorINSA_10device_ptrItEEEEPS6_NSA_18transform_iteratorI7is_evenItESF_NSA_11use_defaultESK_EENS0_5tupleIJNSA_16discard_iteratorISK_EESO_EEENSM_IJSG_SG_EEES6_PlJS6_EEE10hipError_tPvRmT3_T4_T5_T6_T7_T9_mT8_P12ihipStream_tbDpT10_ENKUlT_T0_E_clISt17integral_constantIbLb0EES1B_EEDaS16_S17_EUlS16_E_NS1_11comp_targetILNS1_3genE3ELNS1_11target_archE908ELNS1_3gpuE7ELNS1_3repE0EEENS1_30default_config_static_selectorELNS0_4arch9wavefront6targetE1EEEvT1_, .Lfunc_end3070-_ZN7rocprim17ROCPRIM_400000_NS6detail17trampoline_kernelINS0_14default_configENS1_25partition_config_selectorILNS1_17partition_subalgoE1EtNS0_10empty_typeEbEEZZNS1_14partition_implILS5_1ELb0ES3_jN6thrust23THRUST_200600_302600_NS6detail15normal_iteratorINSA_10device_ptrItEEEEPS6_NSA_18transform_iteratorI7is_evenItESF_NSA_11use_defaultESK_EENS0_5tupleIJNSA_16discard_iteratorISK_EESO_EEENSM_IJSG_SG_EEES6_PlJS6_EEE10hipError_tPvRmT3_T4_T5_T6_T7_T9_mT8_P12ihipStream_tbDpT10_ENKUlT_T0_E_clISt17integral_constantIbLb0EES1B_EEDaS16_S17_EUlS16_E_NS1_11comp_targetILNS1_3genE3ELNS1_11target_archE908ELNS1_3gpuE7ELNS1_3repE0EEENS1_30default_config_static_selectorELNS0_4arch9wavefront6targetE1EEEvT1_
                                        ; -- End function
	.section	.AMDGPU.csdata,"",@progbits
; Kernel info:
; codeLenInByte = 0
; NumSgprs: 4
; NumVgprs: 0
; NumAgprs: 0
; TotalNumVgprs: 0
; ScratchSize: 0
; MemoryBound: 0
; FloatMode: 240
; IeeeMode: 1
; LDSByteSize: 0 bytes/workgroup (compile time only)
; SGPRBlocks: 0
; VGPRBlocks: 0
; NumSGPRsForWavesPerEU: 4
; NumVGPRsForWavesPerEU: 1
; AccumOffset: 4
; Occupancy: 8
; WaveLimiterHint : 0
; COMPUTE_PGM_RSRC2:SCRATCH_EN: 0
; COMPUTE_PGM_RSRC2:USER_SGPR: 6
; COMPUTE_PGM_RSRC2:TRAP_HANDLER: 0
; COMPUTE_PGM_RSRC2:TGID_X_EN: 1
; COMPUTE_PGM_RSRC2:TGID_Y_EN: 0
; COMPUTE_PGM_RSRC2:TGID_Z_EN: 0
; COMPUTE_PGM_RSRC2:TIDIG_COMP_CNT: 0
; COMPUTE_PGM_RSRC3_GFX90A:ACCUM_OFFSET: 0
; COMPUTE_PGM_RSRC3_GFX90A:TG_SPLIT: 0
	.section	.text._ZN7rocprim17ROCPRIM_400000_NS6detail17trampoline_kernelINS0_14default_configENS1_25partition_config_selectorILNS1_17partition_subalgoE1EtNS0_10empty_typeEbEEZZNS1_14partition_implILS5_1ELb0ES3_jN6thrust23THRUST_200600_302600_NS6detail15normal_iteratorINSA_10device_ptrItEEEEPS6_NSA_18transform_iteratorI7is_evenItESF_NSA_11use_defaultESK_EENS0_5tupleIJNSA_16discard_iteratorISK_EESO_EEENSM_IJSG_SG_EEES6_PlJS6_EEE10hipError_tPvRmT3_T4_T5_T6_T7_T9_mT8_P12ihipStream_tbDpT10_ENKUlT_T0_E_clISt17integral_constantIbLb0EES1B_EEDaS16_S17_EUlS16_E_NS1_11comp_targetILNS1_3genE2ELNS1_11target_archE906ELNS1_3gpuE6ELNS1_3repE0EEENS1_30default_config_static_selectorELNS0_4arch9wavefront6targetE1EEEvT1_,"axG",@progbits,_ZN7rocprim17ROCPRIM_400000_NS6detail17trampoline_kernelINS0_14default_configENS1_25partition_config_selectorILNS1_17partition_subalgoE1EtNS0_10empty_typeEbEEZZNS1_14partition_implILS5_1ELb0ES3_jN6thrust23THRUST_200600_302600_NS6detail15normal_iteratorINSA_10device_ptrItEEEEPS6_NSA_18transform_iteratorI7is_evenItESF_NSA_11use_defaultESK_EENS0_5tupleIJNSA_16discard_iteratorISK_EESO_EEENSM_IJSG_SG_EEES6_PlJS6_EEE10hipError_tPvRmT3_T4_T5_T6_T7_T9_mT8_P12ihipStream_tbDpT10_ENKUlT_T0_E_clISt17integral_constantIbLb0EES1B_EEDaS16_S17_EUlS16_E_NS1_11comp_targetILNS1_3genE2ELNS1_11target_archE906ELNS1_3gpuE6ELNS1_3repE0EEENS1_30default_config_static_selectorELNS0_4arch9wavefront6targetE1EEEvT1_,comdat
	.protected	_ZN7rocprim17ROCPRIM_400000_NS6detail17trampoline_kernelINS0_14default_configENS1_25partition_config_selectorILNS1_17partition_subalgoE1EtNS0_10empty_typeEbEEZZNS1_14partition_implILS5_1ELb0ES3_jN6thrust23THRUST_200600_302600_NS6detail15normal_iteratorINSA_10device_ptrItEEEEPS6_NSA_18transform_iteratorI7is_evenItESF_NSA_11use_defaultESK_EENS0_5tupleIJNSA_16discard_iteratorISK_EESO_EEENSM_IJSG_SG_EEES6_PlJS6_EEE10hipError_tPvRmT3_T4_T5_T6_T7_T9_mT8_P12ihipStream_tbDpT10_ENKUlT_T0_E_clISt17integral_constantIbLb0EES1B_EEDaS16_S17_EUlS16_E_NS1_11comp_targetILNS1_3genE2ELNS1_11target_archE906ELNS1_3gpuE6ELNS1_3repE0EEENS1_30default_config_static_selectorELNS0_4arch9wavefront6targetE1EEEvT1_ ; -- Begin function _ZN7rocprim17ROCPRIM_400000_NS6detail17trampoline_kernelINS0_14default_configENS1_25partition_config_selectorILNS1_17partition_subalgoE1EtNS0_10empty_typeEbEEZZNS1_14partition_implILS5_1ELb0ES3_jN6thrust23THRUST_200600_302600_NS6detail15normal_iteratorINSA_10device_ptrItEEEEPS6_NSA_18transform_iteratorI7is_evenItESF_NSA_11use_defaultESK_EENS0_5tupleIJNSA_16discard_iteratorISK_EESO_EEENSM_IJSG_SG_EEES6_PlJS6_EEE10hipError_tPvRmT3_T4_T5_T6_T7_T9_mT8_P12ihipStream_tbDpT10_ENKUlT_T0_E_clISt17integral_constantIbLb0EES1B_EEDaS16_S17_EUlS16_E_NS1_11comp_targetILNS1_3genE2ELNS1_11target_archE906ELNS1_3gpuE6ELNS1_3repE0EEENS1_30default_config_static_selectorELNS0_4arch9wavefront6targetE1EEEvT1_
	.globl	_ZN7rocprim17ROCPRIM_400000_NS6detail17trampoline_kernelINS0_14default_configENS1_25partition_config_selectorILNS1_17partition_subalgoE1EtNS0_10empty_typeEbEEZZNS1_14partition_implILS5_1ELb0ES3_jN6thrust23THRUST_200600_302600_NS6detail15normal_iteratorINSA_10device_ptrItEEEEPS6_NSA_18transform_iteratorI7is_evenItESF_NSA_11use_defaultESK_EENS0_5tupleIJNSA_16discard_iteratorISK_EESO_EEENSM_IJSG_SG_EEES6_PlJS6_EEE10hipError_tPvRmT3_T4_T5_T6_T7_T9_mT8_P12ihipStream_tbDpT10_ENKUlT_T0_E_clISt17integral_constantIbLb0EES1B_EEDaS16_S17_EUlS16_E_NS1_11comp_targetILNS1_3genE2ELNS1_11target_archE906ELNS1_3gpuE6ELNS1_3repE0EEENS1_30default_config_static_selectorELNS0_4arch9wavefront6targetE1EEEvT1_
	.p2align	8
	.type	_ZN7rocprim17ROCPRIM_400000_NS6detail17trampoline_kernelINS0_14default_configENS1_25partition_config_selectorILNS1_17partition_subalgoE1EtNS0_10empty_typeEbEEZZNS1_14partition_implILS5_1ELb0ES3_jN6thrust23THRUST_200600_302600_NS6detail15normal_iteratorINSA_10device_ptrItEEEEPS6_NSA_18transform_iteratorI7is_evenItESF_NSA_11use_defaultESK_EENS0_5tupleIJNSA_16discard_iteratorISK_EESO_EEENSM_IJSG_SG_EEES6_PlJS6_EEE10hipError_tPvRmT3_T4_T5_T6_T7_T9_mT8_P12ihipStream_tbDpT10_ENKUlT_T0_E_clISt17integral_constantIbLb0EES1B_EEDaS16_S17_EUlS16_E_NS1_11comp_targetILNS1_3genE2ELNS1_11target_archE906ELNS1_3gpuE6ELNS1_3repE0EEENS1_30default_config_static_selectorELNS0_4arch9wavefront6targetE1EEEvT1_,@function
_ZN7rocprim17ROCPRIM_400000_NS6detail17trampoline_kernelINS0_14default_configENS1_25partition_config_selectorILNS1_17partition_subalgoE1EtNS0_10empty_typeEbEEZZNS1_14partition_implILS5_1ELb0ES3_jN6thrust23THRUST_200600_302600_NS6detail15normal_iteratorINSA_10device_ptrItEEEEPS6_NSA_18transform_iteratorI7is_evenItESF_NSA_11use_defaultESK_EENS0_5tupleIJNSA_16discard_iteratorISK_EESO_EEENSM_IJSG_SG_EEES6_PlJS6_EEE10hipError_tPvRmT3_T4_T5_T6_T7_T9_mT8_P12ihipStream_tbDpT10_ENKUlT_T0_E_clISt17integral_constantIbLb0EES1B_EEDaS16_S17_EUlS16_E_NS1_11comp_targetILNS1_3genE2ELNS1_11target_archE906ELNS1_3gpuE6ELNS1_3repE0EEENS1_30default_config_static_selectorELNS0_4arch9wavefront6targetE1EEEvT1_: ; @_ZN7rocprim17ROCPRIM_400000_NS6detail17trampoline_kernelINS0_14default_configENS1_25partition_config_selectorILNS1_17partition_subalgoE1EtNS0_10empty_typeEbEEZZNS1_14partition_implILS5_1ELb0ES3_jN6thrust23THRUST_200600_302600_NS6detail15normal_iteratorINSA_10device_ptrItEEEEPS6_NSA_18transform_iteratorI7is_evenItESF_NSA_11use_defaultESK_EENS0_5tupleIJNSA_16discard_iteratorISK_EESO_EEENSM_IJSG_SG_EEES6_PlJS6_EEE10hipError_tPvRmT3_T4_T5_T6_T7_T9_mT8_P12ihipStream_tbDpT10_ENKUlT_T0_E_clISt17integral_constantIbLb0EES1B_EEDaS16_S17_EUlS16_E_NS1_11comp_targetILNS1_3genE2ELNS1_11target_archE906ELNS1_3gpuE6ELNS1_3repE0EEENS1_30default_config_static_selectorELNS0_4arch9wavefront6targetE1EEEvT1_
; %bb.0:
	.section	.rodata,"a",@progbits
	.p2align	6, 0x0
	.amdhsa_kernel _ZN7rocprim17ROCPRIM_400000_NS6detail17trampoline_kernelINS0_14default_configENS1_25partition_config_selectorILNS1_17partition_subalgoE1EtNS0_10empty_typeEbEEZZNS1_14partition_implILS5_1ELb0ES3_jN6thrust23THRUST_200600_302600_NS6detail15normal_iteratorINSA_10device_ptrItEEEEPS6_NSA_18transform_iteratorI7is_evenItESF_NSA_11use_defaultESK_EENS0_5tupleIJNSA_16discard_iteratorISK_EESO_EEENSM_IJSG_SG_EEES6_PlJS6_EEE10hipError_tPvRmT3_T4_T5_T6_T7_T9_mT8_P12ihipStream_tbDpT10_ENKUlT_T0_E_clISt17integral_constantIbLb0EES1B_EEDaS16_S17_EUlS16_E_NS1_11comp_targetILNS1_3genE2ELNS1_11target_archE906ELNS1_3gpuE6ELNS1_3repE0EEENS1_30default_config_static_selectorELNS0_4arch9wavefront6targetE1EEEvT1_
		.amdhsa_group_segment_fixed_size 0
		.amdhsa_private_segment_fixed_size 0
		.amdhsa_kernarg_size 144
		.amdhsa_user_sgpr_count 6
		.amdhsa_user_sgpr_private_segment_buffer 1
		.amdhsa_user_sgpr_dispatch_ptr 0
		.amdhsa_user_sgpr_queue_ptr 0
		.amdhsa_user_sgpr_kernarg_segment_ptr 1
		.amdhsa_user_sgpr_dispatch_id 0
		.amdhsa_user_sgpr_flat_scratch_init 0
		.amdhsa_user_sgpr_kernarg_preload_length 0
		.amdhsa_user_sgpr_kernarg_preload_offset 0
		.amdhsa_user_sgpr_private_segment_size 0
		.amdhsa_uses_dynamic_stack 0
		.amdhsa_system_sgpr_private_segment_wavefront_offset 0
		.amdhsa_system_sgpr_workgroup_id_x 1
		.amdhsa_system_sgpr_workgroup_id_y 0
		.amdhsa_system_sgpr_workgroup_id_z 0
		.amdhsa_system_sgpr_workgroup_info 0
		.amdhsa_system_vgpr_workitem_id 0
		.amdhsa_next_free_vgpr 1
		.amdhsa_next_free_sgpr 0
		.amdhsa_accum_offset 4
		.amdhsa_reserve_vcc 0
		.amdhsa_reserve_flat_scratch 0
		.amdhsa_float_round_mode_32 0
		.amdhsa_float_round_mode_16_64 0
		.amdhsa_float_denorm_mode_32 3
		.amdhsa_float_denorm_mode_16_64 3
		.amdhsa_dx10_clamp 1
		.amdhsa_ieee_mode 1
		.amdhsa_fp16_overflow 0
		.amdhsa_tg_split 0
		.amdhsa_exception_fp_ieee_invalid_op 0
		.amdhsa_exception_fp_denorm_src 0
		.amdhsa_exception_fp_ieee_div_zero 0
		.amdhsa_exception_fp_ieee_overflow 0
		.amdhsa_exception_fp_ieee_underflow 0
		.amdhsa_exception_fp_ieee_inexact 0
		.amdhsa_exception_int_div_zero 0
	.end_amdhsa_kernel
	.section	.text._ZN7rocprim17ROCPRIM_400000_NS6detail17trampoline_kernelINS0_14default_configENS1_25partition_config_selectorILNS1_17partition_subalgoE1EtNS0_10empty_typeEbEEZZNS1_14partition_implILS5_1ELb0ES3_jN6thrust23THRUST_200600_302600_NS6detail15normal_iteratorINSA_10device_ptrItEEEEPS6_NSA_18transform_iteratorI7is_evenItESF_NSA_11use_defaultESK_EENS0_5tupleIJNSA_16discard_iteratorISK_EESO_EEENSM_IJSG_SG_EEES6_PlJS6_EEE10hipError_tPvRmT3_T4_T5_T6_T7_T9_mT8_P12ihipStream_tbDpT10_ENKUlT_T0_E_clISt17integral_constantIbLb0EES1B_EEDaS16_S17_EUlS16_E_NS1_11comp_targetILNS1_3genE2ELNS1_11target_archE906ELNS1_3gpuE6ELNS1_3repE0EEENS1_30default_config_static_selectorELNS0_4arch9wavefront6targetE1EEEvT1_,"axG",@progbits,_ZN7rocprim17ROCPRIM_400000_NS6detail17trampoline_kernelINS0_14default_configENS1_25partition_config_selectorILNS1_17partition_subalgoE1EtNS0_10empty_typeEbEEZZNS1_14partition_implILS5_1ELb0ES3_jN6thrust23THRUST_200600_302600_NS6detail15normal_iteratorINSA_10device_ptrItEEEEPS6_NSA_18transform_iteratorI7is_evenItESF_NSA_11use_defaultESK_EENS0_5tupleIJNSA_16discard_iteratorISK_EESO_EEENSM_IJSG_SG_EEES6_PlJS6_EEE10hipError_tPvRmT3_T4_T5_T6_T7_T9_mT8_P12ihipStream_tbDpT10_ENKUlT_T0_E_clISt17integral_constantIbLb0EES1B_EEDaS16_S17_EUlS16_E_NS1_11comp_targetILNS1_3genE2ELNS1_11target_archE906ELNS1_3gpuE6ELNS1_3repE0EEENS1_30default_config_static_selectorELNS0_4arch9wavefront6targetE1EEEvT1_,comdat
.Lfunc_end3071:
	.size	_ZN7rocprim17ROCPRIM_400000_NS6detail17trampoline_kernelINS0_14default_configENS1_25partition_config_selectorILNS1_17partition_subalgoE1EtNS0_10empty_typeEbEEZZNS1_14partition_implILS5_1ELb0ES3_jN6thrust23THRUST_200600_302600_NS6detail15normal_iteratorINSA_10device_ptrItEEEEPS6_NSA_18transform_iteratorI7is_evenItESF_NSA_11use_defaultESK_EENS0_5tupleIJNSA_16discard_iteratorISK_EESO_EEENSM_IJSG_SG_EEES6_PlJS6_EEE10hipError_tPvRmT3_T4_T5_T6_T7_T9_mT8_P12ihipStream_tbDpT10_ENKUlT_T0_E_clISt17integral_constantIbLb0EES1B_EEDaS16_S17_EUlS16_E_NS1_11comp_targetILNS1_3genE2ELNS1_11target_archE906ELNS1_3gpuE6ELNS1_3repE0EEENS1_30default_config_static_selectorELNS0_4arch9wavefront6targetE1EEEvT1_, .Lfunc_end3071-_ZN7rocprim17ROCPRIM_400000_NS6detail17trampoline_kernelINS0_14default_configENS1_25partition_config_selectorILNS1_17partition_subalgoE1EtNS0_10empty_typeEbEEZZNS1_14partition_implILS5_1ELb0ES3_jN6thrust23THRUST_200600_302600_NS6detail15normal_iteratorINSA_10device_ptrItEEEEPS6_NSA_18transform_iteratorI7is_evenItESF_NSA_11use_defaultESK_EENS0_5tupleIJNSA_16discard_iteratorISK_EESO_EEENSM_IJSG_SG_EEES6_PlJS6_EEE10hipError_tPvRmT3_T4_T5_T6_T7_T9_mT8_P12ihipStream_tbDpT10_ENKUlT_T0_E_clISt17integral_constantIbLb0EES1B_EEDaS16_S17_EUlS16_E_NS1_11comp_targetILNS1_3genE2ELNS1_11target_archE906ELNS1_3gpuE6ELNS1_3repE0EEENS1_30default_config_static_selectorELNS0_4arch9wavefront6targetE1EEEvT1_
                                        ; -- End function
	.section	.AMDGPU.csdata,"",@progbits
; Kernel info:
; codeLenInByte = 0
; NumSgprs: 4
; NumVgprs: 0
; NumAgprs: 0
; TotalNumVgprs: 0
; ScratchSize: 0
; MemoryBound: 0
; FloatMode: 240
; IeeeMode: 1
; LDSByteSize: 0 bytes/workgroup (compile time only)
; SGPRBlocks: 0
; VGPRBlocks: 0
; NumSGPRsForWavesPerEU: 4
; NumVGPRsForWavesPerEU: 1
; AccumOffset: 4
; Occupancy: 8
; WaveLimiterHint : 0
; COMPUTE_PGM_RSRC2:SCRATCH_EN: 0
; COMPUTE_PGM_RSRC2:USER_SGPR: 6
; COMPUTE_PGM_RSRC2:TRAP_HANDLER: 0
; COMPUTE_PGM_RSRC2:TGID_X_EN: 1
; COMPUTE_PGM_RSRC2:TGID_Y_EN: 0
; COMPUTE_PGM_RSRC2:TGID_Z_EN: 0
; COMPUTE_PGM_RSRC2:TIDIG_COMP_CNT: 0
; COMPUTE_PGM_RSRC3_GFX90A:ACCUM_OFFSET: 0
; COMPUTE_PGM_RSRC3_GFX90A:TG_SPLIT: 0
	.section	.text._ZN7rocprim17ROCPRIM_400000_NS6detail17trampoline_kernelINS0_14default_configENS1_25partition_config_selectorILNS1_17partition_subalgoE1EtNS0_10empty_typeEbEEZZNS1_14partition_implILS5_1ELb0ES3_jN6thrust23THRUST_200600_302600_NS6detail15normal_iteratorINSA_10device_ptrItEEEEPS6_NSA_18transform_iteratorI7is_evenItESF_NSA_11use_defaultESK_EENS0_5tupleIJNSA_16discard_iteratorISK_EESO_EEENSM_IJSG_SG_EEES6_PlJS6_EEE10hipError_tPvRmT3_T4_T5_T6_T7_T9_mT8_P12ihipStream_tbDpT10_ENKUlT_T0_E_clISt17integral_constantIbLb0EES1B_EEDaS16_S17_EUlS16_E_NS1_11comp_targetILNS1_3genE10ELNS1_11target_archE1200ELNS1_3gpuE4ELNS1_3repE0EEENS1_30default_config_static_selectorELNS0_4arch9wavefront6targetE1EEEvT1_,"axG",@progbits,_ZN7rocprim17ROCPRIM_400000_NS6detail17trampoline_kernelINS0_14default_configENS1_25partition_config_selectorILNS1_17partition_subalgoE1EtNS0_10empty_typeEbEEZZNS1_14partition_implILS5_1ELb0ES3_jN6thrust23THRUST_200600_302600_NS6detail15normal_iteratorINSA_10device_ptrItEEEEPS6_NSA_18transform_iteratorI7is_evenItESF_NSA_11use_defaultESK_EENS0_5tupleIJNSA_16discard_iteratorISK_EESO_EEENSM_IJSG_SG_EEES6_PlJS6_EEE10hipError_tPvRmT3_T4_T5_T6_T7_T9_mT8_P12ihipStream_tbDpT10_ENKUlT_T0_E_clISt17integral_constantIbLb0EES1B_EEDaS16_S17_EUlS16_E_NS1_11comp_targetILNS1_3genE10ELNS1_11target_archE1200ELNS1_3gpuE4ELNS1_3repE0EEENS1_30default_config_static_selectorELNS0_4arch9wavefront6targetE1EEEvT1_,comdat
	.protected	_ZN7rocprim17ROCPRIM_400000_NS6detail17trampoline_kernelINS0_14default_configENS1_25partition_config_selectorILNS1_17partition_subalgoE1EtNS0_10empty_typeEbEEZZNS1_14partition_implILS5_1ELb0ES3_jN6thrust23THRUST_200600_302600_NS6detail15normal_iteratorINSA_10device_ptrItEEEEPS6_NSA_18transform_iteratorI7is_evenItESF_NSA_11use_defaultESK_EENS0_5tupleIJNSA_16discard_iteratorISK_EESO_EEENSM_IJSG_SG_EEES6_PlJS6_EEE10hipError_tPvRmT3_T4_T5_T6_T7_T9_mT8_P12ihipStream_tbDpT10_ENKUlT_T0_E_clISt17integral_constantIbLb0EES1B_EEDaS16_S17_EUlS16_E_NS1_11comp_targetILNS1_3genE10ELNS1_11target_archE1200ELNS1_3gpuE4ELNS1_3repE0EEENS1_30default_config_static_selectorELNS0_4arch9wavefront6targetE1EEEvT1_ ; -- Begin function _ZN7rocprim17ROCPRIM_400000_NS6detail17trampoline_kernelINS0_14default_configENS1_25partition_config_selectorILNS1_17partition_subalgoE1EtNS0_10empty_typeEbEEZZNS1_14partition_implILS5_1ELb0ES3_jN6thrust23THRUST_200600_302600_NS6detail15normal_iteratorINSA_10device_ptrItEEEEPS6_NSA_18transform_iteratorI7is_evenItESF_NSA_11use_defaultESK_EENS0_5tupleIJNSA_16discard_iteratorISK_EESO_EEENSM_IJSG_SG_EEES6_PlJS6_EEE10hipError_tPvRmT3_T4_T5_T6_T7_T9_mT8_P12ihipStream_tbDpT10_ENKUlT_T0_E_clISt17integral_constantIbLb0EES1B_EEDaS16_S17_EUlS16_E_NS1_11comp_targetILNS1_3genE10ELNS1_11target_archE1200ELNS1_3gpuE4ELNS1_3repE0EEENS1_30default_config_static_selectorELNS0_4arch9wavefront6targetE1EEEvT1_
	.globl	_ZN7rocprim17ROCPRIM_400000_NS6detail17trampoline_kernelINS0_14default_configENS1_25partition_config_selectorILNS1_17partition_subalgoE1EtNS0_10empty_typeEbEEZZNS1_14partition_implILS5_1ELb0ES3_jN6thrust23THRUST_200600_302600_NS6detail15normal_iteratorINSA_10device_ptrItEEEEPS6_NSA_18transform_iteratorI7is_evenItESF_NSA_11use_defaultESK_EENS0_5tupleIJNSA_16discard_iteratorISK_EESO_EEENSM_IJSG_SG_EEES6_PlJS6_EEE10hipError_tPvRmT3_T4_T5_T6_T7_T9_mT8_P12ihipStream_tbDpT10_ENKUlT_T0_E_clISt17integral_constantIbLb0EES1B_EEDaS16_S17_EUlS16_E_NS1_11comp_targetILNS1_3genE10ELNS1_11target_archE1200ELNS1_3gpuE4ELNS1_3repE0EEENS1_30default_config_static_selectorELNS0_4arch9wavefront6targetE1EEEvT1_
	.p2align	8
	.type	_ZN7rocprim17ROCPRIM_400000_NS6detail17trampoline_kernelINS0_14default_configENS1_25partition_config_selectorILNS1_17partition_subalgoE1EtNS0_10empty_typeEbEEZZNS1_14partition_implILS5_1ELb0ES3_jN6thrust23THRUST_200600_302600_NS6detail15normal_iteratorINSA_10device_ptrItEEEEPS6_NSA_18transform_iteratorI7is_evenItESF_NSA_11use_defaultESK_EENS0_5tupleIJNSA_16discard_iteratorISK_EESO_EEENSM_IJSG_SG_EEES6_PlJS6_EEE10hipError_tPvRmT3_T4_T5_T6_T7_T9_mT8_P12ihipStream_tbDpT10_ENKUlT_T0_E_clISt17integral_constantIbLb0EES1B_EEDaS16_S17_EUlS16_E_NS1_11comp_targetILNS1_3genE10ELNS1_11target_archE1200ELNS1_3gpuE4ELNS1_3repE0EEENS1_30default_config_static_selectorELNS0_4arch9wavefront6targetE1EEEvT1_,@function
_ZN7rocprim17ROCPRIM_400000_NS6detail17trampoline_kernelINS0_14default_configENS1_25partition_config_selectorILNS1_17partition_subalgoE1EtNS0_10empty_typeEbEEZZNS1_14partition_implILS5_1ELb0ES3_jN6thrust23THRUST_200600_302600_NS6detail15normal_iteratorINSA_10device_ptrItEEEEPS6_NSA_18transform_iteratorI7is_evenItESF_NSA_11use_defaultESK_EENS0_5tupleIJNSA_16discard_iteratorISK_EESO_EEENSM_IJSG_SG_EEES6_PlJS6_EEE10hipError_tPvRmT3_T4_T5_T6_T7_T9_mT8_P12ihipStream_tbDpT10_ENKUlT_T0_E_clISt17integral_constantIbLb0EES1B_EEDaS16_S17_EUlS16_E_NS1_11comp_targetILNS1_3genE10ELNS1_11target_archE1200ELNS1_3gpuE4ELNS1_3repE0EEENS1_30default_config_static_selectorELNS0_4arch9wavefront6targetE1EEEvT1_: ; @_ZN7rocprim17ROCPRIM_400000_NS6detail17trampoline_kernelINS0_14default_configENS1_25partition_config_selectorILNS1_17partition_subalgoE1EtNS0_10empty_typeEbEEZZNS1_14partition_implILS5_1ELb0ES3_jN6thrust23THRUST_200600_302600_NS6detail15normal_iteratorINSA_10device_ptrItEEEEPS6_NSA_18transform_iteratorI7is_evenItESF_NSA_11use_defaultESK_EENS0_5tupleIJNSA_16discard_iteratorISK_EESO_EEENSM_IJSG_SG_EEES6_PlJS6_EEE10hipError_tPvRmT3_T4_T5_T6_T7_T9_mT8_P12ihipStream_tbDpT10_ENKUlT_T0_E_clISt17integral_constantIbLb0EES1B_EEDaS16_S17_EUlS16_E_NS1_11comp_targetILNS1_3genE10ELNS1_11target_archE1200ELNS1_3gpuE4ELNS1_3repE0EEENS1_30default_config_static_selectorELNS0_4arch9wavefront6targetE1EEEvT1_
; %bb.0:
	.section	.rodata,"a",@progbits
	.p2align	6, 0x0
	.amdhsa_kernel _ZN7rocprim17ROCPRIM_400000_NS6detail17trampoline_kernelINS0_14default_configENS1_25partition_config_selectorILNS1_17partition_subalgoE1EtNS0_10empty_typeEbEEZZNS1_14partition_implILS5_1ELb0ES3_jN6thrust23THRUST_200600_302600_NS6detail15normal_iteratorINSA_10device_ptrItEEEEPS6_NSA_18transform_iteratorI7is_evenItESF_NSA_11use_defaultESK_EENS0_5tupleIJNSA_16discard_iteratorISK_EESO_EEENSM_IJSG_SG_EEES6_PlJS6_EEE10hipError_tPvRmT3_T4_T5_T6_T7_T9_mT8_P12ihipStream_tbDpT10_ENKUlT_T0_E_clISt17integral_constantIbLb0EES1B_EEDaS16_S17_EUlS16_E_NS1_11comp_targetILNS1_3genE10ELNS1_11target_archE1200ELNS1_3gpuE4ELNS1_3repE0EEENS1_30default_config_static_selectorELNS0_4arch9wavefront6targetE1EEEvT1_
		.amdhsa_group_segment_fixed_size 0
		.amdhsa_private_segment_fixed_size 0
		.amdhsa_kernarg_size 144
		.amdhsa_user_sgpr_count 6
		.amdhsa_user_sgpr_private_segment_buffer 1
		.amdhsa_user_sgpr_dispatch_ptr 0
		.amdhsa_user_sgpr_queue_ptr 0
		.amdhsa_user_sgpr_kernarg_segment_ptr 1
		.amdhsa_user_sgpr_dispatch_id 0
		.amdhsa_user_sgpr_flat_scratch_init 0
		.amdhsa_user_sgpr_kernarg_preload_length 0
		.amdhsa_user_sgpr_kernarg_preload_offset 0
		.amdhsa_user_sgpr_private_segment_size 0
		.amdhsa_uses_dynamic_stack 0
		.amdhsa_system_sgpr_private_segment_wavefront_offset 0
		.amdhsa_system_sgpr_workgroup_id_x 1
		.amdhsa_system_sgpr_workgroup_id_y 0
		.amdhsa_system_sgpr_workgroup_id_z 0
		.amdhsa_system_sgpr_workgroup_info 0
		.amdhsa_system_vgpr_workitem_id 0
		.amdhsa_next_free_vgpr 1
		.amdhsa_next_free_sgpr 0
		.amdhsa_accum_offset 4
		.amdhsa_reserve_vcc 0
		.amdhsa_reserve_flat_scratch 0
		.amdhsa_float_round_mode_32 0
		.amdhsa_float_round_mode_16_64 0
		.amdhsa_float_denorm_mode_32 3
		.amdhsa_float_denorm_mode_16_64 3
		.amdhsa_dx10_clamp 1
		.amdhsa_ieee_mode 1
		.amdhsa_fp16_overflow 0
		.amdhsa_tg_split 0
		.amdhsa_exception_fp_ieee_invalid_op 0
		.amdhsa_exception_fp_denorm_src 0
		.amdhsa_exception_fp_ieee_div_zero 0
		.amdhsa_exception_fp_ieee_overflow 0
		.amdhsa_exception_fp_ieee_underflow 0
		.amdhsa_exception_fp_ieee_inexact 0
		.amdhsa_exception_int_div_zero 0
	.end_amdhsa_kernel
	.section	.text._ZN7rocprim17ROCPRIM_400000_NS6detail17trampoline_kernelINS0_14default_configENS1_25partition_config_selectorILNS1_17partition_subalgoE1EtNS0_10empty_typeEbEEZZNS1_14partition_implILS5_1ELb0ES3_jN6thrust23THRUST_200600_302600_NS6detail15normal_iteratorINSA_10device_ptrItEEEEPS6_NSA_18transform_iteratorI7is_evenItESF_NSA_11use_defaultESK_EENS0_5tupleIJNSA_16discard_iteratorISK_EESO_EEENSM_IJSG_SG_EEES6_PlJS6_EEE10hipError_tPvRmT3_T4_T5_T6_T7_T9_mT8_P12ihipStream_tbDpT10_ENKUlT_T0_E_clISt17integral_constantIbLb0EES1B_EEDaS16_S17_EUlS16_E_NS1_11comp_targetILNS1_3genE10ELNS1_11target_archE1200ELNS1_3gpuE4ELNS1_3repE0EEENS1_30default_config_static_selectorELNS0_4arch9wavefront6targetE1EEEvT1_,"axG",@progbits,_ZN7rocprim17ROCPRIM_400000_NS6detail17trampoline_kernelINS0_14default_configENS1_25partition_config_selectorILNS1_17partition_subalgoE1EtNS0_10empty_typeEbEEZZNS1_14partition_implILS5_1ELb0ES3_jN6thrust23THRUST_200600_302600_NS6detail15normal_iteratorINSA_10device_ptrItEEEEPS6_NSA_18transform_iteratorI7is_evenItESF_NSA_11use_defaultESK_EENS0_5tupleIJNSA_16discard_iteratorISK_EESO_EEENSM_IJSG_SG_EEES6_PlJS6_EEE10hipError_tPvRmT3_T4_T5_T6_T7_T9_mT8_P12ihipStream_tbDpT10_ENKUlT_T0_E_clISt17integral_constantIbLb0EES1B_EEDaS16_S17_EUlS16_E_NS1_11comp_targetILNS1_3genE10ELNS1_11target_archE1200ELNS1_3gpuE4ELNS1_3repE0EEENS1_30default_config_static_selectorELNS0_4arch9wavefront6targetE1EEEvT1_,comdat
.Lfunc_end3072:
	.size	_ZN7rocprim17ROCPRIM_400000_NS6detail17trampoline_kernelINS0_14default_configENS1_25partition_config_selectorILNS1_17partition_subalgoE1EtNS0_10empty_typeEbEEZZNS1_14partition_implILS5_1ELb0ES3_jN6thrust23THRUST_200600_302600_NS6detail15normal_iteratorINSA_10device_ptrItEEEEPS6_NSA_18transform_iteratorI7is_evenItESF_NSA_11use_defaultESK_EENS0_5tupleIJNSA_16discard_iteratorISK_EESO_EEENSM_IJSG_SG_EEES6_PlJS6_EEE10hipError_tPvRmT3_T4_T5_T6_T7_T9_mT8_P12ihipStream_tbDpT10_ENKUlT_T0_E_clISt17integral_constantIbLb0EES1B_EEDaS16_S17_EUlS16_E_NS1_11comp_targetILNS1_3genE10ELNS1_11target_archE1200ELNS1_3gpuE4ELNS1_3repE0EEENS1_30default_config_static_selectorELNS0_4arch9wavefront6targetE1EEEvT1_, .Lfunc_end3072-_ZN7rocprim17ROCPRIM_400000_NS6detail17trampoline_kernelINS0_14default_configENS1_25partition_config_selectorILNS1_17partition_subalgoE1EtNS0_10empty_typeEbEEZZNS1_14partition_implILS5_1ELb0ES3_jN6thrust23THRUST_200600_302600_NS6detail15normal_iteratorINSA_10device_ptrItEEEEPS6_NSA_18transform_iteratorI7is_evenItESF_NSA_11use_defaultESK_EENS0_5tupleIJNSA_16discard_iteratorISK_EESO_EEENSM_IJSG_SG_EEES6_PlJS6_EEE10hipError_tPvRmT3_T4_T5_T6_T7_T9_mT8_P12ihipStream_tbDpT10_ENKUlT_T0_E_clISt17integral_constantIbLb0EES1B_EEDaS16_S17_EUlS16_E_NS1_11comp_targetILNS1_3genE10ELNS1_11target_archE1200ELNS1_3gpuE4ELNS1_3repE0EEENS1_30default_config_static_selectorELNS0_4arch9wavefront6targetE1EEEvT1_
                                        ; -- End function
	.section	.AMDGPU.csdata,"",@progbits
; Kernel info:
; codeLenInByte = 0
; NumSgprs: 4
; NumVgprs: 0
; NumAgprs: 0
; TotalNumVgprs: 0
; ScratchSize: 0
; MemoryBound: 0
; FloatMode: 240
; IeeeMode: 1
; LDSByteSize: 0 bytes/workgroup (compile time only)
; SGPRBlocks: 0
; VGPRBlocks: 0
; NumSGPRsForWavesPerEU: 4
; NumVGPRsForWavesPerEU: 1
; AccumOffset: 4
; Occupancy: 8
; WaveLimiterHint : 0
; COMPUTE_PGM_RSRC2:SCRATCH_EN: 0
; COMPUTE_PGM_RSRC2:USER_SGPR: 6
; COMPUTE_PGM_RSRC2:TRAP_HANDLER: 0
; COMPUTE_PGM_RSRC2:TGID_X_EN: 1
; COMPUTE_PGM_RSRC2:TGID_Y_EN: 0
; COMPUTE_PGM_RSRC2:TGID_Z_EN: 0
; COMPUTE_PGM_RSRC2:TIDIG_COMP_CNT: 0
; COMPUTE_PGM_RSRC3_GFX90A:ACCUM_OFFSET: 0
; COMPUTE_PGM_RSRC3_GFX90A:TG_SPLIT: 0
	.section	.text._ZN7rocprim17ROCPRIM_400000_NS6detail17trampoline_kernelINS0_14default_configENS1_25partition_config_selectorILNS1_17partition_subalgoE1EtNS0_10empty_typeEbEEZZNS1_14partition_implILS5_1ELb0ES3_jN6thrust23THRUST_200600_302600_NS6detail15normal_iteratorINSA_10device_ptrItEEEEPS6_NSA_18transform_iteratorI7is_evenItESF_NSA_11use_defaultESK_EENS0_5tupleIJNSA_16discard_iteratorISK_EESO_EEENSM_IJSG_SG_EEES6_PlJS6_EEE10hipError_tPvRmT3_T4_T5_T6_T7_T9_mT8_P12ihipStream_tbDpT10_ENKUlT_T0_E_clISt17integral_constantIbLb0EES1B_EEDaS16_S17_EUlS16_E_NS1_11comp_targetILNS1_3genE9ELNS1_11target_archE1100ELNS1_3gpuE3ELNS1_3repE0EEENS1_30default_config_static_selectorELNS0_4arch9wavefront6targetE1EEEvT1_,"axG",@progbits,_ZN7rocprim17ROCPRIM_400000_NS6detail17trampoline_kernelINS0_14default_configENS1_25partition_config_selectorILNS1_17partition_subalgoE1EtNS0_10empty_typeEbEEZZNS1_14partition_implILS5_1ELb0ES3_jN6thrust23THRUST_200600_302600_NS6detail15normal_iteratorINSA_10device_ptrItEEEEPS6_NSA_18transform_iteratorI7is_evenItESF_NSA_11use_defaultESK_EENS0_5tupleIJNSA_16discard_iteratorISK_EESO_EEENSM_IJSG_SG_EEES6_PlJS6_EEE10hipError_tPvRmT3_T4_T5_T6_T7_T9_mT8_P12ihipStream_tbDpT10_ENKUlT_T0_E_clISt17integral_constantIbLb0EES1B_EEDaS16_S17_EUlS16_E_NS1_11comp_targetILNS1_3genE9ELNS1_11target_archE1100ELNS1_3gpuE3ELNS1_3repE0EEENS1_30default_config_static_selectorELNS0_4arch9wavefront6targetE1EEEvT1_,comdat
	.protected	_ZN7rocprim17ROCPRIM_400000_NS6detail17trampoline_kernelINS0_14default_configENS1_25partition_config_selectorILNS1_17partition_subalgoE1EtNS0_10empty_typeEbEEZZNS1_14partition_implILS5_1ELb0ES3_jN6thrust23THRUST_200600_302600_NS6detail15normal_iteratorINSA_10device_ptrItEEEEPS6_NSA_18transform_iteratorI7is_evenItESF_NSA_11use_defaultESK_EENS0_5tupleIJNSA_16discard_iteratorISK_EESO_EEENSM_IJSG_SG_EEES6_PlJS6_EEE10hipError_tPvRmT3_T4_T5_T6_T7_T9_mT8_P12ihipStream_tbDpT10_ENKUlT_T0_E_clISt17integral_constantIbLb0EES1B_EEDaS16_S17_EUlS16_E_NS1_11comp_targetILNS1_3genE9ELNS1_11target_archE1100ELNS1_3gpuE3ELNS1_3repE0EEENS1_30default_config_static_selectorELNS0_4arch9wavefront6targetE1EEEvT1_ ; -- Begin function _ZN7rocprim17ROCPRIM_400000_NS6detail17trampoline_kernelINS0_14default_configENS1_25partition_config_selectorILNS1_17partition_subalgoE1EtNS0_10empty_typeEbEEZZNS1_14partition_implILS5_1ELb0ES3_jN6thrust23THRUST_200600_302600_NS6detail15normal_iteratorINSA_10device_ptrItEEEEPS6_NSA_18transform_iteratorI7is_evenItESF_NSA_11use_defaultESK_EENS0_5tupleIJNSA_16discard_iteratorISK_EESO_EEENSM_IJSG_SG_EEES6_PlJS6_EEE10hipError_tPvRmT3_T4_T5_T6_T7_T9_mT8_P12ihipStream_tbDpT10_ENKUlT_T0_E_clISt17integral_constantIbLb0EES1B_EEDaS16_S17_EUlS16_E_NS1_11comp_targetILNS1_3genE9ELNS1_11target_archE1100ELNS1_3gpuE3ELNS1_3repE0EEENS1_30default_config_static_selectorELNS0_4arch9wavefront6targetE1EEEvT1_
	.globl	_ZN7rocprim17ROCPRIM_400000_NS6detail17trampoline_kernelINS0_14default_configENS1_25partition_config_selectorILNS1_17partition_subalgoE1EtNS0_10empty_typeEbEEZZNS1_14partition_implILS5_1ELb0ES3_jN6thrust23THRUST_200600_302600_NS6detail15normal_iteratorINSA_10device_ptrItEEEEPS6_NSA_18transform_iteratorI7is_evenItESF_NSA_11use_defaultESK_EENS0_5tupleIJNSA_16discard_iteratorISK_EESO_EEENSM_IJSG_SG_EEES6_PlJS6_EEE10hipError_tPvRmT3_T4_T5_T6_T7_T9_mT8_P12ihipStream_tbDpT10_ENKUlT_T0_E_clISt17integral_constantIbLb0EES1B_EEDaS16_S17_EUlS16_E_NS1_11comp_targetILNS1_3genE9ELNS1_11target_archE1100ELNS1_3gpuE3ELNS1_3repE0EEENS1_30default_config_static_selectorELNS0_4arch9wavefront6targetE1EEEvT1_
	.p2align	8
	.type	_ZN7rocprim17ROCPRIM_400000_NS6detail17trampoline_kernelINS0_14default_configENS1_25partition_config_selectorILNS1_17partition_subalgoE1EtNS0_10empty_typeEbEEZZNS1_14partition_implILS5_1ELb0ES3_jN6thrust23THRUST_200600_302600_NS6detail15normal_iteratorINSA_10device_ptrItEEEEPS6_NSA_18transform_iteratorI7is_evenItESF_NSA_11use_defaultESK_EENS0_5tupleIJNSA_16discard_iteratorISK_EESO_EEENSM_IJSG_SG_EEES6_PlJS6_EEE10hipError_tPvRmT3_T4_T5_T6_T7_T9_mT8_P12ihipStream_tbDpT10_ENKUlT_T0_E_clISt17integral_constantIbLb0EES1B_EEDaS16_S17_EUlS16_E_NS1_11comp_targetILNS1_3genE9ELNS1_11target_archE1100ELNS1_3gpuE3ELNS1_3repE0EEENS1_30default_config_static_selectorELNS0_4arch9wavefront6targetE1EEEvT1_,@function
_ZN7rocprim17ROCPRIM_400000_NS6detail17trampoline_kernelINS0_14default_configENS1_25partition_config_selectorILNS1_17partition_subalgoE1EtNS0_10empty_typeEbEEZZNS1_14partition_implILS5_1ELb0ES3_jN6thrust23THRUST_200600_302600_NS6detail15normal_iteratorINSA_10device_ptrItEEEEPS6_NSA_18transform_iteratorI7is_evenItESF_NSA_11use_defaultESK_EENS0_5tupleIJNSA_16discard_iteratorISK_EESO_EEENSM_IJSG_SG_EEES6_PlJS6_EEE10hipError_tPvRmT3_T4_T5_T6_T7_T9_mT8_P12ihipStream_tbDpT10_ENKUlT_T0_E_clISt17integral_constantIbLb0EES1B_EEDaS16_S17_EUlS16_E_NS1_11comp_targetILNS1_3genE9ELNS1_11target_archE1100ELNS1_3gpuE3ELNS1_3repE0EEENS1_30default_config_static_selectorELNS0_4arch9wavefront6targetE1EEEvT1_: ; @_ZN7rocprim17ROCPRIM_400000_NS6detail17trampoline_kernelINS0_14default_configENS1_25partition_config_selectorILNS1_17partition_subalgoE1EtNS0_10empty_typeEbEEZZNS1_14partition_implILS5_1ELb0ES3_jN6thrust23THRUST_200600_302600_NS6detail15normal_iteratorINSA_10device_ptrItEEEEPS6_NSA_18transform_iteratorI7is_evenItESF_NSA_11use_defaultESK_EENS0_5tupleIJNSA_16discard_iteratorISK_EESO_EEENSM_IJSG_SG_EEES6_PlJS6_EEE10hipError_tPvRmT3_T4_T5_T6_T7_T9_mT8_P12ihipStream_tbDpT10_ENKUlT_T0_E_clISt17integral_constantIbLb0EES1B_EEDaS16_S17_EUlS16_E_NS1_11comp_targetILNS1_3genE9ELNS1_11target_archE1100ELNS1_3gpuE3ELNS1_3repE0EEENS1_30default_config_static_selectorELNS0_4arch9wavefront6targetE1EEEvT1_
; %bb.0:
	.section	.rodata,"a",@progbits
	.p2align	6, 0x0
	.amdhsa_kernel _ZN7rocprim17ROCPRIM_400000_NS6detail17trampoline_kernelINS0_14default_configENS1_25partition_config_selectorILNS1_17partition_subalgoE1EtNS0_10empty_typeEbEEZZNS1_14partition_implILS5_1ELb0ES3_jN6thrust23THRUST_200600_302600_NS6detail15normal_iteratorINSA_10device_ptrItEEEEPS6_NSA_18transform_iteratorI7is_evenItESF_NSA_11use_defaultESK_EENS0_5tupleIJNSA_16discard_iteratorISK_EESO_EEENSM_IJSG_SG_EEES6_PlJS6_EEE10hipError_tPvRmT3_T4_T5_T6_T7_T9_mT8_P12ihipStream_tbDpT10_ENKUlT_T0_E_clISt17integral_constantIbLb0EES1B_EEDaS16_S17_EUlS16_E_NS1_11comp_targetILNS1_3genE9ELNS1_11target_archE1100ELNS1_3gpuE3ELNS1_3repE0EEENS1_30default_config_static_selectorELNS0_4arch9wavefront6targetE1EEEvT1_
		.amdhsa_group_segment_fixed_size 0
		.amdhsa_private_segment_fixed_size 0
		.amdhsa_kernarg_size 144
		.amdhsa_user_sgpr_count 6
		.amdhsa_user_sgpr_private_segment_buffer 1
		.amdhsa_user_sgpr_dispatch_ptr 0
		.amdhsa_user_sgpr_queue_ptr 0
		.amdhsa_user_sgpr_kernarg_segment_ptr 1
		.amdhsa_user_sgpr_dispatch_id 0
		.amdhsa_user_sgpr_flat_scratch_init 0
		.amdhsa_user_sgpr_kernarg_preload_length 0
		.amdhsa_user_sgpr_kernarg_preload_offset 0
		.amdhsa_user_sgpr_private_segment_size 0
		.amdhsa_uses_dynamic_stack 0
		.amdhsa_system_sgpr_private_segment_wavefront_offset 0
		.amdhsa_system_sgpr_workgroup_id_x 1
		.amdhsa_system_sgpr_workgroup_id_y 0
		.amdhsa_system_sgpr_workgroup_id_z 0
		.amdhsa_system_sgpr_workgroup_info 0
		.amdhsa_system_vgpr_workitem_id 0
		.amdhsa_next_free_vgpr 1
		.amdhsa_next_free_sgpr 0
		.amdhsa_accum_offset 4
		.amdhsa_reserve_vcc 0
		.amdhsa_reserve_flat_scratch 0
		.amdhsa_float_round_mode_32 0
		.amdhsa_float_round_mode_16_64 0
		.amdhsa_float_denorm_mode_32 3
		.amdhsa_float_denorm_mode_16_64 3
		.amdhsa_dx10_clamp 1
		.amdhsa_ieee_mode 1
		.amdhsa_fp16_overflow 0
		.amdhsa_tg_split 0
		.amdhsa_exception_fp_ieee_invalid_op 0
		.amdhsa_exception_fp_denorm_src 0
		.amdhsa_exception_fp_ieee_div_zero 0
		.amdhsa_exception_fp_ieee_overflow 0
		.amdhsa_exception_fp_ieee_underflow 0
		.amdhsa_exception_fp_ieee_inexact 0
		.amdhsa_exception_int_div_zero 0
	.end_amdhsa_kernel
	.section	.text._ZN7rocprim17ROCPRIM_400000_NS6detail17trampoline_kernelINS0_14default_configENS1_25partition_config_selectorILNS1_17partition_subalgoE1EtNS0_10empty_typeEbEEZZNS1_14partition_implILS5_1ELb0ES3_jN6thrust23THRUST_200600_302600_NS6detail15normal_iteratorINSA_10device_ptrItEEEEPS6_NSA_18transform_iteratorI7is_evenItESF_NSA_11use_defaultESK_EENS0_5tupleIJNSA_16discard_iteratorISK_EESO_EEENSM_IJSG_SG_EEES6_PlJS6_EEE10hipError_tPvRmT3_T4_T5_T6_T7_T9_mT8_P12ihipStream_tbDpT10_ENKUlT_T0_E_clISt17integral_constantIbLb0EES1B_EEDaS16_S17_EUlS16_E_NS1_11comp_targetILNS1_3genE9ELNS1_11target_archE1100ELNS1_3gpuE3ELNS1_3repE0EEENS1_30default_config_static_selectorELNS0_4arch9wavefront6targetE1EEEvT1_,"axG",@progbits,_ZN7rocprim17ROCPRIM_400000_NS6detail17trampoline_kernelINS0_14default_configENS1_25partition_config_selectorILNS1_17partition_subalgoE1EtNS0_10empty_typeEbEEZZNS1_14partition_implILS5_1ELb0ES3_jN6thrust23THRUST_200600_302600_NS6detail15normal_iteratorINSA_10device_ptrItEEEEPS6_NSA_18transform_iteratorI7is_evenItESF_NSA_11use_defaultESK_EENS0_5tupleIJNSA_16discard_iteratorISK_EESO_EEENSM_IJSG_SG_EEES6_PlJS6_EEE10hipError_tPvRmT3_T4_T5_T6_T7_T9_mT8_P12ihipStream_tbDpT10_ENKUlT_T0_E_clISt17integral_constantIbLb0EES1B_EEDaS16_S17_EUlS16_E_NS1_11comp_targetILNS1_3genE9ELNS1_11target_archE1100ELNS1_3gpuE3ELNS1_3repE0EEENS1_30default_config_static_selectorELNS0_4arch9wavefront6targetE1EEEvT1_,comdat
.Lfunc_end3073:
	.size	_ZN7rocprim17ROCPRIM_400000_NS6detail17trampoline_kernelINS0_14default_configENS1_25partition_config_selectorILNS1_17partition_subalgoE1EtNS0_10empty_typeEbEEZZNS1_14partition_implILS5_1ELb0ES3_jN6thrust23THRUST_200600_302600_NS6detail15normal_iteratorINSA_10device_ptrItEEEEPS6_NSA_18transform_iteratorI7is_evenItESF_NSA_11use_defaultESK_EENS0_5tupleIJNSA_16discard_iteratorISK_EESO_EEENSM_IJSG_SG_EEES6_PlJS6_EEE10hipError_tPvRmT3_T4_T5_T6_T7_T9_mT8_P12ihipStream_tbDpT10_ENKUlT_T0_E_clISt17integral_constantIbLb0EES1B_EEDaS16_S17_EUlS16_E_NS1_11comp_targetILNS1_3genE9ELNS1_11target_archE1100ELNS1_3gpuE3ELNS1_3repE0EEENS1_30default_config_static_selectorELNS0_4arch9wavefront6targetE1EEEvT1_, .Lfunc_end3073-_ZN7rocprim17ROCPRIM_400000_NS6detail17trampoline_kernelINS0_14default_configENS1_25partition_config_selectorILNS1_17partition_subalgoE1EtNS0_10empty_typeEbEEZZNS1_14partition_implILS5_1ELb0ES3_jN6thrust23THRUST_200600_302600_NS6detail15normal_iteratorINSA_10device_ptrItEEEEPS6_NSA_18transform_iteratorI7is_evenItESF_NSA_11use_defaultESK_EENS0_5tupleIJNSA_16discard_iteratorISK_EESO_EEENSM_IJSG_SG_EEES6_PlJS6_EEE10hipError_tPvRmT3_T4_T5_T6_T7_T9_mT8_P12ihipStream_tbDpT10_ENKUlT_T0_E_clISt17integral_constantIbLb0EES1B_EEDaS16_S17_EUlS16_E_NS1_11comp_targetILNS1_3genE9ELNS1_11target_archE1100ELNS1_3gpuE3ELNS1_3repE0EEENS1_30default_config_static_selectorELNS0_4arch9wavefront6targetE1EEEvT1_
                                        ; -- End function
	.section	.AMDGPU.csdata,"",@progbits
; Kernel info:
; codeLenInByte = 0
; NumSgprs: 4
; NumVgprs: 0
; NumAgprs: 0
; TotalNumVgprs: 0
; ScratchSize: 0
; MemoryBound: 0
; FloatMode: 240
; IeeeMode: 1
; LDSByteSize: 0 bytes/workgroup (compile time only)
; SGPRBlocks: 0
; VGPRBlocks: 0
; NumSGPRsForWavesPerEU: 4
; NumVGPRsForWavesPerEU: 1
; AccumOffset: 4
; Occupancy: 8
; WaveLimiterHint : 0
; COMPUTE_PGM_RSRC2:SCRATCH_EN: 0
; COMPUTE_PGM_RSRC2:USER_SGPR: 6
; COMPUTE_PGM_RSRC2:TRAP_HANDLER: 0
; COMPUTE_PGM_RSRC2:TGID_X_EN: 1
; COMPUTE_PGM_RSRC2:TGID_Y_EN: 0
; COMPUTE_PGM_RSRC2:TGID_Z_EN: 0
; COMPUTE_PGM_RSRC2:TIDIG_COMP_CNT: 0
; COMPUTE_PGM_RSRC3_GFX90A:ACCUM_OFFSET: 0
; COMPUTE_PGM_RSRC3_GFX90A:TG_SPLIT: 0
	.section	.text._ZN7rocprim17ROCPRIM_400000_NS6detail17trampoline_kernelINS0_14default_configENS1_25partition_config_selectorILNS1_17partition_subalgoE1EtNS0_10empty_typeEbEEZZNS1_14partition_implILS5_1ELb0ES3_jN6thrust23THRUST_200600_302600_NS6detail15normal_iteratorINSA_10device_ptrItEEEEPS6_NSA_18transform_iteratorI7is_evenItESF_NSA_11use_defaultESK_EENS0_5tupleIJNSA_16discard_iteratorISK_EESO_EEENSM_IJSG_SG_EEES6_PlJS6_EEE10hipError_tPvRmT3_T4_T5_T6_T7_T9_mT8_P12ihipStream_tbDpT10_ENKUlT_T0_E_clISt17integral_constantIbLb0EES1B_EEDaS16_S17_EUlS16_E_NS1_11comp_targetILNS1_3genE8ELNS1_11target_archE1030ELNS1_3gpuE2ELNS1_3repE0EEENS1_30default_config_static_selectorELNS0_4arch9wavefront6targetE1EEEvT1_,"axG",@progbits,_ZN7rocprim17ROCPRIM_400000_NS6detail17trampoline_kernelINS0_14default_configENS1_25partition_config_selectorILNS1_17partition_subalgoE1EtNS0_10empty_typeEbEEZZNS1_14partition_implILS5_1ELb0ES3_jN6thrust23THRUST_200600_302600_NS6detail15normal_iteratorINSA_10device_ptrItEEEEPS6_NSA_18transform_iteratorI7is_evenItESF_NSA_11use_defaultESK_EENS0_5tupleIJNSA_16discard_iteratorISK_EESO_EEENSM_IJSG_SG_EEES6_PlJS6_EEE10hipError_tPvRmT3_T4_T5_T6_T7_T9_mT8_P12ihipStream_tbDpT10_ENKUlT_T0_E_clISt17integral_constantIbLb0EES1B_EEDaS16_S17_EUlS16_E_NS1_11comp_targetILNS1_3genE8ELNS1_11target_archE1030ELNS1_3gpuE2ELNS1_3repE0EEENS1_30default_config_static_selectorELNS0_4arch9wavefront6targetE1EEEvT1_,comdat
	.protected	_ZN7rocprim17ROCPRIM_400000_NS6detail17trampoline_kernelINS0_14default_configENS1_25partition_config_selectorILNS1_17partition_subalgoE1EtNS0_10empty_typeEbEEZZNS1_14partition_implILS5_1ELb0ES3_jN6thrust23THRUST_200600_302600_NS6detail15normal_iteratorINSA_10device_ptrItEEEEPS6_NSA_18transform_iteratorI7is_evenItESF_NSA_11use_defaultESK_EENS0_5tupleIJNSA_16discard_iteratorISK_EESO_EEENSM_IJSG_SG_EEES6_PlJS6_EEE10hipError_tPvRmT3_T4_T5_T6_T7_T9_mT8_P12ihipStream_tbDpT10_ENKUlT_T0_E_clISt17integral_constantIbLb0EES1B_EEDaS16_S17_EUlS16_E_NS1_11comp_targetILNS1_3genE8ELNS1_11target_archE1030ELNS1_3gpuE2ELNS1_3repE0EEENS1_30default_config_static_selectorELNS0_4arch9wavefront6targetE1EEEvT1_ ; -- Begin function _ZN7rocprim17ROCPRIM_400000_NS6detail17trampoline_kernelINS0_14default_configENS1_25partition_config_selectorILNS1_17partition_subalgoE1EtNS0_10empty_typeEbEEZZNS1_14partition_implILS5_1ELb0ES3_jN6thrust23THRUST_200600_302600_NS6detail15normal_iteratorINSA_10device_ptrItEEEEPS6_NSA_18transform_iteratorI7is_evenItESF_NSA_11use_defaultESK_EENS0_5tupleIJNSA_16discard_iteratorISK_EESO_EEENSM_IJSG_SG_EEES6_PlJS6_EEE10hipError_tPvRmT3_T4_T5_T6_T7_T9_mT8_P12ihipStream_tbDpT10_ENKUlT_T0_E_clISt17integral_constantIbLb0EES1B_EEDaS16_S17_EUlS16_E_NS1_11comp_targetILNS1_3genE8ELNS1_11target_archE1030ELNS1_3gpuE2ELNS1_3repE0EEENS1_30default_config_static_selectorELNS0_4arch9wavefront6targetE1EEEvT1_
	.globl	_ZN7rocprim17ROCPRIM_400000_NS6detail17trampoline_kernelINS0_14default_configENS1_25partition_config_selectorILNS1_17partition_subalgoE1EtNS0_10empty_typeEbEEZZNS1_14partition_implILS5_1ELb0ES3_jN6thrust23THRUST_200600_302600_NS6detail15normal_iteratorINSA_10device_ptrItEEEEPS6_NSA_18transform_iteratorI7is_evenItESF_NSA_11use_defaultESK_EENS0_5tupleIJNSA_16discard_iteratorISK_EESO_EEENSM_IJSG_SG_EEES6_PlJS6_EEE10hipError_tPvRmT3_T4_T5_T6_T7_T9_mT8_P12ihipStream_tbDpT10_ENKUlT_T0_E_clISt17integral_constantIbLb0EES1B_EEDaS16_S17_EUlS16_E_NS1_11comp_targetILNS1_3genE8ELNS1_11target_archE1030ELNS1_3gpuE2ELNS1_3repE0EEENS1_30default_config_static_selectorELNS0_4arch9wavefront6targetE1EEEvT1_
	.p2align	8
	.type	_ZN7rocprim17ROCPRIM_400000_NS6detail17trampoline_kernelINS0_14default_configENS1_25partition_config_selectorILNS1_17partition_subalgoE1EtNS0_10empty_typeEbEEZZNS1_14partition_implILS5_1ELb0ES3_jN6thrust23THRUST_200600_302600_NS6detail15normal_iteratorINSA_10device_ptrItEEEEPS6_NSA_18transform_iteratorI7is_evenItESF_NSA_11use_defaultESK_EENS0_5tupleIJNSA_16discard_iteratorISK_EESO_EEENSM_IJSG_SG_EEES6_PlJS6_EEE10hipError_tPvRmT3_T4_T5_T6_T7_T9_mT8_P12ihipStream_tbDpT10_ENKUlT_T0_E_clISt17integral_constantIbLb0EES1B_EEDaS16_S17_EUlS16_E_NS1_11comp_targetILNS1_3genE8ELNS1_11target_archE1030ELNS1_3gpuE2ELNS1_3repE0EEENS1_30default_config_static_selectorELNS0_4arch9wavefront6targetE1EEEvT1_,@function
_ZN7rocprim17ROCPRIM_400000_NS6detail17trampoline_kernelINS0_14default_configENS1_25partition_config_selectorILNS1_17partition_subalgoE1EtNS0_10empty_typeEbEEZZNS1_14partition_implILS5_1ELb0ES3_jN6thrust23THRUST_200600_302600_NS6detail15normal_iteratorINSA_10device_ptrItEEEEPS6_NSA_18transform_iteratorI7is_evenItESF_NSA_11use_defaultESK_EENS0_5tupleIJNSA_16discard_iteratorISK_EESO_EEENSM_IJSG_SG_EEES6_PlJS6_EEE10hipError_tPvRmT3_T4_T5_T6_T7_T9_mT8_P12ihipStream_tbDpT10_ENKUlT_T0_E_clISt17integral_constantIbLb0EES1B_EEDaS16_S17_EUlS16_E_NS1_11comp_targetILNS1_3genE8ELNS1_11target_archE1030ELNS1_3gpuE2ELNS1_3repE0EEENS1_30default_config_static_selectorELNS0_4arch9wavefront6targetE1EEEvT1_: ; @_ZN7rocprim17ROCPRIM_400000_NS6detail17trampoline_kernelINS0_14default_configENS1_25partition_config_selectorILNS1_17partition_subalgoE1EtNS0_10empty_typeEbEEZZNS1_14partition_implILS5_1ELb0ES3_jN6thrust23THRUST_200600_302600_NS6detail15normal_iteratorINSA_10device_ptrItEEEEPS6_NSA_18transform_iteratorI7is_evenItESF_NSA_11use_defaultESK_EENS0_5tupleIJNSA_16discard_iteratorISK_EESO_EEENSM_IJSG_SG_EEES6_PlJS6_EEE10hipError_tPvRmT3_T4_T5_T6_T7_T9_mT8_P12ihipStream_tbDpT10_ENKUlT_T0_E_clISt17integral_constantIbLb0EES1B_EEDaS16_S17_EUlS16_E_NS1_11comp_targetILNS1_3genE8ELNS1_11target_archE1030ELNS1_3gpuE2ELNS1_3repE0EEENS1_30default_config_static_selectorELNS0_4arch9wavefront6targetE1EEEvT1_
; %bb.0:
	.section	.rodata,"a",@progbits
	.p2align	6, 0x0
	.amdhsa_kernel _ZN7rocprim17ROCPRIM_400000_NS6detail17trampoline_kernelINS0_14default_configENS1_25partition_config_selectorILNS1_17partition_subalgoE1EtNS0_10empty_typeEbEEZZNS1_14partition_implILS5_1ELb0ES3_jN6thrust23THRUST_200600_302600_NS6detail15normal_iteratorINSA_10device_ptrItEEEEPS6_NSA_18transform_iteratorI7is_evenItESF_NSA_11use_defaultESK_EENS0_5tupleIJNSA_16discard_iteratorISK_EESO_EEENSM_IJSG_SG_EEES6_PlJS6_EEE10hipError_tPvRmT3_T4_T5_T6_T7_T9_mT8_P12ihipStream_tbDpT10_ENKUlT_T0_E_clISt17integral_constantIbLb0EES1B_EEDaS16_S17_EUlS16_E_NS1_11comp_targetILNS1_3genE8ELNS1_11target_archE1030ELNS1_3gpuE2ELNS1_3repE0EEENS1_30default_config_static_selectorELNS0_4arch9wavefront6targetE1EEEvT1_
		.amdhsa_group_segment_fixed_size 0
		.amdhsa_private_segment_fixed_size 0
		.amdhsa_kernarg_size 144
		.amdhsa_user_sgpr_count 6
		.amdhsa_user_sgpr_private_segment_buffer 1
		.amdhsa_user_sgpr_dispatch_ptr 0
		.amdhsa_user_sgpr_queue_ptr 0
		.amdhsa_user_sgpr_kernarg_segment_ptr 1
		.amdhsa_user_sgpr_dispatch_id 0
		.amdhsa_user_sgpr_flat_scratch_init 0
		.amdhsa_user_sgpr_kernarg_preload_length 0
		.amdhsa_user_sgpr_kernarg_preload_offset 0
		.amdhsa_user_sgpr_private_segment_size 0
		.amdhsa_uses_dynamic_stack 0
		.amdhsa_system_sgpr_private_segment_wavefront_offset 0
		.amdhsa_system_sgpr_workgroup_id_x 1
		.amdhsa_system_sgpr_workgroup_id_y 0
		.amdhsa_system_sgpr_workgroup_id_z 0
		.amdhsa_system_sgpr_workgroup_info 0
		.amdhsa_system_vgpr_workitem_id 0
		.amdhsa_next_free_vgpr 1
		.amdhsa_next_free_sgpr 0
		.amdhsa_accum_offset 4
		.amdhsa_reserve_vcc 0
		.amdhsa_reserve_flat_scratch 0
		.amdhsa_float_round_mode_32 0
		.amdhsa_float_round_mode_16_64 0
		.amdhsa_float_denorm_mode_32 3
		.amdhsa_float_denorm_mode_16_64 3
		.amdhsa_dx10_clamp 1
		.amdhsa_ieee_mode 1
		.amdhsa_fp16_overflow 0
		.amdhsa_tg_split 0
		.amdhsa_exception_fp_ieee_invalid_op 0
		.amdhsa_exception_fp_denorm_src 0
		.amdhsa_exception_fp_ieee_div_zero 0
		.amdhsa_exception_fp_ieee_overflow 0
		.amdhsa_exception_fp_ieee_underflow 0
		.amdhsa_exception_fp_ieee_inexact 0
		.amdhsa_exception_int_div_zero 0
	.end_amdhsa_kernel
	.section	.text._ZN7rocprim17ROCPRIM_400000_NS6detail17trampoline_kernelINS0_14default_configENS1_25partition_config_selectorILNS1_17partition_subalgoE1EtNS0_10empty_typeEbEEZZNS1_14partition_implILS5_1ELb0ES3_jN6thrust23THRUST_200600_302600_NS6detail15normal_iteratorINSA_10device_ptrItEEEEPS6_NSA_18transform_iteratorI7is_evenItESF_NSA_11use_defaultESK_EENS0_5tupleIJNSA_16discard_iteratorISK_EESO_EEENSM_IJSG_SG_EEES6_PlJS6_EEE10hipError_tPvRmT3_T4_T5_T6_T7_T9_mT8_P12ihipStream_tbDpT10_ENKUlT_T0_E_clISt17integral_constantIbLb0EES1B_EEDaS16_S17_EUlS16_E_NS1_11comp_targetILNS1_3genE8ELNS1_11target_archE1030ELNS1_3gpuE2ELNS1_3repE0EEENS1_30default_config_static_selectorELNS0_4arch9wavefront6targetE1EEEvT1_,"axG",@progbits,_ZN7rocprim17ROCPRIM_400000_NS6detail17trampoline_kernelINS0_14default_configENS1_25partition_config_selectorILNS1_17partition_subalgoE1EtNS0_10empty_typeEbEEZZNS1_14partition_implILS5_1ELb0ES3_jN6thrust23THRUST_200600_302600_NS6detail15normal_iteratorINSA_10device_ptrItEEEEPS6_NSA_18transform_iteratorI7is_evenItESF_NSA_11use_defaultESK_EENS0_5tupleIJNSA_16discard_iteratorISK_EESO_EEENSM_IJSG_SG_EEES6_PlJS6_EEE10hipError_tPvRmT3_T4_T5_T6_T7_T9_mT8_P12ihipStream_tbDpT10_ENKUlT_T0_E_clISt17integral_constantIbLb0EES1B_EEDaS16_S17_EUlS16_E_NS1_11comp_targetILNS1_3genE8ELNS1_11target_archE1030ELNS1_3gpuE2ELNS1_3repE0EEENS1_30default_config_static_selectorELNS0_4arch9wavefront6targetE1EEEvT1_,comdat
.Lfunc_end3074:
	.size	_ZN7rocprim17ROCPRIM_400000_NS6detail17trampoline_kernelINS0_14default_configENS1_25partition_config_selectorILNS1_17partition_subalgoE1EtNS0_10empty_typeEbEEZZNS1_14partition_implILS5_1ELb0ES3_jN6thrust23THRUST_200600_302600_NS6detail15normal_iteratorINSA_10device_ptrItEEEEPS6_NSA_18transform_iteratorI7is_evenItESF_NSA_11use_defaultESK_EENS0_5tupleIJNSA_16discard_iteratorISK_EESO_EEENSM_IJSG_SG_EEES6_PlJS6_EEE10hipError_tPvRmT3_T4_T5_T6_T7_T9_mT8_P12ihipStream_tbDpT10_ENKUlT_T0_E_clISt17integral_constantIbLb0EES1B_EEDaS16_S17_EUlS16_E_NS1_11comp_targetILNS1_3genE8ELNS1_11target_archE1030ELNS1_3gpuE2ELNS1_3repE0EEENS1_30default_config_static_selectorELNS0_4arch9wavefront6targetE1EEEvT1_, .Lfunc_end3074-_ZN7rocprim17ROCPRIM_400000_NS6detail17trampoline_kernelINS0_14default_configENS1_25partition_config_selectorILNS1_17partition_subalgoE1EtNS0_10empty_typeEbEEZZNS1_14partition_implILS5_1ELb0ES3_jN6thrust23THRUST_200600_302600_NS6detail15normal_iteratorINSA_10device_ptrItEEEEPS6_NSA_18transform_iteratorI7is_evenItESF_NSA_11use_defaultESK_EENS0_5tupleIJNSA_16discard_iteratorISK_EESO_EEENSM_IJSG_SG_EEES6_PlJS6_EEE10hipError_tPvRmT3_T4_T5_T6_T7_T9_mT8_P12ihipStream_tbDpT10_ENKUlT_T0_E_clISt17integral_constantIbLb0EES1B_EEDaS16_S17_EUlS16_E_NS1_11comp_targetILNS1_3genE8ELNS1_11target_archE1030ELNS1_3gpuE2ELNS1_3repE0EEENS1_30default_config_static_selectorELNS0_4arch9wavefront6targetE1EEEvT1_
                                        ; -- End function
	.section	.AMDGPU.csdata,"",@progbits
; Kernel info:
; codeLenInByte = 0
; NumSgprs: 4
; NumVgprs: 0
; NumAgprs: 0
; TotalNumVgprs: 0
; ScratchSize: 0
; MemoryBound: 0
; FloatMode: 240
; IeeeMode: 1
; LDSByteSize: 0 bytes/workgroup (compile time only)
; SGPRBlocks: 0
; VGPRBlocks: 0
; NumSGPRsForWavesPerEU: 4
; NumVGPRsForWavesPerEU: 1
; AccumOffset: 4
; Occupancy: 8
; WaveLimiterHint : 0
; COMPUTE_PGM_RSRC2:SCRATCH_EN: 0
; COMPUTE_PGM_RSRC2:USER_SGPR: 6
; COMPUTE_PGM_RSRC2:TRAP_HANDLER: 0
; COMPUTE_PGM_RSRC2:TGID_X_EN: 1
; COMPUTE_PGM_RSRC2:TGID_Y_EN: 0
; COMPUTE_PGM_RSRC2:TGID_Z_EN: 0
; COMPUTE_PGM_RSRC2:TIDIG_COMP_CNT: 0
; COMPUTE_PGM_RSRC3_GFX90A:ACCUM_OFFSET: 0
; COMPUTE_PGM_RSRC3_GFX90A:TG_SPLIT: 0
	.section	.text._ZN7rocprim17ROCPRIM_400000_NS6detail17trampoline_kernelINS0_14default_configENS1_25partition_config_selectorILNS1_17partition_subalgoE1EtNS0_10empty_typeEbEEZZNS1_14partition_implILS5_1ELb0ES3_jN6thrust23THRUST_200600_302600_NS6detail15normal_iteratorINSA_10device_ptrItEEEEPS6_NSA_18transform_iteratorI7is_evenItESF_NSA_11use_defaultESK_EENS0_5tupleIJNSA_16discard_iteratorISK_EESO_EEENSM_IJSG_SG_EEES6_PlJS6_EEE10hipError_tPvRmT3_T4_T5_T6_T7_T9_mT8_P12ihipStream_tbDpT10_ENKUlT_T0_E_clISt17integral_constantIbLb1EES1B_EEDaS16_S17_EUlS16_E_NS1_11comp_targetILNS1_3genE0ELNS1_11target_archE4294967295ELNS1_3gpuE0ELNS1_3repE0EEENS1_30default_config_static_selectorELNS0_4arch9wavefront6targetE1EEEvT1_,"axG",@progbits,_ZN7rocprim17ROCPRIM_400000_NS6detail17trampoline_kernelINS0_14default_configENS1_25partition_config_selectorILNS1_17partition_subalgoE1EtNS0_10empty_typeEbEEZZNS1_14partition_implILS5_1ELb0ES3_jN6thrust23THRUST_200600_302600_NS6detail15normal_iteratorINSA_10device_ptrItEEEEPS6_NSA_18transform_iteratorI7is_evenItESF_NSA_11use_defaultESK_EENS0_5tupleIJNSA_16discard_iteratorISK_EESO_EEENSM_IJSG_SG_EEES6_PlJS6_EEE10hipError_tPvRmT3_T4_T5_T6_T7_T9_mT8_P12ihipStream_tbDpT10_ENKUlT_T0_E_clISt17integral_constantIbLb1EES1B_EEDaS16_S17_EUlS16_E_NS1_11comp_targetILNS1_3genE0ELNS1_11target_archE4294967295ELNS1_3gpuE0ELNS1_3repE0EEENS1_30default_config_static_selectorELNS0_4arch9wavefront6targetE1EEEvT1_,comdat
	.protected	_ZN7rocprim17ROCPRIM_400000_NS6detail17trampoline_kernelINS0_14default_configENS1_25partition_config_selectorILNS1_17partition_subalgoE1EtNS0_10empty_typeEbEEZZNS1_14partition_implILS5_1ELb0ES3_jN6thrust23THRUST_200600_302600_NS6detail15normal_iteratorINSA_10device_ptrItEEEEPS6_NSA_18transform_iteratorI7is_evenItESF_NSA_11use_defaultESK_EENS0_5tupleIJNSA_16discard_iteratorISK_EESO_EEENSM_IJSG_SG_EEES6_PlJS6_EEE10hipError_tPvRmT3_T4_T5_T6_T7_T9_mT8_P12ihipStream_tbDpT10_ENKUlT_T0_E_clISt17integral_constantIbLb1EES1B_EEDaS16_S17_EUlS16_E_NS1_11comp_targetILNS1_3genE0ELNS1_11target_archE4294967295ELNS1_3gpuE0ELNS1_3repE0EEENS1_30default_config_static_selectorELNS0_4arch9wavefront6targetE1EEEvT1_ ; -- Begin function _ZN7rocprim17ROCPRIM_400000_NS6detail17trampoline_kernelINS0_14default_configENS1_25partition_config_selectorILNS1_17partition_subalgoE1EtNS0_10empty_typeEbEEZZNS1_14partition_implILS5_1ELb0ES3_jN6thrust23THRUST_200600_302600_NS6detail15normal_iteratorINSA_10device_ptrItEEEEPS6_NSA_18transform_iteratorI7is_evenItESF_NSA_11use_defaultESK_EENS0_5tupleIJNSA_16discard_iteratorISK_EESO_EEENSM_IJSG_SG_EEES6_PlJS6_EEE10hipError_tPvRmT3_T4_T5_T6_T7_T9_mT8_P12ihipStream_tbDpT10_ENKUlT_T0_E_clISt17integral_constantIbLb1EES1B_EEDaS16_S17_EUlS16_E_NS1_11comp_targetILNS1_3genE0ELNS1_11target_archE4294967295ELNS1_3gpuE0ELNS1_3repE0EEENS1_30default_config_static_selectorELNS0_4arch9wavefront6targetE1EEEvT1_
	.globl	_ZN7rocprim17ROCPRIM_400000_NS6detail17trampoline_kernelINS0_14default_configENS1_25partition_config_selectorILNS1_17partition_subalgoE1EtNS0_10empty_typeEbEEZZNS1_14partition_implILS5_1ELb0ES3_jN6thrust23THRUST_200600_302600_NS6detail15normal_iteratorINSA_10device_ptrItEEEEPS6_NSA_18transform_iteratorI7is_evenItESF_NSA_11use_defaultESK_EENS0_5tupleIJNSA_16discard_iteratorISK_EESO_EEENSM_IJSG_SG_EEES6_PlJS6_EEE10hipError_tPvRmT3_T4_T5_T6_T7_T9_mT8_P12ihipStream_tbDpT10_ENKUlT_T0_E_clISt17integral_constantIbLb1EES1B_EEDaS16_S17_EUlS16_E_NS1_11comp_targetILNS1_3genE0ELNS1_11target_archE4294967295ELNS1_3gpuE0ELNS1_3repE0EEENS1_30default_config_static_selectorELNS0_4arch9wavefront6targetE1EEEvT1_
	.p2align	8
	.type	_ZN7rocprim17ROCPRIM_400000_NS6detail17trampoline_kernelINS0_14default_configENS1_25partition_config_selectorILNS1_17partition_subalgoE1EtNS0_10empty_typeEbEEZZNS1_14partition_implILS5_1ELb0ES3_jN6thrust23THRUST_200600_302600_NS6detail15normal_iteratorINSA_10device_ptrItEEEEPS6_NSA_18transform_iteratorI7is_evenItESF_NSA_11use_defaultESK_EENS0_5tupleIJNSA_16discard_iteratorISK_EESO_EEENSM_IJSG_SG_EEES6_PlJS6_EEE10hipError_tPvRmT3_T4_T5_T6_T7_T9_mT8_P12ihipStream_tbDpT10_ENKUlT_T0_E_clISt17integral_constantIbLb1EES1B_EEDaS16_S17_EUlS16_E_NS1_11comp_targetILNS1_3genE0ELNS1_11target_archE4294967295ELNS1_3gpuE0ELNS1_3repE0EEENS1_30default_config_static_selectorELNS0_4arch9wavefront6targetE1EEEvT1_,@function
_ZN7rocprim17ROCPRIM_400000_NS6detail17trampoline_kernelINS0_14default_configENS1_25partition_config_selectorILNS1_17partition_subalgoE1EtNS0_10empty_typeEbEEZZNS1_14partition_implILS5_1ELb0ES3_jN6thrust23THRUST_200600_302600_NS6detail15normal_iteratorINSA_10device_ptrItEEEEPS6_NSA_18transform_iteratorI7is_evenItESF_NSA_11use_defaultESK_EENS0_5tupleIJNSA_16discard_iteratorISK_EESO_EEENSM_IJSG_SG_EEES6_PlJS6_EEE10hipError_tPvRmT3_T4_T5_T6_T7_T9_mT8_P12ihipStream_tbDpT10_ENKUlT_T0_E_clISt17integral_constantIbLb1EES1B_EEDaS16_S17_EUlS16_E_NS1_11comp_targetILNS1_3genE0ELNS1_11target_archE4294967295ELNS1_3gpuE0ELNS1_3repE0EEENS1_30default_config_static_selectorELNS0_4arch9wavefront6targetE1EEEvT1_: ; @_ZN7rocprim17ROCPRIM_400000_NS6detail17trampoline_kernelINS0_14default_configENS1_25partition_config_selectorILNS1_17partition_subalgoE1EtNS0_10empty_typeEbEEZZNS1_14partition_implILS5_1ELb0ES3_jN6thrust23THRUST_200600_302600_NS6detail15normal_iteratorINSA_10device_ptrItEEEEPS6_NSA_18transform_iteratorI7is_evenItESF_NSA_11use_defaultESK_EENS0_5tupleIJNSA_16discard_iteratorISK_EESO_EEENSM_IJSG_SG_EEES6_PlJS6_EEE10hipError_tPvRmT3_T4_T5_T6_T7_T9_mT8_P12ihipStream_tbDpT10_ENKUlT_T0_E_clISt17integral_constantIbLb1EES1B_EEDaS16_S17_EUlS16_E_NS1_11comp_targetILNS1_3genE0ELNS1_11target_archE4294967295ELNS1_3gpuE0ELNS1_3repE0EEENS1_30default_config_static_selectorELNS0_4arch9wavefront6targetE1EEEvT1_
; %bb.0:
	.section	.rodata,"a",@progbits
	.p2align	6, 0x0
	.amdhsa_kernel _ZN7rocprim17ROCPRIM_400000_NS6detail17trampoline_kernelINS0_14default_configENS1_25partition_config_selectorILNS1_17partition_subalgoE1EtNS0_10empty_typeEbEEZZNS1_14partition_implILS5_1ELb0ES3_jN6thrust23THRUST_200600_302600_NS6detail15normal_iteratorINSA_10device_ptrItEEEEPS6_NSA_18transform_iteratorI7is_evenItESF_NSA_11use_defaultESK_EENS0_5tupleIJNSA_16discard_iteratorISK_EESO_EEENSM_IJSG_SG_EEES6_PlJS6_EEE10hipError_tPvRmT3_T4_T5_T6_T7_T9_mT8_P12ihipStream_tbDpT10_ENKUlT_T0_E_clISt17integral_constantIbLb1EES1B_EEDaS16_S17_EUlS16_E_NS1_11comp_targetILNS1_3genE0ELNS1_11target_archE4294967295ELNS1_3gpuE0ELNS1_3repE0EEENS1_30default_config_static_selectorELNS0_4arch9wavefront6targetE1EEEvT1_
		.amdhsa_group_segment_fixed_size 0
		.amdhsa_private_segment_fixed_size 0
		.amdhsa_kernarg_size 160
		.amdhsa_user_sgpr_count 6
		.amdhsa_user_sgpr_private_segment_buffer 1
		.amdhsa_user_sgpr_dispatch_ptr 0
		.amdhsa_user_sgpr_queue_ptr 0
		.amdhsa_user_sgpr_kernarg_segment_ptr 1
		.amdhsa_user_sgpr_dispatch_id 0
		.amdhsa_user_sgpr_flat_scratch_init 0
		.amdhsa_user_sgpr_kernarg_preload_length 0
		.amdhsa_user_sgpr_kernarg_preload_offset 0
		.amdhsa_user_sgpr_private_segment_size 0
		.amdhsa_uses_dynamic_stack 0
		.amdhsa_system_sgpr_private_segment_wavefront_offset 0
		.amdhsa_system_sgpr_workgroup_id_x 1
		.amdhsa_system_sgpr_workgroup_id_y 0
		.amdhsa_system_sgpr_workgroup_id_z 0
		.amdhsa_system_sgpr_workgroup_info 0
		.amdhsa_system_vgpr_workitem_id 0
		.amdhsa_next_free_vgpr 1
		.amdhsa_next_free_sgpr 0
		.amdhsa_accum_offset 4
		.amdhsa_reserve_vcc 0
		.amdhsa_reserve_flat_scratch 0
		.amdhsa_float_round_mode_32 0
		.amdhsa_float_round_mode_16_64 0
		.amdhsa_float_denorm_mode_32 3
		.amdhsa_float_denorm_mode_16_64 3
		.amdhsa_dx10_clamp 1
		.amdhsa_ieee_mode 1
		.amdhsa_fp16_overflow 0
		.amdhsa_tg_split 0
		.amdhsa_exception_fp_ieee_invalid_op 0
		.amdhsa_exception_fp_denorm_src 0
		.amdhsa_exception_fp_ieee_div_zero 0
		.amdhsa_exception_fp_ieee_overflow 0
		.amdhsa_exception_fp_ieee_underflow 0
		.amdhsa_exception_fp_ieee_inexact 0
		.amdhsa_exception_int_div_zero 0
	.end_amdhsa_kernel
	.section	.text._ZN7rocprim17ROCPRIM_400000_NS6detail17trampoline_kernelINS0_14default_configENS1_25partition_config_selectorILNS1_17partition_subalgoE1EtNS0_10empty_typeEbEEZZNS1_14partition_implILS5_1ELb0ES3_jN6thrust23THRUST_200600_302600_NS6detail15normal_iteratorINSA_10device_ptrItEEEEPS6_NSA_18transform_iteratorI7is_evenItESF_NSA_11use_defaultESK_EENS0_5tupleIJNSA_16discard_iteratorISK_EESO_EEENSM_IJSG_SG_EEES6_PlJS6_EEE10hipError_tPvRmT3_T4_T5_T6_T7_T9_mT8_P12ihipStream_tbDpT10_ENKUlT_T0_E_clISt17integral_constantIbLb1EES1B_EEDaS16_S17_EUlS16_E_NS1_11comp_targetILNS1_3genE0ELNS1_11target_archE4294967295ELNS1_3gpuE0ELNS1_3repE0EEENS1_30default_config_static_selectorELNS0_4arch9wavefront6targetE1EEEvT1_,"axG",@progbits,_ZN7rocprim17ROCPRIM_400000_NS6detail17trampoline_kernelINS0_14default_configENS1_25partition_config_selectorILNS1_17partition_subalgoE1EtNS0_10empty_typeEbEEZZNS1_14partition_implILS5_1ELb0ES3_jN6thrust23THRUST_200600_302600_NS6detail15normal_iteratorINSA_10device_ptrItEEEEPS6_NSA_18transform_iteratorI7is_evenItESF_NSA_11use_defaultESK_EENS0_5tupleIJNSA_16discard_iteratorISK_EESO_EEENSM_IJSG_SG_EEES6_PlJS6_EEE10hipError_tPvRmT3_T4_T5_T6_T7_T9_mT8_P12ihipStream_tbDpT10_ENKUlT_T0_E_clISt17integral_constantIbLb1EES1B_EEDaS16_S17_EUlS16_E_NS1_11comp_targetILNS1_3genE0ELNS1_11target_archE4294967295ELNS1_3gpuE0ELNS1_3repE0EEENS1_30default_config_static_selectorELNS0_4arch9wavefront6targetE1EEEvT1_,comdat
.Lfunc_end3075:
	.size	_ZN7rocprim17ROCPRIM_400000_NS6detail17trampoline_kernelINS0_14default_configENS1_25partition_config_selectorILNS1_17partition_subalgoE1EtNS0_10empty_typeEbEEZZNS1_14partition_implILS5_1ELb0ES3_jN6thrust23THRUST_200600_302600_NS6detail15normal_iteratorINSA_10device_ptrItEEEEPS6_NSA_18transform_iteratorI7is_evenItESF_NSA_11use_defaultESK_EENS0_5tupleIJNSA_16discard_iteratorISK_EESO_EEENSM_IJSG_SG_EEES6_PlJS6_EEE10hipError_tPvRmT3_T4_T5_T6_T7_T9_mT8_P12ihipStream_tbDpT10_ENKUlT_T0_E_clISt17integral_constantIbLb1EES1B_EEDaS16_S17_EUlS16_E_NS1_11comp_targetILNS1_3genE0ELNS1_11target_archE4294967295ELNS1_3gpuE0ELNS1_3repE0EEENS1_30default_config_static_selectorELNS0_4arch9wavefront6targetE1EEEvT1_, .Lfunc_end3075-_ZN7rocprim17ROCPRIM_400000_NS6detail17trampoline_kernelINS0_14default_configENS1_25partition_config_selectorILNS1_17partition_subalgoE1EtNS0_10empty_typeEbEEZZNS1_14partition_implILS5_1ELb0ES3_jN6thrust23THRUST_200600_302600_NS6detail15normal_iteratorINSA_10device_ptrItEEEEPS6_NSA_18transform_iteratorI7is_evenItESF_NSA_11use_defaultESK_EENS0_5tupleIJNSA_16discard_iteratorISK_EESO_EEENSM_IJSG_SG_EEES6_PlJS6_EEE10hipError_tPvRmT3_T4_T5_T6_T7_T9_mT8_P12ihipStream_tbDpT10_ENKUlT_T0_E_clISt17integral_constantIbLb1EES1B_EEDaS16_S17_EUlS16_E_NS1_11comp_targetILNS1_3genE0ELNS1_11target_archE4294967295ELNS1_3gpuE0ELNS1_3repE0EEENS1_30default_config_static_selectorELNS0_4arch9wavefront6targetE1EEEvT1_
                                        ; -- End function
	.section	.AMDGPU.csdata,"",@progbits
; Kernel info:
; codeLenInByte = 0
; NumSgprs: 4
; NumVgprs: 0
; NumAgprs: 0
; TotalNumVgprs: 0
; ScratchSize: 0
; MemoryBound: 0
; FloatMode: 240
; IeeeMode: 1
; LDSByteSize: 0 bytes/workgroup (compile time only)
; SGPRBlocks: 0
; VGPRBlocks: 0
; NumSGPRsForWavesPerEU: 4
; NumVGPRsForWavesPerEU: 1
; AccumOffset: 4
; Occupancy: 8
; WaveLimiterHint : 0
; COMPUTE_PGM_RSRC2:SCRATCH_EN: 0
; COMPUTE_PGM_RSRC2:USER_SGPR: 6
; COMPUTE_PGM_RSRC2:TRAP_HANDLER: 0
; COMPUTE_PGM_RSRC2:TGID_X_EN: 1
; COMPUTE_PGM_RSRC2:TGID_Y_EN: 0
; COMPUTE_PGM_RSRC2:TGID_Z_EN: 0
; COMPUTE_PGM_RSRC2:TIDIG_COMP_CNT: 0
; COMPUTE_PGM_RSRC3_GFX90A:ACCUM_OFFSET: 0
; COMPUTE_PGM_RSRC3_GFX90A:TG_SPLIT: 0
	.section	.text._ZN7rocprim17ROCPRIM_400000_NS6detail17trampoline_kernelINS0_14default_configENS1_25partition_config_selectorILNS1_17partition_subalgoE1EtNS0_10empty_typeEbEEZZNS1_14partition_implILS5_1ELb0ES3_jN6thrust23THRUST_200600_302600_NS6detail15normal_iteratorINSA_10device_ptrItEEEEPS6_NSA_18transform_iteratorI7is_evenItESF_NSA_11use_defaultESK_EENS0_5tupleIJNSA_16discard_iteratorISK_EESO_EEENSM_IJSG_SG_EEES6_PlJS6_EEE10hipError_tPvRmT3_T4_T5_T6_T7_T9_mT8_P12ihipStream_tbDpT10_ENKUlT_T0_E_clISt17integral_constantIbLb1EES1B_EEDaS16_S17_EUlS16_E_NS1_11comp_targetILNS1_3genE5ELNS1_11target_archE942ELNS1_3gpuE9ELNS1_3repE0EEENS1_30default_config_static_selectorELNS0_4arch9wavefront6targetE1EEEvT1_,"axG",@progbits,_ZN7rocprim17ROCPRIM_400000_NS6detail17trampoline_kernelINS0_14default_configENS1_25partition_config_selectorILNS1_17partition_subalgoE1EtNS0_10empty_typeEbEEZZNS1_14partition_implILS5_1ELb0ES3_jN6thrust23THRUST_200600_302600_NS6detail15normal_iteratorINSA_10device_ptrItEEEEPS6_NSA_18transform_iteratorI7is_evenItESF_NSA_11use_defaultESK_EENS0_5tupleIJNSA_16discard_iteratorISK_EESO_EEENSM_IJSG_SG_EEES6_PlJS6_EEE10hipError_tPvRmT3_T4_T5_T6_T7_T9_mT8_P12ihipStream_tbDpT10_ENKUlT_T0_E_clISt17integral_constantIbLb1EES1B_EEDaS16_S17_EUlS16_E_NS1_11comp_targetILNS1_3genE5ELNS1_11target_archE942ELNS1_3gpuE9ELNS1_3repE0EEENS1_30default_config_static_selectorELNS0_4arch9wavefront6targetE1EEEvT1_,comdat
	.protected	_ZN7rocprim17ROCPRIM_400000_NS6detail17trampoline_kernelINS0_14default_configENS1_25partition_config_selectorILNS1_17partition_subalgoE1EtNS0_10empty_typeEbEEZZNS1_14partition_implILS5_1ELb0ES3_jN6thrust23THRUST_200600_302600_NS6detail15normal_iteratorINSA_10device_ptrItEEEEPS6_NSA_18transform_iteratorI7is_evenItESF_NSA_11use_defaultESK_EENS0_5tupleIJNSA_16discard_iteratorISK_EESO_EEENSM_IJSG_SG_EEES6_PlJS6_EEE10hipError_tPvRmT3_T4_T5_T6_T7_T9_mT8_P12ihipStream_tbDpT10_ENKUlT_T0_E_clISt17integral_constantIbLb1EES1B_EEDaS16_S17_EUlS16_E_NS1_11comp_targetILNS1_3genE5ELNS1_11target_archE942ELNS1_3gpuE9ELNS1_3repE0EEENS1_30default_config_static_selectorELNS0_4arch9wavefront6targetE1EEEvT1_ ; -- Begin function _ZN7rocprim17ROCPRIM_400000_NS6detail17trampoline_kernelINS0_14default_configENS1_25partition_config_selectorILNS1_17partition_subalgoE1EtNS0_10empty_typeEbEEZZNS1_14partition_implILS5_1ELb0ES3_jN6thrust23THRUST_200600_302600_NS6detail15normal_iteratorINSA_10device_ptrItEEEEPS6_NSA_18transform_iteratorI7is_evenItESF_NSA_11use_defaultESK_EENS0_5tupleIJNSA_16discard_iteratorISK_EESO_EEENSM_IJSG_SG_EEES6_PlJS6_EEE10hipError_tPvRmT3_T4_T5_T6_T7_T9_mT8_P12ihipStream_tbDpT10_ENKUlT_T0_E_clISt17integral_constantIbLb1EES1B_EEDaS16_S17_EUlS16_E_NS1_11comp_targetILNS1_3genE5ELNS1_11target_archE942ELNS1_3gpuE9ELNS1_3repE0EEENS1_30default_config_static_selectorELNS0_4arch9wavefront6targetE1EEEvT1_
	.globl	_ZN7rocprim17ROCPRIM_400000_NS6detail17trampoline_kernelINS0_14default_configENS1_25partition_config_selectorILNS1_17partition_subalgoE1EtNS0_10empty_typeEbEEZZNS1_14partition_implILS5_1ELb0ES3_jN6thrust23THRUST_200600_302600_NS6detail15normal_iteratorINSA_10device_ptrItEEEEPS6_NSA_18transform_iteratorI7is_evenItESF_NSA_11use_defaultESK_EENS0_5tupleIJNSA_16discard_iteratorISK_EESO_EEENSM_IJSG_SG_EEES6_PlJS6_EEE10hipError_tPvRmT3_T4_T5_T6_T7_T9_mT8_P12ihipStream_tbDpT10_ENKUlT_T0_E_clISt17integral_constantIbLb1EES1B_EEDaS16_S17_EUlS16_E_NS1_11comp_targetILNS1_3genE5ELNS1_11target_archE942ELNS1_3gpuE9ELNS1_3repE0EEENS1_30default_config_static_selectorELNS0_4arch9wavefront6targetE1EEEvT1_
	.p2align	8
	.type	_ZN7rocprim17ROCPRIM_400000_NS6detail17trampoline_kernelINS0_14default_configENS1_25partition_config_selectorILNS1_17partition_subalgoE1EtNS0_10empty_typeEbEEZZNS1_14partition_implILS5_1ELb0ES3_jN6thrust23THRUST_200600_302600_NS6detail15normal_iteratorINSA_10device_ptrItEEEEPS6_NSA_18transform_iteratorI7is_evenItESF_NSA_11use_defaultESK_EENS0_5tupleIJNSA_16discard_iteratorISK_EESO_EEENSM_IJSG_SG_EEES6_PlJS6_EEE10hipError_tPvRmT3_T4_T5_T6_T7_T9_mT8_P12ihipStream_tbDpT10_ENKUlT_T0_E_clISt17integral_constantIbLb1EES1B_EEDaS16_S17_EUlS16_E_NS1_11comp_targetILNS1_3genE5ELNS1_11target_archE942ELNS1_3gpuE9ELNS1_3repE0EEENS1_30default_config_static_selectorELNS0_4arch9wavefront6targetE1EEEvT1_,@function
_ZN7rocprim17ROCPRIM_400000_NS6detail17trampoline_kernelINS0_14default_configENS1_25partition_config_selectorILNS1_17partition_subalgoE1EtNS0_10empty_typeEbEEZZNS1_14partition_implILS5_1ELb0ES3_jN6thrust23THRUST_200600_302600_NS6detail15normal_iteratorINSA_10device_ptrItEEEEPS6_NSA_18transform_iteratorI7is_evenItESF_NSA_11use_defaultESK_EENS0_5tupleIJNSA_16discard_iteratorISK_EESO_EEENSM_IJSG_SG_EEES6_PlJS6_EEE10hipError_tPvRmT3_T4_T5_T6_T7_T9_mT8_P12ihipStream_tbDpT10_ENKUlT_T0_E_clISt17integral_constantIbLb1EES1B_EEDaS16_S17_EUlS16_E_NS1_11comp_targetILNS1_3genE5ELNS1_11target_archE942ELNS1_3gpuE9ELNS1_3repE0EEENS1_30default_config_static_selectorELNS0_4arch9wavefront6targetE1EEEvT1_: ; @_ZN7rocprim17ROCPRIM_400000_NS6detail17trampoline_kernelINS0_14default_configENS1_25partition_config_selectorILNS1_17partition_subalgoE1EtNS0_10empty_typeEbEEZZNS1_14partition_implILS5_1ELb0ES3_jN6thrust23THRUST_200600_302600_NS6detail15normal_iteratorINSA_10device_ptrItEEEEPS6_NSA_18transform_iteratorI7is_evenItESF_NSA_11use_defaultESK_EENS0_5tupleIJNSA_16discard_iteratorISK_EESO_EEENSM_IJSG_SG_EEES6_PlJS6_EEE10hipError_tPvRmT3_T4_T5_T6_T7_T9_mT8_P12ihipStream_tbDpT10_ENKUlT_T0_E_clISt17integral_constantIbLb1EES1B_EEDaS16_S17_EUlS16_E_NS1_11comp_targetILNS1_3genE5ELNS1_11target_archE942ELNS1_3gpuE9ELNS1_3repE0EEENS1_30default_config_static_selectorELNS0_4arch9wavefront6targetE1EEEvT1_
; %bb.0:
	.section	.rodata,"a",@progbits
	.p2align	6, 0x0
	.amdhsa_kernel _ZN7rocprim17ROCPRIM_400000_NS6detail17trampoline_kernelINS0_14default_configENS1_25partition_config_selectorILNS1_17partition_subalgoE1EtNS0_10empty_typeEbEEZZNS1_14partition_implILS5_1ELb0ES3_jN6thrust23THRUST_200600_302600_NS6detail15normal_iteratorINSA_10device_ptrItEEEEPS6_NSA_18transform_iteratorI7is_evenItESF_NSA_11use_defaultESK_EENS0_5tupleIJNSA_16discard_iteratorISK_EESO_EEENSM_IJSG_SG_EEES6_PlJS6_EEE10hipError_tPvRmT3_T4_T5_T6_T7_T9_mT8_P12ihipStream_tbDpT10_ENKUlT_T0_E_clISt17integral_constantIbLb1EES1B_EEDaS16_S17_EUlS16_E_NS1_11comp_targetILNS1_3genE5ELNS1_11target_archE942ELNS1_3gpuE9ELNS1_3repE0EEENS1_30default_config_static_selectorELNS0_4arch9wavefront6targetE1EEEvT1_
		.amdhsa_group_segment_fixed_size 0
		.amdhsa_private_segment_fixed_size 0
		.amdhsa_kernarg_size 160
		.amdhsa_user_sgpr_count 6
		.amdhsa_user_sgpr_private_segment_buffer 1
		.amdhsa_user_sgpr_dispatch_ptr 0
		.amdhsa_user_sgpr_queue_ptr 0
		.amdhsa_user_sgpr_kernarg_segment_ptr 1
		.amdhsa_user_sgpr_dispatch_id 0
		.amdhsa_user_sgpr_flat_scratch_init 0
		.amdhsa_user_sgpr_kernarg_preload_length 0
		.amdhsa_user_sgpr_kernarg_preload_offset 0
		.amdhsa_user_sgpr_private_segment_size 0
		.amdhsa_uses_dynamic_stack 0
		.amdhsa_system_sgpr_private_segment_wavefront_offset 0
		.amdhsa_system_sgpr_workgroup_id_x 1
		.amdhsa_system_sgpr_workgroup_id_y 0
		.amdhsa_system_sgpr_workgroup_id_z 0
		.amdhsa_system_sgpr_workgroup_info 0
		.amdhsa_system_vgpr_workitem_id 0
		.amdhsa_next_free_vgpr 1
		.amdhsa_next_free_sgpr 0
		.amdhsa_accum_offset 4
		.amdhsa_reserve_vcc 0
		.amdhsa_reserve_flat_scratch 0
		.amdhsa_float_round_mode_32 0
		.amdhsa_float_round_mode_16_64 0
		.amdhsa_float_denorm_mode_32 3
		.amdhsa_float_denorm_mode_16_64 3
		.amdhsa_dx10_clamp 1
		.amdhsa_ieee_mode 1
		.amdhsa_fp16_overflow 0
		.amdhsa_tg_split 0
		.amdhsa_exception_fp_ieee_invalid_op 0
		.amdhsa_exception_fp_denorm_src 0
		.amdhsa_exception_fp_ieee_div_zero 0
		.amdhsa_exception_fp_ieee_overflow 0
		.amdhsa_exception_fp_ieee_underflow 0
		.amdhsa_exception_fp_ieee_inexact 0
		.amdhsa_exception_int_div_zero 0
	.end_amdhsa_kernel
	.section	.text._ZN7rocprim17ROCPRIM_400000_NS6detail17trampoline_kernelINS0_14default_configENS1_25partition_config_selectorILNS1_17partition_subalgoE1EtNS0_10empty_typeEbEEZZNS1_14partition_implILS5_1ELb0ES3_jN6thrust23THRUST_200600_302600_NS6detail15normal_iteratorINSA_10device_ptrItEEEEPS6_NSA_18transform_iteratorI7is_evenItESF_NSA_11use_defaultESK_EENS0_5tupleIJNSA_16discard_iteratorISK_EESO_EEENSM_IJSG_SG_EEES6_PlJS6_EEE10hipError_tPvRmT3_T4_T5_T6_T7_T9_mT8_P12ihipStream_tbDpT10_ENKUlT_T0_E_clISt17integral_constantIbLb1EES1B_EEDaS16_S17_EUlS16_E_NS1_11comp_targetILNS1_3genE5ELNS1_11target_archE942ELNS1_3gpuE9ELNS1_3repE0EEENS1_30default_config_static_selectorELNS0_4arch9wavefront6targetE1EEEvT1_,"axG",@progbits,_ZN7rocprim17ROCPRIM_400000_NS6detail17trampoline_kernelINS0_14default_configENS1_25partition_config_selectorILNS1_17partition_subalgoE1EtNS0_10empty_typeEbEEZZNS1_14partition_implILS5_1ELb0ES3_jN6thrust23THRUST_200600_302600_NS6detail15normal_iteratorINSA_10device_ptrItEEEEPS6_NSA_18transform_iteratorI7is_evenItESF_NSA_11use_defaultESK_EENS0_5tupleIJNSA_16discard_iteratorISK_EESO_EEENSM_IJSG_SG_EEES6_PlJS6_EEE10hipError_tPvRmT3_T4_T5_T6_T7_T9_mT8_P12ihipStream_tbDpT10_ENKUlT_T0_E_clISt17integral_constantIbLb1EES1B_EEDaS16_S17_EUlS16_E_NS1_11comp_targetILNS1_3genE5ELNS1_11target_archE942ELNS1_3gpuE9ELNS1_3repE0EEENS1_30default_config_static_selectorELNS0_4arch9wavefront6targetE1EEEvT1_,comdat
.Lfunc_end3076:
	.size	_ZN7rocprim17ROCPRIM_400000_NS6detail17trampoline_kernelINS0_14default_configENS1_25partition_config_selectorILNS1_17partition_subalgoE1EtNS0_10empty_typeEbEEZZNS1_14partition_implILS5_1ELb0ES3_jN6thrust23THRUST_200600_302600_NS6detail15normal_iteratorINSA_10device_ptrItEEEEPS6_NSA_18transform_iteratorI7is_evenItESF_NSA_11use_defaultESK_EENS0_5tupleIJNSA_16discard_iteratorISK_EESO_EEENSM_IJSG_SG_EEES6_PlJS6_EEE10hipError_tPvRmT3_T4_T5_T6_T7_T9_mT8_P12ihipStream_tbDpT10_ENKUlT_T0_E_clISt17integral_constantIbLb1EES1B_EEDaS16_S17_EUlS16_E_NS1_11comp_targetILNS1_3genE5ELNS1_11target_archE942ELNS1_3gpuE9ELNS1_3repE0EEENS1_30default_config_static_selectorELNS0_4arch9wavefront6targetE1EEEvT1_, .Lfunc_end3076-_ZN7rocprim17ROCPRIM_400000_NS6detail17trampoline_kernelINS0_14default_configENS1_25partition_config_selectorILNS1_17partition_subalgoE1EtNS0_10empty_typeEbEEZZNS1_14partition_implILS5_1ELb0ES3_jN6thrust23THRUST_200600_302600_NS6detail15normal_iteratorINSA_10device_ptrItEEEEPS6_NSA_18transform_iteratorI7is_evenItESF_NSA_11use_defaultESK_EENS0_5tupleIJNSA_16discard_iteratorISK_EESO_EEENSM_IJSG_SG_EEES6_PlJS6_EEE10hipError_tPvRmT3_T4_T5_T6_T7_T9_mT8_P12ihipStream_tbDpT10_ENKUlT_T0_E_clISt17integral_constantIbLb1EES1B_EEDaS16_S17_EUlS16_E_NS1_11comp_targetILNS1_3genE5ELNS1_11target_archE942ELNS1_3gpuE9ELNS1_3repE0EEENS1_30default_config_static_selectorELNS0_4arch9wavefront6targetE1EEEvT1_
                                        ; -- End function
	.section	.AMDGPU.csdata,"",@progbits
; Kernel info:
; codeLenInByte = 0
; NumSgprs: 4
; NumVgprs: 0
; NumAgprs: 0
; TotalNumVgprs: 0
; ScratchSize: 0
; MemoryBound: 0
; FloatMode: 240
; IeeeMode: 1
; LDSByteSize: 0 bytes/workgroup (compile time only)
; SGPRBlocks: 0
; VGPRBlocks: 0
; NumSGPRsForWavesPerEU: 4
; NumVGPRsForWavesPerEU: 1
; AccumOffset: 4
; Occupancy: 8
; WaveLimiterHint : 0
; COMPUTE_PGM_RSRC2:SCRATCH_EN: 0
; COMPUTE_PGM_RSRC2:USER_SGPR: 6
; COMPUTE_PGM_RSRC2:TRAP_HANDLER: 0
; COMPUTE_PGM_RSRC2:TGID_X_EN: 1
; COMPUTE_PGM_RSRC2:TGID_Y_EN: 0
; COMPUTE_PGM_RSRC2:TGID_Z_EN: 0
; COMPUTE_PGM_RSRC2:TIDIG_COMP_CNT: 0
; COMPUTE_PGM_RSRC3_GFX90A:ACCUM_OFFSET: 0
; COMPUTE_PGM_RSRC3_GFX90A:TG_SPLIT: 0
	.section	.text._ZN7rocprim17ROCPRIM_400000_NS6detail17trampoline_kernelINS0_14default_configENS1_25partition_config_selectorILNS1_17partition_subalgoE1EtNS0_10empty_typeEbEEZZNS1_14partition_implILS5_1ELb0ES3_jN6thrust23THRUST_200600_302600_NS6detail15normal_iteratorINSA_10device_ptrItEEEEPS6_NSA_18transform_iteratorI7is_evenItESF_NSA_11use_defaultESK_EENS0_5tupleIJNSA_16discard_iteratorISK_EESO_EEENSM_IJSG_SG_EEES6_PlJS6_EEE10hipError_tPvRmT3_T4_T5_T6_T7_T9_mT8_P12ihipStream_tbDpT10_ENKUlT_T0_E_clISt17integral_constantIbLb1EES1B_EEDaS16_S17_EUlS16_E_NS1_11comp_targetILNS1_3genE4ELNS1_11target_archE910ELNS1_3gpuE8ELNS1_3repE0EEENS1_30default_config_static_selectorELNS0_4arch9wavefront6targetE1EEEvT1_,"axG",@progbits,_ZN7rocprim17ROCPRIM_400000_NS6detail17trampoline_kernelINS0_14default_configENS1_25partition_config_selectorILNS1_17partition_subalgoE1EtNS0_10empty_typeEbEEZZNS1_14partition_implILS5_1ELb0ES3_jN6thrust23THRUST_200600_302600_NS6detail15normal_iteratorINSA_10device_ptrItEEEEPS6_NSA_18transform_iteratorI7is_evenItESF_NSA_11use_defaultESK_EENS0_5tupleIJNSA_16discard_iteratorISK_EESO_EEENSM_IJSG_SG_EEES6_PlJS6_EEE10hipError_tPvRmT3_T4_T5_T6_T7_T9_mT8_P12ihipStream_tbDpT10_ENKUlT_T0_E_clISt17integral_constantIbLb1EES1B_EEDaS16_S17_EUlS16_E_NS1_11comp_targetILNS1_3genE4ELNS1_11target_archE910ELNS1_3gpuE8ELNS1_3repE0EEENS1_30default_config_static_selectorELNS0_4arch9wavefront6targetE1EEEvT1_,comdat
	.protected	_ZN7rocprim17ROCPRIM_400000_NS6detail17trampoline_kernelINS0_14default_configENS1_25partition_config_selectorILNS1_17partition_subalgoE1EtNS0_10empty_typeEbEEZZNS1_14partition_implILS5_1ELb0ES3_jN6thrust23THRUST_200600_302600_NS6detail15normal_iteratorINSA_10device_ptrItEEEEPS6_NSA_18transform_iteratorI7is_evenItESF_NSA_11use_defaultESK_EENS0_5tupleIJNSA_16discard_iteratorISK_EESO_EEENSM_IJSG_SG_EEES6_PlJS6_EEE10hipError_tPvRmT3_T4_T5_T6_T7_T9_mT8_P12ihipStream_tbDpT10_ENKUlT_T0_E_clISt17integral_constantIbLb1EES1B_EEDaS16_S17_EUlS16_E_NS1_11comp_targetILNS1_3genE4ELNS1_11target_archE910ELNS1_3gpuE8ELNS1_3repE0EEENS1_30default_config_static_selectorELNS0_4arch9wavefront6targetE1EEEvT1_ ; -- Begin function _ZN7rocprim17ROCPRIM_400000_NS6detail17trampoline_kernelINS0_14default_configENS1_25partition_config_selectorILNS1_17partition_subalgoE1EtNS0_10empty_typeEbEEZZNS1_14partition_implILS5_1ELb0ES3_jN6thrust23THRUST_200600_302600_NS6detail15normal_iteratorINSA_10device_ptrItEEEEPS6_NSA_18transform_iteratorI7is_evenItESF_NSA_11use_defaultESK_EENS0_5tupleIJNSA_16discard_iteratorISK_EESO_EEENSM_IJSG_SG_EEES6_PlJS6_EEE10hipError_tPvRmT3_T4_T5_T6_T7_T9_mT8_P12ihipStream_tbDpT10_ENKUlT_T0_E_clISt17integral_constantIbLb1EES1B_EEDaS16_S17_EUlS16_E_NS1_11comp_targetILNS1_3genE4ELNS1_11target_archE910ELNS1_3gpuE8ELNS1_3repE0EEENS1_30default_config_static_selectorELNS0_4arch9wavefront6targetE1EEEvT1_
	.globl	_ZN7rocprim17ROCPRIM_400000_NS6detail17trampoline_kernelINS0_14default_configENS1_25partition_config_selectorILNS1_17partition_subalgoE1EtNS0_10empty_typeEbEEZZNS1_14partition_implILS5_1ELb0ES3_jN6thrust23THRUST_200600_302600_NS6detail15normal_iteratorINSA_10device_ptrItEEEEPS6_NSA_18transform_iteratorI7is_evenItESF_NSA_11use_defaultESK_EENS0_5tupleIJNSA_16discard_iteratorISK_EESO_EEENSM_IJSG_SG_EEES6_PlJS6_EEE10hipError_tPvRmT3_T4_T5_T6_T7_T9_mT8_P12ihipStream_tbDpT10_ENKUlT_T0_E_clISt17integral_constantIbLb1EES1B_EEDaS16_S17_EUlS16_E_NS1_11comp_targetILNS1_3genE4ELNS1_11target_archE910ELNS1_3gpuE8ELNS1_3repE0EEENS1_30default_config_static_selectorELNS0_4arch9wavefront6targetE1EEEvT1_
	.p2align	8
	.type	_ZN7rocprim17ROCPRIM_400000_NS6detail17trampoline_kernelINS0_14default_configENS1_25partition_config_selectorILNS1_17partition_subalgoE1EtNS0_10empty_typeEbEEZZNS1_14partition_implILS5_1ELb0ES3_jN6thrust23THRUST_200600_302600_NS6detail15normal_iteratorINSA_10device_ptrItEEEEPS6_NSA_18transform_iteratorI7is_evenItESF_NSA_11use_defaultESK_EENS0_5tupleIJNSA_16discard_iteratorISK_EESO_EEENSM_IJSG_SG_EEES6_PlJS6_EEE10hipError_tPvRmT3_T4_T5_T6_T7_T9_mT8_P12ihipStream_tbDpT10_ENKUlT_T0_E_clISt17integral_constantIbLb1EES1B_EEDaS16_S17_EUlS16_E_NS1_11comp_targetILNS1_3genE4ELNS1_11target_archE910ELNS1_3gpuE8ELNS1_3repE0EEENS1_30default_config_static_selectorELNS0_4arch9wavefront6targetE1EEEvT1_,@function
_ZN7rocprim17ROCPRIM_400000_NS6detail17trampoline_kernelINS0_14default_configENS1_25partition_config_selectorILNS1_17partition_subalgoE1EtNS0_10empty_typeEbEEZZNS1_14partition_implILS5_1ELb0ES3_jN6thrust23THRUST_200600_302600_NS6detail15normal_iteratorINSA_10device_ptrItEEEEPS6_NSA_18transform_iteratorI7is_evenItESF_NSA_11use_defaultESK_EENS0_5tupleIJNSA_16discard_iteratorISK_EESO_EEENSM_IJSG_SG_EEES6_PlJS6_EEE10hipError_tPvRmT3_T4_T5_T6_T7_T9_mT8_P12ihipStream_tbDpT10_ENKUlT_T0_E_clISt17integral_constantIbLb1EES1B_EEDaS16_S17_EUlS16_E_NS1_11comp_targetILNS1_3genE4ELNS1_11target_archE910ELNS1_3gpuE8ELNS1_3repE0EEENS1_30default_config_static_selectorELNS0_4arch9wavefront6targetE1EEEvT1_: ; @_ZN7rocprim17ROCPRIM_400000_NS6detail17trampoline_kernelINS0_14default_configENS1_25partition_config_selectorILNS1_17partition_subalgoE1EtNS0_10empty_typeEbEEZZNS1_14partition_implILS5_1ELb0ES3_jN6thrust23THRUST_200600_302600_NS6detail15normal_iteratorINSA_10device_ptrItEEEEPS6_NSA_18transform_iteratorI7is_evenItESF_NSA_11use_defaultESK_EENS0_5tupleIJNSA_16discard_iteratorISK_EESO_EEENSM_IJSG_SG_EEES6_PlJS6_EEE10hipError_tPvRmT3_T4_T5_T6_T7_T9_mT8_P12ihipStream_tbDpT10_ENKUlT_T0_E_clISt17integral_constantIbLb1EES1B_EEDaS16_S17_EUlS16_E_NS1_11comp_targetILNS1_3genE4ELNS1_11target_archE910ELNS1_3gpuE8ELNS1_3repE0EEENS1_30default_config_static_selectorELNS0_4arch9wavefront6targetE1EEEvT1_
; %bb.0:
	s_load_dwordx2 s[6:7], s[4:5], 0x20
	s_load_dwordx4 s[20:23], s[4:5], 0x60
	s_load_dwordx2 s[2:3], s[4:5], 0x70
	s_load_dwordx2 s[24:25], s[4:5], 0x80
	v_cmp_eq_u32_e64 s[0:1], 0, v0
	s_and_saveexec_b64 s[8:9], s[0:1]
	s_cbranch_execz .LBB3077_4
; %bb.1:
	s_mov_b64 s[12:13], exec
	v_mbcnt_lo_u32_b32 v1, s12, 0
	v_mbcnt_hi_u32_b32 v1, s13, v1
	v_cmp_eq_u32_e32 vcc, 0, v1
                                        ; implicit-def: $vgpr2
	s_and_saveexec_b64 s[10:11], vcc
	s_cbranch_execz .LBB3077_3
; %bb.2:
	s_load_dwordx2 s[14:15], s[4:5], 0x90
	s_bcnt1_i32_b64 s12, s[12:13]
	v_mov_b32_e32 v2, 0
	v_mov_b32_e32 v3, s12
	s_waitcnt lgkmcnt(0)
	global_atomic_add v2, v2, v3, s[14:15] glc
.LBB3077_3:
	s_or_b64 exec, exec, s[10:11]
	s_waitcnt vmcnt(0)
	v_readfirstlane_b32 s10, v2
	v_add_u32_e32 v1, s10, v1
	v_mov_b32_e32 v2, 0
	ds_write_b32 v2, v1
.LBB3077_4:
	s_or_b64 exec, exec, s[8:9]
	v_mov_b32_e32 v1, 0
	s_load_dwordx4 s[8:11], s[4:5], 0x8
	s_load_dword s12, s[4:5], 0x88
	s_waitcnt lgkmcnt(0)
	s_barrier
	ds_read_b32 v4, v1
	s_waitcnt lgkmcnt(0)
	s_barrier
	global_load_dwordx2 v[10:11], v1, s[22:23]
	s_lshl_b64 s[4:5], s[10:11], 1
	v_mov_b32_e32 v3, s3
	s_add_u32 s13, s8, s4
	s_mul_i32 s3, s12, 0x1400
	s_addc_u32 s22, s9, s5
	s_add_i32 s9, s3, s10
	s_sub_i32 s14, s2, s9
	s_add_i32 s8, s12, -1
	s_addk_i32 s14, 0x1400
	v_mov_b32_e32 v2, s2
	s_add_u32 s2, s10, s3
	v_readfirstlane_b32 s30, v4
	s_addc_u32 s3, s11, 0
	s_cmp_eq_u32 s30, s8
	s_cselect_b64 s[18:19], -1, 0
	s_cmp_lg_u32 s30, s8
	s_mul_i32 s16, s30, 0x1400
	s_mov_b32 s17, 0
	v_cmp_lt_u64_e32 vcc, s[2:3], v[2:3]
	s_cselect_b64 s[2:3], -1, 0
	s_or_b64 s[8:9], vcc, s[2:3]
	s_lshl_b64 s[10:11], s[16:17], 1
	s_add_u32 s15, s13, s10
	s_addc_u32 s16, s22, s11
	s_mov_b64 s[2:3], -1
	s_and_b64 vcc, exec, s[8:9]
	s_cbranch_vccz .LBB3077_6
; %bb.5:
	v_lshlrev_b32_e32 v1, 1, v0
	v_mov_b32_e32 v3, s16
	v_add_co_u32_e32 v2, vcc, s15, v1
	v_addc_co_u32_e32 v3, vcc, 0, v3, vcc
	v_add_co_u32_e32 v4, vcc, 0x1000, v2
	v_addc_co_u32_e32 v5, vcc, 0, v3, vcc
	flat_load_ushort v6, v[2:3]
	flat_load_ushort v7, v[2:3] offset:512
	flat_load_ushort v8, v[2:3] offset:1024
	;; [unrolled: 1-line block ×7, first 2 shown]
	v_add_co_u32_e32 v2, vcc, 0x2000, v2
	v_addc_co_u32_e32 v3, vcc, 0, v3, vcc
	flat_load_ushort v16, v[4:5]
	flat_load_ushort v17, v[4:5] offset:512
	flat_load_ushort v18, v[4:5] offset:1024
	;; [unrolled: 1-line block ×7, first 2 shown]
	s_nop 0
	flat_load_ushort v4, v[2:3]
	flat_load_ushort v5, v[2:3] offset:512
	flat_load_ushort v24, v[2:3] offset:1024
	;; [unrolled: 1-line block ×3, first 2 shown]
	s_mov_b64 s[2:3], 0
	s_waitcnt vmcnt(0) lgkmcnt(0)
	ds_write_b16 v1, v6
	ds_write_b16 v1, v7 offset:512
	ds_write_b16 v1, v8 offset:1024
	;; [unrolled: 1-line block ×19, first 2 shown]
	s_waitcnt lgkmcnt(0)
	s_barrier
.LBB3077_6:
	s_andn2_b64 vcc, exec, s[2:3]
	v_cmp_gt_u32_e64 s[2:3], s14, v0
	s_cbranch_vccnz .LBB3077_48
; %bb.7:
                                        ; implicit-def: $vgpr1
	s_and_saveexec_b64 s[12:13], s[2:3]
	s_cbranch_execz .LBB3077_9
; %bb.8:
	v_lshlrev_b32_e32 v1, 1, v0
	v_mov_b32_e32 v3, s16
	v_add_co_u32_e32 v2, vcc, s15, v1
	v_addc_co_u32_e32 v3, vcc, 0, v3, vcc
	flat_load_ushort v1, v[2:3]
.LBB3077_9:
	s_or_b64 exec, exec, s[12:13]
	v_or_b32_e32 v2, 0x100, v0
	v_cmp_gt_u32_e32 vcc, s14, v2
                                        ; implicit-def: $vgpr2
	s_and_saveexec_b64 s[2:3], vcc
	s_cbranch_execz .LBB3077_11
; %bb.10:
	v_lshlrev_b32_e32 v2, 1, v0
	v_mov_b32_e32 v3, s16
	v_add_co_u32_e32 v2, vcc, s15, v2
	v_addc_co_u32_e32 v3, vcc, 0, v3, vcc
	flat_load_ushort v2, v[2:3] offset:512
.LBB3077_11:
	s_or_b64 exec, exec, s[2:3]
	v_or_b32_e32 v3, 0x200, v0
	v_cmp_gt_u32_e32 vcc, s14, v3
                                        ; implicit-def: $vgpr3
	s_and_saveexec_b64 s[2:3], vcc
	s_cbranch_execz .LBB3077_13
; %bb.12:
	v_lshlrev_b32_e32 v3, 1, v0
	v_mov_b32_e32 v5, s16
	v_add_co_u32_e32 v4, vcc, s15, v3
	v_addc_co_u32_e32 v5, vcc, 0, v5, vcc
	flat_load_ushort v3, v[4:5] offset:1024
.LBB3077_13:
	s_or_b64 exec, exec, s[2:3]
	v_or_b32_e32 v4, 0x300, v0
	v_cmp_gt_u32_e32 vcc, s14, v4
                                        ; implicit-def: $vgpr4
	s_and_saveexec_b64 s[2:3], vcc
	s_cbranch_execz .LBB3077_15
; %bb.14:
	v_lshlrev_b32_e32 v4, 1, v0
	v_mov_b32_e32 v5, s16
	v_add_co_u32_e32 v4, vcc, s15, v4
	v_addc_co_u32_e32 v5, vcc, 0, v5, vcc
	flat_load_ushort v4, v[4:5] offset:1536
.LBB3077_15:
	s_or_b64 exec, exec, s[2:3]
	v_or_b32_e32 v5, 0x400, v0
	v_cmp_gt_u32_e32 vcc, s14, v5
                                        ; implicit-def: $vgpr5
	s_and_saveexec_b64 s[2:3], vcc
	s_cbranch_execz .LBB3077_17
; %bb.16:
	v_lshlrev_b32_e32 v5, 1, v0
	v_mov_b32_e32 v7, s16
	v_add_co_u32_e32 v6, vcc, s15, v5
	v_addc_co_u32_e32 v7, vcc, 0, v7, vcc
	flat_load_ushort v5, v[6:7] offset:2048
.LBB3077_17:
	s_or_b64 exec, exec, s[2:3]
	v_or_b32_e32 v6, 0x500, v0
	v_cmp_gt_u32_e32 vcc, s14, v6
                                        ; implicit-def: $vgpr6
	s_and_saveexec_b64 s[2:3], vcc
	s_cbranch_execz .LBB3077_19
; %bb.18:
	v_lshlrev_b32_e32 v6, 1, v0
	v_mov_b32_e32 v7, s16
	v_add_co_u32_e32 v6, vcc, s15, v6
	v_addc_co_u32_e32 v7, vcc, 0, v7, vcc
	flat_load_ushort v6, v[6:7] offset:2560
.LBB3077_19:
	s_or_b64 exec, exec, s[2:3]
	v_or_b32_e32 v7, 0x600, v0
	v_cmp_gt_u32_e32 vcc, s14, v7
                                        ; implicit-def: $vgpr7
	s_and_saveexec_b64 s[2:3], vcc
	s_cbranch_execz .LBB3077_21
; %bb.20:
	v_lshlrev_b32_e32 v7, 1, v0
	v_mov_b32_e32 v9, s16
	v_add_co_u32_e32 v8, vcc, s15, v7
	v_addc_co_u32_e32 v9, vcc, 0, v9, vcc
	flat_load_ushort v7, v[8:9] offset:3072
.LBB3077_21:
	s_or_b64 exec, exec, s[2:3]
	v_or_b32_e32 v8, 0x700, v0
	v_cmp_gt_u32_e32 vcc, s14, v8
                                        ; implicit-def: $vgpr8
	s_and_saveexec_b64 s[2:3], vcc
	s_cbranch_execz .LBB3077_23
; %bb.22:
	v_lshlrev_b32_e32 v8, 1, v0
	v_mov_b32_e32 v9, s16
	v_add_co_u32_e32 v8, vcc, s15, v8
	v_addc_co_u32_e32 v9, vcc, 0, v9, vcc
	flat_load_ushort v8, v[8:9] offset:3584
.LBB3077_23:
	s_or_b64 exec, exec, s[2:3]
	v_or_b32_e32 v12, 0x800, v0
	v_cmp_gt_u32_e32 vcc, s14, v12
                                        ; implicit-def: $vgpr9
	s_and_saveexec_b64 s[2:3], vcc
	s_cbranch_execz .LBB3077_25
; %bb.24:
	v_lshlrev_b32_e32 v9, 1, v12
	v_mov_b32_e32 v13, s16
	v_add_co_u32_e32 v12, vcc, s15, v9
	v_addc_co_u32_e32 v13, vcc, 0, v13, vcc
	flat_load_ushort v9, v[12:13]
.LBB3077_25:
	s_or_b64 exec, exec, s[2:3]
	v_or_b32_e32 v13, 0x900, v0
	v_cmp_gt_u32_e32 vcc, s14, v13
                                        ; implicit-def: $vgpr12
	s_and_saveexec_b64 s[2:3], vcc
	s_cbranch_execz .LBB3077_27
; %bb.26:
	v_lshlrev_b32_e32 v12, 1, v13
	v_mov_b32_e32 v13, s16
	v_add_co_u32_e32 v12, vcc, s15, v12
	v_addc_co_u32_e32 v13, vcc, 0, v13, vcc
	flat_load_ushort v12, v[12:13]
.LBB3077_27:
	s_or_b64 exec, exec, s[2:3]
	v_or_b32_e32 v14, 0xa00, v0
	v_cmp_gt_u32_e32 vcc, s14, v14
                                        ; implicit-def: $vgpr13
	s_and_saveexec_b64 s[2:3], vcc
	s_cbranch_execz .LBB3077_29
; %bb.28:
	v_lshlrev_b32_e32 v13, 1, v14
	v_mov_b32_e32 v15, s16
	v_add_co_u32_e32 v14, vcc, s15, v13
	v_addc_co_u32_e32 v15, vcc, 0, v15, vcc
	flat_load_ushort v13, v[14:15]
.LBB3077_29:
	s_or_b64 exec, exec, s[2:3]
	v_or_b32_e32 v15, 0xb00, v0
	v_cmp_gt_u32_e32 vcc, s14, v15
                                        ; implicit-def: $vgpr14
	s_and_saveexec_b64 s[2:3], vcc
	s_cbranch_execz .LBB3077_31
; %bb.30:
	v_lshlrev_b32_e32 v14, 1, v15
	v_mov_b32_e32 v15, s16
	v_add_co_u32_e32 v14, vcc, s15, v14
	v_addc_co_u32_e32 v15, vcc, 0, v15, vcc
	flat_load_ushort v14, v[14:15]
.LBB3077_31:
	s_or_b64 exec, exec, s[2:3]
	v_or_b32_e32 v16, 0xc00, v0
	v_cmp_gt_u32_e32 vcc, s14, v16
                                        ; implicit-def: $vgpr15
	s_and_saveexec_b64 s[2:3], vcc
	s_cbranch_execz .LBB3077_33
; %bb.32:
	v_lshlrev_b32_e32 v15, 1, v16
	v_mov_b32_e32 v17, s16
	v_add_co_u32_e32 v16, vcc, s15, v15
	v_addc_co_u32_e32 v17, vcc, 0, v17, vcc
	flat_load_ushort v15, v[16:17]
.LBB3077_33:
	s_or_b64 exec, exec, s[2:3]
	v_or_b32_e32 v17, 0xd00, v0
	v_cmp_gt_u32_e32 vcc, s14, v17
                                        ; implicit-def: $vgpr16
	s_and_saveexec_b64 s[2:3], vcc
	s_cbranch_execz .LBB3077_35
; %bb.34:
	v_lshlrev_b32_e32 v16, 1, v17
	v_mov_b32_e32 v17, s16
	v_add_co_u32_e32 v16, vcc, s15, v16
	v_addc_co_u32_e32 v17, vcc, 0, v17, vcc
	flat_load_ushort v16, v[16:17]
.LBB3077_35:
	s_or_b64 exec, exec, s[2:3]
	v_or_b32_e32 v18, 0xe00, v0
	v_cmp_gt_u32_e32 vcc, s14, v18
                                        ; implicit-def: $vgpr17
	s_and_saveexec_b64 s[2:3], vcc
	s_cbranch_execz .LBB3077_37
; %bb.36:
	v_lshlrev_b32_e32 v17, 1, v18
	v_mov_b32_e32 v19, s16
	v_add_co_u32_e32 v18, vcc, s15, v17
	v_addc_co_u32_e32 v19, vcc, 0, v19, vcc
	flat_load_ushort v17, v[18:19]
.LBB3077_37:
	s_or_b64 exec, exec, s[2:3]
	v_or_b32_e32 v19, 0xf00, v0
	v_cmp_gt_u32_e32 vcc, s14, v19
                                        ; implicit-def: $vgpr18
	s_and_saveexec_b64 s[2:3], vcc
	s_cbranch_execz .LBB3077_39
; %bb.38:
	v_lshlrev_b32_e32 v18, 1, v19
	v_mov_b32_e32 v19, s16
	v_add_co_u32_e32 v18, vcc, s15, v18
	v_addc_co_u32_e32 v19, vcc, 0, v19, vcc
	flat_load_ushort v18, v[18:19]
.LBB3077_39:
	s_or_b64 exec, exec, s[2:3]
	v_or_b32_e32 v20, 0x1000, v0
	v_cmp_gt_u32_e32 vcc, s14, v20
                                        ; implicit-def: $vgpr19
	s_and_saveexec_b64 s[2:3], vcc
	s_cbranch_execz .LBB3077_41
; %bb.40:
	v_lshlrev_b32_e32 v19, 1, v20
	v_mov_b32_e32 v21, s16
	v_add_co_u32_e32 v20, vcc, s15, v19
	v_addc_co_u32_e32 v21, vcc, 0, v21, vcc
	flat_load_ushort v19, v[20:21]
.LBB3077_41:
	s_or_b64 exec, exec, s[2:3]
	v_or_b32_e32 v21, 0x1100, v0
	v_cmp_gt_u32_e32 vcc, s14, v21
                                        ; implicit-def: $vgpr20
	s_and_saveexec_b64 s[2:3], vcc
	s_cbranch_execz .LBB3077_43
; %bb.42:
	v_lshlrev_b32_e32 v20, 1, v21
	v_mov_b32_e32 v21, s16
	v_add_co_u32_e32 v20, vcc, s15, v20
	v_addc_co_u32_e32 v21, vcc, 0, v21, vcc
	flat_load_ushort v20, v[20:21]
.LBB3077_43:
	s_or_b64 exec, exec, s[2:3]
	v_or_b32_e32 v22, 0x1200, v0
	v_cmp_gt_u32_e32 vcc, s14, v22
                                        ; implicit-def: $vgpr21
	s_and_saveexec_b64 s[2:3], vcc
	s_cbranch_execz .LBB3077_45
; %bb.44:
	v_lshlrev_b32_e32 v21, 1, v22
	v_mov_b32_e32 v23, s16
	v_add_co_u32_e32 v22, vcc, s15, v21
	v_addc_co_u32_e32 v23, vcc, 0, v23, vcc
	flat_load_ushort v21, v[22:23]
.LBB3077_45:
	s_or_b64 exec, exec, s[2:3]
	v_or_b32_e32 v23, 0x1300, v0
	v_cmp_gt_u32_e32 vcc, s14, v23
                                        ; implicit-def: $vgpr22
	s_and_saveexec_b64 s[2:3], vcc
	s_cbranch_execz .LBB3077_47
; %bb.46:
	v_lshlrev_b32_e32 v22, 1, v23
	v_mov_b32_e32 v23, s16
	v_add_co_u32_e32 v22, vcc, s15, v22
	v_addc_co_u32_e32 v23, vcc, 0, v23, vcc
	flat_load_ushort v22, v[22:23]
.LBB3077_47:
	s_or_b64 exec, exec, s[2:3]
	v_lshlrev_b32_e32 v23, 1, v0
	s_waitcnt vmcnt(0) lgkmcnt(0)
	ds_write_b16 v23, v1
	ds_write_b16 v23, v2 offset:512
	ds_write_b16 v23, v3 offset:1024
	;; [unrolled: 1-line block ×19, first 2 shown]
	s_waitcnt lgkmcnt(0)
	s_barrier
.LBB3077_48:
	v_mul_u32_u24_e32 v1, 20, v0
	v_lshlrev_b32_e32 v6, 1, v1
	ds_read_b64 v[12:13], v6 offset:32
	ds_read2_b64 v[2:5], v6 offset0:2 offset1:3
	ds_read2_b64 v[6:9], v6 offset1:1
	s_add_u32 s2, s6, s4
	s_addc_u32 s3, s7, s5
	s_add_u32 s2, s2, s10
	s_addc_u32 s3, s3, s11
	s_mov_b64 s[4:5], -1
	s_and_b64 vcc, exec, s[8:9]
	s_waitcnt lgkmcnt(0)
	s_barrier
	s_cbranch_vccz .LBB3077_50
; %bb.49:
	v_lshlrev_b32_e32 v14, 1, v0
	v_mov_b32_e32 v15, s3
	v_add_co_u32_e32 v16, vcc, s2, v14
	v_addc_co_u32_e32 v17, vcc, 0, v15, vcc
	s_movk_i32 s4, 0x1000
	global_load_ubyte v18, v14, s[2:3]
	global_load_ubyte v19, v14, s[2:3] offset:512
	global_load_ubyte v20, v14, s[2:3] offset:1024
	;; [unrolled: 1-line block ×7, first 2 shown]
	v_add_co_u32_e32 v14, vcc, s4, v16
	v_addc_co_u32_e32 v15, vcc, 0, v17, vcc
	s_movk_i32 s4, 0x2000
	v_add_co_u32_e32 v16, vcc, s4, v16
	v_addc_co_u32_e32 v17, vcc, 0, v17, vcc
	global_load_ubyte v26, v[16:17], off offset:-4096
	global_load_ubyte v27, v[14:15], off offset:512
	global_load_ubyte v28, v[14:15], off offset:1024
	;; [unrolled: 1-line block ×7, first 2 shown]
	global_load_ubyte v34, v[16:17], off
	global_load_ubyte v35, v[16:17], off offset:512
	global_load_ubyte v36, v[16:17], off offset:1024
	;; [unrolled: 1-line block ×3, first 2 shown]
	s_mov_b64 s[4:5], 0
	s_waitcnt vmcnt(19)
	v_xor_b32_e32 v14, -1, v18
	s_waitcnt vmcnt(18)
	v_xor_b32_e32 v15, -1, v19
	;; [unrolled: 2-line block ×8, first 2 shown]
	v_and_b32_e32 v14, 1, v14
	s_waitcnt vmcnt(11)
	v_xor_b32_e32 v22, -1, v26
	v_and_b32_e32 v15, 1, v15
	v_and_b32_e32 v16, 1, v16
	;; [unrolled: 1-line block ×7, first 2 shown]
	s_waitcnt vmcnt(10)
	v_xor_b32_e32 v23, -1, v27
	s_waitcnt vmcnt(9)
	v_xor_b32_e32 v24, -1, v28
	;; [unrolled: 2-line block ×11, first 2 shown]
	ds_write_b8 v0, v14
	ds_write_b8 v0, v15 offset:256
	ds_write_b8 v0, v16 offset:512
	;; [unrolled: 1-line block ×7, first 2 shown]
	v_and_b32_e32 v14, 1, v22
	v_and_b32_e32 v15, 1, v23
	;; [unrolled: 1-line block ×12, first 2 shown]
	ds_write_b8 v0, v14 offset:2048
	ds_write_b8 v0, v15 offset:2304
	;; [unrolled: 1-line block ×12, first 2 shown]
	s_waitcnt lgkmcnt(0)
	s_barrier
.LBB3077_50:
	s_andn2_b64 vcc, exec, s[4:5]
	s_cbranch_vccnz .LBB3077_92
; %bb.51:
	v_cmp_gt_u32_e32 vcc, s14, v0
	v_mov_b32_e32 v14, 0
	v_mov_b32_e32 v15, 0
	s_and_saveexec_b64 s[4:5], vcc
	s_cbranch_execz .LBB3077_53
; %bb.52:
	v_lshlrev_b32_e32 v15, 1, v0
	global_load_ubyte v15, v15, s[2:3]
	s_waitcnt vmcnt(0)
	v_xor_b32_e32 v15, -1, v15
	v_and_b32_e32 v15, 1, v15
.LBB3077_53:
	s_or_b64 exec, exec, s[4:5]
	v_or_b32_e32 v16, 0x100, v0
	v_cmp_gt_u32_e32 vcc, s14, v16
	s_and_saveexec_b64 s[4:5], vcc
	s_cbranch_execz .LBB3077_55
; %bb.54:
	v_lshlrev_b32_e32 v14, 1, v0
	global_load_ubyte v14, v14, s[2:3] offset:512
	s_waitcnt vmcnt(0)
	v_xor_b32_e32 v14, -1, v14
	v_and_b32_e32 v14, 1, v14
.LBB3077_55:
	s_or_b64 exec, exec, s[4:5]
	v_or_b32_e32 v16, 0x200, v0
	v_cmp_gt_u32_e32 vcc, s14, v16
	v_mov_b32_e32 v16, 0
	v_mov_b32_e32 v17, 0
	s_and_saveexec_b64 s[4:5], vcc
	s_cbranch_execz .LBB3077_57
; %bb.56:
	v_lshlrev_b32_e32 v17, 1, v0
	global_load_ubyte v17, v17, s[2:3] offset:1024
	s_waitcnt vmcnt(0)
	v_xor_b32_e32 v17, -1, v17
	v_and_b32_e32 v17, 1, v17
.LBB3077_57:
	s_or_b64 exec, exec, s[4:5]
	v_or_b32_e32 v18, 0x300, v0
	v_cmp_gt_u32_e32 vcc, s14, v18
	s_and_saveexec_b64 s[4:5], vcc
	s_cbranch_execz .LBB3077_59
; %bb.58:
	v_lshlrev_b32_e32 v16, 1, v0
	global_load_ubyte v16, v16, s[2:3] offset:1536
	s_waitcnt vmcnt(0)
	v_xor_b32_e32 v16, -1, v16
	v_and_b32_e32 v16, 1, v16
.LBB3077_59:
	s_or_b64 exec, exec, s[4:5]
	v_or_b32_e32 v18, 0x400, v0
	v_cmp_gt_u32_e32 vcc, s14, v18
	v_mov_b32_e32 v18, 0
	v_mov_b32_e32 v19, 0
	s_and_saveexec_b64 s[4:5], vcc
	s_cbranch_execz .LBB3077_61
; %bb.60:
	v_lshlrev_b32_e32 v19, 1, v0
	global_load_ubyte v19, v19, s[2:3] offset:2048
	s_waitcnt vmcnt(0)
	v_xor_b32_e32 v19, -1, v19
	v_and_b32_e32 v19, 1, v19
.LBB3077_61:
	;; [unrolled: 26-line block ×3, first 2 shown]
	s_or_b64 exec, exec, s[4:5]
	v_or_b32_e32 v22, 0x700, v0
	v_cmp_gt_u32_e32 vcc, s14, v22
	s_and_saveexec_b64 s[4:5], vcc
	s_cbranch_execz .LBB3077_67
; %bb.66:
	v_lshlrev_b32_e32 v20, 1, v0
	global_load_ubyte v20, v20, s[2:3] offset:3584
	s_waitcnt vmcnt(0)
	v_xor_b32_e32 v20, -1, v20
	v_and_b32_e32 v20, 1, v20
.LBB3077_67:
	s_or_b64 exec, exec, s[4:5]
	v_or_b32_e32 v24, 0x800, v0
	v_cmp_gt_u32_e32 vcc, s14, v24
	v_mov_b32_e32 v22, 0
	v_mov_b32_e32 v23, 0
	s_and_saveexec_b64 s[4:5], vcc
	s_cbranch_execz .LBB3077_69
; %bb.68:
	v_lshlrev_b32_e32 v23, 1, v24
	global_load_ubyte v23, v23, s[2:3]
	s_waitcnt vmcnt(0)
	v_xor_b32_e32 v23, -1, v23
	v_and_b32_e32 v23, 1, v23
.LBB3077_69:
	s_or_b64 exec, exec, s[4:5]
	v_or_b32_e32 v24, 0x900, v0
	v_cmp_gt_u32_e32 vcc, s14, v24
	s_and_saveexec_b64 s[4:5], vcc
	s_cbranch_execz .LBB3077_71
; %bb.70:
	v_lshlrev_b32_e32 v22, 1, v24
	global_load_ubyte v22, v22, s[2:3]
	s_waitcnt vmcnt(0)
	v_xor_b32_e32 v22, -1, v22
	v_and_b32_e32 v22, 1, v22
.LBB3077_71:
	s_or_b64 exec, exec, s[4:5]
	v_or_b32_e32 v26, 0xa00, v0
	v_cmp_gt_u32_e32 vcc, s14, v26
	v_mov_b32_e32 v24, 0
	v_mov_b32_e32 v25, 0
	s_and_saveexec_b64 s[4:5], vcc
	s_cbranch_execz .LBB3077_73
; %bb.72:
	v_lshlrev_b32_e32 v25, 1, v26
	global_load_ubyte v25, v25, s[2:3]
	s_waitcnt vmcnt(0)
	v_xor_b32_e32 v25, -1, v25
	v_and_b32_e32 v25, 1, v25
.LBB3077_73:
	s_or_b64 exec, exec, s[4:5]
	v_or_b32_e32 v26, 0xb00, v0
	v_cmp_gt_u32_e32 vcc, s14, v26
	s_and_saveexec_b64 s[4:5], vcc
	s_cbranch_execz .LBB3077_75
; %bb.74:
	v_lshlrev_b32_e32 v24, 1, v26
	global_load_ubyte v24, v24, s[2:3]
	s_waitcnt vmcnt(0)
	v_xor_b32_e32 v24, -1, v24
	v_and_b32_e32 v24, 1, v24
.LBB3077_75:
	;; [unrolled: 26-line block ×6, first 2 shown]
	s_or_b64 exec, exec, s[4:5]
	ds_write_b8 v0, v15
	ds_write_b8 v0, v14 offset:256
	ds_write_b8 v0, v17 offset:512
	;; [unrolled: 1-line block ×19, first 2 shown]
	s_waitcnt lgkmcnt(0)
	s_barrier
.LBB3077_92:
	ds_read2_b32 v[16:17], v1 offset1:1
	ds_read2_b32 v[14:15], v1 offset0:2 offset1:3
	ds_read_b32 v29, v1 offset:16
	s_cmp_lg_u32 s30, 0
	v_lshrrev_b32_e32 v48, 6, v0
	s_waitcnt lgkmcnt(2)
	v_lshrrev_b32_e32 v34, 24, v16
	v_bfe_u32 v46, v16, 16, 8
	v_add_u32_sdwa v18, v16, v16 dst_sel:DWORD dst_unused:UNUSED_PAD src0_sel:BYTE_1 src1_sel:BYTE_0
	v_and_b32_e32 v43, 0xff, v17
	v_bfe_u32 v44, v17, 8, 8
	v_add3_u32 v18, v18, v46, v34
	v_lshrrev_b32_e32 v33, 24, v17
	v_bfe_u32 v45, v17, 16, 8
	v_add3_u32 v18, v18, v43, v44
	s_waitcnt lgkmcnt(1)
	v_and_b32_e32 v40, 0xff, v14
	v_bfe_u32 v41, v14, 8, 8
	v_add3_u32 v18, v18, v45, v33
	v_lshrrev_b32_e32 v32, 24, v14
	v_bfe_u32 v42, v14, 16, 8
	v_add3_u32 v18, v18, v40, v41
	v_and_b32_e32 v37, 0xff, v15
	v_bfe_u32 v38, v15, 8, 8
	v_add3_u32 v18, v18, v42, v32
	v_lshrrev_b32_e32 v31, 24, v15
	v_bfe_u32 v39, v15, 16, 8
	v_add3_u32 v18, v18, v37, v38
	s_waitcnt lgkmcnt(0)
	v_and_b32_e32 v35, 0xff, v29
	v_bfe_u32 v36, v29, 8, 8
	v_add3_u32 v18, v18, v39, v31
	v_lshrrev_b32_e32 v28, 24, v29
	v_bfe_u32 v30, v29, 16, 8
	v_add3_u32 v18, v18, v35, v36
	v_add3_u32 v49, v18, v30, v28
	v_mbcnt_lo_u32_b32 v18, -1, 0
	v_mbcnt_hi_u32_b32 v47, -1, v18
	v_and_b32_e32 v18, 15, v47
	v_cmp_eq_u32_e64 s[14:15], 0, v18
	v_cmp_lt_u32_e64 s[12:13], 1, v18
	v_cmp_lt_u32_e64 s[10:11], 3, v18
	;; [unrolled: 1-line block ×3, first 2 shown]
	v_and_b32_e32 v18, 16, v47
	v_cmp_eq_u32_e64 s[6:7], 0, v18
	v_or_b32_e32 v18, 63, v0
	v_cmp_lt_u32_e64 s[2:3], 31, v47
	v_cmp_eq_u32_e64 s[4:5], v18, v0
	s_barrier
	s_cbranch_scc0 .LBB3077_123
; %bb.93:
	v_mov_b32_dpp v18, v49 row_shr:1 row_mask:0xf bank_mask:0xf
	v_cndmask_b32_e64 v18, v18, 0, s[14:15]
	v_add_u32_e32 v18, v18, v49
	s_nop 1
	v_mov_b32_dpp v19, v18 row_shr:2 row_mask:0xf bank_mask:0xf
	v_cndmask_b32_e64 v19, 0, v19, s[12:13]
	v_add_u32_e32 v18, v18, v19
	s_nop 1
	;; [unrolled: 4-line block ×4, first 2 shown]
	v_mov_b32_dpp v19, v18 row_bcast:15 row_mask:0xf bank_mask:0xf
	v_cndmask_b32_e64 v19, v19, 0, s[6:7]
	v_add_u32_e32 v18, v18, v19
	s_nop 1
	v_mov_b32_dpp v19, v18 row_bcast:31 row_mask:0xf bank_mask:0xf
	v_cndmask_b32_e64 v19, 0, v19, s[2:3]
	v_add_u32_e32 v18, v18, v19
	s_and_saveexec_b64 s[16:17], s[4:5]
	s_cbranch_execz .LBB3077_95
; %bb.94:
	v_lshlrev_b32_e32 v19, 2, v48
	ds_write_b32 v19, v18
.LBB3077_95:
	s_or_b64 exec, exec, s[16:17]
	v_cmp_gt_u32_e32 vcc, 4, v0
	s_waitcnt lgkmcnt(0)
	s_barrier
	s_and_saveexec_b64 s[16:17], vcc
	s_cbranch_execz .LBB3077_97
; %bb.96:
	v_lshlrev_b32_e32 v19, 2, v0
	ds_read_b32 v20, v19
	v_and_b32_e32 v21, 3, v47
	v_cmp_ne_u32_e32 vcc, 0, v21
	s_waitcnt lgkmcnt(0)
	v_mov_b32_dpp v22, v20 row_shr:1 row_mask:0xf bank_mask:0xf
	v_cndmask_b32_e32 v22, 0, v22, vcc
	v_add_u32_e32 v20, v22, v20
	v_cmp_lt_u32_e32 vcc, 1, v21
	s_nop 0
	v_mov_b32_dpp v22, v20 row_shr:2 row_mask:0xf bank_mask:0xf
	v_cndmask_b32_e32 v21, 0, v22, vcc
	v_add_u32_e32 v20, v20, v21
	ds_write_b32 v19, v20
.LBB3077_97:
	s_or_b64 exec, exec, s[16:17]
	v_cmp_gt_u32_e32 vcc, 64, v0
	v_cmp_lt_u32_e64 s[16:17], 63, v0
	s_waitcnt lgkmcnt(0)
	s_barrier
	s_waitcnt lgkmcnt(0)
                                        ; implicit-def: $vgpr50
	s_and_saveexec_b64 s[22:23], s[16:17]
	s_cbranch_execz .LBB3077_99
; %bb.98:
	v_lshl_add_u32 v19, v48, 2, -4
	ds_read_b32 v50, v19
	s_waitcnt lgkmcnt(0)
	v_add_u32_e32 v18, v50, v18
.LBB3077_99:
	s_or_b64 exec, exec, s[22:23]
	v_add_u32_e32 v19, -1, v47
	v_and_b32_e32 v20, 64, v47
	v_cmp_lt_i32_e64 s[16:17], v19, v20
	v_cndmask_b32_e64 v19, v19, v47, s[16:17]
	v_lshlrev_b32_e32 v19, 2, v19
	ds_bpermute_b32 v51, v19, v18
	v_cmp_eq_u32_e64 s[16:17], 0, v47
	s_and_saveexec_b64 s[22:23], vcc
	s_cbranch_execz .LBB3077_122
; %bb.100:
	v_mov_b32_e32 v27, 0
	ds_read_b32 v18, v27 offset:12
	s_and_saveexec_b64 s[26:27], s[16:17]
	s_cbranch_execz .LBB3077_102
; %bb.101:
	s_add_i32 s28, s30, 64
	s_mov_b32 s29, 0
	s_lshl_b64 s[28:29], s[28:29], 3
	s_add_u32 s28, s24, s28
	v_mov_b32_e32 v19, 1
	s_addc_u32 s29, s25, s29
	s_waitcnt lgkmcnt(0)
	global_store_dwordx2 v27, v[18:19], s[28:29]
.LBB3077_102:
	s_or_b64 exec, exec, s[26:27]
	v_xad_u32 v20, v47, -1, s30
	v_add_u32_e32 v26, 64, v20
	v_lshlrev_b64 v[22:23], 3, v[26:27]
	v_mov_b32_e32 v19, s25
	v_add_co_u32_e32 v22, vcc, s24, v22
	v_addc_co_u32_e32 v23, vcc, v19, v23, vcc
	global_load_dwordx2 v[24:25], v[22:23], off glc
	s_waitcnt vmcnt(0)
	v_cmp_eq_u16_sdwa s[28:29], v25, v27 src0_sel:BYTE_0 src1_sel:DWORD
	s_and_saveexec_b64 s[26:27], s[28:29]
	s_cbranch_execz .LBB3077_108
; %bb.103:
	s_mov_b32 s31, 1
	s_mov_b64 s[28:29], 0
	v_mov_b32_e32 v19, 0
.LBB3077_104:                           ; =>This Loop Header: Depth=1
                                        ;     Child Loop BB3077_105 Depth 2
	s_max_u32 s33, s31, 1
.LBB3077_105:                           ;   Parent Loop BB3077_104 Depth=1
                                        ; =>  This Inner Loop Header: Depth=2
	s_add_i32 s33, s33, -1
	s_cmp_eq_u32 s33, 0
	s_sleep 1
	s_cbranch_scc0 .LBB3077_105
; %bb.106:                              ;   in Loop: Header=BB3077_104 Depth=1
	global_load_dwordx2 v[24:25], v[22:23], off glc
	s_cmp_lt_u32 s31, 32
	s_cselect_b64 s[34:35], -1, 0
	s_cmp_lg_u64 s[34:35], 0
	s_addc_u32 s31, s31, 0
	s_waitcnt vmcnt(0)
	v_cmp_ne_u16_sdwa s[34:35], v25, v19 src0_sel:BYTE_0 src1_sel:DWORD
	s_or_b64 s[28:29], s[34:35], s[28:29]
	s_andn2_b64 exec, exec, s[28:29]
	s_cbranch_execnz .LBB3077_104
; %bb.107:
	s_or_b64 exec, exec, s[28:29]
.LBB3077_108:
	s_or_b64 exec, exec, s[26:27]
	v_and_b32_e32 v53, 63, v47
	v_mov_b32_e32 v52, 2
	v_cmp_ne_u32_e32 vcc, 63, v53
	v_cmp_eq_u16_sdwa s[26:27], v25, v52 src0_sel:BYTE_0 src1_sel:DWORD
	v_lshlrev_b64 v[22:23], v47, -1
	v_addc_co_u32_e32 v26, vcc, 0, v47, vcc
	v_and_b32_e32 v19, s27, v23
	v_lshlrev_b32_e32 v54, 2, v26
	v_or_b32_e32 v19, 0x80000000, v19
	ds_bpermute_b32 v26, v54, v24
	v_and_b32_e32 v21, s26, v22
	v_ffbl_b32_e32 v19, v19
	v_add_u32_e32 v19, 32, v19
	v_ffbl_b32_e32 v21, v21
	v_min_u32_e32 v19, v21, v19
	v_cmp_lt_u32_e32 vcc, v53, v19
	s_waitcnt lgkmcnt(0)
	v_cndmask_b32_e32 v21, 0, v26, vcc
	v_cmp_gt_u32_e32 vcc, 62, v53
	v_add_u32_e32 v21, v21, v24
	v_cndmask_b32_e64 v24, 0, 1, vcc
	v_lshlrev_b32_e32 v24, 1, v24
	v_add_lshl_u32 v55, v24, v47, 2
	ds_bpermute_b32 v24, v55, v21
	v_add_u32_e32 v56, 2, v53
	v_cmp_le_u32_e32 vcc, v56, v19
	v_add_u32_e32 v58, 4, v53
	v_add_u32_e32 v60, 8, v53
	s_waitcnt lgkmcnt(0)
	v_cndmask_b32_e32 v24, 0, v24, vcc
	v_cmp_gt_u32_e32 vcc, 60, v53
	v_add_u32_e32 v21, v21, v24
	v_cndmask_b32_e64 v24, 0, 1, vcc
	v_lshlrev_b32_e32 v24, 2, v24
	v_add_lshl_u32 v57, v24, v47, 2
	ds_bpermute_b32 v24, v57, v21
	v_cmp_le_u32_e32 vcc, v58, v19
	v_add_u32_e32 v62, 16, v53
	v_add_u32_e32 v64, 32, v53
	s_waitcnt lgkmcnt(0)
	v_cndmask_b32_e32 v24, 0, v24, vcc
	v_cmp_gt_u32_e32 vcc, 56, v53
	v_add_u32_e32 v21, v21, v24
	v_cndmask_b32_e64 v24, 0, 1, vcc
	v_lshlrev_b32_e32 v24, 3, v24
	v_add_lshl_u32 v59, v24, v47, 2
	ds_bpermute_b32 v24, v59, v21
	v_cmp_le_u32_e32 vcc, v60, v19
	s_waitcnt lgkmcnt(0)
	v_cndmask_b32_e32 v24, 0, v24, vcc
	v_cmp_gt_u32_e32 vcc, 48, v53
	v_add_u32_e32 v21, v21, v24
	v_cndmask_b32_e64 v24, 0, 1, vcc
	v_lshlrev_b32_e32 v24, 4, v24
	v_add_lshl_u32 v61, v24, v47, 2
	ds_bpermute_b32 v24, v61, v21
	v_cmp_le_u32_e32 vcc, v62, v19
	;; [unrolled: 9-line block ×3, first 2 shown]
	s_waitcnt lgkmcnt(0)
	v_cndmask_b32_e32 v19, 0, v24, vcc
	v_add_u32_e32 v24, v21, v19
	v_mov_b32_e32 v21, 0
	s_branch .LBB3077_110
.LBB3077_109:                           ;   in Loop: Header=BB3077_110 Depth=1
	s_or_b64 exec, exec, s[26:27]
	v_cmp_eq_u16_sdwa s[26:27], v25, v52 src0_sel:BYTE_0 src1_sel:DWORD
	v_and_b32_e32 v26, s27, v23
	v_or_b32_e32 v26, 0x80000000, v26
	ds_bpermute_b32 v65, v54, v24
	v_and_b32_e32 v27, s26, v22
	v_ffbl_b32_e32 v26, v26
	v_add_u32_e32 v26, 32, v26
	v_ffbl_b32_e32 v27, v27
	v_min_u32_e32 v26, v27, v26
	v_cmp_lt_u32_e32 vcc, v53, v26
	s_waitcnt lgkmcnt(0)
	v_cndmask_b32_e32 v27, 0, v65, vcc
	v_add_u32_e32 v24, v27, v24
	ds_bpermute_b32 v27, v55, v24
	v_cmp_le_u32_e32 vcc, v56, v26
	v_subrev_u32_e32 v20, 64, v20
	s_waitcnt lgkmcnt(0)
	v_cndmask_b32_e32 v27, 0, v27, vcc
	v_add_u32_e32 v24, v24, v27
	ds_bpermute_b32 v27, v57, v24
	v_cmp_le_u32_e32 vcc, v58, v26
	s_waitcnt lgkmcnt(0)
	v_cndmask_b32_e32 v27, 0, v27, vcc
	v_add_u32_e32 v24, v24, v27
	ds_bpermute_b32 v27, v59, v24
	v_cmp_le_u32_e32 vcc, v60, v26
	;; [unrolled: 5-line block ×4, first 2 shown]
	s_waitcnt lgkmcnt(0)
	v_cndmask_b32_e32 v26, 0, v27, vcc
	v_add3_u32 v24, v26, v19, v24
.LBB3077_110:                           ; =>This Loop Header: Depth=1
                                        ;     Child Loop BB3077_113 Depth 2
                                        ;       Child Loop BB3077_114 Depth 3
	v_cmp_ne_u16_sdwa s[26:27], v25, v52 src0_sel:BYTE_0 src1_sel:DWORD
	v_cndmask_b32_e64 v19, 0, 1, s[26:27]
	;;#ASMSTART
	;;#ASMEND
	v_cmp_ne_u32_e32 vcc, 0, v19
	s_cmp_lg_u64 vcc, exec
	v_mov_b32_e32 v19, v24
	s_cbranch_scc1 .LBB3077_117
; %bb.111:                              ;   in Loop: Header=BB3077_110 Depth=1
	v_lshlrev_b64 v[24:25], 3, v[20:21]
	v_mov_b32_e32 v27, s25
	v_add_co_u32_e32 v26, vcc, s24, v24
	v_addc_co_u32_e32 v27, vcc, v27, v25, vcc
	global_load_dwordx2 v[24:25], v[26:27], off glc
	s_waitcnt vmcnt(0)
	v_cmp_eq_u16_sdwa s[28:29], v25, v21 src0_sel:BYTE_0 src1_sel:DWORD
	s_and_saveexec_b64 s[26:27], s[28:29]
	s_cbranch_execz .LBB3077_109
; %bb.112:                              ;   in Loop: Header=BB3077_110 Depth=1
	s_mov_b32 s31, 1
	s_mov_b64 s[28:29], 0
.LBB3077_113:                           ;   Parent Loop BB3077_110 Depth=1
                                        ; =>  This Loop Header: Depth=2
                                        ;       Child Loop BB3077_114 Depth 3
	s_max_u32 s33, s31, 1
.LBB3077_114:                           ;   Parent Loop BB3077_110 Depth=1
                                        ;     Parent Loop BB3077_113 Depth=2
                                        ; =>    This Inner Loop Header: Depth=3
	s_add_i32 s33, s33, -1
	s_cmp_eq_u32 s33, 0
	s_sleep 1
	s_cbranch_scc0 .LBB3077_114
; %bb.115:                              ;   in Loop: Header=BB3077_113 Depth=2
	global_load_dwordx2 v[24:25], v[26:27], off glc
	s_cmp_lt_u32 s31, 32
	s_cselect_b64 s[34:35], -1, 0
	s_cmp_lg_u64 s[34:35], 0
	s_addc_u32 s31, s31, 0
	s_waitcnt vmcnt(0)
	v_cmp_ne_u16_sdwa s[34:35], v25, v21 src0_sel:BYTE_0 src1_sel:DWORD
	s_or_b64 s[28:29], s[34:35], s[28:29]
	s_andn2_b64 exec, exec, s[28:29]
	s_cbranch_execnz .LBB3077_113
; %bb.116:                              ;   in Loop: Header=BB3077_110 Depth=1
	s_or_b64 exec, exec, s[28:29]
	s_branch .LBB3077_109
.LBB3077_117:                           ;   in Loop: Header=BB3077_110 Depth=1
                                        ; implicit-def: $vgpr24
                                        ; implicit-def: $vgpr25
	s_cbranch_execz .LBB3077_110
; %bb.118:
	s_and_saveexec_b64 s[26:27], s[16:17]
	s_cbranch_execz .LBB3077_120
; %bb.119:
	s_add_i32 s28, s30, 64
	s_mov_b32 s29, 0
	s_lshl_b64 s[28:29], s[28:29], 3
	s_add_u32 s28, s24, s28
	v_add_u32_e32 v20, v19, v18
	v_mov_b32_e32 v21, 2
	s_addc_u32 s29, s25, s29
	v_mov_b32_e32 v22, 0
	global_store_dwordx2 v22, v[20:21], s[28:29]
	ds_write_b64 v22, v[18:19] offset:10240
.LBB3077_120:
	s_or_b64 exec, exec, s[26:27]
	s_and_b64 exec, exec, s[0:1]
	s_cbranch_execz .LBB3077_122
; %bb.121:
	v_mov_b32_e32 v18, 0
	ds_write_b32 v18, v19 offset:12
.LBB3077_122:
	s_or_b64 exec, exec, s[22:23]
	v_mov_b32_e32 v18, 0
	s_waitcnt lgkmcnt(0)
	s_barrier
	ds_read_b32 v20, v18 offset:12
	s_waitcnt lgkmcnt(0)
	s_barrier
	ds_read_b64 v[18:19], v18 offset:10240
	v_cndmask_b32_e64 v21, v51, v50, s[16:17]
	v_cndmask_b32_e64 v21, v21, 0, s[0:1]
	v_add_u32_e32 v23, v20, v21
	s_branch .LBB3077_133
.LBB3077_123:
                                        ; implicit-def: $vgpr19
                                        ; implicit-def: $vgpr23
	s_cbranch_execz .LBB3077_133
; %bb.124:
	s_waitcnt lgkmcnt(0)
	v_mov_b32_dpp v18, v49 row_shr:1 row_mask:0xf bank_mask:0xf
	v_cndmask_b32_e64 v18, v18, 0, s[14:15]
	v_add_u32_e32 v18, v18, v49
	s_nop 1
	v_mov_b32_dpp v19, v18 row_shr:2 row_mask:0xf bank_mask:0xf
	v_cndmask_b32_e64 v19, 0, v19, s[12:13]
	v_add_u32_e32 v18, v18, v19
	s_nop 1
	;; [unrolled: 4-line block ×4, first 2 shown]
	v_mov_b32_dpp v19, v18 row_bcast:15 row_mask:0xf bank_mask:0xf
	v_cndmask_b32_e64 v19, v19, 0, s[6:7]
	v_add_u32_e32 v18, v18, v19
	s_nop 1
	v_mov_b32_dpp v19, v18 row_bcast:31 row_mask:0xf bank_mask:0xf
	v_cndmask_b32_e64 v19, 0, v19, s[2:3]
	v_add_u32_e32 v18, v18, v19
	s_and_saveexec_b64 s[2:3], s[4:5]
	s_cbranch_execz .LBB3077_126
; %bb.125:
	v_lshlrev_b32_e32 v19, 2, v48
	ds_write_b32 v19, v18
.LBB3077_126:
	s_or_b64 exec, exec, s[2:3]
	v_cmp_gt_u32_e32 vcc, 4, v0
	s_waitcnt lgkmcnt(0)
	s_barrier
	s_and_saveexec_b64 s[2:3], vcc
	s_cbranch_execz .LBB3077_128
; %bb.127:
	v_lshlrev_b32_e32 v19, 2, v0
	ds_read_b32 v20, v19
	v_and_b32_e32 v21, 3, v47
	v_cmp_ne_u32_e32 vcc, 0, v21
	s_waitcnt lgkmcnt(0)
	v_mov_b32_dpp v22, v20 row_shr:1 row_mask:0xf bank_mask:0xf
	v_cndmask_b32_e32 v22, 0, v22, vcc
	v_add_u32_e32 v20, v22, v20
	v_cmp_lt_u32_e32 vcc, 1, v21
	s_nop 0
	v_mov_b32_dpp v22, v20 row_shr:2 row_mask:0xf bank_mask:0xf
	v_cndmask_b32_e32 v21, 0, v22, vcc
	v_add_u32_e32 v20, v20, v21
	ds_write_b32 v19, v20
.LBB3077_128:
	s_or_b64 exec, exec, s[2:3]
	v_cmp_lt_u32_e32 vcc, 63, v0
	v_mov_b32_e32 v19, 0
	v_mov_b32_e32 v0, 0
	s_waitcnt lgkmcnt(0)
	s_barrier
	s_and_saveexec_b64 s[2:3], vcc
	s_cbranch_execz .LBB3077_130
; %bb.129:
	v_lshl_add_u32 v0, v48, 2, -4
	ds_read_b32 v0, v0
.LBB3077_130:
	s_or_b64 exec, exec, s[2:3]
	v_add_u32_e32 v20, -1, v47
	v_and_b32_e32 v21, 64, v47
	v_cmp_lt_i32_e32 vcc, v20, v21
	v_cndmask_b32_e32 v20, v20, v47, vcc
	s_waitcnt lgkmcnt(0)
	v_add_u32_e32 v18, v0, v18
	v_lshlrev_b32_e32 v20, 2, v20
	ds_bpermute_b32 v20, v20, v18
	ds_read_b32 v18, v19 offset:12
	s_and_saveexec_b64 s[2:3], s[0:1]
	s_cbranch_execz .LBB3077_132
; %bb.131:
	v_mov_b32_e32 v21, 0
	v_mov_b32_e32 v19, 2
	s_waitcnt lgkmcnt(0)
	global_store_dwordx2 v21, v[18:19], s[24:25] offset:512
.LBB3077_132:
	s_or_b64 exec, exec, s[2:3]
	v_cmp_eq_u32_e32 vcc, 0, v47
	s_waitcnt lgkmcnt(1)
	v_cndmask_b32_e32 v0, v20, v0, vcc
	v_mov_b32_e32 v19, 0
	v_cndmask_b32_e64 v23, v0, 0, s[0:1]
	s_waitcnt lgkmcnt(0)
	s_barrier
.LBB3077_133:
	v_add_u32_sdwa v25, v23, v16 dst_sel:DWORD dst_unused:UNUSED_PAD src0_sel:DWORD src1_sel:BYTE_0
	s_waitcnt lgkmcnt(0)
	v_add_u32_e32 v1, v18, v1
	v_sub_u32_e32 v23, v23, v19
	v_and_b32_e32 v51, 1, v16
	v_sub_u32_e32 v50, v1, v23
	v_cmp_eq_u32_e32 vcc, 1, v51
	v_cndmask_b32_e32 v23, v50, v23, vcc
	v_lshlrev_b32_e32 v23, 1, v23
	v_lshrrev_b32_e32 v24, 8, v16
	ds_write_b16 v23, v6
	v_sub_u32_e32 v23, v25, v19
	v_add_u32_sdwa v26, v25, v16 dst_sel:DWORD dst_unused:UNUSED_PAD src0_sel:DWORD src1_sel:BYTE_1
	v_sub_u32_e32 v25, v1, v23
	v_and_b32_e32 v24, 1, v24
	v_add_u32_e32 v25, 1, v25
	v_cmp_eq_u32_e32 vcc, 1, v24
	v_cndmask_b32_e32 v23, v25, v23, vcc
	v_lshlrev_b32_e32 v23, 1, v23
	ds_write_b16_d16_hi v23, v6
	v_sub_u32_e32 v6, v26, v19
	v_mov_b32_e32 v24, 1
	v_sub_u32_e32 v23, v1, v6
	v_and_b32_sdwa v16, v24, v16 dst_sel:DWORD dst_unused:UNUSED_PAD src0_sel:DWORD src1_sel:WORD_1
	v_add_u32_e32 v23, 2, v23
	v_cmp_eq_u32_e32 vcc, 1, v16
	v_cndmask_b32_e32 v6, v23, v6, vcc
	v_add_u32_e32 v27, v26, v46
	v_lshlrev_b32_e32 v6, 1, v6
	ds_write_b16 v6, v7
	v_sub_u32_e32 v6, v27, v19
	v_sub_u32_e32 v16, v1, v6
	v_and_b32_e32 v23, 1, v34
	v_add_u32_e32 v16, 3, v16
	v_cmp_eq_u32_e32 vcc, 1, v23
	v_cndmask_b32_e32 v6, v16, v6, vcc
	v_add_u32_e32 v46, v27, v34
	v_lshlrev_b32_e32 v6, 1, v6
	ds_write_b16_d16_hi v6, v7
	v_sub_u32_e32 v6, v46, v19
	v_sub_u32_e32 v7, v1, v6
	v_and_b32_e32 v16, 1, v17
	v_add_u32_e32 v7, 4, v7
	v_cmp_eq_u32_e32 vcc, 1, v16
	v_cndmask_b32_e32 v6, v7, v6, vcc
	v_add_u32_e32 v43, v46, v43
	v_lshlrev_b32_e32 v6, 1, v6
	v_lshrrev_b32_e32 v22, 8, v17
	ds_write_b16 v6, v8
	v_sub_u32_e32 v6, v43, v19
	v_sub_u32_e32 v7, v1, v6
	v_and_b32_e32 v16, 1, v22
	v_add_u32_e32 v7, 5, v7
	v_cmp_eq_u32_e32 vcc, 1, v16
	v_cndmask_b32_e32 v6, v7, v6, vcc
	v_add_u32_e32 v44, v43, v44
	v_lshlrev_b32_e32 v6, 1, v6
	ds_write_b16_d16_hi v6, v8
	v_sub_u32_e32 v6, v44, v19
	v_sub_u32_e32 v7, v1, v6
	v_and_b32_sdwa v8, v24, v17 dst_sel:DWORD dst_unused:UNUSED_PAD src0_sel:DWORD src1_sel:WORD_1
	v_add_u32_e32 v7, 6, v7
	v_cmp_eq_u32_e32 vcc, 1, v8
	v_cndmask_b32_e32 v6, v7, v6, vcc
	v_add_u32_e32 v45, v44, v45
	v_lshlrev_b32_e32 v6, 1, v6
	ds_write_b16 v6, v9
	v_sub_u32_e32 v6, v45, v19
	v_sub_u32_e32 v7, v1, v6
	v_and_b32_e32 v8, 1, v33
	v_add_u32_e32 v7, 7, v7
	v_cmp_eq_u32_e32 vcc, 1, v8
	v_cndmask_b32_e32 v6, v7, v6, vcc
	v_add_u32_e32 v47, v45, v33
	v_lshlrev_b32_e32 v6, 1, v6
	ds_write_b16_d16_hi v6, v9
	v_sub_u32_e32 v6, v47, v19
	v_sub_u32_e32 v7, v1, v6
	v_and_b32_e32 v8, 1, v14
	v_add_u32_e32 v7, 8, v7
	v_cmp_eq_u32_e32 vcc, 1, v8
	v_cndmask_b32_e32 v6, v7, v6, vcc
	v_add_u32_e32 v40, v47, v40
	v_lshlrev_b32_e32 v6, 1, v6
	v_lshrrev_b32_e32 v21, 8, v14
	ds_write_b16 v6, v2
	v_sub_u32_e32 v6, v40, v19
	v_sub_u32_e32 v7, v1, v6
	v_and_b32_e32 v8, 1, v21
	v_add_u32_e32 v7, 9, v7
	v_cmp_eq_u32_e32 vcc, 1, v8
	v_cndmask_b32_e32 v6, v7, v6, vcc
	v_add_u32_e32 v41, v40, v41
	v_lshlrev_b32_e32 v6, 1, v6
	ds_write_b16_d16_hi v6, v2
	v_sub_u32_e32 v2, v41, v19
	;; [unrolled: 37-line block ×4, first 2 shown]
	v_sub_u32_e32 v2, v1, v0
	v_and_b32_sdwa v3, v24, v29 dst_sel:DWORD dst_unused:UNUSED_PAD src0_sel:DWORD src1_sel:WORD_1
	v_add_u32_e32 v2, 18, v2
	v_cmp_eq_u32_e32 vcc, 1, v3
	v_cndmask_b32_e32 v0, v2, v0, vcc
	v_lshlrev_b32_e32 v0, 1, v0
	ds_write_b16 v0, v13
	v_sub_u32_e32 v0, v30, v19
	v_add_u32_e32 v0, v36, v0
	v_sub_u32_e32 v1, v1, v0
	v_and_b32_e32 v2, 1, v28
	v_add_u32_e32 v1, 19, v1
	v_cmp_eq_u32_e32 vcc, 1, v2
	v_cndmask_b32_e32 v0, v1, v0, vcc
	v_lshlrev_b32_e32 v0, 1, v0
	s_and_b64 s[0:1], s[0:1], s[18:19]
	ds_write_b16_d16_hi v0, v13
	s_waitcnt lgkmcnt(0)
	s_barrier
	s_and_saveexec_b64 s[2:3], s[0:1]
	s_cbranch_execz .LBB3077_135
; %bb.134:
	s_waitcnt vmcnt(0)
	v_add_co_u32_e32 v0, vcc, v10, v18
	v_addc_co_u32_e32 v1, vcc, 0, v11, vcc
	v_add_co_u32_e32 v0, vcc, v0, v19
	v_mov_b32_e32 v2, 0
	v_addc_co_u32_e32 v1, vcc, 0, v1, vcc
	global_store_dwordx2 v2, v[0:1], s[20:21]
.LBB3077_135:
	s_endpgm
	.section	.rodata,"a",@progbits
	.p2align	6, 0x0
	.amdhsa_kernel _ZN7rocprim17ROCPRIM_400000_NS6detail17trampoline_kernelINS0_14default_configENS1_25partition_config_selectorILNS1_17partition_subalgoE1EtNS0_10empty_typeEbEEZZNS1_14partition_implILS5_1ELb0ES3_jN6thrust23THRUST_200600_302600_NS6detail15normal_iteratorINSA_10device_ptrItEEEEPS6_NSA_18transform_iteratorI7is_evenItESF_NSA_11use_defaultESK_EENS0_5tupleIJNSA_16discard_iteratorISK_EESO_EEENSM_IJSG_SG_EEES6_PlJS6_EEE10hipError_tPvRmT3_T4_T5_T6_T7_T9_mT8_P12ihipStream_tbDpT10_ENKUlT_T0_E_clISt17integral_constantIbLb1EES1B_EEDaS16_S17_EUlS16_E_NS1_11comp_targetILNS1_3genE4ELNS1_11target_archE910ELNS1_3gpuE8ELNS1_3repE0EEENS1_30default_config_static_selectorELNS0_4arch9wavefront6targetE1EEEvT1_
		.amdhsa_group_segment_fixed_size 10248
		.amdhsa_private_segment_fixed_size 0
		.amdhsa_kernarg_size 160
		.amdhsa_user_sgpr_count 6
		.amdhsa_user_sgpr_private_segment_buffer 1
		.amdhsa_user_sgpr_dispatch_ptr 0
		.amdhsa_user_sgpr_queue_ptr 0
		.amdhsa_user_sgpr_kernarg_segment_ptr 1
		.amdhsa_user_sgpr_dispatch_id 0
		.amdhsa_user_sgpr_flat_scratch_init 0
		.amdhsa_user_sgpr_kernarg_preload_length 0
		.amdhsa_user_sgpr_kernarg_preload_offset 0
		.amdhsa_user_sgpr_private_segment_size 0
		.amdhsa_uses_dynamic_stack 0
		.amdhsa_system_sgpr_private_segment_wavefront_offset 0
		.amdhsa_system_sgpr_workgroup_id_x 1
		.amdhsa_system_sgpr_workgroup_id_y 0
		.amdhsa_system_sgpr_workgroup_id_z 0
		.amdhsa_system_sgpr_workgroup_info 0
		.amdhsa_system_vgpr_workitem_id 0
		.amdhsa_next_free_vgpr 66
		.amdhsa_next_free_sgpr 36
		.amdhsa_accum_offset 68
		.amdhsa_reserve_vcc 1
		.amdhsa_reserve_flat_scratch 0
		.amdhsa_float_round_mode_32 0
		.amdhsa_float_round_mode_16_64 0
		.amdhsa_float_denorm_mode_32 3
		.amdhsa_float_denorm_mode_16_64 3
		.amdhsa_dx10_clamp 1
		.amdhsa_ieee_mode 1
		.amdhsa_fp16_overflow 0
		.amdhsa_tg_split 0
		.amdhsa_exception_fp_ieee_invalid_op 0
		.amdhsa_exception_fp_denorm_src 0
		.amdhsa_exception_fp_ieee_div_zero 0
		.amdhsa_exception_fp_ieee_overflow 0
		.amdhsa_exception_fp_ieee_underflow 0
		.amdhsa_exception_fp_ieee_inexact 0
		.amdhsa_exception_int_div_zero 0
	.end_amdhsa_kernel
	.section	.text._ZN7rocprim17ROCPRIM_400000_NS6detail17trampoline_kernelINS0_14default_configENS1_25partition_config_selectorILNS1_17partition_subalgoE1EtNS0_10empty_typeEbEEZZNS1_14partition_implILS5_1ELb0ES3_jN6thrust23THRUST_200600_302600_NS6detail15normal_iteratorINSA_10device_ptrItEEEEPS6_NSA_18transform_iteratorI7is_evenItESF_NSA_11use_defaultESK_EENS0_5tupleIJNSA_16discard_iteratorISK_EESO_EEENSM_IJSG_SG_EEES6_PlJS6_EEE10hipError_tPvRmT3_T4_T5_T6_T7_T9_mT8_P12ihipStream_tbDpT10_ENKUlT_T0_E_clISt17integral_constantIbLb1EES1B_EEDaS16_S17_EUlS16_E_NS1_11comp_targetILNS1_3genE4ELNS1_11target_archE910ELNS1_3gpuE8ELNS1_3repE0EEENS1_30default_config_static_selectorELNS0_4arch9wavefront6targetE1EEEvT1_,"axG",@progbits,_ZN7rocprim17ROCPRIM_400000_NS6detail17trampoline_kernelINS0_14default_configENS1_25partition_config_selectorILNS1_17partition_subalgoE1EtNS0_10empty_typeEbEEZZNS1_14partition_implILS5_1ELb0ES3_jN6thrust23THRUST_200600_302600_NS6detail15normal_iteratorINSA_10device_ptrItEEEEPS6_NSA_18transform_iteratorI7is_evenItESF_NSA_11use_defaultESK_EENS0_5tupleIJNSA_16discard_iteratorISK_EESO_EEENSM_IJSG_SG_EEES6_PlJS6_EEE10hipError_tPvRmT3_T4_T5_T6_T7_T9_mT8_P12ihipStream_tbDpT10_ENKUlT_T0_E_clISt17integral_constantIbLb1EES1B_EEDaS16_S17_EUlS16_E_NS1_11comp_targetILNS1_3genE4ELNS1_11target_archE910ELNS1_3gpuE8ELNS1_3repE0EEENS1_30default_config_static_selectorELNS0_4arch9wavefront6targetE1EEEvT1_,comdat
.Lfunc_end3077:
	.size	_ZN7rocprim17ROCPRIM_400000_NS6detail17trampoline_kernelINS0_14default_configENS1_25partition_config_selectorILNS1_17partition_subalgoE1EtNS0_10empty_typeEbEEZZNS1_14partition_implILS5_1ELb0ES3_jN6thrust23THRUST_200600_302600_NS6detail15normal_iteratorINSA_10device_ptrItEEEEPS6_NSA_18transform_iteratorI7is_evenItESF_NSA_11use_defaultESK_EENS0_5tupleIJNSA_16discard_iteratorISK_EESO_EEENSM_IJSG_SG_EEES6_PlJS6_EEE10hipError_tPvRmT3_T4_T5_T6_T7_T9_mT8_P12ihipStream_tbDpT10_ENKUlT_T0_E_clISt17integral_constantIbLb1EES1B_EEDaS16_S17_EUlS16_E_NS1_11comp_targetILNS1_3genE4ELNS1_11target_archE910ELNS1_3gpuE8ELNS1_3repE0EEENS1_30default_config_static_selectorELNS0_4arch9wavefront6targetE1EEEvT1_, .Lfunc_end3077-_ZN7rocprim17ROCPRIM_400000_NS6detail17trampoline_kernelINS0_14default_configENS1_25partition_config_selectorILNS1_17partition_subalgoE1EtNS0_10empty_typeEbEEZZNS1_14partition_implILS5_1ELb0ES3_jN6thrust23THRUST_200600_302600_NS6detail15normal_iteratorINSA_10device_ptrItEEEEPS6_NSA_18transform_iteratorI7is_evenItESF_NSA_11use_defaultESK_EENS0_5tupleIJNSA_16discard_iteratorISK_EESO_EEENSM_IJSG_SG_EEES6_PlJS6_EEE10hipError_tPvRmT3_T4_T5_T6_T7_T9_mT8_P12ihipStream_tbDpT10_ENKUlT_T0_E_clISt17integral_constantIbLb1EES1B_EEDaS16_S17_EUlS16_E_NS1_11comp_targetILNS1_3genE4ELNS1_11target_archE910ELNS1_3gpuE8ELNS1_3repE0EEENS1_30default_config_static_selectorELNS0_4arch9wavefront6targetE1EEEvT1_
                                        ; -- End function
	.section	.AMDGPU.csdata,"",@progbits
; Kernel info:
; codeLenInByte = 6840
; NumSgprs: 40
; NumVgprs: 66
; NumAgprs: 0
; TotalNumVgprs: 66
; ScratchSize: 0
; MemoryBound: 0
; FloatMode: 240
; IeeeMode: 1
; LDSByteSize: 10248 bytes/workgroup (compile time only)
; SGPRBlocks: 4
; VGPRBlocks: 8
; NumSGPRsForWavesPerEU: 40
; NumVGPRsForWavesPerEU: 66
; AccumOffset: 68
; Occupancy: 6
; WaveLimiterHint : 1
; COMPUTE_PGM_RSRC2:SCRATCH_EN: 0
; COMPUTE_PGM_RSRC2:USER_SGPR: 6
; COMPUTE_PGM_RSRC2:TRAP_HANDLER: 0
; COMPUTE_PGM_RSRC2:TGID_X_EN: 1
; COMPUTE_PGM_RSRC2:TGID_Y_EN: 0
; COMPUTE_PGM_RSRC2:TGID_Z_EN: 0
; COMPUTE_PGM_RSRC2:TIDIG_COMP_CNT: 0
; COMPUTE_PGM_RSRC3_GFX90A:ACCUM_OFFSET: 16
; COMPUTE_PGM_RSRC3_GFX90A:TG_SPLIT: 0
	.section	.text._ZN7rocprim17ROCPRIM_400000_NS6detail17trampoline_kernelINS0_14default_configENS1_25partition_config_selectorILNS1_17partition_subalgoE1EtNS0_10empty_typeEbEEZZNS1_14partition_implILS5_1ELb0ES3_jN6thrust23THRUST_200600_302600_NS6detail15normal_iteratorINSA_10device_ptrItEEEEPS6_NSA_18transform_iteratorI7is_evenItESF_NSA_11use_defaultESK_EENS0_5tupleIJNSA_16discard_iteratorISK_EESO_EEENSM_IJSG_SG_EEES6_PlJS6_EEE10hipError_tPvRmT3_T4_T5_T6_T7_T9_mT8_P12ihipStream_tbDpT10_ENKUlT_T0_E_clISt17integral_constantIbLb1EES1B_EEDaS16_S17_EUlS16_E_NS1_11comp_targetILNS1_3genE3ELNS1_11target_archE908ELNS1_3gpuE7ELNS1_3repE0EEENS1_30default_config_static_selectorELNS0_4arch9wavefront6targetE1EEEvT1_,"axG",@progbits,_ZN7rocprim17ROCPRIM_400000_NS6detail17trampoline_kernelINS0_14default_configENS1_25partition_config_selectorILNS1_17partition_subalgoE1EtNS0_10empty_typeEbEEZZNS1_14partition_implILS5_1ELb0ES3_jN6thrust23THRUST_200600_302600_NS6detail15normal_iteratorINSA_10device_ptrItEEEEPS6_NSA_18transform_iteratorI7is_evenItESF_NSA_11use_defaultESK_EENS0_5tupleIJNSA_16discard_iteratorISK_EESO_EEENSM_IJSG_SG_EEES6_PlJS6_EEE10hipError_tPvRmT3_T4_T5_T6_T7_T9_mT8_P12ihipStream_tbDpT10_ENKUlT_T0_E_clISt17integral_constantIbLb1EES1B_EEDaS16_S17_EUlS16_E_NS1_11comp_targetILNS1_3genE3ELNS1_11target_archE908ELNS1_3gpuE7ELNS1_3repE0EEENS1_30default_config_static_selectorELNS0_4arch9wavefront6targetE1EEEvT1_,comdat
	.protected	_ZN7rocprim17ROCPRIM_400000_NS6detail17trampoline_kernelINS0_14default_configENS1_25partition_config_selectorILNS1_17partition_subalgoE1EtNS0_10empty_typeEbEEZZNS1_14partition_implILS5_1ELb0ES3_jN6thrust23THRUST_200600_302600_NS6detail15normal_iteratorINSA_10device_ptrItEEEEPS6_NSA_18transform_iteratorI7is_evenItESF_NSA_11use_defaultESK_EENS0_5tupleIJNSA_16discard_iteratorISK_EESO_EEENSM_IJSG_SG_EEES6_PlJS6_EEE10hipError_tPvRmT3_T4_T5_T6_T7_T9_mT8_P12ihipStream_tbDpT10_ENKUlT_T0_E_clISt17integral_constantIbLb1EES1B_EEDaS16_S17_EUlS16_E_NS1_11comp_targetILNS1_3genE3ELNS1_11target_archE908ELNS1_3gpuE7ELNS1_3repE0EEENS1_30default_config_static_selectorELNS0_4arch9wavefront6targetE1EEEvT1_ ; -- Begin function _ZN7rocprim17ROCPRIM_400000_NS6detail17trampoline_kernelINS0_14default_configENS1_25partition_config_selectorILNS1_17partition_subalgoE1EtNS0_10empty_typeEbEEZZNS1_14partition_implILS5_1ELb0ES3_jN6thrust23THRUST_200600_302600_NS6detail15normal_iteratorINSA_10device_ptrItEEEEPS6_NSA_18transform_iteratorI7is_evenItESF_NSA_11use_defaultESK_EENS0_5tupleIJNSA_16discard_iteratorISK_EESO_EEENSM_IJSG_SG_EEES6_PlJS6_EEE10hipError_tPvRmT3_T4_T5_T6_T7_T9_mT8_P12ihipStream_tbDpT10_ENKUlT_T0_E_clISt17integral_constantIbLb1EES1B_EEDaS16_S17_EUlS16_E_NS1_11comp_targetILNS1_3genE3ELNS1_11target_archE908ELNS1_3gpuE7ELNS1_3repE0EEENS1_30default_config_static_selectorELNS0_4arch9wavefront6targetE1EEEvT1_
	.globl	_ZN7rocprim17ROCPRIM_400000_NS6detail17trampoline_kernelINS0_14default_configENS1_25partition_config_selectorILNS1_17partition_subalgoE1EtNS0_10empty_typeEbEEZZNS1_14partition_implILS5_1ELb0ES3_jN6thrust23THRUST_200600_302600_NS6detail15normal_iteratorINSA_10device_ptrItEEEEPS6_NSA_18transform_iteratorI7is_evenItESF_NSA_11use_defaultESK_EENS0_5tupleIJNSA_16discard_iteratorISK_EESO_EEENSM_IJSG_SG_EEES6_PlJS6_EEE10hipError_tPvRmT3_T4_T5_T6_T7_T9_mT8_P12ihipStream_tbDpT10_ENKUlT_T0_E_clISt17integral_constantIbLb1EES1B_EEDaS16_S17_EUlS16_E_NS1_11comp_targetILNS1_3genE3ELNS1_11target_archE908ELNS1_3gpuE7ELNS1_3repE0EEENS1_30default_config_static_selectorELNS0_4arch9wavefront6targetE1EEEvT1_
	.p2align	8
	.type	_ZN7rocprim17ROCPRIM_400000_NS6detail17trampoline_kernelINS0_14default_configENS1_25partition_config_selectorILNS1_17partition_subalgoE1EtNS0_10empty_typeEbEEZZNS1_14partition_implILS5_1ELb0ES3_jN6thrust23THRUST_200600_302600_NS6detail15normal_iteratorINSA_10device_ptrItEEEEPS6_NSA_18transform_iteratorI7is_evenItESF_NSA_11use_defaultESK_EENS0_5tupleIJNSA_16discard_iteratorISK_EESO_EEENSM_IJSG_SG_EEES6_PlJS6_EEE10hipError_tPvRmT3_T4_T5_T6_T7_T9_mT8_P12ihipStream_tbDpT10_ENKUlT_T0_E_clISt17integral_constantIbLb1EES1B_EEDaS16_S17_EUlS16_E_NS1_11comp_targetILNS1_3genE3ELNS1_11target_archE908ELNS1_3gpuE7ELNS1_3repE0EEENS1_30default_config_static_selectorELNS0_4arch9wavefront6targetE1EEEvT1_,@function
_ZN7rocprim17ROCPRIM_400000_NS6detail17trampoline_kernelINS0_14default_configENS1_25partition_config_selectorILNS1_17partition_subalgoE1EtNS0_10empty_typeEbEEZZNS1_14partition_implILS5_1ELb0ES3_jN6thrust23THRUST_200600_302600_NS6detail15normal_iteratorINSA_10device_ptrItEEEEPS6_NSA_18transform_iteratorI7is_evenItESF_NSA_11use_defaultESK_EENS0_5tupleIJNSA_16discard_iteratorISK_EESO_EEENSM_IJSG_SG_EEES6_PlJS6_EEE10hipError_tPvRmT3_T4_T5_T6_T7_T9_mT8_P12ihipStream_tbDpT10_ENKUlT_T0_E_clISt17integral_constantIbLb1EES1B_EEDaS16_S17_EUlS16_E_NS1_11comp_targetILNS1_3genE3ELNS1_11target_archE908ELNS1_3gpuE7ELNS1_3repE0EEENS1_30default_config_static_selectorELNS0_4arch9wavefront6targetE1EEEvT1_: ; @_ZN7rocprim17ROCPRIM_400000_NS6detail17trampoline_kernelINS0_14default_configENS1_25partition_config_selectorILNS1_17partition_subalgoE1EtNS0_10empty_typeEbEEZZNS1_14partition_implILS5_1ELb0ES3_jN6thrust23THRUST_200600_302600_NS6detail15normal_iteratorINSA_10device_ptrItEEEEPS6_NSA_18transform_iteratorI7is_evenItESF_NSA_11use_defaultESK_EENS0_5tupleIJNSA_16discard_iteratorISK_EESO_EEENSM_IJSG_SG_EEES6_PlJS6_EEE10hipError_tPvRmT3_T4_T5_T6_T7_T9_mT8_P12ihipStream_tbDpT10_ENKUlT_T0_E_clISt17integral_constantIbLb1EES1B_EEDaS16_S17_EUlS16_E_NS1_11comp_targetILNS1_3genE3ELNS1_11target_archE908ELNS1_3gpuE7ELNS1_3repE0EEENS1_30default_config_static_selectorELNS0_4arch9wavefront6targetE1EEEvT1_
; %bb.0:
	.section	.rodata,"a",@progbits
	.p2align	6, 0x0
	.amdhsa_kernel _ZN7rocprim17ROCPRIM_400000_NS6detail17trampoline_kernelINS0_14default_configENS1_25partition_config_selectorILNS1_17partition_subalgoE1EtNS0_10empty_typeEbEEZZNS1_14partition_implILS5_1ELb0ES3_jN6thrust23THRUST_200600_302600_NS6detail15normal_iteratorINSA_10device_ptrItEEEEPS6_NSA_18transform_iteratorI7is_evenItESF_NSA_11use_defaultESK_EENS0_5tupleIJNSA_16discard_iteratorISK_EESO_EEENSM_IJSG_SG_EEES6_PlJS6_EEE10hipError_tPvRmT3_T4_T5_T6_T7_T9_mT8_P12ihipStream_tbDpT10_ENKUlT_T0_E_clISt17integral_constantIbLb1EES1B_EEDaS16_S17_EUlS16_E_NS1_11comp_targetILNS1_3genE3ELNS1_11target_archE908ELNS1_3gpuE7ELNS1_3repE0EEENS1_30default_config_static_selectorELNS0_4arch9wavefront6targetE1EEEvT1_
		.amdhsa_group_segment_fixed_size 0
		.amdhsa_private_segment_fixed_size 0
		.amdhsa_kernarg_size 160
		.amdhsa_user_sgpr_count 6
		.amdhsa_user_sgpr_private_segment_buffer 1
		.amdhsa_user_sgpr_dispatch_ptr 0
		.amdhsa_user_sgpr_queue_ptr 0
		.amdhsa_user_sgpr_kernarg_segment_ptr 1
		.amdhsa_user_sgpr_dispatch_id 0
		.amdhsa_user_sgpr_flat_scratch_init 0
		.amdhsa_user_sgpr_kernarg_preload_length 0
		.amdhsa_user_sgpr_kernarg_preload_offset 0
		.amdhsa_user_sgpr_private_segment_size 0
		.amdhsa_uses_dynamic_stack 0
		.amdhsa_system_sgpr_private_segment_wavefront_offset 0
		.amdhsa_system_sgpr_workgroup_id_x 1
		.amdhsa_system_sgpr_workgroup_id_y 0
		.amdhsa_system_sgpr_workgroup_id_z 0
		.amdhsa_system_sgpr_workgroup_info 0
		.amdhsa_system_vgpr_workitem_id 0
		.amdhsa_next_free_vgpr 1
		.amdhsa_next_free_sgpr 0
		.amdhsa_accum_offset 4
		.amdhsa_reserve_vcc 0
		.amdhsa_reserve_flat_scratch 0
		.amdhsa_float_round_mode_32 0
		.amdhsa_float_round_mode_16_64 0
		.amdhsa_float_denorm_mode_32 3
		.amdhsa_float_denorm_mode_16_64 3
		.amdhsa_dx10_clamp 1
		.amdhsa_ieee_mode 1
		.amdhsa_fp16_overflow 0
		.amdhsa_tg_split 0
		.amdhsa_exception_fp_ieee_invalid_op 0
		.amdhsa_exception_fp_denorm_src 0
		.amdhsa_exception_fp_ieee_div_zero 0
		.amdhsa_exception_fp_ieee_overflow 0
		.amdhsa_exception_fp_ieee_underflow 0
		.amdhsa_exception_fp_ieee_inexact 0
		.amdhsa_exception_int_div_zero 0
	.end_amdhsa_kernel
	.section	.text._ZN7rocprim17ROCPRIM_400000_NS6detail17trampoline_kernelINS0_14default_configENS1_25partition_config_selectorILNS1_17partition_subalgoE1EtNS0_10empty_typeEbEEZZNS1_14partition_implILS5_1ELb0ES3_jN6thrust23THRUST_200600_302600_NS6detail15normal_iteratorINSA_10device_ptrItEEEEPS6_NSA_18transform_iteratorI7is_evenItESF_NSA_11use_defaultESK_EENS0_5tupleIJNSA_16discard_iteratorISK_EESO_EEENSM_IJSG_SG_EEES6_PlJS6_EEE10hipError_tPvRmT3_T4_T5_T6_T7_T9_mT8_P12ihipStream_tbDpT10_ENKUlT_T0_E_clISt17integral_constantIbLb1EES1B_EEDaS16_S17_EUlS16_E_NS1_11comp_targetILNS1_3genE3ELNS1_11target_archE908ELNS1_3gpuE7ELNS1_3repE0EEENS1_30default_config_static_selectorELNS0_4arch9wavefront6targetE1EEEvT1_,"axG",@progbits,_ZN7rocprim17ROCPRIM_400000_NS6detail17trampoline_kernelINS0_14default_configENS1_25partition_config_selectorILNS1_17partition_subalgoE1EtNS0_10empty_typeEbEEZZNS1_14partition_implILS5_1ELb0ES3_jN6thrust23THRUST_200600_302600_NS6detail15normal_iteratorINSA_10device_ptrItEEEEPS6_NSA_18transform_iteratorI7is_evenItESF_NSA_11use_defaultESK_EENS0_5tupleIJNSA_16discard_iteratorISK_EESO_EEENSM_IJSG_SG_EEES6_PlJS6_EEE10hipError_tPvRmT3_T4_T5_T6_T7_T9_mT8_P12ihipStream_tbDpT10_ENKUlT_T0_E_clISt17integral_constantIbLb1EES1B_EEDaS16_S17_EUlS16_E_NS1_11comp_targetILNS1_3genE3ELNS1_11target_archE908ELNS1_3gpuE7ELNS1_3repE0EEENS1_30default_config_static_selectorELNS0_4arch9wavefront6targetE1EEEvT1_,comdat
.Lfunc_end3078:
	.size	_ZN7rocprim17ROCPRIM_400000_NS6detail17trampoline_kernelINS0_14default_configENS1_25partition_config_selectorILNS1_17partition_subalgoE1EtNS0_10empty_typeEbEEZZNS1_14partition_implILS5_1ELb0ES3_jN6thrust23THRUST_200600_302600_NS6detail15normal_iteratorINSA_10device_ptrItEEEEPS6_NSA_18transform_iteratorI7is_evenItESF_NSA_11use_defaultESK_EENS0_5tupleIJNSA_16discard_iteratorISK_EESO_EEENSM_IJSG_SG_EEES6_PlJS6_EEE10hipError_tPvRmT3_T4_T5_T6_T7_T9_mT8_P12ihipStream_tbDpT10_ENKUlT_T0_E_clISt17integral_constantIbLb1EES1B_EEDaS16_S17_EUlS16_E_NS1_11comp_targetILNS1_3genE3ELNS1_11target_archE908ELNS1_3gpuE7ELNS1_3repE0EEENS1_30default_config_static_selectorELNS0_4arch9wavefront6targetE1EEEvT1_, .Lfunc_end3078-_ZN7rocprim17ROCPRIM_400000_NS6detail17trampoline_kernelINS0_14default_configENS1_25partition_config_selectorILNS1_17partition_subalgoE1EtNS0_10empty_typeEbEEZZNS1_14partition_implILS5_1ELb0ES3_jN6thrust23THRUST_200600_302600_NS6detail15normal_iteratorINSA_10device_ptrItEEEEPS6_NSA_18transform_iteratorI7is_evenItESF_NSA_11use_defaultESK_EENS0_5tupleIJNSA_16discard_iteratorISK_EESO_EEENSM_IJSG_SG_EEES6_PlJS6_EEE10hipError_tPvRmT3_T4_T5_T6_T7_T9_mT8_P12ihipStream_tbDpT10_ENKUlT_T0_E_clISt17integral_constantIbLb1EES1B_EEDaS16_S17_EUlS16_E_NS1_11comp_targetILNS1_3genE3ELNS1_11target_archE908ELNS1_3gpuE7ELNS1_3repE0EEENS1_30default_config_static_selectorELNS0_4arch9wavefront6targetE1EEEvT1_
                                        ; -- End function
	.section	.AMDGPU.csdata,"",@progbits
; Kernel info:
; codeLenInByte = 0
; NumSgprs: 4
; NumVgprs: 0
; NumAgprs: 0
; TotalNumVgprs: 0
; ScratchSize: 0
; MemoryBound: 0
; FloatMode: 240
; IeeeMode: 1
; LDSByteSize: 0 bytes/workgroup (compile time only)
; SGPRBlocks: 0
; VGPRBlocks: 0
; NumSGPRsForWavesPerEU: 4
; NumVGPRsForWavesPerEU: 1
; AccumOffset: 4
; Occupancy: 8
; WaveLimiterHint : 0
; COMPUTE_PGM_RSRC2:SCRATCH_EN: 0
; COMPUTE_PGM_RSRC2:USER_SGPR: 6
; COMPUTE_PGM_RSRC2:TRAP_HANDLER: 0
; COMPUTE_PGM_RSRC2:TGID_X_EN: 1
; COMPUTE_PGM_RSRC2:TGID_Y_EN: 0
; COMPUTE_PGM_RSRC2:TGID_Z_EN: 0
; COMPUTE_PGM_RSRC2:TIDIG_COMP_CNT: 0
; COMPUTE_PGM_RSRC3_GFX90A:ACCUM_OFFSET: 0
; COMPUTE_PGM_RSRC3_GFX90A:TG_SPLIT: 0
	.section	.text._ZN7rocprim17ROCPRIM_400000_NS6detail17trampoline_kernelINS0_14default_configENS1_25partition_config_selectorILNS1_17partition_subalgoE1EtNS0_10empty_typeEbEEZZNS1_14partition_implILS5_1ELb0ES3_jN6thrust23THRUST_200600_302600_NS6detail15normal_iteratorINSA_10device_ptrItEEEEPS6_NSA_18transform_iteratorI7is_evenItESF_NSA_11use_defaultESK_EENS0_5tupleIJNSA_16discard_iteratorISK_EESO_EEENSM_IJSG_SG_EEES6_PlJS6_EEE10hipError_tPvRmT3_T4_T5_T6_T7_T9_mT8_P12ihipStream_tbDpT10_ENKUlT_T0_E_clISt17integral_constantIbLb1EES1B_EEDaS16_S17_EUlS16_E_NS1_11comp_targetILNS1_3genE2ELNS1_11target_archE906ELNS1_3gpuE6ELNS1_3repE0EEENS1_30default_config_static_selectorELNS0_4arch9wavefront6targetE1EEEvT1_,"axG",@progbits,_ZN7rocprim17ROCPRIM_400000_NS6detail17trampoline_kernelINS0_14default_configENS1_25partition_config_selectorILNS1_17partition_subalgoE1EtNS0_10empty_typeEbEEZZNS1_14partition_implILS5_1ELb0ES3_jN6thrust23THRUST_200600_302600_NS6detail15normal_iteratorINSA_10device_ptrItEEEEPS6_NSA_18transform_iteratorI7is_evenItESF_NSA_11use_defaultESK_EENS0_5tupleIJNSA_16discard_iteratorISK_EESO_EEENSM_IJSG_SG_EEES6_PlJS6_EEE10hipError_tPvRmT3_T4_T5_T6_T7_T9_mT8_P12ihipStream_tbDpT10_ENKUlT_T0_E_clISt17integral_constantIbLb1EES1B_EEDaS16_S17_EUlS16_E_NS1_11comp_targetILNS1_3genE2ELNS1_11target_archE906ELNS1_3gpuE6ELNS1_3repE0EEENS1_30default_config_static_selectorELNS0_4arch9wavefront6targetE1EEEvT1_,comdat
	.protected	_ZN7rocprim17ROCPRIM_400000_NS6detail17trampoline_kernelINS0_14default_configENS1_25partition_config_selectorILNS1_17partition_subalgoE1EtNS0_10empty_typeEbEEZZNS1_14partition_implILS5_1ELb0ES3_jN6thrust23THRUST_200600_302600_NS6detail15normal_iteratorINSA_10device_ptrItEEEEPS6_NSA_18transform_iteratorI7is_evenItESF_NSA_11use_defaultESK_EENS0_5tupleIJNSA_16discard_iteratorISK_EESO_EEENSM_IJSG_SG_EEES6_PlJS6_EEE10hipError_tPvRmT3_T4_T5_T6_T7_T9_mT8_P12ihipStream_tbDpT10_ENKUlT_T0_E_clISt17integral_constantIbLb1EES1B_EEDaS16_S17_EUlS16_E_NS1_11comp_targetILNS1_3genE2ELNS1_11target_archE906ELNS1_3gpuE6ELNS1_3repE0EEENS1_30default_config_static_selectorELNS0_4arch9wavefront6targetE1EEEvT1_ ; -- Begin function _ZN7rocprim17ROCPRIM_400000_NS6detail17trampoline_kernelINS0_14default_configENS1_25partition_config_selectorILNS1_17partition_subalgoE1EtNS0_10empty_typeEbEEZZNS1_14partition_implILS5_1ELb0ES3_jN6thrust23THRUST_200600_302600_NS6detail15normal_iteratorINSA_10device_ptrItEEEEPS6_NSA_18transform_iteratorI7is_evenItESF_NSA_11use_defaultESK_EENS0_5tupleIJNSA_16discard_iteratorISK_EESO_EEENSM_IJSG_SG_EEES6_PlJS6_EEE10hipError_tPvRmT3_T4_T5_T6_T7_T9_mT8_P12ihipStream_tbDpT10_ENKUlT_T0_E_clISt17integral_constantIbLb1EES1B_EEDaS16_S17_EUlS16_E_NS1_11comp_targetILNS1_3genE2ELNS1_11target_archE906ELNS1_3gpuE6ELNS1_3repE0EEENS1_30default_config_static_selectorELNS0_4arch9wavefront6targetE1EEEvT1_
	.globl	_ZN7rocprim17ROCPRIM_400000_NS6detail17trampoline_kernelINS0_14default_configENS1_25partition_config_selectorILNS1_17partition_subalgoE1EtNS0_10empty_typeEbEEZZNS1_14partition_implILS5_1ELb0ES3_jN6thrust23THRUST_200600_302600_NS6detail15normal_iteratorINSA_10device_ptrItEEEEPS6_NSA_18transform_iteratorI7is_evenItESF_NSA_11use_defaultESK_EENS0_5tupleIJNSA_16discard_iteratorISK_EESO_EEENSM_IJSG_SG_EEES6_PlJS6_EEE10hipError_tPvRmT3_T4_T5_T6_T7_T9_mT8_P12ihipStream_tbDpT10_ENKUlT_T0_E_clISt17integral_constantIbLb1EES1B_EEDaS16_S17_EUlS16_E_NS1_11comp_targetILNS1_3genE2ELNS1_11target_archE906ELNS1_3gpuE6ELNS1_3repE0EEENS1_30default_config_static_selectorELNS0_4arch9wavefront6targetE1EEEvT1_
	.p2align	8
	.type	_ZN7rocprim17ROCPRIM_400000_NS6detail17trampoline_kernelINS0_14default_configENS1_25partition_config_selectorILNS1_17partition_subalgoE1EtNS0_10empty_typeEbEEZZNS1_14partition_implILS5_1ELb0ES3_jN6thrust23THRUST_200600_302600_NS6detail15normal_iteratorINSA_10device_ptrItEEEEPS6_NSA_18transform_iteratorI7is_evenItESF_NSA_11use_defaultESK_EENS0_5tupleIJNSA_16discard_iteratorISK_EESO_EEENSM_IJSG_SG_EEES6_PlJS6_EEE10hipError_tPvRmT3_T4_T5_T6_T7_T9_mT8_P12ihipStream_tbDpT10_ENKUlT_T0_E_clISt17integral_constantIbLb1EES1B_EEDaS16_S17_EUlS16_E_NS1_11comp_targetILNS1_3genE2ELNS1_11target_archE906ELNS1_3gpuE6ELNS1_3repE0EEENS1_30default_config_static_selectorELNS0_4arch9wavefront6targetE1EEEvT1_,@function
_ZN7rocprim17ROCPRIM_400000_NS6detail17trampoline_kernelINS0_14default_configENS1_25partition_config_selectorILNS1_17partition_subalgoE1EtNS0_10empty_typeEbEEZZNS1_14partition_implILS5_1ELb0ES3_jN6thrust23THRUST_200600_302600_NS6detail15normal_iteratorINSA_10device_ptrItEEEEPS6_NSA_18transform_iteratorI7is_evenItESF_NSA_11use_defaultESK_EENS0_5tupleIJNSA_16discard_iteratorISK_EESO_EEENSM_IJSG_SG_EEES6_PlJS6_EEE10hipError_tPvRmT3_T4_T5_T6_T7_T9_mT8_P12ihipStream_tbDpT10_ENKUlT_T0_E_clISt17integral_constantIbLb1EES1B_EEDaS16_S17_EUlS16_E_NS1_11comp_targetILNS1_3genE2ELNS1_11target_archE906ELNS1_3gpuE6ELNS1_3repE0EEENS1_30default_config_static_selectorELNS0_4arch9wavefront6targetE1EEEvT1_: ; @_ZN7rocprim17ROCPRIM_400000_NS6detail17trampoline_kernelINS0_14default_configENS1_25partition_config_selectorILNS1_17partition_subalgoE1EtNS0_10empty_typeEbEEZZNS1_14partition_implILS5_1ELb0ES3_jN6thrust23THRUST_200600_302600_NS6detail15normal_iteratorINSA_10device_ptrItEEEEPS6_NSA_18transform_iteratorI7is_evenItESF_NSA_11use_defaultESK_EENS0_5tupleIJNSA_16discard_iteratorISK_EESO_EEENSM_IJSG_SG_EEES6_PlJS6_EEE10hipError_tPvRmT3_T4_T5_T6_T7_T9_mT8_P12ihipStream_tbDpT10_ENKUlT_T0_E_clISt17integral_constantIbLb1EES1B_EEDaS16_S17_EUlS16_E_NS1_11comp_targetILNS1_3genE2ELNS1_11target_archE906ELNS1_3gpuE6ELNS1_3repE0EEENS1_30default_config_static_selectorELNS0_4arch9wavefront6targetE1EEEvT1_
; %bb.0:
	.section	.rodata,"a",@progbits
	.p2align	6, 0x0
	.amdhsa_kernel _ZN7rocprim17ROCPRIM_400000_NS6detail17trampoline_kernelINS0_14default_configENS1_25partition_config_selectorILNS1_17partition_subalgoE1EtNS0_10empty_typeEbEEZZNS1_14partition_implILS5_1ELb0ES3_jN6thrust23THRUST_200600_302600_NS6detail15normal_iteratorINSA_10device_ptrItEEEEPS6_NSA_18transform_iteratorI7is_evenItESF_NSA_11use_defaultESK_EENS0_5tupleIJNSA_16discard_iteratorISK_EESO_EEENSM_IJSG_SG_EEES6_PlJS6_EEE10hipError_tPvRmT3_T4_T5_T6_T7_T9_mT8_P12ihipStream_tbDpT10_ENKUlT_T0_E_clISt17integral_constantIbLb1EES1B_EEDaS16_S17_EUlS16_E_NS1_11comp_targetILNS1_3genE2ELNS1_11target_archE906ELNS1_3gpuE6ELNS1_3repE0EEENS1_30default_config_static_selectorELNS0_4arch9wavefront6targetE1EEEvT1_
		.amdhsa_group_segment_fixed_size 0
		.amdhsa_private_segment_fixed_size 0
		.amdhsa_kernarg_size 160
		.amdhsa_user_sgpr_count 6
		.amdhsa_user_sgpr_private_segment_buffer 1
		.amdhsa_user_sgpr_dispatch_ptr 0
		.amdhsa_user_sgpr_queue_ptr 0
		.amdhsa_user_sgpr_kernarg_segment_ptr 1
		.amdhsa_user_sgpr_dispatch_id 0
		.amdhsa_user_sgpr_flat_scratch_init 0
		.amdhsa_user_sgpr_kernarg_preload_length 0
		.amdhsa_user_sgpr_kernarg_preload_offset 0
		.amdhsa_user_sgpr_private_segment_size 0
		.amdhsa_uses_dynamic_stack 0
		.amdhsa_system_sgpr_private_segment_wavefront_offset 0
		.amdhsa_system_sgpr_workgroup_id_x 1
		.amdhsa_system_sgpr_workgroup_id_y 0
		.amdhsa_system_sgpr_workgroup_id_z 0
		.amdhsa_system_sgpr_workgroup_info 0
		.amdhsa_system_vgpr_workitem_id 0
		.amdhsa_next_free_vgpr 1
		.amdhsa_next_free_sgpr 0
		.amdhsa_accum_offset 4
		.amdhsa_reserve_vcc 0
		.amdhsa_reserve_flat_scratch 0
		.amdhsa_float_round_mode_32 0
		.amdhsa_float_round_mode_16_64 0
		.amdhsa_float_denorm_mode_32 3
		.amdhsa_float_denorm_mode_16_64 3
		.amdhsa_dx10_clamp 1
		.amdhsa_ieee_mode 1
		.amdhsa_fp16_overflow 0
		.amdhsa_tg_split 0
		.amdhsa_exception_fp_ieee_invalid_op 0
		.amdhsa_exception_fp_denorm_src 0
		.amdhsa_exception_fp_ieee_div_zero 0
		.amdhsa_exception_fp_ieee_overflow 0
		.amdhsa_exception_fp_ieee_underflow 0
		.amdhsa_exception_fp_ieee_inexact 0
		.amdhsa_exception_int_div_zero 0
	.end_amdhsa_kernel
	.section	.text._ZN7rocprim17ROCPRIM_400000_NS6detail17trampoline_kernelINS0_14default_configENS1_25partition_config_selectorILNS1_17partition_subalgoE1EtNS0_10empty_typeEbEEZZNS1_14partition_implILS5_1ELb0ES3_jN6thrust23THRUST_200600_302600_NS6detail15normal_iteratorINSA_10device_ptrItEEEEPS6_NSA_18transform_iteratorI7is_evenItESF_NSA_11use_defaultESK_EENS0_5tupleIJNSA_16discard_iteratorISK_EESO_EEENSM_IJSG_SG_EEES6_PlJS6_EEE10hipError_tPvRmT3_T4_T5_T6_T7_T9_mT8_P12ihipStream_tbDpT10_ENKUlT_T0_E_clISt17integral_constantIbLb1EES1B_EEDaS16_S17_EUlS16_E_NS1_11comp_targetILNS1_3genE2ELNS1_11target_archE906ELNS1_3gpuE6ELNS1_3repE0EEENS1_30default_config_static_selectorELNS0_4arch9wavefront6targetE1EEEvT1_,"axG",@progbits,_ZN7rocprim17ROCPRIM_400000_NS6detail17trampoline_kernelINS0_14default_configENS1_25partition_config_selectorILNS1_17partition_subalgoE1EtNS0_10empty_typeEbEEZZNS1_14partition_implILS5_1ELb0ES3_jN6thrust23THRUST_200600_302600_NS6detail15normal_iteratorINSA_10device_ptrItEEEEPS6_NSA_18transform_iteratorI7is_evenItESF_NSA_11use_defaultESK_EENS0_5tupleIJNSA_16discard_iteratorISK_EESO_EEENSM_IJSG_SG_EEES6_PlJS6_EEE10hipError_tPvRmT3_T4_T5_T6_T7_T9_mT8_P12ihipStream_tbDpT10_ENKUlT_T0_E_clISt17integral_constantIbLb1EES1B_EEDaS16_S17_EUlS16_E_NS1_11comp_targetILNS1_3genE2ELNS1_11target_archE906ELNS1_3gpuE6ELNS1_3repE0EEENS1_30default_config_static_selectorELNS0_4arch9wavefront6targetE1EEEvT1_,comdat
.Lfunc_end3079:
	.size	_ZN7rocprim17ROCPRIM_400000_NS6detail17trampoline_kernelINS0_14default_configENS1_25partition_config_selectorILNS1_17partition_subalgoE1EtNS0_10empty_typeEbEEZZNS1_14partition_implILS5_1ELb0ES3_jN6thrust23THRUST_200600_302600_NS6detail15normal_iteratorINSA_10device_ptrItEEEEPS6_NSA_18transform_iteratorI7is_evenItESF_NSA_11use_defaultESK_EENS0_5tupleIJNSA_16discard_iteratorISK_EESO_EEENSM_IJSG_SG_EEES6_PlJS6_EEE10hipError_tPvRmT3_T4_T5_T6_T7_T9_mT8_P12ihipStream_tbDpT10_ENKUlT_T0_E_clISt17integral_constantIbLb1EES1B_EEDaS16_S17_EUlS16_E_NS1_11comp_targetILNS1_3genE2ELNS1_11target_archE906ELNS1_3gpuE6ELNS1_3repE0EEENS1_30default_config_static_selectorELNS0_4arch9wavefront6targetE1EEEvT1_, .Lfunc_end3079-_ZN7rocprim17ROCPRIM_400000_NS6detail17trampoline_kernelINS0_14default_configENS1_25partition_config_selectorILNS1_17partition_subalgoE1EtNS0_10empty_typeEbEEZZNS1_14partition_implILS5_1ELb0ES3_jN6thrust23THRUST_200600_302600_NS6detail15normal_iteratorINSA_10device_ptrItEEEEPS6_NSA_18transform_iteratorI7is_evenItESF_NSA_11use_defaultESK_EENS0_5tupleIJNSA_16discard_iteratorISK_EESO_EEENSM_IJSG_SG_EEES6_PlJS6_EEE10hipError_tPvRmT3_T4_T5_T6_T7_T9_mT8_P12ihipStream_tbDpT10_ENKUlT_T0_E_clISt17integral_constantIbLb1EES1B_EEDaS16_S17_EUlS16_E_NS1_11comp_targetILNS1_3genE2ELNS1_11target_archE906ELNS1_3gpuE6ELNS1_3repE0EEENS1_30default_config_static_selectorELNS0_4arch9wavefront6targetE1EEEvT1_
                                        ; -- End function
	.section	.AMDGPU.csdata,"",@progbits
; Kernel info:
; codeLenInByte = 0
; NumSgprs: 4
; NumVgprs: 0
; NumAgprs: 0
; TotalNumVgprs: 0
; ScratchSize: 0
; MemoryBound: 0
; FloatMode: 240
; IeeeMode: 1
; LDSByteSize: 0 bytes/workgroup (compile time only)
; SGPRBlocks: 0
; VGPRBlocks: 0
; NumSGPRsForWavesPerEU: 4
; NumVGPRsForWavesPerEU: 1
; AccumOffset: 4
; Occupancy: 8
; WaveLimiterHint : 0
; COMPUTE_PGM_RSRC2:SCRATCH_EN: 0
; COMPUTE_PGM_RSRC2:USER_SGPR: 6
; COMPUTE_PGM_RSRC2:TRAP_HANDLER: 0
; COMPUTE_PGM_RSRC2:TGID_X_EN: 1
; COMPUTE_PGM_RSRC2:TGID_Y_EN: 0
; COMPUTE_PGM_RSRC2:TGID_Z_EN: 0
; COMPUTE_PGM_RSRC2:TIDIG_COMP_CNT: 0
; COMPUTE_PGM_RSRC3_GFX90A:ACCUM_OFFSET: 0
; COMPUTE_PGM_RSRC3_GFX90A:TG_SPLIT: 0
	.section	.text._ZN7rocprim17ROCPRIM_400000_NS6detail17trampoline_kernelINS0_14default_configENS1_25partition_config_selectorILNS1_17partition_subalgoE1EtNS0_10empty_typeEbEEZZNS1_14partition_implILS5_1ELb0ES3_jN6thrust23THRUST_200600_302600_NS6detail15normal_iteratorINSA_10device_ptrItEEEEPS6_NSA_18transform_iteratorI7is_evenItESF_NSA_11use_defaultESK_EENS0_5tupleIJNSA_16discard_iteratorISK_EESO_EEENSM_IJSG_SG_EEES6_PlJS6_EEE10hipError_tPvRmT3_T4_T5_T6_T7_T9_mT8_P12ihipStream_tbDpT10_ENKUlT_T0_E_clISt17integral_constantIbLb1EES1B_EEDaS16_S17_EUlS16_E_NS1_11comp_targetILNS1_3genE10ELNS1_11target_archE1200ELNS1_3gpuE4ELNS1_3repE0EEENS1_30default_config_static_selectorELNS0_4arch9wavefront6targetE1EEEvT1_,"axG",@progbits,_ZN7rocprim17ROCPRIM_400000_NS6detail17trampoline_kernelINS0_14default_configENS1_25partition_config_selectorILNS1_17partition_subalgoE1EtNS0_10empty_typeEbEEZZNS1_14partition_implILS5_1ELb0ES3_jN6thrust23THRUST_200600_302600_NS6detail15normal_iteratorINSA_10device_ptrItEEEEPS6_NSA_18transform_iteratorI7is_evenItESF_NSA_11use_defaultESK_EENS0_5tupleIJNSA_16discard_iteratorISK_EESO_EEENSM_IJSG_SG_EEES6_PlJS6_EEE10hipError_tPvRmT3_T4_T5_T6_T7_T9_mT8_P12ihipStream_tbDpT10_ENKUlT_T0_E_clISt17integral_constantIbLb1EES1B_EEDaS16_S17_EUlS16_E_NS1_11comp_targetILNS1_3genE10ELNS1_11target_archE1200ELNS1_3gpuE4ELNS1_3repE0EEENS1_30default_config_static_selectorELNS0_4arch9wavefront6targetE1EEEvT1_,comdat
	.protected	_ZN7rocprim17ROCPRIM_400000_NS6detail17trampoline_kernelINS0_14default_configENS1_25partition_config_selectorILNS1_17partition_subalgoE1EtNS0_10empty_typeEbEEZZNS1_14partition_implILS5_1ELb0ES3_jN6thrust23THRUST_200600_302600_NS6detail15normal_iteratorINSA_10device_ptrItEEEEPS6_NSA_18transform_iteratorI7is_evenItESF_NSA_11use_defaultESK_EENS0_5tupleIJNSA_16discard_iteratorISK_EESO_EEENSM_IJSG_SG_EEES6_PlJS6_EEE10hipError_tPvRmT3_T4_T5_T6_T7_T9_mT8_P12ihipStream_tbDpT10_ENKUlT_T0_E_clISt17integral_constantIbLb1EES1B_EEDaS16_S17_EUlS16_E_NS1_11comp_targetILNS1_3genE10ELNS1_11target_archE1200ELNS1_3gpuE4ELNS1_3repE0EEENS1_30default_config_static_selectorELNS0_4arch9wavefront6targetE1EEEvT1_ ; -- Begin function _ZN7rocprim17ROCPRIM_400000_NS6detail17trampoline_kernelINS0_14default_configENS1_25partition_config_selectorILNS1_17partition_subalgoE1EtNS0_10empty_typeEbEEZZNS1_14partition_implILS5_1ELb0ES3_jN6thrust23THRUST_200600_302600_NS6detail15normal_iteratorINSA_10device_ptrItEEEEPS6_NSA_18transform_iteratorI7is_evenItESF_NSA_11use_defaultESK_EENS0_5tupleIJNSA_16discard_iteratorISK_EESO_EEENSM_IJSG_SG_EEES6_PlJS6_EEE10hipError_tPvRmT3_T4_T5_T6_T7_T9_mT8_P12ihipStream_tbDpT10_ENKUlT_T0_E_clISt17integral_constantIbLb1EES1B_EEDaS16_S17_EUlS16_E_NS1_11comp_targetILNS1_3genE10ELNS1_11target_archE1200ELNS1_3gpuE4ELNS1_3repE0EEENS1_30default_config_static_selectorELNS0_4arch9wavefront6targetE1EEEvT1_
	.globl	_ZN7rocprim17ROCPRIM_400000_NS6detail17trampoline_kernelINS0_14default_configENS1_25partition_config_selectorILNS1_17partition_subalgoE1EtNS0_10empty_typeEbEEZZNS1_14partition_implILS5_1ELb0ES3_jN6thrust23THRUST_200600_302600_NS6detail15normal_iteratorINSA_10device_ptrItEEEEPS6_NSA_18transform_iteratorI7is_evenItESF_NSA_11use_defaultESK_EENS0_5tupleIJNSA_16discard_iteratorISK_EESO_EEENSM_IJSG_SG_EEES6_PlJS6_EEE10hipError_tPvRmT3_T4_T5_T6_T7_T9_mT8_P12ihipStream_tbDpT10_ENKUlT_T0_E_clISt17integral_constantIbLb1EES1B_EEDaS16_S17_EUlS16_E_NS1_11comp_targetILNS1_3genE10ELNS1_11target_archE1200ELNS1_3gpuE4ELNS1_3repE0EEENS1_30default_config_static_selectorELNS0_4arch9wavefront6targetE1EEEvT1_
	.p2align	8
	.type	_ZN7rocprim17ROCPRIM_400000_NS6detail17trampoline_kernelINS0_14default_configENS1_25partition_config_selectorILNS1_17partition_subalgoE1EtNS0_10empty_typeEbEEZZNS1_14partition_implILS5_1ELb0ES3_jN6thrust23THRUST_200600_302600_NS6detail15normal_iteratorINSA_10device_ptrItEEEEPS6_NSA_18transform_iteratorI7is_evenItESF_NSA_11use_defaultESK_EENS0_5tupleIJNSA_16discard_iteratorISK_EESO_EEENSM_IJSG_SG_EEES6_PlJS6_EEE10hipError_tPvRmT3_T4_T5_T6_T7_T9_mT8_P12ihipStream_tbDpT10_ENKUlT_T0_E_clISt17integral_constantIbLb1EES1B_EEDaS16_S17_EUlS16_E_NS1_11comp_targetILNS1_3genE10ELNS1_11target_archE1200ELNS1_3gpuE4ELNS1_3repE0EEENS1_30default_config_static_selectorELNS0_4arch9wavefront6targetE1EEEvT1_,@function
_ZN7rocprim17ROCPRIM_400000_NS6detail17trampoline_kernelINS0_14default_configENS1_25partition_config_selectorILNS1_17partition_subalgoE1EtNS0_10empty_typeEbEEZZNS1_14partition_implILS5_1ELb0ES3_jN6thrust23THRUST_200600_302600_NS6detail15normal_iteratorINSA_10device_ptrItEEEEPS6_NSA_18transform_iteratorI7is_evenItESF_NSA_11use_defaultESK_EENS0_5tupleIJNSA_16discard_iteratorISK_EESO_EEENSM_IJSG_SG_EEES6_PlJS6_EEE10hipError_tPvRmT3_T4_T5_T6_T7_T9_mT8_P12ihipStream_tbDpT10_ENKUlT_T0_E_clISt17integral_constantIbLb1EES1B_EEDaS16_S17_EUlS16_E_NS1_11comp_targetILNS1_3genE10ELNS1_11target_archE1200ELNS1_3gpuE4ELNS1_3repE0EEENS1_30default_config_static_selectorELNS0_4arch9wavefront6targetE1EEEvT1_: ; @_ZN7rocprim17ROCPRIM_400000_NS6detail17trampoline_kernelINS0_14default_configENS1_25partition_config_selectorILNS1_17partition_subalgoE1EtNS0_10empty_typeEbEEZZNS1_14partition_implILS5_1ELb0ES3_jN6thrust23THRUST_200600_302600_NS6detail15normal_iteratorINSA_10device_ptrItEEEEPS6_NSA_18transform_iteratorI7is_evenItESF_NSA_11use_defaultESK_EENS0_5tupleIJNSA_16discard_iteratorISK_EESO_EEENSM_IJSG_SG_EEES6_PlJS6_EEE10hipError_tPvRmT3_T4_T5_T6_T7_T9_mT8_P12ihipStream_tbDpT10_ENKUlT_T0_E_clISt17integral_constantIbLb1EES1B_EEDaS16_S17_EUlS16_E_NS1_11comp_targetILNS1_3genE10ELNS1_11target_archE1200ELNS1_3gpuE4ELNS1_3repE0EEENS1_30default_config_static_selectorELNS0_4arch9wavefront6targetE1EEEvT1_
; %bb.0:
	.section	.rodata,"a",@progbits
	.p2align	6, 0x0
	.amdhsa_kernel _ZN7rocprim17ROCPRIM_400000_NS6detail17trampoline_kernelINS0_14default_configENS1_25partition_config_selectorILNS1_17partition_subalgoE1EtNS0_10empty_typeEbEEZZNS1_14partition_implILS5_1ELb0ES3_jN6thrust23THRUST_200600_302600_NS6detail15normal_iteratorINSA_10device_ptrItEEEEPS6_NSA_18transform_iteratorI7is_evenItESF_NSA_11use_defaultESK_EENS0_5tupleIJNSA_16discard_iteratorISK_EESO_EEENSM_IJSG_SG_EEES6_PlJS6_EEE10hipError_tPvRmT3_T4_T5_T6_T7_T9_mT8_P12ihipStream_tbDpT10_ENKUlT_T0_E_clISt17integral_constantIbLb1EES1B_EEDaS16_S17_EUlS16_E_NS1_11comp_targetILNS1_3genE10ELNS1_11target_archE1200ELNS1_3gpuE4ELNS1_3repE0EEENS1_30default_config_static_selectorELNS0_4arch9wavefront6targetE1EEEvT1_
		.amdhsa_group_segment_fixed_size 0
		.amdhsa_private_segment_fixed_size 0
		.amdhsa_kernarg_size 160
		.amdhsa_user_sgpr_count 6
		.amdhsa_user_sgpr_private_segment_buffer 1
		.amdhsa_user_sgpr_dispatch_ptr 0
		.amdhsa_user_sgpr_queue_ptr 0
		.amdhsa_user_sgpr_kernarg_segment_ptr 1
		.amdhsa_user_sgpr_dispatch_id 0
		.amdhsa_user_sgpr_flat_scratch_init 0
		.amdhsa_user_sgpr_kernarg_preload_length 0
		.amdhsa_user_sgpr_kernarg_preload_offset 0
		.amdhsa_user_sgpr_private_segment_size 0
		.amdhsa_uses_dynamic_stack 0
		.amdhsa_system_sgpr_private_segment_wavefront_offset 0
		.amdhsa_system_sgpr_workgroup_id_x 1
		.amdhsa_system_sgpr_workgroup_id_y 0
		.amdhsa_system_sgpr_workgroup_id_z 0
		.amdhsa_system_sgpr_workgroup_info 0
		.amdhsa_system_vgpr_workitem_id 0
		.amdhsa_next_free_vgpr 1
		.amdhsa_next_free_sgpr 0
		.amdhsa_accum_offset 4
		.amdhsa_reserve_vcc 0
		.amdhsa_reserve_flat_scratch 0
		.amdhsa_float_round_mode_32 0
		.amdhsa_float_round_mode_16_64 0
		.amdhsa_float_denorm_mode_32 3
		.amdhsa_float_denorm_mode_16_64 3
		.amdhsa_dx10_clamp 1
		.amdhsa_ieee_mode 1
		.amdhsa_fp16_overflow 0
		.amdhsa_tg_split 0
		.amdhsa_exception_fp_ieee_invalid_op 0
		.amdhsa_exception_fp_denorm_src 0
		.amdhsa_exception_fp_ieee_div_zero 0
		.amdhsa_exception_fp_ieee_overflow 0
		.amdhsa_exception_fp_ieee_underflow 0
		.amdhsa_exception_fp_ieee_inexact 0
		.amdhsa_exception_int_div_zero 0
	.end_amdhsa_kernel
	.section	.text._ZN7rocprim17ROCPRIM_400000_NS6detail17trampoline_kernelINS0_14default_configENS1_25partition_config_selectorILNS1_17partition_subalgoE1EtNS0_10empty_typeEbEEZZNS1_14partition_implILS5_1ELb0ES3_jN6thrust23THRUST_200600_302600_NS6detail15normal_iteratorINSA_10device_ptrItEEEEPS6_NSA_18transform_iteratorI7is_evenItESF_NSA_11use_defaultESK_EENS0_5tupleIJNSA_16discard_iteratorISK_EESO_EEENSM_IJSG_SG_EEES6_PlJS6_EEE10hipError_tPvRmT3_T4_T5_T6_T7_T9_mT8_P12ihipStream_tbDpT10_ENKUlT_T0_E_clISt17integral_constantIbLb1EES1B_EEDaS16_S17_EUlS16_E_NS1_11comp_targetILNS1_3genE10ELNS1_11target_archE1200ELNS1_3gpuE4ELNS1_3repE0EEENS1_30default_config_static_selectorELNS0_4arch9wavefront6targetE1EEEvT1_,"axG",@progbits,_ZN7rocprim17ROCPRIM_400000_NS6detail17trampoline_kernelINS0_14default_configENS1_25partition_config_selectorILNS1_17partition_subalgoE1EtNS0_10empty_typeEbEEZZNS1_14partition_implILS5_1ELb0ES3_jN6thrust23THRUST_200600_302600_NS6detail15normal_iteratorINSA_10device_ptrItEEEEPS6_NSA_18transform_iteratorI7is_evenItESF_NSA_11use_defaultESK_EENS0_5tupleIJNSA_16discard_iteratorISK_EESO_EEENSM_IJSG_SG_EEES6_PlJS6_EEE10hipError_tPvRmT3_T4_T5_T6_T7_T9_mT8_P12ihipStream_tbDpT10_ENKUlT_T0_E_clISt17integral_constantIbLb1EES1B_EEDaS16_S17_EUlS16_E_NS1_11comp_targetILNS1_3genE10ELNS1_11target_archE1200ELNS1_3gpuE4ELNS1_3repE0EEENS1_30default_config_static_selectorELNS0_4arch9wavefront6targetE1EEEvT1_,comdat
.Lfunc_end3080:
	.size	_ZN7rocprim17ROCPRIM_400000_NS6detail17trampoline_kernelINS0_14default_configENS1_25partition_config_selectorILNS1_17partition_subalgoE1EtNS0_10empty_typeEbEEZZNS1_14partition_implILS5_1ELb0ES3_jN6thrust23THRUST_200600_302600_NS6detail15normal_iteratorINSA_10device_ptrItEEEEPS6_NSA_18transform_iteratorI7is_evenItESF_NSA_11use_defaultESK_EENS0_5tupleIJNSA_16discard_iteratorISK_EESO_EEENSM_IJSG_SG_EEES6_PlJS6_EEE10hipError_tPvRmT3_T4_T5_T6_T7_T9_mT8_P12ihipStream_tbDpT10_ENKUlT_T0_E_clISt17integral_constantIbLb1EES1B_EEDaS16_S17_EUlS16_E_NS1_11comp_targetILNS1_3genE10ELNS1_11target_archE1200ELNS1_3gpuE4ELNS1_3repE0EEENS1_30default_config_static_selectorELNS0_4arch9wavefront6targetE1EEEvT1_, .Lfunc_end3080-_ZN7rocprim17ROCPRIM_400000_NS6detail17trampoline_kernelINS0_14default_configENS1_25partition_config_selectorILNS1_17partition_subalgoE1EtNS0_10empty_typeEbEEZZNS1_14partition_implILS5_1ELb0ES3_jN6thrust23THRUST_200600_302600_NS6detail15normal_iteratorINSA_10device_ptrItEEEEPS6_NSA_18transform_iteratorI7is_evenItESF_NSA_11use_defaultESK_EENS0_5tupleIJNSA_16discard_iteratorISK_EESO_EEENSM_IJSG_SG_EEES6_PlJS6_EEE10hipError_tPvRmT3_T4_T5_T6_T7_T9_mT8_P12ihipStream_tbDpT10_ENKUlT_T0_E_clISt17integral_constantIbLb1EES1B_EEDaS16_S17_EUlS16_E_NS1_11comp_targetILNS1_3genE10ELNS1_11target_archE1200ELNS1_3gpuE4ELNS1_3repE0EEENS1_30default_config_static_selectorELNS0_4arch9wavefront6targetE1EEEvT1_
                                        ; -- End function
	.section	.AMDGPU.csdata,"",@progbits
; Kernel info:
; codeLenInByte = 0
; NumSgprs: 4
; NumVgprs: 0
; NumAgprs: 0
; TotalNumVgprs: 0
; ScratchSize: 0
; MemoryBound: 0
; FloatMode: 240
; IeeeMode: 1
; LDSByteSize: 0 bytes/workgroup (compile time only)
; SGPRBlocks: 0
; VGPRBlocks: 0
; NumSGPRsForWavesPerEU: 4
; NumVGPRsForWavesPerEU: 1
; AccumOffset: 4
; Occupancy: 8
; WaveLimiterHint : 0
; COMPUTE_PGM_RSRC2:SCRATCH_EN: 0
; COMPUTE_PGM_RSRC2:USER_SGPR: 6
; COMPUTE_PGM_RSRC2:TRAP_HANDLER: 0
; COMPUTE_PGM_RSRC2:TGID_X_EN: 1
; COMPUTE_PGM_RSRC2:TGID_Y_EN: 0
; COMPUTE_PGM_RSRC2:TGID_Z_EN: 0
; COMPUTE_PGM_RSRC2:TIDIG_COMP_CNT: 0
; COMPUTE_PGM_RSRC3_GFX90A:ACCUM_OFFSET: 0
; COMPUTE_PGM_RSRC3_GFX90A:TG_SPLIT: 0
	.section	.text._ZN7rocprim17ROCPRIM_400000_NS6detail17trampoline_kernelINS0_14default_configENS1_25partition_config_selectorILNS1_17partition_subalgoE1EtNS0_10empty_typeEbEEZZNS1_14partition_implILS5_1ELb0ES3_jN6thrust23THRUST_200600_302600_NS6detail15normal_iteratorINSA_10device_ptrItEEEEPS6_NSA_18transform_iteratorI7is_evenItESF_NSA_11use_defaultESK_EENS0_5tupleIJNSA_16discard_iteratorISK_EESO_EEENSM_IJSG_SG_EEES6_PlJS6_EEE10hipError_tPvRmT3_T4_T5_T6_T7_T9_mT8_P12ihipStream_tbDpT10_ENKUlT_T0_E_clISt17integral_constantIbLb1EES1B_EEDaS16_S17_EUlS16_E_NS1_11comp_targetILNS1_3genE9ELNS1_11target_archE1100ELNS1_3gpuE3ELNS1_3repE0EEENS1_30default_config_static_selectorELNS0_4arch9wavefront6targetE1EEEvT1_,"axG",@progbits,_ZN7rocprim17ROCPRIM_400000_NS6detail17trampoline_kernelINS0_14default_configENS1_25partition_config_selectorILNS1_17partition_subalgoE1EtNS0_10empty_typeEbEEZZNS1_14partition_implILS5_1ELb0ES3_jN6thrust23THRUST_200600_302600_NS6detail15normal_iteratorINSA_10device_ptrItEEEEPS6_NSA_18transform_iteratorI7is_evenItESF_NSA_11use_defaultESK_EENS0_5tupleIJNSA_16discard_iteratorISK_EESO_EEENSM_IJSG_SG_EEES6_PlJS6_EEE10hipError_tPvRmT3_T4_T5_T6_T7_T9_mT8_P12ihipStream_tbDpT10_ENKUlT_T0_E_clISt17integral_constantIbLb1EES1B_EEDaS16_S17_EUlS16_E_NS1_11comp_targetILNS1_3genE9ELNS1_11target_archE1100ELNS1_3gpuE3ELNS1_3repE0EEENS1_30default_config_static_selectorELNS0_4arch9wavefront6targetE1EEEvT1_,comdat
	.protected	_ZN7rocprim17ROCPRIM_400000_NS6detail17trampoline_kernelINS0_14default_configENS1_25partition_config_selectorILNS1_17partition_subalgoE1EtNS0_10empty_typeEbEEZZNS1_14partition_implILS5_1ELb0ES3_jN6thrust23THRUST_200600_302600_NS6detail15normal_iteratorINSA_10device_ptrItEEEEPS6_NSA_18transform_iteratorI7is_evenItESF_NSA_11use_defaultESK_EENS0_5tupleIJNSA_16discard_iteratorISK_EESO_EEENSM_IJSG_SG_EEES6_PlJS6_EEE10hipError_tPvRmT3_T4_T5_T6_T7_T9_mT8_P12ihipStream_tbDpT10_ENKUlT_T0_E_clISt17integral_constantIbLb1EES1B_EEDaS16_S17_EUlS16_E_NS1_11comp_targetILNS1_3genE9ELNS1_11target_archE1100ELNS1_3gpuE3ELNS1_3repE0EEENS1_30default_config_static_selectorELNS0_4arch9wavefront6targetE1EEEvT1_ ; -- Begin function _ZN7rocprim17ROCPRIM_400000_NS6detail17trampoline_kernelINS0_14default_configENS1_25partition_config_selectorILNS1_17partition_subalgoE1EtNS0_10empty_typeEbEEZZNS1_14partition_implILS5_1ELb0ES3_jN6thrust23THRUST_200600_302600_NS6detail15normal_iteratorINSA_10device_ptrItEEEEPS6_NSA_18transform_iteratorI7is_evenItESF_NSA_11use_defaultESK_EENS0_5tupleIJNSA_16discard_iteratorISK_EESO_EEENSM_IJSG_SG_EEES6_PlJS6_EEE10hipError_tPvRmT3_T4_T5_T6_T7_T9_mT8_P12ihipStream_tbDpT10_ENKUlT_T0_E_clISt17integral_constantIbLb1EES1B_EEDaS16_S17_EUlS16_E_NS1_11comp_targetILNS1_3genE9ELNS1_11target_archE1100ELNS1_3gpuE3ELNS1_3repE0EEENS1_30default_config_static_selectorELNS0_4arch9wavefront6targetE1EEEvT1_
	.globl	_ZN7rocprim17ROCPRIM_400000_NS6detail17trampoline_kernelINS0_14default_configENS1_25partition_config_selectorILNS1_17partition_subalgoE1EtNS0_10empty_typeEbEEZZNS1_14partition_implILS5_1ELb0ES3_jN6thrust23THRUST_200600_302600_NS6detail15normal_iteratorINSA_10device_ptrItEEEEPS6_NSA_18transform_iteratorI7is_evenItESF_NSA_11use_defaultESK_EENS0_5tupleIJNSA_16discard_iteratorISK_EESO_EEENSM_IJSG_SG_EEES6_PlJS6_EEE10hipError_tPvRmT3_T4_T5_T6_T7_T9_mT8_P12ihipStream_tbDpT10_ENKUlT_T0_E_clISt17integral_constantIbLb1EES1B_EEDaS16_S17_EUlS16_E_NS1_11comp_targetILNS1_3genE9ELNS1_11target_archE1100ELNS1_3gpuE3ELNS1_3repE0EEENS1_30default_config_static_selectorELNS0_4arch9wavefront6targetE1EEEvT1_
	.p2align	8
	.type	_ZN7rocprim17ROCPRIM_400000_NS6detail17trampoline_kernelINS0_14default_configENS1_25partition_config_selectorILNS1_17partition_subalgoE1EtNS0_10empty_typeEbEEZZNS1_14partition_implILS5_1ELb0ES3_jN6thrust23THRUST_200600_302600_NS6detail15normal_iteratorINSA_10device_ptrItEEEEPS6_NSA_18transform_iteratorI7is_evenItESF_NSA_11use_defaultESK_EENS0_5tupleIJNSA_16discard_iteratorISK_EESO_EEENSM_IJSG_SG_EEES6_PlJS6_EEE10hipError_tPvRmT3_T4_T5_T6_T7_T9_mT8_P12ihipStream_tbDpT10_ENKUlT_T0_E_clISt17integral_constantIbLb1EES1B_EEDaS16_S17_EUlS16_E_NS1_11comp_targetILNS1_3genE9ELNS1_11target_archE1100ELNS1_3gpuE3ELNS1_3repE0EEENS1_30default_config_static_selectorELNS0_4arch9wavefront6targetE1EEEvT1_,@function
_ZN7rocprim17ROCPRIM_400000_NS6detail17trampoline_kernelINS0_14default_configENS1_25partition_config_selectorILNS1_17partition_subalgoE1EtNS0_10empty_typeEbEEZZNS1_14partition_implILS5_1ELb0ES3_jN6thrust23THRUST_200600_302600_NS6detail15normal_iteratorINSA_10device_ptrItEEEEPS6_NSA_18transform_iteratorI7is_evenItESF_NSA_11use_defaultESK_EENS0_5tupleIJNSA_16discard_iteratorISK_EESO_EEENSM_IJSG_SG_EEES6_PlJS6_EEE10hipError_tPvRmT3_T4_T5_T6_T7_T9_mT8_P12ihipStream_tbDpT10_ENKUlT_T0_E_clISt17integral_constantIbLb1EES1B_EEDaS16_S17_EUlS16_E_NS1_11comp_targetILNS1_3genE9ELNS1_11target_archE1100ELNS1_3gpuE3ELNS1_3repE0EEENS1_30default_config_static_selectorELNS0_4arch9wavefront6targetE1EEEvT1_: ; @_ZN7rocprim17ROCPRIM_400000_NS6detail17trampoline_kernelINS0_14default_configENS1_25partition_config_selectorILNS1_17partition_subalgoE1EtNS0_10empty_typeEbEEZZNS1_14partition_implILS5_1ELb0ES3_jN6thrust23THRUST_200600_302600_NS6detail15normal_iteratorINSA_10device_ptrItEEEEPS6_NSA_18transform_iteratorI7is_evenItESF_NSA_11use_defaultESK_EENS0_5tupleIJNSA_16discard_iteratorISK_EESO_EEENSM_IJSG_SG_EEES6_PlJS6_EEE10hipError_tPvRmT3_T4_T5_T6_T7_T9_mT8_P12ihipStream_tbDpT10_ENKUlT_T0_E_clISt17integral_constantIbLb1EES1B_EEDaS16_S17_EUlS16_E_NS1_11comp_targetILNS1_3genE9ELNS1_11target_archE1100ELNS1_3gpuE3ELNS1_3repE0EEENS1_30default_config_static_selectorELNS0_4arch9wavefront6targetE1EEEvT1_
; %bb.0:
	.section	.rodata,"a",@progbits
	.p2align	6, 0x0
	.amdhsa_kernel _ZN7rocprim17ROCPRIM_400000_NS6detail17trampoline_kernelINS0_14default_configENS1_25partition_config_selectorILNS1_17partition_subalgoE1EtNS0_10empty_typeEbEEZZNS1_14partition_implILS5_1ELb0ES3_jN6thrust23THRUST_200600_302600_NS6detail15normal_iteratorINSA_10device_ptrItEEEEPS6_NSA_18transform_iteratorI7is_evenItESF_NSA_11use_defaultESK_EENS0_5tupleIJNSA_16discard_iteratorISK_EESO_EEENSM_IJSG_SG_EEES6_PlJS6_EEE10hipError_tPvRmT3_T4_T5_T6_T7_T9_mT8_P12ihipStream_tbDpT10_ENKUlT_T0_E_clISt17integral_constantIbLb1EES1B_EEDaS16_S17_EUlS16_E_NS1_11comp_targetILNS1_3genE9ELNS1_11target_archE1100ELNS1_3gpuE3ELNS1_3repE0EEENS1_30default_config_static_selectorELNS0_4arch9wavefront6targetE1EEEvT1_
		.amdhsa_group_segment_fixed_size 0
		.amdhsa_private_segment_fixed_size 0
		.amdhsa_kernarg_size 160
		.amdhsa_user_sgpr_count 6
		.amdhsa_user_sgpr_private_segment_buffer 1
		.amdhsa_user_sgpr_dispatch_ptr 0
		.amdhsa_user_sgpr_queue_ptr 0
		.amdhsa_user_sgpr_kernarg_segment_ptr 1
		.amdhsa_user_sgpr_dispatch_id 0
		.amdhsa_user_sgpr_flat_scratch_init 0
		.amdhsa_user_sgpr_kernarg_preload_length 0
		.amdhsa_user_sgpr_kernarg_preload_offset 0
		.amdhsa_user_sgpr_private_segment_size 0
		.amdhsa_uses_dynamic_stack 0
		.amdhsa_system_sgpr_private_segment_wavefront_offset 0
		.amdhsa_system_sgpr_workgroup_id_x 1
		.amdhsa_system_sgpr_workgroup_id_y 0
		.amdhsa_system_sgpr_workgroup_id_z 0
		.amdhsa_system_sgpr_workgroup_info 0
		.amdhsa_system_vgpr_workitem_id 0
		.amdhsa_next_free_vgpr 1
		.amdhsa_next_free_sgpr 0
		.amdhsa_accum_offset 4
		.amdhsa_reserve_vcc 0
		.amdhsa_reserve_flat_scratch 0
		.amdhsa_float_round_mode_32 0
		.amdhsa_float_round_mode_16_64 0
		.amdhsa_float_denorm_mode_32 3
		.amdhsa_float_denorm_mode_16_64 3
		.amdhsa_dx10_clamp 1
		.amdhsa_ieee_mode 1
		.amdhsa_fp16_overflow 0
		.amdhsa_tg_split 0
		.amdhsa_exception_fp_ieee_invalid_op 0
		.amdhsa_exception_fp_denorm_src 0
		.amdhsa_exception_fp_ieee_div_zero 0
		.amdhsa_exception_fp_ieee_overflow 0
		.amdhsa_exception_fp_ieee_underflow 0
		.amdhsa_exception_fp_ieee_inexact 0
		.amdhsa_exception_int_div_zero 0
	.end_amdhsa_kernel
	.section	.text._ZN7rocprim17ROCPRIM_400000_NS6detail17trampoline_kernelINS0_14default_configENS1_25partition_config_selectorILNS1_17partition_subalgoE1EtNS0_10empty_typeEbEEZZNS1_14partition_implILS5_1ELb0ES3_jN6thrust23THRUST_200600_302600_NS6detail15normal_iteratorINSA_10device_ptrItEEEEPS6_NSA_18transform_iteratorI7is_evenItESF_NSA_11use_defaultESK_EENS0_5tupleIJNSA_16discard_iteratorISK_EESO_EEENSM_IJSG_SG_EEES6_PlJS6_EEE10hipError_tPvRmT3_T4_T5_T6_T7_T9_mT8_P12ihipStream_tbDpT10_ENKUlT_T0_E_clISt17integral_constantIbLb1EES1B_EEDaS16_S17_EUlS16_E_NS1_11comp_targetILNS1_3genE9ELNS1_11target_archE1100ELNS1_3gpuE3ELNS1_3repE0EEENS1_30default_config_static_selectorELNS0_4arch9wavefront6targetE1EEEvT1_,"axG",@progbits,_ZN7rocprim17ROCPRIM_400000_NS6detail17trampoline_kernelINS0_14default_configENS1_25partition_config_selectorILNS1_17partition_subalgoE1EtNS0_10empty_typeEbEEZZNS1_14partition_implILS5_1ELb0ES3_jN6thrust23THRUST_200600_302600_NS6detail15normal_iteratorINSA_10device_ptrItEEEEPS6_NSA_18transform_iteratorI7is_evenItESF_NSA_11use_defaultESK_EENS0_5tupleIJNSA_16discard_iteratorISK_EESO_EEENSM_IJSG_SG_EEES6_PlJS6_EEE10hipError_tPvRmT3_T4_T5_T6_T7_T9_mT8_P12ihipStream_tbDpT10_ENKUlT_T0_E_clISt17integral_constantIbLb1EES1B_EEDaS16_S17_EUlS16_E_NS1_11comp_targetILNS1_3genE9ELNS1_11target_archE1100ELNS1_3gpuE3ELNS1_3repE0EEENS1_30default_config_static_selectorELNS0_4arch9wavefront6targetE1EEEvT1_,comdat
.Lfunc_end3081:
	.size	_ZN7rocprim17ROCPRIM_400000_NS6detail17trampoline_kernelINS0_14default_configENS1_25partition_config_selectorILNS1_17partition_subalgoE1EtNS0_10empty_typeEbEEZZNS1_14partition_implILS5_1ELb0ES3_jN6thrust23THRUST_200600_302600_NS6detail15normal_iteratorINSA_10device_ptrItEEEEPS6_NSA_18transform_iteratorI7is_evenItESF_NSA_11use_defaultESK_EENS0_5tupleIJNSA_16discard_iteratorISK_EESO_EEENSM_IJSG_SG_EEES6_PlJS6_EEE10hipError_tPvRmT3_T4_T5_T6_T7_T9_mT8_P12ihipStream_tbDpT10_ENKUlT_T0_E_clISt17integral_constantIbLb1EES1B_EEDaS16_S17_EUlS16_E_NS1_11comp_targetILNS1_3genE9ELNS1_11target_archE1100ELNS1_3gpuE3ELNS1_3repE0EEENS1_30default_config_static_selectorELNS0_4arch9wavefront6targetE1EEEvT1_, .Lfunc_end3081-_ZN7rocprim17ROCPRIM_400000_NS6detail17trampoline_kernelINS0_14default_configENS1_25partition_config_selectorILNS1_17partition_subalgoE1EtNS0_10empty_typeEbEEZZNS1_14partition_implILS5_1ELb0ES3_jN6thrust23THRUST_200600_302600_NS6detail15normal_iteratorINSA_10device_ptrItEEEEPS6_NSA_18transform_iteratorI7is_evenItESF_NSA_11use_defaultESK_EENS0_5tupleIJNSA_16discard_iteratorISK_EESO_EEENSM_IJSG_SG_EEES6_PlJS6_EEE10hipError_tPvRmT3_T4_T5_T6_T7_T9_mT8_P12ihipStream_tbDpT10_ENKUlT_T0_E_clISt17integral_constantIbLb1EES1B_EEDaS16_S17_EUlS16_E_NS1_11comp_targetILNS1_3genE9ELNS1_11target_archE1100ELNS1_3gpuE3ELNS1_3repE0EEENS1_30default_config_static_selectorELNS0_4arch9wavefront6targetE1EEEvT1_
                                        ; -- End function
	.section	.AMDGPU.csdata,"",@progbits
; Kernel info:
; codeLenInByte = 0
; NumSgprs: 4
; NumVgprs: 0
; NumAgprs: 0
; TotalNumVgprs: 0
; ScratchSize: 0
; MemoryBound: 0
; FloatMode: 240
; IeeeMode: 1
; LDSByteSize: 0 bytes/workgroup (compile time only)
; SGPRBlocks: 0
; VGPRBlocks: 0
; NumSGPRsForWavesPerEU: 4
; NumVGPRsForWavesPerEU: 1
; AccumOffset: 4
; Occupancy: 8
; WaveLimiterHint : 0
; COMPUTE_PGM_RSRC2:SCRATCH_EN: 0
; COMPUTE_PGM_RSRC2:USER_SGPR: 6
; COMPUTE_PGM_RSRC2:TRAP_HANDLER: 0
; COMPUTE_PGM_RSRC2:TGID_X_EN: 1
; COMPUTE_PGM_RSRC2:TGID_Y_EN: 0
; COMPUTE_PGM_RSRC2:TGID_Z_EN: 0
; COMPUTE_PGM_RSRC2:TIDIG_COMP_CNT: 0
; COMPUTE_PGM_RSRC3_GFX90A:ACCUM_OFFSET: 0
; COMPUTE_PGM_RSRC3_GFX90A:TG_SPLIT: 0
	.section	.text._ZN7rocprim17ROCPRIM_400000_NS6detail17trampoline_kernelINS0_14default_configENS1_25partition_config_selectorILNS1_17partition_subalgoE1EtNS0_10empty_typeEbEEZZNS1_14partition_implILS5_1ELb0ES3_jN6thrust23THRUST_200600_302600_NS6detail15normal_iteratorINSA_10device_ptrItEEEEPS6_NSA_18transform_iteratorI7is_evenItESF_NSA_11use_defaultESK_EENS0_5tupleIJNSA_16discard_iteratorISK_EESO_EEENSM_IJSG_SG_EEES6_PlJS6_EEE10hipError_tPvRmT3_T4_T5_T6_T7_T9_mT8_P12ihipStream_tbDpT10_ENKUlT_T0_E_clISt17integral_constantIbLb1EES1B_EEDaS16_S17_EUlS16_E_NS1_11comp_targetILNS1_3genE8ELNS1_11target_archE1030ELNS1_3gpuE2ELNS1_3repE0EEENS1_30default_config_static_selectorELNS0_4arch9wavefront6targetE1EEEvT1_,"axG",@progbits,_ZN7rocprim17ROCPRIM_400000_NS6detail17trampoline_kernelINS0_14default_configENS1_25partition_config_selectorILNS1_17partition_subalgoE1EtNS0_10empty_typeEbEEZZNS1_14partition_implILS5_1ELb0ES3_jN6thrust23THRUST_200600_302600_NS6detail15normal_iteratorINSA_10device_ptrItEEEEPS6_NSA_18transform_iteratorI7is_evenItESF_NSA_11use_defaultESK_EENS0_5tupleIJNSA_16discard_iteratorISK_EESO_EEENSM_IJSG_SG_EEES6_PlJS6_EEE10hipError_tPvRmT3_T4_T5_T6_T7_T9_mT8_P12ihipStream_tbDpT10_ENKUlT_T0_E_clISt17integral_constantIbLb1EES1B_EEDaS16_S17_EUlS16_E_NS1_11comp_targetILNS1_3genE8ELNS1_11target_archE1030ELNS1_3gpuE2ELNS1_3repE0EEENS1_30default_config_static_selectorELNS0_4arch9wavefront6targetE1EEEvT1_,comdat
	.protected	_ZN7rocprim17ROCPRIM_400000_NS6detail17trampoline_kernelINS0_14default_configENS1_25partition_config_selectorILNS1_17partition_subalgoE1EtNS0_10empty_typeEbEEZZNS1_14partition_implILS5_1ELb0ES3_jN6thrust23THRUST_200600_302600_NS6detail15normal_iteratorINSA_10device_ptrItEEEEPS6_NSA_18transform_iteratorI7is_evenItESF_NSA_11use_defaultESK_EENS0_5tupleIJNSA_16discard_iteratorISK_EESO_EEENSM_IJSG_SG_EEES6_PlJS6_EEE10hipError_tPvRmT3_T4_T5_T6_T7_T9_mT8_P12ihipStream_tbDpT10_ENKUlT_T0_E_clISt17integral_constantIbLb1EES1B_EEDaS16_S17_EUlS16_E_NS1_11comp_targetILNS1_3genE8ELNS1_11target_archE1030ELNS1_3gpuE2ELNS1_3repE0EEENS1_30default_config_static_selectorELNS0_4arch9wavefront6targetE1EEEvT1_ ; -- Begin function _ZN7rocprim17ROCPRIM_400000_NS6detail17trampoline_kernelINS0_14default_configENS1_25partition_config_selectorILNS1_17partition_subalgoE1EtNS0_10empty_typeEbEEZZNS1_14partition_implILS5_1ELb0ES3_jN6thrust23THRUST_200600_302600_NS6detail15normal_iteratorINSA_10device_ptrItEEEEPS6_NSA_18transform_iteratorI7is_evenItESF_NSA_11use_defaultESK_EENS0_5tupleIJNSA_16discard_iteratorISK_EESO_EEENSM_IJSG_SG_EEES6_PlJS6_EEE10hipError_tPvRmT3_T4_T5_T6_T7_T9_mT8_P12ihipStream_tbDpT10_ENKUlT_T0_E_clISt17integral_constantIbLb1EES1B_EEDaS16_S17_EUlS16_E_NS1_11comp_targetILNS1_3genE8ELNS1_11target_archE1030ELNS1_3gpuE2ELNS1_3repE0EEENS1_30default_config_static_selectorELNS0_4arch9wavefront6targetE1EEEvT1_
	.globl	_ZN7rocprim17ROCPRIM_400000_NS6detail17trampoline_kernelINS0_14default_configENS1_25partition_config_selectorILNS1_17partition_subalgoE1EtNS0_10empty_typeEbEEZZNS1_14partition_implILS5_1ELb0ES3_jN6thrust23THRUST_200600_302600_NS6detail15normal_iteratorINSA_10device_ptrItEEEEPS6_NSA_18transform_iteratorI7is_evenItESF_NSA_11use_defaultESK_EENS0_5tupleIJNSA_16discard_iteratorISK_EESO_EEENSM_IJSG_SG_EEES6_PlJS6_EEE10hipError_tPvRmT3_T4_T5_T6_T7_T9_mT8_P12ihipStream_tbDpT10_ENKUlT_T0_E_clISt17integral_constantIbLb1EES1B_EEDaS16_S17_EUlS16_E_NS1_11comp_targetILNS1_3genE8ELNS1_11target_archE1030ELNS1_3gpuE2ELNS1_3repE0EEENS1_30default_config_static_selectorELNS0_4arch9wavefront6targetE1EEEvT1_
	.p2align	8
	.type	_ZN7rocprim17ROCPRIM_400000_NS6detail17trampoline_kernelINS0_14default_configENS1_25partition_config_selectorILNS1_17partition_subalgoE1EtNS0_10empty_typeEbEEZZNS1_14partition_implILS5_1ELb0ES3_jN6thrust23THRUST_200600_302600_NS6detail15normal_iteratorINSA_10device_ptrItEEEEPS6_NSA_18transform_iteratorI7is_evenItESF_NSA_11use_defaultESK_EENS0_5tupleIJNSA_16discard_iteratorISK_EESO_EEENSM_IJSG_SG_EEES6_PlJS6_EEE10hipError_tPvRmT3_T4_T5_T6_T7_T9_mT8_P12ihipStream_tbDpT10_ENKUlT_T0_E_clISt17integral_constantIbLb1EES1B_EEDaS16_S17_EUlS16_E_NS1_11comp_targetILNS1_3genE8ELNS1_11target_archE1030ELNS1_3gpuE2ELNS1_3repE0EEENS1_30default_config_static_selectorELNS0_4arch9wavefront6targetE1EEEvT1_,@function
_ZN7rocprim17ROCPRIM_400000_NS6detail17trampoline_kernelINS0_14default_configENS1_25partition_config_selectorILNS1_17partition_subalgoE1EtNS0_10empty_typeEbEEZZNS1_14partition_implILS5_1ELb0ES3_jN6thrust23THRUST_200600_302600_NS6detail15normal_iteratorINSA_10device_ptrItEEEEPS6_NSA_18transform_iteratorI7is_evenItESF_NSA_11use_defaultESK_EENS0_5tupleIJNSA_16discard_iteratorISK_EESO_EEENSM_IJSG_SG_EEES6_PlJS6_EEE10hipError_tPvRmT3_T4_T5_T6_T7_T9_mT8_P12ihipStream_tbDpT10_ENKUlT_T0_E_clISt17integral_constantIbLb1EES1B_EEDaS16_S17_EUlS16_E_NS1_11comp_targetILNS1_3genE8ELNS1_11target_archE1030ELNS1_3gpuE2ELNS1_3repE0EEENS1_30default_config_static_selectorELNS0_4arch9wavefront6targetE1EEEvT1_: ; @_ZN7rocprim17ROCPRIM_400000_NS6detail17trampoline_kernelINS0_14default_configENS1_25partition_config_selectorILNS1_17partition_subalgoE1EtNS0_10empty_typeEbEEZZNS1_14partition_implILS5_1ELb0ES3_jN6thrust23THRUST_200600_302600_NS6detail15normal_iteratorINSA_10device_ptrItEEEEPS6_NSA_18transform_iteratorI7is_evenItESF_NSA_11use_defaultESK_EENS0_5tupleIJNSA_16discard_iteratorISK_EESO_EEENSM_IJSG_SG_EEES6_PlJS6_EEE10hipError_tPvRmT3_T4_T5_T6_T7_T9_mT8_P12ihipStream_tbDpT10_ENKUlT_T0_E_clISt17integral_constantIbLb1EES1B_EEDaS16_S17_EUlS16_E_NS1_11comp_targetILNS1_3genE8ELNS1_11target_archE1030ELNS1_3gpuE2ELNS1_3repE0EEENS1_30default_config_static_selectorELNS0_4arch9wavefront6targetE1EEEvT1_
; %bb.0:
	.section	.rodata,"a",@progbits
	.p2align	6, 0x0
	.amdhsa_kernel _ZN7rocprim17ROCPRIM_400000_NS6detail17trampoline_kernelINS0_14default_configENS1_25partition_config_selectorILNS1_17partition_subalgoE1EtNS0_10empty_typeEbEEZZNS1_14partition_implILS5_1ELb0ES3_jN6thrust23THRUST_200600_302600_NS6detail15normal_iteratorINSA_10device_ptrItEEEEPS6_NSA_18transform_iteratorI7is_evenItESF_NSA_11use_defaultESK_EENS0_5tupleIJNSA_16discard_iteratorISK_EESO_EEENSM_IJSG_SG_EEES6_PlJS6_EEE10hipError_tPvRmT3_T4_T5_T6_T7_T9_mT8_P12ihipStream_tbDpT10_ENKUlT_T0_E_clISt17integral_constantIbLb1EES1B_EEDaS16_S17_EUlS16_E_NS1_11comp_targetILNS1_3genE8ELNS1_11target_archE1030ELNS1_3gpuE2ELNS1_3repE0EEENS1_30default_config_static_selectorELNS0_4arch9wavefront6targetE1EEEvT1_
		.amdhsa_group_segment_fixed_size 0
		.amdhsa_private_segment_fixed_size 0
		.amdhsa_kernarg_size 160
		.amdhsa_user_sgpr_count 6
		.amdhsa_user_sgpr_private_segment_buffer 1
		.amdhsa_user_sgpr_dispatch_ptr 0
		.amdhsa_user_sgpr_queue_ptr 0
		.amdhsa_user_sgpr_kernarg_segment_ptr 1
		.amdhsa_user_sgpr_dispatch_id 0
		.amdhsa_user_sgpr_flat_scratch_init 0
		.amdhsa_user_sgpr_kernarg_preload_length 0
		.amdhsa_user_sgpr_kernarg_preload_offset 0
		.amdhsa_user_sgpr_private_segment_size 0
		.amdhsa_uses_dynamic_stack 0
		.amdhsa_system_sgpr_private_segment_wavefront_offset 0
		.amdhsa_system_sgpr_workgroup_id_x 1
		.amdhsa_system_sgpr_workgroup_id_y 0
		.amdhsa_system_sgpr_workgroup_id_z 0
		.amdhsa_system_sgpr_workgroup_info 0
		.amdhsa_system_vgpr_workitem_id 0
		.amdhsa_next_free_vgpr 1
		.amdhsa_next_free_sgpr 0
		.amdhsa_accum_offset 4
		.amdhsa_reserve_vcc 0
		.amdhsa_reserve_flat_scratch 0
		.amdhsa_float_round_mode_32 0
		.amdhsa_float_round_mode_16_64 0
		.amdhsa_float_denorm_mode_32 3
		.amdhsa_float_denorm_mode_16_64 3
		.amdhsa_dx10_clamp 1
		.amdhsa_ieee_mode 1
		.amdhsa_fp16_overflow 0
		.amdhsa_tg_split 0
		.amdhsa_exception_fp_ieee_invalid_op 0
		.amdhsa_exception_fp_denorm_src 0
		.amdhsa_exception_fp_ieee_div_zero 0
		.amdhsa_exception_fp_ieee_overflow 0
		.amdhsa_exception_fp_ieee_underflow 0
		.amdhsa_exception_fp_ieee_inexact 0
		.amdhsa_exception_int_div_zero 0
	.end_amdhsa_kernel
	.section	.text._ZN7rocprim17ROCPRIM_400000_NS6detail17trampoline_kernelINS0_14default_configENS1_25partition_config_selectorILNS1_17partition_subalgoE1EtNS0_10empty_typeEbEEZZNS1_14partition_implILS5_1ELb0ES3_jN6thrust23THRUST_200600_302600_NS6detail15normal_iteratorINSA_10device_ptrItEEEEPS6_NSA_18transform_iteratorI7is_evenItESF_NSA_11use_defaultESK_EENS0_5tupleIJNSA_16discard_iteratorISK_EESO_EEENSM_IJSG_SG_EEES6_PlJS6_EEE10hipError_tPvRmT3_T4_T5_T6_T7_T9_mT8_P12ihipStream_tbDpT10_ENKUlT_T0_E_clISt17integral_constantIbLb1EES1B_EEDaS16_S17_EUlS16_E_NS1_11comp_targetILNS1_3genE8ELNS1_11target_archE1030ELNS1_3gpuE2ELNS1_3repE0EEENS1_30default_config_static_selectorELNS0_4arch9wavefront6targetE1EEEvT1_,"axG",@progbits,_ZN7rocprim17ROCPRIM_400000_NS6detail17trampoline_kernelINS0_14default_configENS1_25partition_config_selectorILNS1_17partition_subalgoE1EtNS0_10empty_typeEbEEZZNS1_14partition_implILS5_1ELb0ES3_jN6thrust23THRUST_200600_302600_NS6detail15normal_iteratorINSA_10device_ptrItEEEEPS6_NSA_18transform_iteratorI7is_evenItESF_NSA_11use_defaultESK_EENS0_5tupleIJNSA_16discard_iteratorISK_EESO_EEENSM_IJSG_SG_EEES6_PlJS6_EEE10hipError_tPvRmT3_T4_T5_T6_T7_T9_mT8_P12ihipStream_tbDpT10_ENKUlT_T0_E_clISt17integral_constantIbLb1EES1B_EEDaS16_S17_EUlS16_E_NS1_11comp_targetILNS1_3genE8ELNS1_11target_archE1030ELNS1_3gpuE2ELNS1_3repE0EEENS1_30default_config_static_selectorELNS0_4arch9wavefront6targetE1EEEvT1_,comdat
.Lfunc_end3082:
	.size	_ZN7rocprim17ROCPRIM_400000_NS6detail17trampoline_kernelINS0_14default_configENS1_25partition_config_selectorILNS1_17partition_subalgoE1EtNS0_10empty_typeEbEEZZNS1_14partition_implILS5_1ELb0ES3_jN6thrust23THRUST_200600_302600_NS6detail15normal_iteratorINSA_10device_ptrItEEEEPS6_NSA_18transform_iteratorI7is_evenItESF_NSA_11use_defaultESK_EENS0_5tupleIJNSA_16discard_iteratorISK_EESO_EEENSM_IJSG_SG_EEES6_PlJS6_EEE10hipError_tPvRmT3_T4_T5_T6_T7_T9_mT8_P12ihipStream_tbDpT10_ENKUlT_T0_E_clISt17integral_constantIbLb1EES1B_EEDaS16_S17_EUlS16_E_NS1_11comp_targetILNS1_3genE8ELNS1_11target_archE1030ELNS1_3gpuE2ELNS1_3repE0EEENS1_30default_config_static_selectorELNS0_4arch9wavefront6targetE1EEEvT1_, .Lfunc_end3082-_ZN7rocprim17ROCPRIM_400000_NS6detail17trampoline_kernelINS0_14default_configENS1_25partition_config_selectorILNS1_17partition_subalgoE1EtNS0_10empty_typeEbEEZZNS1_14partition_implILS5_1ELb0ES3_jN6thrust23THRUST_200600_302600_NS6detail15normal_iteratorINSA_10device_ptrItEEEEPS6_NSA_18transform_iteratorI7is_evenItESF_NSA_11use_defaultESK_EENS0_5tupleIJNSA_16discard_iteratorISK_EESO_EEENSM_IJSG_SG_EEES6_PlJS6_EEE10hipError_tPvRmT3_T4_T5_T6_T7_T9_mT8_P12ihipStream_tbDpT10_ENKUlT_T0_E_clISt17integral_constantIbLb1EES1B_EEDaS16_S17_EUlS16_E_NS1_11comp_targetILNS1_3genE8ELNS1_11target_archE1030ELNS1_3gpuE2ELNS1_3repE0EEENS1_30default_config_static_selectorELNS0_4arch9wavefront6targetE1EEEvT1_
                                        ; -- End function
	.section	.AMDGPU.csdata,"",@progbits
; Kernel info:
; codeLenInByte = 0
; NumSgprs: 4
; NumVgprs: 0
; NumAgprs: 0
; TotalNumVgprs: 0
; ScratchSize: 0
; MemoryBound: 0
; FloatMode: 240
; IeeeMode: 1
; LDSByteSize: 0 bytes/workgroup (compile time only)
; SGPRBlocks: 0
; VGPRBlocks: 0
; NumSGPRsForWavesPerEU: 4
; NumVGPRsForWavesPerEU: 1
; AccumOffset: 4
; Occupancy: 8
; WaveLimiterHint : 0
; COMPUTE_PGM_RSRC2:SCRATCH_EN: 0
; COMPUTE_PGM_RSRC2:USER_SGPR: 6
; COMPUTE_PGM_RSRC2:TRAP_HANDLER: 0
; COMPUTE_PGM_RSRC2:TGID_X_EN: 1
; COMPUTE_PGM_RSRC2:TGID_Y_EN: 0
; COMPUTE_PGM_RSRC2:TGID_Z_EN: 0
; COMPUTE_PGM_RSRC2:TIDIG_COMP_CNT: 0
; COMPUTE_PGM_RSRC3_GFX90A:ACCUM_OFFSET: 0
; COMPUTE_PGM_RSRC3_GFX90A:TG_SPLIT: 0
	.section	.text._ZN7rocprim17ROCPRIM_400000_NS6detail17trampoline_kernelINS0_14default_configENS1_25partition_config_selectorILNS1_17partition_subalgoE1EtNS0_10empty_typeEbEEZZNS1_14partition_implILS5_1ELb0ES3_jN6thrust23THRUST_200600_302600_NS6detail15normal_iteratorINSA_10device_ptrItEEEEPS6_NSA_18transform_iteratorI7is_evenItESF_NSA_11use_defaultESK_EENS0_5tupleIJNSA_16discard_iteratorISK_EESO_EEENSM_IJSG_SG_EEES6_PlJS6_EEE10hipError_tPvRmT3_T4_T5_T6_T7_T9_mT8_P12ihipStream_tbDpT10_ENKUlT_T0_E_clISt17integral_constantIbLb1EES1A_IbLb0EEEEDaS16_S17_EUlS16_E_NS1_11comp_targetILNS1_3genE0ELNS1_11target_archE4294967295ELNS1_3gpuE0ELNS1_3repE0EEENS1_30default_config_static_selectorELNS0_4arch9wavefront6targetE1EEEvT1_,"axG",@progbits,_ZN7rocprim17ROCPRIM_400000_NS6detail17trampoline_kernelINS0_14default_configENS1_25partition_config_selectorILNS1_17partition_subalgoE1EtNS0_10empty_typeEbEEZZNS1_14partition_implILS5_1ELb0ES3_jN6thrust23THRUST_200600_302600_NS6detail15normal_iteratorINSA_10device_ptrItEEEEPS6_NSA_18transform_iteratorI7is_evenItESF_NSA_11use_defaultESK_EENS0_5tupleIJNSA_16discard_iteratorISK_EESO_EEENSM_IJSG_SG_EEES6_PlJS6_EEE10hipError_tPvRmT3_T4_T5_T6_T7_T9_mT8_P12ihipStream_tbDpT10_ENKUlT_T0_E_clISt17integral_constantIbLb1EES1A_IbLb0EEEEDaS16_S17_EUlS16_E_NS1_11comp_targetILNS1_3genE0ELNS1_11target_archE4294967295ELNS1_3gpuE0ELNS1_3repE0EEENS1_30default_config_static_selectorELNS0_4arch9wavefront6targetE1EEEvT1_,comdat
	.protected	_ZN7rocprim17ROCPRIM_400000_NS6detail17trampoline_kernelINS0_14default_configENS1_25partition_config_selectorILNS1_17partition_subalgoE1EtNS0_10empty_typeEbEEZZNS1_14partition_implILS5_1ELb0ES3_jN6thrust23THRUST_200600_302600_NS6detail15normal_iteratorINSA_10device_ptrItEEEEPS6_NSA_18transform_iteratorI7is_evenItESF_NSA_11use_defaultESK_EENS0_5tupleIJNSA_16discard_iteratorISK_EESO_EEENSM_IJSG_SG_EEES6_PlJS6_EEE10hipError_tPvRmT3_T4_T5_T6_T7_T9_mT8_P12ihipStream_tbDpT10_ENKUlT_T0_E_clISt17integral_constantIbLb1EES1A_IbLb0EEEEDaS16_S17_EUlS16_E_NS1_11comp_targetILNS1_3genE0ELNS1_11target_archE4294967295ELNS1_3gpuE0ELNS1_3repE0EEENS1_30default_config_static_selectorELNS0_4arch9wavefront6targetE1EEEvT1_ ; -- Begin function _ZN7rocprim17ROCPRIM_400000_NS6detail17trampoline_kernelINS0_14default_configENS1_25partition_config_selectorILNS1_17partition_subalgoE1EtNS0_10empty_typeEbEEZZNS1_14partition_implILS5_1ELb0ES3_jN6thrust23THRUST_200600_302600_NS6detail15normal_iteratorINSA_10device_ptrItEEEEPS6_NSA_18transform_iteratorI7is_evenItESF_NSA_11use_defaultESK_EENS0_5tupleIJNSA_16discard_iteratorISK_EESO_EEENSM_IJSG_SG_EEES6_PlJS6_EEE10hipError_tPvRmT3_T4_T5_T6_T7_T9_mT8_P12ihipStream_tbDpT10_ENKUlT_T0_E_clISt17integral_constantIbLb1EES1A_IbLb0EEEEDaS16_S17_EUlS16_E_NS1_11comp_targetILNS1_3genE0ELNS1_11target_archE4294967295ELNS1_3gpuE0ELNS1_3repE0EEENS1_30default_config_static_selectorELNS0_4arch9wavefront6targetE1EEEvT1_
	.globl	_ZN7rocprim17ROCPRIM_400000_NS6detail17trampoline_kernelINS0_14default_configENS1_25partition_config_selectorILNS1_17partition_subalgoE1EtNS0_10empty_typeEbEEZZNS1_14partition_implILS5_1ELb0ES3_jN6thrust23THRUST_200600_302600_NS6detail15normal_iteratorINSA_10device_ptrItEEEEPS6_NSA_18transform_iteratorI7is_evenItESF_NSA_11use_defaultESK_EENS0_5tupleIJNSA_16discard_iteratorISK_EESO_EEENSM_IJSG_SG_EEES6_PlJS6_EEE10hipError_tPvRmT3_T4_T5_T6_T7_T9_mT8_P12ihipStream_tbDpT10_ENKUlT_T0_E_clISt17integral_constantIbLb1EES1A_IbLb0EEEEDaS16_S17_EUlS16_E_NS1_11comp_targetILNS1_3genE0ELNS1_11target_archE4294967295ELNS1_3gpuE0ELNS1_3repE0EEENS1_30default_config_static_selectorELNS0_4arch9wavefront6targetE1EEEvT1_
	.p2align	8
	.type	_ZN7rocprim17ROCPRIM_400000_NS6detail17trampoline_kernelINS0_14default_configENS1_25partition_config_selectorILNS1_17partition_subalgoE1EtNS0_10empty_typeEbEEZZNS1_14partition_implILS5_1ELb0ES3_jN6thrust23THRUST_200600_302600_NS6detail15normal_iteratorINSA_10device_ptrItEEEEPS6_NSA_18transform_iteratorI7is_evenItESF_NSA_11use_defaultESK_EENS0_5tupleIJNSA_16discard_iteratorISK_EESO_EEENSM_IJSG_SG_EEES6_PlJS6_EEE10hipError_tPvRmT3_T4_T5_T6_T7_T9_mT8_P12ihipStream_tbDpT10_ENKUlT_T0_E_clISt17integral_constantIbLb1EES1A_IbLb0EEEEDaS16_S17_EUlS16_E_NS1_11comp_targetILNS1_3genE0ELNS1_11target_archE4294967295ELNS1_3gpuE0ELNS1_3repE0EEENS1_30default_config_static_selectorELNS0_4arch9wavefront6targetE1EEEvT1_,@function
_ZN7rocprim17ROCPRIM_400000_NS6detail17trampoline_kernelINS0_14default_configENS1_25partition_config_selectorILNS1_17partition_subalgoE1EtNS0_10empty_typeEbEEZZNS1_14partition_implILS5_1ELb0ES3_jN6thrust23THRUST_200600_302600_NS6detail15normal_iteratorINSA_10device_ptrItEEEEPS6_NSA_18transform_iteratorI7is_evenItESF_NSA_11use_defaultESK_EENS0_5tupleIJNSA_16discard_iteratorISK_EESO_EEENSM_IJSG_SG_EEES6_PlJS6_EEE10hipError_tPvRmT3_T4_T5_T6_T7_T9_mT8_P12ihipStream_tbDpT10_ENKUlT_T0_E_clISt17integral_constantIbLb1EES1A_IbLb0EEEEDaS16_S17_EUlS16_E_NS1_11comp_targetILNS1_3genE0ELNS1_11target_archE4294967295ELNS1_3gpuE0ELNS1_3repE0EEENS1_30default_config_static_selectorELNS0_4arch9wavefront6targetE1EEEvT1_: ; @_ZN7rocprim17ROCPRIM_400000_NS6detail17trampoline_kernelINS0_14default_configENS1_25partition_config_selectorILNS1_17partition_subalgoE1EtNS0_10empty_typeEbEEZZNS1_14partition_implILS5_1ELb0ES3_jN6thrust23THRUST_200600_302600_NS6detail15normal_iteratorINSA_10device_ptrItEEEEPS6_NSA_18transform_iteratorI7is_evenItESF_NSA_11use_defaultESK_EENS0_5tupleIJNSA_16discard_iteratorISK_EESO_EEENSM_IJSG_SG_EEES6_PlJS6_EEE10hipError_tPvRmT3_T4_T5_T6_T7_T9_mT8_P12ihipStream_tbDpT10_ENKUlT_T0_E_clISt17integral_constantIbLb1EES1A_IbLb0EEEEDaS16_S17_EUlS16_E_NS1_11comp_targetILNS1_3genE0ELNS1_11target_archE4294967295ELNS1_3gpuE0ELNS1_3repE0EEENS1_30default_config_static_selectorELNS0_4arch9wavefront6targetE1EEEvT1_
; %bb.0:
	.section	.rodata,"a",@progbits
	.p2align	6, 0x0
	.amdhsa_kernel _ZN7rocprim17ROCPRIM_400000_NS6detail17trampoline_kernelINS0_14default_configENS1_25partition_config_selectorILNS1_17partition_subalgoE1EtNS0_10empty_typeEbEEZZNS1_14partition_implILS5_1ELb0ES3_jN6thrust23THRUST_200600_302600_NS6detail15normal_iteratorINSA_10device_ptrItEEEEPS6_NSA_18transform_iteratorI7is_evenItESF_NSA_11use_defaultESK_EENS0_5tupleIJNSA_16discard_iteratorISK_EESO_EEENSM_IJSG_SG_EEES6_PlJS6_EEE10hipError_tPvRmT3_T4_T5_T6_T7_T9_mT8_P12ihipStream_tbDpT10_ENKUlT_T0_E_clISt17integral_constantIbLb1EES1A_IbLb0EEEEDaS16_S17_EUlS16_E_NS1_11comp_targetILNS1_3genE0ELNS1_11target_archE4294967295ELNS1_3gpuE0ELNS1_3repE0EEENS1_30default_config_static_selectorELNS0_4arch9wavefront6targetE1EEEvT1_
		.amdhsa_group_segment_fixed_size 0
		.amdhsa_private_segment_fixed_size 0
		.amdhsa_kernarg_size 144
		.amdhsa_user_sgpr_count 6
		.amdhsa_user_sgpr_private_segment_buffer 1
		.amdhsa_user_sgpr_dispatch_ptr 0
		.amdhsa_user_sgpr_queue_ptr 0
		.amdhsa_user_sgpr_kernarg_segment_ptr 1
		.amdhsa_user_sgpr_dispatch_id 0
		.amdhsa_user_sgpr_flat_scratch_init 0
		.amdhsa_user_sgpr_kernarg_preload_length 0
		.amdhsa_user_sgpr_kernarg_preload_offset 0
		.amdhsa_user_sgpr_private_segment_size 0
		.amdhsa_uses_dynamic_stack 0
		.amdhsa_system_sgpr_private_segment_wavefront_offset 0
		.amdhsa_system_sgpr_workgroup_id_x 1
		.amdhsa_system_sgpr_workgroup_id_y 0
		.amdhsa_system_sgpr_workgroup_id_z 0
		.amdhsa_system_sgpr_workgroup_info 0
		.amdhsa_system_vgpr_workitem_id 0
		.amdhsa_next_free_vgpr 1
		.amdhsa_next_free_sgpr 0
		.amdhsa_accum_offset 4
		.amdhsa_reserve_vcc 0
		.amdhsa_reserve_flat_scratch 0
		.amdhsa_float_round_mode_32 0
		.amdhsa_float_round_mode_16_64 0
		.amdhsa_float_denorm_mode_32 3
		.amdhsa_float_denorm_mode_16_64 3
		.amdhsa_dx10_clamp 1
		.amdhsa_ieee_mode 1
		.amdhsa_fp16_overflow 0
		.amdhsa_tg_split 0
		.amdhsa_exception_fp_ieee_invalid_op 0
		.amdhsa_exception_fp_denorm_src 0
		.amdhsa_exception_fp_ieee_div_zero 0
		.amdhsa_exception_fp_ieee_overflow 0
		.amdhsa_exception_fp_ieee_underflow 0
		.amdhsa_exception_fp_ieee_inexact 0
		.amdhsa_exception_int_div_zero 0
	.end_amdhsa_kernel
	.section	.text._ZN7rocprim17ROCPRIM_400000_NS6detail17trampoline_kernelINS0_14default_configENS1_25partition_config_selectorILNS1_17partition_subalgoE1EtNS0_10empty_typeEbEEZZNS1_14partition_implILS5_1ELb0ES3_jN6thrust23THRUST_200600_302600_NS6detail15normal_iteratorINSA_10device_ptrItEEEEPS6_NSA_18transform_iteratorI7is_evenItESF_NSA_11use_defaultESK_EENS0_5tupleIJNSA_16discard_iteratorISK_EESO_EEENSM_IJSG_SG_EEES6_PlJS6_EEE10hipError_tPvRmT3_T4_T5_T6_T7_T9_mT8_P12ihipStream_tbDpT10_ENKUlT_T0_E_clISt17integral_constantIbLb1EES1A_IbLb0EEEEDaS16_S17_EUlS16_E_NS1_11comp_targetILNS1_3genE0ELNS1_11target_archE4294967295ELNS1_3gpuE0ELNS1_3repE0EEENS1_30default_config_static_selectorELNS0_4arch9wavefront6targetE1EEEvT1_,"axG",@progbits,_ZN7rocprim17ROCPRIM_400000_NS6detail17trampoline_kernelINS0_14default_configENS1_25partition_config_selectorILNS1_17partition_subalgoE1EtNS0_10empty_typeEbEEZZNS1_14partition_implILS5_1ELb0ES3_jN6thrust23THRUST_200600_302600_NS6detail15normal_iteratorINSA_10device_ptrItEEEEPS6_NSA_18transform_iteratorI7is_evenItESF_NSA_11use_defaultESK_EENS0_5tupleIJNSA_16discard_iteratorISK_EESO_EEENSM_IJSG_SG_EEES6_PlJS6_EEE10hipError_tPvRmT3_T4_T5_T6_T7_T9_mT8_P12ihipStream_tbDpT10_ENKUlT_T0_E_clISt17integral_constantIbLb1EES1A_IbLb0EEEEDaS16_S17_EUlS16_E_NS1_11comp_targetILNS1_3genE0ELNS1_11target_archE4294967295ELNS1_3gpuE0ELNS1_3repE0EEENS1_30default_config_static_selectorELNS0_4arch9wavefront6targetE1EEEvT1_,comdat
.Lfunc_end3083:
	.size	_ZN7rocprim17ROCPRIM_400000_NS6detail17trampoline_kernelINS0_14default_configENS1_25partition_config_selectorILNS1_17partition_subalgoE1EtNS0_10empty_typeEbEEZZNS1_14partition_implILS5_1ELb0ES3_jN6thrust23THRUST_200600_302600_NS6detail15normal_iteratorINSA_10device_ptrItEEEEPS6_NSA_18transform_iteratorI7is_evenItESF_NSA_11use_defaultESK_EENS0_5tupleIJNSA_16discard_iteratorISK_EESO_EEENSM_IJSG_SG_EEES6_PlJS6_EEE10hipError_tPvRmT3_T4_T5_T6_T7_T9_mT8_P12ihipStream_tbDpT10_ENKUlT_T0_E_clISt17integral_constantIbLb1EES1A_IbLb0EEEEDaS16_S17_EUlS16_E_NS1_11comp_targetILNS1_3genE0ELNS1_11target_archE4294967295ELNS1_3gpuE0ELNS1_3repE0EEENS1_30default_config_static_selectorELNS0_4arch9wavefront6targetE1EEEvT1_, .Lfunc_end3083-_ZN7rocprim17ROCPRIM_400000_NS6detail17trampoline_kernelINS0_14default_configENS1_25partition_config_selectorILNS1_17partition_subalgoE1EtNS0_10empty_typeEbEEZZNS1_14partition_implILS5_1ELb0ES3_jN6thrust23THRUST_200600_302600_NS6detail15normal_iteratorINSA_10device_ptrItEEEEPS6_NSA_18transform_iteratorI7is_evenItESF_NSA_11use_defaultESK_EENS0_5tupleIJNSA_16discard_iteratorISK_EESO_EEENSM_IJSG_SG_EEES6_PlJS6_EEE10hipError_tPvRmT3_T4_T5_T6_T7_T9_mT8_P12ihipStream_tbDpT10_ENKUlT_T0_E_clISt17integral_constantIbLb1EES1A_IbLb0EEEEDaS16_S17_EUlS16_E_NS1_11comp_targetILNS1_3genE0ELNS1_11target_archE4294967295ELNS1_3gpuE0ELNS1_3repE0EEENS1_30default_config_static_selectorELNS0_4arch9wavefront6targetE1EEEvT1_
                                        ; -- End function
	.section	.AMDGPU.csdata,"",@progbits
; Kernel info:
; codeLenInByte = 0
; NumSgprs: 4
; NumVgprs: 0
; NumAgprs: 0
; TotalNumVgprs: 0
; ScratchSize: 0
; MemoryBound: 0
; FloatMode: 240
; IeeeMode: 1
; LDSByteSize: 0 bytes/workgroup (compile time only)
; SGPRBlocks: 0
; VGPRBlocks: 0
; NumSGPRsForWavesPerEU: 4
; NumVGPRsForWavesPerEU: 1
; AccumOffset: 4
; Occupancy: 8
; WaveLimiterHint : 0
; COMPUTE_PGM_RSRC2:SCRATCH_EN: 0
; COMPUTE_PGM_RSRC2:USER_SGPR: 6
; COMPUTE_PGM_RSRC2:TRAP_HANDLER: 0
; COMPUTE_PGM_RSRC2:TGID_X_EN: 1
; COMPUTE_PGM_RSRC2:TGID_Y_EN: 0
; COMPUTE_PGM_RSRC2:TGID_Z_EN: 0
; COMPUTE_PGM_RSRC2:TIDIG_COMP_CNT: 0
; COMPUTE_PGM_RSRC3_GFX90A:ACCUM_OFFSET: 0
; COMPUTE_PGM_RSRC3_GFX90A:TG_SPLIT: 0
	.section	.text._ZN7rocprim17ROCPRIM_400000_NS6detail17trampoline_kernelINS0_14default_configENS1_25partition_config_selectorILNS1_17partition_subalgoE1EtNS0_10empty_typeEbEEZZNS1_14partition_implILS5_1ELb0ES3_jN6thrust23THRUST_200600_302600_NS6detail15normal_iteratorINSA_10device_ptrItEEEEPS6_NSA_18transform_iteratorI7is_evenItESF_NSA_11use_defaultESK_EENS0_5tupleIJNSA_16discard_iteratorISK_EESO_EEENSM_IJSG_SG_EEES6_PlJS6_EEE10hipError_tPvRmT3_T4_T5_T6_T7_T9_mT8_P12ihipStream_tbDpT10_ENKUlT_T0_E_clISt17integral_constantIbLb1EES1A_IbLb0EEEEDaS16_S17_EUlS16_E_NS1_11comp_targetILNS1_3genE5ELNS1_11target_archE942ELNS1_3gpuE9ELNS1_3repE0EEENS1_30default_config_static_selectorELNS0_4arch9wavefront6targetE1EEEvT1_,"axG",@progbits,_ZN7rocprim17ROCPRIM_400000_NS6detail17trampoline_kernelINS0_14default_configENS1_25partition_config_selectorILNS1_17partition_subalgoE1EtNS0_10empty_typeEbEEZZNS1_14partition_implILS5_1ELb0ES3_jN6thrust23THRUST_200600_302600_NS6detail15normal_iteratorINSA_10device_ptrItEEEEPS6_NSA_18transform_iteratorI7is_evenItESF_NSA_11use_defaultESK_EENS0_5tupleIJNSA_16discard_iteratorISK_EESO_EEENSM_IJSG_SG_EEES6_PlJS6_EEE10hipError_tPvRmT3_T4_T5_T6_T7_T9_mT8_P12ihipStream_tbDpT10_ENKUlT_T0_E_clISt17integral_constantIbLb1EES1A_IbLb0EEEEDaS16_S17_EUlS16_E_NS1_11comp_targetILNS1_3genE5ELNS1_11target_archE942ELNS1_3gpuE9ELNS1_3repE0EEENS1_30default_config_static_selectorELNS0_4arch9wavefront6targetE1EEEvT1_,comdat
	.protected	_ZN7rocprim17ROCPRIM_400000_NS6detail17trampoline_kernelINS0_14default_configENS1_25partition_config_selectorILNS1_17partition_subalgoE1EtNS0_10empty_typeEbEEZZNS1_14partition_implILS5_1ELb0ES3_jN6thrust23THRUST_200600_302600_NS6detail15normal_iteratorINSA_10device_ptrItEEEEPS6_NSA_18transform_iteratorI7is_evenItESF_NSA_11use_defaultESK_EENS0_5tupleIJNSA_16discard_iteratorISK_EESO_EEENSM_IJSG_SG_EEES6_PlJS6_EEE10hipError_tPvRmT3_T4_T5_T6_T7_T9_mT8_P12ihipStream_tbDpT10_ENKUlT_T0_E_clISt17integral_constantIbLb1EES1A_IbLb0EEEEDaS16_S17_EUlS16_E_NS1_11comp_targetILNS1_3genE5ELNS1_11target_archE942ELNS1_3gpuE9ELNS1_3repE0EEENS1_30default_config_static_selectorELNS0_4arch9wavefront6targetE1EEEvT1_ ; -- Begin function _ZN7rocprim17ROCPRIM_400000_NS6detail17trampoline_kernelINS0_14default_configENS1_25partition_config_selectorILNS1_17partition_subalgoE1EtNS0_10empty_typeEbEEZZNS1_14partition_implILS5_1ELb0ES3_jN6thrust23THRUST_200600_302600_NS6detail15normal_iteratorINSA_10device_ptrItEEEEPS6_NSA_18transform_iteratorI7is_evenItESF_NSA_11use_defaultESK_EENS0_5tupleIJNSA_16discard_iteratorISK_EESO_EEENSM_IJSG_SG_EEES6_PlJS6_EEE10hipError_tPvRmT3_T4_T5_T6_T7_T9_mT8_P12ihipStream_tbDpT10_ENKUlT_T0_E_clISt17integral_constantIbLb1EES1A_IbLb0EEEEDaS16_S17_EUlS16_E_NS1_11comp_targetILNS1_3genE5ELNS1_11target_archE942ELNS1_3gpuE9ELNS1_3repE0EEENS1_30default_config_static_selectorELNS0_4arch9wavefront6targetE1EEEvT1_
	.globl	_ZN7rocprim17ROCPRIM_400000_NS6detail17trampoline_kernelINS0_14default_configENS1_25partition_config_selectorILNS1_17partition_subalgoE1EtNS0_10empty_typeEbEEZZNS1_14partition_implILS5_1ELb0ES3_jN6thrust23THRUST_200600_302600_NS6detail15normal_iteratorINSA_10device_ptrItEEEEPS6_NSA_18transform_iteratorI7is_evenItESF_NSA_11use_defaultESK_EENS0_5tupleIJNSA_16discard_iteratorISK_EESO_EEENSM_IJSG_SG_EEES6_PlJS6_EEE10hipError_tPvRmT3_T4_T5_T6_T7_T9_mT8_P12ihipStream_tbDpT10_ENKUlT_T0_E_clISt17integral_constantIbLb1EES1A_IbLb0EEEEDaS16_S17_EUlS16_E_NS1_11comp_targetILNS1_3genE5ELNS1_11target_archE942ELNS1_3gpuE9ELNS1_3repE0EEENS1_30default_config_static_selectorELNS0_4arch9wavefront6targetE1EEEvT1_
	.p2align	8
	.type	_ZN7rocprim17ROCPRIM_400000_NS6detail17trampoline_kernelINS0_14default_configENS1_25partition_config_selectorILNS1_17partition_subalgoE1EtNS0_10empty_typeEbEEZZNS1_14partition_implILS5_1ELb0ES3_jN6thrust23THRUST_200600_302600_NS6detail15normal_iteratorINSA_10device_ptrItEEEEPS6_NSA_18transform_iteratorI7is_evenItESF_NSA_11use_defaultESK_EENS0_5tupleIJNSA_16discard_iteratorISK_EESO_EEENSM_IJSG_SG_EEES6_PlJS6_EEE10hipError_tPvRmT3_T4_T5_T6_T7_T9_mT8_P12ihipStream_tbDpT10_ENKUlT_T0_E_clISt17integral_constantIbLb1EES1A_IbLb0EEEEDaS16_S17_EUlS16_E_NS1_11comp_targetILNS1_3genE5ELNS1_11target_archE942ELNS1_3gpuE9ELNS1_3repE0EEENS1_30default_config_static_selectorELNS0_4arch9wavefront6targetE1EEEvT1_,@function
_ZN7rocprim17ROCPRIM_400000_NS6detail17trampoline_kernelINS0_14default_configENS1_25partition_config_selectorILNS1_17partition_subalgoE1EtNS0_10empty_typeEbEEZZNS1_14partition_implILS5_1ELb0ES3_jN6thrust23THRUST_200600_302600_NS6detail15normal_iteratorINSA_10device_ptrItEEEEPS6_NSA_18transform_iteratorI7is_evenItESF_NSA_11use_defaultESK_EENS0_5tupleIJNSA_16discard_iteratorISK_EESO_EEENSM_IJSG_SG_EEES6_PlJS6_EEE10hipError_tPvRmT3_T4_T5_T6_T7_T9_mT8_P12ihipStream_tbDpT10_ENKUlT_T0_E_clISt17integral_constantIbLb1EES1A_IbLb0EEEEDaS16_S17_EUlS16_E_NS1_11comp_targetILNS1_3genE5ELNS1_11target_archE942ELNS1_3gpuE9ELNS1_3repE0EEENS1_30default_config_static_selectorELNS0_4arch9wavefront6targetE1EEEvT1_: ; @_ZN7rocprim17ROCPRIM_400000_NS6detail17trampoline_kernelINS0_14default_configENS1_25partition_config_selectorILNS1_17partition_subalgoE1EtNS0_10empty_typeEbEEZZNS1_14partition_implILS5_1ELb0ES3_jN6thrust23THRUST_200600_302600_NS6detail15normal_iteratorINSA_10device_ptrItEEEEPS6_NSA_18transform_iteratorI7is_evenItESF_NSA_11use_defaultESK_EENS0_5tupleIJNSA_16discard_iteratorISK_EESO_EEENSM_IJSG_SG_EEES6_PlJS6_EEE10hipError_tPvRmT3_T4_T5_T6_T7_T9_mT8_P12ihipStream_tbDpT10_ENKUlT_T0_E_clISt17integral_constantIbLb1EES1A_IbLb0EEEEDaS16_S17_EUlS16_E_NS1_11comp_targetILNS1_3genE5ELNS1_11target_archE942ELNS1_3gpuE9ELNS1_3repE0EEENS1_30default_config_static_selectorELNS0_4arch9wavefront6targetE1EEEvT1_
; %bb.0:
	.section	.rodata,"a",@progbits
	.p2align	6, 0x0
	.amdhsa_kernel _ZN7rocprim17ROCPRIM_400000_NS6detail17trampoline_kernelINS0_14default_configENS1_25partition_config_selectorILNS1_17partition_subalgoE1EtNS0_10empty_typeEbEEZZNS1_14partition_implILS5_1ELb0ES3_jN6thrust23THRUST_200600_302600_NS6detail15normal_iteratorINSA_10device_ptrItEEEEPS6_NSA_18transform_iteratorI7is_evenItESF_NSA_11use_defaultESK_EENS0_5tupleIJNSA_16discard_iteratorISK_EESO_EEENSM_IJSG_SG_EEES6_PlJS6_EEE10hipError_tPvRmT3_T4_T5_T6_T7_T9_mT8_P12ihipStream_tbDpT10_ENKUlT_T0_E_clISt17integral_constantIbLb1EES1A_IbLb0EEEEDaS16_S17_EUlS16_E_NS1_11comp_targetILNS1_3genE5ELNS1_11target_archE942ELNS1_3gpuE9ELNS1_3repE0EEENS1_30default_config_static_selectorELNS0_4arch9wavefront6targetE1EEEvT1_
		.amdhsa_group_segment_fixed_size 0
		.amdhsa_private_segment_fixed_size 0
		.amdhsa_kernarg_size 144
		.amdhsa_user_sgpr_count 6
		.amdhsa_user_sgpr_private_segment_buffer 1
		.amdhsa_user_sgpr_dispatch_ptr 0
		.amdhsa_user_sgpr_queue_ptr 0
		.amdhsa_user_sgpr_kernarg_segment_ptr 1
		.amdhsa_user_sgpr_dispatch_id 0
		.amdhsa_user_sgpr_flat_scratch_init 0
		.amdhsa_user_sgpr_kernarg_preload_length 0
		.amdhsa_user_sgpr_kernarg_preload_offset 0
		.amdhsa_user_sgpr_private_segment_size 0
		.amdhsa_uses_dynamic_stack 0
		.amdhsa_system_sgpr_private_segment_wavefront_offset 0
		.amdhsa_system_sgpr_workgroup_id_x 1
		.amdhsa_system_sgpr_workgroup_id_y 0
		.amdhsa_system_sgpr_workgroup_id_z 0
		.amdhsa_system_sgpr_workgroup_info 0
		.amdhsa_system_vgpr_workitem_id 0
		.amdhsa_next_free_vgpr 1
		.amdhsa_next_free_sgpr 0
		.amdhsa_accum_offset 4
		.amdhsa_reserve_vcc 0
		.amdhsa_reserve_flat_scratch 0
		.amdhsa_float_round_mode_32 0
		.amdhsa_float_round_mode_16_64 0
		.amdhsa_float_denorm_mode_32 3
		.amdhsa_float_denorm_mode_16_64 3
		.amdhsa_dx10_clamp 1
		.amdhsa_ieee_mode 1
		.amdhsa_fp16_overflow 0
		.amdhsa_tg_split 0
		.amdhsa_exception_fp_ieee_invalid_op 0
		.amdhsa_exception_fp_denorm_src 0
		.amdhsa_exception_fp_ieee_div_zero 0
		.amdhsa_exception_fp_ieee_overflow 0
		.amdhsa_exception_fp_ieee_underflow 0
		.amdhsa_exception_fp_ieee_inexact 0
		.amdhsa_exception_int_div_zero 0
	.end_amdhsa_kernel
	.section	.text._ZN7rocprim17ROCPRIM_400000_NS6detail17trampoline_kernelINS0_14default_configENS1_25partition_config_selectorILNS1_17partition_subalgoE1EtNS0_10empty_typeEbEEZZNS1_14partition_implILS5_1ELb0ES3_jN6thrust23THRUST_200600_302600_NS6detail15normal_iteratorINSA_10device_ptrItEEEEPS6_NSA_18transform_iteratorI7is_evenItESF_NSA_11use_defaultESK_EENS0_5tupleIJNSA_16discard_iteratorISK_EESO_EEENSM_IJSG_SG_EEES6_PlJS6_EEE10hipError_tPvRmT3_T4_T5_T6_T7_T9_mT8_P12ihipStream_tbDpT10_ENKUlT_T0_E_clISt17integral_constantIbLb1EES1A_IbLb0EEEEDaS16_S17_EUlS16_E_NS1_11comp_targetILNS1_3genE5ELNS1_11target_archE942ELNS1_3gpuE9ELNS1_3repE0EEENS1_30default_config_static_selectorELNS0_4arch9wavefront6targetE1EEEvT1_,"axG",@progbits,_ZN7rocprim17ROCPRIM_400000_NS6detail17trampoline_kernelINS0_14default_configENS1_25partition_config_selectorILNS1_17partition_subalgoE1EtNS0_10empty_typeEbEEZZNS1_14partition_implILS5_1ELb0ES3_jN6thrust23THRUST_200600_302600_NS6detail15normal_iteratorINSA_10device_ptrItEEEEPS6_NSA_18transform_iteratorI7is_evenItESF_NSA_11use_defaultESK_EENS0_5tupleIJNSA_16discard_iteratorISK_EESO_EEENSM_IJSG_SG_EEES6_PlJS6_EEE10hipError_tPvRmT3_T4_T5_T6_T7_T9_mT8_P12ihipStream_tbDpT10_ENKUlT_T0_E_clISt17integral_constantIbLb1EES1A_IbLb0EEEEDaS16_S17_EUlS16_E_NS1_11comp_targetILNS1_3genE5ELNS1_11target_archE942ELNS1_3gpuE9ELNS1_3repE0EEENS1_30default_config_static_selectorELNS0_4arch9wavefront6targetE1EEEvT1_,comdat
.Lfunc_end3084:
	.size	_ZN7rocprim17ROCPRIM_400000_NS6detail17trampoline_kernelINS0_14default_configENS1_25partition_config_selectorILNS1_17partition_subalgoE1EtNS0_10empty_typeEbEEZZNS1_14partition_implILS5_1ELb0ES3_jN6thrust23THRUST_200600_302600_NS6detail15normal_iteratorINSA_10device_ptrItEEEEPS6_NSA_18transform_iteratorI7is_evenItESF_NSA_11use_defaultESK_EENS0_5tupleIJNSA_16discard_iteratorISK_EESO_EEENSM_IJSG_SG_EEES6_PlJS6_EEE10hipError_tPvRmT3_T4_T5_T6_T7_T9_mT8_P12ihipStream_tbDpT10_ENKUlT_T0_E_clISt17integral_constantIbLb1EES1A_IbLb0EEEEDaS16_S17_EUlS16_E_NS1_11comp_targetILNS1_3genE5ELNS1_11target_archE942ELNS1_3gpuE9ELNS1_3repE0EEENS1_30default_config_static_selectorELNS0_4arch9wavefront6targetE1EEEvT1_, .Lfunc_end3084-_ZN7rocprim17ROCPRIM_400000_NS6detail17trampoline_kernelINS0_14default_configENS1_25partition_config_selectorILNS1_17partition_subalgoE1EtNS0_10empty_typeEbEEZZNS1_14partition_implILS5_1ELb0ES3_jN6thrust23THRUST_200600_302600_NS6detail15normal_iteratorINSA_10device_ptrItEEEEPS6_NSA_18transform_iteratorI7is_evenItESF_NSA_11use_defaultESK_EENS0_5tupleIJNSA_16discard_iteratorISK_EESO_EEENSM_IJSG_SG_EEES6_PlJS6_EEE10hipError_tPvRmT3_T4_T5_T6_T7_T9_mT8_P12ihipStream_tbDpT10_ENKUlT_T0_E_clISt17integral_constantIbLb1EES1A_IbLb0EEEEDaS16_S17_EUlS16_E_NS1_11comp_targetILNS1_3genE5ELNS1_11target_archE942ELNS1_3gpuE9ELNS1_3repE0EEENS1_30default_config_static_selectorELNS0_4arch9wavefront6targetE1EEEvT1_
                                        ; -- End function
	.section	.AMDGPU.csdata,"",@progbits
; Kernel info:
; codeLenInByte = 0
; NumSgprs: 4
; NumVgprs: 0
; NumAgprs: 0
; TotalNumVgprs: 0
; ScratchSize: 0
; MemoryBound: 0
; FloatMode: 240
; IeeeMode: 1
; LDSByteSize: 0 bytes/workgroup (compile time only)
; SGPRBlocks: 0
; VGPRBlocks: 0
; NumSGPRsForWavesPerEU: 4
; NumVGPRsForWavesPerEU: 1
; AccumOffset: 4
; Occupancy: 8
; WaveLimiterHint : 0
; COMPUTE_PGM_RSRC2:SCRATCH_EN: 0
; COMPUTE_PGM_RSRC2:USER_SGPR: 6
; COMPUTE_PGM_RSRC2:TRAP_HANDLER: 0
; COMPUTE_PGM_RSRC2:TGID_X_EN: 1
; COMPUTE_PGM_RSRC2:TGID_Y_EN: 0
; COMPUTE_PGM_RSRC2:TGID_Z_EN: 0
; COMPUTE_PGM_RSRC2:TIDIG_COMP_CNT: 0
; COMPUTE_PGM_RSRC3_GFX90A:ACCUM_OFFSET: 0
; COMPUTE_PGM_RSRC3_GFX90A:TG_SPLIT: 0
	.section	.text._ZN7rocprim17ROCPRIM_400000_NS6detail17trampoline_kernelINS0_14default_configENS1_25partition_config_selectorILNS1_17partition_subalgoE1EtNS0_10empty_typeEbEEZZNS1_14partition_implILS5_1ELb0ES3_jN6thrust23THRUST_200600_302600_NS6detail15normal_iteratorINSA_10device_ptrItEEEEPS6_NSA_18transform_iteratorI7is_evenItESF_NSA_11use_defaultESK_EENS0_5tupleIJNSA_16discard_iteratorISK_EESO_EEENSM_IJSG_SG_EEES6_PlJS6_EEE10hipError_tPvRmT3_T4_T5_T6_T7_T9_mT8_P12ihipStream_tbDpT10_ENKUlT_T0_E_clISt17integral_constantIbLb1EES1A_IbLb0EEEEDaS16_S17_EUlS16_E_NS1_11comp_targetILNS1_3genE4ELNS1_11target_archE910ELNS1_3gpuE8ELNS1_3repE0EEENS1_30default_config_static_selectorELNS0_4arch9wavefront6targetE1EEEvT1_,"axG",@progbits,_ZN7rocprim17ROCPRIM_400000_NS6detail17trampoline_kernelINS0_14default_configENS1_25partition_config_selectorILNS1_17partition_subalgoE1EtNS0_10empty_typeEbEEZZNS1_14partition_implILS5_1ELb0ES3_jN6thrust23THRUST_200600_302600_NS6detail15normal_iteratorINSA_10device_ptrItEEEEPS6_NSA_18transform_iteratorI7is_evenItESF_NSA_11use_defaultESK_EENS0_5tupleIJNSA_16discard_iteratorISK_EESO_EEENSM_IJSG_SG_EEES6_PlJS6_EEE10hipError_tPvRmT3_T4_T5_T6_T7_T9_mT8_P12ihipStream_tbDpT10_ENKUlT_T0_E_clISt17integral_constantIbLb1EES1A_IbLb0EEEEDaS16_S17_EUlS16_E_NS1_11comp_targetILNS1_3genE4ELNS1_11target_archE910ELNS1_3gpuE8ELNS1_3repE0EEENS1_30default_config_static_selectorELNS0_4arch9wavefront6targetE1EEEvT1_,comdat
	.protected	_ZN7rocprim17ROCPRIM_400000_NS6detail17trampoline_kernelINS0_14default_configENS1_25partition_config_selectorILNS1_17partition_subalgoE1EtNS0_10empty_typeEbEEZZNS1_14partition_implILS5_1ELb0ES3_jN6thrust23THRUST_200600_302600_NS6detail15normal_iteratorINSA_10device_ptrItEEEEPS6_NSA_18transform_iteratorI7is_evenItESF_NSA_11use_defaultESK_EENS0_5tupleIJNSA_16discard_iteratorISK_EESO_EEENSM_IJSG_SG_EEES6_PlJS6_EEE10hipError_tPvRmT3_T4_T5_T6_T7_T9_mT8_P12ihipStream_tbDpT10_ENKUlT_T0_E_clISt17integral_constantIbLb1EES1A_IbLb0EEEEDaS16_S17_EUlS16_E_NS1_11comp_targetILNS1_3genE4ELNS1_11target_archE910ELNS1_3gpuE8ELNS1_3repE0EEENS1_30default_config_static_selectorELNS0_4arch9wavefront6targetE1EEEvT1_ ; -- Begin function _ZN7rocprim17ROCPRIM_400000_NS6detail17trampoline_kernelINS0_14default_configENS1_25partition_config_selectorILNS1_17partition_subalgoE1EtNS0_10empty_typeEbEEZZNS1_14partition_implILS5_1ELb0ES3_jN6thrust23THRUST_200600_302600_NS6detail15normal_iteratorINSA_10device_ptrItEEEEPS6_NSA_18transform_iteratorI7is_evenItESF_NSA_11use_defaultESK_EENS0_5tupleIJNSA_16discard_iteratorISK_EESO_EEENSM_IJSG_SG_EEES6_PlJS6_EEE10hipError_tPvRmT3_T4_T5_T6_T7_T9_mT8_P12ihipStream_tbDpT10_ENKUlT_T0_E_clISt17integral_constantIbLb1EES1A_IbLb0EEEEDaS16_S17_EUlS16_E_NS1_11comp_targetILNS1_3genE4ELNS1_11target_archE910ELNS1_3gpuE8ELNS1_3repE0EEENS1_30default_config_static_selectorELNS0_4arch9wavefront6targetE1EEEvT1_
	.globl	_ZN7rocprim17ROCPRIM_400000_NS6detail17trampoline_kernelINS0_14default_configENS1_25partition_config_selectorILNS1_17partition_subalgoE1EtNS0_10empty_typeEbEEZZNS1_14partition_implILS5_1ELb0ES3_jN6thrust23THRUST_200600_302600_NS6detail15normal_iteratorINSA_10device_ptrItEEEEPS6_NSA_18transform_iteratorI7is_evenItESF_NSA_11use_defaultESK_EENS0_5tupleIJNSA_16discard_iteratorISK_EESO_EEENSM_IJSG_SG_EEES6_PlJS6_EEE10hipError_tPvRmT3_T4_T5_T6_T7_T9_mT8_P12ihipStream_tbDpT10_ENKUlT_T0_E_clISt17integral_constantIbLb1EES1A_IbLb0EEEEDaS16_S17_EUlS16_E_NS1_11comp_targetILNS1_3genE4ELNS1_11target_archE910ELNS1_3gpuE8ELNS1_3repE0EEENS1_30default_config_static_selectorELNS0_4arch9wavefront6targetE1EEEvT1_
	.p2align	8
	.type	_ZN7rocprim17ROCPRIM_400000_NS6detail17trampoline_kernelINS0_14default_configENS1_25partition_config_selectorILNS1_17partition_subalgoE1EtNS0_10empty_typeEbEEZZNS1_14partition_implILS5_1ELb0ES3_jN6thrust23THRUST_200600_302600_NS6detail15normal_iteratorINSA_10device_ptrItEEEEPS6_NSA_18transform_iteratorI7is_evenItESF_NSA_11use_defaultESK_EENS0_5tupleIJNSA_16discard_iteratorISK_EESO_EEENSM_IJSG_SG_EEES6_PlJS6_EEE10hipError_tPvRmT3_T4_T5_T6_T7_T9_mT8_P12ihipStream_tbDpT10_ENKUlT_T0_E_clISt17integral_constantIbLb1EES1A_IbLb0EEEEDaS16_S17_EUlS16_E_NS1_11comp_targetILNS1_3genE4ELNS1_11target_archE910ELNS1_3gpuE8ELNS1_3repE0EEENS1_30default_config_static_selectorELNS0_4arch9wavefront6targetE1EEEvT1_,@function
_ZN7rocprim17ROCPRIM_400000_NS6detail17trampoline_kernelINS0_14default_configENS1_25partition_config_selectorILNS1_17partition_subalgoE1EtNS0_10empty_typeEbEEZZNS1_14partition_implILS5_1ELb0ES3_jN6thrust23THRUST_200600_302600_NS6detail15normal_iteratorINSA_10device_ptrItEEEEPS6_NSA_18transform_iteratorI7is_evenItESF_NSA_11use_defaultESK_EENS0_5tupleIJNSA_16discard_iteratorISK_EESO_EEENSM_IJSG_SG_EEES6_PlJS6_EEE10hipError_tPvRmT3_T4_T5_T6_T7_T9_mT8_P12ihipStream_tbDpT10_ENKUlT_T0_E_clISt17integral_constantIbLb1EES1A_IbLb0EEEEDaS16_S17_EUlS16_E_NS1_11comp_targetILNS1_3genE4ELNS1_11target_archE910ELNS1_3gpuE8ELNS1_3repE0EEENS1_30default_config_static_selectorELNS0_4arch9wavefront6targetE1EEEvT1_: ; @_ZN7rocprim17ROCPRIM_400000_NS6detail17trampoline_kernelINS0_14default_configENS1_25partition_config_selectorILNS1_17partition_subalgoE1EtNS0_10empty_typeEbEEZZNS1_14partition_implILS5_1ELb0ES3_jN6thrust23THRUST_200600_302600_NS6detail15normal_iteratorINSA_10device_ptrItEEEEPS6_NSA_18transform_iteratorI7is_evenItESF_NSA_11use_defaultESK_EENS0_5tupleIJNSA_16discard_iteratorISK_EESO_EEENSM_IJSG_SG_EEES6_PlJS6_EEE10hipError_tPvRmT3_T4_T5_T6_T7_T9_mT8_P12ihipStream_tbDpT10_ENKUlT_T0_E_clISt17integral_constantIbLb1EES1A_IbLb0EEEEDaS16_S17_EUlS16_E_NS1_11comp_targetILNS1_3genE4ELNS1_11target_archE910ELNS1_3gpuE8ELNS1_3repE0EEENS1_30default_config_static_selectorELNS0_4arch9wavefront6targetE1EEEvT1_
; %bb.0:
	s_load_dwordx2 s[0:1], s[4:5], 0x70
	s_load_dwordx4 s[12:15], s[4:5], 0x8
	s_load_dwordx2 s[2:3], s[4:5], 0x20
	s_load_dwordx4 s[20:23], s[4:5], 0x60
	s_waitcnt lgkmcnt(0)
	v_mov_b32_e32 v3, s1
	s_load_dword s1, s[4:5], 0x88
	s_lshl_b64 s[8:9], s[14:15], 1
	s_add_u32 s16, s12, s8
	s_addc_u32 s17, s13, s9
	v_mov_b32_e32 v2, s0
	s_waitcnt lgkmcnt(0)
	s_add_i32 s10, s1, -1
	s_mulk_i32 s1, 0x1400
	s_add_i32 s7, s1, s14
	s_sub_i32 s7, s0, s7
	s_addk_i32 s7, 0x1400
	s_add_u32 s0, s14, s1
	s_addc_u32 s1, s15, 0
	s_cmp_eq_u32 s6, s10
	s_load_dwordx2 s[18:19], s[22:23], 0x0
	s_cselect_b64 s[22:23], -1, 0
	s_cmp_lg_u32 s6, s10
	s_mul_i32 s12, s6, 0x1400
	s_mov_b32 s13, 0
	v_cmp_lt_u64_e32 vcc, s[0:1], v[2:3]
	s_cselect_b64 s[0:1], -1, 0
	s_or_b64 s[10:11], s[0:1], vcc
	s_lshl_b64 s[12:13], s[12:13], 1
	s_add_u32 s16, s16, s12
	s_addc_u32 s17, s17, s13
	s_mov_b64 s[0:1], -1
	s_and_b64 vcc, exec, s[10:11]
	s_cbranch_vccz .LBB3085_2
; %bb.1:
	v_lshlrev_b32_e32 v1, 1, v0
	v_mov_b32_e32 v3, s17
	v_add_co_u32_e32 v2, vcc, s16, v1
	v_addc_co_u32_e32 v3, vcc, 0, v3, vcc
	v_add_co_u32_e32 v4, vcc, 0x1000, v2
	v_addc_co_u32_e32 v5, vcc, 0, v3, vcc
	flat_load_ushort v6, v[2:3]
	flat_load_ushort v7, v[2:3] offset:512
	flat_load_ushort v8, v[2:3] offset:1024
	;; [unrolled: 1-line block ×7, first 2 shown]
	v_add_co_u32_e32 v2, vcc, 0x2000, v2
	v_addc_co_u32_e32 v3, vcc, 0, v3, vcc
	flat_load_ushort v14, v[4:5]
	flat_load_ushort v15, v[4:5] offset:512
	flat_load_ushort v16, v[4:5] offset:1024
	;; [unrolled: 1-line block ×7, first 2 shown]
	s_nop 0
	flat_load_ushort v4, v[2:3]
	flat_load_ushort v5, v[2:3] offset:512
	flat_load_ushort v22, v[2:3] offset:1024
	;; [unrolled: 1-line block ×3, first 2 shown]
	s_mov_b64 s[0:1], 0
	s_waitcnt vmcnt(0) lgkmcnt(0)
	ds_write_b16 v1, v6
	ds_write_b16 v1, v7 offset:512
	ds_write_b16 v1, v8 offset:1024
	;; [unrolled: 1-line block ×19, first 2 shown]
	s_waitcnt lgkmcnt(0)
	s_barrier
.LBB3085_2:
	s_andn2_b64 vcc, exec, s[0:1]
	v_cmp_gt_u32_e64 s[0:1], s7, v0
	s_cbranch_vccnz .LBB3085_44
; %bb.3:
                                        ; implicit-def: $vgpr1
	s_and_saveexec_b64 s[14:15], s[0:1]
	s_cbranch_execz .LBB3085_5
; %bb.4:
	v_lshlrev_b32_e32 v1, 1, v0
	v_mov_b32_e32 v3, s17
	v_add_co_u32_e32 v2, vcc, s16, v1
	v_addc_co_u32_e32 v3, vcc, 0, v3, vcc
	flat_load_ushort v1, v[2:3]
.LBB3085_5:
	s_or_b64 exec, exec, s[14:15]
	v_or_b32_e32 v2, 0x100, v0
	v_cmp_gt_u32_e32 vcc, s7, v2
                                        ; implicit-def: $vgpr2
	s_and_saveexec_b64 s[0:1], vcc
	s_cbranch_execz .LBB3085_7
; %bb.6:
	v_lshlrev_b32_e32 v2, 1, v0
	v_mov_b32_e32 v3, s17
	v_add_co_u32_e32 v2, vcc, s16, v2
	v_addc_co_u32_e32 v3, vcc, 0, v3, vcc
	flat_load_ushort v2, v[2:3] offset:512
.LBB3085_7:
	s_or_b64 exec, exec, s[0:1]
	v_or_b32_e32 v3, 0x200, v0
	v_cmp_gt_u32_e32 vcc, s7, v3
                                        ; implicit-def: $vgpr3
	s_and_saveexec_b64 s[0:1], vcc
	s_cbranch_execz .LBB3085_9
; %bb.8:
	v_lshlrev_b32_e32 v3, 1, v0
	v_mov_b32_e32 v5, s17
	v_add_co_u32_e32 v4, vcc, s16, v3
	v_addc_co_u32_e32 v5, vcc, 0, v5, vcc
	flat_load_ushort v3, v[4:5] offset:1024
.LBB3085_9:
	s_or_b64 exec, exec, s[0:1]
	v_or_b32_e32 v4, 0x300, v0
	v_cmp_gt_u32_e32 vcc, s7, v4
                                        ; implicit-def: $vgpr4
	s_and_saveexec_b64 s[0:1], vcc
	s_cbranch_execz .LBB3085_11
; %bb.10:
	v_lshlrev_b32_e32 v4, 1, v0
	v_mov_b32_e32 v5, s17
	v_add_co_u32_e32 v4, vcc, s16, v4
	v_addc_co_u32_e32 v5, vcc, 0, v5, vcc
	flat_load_ushort v4, v[4:5] offset:1536
.LBB3085_11:
	s_or_b64 exec, exec, s[0:1]
	v_or_b32_e32 v5, 0x400, v0
	v_cmp_gt_u32_e32 vcc, s7, v5
                                        ; implicit-def: $vgpr5
	s_and_saveexec_b64 s[0:1], vcc
	s_cbranch_execz .LBB3085_13
; %bb.12:
	v_lshlrev_b32_e32 v5, 1, v0
	v_mov_b32_e32 v7, s17
	v_add_co_u32_e32 v6, vcc, s16, v5
	v_addc_co_u32_e32 v7, vcc, 0, v7, vcc
	flat_load_ushort v5, v[6:7] offset:2048
.LBB3085_13:
	s_or_b64 exec, exec, s[0:1]
	v_or_b32_e32 v6, 0x500, v0
	v_cmp_gt_u32_e32 vcc, s7, v6
                                        ; implicit-def: $vgpr6
	s_and_saveexec_b64 s[0:1], vcc
	s_cbranch_execz .LBB3085_15
; %bb.14:
	v_lshlrev_b32_e32 v6, 1, v0
	v_mov_b32_e32 v7, s17
	v_add_co_u32_e32 v6, vcc, s16, v6
	v_addc_co_u32_e32 v7, vcc, 0, v7, vcc
	flat_load_ushort v6, v[6:7] offset:2560
.LBB3085_15:
	s_or_b64 exec, exec, s[0:1]
	v_or_b32_e32 v7, 0x600, v0
	v_cmp_gt_u32_e32 vcc, s7, v7
                                        ; implicit-def: $vgpr7
	s_and_saveexec_b64 s[0:1], vcc
	s_cbranch_execz .LBB3085_17
; %bb.16:
	v_lshlrev_b32_e32 v7, 1, v0
	v_mov_b32_e32 v9, s17
	v_add_co_u32_e32 v8, vcc, s16, v7
	v_addc_co_u32_e32 v9, vcc, 0, v9, vcc
	flat_load_ushort v7, v[8:9] offset:3072
.LBB3085_17:
	s_or_b64 exec, exec, s[0:1]
	v_or_b32_e32 v8, 0x700, v0
	v_cmp_gt_u32_e32 vcc, s7, v8
                                        ; implicit-def: $vgpr8
	s_and_saveexec_b64 s[0:1], vcc
	s_cbranch_execz .LBB3085_19
; %bb.18:
	v_lshlrev_b32_e32 v8, 1, v0
	v_mov_b32_e32 v9, s17
	v_add_co_u32_e32 v8, vcc, s16, v8
	v_addc_co_u32_e32 v9, vcc, 0, v9, vcc
	flat_load_ushort v8, v[8:9] offset:3584
.LBB3085_19:
	s_or_b64 exec, exec, s[0:1]
	v_or_b32_e32 v10, 0x800, v0
	v_cmp_gt_u32_e32 vcc, s7, v10
                                        ; implicit-def: $vgpr9
	s_and_saveexec_b64 s[0:1], vcc
	s_cbranch_execz .LBB3085_21
; %bb.20:
	v_lshlrev_b32_e32 v9, 1, v10
	v_mov_b32_e32 v11, s17
	v_add_co_u32_e32 v10, vcc, s16, v9
	v_addc_co_u32_e32 v11, vcc, 0, v11, vcc
	flat_load_ushort v9, v[10:11]
.LBB3085_21:
	s_or_b64 exec, exec, s[0:1]
	v_or_b32_e32 v11, 0x900, v0
	v_cmp_gt_u32_e32 vcc, s7, v11
                                        ; implicit-def: $vgpr10
	s_and_saveexec_b64 s[0:1], vcc
	s_cbranch_execz .LBB3085_23
; %bb.22:
	v_lshlrev_b32_e32 v10, 1, v11
	v_mov_b32_e32 v11, s17
	v_add_co_u32_e32 v10, vcc, s16, v10
	v_addc_co_u32_e32 v11, vcc, 0, v11, vcc
	flat_load_ushort v10, v[10:11]
.LBB3085_23:
	s_or_b64 exec, exec, s[0:1]
	v_or_b32_e32 v12, 0xa00, v0
	v_cmp_gt_u32_e32 vcc, s7, v12
                                        ; implicit-def: $vgpr11
	s_and_saveexec_b64 s[0:1], vcc
	s_cbranch_execz .LBB3085_25
; %bb.24:
	v_lshlrev_b32_e32 v11, 1, v12
	v_mov_b32_e32 v13, s17
	v_add_co_u32_e32 v12, vcc, s16, v11
	v_addc_co_u32_e32 v13, vcc, 0, v13, vcc
	flat_load_ushort v11, v[12:13]
.LBB3085_25:
	s_or_b64 exec, exec, s[0:1]
	v_or_b32_e32 v13, 0xb00, v0
	v_cmp_gt_u32_e32 vcc, s7, v13
                                        ; implicit-def: $vgpr12
	s_and_saveexec_b64 s[0:1], vcc
	s_cbranch_execz .LBB3085_27
; %bb.26:
	v_lshlrev_b32_e32 v12, 1, v13
	v_mov_b32_e32 v13, s17
	v_add_co_u32_e32 v12, vcc, s16, v12
	v_addc_co_u32_e32 v13, vcc, 0, v13, vcc
	flat_load_ushort v12, v[12:13]
.LBB3085_27:
	s_or_b64 exec, exec, s[0:1]
	v_or_b32_e32 v14, 0xc00, v0
	v_cmp_gt_u32_e32 vcc, s7, v14
                                        ; implicit-def: $vgpr13
	s_and_saveexec_b64 s[0:1], vcc
	s_cbranch_execz .LBB3085_29
; %bb.28:
	v_lshlrev_b32_e32 v13, 1, v14
	v_mov_b32_e32 v15, s17
	v_add_co_u32_e32 v14, vcc, s16, v13
	v_addc_co_u32_e32 v15, vcc, 0, v15, vcc
	flat_load_ushort v13, v[14:15]
.LBB3085_29:
	s_or_b64 exec, exec, s[0:1]
	v_or_b32_e32 v15, 0xd00, v0
	v_cmp_gt_u32_e32 vcc, s7, v15
                                        ; implicit-def: $vgpr14
	s_and_saveexec_b64 s[0:1], vcc
	s_cbranch_execz .LBB3085_31
; %bb.30:
	v_lshlrev_b32_e32 v14, 1, v15
	v_mov_b32_e32 v15, s17
	v_add_co_u32_e32 v14, vcc, s16, v14
	v_addc_co_u32_e32 v15, vcc, 0, v15, vcc
	flat_load_ushort v14, v[14:15]
.LBB3085_31:
	s_or_b64 exec, exec, s[0:1]
	v_or_b32_e32 v16, 0xe00, v0
	v_cmp_gt_u32_e32 vcc, s7, v16
                                        ; implicit-def: $vgpr15
	s_and_saveexec_b64 s[0:1], vcc
	s_cbranch_execz .LBB3085_33
; %bb.32:
	v_lshlrev_b32_e32 v15, 1, v16
	v_mov_b32_e32 v17, s17
	v_add_co_u32_e32 v16, vcc, s16, v15
	v_addc_co_u32_e32 v17, vcc, 0, v17, vcc
	flat_load_ushort v15, v[16:17]
.LBB3085_33:
	s_or_b64 exec, exec, s[0:1]
	v_or_b32_e32 v17, 0xf00, v0
	v_cmp_gt_u32_e32 vcc, s7, v17
                                        ; implicit-def: $vgpr16
	s_and_saveexec_b64 s[0:1], vcc
	s_cbranch_execz .LBB3085_35
; %bb.34:
	v_lshlrev_b32_e32 v16, 1, v17
	v_mov_b32_e32 v17, s17
	v_add_co_u32_e32 v16, vcc, s16, v16
	v_addc_co_u32_e32 v17, vcc, 0, v17, vcc
	flat_load_ushort v16, v[16:17]
.LBB3085_35:
	s_or_b64 exec, exec, s[0:1]
	v_or_b32_e32 v18, 0x1000, v0
	v_cmp_gt_u32_e32 vcc, s7, v18
                                        ; implicit-def: $vgpr17
	s_and_saveexec_b64 s[0:1], vcc
	s_cbranch_execz .LBB3085_37
; %bb.36:
	v_lshlrev_b32_e32 v17, 1, v18
	v_mov_b32_e32 v19, s17
	v_add_co_u32_e32 v18, vcc, s16, v17
	v_addc_co_u32_e32 v19, vcc, 0, v19, vcc
	flat_load_ushort v17, v[18:19]
.LBB3085_37:
	s_or_b64 exec, exec, s[0:1]
	v_or_b32_e32 v19, 0x1100, v0
	v_cmp_gt_u32_e32 vcc, s7, v19
                                        ; implicit-def: $vgpr18
	s_and_saveexec_b64 s[0:1], vcc
	s_cbranch_execz .LBB3085_39
; %bb.38:
	v_lshlrev_b32_e32 v18, 1, v19
	v_mov_b32_e32 v19, s17
	v_add_co_u32_e32 v18, vcc, s16, v18
	v_addc_co_u32_e32 v19, vcc, 0, v19, vcc
	flat_load_ushort v18, v[18:19]
.LBB3085_39:
	s_or_b64 exec, exec, s[0:1]
	v_or_b32_e32 v20, 0x1200, v0
	v_cmp_gt_u32_e32 vcc, s7, v20
                                        ; implicit-def: $vgpr19
	s_and_saveexec_b64 s[0:1], vcc
	s_cbranch_execz .LBB3085_41
; %bb.40:
	v_lshlrev_b32_e32 v19, 1, v20
	v_mov_b32_e32 v21, s17
	v_add_co_u32_e32 v20, vcc, s16, v19
	v_addc_co_u32_e32 v21, vcc, 0, v21, vcc
	flat_load_ushort v19, v[20:21]
.LBB3085_41:
	s_or_b64 exec, exec, s[0:1]
	v_or_b32_e32 v21, 0x1300, v0
	v_cmp_gt_u32_e32 vcc, s7, v21
                                        ; implicit-def: $vgpr20
	s_and_saveexec_b64 s[0:1], vcc
	s_cbranch_execz .LBB3085_43
; %bb.42:
	v_lshlrev_b32_e32 v20, 1, v21
	v_mov_b32_e32 v21, s17
	v_add_co_u32_e32 v20, vcc, s16, v20
	v_addc_co_u32_e32 v21, vcc, 0, v21, vcc
	flat_load_ushort v20, v[20:21]
.LBB3085_43:
	s_or_b64 exec, exec, s[0:1]
	v_lshlrev_b32_e32 v21, 1, v0
	s_waitcnt vmcnt(0) lgkmcnt(0)
	ds_write_b16 v21, v1
	ds_write_b16 v21, v2 offset:512
	ds_write_b16 v21, v3 offset:1024
	;; [unrolled: 1-line block ×19, first 2 shown]
	s_waitcnt lgkmcnt(0)
	s_barrier
.LBB3085_44:
	v_mul_u32_u24_e32 v1, 20, v0
	v_lshlrev_b32_e32 v6, 1, v1
	s_waitcnt lgkmcnt(0)
	ds_read_b64 v[10:11], v6 offset:32
	ds_read2_b64 v[2:5], v6 offset0:2 offset1:3
	ds_read2_b64 v[6:9], v6 offset1:1
	s_add_u32 s0, s2, s8
	s_addc_u32 s1, s3, s9
	s_add_u32 s0, s0, s12
	s_addc_u32 s1, s1, s13
	s_mov_b64 s[2:3], -1
	s_and_b64 vcc, exec, s[10:11]
	s_waitcnt lgkmcnt(0)
	s_barrier
	s_cbranch_vccz .LBB3085_46
; %bb.45:
	v_lshlrev_b32_e32 v12, 1, v0
	v_mov_b32_e32 v13, s1
	v_add_co_u32_e32 v14, vcc, s0, v12
	v_addc_co_u32_e32 v15, vcc, 0, v13, vcc
	s_movk_i32 s2, 0x1000
	global_load_ubyte v16, v12, s[0:1]
	global_load_ubyte v17, v12, s[0:1] offset:512
	global_load_ubyte v18, v12, s[0:1] offset:1024
	;; [unrolled: 1-line block ×7, first 2 shown]
	v_add_co_u32_e32 v12, vcc, s2, v14
	v_addc_co_u32_e32 v13, vcc, 0, v15, vcc
	s_movk_i32 s2, 0x2000
	v_add_co_u32_e32 v14, vcc, s2, v14
	v_addc_co_u32_e32 v15, vcc, 0, v15, vcc
	global_load_ubyte v24, v[14:15], off offset:-4096
	global_load_ubyte v25, v[12:13], off offset:512
	global_load_ubyte v26, v[12:13], off offset:1024
	;; [unrolled: 1-line block ×7, first 2 shown]
	global_load_ubyte v32, v[14:15], off
	global_load_ubyte v33, v[14:15], off offset:512
	global_load_ubyte v34, v[14:15], off offset:1024
	;; [unrolled: 1-line block ×3, first 2 shown]
	s_mov_b64 s[2:3], 0
	s_waitcnt vmcnt(19)
	v_xor_b32_e32 v12, -1, v16
	s_waitcnt vmcnt(18)
	v_xor_b32_e32 v13, -1, v17
	;; [unrolled: 2-line block ×8, first 2 shown]
	v_and_b32_e32 v12, 1, v12
	s_waitcnt vmcnt(11)
	v_xor_b32_e32 v20, -1, v24
	v_and_b32_e32 v13, 1, v13
	v_and_b32_e32 v14, 1, v14
	;; [unrolled: 1-line block ×7, first 2 shown]
	s_waitcnt vmcnt(10)
	v_xor_b32_e32 v21, -1, v25
	s_waitcnt vmcnt(9)
	v_xor_b32_e32 v22, -1, v26
	;; [unrolled: 2-line block ×11, first 2 shown]
	ds_write_b8 v0, v12
	ds_write_b8 v0, v13 offset:256
	ds_write_b8 v0, v14 offset:512
	;; [unrolled: 1-line block ×7, first 2 shown]
	v_and_b32_e32 v12, 1, v20
	v_and_b32_e32 v13, 1, v21
	;; [unrolled: 1-line block ×12, first 2 shown]
	ds_write_b8 v0, v12 offset:2048
	ds_write_b8 v0, v13 offset:2304
	;; [unrolled: 1-line block ×12, first 2 shown]
	s_waitcnt lgkmcnt(0)
	s_barrier
.LBB3085_46:
	s_load_dwordx2 s[24:25], s[4:5], 0x80
	s_andn2_b64 vcc, exec, s[2:3]
	s_cbranch_vccnz .LBB3085_88
; %bb.47:
	v_cmp_gt_u32_e32 vcc, s7, v0
	v_mov_b32_e32 v12, 0
	v_mov_b32_e32 v13, 0
	s_and_saveexec_b64 s[2:3], vcc
	s_cbranch_execz .LBB3085_49
; %bb.48:
	v_lshlrev_b32_e32 v13, 1, v0
	global_load_ubyte v13, v13, s[0:1]
	s_waitcnt vmcnt(0)
	v_xor_b32_e32 v13, -1, v13
	v_and_b32_e32 v13, 1, v13
.LBB3085_49:
	s_or_b64 exec, exec, s[2:3]
	v_or_b32_e32 v14, 0x100, v0
	v_cmp_gt_u32_e32 vcc, s7, v14
	s_and_saveexec_b64 s[2:3], vcc
	s_cbranch_execz .LBB3085_51
; %bb.50:
	v_lshlrev_b32_e32 v12, 1, v0
	global_load_ubyte v12, v12, s[0:1] offset:512
	s_waitcnt vmcnt(0)
	v_xor_b32_e32 v12, -1, v12
	v_and_b32_e32 v12, 1, v12
.LBB3085_51:
	s_or_b64 exec, exec, s[2:3]
	v_or_b32_e32 v14, 0x200, v0
	v_cmp_gt_u32_e32 vcc, s7, v14
	v_mov_b32_e32 v14, 0
	v_mov_b32_e32 v15, 0
	s_and_saveexec_b64 s[2:3], vcc
	s_cbranch_execz .LBB3085_53
; %bb.52:
	v_lshlrev_b32_e32 v15, 1, v0
	global_load_ubyte v15, v15, s[0:1] offset:1024
	s_waitcnt vmcnt(0)
	v_xor_b32_e32 v15, -1, v15
	v_and_b32_e32 v15, 1, v15
.LBB3085_53:
	s_or_b64 exec, exec, s[2:3]
	v_or_b32_e32 v16, 0x300, v0
	v_cmp_gt_u32_e32 vcc, s7, v16
	s_and_saveexec_b64 s[2:3], vcc
	s_cbranch_execz .LBB3085_55
; %bb.54:
	v_lshlrev_b32_e32 v14, 1, v0
	global_load_ubyte v14, v14, s[0:1] offset:1536
	s_waitcnt vmcnt(0)
	v_xor_b32_e32 v14, -1, v14
	v_and_b32_e32 v14, 1, v14
.LBB3085_55:
	s_or_b64 exec, exec, s[2:3]
	v_or_b32_e32 v16, 0x400, v0
	v_cmp_gt_u32_e32 vcc, s7, v16
	v_mov_b32_e32 v16, 0
	v_mov_b32_e32 v17, 0
	s_and_saveexec_b64 s[2:3], vcc
	s_cbranch_execz .LBB3085_57
; %bb.56:
	v_lshlrev_b32_e32 v17, 1, v0
	global_load_ubyte v17, v17, s[0:1] offset:2048
	s_waitcnt vmcnt(0)
	v_xor_b32_e32 v17, -1, v17
	v_and_b32_e32 v17, 1, v17
.LBB3085_57:
	;; [unrolled: 26-line block ×3, first 2 shown]
	s_or_b64 exec, exec, s[2:3]
	v_or_b32_e32 v20, 0x700, v0
	v_cmp_gt_u32_e32 vcc, s7, v20
	s_and_saveexec_b64 s[2:3], vcc
	s_cbranch_execz .LBB3085_63
; %bb.62:
	v_lshlrev_b32_e32 v18, 1, v0
	global_load_ubyte v18, v18, s[0:1] offset:3584
	s_waitcnt vmcnt(0)
	v_xor_b32_e32 v18, -1, v18
	v_and_b32_e32 v18, 1, v18
.LBB3085_63:
	s_or_b64 exec, exec, s[2:3]
	v_or_b32_e32 v22, 0x800, v0
	v_cmp_gt_u32_e32 vcc, s7, v22
	v_mov_b32_e32 v20, 0
	v_mov_b32_e32 v21, 0
	s_and_saveexec_b64 s[2:3], vcc
	s_cbranch_execz .LBB3085_65
; %bb.64:
	v_lshlrev_b32_e32 v21, 1, v22
	global_load_ubyte v21, v21, s[0:1]
	s_waitcnt vmcnt(0)
	v_xor_b32_e32 v21, -1, v21
	v_and_b32_e32 v21, 1, v21
.LBB3085_65:
	s_or_b64 exec, exec, s[2:3]
	v_or_b32_e32 v22, 0x900, v0
	v_cmp_gt_u32_e32 vcc, s7, v22
	s_and_saveexec_b64 s[2:3], vcc
	s_cbranch_execz .LBB3085_67
; %bb.66:
	v_lshlrev_b32_e32 v20, 1, v22
	global_load_ubyte v20, v20, s[0:1]
	s_waitcnt vmcnt(0)
	v_xor_b32_e32 v20, -1, v20
	v_and_b32_e32 v20, 1, v20
.LBB3085_67:
	s_or_b64 exec, exec, s[2:3]
	v_or_b32_e32 v24, 0xa00, v0
	v_cmp_gt_u32_e32 vcc, s7, v24
	v_mov_b32_e32 v22, 0
	v_mov_b32_e32 v23, 0
	s_and_saveexec_b64 s[2:3], vcc
	s_cbranch_execz .LBB3085_69
; %bb.68:
	v_lshlrev_b32_e32 v23, 1, v24
	global_load_ubyte v23, v23, s[0:1]
	s_waitcnt vmcnt(0)
	v_xor_b32_e32 v23, -1, v23
	v_and_b32_e32 v23, 1, v23
.LBB3085_69:
	s_or_b64 exec, exec, s[2:3]
	v_or_b32_e32 v24, 0xb00, v0
	v_cmp_gt_u32_e32 vcc, s7, v24
	s_and_saveexec_b64 s[2:3], vcc
	s_cbranch_execz .LBB3085_71
; %bb.70:
	v_lshlrev_b32_e32 v22, 1, v24
	global_load_ubyte v22, v22, s[0:1]
	s_waitcnt vmcnt(0)
	v_xor_b32_e32 v22, -1, v22
	v_and_b32_e32 v22, 1, v22
.LBB3085_71:
	s_or_b64 exec, exec, s[2:3]
	v_or_b32_e32 v26, 0xc00, v0
	v_cmp_gt_u32_e32 vcc, s7, v26
	v_mov_b32_e32 v24, 0
	v_mov_b32_e32 v25, 0
	s_and_saveexec_b64 s[2:3], vcc
	s_cbranch_execz .LBB3085_73
; %bb.72:
	v_lshlrev_b32_e32 v25, 1, v26
	global_load_ubyte v25, v25, s[0:1]
	s_waitcnt vmcnt(0)
	v_xor_b32_e32 v25, -1, v25
	v_and_b32_e32 v25, 1, v25
.LBB3085_73:
	s_or_b64 exec, exec, s[2:3]
	v_or_b32_e32 v26, 0xd00, v0
	v_cmp_gt_u32_e32 vcc, s7, v26
	s_and_saveexec_b64 s[2:3], vcc
	s_cbranch_execz .LBB3085_75
; %bb.74:
	v_lshlrev_b32_e32 v24, 1, v26
	global_load_ubyte v24, v24, s[0:1]
	s_waitcnt vmcnt(0)
	v_xor_b32_e32 v24, -1, v24
	v_and_b32_e32 v24, 1, v24
.LBB3085_75:
	s_or_b64 exec, exec, s[2:3]
	v_or_b32_e32 v28, 0xe00, v0
	v_cmp_gt_u32_e32 vcc, s7, v28
	v_mov_b32_e32 v26, 0
	v_mov_b32_e32 v27, 0
	s_and_saveexec_b64 s[2:3], vcc
	s_cbranch_execz .LBB3085_77
; %bb.76:
	v_lshlrev_b32_e32 v27, 1, v28
	global_load_ubyte v27, v27, s[0:1]
	s_waitcnt vmcnt(0)
	v_xor_b32_e32 v27, -1, v27
	v_and_b32_e32 v27, 1, v27
.LBB3085_77:
	s_or_b64 exec, exec, s[2:3]
	v_or_b32_e32 v28, 0xf00, v0
	v_cmp_gt_u32_e32 vcc, s7, v28
	s_and_saveexec_b64 s[2:3], vcc
	s_cbranch_execz .LBB3085_79
; %bb.78:
	v_lshlrev_b32_e32 v26, 1, v28
	global_load_ubyte v26, v26, s[0:1]
	s_waitcnt vmcnt(0)
	v_xor_b32_e32 v26, -1, v26
	v_and_b32_e32 v26, 1, v26
.LBB3085_79:
	s_or_b64 exec, exec, s[2:3]
	v_or_b32_e32 v30, 0x1000, v0
	v_cmp_gt_u32_e32 vcc, s7, v30
	v_mov_b32_e32 v28, 0
	v_mov_b32_e32 v29, 0
	s_and_saveexec_b64 s[2:3], vcc
	s_cbranch_execz .LBB3085_81
; %bb.80:
	v_lshlrev_b32_e32 v29, 1, v30
	global_load_ubyte v29, v29, s[0:1]
	s_waitcnt vmcnt(0)
	v_xor_b32_e32 v29, -1, v29
	v_and_b32_e32 v29, 1, v29
.LBB3085_81:
	s_or_b64 exec, exec, s[2:3]
	v_or_b32_e32 v30, 0x1100, v0
	v_cmp_gt_u32_e32 vcc, s7, v30
	s_and_saveexec_b64 s[2:3], vcc
	s_cbranch_execz .LBB3085_83
; %bb.82:
	v_lshlrev_b32_e32 v28, 1, v30
	global_load_ubyte v28, v28, s[0:1]
	s_waitcnt vmcnt(0)
	v_xor_b32_e32 v28, -1, v28
	v_and_b32_e32 v28, 1, v28
.LBB3085_83:
	s_or_b64 exec, exec, s[2:3]
	v_or_b32_e32 v32, 0x1200, v0
	v_cmp_gt_u32_e32 vcc, s7, v32
	v_mov_b32_e32 v30, 0
	v_mov_b32_e32 v31, 0
	s_and_saveexec_b64 s[2:3], vcc
	s_cbranch_execz .LBB3085_85
; %bb.84:
	v_lshlrev_b32_e32 v31, 1, v32
	global_load_ubyte v31, v31, s[0:1]
	s_waitcnt vmcnt(0)
	v_xor_b32_e32 v31, -1, v31
	v_and_b32_e32 v31, 1, v31
.LBB3085_85:
	s_or_b64 exec, exec, s[2:3]
	v_or_b32_e32 v32, 0x1300, v0
	v_cmp_gt_u32_e32 vcc, s7, v32
	s_and_saveexec_b64 s[2:3], vcc
	s_cbranch_execz .LBB3085_87
; %bb.86:
	v_lshlrev_b32_e32 v30, 1, v32
	global_load_ubyte v30, v30, s[0:1]
	s_waitcnt vmcnt(0)
	v_xor_b32_e32 v30, -1, v30
	v_and_b32_e32 v30, 1, v30
.LBB3085_87:
	s_or_b64 exec, exec, s[2:3]
	ds_write_b8 v0, v13
	ds_write_b8 v0, v12 offset:256
	ds_write_b8 v0, v15 offset:512
	;; [unrolled: 1-line block ×19, first 2 shown]
	s_waitcnt lgkmcnt(0)
	s_barrier
.LBB3085_88:
	s_waitcnt lgkmcnt(0)
	ds_read2_b32 v[14:15], v1 offset1:1
	ds_read2_b32 v[12:13], v1 offset0:2 offset1:3
	ds_read_b32 v27, v1 offset:16
	s_cmp_lg_u32 s6, 0
	v_lshrrev_b32_e32 v46, 6, v0
	s_waitcnt lgkmcnt(2)
	v_lshrrev_b32_e32 v32, 24, v14
	v_bfe_u32 v44, v14, 16, 8
	v_add_u32_sdwa v16, v14, v14 dst_sel:DWORD dst_unused:UNUSED_PAD src0_sel:BYTE_1 src1_sel:BYTE_0
	v_and_b32_e32 v41, 0xff, v15
	v_bfe_u32 v42, v15, 8, 8
	v_add3_u32 v16, v16, v44, v32
	v_lshrrev_b32_e32 v31, 24, v15
	v_bfe_u32 v43, v15, 16, 8
	v_add3_u32 v16, v16, v41, v42
	s_waitcnt lgkmcnt(1)
	v_and_b32_e32 v38, 0xff, v12
	v_bfe_u32 v39, v12, 8, 8
	v_add3_u32 v16, v16, v43, v31
	v_lshrrev_b32_e32 v30, 24, v12
	v_bfe_u32 v40, v12, 16, 8
	v_add3_u32 v16, v16, v38, v39
	v_and_b32_e32 v35, 0xff, v13
	v_bfe_u32 v36, v13, 8, 8
	v_add3_u32 v16, v16, v40, v30
	v_lshrrev_b32_e32 v29, 24, v13
	v_bfe_u32 v37, v13, 16, 8
	v_add3_u32 v16, v16, v35, v36
	s_waitcnt lgkmcnt(0)
	v_and_b32_e32 v33, 0xff, v27
	v_bfe_u32 v34, v27, 8, 8
	v_add3_u32 v16, v16, v37, v29
	v_lshrrev_b32_e32 v26, 24, v27
	v_bfe_u32 v28, v27, 16, 8
	v_add3_u32 v16, v16, v33, v34
	v_add3_u32 v47, v16, v28, v26
	v_mbcnt_lo_u32_b32 v16, -1, 0
	v_mbcnt_hi_u32_b32 v45, -1, v16
	v_and_b32_e32 v16, 15, v45
	v_cmp_eq_u32_e64 s[12:13], 0, v16
	v_cmp_lt_u32_e64 s[10:11], 1, v16
	v_cmp_lt_u32_e64 s[8:9], 3, v16
	;; [unrolled: 1-line block ×3, first 2 shown]
	v_and_b32_e32 v16, 16, v45
	v_cmp_eq_u32_e64 s[4:5], 0, v16
	v_or_b32_e32 v16, 63, v0
	v_cmp_lt_u32_e64 s[0:1], 31, v45
	v_cmp_eq_u32_e64 s[2:3], v16, v0
	s_barrier
	s_cbranch_scc0 .LBB3085_119
; %bb.89:
	v_mov_b32_dpp v16, v47 row_shr:1 row_mask:0xf bank_mask:0xf
	v_cndmask_b32_e64 v16, v16, 0, s[12:13]
	v_add_u32_e32 v16, v16, v47
	s_nop 1
	v_mov_b32_dpp v17, v16 row_shr:2 row_mask:0xf bank_mask:0xf
	v_cndmask_b32_e64 v17, 0, v17, s[10:11]
	v_add_u32_e32 v16, v16, v17
	s_nop 1
	v_mov_b32_dpp v17, v16 row_shr:4 row_mask:0xf bank_mask:0xf
	v_cndmask_b32_e64 v17, 0, v17, s[8:9]
	v_add_u32_e32 v16, v16, v17
	s_nop 1
	v_mov_b32_dpp v17, v16 row_shr:8 row_mask:0xf bank_mask:0xf
	v_cndmask_b32_e64 v17, 0, v17, s[16:17]
	v_add_u32_e32 v16, v16, v17
	s_nop 1
	v_mov_b32_dpp v17, v16 row_bcast:15 row_mask:0xf bank_mask:0xf
	v_cndmask_b32_e64 v17, v17, 0, s[4:5]
	v_add_u32_e32 v16, v16, v17
	s_nop 1
	v_mov_b32_dpp v17, v16 row_bcast:31 row_mask:0xf bank_mask:0xf
	v_cndmask_b32_e64 v17, 0, v17, s[0:1]
	v_add_u32_e32 v16, v16, v17
	s_and_saveexec_b64 s[14:15], s[2:3]
	s_cbranch_execz .LBB3085_91
; %bb.90:
	v_lshlrev_b32_e32 v17, 2, v46
	ds_write_b32 v17, v16
.LBB3085_91:
	s_or_b64 exec, exec, s[14:15]
	v_cmp_gt_u32_e32 vcc, 4, v0
	s_waitcnt lgkmcnt(0)
	s_barrier
	s_and_saveexec_b64 s[14:15], vcc
	s_cbranch_execz .LBB3085_93
; %bb.92:
	v_lshlrev_b32_e32 v17, 2, v0
	ds_read_b32 v18, v17
	v_and_b32_e32 v19, 3, v45
	v_cmp_ne_u32_e32 vcc, 0, v19
	s_waitcnt lgkmcnt(0)
	v_mov_b32_dpp v20, v18 row_shr:1 row_mask:0xf bank_mask:0xf
	v_cndmask_b32_e32 v20, 0, v20, vcc
	v_add_u32_e32 v18, v20, v18
	v_cmp_lt_u32_e32 vcc, 1, v19
	s_nop 0
	v_mov_b32_dpp v20, v18 row_shr:2 row_mask:0xf bank_mask:0xf
	v_cndmask_b32_e32 v19, 0, v20, vcc
	v_add_u32_e32 v18, v18, v19
	ds_write_b32 v17, v18
.LBB3085_93:
	s_or_b64 exec, exec, s[14:15]
	v_cmp_gt_u32_e32 vcc, 64, v0
	v_cmp_lt_u32_e64 s[14:15], 63, v0
	s_waitcnt lgkmcnt(0)
	s_barrier
	s_waitcnt lgkmcnt(0)
                                        ; implicit-def: $vgpr48
	s_and_saveexec_b64 s[26:27], s[14:15]
	s_cbranch_execz .LBB3085_95
; %bb.94:
	v_lshl_add_u32 v17, v46, 2, -4
	ds_read_b32 v48, v17
	s_waitcnt lgkmcnt(0)
	v_add_u32_e32 v16, v48, v16
.LBB3085_95:
	s_or_b64 exec, exec, s[26:27]
	v_add_u32_e32 v17, -1, v45
	v_and_b32_e32 v18, 64, v45
	v_cmp_lt_i32_e64 s[14:15], v17, v18
	v_cndmask_b32_e64 v17, v17, v45, s[14:15]
	v_lshlrev_b32_e32 v17, 2, v17
	ds_bpermute_b32 v49, v17, v16
	v_cmp_eq_u32_e64 s[14:15], 0, v45
	s_and_saveexec_b64 s[26:27], vcc
	s_cbranch_execz .LBB3085_118
; %bb.96:
	v_mov_b32_e32 v25, 0
	ds_read_b32 v16, v25 offset:12
	s_and_saveexec_b64 s[28:29], s[14:15]
	s_cbranch_execz .LBB3085_98
; %bb.97:
	s_add_i32 s30, s6, 64
	s_mov_b32 s31, 0
	s_lshl_b64 s[30:31], s[30:31], 3
	s_add_u32 s30, s24, s30
	v_mov_b32_e32 v17, 1
	s_addc_u32 s31, s25, s31
	s_waitcnt lgkmcnt(0)
	global_store_dwordx2 v25, v[16:17], s[30:31]
.LBB3085_98:
	s_or_b64 exec, exec, s[28:29]
	v_xad_u32 v18, v45, -1, s6
	v_add_u32_e32 v24, 64, v18
	v_lshlrev_b64 v[20:21], 3, v[24:25]
	v_mov_b32_e32 v17, s25
	v_add_co_u32_e32 v20, vcc, s24, v20
	v_addc_co_u32_e32 v21, vcc, v17, v21, vcc
	global_load_dwordx2 v[22:23], v[20:21], off glc
	s_waitcnt vmcnt(0)
	v_cmp_eq_u16_sdwa s[30:31], v23, v25 src0_sel:BYTE_0 src1_sel:DWORD
	s_and_saveexec_b64 s[28:29], s[30:31]
	s_cbranch_execz .LBB3085_104
; %bb.99:
	s_mov_b32 s7, 1
	s_mov_b64 s[30:31], 0
	v_mov_b32_e32 v17, 0
.LBB3085_100:                           ; =>This Loop Header: Depth=1
                                        ;     Child Loop BB3085_101 Depth 2
	s_max_u32 s33, s7, 1
.LBB3085_101:                           ;   Parent Loop BB3085_100 Depth=1
                                        ; =>  This Inner Loop Header: Depth=2
	s_add_i32 s33, s33, -1
	s_cmp_eq_u32 s33, 0
	s_sleep 1
	s_cbranch_scc0 .LBB3085_101
; %bb.102:                              ;   in Loop: Header=BB3085_100 Depth=1
	global_load_dwordx2 v[22:23], v[20:21], off glc
	s_cmp_lt_u32 s7, 32
	s_cselect_b64 s[34:35], -1, 0
	s_cmp_lg_u64 s[34:35], 0
	s_addc_u32 s7, s7, 0
	s_waitcnt vmcnt(0)
	v_cmp_ne_u16_sdwa s[34:35], v23, v17 src0_sel:BYTE_0 src1_sel:DWORD
	s_or_b64 s[30:31], s[34:35], s[30:31]
	s_andn2_b64 exec, exec, s[30:31]
	s_cbranch_execnz .LBB3085_100
; %bb.103:
	s_or_b64 exec, exec, s[30:31]
.LBB3085_104:
	s_or_b64 exec, exec, s[28:29]
	v_and_b32_e32 v51, 63, v45
	v_mov_b32_e32 v50, 2
	v_cmp_ne_u32_e32 vcc, 63, v51
	v_cmp_eq_u16_sdwa s[28:29], v23, v50 src0_sel:BYTE_0 src1_sel:DWORD
	v_lshlrev_b64 v[20:21], v45, -1
	v_addc_co_u32_e32 v24, vcc, 0, v45, vcc
	v_and_b32_e32 v17, s29, v21
	v_lshlrev_b32_e32 v52, 2, v24
	v_or_b32_e32 v17, 0x80000000, v17
	ds_bpermute_b32 v24, v52, v22
	v_and_b32_e32 v19, s28, v20
	v_ffbl_b32_e32 v17, v17
	v_add_u32_e32 v17, 32, v17
	v_ffbl_b32_e32 v19, v19
	v_min_u32_e32 v17, v19, v17
	v_cmp_lt_u32_e32 vcc, v51, v17
	s_waitcnt lgkmcnt(0)
	v_cndmask_b32_e32 v19, 0, v24, vcc
	v_cmp_gt_u32_e32 vcc, 62, v51
	v_add_u32_e32 v19, v19, v22
	v_cndmask_b32_e64 v22, 0, 1, vcc
	v_lshlrev_b32_e32 v22, 1, v22
	v_add_lshl_u32 v53, v22, v45, 2
	ds_bpermute_b32 v22, v53, v19
	v_add_u32_e32 v54, 2, v51
	v_cmp_le_u32_e32 vcc, v54, v17
	v_add_u32_e32 v56, 4, v51
	v_add_u32_e32 v58, 8, v51
	s_waitcnt lgkmcnt(0)
	v_cndmask_b32_e32 v22, 0, v22, vcc
	v_cmp_gt_u32_e32 vcc, 60, v51
	v_add_u32_e32 v19, v19, v22
	v_cndmask_b32_e64 v22, 0, 1, vcc
	v_lshlrev_b32_e32 v22, 2, v22
	v_add_lshl_u32 v55, v22, v45, 2
	ds_bpermute_b32 v22, v55, v19
	v_cmp_le_u32_e32 vcc, v56, v17
	v_add_u32_e32 v60, 16, v51
	v_add_u32_e32 v62, 32, v51
	s_waitcnt lgkmcnt(0)
	v_cndmask_b32_e32 v22, 0, v22, vcc
	v_cmp_gt_u32_e32 vcc, 56, v51
	v_add_u32_e32 v19, v19, v22
	v_cndmask_b32_e64 v22, 0, 1, vcc
	v_lshlrev_b32_e32 v22, 3, v22
	v_add_lshl_u32 v57, v22, v45, 2
	ds_bpermute_b32 v22, v57, v19
	v_cmp_le_u32_e32 vcc, v58, v17
	s_waitcnt lgkmcnt(0)
	v_cndmask_b32_e32 v22, 0, v22, vcc
	v_cmp_gt_u32_e32 vcc, 48, v51
	v_add_u32_e32 v19, v19, v22
	v_cndmask_b32_e64 v22, 0, 1, vcc
	v_lshlrev_b32_e32 v22, 4, v22
	v_add_lshl_u32 v59, v22, v45, 2
	ds_bpermute_b32 v22, v59, v19
	v_cmp_le_u32_e32 vcc, v60, v17
	;; [unrolled: 9-line block ×3, first 2 shown]
	s_waitcnt lgkmcnt(0)
	v_cndmask_b32_e32 v17, 0, v22, vcc
	v_add_u32_e32 v22, v19, v17
	v_mov_b32_e32 v19, 0
	s_branch .LBB3085_106
.LBB3085_105:                           ;   in Loop: Header=BB3085_106 Depth=1
	s_or_b64 exec, exec, s[28:29]
	v_cmp_eq_u16_sdwa s[28:29], v23, v50 src0_sel:BYTE_0 src1_sel:DWORD
	v_and_b32_e32 v24, s29, v21
	v_or_b32_e32 v24, 0x80000000, v24
	ds_bpermute_b32 v63, v52, v22
	v_and_b32_e32 v25, s28, v20
	v_ffbl_b32_e32 v24, v24
	v_add_u32_e32 v24, 32, v24
	v_ffbl_b32_e32 v25, v25
	v_min_u32_e32 v24, v25, v24
	v_cmp_lt_u32_e32 vcc, v51, v24
	s_waitcnt lgkmcnt(0)
	v_cndmask_b32_e32 v25, 0, v63, vcc
	v_add_u32_e32 v22, v25, v22
	ds_bpermute_b32 v25, v53, v22
	v_cmp_le_u32_e32 vcc, v54, v24
	v_subrev_u32_e32 v18, 64, v18
	s_waitcnt lgkmcnt(0)
	v_cndmask_b32_e32 v25, 0, v25, vcc
	v_add_u32_e32 v22, v22, v25
	ds_bpermute_b32 v25, v55, v22
	v_cmp_le_u32_e32 vcc, v56, v24
	s_waitcnt lgkmcnt(0)
	v_cndmask_b32_e32 v25, 0, v25, vcc
	v_add_u32_e32 v22, v22, v25
	ds_bpermute_b32 v25, v57, v22
	v_cmp_le_u32_e32 vcc, v58, v24
	;; [unrolled: 5-line block ×4, first 2 shown]
	s_waitcnt lgkmcnt(0)
	v_cndmask_b32_e32 v24, 0, v25, vcc
	v_add3_u32 v22, v24, v17, v22
.LBB3085_106:                           ; =>This Loop Header: Depth=1
                                        ;     Child Loop BB3085_109 Depth 2
                                        ;       Child Loop BB3085_110 Depth 3
	v_cmp_ne_u16_sdwa s[28:29], v23, v50 src0_sel:BYTE_0 src1_sel:DWORD
	v_cndmask_b32_e64 v17, 0, 1, s[28:29]
	;;#ASMSTART
	;;#ASMEND
	v_cmp_ne_u32_e32 vcc, 0, v17
	s_cmp_lg_u64 vcc, exec
	v_mov_b32_e32 v17, v22
	s_cbranch_scc1 .LBB3085_113
; %bb.107:                              ;   in Loop: Header=BB3085_106 Depth=1
	v_lshlrev_b64 v[22:23], 3, v[18:19]
	v_mov_b32_e32 v25, s25
	v_add_co_u32_e32 v24, vcc, s24, v22
	v_addc_co_u32_e32 v25, vcc, v25, v23, vcc
	global_load_dwordx2 v[22:23], v[24:25], off glc
	s_waitcnt vmcnt(0)
	v_cmp_eq_u16_sdwa s[30:31], v23, v19 src0_sel:BYTE_0 src1_sel:DWORD
	s_and_saveexec_b64 s[28:29], s[30:31]
	s_cbranch_execz .LBB3085_105
; %bb.108:                              ;   in Loop: Header=BB3085_106 Depth=1
	s_mov_b32 s7, 1
	s_mov_b64 s[30:31], 0
.LBB3085_109:                           ;   Parent Loop BB3085_106 Depth=1
                                        ; =>  This Loop Header: Depth=2
                                        ;       Child Loop BB3085_110 Depth 3
	s_max_u32 s33, s7, 1
.LBB3085_110:                           ;   Parent Loop BB3085_106 Depth=1
                                        ;     Parent Loop BB3085_109 Depth=2
                                        ; =>    This Inner Loop Header: Depth=3
	s_add_i32 s33, s33, -1
	s_cmp_eq_u32 s33, 0
	s_sleep 1
	s_cbranch_scc0 .LBB3085_110
; %bb.111:                              ;   in Loop: Header=BB3085_109 Depth=2
	global_load_dwordx2 v[22:23], v[24:25], off glc
	s_cmp_lt_u32 s7, 32
	s_cselect_b64 s[34:35], -1, 0
	s_cmp_lg_u64 s[34:35], 0
	s_addc_u32 s7, s7, 0
	s_waitcnt vmcnt(0)
	v_cmp_ne_u16_sdwa s[34:35], v23, v19 src0_sel:BYTE_0 src1_sel:DWORD
	s_or_b64 s[30:31], s[34:35], s[30:31]
	s_andn2_b64 exec, exec, s[30:31]
	s_cbranch_execnz .LBB3085_109
; %bb.112:                              ;   in Loop: Header=BB3085_106 Depth=1
	s_or_b64 exec, exec, s[30:31]
	s_branch .LBB3085_105
.LBB3085_113:                           ;   in Loop: Header=BB3085_106 Depth=1
                                        ; implicit-def: $vgpr22
                                        ; implicit-def: $vgpr23
	s_cbranch_execz .LBB3085_106
; %bb.114:
	s_and_saveexec_b64 s[28:29], s[14:15]
	s_cbranch_execz .LBB3085_116
; %bb.115:
	s_add_i32 s6, s6, 64
	s_mov_b32 s7, 0
	s_lshl_b64 s[6:7], s[6:7], 3
	s_add_u32 s6, s24, s6
	v_add_u32_e32 v18, v17, v16
	v_mov_b32_e32 v19, 2
	s_addc_u32 s7, s25, s7
	v_mov_b32_e32 v20, 0
	global_store_dwordx2 v20, v[18:19], s[6:7]
	ds_write_b64 v20, v[16:17] offset:10240
.LBB3085_116:
	s_or_b64 exec, exec, s[28:29]
	v_cmp_eq_u32_e32 vcc, 0, v0
	s_and_b64 exec, exec, vcc
	s_cbranch_execz .LBB3085_118
; %bb.117:
	v_mov_b32_e32 v16, 0
	ds_write_b32 v16, v17 offset:12
.LBB3085_118:
	s_or_b64 exec, exec, s[26:27]
	v_mov_b32_e32 v16, 0
	s_waitcnt lgkmcnt(0)
	s_barrier
	ds_read_b32 v19, v16 offset:12
	s_waitcnt lgkmcnt(0)
	s_barrier
	ds_read_b64 v[16:17], v16 offset:10240
	v_cndmask_b32_e64 v18, v49, v48, s[14:15]
	v_cmp_ne_u32_e32 vcc, 0, v0
	v_cndmask_b32_e32 v18, 0, v18, vcc
	v_add_u32_e32 v22, v19, v18
	s_branch .LBB3085_129
.LBB3085_119:
                                        ; implicit-def: $vgpr17
                                        ; implicit-def: $vgpr22
	s_cbranch_execz .LBB3085_129
; %bb.120:
	s_waitcnt lgkmcnt(0)
	v_mov_b32_dpp v16, v47 row_shr:1 row_mask:0xf bank_mask:0xf
	v_cndmask_b32_e64 v16, v16, 0, s[12:13]
	v_add_u32_e32 v16, v16, v47
	s_nop 1
	v_mov_b32_dpp v17, v16 row_shr:2 row_mask:0xf bank_mask:0xf
	v_cndmask_b32_e64 v17, 0, v17, s[10:11]
	v_add_u32_e32 v16, v16, v17
	s_nop 1
	v_mov_b32_dpp v17, v16 row_shr:4 row_mask:0xf bank_mask:0xf
	v_cndmask_b32_e64 v17, 0, v17, s[8:9]
	v_add_u32_e32 v16, v16, v17
	s_nop 1
	v_mov_b32_dpp v17, v16 row_shr:8 row_mask:0xf bank_mask:0xf
	v_cndmask_b32_e64 v17, 0, v17, s[16:17]
	v_add_u32_e32 v16, v16, v17
	s_nop 1
	v_mov_b32_dpp v17, v16 row_bcast:15 row_mask:0xf bank_mask:0xf
	v_cndmask_b32_e64 v17, v17, 0, s[4:5]
	v_add_u32_e32 v16, v16, v17
	s_nop 1
	v_mov_b32_dpp v17, v16 row_bcast:31 row_mask:0xf bank_mask:0xf
	v_cndmask_b32_e64 v17, 0, v17, s[0:1]
	v_add_u32_e32 v16, v16, v17
	s_and_saveexec_b64 s[0:1], s[2:3]
	s_cbranch_execz .LBB3085_122
; %bb.121:
	v_lshlrev_b32_e32 v17, 2, v46
	ds_write_b32 v17, v16
.LBB3085_122:
	s_or_b64 exec, exec, s[0:1]
	v_cmp_gt_u32_e32 vcc, 4, v0
	s_waitcnt lgkmcnt(0)
	s_barrier
	s_and_saveexec_b64 s[0:1], vcc
	s_cbranch_execz .LBB3085_124
; %bb.123:
	v_lshlrev_b32_e32 v17, 2, v0
	ds_read_b32 v18, v17
	v_and_b32_e32 v19, 3, v45
	v_cmp_ne_u32_e32 vcc, 0, v19
	s_waitcnt lgkmcnt(0)
	v_mov_b32_dpp v20, v18 row_shr:1 row_mask:0xf bank_mask:0xf
	v_cndmask_b32_e32 v20, 0, v20, vcc
	v_add_u32_e32 v18, v20, v18
	v_cmp_lt_u32_e32 vcc, 1, v19
	s_nop 0
	v_mov_b32_dpp v20, v18 row_shr:2 row_mask:0xf bank_mask:0xf
	v_cndmask_b32_e32 v19, 0, v20, vcc
	v_add_u32_e32 v18, v18, v19
	ds_write_b32 v17, v18
.LBB3085_124:
	s_or_b64 exec, exec, s[0:1]
	v_cmp_lt_u32_e32 vcc, 63, v0
	v_mov_b32_e32 v17, 0
	v_mov_b32_e32 v18, 0
	s_waitcnt lgkmcnt(0)
	s_barrier
	s_and_saveexec_b64 s[0:1], vcc
	s_cbranch_execz .LBB3085_126
; %bb.125:
	v_lshl_add_u32 v18, v46, 2, -4
	ds_read_b32 v18, v18
.LBB3085_126:
	s_or_b64 exec, exec, s[0:1]
	v_add_u32_e32 v19, -1, v45
	v_and_b32_e32 v20, 64, v45
	v_cmp_lt_i32_e32 vcc, v19, v20
	v_cndmask_b32_e32 v19, v19, v45, vcc
	s_waitcnt lgkmcnt(0)
	v_add_u32_e32 v16, v18, v16
	v_lshlrev_b32_e32 v19, 2, v19
	ds_bpermute_b32 v19, v19, v16
	ds_read_b32 v16, v17 offset:12
	v_cmp_eq_u32_e32 vcc, 0, v0
	s_and_saveexec_b64 s[0:1], vcc
	s_cbranch_execz .LBB3085_128
; %bb.127:
	v_mov_b32_e32 v20, 0
	v_mov_b32_e32 v17, 2
	s_waitcnt lgkmcnt(0)
	global_store_dwordx2 v20, v[16:17], s[24:25] offset:512
.LBB3085_128:
	s_or_b64 exec, exec, s[0:1]
	v_cmp_eq_u32_e64 s[0:1], 0, v45
	s_waitcnt lgkmcnt(1)
	v_cndmask_b32_e64 v18, v19, v18, s[0:1]
	v_mov_b32_e32 v17, 0
	v_cndmask_b32_e64 v22, v18, 0, vcc
	s_waitcnt lgkmcnt(0)
	s_barrier
.LBB3085_129:
	v_add_u32_sdwa v24, v22, v14 dst_sel:DWORD dst_unused:UNUSED_PAD src0_sel:DWORD src1_sel:BYTE_0
	s_waitcnt lgkmcnt(0)
	v_add_u32_e32 v1, v16, v1
	v_sub_u32_e32 v22, v22, v17
	v_and_b32_e32 v50, 1, v14
	v_sub_u32_e32 v49, v1, v22
	v_cmp_eq_u32_e32 vcc, 1, v50
	v_cndmask_b32_e32 v22, v49, v22, vcc
	v_lshlrev_b32_e32 v22, 1, v22
	v_lshrrev_b32_e32 v23, 8, v14
	ds_write_b16 v22, v6
	v_sub_u32_e32 v22, v24, v17
	v_add_u32_sdwa v25, v24, v14 dst_sel:DWORD dst_unused:UNUSED_PAD src0_sel:DWORD src1_sel:BYTE_1
	v_sub_u32_e32 v24, v1, v22
	v_and_b32_e32 v23, 1, v23
	v_add_u32_e32 v24, 1, v24
	v_cmp_eq_u32_e32 vcc, 1, v23
	v_cndmask_b32_e32 v22, v24, v22, vcc
	v_lshlrev_b32_e32 v22, 1, v22
	ds_write_b16_d16_hi v22, v6
	v_sub_u32_e32 v6, v25, v17
	v_mov_b32_e32 v23, 1
	v_sub_u32_e32 v22, v1, v6
	v_and_b32_sdwa v14, v23, v14 dst_sel:DWORD dst_unused:UNUSED_PAD src0_sel:DWORD src1_sel:WORD_1
	v_add_u32_e32 v22, 2, v22
	v_cmp_eq_u32_e32 vcc, 1, v14
	v_cndmask_b32_e32 v6, v22, v6, vcc
	v_add_u32_e32 v44, v25, v44
	v_lshlrev_b32_e32 v6, 1, v6
	ds_write_b16 v6, v7
	v_sub_u32_e32 v6, v44, v17
	v_sub_u32_e32 v14, v1, v6
	v_and_b32_e32 v22, 1, v32
	v_add_u32_e32 v14, 3, v14
	v_cmp_eq_u32_e32 vcc, 1, v22
	v_cndmask_b32_e32 v6, v14, v6, vcc
	v_add_u32_e32 v45, v44, v32
	v_lshlrev_b32_e32 v6, 1, v6
	ds_write_b16_d16_hi v6, v7
	v_sub_u32_e32 v6, v45, v17
	v_sub_u32_e32 v7, v1, v6
	v_and_b32_e32 v14, 1, v15
	v_add_u32_e32 v7, 4, v7
	v_cmp_eq_u32_e32 vcc, 1, v14
	v_cndmask_b32_e32 v6, v7, v6, vcc
	v_add_u32_e32 v41, v45, v41
	v_lshlrev_b32_e32 v6, 1, v6
	v_lshrrev_b32_e32 v21, 8, v15
	ds_write_b16 v6, v8
	v_sub_u32_e32 v6, v41, v17
	v_sub_u32_e32 v7, v1, v6
	v_and_b32_e32 v14, 1, v21
	v_add_u32_e32 v7, 5, v7
	v_cmp_eq_u32_e32 vcc, 1, v14
	v_cndmask_b32_e32 v6, v7, v6, vcc
	v_add_u32_e32 v42, v41, v42
	v_lshlrev_b32_e32 v6, 1, v6
	ds_write_b16_d16_hi v6, v8
	v_sub_u32_e32 v6, v42, v17
	v_sub_u32_e32 v7, v1, v6
	v_and_b32_sdwa v8, v23, v15 dst_sel:DWORD dst_unused:UNUSED_PAD src0_sel:DWORD src1_sel:WORD_1
	v_add_u32_e32 v7, 6, v7
	v_cmp_eq_u32_e32 vcc, 1, v8
	v_cndmask_b32_e32 v6, v7, v6, vcc
	v_add_u32_e32 v43, v42, v43
	v_lshlrev_b32_e32 v6, 1, v6
	ds_write_b16 v6, v9
	v_sub_u32_e32 v6, v43, v17
	v_sub_u32_e32 v7, v1, v6
	v_and_b32_e32 v8, 1, v31
	v_add_u32_e32 v7, 7, v7
	v_cmp_eq_u32_e32 vcc, 1, v8
	v_cndmask_b32_e32 v6, v7, v6, vcc
	v_add_u32_e32 v46, v43, v31
	v_lshlrev_b32_e32 v6, 1, v6
	ds_write_b16_d16_hi v6, v9
	v_sub_u32_e32 v6, v46, v17
	v_sub_u32_e32 v7, v1, v6
	v_and_b32_e32 v8, 1, v12
	v_add_u32_e32 v7, 8, v7
	v_cmp_eq_u32_e32 vcc, 1, v8
	v_cndmask_b32_e32 v6, v7, v6, vcc
	v_add_u32_e32 v38, v46, v38
	v_lshlrev_b32_e32 v6, 1, v6
	v_lshrrev_b32_e32 v20, 8, v12
	ds_write_b16 v6, v2
	v_sub_u32_e32 v6, v38, v17
	v_sub_u32_e32 v7, v1, v6
	v_and_b32_e32 v8, 1, v20
	v_add_u32_e32 v7, 9, v7
	v_cmp_eq_u32_e32 vcc, 1, v8
	v_cndmask_b32_e32 v6, v7, v6, vcc
	v_add_u32_e32 v39, v38, v39
	v_lshlrev_b32_e32 v6, 1, v6
	ds_write_b16_d16_hi v6, v2
	v_sub_u32_e32 v2, v39, v17
	;; [unrolled: 37-line block ×4, first 2 shown]
	v_sub_u32_e32 v3, v1, v2
	v_and_b32_sdwa v4, v23, v27 dst_sel:DWORD dst_unused:UNUSED_PAD src0_sel:DWORD src1_sel:WORD_1
	v_add_u32_e32 v3, 18, v3
	v_cmp_eq_u32_e32 vcc, 1, v4
	v_cndmask_b32_e32 v2, v3, v2, vcc
	v_lshlrev_b32_e32 v2, 1, v2
	ds_write_b16 v2, v11
	v_sub_u32_e32 v2, v28, v17
	v_add_u32_e32 v2, v34, v2
	v_sub_u32_e32 v1, v1, v2
	v_and_b32_e32 v3, 1, v26
	v_add_u32_e32 v1, 19, v1
	v_cmp_eq_u32_e32 vcc, 1, v3
	v_cndmask_b32_e32 v1, v1, v2, vcc
	v_cmp_eq_u32_e32 vcc, 0, v0
	v_lshlrev_b32_e32 v1, 1, v1
	s_and_b64 s[0:1], vcc, s[22:23]
	ds_write_b16_d16_hi v1, v11
	s_waitcnt lgkmcnt(0)
	s_barrier
	s_and_saveexec_b64 s[2:3], s[0:1]
	s_cbranch_execz .LBB3085_131
; %bb.130:
	v_mov_b32_e32 v0, s19
	v_add_co_u32_e32 v1, vcc, s18, v16
	v_addc_co_u32_e32 v3, vcc, 0, v0, vcc
	v_add_co_u32_e32 v0, vcc, v1, v17
	v_mov_b32_e32 v2, 0
	v_addc_co_u32_e32 v1, vcc, 0, v3, vcc
	global_store_dwordx2 v2, v[0:1], s[20:21]
.LBB3085_131:
	s_endpgm
	.section	.rodata,"a",@progbits
	.p2align	6, 0x0
	.amdhsa_kernel _ZN7rocprim17ROCPRIM_400000_NS6detail17trampoline_kernelINS0_14default_configENS1_25partition_config_selectorILNS1_17partition_subalgoE1EtNS0_10empty_typeEbEEZZNS1_14partition_implILS5_1ELb0ES3_jN6thrust23THRUST_200600_302600_NS6detail15normal_iteratorINSA_10device_ptrItEEEEPS6_NSA_18transform_iteratorI7is_evenItESF_NSA_11use_defaultESK_EENS0_5tupleIJNSA_16discard_iteratorISK_EESO_EEENSM_IJSG_SG_EEES6_PlJS6_EEE10hipError_tPvRmT3_T4_T5_T6_T7_T9_mT8_P12ihipStream_tbDpT10_ENKUlT_T0_E_clISt17integral_constantIbLb1EES1A_IbLb0EEEEDaS16_S17_EUlS16_E_NS1_11comp_targetILNS1_3genE4ELNS1_11target_archE910ELNS1_3gpuE8ELNS1_3repE0EEENS1_30default_config_static_selectorELNS0_4arch9wavefront6targetE1EEEvT1_
		.amdhsa_group_segment_fixed_size 10248
		.amdhsa_private_segment_fixed_size 0
		.amdhsa_kernarg_size 144
		.amdhsa_user_sgpr_count 6
		.amdhsa_user_sgpr_private_segment_buffer 1
		.amdhsa_user_sgpr_dispatch_ptr 0
		.amdhsa_user_sgpr_queue_ptr 0
		.amdhsa_user_sgpr_kernarg_segment_ptr 1
		.amdhsa_user_sgpr_dispatch_id 0
		.amdhsa_user_sgpr_flat_scratch_init 0
		.amdhsa_user_sgpr_kernarg_preload_length 0
		.amdhsa_user_sgpr_kernarg_preload_offset 0
		.amdhsa_user_sgpr_private_segment_size 0
		.amdhsa_uses_dynamic_stack 0
		.amdhsa_system_sgpr_private_segment_wavefront_offset 0
		.amdhsa_system_sgpr_workgroup_id_x 1
		.amdhsa_system_sgpr_workgroup_id_y 0
		.amdhsa_system_sgpr_workgroup_id_z 0
		.amdhsa_system_sgpr_workgroup_info 0
		.amdhsa_system_vgpr_workitem_id 0
		.amdhsa_next_free_vgpr 64
		.amdhsa_next_free_sgpr 36
		.amdhsa_accum_offset 64
		.amdhsa_reserve_vcc 1
		.amdhsa_reserve_flat_scratch 0
		.amdhsa_float_round_mode_32 0
		.amdhsa_float_round_mode_16_64 0
		.amdhsa_float_denorm_mode_32 3
		.amdhsa_float_denorm_mode_16_64 3
		.amdhsa_dx10_clamp 1
		.amdhsa_ieee_mode 1
		.amdhsa_fp16_overflow 0
		.amdhsa_tg_split 0
		.amdhsa_exception_fp_ieee_invalid_op 0
		.amdhsa_exception_fp_denorm_src 0
		.amdhsa_exception_fp_ieee_div_zero 0
		.amdhsa_exception_fp_ieee_overflow 0
		.amdhsa_exception_fp_ieee_underflow 0
		.amdhsa_exception_fp_ieee_inexact 0
		.amdhsa_exception_int_div_zero 0
	.end_amdhsa_kernel
	.section	.text._ZN7rocprim17ROCPRIM_400000_NS6detail17trampoline_kernelINS0_14default_configENS1_25partition_config_selectorILNS1_17partition_subalgoE1EtNS0_10empty_typeEbEEZZNS1_14partition_implILS5_1ELb0ES3_jN6thrust23THRUST_200600_302600_NS6detail15normal_iteratorINSA_10device_ptrItEEEEPS6_NSA_18transform_iteratorI7is_evenItESF_NSA_11use_defaultESK_EENS0_5tupleIJNSA_16discard_iteratorISK_EESO_EEENSM_IJSG_SG_EEES6_PlJS6_EEE10hipError_tPvRmT3_T4_T5_T6_T7_T9_mT8_P12ihipStream_tbDpT10_ENKUlT_T0_E_clISt17integral_constantIbLb1EES1A_IbLb0EEEEDaS16_S17_EUlS16_E_NS1_11comp_targetILNS1_3genE4ELNS1_11target_archE910ELNS1_3gpuE8ELNS1_3repE0EEENS1_30default_config_static_selectorELNS0_4arch9wavefront6targetE1EEEvT1_,"axG",@progbits,_ZN7rocprim17ROCPRIM_400000_NS6detail17trampoline_kernelINS0_14default_configENS1_25partition_config_selectorILNS1_17partition_subalgoE1EtNS0_10empty_typeEbEEZZNS1_14partition_implILS5_1ELb0ES3_jN6thrust23THRUST_200600_302600_NS6detail15normal_iteratorINSA_10device_ptrItEEEEPS6_NSA_18transform_iteratorI7is_evenItESF_NSA_11use_defaultESK_EENS0_5tupleIJNSA_16discard_iteratorISK_EESO_EEENSM_IJSG_SG_EEES6_PlJS6_EEE10hipError_tPvRmT3_T4_T5_T6_T7_T9_mT8_P12ihipStream_tbDpT10_ENKUlT_T0_E_clISt17integral_constantIbLb1EES1A_IbLb0EEEEDaS16_S17_EUlS16_E_NS1_11comp_targetILNS1_3genE4ELNS1_11target_archE910ELNS1_3gpuE8ELNS1_3repE0EEENS1_30default_config_static_selectorELNS0_4arch9wavefront6targetE1EEEvT1_,comdat
.Lfunc_end3085:
	.size	_ZN7rocprim17ROCPRIM_400000_NS6detail17trampoline_kernelINS0_14default_configENS1_25partition_config_selectorILNS1_17partition_subalgoE1EtNS0_10empty_typeEbEEZZNS1_14partition_implILS5_1ELb0ES3_jN6thrust23THRUST_200600_302600_NS6detail15normal_iteratorINSA_10device_ptrItEEEEPS6_NSA_18transform_iteratorI7is_evenItESF_NSA_11use_defaultESK_EENS0_5tupleIJNSA_16discard_iteratorISK_EESO_EEENSM_IJSG_SG_EEES6_PlJS6_EEE10hipError_tPvRmT3_T4_T5_T6_T7_T9_mT8_P12ihipStream_tbDpT10_ENKUlT_T0_E_clISt17integral_constantIbLb1EES1A_IbLb0EEEEDaS16_S17_EUlS16_E_NS1_11comp_targetILNS1_3genE4ELNS1_11target_archE910ELNS1_3gpuE8ELNS1_3repE0EEENS1_30default_config_static_selectorELNS0_4arch9wavefront6targetE1EEEvT1_, .Lfunc_end3085-_ZN7rocprim17ROCPRIM_400000_NS6detail17trampoline_kernelINS0_14default_configENS1_25partition_config_selectorILNS1_17partition_subalgoE1EtNS0_10empty_typeEbEEZZNS1_14partition_implILS5_1ELb0ES3_jN6thrust23THRUST_200600_302600_NS6detail15normal_iteratorINSA_10device_ptrItEEEEPS6_NSA_18transform_iteratorI7is_evenItESF_NSA_11use_defaultESK_EENS0_5tupleIJNSA_16discard_iteratorISK_EESO_EEENSM_IJSG_SG_EEES6_PlJS6_EEE10hipError_tPvRmT3_T4_T5_T6_T7_T9_mT8_P12ihipStream_tbDpT10_ENKUlT_T0_E_clISt17integral_constantIbLb1EES1A_IbLb0EEEEDaS16_S17_EUlS16_E_NS1_11comp_targetILNS1_3genE4ELNS1_11target_archE910ELNS1_3gpuE8ELNS1_3repE0EEENS1_30default_config_static_selectorELNS0_4arch9wavefront6targetE1EEEvT1_
                                        ; -- End function
	.section	.AMDGPU.csdata,"",@progbits
; Kernel info:
; codeLenInByte = 6728
; NumSgprs: 40
; NumVgprs: 64
; NumAgprs: 0
; TotalNumVgprs: 64
; ScratchSize: 0
; MemoryBound: 0
; FloatMode: 240
; IeeeMode: 1
; LDSByteSize: 10248 bytes/workgroup (compile time only)
; SGPRBlocks: 4
; VGPRBlocks: 7
; NumSGPRsForWavesPerEU: 40
; NumVGPRsForWavesPerEU: 64
; AccumOffset: 64
; Occupancy: 6
; WaveLimiterHint : 1
; COMPUTE_PGM_RSRC2:SCRATCH_EN: 0
; COMPUTE_PGM_RSRC2:USER_SGPR: 6
; COMPUTE_PGM_RSRC2:TRAP_HANDLER: 0
; COMPUTE_PGM_RSRC2:TGID_X_EN: 1
; COMPUTE_PGM_RSRC2:TGID_Y_EN: 0
; COMPUTE_PGM_RSRC2:TGID_Z_EN: 0
; COMPUTE_PGM_RSRC2:TIDIG_COMP_CNT: 0
; COMPUTE_PGM_RSRC3_GFX90A:ACCUM_OFFSET: 15
; COMPUTE_PGM_RSRC3_GFX90A:TG_SPLIT: 0
	.section	.text._ZN7rocprim17ROCPRIM_400000_NS6detail17trampoline_kernelINS0_14default_configENS1_25partition_config_selectorILNS1_17partition_subalgoE1EtNS0_10empty_typeEbEEZZNS1_14partition_implILS5_1ELb0ES3_jN6thrust23THRUST_200600_302600_NS6detail15normal_iteratorINSA_10device_ptrItEEEEPS6_NSA_18transform_iteratorI7is_evenItESF_NSA_11use_defaultESK_EENS0_5tupleIJNSA_16discard_iteratorISK_EESO_EEENSM_IJSG_SG_EEES6_PlJS6_EEE10hipError_tPvRmT3_T4_T5_T6_T7_T9_mT8_P12ihipStream_tbDpT10_ENKUlT_T0_E_clISt17integral_constantIbLb1EES1A_IbLb0EEEEDaS16_S17_EUlS16_E_NS1_11comp_targetILNS1_3genE3ELNS1_11target_archE908ELNS1_3gpuE7ELNS1_3repE0EEENS1_30default_config_static_selectorELNS0_4arch9wavefront6targetE1EEEvT1_,"axG",@progbits,_ZN7rocprim17ROCPRIM_400000_NS6detail17trampoline_kernelINS0_14default_configENS1_25partition_config_selectorILNS1_17partition_subalgoE1EtNS0_10empty_typeEbEEZZNS1_14partition_implILS5_1ELb0ES3_jN6thrust23THRUST_200600_302600_NS6detail15normal_iteratorINSA_10device_ptrItEEEEPS6_NSA_18transform_iteratorI7is_evenItESF_NSA_11use_defaultESK_EENS0_5tupleIJNSA_16discard_iteratorISK_EESO_EEENSM_IJSG_SG_EEES6_PlJS6_EEE10hipError_tPvRmT3_T4_T5_T6_T7_T9_mT8_P12ihipStream_tbDpT10_ENKUlT_T0_E_clISt17integral_constantIbLb1EES1A_IbLb0EEEEDaS16_S17_EUlS16_E_NS1_11comp_targetILNS1_3genE3ELNS1_11target_archE908ELNS1_3gpuE7ELNS1_3repE0EEENS1_30default_config_static_selectorELNS0_4arch9wavefront6targetE1EEEvT1_,comdat
	.protected	_ZN7rocprim17ROCPRIM_400000_NS6detail17trampoline_kernelINS0_14default_configENS1_25partition_config_selectorILNS1_17partition_subalgoE1EtNS0_10empty_typeEbEEZZNS1_14partition_implILS5_1ELb0ES3_jN6thrust23THRUST_200600_302600_NS6detail15normal_iteratorINSA_10device_ptrItEEEEPS6_NSA_18transform_iteratorI7is_evenItESF_NSA_11use_defaultESK_EENS0_5tupleIJNSA_16discard_iteratorISK_EESO_EEENSM_IJSG_SG_EEES6_PlJS6_EEE10hipError_tPvRmT3_T4_T5_T6_T7_T9_mT8_P12ihipStream_tbDpT10_ENKUlT_T0_E_clISt17integral_constantIbLb1EES1A_IbLb0EEEEDaS16_S17_EUlS16_E_NS1_11comp_targetILNS1_3genE3ELNS1_11target_archE908ELNS1_3gpuE7ELNS1_3repE0EEENS1_30default_config_static_selectorELNS0_4arch9wavefront6targetE1EEEvT1_ ; -- Begin function _ZN7rocprim17ROCPRIM_400000_NS6detail17trampoline_kernelINS0_14default_configENS1_25partition_config_selectorILNS1_17partition_subalgoE1EtNS0_10empty_typeEbEEZZNS1_14partition_implILS5_1ELb0ES3_jN6thrust23THRUST_200600_302600_NS6detail15normal_iteratorINSA_10device_ptrItEEEEPS6_NSA_18transform_iteratorI7is_evenItESF_NSA_11use_defaultESK_EENS0_5tupleIJNSA_16discard_iteratorISK_EESO_EEENSM_IJSG_SG_EEES6_PlJS6_EEE10hipError_tPvRmT3_T4_T5_T6_T7_T9_mT8_P12ihipStream_tbDpT10_ENKUlT_T0_E_clISt17integral_constantIbLb1EES1A_IbLb0EEEEDaS16_S17_EUlS16_E_NS1_11comp_targetILNS1_3genE3ELNS1_11target_archE908ELNS1_3gpuE7ELNS1_3repE0EEENS1_30default_config_static_selectorELNS0_4arch9wavefront6targetE1EEEvT1_
	.globl	_ZN7rocprim17ROCPRIM_400000_NS6detail17trampoline_kernelINS0_14default_configENS1_25partition_config_selectorILNS1_17partition_subalgoE1EtNS0_10empty_typeEbEEZZNS1_14partition_implILS5_1ELb0ES3_jN6thrust23THRUST_200600_302600_NS6detail15normal_iteratorINSA_10device_ptrItEEEEPS6_NSA_18transform_iteratorI7is_evenItESF_NSA_11use_defaultESK_EENS0_5tupleIJNSA_16discard_iteratorISK_EESO_EEENSM_IJSG_SG_EEES6_PlJS6_EEE10hipError_tPvRmT3_T4_T5_T6_T7_T9_mT8_P12ihipStream_tbDpT10_ENKUlT_T0_E_clISt17integral_constantIbLb1EES1A_IbLb0EEEEDaS16_S17_EUlS16_E_NS1_11comp_targetILNS1_3genE3ELNS1_11target_archE908ELNS1_3gpuE7ELNS1_3repE0EEENS1_30default_config_static_selectorELNS0_4arch9wavefront6targetE1EEEvT1_
	.p2align	8
	.type	_ZN7rocprim17ROCPRIM_400000_NS6detail17trampoline_kernelINS0_14default_configENS1_25partition_config_selectorILNS1_17partition_subalgoE1EtNS0_10empty_typeEbEEZZNS1_14partition_implILS5_1ELb0ES3_jN6thrust23THRUST_200600_302600_NS6detail15normal_iteratorINSA_10device_ptrItEEEEPS6_NSA_18transform_iteratorI7is_evenItESF_NSA_11use_defaultESK_EENS0_5tupleIJNSA_16discard_iteratorISK_EESO_EEENSM_IJSG_SG_EEES6_PlJS6_EEE10hipError_tPvRmT3_T4_T5_T6_T7_T9_mT8_P12ihipStream_tbDpT10_ENKUlT_T0_E_clISt17integral_constantIbLb1EES1A_IbLb0EEEEDaS16_S17_EUlS16_E_NS1_11comp_targetILNS1_3genE3ELNS1_11target_archE908ELNS1_3gpuE7ELNS1_3repE0EEENS1_30default_config_static_selectorELNS0_4arch9wavefront6targetE1EEEvT1_,@function
_ZN7rocprim17ROCPRIM_400000_NS6detail17trampoline_kernelINS0_14default_configENS1_25partition_config_selectorILNS1_17partition_subalgoE1EtNS0_10empty_typeEbEEZZNS1_14partition_implILS5_1ELb0ES3_jN6thrust23THRUST_200600_302600_NS6detail15normal_iteratorINSA_10device_ptrItEEEEPS6_NSA_18transform_iteratorI7is_evenItESF_NSA_11use_defaultESK_EENS0_5tupleIJNSA_16discard_iteratorISK_EESO_EEENSM_IJSG_SG_EEES6_PlJS6_EEE10hipError_tPvRmT3_T4_T5_T6_T7_T9_mT8_P12ihipStream_tbDpT10_ENKUlT_T0_E_clISt17integral_constantIbLb1EES1A_IbLb0EEEEDaS16_S17_EUlS16_E_NS1_11comp_targetILNS1_3genE3ELNS1_11target_archE908ELNS1_3gpuE7ELNS1_3repE0EEENS1_30default_config_static_selectorELNS0_4arch9wavefront6targetE1EEEvT1_: ; @_ZN7rocprim17ROCPRIM_400000_NS6detail17trampoline_kernelINS0_14default_configENS1_25partition_config_selectorILNS1_17partition_subalgoE1EtNS0_10empty_typeEbEEZZNS1_14partition_implILS5_1ELb0ES3_jN6thrust23THRUST_200600_302600_NS6detail15normal_iteratorINSA_10device_ptrItEEEEPS6_NSA_18transform_iteratorI7is_evenItESF_NSA_11use_defaultESK_EENS0_5tupleIJNSA_16discard_iteratorISK_EESO_EEENSM_IJSG_SG_EEES6_PlJS6_EEE10hipError_tPvRmT3_T4_T5_T6_T7_T9_mT8_P12ihipStream_tbDpT10_ENKUlT_T0_E_clISt17integral_constantIbLb1EES1A_IbLb0EEEEDaS16_S17_EUlS16_E_NS1_11comp_targetILNS1_3genE3ELNS1_11target_archE908ELNS1_3gpuE7ELNS1_3repE0EEENS1_30default_config_static_selectorELNS0_4arch9wavefront6targetE1EEEvT1_
; %bb.0:
	.section	.rodata,"a",@progbits
	.p2align	6, 0x0
	.amdhsa_kernel _ZN7rocprim17ROCPRIM_400000_NS6detail17trampoline_kernelINS0_14default_configENS1_25partition_config_selectorILNS1_17partition_subalgoE1EtNS0_10empty_typeEbEEZZNS1_14partition_implILS5_1ELb0ES3_jN6thrust23THRUST_200600_302600_NS6detail15normal_iteratorINSA_10device_ptrItEEEEPS6_NSA_18transform_iteratorI7is_evenItESF_NSA_11use_defaultESK_EENS0_5tupleIJNSA_16discard_iteratorISK_EESO_EEENSM_IJSG_SG_EEES6_PlJS6_EEE10hipError_tPvRmT3_T4_T5_T6_T7_T9_mT8_P12ihipStream_tbDpT10_ENKUlT_T0_E_clISt17integral_constantIbLb1EES1A_IbLb0EEEEDaS16_S17_EUlS16_E_NS1_11comp_targetILNS1_3genE3ELNS1_11target_archE908ELNS1_3gpuE7ELNS1_3repE0EEENS1_30default_config_static_selectorELNS0_4arch9wavefront6targetE1EEEvT1_
		.amdhsa_group_segment_fixed_size 0
		.amdhsa_private_segment_fixed_size 0
		.amdhsa_kernarg_size 144
		.amdhsa_user_sgpr_count 6
		.amdhsa_user_sgpr_private_segment_buffer 1
		.amdhsa_user_sgpr_dispatch_ptr 0
		.amdhsa_user_sgpr_queue_ptr 0
		.amdhsa_user_sgpr_kernarg_segment_ptr 1
		.amdhsa_user_sgpr_dispatch_id 0
		.amdhsa_user_sgpr_flat_scratch_init 0
		.amdhsa_user_sgpr_kernarg_preload_length 0
		.amdhsa_user_sgpr_kernarg_preload_offset 0
		.amdhsa_user_sgpr_private_segment_size 0
		.amdhsa_uses_dynamic_stack 0
		.amdhsa_system_sgpr_private_segment_wavefront_offset 0
		.amdhsa_system_sgpr_workgroup_id_x 1
		.amdhsa_system_sgpr_workgroup_id_y 0
		.amdhsa_system_sgpr_workgroup_id_z 0
		.amdhsa_system_sgpr_workgroup_info 0
		.amdhsa_system_vgpr_workitem_id 0
		.amdhsa_next_free_vgpr 1
		.amdhsa_next_free_sgpr 0
		.amdhsa_accum_offset 4
		.amdhsa_reserve_vcc 0
		.amdhsa_reserve_flat_scratch 0
		.amdhsa_float_round_mode_32 0
		.amdhsa_float_round_mode_16_64 0
		.amdhsa_float_denorm_mode_32 3
		.amdhsa_float_denorm_mode_16_64 3
		.amdhsa_dx10_clamp 1
		.amdhsa_ieee_mode 1
		.amdhsa_fp16_overflow 0
		.amdhsa_tg_split 0
		.amdhsa_exception_fp_ieee_invalid_op 0
		.amdhsa_exception_fp_denorm_src 0
		.amdhsa_exception_fp_ieee_div_zero 0
		.amdhsa_exception_fp_ieee_overflow 0
		.amdhsa_exception_fp_ieee_underflow 0
		.amdhsa_exception_fp_ieee_inexact 0
		.amdhsa_exception_int_div_zero 0
	.end_amdhsa_kernel
	.section	.text._ZN7rocprim17ROCPRIM_400000_NS6detail17trampoline_kernelINS0_14default_configENS1_25partition_config_selectorILNS1_17partition_subalgoE1EtNS0_10empty_typeEbEEZZNS1_14partition_implILS5_1ELb0ES3_jN6thrust23THRUST_200600_302600_NS6detail15normal_iteratorINSA_10device_ptrItEEEEPS6_NSA_18transform_iteratorI7is_evenItESF_NSA_11use_defaultESK_EENS0_5tupleIJNSA_16discard_iteratorISK_EESO_EEENSM_IJSG_SG_EEES6_PlJS6_EEE10hipError_tPvRmT3_T4_T5_T6_T7_T9_mT8_P12ihipStream_tbDpT10_ENKUlT_T0_E_clISt17integral_constantIbLb1EES1A_IbLb0EEEEDaS16_S17_EUlS16_E_NS1_11comp_targetILNS1_3genE3ELNS1_11target_archE908ELNS1_3gpuE7ELNS1_3repE0EEENS1_30default_config_static_selectorELNS0_4arch9wavefront6targetE1EEEvT1_,"axG",@progbits,_ZN7rocprim17ROCPRIM_400000_NS6detail17trampoline_kernelINS0_14default_configENS1_25partition_config_selectorILNS1_17partition_subalgoE1EtNS0_10empty_typeEbEEZZNS1_14partition_implILS5_1ELb0ES3_jN6thrust23THRUST_200600_302600_NS6detail15normal_iteratorINSA_10device_ptrItEEEEPS6_NSA_18transform_iteratorI7is_evenItESF_NSA_11use_defaultESK_EENS0_5tupleIJNSA_16discard_iteratorISK_EESO_EEENSM_IJSG_SG_EEES6_PlJS6_EEE10hipError_tPvRmT3_T4_T5_T6_T7_T9_mT8_P12ihipStream_tbDpT10_ENKUlT_T0_E_clISt17integral_constantIbLb1EES1A_IbLb0EEEEDaS16_S17_EUlS16_E_NS1_11comp_targetILNS1_3genE3ELNS1_11target_archE908ELNS1_3gpuE7ELNS1_3repE0EEENS1_30default_config_static_selectorELNS0_4arch9wavefront6targetE1EEEvT1_,comdat
.Lfunc_end3086:
	.size	_ZN7rocprim17ROCPRIM_400000_NS6detail17trampoline_kernelINS0_14default_configENS1_25partition_config_selectorILNS1_17partition_subalgoE1EtNS0_10empty_typeEbEEZZNS1_14partition_implILS5_1ELb0ES3_jN6thrust23THRUST_200600_302600_NS6detail15normal_iteratorINSA_10device_ptrItEEEEPS6_NSA_18transform_iteratorI7is_evenItESF_NSA_11use_defaultESK_EENS0_5tupleIJNSA_16discard_iteratorISK_EESO_EEENSM_IJSG_SG_EEES6_PlJS6_EEE10hipError_tPvRmT3_T4_T5_T6_T7_T9_mT8_P12ihipStream_tbDpT10_ENKUlT_T0_E_clISt17integral_constantIbLb1EES1A_IbLb0EEEEDaS16_S17_EUlS16_E_NS1_11comp_targetILNS1_3genE3ELNS1_11target_archE908ELNS1_3gpuE7ELNS1_3repE0EEENS1_30default_config_static_selectorELNS0_4arch9wavefront6targetE1EEEvT1_, .Lfunc_end3086-_ZN7rocprim17ROCPRIM_400000_NS6detail17trampoline_kernelINS0_14default_configENS1_25partition_config_selectorILNS1_17partition_subalgoE1EtNS0_10empty_typeEbEEZZNS1_14partition_implILS5_1ELb0ES3_jN6thrust23THRUST_200600_302600_NS6detail15normal_iteratorINSA_10device_ptrItEEEEPS6_NSA_18transform_iteratorI7is_evenItESF_NSA_11use_defaultESK_EENS0_5tupleIJNSA_16discard_iteratorISK_EESO_EEENSM_IJSG_SG_EEES6_PlJS6_EEE10hipError_tPvRmT3_T4_T5_T6_T7_T9_mT8_P12ihipStream_tbDpT10_ENKUlT_T0_E_clISt17integral_constantIbLb1EES1A_IbLb0EEEEDaS16_S17_EUlS16_E_NS1_11comp_targetILNS1_3genE3ELNS1_11target_archE908ELNS1_3gpuE7ELNS1_3repE0EEENS1_30default_config_static_selectorELNS0_4arch9wavefront6targetE1EEEvT1_
                                        ; -- End function
	.section	.AMDGPU.csdata,"",@progbits
; Kernel info:
; codeLenInByte = 0
; NumSgprs: 4
; NumVgprs: 0
; NumAgprs: 0
; TotalNumVgprs: 0
; ScratchSize: 0
; MemoryBound: 0
; FloatMode: 240
; IeeeMode: 1
; LDSByteSize: 0 bytes/workgroup (compile time only)
; SGPRBlocks: 0
; VGPRBlocks: 0
; NumSGPRsForWavesPerEU: 4
; NumVGPRsForWavesPerEU: 1
; AccumOffset: 4
; Occupancy: 8
; WaveLimiterHint : 0
; COMPUTE_PGM_RSRC2:SCRATCH_EN: 0
; COMPUTE_PGM_RSRC2:USER_SGPR: 6
; COMPUTE_PGM_RSRC2:TRAP_HANDLER: 0
; COMPUTE_PGM_RSRC2:TGID_X_EN: 1
; COMPUTE_PGM_RSRC2:TGID_Y_EN: 0
; COMPUTE_PGM_RSRC2:TGID_Z_EN: 0
; COMPUTE_PGM_RSRC2:TIDIG_COMP_CNT: 0
; COMPUTE_PGM_RSRC3_GFX90A:ACCUM_OFFSET: 0
; COMPUTE_PGM_RSRC3_GFX90A:TG_SPLIT: 0
	.section	.text._ZN7rocprim17ROCPRIM_400000_NS6detail17trampoline_kernelINS0_14default_configENS1_25partition_config_selectorILNS1_17partition_subalgoE1EtNS0_10empty_typeEbEEZZNS1_14partition_implILS5_1ELb0ES3_jN6thrust23THRUST_200600_302600_NS6detail15normal_iteratorINSA_10device_ptrItEEEEPS6_NSA_18transform_iteratorI7is_evenItESF_NSA_11use_defaultESK_EENS0_5tupleIJNSA_16discard_iteratorISK_EESO_EEENSM_IJSG_SG_EEES6_PlJS6_EEE10hipError_tPvRmT3_T4_T5_T6_T7_T9_mT8_P12ihipStream_tbDpT10_ENKUlT_T0_E_clISt17integral_constantIbLb1EES1A_IbLb0EEEEDaS16_S17_EUlS16_E_NS1_11comp_targetILNS1_3genE2ELNS1_11target_archE906ELNS1_3gpuE6ELNS1_3repE0EEENS1_30default_config_static_selectorELNS0_4arch9wavefront6targetE1EEEvT1_,"axG",@progbits,_ZN7rocprim17ROCPRIM_400000_NS6detail17trampoline_kernelINS0_14default_configENS1_25partition_config_selectorILNS1_17partition_subalgoE1EtNS0_10empty_typeEbEEZZNS1_14partition_implILS5_1ELb0ES3_jN6thrust23THRUST_200600_302600_NS6detail15normal_iteratorINSA_10device_ptrItEEEEPS6_NSA_18transform_iteratorI7is_evenItESF_NSA_11use_defaultESK_EENS0_5tupleIJNSA_16discard_iteratorISK_EESO_EEENSM_IJSG_SG_EEES6_PlJS6_EEE10hipError_tPvRmT3_T4_T5_T6_T7_T9_mT8_P12ihipStream_tbDpT10_ENKUlT_T0_E_clISt17integral_constantIbLb1EES1A_IbLb0EEEEDaS16_S17_EUlS16_E_NS1_11comp_targetILNS1_3genE2ELNS1_11target_archE906ELNS1_3gpuE6ELNS1_3repE0EEENS1_30default_config_static_selectorELNS0_4arch9wavefront6targetE1EEEvT1_,comdat
	.protected	_ZN7rocprim17ROCPRIM_400000_NS6detail17trampoline_kernelINS0_14default_configENS1_25partition_config_selectorILNS1_17partition_subalgoE1EtNS0_10empty_typeEbEEZZNS1_14partition_implILS5_1ELb0ES3_jN6thrust23THRUST_200600_302600_NS6detail15normal_iteratorINSA_10device_ptrItEEEEPS6_NSA_18transform_iteratorI7is_evenItESF_NSA_11use_defaultESK_EENS0_5tupleIJNSA_16discard_iteratorISK_EESO_EEENSM_IJSG_SG_EEES6_PlJS6_EEE10hipError_tPvRmT3_T4_T5_T6_T7_T9_mT8_P12ihipStream_tbDpT10_ENKUlT_T0_E_clISt17integral_constantIbLb1EES1A_IbLb0EEEEDaS16_S17_EUlS16_E_NS1_11comp_targetILNS1_3genE2ELNS1_11target_archE906ELNS1_3gpuE6ELNS1_3repE0EEENS1_30default_config_static_selectorELNS0_4arch9wavefront6targetE1EEEvT1_ ; -- Begin function _ZN7rocprim17ROCPRIM_400000_NS6detail17trampoline_kernelINS0_14default_configENS1_25partition_config_selectorILNS1_17partition_subalgoE1EtNS0_10empty_typeEbEEZZNS1_14partition_implILS5_1ELb0ES3_jN6thrust23THRUST_200600_302600_NS6detail15normal_iteratorINSA_10device_ptrItEEEEPS6_NSA_18transform_iteratorI7is_evenItESF_NSA_11use_defaultESK_EENS0_5tupleIJNSA_16discard_iteratorISK_EESO_EEENSM_IJSG_SG_EEES6_PlJS6_EEE10hipError_tPvRmT3_T4_T5_T6_T7_T9_mT8_P12ihipStream_tbDpT10_ENKUlT_T0_E_clISt17integral_constantIbLb1EES1A_IbLb0EEEEDaS16_S17_EUlS16_E_NS1_11comp_targetILNS1_3genE2ELNS1_11target_archE906ELNS1_3gpuE6ELNS1_3repE0EEENS1_30default_config_static_selectorELNS0_4arch9wavefront6targetE1EEEvT1_
	.globl	_ZN7rocprim17ROCPRIM_400000_NS6detail17trampoline_kernelINS0_14default_configENS1_25partition_config_selectorILNS1_17partition_subalgoE1EtNS0_10empty_typeEbEEZZNS1_14partition_implILS5_1ELb0ES3_jN6thrust23THRUST_200600_302600_NS6detail15normal_iteratorINSA_10device_ptrItEEEEPS6_NSA_18transform_iteratorI7is_evenItESF_NSA_11use_defaultESK_EENS0_5tupleIJNSA_16discard_iteratorISK_EESO_EEENSM_IJSG_SG_EEES6_PlJS6_EEE10hipError_tPvRmT3_T4_T5_T6_T7_T9_mT8_P12ihipStream_tbDpT10_ENKUlT_T0_E_clISt17integral_constantIbLb1EES1A_IbLb0EEEEDaS16_S17_EUlS16_E_NS1_11comp_targetILNS1_3genE2ELNS1_11target_archE906ELNS1_3gpuE6ELNS1_3repE0EEENS1_30default_config_static_selectorELNS0_4arch9wavefront6targetE1EEEvT1_
	.p2align	8
	.type	_ZN7rocprim17ROCPRIM_400000_NS6detail17trampoline_kernelINS0_14default_configENS1_25partition_config_selectorILNS1_17partition_subalgoE1EtNS0_10empty_typeEbEEZZNS1_14partition_implILS5_1ELb0ES3_jN6thrust23THRUST_200600_302600_NS6detail15normal_iteratorINSA_10device_ptrItEEEEPS6_NSA_18transform_iteratorI7is_evenItESF_NSA_11use_defaultESK_EENS0_5tupleIJNSA_16discard_iteratorISK_EESO_EEENSM_IJSG_SG_EEES6_PlJS6_EEE10hipError_tPvRmT3_T4_T5_T6_T7_T9_mT8_P12ihipStream_tbDpT10_ENKUlT_T0_E_clISt17integral_constantIbLb1EES1A_IbLb0EEEEDaS16_S17_EUlS16_E_NS1_11comp_targetILNS1_3genE2ELNS1_11target_archE906ELNS1_3gpuE6ELNS1_3repE0EEENS1_30default_config_static_selectorELNS0_4arch9wavefront6targetE1EEEvT1_,@function
_ZN7rocprim17ROCPRIM_400000_NS6detail17trampoline_kernelINS0_14default_configENS1_25partition_config_selectorILNS1_17partition_subalgoE1EtNS0_10empty_typeEbEEZZNS1_14partition_implILS5_1ELb0ES3_jN6thrust23THRUST_200600_302600_NS6detail15normal_iteratorINSA_10device_ptrItEEEEPS6_NSA_18transform_iteratorI7is_evenItESF_NSA_11use_defaultESK_EENS0_5tupleIJNSA_16discard_iteratorISK_EESO_EEENSM_IJSG_SG_EEES6_PlJS6_EEE10hipError_tPvRmT3_T4_T5_T6_T7_T9_mT8_P12ihipStream_tbDpT10_ENKUlT_T0_E_clISt17integral_constantIbLb1EES1A_IbLb0EEEEDaS16_S17_EUlS16_E_NS1_11comp_targetILNS1_3genE2ELNS1_11target_archE906ELNS1_3gpuE6ELNS1_3repE0EEENS1_30default_config_static_selectorELNS0_4arch9wavefront6targetE1EEEvT1_: ; @_ZN7rocprim17ROCPRIM_400000_NS6detail17trampoline_kernelINS0_14default_configENS1_25partition_config_selectorILNS1_17partition_subalgoE1EtNS0_10empty_typeEbEEZZNS1_14partition_implILS5_1ELb0ES3_jN6thrust23THRUST_200600_302600_NS6detail15normal_iteratorINSA_10device_ptrItEEEEPS6_NSA_18transform_iteratorI7is_evenItESF_NSA_11use_defaultESK_EENS0_5tupleIJNSA_16discard_iteratorISK_EESO_EEENSM_IJSG_SG_EEES6_PlJS6_EEE10hipError_tPvRmT3_T4_T5_T6_T7_T9_mT8_P12ihipStream_tbDpT10_ENKUlT_T0_E_clISt17integral_constantIbLb1EES1A_IbLb0EEEEDaS16_S17_EUlS16_E_NS1_11comp_targetILNS1_3genE2ELNS1_11target_archE906ELNS1_3gpuE6ELNS1_3repE0EEENS1_30default_config_static_selectorELNS0_4arch9wavefront6targetE1EEEvT1_
; %bb.0:
	.section	.rodata,"a",@progbits
	.p2align	6, 0x0
	.amdhsa_kernel _ZN7rocprim17ROCPRIM_400000_NS6detail17trampoline_kernelINS0_14default_configENS1_25partition_config_selectorILNS1_17partition_subalgoE1EtNS0_10empty_typeEbEEZZNS1_14partition_implILS5_1ELb0ES3_jN6thrust23THRUST_200600_302600_NS6detail15normal_iteratorINSA_10device_ptrItEEEEPS6_NSA_18transform_iteratorI7is_evenItESF_NSA_11use_defaultESK_EENS0_5tupleIJNSA_16discard_iteratorISK_EESO_EEENSM_IJSG_SG_EEES6_PlJS6_EEE10hipError_tPvRmT3_T4_T5_T6_T7_T9_mT8_P12ihipStream_tbDpT10_ENKUlT_T0_E_clISt17integral_constantIbLb1EES1A_IbLb0EEEEDaS16_S17_EUlS16_E_NS1_11comp_targetILNS1_3genE2ELNS1_11target_archE906ELNS1_3gpuE6ELNS1_3repE0EEENS1_30default_config_static_selectorELNS0_4arch9wavefront6targetE1EEEvT1_
		.amdhsa_group_segment_fixed_size 0
		.amdhsa_private_segment_fixed_size 0
		.amdhsa_kernarg_size 144
		.amdhsa_user_sgpr_count 6
		.amdhsa_user_sgpr_private_segment_buffer 1
		.amdhsa_user_sgpr_dispatch_ptr 0
		.amdhsa_user_sgpr_queue_ptr 0
		.amdhsa_user_sgpr_kernarg_segment_ptr 1
		.amdhsa_user_sgpr_dispatch_id 0
		.amdhsa_user_sgpr_flat_scratch_init 0
		.amdhsa_user_sgpr_kernarg_preload_length 0
		.amdhsa_user_sgpr_kernarg_preload_offset 0
		.amdhsa_user_sgpr_private_segment_size 0
		.amdhsa_uses_dynamic_stack 0
		.amdhsa_system_sgpr_private_segment_wavefront_offset 0
		.amdhsa_system_sgpr_workgroup_id_x 1
		.amdhsa_system_sgpr_workgroup_id_y 0
		.amdhsa_system_sgpr_workgroup_id_z 0
		.amdhsa_system_sgpr_workgroup_info 0
		.amdhsa_system_vgpr_workitem_id 0
		.amdhsa_next_free_vgpr 1
		.amdhsa_next_free_sgpr 0
		.amdhsa_accum_offset 4
		.amdhsa_reserve_vcc 0
		.amdhsa_reserve_flat_scratch 0
		.amdhsa_float_round_mode_32 0
		.amdhsa_float_round_mode_16_64 0
		.amdhsa_float_denorm_mode_32 3
		.amdhsa_float_denorm_mode_16_64 3
		.amdhsa_dx10_clamp 1
		.amdhsa_ieee_mode 1
		.amdhsa_fp16_overflow 0
		.amdhsa_tg_split 0
		.amdhsa_exception_fp_ieee_invalid_op 0
		.amdhsa_exception_fp_denorm_src 0
		.amdhsa_exception_fp_ieee_div_zero 0
		.amdhsa_exception_fp_ieee_overflow 0
		.amdhsa_exception_fp_ieee_underflow 0
		.amdhsa_exception_fp_ieee_inexact 0
		.amdhsa_exception_int_div_zero 0
	.end_amdhsa_kernel
	.section	.text._ZN7rocprim17ROCPRIM_400000_NS6detail17trampoline_kernelINS0_14default_configENS1_25partition_config_selectorILNS1_17partition_subalgoE1EtNS0_10empty_typeEbEEZZNS1_14partition_implILS5_1ELb0ES3_jN6thrust23THRUST_200600_302600_NS6detail15normal_iteratorINSA_10device_ptrItEEEEPS6_NSA_18transform_iteratorI7is_evenItESF_NSA_11use_defaultESK_EENS0_5tupleIJNSA_16discard_iteratorISK_EESO_EEENSM_IJSG_SG_EEES6_PlJS6_EEE10hipError_tPvRmT3_T4_T5_T6_T7_T9_mT8_P12ihipStream_tbDpT10_ENKUlT_T0_E_clISt17integral_constantIbLb1EES1A_IbLb0EEEEDaS16_S17_EUlS16_E_NS1_11comp_targetILNS1_3genE2ELNS1_11target_archE906ELNS1_3gpuE6ELNS1_3repE0EEENS1_30default_config_static_selectorELNS0_4arch9wavefront6targetE1EEEvT1_,"axG",@progbits,_ZN7rocprim17ROCPRIM_400000_NS6detail17trampoline_kernelINS0_14default_configENS1_25partition_config_selectorILNS1_17partition_subalgoE1EtNS0_10empty_typeEbEEZZNS1_14partition_implILS5_1ELb0ES3_jN6thrust23THRUST_200600_302600_NS6detail15normal_iteratorINSA_10device_ptrItEEEEPS6_NSA_18transform_iteratorI7is_evenItESF_NSA_11use_defaultESK_EENS0_5tupleIJNSA_16discard_iteratorISK_EESO_EEENSM_IJSG_SG_EEES6_PlJS6_EEE10hipError_tPvRmT3_T4_T5_T6_T7_T9_mT8_P12ihipStream_tbDpT10_ENKUlT_T0_E_clISt17integral_constantIbLb1EES1A_IbLb0EEEEDaS16_S17_EUlS16_E_NS1_11comp_targetILNS1_3genE2ELNS1_11target_archE906ELNS1_3gpuE6ELNS1_3repE0EEENS1_30default_config_static_selectorELNS0_4arch9wavefront6targetE1EEEvT1_,comdat
.Lfunc_end3087:
	.size	_ZN7rocprim17ROCPRIM_400000_NS6detail17trampoline_kernelINS0_14default_configENS1_25partition_config_selectorILNS1_17partition_subalgoE1EtNS0_10empty_typeEbEEZZNS1_14partition_implILS5_1ELb0ES3_jN6thrust23THRUST_200600_302600_NS6detail15normal_iteratorINSA_10device_ptrItEEEEPS6_NSA_18transform_iteratorI7is_evenItESF_NSA_11use_defaultESK_EENS0_5tupleIJNSA_16discard_iteratorISK_EESO_EEENSM_IJSG_SG_EEES6_PlJS6_EEE10hipError_tPvRmT3_T4_T5_T6_T7_T9_mT8_P12ihipStream_tbDpT10_ENKUlT_T0_E_clISt17integral_constantIbLb1EES1A_IbLb0EEEEDaS16_S17_EUlS16_E_NS1_11comp_targetILNS1_3genE2ELNS1_11target_archE906ELNS1_3gpuE6ELNS1_3repE0EEENS1_30default_config_static_selectorELNS0_4arch9wavefront6targetE1EEEvT1_, .Lfunc_end3087-_ZN7rocprim17ROCPRIM_400000_NS6detail17trampoline_kernelINS0_14default_configENS1_25partition_config_selectorILNS1_17partition_subalgoE1EtNS0_10empty_typeEbEEZZNS1_14partition_implILS5_1ELb0ES3_jN6thrust23THRUST_200600_302600_NS6detail15normal_iteratorINSA_10device_ptrItEEEEPS6_NSA_18transform_iteratorI7is_evenItESF_NSA_11use_defaultESK_EENS0_5tupleIJNSA_16discard_iteratorISK_EESO_EEENSM_IJSG_SG_EEES6_PlJS6_EEE10hipError_tPvRmT3_T4_T5_T6_T7_T9_mT8_P12ihipStream_tbDpT10_ENKUlT_T0_E_clISt17integral_constantIbLb1EES1A_IbLb0EEEEDaS16_S17_EUlS16_E_NS1_11comp_targetILNS1_3genE2ELNS1_11target_archE906ELNS1_3gpuE6ELNS1_3repE0EEENS1_30default_config_static_selectorELNS0_4arch9wavefront6targetE1EEEvT1_
                                        ; -- End function
	.section	.AMDGPU.csdata,"",@progbits
; Kernel info:
; codeLenInByte = 0
; NumSgprs: 4
; NumVgprs: 0
; NumAgprs: 0
; TotalNumVgprs: 0
; ScratchSize: 0
; MemoryBound: 0
; FloatMode: 240
; IeeeMode: 1
; LDSByteSize: 0 bytes/workgroup (compile time only)
; SGPRBlocks: 0
; VGPRBlocks: 0
; NumSGPRsForWavesPerEU: 4
; NumVGPRsForWavesPerEU: 1
; AccumOffset: 4
; Occupancy: 8
; WaveLimiterHint : 0
; COMPUTE_PGM_RSRC2:SCRATCH_EN: 0
; COMPUTE_PGM_RSRC2:USER_SGPR: 6
; COMPUTE_PGM_RSRC2:TRAP_HANDLER: 0
; COMPUTE_PGM_RSRC2:TGID_X_EN: 1
; COMPUTE_PGM_RSRC2:TGID_Y_EN: 0
; COMPUTE_PGM_RSRC2:TGID_Z_EN: 0
; COMPUTE_PGM_RSRC2:TIDIG_COMP_CNT: 0
; COMPUTE_PGM_RSRC3_GFX90A:ACCUM_OFFSET: 0
; COMPUTE_PGM_RSRC3_GFX90A:TG_SPLIT: 0
	.section	.text._ZN7rocprim17ROCPRIM_400000_NS6detail17trampoline_kernelINS0_14default_configENS1_25partition_config_selectorILNS1_17partition_subalgoE1EtNS0_10empty_typeEbEEZZNS1_14partition_implILS5_1ELb0ES3_jN6thrust23THRUST_200600_302600_NS6detail15normal_iteratorINSA_10device_ptrItEEEEPS6_NSA_18transform_iteratorI7is_evenItESF_NSA_11use_defaultESK_EENS0_5tupleIJNSA_16discard_iteratorISK_EESO_EEENSM_IJSG_SG_EEES6_PlJS6_EEE10hipError_tPvRmT3_T4_T5_T6_T7_T9_mT8_P12ihipStream_tbDpT10_ENKUlT_T0_E_clISt17integral_constantIbLb1EES1A_IbLb0EEEEDaS16_S17_EUlS16_E_NS1_11comp_targetILNS1_3genE10ELNS1_11target_archE1200ELNS1_3gpuE4ELNS1_3repE0EEENS1_30default_config_static_selectorELNS0_4arch9wavefront6targetE1EEEvT1_,"axG",@progbits,_ZN7rocprim17ROCPRIM_400000_NS6detail17trampoline_kernelINS0_14default_configENS1_25partition_config_selectorILNS1_17partition_subalgoE1EtNS0_10empty_typeEbEEZZNS1_14partition_implILS5_1ELb0ES3_jN6thrust23THRUST_200600_302600_NS6detail15normal_iteratorINSA_10device_ptrItEEEEPS6_NSA_18transform_iteratorI7is_evenItESF_NSA_11use_defaultESK_EENS0_5tupleIJNSA_16discard_iteratorISK_EESO_EEENSM_IJSG_SG_EEES6_PlJS6_EEE10hipError_tPvRmT3_T4_T5_T6_T7_T9_mT8_P12ihipStream_tbDpT10_ENKUlT_T0_E_clISt17integral_constantIbLb1EES1A_IbLb0EEEEDaS16_S17_EUlS16_E_NS1_11comp_targetILNS1_3genE10ELNS1_11target_archE1200ELNS1_3gpuE4ELNS1_3repE0EEENS1_30default_config_static_selectorELNS0_4arch9wavefront6targetE1EEEvT1_,comdat
	.protected	_ZN7rocprim17ROCPRIM_400000_NS6detail17trampoline_kernelINS0_14default_configENS1_25partition_config_selectorILNS1_17partition_subalgoE1EtNS0_10empty_typeEbEEZZNS1_14partition_implILS5_1ELb0ES3_jN6thrust23THRUST_200600_302600_NS6detail15normal_iteratorINSA_10device_ptrItEEEEPS6_NSA_18transform_iteratorI7is_evenItESF_NSA_11use_defaultESK_EENS0_5tupleIJNSA_16discard_iteratorISK_EESO_EEENSM_IJSG_SG_EEES6_PlJS6_EEE10hipError_tPvRmT3_T4_T5_T6_T7_T9_mT8_P12ihipStream_tbDpT10_ENKUlT_T0_E_clISt17integral_constantIbLb1EES1A_IbLb0EEEEDaS16_S17_EUlS16_E_NS1_11comp_targetILNS1_3genE10ELNS1_11target_archE1200ELNS1_3gpuE4ELNS1_3repE0EEENS1_30default_config_static_selectorELNS0_4arch9wavefront6targetE1EEEvT1_ ; -- Begin function _ZN7rocprim17ROCPRIM_400000_NS6detail17trampoline_kernelINS0_14default_configENS1_25partition_config_selectorILNS1_17partition_subalgoE1EtNS0_10empty_typeEbEEZZNS1_14partition_implILS5_1ELb0ES3_jN6thrust23THRUST_200600_302600_NS6detail15normal_iteratorINSA_10device_ptrItEEEEPS6_NSA_18transform_iteratorI7is_evenItESF_NSA_11use_defaultESK_EENS0_5tupleIJNSA_16discard_iteratorISK_EESO_EEENSM_IJSG_SG_EEES6_PlJS6_EEE10hipError_tPvRmT3_T4_T5_T6_T7_T9_mT8_P12ihipStream_tbDpT10_ENKUlT_T0_E_clISt17integral_constantIbLb1EES1A_IbLb0EEEEDaS16_S17_EUlS16_E_NS1_11comp_targetILNS1_3genE10ELNS1_11target_archE1200ELNS1_3gpuE4ELNS1_3repE0EEENS1_30default_config_static_selectorELNS0_4arch9wavefront6targetE1EEEvT1_
	.globl	_ZN7rocprim17ROCPRIM_400000_NS6detail17trampoline_kernelINS0_14default_configENS1_25partition_config_selectorILNS1_17partition_subalgoE1EtNS0_10empty_typeEbEEZZNS1_14partition_implILS5_1ELb0ES3_jN6thrust23THRUST_200600_302600_NS6detail15normal_iteratorINSA_10device_ptrItEEEEPS6_NSA_18transform_iteratorI7is_evenItESF_NSA_11use_defaultESK_EENS0_5tupleIJNSA_16discard_iteratorISK_EESO_EEENSM_IJSG_SG_EEES6_PlJS6_EEE10hipError_tPvRmT3_T4_T5_T6_T7_T9_mT8_P12ihipStream_tbDpT10_ENKUlT_T0_E_clISt17integral_constantIbLb1EES1A_IbLb0EEEEDaS16_S17_EUlS16_E_NS1_11comp_targetILNS1_3genE10ELNS1_11target_archE1200ELNS1_3gpuE4ELNS1_3repE0EEENS1_30default_config_static_selectorELNS0_4arch9wavefront6targetE1EEEvT1_
	.p2align	8
	.type	_ZN7rocprim17ROCPRIM_400000_NS6detail17trampoline_kernelINS0_14default_configENS1_25partition_config_selectorILNS1_17partition_subalgoE1EtNS0_10empty_typeEbEEZZNS1_14partition_implILS5_1ELb0ES3_jN6thrust23THRUST_200600_302600_NS6detail15normal_iteratorINSA_10device_ptrItEEEEPS6_NSA_18transform_iteratorI7is_evenItESF_NSA_11use_defaultESK_EENS0_5tupleIJNSA_16discard_iteratorISK_EESO_EEENSM_IJSG_SG_EEES6_PlJS6_EEE10hipError_tPvRmT3_T4_T5_T6_T7_T9_mT8_P12ihipStream_tbDpT10_ENKUlT_T0_E_clISt17integral_constantIbLb1EES1A_IbLb0EEEEDaS16_S17_EUlS16_E_NS1_11comp_targetILNS1_3genE10ELNS1_11target_archE1200ELNS1_3gpuE4ELNS1_3repE0EEENS1_30default_config_static_selectorELNS0_4arch9wavefront6targetE1EEEvT1_,@function
_ZN7rocprim17ROCPRIM_400000_NS6detail17trampoline_kernelINS0_14default_configENS1_25partition_config_selectorILNS1_17partition_subalgoE1EtNS0_10empty_typeEbEEZZNS1_14partition_implILS5_1ELb0ES3_jN6thrust23THRUST_200600_302600_NS6detail15normal_iteratorINSA_10device_ptrItEEEEPS6_NSA_18transform_iteratorI7is_evenItESF_NSA_11use_defaultESK_EENS0_5tupleIJNSA_16discard_iteratorISK_EESO_EEENSM_IJSG_SG_EEES6_PlJS6_EEE10hipError_tPvRmT3_T4_T5_T6_T7_T9_mT8_P12ihipStream_tbDpT10_ENKUlT_T0_E_clISt17integral_constantIbLb1EES1A_IbLb0EEEEDaS16_S17_EUlS16_E_NS1_11comp_targetILNS1_3genE10ELNS1_11target_archE1200ELNS1_3gpuE4ELNS1_3repE0EEENS1_30default_config_static_selectorELNS0_4arch9wavefront6targetE1EEEvT1_: ; @_ZN7rocprim17ROCPRIM_400000_NS6detail17trampoline_kernelINS0_14default_configENS1_25partition_config_selectorILNS1_17partition_subalgoE1EtNS0_10empty_typeEbEEZZNS1_14partition_implILS5_1ELb0ES3_jN6thrust23THRUST_200600_302600_NS6detail15normal_iteratorINSA_10device_ptrItEEEEPS6_NSA_18transform_iteratorI7is_evenItESF_NSA_11use_defaultESK_EENS0_5tupleIJNSA_16discard_iteratorISK_EESO_EEENSM_IJSG_SG_EEES6_PlJS6_EEE10hipError_tPvRmT3_T4_T5_T6_T7_T9_mT8_P12ihipStream_tbDpT10_ENKUlT_T0_E_clISt17integral_constantIbLb1EES1A_IbLb0EEEEDaS16_S17_EUlS16_E_NS1_11comp_targetILNS1_3genE10ELNS1_11target_archE1200ELNS1_3gpuE4ELNS1_3repE0EEENS1_30default_config_static_selectorELNS0_4arch9wavefront6targetE1EEEvT1_
; %bb.0:
	.section	.rodata,"a",@progbits
	.p2align	6, 0x0
	.amdhsa_kernel _ZN7rocprim17ROCPRIM_400000_NS6detail17trampoline_kernelINS0_14default_configENS1_25partition_config_selectorILNS1_17partition_subalgoE1EtNS0_10empty_typeEbEEZZNS1_14partition_implILS5_1ELb0ES3_jN6thrust23THRUST_200600_302600_NS6detail15normal_iteratorINSA_10device_ptrItEEEEPS6_NSA_18transform_iteratorI7is_evenItESF_NSA_11use_defaultESK_EENS0_5tupleIJNSA_16discard_iteratorISK_EESO_EEENSM_IJSG_SG_EEES6_PlJS6_EEE10hipError_tPvRmT3_T4_T5_T6_T7_T9_mT8_P12ihipStream_tbDpT10_ENKUlT_T0_E_clISt17integral_constantIbLb1EES1A_IbLb0EEEEDaS16_S17_EUlS16_E_NS1_11comp_targetILNS1_3genE10ELNS1_11target_archE1200ELNS1_3gpuE4ELNS1_3repE0EEENS1_30default_config_static_selectorELNS0_4arch9wavefront6targetE1EEEvT1_
		.amdhsa_group_segment_fixed_size 0
		.amdhsa_private_segment_fixed_size 0
		.amdhsa_kernarg_size 144
		.amdhsa_user_sgpr_count 6
		.amdhsa_user_sgpr_private_segment_buffer 1
		.amdhsa_user_sgpr_dispatch_ptr 0
		.amdhsa_user_sgpr_queue_ptr 0
		.amdhsa_user_sgpr_kernarg_segment_ptr 1
		.amdhsa_user_sgpr_dispatch_id 0
		.amdhsa_user_sgpr_flat_scratch_init 0
		.amdhsa_user_sgpr_kernarg_preload_length 0
		.amdhsa_user_sgpr_kernarg_preload_offset 0
		.amdhsa_user_sgpr_private_segment_size 0
		.amdhsa_uses_dynamic_stack 0
		.amdhsa_system_sgpr_private_segment_wavefront_offset 0
		.amdhsa_system_sgpr_workgroup_id_x 1
		.amdhsa_system_sgpr_workgroup_id_y 0
		.amdhsa_system_sgpr_workgroup_id_z 0
		.amdhsa_system_sgpr_workgroup_info 0
		.amdhsa_system_vgpr_workitem_id 0
		.amdhsa_next_free_vgpr 1
		.amdhsa_next_free_sgpr 0
		.amdhsa_accum_offset 4
		.amdhsa_reserve_vcc 0
		.amdhsa_reserve_flat_scratch 0
		.amdhsa_float_round_mode_32 0
		.amdhsa_float_round_mode_16_64 0
		.amdhsa_float_denorm_mode_32 3
		.amdhsa_float_denorm_mode_16_64 3
		.amdhsa_dx10_clamp 1
		.amdhsa_ieee_mode 1
		.amdhsa_fp16_overflow 0
		.amdhsa_tg_split 0
		.amdhsa_exception_fp_ieee_invalid_op 0
		.amdhsa_exception_fp_denorm_src 0
		.amdhsa_exception_fp_ieee_div_zero 0
		.amdhsa_exception_fp_ieee_overflow 0
		.amdhsa_exception_fp_ieee_underflow 0
		.amdhsa_exception_fp_ieee_inexact 0
		.amdhsa_exception_int_div_zero 0
	.end_amdhsa_kernel
	.section	.text._ZN7rocprim17ROCPRIM_400000_NS6detail17trampoline_kernelINS0_14default_configENS1_25partition_config_selectorILNS1_17partition_subalgoE1EtNS0_10empty_typeEbEEZZNS1_14partition_implILS5_1ELb0ES3_jN6thrust23THRUST_200600_302600_NS6detail15normal_iteratorINSA_10device_ptrItEEEEPS6_NSA_18transform_iteratorI7is_evenItESF_NSA_11use_defaultESK_EENS0_5tupleIJNSA_16discard_iteratorISK_EESO_EEENSM_IJSG_SG_EEES6_PlJS6_EEE10hipError_tPvRmT3_T4_T5_T6_T7_T9_mT8_P12ihipStream_tbDpT10_ENKUlT_T0_E_clISt17integral_constantIbLb1EES1A_IbLb0EEEEDaS16_S17_EUlS16_E_NS1_11comp_targetILNS1_3genE10ELNS1_11target_archE1200ELNS1_3gpuE4ELNS1_3repE0EEENS1_30default_config_static_selectorELNS0_4arch9wavefront6targetE1EEEvT1_,"axG",@progbits,_ZN7rocprim17ROCPRIM_400000_NS6detail17trampoline_kernelINS0_14default_configENS1_25partition_config_selectorILNS1_17partition_subalgoE1EtNS0_10empty_typeEbEEZZNS1_14partition_implILS5_1ELb0ES3_jN6thrust23THRUST_200600_302600_NS6detail15normal_iteratorINSA_10device_ptrItEEEEPS6_NSA_18transform_iteratorI7is_evenItESF_NSA_11use_defaultESK_EENS0_5tupleIJNSA_16discard_iteratorISK_EESO_EEENSM_IJSG_SG_EEES6_PlJS6_EEE10hipError_tPvRmT3_T4_T5_T6_T7_T9_mT8_P12ihipStream_tbDpT10_ENKUlT_T0_E_clISt17integral_constantIbLb1EES1A_IbLb0EEEEDaS16_S17_EUlS16_E_NS1_11comp_targetILNS1_3genE10ELNS1_11target_archE1200ELNS1_3gpuE4ELNS1_3repE0EEENS1_30default_config_static_selectorELNS0_4arch9wavefront6targetE1EEEvT1_,comdat
.Lfunc_end3088:
	.size	_ZN7rocprim17ROCPRIM_400000_NS6detail17trampoline_kernelINS0_14default_configENS1_25partition_config_selectorILNS1_17partition_subalgoE1EtNS0_10empty_typeEbEEZZNS1_14partition_implILS5_1ELb0ES3_jN6thrust23THRUST_200600_302600_NS6detail15normal_iteratorINSA_10device_ptrItEEEEPS6_NSA_18transform_iteratorI7is_evenItESF_NSA_11use_defaultESK_EENS0_5tupleIJNSA_16discard_iteratorISK_EESO_EEENSM_IJSG_SG_EEES6_PlJS6_EEE10hipError_tPvRmT3_T4_T5_T6_T7_T9_mT8_P12ihipStream_tbDpT10_ENKUlT_T0_E_clISt17integral_constantIbLb1EES1A_IbLb0EEEEDaS16_S17_EUlS16_E_NS1_11comp_targetILNS1_3genE10ELNS1_11target_archE1200ELNS1_3gpuE4ELNS1_3repE0EEENS1_30default_config_static_selectorELNS0_4arch9wavefront6targetE1EEEvT1_, .Lfunc_end3088-_ZN7rocprim17ROCPRIM_400000_NS6detail17trampoline_kernelINS0_14default_configENS1_25partition_config_selectorILNS1_17partition_subalgoE1EtNS0_10empty_typeEbEEZZNS1_14partition_implILS5_1ELb0ES3_jN6thrust23THRUST_200600_302600_NS6detail15normal_iteratorINSA_10device_ptrItEEEEPS6_NSA_18transform_iteratorI7is_evenItESF_NSA_11use_defaultESK_EENS0_5tupleIJNSA_16discard_iteratorISK_EESO_EEENSM_IJSG_SG_EEES6_PlJS6_EEE10hipError_tPvRmT3_T4_T5_T6_T7_T9_mT8_P12ihipStream_tbDpT10_ENKUlT_T0_E_clISt17integral_constantIbLb1EES1A_IbLb0EEEEDaS16_S17_EUlS16_E_NS1_11comp_targetILNS1_3genE10ELNS1_11target_archE1200ELNS1_3gpuE4ELNS1_3repE0EEENS1_30default_config_static_selectorELNS0_4arch9wavefront6targetE1EEEvT1_
                                        ; -- End function
	.section	.AMDGPU.csdata,"",@progbits
; Kernel info:
; codeLenInByte = 0
; NumSgprs: 4
; NumVgprs: 0
; NumAgprs: 0
; TotalNumVgprs: 0
; ScratchSize: 0
; MemoryBound: 0
; FloatMode: 240
; IeeeMode: 1
; LDSByteSize: 0 bytes/workgroup (compile time only)
; SGPRBlocks: 0
; VGPRBlocks: 0
; NumSGPRsForWavesPerEU: 4
; NumVGPRsForWavesPerEU: 1
; AccumOffset: 4
; Occupancy: 8
; WaveLimiterHint : 0
; COMPUTE_PGM_RSRC2:SCRATCH_EN: 0
; COMPUTE_PGM_RSRC2:USER_SGPR: 6
; COMPUTE_PGM_RSRC2:TRAP_HANDLER: 0
; COMPUTE_PGM_RSRC2:TGID_X_EN: 1
; COMPUTE_PGM_RSRC2:TGID_Y_EN: 0
; COMPUTE_PGM_RSRC2:TGID_Z_EN: 0
; COMPUTE_PGM_RSRC2:TIDIG_COMP_CNT: 0
; COMPUTE_PGM_RSRC3_GFX90A:ACCUM_OFFSET: 0
; COMPUTE_PGM_RSRC3_GFX90A:TG_SPLIT: 0
	.section	.text._ZN7rocprim17ROCPRIM_400000_NS6detail17trampoline_kernelINS0_14default_configENS1_25partition_config_selectorILNS1_17partition_subalgoE1EtNS0_10empty_typeEbEEZZNS1_14partition_implILS5_1ELb0ES3_jN6thrust23THRUST_200600_302600_NS6detail15normal_iteratorINSA_10device_ptrItEEEEPS6_NSA_18transform_iteratorI7is_evenItESF_NSA_11use_defaultESK_EENS0_5tupleIJNSA_16discard_iteratorISK_EESO_EEENSM_IJSG_SG_EEES6_PlJS6_EEE10hipError_tPvRmT3_T4_T5_T6_T7_T9_mT8_P12ihipStream_tbDpT10_ENKUlT_T0_E_clISt17integral_constantIbLb1EES1A_IbLb0EEEEDaS16_S17_EUlS16_E_NS1_11comp_targetILNS1_3genE9ELNS1_11target_archE1100ELNS1_3gpuE3ELNS1_3repE0EEENS1_30default_config_static_selectorELNS0_4arch9wavefront6targetE1EEEvT1_,"axG",@progbits,_ZN7rocprim17ROCPRIM_400000_NS6detail17trampoline_kernelINS0_14default_configENS1_25partition_config_selectorILNS1_17partition_subalgoE1EtNS0_10empty_typeEbEEZZNS1_14partition_implILS5_1ELb0ES3_jN6thrust23THRUST_200600_302600_NS6detail15normal_iteratorINSA_10device_ptrItEEEEPS6_NSA_18transform_iteratorI7is_evenItESF_NSA_11use_defaultESK_EENS0_5tupleIJNSA_16discard_iteratorISK_EESO_EEENSM_IJSG_SG_EEES6_PlJS6_EEE10hipError_tPvRmT3_T4_T5_T6_T7_T9_mT8_P12ihipStream_tbDpT10_ENKUlT_T0_E_clISt17integral_constantIbLb1EES1A_IbLb0EEEEDaS16_S17_EUlS16_E_NS1_11comp_targetILNS1_3genE9ELNS1_11target_archE1100ELNS1_3gpuE3ELNS1_3repE0EEENS1_30default_config_static_selectorELNS0_4arch9wavefront6targetE1EEEvT1_,comdat
	.protected	_ZN7rocprim17ROCPRIM_400000_NS6detail17trampoline_kernelINS0_14default_configENS1_25partition_config_selectorILNS1_17partition_subalgoE1EtNS0_10empty_typeEbEEZZNS1_14partition_implILS5_1ELb0ES3_jN6thrust23THRUST_200600_302600_NS6detail15normal_iteratorINSA_10device_ptrItEEEEPS6_NSA_18transform_iteratorI7is_evenItESF_NSA_11use_defaultESK_EENS0_5tupleIJNSA_16discard_iteratorISK_EESO_EEENSM_IJSG_SG_EEES6_PlJS6_EEE10hipError_tPvRmT3_T4_T5_T6_T7_T9_mT8_P12ihipStream_tbDpT10_ENKUlT_T0_E_clISt17integral_constantIbLb1EES1A_IbLb0EEEEDaS16_S17_EUlS16_E_NS1_11comp_targetILNS1_3genE9ELNS1_11target_archE1100ELNS1_3gpuE3ELNS1_3repE0EEENS1_30default_config_static_selectorELNS0_4arch9wavefront6targetE1EEEvT1_ ; -- Begin function _ZN7rocprim17ROCPRIM_400000_NS6detail17trampoline_kernelINS0_14default_configENS1_25partition_config_selectorILNS1_17partition_subalgoE1EtNS0_10empty_typeEbEEZZNS1_14partition_implILS5_1ELb0ES3_jN6thrust23THRUST_200600_302600_NS6detail15normal_iteratorINSA_10device_ptrItEEEEPS6_NSA_18transform_iteratorI7is_evenItESF_NSA_11use_defaultESK_EENS0_5tupleIJNSA_16discard_iteratorISK_EESO_EEENSM_IJSG_SG_EEES6_PlJS6_EEE10hipError_tPvRmT3_T4_T5_T6_T7_T9_mT8_P12ihipStream_tbDpT10_ENKUlT_T0_E_clISt17integral_constantIbLb1EES1A_IbLb0EEEEDaS16_S17_EUlS16_E_NS1_11comp_targetILNS1_3genE9ELNS1_11target_archE1100ELNS1_3gpuE3ELNS1_3repE0EEENS1_30default_config_static_selectorELNS0_4arch9wavefront6targetE1EEEvT1_
	.globl	_ZN7rocprim17ROCPRIM_400000_NS6detail17trampoline_kernelINS0_14default_configENS1_25partition_config_selectorILNS1_17partition_subalgoE1EtNS0_10empty_typeEbEEZZNS1_14partition_implILS5_1ELb0ES3_jN6thrust23THRUST_200600_302600_NS6detail15normal_iteratorINSA_10device_ptrItEEEEPS6_NSA_18transform_iteratorI7is_evenItESF_NSA_11use_defaultESK_EENS0_5tupleIJNSA_16discard_iteratorISK_EESO_EEENSM_IJSG_SG_EEES6_PlJS6_EEE10hipError_tPvRmT3_T4_T5_T6_T7_T9_mT8_P12ihipStream_tbDpT10_ENKUlT_T0_E_clISt17integral_constantIbLb1EES1A_IbLb0EEEEDaS16_S17_EUlS16_E_NS1_11comp_targetILNS1_3genE9ELNS1_11target_archE1100ELNS1_3gpuE3ELNS1_3repE0EEENS1_30default_config_static_selectorELNS0_4arch9wavefront6targetE1EEEvT1_
	.p2align	8
	.type	_ZN7rocprim17ROCPRIM_400000_NS6detail17trampoline_kernelINS0_14default_configENS1_25partition_config_selectorILNS1_17partition_subalgoE1EtNS0_10empty_typeEbEEZZNS1_14partition_implILS5_1ELb0ES3_jN6thrust23THRUST_200600_302600_NS6detail15normal_iteratorINSA_10device_ptrItEEEEPS6_NSA_18transform_iteratorI7is_evenItESF_NSA_11use_defaultESK_EENS0_5tupleIJNSA_16discard_iteratorISK_EESO_EEENSM_IJSG_SG_EEES6_PlJS6_EEE10hipError_tPvRmT3_T4_T5_T6_T7_T9_mT8_P12ihipStream_tbDpT10_ENKUlT_T0_E_clISt17integral_constantIbLb1EES1A_IbLb0EEEEDaS16_S17_EUlS16_E_NS1_11comp_targetILNS1_3genE9ELNS1_11target_archE1100ELNS1_3gpuE3ELNS1_3repE0EEENS1_30default_config_static_selectorELNS0_4arch9wavefront6targetE1EEEvT1_,@function
_ZN7rocprim17ROCPRIM_400000_NS6detail17trampoline_kernelINS0_14default_configENS1_25partition_config_selectorILNS1_17partition_subalgoE1EtNS0_10empty_typeEbEEZZNS1_14partition_implILS5_1ELb0ES3_jN6thrust23THRUST_200600_302600_NS6detail15normal_iteratorINSA_10device_ptrItEEEEPS6_NSA_18transform_iteratorI7is_evenItESF_NSA_11use_defaultESK_EENS0_5tupleIJNSA_16discard_iteratorISK_EESO_EEENSM_IJSG_SG_EEES6_PlJS6_EEE10hipError_tPvRmT3_T4_T5_T6_T7_T9_mT8_P12ihipStream_tbDpT10_ENKUlT_T0_E_clISt17integral_constantIbLb1EES1A_IbLb0EEEEDaS16_S17_EUlS16_E_NS1_11comp_targetILNS1_3genE9ELNS1_11target_archE1100ELNS1_3gpuE3ELNS1_3repE0EEENS1_30default_config_static_selectorELNS0_4arch9wavefront6targetE1EEEvT1_: ; @_ZN7rocprim17ROCPRIM_400000_NS6detail17trampoline_kernelINS0_14default_configENS1_25partition_config_selectorILNS1_17partition_subalgoE1EtNS0_10empty_typeEbEEZZNS1_14partition_implILS5_1ELb0ES3_jN6thrust23THRUST_200600_302600_NS6detail15normal_iteratorINSA_10device_ptrItEEEEPS6_NSA_18transform_iteratorI7is_evenItESF_NSA_11use_defaultESK_EENS0_5tupleIJNSA_16discard_iteratorISK_EESO_EEENSM_IJSG_SG_EEES6_PlJS6_EEE10hipError_tPvRmT3_T4_T5_T6_T7_T9_mT8_P12ihipStream_tbDpT10_ENKUlT_T0_E_clISt17integral_constantIbLb1EES1A_IbLb0EEEEDaS16_S17_EUlS16_E_NS1_11comp_targetILNS1_3genE9ELNS1_11target_archE1100ELNS1_3gpuE3ELNS1_3repE0EEENS1_30default_config_static_selectorELNS0_4arch9wavefront6targetE1EEEvT1_
; %bb.0:
	.section	.rodata,"a",@progbits
	.p2align	6, 0x0
	.amdhsa_kernel _ZN7rocprim17ROCPRIM_400000_NS6detail17trampoline_kernelINS0_14default_configENS1_25partition_config_selectorILNS1_17partition_subalgoE1EtNS0_10empty_typeEbEEZZNS1_14partition_implILS5_1ELb0ES3_jN6thrust23THRUST_200600_302600_NS6detail15normal_iteratorINSA_10device_ptrItEEEEPS6_NSA_18transform_iteratorI7is_evenItESF_NSA_11use_defaultESK_EENS0_5tupleIJNSA_16discard_iteratorISK_EESO_EEENSM_IJSG_SG_EEES6_PlJS6_EEE10hipError_tPvRmT3_T4_T5_T6_T7_T9_mT8_P12ihipStream_tbDpT10_ENKUlT_T0_E_clISt17integral_constantIbLb1EES1A_IbLb0EEEEDaS16_S17_EUlS16_E_NS1_11comp_targetILNS1_3genE9ELNS1_11target_archE1100ELNS1_3gpuE3ELNS1_3repE0EEENS1_30default_config_static_selectorELNS0_4arch9wavefront6targetE1EEEvT1_
		.amdhsa_group_segment_fixed_size 0
		.amdhsa_private_segment_fixed_size 0
		.amdhsa_kernarg_size 144
		.amdhsa_user_sgpr_count 6
		.amdhsa_user_sgpr_private_segment_buffer 1
		.amdhsa_user_sgpr_dispatch_ptr 0
		.amdhsa_user_sgpr_queue_ptr 0
		.amdhsa_user_sgpr_kernarg_segment_ptr 1
		.amdhsa_user_sgpr_dispatch_id 0
		.amdhsa_user_sgpr_flat_scratch_init 0
		.amdhsa_user_sgpr_kernarg_preload_length 0
		.amdhsa_user_sgpr_kernarg_preload_offset 0
		.amdhsa_user_sgpr_private_segment_size 0
		.amdhsa_uses_dynamic_stack 0
		.amdhsa_system_sgpr_private_segment_wavefront_offset 0
		.amdhsa_system_sgpr_workgroup_id_x 1
		.amdhsa_system_sgpr_workgroup_id_y 0
		.amdhsa_system_sgpr_workgroup_id_z 0
		.amdhsa_system_sgpr_workgroup_info 0
		.amdhsa_system_vgpr_workitem_id 0
		.amdhsa_next_free_vgpr 1
		.amdhsa_next_free_sgpr 0
		.amdhsa_accum_offset 4
		.amdhsa_reserve_vcc 0
		.amdhsa_reserve_flat_scratch 0
		.amdhsa_float_round_mode_32 0
		.amdhsa_float_round_mode_16_64 0
		.amdhsa_float_denorm_mode_32 3
		.amdhsa_float_denorm_mode_16_64 3
		.amdhsa_dx10_clamp 1
		.amdhsa_ieee_mode 1
		.amdhsa_fp16_overflow 0
		.amdhsa_tg_split 0
		.amdhsa_exception_fp_ieee_invalid_op 0
		.amdhsa_exception_fp_denorm_src 0
		.amdhsa_exception_fp_ieee_div_zero 0
		.amdhsa_exception_fp_ieee_overflow 0
		.amdhsa_exception_fp_ieee_underflow 0
		.amdhsa_exception_fp_ieee_inexact 0
		.amdhsa_exception_int_div_zero 0
	.end_amdhsa_kernel
	.section	.text._ZN7rocprim17ROCPRIM_400000_NS6detail17trampoline_kernelINS0_14default_configENS1_25partition_config_selectorILNS1_17partition_subalgoE1EtNS0_10empty_typeEbEEZZNS1_14partition_implILS5_1ELb0ES3_jN6thrust23THRUST_200600_302600_NS6detail15normal_iteratorINSA_10device_ptrItEEEEPS6_NSA_18transform_iteratorI7is_evenItESF_NSA_11use_defaultESK_EENS0_5tupleIJNSA_16discard_iteratorISK_EESO_EEENSM_IJSG_SG_EEES6_PlJS6_EEE10hipError_tPvRmT3_T4_T5_T6_T7_T9_mT8_P12ihipStream_tbDpT10_ENKUlT_T0_E_clISt17integral_constantIbLb1EES1A_IbLb0EEEEDaS16_S17_EUlS16_E_NS1_11comp_targetILNS1_3genE9ELNS1_11target_archE1100ELNS1_3gpuE3ELNS1_3repE0EEENS1_30default_config_static_selectorELNS0_4arch9wavefront6targetE1EEEvT1_,"axG",@progbits,_ZN7rocprim17ROCPRIM_400000_NS6detail17trampoline_kernelINS0_14default_configENS1_25partition_config_selectorILNS1_17partition_subalgoE1EtNS0_10empty_typeEbEEZZNS1_14partition_implILS5_1ELb0ES3_jN6thrust23THRUST_200600_302600_NS6detail15normal_iteratorINSA_10device_ptrItEEEEPS6_NSA_18transform_iteratorI7is_evenItESF_NSA_11use_defaultESK_EENS0_5tupleIJNSA_16discard_iteratorISK_EESO_EEENSM_IJSG_SG_EEES6_PlJS6_EEE10hipError_tPvRmT3_T4_T5_T6_T7_T9_mT8_P12ihipStream_tbDpT10_ENKUlT_T0_E_clISt17integral_constantIbLb1EES1A_IbLb0EEEEDaS16_S17_EUlS16_E_NS1_11comp_targetILNS1_3genE9ELNS1_11target_archE1100ELNS1_3gpuE3ELNS1_3repE0EEENS1_30default_config_static_selectorELNS0_4arch9wavefront6targetE1EEEvT1_,comdat
.Lfunc_end3089:
	.size	_ZN7rocprim17ROCPRIM_400000_NS6detail17trampoline_kernelINS0_14default_configENS1_25partition_config_selectorILNS1_17partition_subalgoE1EtNS0_10empty_typeEbEEZZNS1_14partition_implILS5_1ELb0ES3_jN6thrust23THRUST_200600_302600_NS6detail15normal_iteratorINSA_10device_ptrItEEEEPS6_NSA_18transform_iteratorI7is_evenItESF_NSA_11use_defaultESK_EENS0_5tupleIJNSA_16discard_iteratorISK_EESO_EEENSM_IJSG_SG_EEES6_PlJS6_EEE10hipError_tPvRmT3_T4_T5_T6_T7_T9_mT8_P12ihipStream_tbDpT10_ENKUlT_T0_E_clISt17integral_constantIbLb1EES1A_IbLb0EEEEDaS16_S17_EUlS16_E_NS1_11comp_targetILNS1_3genE9ELNS1_11target_archE1100ELNS1_3gpuE3ELNS1_3repE0EEENS1_30default_config_static_selectorELNS0_4arch9wavefront6targetE1EEEvT1_, .Lfunc_end3089-_ZN7rocprim17ROCPRIM_400000_NS6detail17trampoline_kernelINS0_14default_configENS1_25partition_config_selectorILNS1_17partition_subalgoE1EtNS0_10empty_typeEbEEZZNS1_14partition_implILS5_1ELb0ES3_jN6thrust23THRUST_200600_302600_NS6detail15normal_iteratorINSA_10device_ptrItEEEEPS6_NSA_18transform_iteratorI7is_evenItESF_NSA_11use_defaultESK_EENS0_5tupleIJNSA_16discard_iteratorISK_EESO_EEENSM_IJSG_SG_EEES6_PlJS6_EEE10hipError_tPvRmT3_T4_T5_T6_T7_T9_mT8_P12ihipStream_tbDpT10_ENKUlT_T0_E_clISt17integral_constantIbLb1EES1A_IbLb0EEEEDaS16_S17_EUlS16_E_NS1_11comp_targetILNS1_3genE9ELNS1_11target_archE1100ELNS1_3gpuE3ELNS1_3repE0EEENS1_30default_config_static_selectorELNS0_4arch9wavefront6targetE1EEEvT1_
                                        ; -- End function
	.section	.AMDGPU.csdata,"",@progbits
; Kernel info:
; codeLenInByte = 0
; NumSgprs: 4
; NumVgprs: 0
; NumAgprs: 0
; TotalNumVgprs: 0
; ScratchSize: 0
; MemoryBound: 0
; FloatMode: 240
; IeeeMode: 1
; LDSByteSize: 0 bytes/workgroup (compile time only)
; SGPRBlocks: 0
; VGPRBlocks: 0
; NumSGPRsForWavesPerEU: 4
; NumVGPRsForWavesPerEU: 1
; AccumOffset: 4
; Occupancy: 8
; WaveLimiterHint : 0
; COMPUTE_PGM_RSRC2:SCRATCH_EN: 0
; COMPUTE_PGM_RSRC2:USER_SGPR: 6
; COMPUTE_PGM_RSRC2:TRAP_HANDLER: 0
; COMPUTE_PGM_RSRC2:TGID_X_EN: 1
; COMPUTE_PGM_RSRC2:TGID_Y_EN: 0
; COMPUTE_PGM_RSRC2:TGID_Z_EN: 0
; COMPUTE_PGM_RSRC2:TIDIG_COMP_CNT: 0
; COMPUTE_PGM_RSRC3_GFX90A:ACCUM_OFFSET: 0
; COMPUTE_PGM_RSRC3_GFX90A:TG_SPLIT: 0
	.section	.text._ZN7rocprim17ROCPRIM_400000_NS6detail17trampoline_kernelINS0_14default_configENS1_25partition_config_selectorILNS1_17partition_subalgoE1EtNS0_10empty_typeEbEEZZNS1_14partition_implILS5_1ELb0ES3_jN6thrust23THRUST_200600_302600_NS6detail15normal_iteratorINSA_10device_ptrItEEEEPS6_NSA_18transform_iteratorI7is_evenItESF_NSA_11use_defaultESK_EENS0_5tupleIJNSA_16discard_iteratorISK_EESO_EEENSM_IJSG_SG_EEES6_PlJS6_EEE10hipError_tPvRmT3_T4_T5_T6_T7_T9_mT8_P12ihipStream_tbDpT10_ENKUlT_T0_E_clISt17integral_constantIbLb1EES1A_IbLb0EEEEDaS16_S17_EUlS16_E_NS1_11comp_targetILNS1_3genE8ELNS1_11target_archE1030ELNS1_3gpuE2ELNS1_3repE0EEENS1_30default_config_static_selectorELNS0_4arch9wavefront6targetE1EEEvT1_,"axG",@progbits,_ZN7rocprim17ROCPRIM_400000_NS6detail17trampoline_kernelINS0_14default_configENS1_25partition_config_selectorILNS1_17partition_subalgoE1EtNS0_10empty_typeEbEEZZNS1_14partition_implILS5_1ELb0ES3_jN6thrust23THRUST_200600_302600_NS6detail15normal_iteratorINSA_10device_ptrItEEEEPS6_NSA_18transform_iteratorI7is_evenItESF_NSA_11use_defaultESK_EENS0_5tupleIJNSA_16discard_iteratorISK_EESO_EEENSM_IJSG_SG_EEES6_PlJS6_EEE10hipError_tPvRmT3_T4_T5_T6_T7_T9_mT8_P12ihipStream_tbDpT10_ENKUlT_T0_E_clISt17integral_constantIbLb1EES1A_IbLb0EEEEDaS16_S17_EUlS16_E_NS1_11comp_targetILNS1_3genE8ELNS1_11target_archE1030ELNS1_3gpuE2ELNS1_3repE0EEENS1_30default_config_static_selectorELNS0_4arch9wavefront6targetE1EEEvT1_,comdat
	.protected	_ZN7rocprim17ROCPRIM_400000_NS6detail17trampoline_kernelINS0_14default_configENS1_25partition_config_selectorILNS1_17partition_subalgoE1EtNS0_10empty_typeEbEEZZNS1_14partition_implILS5_1ELb0ES3_jN6thrust23THRUST_200600_302600_NS6detail15normal_iteratorINSA_10device_ptrItEEEEPS6_NSA_18transform_iteratorI7is_evenItESF_NSA_11use_defaultESK_EENS0_5tupleIJNSA_16discard_iteratorISK_EESO_EEENSM_IJSG_SG_EEES6_PlJS6_EEE10hipError_tPvRmT3_T4_T5_T6_T7_T9_mT8_P12ihipStream_tbDpT10_ENKUlT_T0_E_clISt17integral_constantIbLb1EES1A_IbLb0EEEEDaS16_S17_EUlS16_E_NS1_11comp_targetILNS1_3genE8ELNS1_11target_archE1030ELNS1_3gpuE2ELNS1_3repE0EEENS1_30default_config_static_selectorELNS0_4arch9wavefront6targetE1EEEvT1_ ; -- Begin function _ZN7rocprim17ROCPRIM_400000_NS6detail17trampoline_kernelINS0_14default_configENS1_25partition_config_selectorILNS1_17partition_subalgoE1EtNS0_10empty_typeEbEEZZNS1_14partition_implILS5_1ELb0ES3_jN6thrust23THRUST_200600_302600_NS6detail15normal_iteratorINSA_10device_ptrItEEEEPS6_NSA_18transform_iteratorI7is_evenItESF_NSA_11use_defaultESK_EENS0_5tupleIJNSA_16discard_iteratorISK_EESO_EEENSM_IJSG_SG_EEES6_PlJS6_EEE10hipError_tPvRmT3_T4_T5_T6_T7_T9_mT8_P12ihipStream_tbDpT10_ENKUlT_T0_E_clISt17integral_constantIbLb1EES1A_IbLb0EEEEDaS16_S17_EUlS16_E_NS1_11comp_targetILNS1_3genE8ELNS1_11target_archE1030ELNS1_3gpuE2ELNS1_3repE0EEENS1_30default_config_static_selectorELNS0_4arch9wavefront6targetE1EEEvT1_
	.globl	_ZN7rocprim17ROCPRIM_400000_NS6detail17trampoline_kernelINS0_14default_configENS1_25partition_config_selectorILNS1_17partition_subalgoE1EtNS0_10empty_typeEbEEZZNS1_14partition_implILS5_1ELb0ES3_jN6thrust23THRUST_200600_302600_NS6detail15normal_iteratorINSA_10device_ptrItEEEEPS6_NSA_18transform_iteratorI7is_evenItESF_NSA_11use_defaultESK_EENS0_5tupleIJNSA_16discard_iteratorISK_EESO_EEENSM_IJSG_SG_EEES6_PlJS6_EEE10hipError_tPvRmT3_T4_T5_T6_T7_T9_mT8_P12ihipStream_tbDpT10_ENKUlT_T0_E_clISt17integral_constantIbLb1EES1A_IbLb0EEEEDaS16_S17_EUlS16_E_NS1_11comp_targetILNS1_3genE8ELNS1_11target_archE1030ELNS1_3gpuE2ELNS1_3repE0EEENS1_30default_config_static_selectorELNS0_4arch9wavefront6targetE1EEEvT1_
	.p2align	8
	.type	_ZN7rocprim17ROCPRIM_400000_NS6detail17trampoline_kernelINS0_14default_configENS1_25partition_config_selectorILNS1_17partition_subalgoE1EtNS0_10empty_typeEbEEZZNS1_14partition_implILS5_1ELb0ES3_jN6thrust23THRUST_200600_302600_NS6detail15normal_iteratorINSA_10device_ptrItEEEEPS6_NSA_18transform_iteratorI7is_evenItESF_NSA_11use_defaultESK_EENS0_5tupleIJNSA_16discard_iteratorISK_EESO_EEENSM_IJSG_SG_EEES6_PlJS6_EEE10hipError_tPvRmT3_T4_T5_T6_T7_T9_mT8_P12ihipStream_tbDpT10_ENKUlT_T0_E_clISt17integral_constantIbLb1EES1A_IbLb0EEEEDaS16_S17_EUlS16_E_NS1_11comp_targetILNS1_3genE8ELNS1_11target_archE1030ELNS1_3gpuE2ELNS1_3repE0EEENS1_30default_config_static_selectorELNS0_4arch9wavefront6targetE1EEEvT1_,@function
_ZN7rocprim17ROCPRIM_400000_NS6detail17trampoline_kernelINS0_14default_configENS1_25partition_config_selectorILNS1_17partition_subalgoE1EtNS0_10empty_typeEbEEZZNS1_14partition_implILS5_1ELb0ES3_jN6thrust23THRUST_200600_302600_NS6detail15normal_iteratorINSA_10device_ptrItEEEEPS6_NSA_18transform_iteratorI7is_evenItESF_NSA_11use_defaultESK_EENS0_5tupleIJNSA_16discard_iteratorISK_EESO_EEENSM_IJSG_SG_EEES6_PlJS6_EEE10hipError_tPvRmT3_T4_T5_T6_T7_T9_mT8_P12ihipStream_tbDpT10_ENKUlT_T0_E_clISt17integral_constantIbLb1EES1A_IbLb0EEEEDaS16_S17_EUlS16_E_NS1_11comp_targetILNS1_3genE8ELNS1_11target_archE1030ELNS1_3gpuE2ELNS1_3repE0EEENS1_30default_config_static_selectorELNS0_4arch9wavefront6targetE1EEEvT1_: ; @_ZN7rocprim17ROCPRIM_400000_NS6detail17trampoline_kernelINS0_14default_configENS1_25partition_config_selectorILNS1_17partition_subalgoE1EtNS0_10empty_typeEbEEZZNS1_14partition_implILS5_1ELb0ES3_jN6thrust23THRUST_200600_302600_NS6detail15normal_iteratorINSA_10device_ptrItEEEEPS6_NSA_18transform_iteratorI7is_evenItESF_NSA_11use_defaultESK_EENS0_5tupleIJNSA_16discard_iteratorISK_EESO_EEENSM_IJSG_SG_EEES6_PlJS6_EEE10hipError_tPvRmT3_T4_T5_T6_T7_T9_mT8_P12ihipStream_tbDpT10_ENKUlT_T0_E_clISt17integral_constantIbLb1EES1A_IbLb0EEEEDaS16_S17_EUlS16_E_NS1_11comp_targetILNS1_3genE8ELNS1_11target_archE1030ELNS1_3gpuE2ELNS1_3repE0EEENS1_30default_config_static_selectorELNS0_4arch9wavefront6targetE1EEEvT1_
; %bb.0:
	.section	.rodata,"a",@progbits
	.p2align	6, 0x0
	.amdhsa_kernel _ZN7rocprim17ROCPRIM_400000_NS6detail17trampoline_kernelINS0_14default_configENS1_25partition_config_selectorILNS1_17partition_subalgoE1EtNS0_10empty_typeEbEEZZNS1_14partition_implILS5_1ELb0ES3_jN6thrust23THRUST_200600_302600_NS6detail15normal_iteratorINSA_10device_ptrItEEEEPS6_NSA_18transform_iteratorI7is_evenItESF_NSA_11use_defaultESK_EENS0_5tupleIJNSA_16discard_iteratorISK_EESO_EEENSM_IJSG_SG_EEES6_PlJS6_EEE10hipError_tPvRmT3_T4_T5_T6_T7_T9_mT8_P12ihipStream_tbDpT10_ENKUlT_T0_E_clISt17integral_constantIbLb1EES1A_IbLb0EEEEDaS16_S17_EUlS16_E_NS1_11comp_targetILNS1_3genE8ELNS1_11target_archE1030ELNS1_3gpuE2ELNS1_3repE0EEENS1_30default_config_static_selectorELNS0_4arch9wavefront6targetE1EEEvT1_
		.amdhsa_group_segment_fixed_size 0
		.amdhsa_private_segment_fixed_size 0
		.amdhsa_kernarg_size 144
		.amdhsa_user_sgpr_count 6
		.amdhsa_user_sgpr_private_segment_buffer 1
		.amdhsa_user_sgpr_dispatch_ptr 0
		.amdhsa_user_sgpr_queue_ptr 0
		.amdhsa_user_sgpr_kernarg_segment_ptr 1
		.amdhsa_user_sgpr_dispatch_id 0
		.amdhsa_user_sgpr_flat_scratch_init 0
		.amdhsa_user_sgpr_kernarg_preload_length 0
		.amdhsa_user_sgpr_kernarg_preload_offset 0
		.amdhsa_user_sgpr_private_segment_size 0
		.amdhsa_uses_dynamic_stack 0
		.amdhsa_system_sgpr_private_segment_wavefront_offset 0
		.amdhsa_system_sgpr_workgroup_id_x 1
		.amdhsa_system_sgpr_workgroup_id_y 0
		.amdhsa_system_sgpr_workgroup_id_z 0
		.amdhsa_system_sgpr_workgroup_info 0
		.amdhsa_system_vgpr_workitem_id 0
		.amdhsa_next_free_vgpr 1
		.amdhsa_next_free_sgpr 0
		.amdhsa_accum_offset 4
		.amdhsa_reserve_vcc 0
		.amdhsa_reserve_flat_scratch 0
		.amdhsa_float_round_mode_32 0
		.amdhsa_float_round_mode_16_64 0
		.amdhsa_float_denorm_mode_32 3
		.amdhsa_float_denorm_mode_16_64 3
		.amdhsa_dx10_clamp 1
		.amdhsa_ieee_mode 1
		.amdhsa_fp16_overflow 0
		.amdhsa_tg_split 0
		.amdhsa_exception_fp_ieee_invalid_op 0
		.amdhsa_exception_fp_denorm_src 0
		.amdhsa_exception_fp_ieee_div_zero 0
		.amdhsa_exception_fp_ieee_overflow 0
		.amdhsa_exception_fp_ieee_underflow 0
		.amdhsa_exception_fp_ieee_inexact 0
		.amdhsa_exception_int_div_zero 0
	.end_amdhsa_kernel
	.section	.text._ZN7rocprim17ROCPRIM_400000_NS6detail17trampoline_kernelINS0_14default_configENS1_25partition_config_selectorILNS1_17partition_subalgoE1EtNS0_10empty_typeEbEEZZNS1_14partition_implILS5_1ELb0ES3_jN6thrust23THRUST_200600_302600_NS6detail15normal_iteratorINSA_10device_ptrItEEEEPS6_NSA_18transform_iteratorI7is_evenItESF_NSA_11use_defaultESK_EENS0_5tupleIJNSA_16discard_iteratorISK_EESO_EEENSM_IJSG_SG_EEES6_PlJS6_EEE10hipError_tPvRmT3_T4_T5_T6_T7_T9_mT8_P12ihipStream_tbDpT10_ENKUlT_T0_E_clISt17integral_constantIbLb1EES1A_IbLb0EEEEDaS16_S17_EUlS16_E_NS1_11comp_targetILNS1_3genE8ELNS1_11target_archE1030ELNS1_3gpuE2ELNS1_3repE0EEENS1_30default_config_static_selectorELNS0_4arch9wavefront6targetE1EEEvT1_,"axG",@progbits,_ZN7rocprim17ROCPRIM_400000_NS6detail17trampoline_kernelINS0_14default_configENS1_25partition_config_selectorILNS1_17partition_subalgoE1EtNS0_10empty_typeEbEEZZNS1_14partition_implILS5_1ELb0ES3_jN6thrust23THRUST_200600_302600_NS6detail15normal_iteratorINSA_10device_ptrItEEEEPS6_NSA_18transform_iteratorI7is_evenItESF_NSA_11use_defaultESK_EENS0_5tupleIJNSA_16discard_iteratorISK_EESO_EEENSM_IJSG_SG_EEES6_PlJS6_EEE10hipError_tPvRmT3_T4_T5_T6_T7_T9_mT8_P12ihipStream_tbDpT10_ENKUlT_T0_E_clISt17integral_constantIbLb1EES1A_IbLb0EEEEDaS16_S17_EUlS16_E_NS1_11comp_targetILNS1_3genE8ELNS1_11target_archE1030ELNS1_3gpuE2ELNS1_3repE0EEENS1_30default_config_static_selectorELNS0_4arch9wavefront6targetE1EEEvT1_,comdat
.Lfunc_end3090:
	.size	_ZN7rocprim17ROCPRIM_400000_NS6detail17trampoline_kernelINS0_14default_configENS1_25partition_config_selectorILNS1_17partition_subalgoE1EtNS0_10empty_typeEbEEZZNS1_14partition_implILS5_1ELb0ES3_jN6thrust23THRUST_200600_302600_NS6detail15normal_iteratorINSA_10device_ptrItEEEEPS6_NSA_18transform_iteratorI7is_evenItESF_NSA_11use_defaultESK_EENS0_5tupleIJNSA_16discard_iteratorISK_EESO_EEENSM_IJSG_SG_EEES6_PlJS6_EEE10hipError_tPvRmT3_T4_T5_T6_T7_T9_mT8_P12ihipStream_tbDpT10_ENKUlT_T0_E_clISt17integral_constantIbLb1EES1A_IbLb0EEEEDaS16_S17_EUlS16_E_NS1_11comp_targetILNS1_3genE8ELNS1_11target_archE1030ELNS1_3gpuE2ELNS1_3repE0EEENS1_30default_config_static_selectorELNS0_4arch9wavefront6targetE1EEEvT1_, .Lfunc_end3090-_ZN7rocprim17ROCPRIM_400000_NS6detail17trampoline_kernelINS0_14default_configENS1_25partition_config_selectorILNS1_17partition_subalgoE1EtNS0_10empty_typeEbEEZZNS1_14partition_implILS5_1ELb0ES3_jN6thrust23THRUST_200600_302600_NS6detail15normal_iteratorINSA_10device_ptrItEEEEPS6_NSA_18transform_iteratorI7is_evenItESF_NSA_11use_defaultESK_EENS0_5tupleIJNSA_16discard_iteratorISK_EESO_EEENSM_IJSG_SG_EEES6_PlJS6_EEE10hipError_tPvRmT3_T4_T5_T6_T7_T9_mT8_P12ihipStream_tbDpT10_ENKUlT_T0_E_clISt17integral_constantIbLb1EES1A_IbLb0EEEEDaS16_S17_EUlS16_E_NS1_11comp_targetILNS1_3genE8ELNS1_11target_archE1030ELNS1_3gpuE2ELNS1_3repE0EEENS1_30default_config_static_selectorELNS0_4arch9wavefront6targetE1EEEvT1_
                                        ; -- End function
	.section	.AMDGPU.csdata,"",@progbits
; Kernel info:
; codeLenInByte = 0
; NumSgprs: 4
; NumVgprs: 0
; NumAgprs: 0
; TotalNumVgprs: 0
; ScratchSize: 0
; MemoryBound: 0
; FloatMode: 240
; IeeeMode: 1
; LDSByteSize: 0 bytes/workgroup (compile time only)
; SGPRBlocks: 0
; VGPRBlocks: 0
; NumSGPRsForWavesPerEU: 4
; NumVGPRsForWavesPerEU: 1
; AccumOffset: 4
; Occupancy: 8
; WaveLimiterHint : 0
; COMPUTE_PGM_RSRC2:SCRATCH_EN: 0
; COMPUTE_PGM_RSRC2:USER_SGPR: 6
; COMPUTE_PGM_RSRC2:TRAP_HANDLER: 0
; COMPUTE_PGM_RSRC2:TGID_X_EN: 1
; COMPUTE_PGM_RSRC2:TGID_Y_EN: 0
; COMPUTE_PGM_RSRC2:TGID_Z_EN: 0
; COMPUTE_PGM_RSRC2:TIDIG_COMP_CNT: 0
; COMPUTE_PGM_RSRC3_GFX90A:ACCUM_OFFSET: 0
; COMPUTE_PGM_RSRC3_GFX90A:TG_SPLIT: 0
	.section	.text._ZN7rocprim17ROCPRIM_400000_NS6detail17trampoline_kernelINS0_14default_configENS1_25partition_config_selectorILNS1_17partition_subalgoE1EtNS0_10empty_typeEbEEZZNS1_14partition_implILS5_1ELb0ES3_jN6thrust23THRUST_200600_302600_NS6detail15normal_iteratorINSA_10device_ptrItEEEEPS6_NSA_18transform_iteratorI7is_evenItESF_NSA_11use_defaultESK_EENS0_5tupleIJNSA_16discard_iteratorISK_EESO_EEENSM_IJSG_SG_EEES6_PlJS6_EEE10hipError_tPvRmT3_T4_T5_T6_T7_T9_mT8_P12ihipStream_tbDpT10_ENKUlT_T0_E_clISt17integral_constantIbLb0EES1A_IbLb1EEEEDaS16_S17_EUlS16_E_NS1_11comp_targetILNS1_3genE0ELNS1_11target_archE4294967295ELNS1_3gpuE0ELNS1_3repE0EEENS1_30default_config_static_selectorELNS0_4arch9wavefront6targetE1EEEvT1_,"axG",@progbits,_ZN7rocprim17ROCPRIM_400000_NS6detail17trampoline_kernelINS0_14default_configENS1_25partition_config_selectorILNS1_17partition_subalgoE1EtNS0_10empty_typeEbEEZZNS1_14partition_implILS5_1ELb0ES3_jN6thrust23THRUST_200600_302600_NS6detail15normal_iteratorINSA_10device_ptrItEEEEPS6_NSA_18transform_iteratorI7is_evenItESF_NSA_11use_defaultESK_EENS0_5tupleIJNSA_16discard_iteratorISK_EESO_EEENSM_IJSG_SG_EEES6_PlJS6_EEE10hipError_tPvRmT3_T4_T5_T6_T7_T9_mT8_P12ihipStream_tbDpT10_ENKUlT_T0_E_clISt17integral_constantIbLb0EES1A_IbLb1EEEEDaS16_S17_EUlS16_E_NS1_11comp_targetILNS1_3genE0ELNS1_11target_archE4294967295ELNS1_3gpuE0ELNS1_3repE0EEENS1_30default_config_static_selectorELNS0_4arch9wavefront6targetE1EEEvT1_,comdat
	.protected	_ZN7rocprim17ROCPRIM_400000_NS6detail17trampoline_kernelINS0_14default_configENS1_25partition_config_selectorILNS1_17partition_subalgoE1EtNS0_10empty_typeEbEEZZNS1_14partition_implILS5_1ELb0ES3_jN6thrust23THRUST_200600_302600_NS6detail15normal_iteratorINSA_10device_ptrItEEEEPS6_NSA_18transform_iteratorI7is_evenItESF_NSA_11use_defaultESK_EENS0_5tupleIJNSA_16discard_iteratorISK_EESO_EEENSM_IJSG_SG_EEES6_PlJS6_EEE10hipError_tPvRmT3_T4_T5_T6_T7_T9_mT8_P12ihipStream_tbDpT10_ENKUlT_T0_E_clISt17integral_constantIbLb0EES1A_IbLb1EEEEDaS16_S17_EUlS16_E_NS1_11comp_targetILNS1_3genE0ELNS1_11target_archE4294967295ELNS1_3gpuE0ELNS1_3repE0EEENS1_30default_config_static_selectorELNS0_4arch9wavefront6targetE1EEEvT1_ ; -- Begin function _ZN7rocprim17ROCPRIM_400000_NS6detail17trampoline_kernelINS0_14default_configENS1_25partition_config_selectorILNS1_17partition_subalgoE1EtNS0_10empty_typeEbEEZZNS1_14partition_implILS5_1ELb0ES3_jN6thrust23THRUST_200600_302600_NS6detail15normal_iteratorINSA_10device_ptrItEEEEPS6_NSA_18transform_iteratorI7is_evenItESF_NSA_11use_defaultESK_EENS0_5tupleIJNSA_16discard_iteratorISK_EESO_EEENSM_IJSG_SG_EEES6_PlJS6_EEE10hipError_tPvRmT3_T4_T5_T6_T7_T9_mT8_P12ihipStream_tbDpT10_ENKUlT_T0_E_clISt17integral_constantIbLb0EES1A_IbLb1EEEEDaS16_S17_EUlS16_E_NS1_11comp_targetILNS1_3genE0ELNS1_11target_archE4294967295ELNS1_3gpuE0ELNS1_3repE0EEENS1_30default_config_static_selectorELNS0_4arch9wavefront6targetE1EEEvT1_
	.globl	_ZN7rocprim17ROCPRIM_400000_NS6detail17trampoline_kernelINS0_14default_configENS1_25partition_config_selectorILNS1_17partition_subalgoE1EtNS0_10empty_typeEbEEZZNS1_14partition_implILS5_1ELb0ES3_jN6thrust23THRUST_200600_302600_NS6detail15normal_iteratorINSA_10device_ptrItEEEEPS6_NSA_18transform_iteratorI7is_evenItESF_NSA_11use_defaultESK_EENS0_5tupleIJNSA_16discard_iteratorISK_EESO_EEENSM_IJSG_SG_EEES6_PlJS6_EEE10hipError_tPvRmT3_T4_T5_T6_T7_T9_mT8_P12ihipStream_tbDpT10_ENKUlT_T0_E_clISt17integral_constantIbLb0EES1A_IbLb1EEEEDaS16_S17_EUlS16_E_NS1_11comp_targetILNS1_3genE0ELNS1_11target_archE4294967295ELNS1_3gpuE0ELNS1_3repE0EEENS1_30default_config_static_selectorELNS0_4arch9wavefront6targetE1EEEvT1_
	.p2align	8
	.type	_ZN7rocprim17ROCPRIM_400000_NS6detail17trampoline_kernelINS0_14default_configENS1_25partition_config_selectorILNS1_17partition_subalgoE1EtNS0_10empty_typeEbEEZZNS1_14partition_implILS5_1ELb0ES3_jN6thrust23THRUST_200600_302600_NS6detail15normal_iteratorINSA_10device_ptrItEEEEPS6_NSA_18transform_iteratorI7is_evenItESF_NSA_11use_defaultESK_EENS0_5tupleIJNSA_16discard_iteratorISK_EESO_EEENSM_IJSG_SG_EEES6_PlJS6_EEE10hipError_tPvRmT3_T4_T5_T6_T7_T9_mT8_P12ihipStream_tbDpT10_ENKUlT_T0_E_clISt17integral_constantIbLb0EES1A_IbLb1EEEEDaS16_S17_EUlS16_E_NS1_11comp_targetILNS1_3genE0ELNS1_11target_archE4294967295ELNS1_3gpuE0ELNS1_3repE0EEENS1_30default_config_static_selectorELNS0_4arch9wavefront6targetE1EEEvT1_,@function
_ZN7rocprim17ROCPRIM_400000_NS6detail17trampoline_kernelINS0_14default_configENS1_25partition_config_selectorILNS1_17partition_subalgoE1EtNS0_10empty_typeEbEEZZNS1_14partition_implILS5_1ELb0ES3_jN6thrust23THRUST_200600_302600_NS6detail15normal_iteratorINSA_10device_ptrItEEEEPS6_NSA_18transform_iteratorI7is_evenItESF_NSA_11use_defaultESK_EENS0_5tupleIJNSA_16discard_iteratorISK_EESO_EEENSM_IJSG_SG_EEES6_PlJS6_EEE10hipError_tPvRmT3_T4_T5_T6_T7_T9_mT8_P12ihipStream_tbDpT10_ENKUlT_T0_E_clISt17integral_constantIbLb0EES1A_IbLb1EEEEDaS16_S17_EUlS16_E_NS1_11comp_targetILNS1_3genE0ELNS1_11target_archE4294967295ELNS1_3gpuE0ELNS1_3repE0EEENS1_30default_config_static_selectorELNS0_4arch9wavefront6targetE1EEEvT1_: ; @_ZN7rocprim17ROCPRIM_400000_NS6detail17trampoline_kernelINS0_14default_configENS1_25partition_config_selectorILNS1_17partition_subalgoE1EtNS0_10empty_typeEbEEZZNS1_14partition_implILS5_1ELb0ES3_jN6thrust23THRUST_200600_302600_NS6detail15normal_iteratorINSA_10device_ptrItEEEEPS6_NSA_18transform_iteratorI7is_evenItESF_NSA_11use_defaultESK_EENS0_5tupleIJNSA_16discard_iteratorISK_EESO_EEENSM_IJSG_SG_EEES6_PlJS6_EEE10hipError_tPvRmT3_T4_T5_T6_T7_T9_mT8_P12ihipStream_tbDpT10_ENKUlT_T0_E_clISt17integral_constantIbLb0EES1A_IbLb1EEEEDaS16_S17_EUlS16_E_NS1_11comp_targetILNS1_3genE0ELNS1_11target_archE4294967295ELNS1_3gpuE0ELNS1_3repE0EEENS1_30default_config_static_selectorELNS0_4arch9wavefront6targetE1EEEvT1_
; %bb.0:
	.section	.rodata,"a",@progbits
	.p2align	6, 0x0
	.amdhsa_kernel _ZN7rocprim17ROCPRIM_400000_NS6detail17trampoline_kernelINS0_14default_configENS1_25partition_config_selectorILNS1_17partition_subalgoE1EtNS0_10empty_typeEbEEZZNS1_14partition_implILS5_1ELb0ES3_jN6thrust23THRUST_200600_302600_NS6detail15normal_iteratorINSA_10device_ptrItEEEEPS6_NSA_18transform_iteratorI7is_evenItESF_NSA_11use_defaultESK_EENS0_5tupleIJNSA_16discard_iteratorISK_EESO_EEENSM_IJSG_SG_EEES6_PlJS6_EEE10hipError_tPvRmT3_T4_T5_T6_T7_T9_mT8_P12ihipStream_tbDpT10_ENKUlT_T0_E_clISt17integral_constantIbLb0EES1A_IbLb1EEEEDaS16_S17_EUlS16_E_NS1_11comp_targetILNS1_3genE0ELNS1_11target_archE4294967295ELNS1_3gpuE0ELNS1_3repE0EEENS1_30default_config_static_selectorELNS0_4arch9wavefront6targetE1EEEvT1_
		.amdhsa_group_segment_fixed_size 0
		.amdhsa_private_segment_fixed_size 0
		.amdhsa_kernarg_size 160
		.amdhsa_user_sgpr_count 6
		.amdhsa_user_sgpr_private_segment_buffer 1
		.amdhsa_user_sgpr_dispatch_ptr 0
		.amdhsa_user_sgpr_queue_ptr 0
		.amdhsa_user_sgpr_kernarg_segment_ptr 1
		.amdhsa_user_sgpr_dispatch_id 0
		.amdhsa_user_sgpr_flat_scratch_init 0
		.amdhsa_user_sgpr_kernarg_preload_length 0
		.amdhsa_user_sgpr_kernarg_preload_offset 0
		.amdhsa_user_sgpr_private_segment_size 0
		.amdhsa_uses_dynamic_stack 0
		.amdhsa_system_sgpr_private_segment_wavefront_offset 0
		.amdhsa_system_sgpr_workgroup_id_x 1
		.amdhsa_system_sgpr_workgroup_id_y 0
		.amdhsa_system_sgpr_workgroup_id_z 0
		.amdhsa_system_sgpr_workgroup_info 0
		.amdhsa_system_vgpr_workitem_id 0
		.amdhsa_next_free_vgpr 1
		.amdhsa_next_free_sgpr 0
		.amdhsa_accum_offset 4
		.amdhsa_reserve_vcc 0
		.amdhsa_reserve_flat_scratch 0
		.amdhsa_float_round_mode_32 0
		.amdhsa_float_round_mode_16_64 0
		.amdhsa_float_denorm_mode_32 3
		.amdhsa_float_denorm_mode_16_64 3
		.amdhsa_dx10_clamp 1
		.amdhsa_ieee_mode 1
		.amdhsa_fp16_overflow 0
		.amdhsa_tg_split 0
		.amdhsa_exception_fp_ieee_invalid_op 0
		.amdhsa_exception_fp_denorm_src 0
		.amdhsa_exception_fp_ieee_div_zero 0
		.amdhsa_exception_fp_ieee_overflow 0
		.amdhsa_exception_fp_ieee_underflow 0
		.amdhsa_exception_fp_ieee_inexact 0
		.amdhsa_exception_int_div_zero 0
	.end_amdhsa_kernel
	.section	.text._ZN7rocprim17ROCPRIM_400000_NS6detail17trampoline_kernelINS0_14default_configENS1_25partition_config_selectorILNS1_17partition_subalgoE1EtNS0_10empty_typeEbEEZZNS1_14partition_implILS5_1ELb0ES3_jN6thrust23THRUST_200600_302600_NS6detail15normal_iteratorINSA_10device_ptrItEEEEPS6_NSA_18transform_iteratorI7is_evenItESF_NSA_11use_defaultESK_EENS0_5tupleIJNSA_16discard_iteratorISK_EESO_EEENSM_IJSG_SG_EEES6_PlJS6_EEE10hipError_tPvRmT3_T4_T5_T6_T7_T9_mT8_P12ihipStream_tbDpT10_ENKUlT_T0_E_clISt17integral_constantIbLb0EES1A_IbLb1EEEEDaS16_S17_EUlS16_E_NS1_11comp_targetILNS1_3genE0ELNS1_11target_archE4294967295ELNS1_3gpuE0ELNS1_3repE0EEENS1_30default_config_static_selectorELNS0_4arch9wavefront6targetE1EEEvT1_,"axG",@progbits,_ZN7rocprim17ROCPRIM_400000_NS6detail17trampoline_kernelINS0_14default_configENS1_25partition_config_selectorILNS1_17partition_subalgoE1EtNS0_10empty_typeEbEEZZNS1_14partition_implILS5_1ELb0ES3_jN6thrust23THRUST_200600_302600_NS6detail15normal_iteratorINSA_10device_ptrItEEEEPS6_NSA_18transform_iteratorI7is_evenItESF_NSA_11use_defaultESK_EENS0_5tupleIJNSA_16discard_iteratorISK_EESO_EEENSM_IJSG_SG_EEES6_PlJS6_EEE10hipError_tPvRmT3_T4_T5_T6_T7_T9_mT8_P12ihipStream_tbDpT10_ENKUlT_T0_E_clISt17integral_constantIbLb0EES1A_IbLb1EEEEDaS16_S17_EUlS16_E_NS1_11comp_targetILNS1_3genE0ELNS1_11target_archE4294967295ELNS1_3gpuE0ELNS1_3repE0EEENS1_30default_config_static_selectorELNS0_4arch9wavefront6targetE1EEEvT1_,comdat
.Lfunc_end3091:
	.size	_ZN7rocprim17ROCPRIM_400000_NS6detail17trampoline_kernelINS0_14default_configENS1_25partition_config_selectorILNS1_17partition_subalgoE1EtNS0_10empty_typeEbEEZZNS1_14partition_implILS5_1ELb0ES3_jN6thrust23THRUST_200600_302600_NS6detail15normal_iteratorINSA_10device_ptrItEEEEPS6_NSA_18transform_iteratorI7is_evenItESF_NSA_11use_defaultESK_EENS0_5tupleIJNSA_16discard_iteratorISK_EESO_EEENSM_IJSG_SG_EEES6_PlJS6_EEE10hipError_tPvRmT3_T4_T5_T6_T7_T9_mT8_P12ihipStream_tbDpT10_ENKUlT_T0_E_clISt17integral_constantIbLb0EES1A_IbLb1EEEEDaS16_S17_EUlS16_E_NS1_11comp_targetILNS1_3genE0ELNS1_11target_archE4294967295ELNS1_3gpuE0ELNS1_3repE0EEENS1_30default_config_static_selectorELNS0_4arch9wavefront6targetE1EEEvT1_, .Lfunc_end3091-_ZN7rocprim17ROCPRIM_400000_NS6detail17trampoline_kernelINS0_14default_configENS1_25partition_config_selectorILNS1_17partition_subalgoE1EtNS0_10empty_typeEbEEZZNS1_14partition_implILS5_1ELb0ES3_jN6thrust23THRUST_200600_302600_NS6detail15normal_iteratorINSA_10device_ptrItEEEEPS6_NSA_18transform_iteratorI7is_evenItESF_NSA_11use_defaultESK_EENS0_5tupleIJNSA_16discard_iteratorISK_EESO_EEENSM_IJSG_SG_EEES6_PlJS6_EEE10hipError_tPvRmT3_T4_T5_T6_T7_T9_mT8_P12ihipStream_tbDpT10_ENKUlT_T0_E_clISt17integral_constantIbLb0EES1A_IbLb1EEEEDaS16_S17_EUlS16_E_NS1_11comp_targetILNS1_3genE0ELNS1_11target_archE4294967295ELNS1_3gpuE0ELNS1_3repE0EEENS1_30default_config_static_selectorELNS0_4arch9wavefront6targetE1EEEvT1_
                                        ; -- End function
	.section	.AMDGPU.csdata,"",@progbits
; Kernel info:
; codeLenInByte = 0
; NumSgprs: 4
; NumVgprs: 0
; NumAgprs: 0
; TotalNumVgprs: 0
; ScratchSize: 0
; MemoryBound: 0
; FloatMode: 240
; IeeeMode: 1
; LDSByteSize: 0 bytes/workgroup (compile time only)
; SGPRBlocks: 0
; VGPRBlocks: 0
; NumSGPRsForWavesPerEU: 4
; NumVGPRsForWavesPerEU: 1
; AccumOffset: 4
; Occupancy: 8
; WaveLimiterHint : 0
; COMPUTE_PGM_RSRC2:SCRATCH_EN: 0
; COMPUTE_PGM_RSRC2:USER_SGPR: 6
; COMPUTE_PGM_RSRC2:TRAP_HANDLER: 0
; COMPUTE_PGM_RSRC2:TGID_X_EN: 1
; COMPUTE_PGM_RSRC2:TGID_Y_EN: 0
; COMPUTE_PGM_RSRC2:TGID_Z_EN: 0
; COMPUTE_PGM_RSRC2:TIDIG_COMP_CNT: 0
; COMPUTE_PGM_RSRC3_GFX90A:ACCUM_OFFSET: 0
; COMPUTE_PGM_RSRC3_GFX90A:TG_SPLIT: 0
	.section	.text._ZN7rocprim17ROCPRIM_400000_NS6detail17trampoline_kernelINS0_14default_configENS1_25partition_config_selectorILNS1_17partition_subalgoE1EtNS0_10empty_typeEbEEZZNS1_14partition_implILS5_1ELb0ES3_jN6thrust23THRUST_200600_302600_NS6detail15normal_iteratorINSA_10device_ptrItEEEEPS6_NSA_18transform_iteratorI7is_evenItESF_NSA_11use_defaultESK_EENS0_5tupleIJNSA_16discard_iteratorISK_EESO_EEENSM_IJSG_SG_EEES6_PlJS6_EEE10hipError_tPvRmT3_T4_T5_T6_T7_T9_mT8_P12ihipStream_tbDpT10_ENKUlT_T0_E_clISt17integral_constantIbLb0EES1A_IbLb1EEEEDaS16_S17_EUlS16_E_NS1_11comp_targetILNS1_3genE5ELNS1_11target_archE942ELNS1_3gpuE9ELNS1_3repE0EEENS1_30default_config_static_selectorELNS0_4arch9wavefront6targetE1EEEvT1_,"axG",@progbits,_ZN7rocprim17ROCPRIM_400000_NS6detail17trampoline_kernelINS0_14default_configENS1_25partition_config_selectorILNS1_17partition_subalgoE1EtNS0_10empty_typeEbEEZZNS1_14partition_implILS5_1ELb0ES3_jN6thrust23THRUST_200600_302600_NS6detail15normal_iteratorINSA_10device_ptrItEEEEPS6_NSA_18transform_iteratorI7is_evenItESF_NSA_11use_defaultESK_EENS0_5tupleIJNSA_16discard_iteratorISK_EESO_EEENSM_IJSG_SG_EEES6_PlJS6_EEE10hipError_tPvRmT3_T4_T5_T6_T7_T9_mT8_P12ihipStream_tbDpT10_ENKUlT_T0_E_clISt17integral_constantIbLb0EES1A_IbLb1EEEEDaS16_S17_EUlS16_E_NS1_11comp_targetILNS1_3genE5ELNS1_11target_archE942ELNS1_3gpuE9ELNS1_3repE0EEENS1_30default_config_static_selectorELNS0_4arch9wavefront6targetE1EEEvT1_,comdat
	.protected	_ZN7rocprim17ROCPRIM_400000_NS6detail17trampoline_kernelINS0_14default_configENS1_25partition_config_selectorILNS1_17partition_subalgoE1EtNS0_10empty_typeEbEEZZNS1_14partition_implILS5_1ELb0ES3_jN6thrust23THRUST_200600_302600_NS6detail15normal_iteratorINSA_10device_ptrItEEEEPS6_NSA_18transform_iteratorI7is_evenItESF_NSA_11use_defaultESK_EENS0_5tupleIJNSA_16discard_iteratorISK_EESO_EEENSM_IJSG_SG_EEES6_PlJS6_EEE10hipError_tPvRmT3_T4_T5_T6_T7_T9_mT8_P12ihipStream_tbDpT10_ENKUlT_T0_E_clISt17integral_constantIbLb0EES1A_IbLb1EEEEDaS16_S17_EUlS16_E_NS1_11comp_targetILNS1_3genE5ELNS1_11target_archE942ELNS1_3gpuE9ELNS1_3repE0EEENS1_30default_config_static_selectorELNS0_4arch9wavefront6targetE1EEEvT1_ ; -- Begin function _ZN7rocprim17ROCPRIM_400000_NS6detail17trampoline_kernelINS0_14default_configENS1_25partition_config_selectorILNS1_17partition_subalgoE1EtNS0_10empty_typeEbEEZZNS1_14partition_implILS5_1ELb0ES3_jN6thrust23THRUST_200600_302600_NS6detail15normal_iteratorINSA_10device_ptrItEEEEPS6_NSA_18transform_iteratorI7is_evenItESF_NSA_11use_defaultESK_EENS0_5tupleIJNSA_16discard_iteratorISK_EESO_EEENSM_IJSG_SG_EEES6_PlJS6_EEE10hipError_tPvRmT3_T4_T5_T6_T7_T9_mT8_P12ihipStream_tbDpT10_ENKUlT_T0_E_clISt17integral_constantIbLb0EES1A_IbLb1EEEEDaS16_S17_EUlS16_E_NS1_11comp_targetILNS1_3genE5ELNS1_11target_archE942ELNS1_3gpuE9ELNS1_3repE0EEENS1_30default_config_static_selectorELNS0_4arch9wavefront6targetE1EEEvT1_
	.globl	_ZN7rocprim17ROCPRIM_400000_NS6detail17trampoline_kernelINS0_14default_configENS1_25partition_config_selectorILNS1_17partition_subalgoE1EtNS0_10empty_typeEbEEZZNS1_14partition_implILS5_1ELb0ES3_jN6thrust23THRUST_200600_302600_NS6detail15normal_iteratorINSA_10device_ptrItEEEEPS6_NSA_18transform_iteratorI7is_evenItESF_NSA_11use_defaultESK_EENS0_5tupleIJNSA_16discard_iteratorISK_EESO_EEENSM_IJSG_SG_EEES6_PlJS6_EEE10hipError_tPvRmT3_T4_T5_T6_T7_T9_mT8_P12ihipStream_tbDpT10_ENKUlT_T0_E_clISt17integral_constantIbLb0EES1A_IbLb1EEEEDaS16_S17_EUlS16_E_NS1_11comp_targetILNS1_3genE5ELNS1_11target_archE942ELNS1_3gpuE9ELNS1_3repE0EEENS1_30default_config_static_selectorELNS0_4arch9wavefront6targetE1EEEvT1_
	.p2align	8
	.type	_ZN7rocprim17ROCPRIM_400000_NS6detail17trampoline_kernelINS0_14default_configENS1_25partition_config_selectorILNS1_17partition_subalgoE1EtNS0_10empty_typeEbEEZZNS1_14partition_implILS5_1ELb0ES3_jN6thrust23THRUST_200600_302600_NS6detail15normal_iteratorINSA_10device_ptrItEEEEPS6_NSA_18transform_iteratorI7is_evenItESF_NSA_11use_defaultESK_EENS0_5tupleIJNSA_16discard_iteratorISK_EESO_EEENSM_IJSG_SG_EEES6_PlJS6_EEE10hipError_tPvRmT3_T4_T5_T6_T7_T9_mT8_P12ihipStream_tbDpT10_ENKUlT_T0_E_clISt17integral_constantIbLb0EES1A_IbLb1EEEEDaS16_S17_EUlS16_E_NS1_11comp_targetILNS1_3genE5ELNS1_11target_archE942ELNS1_3gpuE9ELNS1_3repE0EEENS1_30default_config_static_selectorELNS0_4arch9wavefront6targetE1EEEvT1_,@function
_ZN7rocprim17ROCPRIM_400000_NS6detail17trampoline_kernelINS0_14default_configENS1_25partition_config_selectorILNS1_17partition_subalgoE1EtNS0_10empty_typeEbEEZZNS1_14partition_implILS5_1ELb0ES3_jN6thrust23THRUST_200600_302600_NS6detail15normal_iteratorINSA_10device_ptrItEEEEPS6_NSA_18transform_iteratorI7is_evenItESF_NSA_11use_defaultESK_EENS0_5tupleIJNSA_16discard_iteratorISK_EESO_EEENSM_IJSG_SG_EEES6_PlJS6_EEE10hipError_tPvRmT3_T4_T5_T6_T7_T9_mT8_P12ihipStream_tbDpT10_ENKUlT_T0_E_clISt17integral_constantIbLb0EES1A_IbLb1EEEEDaS16_S17_EUlS16_E_NS1_11comp_targetILNS1_3genE5ELNS1_11target_archE942ELNS1_3gpuE9ELNS1_3repE0EEENS1_30default_config_static_selectorELNS0_4arch9wavefront6targetE1EEEvT1_: ; @_ZN7rocprim17ROCPRIM_400000_NS6detail17trampoline_kernelINS0_14default_configENS1_25partition_config_selectorILNS1_17partition_subalgoE1EtNS0_10empty_typeEbEEZZNS1_14partition_implILS5_1ELb0ES3_jN6thrust23THRUST_200600_302600_NS6detail15normal_iteratorINSA_10device_ptrItEEEEPS6_NSA_18transform_iteratorI7is_evenItESF_NSA_11use_defaultESK_EENS0_5tupleIJNSA_16discard_iteratorISK_EESO_EEENSM_IJSG_SG_EEES6_PlJS6_EEE10hipError_tPvRmT3_T4_T5_T6_T7_T9_mT8_P12ihipStream_tbDpT10_ENKUlT_T0_E_clISt17integral_constantIbLb0EES1A_IbLb1EEEEDaS16_S17_EUlS16_E_NS1_11comp_targetILNS1_3genE5ELNS1_11target_archE942ELNS1_3gpuE9ELNS1_3repE0EEENS1_30default_config_static_selectorELNS0_4arch9wavefront6targetE1EEEvT1_
; %bb.0:
	.section	.rodata,"a",@progbits
	.p2align	6, 0x0
	.amdhsa_kernel _ZN7rocprim17ROCPRIM_400000_NS6detail17trampoline_kernelINS0_14default_configENS1_25partition_config_selectorILNS1_17partition_subalgoE1EtNS0_10empty_typeEbEEZZNS1_14partition_implILS5_1ELb0ES3_jN6thrust23THRUST_200600_302600_NS6detail15normal_iteratorINSA_10device_ptrItEEEEPS6_NSA_18transform_iteratorI7is_evenItESF_NSA_11use_defaultESK_EENS0_5tupleIJNSA_16discard_iteratorISK_EESO_EEENSM_IJSG_SG_EEES6_PlJS6_EEE10hipError_tPvRmT3_T4_T5_T6_T7_T9_mT8_P12ihipStream_tbDpT10_ENKUlT_T0_E_clISt17integral_constantIbLb0EES1A_IbLb1EEEEDaS16_S17_EUlS16_E_NS1_11comp_targetILNS1_3genE5ELNS1_11target_archE942ELNS1_3gpuE9ELNS1_3repE0EEENS1_30default_config_static_selectorELNS0_4arch9wavefront6targetE1EEEvT1_
		.amdhsa_group_segment_fixed_size 0
		.amdhsa_private_segment_fixed_size 0
		.amdhsa_kernarg_size 160
		.amdhsa_user_sgpr_count 6
		.amdhsa_user_sgpr_private_segment_buffer 1
		.amdhsa_user_sgpr_dispatch_ptr 0
		.amdhsa_user_sgpr_queue_ptr 0
		.amdhsa_user_sgpr_kernarg_segment_ptr 1
		.amdhsa_user_sgpr_dispatch_id 0
		.amdhsa_user_sgpr_flat_scratch_init 0
		.amdhsa_user_sgpr_kernarg_preload_length 0
		.amdhsa_user_sgpr_kernarg_preload_offset 0
		.amdhsa_user_sgpr_private_segment_size 0
		.amdhsa_uses_dynamic_stack 0
		.amdhsa_system_sgpr_private_segment_wavefront_offset 0
		.amdhsa_system_sgpr_workgroup_id_x 1
		.amdhsa_system_sgpr_workgroup_id_y 0
		.amdhsa_system_sgpr_workgroup_id_z 0
		.amdhsa_system_sgpr_workgroup_info 0
		.amdhsa_system_vgpr_workitem_id 0
		.amdhsa_next_free_vgpr 1
		.amdhsa_next_free_sgpr 0
		.amdhsa_accum_offset 4
		.amdhsa_reserve_vcc 0
		.amdhsa_reserve_flat_scratch 0
		.amdhsa_float_round_mode_32 0
		.amdhsa_float_round_mode_16_64 0
		.amdhsa_float_denorm_mode_32 3
		.amdhsa_float_denorm_mode_16_64 3
		.amdhsa_dx10_clamp 1
		.amdhsa_ieee_mode 1
		.amdhsa_fp16_overflow 0
		.amdhsa_tg_split 0
		.amdhsa_exception_fp_ieee_invalid_op 0
		.amdhsa_exception_fp_denorm_src 0
		.amdhsa_exception_fp_ieee_div_zero 0
		.amdhsa_exception_fp_ieee_overflow 0
		.amdhsa_exception_fp_ieee_underflow 0
		.amdhsa_exception_fp_ieee_inexact 0
		.amdhsa_exception_int_div_zero 0
	.end_amdhsa_kernel
	.section	.text._ZN7rocprim17ROCPRIM_400000_NS6detail17trampoline_kernelINS0_14default_configENS1_25partition_config_selectorILNS1_17partition_subalgoE1EtNS0_10empty_typeEbEEZZNS1_14partition_implILS5_1ELb0ES3_jN6thrust23THRUST_200600_302600_NS6detail15normal_iteratorINSA_10device_ptrItEEEEPS6_NSA_18transform_iteratorI7is_evenItESF_NSA_11use_defaultESK_EENS0_5tupleIJNSA_16discard_iteratorISK_EESO_EEENSM_IJSG_SG_EEES6_PlJS6_EEE10hipError_tPvRmT3_T4_T5_T6_T7_T9_mT8_P12ihipStream_tbDpT10_ENKUlT_T0_E_clISt17integral_constantIbLb0EES1A_IbLb1EEEEDaS16_S17_EUlS16_E_NS1_11comp_targetILNS1_3genE5ELNS1_11target_archE942ELNS1_3gpuE9ELNS1_3repE0EEENS1_30default_config_static_selectorELNS0_4arch9wavefront6targetE1EEEvT1_,"axG",@progbits,_ZN7rocprim17ROCPRIM_400000_NS6detail17trampoline_kernelINS0_14default_configENS1_25partition_config_selectorILNS1_17partition_subalgoE1EtNS0_10empty_typeEbEEZZNS1_14partition_implILS5_1ELb0ES3_jN6thrust23THRUST_200600_302600_NS6detail15normal_iteratorINSA_10device_ptrItEEEEPS6_NSA_18transform_iteratorI7is_evenItESF_NSA_11use_defaultESK_EENS0_5tupleIJNSA_16discard_iteratorISK_EESO_EEENSM_IJSG_SG_EEES6_PlJS6_EEE10hipError_tPvRmT3_T4_T5_T6_T7_T9_mT8_P12ihipStream_tbDpT10_ENKUlT_T0_E_clISt17integral_constantIbLb0EES1A_IbLb1EEEEDaS16_S17_EUlS16_E_NS1_11comp_targetILNS1_3genE5ELNS1_11target_archE942ELNS1_3gpuE9ELNS1_3repE0EEENS1_30default_config_static_selectorELNS0_4arch9wavefront6targetE1EEEvT1_,comdat
.Lfunc_end3092:
	.size	_ZN7rocprim17ROCPRIM_400000_NS6detail17trampoline_kernelINS0_14default_configENS1_25partition_config_selectorILNS1_17partition_subalgoE1EtNS0_10empty_typeEbEEZZNS1_14partition_implILS5_1ELb0ES3_jN6thrust23THRUST_200600_302600_NS6detail15normal_iteratorINSA_10device_ptrItEEEEPS6_NSA_18transform_iteratorI7is_evenItESF_NSA_11use_defaultESK_EENS0_5tupleIJNSA_16discard_iteratorISK_EESO_EEENSM_IJSG_SG_EEES6_PlJS6_EEE10hipError_tPvRmT3_T4_T5_T6_T7_T9_mT8_P12ihipStream_tbDpT10_ENKUlT_T0_E_clISt17integral_constantIbLb0EES1A_IbLb1EEEEDaS16_S17_EUlS16_E_NS1_11comp_targetILNS1_3genE5ELNS1_11target_archE942ELNS1_3gpuE9ELNS1_3repE0EEENS1_30default_config_static_selectorELNS0_4arch9wavefront6targetE1EEEvT1_, .Lfunc_end3092-_ZN7rocprim17ROCPRIM_400000_NS6detail17trampoline_kernelINS0_14default_configENS1_25partition_config_selectorILNS1_17partition_subalgoE1EtNS0_10empty_typeEbEEZZNS1_14partition_implILS5_1ELb0ES3_jN6thrust23THRUST_200600_302600_NS6detail15normal_iteratorINSA_10device_ptrItEEEEPS6_NSA_18transform_iteratorI7is_evenItESF_NSA_11use_defaultESK_EENS0_5tupleIJNSA_16discard_iteratorISK_EESO_EEENSM_IJSG_SG_EEES6_PlJS6_EEE10hipError_tPvRmT3_T4_T5_T6_T7_T9_mT8_P12ihipStream_tbDpT10_ENKUlT_T0_E_clISt17integral_constantIbLb0EES1A_IbLb1EEEEDaS16_S17_EUlS16_E_NS1_11comp_targetILNS1_3genE5ELNS1_11target_archE942ELNS1_3gpuE9ELNS1_3repE0EEENS1_30default_config_static_selectorELNS0_4arch9wavefront6targetE1EEEvT1_
                                        ; -- End function
	.section	.AMDGPU.csdata,"",@progbits
; Kernel info:
; codeLenInByte = 0
; NumSgprs: 4
; NumVgprs: 0
; NumAgprs: 0
; TotalNumVgprs: 0
; ScratchSize: 0
; MemoryBound: 0
; FloatMode: 240
; IeeeMode: 1
; LDSByteSize: 0 bytes/workgroup (compile time only)
; SGPRBlocks: 0
; VGPRBlocks: 0
; NumSGPRsForWavesPerEU: 4
; NumVGPRsForWavesPerEU: 1
; AccumOffset: 4
; Occupancy: 8
; WaveLimiterHint : 0
; COMPUTE_PGM_RSRC2:SCRATCH_EN: 0
; COMPUTE_PGM_RSRC2:USER_SGPR: 6
; COMPUTE_PGM_RSRC2:TRAP_HANDLER: 0
; COMPUTE_PGM_RSRC2:TGID_X_EN: 1
; COMPUTE_PGM_RSRC2:TGID_Y_EN: 0
; COMPUTE_PGM_RSRC2:TGID_Z_EN: 0
; COMPUTE_PGM_RSRC2:TIDIG_COMP_CNT: 0
; COMPUTE_PGM_RSRC3_GFX90A:ACCUM_OFFSET: 0
; COMPUTE_PGM_RSRC3_GFX90A:TG_SPLIT: 0
	.section	.text._ZN7rocprim17ROCPRIM_400000_NS6detail17trampoline_kernelINS0_14default_configENS1_25partition_config_selectorILNS1_17partition_subalgoE1EtNS0_10empty_typeEbEEZZNS1_14partition_implILS5_1ELb0ES3_jN6thrust23THRUST_200600_302600_NS6detail15normal_iteratorINSA_10device_ptrItEEEEPS6_NSA_18transform_iteratorI7is_evenItESF_NSA_11use_defaultESK_EENS0_5tupleIJNSA_16discard_iteratorISK_EESO_EEENSM_IJSG_SG_EEES6_PlJS6_EEE10hipError_tPvRmT3_T4_T5_T6_T7_T9_mT8_P12ihipStream_tbDpT10_ENKUlT_T0_E_clISt17integral_constantIbLb0EES1A_IbLb1EEEEDaS16_S17_EUlS16_E_NS1_11comp_targetILNS1_3genE4ELNS1_11target_archE910ELNS1_3gpuE8ELNS1_3repE0EEENS1_30default_config_static_selectorELNS0_4arch9wavefront6targetE1EEEvT1_,"axG",@progbits,_ZN7rocprim17ROCPRIM_400000_NS6detail17trampoline_kernelINS0_14default_configENS1_25partition_config_selectorILNS1_17partition_subalgoE1EtNS0_10empty_typeEbEEZZNS1_14partition_implILS5_1ELb0ES3_jN6thrust23THRUST_200600_302600_NS6detail15normal_iteratorINSA_10device_ptrItEEEEPS6_NSA_18transform_iteratorI7is_evenItESF_NSA_11use_defaultESK_EENS0_5tupleIJNSA_16discard_iteratorISK_EESO_EEENSM_IJSG_SG_EEES6_PlJS6_EEE10hipError_tPvRmT3_T4_T5_T6_T7_T9_mT8_P12ihipStream_tbDpT10_ENKUlT_T0_E_clISt17integral_constantIbLb0EES1A_IbLb1EEEEDaS16_S17_EUlS16_E_NS1_11comp_targetILNS1_3genE4ELNS1_11target_archE910ELNS1_3gpuE8ELNS1_3repE0EEENS1_30default_config_static_selectorELNS0_4arch9wavefront6targetE1EEEvT1_,comdat
	.protected	_ZN7rocprim17ROCPRIM_400000_NS6detail17trampoline_kernelINS0_14default_configENS1_25partition_config_selectorILNS1_17partition_subalgoE1EtNS0_10empty_typeEbEEZZNS1_14partition_implILS5_1ELb0ES3_jN6thrust23THRUST_200600_302600_NS6detail15normal_iteratorINSA_10device_ptrItEEEEPS6_NSA_18transform_iteratorI7is_evenItESF_NSA_11use_defaultESK_EENS0_5tupleIJNSA_16discard_iteratorISK_EESO_EEENSM_IJSG_SG_EEES6_PlJS6_EEE10hipError_tPvRmT3_T4_T5_T6_T7_T9_mT8_P12ihipStream_tbDpT10_ENKUlT_T0_E_clISt17integral_constantIbLb0EES1A_IbLb1EEEEDaS16_S17_EUlS16_E_NS1_11comp_targetILNS1_3genE4ELNS1_11target_archE910ELNS1_3gpuE8ELNS1_3repE0EEENS1_30default_config_static_selectorELNS0_4arch9wavefront6targetE1EEEvT1_ ; -- Begin function _ZN7rocprim17ROCPRIM_400000_NS6detail17trampoline_kernelINS0_14default_configENS1_25partition_config_selectorILNS1_17partition_subalgoE1EtNS0_10empty_typeEbEEZZNS1_14partition_implILS5_1ELb0ES3_jN6thrust23THRUST_200600_302600_NS6detail15normal_iteratorINSA_10device_ptrItEEEEPS6_NSA_18transform_iteratorI7is_evenItESF_NSA_11use_defaultESK_EENS0_5tupleIJNSA_16discard_iteratorISK_EESO_EEENSM_IJSG_SG_EEES6_PlJS6_EEE10hipError_tPvRmT3_T4_T5_T6_T7_T9_mT8_P12ihipStream_tbDpT10_ENKUlT_T0_E_clISt17integral_constantIbLb0EES1A_IbLb1EEEEDaS16_S17_EUlS16_E_NS1_11comp_targetILNS1_3genE4ELNS1_11target_archE910ELNS1_3gpuE8ELNS1_3repE0EEENS1_30default_config_static_selectorELNS0_4arch9wavefront6targetE1EEEvT1_
	.globl	_ZN7rocprim17ROCPRIM_400000_NS6detail17trampoline_kernelINS0_14default_configENS1_25partition_config_selectorILNS1_17partition_subalgoE1EtNS0_10empty_typeEbEEZZNS1_14partition_implILS5_1ELb0ES3_jN6thrust23THRUST_200600_302600_NS6detail15normal_iteratorINSA_10device_ptrItEEEEPS6_NSA_18transform_iteratorI7is_evenItESF_NSA_11use_defaultESK_EENS0_5tupleIJNSA_16discard_iteratorISK_EESO_EEENSM_IJSG_SG_EEES6_PlJS6_EEE10hipError_tPvRmT3_T4_T5_T6_T7_T9_mT8_P12ihipStream_tbDpT10_ENKUlT_T0_E_clISt17integral_constantIbLb0EES1A_IbLb1EEEEDaS16_S17_EUlS16_E_NS1_11comp_targetILNS1_3genE4ELNS1_11target_archE910ELNS1_3gpuE8ELNS1_3repE0EEENS1_30default_config_static_selectorELNS0_4arch9wavefront6targetE1EEEvT1_
	.p2align	8
	.type	_ZN7rocprim17ROCPRIM_400000_NS6detail17trampoline_kernelINS0_14default_configENS1_25partition_config_selectorILNS1_17partition_subalgoE1EtNS0_10empty_typeEbEEZZNS1_14partition_implILS5_1ELb0ES3_jN6thrust23THRUST_200600_302600_NS6detail15normal_iteratorINSA_10device_ptrItEEEEPS6_NSA_18transform_iteratorI7is_evenItESF_NSA_11use_defaultESK_EENS0_5tupleIJNSA_16discard_iteratorISK_EESO_EEENSM_IJSG_SG_EEES6_PlJS6_EEE10hipError_tPvRmT3_T4_T5_T6_T7_T9_mT8_P12ihipStream_tbDpT10_ENKUlT_T0_E_clISt17integral_constantIbLb0EES1A_IbLb1EEEEDaS16_S17_EUlS16_E_NS1_11comp_targetILNS1_3genE4ELNS1_11target_archE910ELNS1_3gpuE8ELNS1_3repE0EEENS1_30default_config_static_selectorELNS0_4arch9wavefront6targetE1EEEvT1_,@function
_ZN7rocprim17ROCPRIM_400000_NS6detail17trampoline_kernelINS0_14default_configENS1_25partition_config_selectorILNS1_17partition_subalgoE1EtNS0_10empty_typeEbEEZZNS1_14partition_implILS5_1ELb0ES3_jN6thrust23THRUST_200600_302600_NS6detail15normal_iteratorINSA_10device_ptrItEEEEPS6_NSA_18transform_iteratorI7is_evenItESF_NSA_11use_defaultESK_EENS0_5tupleIJNSA_16discard_iteratorISK_EESO_EEENSM_IJSG_SG_EEES6_PlJS6_EEE10hipError_tPvRmT3_T4_T5_T6_T7_T9_mT8_P12ihipStream_tbDpT10_ENKUlT_T0_E_clISt17integral_constantIbLb0EES1A_IbLb1EEEEDaS16_S17_EUlS16_E_NS1_11comp_targetILNS1_3genE4ELNS1_11target_archE910ELNS1_3gpuE8ELNS1_3repE0EEENS1_30default_config_static_selectorELNS0_4arch9wavefront6targetE1EEEvT1_: ; @_ZN7rocprim17ROCPRIM_400000_NS6detail17trampoline_kernelINS0_14default_configENS1_25partition_config_selectorILNS1_17partition_subalgoE1EtNS0_10empty_typeEbEEZZNS1_14partition_implILS5_1ELb0ES3_jN6thrust23THRUST_200600_302600_NS6detail15normal_iteratorINSA_10device_ptrItEEEEPS6_NSA_18transform_iteratorI7is_evenItESF_NSA_11use_defaultESK_EENS0_5tupleIJNSA_16discard_iteratorISK_EESO_EEENSM_IJSG_SG_EEES6_PlJS6_EEE10hipError_tPvRmT3_T4_T5_T6_T7_T9_mT8_P12ihipStream_tbDpT10_ENKUlT_T0_E_clISt17integral_constantIbLb0EES1A_IbLb1EEEEDaS16_S17_EUlS16_E_NS1_11comp_targetILNS1_3genE4ELNS1_11target_archE910ELNS1_3gpuE8ELNS1_3repE0EEENS1_30default_config_static_selectorELNS0_4arch9wavefront6targetE1EEEvT1_
; %bb.0:
	s_load_dwordx2 s[6:7], s[4:5], 0x20
	s_load_dwordx4 s[20:23], s[4:5], 0x60
	s_load_dwordx2 s[2:3], s[4:5], 0x70
	s_load_dwordx2 s[24:25], s[4:5], 0x80
	v_cmp_eq_u32_e64 s[0:1], 0, v0
	s_and_saveexec_b64 s[8:9], s[0:1]
	s_cbranch_execz .LBB3093_4
; %bb.1:
	s_mov_b64 s[12:13], exec
	v_mbcnt_lo_u32_b32 v1, s12, 0
	v_mbcnt_hi_u32_b32 v1, s13, v1
	v_cmp_eq_u32_e32 vcc, 0, v1
                                        ; implicit-def: $vgpr2
	s_and_saveexec_b64 s[10:11], vcc
	s_cbranch_execz .LBB3093_3
; %bb.2:
	s_load_dwordx2 s[14:15], s[4:5], 0x90
	s_bcnt1_i32_b64 s12, s[12:13]
	v_mov_b32_e32 v2, 0
	v_mov_b32_e32 v3, s12
	s_waitcnt lgkmcnt(0)
	global_atomic_add v2, v2, v3, s[14:15] glc
.LBB3093_3:
	s_or_b64 exec, exec, s[10:11]
	s_waitcnt vmcnt(0)
	v_readfirstlane_b32 s10, v2
	v_add_u32_e32 v1, s10, v1
	v_mov_b32_e32 v2, 0
	ds_write_b32 v2, v1
.LBB3093_4:
	s_or_b64 exec, exec, s[8:9]
	v_mov_b32_e32 v1, 0
	s_load_dwordx4 s[8:11], s[4:5], 0x8
	s_load_dword s12, s[4:5], 0x88
	s_waitcnt lgkmcnt(0)
	s_barrier
	ds_read_b32 v4, v1
	s_waitcnt lgkmcnt(0)
	s_barrier
	global_load_dwordx2 v[10:11], v1, s[22:23]
	s_lshl_b64 s[4:5], s[10:11], 1
	v_mov_b32_e32 v3, s3
	s_add_u32 s13, s8, s4
	s_mul_i32 s3, s12, 0x1400
	s_addc_u32 s22, s9, s5
	s_add_i32 s9, s3, s10
	s_sub_i32 s14, s2, s9
	s_add_i32 s8, s12, -1
	s_addk_i32 s14, 0x1400
	v_mov_b32_e32 v2, s2
	s_add_u32 s2, s10, s3
	v_readfirstlane_b32 s30, v4
	s_addc_u32 s3, s11, 0
	s_cmp_eq_u32 s30, s8
	s_cselect_b64 s[18:19], -1, 0
	s_cmp_lg_u32 s30, s8
	s_mul_i32 s16, s30, 0x1400
	s_mov_b32 s17, 0
	v_cmp_lt_u64_e32 vcc, s[2:3], v[2:3]
	s_cselect_b64 s[2:3], -1, 0
	s_or_b64 s[8:9], vcc, s[2:3]
	s_lshl_b64 s[10:11], s[16:17], 1
	s_add_u32 s15, s13, s10
	s_addc_u32 s16, s22, s11
	s_mov_b64 s[2:3], -1
	s_and_b64 vcc, exec, s[8:9]
	v_lshlrev_b32_e32 v14, 1, v0
	s_cbranch_vccz .LBB3093_6
; %bb.5:
	v_mov_b32_e32 v1, s16
	v_add_co_u32_e32 v2, vcc, s15, v14
	v_addc_co_u32_e32 v3, vcc, 0, v1, vcc
	v_add_co_u32_e32 v4, vcc, 0x1000, v2
	v_addc_co_u32_e32 v5, vcc, 0, v3, vcc
	flat_load_ushort v1, v[2:3]
	flat_load_ushort v6, v[2:3] offset:512
	flat_load_ushort v7, v[2:3] offset:1024
	;; [unrolled: 1-line block ×7, first 2 shown]
	v_add_co_u32_e32 v2, vcc, 0x2000, v2
	v_addc_co_u32_e32 v3, vcc, 0, v3, vcc
	flat_load_ushort v16, v[4:5]
	flat_load_ushort v17, v[4:5] offset:512
	flat_load_ushort v18, v[4:5] offset:1024
	;; [unrolled: 1-line block ×7, first 2 shown]
	s_nop 0
	flat_load_ushort v4, v[2:3]
	flat_load_ushort v5, v[2:3] offset:512
	flat_load_ushort v24, v[2:3] offset:1024
	;; [unrolled: 1-line block ×3, first 2 shown]
	s_mov_b64 s[2:3], 0
	s_waitcnt vmcnt(0) lgkmcnt(0)
	ds_write_b16 v14, v1
	ds_write_b16 v14, v6 offset:512
	ds_write_b16 v14, v7 offset:1024
	;; [unrolled: 1-line block ×19, first 2 shown]
	s_waitcnt lgkmcnt(0)
	s_barrier
.LBB3093_6:
	s_andn2_b64 vcc, exec, s[2:3]
	v_cmp_gt_u32_e64 s[2:3], s14, v0
	s_cbranch_vccnz .LBB3093_48
; %bb.7:
                                        ; implicit-def: $vgpr1
	s_and_saveexec_b64 s[12:13], s[2:3]
	s_cbranch_execz .LBB3093_9
; %bb.8:
	v_mov_b32_e32 v1, s16
	v_add_co_u32_e32 v2, vcc, s15, v14
	v_addc_co_u32_e32 v3, vcc, 0, v1, vcc
	flat_load_ushort v1, v[2:3]
.LBB3093_9:
	s_or_b64 exec, exec, s[12:13]
	v_or_b32_e32 v2, 0x100, v0
	v_cmp_gt_u32_e32 vcc, s14, v2
                                        ; implicit-def: $vgpr2
	s_and_saveexec_b64 s[2:3], vcc
	s_cbranch_execz .LBB3093_11
; %bb.10:
	v_mov_b32_e32 v3, s16
	v_add_co_u32_e32 v2, vcc, s15, v14
	v_addc_co_u32_e32 v3, vcc, 0, v3, vcc
	flat_load_ushort v2, v[2:3] offset:512
.LBB3093_11:
	s_or_b64 exec, exec, s[2:3]
	v_or_b32_e32 v3, 0x200, v0
	v_cmp_gt_u32_e32 vcc, s14, v3
                                        ; implicit-def: $vgpr3
	s_and_saveexec_b64 s[2:3], vcc
	s_cbranch_execz .LBB3093_13
; %bb.12:
	v_mov_b32_e32 v3, s16
	v_add_co_u32_e32 v4, vcc, s15, v14
	v_addc_co_u32_e32 v5, vcc, 0, v3, vcc
	flat_load_ushort v3, v[4:5] offset:1024
.LBB3093_13:
	s_or_b64 exec, exec, s[2:3]
	v_or_b32_e32 v4, 0x300, v0
	v_cmp_gt_u32_e32 vcc, s14, v4
                                        ; implicit-def: $vgpr4
	s_and_saveexec_b64 s[2:3], vcc
	s_cbranch_execz .LBB3093_15
; %bb.14:
	v_mov_b32_e32 v5, s16
	v_add_co_u32_e32 v4, vcc, s15, v14
	v_addc_co_u32_e32 v5, vcc, 0, v5, vcc
	flat_load_ushort v4, v[4:5] offset:1536
.LBB3093_15:
	s_or_b64 exec, exec, s[2:3]
	v_or_b32_e32 v5, 0x400, v0
	v_cmp_gt_u32_e32 vcc, s14, v5
                                        ; implicit-def: $vgpr5
	s_and_saveexec_b64 s[2:3], vcc
	s_cbranch_execz .LBB3093_17
; %bb.16:
	v_mov_b32_e32 v5, s16
	v_add_co_u32_e32 v6, vcc, s15, v14
	v_addc_co_u32_e32 v7, vcc, 0, v5, vcc
	flat_load_ushort v5, v[6:7] offset:2048
.LBB3093_17:
	s_or_b64 exec, exec, s[2:3]
	v_or_b32_e32 v6, 0x500, v0
	v_cmp_gt_u32_e32 vcc, s14, v6
                                        ; implicit-def: $vgpr6
	s_and_saveexec_b64 s[2:3], vcc
	s_cbranch_execz .LBB3093_19
; %bb.18:
	v_mov_b32_e32 v7, s16
	v_add_co_u32_e32 v6, vcc, s15, v14
	v_addc_co_u32_e32 v7, vcc, 0, v7, vcc
	flat_load_ushort v6, v[6:7] offset:2560
.LBB3093_19:
	s_or_b64 exec, exec, s[2:3]
	v_or_b32_e32 v7, 0x600, v0
	v_cmp_gt_u32_e32 vcc, s14, v7
                                        ; implicit-def: $vgpr7
	s_and_saveexec_b64 s[2:3], vcc
	s_cbranch_execz .LBB3093_21
; %bb.20:
	v_mov_b32_e32 v7, s16
	v_add_co_u32_e32 v8, vcc, s15, v14
	v_addc_co_u32_e32 v9, vcc, 0, v7, vcc
	flat_load_ushort v7, v[8:9] offset:3072
.LBB3093_21:
	s_or_b64 exec, exec, s[2:3]
	v_or_b32_e32 v8, 0x700, v0
	v_cmp_gt_u32_e32 vcc, s14, v8
                                        ; implicit-def: $vgpr8
	s_and_saveexec_b64 s[2:3], vcc
	s_cbranch_execz .LBB3093_23
; %bb.22:
	v_mov_b32_e32 v9, s16
	v_add_co_u32_e32 v8, vcc, s15, v14
	v_addc_co_u32_e32 v9, vcc, 0, v9, vcc
	flat_load_ushort v8, v[8:9] offset:3584
.LBB3093_23:
	s_or_b64 exec, exec, s[2:3]
	v_or_b32_e32 v12, 0x800, v0
	v_cmp_gt_u32_e32 vcc, s14, v12
                                        ; implicit-def: $vgpr9
	s_and_saveexec_b64 s[2:3], vcc
	s_cbranch_execz .LBB3093_25
; %bb.24:
	v_lshlrev_b32_e32 v9, 1, v12
	v_mov_b32_e32 v13, s16
	v_add_co_u32_e32 v12, vcc, s15, v9
	v_addc_co_u32_e32 v13, vcc, 0, v13, vcc
	flat_load_ushort v9, v[12:13]
.LBB3093_25:
	s_or_b64 exec, exec, s[2:3]
	v_or_b32_e32 v13, 0x900, v0
	v_cmp_gt_u32_e32 vcc, s14, v13
                                        ; implicit-def: $vgpr12
	s_and_saveexec_b64 s[2:3], vcc
	s_cbranch_execz .LBB3093_27
; %bb.26:
	v_lshlrev_b32_e32 v12, 1, v13
	v_mov_b32_e32 v13, s16
	v_add_co_u32_e32 v12, vcc, s15, v12
	v_addc_co_u32_e32 v13, vcc, 0, v13, vcc
	flat_load_ushort v12, v[12:13]
.LBB3093_27:
	s_or_b64 exec, exec, s[2:3]
	v_or_b32_e32 v15, 0xa00, v0
	v_cmp_gt_u32_e32 vcc, s14, v15
                                        ; implicit-def: $vgpr13
	s_and_saveexec_b64 s[2:3], vcc
	s_cbranch_execz .LBB3093_29
; %bb.28:
	v_lshlrev_b32_e32 v13, 1, v15
	v_mov_b32_e32 v15, s16
	v_add_co_u32_e32 v16, vcc, s15, v13
	v_addc_co_u32_e32 v17, vcc, 0, v15, vcc
	flat_load_ushort v13, v[16:17]
.LBB3093_29:
	s_or_b64 exec, exec, s[2:3]
	v_or_b32_e32 v16, 0xb00, v0
	v_cmp_gt_u32_e32 vcc, s14, v16
                                        ; implicit-def: $vgpr15
	s_and_saveexec_b64 s[2:3], vcc
	s_cbranch_execz .LBB3093_31
; %bb.30:
	v_lshlrev_b32_e32 v15, 1, v16
	v_mov_b32_e32 v17, s16
	v_add_co_u32_e32 v16, vcc, s15, v15
	v_addc_co_u32_e32 v17, vcc, 0, v17, vcc
	flat_load_ushort v15, v[16:17]
.LBB3093_31:
	s_or_b64 exec, exec, s[2:3]
	v_or_b32_e32 v17, 0xc00, v0
	v_cmp_gt_u32_e32 vcc, s14, v17
                                        ; implicit-def: $vgpr16
	s_and_saveexec_b64 s[2:3], vcc
	s_cbranch_execz .LBB3093_33
; %bb.32:
	v_lshlrev_b32_e32 v16, 1, v17
	v_mov_b32_e32 v17, s16
	v_add_co_u32_e32 v16, vcc, s15, v16
	v_addc_co_u32_e32 v17, vcc, 0, v17, vcc
	flat_load_ushort v16, v[16:17]
.LBB3093_33:
	s_or_b64 exec, exec, s[2:3]
	v_or_b32_e32 v18, 0xd00, v0
	v_cmp_gt_u32_e32 vcc, s14, v18
                                        ; implicit-def: $vgpr17
	s_and_saveexec_b64 s[2:3], vcc
	s_cbranch_execz .LBB3093_35
; %bb.34:
	v_lshlrev_b32_e32 v17, 1, v18
	v_mov_b32_e32 v19, s16
	v_add_co_u32_e32 v18, vcc, s15, v17
	v_addc_co_u32_e32 v19, vcc, 0, v19, vcc
	flat_load_ushort v17, v[18:19]
.LBB3093_35:
	s_or_b64 exec, exec, s[2:3]
	v_or_b32_e32 v19, 0xe00, v0
	v_cmp_gt_u32_e32 vcc, s14, v19
                                        ; implicit-def: $vgpr18
	s_and_saveexec_b64 s[2:3], vcc
	s_cbranch_execz .LBB3093_37
; %bb.36:
	v_lshlrev_b32_e32 v18, 1, v19
	v_mov_b32_e32 v19, s16
	v_add_co_u32_e32 v18, vcc, s15, v18
	v_addc_co_u32_e32 v19, vcc, 0, v19, vcc
	flat_load_ushort v18, v[18:19]
.LBB3093_37:
	s_or_b64 exec, exec, s[2:3]
	v_or_b32_e32 v20, 0xf00, v0
	v_cmp_gt_u32_e32 vcc, s14, v20
                                        ; implicit-def: $vgpr19
	s_and_saveexec_b64 s[2:3], vcc
	s_cbranch_execz .LBB3093_39
; %bb.38:
	v_lshlrev_b32_e32 v19, 1, v20
	v_mov_b32_e32 v21, s16
	v_add_co_u32_e32 v20, vcc, s15, v19
	v_addc_co_u32_e32 v21, vcc, 0, v21, vcc
	flat_load_ushort v19, v[20:21]
.LBB3093_39:
	s_or_b64 exec, exec, s[2:3]
	v_or_b32_e32 v21, 0x1000, v0
	v_cmp_gt_u32_e32 vcc, s14, v21
                                        ; implicit-def: $vgpr20
	s_and_saveexec_b64 s[2:3], vcc
	s_cbranch_execz .LBB3093_41
; %bb.40:
	v_lshlrev_b32_e32 v20, 1, v21
	v_mov_b32_e32 v21, s16
	v_add_co_u32_e32 v20, vcc, s15, v20
	v_addc_co_u32_e32 v21, vcc, 0, v21, vcc
	flat_load_ushort v20, v[20:21]
.LBB3093_41:
	s_or_b64 exec, exec, s[2:3]
	v_or_b32_e32 v22, 0x1100, v0
	v_cmp_gt_u32_e32 vcc, s14, v22
                                        ; implicit-def: $vgpr21
	s_and_saveexec_b64 s[2:3], vcc
	s_cbranch_execz .LBB3093_43
; %bb.42:
	v_lshlrev_b32_e32 v21, 1, v22
	v_mov_b32_e32 v23, s16
	v_add_co_u32_e32 v22, vcc, s15, v21
	v_addc_co_u32_e32 v23, vcc, 0, v23, vcc
	flat_load_ushort v21, v[22:23]
.LBB3093_43:
	s_or_b64 exec, exec, s[2:3]
	v_or_b32_e32 v23, 0x1200, v0
	v_cmp_gt_u32_e32 vcc, s14, v23
                                        ; implicit-def: $vgpr22
	s_and_saveexec_b64 s[2:3], vcc
	s_cbranch_execz .LBB3093_45
; %bb.44:
	v_lshlrev_b32_e32 v22, 1, v23
	v_mov_b32_e32 v23, s16
	v_add_co_u32_e32 v22, vcc, s15, v22
	v_addc_co_u32_e32 v23, vcc, 0, v23, vcc
	flat_load_ushort v22, v[22:23]
.LBB3093_45:
	s_or_b64 exec, exec, s[2:3]
	v_or_b32_e32 v24, 0x1300, v0
	v_cmp_gt_u32_e32 vcc, s14, v24
                                        ; implicit-def: $vgpr23
	s_and_saveexec_b64 s[2:3], vcc
	s_cbranch_execz .LBB3093_47
; %bb.46:
	v_lshlrev_b32_e32 v23, 1, v24
	v_mov_b32_e32 v25, s16
	v_add_co_u32_e32 v24, vcc, s15, v23
	v_addc_co_u32_e32 v25, vcc, 0, v25, vcc
	flat_load_ushort v23, v[24:25]
.LBB3093_47:
	s_or_b64 exec, exec, s[2:3]
	s_waitcnt vmcnt(0) lgkmcnt(0)
	ds_write_b16 v14, v1
	ds_write_b16 v14, v2 offset:512
	ds_write_b16 v14, v3 offset:1024
	;; [unrolled: 1-line block ×19, first 2 shown]
	s_waitcnt lgkmcnt(0)
	s_barrier
.LBB3093_48:
	v_mul_u32_u24_e32 v1, 20, v0
	v_lshlrev_b32_e32 v6, 1, v1
	ds_read_b64 v[12:13], v6 offset:32
	ds_read2_b64 v[2:5], v6 offset0:2 offset1:3
	ds_read2_b64 v[6:9], v6 offset1:1
	s_add_u32 s2, s6, s4
	s_addc_u32 s3, s7, s5
	s_add_u32 s2, s2, s10
	s_addc_u32 s3, s3, s11
	s_mov_b64 s[4:5], -1
	s_and_b64 vcc, exec, s[8:9]
	s_waitcnt lgkmcnt(0)
	s_barrier
	s_cbranch_vccz .LBB3093_50
; %bb.49:
	v_mov_b32_e32 v16, s3
	v_add_co_u32_e32 v18, vcc, s2, v14
	s_movk_i32 s4, 0x1000
	v_addc_co_u32_e32 v19, vcc, 0, v16, vcc
	v_add_co_u32_e32 v16, vcc, s4, v18
	s_movk_i32 s5, 0x2000
	v_addc_co_u32_e32 v17, vcc, 0, v19, vcc
	global_load_ubyte v15, v14, s[2:3]
	global_load_ubyte v20, v14, s[2:3] offset:512
	global_load_ubyte v21, v14, s[2:3] offset:1024
	;; [unrolled: 1-line block ×7, first 2 shown]
	v_add_co_u32_e32 v18, vcc, s5, v18
	v_addc_co_u32_e32 v19, vcc, 0, v19, vcc
	global_load_ubyte v27, v[18:19], off offset:-4096
	global_load_ubyte v28, v[16:17], off offset:512
	global_load_ubyte v29, v[16:17], off offset:1024
	;; [unrolled: 1-line block ×7, first 2 shown]
	global_load_ubyte v35, v[18:19], off
	global_load_ubyte v36, v[18:19], off offset:512
	global_load_ubyte v37, v[18:19], off offset:1024
	;; [unrolled: 1-line block ×3, first 2 shown]
	s_mov_b64 s[4:5], 0
	s_waitcnt vmcnt(19)
	v_xor_b32_e32 v15, -1, v15
	s_waitcnt vmcnt(18)
	v_xor_b32_e32 v16, -1, v20
	;; [unrolled: 2-line block ×8, first 2 shown]
	v_and_b32_e32 v15, 1, v15
	v_and_b32_e32 v16, 1, v16
	v_and_b32_e32 v17, 1, v17
	v_and_b32_e32 v18, 1, v18
	v_and_b32_e32 v19, 1, v19
	v_and_b32_e32 v20, 1, v20
	v_and_b32_e32 v21, 1, v21
	v_and_b32_e32 v22, 1, v22
	ds_write_b8 v0, v15
	ds_write_b8 v0, v16 offset:256
	ds_write_b8 v0, v17 offset:512
	;; [unrolled: 1-line block ×7, first 2 shown]
	s_waitcnt vmcnt(11)
	v_xor_b32_e32 v15, -1, v27
	s_waitcnt vmcnt(10)
	v_xor_b32_e32 v16, -1, v28
	s_waitcnt vmcnt(9)
	v_xor_b32_e32 v17, -1, v29
	s_waitcnt vmcnt(8)
	v_xor_b32_e32 v18, -1, v30
	s_waitcnt vmcnt(7)
	v_xor_b32_e32 v19, -1, v31
	s_waitcnt vmcnt(6)
	v_xor_b32_e32 v20, -1, v32
	s_waitcnt vmcnt(5)
	v_xor_b32_e32 v21, -1, v33
	s_waitcnt vmcnt(4)
	v_xor_b32_e32 v22, -1, v34
	s_waitcnt vmcnt(3)
	v_xor_b32_e32 v23, -1, v35
	s_waitcnt vmcnt(2)
	v_xor_b32_e32 v24, -1, v36
	s_waitcnt vmcnt(1)
	v_xor_b32_e32 v25, -1, v37
	s_waitcnt vmcnt(0)
	v_xor_b32_e32 v26, -1, v38
	v_and_b32_e32 v15, 1, v15
	v_and_b32_e32 v16, 1, v16
	;; [unrolled: 1-line block ×12, first 2 shown]
	ds_write_b8 v0, v15 offset:2048
	ds_write_b8 v0, v16 offset:2304
	;; [unrolled: 1-line block ×12, first 2 shown]
	s_waitcnt lgkmcnt(0)
	s_barrier
.LBB3093_50:
	s_andn2_b64 vcc, exec, s[4:5]
	s_cbranch_vccnz .LBB3093_92
; %bb.51:
	v_cmp_gt_u32_e32 vcc, s14, v0
	v_mov_b32_e32 v15, 0
	v_mov_b32_e32 v16, 0
	s_and_saveexec_b64 s[4:5], vcc
	s_cbranch_execz .LBB3093_53
; %bb.52:
	global_load_ubyte v16, v14, s[2:3]
	s_waitcnt vmcnt(0)
	v_xor_b32_e32 v16, -1, v16
	v_and_b32_e32 v16, 1, v16
.LBB3093_53:
	s_or_b64 exec, exec, s[4:5]
	v_or_b32_e32 v17, 0x100, v0
	v_cmp_gt_u32_e32 vcc, s14, v17
	s_and_saveexec_b64 s[4:5], vcc
	s_cbranch_execz .LBB3093_55
; %bb.54:
	global_load_ubyte v15, v14, s[2:3] offset:512
	s_waitcnt vmcnt(0)
	v_xor_b32_e32 v15, -1, v15
	v_and_b32_e32 v15, 1, v15
.LBB3093_55:
	s_or_b64 exec, exec, s[4:5]
	v_or_b32_e32 v17, 0x200, v0
	v_cmp_gt_u32_e32 vcc, s14, v17
	v_mov_b32_e32 v17, 0
	v_mov_b32_e32 v18, 0
	s_and_saveexec_b64 s[4:5], vcc
	s_cbranch_execz .LBB3093_57
; %bb.56:
	global_load_ubyte v18, v14, s[2:3] offset:1024
	s_waitcnt vmcnt(0)
	v_xor_b32_e32 v18, -1, v18
	v_and_b32_e32 v18, 1, v18
.LBB3093_57:
	s_or_b64 exec, exec, s[4:5]
	v_or_b32_e32 v19, 0x300, v0
	v_cmp_gt_u32_e32 vcc, s14, v19
	s_and_saveexec_b64 s[4:5], vcc
	s_cbranch_execz .LBB3093_59
; %bb.58:
	global_load_ubyte v17, v14, s[2:3] offset:1536
	s_waitcnt vmcnt(0)
	v_xor_b32_e32 v17, -1, v17
	v_and_b32_e32 v17, 1, v17
.LBB3093_59:
	s_or_b64 exec, exec, s[4:5]
	v_or_b32_e32 v19, 0x400, v0
	v_cmp_gt_u32_e32 vcc, s14, v19
	v_mov_b32_e32 v19, 0
	v_mov_b32_e32 v20, 0
	s_and_saveexec_b64 s[4:5], vcc
	s_cbranch_execz .LBB3093_61
; %bb.60:
	global_load_ubyte v20, v14, s[2:3] offset:2048
	s_waitcnt vmcnt(0)
	v_xor_b32_e32 v20, -1, v20
	v_and_b32_e32 v20, 1, v20
.LBB3093_61:
	;; [unrolled: 24-line block ×3, first 2 shown]
	s_or_b64 exec, exec, s[4:5]
	v_or_b32_e32 v23, 0x700, v0
	v_cmp_gt_u32_e32 vcc, s14, v23
	s_and_saveexec_b64 s[4:5], vcc
	s_cbranch_execz .LBB3093_67
; %bb.66:
	global_load_ubyte v14, v14, s[2:3] offset:3584
	s_waitcnt vmcnt(0)
	v_xor_b32_e32 v14, -1, v14
	v_and_b32_e32 v21, 1, v14
.LBB3093_67:
	s_or_b64 exec, exec, s[4:5]
	v_or_b32_e32 v24, 0x800, v0
	v_cmp_gt_u32_e32 vcc, s14, v24
	v_mov_b32_e32 v14, 0
	v_mov_b32_e32 v23, 0
	s_and_saveexec_b64 s[4:5], vcc
	s_cbranch_execz .LBB3093_69
; %bb.68:
	v_lshlrev_b32_e32 v23, 1, v24
	global_load_ubyte v23, v23, s[2:3]
	s_waitcnt vmcnt(0)
	v_xor_b32_e32 v23, -1, v23
	v_and_b32_e32 v23, 1, v23
.LBB3093_69:
	s_or_b64 exec, exec, s[4:5]
	v_or_b32_e32 v24, 0x900, v0
	v_cmp_gt_u32_e32 vcc, s14, v24
	s_and_saveexec_b64 s[4:5], vcc
	s_cbranch_execz .LBB3093_71
; %bb.70:
	v_lshlrev_b32_e32 v14, 1, v24
	global_load_ubyte v14, v14, s[2:3]
	s_waitcnt vmcnt(0)
	v_xor_b32_e32 v14, -1, v14
	v_and_b32_e32 v14, 1, v14
.LBB3093_71:
	s_or_b64 exec, exec, s[4:5]
	v_or_b32_e32 v26, 0xa00, v0
	v_cmp_gt_u32_e32 vcc, s14, v26
	v_mov_b32_e32 v24, 0
	v_mov_b32_e32 v25, 0
	s_and_saveexec_b64 s[4:5], vcc
	s_cbranch_execz .LBB3093_73
; %bb.72:
	v_lshlrev_b32_e32 v25, 1, v26
	global_load_ubyte v25, v25, s[2:3]
	s_waitcnt vmcnt(0)
	v_xor_b32_e32 v25, -1, v25
	v_and_b32_e32 v25, 1, v25
.LBB3093_73:
	s_or_b64 exec, exec, s[4:5]
	v_or_b32_e32 v26, 0xb00, v0
	v_cmp_gt_u32_e32 vcc, s14, v26
	s_and_saveexec_b64 s[4:5], vcc
	s_cbranch_execz .LBB3093_75
; %bb.74:
	v_lshlrev_b32_e32 v24, 1, v26
	global_load_ubyte v24, v24, s[2:3]
	s_waitcnt vmcnt(0)
	v_xor_b32_e32 v24, -1, v24
	v_and_b32_e32 v24, 1, v24
.LBB3093_75:
	;; [unrolled: 26-line block ×6, first 2 shown]
	s_or_b64 exec, exec, s[4:5]
	ds_write_b8 v0, v16
	ds_write_b8 v0, v15 offset:256
	ds_write_b8 v0, v18 offset:512
	;; [unrolled: 1-line block ×19, first 2 shown]
	s_waitcnt lgkmcnt(0)
	s_barrier
.LBB3093_92:
	ds_read2_b32 v[16:17], v1 offset1:1
	ds_read2_b32 v[14:15], v1 offset0:2 offset1:3
	ds_read_b32 v29, v1 offset:16
	s_cmp_lg_u32 s30, 0
	v_lshrrev_b32_e32 v48, 6, v0
	s_waitcnt lgkmcnt(2)
	v_lshrrev_b32_e32 v34, 24, v16
	v_bfe_u32 v46, v16, 16, 8
	v_add_u32_sdwa v18, v16, v16 dst_sel:DWORD dst_unused:UNUSED_PAD src0_sel:BYTE_1 src1_sel:BYTE_0
	v_and_b32_e32 v43, 0xff, v17
	v_bfe_u32 v44, v17, 8, 8
	v_add3_u32 v18, v18, v46, v34
	v_lshrrev_b32_e32 v33, 24, v17
	v_bfe_u32 v45, v17, 16, 8
	v_add3_u32 v18, v18, v43, v44
	s_waitcnt lgkmcnt(1)
	v_and_b32_e32 v40, 0xff, v14
	v_bfe_u32 v41, v14, 8, 8
	v_add3_u32 v18, v18, v45, v33
	v_lshrrev_b32_e32 v32, 24, v14
	v_bfe_u32 v42, v14, 16, 8
	v_add3_u32 v18, v18, v40, v41
	v_and_b32_e32 v37, 0xff, v15
	v_bfe_u32 v38, v15, 8, 8
	v_add3_u32 v18, v18, v42, v32
	v_lshrrev_b32_e32 v31, 24, v15
	v_bfe_u32 v39, v15, 16, 8
	v_add3_u32 v18, v18, v37, v38
	s_waitcnt lgkmcnt(0)
	v_and_b32_e32 v35, 0xff, v29
	v_bfe_u32 v36, v29, 8, 8
	v_add3_u32 v18, v18, v39, v31
	v_lshrrev_b32_e32 v28, 24, v29
	v_bfe_u32 v30, v29, 16, 8
	v_add3_u32 v18, v18, v35, v36
	v_add3_u32 v49, v18, v30, v28
	v_mbcnt_lo_u32_b32 v18, -1, 0
	v_mbcnt_hi_u32_b32 v47, -1, v18
	v_and_b32_e32 v18, 15, v47
	v_cmp_eq_u32_e64 s[14:15], 0, v18
	v_cmp_lt_u32_e64 s[12:13], 1, v18
	v_cmp_lt_u32_e64 s[10:11], 3, v18
	;; [unrolled: 1-line block ×3, first 2 shown]
	v_and_b32_e32 v18, 16, v47
	v_cmp_eq_u32_e64 s[6:7], 0, v18
	v_or_b32_e32 v18, 63, v0
	v_cmp_lt_u32_e64 s[2:3], 31, v47
	v_cmp_eq_u32_e64 s[4:5], v18, v0
	s_barrier
	s_cbranch_scc0 .LBB3093_119
; %bb.93:
	v_mov_b32_dpp v18, v49 row_shr:1 row_mask:0xf bank_mask:0xf
	v_cndmask_b32_e64 v18, v18, 0, s[14:15]
	v_add_u32_e32 v18, v18, v49
	s_nop 1
	v_mov_b32_dpp v19, v18 row_shr:2 row_mask:0xf bank_mask:0xf
	v_cndmask_b32_e64 v19, 0, v19, s[12:13]
	v_add_u32_e32 v18, v18, v19
	s_nop 1
	;; [unrolled: 4-line block ×4, first 2 shown]
	v_mov_b32_dpp v19, v18 row_bcast:15 row_mask:0xf bank_mask:0xf
	v_cndmask_b32_e64 v19, v19, 0, s[6:7]
	v_add_u32_e32 v18, v18, v19
	s_nop 1
	v_mov_b32_dpp v19, v18 row_bcast:31 row_mask:0xf bank_mask:0xf
	v_cndmask_b32_e64 v19, 0, v19, s[2:3]
	v_add_u32_e32 v18, v18, v19
	s_and_saveexec_b64 s[16:17], s[4:5]
	s_cbranch_execz .LBB3093_95
; %bb.94:
	v_lshlrev_b32_e32 v19, 2, v48
	ds_write_b32 v19, v18
.LBB3093_95:
	s_or_b64 exec, exec, s[16:17]
	v_cmp_gt_u32_e32 vcc, 4, v0
	s_waitcnt lgkmcnt(0)
	s_barrier
	s_and_saveexec_b64 s[16:17], vcc
	s_cbranch_execz .LBB3093_97
; %bb.96:
	v_lshlrev_b32_e32 v19, 2, v0
	ds_read_b32 v20, v19
	v_and_b32_e32 v21, 3, v47
	v_cmp_ne_u32_e32 vcc, 0, v21
	s_waitcnt lgkmcnt(0)
	v_mov_b32_dpp v22, v20 row_shr:1 row_mask:0xf bank_mask:0xf
	v_cndmask_b32_e32 v22, 0, v22, vcc
	v_add_u32_e32 v20, v22, v20
	v_cmp_lt_u32_e32 vcc, 1, v21
	s_nop 0
	v_mov_b32_dpp v22, v20 row_shr:2 row_mask:0xf bank_mask:0xf
	v_cndmask_b32_e32 v21, 0, v22, vcc
	v_add_u32_e32 v20, v20, v21
	ds_write_b32 v19, v20
.LBB3093_97:
	s_or_b64 exec, exec, s[16:17]
	v_cmp_gt_u32_e32 vcc, 64, v0
	v_cmp_lt_u32_e64 s[16:17], 63, v0
	s_waitcnt lgkmcnt(0)
	s_barrier
	s_waitcnt lgkmcnt(0)
                                        ; implicit-def: $vgpr50
	s_and_saveexec_b64 s[22:23], s[16:17]
	s_cbranch_execz .LBB3093_99
; %bb.98:
	v_lshl_add_u32 v19, v48, 2, -4
	ds_read_b32 v50, v19
	s_waitcnt lgkmcnt(0)
	v_add_u32_e32 v18, v50, v18
.LBB3093_99:
	s_or_b64 exec, exec, s[22:23]
	v_add_u32_e32 v19, -1, v47
	v_and_b32_e32 v20, 64, v47
	v_cmp_lt_i32_e64 s[16:17], v19, v20
	v_cndmask_b32_e64 v19, v19, v47, s[16:17]
	v_lshlrev_b32_e32 v19, 2, v19
	ds_bpermute_b32 v51, v19, v18
	v_cmp_eq_u32_e64 s[16:17], 0, v47
	s_and_saveexec_b64 s[22:23], vcc
	s_cbranch_execz .LBB3093_118
; %bb.100:
	v_mov_b32_e32 v25, 0
	ds_read_b32 v18, v25 offset:12
	s_and_saveexec_b64 s[26:27], s[16:17]
	s_cbranch_execz .LBB3093_102
; %bb.101:
	s_add_i32 s28, s30, 64
	s_mov_b32 s29, 0
	s_lshl_b64 s[28:29], s[28:29], 3
	s_add_u32 s28, s24, s28
	v_mov_b32_e32 v19, 1
	s_addc_u32 s29, s25, s29
	s_waitcnt lgkmcnt(0)
	global_store_dwordx2 v25, v[18:19], s[28:29]
.LBB3093_102:
	s_or_b64 exec, exec, s[26:27]
	v_xad_u32 v20, v47, -1, s30
	v_add_u32_e32 v24, 64, v20
	v_lshlrev_b64 v[22:23], 3, v[24:25]
	v_mov_b32_e32 v19, s25
	v_add_co_u32_e32 v26, vcc, s24, v22
	v_addc_co_u32_e32 v27, vcc, v19, v23, vcc
	global_load_dwordx2 v[22:23], v[26:27], off glc
	s_waitcnt vmcnt(0)
	v_cmp_eq_u16_sdwa s[28:29], v23, v25 src0_sel:BYTE_0 src1_sel:DWORD
	s_and_saveexec_b64 s[26:27], s[28:29]
	s_cbranch_execz .LBB3093_106
; %bb.103:
	s_mov_b64 s[28:29], 0
	v_mov_b32_e32 v19, 0
.LBB3093_104:                           ; =>This Inner Loop Header: Depth=1
	global_load_dwordx2 v[22:23], v[26:27], off glc
	s_waitcnt vmcnt(0)
	v_cmp_ne_u16_sdwa s[34:35], v23, v19 src0_sel:BYTE_0 src1_sel:DWORD
	s_or_b64 s[28:29], s[34:35], s[28:29]
	s_andn2_b64 exec, exec, s[28:29]
	s_cbranch_execnz .LBB3093_104
; %bb.105:
	s_or_b64 exec, exec, s[28:29]
.LBB3093_106:
	s_or_b64 exec, exec, s[26:27]
	v_and_b32_e32 v53, 63, v47
	v_mov_b32_e32 v52, 2
	v_cmp_ne_u32_e32 vcc, 63, v53
	v_cmp_eq_u16_sdwa s[26:27], v23, v52 src0_sel:BYTE_0 src1_sel:DWORD
	v_lshlrev_b64 v[24:25], v47, -1
	v_addc_co_u32_e32 v26, vcc, 0, v47, vcc
	v_and_b32_e32 v19, s27, v25
	v_lshlrev_b32_e32 v54, 2, v26
	v_or_b32_e32 v19, 0x80000000, v19
	ds_bpermute_b32 v26, v54, v22
	v_and_b32_e32 v21, s26, v24
	v_ffbl_b32_e32 v19, v19
	v_add_u32_e32 v19, 32, v19
	v_ffbl_b32_e32 v21, v21
	v_min_u32_e32 v19, v21, v19
	v_cmp_lt_u32_e32 vcc, v53, v19
	s_waitcnt lgkmcnt(0)
	v_cndmask_b32_e32 v21, 0, v26, vcc
	v_cmp_gt_u32_e32 vcc, 62, v53
	v_add_u32_e32 v21, v21, v22
	v_cndmask_b32_e64 v22, 0, 1, vcc
	v_lshlrev_b32_e32 v22, 1, v22
	v_add_lshl_u32 v55, v22, v47, 2
	ds_bpermute_b32 v22, v55, v21
	v_add_u32_e32 v56, 2, v53
	v_cmp_le_u32_e32 vcc, v56, v19
	v_add_u32_e32 v58, 4, v53
	v_add_u32_e32 v60, 8, v53
	s_waitcnt lgkmcnt(0)
	v_cndmask_b32_e32 v22, 0, v22, vcc
	v_cmp_gt_u32_e32 vcc, 60, v53
	v_add_u32_e32 v21, v21, v22
	v_cndmask_b32_e64 v22, 0, 1, vcc
	v_lshlrev_b32_e32 v22, 2, v22
	v_add_lshl_u32 v57, v22, v47, 2
	ds_bpermute_b32 v22, v57, v21
	v_cmp_le_u32_e32 vcc, v58, v19
	v_add_u32_e32 v62, 16, v53
	v_add_u32_e32 v64, 32, v53
	s_waitcnt lgkmcnt(0)
	v_cndmask_b32_e32 v22, 0, v22, vcc
	v_cmp_gt_u32_e32 vcc, 56, v53
	v_add_u32_e32 v21, v21, v22
	v_cndmask_b32_e64 v22, 0, 1, vcc
	v_lshlrev_b32_e32 v22, 3, v22
	v_add_lshl_u32 v59, v22, v47, 2
	ds_bpermute_b32 v22, v59, v21
	v_cmp_le_u32_e32 vcc, v60, v19
	s_waitcnt lgkmcnt(0)
	v_cndmask_b32_e32 v22, 0, v22, vcc
	v_cmp_gt_u32_e32 vcc, 48, v53
	v_add_u32_e32 v21, v21, v22
	v_cndmask_b32_e64 v22, 0, 1, vcc
	v_lshlrev_b32_e32 v22, 4, v22
	v_add_lshl_u32 v61, v22, v47, 2
	ds_bpermute_b32 v22, v61, v21
	v_cmp_le_u32_e32 vcc, v62, v19
	;; [unrolled: 9-line block ×3, first 2 shown]
	s_waitcnt lgkmcnt(0)
	v_cndmask_b32_e32 v19, 0, v22, vcc
	v_add_u32_e32 v22, v21, v19
	v_mov_b32_e32 v21, 0
	s_branch .LBB3093_108
.LBB3093_107:                           ;   in Loop: Header=BB3093_108 Depth=1
	s_or_b64 exec, exec, s[26:27]
	v_cmp_eq_u16_sdwa s[26:27], v23, v52 src0_sel:BYTE_0 src1_sel:DWORD
	v_and_b32_e32 v26, s27, v25
	v_or_b32_e32 v26, 0x80000000, v26
	ds_bpermute_b32 v65, v54, v22
	v_and_b32_e32 v27, s26, v24
	v_ffbl_b32_e32 v26, v26
	v_add_u32_e32 v26, 32, v26
	v_ffbl_b32_e32 v27, v27
	v_min_u32_e32 v26, v27, v26
	v_cmp_lt_u32_e32 vcc, v53, v26
	s_waitcnt lgkmcnt(0)
	v_cndmask_b32_e32 v27, 0, v65, vcc
	v_add_u32_e32 v22, v27, v22
	ds_bpermute_b32 v27, v55, v22
	v_cmp_le_u32_e32 vcc, v56, v26
	v_subrev_u32_e32 v20, 64, v20
	s_waitcnt lgkmcnt(0)
	v_cndmask_b32_e32 v27, 0, v27, vcc
	v_add_u32_e32 v22, v22, v27
	ds_bpermute_b32 v27, v57, v22
	v_cmp_le_u32_e32 vcc, v58, v26
	s_waitcnt lgkmcnt(0)
	v_cndmask_b32_e32 v27, 0, v27, vcc
	v_add_u32_e32 v22, v22, v27
	ds_bpermute_b32 v27, v59, v22
	v_cmp_le_u32_e32 vcc, v60, v26
	;; [unrolled: 5-line block ×4, first 2 shown]
	s_waitcnt lgkmcnt(0)
	v_cndmask_b32_e32 v26, 0, v27, vcc
	v_add3_u32 v22, v26, v19, v22
.LBB3093_108:                           ; =>This Loop Header: Depth=1
                                        ;     Child Loop BB3093_111 Depth 2
	v_cmp_ne_u16_sdwa s[26:27], v23, v52 src0_sel:BYTE_0 src1_sel:DWORD
	v_cndmask_b32_e64 v19, 0, 1, s[26:27]
	;;#ASMSTART
	;;#ASMEND
	v_cmp_ne_u32_e32 vcc, 0, v19
	s_cmp_lg_u64 vcc, exec
	v_mov_b32_e32 v19, v22
	s_cbranch_scc1 .LBB3093_113
; %bb.109:                              ;   in Loop: Header=BB3093_108 Depth=1
	v_lshlrev_b64 v[22:23], 3, v[20:21]
	v_mov_b32_e32 v27, s25
	v_add_co_u32_e32 v26, vcc, s24, v22
	v_addc_co_u32_e32 v27, vcc, v27, v23, vcc
	global_load_dwordx2 v[22:23], v[26:27], off glc
	s_waitcnt vmcnt(0)
	v_cmp_eq_u16_sdwa s[28:29], v23, v21 src0_sel:BYTE_0 src1_sel:DWORD
	s_and_saveexec_b64 s[26:27], s[28:29]
	s_cbranch_execz .LBB3093_107
; %bb.110:                              ;   in Loop: Header=BB3093_108 Depth=1
	s_mov_b64 s[28:29], 0
.LBB3093_111:                           ;   Parent Loop BB3093_108 Depth=1
                                        ; =>  This Inner Loop Header: Depth=2
	global_load_dwordx2 v[22:23], v[26:27], off glc
	s_waitcnt vmcnt(0)
	v_cmp_ne_u16_sdwa s[34:35], v23, v21 src0_sel:BYTE_0 src1_sel:DWORD
	s_or_b64 s[28:29], s[34:35], s[28:29]
	s_andn2_b64 exec, exec, s[28:29]
	s_cbranch_execnz .LBB3093_111
; %bb.112:                              ;   in Loop: Header=BB3093_108 Depth=1
	s_or_b64 exec, exec, s[28:29]
	s_branch .LBB3093_107
.LBB3093_113:                           ;   in Loop: Header=BB3093_108 Depth=1
                                        ; implicit-def: $vgpr22
                                        ; implicit-def: $vgpr23
	s_cbranch_execz .LBB3093_108
; %bb.114:
	s_and_saveexec_b64 s[26:27], s[16:17]
	s_cbranch_execz .LBB3093_116
; %bb.115:
	s_add_i32 s28, s30, 64
	s_mov_b32 s29, 0
	s_lshl_b64 s[28:29], s[28:29], 3
	s_add_u32 s28, s24, s28
	v_add_u32_e32 v20, v19, v18
	v_mov_b32_e32 v21, 2
	s_addc_u32 s29, s25, s29
	v_mov_b32_e32 v22, 0
	global_store_dwordx2 v22, v[20:21], s[28:29]
	ds_write_b64 v22, v[18:19] offset:10240
.LBB3093_116:
	s_or_b64 exec, exec, s[26:27]
	s_and_b64 exec, exec, s[0:1]
	s_cbranch_execz .LBB3093_118
; %bb.117:
	v_mov_b32_e32 v18, 0
	ds_write_b32 v18, v19 offset:12
.LBB3093_118:
	s_or_b64 exec, exec, s[22:23]
	v_mov_b32_e32 v18, 0
	s_waitcnt lgkmcnt(0)
	s_barrier
	ds_read_b32 v20, v18 offset:12
	s_waitcnt lgkmcnt(0)
	s_barrier
	ds_read_b64 v[18:19], v18 offset:10240
	v_cndmask_b32_e64 v21, v51, v50, s[16:17]
	v_cndmask_b32_e64 v21, v21, 0, s[0:1]
	v_add_u32_e32 v23, v20, v21
	s_branch .LBB3093_129
.LBB3093_119:
                                        ; implicit-def: $vgpr19
                                        ; implicit-def: $vgpr23
	s_cbranch_execz .LBB3093_129
; %bb.120:
	s_waitcnt lgkmcnt(0)
	v_mov_b32_dpp v18, v49 row_shr:1 row_mask:0xf bank_mask:0xf
	v_cndmask_b32_e64 v18, v18, 0, s[14:15]
	v_add_u32_e32 v18, v18, v49
	s_nop 1
	v_mov_b32_dpp v19, v18 row_shr:2 row_mask:0xf bank_mask:0xf
	v_cndmask_b32_e64 v19, 0, v19, s[12:13]
	v_add_u32_e32 v18, v18, v19
	s_nop 1
	;; [unrolled: 4-line block ×4, first 2 shown]
	v_mov_b32_dpp v19, v18 row_bcast:15 row_mask:0xf bank_mask:0xf
	v_cndmask_b32_e64 v19, v19, 0, s[6:7]
	v_add_u32_e32 v18, v18, v19
	s_nop 1
	v_mov_b32_dpp v19, v18 row_bcast:31 row_mask:0xf bank_mask:0xf
	v_cndmask_b32_e64 v19, 0, v19, s[2:3]
	v_add_u32_e32 v18, v18, v19
	s_and_saveexec_b64 s[2:3], s[4:5]
	s_cbranch_execz .LBB3093_122
; %bb.121:
	v_lshlrev_b32_e32 v19, 2, v48
	ds_write_b32 v19, v18
.LBB3093_122:
	s_or_b64 exec, exec, s[2:3]
	v_cmp_gt_u32_e32 vcc, 4, v0
	s_waitcnt lgkmcnt(0)
	s_barrier
	s_and_saveexec_b64 s[2:3], vcc
	s_cbranch_execz .LBB3093_124
; %bb.123:
	v_lshlrev_b32_e32 v19, 2, v0
	ds_read_b32 v20, v19
	v_and_b32_e32 v21, 3, v47
	v_cmp_ne_u32_e32 vcc, 0, v21
	s_waitcnt lgkmcnt(0)
	v_mov_b32_dpp v22, v20 row_shr:1 row_mask:0xf bank_mask:0xf
	v_cndmask_b32_e32 v22, 0, v22, vcc
	v_add_u32_e32 v20, v22, v20
	v_cmp_lt_u32_e32 vcc, 1, v21
	s_nop 0
	v_mov_b32_dpp v22, v20 row_shr:2 row_mask:0xf bank_mask:0xf
	v_cndmask_b32_e32 v21, 0, v22, vcc
	v_add_u32_e32 v20, v20, v21
	ds_write_b32 v19, v20
.LBB3093_124:
	s_or_b64 exec, exec, s[2:3]
	v_cmp_lt_u32_e32 vcc, 63, v0
	v_mov_b32_e32 v19, 0
	v_mov_b32_e32 v0, 0
	s_waitcnt lgkmcnt(0)
	s_barrier
	s_and_saveexec_b64 s[2:3], vcc
	s_cbranch_execz .LBB3093_126
; %bb.125:
	v_lshl_add_u32 v0, v48, 2, -4
	ds_read_b32 v0, v0
.LBB3093_126:
	s_or_b64 exec, exec, s[2:3]
	v_add_u32_e32 v20, -1, v47
	v_and_b32_e32 v21, 64, v47
	v_cmp_lt_i32_e32 vcc, v20, v21
	v_cndmask_b32_e32 v20, v20, v47, vcc
	s_waitcnt lgkmcnt(0)
	v_add_u32_e32 v18, v0, v18
	v_lshlrev_b32_e32 v20, 2, v20
	ds_bpermute_b32 v20, v20, v18
	ds_read_b32 v18, v19 offset:12
	s_and_saveexec_b64 s[2:3], s[0:1]
	s_cbranch_execz .LBB3093_128
; %bb.127:
	v_mov_b32_e32 v21, 0
	v_mov_b32_e32 v19, 2
	s_waitcnt lgkmcnt(0)
	global_store_dwordx2 v21, v[18:19], s[24:25] offset:512
.LBB3093_128:
	s_or_b64 exec, exec, s[2:3]
	v_cmp_eq_u32_e32 vcc, 0, v47
	s_waitcnt lgkmcnt(1)
	v_cndmask_b32_e32 v0, v20, v0, vcc
	v_mov_b32_e32 v19, 0
	v_cndmask_b32_e64 v23, v0, 0, s[0:1]
	s_waitcnt lgkmcnt(0)
	s_barrier
.LBB3093_129:
	v_add_u32_sdwa v25, v23, v16 dst_sel:DWORD dst_unused:UNUSED_PAD src0_sel:DWORD src1_sel:BYTE_0
	s_waitcnt lgkmcnt(0)
	v_add_u32_e32 v1, v18, v1
	v_sub_u32_e32 v23, v23, v19
	v_and_b32_e32 v51, 1, v16
	v_sub_u32_e32 v50, v1, v23
	v_cmp_eq_u32_e32 vcc, 1, v51
	v_cndmask_b32_e32 v23, v50, v23, vcc
	v_lshlrev_b32_e32 v23, 1, v23
	v_lshrrev_b32_e32 v24, 8, v16
	ds_write_b16 v23, v6
	v_sub_u32_e32 v23, v25, v19
	v_add_u32_sdwa v26, v25, v16 dst_sel:DWORD dst_unused:UNUSED_PAD src0_sel:DWORD src1_sel:BYTE_1
	v_sub_u32_e32 v25, v1, v23
	v_and_b32_e32 v24, 1, v24
	v_add_u32_e32 v25, 1, v25
	v_cmp_eq_u32_e32 vcc, 1, v24
	v_cndmask_b32_e32 v23, v25, v23, vcc
	v_lshlrev_b32_e32 v23, 1, v23
	ds_write_b16_d16_hi v23, v6
	v_sub_u32_e32 v6, v26, v19
	v_mov_b32_e32 v24, 1
	v_sub_u32_e32 v23, v1, v6
	v_and_b32_sdwa v16, v24, v16 dst_sel:DWORD dst_unused:UNUSED_PAD src0_sel:DWORD src1_sel:WORD_1
	v_add_u32_e32 v23, 2, v23
	v_cmp_eq_u32_e32 vcc, 1, v16
	v_cndmask_b32_e32 v6, v23, v6, vcc
	v_add_u32_e32 v27, v26, v46
	v_lshlrev_b32_e32 v6, 1, v6
	ds_write_b16 v6, v7
	v_sub_u32_e32 v6, v27, v19
	v_sub_u32_e32 v16, v1, v6
	v_and_b32_e32 v23, 1, v34
	v_add_u32_e32 v16, 3, v16
	v_cmp_eq_u32_e32 vcc, 1, v23
	v_cndmask_b32_e32 v6, v16, v6, vcc
	v_add_u32_e32 v46, v27, v34
	v_lshlrev_b32_e32 v6, 1, v6
	ds_write_b16_d16_hi v6, v7
	v_sub_u32_e32 v6, v46, v19
	v_sub_u32_e32 v7, v1, v6
	v_and_b32_e32 v16, 1, v17
	v_add_u32_e32 v7, 4, v7
	v_cmp_eq_u32_e32 vcc, 1, v16
	v_cndmask_b32_e32 v6, v7, v6, vcc
	v_add_u32_e32 v43, v46, v43
	v_lshlrev_b32_e32 v6, 1, v6
	v_lshrrev_b32_e32 v22, 8, v17
	ds_write_b16 v6, v8
	v_sub_u32_e32 v6, v43, v19
	v_sub_u32_e32 v7, v1, v6
	v_and_b32_e32 v16, 1, v22
	v_add_u32_e32 v7, 5, v7
	v_cmp_eq_u32_e32 vcc, 1, v16
	v_cndmask_b32_e32 v6, v7, v6, vcc
	v_add_u32_e32 v44, v43, v44
	v_lshlrev_b32_e32 v6, 1, v6
	ds_write_b16_d16_hi v6, v8
	v_sub_u32_e32 v6, v44, v19
	v_sub_u32_e32 v7, v1, v6
	v_and_b32_sdwa v8, v24, v17 dst_sel:DWORD dst_unused:UNUSED_PAD src0_sel:DWORD src1_sel:WORD_1
	v_add_u32_e32 v7, 6, v7
	v_cmp_eq_u32_e32 vcc, 1, v8
	v_cndmask_b32_e32 v6, v7, v6, vcc
	v_add_u32_e32 v45, v44, v45
	v_lshlrev_b32_e32 v6, 1, v6
	ds_write_b16 v6, v9
	v_sub_u32_e32 v6, v45, v19
	v_sub_u32_e32 v7, v1, v6
	v_and_b32_e32 v8, 1, v33
	v_add_u32_e32 v7, 7, v7
	v_cmp_eq_u32_e32 vcc, 1, v8
	v_cndmask_b32_e32 v6, v7, v6, vcc
	v_add_u32_e32 v47, v45, v33
	v_lshlrev_b32_e32 v6, 1, v6
	ds_write_b16_d16_hi v6, v9
	v_sub_u32_e32 v6, v47, v19
	v_sub_u32_e32 v7, v1, v6
	v_and_b32_e32 v8, 1, v14
	v_add_u32_e32 v7, 8, v7
	v_cmp_eq_u32_e32 vcc, 1, v8
	v_cndmask_b32_e32 v6, v7, v6, vcc
	v_add_u32_e32 v40, v47, v40
	v_lshlrev_b32_e32 v6, 1, v6
	v_lshrrev_b32_e32 v21, 8, v14
	ds_write_b16 v6, v2
	v_sub_u32_e32 v6, v40, v19
	v_sub_u32_e32 v7, v1, v6
	v_and_b32_e32 v8, 1, v21
	v_add_u32_e32 v7, 9, v7
	v_cmp_eq_u32_e32 vcc, 1, v8
	v_cndmask_b32_e32 v6, v7, v6, vcc
	v_add_u32_e32 v41, v40, v41
	v_lshlrev_b32_e32 v6, 1, v6
	ds_write_b16_d16_hi v6, v2
	v_sub_u32_e32 v2, v41, v19
	;; [unrolled: 37-line block ×4, first 2 shown]
	v_sub_u32_e32 v2, v1, v0
	v_and_b32_sdwa v3, v24, v29 dst_sel:DWORD dst_unused:UNUSED_PAD src0_sel:DWORD src1_sel:WORD_1
	v_add_u32_e32 v2, 18, v2
	v_cmp_eq_u32_e32 vcc, 1, v3
	v_cndmask_b32_e32 v0, v2, v0, vcc
	v_lshlrev_b32_e32 v0, 1, v0
	ds_write_b16 v0, v13
	v_sub_u32_e32 v0, v30, v19
	v_add_u32_e32 v0, v36, v0
	v_sub_u32_e32 v1, v1, v0
	v_and_b32_e32 v2, 1, v28
	v_add_u32_e32 v1, 19, v1
	v_cmp_eq_u32_e32 vcc, 1, v2
	v_cndmask_b32_e32 v0, v1, v0, vcc
	v_lshlrev_b32_e32 v0, 1, v0
	s_and_b64 s[0:1], s[0:1], s[18:19]
	ds_write_b16_d16_hi v0, v13
	s_waitcnt lgkmcnt(0)
	s_barrier
	s_and_saveexec_b64 s[2:3], s[0:1]
	s_cbranch_execz .LBB3093_131
; %bb.130:
	s_waitcnt vmcnt(0)
	v_add_co_u32_e32 v0, vcc, v10, v18
	v_addc_co_u32_e32 v1, vcc, 0, v11, vcc
	v_add_co_u32_e32 v0, vcc, v0, v19
	v_mov_b32_e32 v2, 0
	v_addc_co_u32_e32 v1, vcc, 0, v1, vcc
	global_store_dwordx2 v2, v[0:1], s[20:21]
.LBB3093_131:
	s_endpgm
	.section	.rodata,"a",@progbits
	.p2align	6, 0x0
	.amdhsa_kernel _ZN7rocprim17ROCPRIM_400000_NS6detail17trampoline_kernelINS0_14default_configENS1_25partition_config_selectorILNS1_17partition_subalgoE1EtNS0_10empty_typeEbEEZZNS1_14partition_implILS5_1ELb0ES3_jN6thrust23THRUST_200600_302600_NS6detail15normal_iteratorINSA_10device_ptrItEEEEPS6_NSA_18transform_iteratorI7is_evenItESF_NSA_11use_defaultESK_EENS0_5tupleIJNSA_16discard_iteratorISK_EESO_EEENSM_IJSG_SG_EEES6_PlJS6_EEE10hipError_tPvRmT3_T4_T5_T6_T7_T9_mT8_P12ihipStream_tbDpT10_ENKUlT_T0_E_clISt17integral_constantIbLb0EES1A_IbLb1EEEEDaS16_S17_EUlS16_E_NS1_11comp_targetILNS1_3genE4ELNS1_11target_archE910ELNS1_3gpuE8ELNS1_3repE0EEENS1_30default_config_static_selectorELNS0_4arch9wavefront6targetE1EEEvT1_
		.amdhsa_group_segment_fixed_size 10248
		.amdhsa_private_segment_fixed_size 0
		.amdhsa_kernarg_size 160
		.amdhsa_user_sgpr_count 6
		.amdhsa_user_sgpr_private_segment_buffer 1
		.amdhsa_user_sgpr_dispatch_ptr 0
		.amdhsa_user_sgpr_queue_ptr 0
		.amdhsa_user_sgpr_kernarg_segment_ptr 1
		.amdhsa_user_sgpr_dispatch_id 0
		.amdhsa_user_sgpr_flat_scratch_init 0
		.amdhsa_user_sgpr_kernarg_preload_length 0
		.amdhsa_user_sgpr_kernarg_preload_offset 0
		.amdhsa_user_sgpr_private_segment_size 0
		.amdhsa_uses_dynamic_stack 0
		.amdhsa_system_sgpr_private_segment_wavefront_offset 0
		.amdhsa_system_sgpr_workgroup_id_x 1
		.amdhsa_system_sgpr_workgroup_id_y 0
		.amdhsa_system_sgpr_workgroup_id_z 0
		.amdhsa_system_sgpr_workgroup_info 0
		.amdhsa_system_vgpr_workitem_id 0
		.amdhsa_next_free_vgpr 66
		.amdhsa_next_free_sgpr 36
		.amdhsa_accum_offset 68
		.amdhsa_reserve_vcc 1
		.amdhsa_reserve_flat_scratch 0
		.amdhsa_float_round_mode_32 0
		.amdhsa_float_round_mode_16_64 0
		.amdhsa_float_denorm_mode_32 3
		.amdhsa_float_denorm_mode_16_64 3
		.amdhsa_dx10_clamp 1
		.amdhsa_ieee_mode 1
		.amdhsa_fp16_overflow 0
		.amdhsa_tg_split 0
		.amdhsa_exception_fp_ieee_invalid_op 0
		.amdhsa_exception_fp_denorm_src 0
		.amdhsa_exception_fp_ieee_div_zero 0
		.amdhsa_exception_fp_ieee_overflow 0
		.amdhsa_exception_fp_ieee_underflow 0
		.amdhsa_exception_fp_ieee_inexact 0
		.amdhsa_exception_int_div_zero 0
	.end_amdhsa_kernel
	.section	.text._ZN7rocprim17ROCPRIM_400000_NS6detail17trampoline_kernelINS0_14default_configENS1_25partition_config_selectorILNS1_17partition_subalgoE1EtNS0_10empty_typeEbEEZZNS1_14partition_implILS5_1ELb0ES3_jN6thrust23THRUST_200600_302600_NS6detail15normal_iteratorINSA_10device_ptrItEEEEPS6_NSA_18transform_iteratorI7is_evenItESF_NSA_11use_defaultESK_EENS0_5tupleIJNSA_16discard_iteratorISK_EESO_EEENSM_IJSG_SG_EEES6_PlJS6_EEE10hipError_tPvRmT3_T4_T5_T6_T7_T9_mT8_P12ihipStream_tbDpT10_ENKUlT_T0_E_clISt17integral_constantIbLb0EES1A_IbLb1EEEEDaS16_S17_EUlS16_E_NS1_11comp_targetILNS1_3genE4ELNS1_11target_archE910ELNS1_3gpuE8ELNS1_3repE0EEENS1_30default_config_static_selectorELNS0_4arch9wavefront6targetE1EEEvT1_,"axG",@progbits,_ZN7rocprim17ROCPRIM_400000_NS6detail17trampoline_kernelINS0_14default_configENS1_25partition_config_selectorILNS1_17partition_subalgoE1EtNS0_10empty_typeEbEEZZNS1_14partition_implILS5_1ELb0ES3_jN6thrust23THRUST_200600_302600_NS6detail15normal_iteratorINSA_10device_ptrItEEEEPS6_NSA_18transform_iteratorI7is_evenItESF_NSA_11use_defaultESK_EENS0_5tupleIJNSA_16discard_iteratorISK_EESO_EEENSM_IJSG_SG_EEES6_PlJS6_EEE10hipError_tPvRmT3_T4_T5_T6_T7_T9_mT8_P12ihipStream_tbDpT10_ENKUlT_T0_E_clISt17integral_constantIbLb0EES1A_IbLb1EEEEDaS16_S17_EUlS16_E_NS1_11comp_targetILNS1_3genE4ELNS1_11target_archE910ELNS1_3gpuE8ELNS1_3repE0EEENS1_30default_config_static_selectorELNS0_4arch9wavefront6targetE1EEEvT1_,comdat
.Lfunc_end3093:
	.size	_ZN7rocprim17ROCPRIM_400000_NS6detail17trampoline_kernelINS0_14default_configENS1_25partition_config_selectorILNS1_17partition_subalgoE1EtNS0_10empty_typeEbEEZZNS1_14partition_implILS5_1ELb0ES3_jN6thrust23THRUST_200600_302600_NS6detail15normal_iteratorINSA_10device_ptrItEEEEPS6_NSA_18transform_iteratorI7is_evenItESF_NSA_11use_defaultESK_EENS0_5tupleIJNSA_16discard_iteratorISK_EESO_EEENSM_IJSG_SG_EEES6_PlJS6_EEE10hipError_tPvRmT3_T4_T5_T6_T7_T9_mT8_P12ihipStream_tbDpT10_ENKUlT_T0_E_clISt17integral_constantIbLb0EES1A_IbLb1EEEEDaS16_S17_EUlS16_E_NS1_11comp_targetILNS1_3genE4ELNS1_11target_archE910ELNS1_3gpuE8ELNS1_3repE0EEENS1_30default_config_static_selectorELNS0_4arch9wavefront6targetE1EEEvT1_, .Lfunc_end3093-_ZN7rocprim17ROCPRIM_400000_NS6detail17trampoline_kernelINS0_14default_configENS1_25partition_config_selectorILNS1_17partition_subalgoE1EtNS0_10empty_typeEbEEZZNS1_14partition_implILS5_1ELb0ES3_jN6thrust23THRUST_200600_302600_NS6detail15normal_iteratorINSA_10device_ptrItEEEEPS6_NSA_18transform_iteratorI7is_evenItESF_NSA_11use_defaultESK_EENS0_5tupleIJNSA_16discard_iteratorISK_EESO_EEENSM_IJSG_SG_EEES6_PlJS6_EEE10hipError_tPvRmT3_T4_T5_T6_T7_T9_mT8_P12ihipStream_tbDpT10_ENKUlT_T0_E_clISt17integral_constantIbLb0EES1A_IbLb1EEEEDaS16_S17_EUlS16_E_NS1_11comp_targetILNS1_3genE4ELNS1_11target_archE910ELNS1_3gpuE8ELNS1_3repE0EEENS1_30default_config_static_selectorELNS0_4arch9wavefront6targetE1EEEvT1_
                                        ; -- End function
	.section	.AMDGPU.csdata,"",@progbits
; Kernel info:
; codeLenInByte = 6688
; NumSgprs: 40
; NumVgprs: 66
; NumAgprs: 0
; TotalNumVgprs: 66
; ScratchSize: 0
; MemoryBound: 0
; FloatMode: 240
; IeeeMode: 1
; LDSByteSize: 10248 bytes/workgroup (compile time only)
; SGPRBlocks: 4
; VGPRBlocks: 8
; NumSGPRsForWavesPerEU: 40
; NumVGPRsForWavesPerEU: 66
; AccumOffset: 68
; Occupancy: 6
; WaveLimiterHint : 1
; COMPUTE_PGM_RSRC2:SCRATCH_EN: 0
; COMPUTE_PGM_RSRC2:USER_SGPR: 6
; COMPUTE_PGM_RSRC2:TRAP_HANDLER: 0
; COMPUTE_PGM_RSRC2:TGID_X_EN: 1
; COMPUTE_PGM_RSRC2:TGID_Y_EN: 0
; COMPUTE_PGM_RSRC2:TGID_Z_EN: 0
; COMPUTE_PGM_RSRC2:TIDIG_COMP_CNT: 0
; COMPUTE_PGM_RSRC3_GFX90A:ACCUM_OFFSET: 16
; COMPUTE_PGM_RSRC3_GFX90A:TG_SPLIT: 0
	.section	.text._ZN7rocprim17ROCPRIM_400000_NS6detail17trampoline_kernelINS0_14default_configENS1_25partition_config_selectorILNS1_17partition_subalgoE1EtNS0_10empty_typeEbEEZZNS1_14partition_implILS5_1ELb0ES3_jN6thrust23THRUST_200600_302600_NS6detail15normal_iteratorINSA_10device_ptrItEEEEPS6_NSA_18transform_iteratorI7is_evenItESF_NSA_11use_defaultESK_EENS0_5tupleIJNSA_16discard_iteratorISK_EESO_EEENSM_IJSG_SG_EEES6_PlJS6_EEE10hipError_tPvRmT3_T4_T5_T6_T7_T9_mT8_P12ihipStream_tbDpT10_ENKUlT_T0_E_clISt17integral_constantIbLb0EES1A_IbLb1EEEEDaS16_S17_EUlS16_E_NS1_11comp_targetILNS1_3genE3ELNS1_11target_archE908ELNS1_3gpuE7ELNS1_3repE0EEENS1_30default_config_static_selectorELNS0_4arch9wavefront6targetE1EEEvT1_,"axG",@progbits,_ZN7rocprim17ROCPRIM_400000_NS6detail17trampoline_kernelINS0_14default_configENS1_25partition_config_selectorILNS1_17partition_subalgoE1EtNS0_10empty_typeEbEEZZNS1_14partition_implILS5_1ELb0ES3_jN6thrust23THRUST_200600_302600_NS6detail15normal_iteratorINSA_10device_ptrItEEEEPS6_NSA_18transform_iteratorI7is_evenItESF_NSA_11use_defaultESK_EENS0_5tupleIJNSA_16discard_iteratorISK_EESO_EEENSM_IJSG_SG_EEES6_PlJS6_EEE10hipError_tPvRmT3_T4_T5_T6_T7_T9_mT8_P12ihipStream_tbDpT10_ENKUlT_T0_E_clISt17integral_constantIbLb0EES1A_IbLb1EEEEDaS16_S17_EUlS16_E_NS1_11comp_targetILNS1_3genE3ELNS1_11target_archE908ELNS1_3gpuE7ELNS1_3repE0EEENS1_30default_config_static_selectorELNS0_4arch9wavefront6targetE1EEEvT1_,comdat
	.protected	_ZN7rocprim17ROCPRIM_400000_NS6detail17trampoline_kernelINS0_14default_configENS1_25partition_config_selectorILNS1_17partition_subalgoE1EtNS0_10empty_typeEbEEZZNS1_14partition_implILS5_1ELb0ES3_jN6thrust23THRUST_200600_302600_NS6detail15normal_iteratorINSA_10device_ptrItEEEEPS6_NSA_18transform_iteratorI7is_evenItESF_NSA_11use_defaultESK_EENS0_5tupleIJNSA_16discard_iteratorISK_EESO_EEENSM_IJSG_SG_EEES6_PlJS6_EEE10hipError_tPvRmT3_T4_T5_T6_T7_T9_mT8_P12ihipStream_tbDpT10_ENKUlT_T0_E_clISt17integral_constantIbLb0EES1A_IbLb1EEEEDaS16_S17_EUlS16_E_NS1_11comp_targetILNS1_3genE3ELNS1_11target_archE908ELNS1_3gpuE7ELNS1_3repE0EEENS1_30default_config_static_selectorELNS0_4arch9wavefront6targetE1EEEvT1_ ; -- Begin function _ZN7rocprim17ROCPRIM_400000_NS6detail17trampoline_kernelINS0_14default_configENS1_25partition_config_selectorILNS1_17partition_subalgoE1EtNS0_10empty_typeEbEEZZNS1_14partition_implILS5_1ELb0ES3_jN6thrust23THRUST_200600_302600_NS6detail15normal_iteratorINSA_10device_ptrItEEEEPS6_NSA_18transform_iteratorI7is_evenItESF_NSA_11use_defaultESK_EENS0_5tupleIJNSA_16discard_iteratorISK_EESO_EEENSM_IJSG_SG_EEES6_PlJS6_EEE10hipError_tPvRmT3_T4_T5_T6_T7_T9_mT8_P12ihipStream_tbDpT10_ENKUlT_T0_E_clISt17integral_constantIbLb0EES1A_IbLb1EEEEDaS16_S17_EUlS16_E_NS1_11comp_targetILNS1_3genE3ELNS1_11target_archE908ELNS1_3gpuE7ELNS1_3repE0EEENS1_30default_config_static_selectorELNS0_4arch9wavefront6targetE1EEEvT1_
	.globl	_ZN7rocprim17ROCPRIM_400000_NS6detail17trampoline_kernelINS0_14default_configENS1_25partition_config_selectorILNS1_17partition_subalgoE1EtNS0_10empty_typeEbEEZZNS1_14partition_implILS5_1ELb0ES3_jN6thrust23THRUST_200600_302600_NS6detail15normal_iteratorINSA_10device_ptrItEEEEPS6_NSA_18transform_iteratorI7is_evenItESF_NSA_11use_defaultESK_EENS0_5tupleIJNSA_16discard_iteratorISK_EESO_EEENSM_IJSG_SG_EEES6_PlJS6_EEE10hipError_tPvRmT3_T4_T5_T6_T7_T9_mT8_P12ihipStream_tbDpT10_ENKUlT_T0_E_clISt17integral_constantIbLb0EES1A_IbLb1EEEEDaS16_S17_EUlS16_E_NS1_11comp_targetILNS1_3genE3ELNS1_11target_archE908ELNS1_3gpuE7ELNS1_3repE0EEENS1_30default_config_static_selectorELNS0_4arch9wavefront6targetE1EEEvT1_
	.p2align	8
	.type	_ZN7rocprim17ROCPRIM_400000_NS6detail17trampoline_kernelINS0_14default_configENS1_25partition_config_selectorILNS1_17partition_subalgoE1EtNS0_10empty_typeEbEEZZNS1_14partition_implILS5_1ELb0ES3_jN6thrust23THRUST_200600_302600_NS6detail15normal_iteratorINSA_10device_ptrItEEEEPS6_NSA_18transform_iteratorI7is_evenItESF_NSA_11use_defaultESK_EENS0_5tupleIJNSA_16discard_iteratorISK_EESO_EEENSM_IJSG_SG_EEES6_PlJS6_EEE10hipError_tPvRmT3_T4_T5_T6_T7_T9_mT8_P12ihipStream_tbDpT10_ENKUlT_T0_E_clISt17integral_constantIbLb0EES1A_IbLb1EEEEDaS16_S17_EUlS16_E_NS1_11comp_targetILNS1_3genE3ELNS1_11target_archE908ELNS1_3gpuE7ELNS1_3repE0EEENS1_30default_config_static_selectorELNS0_4arch9wavefront6targetE1EEEvT1_,@function
_ZN7rocprim17ROCPRIM_400000_NS6detail17trampoline_kernelINS0_14default_configENS1_25partition_config_selectorILNS1_17partition_subalgoE1EtNS0_10empty_typeEbEEZZNS1_14partition_implILS5_1ELb0ES3_jN6thrust23THRUST_200600_302600_NS6detail15normal_iteratorINSA_10device_ptrItEEEEPS6_NSA_18transform_iteratorI7is_evenItESF_NSA_11use_defaultESK_EENS0_5tupleIJNSA_16discard_iteratorISK_EESO_EEENSM_IJSG_SG_EEES6_PlJS6_EEE10hipError_tPvRmT3_T4_T5_T6_T7_T9_mT8_P12ihipStream_tbDpT10_ENKUlT_T0_E_clISt17integral_constantIbLb0EES1A_IbLb1EEEEDaS16_S17_EUlS16_E_NS1_11comp_targetILNS1_3genE3ELNS1_11target_archE908ELNS1_3gpuE7ELNS1_3repE0EEENS1_30default_config_static_selectorELNS0_4arch9wavefront6targetE1EEEvT1_: ; @_ZN7rocprim17ROCPRIM_400000_NS6detail17trampoline_kernelINS0_14default_configENS1_25partition_config_selectorILNS1_17partition_subalgoE1EtNS0_10empty_typeEbEEZZNS1_14partition_implILS5_1ELb0ES3_jN6thrust23THRUST_200600_302600_NS6detail15normal_iteratorINSA_10device_ptrItEEEEPS6_NSA_18transform_iteratorI7is_evenItESF_NSA_11use_defaultESK_EENS0_5tupleIJNSA_16discard_iteratorISK_EESO_EEENSM_IJSG_SG_EEES6_PlJS6_EEE10hipError_tPvRmT3_T4_T5_T6_T7_T9_mT8_P12ihipStream_tbDpT10_ENKUlT_T0_E_clISt17integral_constantIbLb0EES1A_IbLb1EEEEDaS16_S17_EUlS16_E_NS1_11comp_targetILNS1_3genE3ELNS1_11target_archE908ELNS1_3gpuE7ELNS1_3repE0EEENS1_30default_config_static_selectorELNS0_4arch9wavefront6targetE1EEEvT1_
; %bb.0:
	.section	.rodata,"a",@progbits
	.p2align	6, 0x0
	.amdhsa_kernel _ZN7rocprim17ROCPRIM_400000_NS6detail17trampoline_kernelINS0_14default_configENS1_25partition_config_selectorILNS1_17partition_subalgoE1EtNS0_10empty_typeEbEEZZNS1_14partition_implILS5_1ELb0ES3_jN6thrust23THRUST_200600_302600_NS6detail15normal_iteratorINSA_10device_ptrItEEEEPS6_NSA_18transform_iteratorI7is_evenItESF_NSA_11use_defaultESK_EENS0_5tupleIJNSA_16discard_iteratorISK_EESO_EEENSM_IJSG_SG_EEES6_PlJS6_EEE10hipError_tPvRmT3_T4_T5_T6_T7_T9_mT8_P12ihipStream_tbDpT10_ENKUlT_T0_E_clISt17integral_constantIbLb0EES1A_IbLb1EEEEDaS16_S17_EUlS16_E_NS1_11comp_targetILNS1_3genE3ELNS1_11target_archE908ELNS1_3gpuE7ELNS1_3repE0EEENS1_30default_config_static_selectorELNS0_4arch9wavefront6targetE1EEEvT1_
		.amdhsa_group_segment_fixed_size 0
		.amdhsa_private_segment_fixed_size 0
		.amdhsa_kernarg_size 160
		.amdhsa_user_sgpr_count 6
		.amdhsa_user_sgpr_private_segment_buffer 1
		.amdhsa_user_sgpr_dispatch_ptr 0
		.amdhsa_user_sgpr_queue_ptr 0
		.amdhsa_user_sgpr_kernarg_segment_ptr 1
		.amdhsa_user_sgpr_dispatch_id 0
		.amdhsa_user_sgpr_flat_scratch_init 0
		.amdhsa_user_sgpr_kernarg_preload_length 0
		.amdhsa_user_sgpr_kernarg_preload_offset 0
		.amdhsa_user_sgpr_private_segment_size 0
		.amdhsa_uses_dynamic_stack 0
		.amdhsa_system_sgpr_private_segment_wavefront_offset 0
		.amdhsa_system_sgpr_workgroup_id_x 1
		.amdhsa_system_sgpr_workgroup_id_y 0
		.amdhsa_system_sgpr_workgroup_id_z 0
		.amdhsa_system_sgpr_workgroup_info 0
		.amdhsa_system_vgpr_workitem_id 0
		.amdhsa_next_free_vgpr 1
		.amdhsa_next_free_sgpr 0
		.amdhsa_accum_offset 4
		.amdhsa_reserve_vcc 0
		.amdhsa_reserve_flat_scratch 0
		.amdhsa_float_round_mode_32 0
		.amdhsa_float_round_mode_16_64 0
		.amdhsa_float_denorm_mode_32 3
		.amdhsa_float_denorm_mode_16_64 3
		.amdhsa_dx10_clamp 1
		.amdhsa_ieee_mode 1
		.amdhsa_fp16_overflow 0
		.amdhsa_tg_split 0
		.amdhsa_exception_fp_ieee_invalid_op 0
		.amdhsa_exception_fp_denorm_src 0
		.amdhsa_exception_fp_ieee_div_zero 0
		.amdhsa_exception_fp_ieee_overflow 0
		.amdhsa_exception_fp_ieee_underflow 0
		.amdhsa_exception_fp_ieee_inexact 0
		.amdhsa_exception_int_div_zero 0
	.end_amdhsa_kernel
	.section	.text._ZN7rocprim17ROCPRIM_400000_NS6detail17trampoline_kernelINS0_14default_configENS1_25partition_config_selectorILNS1_17partition_subalgoE1EtNS0_10empty_typeEbEEZZNS1_14partition_implILS5_1ELb0ES3_jN6thrust23THRUST_200600_302600_NS6detail15normal_iteratorINSA_10device_ptrItEEEEPS6_NSA_18transform_iteratorI7is_evenItESF_NSA_11use_defaultESK_EENS0_5tupleIJNSA_16discard_iteratorISK_EESO_EEENSM_IJSG_SG_EEES6_PlJS6_EEE10hipError_tPvRmT3_T4_T5_T6_T7_T9_mT8_P12ihipStream_tbDpT10_ENKUlT_T0_E_clISt17integral_constantIbLb0EES1A_IbLb1EEEEDaS16_S17_EUlS16_E_NS1_11comp_targetILNS1_3genE3ELNS1_11target_archE908ELNS1_3gpuE7ELNS1_3repE0EEENS1_30default_config_static_selectorELNS0_4arch9wavefront6targetE1EEEvT1_,"axG",@progbits,_ZN7rocprim17ROCPRIM_400000_NS6detail17trampoline_kernelINS0_14default_configENS1_25partition_config_selectorILNS1_17partition_subalgoE1EtNS0_10empty_typeEbEEZZNS1_14partition_implILS5_1ELb0ES3_jN6thrust23THRUST_200600_302600_NS6detail15normal_iteratorINSA_10device_ptrItEEEEPS6_NSA_18transform_iteratorI7is_evenItESF_NSA_11use_defaultESK_EENS0_5tupleIJNSA_16discard_iteratorISK_EESO_EEENSM_IJSG_SG_EEES6_PlJS6_EEE10hipError_tPvRmT3_T4_T5_T6_T7_T9_mT8_P12ihipStream_tbDpT10_ENKUlT_T0_E_clISt17integral_constantIbLb0EES1A_IbLb1EEEEDaS16_S17_EUlS16_E_NS1_11comp_targetILNS1_3genE3ELNS1_11target_archE908ELNS1_3gpuE7ELNS1_3repE0EEENS1_30default_config_static_selectorELNS0_4arch9wavefront6targetE1EEEvT1_,comdat
.Lfunc_end3094:
	.size	_ZN7rocprim17ROCPRIM_400000_NS6detail17trampoline_kernelINS0_14default_configENS1_25partition_config_selectorILNS1_17partition_subalgoE1EtNS0_10empty_typeEbEEZZNS1_14partition_implILS5_1ELb0ES3_jN6thrust23THRUST_200600_302600_NS6detail15normal_iteratorINSA_10device_ptrItEEEEPS6_NSA_18transform_iteratorI7is_evenItESF_NSA_11use_defaultESK_EENS0_5tupleIJNSA_16discard_iteratorISK_EESO_EEENSM_IJSG_SG_EEES6_PlJS6_EEE10hipError_tPvRmT3_T4_T5_T6_T7_T9_mT8_P12ihipStream_tbDpT10_ENKUlT_T0_E_clISt17integral_constantIbLb0EES1A_IbLb1EEEEDaS16_S17_EUlS16_E_NS1_11comp_targetILNS1_3genE3ELNS1_11target_archE908ELNS1_3gpuE7ELNS1_3repE0EEENS1_30default_config_static_selectorELNS0_4arch9wavefront6targetE1EEEvT1_, .Lfunc_end3094-_ZN7rocprim17ROCPRIM_400000_NS6detail17trampoline_kernelINS0_14default_configENS1_25partition_config_selectorILNS1_17partition_subalgoE1EtNS0_10empty_typeEbEEZZNS1_14partition_implILS5_1ELb0ES3_jN6thrust23THRUST_200600_302600_NS6detail15normal_iteratorINSA_10device_ptrItEEEEPS6_NSA_18transform_iteratorI7is_evenItESF_NSA_11use_defaultESK_EENS0_5tupleIJNSA_16discard_iteratorISK_EESO_EEENSM_IJSG_SG_EEES6_PlJS6_EEE10hipError_tPvRmT3_T4_T5_T6_T7_T9_mT8_P12ihipStream_tbDpT10_ENKUlT_T0_E_clISt17integral_constantIbLb0EES1A_IbLb1EEEEDaS16_S17_EUlS16_E_NS1_11comp_targetILNS1_3genE3ELNS1_11target_archE908ELNS1_3gpuE7ELNS1_3repE0EEENS1_30default_config_static_selectorELNS0_4arch9wavefront6targetE1EEEvT1_
                                        ; -- End function
	.section	.AMDGPU.csdata,"",@progbits
; Kernel info:
; codeLenInByte = 0
; NumSgprs: 4
; NumVgprs: 0
; NumAgprs: 0
; TotalNumVgprs: 0
; ScratchSize: 0
; MemoryBound: 0
; FloatMode: 240
; IeeeMode: 1
; LDSByteSize: 0 bytes/workgroup (compile time only)
; SGPRBlocks: 0
; VGPRBlocks: 0
; NumSGPRsForWavesPerEU: 4
; NumVGPRsForWavesPerEU: 1
; AccumOffset: 4
; Occupancy: 8
; WaveLimiterHint : 0
; COMPUTE_PGM_RSRC2:SCRATCH_EN: 0
; COMPUTE_PGM_RSRC2:USER_SGPR: 6
; COMPUTE_PGM_RSRC2:TRAP_HANDLER: 0
; COMPUTE_PGM_RSRC2:TGID_X_EN: 1
; COMPUTE_PGM_RSRC2:TGID_Y_EN: 0
; COMPUTE_PGM_RSRC2:TGID_Z_EN: 0
; COMPUTE_PGM_RSRC2:TIDIG_COMP_CNT: 0
; COMPUTE_PGM_RSRC3_GFX90A:ACCUM_OFFSET: 0
; COMPUTE_PGM_RSRC3_GFX90A:TG_SPLIT: 0
	.section	.text._ZN7rocprim17ROCPRIM_400000_NS6detail17trampoline_kernelINS0_14default_configENS1_25partition_config_selectorILNS1_17partition_subalgoE1EtNS0_10empty_typeEbEEZZNS1_14partition_implILS5_1ELb0ES3_jN6thrust23THRUST_200600_302600_NS6detail15normal_iteratorINSA_10device_ptrItEEEEPS6_NSA_18transform_iteratorI7is_evenItESF_NSA_11use_defaultESK_EENS0_5tupleIJNSA_16discard_iteratorISK_EESO_EEENSM_IJSG_SG_EEES6_PlJS6_EEE10hipError_tPvRmT3_T4_T5_T6_T7_T9_mT8_P12ihipStream_tbDpT10_ENKUlT_T0_E_clISt17integral_constantIbLb0EES1A_IbLb1EEEEDaS16_S17_EUlS16_E_NS1_11comp_targetILNS1_3genE2ELNS1_11target_archE906ELNS1_3gpuE6ELNS1_3repE0EEENS1_30default_config_static_selectorELNS0_4arch9wavefront6targetE1EEEvT1_,"axG",@progbits,_ZN7rocprim17ROCPRIM_400000_NS6detail17trampoline_kernelINS0_14default_configENS1_25partition_config_selectorILNS1_17partition_subalgoE1EtNS0_10empty_typeEbEEZZNS1_14partition_implILS5_1ELb0ES3_jN6thrust23THRUST_200600_302600_NS6detail15normal_iteratorINSA_10device_ptrItEEEEPS6_NSA_18transform_iteratorI7is_evenItESF_NSA_11use_defaultESK_EENS0_5tupleIJNSA_16discard_iteratorISK_EESO_EEENSM_IJSG_SG_EEES6_PlJS6_EEE10hipError_tPvRmT3_T4_T5_T6_T7_T9_mT8_P12ihipStream_tbDpT10_ENKUlT_T0_E_clISt17integral_constantIbLb0EES1A_IbLb1EEEEDaS16_S17_EUlS16_E_NS1_11comp_targetILNS1_3genE2ELNS1_11target_archE906ELNS1_3gpuE6ELNS1_3repE0EEENS1_30default_config_static_selectorELNS0_4arch9wavefront6targetE1EEEvT1_,comdat
	.protected	_ZN7rocprim17ROCPRIM_400000_NS6detail17trampoline_kernelINS0_14default_configENS1_25partition_config_selectorILNS1_17partition_subalgoE1EtNS0_10empty_typeEbEEZZNS1_14partition_implILS5_1ELb0ES3_jN6thrust23THRUST_200600_302600_NS6detail15normal_iteratorINSA_10device_ptrItEEEEPS6_NSA_18transform_iteratorI7is_evenItESF_NSA_11use_defaultESK_EENS0_5tupleIJNSA_16discard_iteratorISK_EESO_EEENSM_IJSG_SG_EEES6_PlJS6_EEE10hipError_tPvRmT3_T4_T5_T6_T7_T9_mT8_P12ihipStream_tbDpT10_ENKUlT_T0_E_clISt17integral_constantIbLb0EES1A_IbLb1EEEEDaS16_S17_EUlS16_E_NS1_11comp_targetILNS1_3genE2ELNS1_11target_archE906ELNS1_3gpuE6ELNS1_3repE0EEENS1_30default_config_static_selectorELNS0_4arch9wavefront6targetE1EEEvT1_ ; -- Begin function _ZN7rocprim17ROCPRIM_400000_NS6detail17trampoline_kernelINS0_14default_configENS1_25partition_config_selectorILNS1_17partition_subalgoE1EtNS0_10empty_typeEbEEZZNS1_14partition_implILS5_1ELb0ES3_jN6thrust23THRUST_200600_302600_NS6detail15normal_iteratorINSA_10device_ptrItEEEEPS6_NSA_18transform_iteratorI7is_evenItESF_NSA_11use_defaultESK_EENS0_5tupleIJNSA_16discard_iteratorISK_EESO_EEENSM_IJSG_SG_EEES6_PlJS6_EEE10hipError_tPvRmT3_T4_T5_T6_T7_T9_mT8_P12ihipStream_tbDpT10_ENKUlT_T0_E_clISt17integral_constantIbLb0EES1A_IbLb1EEEEDaS16_S17_EUlS16_E_NS1_11comp_targetILNS1_3genE2ELNS1_11target_archE906ELNS1_3gpuE6ELNS1_3repE0EEENS1_30default_config_static_selectorELNS0_4arch9wavefront6targetE1EEEvT1_
	.globl	_ZN7rocprim17ROCPRIM_400000_NS6detail17trampoline_kernelINS0_14default_configENS1_25partition_config_selectorILNS1_17partition_subalgoE1EtNS0_10empty_typeEbEEZZNS1_14partition_implILS5_1ELb0ES3_jN6thrust23THRUST_200600_302600_NS6detail15normal_iteratorINSA_10device_ptrItEEEEPS6_NSA_18transform_iteratorI7is_evenItESF_NSA_11use_defaultESK_EENS0_5tupleIJNSA_16discard_iteratorISK_EESO_EEENSM_IJSG_SG_EEES6_PlJS6_EEE10hipError_tPvRmT3_T4_T5_T6_T7_T9_mT8_P12ihipStream_tbDpT10_ENKUlT_T0_E_clISt17integral_constantIbLb0EES1A_IbLb1EEEEDaS16_S17_EUlS16_E_NS1_11comp_targetILNS1_3genE2ELNS1_11target_archE906ELNS1_3gpuE6ELNS1_3repE0EEENS1_30default_config_static_selectorELNS0_4arch9wavefront6targetE1EEEvT1_
	.p2align	8
	.type	_ZN7rocprim17ROCPRIM_400000_NS6detail17trampoline_kernelINS0_14default_configENS1_25partition_config_selectorILNS1_17partition_subalgoE1EtNS0_10empty_typeEbEEZZNS1_14partition_implILS5_1ELb0ES3_jN6thrust23THRUST_200600_302600_NS6detail15normal_iteratorINSA_10device_ptrItEEEEPS6_NSA_18transform_iteratorI7is_evenItESF_NSA_11use_defaultESK_EENS0_5tupleIJNSA_16discard_iteratorISK_EESO_EEENSM_IJSG_SG_EEES6_PlJS6_EEE10hipError_tPvRmT3_T4_T5_T6_T7_T9_mT8_P12ihipStream_tbDpT10_ENKUlT_T0_E_clISt17integral_constantIbLb0EES1A_IbLb1EEEEDaS16_S17_EUlS16_E_NS1_11comp_targetILNS1_3genE2ELNS1_11target_archE906ELNS1_3gpuE6ELNS1_3repE0EEENS1_30default_config_static_selectorELNS0_4arch9wavefront6targetE1EEEvT1_,@function
_ZN7rocprim17ROCPRIM_400000_NS6detail17trampoline_kernelINS0_14default_configENS1_25partition_config_selectorILNS1_17partition_subalgoE1EtNS0_10empty_typeEbEEZZNS1_14partition_implILS5_1ELb0ES3_jN6thrust23THRUST_200600_302600_NS6detail15normal_iteratorINSA_10device_ptrItEEEEPS6_NSA_18transform_iteratorI7is_evenItESF_NSA_11use_defaultESK_EENS0_5tupleIJNSA_16discard_iteratorISK_EESO_EEENSM_IJSG_SG_EEES6_PlJS6_EEE10hipError_tPvRmT3_T4_T5_T6_T7_T9_mT8_P12ihipStream_tbDpT10_ENKUlT_T0_E_clISt17integral_constantIbLb0EES1A_IbLb1EEEEDaS16_S17_EUlS16_E_NS1_11comp_targetILNS1_3genE2ELNS1_11target_archE906ELNS1_3gpuE6ELNS1_3repE0EEENS1_30default_config_static_selectorELNS0_4arch9wavefront6targetE1EEEvT1_: ; @_ZN7rocprim17ROCPRIM_400000_NS6detail17trampoline_kernelINS0_14default_configENS1_25partition_config_selectorILNS1_17partition_subalgoE1EtNS0_10empty_typeEbEEZZNS1_14partition_implILS5_1ELb0ES3_jN6thrust23THRUST_200600_302600_NS6detail15normal_iteratorINSA_10device_ptrItEEEEPS6_NSA_18transform_iteratorI7is_evenItESF_NSA_11use_defaultESK_EENS0_5tupleIJNSA_16discard_iteratorISK_EESO_EEENSM_IJSG_SG_EEES6_PlJS6_EEE10hipError_tPvRmT3_T4_T5_T6_T7_T9_mT8_P12ihipStream_tbDpT10_ENKUlT_T0_E_clISt17integral_constantIbLb0EES1A_IbLb1EEEEDaS16_S17_EUlS16_E_NS1_11comp_targetILNS1_3genE2ELNS1_11target_archE906ELNS1_3gpuE6ELNS1_3repE0EEENS1_30default_config_static_selectorELNS0_4arch9wavefront6targetE1EEEvT1_
; %bb.0:
	.section	.rodata,"a",@progbits
	.p2align	6, 0x0
	.amdhsa_kernel _ZN7rocprim17ROCPRIM_400000_NS6detail17trampoline_kernelINS0_14default_configENS1_25partition_config_selectorILNS1_17partition_subalgoE1EtNS0_10empty_typeEbEEZZNS1_14partition_implILS5_1ELb0ES3_jN6thrust23THRUST_200600_302600_NS6detail15normal_iteratorINSA_10device_ptrItEEEEPS6_NSA_18transform_iteratorI7is_evenItESF_NSA_11use_defaultESK_EENS0_5tupleIJNSA_16discard_iteratorISK_EESO_EEENSM_IJSG_SG_EEES6_PlJS6_EEE10hipError_tPvRmT3_T4_T5_T6_T7_T9_mT8_P12ihipStream_tbDpT10_ENKUlT_T0_E_clISt17integral_constantIbLb0EES1A_IbLb1EEEEDaS16_S17_EUlS16_E_NS1_11comp_targetILNS1_3genE2ELNS1_11target_archE906ELNS1_3gpuE6ELNS1_3repE0EEENS1_30default_config_static_selectorELNS0_4arch9wavefront6targetE1EEEvT1_
		.amdhsa_group_segment_fixed_size 0
		.amdhsa_private_segment_fixed_size 0
		.amdhsa_kernarg_size 160
		.amdhsa_user_sgpr_count 6
		.amdhsa_user_sgpr_private_segment_buffer 1
		.amdhsa_user_sgpr_dispatch_ptr 0
		.amdhsa_user_sgpr_queue_ptr 0
		.amdhsa_user_sgpr_kernarg_segment_ptr 1
		.amdhsa_user_sgpr_dispatch_id 0
		.amdhsa_user_sgpr_flat_scratch_init 0
		.amdhsa_user_sgpr_kernarg_preload_length 0
		.amdhsa_user_sgpr_kernarg_preload_offset 0
		.amdhsa_user_sgpr_private_segment_size 0
		.amdhsa_uses_dynamic_stack 0
		.amdhsa_system_sgpr_private_segment_wavefront_offset 0
		.amdhsa_system_sgpr_workgroup_id_x 1
		.amdhsa_system_sgpr_workgroup_id_y 0
		.amdhsa_system_sgpr_workgroup_id_z 0
		.amdhsa_system_sgpr_workgroup_info 0
		.amdhsa_system_vgpr_workitem_id 0
		.amdhsa_next_free_vgpr 1
		.amdhsa_next_free_sgpr 0
		.amdhsa_accum_offset 4
		.amdhsa_reserve_vcc 0
		.amdhsa_reserve_flat_scratch 0
		.amdhsa_float_round_mode_32 0
		.amdhsa_float_round_mode_16_64 0
		.amdhsa_float_denorm_mode_32 3
		.amdhsa_float_denorm_mode_16_64 3
		.amdhsa_dx10_clamp 1
		.amdhsa_ieee_mode 1
		.amdhsa_fp16_overflow 0
		.amdhsa_tg_split 0
		.amdhsa_exception_fp_ieee_invalid_op 0
		.amdhsa_exception_fp_denorm_src 0
		.amdhsa_exception_fp_ieee_div_zero 0
		.amdhsa_exception_fp_ieee_overflow 0
		.amdhsa_exception_fp_ieee_underflow 0
		.amdhsa_exception_fp_ieee_inexact 0
		.amdhsa_exception_int_div_zero 0
	.end_amdhsa_kernel
	.section	.text._ZN7rocprim17ROCPRIM_400000_NS6detail17trampoline_kernelINS0_14default_configENS1_25partition_config_selectorILNS1_17partition_subalgoE1EtNS0_10empty_typeEbEEZZNS1_14partition_implILS5_1ELb0ES3_jN6thrust23THRUST_200600_302600_NS6detail15normal_iteratorINSA_10device_ptrItEEEEPS6_NSA_18transform_iteratorI7is_evenItESF_NSA_11use_defaultESK_EENS0_5tupleIJNSA_16discard_iteratorISK_EESO_EEENSM_IJSG_SG_EEES6_PlJS6_EEE10hipError_tPvRmT3_T4_T5_T6_T7_T9_mT8_P12ihipStream_tbDpT10_ENKUlT_T0_E_clISt17integral_constantIbLb0EES1A_IbLb1EEEEDaS16_S17_EUlS16_E_NS1_11comp_targetILNS1_3genE2ELNS1_11target_archE906ELNS1_3gpuE6ELNS1_3repE0EEENS1_30default_config_static_selectorELNS0_4arch9wavefront6targetE1EEEvT1_,"axG",@progbits,_ZN7rocprim17ROCPRIM_400000_NS6detail17trampoline_kernelINS0_14default_configENS1_25partition_config_selectorILNS1_17partition_subalgoE1EtNS0_10empty_typeEbEEZZNS1_14partition_implILS5_1ELb0ES3_jN6thrust23THRUST_200600_302600_NS6detail15normal_iteratorINSA_10device_ptrItEEEEPS6_NSA_18transform_iteratorI7is_evenItESF_NSA_11use_defaultESK_EENS0_5tupleIJNSA_16discard_iteratorISK_EESO_EEENSM_IJSG_SG_EEES6_PlJS6_EEE10hipError_tPvRmT3_T4_T5_T6_T7_T9_mT8_P12ihipStream_tbDpT10_ENKUlT_T0_E_clISt17integral_constantIbLb0EES1A_IbLb1EEEEDaS16_S17_EUlS16_E_NS1_11comp_targetILNS1_3genE2ELNS1_11target_archE906ELNS1_3gpuE6ELNS1_3repE0EEENS1_30default_config_static_selectorELNS0_4arch9wavefront6targetE1EEEvT1_,comdat
.Lfunc_end3095:
	.size	_ZN7rocprim17ROCPRIM_400000_NS6detail17trampoline_kernelINS0_14default_configENS1_25partition_config_selectorILNS1_17partition_subalgoE1EtNS0_10empty_typeEbEEZZNS1_14partition_implILS5_1ELb0ES3_jN6thrust23THRUST_200600_302600_NS6detail15normal_iteratorINSA_10device_ptrItEEEEPS6_NSA_18transform_iteratorI7is_evenItESF_NSA_11use_defaultESK_EENS0_5tupleIJNSA_16discard_iteratorISK_EESO_EEENSM_IJSG_SG_EEES6_PlJS6_EEE10hipError_tPvRmT3_T4_T5_T6_T7_T9_mT8_P12ihipStream_tbDpT10_ENKUlT_T0_E_clISt17integral_constantIbLb0EES1A_IbLb1EEEEDaS16_S17_EUlS16_E_NS1_11comp_targetILNS1_3genE2ELNS1_11target_archE906ELNS1_3gpuE6ELNS1_3repE0EEENS1_30default_config_static_selectorELNS0_4arch9wavefront6targetE1EEEvT1_, .Lfunc_end3095-_ZN7rocprim17ROCPRIM_400000_NS6detail17trampoline_kernelINS0_14default_configENS1_25partition_config_selectorILNS1_17partition_subalgoE1EtNS0_10empty_typeEbEEZZNS1_14partition_implILS5_1ELb0ES3_jN6thrust23THRUST_200600_302600_NS6detail15normal_iteratorINSA_10device_ptrItEEEEPS6_NSA_18transform_iteratorI7is_evenItESF_NSA_11use_defaultESK_EENS0_5tupleIJNSA_16discard_iteratorISK_EESO_EEENSM_IJSG_SG_EEES6_PlJS6_EEE10hipError_tPvRmT3_T4_T5_T6_T7_T9_mT8_P12ihipStream_tbDpT10_ENKUlT_T0_E_clISt17integral_constantIbLb0EES1A_IbLb1EEEEDaS16_S17_EUlS16_E_NS1_11comp_targetILNS1_3genE2ELNS1_11target_archE906ELNS1_3gpuE6ELNS1_3repE0EEENS1_30default_config_static_selectorELNS0_4arch9wavefront6targetE1EEEvT1_
                                        ; -- End function
	.section	.AMDGPU.csdata,"",@progbits
; Kernel info:
; codeLenInByte = 0
; NumSgprs: 4
; NumVgprs: 0
; NumAgprs: 0
; TotalNumVgprs: 0
; ScratchSize: 0
; MemoryBound: 0
; FloatMode: 240
; IeeeMode: 1
; LDSByteSize: 0 bytes/workgroup (compile time only)
; SGPRBlocks: 0
; VGPRBlocks: 0
; NumSGPRsForWavesPerEU: 4
; NumVGPRsForWavesPerEU: 1
; AccumOffset: 4
; Occupancy: 8
; WaveLimiterHint : 0
; COMPUTE_PGM_RSRC2:SCRATCH_EN: 0
; COMPUTE_PGM_RSRC2:USER_SGPR: 6
; COMPUTE_PGM_RSRC2:TRAP_HANDLER: 0
; COMPUTE_PGM_RSRC2:TGID_X_EN: 1
; COMPUTE_PGM_RSRC2:TGID_Y_EN: 0
; COMPUTE_PGM_RSRC2:TGID_Z_EN: 0
; COMPUTE_PGM_RSRC2:TIDIG_COMP_CNT: 0
; COMPUTE_PGM_RSRC3_GFX90A:ACCUM_OFFSET: 0
; COMPUTE_PGM_RSRC3_GFX90A:TG_SPLIT: 0
	.section	.text._ZN7rocprim17ROCPRIM_400000_NS6detail17trampoline_kernelINS0_14default_configENS1_25partition_config_selectorILNS1_17partition_subalgoE1EtNS0_10empty_typeEbEEZZNS1_14partition_implILS5_1ELb0ES3_jN6thrust23THRUST_200600_302600_NS6detail15normal_iteratorINSA_10device_ptrItEEEEPS6_NSA_18transform_iteratorI7is_evenItESF_NSA_11use_defaultESK_EENS0_5tupleIJNSA_16discard_iteratorISK_EESO_EEENSM_IJSG_SG_EEES6_PlJS6_EEE10hipError_tPvRmT3_T4_T5_T6_T7_T9_mT8_P12ihipStream_tbDpT10_ENKUlT_T0_E_clISt17integral_constantIbLb0EES1A_IbLb1EEEEDaS16_S17_EUlS16_E_NS1_11comp_targetILNS1_3genE10ELNS1_11target_archE1200ELNS1_3gpuE4ELNS1_3repE0EEENS1_30default_config_static_selectorELNS0_4arch9wavefront6targetE1EEEvT1_,"axG",@progbits,_ZN7rocprim17ROCPRIM_400000_NS6detail17trampoline_kernelINS0_14default_configENS1_25partition_config_selectorILNS1_17partition_subalgoE1EtNS0_10empty_typeEbEEZZNS1_14partition_implILS5_1ELb0ES3_jN6thrust23THRUST_200600_302600_NS6detail15normal_iteratorINSA_10device_ptrItEEEEPS6_NSA_18transform_iteratorI7is_evenItESF_NSA_11use_defaultESK_EENS0_5tupleIJNSA_16discard_iteratorISK_EESO_EEENSM_IJSG_SG_EEES6_PlJS6_EEE10hipError_tPvRmT3_T4_T5_T6_T7_T9_mT8_P12ihipStream_tbDpT10_ENKUlT_T0_E_clISt17integral_constantIbLb0EES1A_IbLb1EEEEDaS16_S17_EUlS16_E_NS1_11comp_targetILNS1_3genE10ELNS1_11target_archE1200ELNS1_3gpuE4ELNS1_3repE0EEENS1_30default_config_static_selectorELNS0_4arch9wavefront6targetE1EEEvT1_,comdat
	.protected	_ZN7rocprim17ROCPRIM_400000_NS6detail17trampoline_kernelINS0_14default_configENS1_25partition_config_selectorILNS1_17partition_subalgoE1EtNS0_10empty_typeEbEEZZNS1_14partition_implILS5_1ELb0ES3_jN6thrust23THRUST_200600_302600_NS6detail15normal_iteratorINSA_10device_ptrItEEEEPS6_NSA_18transform_iteratorI7is_evenItESF_NSA_11use_defaultESK_EENS0_5tupleIJNSA_16discard_iteratorISK_EESO_EEENSM_IJSG_SG_EEES6_PlJS6_EEE10hipError_tPvRmT3_T4_T5_T6_T7_T9_mT8_P12ihipStream_tbDpT10_ENKUlT_T0_E_clISt17integral_constantIbLb0EES1A_IbLb1EEEEDaS16_S17_EUlS16_E_NS1_11comp_targetILNS1_3genE10ELNS1_11target_archE1200ELNS1_3gpuE4ELNS1_3repE0EEENS1_30default_config_static_selectorELNS0_4arch9wavefront6targetE1EEEvT1_ ; -- Begin function _ZN7rocprim17ROCPRIM_400000_NS6detail17trampoline_kernelINS0_14default_configENS1_25partition_config_selectorILNS1_17partition_subalgoE1EtNS0_10empty_typeEbEEZZNS1_14partition_implILS5_1ELb0ES3_jN6thrust23THRUST_200600_302600_NS6detail15normal_iteratorINSA_10device_ptrItEEEEPS6_NSA_18transform_iteratorI7is_evenItESF_NSA_11use_defaultESK_EENS0_5tupleIJNSA_16discard_iteratorISK_EESO_EEENSM_IJSG_SG_EEES6_PlJS6_EEE10hipError_tPvRmT3_T4_T5_T6_T7_T9_mT8_P12ihipStream_tbDpT10_ENKUlT_T0_E_clISt17integral_constantIbLb0EES1A_IbLb1EEEEDaS16_S17_EUlS16_E_NS1_11comp_targetILNS1_3genE10ELNS1_11target_archE1200ELNS1_3gpuE4ELNS1_3repE0EEENS1_30default_config_static_selectorELNS0_4arch9wavefront6targetE1EEEvT1_
	.globl	_ZN7rocprim17ROCPRIM_400000_NS6detail17trampoline_kernelINS0_14default_configENS1_25partition_config_selectorILNS1_17partition_subalgoE1EtNS0_10empty_typeEbEEZZNS1_14partition_implILS5_1ELb0ES3_jN6thrust23THRUST_200600_302600_NS6detail15normal_iteratorINSA_10device_ptrItEEEEPS6_NSA_18transform_iteratorI7is_evenItESF_NSA_11use_defaultESK_EENS0_5tupleIJNSA_16discard_iteratorISK_EESO_EEENSM_IJSG_SG_EEES6_PlJS6_EEE10hipError_tPvRmT3_T4_T5_T6_T7_T9_mT8_P12ihipStream_tbDpT10_ENKUlT_T0_E_clISt17integral_constantIbLb0EES1A_IbLb1EEEEDaS16_S17_EUlS16_E_NS1_11comp_targetILNS1_3genE10ELNS1_11target_archE1200ELNS1_3gpuE4ELNS1_3repE0EEENS1_30default_config_static_selectorELNS0_4arch9wavefront6targetE1EEEvT1_
	.p2align	8
	.type	_ZN7rocprim17ROCPRIM_400000_NS6detail17trampoline_kernelINS0_14default_configENS1_25partition_config_selectorILNS1_17partition_subalgoE1EtNS0_10empty_typeEbEEZZNS1_14partition_implILS5_1ELb0ES3_jN6thrust23THRUST_200600_302600_NS6detail15normal_iteratorINSA_10device_ptrItEEEEPS6_NSA_18transform_iteratorI7is_evenItESF_NSA_11use_defaultESK_EENS0_5tupleIJNSA_16discard_iteratorISK_EESO_EEENSM_IJSG_SG_EEES6_PlJS6_EEE10hipError_tPvRmT3_T4_T5_T6_T7_T9_mT8_P12ihipStream_tbDpT10_ENKUlT_T0_E_clISt17integral_constantIbLb0EES1A_IbLb1EEEEDaS16_S17_EUlS16_E_NS1_11comp_targetILNS1_3genE10ELNS1_11target_archE1200ELNS1_3gpuE4ELNS1_3repE0EEENS1_30default_config_static_selectorELNS0_4arch9wavefront6targetE1EEEvT1_,@function
_ZN7rocprim17ROCPRIM_400000_NS6detail17trampoline_kernelINS0_14default_configENS1_25partition_config_selectorILNS1_17partition_subalgoE1EtNS0_10empty_typeEbEEZZNS1_14partition_implILS5_1ELb0ES3_jN6thrust23THRUST_200600_302600_NS6detail15normal_iteratorINSA_10device_ptrItEEEEPS6_NSA_18transform_iteratorI7is_evenItESF_NSA_11use_defaultESK_EENS0_5tupleIJNSA_16discard_iteratorISK_EESO_EEENSM_IJSG_SG_EEES6_PlJS6_EEE10hipError_tPvRmT3_T4_T5_T6_T7_T9_mT8_P12ihipStream_tbDpT10_ENKUlT_T0_E_clISt17integral_constantIbLb0EES1A_IbLb1EEEEDaS16_S17_EUlS16_E_NS1_11comp_targetILNS1_3genE10ELNS1_11target_archE1200ELNS1_3gpuE4ELNS1_3repE0EEENS1_30default_config_static_selectorELNS0_4arch9wavefront6targetE1EEEvT1_: ; @_ZN7rocprim17ROCPRIM_400000_NS6detail17trampoline_kernelINS0_14default_configENS1_25partition_config_selectorILNS1_17partition_subalgoE1EtNS0_10empty_typeEbEEZZNS1_14partition_implILS5_1ELb0ES3_jN6thrust23THRUST_200600_302600_NS6detail15normal_iteratorINSA_10device_ptrItEEEEPS6_NSA_18transform_iteratorI7is_evenItESF_NSA_11use_defaultESK_EENS0_5tupleIJNSA_16discard_iteratorISK_EESO_EEENSM_IJSG_SG_EEES6_PlJS6_EEE10hipError_tPvRmT3_T4_T5_T6_T7_T9_mT8_P12ihipStream_tbDpT10_ENKUlT_T0_E_clISt17integral_constantIbLb0EES1A_IbLb1EEEEDaS16_S17_EUlS16_E_NS1_11comp_targetILNS1_3genE10ELNS1_11target_archE1200ELNS1_3gpuE4ELNS1_3repE0EEENS1_30default_config_static_selectorELNS0_4arch9wavefront6targetE1EEEvT1_
; %bb.0:
	.section	.rodata,"a",@progbits
	.p2align	6, 0x0
	.amdhsa_kernel _ZN7rocprim17ROCPRIM_400000_NS6detail17trampoline_kernelINS0_14default_configENS1_25partition_config_selectorILNS1_17partition_subalgoE1EtNS0_10empty_typeEbEEZZNS1_14partition_implILS5_1ELb0ES3_jN6thrust23THRUST_200600_302600_NS6detail15normal_iteratorINSA_10device_ptrItEEEEPS6_NSA_18transform_iteratorI7is_evenItESF_NSA_11use_defaultESK_EENS0_5tupleIJNSA_16discard_iteratorISK_EESO_EEENSM_IJSG_SG_EEES6_PlJS6_EEE10hipError_tPvRmT3_T4_T5_T6_T7_T9_mT8_P12ihipStream_tbDpT10_ENKUlT_T0_E_clISt17integral_constantIbLb0EES1A_IbLb1EEEEDaS16_S17_EUlS16_E_NS1_11comp_targetILNS1_3genE10ELNS1_11target_archE1200ELNS1_3gpuE4ELNS1_3repE0EEENS1_30default_config_static_selectorELNS0_4arch9wavefront6targetE1EEEvT1_
		.amdhsa_group_segment_fixed_size 0
		.amdhsa_private_segment_fixed_size 0
		.amdhsa_kernarg_size 160
		.amdhsa_user_sgpr_count 6
		.amdhsa_user_sgpr_private_segment_buffer 1
		.amdhsa_user_sgpr_dispatch_ptr 0
		.amdhsa_user_sgpr_queue_ptr 0
		.amdhsa_user_sgpr_kernarg_segment_ptr 1
		.amdhsa_user_sgpr_dispatch_id 0
		.amdhsa_user_sgpr_flat_scratch_init 0
		.amdhsa_user_sgpr_kernarg_preload_length 0
		.amdhsa_user_sgpr_kernarg_preload_offset 0
		.amdhsa_user_sgpr_private_segment_size 0
		.amdhsa_uses_dynamic_stack 0
		.amdhsa_system_sgpr_private_segment_wavefront_offset 0
		.amdhsa_system_sgpr_workgroup_id_x 1
		.amdhsa_system_sgpr_workgroup_id_y 0
		.amdhsa_system_sgpr_workgroup_id_z 0
		.amdhsa_system_sgpr_workgroup_info 0
		.amdhsa_system_vgpr_workitem_id 0
		.amdhsa_next_free_vgpr 1
		.amdhsa_next_free_sgpr 0
		.amdhsa_accum_offset 4
		.amdhsa_reserve_vcc 0
		.amdhsa_reserve_flat_scratch 0
		.amdhsa_float_round_mode_32 0
		.amdhsa_float_round_mode_16_64 0
		.amdhsa_float_denorm_mode_32 3
		.amdhsa_float_denorm_mode_16_64 3
		.amdhsa_dx10_clamp 1
		.amdhsa_ieee_mode 1
		.amdhsa_fp16_overflow 0
		.amdhsa_tg_split 0
		.amdhsa_exception_fp_ieee_invalid_op 0
		.amdhsa_exception_fp_denorm_src 0
		.amdhsa_exception_fp_ieee_div_zero 0
		.amdhsa_exception_fp_ieee_overflow 0
		.amdhsa_exception_fp_ieee_underflow 0
		.amdhsa_exception_fp_ieee_inexact 0
		.amdhsa_exception_int_div_zero 0
	.end_amdhsa_kernel
	.section	.text._ZN7rocprim17ROCPRIM_400000_NS6detail17trampoline_kernelINS0_14default_configENS1_25partition_config_selectorILNS1_17partition_subalgoE1EtNS0_10empty_typeEbEEZZNS1_14partition_implILS5_1ELb0ES3_jN6thrust23THRUST_200600_302600_NS6detail15normal_iteratorINSA_10device_ptrItEEEEPS6_NSA_18transform_iteratorI7is_evenItESF_NSA_11use_defaultESK_EENS0_5tupleIJNSA_16discard_iteratorISK_EESO_EEENSM_IJSG_SG_EEES6_PlJS6_EEE10hipError_tPvRmT3_T4_T5_T6_T7_T9_mT8_P12ihipStream_tbDpT10_ENKUlT_T0_E_clISt17integral_constantIbLb0EES1A_IbLb1EEEEDaS16_S17_EUlS16_E_NS1_11comp_targetILNS1_3genE10ELNS1_11target_archE1200ELNS1_3gpuE4ELNS1_3repE0EEENS1_30default_config_static_selectorELNS0_4arch9wavefront6targetE1EEEvT1_,"axG",@progbits,_ZN7rocprim17ROCPRIM_400000_NS6detail17trampoline_kernelINS0_14default_configENS1_25partition_config_selectorILNS1_17partition_subalgoE1EtNS0_10empty_typeEbEEZZNS1_14partition_implILS5_1ELb0ES3_jN6thrust23THRUST_200600_302600_NS6detail15normal_iteratorINSA_10device_ptrItEEEEPS6_NSA_18transform_iteratorI7is_evenItESF_NSA_11use_defaultESK_EENS0_5tupleIJNSA_16discard_iteratorISK_EESO_EEENSM_IJSG_SG_EEES6_PlJS6_EEE10hipError_tPvRmT3_T4_T5_T6_T7_T9_mT8_P12ihipStream_tbDpT10_ENKUlT_T0_E_clISt17integral_constantIbLb0EES1A_IbLb1EEEEDaS16_S17_EUlS16_E_NS1_11comp_targetILNS1_3genE10ELNS1_11target_archE1200ELNS1_3gpuE4ELNS1_3repE0EEENS1_30default_config_static_selectorELNS0_4arch9wavefront6targetE1EEEvT1_,comdat
.Lfunc_end3096:
	.size	_ZN7rocprim17ROCPRIM_400000_NS6detail17trampoline_kernelINS0_14default_configENS1_25partition_config_selectorILNS1_17partition_subalgoE1EtNS0_10empty_typeEbEEZZNS1_14partition_implILS5_1ELb0ES3_jN6thrust23THRUST_200600_302600_NS6detail15normal_iteratorINSA_10device_ptrItEEEEPS6_NSA_18transform_iteratorI7is_evenItESF_NSA_11use_defaultESK_EENS0_5tupleIJNSA_16discard_iteratorISK_EESO_EEENSM_IJSG_SG_EEES6_PlJS6_EEE10hipError_tPvRmT3_T4_T5_T6_T7_T9_mT8_P12ihipStream_tbDpT10_ENKUlT_T0_E_clISt17integral_constantIbLb0EES1A_IbLb1EEEEDaS16_S17_EUlS16_E_NS1_11comp_targetILNS1_3genE10ELNS1_11target_archE1200ELNS1_3gpuE4ELNS1_3repE0EEENS1_30default_config_static_selectorELNS0_4arch9wavefront6targetE1EEEvT1_, .Lfunc_end3096-_ZN7rocprim17ROCPRIM_400000_NS6detail17trampoline_kernelINS0_14default_configENS1_25partition_config_selectorILNS1_17partition_subalgoE1EtNS0_10empty_typeEbEEZZNS1_14partition_implILS5_1ELb0ES3_jN6thrust23THRUST_200600_302600_NS6detail15normal_iteratorINSA_10device_ptrItEEEEPS6_NSA_18transform_iteratorI7is_evenItESF_NSA_11use_defaultESK_EENS0_5tupleIJNSA_16discard_iteratorISK_EESO_EEENSM_IJSG_SG_EEES6_PlJS6_EEE10hipError_tPvRmT3_T4_T5_T6_T7_T9_mT8_P12ihipStream_tbDpT10_ENKUlT_T0_E_clISt17integral_constantIbLb0EES1A_IbLb1EEEEDaS16_S17_EUlS16_E_NS1_11comp_targetILNS1_3genE10ELNS1_11target_archE1200ELNS1_3gpuE4ELNS1_3repE0EEENS1_30default_config_static_selectorELNS0_4arch9wavefront6targetE1EEEvT1_
                                        ; -- End function
	.section	.AMDGPU.csdata,"",@progbits
; Kernel info:
; codeLenInByte = 0
; NumSgprs: 4
; NumVgprs: 0
; NumAgprs: 0
; TotalNumVgprs: 0
; ScratchSize: 0
; MemoryBound: 0
; FloatMode: 240
; IeeeMode: 1
; LDSByteSize: 0 bytes/workgroup (compile time only)
; SGPRBlocks: 0
; VGPRBlocks: 0
; NumSGPRsForWavesPerEU: 4
; NumVGPRsForWavesPerEU: 1
; AccumOffset: 4
; Occupancy: 8
; WaveLimiterHint : 0
; COMPUTE_PGM_RSRC2:SCRATCH_EN: 0
; COMPUTE_PGM_RSRC2:USER_SGPR: 6
; COMPUTE_PGM_RSRC2:TRAP_HANDLER: 0
; COMPUTE_PGM_RSRC2:TGID_X_EN: 1
; COMPUTE_PGM_RSRC2:TGID_Y_EN: 0
; COMPUTE_PGM_RSRC2:TGID_Z_EN: 0
; COMPUTE_PGM_RSRC2:TIDIG_COMP_CNT: 0
; COMPUTE_PGM_RSRC3_GFX90A:ACCUM_OFFSET: 0
; COMPUTE_PGM_RSRC3_GFX90A:TG_SPLIT: 0
	.section	.text._ZN7rocprim17ROCPRIM_400000_NS6detail17trampoline_kernelINS0_14default_configENS1_25partition_config_selectorILNS1_17partition_subalgoE1EtNS0_10empty_typeEbEEZZNS1_14partition_implILS5_1ELb0ES3_jN6thrust23THRUST_200600_302600_NS6detail15normal_iteratorINSA_10device_ptrItEEEEPS6_NSA_18transform_iteratorI7is_evenItESF_NSA_11use_defaultESK_EENS0_5tupleIJNSA_16discard_iteratorISK_EESO_EEENSM_IJSG_SG_EEES6_PlJS6_EEE10hipError_tPvRmT3_T4_T5_T6_T7_T9_mT8_P12ihipStream_tbDpT10_ENKUlT_T0_E_clISt17integral_constantIbLb0EES1A_IbLb1EEEEDaS16_S17_EUlS16_E_NS1_11comp_targetILNS1_3genE9ELNS1_11target_archE1100ELNS1_3gpuE3ELNS1_3repE0EEENS1_30default_config_static_selectorELNS0_4arch9wavefront6targetE1EEEvT1_,"axG",@progbits,_ZN7rocprim17ROCPRIM_400000_NS6detail17trampoline_kernelINS0_14default_configENS1_25partition_config_selectorILNS1_17partition_subalgoE1EtNS0_10empty_typeEbEEZZNS1_14partition_implILS5_1ELb0ES3_jN6thrust23THRUST_200600_302600_NS6detail15normal_iteratorINSA_10device_ptrItEEEEPS6_NSA_18transform_iteratorI7is_evenItESF_NSA_11use_defaultESK_EENS0_5tupleIJNSA_16discard_iteratorISK_EESO_EEENSM_IJSG_SG_EEES6_PlJS6_EEE10hipError_tPvRmT3_T4_T5_T6_T7_T9_mT8_P12ihipStream_tbDpT10_ENKUlT_T0_E_clISt17integral_constantIbLb0EES1A_IbLb1EEEEDaS16_S17_EUlS16_E_NS1_11comp_targetILNS1_3genE9ELNS1_11target_archE1100ELNS1_3gpuE3ELNS1_3repE0EEENS1_30default_config_static_selectorELNS0_4arch9wavefront6targetE1EEEvT1_,comdat
	.protected	_ZN7rocprim17ROCPRIM_400000_NS6detail17trampoline_kernelINS0_14default_configENS1_25partition_config_selectorILNS1_17partition_subalgoE1EtNS0_10empty_typeEbEEZZNS1_14partition_implILS5_1ELb0ES3_jN6thrust23THRUST_200600_302600_NS6detail15normal_iteratorINSA_10device_ptrItEEEEPS6_NSA_18transform_iteratorI7is_evenItESF_NSA_11use_defaultESK_EENS0_5tupleIJNSA_16discard_iteratorISK_EESO_EEENSM_IJSG_SG_EEES6_PlJS6_EEE10hipError_tPvRmT3_T4_T5_T6_T7_T9_mT8_P12ihipStream_tbDpT10_ENKUlT_T0_E_clISt17integral_constantIbLb0EES1A_IbLb1EEEEDaS16_S17_EUlS16_E_NS1_11comp_targetILNS1_3genE9ELNS1_11target_archE1100ELNS1_3gpuE3ELNS1_3repE0EEENS1_30default_config_static_selectorELNS0_4arch9wavefront6targetE1EEEvT1_ ; -- Begin function _ZN7rocprim17ROCPRIM_400000_NS6detail17trampoline_kernelINS0_14default_configENS1_25partition_config_selectorILNS1_17partition_subalgoE1EtNS0_10empty_typeEbEEZZNS1_14partition_implILS5_1ELb0ES3_jN6thrust23THRUST_200600_302600_NS6detail15normal_iteratorINSA_10device_ptrItEEEEPS6_NSA_18transform_iteratorI7is_evenItESF_NSA_11use_defaultESK_EENS0_5tupleIJNSA_16discard_iteratorISK_EESO_EEENSM_IJSG_SG_EEES6_PlJS6_EEE10hipError_tPvRmT3_T4_T5_T6_T7_T9_mT8_P12ihipStream_tbDpT10_ENKUlT_T0_E_clISt17integral_constantIbLb0EES1A_IbLb1EEEEDaS16_S17_EUlS16_E_NS1_11comp_targetILNS1_3genE9ELNS1_11target_archE1100ELNS1_3gpuE3ELNS1_3repE0EEENS1_30default_config_static_selectorELNS0_4arch9wavefront6targetE1EEEvT1_
	.globl	_ZN7rocprim17ROCPRIM_400000_NS6detail17trampoline_kernelINS0_14default_configENS1_25partition_config_selectorILNS1_17partition_subalgoE1EtNS0_10empty_typeEbEEZZNS1_14partition_implILS5_1ELb0ES3_jN6thrust23THRUST_200600_302600_NS6detail15normal_iteratorINSA_10device_ptrItEEEEPS6_NSA_18transform_iteratorI7is_evenItESF_NSA_11use_defaultESK_EENS0_5tupleIJNSA_16discard_iteratorISK_EESO_EEENSM_IJSG_SG_EEES6_PlJS6_EEE10hipError_tPvRmT3_T4_T5_T6_T7_T9_mT8_P12ihipStream_tbDpT10_ENKUlT_T0_E_clISt17integral_constantIbLb0EES1A_IbLb1EEEEDaS16_S17_EUlS16_E_NS1_11comp_targetILNS1_3genE9ELNS1_11target_archE1100ELNS1_3gpuE3ELNS1_3repE0EEENS1_30default_config_static_selectorELNS0_4arch9wavefront6targetE1EEEvT1_
	.p2align	8
	.type	_ZN7rocprim17ROCPRIM_400000_NS6detail17trampoline_kernelINS0_14default_configENS1_25partition_config_selectorILNS1_17partition_subalgoE1EtNS0_10empty_typeEbEEZZNS1_14partition_implILS5_1ELb0ES3_jN6thrust23THRUST_200600_302600_NS6detail15normal_iteratorINSA_10device_ptrItEEEEPS6_NSA_18transform_iteratorI7is_evenItESF_NSA_11use_defaultESK_EENS0_5tupleIJNSA_16discard_iteratorISK_EESO_EEENSM_IJSG_SG_EEES6_PlJS6_EEE10hipError_tPvRmT3_T4_T5_T6_T7_T9_mT8_P12ihipStream_tbDpT10_ENKUlT_T0_E_clISt17integral_constantIbLb0EES1A_IbLb1EEEEDaS16_S17_EUlS16_E_NS1_11comp_targetILNS1_3genE9ELNS1_11target_archE1100ELNS1_3gpuE3ELNS1_3repE0EEENS1_30default_config_static_selectorELNS0_4arch9wavefront6targetE1EEEvT1_,@function
_ZN7rocprim17ROCPRIM_400000_NS6detail17trampoline_kernelINS0_14default_configENS1_25partition_config_selectorILNS1_17partition_subalgoE1EtNS0_10empty_typeEbEEZZNS1_14partition_implILS5_1ELb0ES3_jN6thrust23THRUST_200600_302600_NS6detail15normal_iteratorINSA_10device_ptrItEEEEPS6_NSA_18transform_iteratorI7is_evenItESF_NSA_11use_defaultESK_EENS0_5tupleIJNSA_16discard_iteratorISK_EESO_EEENSM_IJSG_SG_EEES6_PlJS6_EEE10hipError_tPvRmT3_T4_T5_T6_T7_T9_mT8_P12ihipStream_tbDpT10_ENKUlT_T0_E_clISt17integral_constantIbLb0EES1A_IbLb1EEEEDaS16_S17_EUlS16_E_NS1_11comp_targetILNS1_3genE9ELNS1_11target_archE1100ELNS1_3gpuE3ELNS1_3repE0EEENS1_30default_config_static_selectorELNS0_4arch9wavefront6targetE1EEEvT1_: ; @_ZN7rocprim17ROCPRIM_400000_NS6detail17trampoline_kernelINS0_14default_configENS1_25partition_config_selectorILNS1_17partition_subalgoE1EtNS0_10empty_typeEbEEZZNS1_14partition_implILS5_1ELb0ES3_jN6thrust23THRUST_200600_302600_NS6detail15normal_iteratorINSA_10device_ptrItEEEEPS6_NSA_18transform_iteratorI7is_evenItESF_NSA_11use_defaultESK_EENS0_5tupleIJNSA_16discard_iteratorISK_EESO_EEENSM_IJSG_SG_EEES6_PlJS6_EEE10hipError_tPvRmT3_T4_T5_T6_T7_T9_mT8_P12ihipStream_tbDpT10_ENKUlT_T0_E_clISt17integral_constantIbLb0EES1A_IbLb1EEEEDaS16_S17_EUlS16_E_NS1_11comp_targetILNS1_3genE9ELNS1_11target_archE1100ELNS1_3gpuE3ELNS1_3repE0EEENS1_30default_config_static_selectorELNS0_4arch9wavefront6targetE1EEEvT1_
; %bb.0:
	.section	.rodata,"a",@progbits
	.p2align	6, 0x0
	.amdhsa_kernel _ZN7rocprim17ROCPRIM_400000_NS6detail17trampoline_kernelINS0_14default_configENS1_25partition_config_selectorILNS1_17partition_subalgoE1EtNS0_10empty_typeEbEEZZNS1_14partition_implILS5_1ELb0ES3_jN6thrust23THRUST_200600_302600_NS6detail15normal_iteratorINSA_10device_ptrItEEEEPS6_NSA_18transform_iteratorI7is_evenItESF_NSA_11use_defaultESK_EENS0_5tupleIJNSA_16discard_iteratorISK_EESO_EEENSM_IJSG_SG_EEES6_PlJS6_EEE10hipError_tPvRmT3_T4_T5_T6_T7_T9_mT8_P12ihipStream_tbDpT10_ENKUlT_T0_E_clISt17integral_constantIbLb0EES1A_IbLb1EEEEDaS16_S17_EUlS16_E_NS1_11comp_targetILNS1_3genE9ELNS1_11target_archE1100ELNS1_3gpuE3ELNS1_3repE0EEENS1_30default_config_static_selectorELNS0_4arch9wavefront6targetE1EEEvT1_
		.amdhsa_group_segment_fixed_size 0
		.amdhsa_private_segment_fixed_size 0
		.amdhsa_kernarg_size 160
		.amdhsa_user_sgpr_count 6
		.amdhsa_user_sgpr_private_segment_buffer 1
		.amdhsa_user_sgpr_dispatch_ptr 0
		.amdhsa_user_sgpr_queue_ptr 0
		.amdhsa_user_sgpr_kernarg_segment_ptr 1
		.amdhsa_user_sgpr_dispatch_id 0
		.amdhsa_user_sgpr_flat_scratch_init 0
		.amdhsa_user_sgpr_kernarg_preload_length 0
		.amdhsa_user_sgpr_kernarg_preload_offset 0
		.amdhsa_user_sgpr_private_segment_size 0
		.amdhsa_uses_dynamic_stack 0
		.amdhsa_system_sgpr_private_segment_wavefront_offset 0
		.amdhsa_system_sgpr_workgroup_id_x 1
		.amdhsa_system_sgpr_workgroup_id_y 0
		.amdhsa_system_sgpr_workgroup_id_z 0
		.amdhsa_system_sgpr_workgroup_info 0
		.amdhsa_system_vgpr_workitem_id 0
		.amdhsa_next_free_vgpr 1
		.amdhsa_next_free_sgpr 0
		.amdhsa_accum_offset 4
		.amdhsa_reserve_vcc 0
		.amdhsa_reserve_flat_scratch 0
		.amdhsa_float_round_mode_32 0
		.amdhsa_float_round_mode_16_64 0
		.amdhsa_float_denorm_mode_32 3
		.amdhsa_float_denorm_mode_16_64 3
		.amdhsa_dx10_clamp 1
		.amdhsa_ieee_mode 1
		.amdhsa_fp16_overflow 0
		.amdhsa_tg_split 0
		.amdhsa_exception_fp_ieee_invalid_op 0
		.amdhsa_exception_fp_denorm_src 0
		.amdhsa_exception_fp_ieee_div_zero 0
		.amdhsa_exception_fp_ieee_overflow 0
		.amdhsa_exception_fp_ieee_underflow 0
		.amdhsa_exception_fp_ieee_inexact 0
		.amdhsa_exception_int_div_zero 0
	.end_amdhsa_kernel
	.section	.text._ZN7rocprim17ROCPRIM_400000_NS6detail17trampoline_kernelINS0_14default_configENS1_25partition_config_selectorILNS1_17partition_subalgoE1EtNS0_10empty_typeEbEEZZNS1_14partition_implILS5_1ELb0ES3_jN6thrust23THRUST_200600_302600_NS6detail15normal_iteratorINSA_10device_ptrItEEEEPS6_NSA_18transform_iteratorI7is_evenItESF_NSA_11use_defaultESK_EENS0_5tupleIJNSA_16discard_iteratorISK_EESO_EEENSM_IJSG_SG_EEES6_PlJS6_EEE10hipError_tPvRmT3_T4_T5_T6_T7_T9_mT8_P12ihipStream_tbDpT10_ENKUlT_T0_E_clISt17integral_constantIbLb0EES1A_IbLb1EEEEDaS16_S17_EUlS16_E_NS1_11comp_targetILNS1_3genE9ELNS1_11target_archE1100ELNS1_3gpuE3ELNS1_3repE0EEENS1_30default_config_static_selectorELNS0_4arch9wavefront6targetE1EEEvT1_,"axG",@progbits,_ZN7rocprim17ROCPRIM_400000_NS6detail17trampoline_kernelINS0_14default_configENS1_25partition_config_selectorILNS1_17partition_subalgoE1EtNS0_10empty_typeEbEEZZNS1_14partition_implILS5_1ELb0ES3_jN6thrust23THRUST_200600_302600_NS6detail15normal_iteratorINSA_10device_ptrItEEEEPS6_NSA_18transform_iteratorI7is_evenItESF_NSA_11use_defaultESK_EENS0_5tupleIJNSA_16discard_iteratorISK_EESO_EEENSM_IJSG_SG_EEES6_PlJS6_EEE10hipError_tPvRmT3_T4_T5_T6_T7_T9_mT8_P12ihipStream_tbDpT10_ENKUlT_T0_E_clISt17integral_constantIbLb0EES1A_IbLb1EEEEDaS16_S17_EUlS16_E_NS1_11comp_targetILNS1_3genE9ELNS1_11target_archE1100ELNS1_3gpuE3ELNS1_3repE0EEENS1_30default_config_static_selectorELNS0_4arch9wavefront6targetE1EEEvT1_,comdat
.Lfunc_end3097:
	.size	_ZN7rocprim17ROCPRIM_400000_NS6detail17trampoline_kernelINS0_14default_configENS1_25partition_config_selectorILNS1_17partition_subalgoE1EtNS0_10empty_typeEbEEZZNS1_14partition_implILS5_1ELb0ES3_jN6thrust23THRUST_200600_302600_NS6detail15normal_iteratorINSA_10device_ptrItEEEEPS6_NSA_18transform_iteratorI7is_evenItESF_NSA_11use_defaultESK_EENS0_5tupleIJNSA_16discard_iteratorISK_EESO_EEENSM_IJSG_SG_EEES6_PlJS6_EEE10hipError_tPvRmT3_T4_T5_T6_T7_T9_mT8_P12ihipStream_tbDpT10_ENKUlT_T0_E_clISt17integral_constantIbLb0EES1A_IbLb1EEEEDaS16_S17_EUlS16_E_NS1_11comp_targetILNS1_3genE9ELNS1_11target_archE1100ELNS1_3gpuE3ELNS1_3repE0EEENS1_30default_config_static_selectorELNS0_4arch9wavefront6targetE1EEEvT1_, .Lfunc_end3097-_ZN7rocprim17ROCPRIM_400000_NS6detail17trampoline_kernelINS0_14default_configENS1_25partition_config_selectorILNS1_17partition_subalgoE1EtNS0_10empty_typeEbEEZZNS1_14partition_implILS5_1ELb0ES3_jN6thrust23THRUST_200600_302600_NS6detail15normal_iteratorINSA_10device_ptrItEEEEPS6_NSA_18transform_iteratorI7is_evenItESF_NSA_11use_defaultESK_EENS0_5tupleIJNSA_16discard_iteratorISK_EESO_EEENSM_IJSG_SG_EEES6_PlJS6_EEE10hipError_tPvRmT3_T4_T5_T6_T7_T9_mT8_P12ihipStream_tbDpT10_ENKUlT_T0_E_clISt17integral_constantIbLb0EES1A_IbLb1EEEEDaS16_S17_EUlS16_E_NS1_11comp_targetILNS1_3genE9ELNS1_11target_archE1100ELNS1_3gpuE3ELNS1_3repE0EEENS1_30default_config_static_selectorELNS0_4arch9wavefront6targetE1EEEvT1_
                                        ; -- End function
	.section	.AMDGPU.csdata,"",@progbits
; Kernel info:
; codeLenInByte = 0
; NumSgprs: 4
; NumVgprs: 0
; NumAgprs: 0
; TotalNumVgprs: 0
; ScratchSize: 0
; MemoryBound: 0
; FloatMode: 240
; IeeeMode: 1
; LDSByteSize: 0 bytes/workgroup (compile time only)
; SGPRBlocks: 0
; VGPRBlocks: 0
; NumSGPRsForWavesPerEU: 4
; NumVGPRsForWavesPerEU: 1
; AccumOffset: 4
; Occupancy: 8
; WaveLimiterHint : 0
; COMPUTE_PGM_RSRC2:SCRATCH_EN: 0
; COMPUTE_PGM_RSRC2:USER_SGPR: 6
; COMPUTE_PGM_RSRC2:TRAP_HANDLER: 0
; COMPUTE_PGM_RSRC2:TGID_X_EN: 1
; COMPUTE_PGM_RSRC2:TGID_Y_EN: 0
; COMPUTE_PGM_RSRC2:TGID_Z_EN: 0
; COMPUTE_PGM_RSRC2:TIDIG_COMP_CNT: 0
; COMPUTE_PGM_RSRC3_GFX90A:ACCUM_OFFSET: 0
; COMPUTE_PGM_RSRC3_GFX90A:TG_SPLIT: 0
	.section	.text._ZN7rocprim17ROCPRIM_400000_NS6detail17trampoline_kernelINS0_14default_configENS1_25partition_config_selectorILNS1_17partition_subalgoE1EtNS0_10empty_typeEbEEZZNS1_14partition_implILS5_1ELb0ES3_jN6thrust23THRUST_200600_302600_NS6detail15normal_iteratorINSA_10device_ptrItEEEEPS6_NSA_18transform_iteratorI7is_evenItESF_NSA_11use_defaultESK_EENS0_5tupleIJNSA_16discard_iteratorISK_EESO_EEENSM_IJSG_SG_EEES6_PlJS6_EEE10hipError_tPvRmT3_T4_T5_T6_T7_T9_mT8_P12ihipStream_tbDpT10_ENKUlT_T0_E_clISt17integral_constantIbLb0EES1A_IbLb1EEEEDaS16_S17_EUlS16_E_NS1_11comp_targetILNS1_3genE8ELNS1_11target_archE1030ELNS1_3gpuE2ELNS1_3repE0EEENS1_30default_config_static_selectorELNS0_4arch9wavefront6targetE1EEEvT1_,"axG",@progbits,_ZN7rocprim17ROCPRIM_400000_NS6detail17trampoline_kernelINS0_14default_configENS1_25partition_config_selectorILNS1_17partition_subalgoE1EtNS0_10empty_typeEbEEZZNS1_14partition_implILS5_1ELb0ES3_jN6thrust23THRUST_200600_302600_NS6detail15normal_iteratorINSA_10device_ptrItEEEEPS6_NSA_18transform_iteratorI7is_evenItESF_NSA_11use_defaultESK_EENS0_5tupleIJNSA_16discard_iteratorISK_EESO_EEENSM_IJSG_SG_EEES6_PlJS6_EEE10hipError_tPvRmT3_T4_T5_T6_T7_T9_mT8_P12ihipStream_tbDpT10_ENKUlT_T0_E_clISt17integral_constantIbLb0EES1A_IbLb1EEEEDaS16_S17_EUlS16_E_NS1_11comp_targetILNS1_3genE8ELNS1_11target_archE1030ELNS1_3gpuE2ELNS1_3repE0EEENS1_30default_config_static_selectorELNS0_4arch9wavefront6targetE1EEEvT1_,comdat
	.protected	_ZN7rocprim17ROCPRIM_400000_NS6detail17trampoline_kernelINS0_14default_configENS1_25partition_config_selectorILNS1_17partition_subalgoE1EtNS0_10empty_typeEbEEZZNS1_14partition_implILS5_1ELb0ES3_jN6thrust23THRUST_200600_302600_NS6detail15normal_iteratorINSA_10device_ptrItEEEEPS6_NSA_18transform_iteratorI7is_evenItESF_NSA_11use_defaultESK_EENS0_5tupleIJNSA_16discard_iteratorISK_EESO_EEENSM_IJSG_SG_EEES6_PlJS6_EEE10hipError_tPvRmT3_T4_T5_T6_T7_T9_mT8_P12ihipStream_tbDpT10_ENKUlT_T0_E_clISt17integral_constantIbLb0EES1A_IbLb1EEEEDaS16_S17_EUlS16_E_NS1_11comp_targetILNS1_3genE8ELNS1_11target_archE1030ELNS1_3gpuE2ELNS1_3repE0EEENS1_30default_config_static_selectorELNS0_4arch9wavefront6targetE1EEEvT1_ ; -- Begin function _ZN7rocprim17ROCPRIM_400000_NS6detail17trampoline_kernelINS0_14default_configENS1_25partition_config_selectorILNS1_17partition_subalgoE1EtNS0_10empty_typeEbEEZZNS1_14partition_implILS5_1ELb0ES3_jN6thrust23THRUST_200600_302600_NS6detail15normal_iteratorINSA_10device_ptrItEEEEPS6_NSA_18transform_iteratorI7is_evenItESF_NSA_11use_defaultESK_EENS0_5tupleIJNSA_16discard_iteratorISK_EESO_EEENSM_IJSG_SG_EEES6_PlJS6_EEE10hipError_tPvRmT3_T4_T5_T6_T7_T9_mT8_P12ihipStream_tbDpT10_ENKUlT_T0_E_clISt17integral_constantIbLb0EES1A_IbLb1EEEEDaS16_S17_EUlS16_E_NS1_11comp_targetILNS1_3genE8ELNS1_11target_archE1030ELNS1_3gpuE2ELNS1_3repE0EEENS1_30default_config_static_selectorELNS0_4arch9wavefront6targetE1EEEvT1_
	.globl	_ZN7rocprim17ROCPRIM_400000_NS6detail17trampoline_kernelINS0_14default_configENS1_25partition_config_selectorILNS1_17partition_subalgoE1EtNS0_10empty_typeEbEEZZNS1_14partition_implILS5_1ELb0ES3_jN6thrust23THRUST_200600_302600_NS6detail15normal_iteratorINSA_10device_ptrItEEEEPS6_NSA_18transform_iteratorI7is_evenItESF_NSA_11use_defaultESK_EENS0_5tupleIJNSA_16discard_iteratorISK_EESO_EEENSM_IJSG_SG_EEES6_PlJS6_EEE10hipError_tPvRmT3_T4_T5_T6_T7_T9_mT8_P12ihipStream_tbDpT10_ENKUlT_T0_E_clISt17integral_constantIbLb0EES1A_IbLb1EEEEDaS16_S17_EUlS16_E_NS1_11comp_targetILNS1_3genE8ELNS1_11target_archE1030ELNS1_3gpuE2ELNS1_3repE0EEENS1_30default_config_static_selectorELNS0_4arch9wavefront6targetE1EEEvT1_
	.p2align	8
	.type	_ZN7rocprim17ROCPRIM_400000_NS6detail17trampoline_kernelINS0_14default_configENS1_25partition_config_selectorILNS1_17partition_subalgoE1EtNS0_10empty_typeEbEEZZNS1_14partition_implILS5_1ELb0ES3_jN6thrust23THRUST_200600_302600_NS6detail15normal_iteratorINSA_10device_ptrItEEEEPS6_NSA_18transform_iteratorI7is_evenItESF_NSA_11use_defaultESK_EENS0_5tupleIJNSA_16discard_iteratorISK_EESO_EEENSM_IJSG_SG_EEES6_PlJS6_EEE10hipError_tPvRmT3_T4_T5_T6_T7_T9_mT8_P12ihipStream_tbDpT10_ENKUlT_T0_E_clISt17integral_constantIbLb0EES1A_IbLb1EEEEDaS16_S17_EUlS16_E_NS1_11comp_targetILNS1_3genE8ELNS1_11target_archE1030ELNS1_3gpuE2ELNS1_3repE0EEENS1_30default_config_static_selectorELNS0_4arch9wavefront6targetE1EEEvT1_,@function
_ZN7rocprim17ROCPRIM_400000_NS6detail17trampoline_kernelINS0_14default_configENS1_25partition_config_selectorILNS1_17partition_subalgoE1EtNS0_10empty_typeEbEEZZNS1_14partition_implILS5_1ELb0ES3_jN6thrust23THRUST_200600_302600_NS6detail15normal_iteratorINSA_10device_ptrItEEEEPS6_NSA_18transform_iteratorI7is_evenItESF_NSA_11use_defaultESK_EENS0_5tupleIJNSA_16discard_iteratorISK_EESO_EEENSM_IJSG_SG_EEES6_PlJS6_EEE10hipError_tPvRmT3_T4_T5_T6_T7_T9_mT8_P12ihipStream_tbDpT10_ENKUlT_T0_E_clISt17integral_constantIbLb0EES1A_IbLb1EEEEDaS16_S17_EUlS16_E_NS1_11comp_targetILNS1_3genE8ELNS1_11target_archE1030ELNS1_3gpuE2ELNS1_3repE0EEENS1_30default_config_static_selectorELNS0_4arch9wavefront6targetE1EEEvT1_: ; @_ZN7rocprim17ROCPRIM_400000_NS6detail17trampoline_kernelINS0_14default_configENS1_25partition_config_selectorILNS1_17partition_subalgoE1EtNS0_10empty_typeEbEEZZNS1_14partition_implILS5_1ELb0ES3_jN6thrust23THRUST_200600_302600_NS6detail15normal_iteratorINSA_10device_ptrItEEEEPS6_NSA_18transform_iteratorI7is_evenItESF_NSA_11use_defaultESK_EENS0_5tupleIJNSA_16discard_iteratorISK_EESO_EEENSM_IJSG_SG_EEES6_PlJS6_EEE10hipError_tPvRmT3_T4_T5_T6_T7_T9_mT8_P12ihipStream_tbDpT10_ENKUlT_T0_E_clISt17integral_constantIbLb0EES1A_IbLb1EEEEDaS16_S17_EUlS16_E_NS1_11comp_targetILNS1_3genE8ELNS1_11target_archE1030ELNS1_3gpuE2ELNS1_3repE0EEENS1_30default_config_static_selectorELNS0_4arch9wavefront6targetE1EEEvT1_
; %bb.0:
	.section	.rodata,"a",@progbits
	.p2align	6, 0x0
	.amdhsa_kernel _ZN7rocprim17ROCPRIM_400000_NS6detail17trampoline_kernelINS0_14default_configENS1_25partition_config_selectorILNS1_17partition_subalgoE1EtNS0_10empty_typeEbEEZZNS1_14partition_implILS5_1ELb0ES3_jN6thrust23THRUST_200600_302600_NS6detail15normal_iteratorINSA_10device_ptrItEEEEPS6_NSA_18transform_iteratorI7is_evenItESF_NSA_11use_defaultESK_EENS0_5tupleIJNSA_16discard_iteratorISK_EESO_EEENSM_IJSG_SG_EEES6_PlJS6_EEE10hipError_tPvRmT3_T4_T5_T6_T7_T9_mT8_P12ihipStream_tbDpT10_ENKUlT_T0_E_clISt17integral_constantIbLb0EES1A_IbLb1EEEEDaS16_S17_EUlS16_E_NS1_11comp_targetILNS1_3genE8ELNS1_11target_archE1030ELNS1_3gpuE2ELNS1_3repE0EEENS1_30default_config_static_selectorELNS0_4arch9wavefront6targetE1EEEvT1_
		.amdhsa_group_segment_fixed_size 0
		.amdhsa_private_segment_fixed_size 0
		.amdhsa_kernarg_size 160
		.amdhsa_user_sgpr_count 6
		.amdhsa_user_sgpr_private_segment_buffer 1
		.amdhsa_user_sgpr_dispatch_ptr 0
		.amdhsa_user_sgpr_queue_ptr 0
		.amdhsa_user_sgpr_kernarg_segment_ptr 1
		.amdhsa_user_sgpr_dispatch_id 0
		.amdhsa_user_sgpr_flat_scratch_init 0
		.amdhsa_user_sgpr_kernarg_preload_length 0
		.amdhsa_user_sgpr_kernarg_preload_offset 0
		.amdhsa_user_sgpr_private_segment_size 0
		.amdhsa_uses_dynamic_stack 0
		.amdhsa_system_sgpr_private_segment_wavefront_offset 0
		.amdhsa_system_sgpr_workgroup_id_x 1
		.amdhsa_system_sgpr_workgroup_id_y 0
		.amdhsa_system_sgpr_workgroup_id_z 0
		.amdhsa_system_sgpr_workgroup_info 0
		.amdhsa_system_vgpr_workitem_id 0
		.amdhsa_next_free_vgpr 1
		.amdhsa_next_free_sgpr 0
		.amdhsa_accum_offset 4
		.amdhsa_reserve_vcc 0
		.amdhsa_reserve_flat_scratch 0
		.amdhsa_float_round_mode_32 0
		.amdhsa_float_round_mode_16_64 0
		.amdhsa_float_denorm_mode_32 3
		.amdhsa_float_denorm_mode_16_64 3
		.amdhsa_dx10_clamp 1
		.amdhsa_ieee_mode 1
		.amdhsa_fp16_overflow 0
		.amdhsa_tg_split 0
		.amdhsa_exception_fp_ieee_invalid_op 0
		.amdhsa_exception_fp_denorm_src 0
		.amdhsa_exception_fp_ieee_div_zero 0
		.amdhsa_exception_fp_ieee_overflow 0
		.amdhsa_exception_fp_ieee_underflow 0
		.amdhsa_exception_fp_ieee_inexact 0
		.amdhsa_exception_int_div_zero 0
	.end_amdhsa_kernel
	.section	.text._ZN7rocprim17ROCPRIM_400000_NS6detail17trampoline_kernelINS0_14default_configENS1_25partition_config_selectorILNS1_17partition_subalgoE1EtNS0_10empty_typeEbEEZZNS1_14partition_implILS5_1ELb0ES3_jN6thrust23THRUST_200600_302600_NS6detail15normal_iteratorINSA_10device_ptrItEEEEPS6_NSA_18transform_iteratorI7is_evenItESF_NSA_11use_defaultESK_EENS0_5tupleIJNSA_16discard_iteratorISK_EESO_EEENSM_IJSG_SG_EEES6_PlJS6_EEE10hipError_tPvRmT3_T4_T5_T6_T7_T9_mT8_P12ihipStream_tbDpT10_ENKUlT_T0_E_clISt17integral_constantIbLb0EES1A_IbLb1EEEEDaS16_S17_EUlS16_E_NS1_11comp_targetILNS1_3genE8ELNS1_11target_archE1030ELNS1_3gpuE2ELNS1_3repE0EEENS1_30default_config_static_selectorELNS0_4arch9wavefront6targetE1EEEvT1_,"axG",@progbits,_ZN7rocprim17ROCPRIM_400000_NS6detail17trampoline_kernelINS0_14default_configENS1_25partition_config_selectorILNS1_17partition_subalgoE1EtNS0_10empty_typeEbEEZZNS1_14partition_implILS5_1ELb0ES3_jN6thrust23THRUST_200600_302600_NS6detail15normal_iteratorINSA_10device_ptrItEEEEPS6_NSA_18transform_iteratorI7is_evenItESF_NSA_11use_defaultESK_EENS0_5tupleIJNSA_16discard_iteratorISK_EESO_EEENSM_IJSG_SG_EEES6_PlJS6_EEE10hipError_tPvRmT3_T4_T5_T6_T7_T9_mT8_P12ihipStream_tbDpT10_ENKUlT_T0_E_clISt17integral_constantIbLb0EES1A_IbLb1EEEEDaS16_S17_EUlS16_E_NS1_11comp_targetILNS1_3genE8ELNS1_11target_archE1030ELNS1_3gpuE2ELNS1_3repE0EEENS1_30default_config_static_selectorELNS0_4arch9wavefront6targetE1EEEvT1_,comdat
.Lfunc_end3098:
	.size	_ZN7rocprim17ROCPRIM_400000_NS6detail17trampoline_kernelINS0_14default_configENS1_25partition_config_selectorILNS1_17partition_subalgoE1EtNS0_10empty_typeEbEEZZNS1_14partition_implILS5_1ELb0ES3_jN6thrust23THRUST_200600_302600_NS6detail15normal_iteratorINSA_10device_ptrItEEEEPS6_NSA_18transform_iteratorI7is_evenItESF_NSA_11use_defaultESK_EENS0_5tupleIJNSA_16discard_iteratorISK_EESO_EEENSM_IJSG_SG_EEES6_PlJS6_EEE10hipError_tPvRmT3_T4_T5_T6_T7_T9_mT8_P12ihipStream_tbDpT10_ENKUlT_T0_E_clISt17integral_constantIbLb0EES1A_IbLb1EEEEDaS16_S17_EUlS16_E_NS1_11comp_targetILNS1_3genE8ELNS1_11target_archE1030ELNS1_3gpuE2ELNS1_3repE0EEENS1_30default_config_static_selectorELNS0_4arch9wavefront6targetE1EEEvT1_, .Lfunc_end3098-_ZN7rocprim17ROCPRIM_400000_NS6detail17trampoline_kernelINS0_14default_configENS1_25partition_config_selectorILNS1_17partition_subalgoE1EtNS0_10empty_typeEbEEZZNS1_14partition_implILS5_1ELb0ES3_jN6thrust23THRUST_200600_302600_NS6detail15normal_iteratorINSA_10device_ptrItEEEEPS6_NSA_18transform_iteratorI7is_evenItESF_NSA_11use_defaultESK_EENS0_5tupleIJNSA_16discard_iteratorISK_EESO_EEENSM_IJSG_SG_EEES6_PlJS6_EEE10hipError_tPvRmT3_T4_T5_T6_T7_T9_mT8_P12ihipStream_tbDpT10_ENKUlT_T0_E_clISt17integral_constantIbLb0EES1A_IbLb1EEEEDaS16_S17_EUlS16_E_NS1_11comp_targetILNS1_3genE8ELNS1_11target_archE1030ELNS1_3gpuE2ELNS1_3repE0EEENS1_30default_config_static_selectorELNS0_4arch9wavefront6targetE1EEEvT1_
                                        ; -- End function
	.section	.AMDGPU.csdata,"",@progbits
; Kernel info:
; codeLenInByte = 0
; NumSgprs: 4
; NumVgprs: 0
; NumAgprs: 0
; TotalNumVgprs: 0
; ScratchSize: 0
; MemoryBound: 0
; FloatMode: 240
; IeeeMode: 1
; LDSByteSize: 0 bytes/workgroup (compile time only)
; SGPRBlocks: 0
; VGPRBlocks: 0
; NumSGPRsForWavesPerEU: 4
; NumVGPRsForWavesPerEU: 1
; AccumOffset: 4
; Occupancy: 8
; WaveLimiterHint : 0
; COMPUTE_PGM_RSRC2:SCRATCH_EN: 0
; COMPUTE_PGM_RSRC2:USER_SGPR: 6
; COMPUTE_PGM_RSRC2:TRAP_HANDLER: 0
; COMPUTE_PGM_RSRC2:TGID_X_EN: 1
; COMPUTE_PGM_RSRC2:TGID_Y_EN: 0
; COMPUTE_PGM_RSRC2:TGID_Z_EN: 0
; COMPUTE_PGM_RSRC2:TIDIG_COMP_CNT: 0
; COMPUTE_PGM_RSRC3_GFX90A:ACCUM_OFFSET: 0
; COMPUTE_PGM_RSRC3_GFX90A:TG_SPLIT: 0
	.section	.text._ZN7rocprim17ROCPRIM_400000_NS6detail17trampoline_kernelINS0_14default_configENS1_25partition_config_selectorILNS1_17partition_subalgoE1EtNS0_10empty_typeEbEEZZNS1_14partition_implILS5_1ELb0ES3_jN6thrust23THRUST_200600_302600_NS6detail15normal_iteratorINSA_10device_ptrItEEEEPS6_NSA_18transform_iteratorI7is_evenItESF_NSA_11use_defaultESK_EENS0_5tupleIJSF_NSA_16discard_iteratorISK_EEEEENSM_IJSG_SG_EEES6_PlJS6_EEE10hipError_tPvRmT3_T4_T5_T6_T7_T9_mT8_P12ihipStream_tbDpT10_ENKUlT_T0_E_clISt17integral_constantIbLb0EES1B_EEDaS16_S17_EUlS16_E_NS1_11comp_targetILNS1_3genE0ELNS1_11target_archE4294967295ELNS1_3gpuE0ELNS1_3repE0EEENS1_30default_config_static_selectorELNS0_4arch9wavefront6targetE1EEEvT1_,"axG",@progbits,_ZN7rocprim17ROCPRIM_400000_NS6detail17trampoline_kernelINS0_14default_configENS1_25partition_config_selectorILNS1_17partition_subalgoE1EtNS0_10empty_typeEbEEZZNS1_14partition_implILS5_1ELb0ES3_jN6thrust23THRUST_200600_302600_NS6detail15normal_iteratorINSA_10device_ptrItEEEEPS6_NSA_18transform_iteratorI7is_evenItESF_NSA_11use_defaultESK_EENS0_5tupleIJSF_NSA_16discard_iteratorISK_EEEEENSM_IJSG_SG_EEES6_PlJS6_EEE10hipError_tPvRmT3_T4_T5_T6_T7_T9_mT8_P12ihipStream_tbDpT10_ENKUlT_T0_E_clISt17integral_constantIbLb0EES1B_EEDaS16_S17_EUlS16_E_NS1_11comp_targetILNS1_3genE0ELNS1_11target_archE4294967295ELNS1_3gpuE0ELNS1_3repE0EEENS1_30default_config_static_selectorELNS0_4arch9wavefront6targetE1EEEvT1_,comdat
	.protected	_ZN7rocprim17ROCPRIM_400000_NS6detail17trampoline_kernelINS0_14default_configENS1_25partition_config_selectorILNS1_17partition_subalgoE1EtNS0_10empty_typeEbEEZZNS1_14partition_implILS5_1ELb0ES3_jN6thrust23THRUST_200600_302600_NS6detail15normal_iteratorINSA_10device_ptrItEEEEPS6_NSA_18transform_iteratorI7is_evenItESF_NSA_11use_defaultESK_EENS0_5tupleIJSF_NSA_16discard_iteratorISK_EEEEENSM_IJSG_SG_EEES6_PlJS6_EEE10hipError_tPvRmT3_T4_T5_T6_T7_T9_mT8_P12ihipStream_tbDpT10_ENKUlT_T0_E_clISt17integral_constantIbLb0EES1B_EEDaS16_S17_EUlS16_E_NS1_11comp_targetILNS1_3genE0ELNS1_11target_archE4294967295ELNS1_3gpuE0ELNS1_3repE0EEENS1_30default_config_static_selectorELNS0_4arch9wavefront6targetE1EEEvT1_ ; -- Begin function _ZN7rocprim17ROCPRIM_400000_NS6detail17trampoline_kernelINS0_14default_configENS1_25partition_config_selectorILNS1_17partition_subalgoE1EtNS0_10empty_typeEbEEZZNS1_14partition_implILS5_1ELb0ES3_jN6thrust23THRUST_200600_302600_NS6detail15normal_iteratorINSA_10device_ptrItEEEEPS6_NSA_18transform_iteratorI7is_evenItESF_NSA_11use_defaultESK_EENS0_5tupleIJSF_NSA_16discard_iteratorISK_EEEEENSM_IJSG_SG_EEES6_PlJS6_EEE10hipError_tPvRmT3_T4_T5_T6_T7_T9_mT8_P12ihipStream_tbDpT10_ENKUlT_T0_E_clISt17integral_constantIbLb0EES1B_EEDaS16_S17_EUlS16_E_NS1_11comp_targetILNS1_3genE0ELNS1_11target_archE4294967295ELNS1_3gpuE0ELNS1_3repE0EEENS1_30default_config_static_selectorELNS0_4arch9wavefront6targetE1EEEvT1_
	.globl	_ZN7rocprim17ROCPRIM_400000_NS6detail17trampoline_kernelINS0_14default_configENS1_25partition_config_selectorILNS1_17partition_subalgoE1EtNS0_10empty_typeEbEEZZNS1_14partition_implILS5_1ELb0ES3_jN6thrust23THRUST_200600_302600_NS6detail15normal_iteratorINSA_10device_ptrItEEEEPS6_NSA_18transform_iteratorI7is_evenItESF_NSA_11use_defaultESK_EENS0_5tupleIJSF_NSA_16discard_iteratorISK_EEEEENSM_IJSG_SG_EEES6_PlJS6_EEE10hipError_tPvRmT3_T4_T5_T6_T7_T9_mT8_P12ihipStream_tbDpT10_ENKUlT_T0_E_clISt17integral_constantIbLb0EES1B_EEDaS16_S17_EUlS16_E_NS1_11comp_targetILNS1_3genE0ELNS1_11target_archE4294967295ELNS1_3gpuE0ELNS1_3repE0EEENS1_30default_config_static_selectorELNS0_4arch9wavefront6targetE1EEEvT1_
	.p2align	8
	.type	_ZN7rocprim17ROCPRIM_400000_NS6detail17trampoline_kernelINS0_14default_configENS1_25partition_config_selectorILNS1_17partition_subalgoE1EtNS0_10empty_typeEbEEZZNS1_14partition_implILS5_1ELb0ES3_jN6thrust23THRUST_200600_302600_NS6detail15normal_iteratorINSA_10device_ptrItEEEEPS6_NSA_18transform_iteratorI7is_evenItESF_NSA_11use_defaultESK_EENS0_5tupleIJSF_NSA_16discard_iteratorISK_EEEEENSM_IJSG_SG_EEES6_PlJS6_EEE10hipError_tPvRmT3_T4_T5_T6_T7_T9_mT8_P12ihipStream_tbDpT10_ENKUlT_T0_E_clISt17integral_constantIbLb0EES1B_EEDaS16_S17_EUlS16_E_NS1_11comp_targetILNS1_3genE0ELNS1_11target_archE4294967295ELNS1_3gpuE0ELNS1_3repE0EEENS1_30default_config_static_selectorELNS0_4arch9wavefront6targetE1EEEvT1_,@function
_ZN7rocprim17ROCPRIM_400000_NS6detail17trampoline_kernelINS0_14default_configENS1_25partition_config_selectorILNS1_17partition_subalgoE1EtNS0_10empty_typeEbEEZZNS1_14partition_implILS5_1ELb0ES3_jN6thrust23THRUST_200600_302600_NS6detail15normal_iteratorINSA_10device_ptrItEEEEPS6_NSA_18transform_iteratorI7is_evenItESF_NSA_11use_defaultESK_EENS0_5tupleIJSF_NSA_16discard_iteratorISK_EEEEENSM_IJSG_SG_EEES6_PlJS6_EEE10hipError_tPvRmT3_T4_T5_T6_T7_T9_mT8_P12ihipStream_tbDpT10_ENKUlT_T0_E_clISt17integral_constantIbLb0EES1B_EEDaS16_S17_EUlS16_E_NS1_11comp_targetILNS1_3genE0ELNS1_11target_archE4294967295ELNS1_3gpuE0ELNS1_3repE0EEENS1_30default_config_static_selectorELNS0_4arch9wavefront6targetE1EEEvT1_: ; @_ZN7rocprim17ROCPRIM_400000_NS6detail17trampoline_kernelINS0_14default_configENS1_25partition_config_selectorILNS1_17partition_subalgoE1EtNS0_10empty_typeEbEEZZNS1_14partition_implILS5_1ELb0ES3_jN6thrust23THRUST_200600_302600_NS6detail15normal_iteratorINSA_10device_ptrItEEEEPS6_NSA_18transform_iteratorI7is_evenItESF_NSA_11use_defaultESK_EENS0_5tupleIJSF_NSA_16discard_iteratorISK_EEEEENSM_IJSG_SG_EEES6_PlJS6_EEE10hipError_tPvRmT3_T4_T5_T6_T7_T9_mT8_P12ihipStream_tbDpT10_ENKUlT_T0_E_clISt17integral_constantIbLb0EES1B_EEDaS16_S17_EUlS16_E_NS1_11comp_targetILNS1_3genE0ELNS1_11target_archE4294967295ELNS1_3gpuE0ELNS1_3repE0EEENS1_30default_config_static_selectorELNS0_4arch9wavefront6targetE1EEEvT1_
; %bb.0:
	.section	.rodata,"a",@progbits
	.p2align	6, 0x0
	.amdhsa_kernel _ZN7rocprim17ROCPRIM_400000_NS6detail17trampoline_kernelINS0_14default_configENS1_25partition_config_selectorILNS1_17partition_subalgoE1EtNS0_10empty_typeEbEEZZNS1_14partition_implILS5_1ELb0ES3_jN6thrust23THRUST_200600_302600_NS6detail15normal_iteratorINSA_10device_ptrItEEEEPS6_NSA_18transform_iteratorI7is_evenItESF_NSA_11use_defaultESK_EENS0_5tupleIJSF_NSA_16discard_iteratorISK_EEEEENSM_IJSG_SG_EEES6_PlJS6_EEE10hipError_tPvRmT3_T4_T5_T6_T7_T9_mT8_P12ihipStream_tbDpT10_ENKUlT_T0_E_clISt17integral_constantIbLb0EES1B_EEDaS16_S17_EUlS16_E_NS1_11comp_targetILNS1_3genE0ELNS1_11target_archE4294967295ELNS1_3gpuE0ELNS1_3repE0EEENS1_30default_config_static_selectorELNS0_4arch9wavefront6targetE1EEEvT1_
		.amdhsa_group_segment_fixed_size 0
		.amdhsa_private_segment_fixed_size 0
		.amdhsa_kernarg_size 136
		.amdhsa_user_sgpr_count 6
		.amdhsa_user_sgpr_private_segment_buffer 1
		.amdhsa_user_sgpr_dispatch_ptr 0
		.amdhsa_user_sgpr_queue_ptr 0
		.amdhsa_user_sgpr_kernarg_segment_ptr 1
		.amdhsa_user_sgpr_dispatch_id 0
		.amdhsa_user_sgpr_flat_scratch_init 0
		.amdhsa_user_sgpr_kernarg_preload_length 0
		.amdhsa_user_sgpr_kernarg_preload_offset 0
		.amdhsa_user_sgpr_private_segment_size 0
		.amdhsa_uses_dynamic_stack 0
		.amdhsa_system_sgpr_private_segment_wavefront_offset 0
		.amdhsa_system_sgpr_workgroup_id_x 1
		.amdhsa_system_sgpr_workgroup_id_y 0
		.amdhsa_system_sgpr_workgroup_id_z 0
		.amdhsa_system_sgpr_workgroup_info 0
		.amdhsa_system_vgpr_workitem_id 0
		.amdhsa_next_free_vgpr 1
		.amdhsa_next_free_sgpr 0
		.amdhsa_accum_offset 4
		.amdhsa_reserve_vcc 0
		.amdhsa_reserve_flat_scratch 0
		.amdhsa_float_round_mode_32 0
		.amdhsa_float_round_mode_16_64 0
		.amdhsa_float_denorm_mode_32 3
		.amdhsa_float_denorm_mode_16_64 3
		.amdhsa_dx10_clamp 1
		.amdhsa_ieee_mode 1
		.amdhsa_fp16_overflow 0
		.amdhsa_tg_split 0
		.amdhsa_exception_fp_ieee_invalid_op 0
		.amdhsa_exception_fp_denorm_src 0
		.amdhsa_exception_fp_ieee_div_zero 0
		.amdhsa_exception_fp_ieee_overflow 0
		.amdhsa_exception_fp_ieee_underflow 0
		.amdhsa_exception_fp_ieee_inexact 0
		.amdhsa_exception_int_div_zero 0
	.end_amdhsa_kernel
	.section	.text._ZN7rocprim17ROCPRIM_400000_NS6detail17trampoline_kernelINS0_14default_configENS1_25partition_config_selectorILNS1_17partition_subalgoE1EtNS0_10empty_typeEbEEZZNS1_14partition_implILS5_1ELb0ES3_jN6thrust23THRUST_200600_302600_NS6detail15normal_iteratorINSA_10device_ptrItEEEEPS6_NSA_18transform_iteratorI7is_evenItESF_NSA_11use_defaultESK_EENS0_5tupleIJSF_NSA_16discard_iteratorISK_EEEEENSM_IJSG_SG_EEES6_PlJS6_EEE10hipError_tPvRmT3_T4_T5_T6_T7_T9_mT8_P12ihipStream_tbDpT10_ENKUlT_T0_E_clISt17integral_constantIbLb0EES1B_EEDaS16_S17_EUlS16_E_NS1_11comp_targetILNS1_3genE0ELNS1_11target_archE4294967295ELNS1_3gpuE0ELNS1_3repE0EEENS1_30default_config_static_selectorELNS0_4arch9wavefront6targetE1EEEvT1_,"axG",@progbits,_ZN7rocprim17ROCPRIM_400000_NS6detail17trampoline_kernelINS0_14default_configENS1_25partition_config_selectorILNS1_17partition_subalgoE1EtNS0_10empty_typeEbEEZZNS1_14partition_implILS5_1ELb0ES3_jN6thrust23THRUST_200600_302600_NS6detail15normal_iteratorINSA_10device_ptrItEEEEPS6_NSA_18transform_iteratorI7is_evenItESF_NSA_11use_defaultESK_EENS0_5tupleIJSF_NSA_16discard_iteratorISK_EEEEENSM_IJSG_SG_EEES6_PlJS6_EEE10hipError_tPvRmT3_T4_T5_T6_T7_T9_mT8_P12ihipStream_tbDpT10_ENKUlT_T0_E_clISt17integral_constantIbLb0EES1B_EEDaS16_S17_EUlS16_E_NS1_11comp_targetILNS1_3genE0ELNS1_11target_archE4294967295ELNS1_3gpuE0ELNS1_3repE0EEENS1_30default_config_static_selectorELNS0_4arch9wavefront6targetE1EEEvT1_,comdat
.Lfunc_end3099:
	.size	_ZN7rocprim17ROCPRIM_400000_NS6detail17trampoline_kernelINS0_14default_configENS1_25partition_config_selectorILNS1_17partition_subalgoE1EtNS0_10empty_typeEbEEZZNS1_14partition_implILS5_1ELb0ES3_jN6thrust23THRUST_200600_302600_NS6detail15normal_iteratorINSA_10device_ptrItEEEEPS6_NSA_18transform_iteratorI7is_evenItESF_NSA_11use_defaultESK_EENS0_5tupleIJSF_NSA_16discard_iteratorISK_EEEEENSM_IJSG_SG_EEES6_PlJS6_EEE10hipError_tPvRmT3_T4_T5_T6_T7_T9_mT8_P12ihipStream_tbDpT10_ENKUlT_T0_E_clISt17integral_constantIbLb0EES1B_EEDaS16_S17_EUlS16_E_NS1_11comp_targetILNS1_3genE0ELNS1_11target_archE4294967295ELNS1_3gpuE0ELNS1_3repE0EEENS1_30default_config_static_selectorELNS0_4arch9wavefront6targetE1EEEvT1_, .Lfunc_end3099-_ZN7rocprim17ROCPRIM_400000_NS6detail17trampoline_kernelINS0_14default_configENS1_25partition_config_selectorILNS1_17partition_subalgoE1EtNS0_10empty_typeEbEEZZNS1_14partition_implILS5_1ELb0ES3_jN6thrust23THRUST_200600_302600_NS6detail15normal_iteratorINSA_10device_ptrItEEEEPS6_NSA_18transform_iteratorI7is_evenItESF_NSA_11use_defaultESK_EENS0_5tupleIJSF_NSA_16discard_iteratorISK_EEEEENSM_IJSG_SG_EEES6_PlJS6_EEE10hipError_tPvRmT3_T4_T5_T6_T7_T9_mT8_P12ihipStream_tbDpT10_ENKUlT_T0_E_clISt17integral_constantIbLb0EES1B_EEDaS16_S17_EUlS16_E_NS1_11comp_targetILNS1_3genE0ELNS1_11target_archE4294967295ELNS1_3gpuE0ELNS1_3repE0EEENS1_30default_config_static_selectorELNS0_4arch9wavefront6targetE1EEEvT1_
                                        ; -- End function
	.section	.AMDGPU.csdata,"",@progbits
; Kernel info:
; codeLenInByte = 0
; NumSgprs: 4
; NumVgprs: 0
; NumAgprs: 0
; TotalNumVgprs: 0
; ScratchSize: 0
; MemoryBound: 0
; FloatMode: 240
; IeeeMode: 1
; LDSByteSize: 0 bytes/workgroup (compile time only)
; SGPRBlocks: 0
; VGPRBlocks: 0
; NumSGPRsForWavesPerEU: 4
; NumVGPRsForWavesPerEU: 1
; AccumOffset: 4
; Occupancy: 8
; WaveLimiterHint : 0
; COMPUTE_PGM_RSRC2:SCRATCH_EN: 0
; COMPUTE_PGM_RSRC2:USER_SGPR: 6
; COMPUTE_PGM_RSRC2:TRAP_HANDLER: 0
; COMPUTE_PGM_RSRC2:TGID_X_EN: 1
; COMPUTE_PGM_RSRC2:TGID_Y_EN: 0
; COMPUTE_PGM_RSRC2:TGID_Z_EN: 0
; COMPUTE_PGM_RSRC2:TIDIG_COMP_CNT: 0
; COMPUTE_PGM_RSRC3_GFX90A:ACCUM_OFFSET: 0
; COMPUTE_PGM_RSRC3_GFX90A:TG_SPLIT: 0
	.section	.text._ZN7rocprim17ROCPRIM_400000_NS6detail17trampoline_kernelINS0_14default_configENS1_25partition_config_selectorILNS1_17partition_subalgoE1EtNS0_10empty_typeEbEEZZNS1_14partition_implILS5_1ELb0ES3_jN6thrust23THRUST_200600_302600_NS6detail15normal_iteratorINSA_10device_ptrItEEEEPS6_NSA_18transform_iteratorI7is_evenItESF_NSA_11use_defaultESK_EENS0_5tupleIJSF_NSA_16discard_iteratorISK_EEEEENSM_IJSG_SG_EEES6_PlJS6_EEE10hipError_tPvRmT3_T4_T5_T6_T7_T9_mT8_P12ihipStream_tbDpT10_ENKUlT_T0_E_clISt17integral_constantIbLb0EES1B_EEDaS16_S17_EUlS16_E_NS1_11comp_targetILNS1_3genE5ELNS1_11target_archE942ELNS1_3gpuE9ELNS1_3repE0EEENS1_30default_config_static_selectorELNS0_4arch9wavefront6targetE1EEEvT1_,"axG",@progbits,_ZN7rocprim17ROCPRIM_400000_NS6detail17trampoline_kernelINS0_14default_configENS1_25partition_config_selectorILNS1_17partition_subalgoE1EtNS0_10empty_typeEbEEZZNS1_14partition_implILS5_1ELb0ES3_jN6thrust23THRUST_200600_302600_NS6detail15normal_iteratorINSA_10device_ptrItEEEEPS6_NSA_18transform_iteratorI7is_evenItESF_NSA_11use_defaultESK_EENS0_5tupleIJSF_NSA_16discard_iteratorISK_EEEEENSM_IJSG_SG_EEES6_PlJS6_EEE10hipError_tPvRmT3_T4_T5_T6_T7_T9_mT8_P12ihipStream_tbDpT10_ENKUlT_T0_E_clISt17integral_constantIbLb0EES1B_EEDaS16_S17_EUlS16_E_NS1_11comp_targetILNS1_3genE5ELNS1_11target_archE942ELNS1_3gpuE9ELNS1_3repE0EEENS1_30default_config_static_selectorELNS0_4arch9wavefront6targetE1EEEvT1_,comdat
	.protected	_ZN7rocprim17ROCPRIM_400000_NS6detail17trampoline_kernelINS0_14default_configENS1_25partition_config_selectorILNS1_17partition_subalgoE1EtNS0_10empty_typeEbEEZZNS1_14partition_implILS5_1ELb0ES3_jN6thrust23THRUST_200600_302600_NS6detail15normal_iteratorINSA_10device_ptrItEEEEPS6_NSA_18transform_iteratorI7is_evenItESF_NSA_11use_defaultESK_EENS0_5tupleIJSF_NSA_16discard_iteratorISK_EEEEENSM_IJSG_SG_EEES6_PlJS6_EEE10hipError_tPvRmT3_T4_T5_T6_T7_T9_mT8_P12ihipStream_tbDpT10_ENKUlT_T0_E_clISt17integral_constantIbLb0EES1B_EEDaS16_S17_EUlS16_E_NS1_11comp_targetILNS1_3genE5ELNS1_11target_archE942ELNS1_3gpuE9ELNS1_3repE0EEENS1_30default_config_static_selectorELNS0_4arch9wavefront6targetE1EEEvT1_ ; -- Begin function _ZN7rocprim17ROCPRIM_400000_NS6detail17trampoline_kernelINS0_14default_configENS1_25partition_config_selectorILNS1_17partition_subalgoE1EtNS0_10empty_typeEbEEZZNS1_14partition_implILS5_1ELb0ES3_jN6thrust23THRUST_200600_302600_NS6detail15normal_iteratorINSA_10device_ptrItEEEEPS6_NSA_18transform_iteratorI7is_evenItESF_NSA_11use_defaultESK_EENS0_5tupleIJSF_NSA_16discard_iteratorISK_EEEEENSM_IJSG_SG_EEES6_PlJS6_EEE10hipError_tPvRmT3_T4_T5_T6_T7_T9_mT8_P12ihipStream_tbDpT10_ENKUlT_T0_E_clISt17integral_constantIbLb0EES1B_EEDaS16_S17_EUlS16_E_NS1_11comp_targetILNS1_3genE5ELNS1_11target_archE942ELNS1_3gpuE9ELNS1_3repE0EEENS1_30default_config_static_selectorELNS0_4arch9wavefront6targetE1EEEvT1_
	.globl	_ZN7rocprim17ROCPRIM_400000_NS6detail17trampoline_kernelINS0_14default_configENS1_25partition_config_selectorILNS1_17partition_subalgoE1EtNS0_10empty_typeEbEEZZNS1_14partition_implILS5_1ELb0ES3_jN6thrust23THRUST_200600_302600_NS6detail15normal_iteratorINSA_10device_ptrItEEEEPS6_NSA_18transform_iteratorI7is_evenItESF_NSA_11use_defaultESK_EENS0_5tupleIJSF_NSA_16discard_iteratorISK_EEEEENSM_IJSG_SG_EEES6_PlJS6_EEE10hipError_tPvRmT3_T4_T5_T6_T7_T9_mT8_P12ihipStream_tbDpT10_ENKUlT_T0_E_clISt17integral_constantIbLb0EES1B_EEDaS16_S17_EUlS16_E_NS1_11comp_targetILNS1_3genE5ELNS1_11target_archE942ELNS1_3gpuE9ELNS1_3repE0EEENS1_30default_config_static_selectorELNS0_4arch9wavefront6targetE1EEEvT1_
	.p2align	8
	.type	_ZN7rocprim17ROCPRIM_400000_NS6detail17trampoline_kernelINS0_14default_configENS1_25partition_config_selectorILNS1_17partition_subalgoE1EtNS0_10empty_typeEbEEZZNS1_14partition_implILS5_1ELb0ES3_jN6thrust23THRUST_200600_302600_NS6detail15normal_iteratorINSA_10device_ptrItEEEEPS6_NSA_18transform_iteratorI7is_evenItESF_NSA_11use_defaultESK_EENS0_5tupleIJSF_NSA_16discard_iteratorISK_EEEEENSM_IJSG_SG_EEES6_PlJS6_EEE10hipError_tPvRmT3_T4_T5_T6_T7_T9_mT8_P12ihipStream_tbDpT10_ENKUlT_T0_E_clISt17integral_constantIbLb0EES1B_EEDaS16_S17_EUlS16_E_NS1_11comp_targetILNS1_3genE5ELNS1_11target_archE942ELNS1_3gpuE9ELNS1_3repE0EEENS1_30default_config_static_selectorELNS0_4arch9wavefront6targetE1EEEvT1_,@function
_ZN7rocprim17ROCPRIM_400000_NS6detail17trampoline_kernelINS0_14default_configENS1_25partition_config_selectorILNS1_17partition_subalgoE1EtNS0_10empty_typeEbEEZZNS1_14partition_implILS5_1ELb0ES3_jN6thrust23THRUST_200600_302600_NS6detail15normal_iteratorINSA_10device_ptrItEEEEPS6_NSA_18transform_iteratorI7is_evenItESF_NSA_11use_defaultESK_EENS0_5tupleIJSF_NSA_16discard_iteratorISK_EEEEENSM_IJSG_SG_EEES6_PlJS6_EEE10hipError_tPvRmT3_T4_T5_T6_T7_T9_mT8_P12ihipStream_tbDpT10_ENKUlT_T0_E_clISt17integral_constantIbLb0EES1B_EEDaS16_S17_EUlS16_E_NS1_11comp_targetILNS1_3genE5ELNS1_11target_archE942ELNS1_3gpuE9ELNS1_3repE0EEENS1_30default_config_static_selectorELNS0_4arch9wavefront6targetE1EEEvT1_: ; @_ZN7rocprim17ROCPRIM_400000_NS6detail17trampoline_kernelINS0_14default_configENS1_25partition_config_selectorILNS1_17partition_subalgoE1EtNS0_10empty_typeEbEEZZNS1_14partition_implILS5_1ELb0ES3_jN6thrust23THRUST_200600_302600_NS6detail15normal_iteratorINSA_10device_ptrItEEEEPS6_NSA_18transform_iteratorI7is_evenItESF_NSA_11use_defaultESK_EENS0_5tupleIJSF_NSA_16discard_iteratorISK_EEEEENSM_IJSG_SG_EEES6_PlJS6_EEE10hipError_tPvRmT3_T4_T5_T6_T7_T9_mT8_P12ihipStream_tbDpT10_ENKUlT_T0_E_clISt17integral_constantIbLb0EES1B_EEDaS16_S17_EUlS16_E_NS1_11comp_targetILNS1_3genE5ELNS1_11target_archE942ELNS1_3gpuE9ELNS1_3repE0EEENS1_30default_config_static_selectorELNS0_4arch9wavefront6targetE1EEEvT1_
; %bb.0:
	.section	.rodata,"a",@progbits
	.p2align	6, 0x0
	.amdhsa_kernel _ZN7rocprim17ROCPRIM_400000_NS6detail17trampoline_kernelINS0_14default_configENS1_25partition_config_selectorILNS1_17partition_subalgoE1EtNS0_10empty_typeEbEEZZNS1_14partition_implILS5_1ELb0ES3_jN6thrust23THRUST_200600_302600_NS6detail15normal_iteratorINSA_10device_ptrItEEEEPS6_NSA_18transform_iteratorI7is_evenItESF_NSA_11use_defaultESK_EENS0_5tupleIJSF_NSA_16discard_iteratorISK_EEEEENSM_IJSG_SG_EEES6_PlJS6_EEE10hipError_tPvRmT3_T4_T5_T6_T7_T9_mT8_P12ihipStream_tbDpT10_ENKUlT_T0_E_clISt17integral_constantIbLb0EES1B_EEDaS16_S17_EUlS16_E_NS1_11comp_targetILNS1_3genE5ELNS1_11target_archE942ELNS1_3gpuE9ELNS1_3repE0EEENS1_30default_config_static_selectorELNS0_4arch9wavefront6targetE1EEEvT1_
		.amdhsa_group_segment_fixed_size 0
		.amdhsa_private_segment_fixed_size 0
		.amdhsa_kernarg_size 136
		.amdhsa_user_sgpr_count 6
		.amdhsa_user_sgpr_private_segment_buffer 1
		.amdhsa_user_sgpr_dispatch_ptr 0
		.amdhsa_user_sgpr_queue_ptr 0
		.amdhsa_user_sgpr_kernarg_segment_ptr 1
		.amdhsa_user_sgpr_dispatch_id 0
		.amdhsa_user_sgpr_flat_scratch_init 0
		.amdhsa_user_sgpr_kernarg_preload_length 0
		.amdhsa_user_sgpr_kernarg_preload_offset 0
		.amdhsa_user_sgpr_private_segment_size 0
		.amdhsa_uses_dynamic_stack 0
		.amdhsa_system_sgpr_private_segment_wavefront_offset 0
		.amdhsa_system_sgpr_workgroup_id_x 1
		.amdhsa_system_sgpr_workgroup_id_y 0
		.amdhsa_system_sgpr_workgroup_id_z 0
		.amdhsa_system_sgpr_workgroup_info 0
		.amdhsa_system_vgpr_workitem_id 0
		.amdhsa_next_free_vgpr 1
		.amdhsa_next_free_sgpr 0
		.amdhsa_accum_offset 4
		.amdhsa_reserve_vcc 0
		.amdhsa_reserve_flat_scratch 0
		.amdhsa_float_round_mode_32 0
		.amdhsa_float_round_mode_16_64 0
		.amdhsa_float_denorm_mode_32 3
		.amdhsa_float_denorm_mode_16_64 3
		.amdhsa_dx10_clamp 1
		.amdhsa_ieee_mode 1
		.amdhsa_fp16_overflow 0
		.amdhsa_tg_split 0
		.amdhsa_exception_fp_ieee_invalid_op 0
		.amdhsa_exception_fp_denorm_src 0
		.amdhsa_exception_fp_ieee_div_zero 0
		.amdhsa_exception_fp_ieee_overflow 0
		.amdhsa_exception_fp_ieee_underflow 0
		.amdhsa_exception_fp_ieee_inexact 0
		.amdhsa_exception_int_div_zero 0
	.end_amdhsa_kernel
	.section	.text._ZN7rocprim17ROCPRIM_400000_NS6detail17trampoline_kernelINS0_14default_configENS1_25partition_config_selectorILNS1_17partition_subalgoE1EtNS0_10empty_typeEbEEZZNS1_14partition_implILS5_1ELb0ES3_jN6thrust23THRUST_200600_302600_NS6detail15normal_iteratorINSA_10device_ptrItEEEEPS6_NSA_18transform_iteratorI7is_evenItESF_NSA_11use_defaultESK_EENS0_5tupleIJSF_NSA_16discard_iteratorISK_EEEEENSM_IJSG_SG_EEES6_PlJS6_EEE10hipError_tPvRmT3_T4_T5_T6_T7_T9_mT8_P12ihipStream_tbDpT10_ENKUlT_T0_E_clISt17integral_constantIbLb0EES1B_EEDaS16_S17_EUlS16_E_NS1_11comp_targetILNS1_3genE5ELNS1_11target_archE942ELNS1_3gpuE9ELNS1_3repE0EEENS1_30default_config_static_selectorELNS0_4arch9wavefront6targetE1EEEvT1_,"axG",@progbits,_ZN7rocprim17ROCPRIM_400000_NS6detail17trampoline_kernelINS0_14default_configENS1_25partition_config_selectorILNS1_17partition_subalgoE1EtNS0_10empty_typeEbEEZZNS1_14partition_implILS5_1ELb0ES3_jN6thrust23THRUST_200600_302600_NS6detail15normal_iteratorINSA_10device_ptrItEEEEPS6_NSA_18transform_iteratorI7is_evenItESF_NSA_11use_defaultESK_EENS0_5tupleIJSF_NSA_16discard_iteratorISK_EEEEENSM_IJSG_SG_EEES6_PlJS6_EEE10hipError_tPvRmT3_T4_T5_T6_T7_T9_mT8_P12ihipStream_tbDpT10_ENKUlT_T0_E_clISt17integral_constantIbLb0EES1B_EEDaS16_S17_EUlS16_E_NS1_11comp_targetILNS1_3genE5ELNS1_11target_archE942ELNS1_3gpuE9ELNS1_3repE0EEENS1_30default_config_static_selectorELNS0_4arch9wavefront6targetE1EEEvT1_,comdat
.Lfunc_end3100:
	.size	_ZN7rocprim17ROCPRIM_400000_NS6detail17trampoline_kernelINS0_14default_configENS1_25partition_config_selectorILNS1_17partition_subalgoE1EtNS0_10empty_typeEbEEZZNS1_14partition_implILS5_1ELb0ES3_jN6thrust23THRUST_200600_302600_NS6detail15normal_iteratorINSA_10device_ptrItEEEEPS6_NSA_18transform_iteratorI7is_evenItESF_NSA_11use_defaultESK_EENS0_5tupleIJSF_NSA_16discard_iteratorISK_EEEEENSM_IJSG_SG_EEES6_PlJS6_EEE10hipError_tPvRmT3_T4_T5_T6_T7_T9_mT8_P12ihipStream_tbDpT10_ENKUlT_T0_E_clISt17integral_constantIbLb0EES1B_EEDaS16_S17_EUlS16_E_NS1_11comp_targetILNS1_3genE5ELNS1_11target_archE942ELNS1_3gpuE9ELNS1_3repE0EEENS1_30default_config_static_selectorELNS0_4arch9wavefront6targetE1EEEvT1_, .Lfunc_end3100-_ZN7rocprim17ROCPRIM_400000_NS6detail17trampoline_kernelINS0_14default_configENS1_25partition_config_selectorILNS1_17partition_subalgoE1EtNS0_10empty_typeEbEEZZNS1_14partition_implILS5_1ELb0ES3_jN6thrust23THRUST_200600_302600_NS6detail15normal_iteratorINSA_10device_ptrItEEEEPS6_NSA_18transform_iteratorI7is_evenItESF_NSA_11use_defaultESK_EENS0_5tupleIJSF_NSA_16discard_iteratorISK_EEEEENSM_IJSG_SG_EEES6_PlJS6_EEE10hipError_tPvRmT3_T4_T5_T6_T7_T9_mT8_P12ihipStream_tbDpT10_ENKUlT_T0_E_clISt17integral_constantIbLb0EES1B_EEDaS16_S17_EUlS16_E_NS1_11comp_targetILNS1_3genE5ELNS1_11target_archE942ELNS1_3gpuE9ELNS1_3repE0EEENS1_30default_config_static_selectorELNS0_4arch9wavefront6targetE1EEEvT1_
                                        ; -- End function
	.section	.AMDGPU.csdata,"",@progbits
; Kernel info:
; codeLenInByte = 0
; NumSgprs: 4
; NumVgprs: 0
; NumAgprs: 0
; TotalNumVgprs: 0
; ScratchSize: 0
; MemoryBound: 0
; FloatMode: 240
; IeeeMode: 1
; LDSByteSize: 0 bytes/workgroup (compile time only)
; SGPRBlocks: 0
; VGPRBlocks: 0
; NumSGPRsForWavesPerEU: 4
; NumVGPRsForWavesPerEU: 1
; AccumOffset: 4
; Occupancy: 8
; WaveLimiterHint : 0
; COMPUTE_PGM_RSRC2:SCRATCH_EN: 0
; COMPUTE_PGM_RSRC2:USER_SGPR: 6
; COMPUTE_PGM_RSRC2:TRAP_HANDLER: 0
; COMPUTE_PGM_RSRC2:TGID_X_EN: 1
; COMPUTE_PGM_RSRC2:TGID_Y_EN: 0
; COMPUTE_PGM_RSRC2:TGID_Z_EN: 0
; COMPUTE_PGM_RSRC2:TIDIG_COMP_CNT: 0
; COMPUTE_PGM_RSRC3_GFX90A:ACCUM_OFFSET: 0
; COMPUTE_PGM_RSRC3_GFX90A:TG_SPLIT: 0
	.section	.text._ZN7rocprim17ROCPRIM_400000_NS6detail17trampoline_kernelINS0_14default_configENS1_25partition_config_selectorILNS1_17partition_subalgoE1EtNS0_10empty_typeEbEEZZNS1_14partition_implILS5_1ELb0ES3_jN6thrust23THRUST_200600_302600_NS6detail15normal_iteratorINSA_10device_ptrItEEEEPS6_NSA_18transform_iteratorI7is_evenItESF_NSA_11use_defaultESK_EENS0_5tupleIJSF_NSA_16discard_iteratorISK_EEEEENSM_IJSG_SG_EEES6_PlJS6_EEE10hipError_tPvRmT3_T4_T5_T6_T7_T9_mT8_P12ihipStream_tbDpT10_ENKUlT_T0_E_clISt17integral_constantIbLb0EES1B_EEDaS16_S17_EUlS16_E_NS1_11comp_targetILNS1_3genE4ELNS1_11target_archE910ELNS1_3gpuE8ELNS1_3repE0EEENS1_30default_config_static_selectorELNS0_4arch9wavefront6targetE1EEEvT1_,"axG",@progbits,_ZN7rocprim17ROCPRIM_400000_NS6detail17trampoline_kernelINS0_14default_configENS1_25partition_config_selectorILNS1_17partition_subalgoE1EtNS0_10empty_typeEbEEZZNS1_14partition_implILS5_1ELb0ES3_jN6thrust23THRUST_200600_302600_NS6detail15normal_iteratorINSA_10device_ptrItEEEEPS6_NSA_18transform_iteratorI7is_evenItESF_NSA_11use_defaultESK_EENS0_5tupleIJSF_NSA_16discard_iteratorISK_EEEEENSM_IJSG_SG_EEES6_PlJS6_EEE10hipError_tPvRmT3_T4_T5_T6_T7_T9_mT8_P12ihipStream_tbDpT10_ENKUlT_T0_E_clISt17integral_constantIbLb0EES1B_EEDaS16_S17_EUlS16_E_NS1_11comp_targetILNS1_3genE4ELNS1_11target_archE910ELNS1_3gpuE8ELNS1_3repE0EEENS1_30default_config_static_selectorELNS0_4arch9wavefront6targetE1EEEvT1_,comdat
	.protected	_ZN7rocprim17ROCPRIM_400000_NS6detail17trampoline_kernelINS0_14default_configENS1_25partition_config_selectorILNS1_17partition_subalgoE1EtNS0_10empty_typeEbEEZZNS1_14partition_implILS5_1ELb0ES3_jN6thrust23THRUST_200600_302600_NS6detail15normal_iteratorINSA_10device_ptrItEEEEPS6_NSA_18transform_iteratorI7is_evenItESF_NSA_11use_defaultESK_EENS0_5tupleIJSF_NSA_16discard_iteratorISK_EEEEENSM_IJSG_SG_EEES6_PlJS6_EEE10hipError_tPvRmT3_T4_T5_T6_T7_T9_mT8_P12ihipStream_tbDpT10_ENKUlT_T0_E_clISt17integral_constantIbLb0EES1B_EEDaS16_S17_EUlS16_E_NS1_11comp_targetILNS1_3genE4ELNS1_11target_archE910ELNS1_3gpuE8ELNS1_3repE0EEENS1_30default_config_static_selectorELNS0_4arch9wavefront6targetE1EEEvT1_ ; -- Begin function _ZN7rocprim17ROCPRIM_400000_NS6detail17trampoline_kernelINS0_14default_configENS1_25partition_config_selectorILNS1_17partition_subalgoE1EtNS0_10empty_typeEbEEZZNS1_14partition_implILS5_1ELb0ES3_jN6thrust23THRUST_200600_302600_NS6detail15normal_iteratorINSA_10device_ptrItEEEEPS6_NSA_18transform_iteratorI7is_evenItESF_NSA_11use_defaultESK_EENS0_5tupleIJSF_NSA_16discard_iteratorISK_EEEEENSM_IJSG_SG_EEES6_PlJS6_EEE10hipError_tPvRmT3_T4_T5_T6_T7_T9_mT8_P12ihipStream_tbDpT10_ENKUlT_T0_E_clISt17integral_constantIbLb0EES1B_EEDaS16_S17_EUlS16_E_NS1_11comp_targetILNS1_3genE4ELNS1_11target_archE910ELNS1_3gpuE8ELNS1_3repE0EEENS1_30default_config_static_selectorELNS0_4arch9wavefront6targetE1EEEvT1_
	.globl	_ZN7rocprim17ROCPRIM_400000_NS6detail17trampoline_kernelINS0_14default_configENS1_25partition_config_selectorILNS1_17partition_subalgoE1EtNS0_10empty_typeEbEEZZNS1_14partition_implILS5_1ELb0ES3_jN6thrust23THRUST_200600_302600_NS6detail15normal_iteratorINSA_10device_ptrItEEEEPS6_NSA_18transform_iteratorI7is_evenItESF_NSA_11use_defaultESK_EENS0_5tupleIJSF_NSA_16discard_iteratorISK_EEEEENSM_IJSG_SG_EEES6_PlJS6_EEE10hipError_tPvRmT3_T4_T5_T6_T7_T9_mT8_P12ihipStream_tbDpT10_ENKUlT_T0_E_clISt17integral_constantIbLb0EES1B_EEDaS16_S17_EUlS16_E_NS1_11comp_targetILNS1_3genE4ELNS1_11target_archE910ELNS1_3gpuE8ELNS1_3repE0EEENS1_30default_config_static_selectorELNS0_4arch9wavefront6targetE1EEEvT1_
	.p2align	8
	.type	_ZN7rocprim17ROCPRIM_400000_NS6detail17trampoline_kernelINS0_14default_configENS1_25partition_config_selectorILNS1_17partition_subalgoE1EtNS0_10empty_typeEbEEZZNS1_14partition_implILS5_1ELb0ES3_jN6thrust23THRUST_200600_302600_NS6detail15normal_iteratorINSA_10device_ptrItEEEEPS6_NSA_18transform_iteratorI7is_evenItESF_NSA_11use_defaultESK_EENS0_5tupleIJSF_NSA_16discard_iteratorISK_EEEEENSM_IJSG_SG_EEES6_PlJS6_EEE10hipError_tPvRmT3_T4_T5_T6_T7_T9_mT8_P12ihipStream_tbDpT10_ENKUlT_T0_E_clISt17integral_constantIbLb0EES1B_EEDaS16_S17_EUlS16_E_NS1_11comp_targetILNS1_3genE4ELNS1_11target_archE910ELNS1_3gpuE8ELNS1_3repE0EEENS1_30default_config_static_selectorELNS0_4arch9wavefront6targetE1EEEvT1_,@function
_ZN7rocprim17ROCPRIM_400000_NS6detail17trampoline_kernelINS0_14default_configENS1_25partition_config_selectorILNS1_17partition_subalgoE1EtNS0_10empty_typeEbEEZZNS1_14partition_implILS5_1ELb0ES3_jN6thrust23THRUST_200600_302600_NS6detail15normal_iteratorINSA_10device_ptrItEEEEPS6_NSA_18transform_iteratorI7is_evenItESF_NSA_11use_defaultESK_EENS0_5tupleIJSF_NSA_16discard_iteratorISK_EEEEENSM_IJSG_SG_EEES6_PlJS6_EEE10hipError_tPvRmT3_T4_T5_T6_T7_T9_mT8_P12ihipStream_tbDpT10_ENKUlT_T0_E_clISt17integral_constantIbLb0EES1B_EEDaS16_S17_EUlS16_E_NS1_11comp_targetILNS1_3genE4ELNS1_11target_archE910ELNS1_3gpuE8ELNS1_3repE0EEENS1_30default_config_static_selectorELNS0_4arch9wavefront6targetE1EEEvT1_: ; @_ZN7rocprim17ROCPRIM_400000_NS6detail17trampoline_kernelINS0_14default_configENS1_25partition_config_selectorILNS1_17partition_subalgoE1EtNS0_10empty_typeEbEEZZNS1_14partition_implILS5_1ELb0ES3_jN6thrust23THRUST_200600_302600_NS6detail15normal_iteratorINSA_10device_ptrItEEEEPS6_NSA_18transform_iteratorI7is_evenItESF_NSA_11use_defaultESK_EENS0_5tupleIJSF_NSA_16discard_iteratorISK_EEEEENSM_IJSG_SG_EEES6_PlJS6_EEE10hipError_tPvRmT3_T4_T5_T6_T7_T9_mT8_P12ihipStream_tbDpT10_ENKUlT_T0_E_clISt17integral_constantIbLb0EES1B_EEDaS16_S17_EUlS16_E_NS1_11comp_targetILNS1_3genE4ELNS1_11target_archE910ELNS1_3gpuE8ELNS1_3repE0EEENS1_30default_config_static_selectorELNS0_4arch9wavefront6targetE1EEEvT1_
; %bb.0:
	s_load_dwordx2 s[0:1], s[4:5], 0x68
	s_load_dwordx4 s[12:15], s[4:5], 0x8
	s_load_dwordx2 s[2:3], s[4:5], 0x20
	s_load_dwordx4 s[20:23], s[4:5], 0x58
	s_mul_i32 s10, s6, 0x1400
	s_waitcnt lgkmcnt(0)
	v_mov_b32_e32 v3, s1
	s_load_dword s1, s[4:5], 0x80
	s_lshl_b64 s[8:9], s[14:15], 1
	s_add_u32 s7, s12, s8
	s_addc_u32 s12, s13, s9
	v_mov_b32_e32 v2, s0
	s_waitcnt lgkmcnt(0)
	s_add_i32 s13, s1, -1
	s_mulk_i32 s1, 0x1400
	s_add_i32 s11, s1, s14
	s_sub_i32 s33, s0, s11
	s_addk_i32 s33, 0x1400
	s_add_u32 s0, s14, s1
	s_addc_u32 s1, s15, 0
	s_cmp_eq_u32 s6, s13
	s_load_dwordx2 s[22:23], s[22:23], 0x0
	s_cselect_b64 s[24:25], -1, 0
	s_cmp_lg_u32 s6, s13
	s_mov_b32 s11, 0
	v_cmp_lt_u64_e32 vcc, s[0:1], v[2:3]
	s_cselect_b64 s[0:1], -1, 0
	s_or_b64 s[26:27], s[0:1], vcc
	s_lshl_b64 s[10:11], s[10:11], 1
	s_add_u32 s7, s7, s10
	s_addc_u32 s14, s12, s11
	s_mov_b64 s[0:1], -1
	s_and_b64 vcc, exec, s[26:27]
	v_lshlrev_b32_e32 v1, 1, v0
	s_cbranch_vccz .LBB3101_2
; %bb.1:
	v_mov_b32_e32 v3, s14
	v_add_co_u32_e32 v2, vcc, s7, v1
	v_addc_co_u32_e32 v3, vcc, 0, v3, vcc
	v_add_co_u32_e32 v4, vcc, 0x1000, v2
	v_addc_co_u32_e32 v5, vcc, 0, v3, vcc
	flat_load_ushort v6, v[2:3]
	flat_load_ushort v7, v[2:3] offset:512
	flat_load_ushort v8, v[2:3] offset:1024
	;; [unrolled: 1-line block ×7, first 2 shown]
	v_add_co_u32_e32 v2, vcc, 0x2000, v2
	v_addc_co_u32_e32 v3, vcc, 0, v3, vcc
	flat_load_ushort v14, v[4:5]
	flat_load_ushort v15, v[4:5] offset:512
	flat_load_ushort v16, v[4:5] offset:1024
	;; [unrolled: 1-line block ×7, first 2 shown]
	s_nop 0
	flat_load_ushort v4, v[2:3]
	flat_load_ushort v5, v[2:3] offset:512
	flat_load_ushort v22, v[2:3] offset:1024
	;; [unrolled: 1-line block ×3, first 2 shown]
	s_mov_b64 s[0:1], 0
	s_waitcnt vmcnt(0) lgkmcnt(0)
	ds_write_b16 v1, v6
	ds_write_b16 v1, v7 offset:512
	ds_write_b16 v1, v8 offset:1024
	;; [unrolled: 1-line block ×19, first 2 shown]
	s_waitcnt lgkmcnt(0)
	s_barrier
.LBB3101_2:
	s_andn2_b64 vcc, exec, s[0:1]
	v_cmp_gt_u32_e64 s[0:1], s33, v0
	s_cbranch_vccnz .LBB3101_44
; %bb.3:
                                        ; implicit-def: $vgpr2
	s_and_saveexec_b64 s[12:13], s[0:1]
	s_cbranch_execz .LBB3101_5
; %bb.4:
	v_mov_b32_e32 v3, s14
	v_add_co_u32_e32 v2, vcc, s7, v1
	v_addc_co_u32_e32 v3, vcc, 0, v3, vcc
	flat_load_ushort v2, v[2:3]
.LBB3101_5:
	s_or_b64 exec, exec, s[12:13]
	v_or_b32_e32 v3, 0x100, v0
	v_cmp_gt_u32_e32 vcc, s33, v3
                                        ; implicit-def: $vgpr3
	s_and_saveexec_b64 s[0:1], vcc
	s_cbranch_execz .LBB3101_7
; %bb.6:
	v_mov_b32_e32 v3, s14
	v_add_co_u32_e32 v4, vcc, s7, v1
	v_addc_co_u32_e32 v5, vcc, 0, v3, vcc
	flat_load_ushort v3, v[4:5] offset:512
.LBB3101_7:
	s_or_b64 exec, exec, s[0:1]
	v_or_b32_e32 v4, 0x200, v0
	v_cmp_gt_u32_e32 vcc, s33, v4
                                        ; implicit-def: $vgpr4
	s_and_saveexec_b64 s[0:1], vcc
	s_cbranch_execz .LBB3101_9
; %bb.8:
	v_mov_b32_e32 v5, s14
	v_add_co_u32_e32 v4, vcc, s7, v1
	v_addc_co_u32_e32 v5, vcc, 0, v5, vcc
	flat_load_ushort v4, v[4:5] offset:1024
.LBB3101_9:
	s_or_b64 exec, exec, s[0:1]
	v_or_b32_e32 v5, 0x300, v0
	v_cmp_gt_u32_e32 vcc, s33, v5
                                        ; implicit-def: $vgpr5
	s_and_saveexec_b64 s[0:1], vcc
	s_cbranch_execz .LBB3101_11
; %bb.10:
	v_mov_b32_e32 v5, s14
	v_add_co_u32_e32 v6, vcc, s7, v1
	v_addc_co_u32_e32 v7, vcc, 0, v5, vcc
	flat_load_ushort v5, v[6:7] offset:1536
.LBB3101_11:
	s_or_b64 exec, exec, s[0:1]
	v_or_b32_e32 v6, 0x400, v0
	v_cmp_gt_u32_e32 vcc, s33, v6
                                        ; implicit-def: $vgpr6
	s_and_saveexec_b64 s[0:1], vcc
	s_cbranch_execz .LBB3101_13
; %bb.12:
	v_mov_b32_e32 v7, s14
	v_add_co_u32_e32 v6, vcc, s7, v1
	v_addc_co_u32_e32 v7, vcc, 0, v7, vcc
	flat_load_ushort v6, v[6:7] offset:2048
.LBB3101_13:
	s_or_b64 exec, exec, s[0:1]
	v_or_b32_e32 v7, 0x500, v0
	v_cmp_gt_u32_e32 vcc, s33, v7
                                        ; implicit-def: $vgpr7
	s_and_saveexec_b64 s[0:1], vcc
	s_cbranch_execz .LBB3101_15
; %bb.14:
	v_mov_b32_e32 v7, s14
	v_add_co_u32_e32 v8, vcc, s7, v1
	v_addc_co_u32_e32 v9, vcc, 0, v7, vcc
	flat_load_ushort v7, v[8:9] offset:2560
.LBB3101_15:
	s_or_b64 exec, exec, s[0:1]
	v_or_b32_e32 v8, 0x600, v0
	v_cmp_gt_u32_e32 vcc, s33, v8
                                        ; implicit-def: $vgpr8
	s_and_saveexec_b64 s[0:1], vcc
	s_cbranch_execz .LBB3101_17
; %bb.16:
	v_mov_b32_e32 v9, s14
	v_add_co_u32_e32 v8, vcc, s7, v1
	v_addc_co_u32_e32 v9, vcc, 0, v9, vcc
	flat_load_ushort v8, v[8:9] offset:3072
.LBB3101_17:
	s_or_b64 exec, exec, s[0:1]
	v_or_b32_e32 v9, 0x700, v0
	v_cmp_gt_u32_e32 vcc, s33, v9
                                        ; implicit-def: $vgpr9
	s_and_saveexec_b64 s[0:1], vcc
	s_cbranch_execz .LBB3101_19
; %bb.18:
	v_mov_b32_e32 v9, s14
	v_add_co_u32_e32 v10, vcc, s7, v1
	v_addc_co_u32_e32 v11, vcc, 0, v9, vcc
	flat_load_ushort v9, v[10:11] offset:3584
.LBB3101_19:
	s_or_b64 exec, exec, s[0:1]
	v_or_b32_e32 v11, 0x800, v0
	v_cmp_gt_u32_e32 vcc, s33, v11
                                        ; implicit-def: $vgpr10
	s_and_saveexec_b64 s[0:1], vcc
	s_cbranch_execz .LBB3101_21
; %bb.20:
	v_lshlrev_b32_e32 v10, 1, v11
	v_mov_b32_e32 v11, s14
	v_add_co_u32_e32 v10, vcc, s7, v10
	v_addc_co_u32_e32 v11, vcc, 0, v11, vcc
	flat_load_ushort v10, v[10:11]
.LBB3101_21:
	s_or_b64 exec, exec, s[0:1]
	v_or_b32_e32 v12, 0x900, v0
	v_cmp_gt_u32_e32 vcc, s33, v12
                                        ; implicit-def: $vgpr11
	s_and_saveexec_b64 s[0:1], vcc
	s_cbranch_execz .LBB3101_23
; %bb.22:
	v_lshlrev_b32_e32 v11, 1, v12
	v_mov_b32_e32 v13, s14
	v_add_co_u32_e32 v12, vcc, s7, v11
	v_addc_co_u32_e32 v13, vcc, 0, v13, vcc
	flat_load_ushort v11, v[12:13]
.LBB3101_23:
	s_or_b64 exec, exec, s[0:1]
	v_or_b32_e32 v13, 0xa00, v0
	v_cmp_gt_u32_e32 vcc, s33, v13
                                        ; implicit-def: $vgpr12
	s_and_saveexec_b64 s[0:1], vcc
	s_cbranch_execz .LBB3101_25
; %bb.24:
	v_lshlrev_b32_e32 v12, 1, v13
	v_mov_b32_e32 v13, s14
	v_add_co_u32_e32 v12, vcc, s7, v12
	v_addc_co_u32_e32 v13, vcc, 0, v13, vcc
	flat_load_ushort v12, v[12:13]
.LBB3101_25:
	s_or_b64 exec, exec, s[0:1]
	v_or_b32_e32 v14, 0xb00, v0
	v_cmp_gt_u32_e32 vcc, s33, v14
                                        ; implicit-def: $vgpr13
	s_and_saveexec_b64 s[0:1], vcc
	s_cbranch_execz .LBB3101_27
; %bb.26:
	v_lshlrev_b32_e32 v13, 1, v14
	v_mov_b32_e32 v15, s14
	v_add_co_u32_e32 v14, vcc, s7, v13
	v_addc_co_u32_e32 v15, vcc, 0, v15, vcc
	flat_load_ushort v13, v[14:15]
.LBB3101_27:
	s_or_b64 exec, exec, s[0:1]
	v_or_b32_e32 v15, 0xc00, v0
	v_cmp_gt_u32_e32 vcc, s33, v15
                                        ; implicit-def: $vgpr14
	s_and_saveexec_b64 s[0:1], vcc
	s_cbranch_execz .LBB3101_29
; %bb.28:
	v_lshlrev_b32_e32 v14, 1, v15
	v_mov_b32_e32 v15, s14
	v_add_co_u32_e32 v14, vcc, s7, v14
	v_addc_co_u32_e32 v15, vcc, 0, v15, vcc
	flat_load_ushort v14, v[14:15]
.LBB3101_29:
	s_or_b64 exec, exec, s[0:1]
	v_or_b32_e32 v16, 0xd00, v0
	v_cmp_gt_u32_e32 vcc, s33, v16
                                        ; implicit-def: $vgpr15
	s_and_saveexec_b64 s[0:1], vcc
	s_cbranch_execz .LBB3101_31
; %bb.30:
	v_lshlrev_b32_e32 v15, 1, v16
	v_mov_b32_e32 v17, s14
	v_add_co_u32_e32 v16, vcc, s7, v15
	v_addc_co_u32_e32 v17, vcc, 0, v17, vcc
	flat_load_ushort v15, v[16:17]
.LBB3101_31:
	s_or_b64 exec, exec, s[0:1]
	v_or_b32_e32 v17, 0xe00, v0
	v_cmp_gt_u32_e32 vcc, s33, v17
                                        ; implicit-def: $vgpr16
	s_and_saveexec_b64 s[0:1], vcc
	s_cbranch_execz .LBB3101_33
; %bb.32:
	v_lshlrev_b32_e32 v16, 1, v17
	v_mov_b32_e32 v17, s14
	v_add_co_u32_e32 v16, vcc, s7, v16
	v_addc_co_u32_e32 v17, vcc, 0, v17, vcc
	flat_load_ushort v16, v[16:17]
.LBB3101_33:
	s_or_b64 exec, exec, s[0:1]
	v_or_b32_e32 v18, 0xf00, v0
	v_cmp_gt_u32_e32 vcc, s33, v18
                                        ; implicit-def: $vgpr17
	s_and_saveexec_b64 s[0:1], vcc
	s_cbranch_execz .LBB3101_35
; %bb.34:
	v_lshlrev_b32_e32 v17, 1, v18
	v_mov_b32_e32 v19, s14
	v_add_co_u32_e32 v18, vcc, s7, v17
	v_addc_co_u32_e32 v19, vcc, 0, v19, vcc
	flat_load_ushort v17, v[18:19]
.LBB3101_35:
	s_or_b64 exec, exec, s[0:1]
	v_or_b32_e32 v19, 0x1000, v0
	v_cmp_gt_u32_e32 vcc, s33, v19
                                        ; implicit-def: $vgpr18
	s_and_saveexec_b64 s[0:1], vcc
	s_cbranch_execz .LBB3101_37
; %bb.36:
	v_lshlrev_b32_e32 v18, 1, v19
	v_mov_b32_e32 v19, s14
	v_add_co_u32_e32 v18, vcc, s7, v18
	v_addc_co_u32_e32 v19, vcc, 0, v19, vcc
	flat_load_ushort v18, v[18:19]
.LBB3101_37:
	s_or_b64 exec, exec, s[0:1]
	v_or_b32_e32 v20, 0x1100, v0
	v_cmp_gt_u32_e32 vcc, s33, v20
                                        ; implicit-def: $vgpr19
	s_and_saveexec_b64 s[0:1], vcc
	s_cbranch_execz .LBB3101_39
; %bb.38:
	v_lshlrev_b32_e32 v19, 1, v20
	v_mov_b32_e32 v21, s14
	v_add_co_u32_e32 v20, vcc, s7, v19
	v_addc_co_u32_e32 v21, vcc, 0, v21, vcc
	flat_load_ushort v19, v[20:21]
.LBB3101_39:
	s_or_b64 exec, exec, s[0:1]
	v_or_b32_e32 v21, 0x1200, v0
	v_cmp_gt_u32_e32 vcc, s33, v21
                                        ; implicit-def: $vgpr20
	s_and_saveexec_b64 s[0:1], vcc
	s_cbranch_execz .LBB3101_41
; %bb.40:
	v_lshlrev_b32_e32 v20, 1, v21
	v_mov_b32_e32 v21, s14
	v_add_co_u32_e32 v20, vcc, s7, v20
	v_addc_co_u32_e32 v21, vcc, 0, v21, vcc
	flat_load_ushort v20, v[20:21]
.LBB3101_41:
	s_or_b64 exec, exec, s[0:1]
	v_or_b32_e32 v22, 0x1300, v0
	v_cmp_gt_u32_e32 vcc, s33, v22
                                        ; implicit-def: $vgpr21
	s_and_saveexec_b64 s[0:1], vcc
	s_cbranch_execz .LBB3101_43
; %bb.42:
	v_lshlrev_b32_e32 v21, 1, v22
	v_mov_b32_e32 v23, s14
	v_add_co_u32_e32 v22, vcc, s7, v21
	v_addc_co_u32_e32 v23, vcc, 0, v23, vcc
	flat_load_ushort v21, v[22:23]
.LBB3101_43:
	s_or_b64 exec, exec, s[0:1]
	s_waitcnt vmcnt(0) lgkmcnt(0)
	ds_write_b16 v1, v2
	ds_write_b16 v1, v3 offset:512
	ds_write_b16 v1, v4 offset:1024
	;; [unrolled: 1-line block ×19, first 2 shown]
	s_waitcnt lgkmcnt(0)
	s_barrier
.LBB3101_44:
	v_mul_u32_u24_e32 v26, 20, v0
	v_lshlrev_b32_e32 v6, 1, v26
	s_waitcnt lgkmcnt(0)
	ds_read_b64 v[10:11], v6 offset:32
	ds_read2_b64 v[2:5], v6 offset0:2 offset1:3
	ds_read2_b64 v[6:9], v6 offset1:1
	s_add_u32 s0, s2, s8
	s_addc_u32 s1, s3, s9
	s_add_u32 s0, s0, s10
	s_addc_u32 s1, s1, s11
	s_mov_b64 s[2:3], -1
	s_and_b64 vcc, exec, s[26:27]
	s_waitcnt lgkmcnt(0)
	s_barrier
	s_cbranch_vccz .LBB3101_46
; %bb.45:
	v_mov_b32_e32 v12, s1
	v_add_co_u32_e32 v14, vcc, s0, v1
	s_movk_i32 s2, 0x1000
	v_addc_co_u32_e32 v15, vcc, 0, v12, vcc
	v_add_co_u32_e32 v12, vcc, s2, v14
	s_movk_i32 s3, 0x2000
	v_addc_co_u32_e32 v13, vcc, 0, v15, vcc
	global_load_ubyte v16, v1, s[0:1]
	global_load_ubyte v17, v1, s[0:1] offset:512
	global_load_ubyte v18, v1, s[0:1] offset:1024
	;; [unrolled: 1-line block ×7, first 2 shown]
	v_add_co_u32_e32 v14, vcc, s3, v14
	v_addc_co_u32_e32 v15, vcc, 0, v15, vcc
	global_load_ubyte v24, v[14:15], off offset:-4096
	global_load_ubyte v25, v[12:13], off offset:512
	global_load_ubyte v27, v[12:13], off offset:1024
	;; [unrolled: 1-line block ×7, first 2 shown]
	global_load_ubyte v33, v[14:15], off
	global_load_ubyte v34, v[14:15], off offset:512
	global_load_ubyte v35, v[14:15], off offset:1024
	;; [unrolled: 1-line block ×3, first 2 shown]
	s_mov_b64 s[2:3], 0
	s_waitcnt vmcnt(19)
	v_xor_b32_e32 v12, -1, v16
	s_waitcnt vmcnt(18)
	v_xor_b32_e32 v13, -1, v17
	s_waitcnt vmcnt(17)
	v_xor_b32_e32 v14, -1, v18
	s_waitcnt vmcnt(16)
	v_xor_b32_e32 v15, -1, v19
	s_waitcnt vmcnt(15)
	v_xor_b32_e32 v16, -1, v20
	s_waitcnt vmcnt(14)
	v_xor_b32_e32 v17, -1, v21
	s_waitcnt vmcnt(13)
	v_xor_b32_e32 v18, -1, v22
	s_waitcnt vmcnt(12)
	v_xor_b32_e32 v19, -1, v23
	v_and_b32_e32 v12, 1, v12
	v_and_b32_e32 v13, 1, v13
	v_and_b32_e32 v14, 1, v14
	v_and_b32_e32 v15, 1, v15
	v_and_b32_e32 v16, 1, v16
	v_and_b32_e32 v17, 1, v17
	v_and_b32_e32 v18, 1, v18
	v_and_b32_e32 v19, 1, v19
	ds_write_b8 v0, v12
	ds_write_b8 v0, v13 offset:256
	ds_write_b8 v0, v14 offset:512
	;; [unrolled: 1-line block ×7, first 2 shown]
	s_waitcnt vmcnt(11)
	v_xor_b32_e32 v12, -1, v24
	s_waitcnt vmcnt(10)
	v_xor_b32_e32 v13, -1, v25
	;; [unrolled: 2-line block ×12, first 2 shown]
	v_and_b32_e32 v12, 1, v12
	v_and_b32_e32 v13, 1, v13
	;; [unrolled: 1-line block ×12, first 2 shown]
	ds_write_b8 v0, v12 offset:2048
	ds_write_b8 v0, v13 offset:2304
	;; [unrolled: 1-line block ×12, first 2 shown]
	s_waitcnt lgkmcnt(0)
	s_barrier
.LBB3101_46:
	s_load_dwordx2 s[28:29], s[4:5], 0x78
	s_andn2_b64 vcc, exec, s[2:3]
	s_cbranch_vccnz .LBB3101_88
; %bb.47:
	v_cmp_gt_u32_e32 vcc, s33, v0
	v_mov_b32_e32 v12, 0
	v_mov_b32_e32 v13, 0
	s_and_saveexec_b64 s[2:3], vcc
	s_cbranch_execz .LBB3101_49
; %bb.48:
	global_load_ubyte v13, v1, s[0:1]
	s_waitcnt vmcnt(0)
	v_xor_b32_e32 v13, -1, v13
	v_and_b32_e32 v13, 1, v13
.LBB3101_49:
	s_or_b64 exec, exec, s[2:3]
	v_or_b32_e32 v14, 0x100, v0
	v_cmp_gt_u32_e32 vcc, s33, v14
	s_and_saveexec_b64 s[2:3], vcc
	s_cbranch_execz .LBB3101_51
; %bb.50:
	global_load_ubyte v12, v1, s[0:1] offset:512
	s_waitcnt vmcnt(0)
	v_xor_b32_e32 v12, -1, v12
	v_and_b32_e32 v12, 1, v12
.LBB3101_51:
	s_or_b64 exec, exec, s[2:3]
	v_or_b32_e32 v14, 0x200, v0
	v_cmp_gt_u32_e32 vcc, s33, v14
	v_mov_b32_e32 v14, 0
	v_mov_b32_e32 v15, 0
	s_and_saveexec_b64 s[2:3], vcc
	s_cbranch_execz .LBB3101_53
; %bb.52:
	global_load_ubyte v15, v1, s[0:1] offset:1024
	s_waitcnt vmcnt(0)
	v_xor_b32_e32 v15, -1, v15
	v_and_b32_e32 v15, 1, v15
.LBB3101_53:
	s_or_b64 exec, exec, s[2:3]
	v_or_b32_e32 v16, 0x300, v0
	v_cmp_gt_u32_e32 vcc, s33, v16
	s_and_saveexec_b64 s[2:3], vcc
	s_cbranch_execz .LBB3101_55
; %bb.54:
	global_load_ubyte v14, v1, s[0:1] offset:1536
	s_waitcnt vmcnt(0)
	v_xor_b32_e32 v14, -1, v14
	v_and_b32_e32 v14, 1, v14
.LBB3101_55:
	s_or_b64 exec, exec, s[2:3]
	v_or_b32_e32 v16, 0x400, v0
	v_cmp_gt_u32_e32 vcc, s33, v16
	v_mov_b32_e32 v16, 0
	v_mov_b32_e32 v17, 0
	s_and_saveexec_b64 s[2:3], vcc
	s_cbranch_execz .LBB3101_57
; %bb.56:
	global_load_ubyte v17, v1, s[0:1] offset:2048
	s_waitcnt vmcnt(0)
	v_xor_b32_e32 v17, -1, v17
	v_and_b32_e32 v17, 1, v17
.LBB3101_57:
	;; [unrolled: 24-line block ×3, first 2 shown]
	s_or_b64 exec, exec, s[2:3]
	v_or_b32_e32 v20, 0x700, v0
	v_cmp_gt_u32_e32 vcc, s33, v20
	s_and_saveexec_b64 s[2:3], vcc
	s_cbranch_execz .LBB3101_63
; %bb.62:
	global_load_ubyte v18, v1, s[0:1] offset:3584
	s_waitcnt vmcnt(0)
	v_xor_b32_e32 v18, -1, v18
	v_and_b32_e32 v18, 1, v18
.LBB3101_63:
	s_or_b64 exec, exec, s[2:3]
	v_or_b32_e32 v22, 0x800, v0
	v_cmp_gt_u32_e32 vcc, s33, v22
	v_mov_b32_e32 v20, 0
	v_mov_b32_e32 v21, 0
	s_and_saveexec_b64 s[2:3], vcc
	s_cbranch_execz .LBB3101_65
; %bb.64:
	v_lshlrev_b32_e32 v21, 1, v22
	global_load_ubyte v21, v21, s[0:1]
	s_waitcnt vmcnt(0)
	v_xor_b32_e32 v21, -1, v21
	v_and_b32_e32 v21, 1, v21
.LBB3101_65:
	s_or_b64 exec, exec, s[2:3]
	v_or_b32_e32 v22, 0x900, v0
	v_cmp_gt_u32_e32 vcc, s33, v22
	s_and_saveexec_b64 s[2:3], vcc
	s_cbranch_execz .LBB3101_67
; %bb.66:
	v_lshlrev_b32_e32 v20, 1, v22
	global_load_ubyte v20, v20, s[0:1]
	s_waitcnt vmcnt(0)
	v_xor_b32_e32 v20, -1, v20
	v_and_b32_e32 v20, 1, v20
.LBB3101_67:
	s_or_b64 exec, exec, s[2:3]
	v_or_b32_e32 v24, 0xa00, v0
	v_cmp_gt_u32_e32 vcc, s33, v24
	v_mov_b32_e32 v22, 0
	v_mov_b32_e32 v23, 0
	s_and_saveexec_b64 s[2:3], vcc
	s_cbranch_execz .LBB3101_69
; %bb.68:
	v_lshlrev_b32_e32 v23, 1, v24
	global_load_ubyte v23, v23, s[0:1]
	s_waitcnt vmcnt(0)
	v_xor_b32_e32 v23, -1, v23
	v_and_b32_e32 v23, 1, v23
.LBB3101_69:
	s_or_b64 exec, exec, s[2:3]
	v_or_b32_e32 v24, 0xb00, v0
	v_cmp_gt_u32_e32 vcc, s33, v24
	s_and_saveexec_b64 s[2:3], vcc
	s_cbranch_execz .LBB3101_71
; %bb.70:
	v_lshlrev_b32_e32 v22, 1, v24
	global_load_ubyte v22, v22, s[0:1]
	s_waitcnt vmcnt(0)
	v_xor_b32_e32 v22, -1, v22
	v_and_b32_e32 v22, 1, v22
.LBB3101_71:
	;; [unrolled: 26-line block ×6, first 2 shown]
	s_or_b64 exec, exec, s[2:3]
	ds_write_b8 v0, v13
	ds_write_b8 v0, v12 offset:256
	ds_write_b8 v0, v15 offset:512
	ds_write_b8 v0, v14 offset:768
	ds_write_b8 v0, v17 offset:1024
	ds_write_b8 v0, v16 offset:1280
	ds_write_b8 v0, v19 offset:1536
	ds_write_b8 v0, v18 offset:1792
	ds_write_b8 v0, v21 offset:2048
	ds_write_b8 v0, v20 offset:2304
	ds_write_b8 v0, v23 offset:2560
	ds_write_b8 v0, v22 offset:2816
	ds_write_b8 v0, v25 offset:3072
	ds_write_b8 v0, v24 offset:3328
	ds_write_b8 v0, v28 offset:3584
	ds_write_b8 v0, v27 offset:3840
	ds_write_b8 v0, v30 offset:4096
	ds_write_b8 v0, v29 offset:4352
	ds_write_b8 v0, v32 offset:4608
	ds_write_b8 v0, v31 offset:4864
	s_waitcnt lgkmcnt(0)
	s_barrier
.LBB3101_88:
	s_waitcnt lgkmcnt(0)
	ds_read2_b32 v[18:19], v26 offset1:1
	ds_read2_b32 v[16:17], v26 offset0:2 offset1:3
	ds_read_b32 v28, v26 offset:16
	s_cmp_lg_u32 s6, 0
	v_lshrrev_b32_e32 v47, 6, v0
	s_waitcnt lgkmcnt(2)
	v_lshrrev_b32_e32 v33, 24, v18
	v_bfe_u32 v45, v18, 16, 8
	v_add_u32_sdwa v12, v18, v18 dst_sel:DWORD dst_unused:UNUSED_PAD src0_sel:BYTE_1 src1_sel:BYTE_0
	v_and_b32_e32 v42, 0xff, v19
	v_bfe_u32 v43, v19, 8, 8
	v_add3_u32 v12, v12, v45, v33
	v_lshrrev_b32_e32 v32, 24, v19
	v_bfe_u32 v44, v19, 16, 8
	v_add3_u32 v12, v12, v42, v43
	s_waitcnt lgkmcnt(1)
	v_and_b32_e32 v39, 0xff, v16
	v_bfe_u32 v40, v16, 8, 8
	v_add3_u32 v12, v12, v44, v32
	v_lshrrev_b32_e32 v31, 24, v16
	v_bfe_u32 v41, v16, 16, 8
	v_add3_u32 v12, v12, v39, v40
	v_and_b32_e32 v36, 0xff, v17
	v_bfe_u32 v37, v17, 8, 8
	v_add3_u32 v12, v12, v41, v31
	v_lshrrev_b32_e32 v30, 24, v17
	v_bfe_u32 v38, v17, 16, 8
	v_add3_u32 v12, v12, v36, v37
	s_waitcnt lgkmcnt(0)
	v_and_b32_e32 v34, 0xff, v28
	v_bfe_u32 v35, v28, 8, 8
	v_add3_u32 v12, v12, v38, v30
	v_lshrrev_b32_e32 v27, 24, v28
	v_bfe_u32 v29, v28, 16, 8
	v_add3_u32 v12, v12, v34, v35
	v_add3_u32 v48, v12, v29, v27
	v_mbcnt_lo_u32_b32 v12, -1, 0
	v_mbcnt_hi_u32_b32 v46, -1, v12
	v_and_b32_e32 v12, 15, v46
	v_cmp_eq_u32_e64 s[14:15], 0, v12
	v_cmp_lt_u32_e64 s[12:13], 1, v12
	v_cmp_lt_u32_e64 s[10:11], 3, v12
	;; [unrolled: 1-line block ×3, first 2 shown]
	v_and_b32_e32 v12, 16, v46
	v_cmp_eq_u32_e64 s[18:19], 0, v12
	v_or_b32_e32 v12, 63, v0
	v_cmp_lt_u32_e64 s[0:1], 31, v46
	v_cmp_eq_u32_e64 s[2:3], v12, v0
	s_barrier
	s_cbranch_scc0 .LBB3101_115
; %bb.89:
	v_mov_b32_dpp v12, v48 row_shr:1 row_mask:0xf bank_mask:0xf
	v_cndmask_b32_e64 v12, v12, 0, s[14:15]
	v_add_u32_e32 v12, v12, v48
	s_nop 1
	v_mov_b32_dpp v13, v12 row_shr:2 row_mask:0xf bank_mask:0xf
	v_cndmask_b32_e64 v13, 0, v13, s[12:13]
	v_add_u32_e32 v12, v12, v13
	s_nop 1
	;; [unrolled: 4-line block ×4, first 2 shown]
	v_mov_b32_dpp v13, v12 row_bcast:15 row_mask:0xf bank_mask:0xf
	v_cndmask_b32_e64 v13, v13, 0, s[18:19]
	v_add_u32_e32 v12, v12, v13
	s_nop 1
	v_mov_b32_dpp v13, v12 row_bcast:31 row_mask:0xf bank_mask:0xf
	v_cndmask_b32_e64 v13, 0, v13, s[0:1]
	v_add_u32_e32 v12, v12, v13
	s_and_saveexec_b64 s[16:17], s[2:3]
	s_cbranch_execz .LBB3101_91
; %bb.90:
	v_lshlrev_b32_e32 v13, 2, v47
	ds_write_b32 v13, v12
.LBB3101_91:
	s_or_b64 exec, exec, s[16:17]
	v_cmp_gt_u32_e32 vcc, 4, v0
	s_waitcnt lgkmcnt(0)
	s_barrier
	s_and_saveexec_b64 s[16:17], vcc
	s_cbranch_execz .LBB3101_93
; %bb.92:
	v_lshlrev_b32_e32 v13, 2, v0
	ds_read_b32 v14, v13
	v_and_b32_e32 v15, 3, v46
	v_cmp_ne_u32_e32 vcc, 0, v15
	s_waitcnt lgkmcnt(0)
	v_mov_b32_dpp v20, v14 row_shr:1 row_mask:0xf bank_mask:0xf
	v_cndmask_b32_e32 v20, 0, v20, vcc
	v_add_u32_e32 v14, v20, v14
	v_cmp_lt_u32_e32 vcc, 1, v15
	s_nop 0
	v_mov_b32_dpp v20, v14 row_shr:2 row_mask:0xf bank_mask:0xf
	v_cndmask_b32_e32 v15, 0, v20, vcc
	v_add_u32_e32 v14, v14, v15
	ds_write_b32 v13, v14
.LBB3101_93:
	s_or_b64 exec, exec, s[16:17]
	v_cmp_gt_u32_e32 vcc, 64, v0
	v_cmp_lt_u32_e64 s[16:17], 63, v0
	s_waitcnt lgkmcnt(0)
	s_barrier
	s_waitcnt lgkmcnt(0)
                                        ; implicit-def: $vgpr49
	s_and_saveexec_b64 s[30:31], s[16:17]
	s_cbranch_execz .LBB3101_95
; %bb.94:
	v_lshl_add_u32 v13, v47, 2, -4
	ds_read_b32 v49, v13
	s_waitcnt lgkmcnt(0)
	v_add_u32_e32 v12, v49, v12
.LBB3101_95:
	s_or_b64 exec, exec, s[30:31]
	v_add_u32_e32 v13, -1, v46
	v_and_b32_e32 v14, 64, v46
	v_cmp_lt_i32_e64 s[16:17], v13, v14
	v_cndmask_b32_e64 v13, v13, v46, s[16:17]
	v_lshlrev_b32_e32 v13, 2, v13
	ds_bpermute_b32 v50, v13, v12
	v_cmp_eq_u32_e64 s[16:17], 0, v46
	s_and_saveexec_b64 s[30:31], vcc
	s_cbranch_execz .LBB3101_114
; %bb.96:
	v_mov_b32_e32 v23, 0
	ds_read_b32 v12, v23 offset:12
	s_and_saveexec_b64 s[34:35], s[16:17]
	s_cbranch_execz .LBB3101_98
; %bb.97:
	s_add_i32 s36, s6, 64
	s_mov_b32 s37, 0
	s_lshl_b64 s[36:37], s[36:37], 3
	s_add_u32 s36, s28, s36
	v_mov_b32_e32 v13, 1
	s_addc_u32 s37, s29, s37
	s_waitcnt lgkmcnt(0)
	global_store_dwordx2 v23, v[12:13], s[36:37]
.LBB3101_98:
	s_or_b64 exec, exec, s[34:35]
	v_xad_u32 v14, v46, -1, s6
	v_add_u32_e32 v22, 64, v14
	v_lshlrev_b64 v[20:21], 3, v[22:23]
	v_mov_b32_e32 v13, s29
	v_add_co_u32_e32 v24, vcc, s28, v20
	v_addc_co_u32_e32 v25, vcc, v13, v21, vcc
	global_load_dwordx2 v[20:21], v[24:25], off glc
	s_waitcnt vmcnt(0)
	v_cmp_eq_u16_sdwa s[36:37], v21, v23 src0_sel:BYTE_0 src1_sel:DWORD
	s_and_saveexec_b64 s[34:35], s[36:37]
	s_cbranch_execz .LBB3101_102
; %bb.99:
	s_mov_b64 s[36:37], 0
	v_mov_b32_e32 v13, 0
.LBB3101_100:                           ; =>This Inner Loop Header: Depth=1
	global_load_dwordx2 v[20:21], v[24:25], off glc
	s_waitcnt vmcnt(0)
	v_cmp_ne_u16_sdwa s[38:39], v21, v13 src0_sel:BYTE_0 src1_sel:DWORD
	s_or_b64 s[36:37], s[38:39], s[36:37]
	s_andn2_b64 exec, exec, s[36:37]
	s_cbranch_execnz .LBB3101_100
; %bb.101:
	s_or_b64 exec, exec, s[36:37]
.LBB3101_102:
	s_or_b64 exec, exec, s[34:35]
	v_and_b32_e32 v52, 63, v46
	v_mov_b32_e32 v51, 2
	v_cmp_ne_u32_e32 vcc, 63, v52
	v_cmp_eq_u16_sdwa s[34:35], v21, v51 src0_sel:BYTE_0 src1_sel:DWORD
	v_lshlrev_b64 v[22:23], v46, -1
	v_addc_co_u32_e32 v24, vcc, 0, v46, vcc
	v_and_b32_e32 v13, s35, v23
	v_lshlrev_b32_e32 v53, 2, v24
	v_or_b32_e32 v13, 0x80000000, v13
	ds_bpermute_b32 v24, v53, v20
	v_and_b32_e32 v15, s34, v22
	v_ffbl_b32_e32 v13, v13
	v_add_u32_e32 v13, 32, v13
	v_ffbl_b32_e32 v15, v15
	v_min_u32_e32 v13, v15, v13
	v_cmp_lt_u32_e32 vcc, v52, v13
	s_waitcnt lgkmcnt(0)
	v_cndmask_b32_e32 v15, 0, v24, vcc
	v_cmp_gt_u32_e32 vcc, 62, v52
	v_add_u32_e32 v15, v15, v20
	v_cndmask_b32_e64 v20, 0, 1, vcc
	v_lshlrev_b32_e32 v20, 1, v20
	v_add_lshl_u32 v54, v20, v46, 2
	ds_bpermute_b32 v20, v54, v15
	v_add_u32_e32 v55, 2, v52
	v_cmp_le_u32_e32 vcc, v55, v13
	v_add_u32_e32 v57, 4, v52
	v_add_u32_e32 v59, 8, v52
	s_waitcnt lgkmcnt(0)
	v_cndmask_b32_e32 v20, 0, v20, vcc
	v_cmp_gt_u32_e32 vcc, 60, v52
	v_add_u32_e32 v15, v15, v20
	v_cndmask_b32_e64 v20, 0, 1, vcc
	v_lshlrev_b32_e32 v20, 2, v20
	v_add_lshl_u32 v56, v20, v46, 2
	ds_bpermute_b32 v20, v56, v15
	v_cmp_le_u32_e32 vcc, v57, v13
	v_add_u32_e32 v61, 16, v52
	v_add_u32_e32 v63, 32, v52
	s_waitcnt lgkmcnt(0)
	v_cndmask_b32_e32 v20, 0, v20, vcc
	v_cmp_gt_u32_e32 vcc, 56, v52
	v_add_u32_e32 v15, v15, v20
	v_cndmask_b32_e64 v20, 0, 1, vcc
	v_lshlrev_b32_e32 v20, 3, v20
	v_add_lshl_u32 v58, v20, v46, 2
	ds_bpermute_b32 v20, v58, v15
	v_cmp_le_u32_e32 vcc, v59, v13
	s_waitcnt lgkmcnt(0)
	v_cndmask_b32_e32 v20, 0, v20, vcc
	v_cmp_gt_u32_e32 vcc, 48, v52
	v_add_u32_e32 v15, v15, v20
	v_cndmask_b32_e64 v20, 0, 1, vcc
	v_lshlrev_b32_e32 v20, 4, v20
	v_add_lshl_u32 v60, v20, v46, 2
	ds_bpermute_b32 v20, v60, v15
	v_cmp_le_u32_e32 vcc, v61, v13
	;; [unrolled: 9-line block ×3, first 2 shown]
	s_waitcnt lgkmcnt(0)
	v_cndmask_b32_e32 v13, 0, v20, vcc
	v_add_u32_e32 v20, v15, v13
	v_mov_b32_e32 v15, 0
	s_branch .LBB3101_104
.LBB3101_103:                           ;   in Loop: Header=BB3101_104 Depth=1
	s_or_b64 exec, exec, s[34:35]
	v_cmp_eq_u16_sdwa s[34:35], v21, v51 src0_sel:BYTE_0 src1_sel:DWORD
	v_and_b32_e32 v24, s35, v23
	v_or_b32_e32 v24, 0x80000000, v24
	ds_bpermute_b32 v64, v53, v20
	v_and_b32_e32 v25, s34, v22
	v_ffbl_b32_e32 v24, v24
	v_add_u32_e32 v24, 32, v24
	v_ffbl_b32_e32 v25, v25
	v_min_u32_e32 v24, v25, v24
	v_cmp_lt_u32_e32 vcc, v52, v24
	s_waitcnt lgkmcnt(0)
	v_cndmask_b32_e32 v25, 0, v64, vcc
	v_add_u32_e32 v20, v25, v20
	ds_bpermute_b32 v25, v54, v20
	v_cmp_le_u32_e32 vcc, v55, v24
	v_subrev_u32_e32 v14, 64, v14
	s_waitcnt lgkmcnt(0)
	v_cndmask_b32_e32 v25, 0, v25, vcc
	v_add_u32_e32 v20, v20, v25
	ds_bpermute_b32 v25, v56, v20
	v_cmp_le_u32_e32 vcc, v57, v24
	s_waitcnt lgkmcnt(0)
	v_cndmask_b32_e32 v25, 0, v25, vcc
	v_add_u32_e32 v20, v20, v25
	ds_bpermute_b32 v25, v58, v20
	v_cmp_le_u32_e32 vcc, v59, v24
	;; [unrolled: 5-line block ×4, first 2 shown]
	s_waitcnt lgkmcnt(0)
	v_cndmask_b32_e32 v24, 0, v25, vcc
	v_add3_u32 v20, v24, v13, v20
.LBB3101_104:                           ; =>This Loop Header: Depth=1
                                        ;     Child Loop BB3101_107 Depth 2
	v_cmp_ne_u16_sdwa s[34:35], v21, v51 src0_sel:BYTE_0 src1_sel:DWORD
	v_cndmask_b32_e64 v13, 0, 1, s[34:35]
	;;#ASMSTART
	;;#ASMEND
	v_cmp_ne_u32_e32 vcc, 0, v13
	s_cmp_lg_u64 vcc, exec
	v_mov_b32_e32 v13, v20
	s_cbranch_scc1 .LBB3101_109
; %bb.105:                              ;   in Loop: Header=BB3101_104 Depth=1
	v_lshlrev_b64 v[20:21], 3, v[14:15]
	v_mov_b32_e32 v25, s29
	v_add_co_u32_e32 v24, vcc, s28, v20
	v_addc_co_u32_e32 v25, vcc, v25, v21, vcc
	global_load_dwordx2 v[20:21], v[24:25], off glc
	s_waitcnt vmcnt(0)
	v_cmp_eq_u16_sdwa s[36:37], v21, v15 src0_sel:BYTE_0 src1_sel:DWORD
	s_and_saveexec_b64 s[34:35], s[36:37]
	s_cbranch_execz .LBB3101_103
; %bb.106:                              ;   in Loop: Header=BB3101_104 Depth=1
	s_mov_b64 s[36:37], 0
.LBB3101_107:                           ;   Parent Loop BB3101_104 Depth=1
                                        ; =>  This Inner Loop Header: Depth=2
	global_load_dwordx2 v[20:21], v[24:25], off glc
	s_waitcnt vmcnt(0)
	v_cmp_ne_u16_sdwa s[38:39], v21, v15 src0_sel:BYTE_0 src1_sel:DWORD
	s_or_b64 s[36:37], s[38:39], s[36:37]
	s_andn2_b64 exec, exec, s[36:37]
	s_cbranch_execnz .LBB3101_107
; %bb.108:                              ;   in Loop: Header=BB3101_104 Depth=1
	s_or_b64 exec, exec, s[36:37]
	s_branch .LBB3101_103
.LBB3101_109:                           ;   in Loop: Header=BB3101_104 Depth=1
                                        ; implicit-def: $vgpr20
                                        ; implicit-def: $vgpr21
	s_cbranch_execz .LBB3101_104
; %bb.110:
	s_and_saveexec_b64 s[34:35], s[16:17]
	s_cbranch_execz .LBB3101_112
; %bb.111:
	s_add_i32 s6, s6, 64
	s_mov_b32 s7, 0
	s_lshl_b64 s[6:7], s[6:7], 3
	s_add_u32 s6, s28, s6
	v_add_u32_e32 v14, v13, v12
	v_mov_b32_e32 v15, 2
	s_addc_u32 s7, s29, s7
	v_mov_b32_e32 v20, 0
	global_store_dwordx2 v20, v[14:15], s[6:7]
	ds_write_b64 v20, v[12:13] offset:10240
.LBB3101_112:
	s_or_b64 exec, exec, s[34:35]
	v_cmp_eq_u32_e32 vcc, 0, v0
	s_and_b64 exec, exec, vcc
	s_cbranch_execz .LBB3101_114
; %bb.113:
	v_mov_b32_e32 v12, 0
	ds_write_b32 v12, v13 offset:12
.LBB3101_114:
	s_or_b64 exec, exec, s[30:31]
	v_mov_b32_e32 v12, 0
	s_waitcnt lgkmcnt(0)
	s_barrier
	ds_read_b32 v15, v12 offset:12
	s_waitcnt lgkmcnt(0)
	s_barrier
	ds_read_b64 v[12:13], v12 offset:10240
	v_cndmask_b32_e64 v14, v50, v49, s[16:17]
	v_cmp_ne_u32_e32 vcc, 0, v0
	v_cndmask_b32_e32 v14, 0, v14, vcc
	v_add_u32_e32 v22, v15, v14
	s_waitcnt lgkmcnt(0)
	v_mov_b32_e32 v14, v13
	s_load_dwordx2 s[4:5], s[4:5], 0x30
	s_branch .LBB3101_125
.LBB3101_115:
                                        ; implicit-def: $vgpr14
                                        ; implicit-def: $vgpr12
                                        ; implicit-def: $vgpr22
	s_load_dwordx2 s[4:5], s[4:5], 0x30
	s_cbranch_execz .LBB3101_125
; %bb.116:
	v_mov_b32_dpp v12, v48 row_shr:1 row_mask:0xf bank_mask:0xf
	v_cndmask_b32_e64 v12, v12, 0, s[14:15]
	v_add_u32_e32 v12, v12, v48
	s_nop 1
	v_mov_b32_dpp v13, v12 row_shr:2 row_mask:0xf bank_mask:0xf
	v_cndmask_b32_e64 v13, 0, v13, s[12:13]
	v_add_u32_e32 v12, v12, v13
	s_nop 1
	;; [unrolled: 4-line block ×4, first 2 shown]
	v_mov_b32_dpp v13, v12 row_bcast:15 row_mask:0xf bank_mask:0xf
	v_cndmask_b32_e64 v13, v13, 0, s[18:19]
	v_add_u32_e32 v12, v12, v13
	s_nop 1
	v_mov_b32_dpp v13, v12 row_bcast:31 row_mask:0xf bank_mask:0xf
	v_cndmask_b32_e64 v13, 0, v13, s[0:1]
	v_add_u32_e32 v12, v12, v13
	s_and_saveexec_b64 s[0:1], s[2:3]
	s_cbranch_execz .LBB3101_118
; %bb.117:
	v_lshlrev_b32_e32 v13, 2, v47
	ds_write_b32 v13, v12
.LBB3101_118:
	s_or_b64 exec, exec, s[0:1]
	v_cmp_gt_u32_e32 vcc, 4, v0
	s_waitcnt lgkmcnt(0)
	s_barrier
	s_and_saveexec_b64 s[0:1], vcc
	s_cbranch_execz .LBB3101_120
; %bb.119:
	v_lshlrev_b32_e32 v13, 2, v0
	ds_read_b32 v14, v13
	v_and_b32_e32 v15, 3, v46
	v_cmp_ne_u32_e32 vcc, 0, v15
	s_waitcnt lgkmcnt(0)
	v_mov_b32_dpp v20, v14 row_shr:1 row_mask:0xf bank_mask:0xf
	v_cndmask_b32_e32 v20, 0, v20, vcc
	v_add_u32_e32 v14, v20, v14
	v_cmp_lt_u32_e32 vcc, 1, v15
	s_nop 0
	v_mov_b32_dpp v20, v14 row_shr:2 row_mask:0xf bank_mask:0xf
	v_cndmask_b32_e32 v15, 0, v20, vcc
	v_add_u32_e32 v14, v14, v15
	ds_write_b32 v13, v14
.LBB3101_120:
	s_or_b64 exec, exec, s[0:1]
	v_cmp_lt_u32_e32 vcc, 63, v0
	v_mov_b32_e32 v13, 0
	v_mov_b32_e32 v14, 0
	s_waitcnt lgkmcnt(0)
	s_barrier
	s_and_saveexec_b64 s[0:1], vcc
	s_cbranch_execz .LBB3101_122
; %bb.121:
	v_lshl_add_u32 v14, v47, 2, -4
	ds_read_b32 v14, v14
.LBB3101_122:
	s_or_b64 exec, exec, s[0:1]
	v_add_u32_e32 v15, -1, v46
	v_and_b32_e32 v20, 64, v46
	v_cmp_lt_i32_e32 vcc, v15, v20
	v_cndmask_b32_e32 v15, v15, v46, vcc
	s_waitcnt lgkmcnt(0)
	v_add_u32_e32 v12, v14, v12
	v_lshlrev_b32_e32 v15, 2, v15
	ds_bpermute_b32 v15, v15, v12
	ds_read_b32 v12, v13 offset:12
	v_cmp_eq_u32_e32 vcc, 0, v0
	s_and_saveexec_b64 s[0:1], vcc
	s_cbranch_execz .LBB3101_124
; %bb.123:
	v_mov_b32_e32 v20, 0
	v_mov_b32_e32 v13, 2
	s_waitcnt lgkmcnt(0)
	global_store_dwordx2 v20, v[12:13], s[28:29] offset:512
.LBB3101_124:
	s_or_b64 exec, exec, s[0:1]
	v_cmp_eq_u32_e64 s[0:1], 0, v46
	s_waitcnt lgkmcnt(1)
	v_cndmask_b32_e64 v13, v15, v14, s[0:1]
	v_mov_b32_e32 v14, 0
	v_cndmask_b32_e64 v22, v13, 0, vcc
	s_waitcnt lgkmcnt(0)
	s_barrier
.LBB3101_125:
	v_add_u32_sdwa v24, v22, v18 dst_sel:DWORD dst_unused:UNUSED_PAD src0_sel:DWORD src1_sel:BYTE_0
	v_add_u32_e32 v26, v12, v26
	v_sub_u32_e32 v22, v22, v14
	v_and_b32_e32 v51, 1, v18
	v_sub_u32_e32 v50, v26, v22
	v_cmp_eq_u32_e32 vcc, 1, v51
	v_cndmask_b32_e32 v22, v50, v22, vcc
	v_lshlrev_b32_e32 v22, 1, v22
	v_lshrrev_b32_e32 v23, 8, v18
	ds_write_b16 v22, v6
	v_sub_u32_e32 v22, v24, v14
	v_add_u32_sdwa v25, v24, v18 dst_sel:DWORD dst_unused:UNUSED_PAD src0_sel:DWORD src1_sel:BYTE_1
	v_sub_u32_e32 v24, v26, v22
	v_and_b32_e32 v23, 1, v23
	v_add_u32_e32 v24, 1, v24
	v_cmp_eq_u32_e32 vcc, 1, v23
	v_cndmask_b32_e32 v22, v24, v22, vcc
	v_lshlrev_b32_e32 v22, 1, v22
	ds_write_b16_d16_hi v22, v6
	v_sub_u32_e32 v6, v25, v14
	v_mov_b32_e32 v23, 1
	v_sub_u32_e32 v22, v26, v6
	v_and_b32_sdwa v18, v23, v18 dst_sel:DWORD dst_unused:UNUSED_PAD src0_sel:DWORD src1_sel:WORD_1
	v_add_u32_e32 v22, 2, v22
	v_cmp_eq_u32_e32 vcc, 1, v18
	v_cndmask_b32_e32 v6, v22, v6, vcc
	v_add_u32_e32 v45, v25, v45
	v_lshlrev_b32_e32 v6, 1, v6
	ds_write_b16 v6, v7
	v_sub_u32_e32 v6, v45, v14
	v_sub_u32_e32 v18, v26, v6
	v_and_b32_e32 v22, 1, v33
	v_add_u32_e32 v18, 3, v18
	v_cmp_eq_u32_e32 vcc, 1, v22
	v_cndmask_b32_e32 v6, v18, v6, vcc
	v_add_u32_e32 v46, v45, v33
	v_lshlrev_b32_e32 v6, 1, v6
	ds_write_b16_d16_hi v6, v7
	v_sub_u32_e32 v6, v46, v14
	v_sub_u32_e32 v7, v26, v6
	v_and_b32_e32 v18, 1, v19
	v_add_u32_e32 v7, 4, v7
	v_cmp_eq_u32_e32 vcc, 1, v18
	v_cndmask_b32_e32 v6, v7, v6, vcc
	v_add_u32_e32 v42, v46, v42
	v_lshlrev_b32_e32 v6, 1, v6
	v_lshrrev_b32_e32 v21, 8, v19
	ds_write_b16 v6, v8
	v_sub_u32_e32 v6, v42, v14
	v_sub_u32_e32 v7, v26, v6
	v_and_b32_e32 v18, 1, v21
	v_add_u32_e32 v7, 5, v7
	v_cmp_eq_u32_e32 vcc, 1, v18
	v_cndmask_b32_e32 v6, v7, v6, vcc
	v_add_u32_e32 v43, v42, v43
	v_lshlrev_b32_e32 v6, 1, v6
	ds_write_b16_d16_hi v6, v8
	v_sub_u32_e32 v6, v43, v14
	v_sub_u32_e32 v7, v26, v6
	v_and_b32_sdwa v8, v23, v19 dst_sel:DWORD dst_unused:UNUSED_PAD src0_sel:DWORD src1_sel:WORD_1
	v_add_u32_e32 v7, 6, v7
	v_cmp_eq_u32_e32 vcc, 1, v8
	v_cndmask_b32_e32 v6, v7, v6, vcc
	v_add_u32_e32 v44, v43, v44
	v_lshlrev_b32_e32 v6, 1, v6
	ds_write_b16 v6, v9
	v_sub_u32_e32 v6, v44, v14
	v_sub_u32_e32 v7, v26, v6
	v_and_b32_e32 v8, 1, v32
	v_add_u32_e32 v7, 7, v7
	v_cmp_eq_u32_e32 vcc, 1, v8
	v_cndmask_b32_e32 v6, v7, v6, vcc
	v_add_u32_e32 v47, v44, v32
	v_lshlrev_b32_e32 v6, 1, v6
	ds_write_b16_d16_hi v6, v9
	v_sub_u32_e32 v6, v47, v14
	v_sub_u32_e32 v7, v26, v6
	v_and_b32_e32 v8, 1, v16
	v_add_u32_e32 v7, 8, v7
	v_cmp_eq_u32_e32 vcc, 1, v8
	v_cndmask_b32_e32 v6, v7, v6, vcc
	v_add_u32_e32 v39, v47, v39
	v_lshlrev_b32_e32 v6, 1, v6
	v_lshrrev_b32_e32 v20, 8, v16
	ds_write_b16 v6, v2
	v_sub_u32_e32 v6, v39, v14
	v_sub_u32_e32 v7, v26, v6
	v_and_b32_e32 v8, 1, v20
	v_add_u32_e32 v7, 9, v7
	v_cmp_eq_u32_e32 vcc, 1, v8
	v_cndmask_b32_e32 v6, v7, v6, vcc
	v_add_u32_e32 v40, v39, v40
	v_lshlrev_b32_e32 v6, 1, v6
	ds_write_b16_d16_hi v6, v2
	v_sub_u32_e32 v2, v40, v14
	v_sub_u32_e32 v6, v26, v2
	v_and_b32_sdwa v7, v23, v16 dst_sel:DWORD dst_unused:UNUSED_PAD src0_sel:DWORD src1_sel:WORD_1
	v_add_u32_e32 v6, 10, v6
	v_cmp_eq_u32_e32 vcc, 1, v7
	v_cndmask_b32_e32 v2, v6, v2, vcc
	v_add_u32_e32 v41, v40, v41
	v_lshlrev_b32_e32 v2, 1, v2
	ds_write_b16 v2, v3
	v_sub_u32_e32 v2, v41, v14
	v_sub_u32_e32 v6, v26, v2
	v_and_b32_e32 v7, 1, v31
	v_add_u32_e32 v6, 11, v6
	v_cmp_eq_u32_e32 vcc, 1, v7
	v_cndmask_b32_e32 v2, v6, v2, vcc
	v_add_u32_e32 v48, v41, v31
	v_lshlrev_b32_e32 v2, 1, v2
	ds_write_b16_d16_hi v2, v3
	v_sub_u32_e32 v2, v48, v14
	v_sub_u32_e32 v3, v26, v2
	v_and_b32_e32 v6, 1, v17
	v_add_u32_e32 v3, 12, v3
	v_cmp_eq_u32_e32 vcc, 1, v6
	v_cndmask_b32_e32 v2, v3, v2, vcc
	v_add_u32_e32 v36, v48, v36
	v_lshlrev_b32_e32 v2, 1, v2
	v_lshrrev_b32_e32 v15, 8, v17
	ds_write_b16 v2, v4
	v_sub_u32_e32 v2, v36, v14
	v_sub_u32_e32 v3, v26, v2
	v_and_b32_e32 v6, 1, v15
	v_add_u32_e32 v3, 13, v3
	v_cmp_eq_u32_e32 vcc, 1, v6
	v_cndmask_b32_e32 v2, v3, v2, vcc
	v_add_u32_e32 v37, v36, v37
	v_lshlrev_b32_e32 v2, 1, v2
	ds_write_b16_d16_hi v2, v4
	v_sub_u32_e32 v2, v37, v14
	v_sub_u32_e32 v3, v26, v2
	v_and_b32_sdwa v4, v23, v17 dst_sel:DWORD dst_unused:UNUSED_PAD src0_sel:DWORD src1_sel:WORD_1
	v_add_u32_e32 v3, 14, v3
	v_cmp_eq_u32_e32 vcc, 1, v4
	v_cndmask_b32_e32 v2, v3, v2, vcc
	v_add_u32_e32 v38, v37, v38
	v_lshlrev_b32_e32 v2, 1, v2
	ds_write_b16 v2, v5
	v_sub_u32_e32 v2, v38, v14
	v_sub_u32_e32 v3, v26, v2
	v_and_b32_e32 v4, 1, v30
	v_add_u32_e32 v3, 15, v3
	v_cmp_eq_u32_e32 vcc, 1, v4
	v_cndmask_b32_e32 v2, v3, v2, vcc
	v_add_u32_e32 v49, v38, v30
	v_lshlrev_b32_e32 v2, 1, v2
	ds_write_b16_d16_hi v2, v5
	v_sub_u32_e32 v2, v49, v14
	v_sub_u32_e32 v3, v26, v2
	v_and_b32_e32 v4, 1, v28
	v_add_u32_e32 v3, 16, v3
	v_cmp_eq_u32_e32 vcc, 1, v4
	v_cndmask_b32_e32 v2, v3, v2, vcc
	v_add_u32_e32 v34, v49, v34
	v_lshlrev_b32_e32 v2, 1, v2
	v_lshrrev_b32_e32 v13, 8, v28
	ds_write_b16 v2, v10
	v_sub_u32_e32 v2, v34, v14
	v_sub_u32_e32 v3, v26, v2
	v_and_b32_e32 v4, 1, v13
	v_add_u32_e32 v3, 17, v3
	v_cmp_eq_u32_e32 vcc, 1, v4
	v_cndmask_b32_e32 v2, v3, v2, vcc
	v_add_u32_e32 v35, v34, v35
	v_lshlrev_b32_e32 v2, 1, v2
	ds_write_b16_d16_hi v2, v10
	v_sub_u32_e32 v2, v35, v14
	v_sub_u32_e32 v3, v26, v2
	v_and_b32_sdwa v4, v23, v28 dst_sel:DWORD dst_unused:UNUSED_PAD src0_sel:DWORD src1_sel:WORD_1
	v_add_u32_e32 v3, 18, v3
	v_cmp_eq_u32_e32 vcc, 1, v4
	v_cndmask_b32_e32 v2, v3, v2, vcc
	v_lshlrev_b32_e32 v2, 1, v2
	ds_write_b16 v2, v11
	v_sub_u32_e32 v2, v29, v14
	v_add_u32_e32 v2, v35, v2
	v_sub_u32_e32 v3, v26, v2
	v_and_b32_e32 v4, 1, v27
	v_add_u32_e32 v3, 19, v3
	v_cmp_eq_u32_e32 vcc, 1, v4
	v_cndmask_b32_e32 v2, v3, v2, vcc
	v_lshlrev_b32_e32 v2, 1, v2
	ds_write_b16_d16_hi v2, v11
	s_waitcnt lgkmcnt(0)
	s_barrier
	ds_read_u16 v45, v1
	ds_read_u16 v44, v1 offset:512
	ds_read_u16 v42, v1 offset:1024
	;; [unrolled: 1-line block ×19, first 2 shown]
	v_or_b32_e32 v43, 0x100, v0
	v_or_b32_e32 v41, 0x200, v0
	v_or_b32_e32 v39, 0x300, v0
	v_or_b32_e32 v37, 0x400, v0
	v_or_b32_e32 v36, 0x500, v0
	v_or_b32_e32 v34, 0x600, v0
	v_or_b32_e32 v32, 0x700, v0
	v_or_b32_e32 v29, 0x800, v0
	v_or_b32_e32 v27, 0x900, v0
	v_or_b32_e32 v25, 0xa00, v0
	v_or_b32_e32 v23, 0xb00, v0
	v_or_b32_e32 v21, 0xc00, v0
	v_or_b32_e32 v19, 0xd00, v0
	v_or_b32_e32 v17, 0xe00, v0
	v_or_b32_e32 v13, 0xf00, v0
	v_or_b32_e32 v11, 0x1000, v0
	v_or_b32_e32 v9, 0x1100, v0
	v_or_b32_e32 v7, 0x1200, v0
	s_andn2_b64 vcc, exec, s[26:27]
	v_or_b32_e32 v5, 0x1300, v0
	s_cbranch_vccnz .LBB3101_147
; %bb.126:
	s_lshl_b64 s[0:1], s[22:23], 1
	v_mov_b32_e32 v15, 0
	s_add_u32 s0, s4, s0
	s_addc_u32 s1, s5, s1
	v_lshlrev_b64 v[2:3], 1, v[14:15]
	v_mov_b32_e32 v15, s1
	v_add_co_u32_e32 v2, vcc, s0, v2
	v_addc_co_u32_e32 v3, vcc, v15, v3, vcc
	v_cmp_lt_u32_e32 vcc, v0, v12
	s_and_saveexec_b64 s[0:1], vcc
	s_cbranch_execnz .LBB3101_174
; %bb.127:
	s_or_b64 exec, exec, s[0:1]
	v_cmp_lt_u32_e32 vcc, v43, v12
	s_and_saveexec_b64 s[0:1], vcc
	s_cbranch_execnz .LBB3101_175
.LBB3101_128:
	s_or_b64 exec, exec, s[0:1]
	v_cmp_lt_u32_e32 vcc, v41, v12
	s_and_saveexec_b64 s[0:1], vcc
	s_cbranch_execnz .LBB3101_176
.LBB3101_129:
	s_or_b64 exec, exec, s[0:1]
	v_cmp_lt_u32_e32 vcc, v39, v12
	s_and_saveexec_b64 s[0:1], vcc
	s_cbranch_execnz .LBB3101_177
.LBB3101_130:
	s_or_b64 exec, exec, s[0:1]
	v_cmp_lt_u32_e32 vcc, v37, v12
	s_and_saveexec_b64 s[0:1], vcc
	s_cbranch_execnz .LBB3101_178
.LBB3101_131:
	s_or_b64 exec, exec, s[0:1]
	v_cmp_lt_u32_e32 vcc, v36, v12
	s_and_saveexec_b64 s[0:1], vcc
	s_cbranch_execnz .LBB3101_179
.LBB3101_132:
	s_or_b64 exec, exec, s[0:1]
	v_cmp_lt_u32_e32 vcc, v34, v12
	s_and_saveexec_b64 s[0:1], vcc
	s_cbranch_execnz .LBB3101_180
.LBB3101_133:
	s_or_b64 exec, exec, s[0:1]
	v_cmp_lt_u32_e32 vcc, v32, v12
	s_and_saveexec_b64 s[0:1], vcc
	s_cbranch_execnz .LBB3101_181
.LBB3101_134:
	s_or_b64 exec, exec, s[0:1]
	v_cmp_lt_u32_e32 vcc, v29, v12
	s_and_saveexec_b64 s[0:1], vcc
	s_cbranch_execnz .LBB3101_182
.LBB3101_135:
	s_or_b64 exec, exec, s[0:1]
	v_cmp_lt_u32_e32 vcc, v27, v12
	s_and_saveexec_b64 s[0:1], vcc
	s_cbranch_execnz .LBB3101_183
.LBB3101_136:
	s_or_b64 exec, exec, s[0:1]
	v_cmp_lt_u32_e32 vcc, v25, v12
	s_and_saveexec_b64 s[0:1], vcc
	s_cbranch_execnz .LBB3101_184
.LBB3101_137:
	s_or_b64 exec, exec, s[0:1]
	v_cmp_lt_u32_e32 vcc, v23, v12
	s_and_saveexec_b64 s[0:1], vcc
	s_cbranch_execnz .LBB3101_185
.LBB3101_138:
	s_or_b64 exec, exec, s[0:1]
	v_cmp_lt_u32_e32 vcc, v21, v12
	s_and_saveexec_b64 s[0:1], vcc
	s_cbranch_execnz .LBB3101_186
.LBB3101_139:
	s_or_b64 exec, exec, s[0:1]
	v_cmp_lt_u32_e32 vcc, v19, v12
	s_and_saveexec_b64 s[0:1], vcc
	s_cbranch_execnz .LBB3101_187
.LBB3101_140:
	s_or_b64 exec, exec, s[0:1]
	v_cmp_lt_u32_e32 vcc, v17, v12
	s_and_saveexec_b64 s[0:1], vcc
	s_cbranch_execnz .LBB3101_188
.LBB3101_141:
	s_or_b64 exec, exec, s[0:1]
	v_cmp_lt_u32_e32 vcc, v13, v12
	s_and_saveexec_b64 s[0:1], vcc
	s_cbranch_execnz .LBB3101_189
.LBB3101_142:
	s_or_b64 exec, exec, s[0:1]
	v_cmp_lt_u32_e32 vcc, v11, v12
	s_and_saveexec_b64 s[0:1], vcc
	s_cbranch_execnz .LBB3101_190
.LBB3101_143:
	s_or_b64 exec, exec, s[0:1]
	v_cmp_lt_u32_e32 vcc, v9, v12
	s_and_saveexec_b64 s[0:1], vcc
	s_cbranch_execnz .LBB3101_191
.LBB3101_144:
	s_or_b64 exec, exec, s[0:1]
	v_cmp_lt_u32_e32 vcc, v7, v12
	s_and_saveexec_b64 s[0:1], vcc
	s_cbranch_execz .LBB3101_146
.LBB3101_145:
	v_lshlrev_b32_e32 v15, 1, v7
	v_readfirstlane_b32 s2, v2
	v_readfirstlane_b32 s3, v3
	s_waitcnt lgkmcnt(1)
	s_nop 3
	global_store_short v15, v6, s[2:3]
.LBB3101_146:
	s_or_b64 exec, exec, s[0:1]
	v_cmp_lt_u32_e64 s[0:1], v5, v12
	s_branch .LBB3101_169
.LBB3101_147:
	s_mov_b64 s[0:1], 0
                                        ; implicit-def: $vgpr2_vgpr3
	s_cbranch_execz .LBB3101_169
; %bb.148:
	s_lshl_b64 s[0:1], s[22:23], 1
	v_mov_b32_e32 v15, 0
	s_add_u32 s0, s4, s0
	s_addc_u32 s1, s5, s1
	v_lshlrev_b64 v[2:3], 1, v[14:15]
	v_mov_b32_e32 v15, s1
	v_add_co_u32_e32 v2, vcc, s0, v2
	v_min_u32_e32 v46, s33, v12
	v_addc_co_u32_e32 v3, vcc, v15, v3, vcc
	v_cmp_gt_u32_e32 vcc, v46, v0
	s_and_saveexec_b64 s[0:1], vcc
	s_cbranch_execnz .LBB3101_192
; %bb.149:
	s_or_b64 exec, exec, s[0:1]
	v_cmp_lt_u32_e32 vcc, v43, v46
	s_and_saveexec_b64 s[0:1], vcc
	s_cbranch_execnz .LBB3101_193
.LBB3101_150:
	s_or_b64 exec, exec, s[0:1]
	v_cmp_lt_u32_e32 vcc, v41, v46
	s_and_saveexec_b64 s[0:1], vcc
	s_cbranch_execnz .LBB3101_194
.LBB3101_151:
	s_or_b64 exec, exec, s[0:1]
	v_cmp_lt_u32_e32 vcc, v39, v46
	s_and_saveexec_b64 s[0:1], vcc
	s_cbranch_execnz .LBB3101_195
.LBB3101_152:
	s_or_b64 exec, exec, s[0:1]
	v_cmp_lt_u32_e32 vcc, v37, v46
	s_and_saveexec_b64 s[0:1], vcc
	s_cbranch_execnz .LBB3101_196
.LBB3101_153:
	s_or_b64 exec, exec, s[0:1]
	v_cmp_lt_u32_e32 vcc, v36, v46
	s_and_saveexec_b64 s[0:1], vcc
	s_cbranch_execnz .LBB3101_197
.LBB3101_154:
	s_or_b64 exec, exec, s[0:1]
	v_cmp_lt_u32_e32 vcc, v34, v46
	s_and_saveexec_b64 s[0:1], vcc
	s_cbranch_execnz .LBB3101_198
.LBB3101_155:
	s_or_b64 exec, exec, s[0:1]
	v_cmp_lt_u32_e32 vcc, v32, v46
	s_and_saveexec_b64 s[0:1], vcc
	s_cbranch_execnz .LBB3101_199
.LBB3101_156:
	s_or_b64 exec, exec, s[0:1]
	v_cmp_lt_u32_e32 vcc, v29, v46
	s_and_saveexec_b64 s[0:1], vcc
	s_cbranch_execnz .LBB3101_200
.LBB3101_157:
	s_or_b64 exec, exec, s[0:1]
	v_cmp_lt_u32_e32 vcc, v27, v46
	s_and_saveexec_b64 s[0:1], vcc
	s_cbranch_execnz .LBB3101_201
.LBB3101_158:
	s_or_b64 exec, exec, s[0:1]
	v_cmp_lt_u32_e32 vcc, v25, v46
	s_and_saveexec_b64 s[0:1], vcc
	s_cbranch_execnz .LBB3101_202
.LBB3101_159:
	s_or_b64 exec, exec, s[0:1]
	v_cmp_lt_u32_e32 vcc, v23, v46
	s_and_saveexec_b64 s[0:1], vcc
	s_cbranch_execnz .LBB3101_203
.LBB3101_160:
	s_or_b64 exec, exec, s[0:1]
	v_cmp_lt_u32_e32 vcc, v21, v46
	s_and_saveexec_b64 s[0:1], vcc
	s_cbranch_execnz .LBB3101_204
.LBB3101_161:
	s_or_b64 exec, exec, s[0:1]
	v_cmp_lt_u32_e32 vcc, v19, v46
	s_and_saveexec_b64 s[0:1], vcc
	s_cbranch_execnz .LBB3101_205
.LBB3101_162:
	s_or_b64 exec, exec, s[0:1]
	v_cmp_lt_u32_e32 vcc, v17, v46
	s_and_saveexec_b64 s[0:1], vcc
	s_cbranch_execnz .LBB3101_206
.LBB3101_163:
	s_or_b64 exec, exec, s[0:1]
	v_cmp_lt_u32_e32 vcc, v13, v46
	s_and_saveexec_b64 s[0:1], vcc
	s_cbranch_execnz .LBB3101_207
.LBB3101_164:
	s_or_b64 exec, exec, s[0:1]
	v_cmp_lt_u32_e32 vcc, v11, v46
	s_and_saveexec_b64 s[0:1], vcc
	s_cbranch_execnz .LBB3101_208
.LBB3101_165:
	s_or_b64 exec, exec, s[0:1]
	v_cmp_lt_u32_e32 vcc, v9, v46
	s_and_saveexec_b64 s[0:1], vcc
	s_cbranch_execnz .LBB3101_209
.LBB3101_166:
	s_or_b64 exec, exec, s[0:1]
	v_cmp_lt_u32_e32 vcc, v7, v46
	s_and_saveexec_b64 s[0:1], vcc
	s_cbranch_execz .LBB3101_168
.LBB3101_167:
	v_lshlrev_b32_e32 v1, 1, v7
	v_readfirstlane_b32 s2, v2
	v_readfirstlane_b32 s3, v3
	s_waitcnt lgkmcnt(1)
	s_nop 3
	global_store_short v1, v6, s[2:3]
.LBB3101_168:
	s_or_b64 exec, exec, s[0:1]
	v_cmp_lt_u32_e64 s[0:1], v5, v46
.LBB3101_169:
	s_and_saveexec_b64 s[2:3], s[0:1]
	s_cbranch_execz .LBB3101_171
; %bb.170:
	v_lshlrev_b32_e32 v1, 1, v5
	v_readfirstlane_b32 s0, v2
	v_readfirstlane_b32 s1, v3
	s_waitcnt lgkmcnt(0)
	s_nop 3
	global_store_short v1, v4, s[0:1]
.LBB3101_171:
	s_or_b64 exec, exec, s[2:3]
	v_cmp_eq_u32_e32 vcc, 0, v0
	s_and_b64 s[0:1], vcc, s[24:25]
	s_and_saveexec_b64 s[2:3], s[0:1]
	s_cbranch_execz .LBB3101_173
; %bb.172:
	v_mov_b32_e32 v0, s23
	v_add_co_u32_e32 v1, vcc, s22, v12
	v_addc_co_u32_e32 v3, vcc, 0, v0, vcc
	v_add_co_u32_e32 v0, vcc, v1, v14
	v_mov_b32_e32 v2, 0
	v_addc_co_u32_e32 v1, vcc, 0, v3, vcc
	global_store_dwordx2 v2, v[0:1], s[20:21]
.LBB3101_173:
	s_endpgm
.LBB3101_174:
	v_readfirstlane_b32 s2, v2
	v_readfirstlane_b32 s3, v3
	s_waitcnt lgkmcnt(14)
	s_nop 3
	global_store_short v1, v45, s[2:3]
	s_or_b64 exec, exec, s[0:1]
	v_cmp_lt_u32_e32 vcc, v43, v12
	s_and_saveexec_b64 s[0:1], vcc
	s_cbranch_execz .LBB3101_128
.LBB3101_175:
	v_readfirstlane_b32 s2, v2
	v_readfirstlane_b32 s3, v3
	s_waitcnt lgkmcnt(14)
	s_nop 3
	global_store_short v1, v44, s[2:3] offset:512
	s_or_b64 exec, exec, s[0:1]
	v_cmp_lt_u32_e32 vcc, v41, v12
	s_and_saveexec_b64 s[0:1], vcc
	s_cbranch_execz .LBB3101_129
.LBB3101_176:
	v_readfirstlane_b32 s2, v2
	v_readfirstlane_b32 s3, v3
	s_waitcnt lgkmcnt(14)
	s_nop 3
	global_store_short v1, v42, s[2:3] offset:1024
	s_or_b64 exec, exec, s[0:1]
	v_cmp_lt_u32_e32 vcc, v39, v12
	s_and_saveexec_b64 s[0:1], vcc
	s_cbranch_execz .LBB3101_130
.LBB3101_177:
	v_readfirstlane_b32 s2, v2
	v_readfirstlane_b32 s3, v3
	s_waitcnt lgkmcnt(14)
	s_nop 3
	global_store_short v1, v40, s[2:3] offset:1536
	s_or_b64 exec, exec, s[0:1]
	v_cmp_lt_u32_e32 vcc, v37, v12
	s_and_saveexec_b64 s[0:1], vcc
	s_cbranch_execz .LBB3101_131
.LBB3101_178:
	v_readfirstlane_b32 s2, v2
	v_readfirstlane_b32 s3, v3
	s_waitcnt lgkmcnt(14)
	s_nop 3
	global_store_short v1, v38, s[2:3] offset:2048
	s_or_b64 exec, exec, s[0:1]
	v_cmp_lt_u32_e32 vcc, v36, v12
	s_and_saveexec_b64 s[0:1], vcc
	s_cbranch_execz .LBB3101_132
.LBB3101_179:
	v_readfirstlane_b32 s2, v2
	v_readfirstlane_b32 s3, v3
	s_waitcnt lgkmcnt(14)
	s_nop 3
	global_store_short v1, v35, s[2:3] offset:2560
	s_or_b64 exec, exec, s[0:1]
	v_cmp_lt_u32_e32 vcc, v34, v12
	s_and_saveexec_b64 s[0:1], vcc
	s_cbranch_execz .LBB3101_133
.LBB3101_180:
	v_readfirstlane_b32 s2, v2
	v_readfirstlane_b32 s3, v3
	s_waitcnt lgkmcnt(13)
	s_nop 3
	global_store_short v1, v33, s[2:3] offset:3072
	s_or_b64 exec, exec, s[0:1]
	v_cmp_lt_u32_e32 vcc, v32, v12
	s_and_saveexec_b64 s[0:1], vcc
	s_cbranch_execz .LBB3101_134
.LBB3101_181:
	v_readfirstlane_b32 s2, v2
	v_readfirstlane_b32 s3, v3
	s_waitcnt lgkmcnt(12)
	s_nop 3
	global_store_short v1, v30, s[2:3] offset:3584
	s_or_b64 exec, exec, s[0:1]
	v_cmp_lt_u32_e32 vcc, v29, v12
	s_and_saveexec_b64 s[0:1], vcc
	s_cbranch_execz .LBB3101_135
.LBB3101_182:
	v_lshlrev_b32_e32 v15, 1, v29
	v_readfirstlane_b32 s2, v2
	v_readfirstlane_b32 s3, v3
	s_waitcnt lgkmcnt(11)
	s_nop 3
	global_store_short v15, v31, s[2:3]
	s_or_b64 exec, exec, s[0:1]
	v_cmp_lt_u32_e32 vcc, v27, v12
	s_and_saveexec_b64 s[0:1], vcc
	s_cbranch_execz .LBB3101_136
.LBB3101_183:
	v_lshlrev_b32_e32 v15, 1, v27
	v_readfirstlane_b32 s2, v2
	v_readfirstlane_b32 s3, v3
	s_waitcnt lgkmcnt(10)
	s_nop 3
	global_store_short v15, v28, s[2:3]
	s_or_b64 exec, exec, s[0:1]
	v_cmp_lt_u32_e32 vcc, v25, v12
	s_and_saveexec_b64 s[0:1], vcc
	s_cbranch_execz .LBB3101_137
.LBB3101_184:
	v_lshlrev_b32_e32 v15, 1, v25
	v_readfirstlane_b32 s2, v2
	v_readfirstlane_b32 s3, v3
	s_waitcnt lgkmcnt(9)
	s_nop 3
	global_store_short v15, v26, s[2:3]
	s_or_b64 exec, exec, s[0:1]
	v_cmp_lt_u32_e32 vcc, v23, v12
	s_and_saveexec_b64 s[0:1], vcc
	s_cbranch_execz .LBB3101_138
.LBB3101_185:
	v_lshlrev_b32_e32 v15, 1, v23
	v_readfirstlane_b32 s2, v2
	v_readfirstlane_b32 s3, v3
	s_waitcnt lgkmcnt(8)
	s_nop 3
	global_store_short v15, v24, s[2:3]
	s_or_b64 exec, exec, s[0:1]
	v_cmp_lt_u32_e32 vcc, v21, v12
	s_and_saveexec_b64 s[0:1], vcc
	s_cbranch_execz .LBB3101_139
.LBB3101_186:
	v_lshlrev_b32_e32 v15, 1, v21
	v_readfirstlane_b32 s2, v2
	v_readfirstlane_b32 s3, v3
	s_waitcnt lgkmcnt(7)
	s_nop 3
	global_store_short v15, v22, s[2:3]
	s_or_b64 exec, exec, s[0:1]
	v_cmp_lt_u32_e32 vcc, v19, v12
	s_and_saveexec_b64 s[0:1], vcc
	s_cbranch_execz .LBB3101_140
.LBB3101_187:
	v_lshlrev_b32_e32 v15, 1, v19
	v_readfirstlane_b32 s2, v2
	v_readfirstlane_b32 s3, v3
	s_waitcnt lgkmcnt(6)
	s_nop 3
	global_store_short v15, v20, s[2:3]
	s_or_b64 exec, exec, s[0:1]
	v_cmp_lt_u32_e32 vcc, v17, v12
	s_and_saveexec_b64 s[0:1], vcc
	s_cbranch_execz .LBB3101_141
.LBB3101_188:
	v_lshlrev_b32_e32 v15, 1, v17
	v_readfirstlane_b32 s2, v2
	v_readfirstlane_b32 s3, v3
	s_waitcnt lgkmcnt(5)
	s_nop 3
	global_store_short v15, v18, s[2:3]
	s_or_b64 exec, exec, s[0:1]
	v_cmp_lt_u32_e32 vcc, v13, v12
	s_and_saveexec_b64 s[0:1], vcc
	s_cbranch_execz .LBB3101_142
.LBB3101_189:
	v_lshlrev_b32_e32 v15, 1, v13
	v_readfirstlane_b32 s2, v2
	v_readfirstlane_b32 s3, v3
	s_waitcnt lgkmcnt(4)
	s_nop 3
	global_store_short v15, v16, s[2:3]
	s_or_b64 exec, exec, s[0:1]
	v_cmp_lt_u32_e32 vcc, v11, v12
	s_and_saveexec_b64 s[0:1], vcc
	s_cbranch_execz .LBB3101_143
.LBB3101_190:
	v_lshlrev_b32_e32 v15, 1, v11
	v_readfirstlane_b32 s2, v2
	v_readfirstlane_b32 s3, v3
	s_waitcnt lgkmcnt(3)
	s_nop 3
	global_store_short v15, v10, s[2:3]
	s_or_b64 exec, exec, s[0:1]
	v_cmp_lt_u32_e32 vcc, v9, v12
	s_and_saveexec_b64 s[0:1], vcc
	s_cbranch_execz .LBB3101_144
.LBB3101_191:
	v_lshlrev_b32_e32 v15, 1, v9
	v_readfirstlane_b32 s2, v2
	v_readfirstlane_b32 s3, v3
	s_waitcnt lgkmcnt(2)
	s_nop 3
	global_store_short v15, v8, s[2:3]
	s_or_b64 exec, exec, s[0:1]
	v_cmp_lt_u32_e32 vcc, v7, v12
	s_and_saveexec_b64 s[0:1], vcc
	s_cbranch_execnz .LBB3101_145
	s_branch .LBB3101_146
.LBB3101_192:
	v_readfirstlane_b32 s2, v2
	v_readfirstlane_b32 s3, v3
	s_waitcnt lgkmcnt(14)
	s_nop 3
	global_store_short v1, v45, s[2:3]
	s_or_b64 exec, exec, s[0:1]
	v_cmp_lt_u32_e32 vcc, v43, v46
	s_and_saveexec_b64 s[0:1], vcc
	s_cbranch_execz .LBB3101_150
.LBB3101_193:
	v_readfirstlane_b32 s2, v2
	v_readfirstlane_b32 s3, v3
	s_waitcnt lgkmcnt(14)
	s_nop 3
	global_store_short v1, v44, s[2:3] offset:512
	s_or_b64 exec, exec, s[0:1]
	v_cmp_lt_u32_e32 vcc, v41, v46
	s_and_saveexec_b64 s[0:1], vcc
	s_cbranch_execz .LBB3101_151
.LBB3101_194:
	v_readfirstlane_b32 s2, v2
	v_readfirstlane_b32 s3, v3
	s_waitcnt lgkmcnt(14)
	s_nop 3
	global_store_short v1, v42, s[2:3] offset:1024
	s_or_b64 exec, exec, s[0:1]
	v_cmp_lt_u32_e32 vcc, v39, v46
	s_and_saveexec_b64 s[0:1], vcc
	s_cbranch_execz .LBB3101_152
.LBB3101_195:
	v_readfirstlane_b32 s2, v2
	v_readfirstlane_b32 s3, v3
	s_waitcnt lgkmcnt(14)
	s_nop 3
	global_store_short v1, v40, s[2:3] offset:1536
	s_or_b64 exec, exec, s[0:1]
	v_cmp_lt_u32_e32 vcc, v37, v46
	s_and_saveexec_b64 s[0:1], vcc
	s_cbranch_execz .LBB3101_153
.LBB3101_196:
	v_readfirstlane_b32 s2, v2
	v_readfirstlane_b32 s3, v3
	s_waitcnt lgkmcnt(14)
	s_nop 3
	global_store_short v1, v38, s[2:3] offset:2048
	s_or_b64 exec, exec, s[0:1]
	v_cmp_lt_u32_e32 vcc, v36, v46
	s_and_saveexec_b64 s[0:1], vcc
	s_cbranch_execz .LBB3101_154
.LBB3101_197:
	v_readfirstlane_b32 s2, v2
	v_readfirstlane_b32 s3, v3
	s_waitcnt lgkmcnt(14)
	s_nop 3
	global_store_short v1, v35, s[2:3] offset:2560
	s_or_b64 exec, exec, s[0:1]
	v_cmp_lt_u32_e32 vcc, v34, v46
	s_and_saveexec_b64 s[0:1], vcc
	s_cbranch_execz .LBB3101_155
.LBB3101_198:
	v_readfirstlane_b32 s2, v2
	v_readfirstlane_b32 s3, v3
	s_waitcnt lgkmcnt(13)
	s_nop 3
	global_store_short v1, v33, s[2:3] offset:3072
	s_or_b64 exec, exec, s[0:1]
	v_cmp_lt_u32_e32 vcc, v32, v46
	s_and_saveexec_b64 s[0:1], vcc
	s_cbranch_execz .LBB3101_156
.LBB3101_199:
	v_readfirstlane_b32 s2, v2
	v_readfirstlane_b32 s3, v3
	s_waitcnt lgkmcnt(12)
	s_nop 3
	global_store_short v1, v30, s[2:3] offset:3584
	s_or_b64 exec, exec, s[0:1]
	v_cmp_lt_u32_e32 vcc, v29, v46
	s_and_saveexec_b64 s[0:1], vcc
	s_cbranch_execz .LBB3101_157
.LBB3101_200:
	v_lshlrev_b32_e32 v1, 1, v29
	v_readfirstlane_b32 s2, v2
	v_readfirstlane_b32 s3, v3
	s_waitcnt lgkmcnt(11)
	s_nop 3
	global_store_short v1, v31, s[2:3]
	s_or_b64 exec, exec, s[0:1]
	v_cmp_lt_u32_e32 vcc, v27, v46
	s_and_saveexec_b64 s[0:1], vcc
	s_cbranch_execz .LBB3101_158
.LBB3101_201:
	v_lshlrev_b32_e32 v1, 1, v27
	v_readfirstlane_b32 s2, v2
	v_readfirstlane_b32 s3, v3
	s_waitcnt lgkmcnt(10)
	s_nop 3
	global_store_short v1, v28, s[2:3]
	s_or_b64 exec, exec, s[0:1]
	v_cmp_lt_u32_e32 vcc, v25, v46
	s_and_saveexec_b64 s[0:1], vcc
	s_cbranch_execz .LBB3101_159
.LBB3101_202:
	v_lshlrev_b32_e32 v1, 1, v25
	v_readfirstlane_b32 s2, v2
	v_readfirstlane_b32 s3, v3
	s_waitcnt lgkmcnt(9)
	s_nop 3
	global_store_short v1, v26, s[2:3]
	s_or_b64 exec, exec, s[0:1]
	v_cmp_lt_u32_e32 vcc, v23, v46
	s_and_saveexec_b64 s[0:1], vcc
	s_cbranch_execz .LBB3101_160
.LBB3101_203:
	v_lshlrev_b32_e32 v1, 1, v23
	v_readfirstlane_b32 s2, v2
	v_readfirstlane_b32 s3, v3
	s_waitcnt lgkmcnt(8)
	s_nop 3
	global_store_short v1, v24, s[2:3]
	s_or_b64 exec, exec, s[0:1]
	v_cmp_lt_u32_e32 vcc, v21, v46
	s_and_saveexec_b64 s[0:1], vcc
	s_cbranch_execz .LBB3101_161
.LBB3101_204:
	v_lshlrev_b32_e32 v1, 1, v21
	v_readfirstlane_b32 s2, v2
	v_readfirstlane_b32 s3, v3
	s_waitcnt lgkmcnt(7)
	s_nop 3
	global_store_short v1, v22, s[2:3]
	s_or_b64 exec, exec, s[0:1]
	v_cmp_lt_u32_e32 vcc, v19, v46
	s_and_saveexec_b64 s[0:1], vcc
	s_cbranch_execz .LBB3101_162
.LBB3101_205:
	v_lshlrev_b32_e32 v1, 1, v19
	v_readfirstlane_b32 s2, v2
	v_readfirstlane_b32 s3, v3
	s_waitcnt lgkmcnt(6)
	s_nop 3
	global_store_short v1, v20, s[2:3]
	s_or_b64 exec, exec, s[0:1]
	v_cmp_lt_u32_e32 vcc, v17, v46
	s_and_saveexec_b64 s[0:1], vcc
	s_cbranch_execz .LBB3101_163
.LBB3101_206:
	v_lshlrev_b32_e32 v1, 1, v17
	v_readfirstlane_b32 s2, v2
	v_readfirstlane_b32 s3, v3
	s_waitcnt lgkmcnt(5)
	s_nop 3
	global_store_short v1, v18, s[2:3]
	s_or_b64 exec, exec, s[0:1]
	v_cmp_lt_u32_e32 vcc, v13, v46
	s_and_saveexec_b64 s[0:1], vcc
	s_cbranch_execz .LBB3101_164
.LBB3101_207:
	v_lshlrev_b32_e32 v1, 1, v13
	v_readfirstlane_b32 s2, v2
	v_readfirstlane_b32 s3, v3
	s_waitcnt lgkmcnt(4)
	s_nop 3
	global_store_short v1, v16, s[2:3]
	s_or_b64 exec, exec, s[0:1]
	v_cmp_lt_u32_e32 vcc, v11, v46
	s_and_saveexec_b64 s[0:1], vcc
	s_cbranch_execz .LBB3101_165
.LBB3101_208:
	v_lshlrev_b32_e32 v1, 1, v11
	v_readfirstlane_b32 s2, v2
	v_readfirstlane_b32 s3, v3
	s_waitcnt lgkmcnt(3)
	s_nop 3
	global_store_short v1, v10, s[2:3]
	s_or_b64 exec, exec, s[0:1]
	v_cmp_lt_u32_e32 vcc, v9, v46
	s_and_saveexec_b64 s[0:1], vcc
	s_cbranch_execz .LBB3101_166
.LBB3101_209:
	v_lshlrev_b32_e32 v1, 1, v9
	v_readfirstlane_b32 s2, v2
	v_readfirstlane_b32 s3, v3
	s_waitcnt lgkmcnt(2)
	s_nop 3
	global_store_short v1, v8, s[2:3]
	s_or_b64 exec, exec, s[0:1]
	v_cmp_lt_u32_e32 vcc, v7, v46
	s_and_saveexec_b64 s[0:1], vcc
	s_cbranch_execnz .LBB3101_167
	s_branch .LBB3101_168
	.section	.rodata,"a",@progbits
	.p2align	6, 0x0
	.amdhsa_kernel _ZN7rocprim17ROCPRIM_400000_NS6detail17trampoline_kernelINS0_14default_configENS1_25partition_config_selectorILNS1_17partition_subalgoE1EtNS0_10empty_typeEbEEZZNS1_14partition_implILS5_1ELb0ES3_jN6thrust23THRUST_200600_302600_NS6detail15normal_iteratorINSA_10device_ptrItEEEEPS6_NSA_18transform_iteratorI7is_evenItESF_NSA_11use_defaultESK_EENS0_5tupleIJSF_NSA_16discard_iteratorISK_EEEEENSM_IJSG_SG_EEES6_PlJS6_EEE10hipError_tPvRmT3_T4_T5_T6_T7_T9_mT8_P12ihipStream_tbDpT10_ENKUlT_T0_E_clISt17integral_constantIbLb0EES1B_EEDaS16_S17_EUlS16_E_NS1_11comp_targetILNS1_3genE4ELNS1_11target_archE910ELNS1_3gpuE8ELNS1_3repE0EEENS1_30default_config_static_selectorELNS0_4arch9wavefront6targetE1EEEvT1_
		.amdhsa_group_segment_fixed_size 10248
		.amdhsa_private_segment_fixed_size 0
		.amdhsa_kernarg_size 136
		.amdhsa_user_sgpr_count 6
		.amdhsa_user_sgpr_private_segment_buffer 1
		.amdhsa_user_sgpr_dispatch_ptr 0
		.amdhsa_user_sgpr_queue_ptr 0
		.amdhsa_user_sgpr_kernarg_segment_ptr 1
		.amdhsa_user_sgpr_dispatch_id 0
		.amdhsa_user_sgpr_flat_scratch_init 0
		.amdhsa_user_sgpr_kernarg_preload_length 0
		.amdhsa_user_sgpr_kernarg_preload_offset 0
		.amdhsa_user_sgpr_private_segment_size 0
		.amdhsa_uses_dynamic_stack 0
		.amdhsa_system_sgpr_private_segment_wavefront_offset 0
		.amdhsa_system_sgpr_workgroup_id_x 1
		.amdhsa_system_sgpr_workgroup_id_y 0
		.amdhsa_system_sgpr_workgroup_id_z 0
		.amdhsa_system_sgpr_workgroup_info 0
		.amdhsa_system_vgpr_workitem_id 0
		.amdhsa_next_free_vgpr 65
		.amdhsa_next_free_sgpr 40
		.amdhsa_accum_offset 68
		.amdhsa_reserve_vcc 1
		.amdhsa_reserve_flat_scratch 0
		.amdhsa_float_round_mode_32 0
		.amdhsa_float_round_mode_16_64 0
		.amdhsa_float_denorm_mode_32 3
		.amdhsa_float_denorm_mode_16_64 3
		.amdhsa_dx10_clamp 1
		.amdhsa_ieee_mode 1
		.amdhsa_fp16_overflow 0
		.amdhsa_tg_split 0
		.amdhsa_exception_fp_ieee_invalid_op 0
		.amdhsa_exception_fp_denorm_src 0
		.amdhsa_exception_fp_ieee_div_zero 0
		.amdhsa_exception_fp_ieee_overflow 0
		.amdhsa_exception_fp_ieee_underflow 0
		.amdhsa_exception_fp_ieee_inexact 0
		.amdhsa_exception_int_div_zero 0
	.end_amdhsa_kernel
	.section	.text._ZN7rocprim17ROCPRIM_400000_NS6detail17trampoline_kernelINS0_14default_configENS1_25partition_config_selectorILNS1_17partition_subalgoE1EtNS0_10empty_typeEbEEZZNS1_14partition_implILS5_1ELb0ES3_jN6thrust23THRUST_200600_302600_NS6detail15normal_iteratorINSA_10device_ptrItEEEEPS6_NSA_18transform_iteratorI7is_evenItESF_NSA_11use_defaultESK_EENS0_5tupleIJSF_NSA_16discard_iteratorISK_EEEEENSM_IJSG_SG_EEES6_PlJS6_EEE10hipError_tPvRmT3_T4_T5_T6_T7_T9_mT8_P12ihipStream_tbDpT10_ENKUlT_T0_E_clISt17integral_constantIbLb0EES1B_EEDaS16_S17_EUlS16_E_NS1_11comp_targetILNS1_3genE4ELNS1_11target_archE910ELNS1_3gpuE8ELNS1_3repE0EEENS1_30default_config_static_selectorELNS0_4arch9wavefront6targetE1EEEvT1_,"axG",@progbits,_ZN7rocprim17ROCPRIM_400000_NS6detail17trampoline_kernelINS0_14default_configENS1_25partition_config_selectorILNS1_17partition_subalgoE1EtNS0_10empty_typeEbEEZZNS1_14partition_implILS5_1ELb0ES3_jN6thrust23THRUST_200600_302600_NS6detail15normal_iteratorINSA_10device_ptrItEEEEPS6_NSA_18transform_iteratorI7is_evenItESF_NSA_11use_defaultESK_EENS0_5tupleIJSF_NSA_16discard_iteratorISK_EEEEENSM_IJSG_SG_EEES6_PlJS6_EEE10hipError_tPvRmT3_T4_T5_T6_T7_T9_mT8_P12ihipStream_tbDpT10_ENKUlT_T0_E_clISt17integral_constantIbLb0EES1B_EEDaS16_S17_EUlS16_E_NS1_11comp_targetILNS1_3genE4ELNS1_11target_archE910ELNS1_3gpuE8ELNS1_3repE0EEENS1_30default_config_static_selectorELNS0_4arch9wavefront6targetE1EEEvT1_,comdat
.Lfunc_end3101:
	.size	_ZN7rocprim17ROCPRIM_400000_NS6detail17trampoline_kernelINS0_14default_configENS1_25partition_config_selectorILNS1_17partition_subalgoE1EtNS0_10empty_typeEbEEZZNS1_14partition_implILS5_1ELb0ES3_jN6thrust23THRUST_200600_302600_NS6detail15normal_iteratorINSA_10device_ptrItEEEEPS6_NSA_18transform_iteratorI7is_evenItESF_NSA_11use_defaultESK_EENS0_5tupleIJSF_NSA_16discard_iteratorISK_EEEEENSM_IJSG_SG_EEES6_PlJS6_EEE10hipError_tPvRmT3_T4_T5_T6_T7_T9_mT8_P12ihipStream_tbDpT10_ENKUlT_T0_E_clISt17integral_constantIbLb0EES1B_EEDaS16_S17_EUlS16_E_NS1_11comp_targetILNS1_3genE4ELNS1_11target_archE910ELNS1_3gpuE8ELNS1_3repE0EEENS1_30default_config_static_selectorELNS0_4arch9wavefront6targetE1EEEvT1_, .Lfunc_end3101-_ZN7rocprim17ROCPRIM_400000_NS6detail17trampoline_kernelINS0_14default_configENS1_25partition_config_selectorILNS1_17partition_subalgoE1EtNS0_10empty_typeEbEEZZNS1_14partition_implILS5_1ELb0ES3_jN6thrust23THRUST_200600_302600_NS6detail15normal_iteratorINSA_10device_ptrItEEEEPS6_NSA_18transform_iteratorI7is_evenItESF_NSA_11use_defaultESK_EENS0_5tupleIJSF_NSA_16discard_iteratorISK_EEEEENSM_IJSG_SG_EEES6_PlJS6_EEE10hipError_tPvRmT3_T4_T5_T6_T7_T9_mT8_P12ihipStream_tbDpT10_ENKUlT_T0_E_clISt17integral_constantIbLb0EES1B_EEDaS16_S17_EUlS16_E_NS1_11comp_targetILNS1_3genE4ELNS1_11target_archE910ELNS1_3gpuE8ELNS1_3repE0EEENS1_30default_config_static_selectorELNS0_4arch9wavefront6targetE1EEEvT1_
                                        ; -- End function
	.section	.AMDGPU.csdata,"",@progbits
; Kernel info:
; codeLenInByte = 9248
; NumSgprs: 44
; NumVgprs: 65
; NumAgprs: 0
; TotalNumVgprs: 65
; ScratchSize: 0
; MemoryBound: 0
; FloatMode: 240
; IeeeMode: 1
; LDSByteSize: 10248 bytes/workgroup (compile time only)
; SGPRBlocks: 5
; VGPRBlocks: 8
; NumSGPRsForWavesPerEU: 44
; NumVGPRsForWavesPerEU: 65
; AccumOffset: 68
; Occupancy: 6
; WaveLimiterHint : 1
; COMPUTE_PGM_RSRC2:SCRATCH_EN: 0
; COMPUTE_PGM_RSRC2:USER_SGPR: 6
; COMPUTE_PGM_RSRC2:TRAP_HANDLER: 0
; COMPUTE_PGM_RSRC2:TGID_X_EN: 1
; COMPUTE_PGM_RSRC2:TGID_Y_EN: 0
; COMPUTE_PGM_RSRC2:TGID_Z_EN: 0
; COMPUTE_PGM_RSRC2:TIDIG_COMP_CNT: 0
; COMPUTE_PGM_RSRC3_GFX90A:ACCUM_OFFSET: 16
; COMPUTE_PGM_RSRC3_GFX90A:TG_SPLIT: 0
	.section	.text._ZN7rocprim17ROCPRIM_400000_NS6detail17trampoline_kernelINS0_14default_configENS1_25partition_config_selectorILNS1_17partition_subalgoE1EtNS0_10empty_typeEbEEZZNS1_14partition_implILS5_1ELb0ES3_jN6thrust23THRUST_200600_302600_NS6detail15normal_iteratorINSA_10device_ptrItEEEEPS6_NSA_18transform_iteratorI7is_evenItESF_NSA_11use_defaultESK_EENS0_5tupleIJSF_NSA_16discard_iteratorISK_EEEEENSM_IJSG_SG_EEES6_PlJS6_EEE10hipError_tPvRmT3_T4_T5_T6_T7_T9_mT8_P12ihipStream_tbDpT10_ENKUlT_T0_E_clISt17integral_constantIbLb0EES1B_EEDaS16_S17_EUlS16_E_NS1_11comp_targetILNS1_3genE3ELNS1_11target_archE908ELNS1_3gpuE7ELNS1_3repE0EEENS1_30default_config_static_selectorELNS0_4arch9wavefront6targetE1EEEvT1_,"axG",@progbits,_ZN7rocprim17ROCPRIM_400000_NS6detail17trampoline_kernelINS0_14default_configENS1_25partition_config_selectorILNS1_17partition_subalgoE1EtNS0_10empty_typeEbEEZZNS1_14partition_implILS5_1ELb0ES3_jN6thrust23THRUST_200600_302600_NS6detail15normal_iteratorINSA_10device_ptrItEEEEPS6_NSA_18transform_iteratorI7is_evenItESF_NSA_11use_defaultESK_EENS0_5tupleIJSF_NSA_16discard_iteratorISK_EEEEENSM_IJSG_SG_EEES6_PlJS6_EEE10hipError_tPvRmT3_T4_T5_T6_T7_T9_mT8_P12ihipStream_tbDpT10_ENKUlT_T0_E_clISt17integral_constantIbLb0EES1B_EEDaS16_S17_EUlS16_E_NS1_11comp_targetILNS1_3genE3ELNS1_11target_archE908ELNS1_3gpuE7ELNS1_3repE0EEENS1_30default_config_static_selectorELNS0_4arch9wavefront6targetE1EEEvT1_,comdat
	.protected	_ZN7rocprim17ROCPRIM_400000_NS6detail17trampoline_kernelINS0_14default_configENS1_25partition_config_selectorILNS1_17partition_subalgoE1EtNS0_10empty_typeEbEEZZNS1_14partition_implILS5_1ELb0ES3_jN6thrust23THRUST_200600_302600_NS6detail15normal_iteratorINSA_10device_ptrItEEEEPS6_NSA_18transform_iteratorI7is_evenItESF_NSA_11use_defaultESK_EENS0_5tupleIJSF_NSA_16discard_iteratorISK_EEEEENSM_IJSG_SG_EEES6_PlJS6_EEE10hipError_tPvRmT3_T4_T5_T6_T7_T9_mT8_P12ihipStream_tbDpT10_ENKUlT_T0_E_clISt17integral_constantIbLb0EES1B_EEDaS16_S17_EUlS16_E_NS1_11comp_targetILNS1_3genE3ELNS1_11target_archE908ELNS1_3gpuE7ELNS1_3repE0EEENS1_30default_config_static_selectorELNS0_4arch9wavefront6targetE1EEEvT1_ ; -- Begin function _ZN7rocprim17ROCPRIM_400000_NS6detail17trampoline_kernelINS0_14default_configENS1_25partition_config_selectorILNS1_17partition_subalgoE1EtNS0_10empty_typeEbEEZZNS1_14partition_implILS5_1ELb0ES3_jN6thrust23THRUST_200600_302600_NS6detail15normal_iteratorINSA_10device_ptrItEEEEPS6_NSA_18transform_iteratorI7is_evenItESF_NSA_11use_defaultESK_EENS0_5tupleIJSF_NSA_16discard_iteratorISK_EEEEENSM_IJSG_SG_EEES6_PlJS6_EEE10hipError_tPvRmT3_T4_T5_T6_T7_T9_mT8_P12ihipStream_tbDpT10_ENKUlT_T0_E_clISt17integral_constantIbLb0EES1B_EEDaS16_S17_EUlS16_E_NS1_11comp_targetILNS1_3genE3ELNS1_11target_archE908ELNS1_3gpuE7ELNS1_3repE0EEENS1_30default_config_static_selectorELNS0_4arch9wavefront6targetE1EEEvT1_
	.globl	_ZN7rocprim17ROCPRIM_400000_NS6detail17trampoline_kernelINS0_14default_configENS1_25partition_config_selectorILNS1_17partition_subalgoE1EtNS0_10empty_typeEbEEZZNS1_14partition_implILS5_1ELb0ES3_jN6thrust23THRUST_200600_302600_NS6detail15normal_iteratorINSA_10device_ptrItEEEEPS6_NSA_18transform_iteratorI7is_evenItESF_NSA_11use_defaultESK_EENS0_5tupleIJSF_NSA_16discard_iteratorISK_EEEEENSM_IJSG_SG_EEES6_PlJS6_EEE10hipError_tPvRmT3_T4_T5_T6_T7_T9_mT8_P12ihipStream_tbDpT10_ENKUlT_T0_E_clISt17integral_constantIbLb0EES1B_EEDaS16_S17_EUlS16_E_NS1_11comp_targetILNS1_3genE3ELNS1_11target_archE908ELNS1_3gpuE7ELNS1_3repE0EEENS1_30default_config_static_selectorELNS0_4arch9wavefront6targetE1EEEvT1_
	.p2align	8
	.type	_ZN7rocprim17ROCPRIM_400000_NS6detail17trampoline_kernelINS0_14default_configENS1_25partition_config_selectorILNS1_17partition_subalgoE1EtNS0_10empty_typeEbEEZZNS1_14partition_implILS5_1ELb0ES3_jN6thrust23THRUST_200600_302600_NS6detail15normal_iteratorINSA_10device_ptrItEEEEPS6_NSA_18transform_iteratorI7is_evenItESF_NSA_11use_defaultESK_EENS0_5tupleIJSF_NSA_16discard_iteratorISK_EEEEENSM_IJSG_SG_EEES6_PlJS6_EEE10hipError_tPvRmT3_T4_T5_T6_T7_T9_mT8_P12ihipStream_tbDpT10_ENKUlT_T0_E_clISt17integral_constantIbLb0EES1B_EEDaS16_S17_EUlS16_E_NS1_11comp_targetILNS1_3genE3ELNS1_11target_archE908ELNS1_3gpuE7ELNS1_3repE0EEENS1_30default_config_static_selectorELNS0_4arch9wavefront6targetE1EEEvT1_,@function
_ZN7rocprim17ROCPRIM_400000_NS6detail17trampoline_kernelINS0_14default_configENS1_25partition_config_selectorILNS1_17partition_subalgoE1EtNS0_10empty_typeEbEEZZNS1_14partition_implILS5_1ELb0ES3_jN6thrust23THRUST_200600_302600_NS6detail15normal_iteratorINSA_10device_ptrItEEEEPS6_NSA_18transform_iteratorI7is_evenItESF_NSA_11use_defaultESK_EENS0_5tupleIJSF_NSA_16discard_iteratorISK_EEEEENSM_IJSG_SG_EEES6_PlJS6_EEE10hipError_tPvRmT3_T4_T5_T6_T7_T9_mT8_P12ihipStream_tbDpT10_ENKUlT_T0_E_clISt17integral_constantIbLb0EES1B_EEDaS16_S17_EUlS16_E_NS1_11comp_targetILNS1_3genE3ELNS1_11target_archE908ELNS1_3gpuE7ELNS1_3repE0EEENS1_30default_config_static_selectorELNS0_4arch9wavefront6targetE1EEEvT1_: ; @_ZN7rocprim17ROCPRIM_400000_NS6detail17trampoline_kernelINS0_14default_configENS1_25partition_config_selectorILNS1_17partition_subalgoE1EtNS0_10empty_typeEbEEZZNS1_14partition_implILS5_1ELb0ES3_jN6thrust23THRUST_200600_302600_NS6detail15normal_iteratorINSA_10device_ptrItEEEEPS6_NSA_18transform_iteratorI7is_evenItESF_NSA_11use_defaultESK_EENS0_5tupleIJSF_NSA_16discard_iteratorISK_EEEEENSM_IJSG_SG_EEES6_PlJS6_EEE10hipError_tPvRmT3_T4_T5_T6_T7_T9_mT8_P12ihipStream_tbDpT10_ENKUlT_T0_E_clISt17integral_constantIbLb0EES1B_EEDaS16_S17_EUlS16_E_NS1_11comp_targetILNS1_3genE3ELNS1_11target_archE908ELNS1_3gpuE7ELNS1_3repE0EEENS1_30default_config_static_selectorELNS0_4arch9wavefront6targetE1EEEvT1_
; %bb.0:
	.section	.rodata,"a",@progbits
	.p2align	6, 0x0
	.amdhsa_kernel _ZN7rocprim17ROCPRIM_400000_NS6detail17trampoline_kernelINS0_14default_configENS1_25partition_config_selectorILNS1_17partition_subalgoE1EtNS0_10empty_typeEbEEZZNS1_14partition_implILS5_1ELb0ES3_jN6thrust23THRUST_200600_302600_NS6detail15normal_iteratorINSA_10device_ptrItEEEEPS6_NSA_18transform_iteratorI7is_evenItESF_NSA_11use_defaultESK_EENS0_5tupleIJSF_NSA_16discard_iteratorISK_EEEEENSM_IJSG_SG_EEES6_PlJS6_EEE10hipError_tPvRmT3_T4_T5_T6_T7_T9_mT8_P12ihipStream_tbDpT10_ENKUlT_T0_E_clISt17integral_constantIbLb0EES1B_EEDaS16_S17_EUlS16_E_NS1_11comp_targetILNS1_3genE3ELNS1_11target_archE908ELNS1_3gpuE7ELNS1_3repE0EEENS1_30default_config_static_selectorELNS0_4arch9wavefront6targetE1EEEvT1_
		.amdhsa_group_segment_fixed_size 0
		.amdhsa_private_segment_fixed_size 0
		.amdhsa_kernarg_size 136
		.amdhsa_user_sgpr_count 6
		.amdhsa_user_sgpr_private_segment_buffer 1
		.amdhsa_user_sgpr_dispatch_ptr 0
		.amdhsa_user_sgpr_queue_ptr 0
		.amdhsa_user_sgpr_kernarg_segment_ptr 1
		.amdhsa_user_sgpr_dispatch_id 0
		.amdhsa_user_sgpr_flat_scratch_init 0
		.amdhsa_user_sgpr_kernarg_preload_length 0
		.amdhsa_user_sgpr_kernarg_preload_offset 0
		.amdhsa_user_sgpr_private_segment_size 0
		.amdhsa_uses_dynamic_stack 0
		.amdhsa_system_sgpr_private_segment_wavefront_offset 0
		.amdhsa_system_sgpr_workgroup_id_x 1
		.amdhsa_system_sgpr_workgroup_id_y 0
		.amdhsa_system_sgpr_workgroup_id_z 0
		.amdhsa_system_sgpr_workgroup_info 0
		.amdhsa_system_vgpr_workitem_id 0
		.amdhsa_next_free_vgpr 1
		.amdhsa_next_free_sgpr 0
		.amdhsa_accum_offset 4
		.amdhsa_reserve_vcc 0
		.amdhsa_reserve_flat_scratch 0
		.amdhsa_float_round_mode_32 0
		.amdhsa_float_round_mode_16_64 0
		.amdhsa_float_denorm_mode_32 3
		.amdhsa_float_denorm_mode_16_64 3
		.amdhsa_dx10_clamp 1
		.amdhsa_ieee_mode 1
		.amdhsa_fp16_overflow 0
		.amdhsa_tg_split 0
		.amdhsa_exception_fp_ieee_invalid_op 0
		.amdhsa_exception_fp_denorm_src 0
		.amdhsa_exception_fp_ieee_div_zero 0
		.amdhsa_exception_fp_ieee_overflow 0
		.amdhsa_exception_fp_ieee_underflow 0
		.amdhsa_exception_fp_ieee_inexact 0
		.amdhsa_exception_int_div_zero 0
	.end_amdhsa_kernel
	.section	.text._ZN7rocprim17ROCPRIM_400000_NS6detail17trampoline_kernelINS0_14default_configENS1_25partition_config_selectorILNS1_17partition_subalgoE1EtNS0_10empty_typeEbEEZZNS1_14partition_implILS5_1ELb0ES3_jN6thrust23THRUST_200600_302600_NS6detail15normal_iteratorINSA_10device_ptrItEEEEPS6_NSA_18transform_iteratorI7is_evenItESF_NSA_11use_defaultESK_EENS0_5tupleIJSF_NSA_16discard_iteratorISK_EEEEENSM_IJSG_SG_EEES6_PlJS6_EEE10hipError_tPvRmT3_T4_T5_T6_T7_T9_mT8_P12ihipStream_tbDpT10_ENKUlT_T0_E_clISt17integral_constantIbLb0EES1B_EEDaS16_S17_EUlS16_E_NS1_11comp_targetILNS1_3genE3ELNS1_11target_archE908ELNS1_3gpuE7ELNS1_3repE0EEENS1_30default_config_static_selectorELNS0_4arch9wavefront6targetE1EEEvT1_,"axG",@progbits,_ZN7rocprim17ROCPRIM_400000_NS6detail17trampoline_kernelINS0_14default_configENS1_25partition_config_selectorILNS1_17partition_subalgoE1EtNS0_10empty_typeEbEEZZNS1_14partition_implILS5_1ELb0ES3_jN6thrust23THRUST_200600_302600_NS6detail15normal_iteratorINSA_10device_ptrItEEEEPS6_NSA_18transform_iteratorI7is_evenItESF_NSA_11use_defaultESK_EENS0_5tupleIJSF_NSA_16discard_iteratorISK_EEEEENSM_IJSG_SG_EEES6_PlJS6_EEE10hipError_tPvRmT3_T4_T5_T6_T7_T9_mT8_P12ihipStream_tbDpT10_ENKUlT_T0_E_clISt17integral_constantIbLb0EES1B_EEDaS16_S17_EUlS16_E_NS1_11comp_targetILNS1_3genE3ELNS1_11target_archE908ELNS1_3gpuE7ELNS1_3repE0EEENS1_30default_config_static_selectorELNS0_4arch9wavefront6targetE1EEEvT1_,comdat
.Lfunc_end3102:
	.size	_ZN7rocprim17ROCPRIM_400000_NS6detail17trampoline_kernelINS0_14default_configENS1_25partition_config_selectorILNS1_17partition_subalgoE1EtNS0_10empty_typeEbEEZZNS1_14partition_implILS5_1ELb0ES3_jN6thrust23THRUST_200600_302600_NS6detail15normal_iteratorINSA_10device_ptrItEEEEPS6_NSA_18transform_iteratorI7is_evenItESF_NSA_11use_defaultESK_EENS0_5tupleIJSF_NSA_16discard_iteratorISK_EEEEENSM_IJSG_SG_EEES6_PlJS6_EEE10hipError_tPvRmT3_T4_T5_T6_T7_T9_mT8_P12ihipStream_tbDpT10_ENKUlT_T0_E_clISt17integral_constantIbLb0EES1B_EEDaS16_S17_EUlS16_E_NS1_11comp_targetILNS1_3genE3ELNS1_11target_archE908ELNS1_3gpuE7ELNS1_3repE0EEENS1_30default_config_static_selectorELNS0_4arch9wavefront6targetE1EEEvT1_, .Lfunc_end3102-_ZN7rocprim17ROCPRIM_400000_NS6detail17trampoline_kernelINS0_14default_configENS1_25partition_config_selectorILNS1_17partition_subalgoE1EtNS0_10empty_typeEbEEZZNS1_14partition_implILS5_1ELb0ES3_jN6thrust23THRUST_200600_302600_NS6detail15normal_iteratorINSA_10device_ptrItEEEEPS6_NSA_18transform_iteratorI7is_evenItESF_NSA_11use_defaultESK_EENS0_5tupleIJSF_NSA_16discard_iteratorISK_EEEEENSM_IJSG_SG_EEES6_PlJS6_EEE10hipError_tPvRmT3_T4_T5_T6_T7_T9_mT8_P12ihipStream_tbDpT10_ENKUlT_T0_E_clISt17integral_constantIbLb0EES1B_EEDaS16_S17_EUlS16_E_NS1_11comp_targetILNS1_3genE3ELNS1_11target_archE908ELNS1_3gpuE7ELNS1_3repE0EEENS1_30default_config_static_selectorELNS0_4arch9wavefront6targetE1EEEvT1_
                                        ; -- End function
	.section	.AMDGPU.csdata,"",@progbits
; Kernel info:
; codeLenInByte = 0
; NumSgprs: 4
; NumVgprs: 0
; NumAgprs: 0
; TotalNumVgprs: 0
; ScratchSize: 0
; MemoryBound: 0
; FloatMode: 240
; IeeeMode: 1
; LDSByteSize: 0 bytes/workgroup (compile time only)
; SGPRBlocks: 0
; VGPRBlocks: 0
; NumSGPRsForWavesPerEU: 4
; NumVGPRsForWavesPerEU: 1
; AccumOffset: 4
; Occupancy: 8
; WaveLimiterHint : 0
; COMPUTE_PGM_RSRC2:SCRATCH_EN: 0
; COMPUTE_PGM_RSRC2:USER_SGPR: 6
; COMPUTE_PGM_RSRC2:TRAP_HANDLER: 0
; COMPUTE_PGM_RSRC2:TGID_X_EN: 1
; COMPUTE_PGM_RSRC2:TGID_Y_EN: 0
; COMPUTE_PGM_RSRC2:TGID_Z_EN: 0
; COMPUTE_PGM_RSRC2:TIDIG_COMP_CNT: 0
; COMPUTE_PGM_RSRC3_GFX90A:ACCUM_OFFSET: 0
; COMPUTE_PGM_RSRC3_GFX90A:TG_SPLIT: 0
	.section	.text._ZN7rocprim17ROCPRIM_400000_NS6detail17trampoline_kernelINS0_14default_configENS1_25partition_config_selectorILNS1_17partition_subalgoE1EtNS0_10empty_typeEbEEZZNS1_14partition_implILS5_1ELb0ES3_jN6thrust23THRUST_200600_302600_NS6detail15normal_iteratorINSA_10device_ptrItEEEEPS6_NSA_18transform_iteratorI7is_evenItESF_NSA_11use_defaultESK_EENS0_5tupleIJSF_NSA_16discard_iteratorISK_EEEEENSM_IJSG_SG_EEES6_PlJS6_EEE10hipError_tPvRmT3_T4_T5_T6_T7_T9_mT8_P12ihipStream_tbDpT10_ENKUlT_T0_E_clISt17integral_constantIbLb0EES1B_EEDaS16_S17_EUlS16_E_NS1_11comp_targetILNS1_3genE2ELNS1_11target_archE906ELNS1_3gpuE6ELNS1_3repE0EEENS1_30default_config_static_selectorELNS0_4arch9wavefront6targetE1EEEvT1_,"axG",@progbits,_ZN7rocprim17ROCPRIM_400000_NS6detail17trampoline_kernelINS0_14default_configENS1_25partition_config_selectorILNS1_17partition_subalgoE1EtNS0_10empty_typeEbEEZZNS1_14partition_implILS5_1ELb0ES3_jN6thrust23THRUST_200600_302600_NS6detail15normal_iteratorINSA_10device_ptrItEEEEPS6_NSA_18transform_iteratorI7is_evenItESF_NSA_11use_defaultESK_EENS0_5tupleIJSF_NSA_16discard_iteratorISK_EEEEENSM_IJSG_SG_EEES6_PlJS6_EEE10hipError_tPvRmT3_T4_T5_T6_T7_T9_mT8_P12ihipStream_tbDpT10_ENKUlT_T0_E_clISt17integral_constantIbLb0EES1B_EEDaS16_S17_EUlS16_E_NS1_11comp_targetILNS1_3genE2ELNS1_11target_archE906ELNS1_3gpuE6ELNS1_3repE0EEENS1_30default_config_static_selectorELNS0_4arch9wavefront6targetE1EEEvT1_,comdat
	.protected	_ZN7rocprim17ROCPRIM_400000_NS6detail17trampoline_kernelINS0_14default_configENS1_25partition_config_selectorILNS1_17partition_subalgoE1EtNS0_10empty_typeEbEEZZNS1_14partition_implILS5_1ELb0ES3_jN6thrust23THRUST_200600_302600_NS6detail15normal_iteratorINSA_10device_ptrItEEEEPS6_NSA_18transform_iteratorI7is_evenItESF_NSA_11use_defaultESK_EENS0_5tupleIJSF_NSA_16discard_iteratorISK_EEEEENSM_IJSG_SG_EEES6_PlJS6_EEE10hipError_tPvRmT3_T4_T5_T6_T7_T9_mT8_P12ihipStream_tbDpT10_ENKUlT_T0_E_clISt17integral_constantIbLb0EES1B_EEDaS16_S17_EUlS16_E_NS1_11comp_targetILNS1_3genE2ELNS1_11target_archE906ELNS1_3gpuE6ELNS1_3repE0EEENS1_30default_config_static_selectorELNS0_4arch9wavefront6targetE1EEEvT1_ ; -- Begin function _ZN7rocprim17ROCPRIM_400000_NS6detail17trampoline_kernelINS0_14default_configENS1_25partition_config_selectorILNS1_17partition_subalgoE1EtNS0_10empty_typeEbEEZZNS1_14partition_implILS5_1ELb0ES3_jN6thrust23THRUST_200600_302600_NS6detail15normal_iteratorINSA_10device_ptrItEEEEPS6_NSA_18transform_iteratorI7is_evenItESF_NSA_11use_defaultESK_EENS0_5tupleIJSF_NSA_16discard_iteratorISK_EEEEENSM_IJSG_SG_EEES6_PlJS6_EEE10hipError_tPvRmT3_T4_T5_T6_T7_T9_mT8_P12ihipStream_tbDpT10_ENKUlT_T0_E_clISt17integral_constantIbLb0EES1B_EEDaS16_S17_EUlS16_E_NS1_11comp_targetILNS1_3genE2ELNS1_11target_archE906ELNS1_3gpuE6ELNS1_3repE0EEENS1_30default_config_static_selectorELNS0_4arch9wavefront6targetE1EEEvT1_
	.globl	_ZN7rocprim17ROCPRIM_400000_NS6detail17trampoline_kernelINS0_14default_configENS1_25partition_config_selectorILNS1_17partition_subalgoE1EtNS0_10empty_typeEbEEZZNS1_14partition_implILS5_1ELb0ES3_jN6thrust23THRUST_200600_302600_NS6detail15normal_iteratorINSA_10device_ptrItEEEEPS6_NSA_18transform_iteratorI7is_evenItESF_NSA_11use_defaultESK_EENS0_5tupleIJSF_NSA_16discard_iteratorISK_EEEEENSM_IJSG_SG_EEES6_PlJS6_EEE10hipError_tPvRmT3_T4_T5_T6_T7_T9_mT8_P12ihipStream_tbDpT10_ENKUlT_T0_E_clISt17integral_constantIbLb0EES1B_EEDaS16_S17_EUlS16_E_NS1_11comp_targetILNS1_3genE2ELNS1_11target_archE906ELNS1_3gpuE6ELNS1_3repE0EEENS1_30default_config_static_selectorELNS0_4arch9wavefront6targetE1EEEvT1_
	.p2align	8
	.type	_ZN7rocprim17ROCPRIM_400000_NS6detail17trampoline_kernelINS0_14default_configENS1_25partition_config_selectorILNS1_17partition_subalgoE1EtNS0_10empty_typeEbEEZZNS1_14partition_implILS5_1ELb0ES3_jN6thrust23THRUST_200600_302600_NS6detail15normal_iteratorINSA_10device_ptrItEEEEPS6_NSA_18transform_iteratorI7is_evenItESF_NSA_11use_defaultESK_EENS0_5tupleIJSF_NSA_16discard_iteratorISK_EEEEENSM_IJSG_SG_EEES6_PlJS6_EEE10hipError_tPvRmT3_T4_T5_T6_T7_T9_mT8_P12ihipStream_tbDpT10_ENKUlT_T0_E_clISt17integral_constantIbLb0EES1B_EEDaS16_S17_EUlS16_E_NS1_11comp_targetILNS1_3genE2ELNS1_11target_archE906ELNS1_3gpuE6ELNS1_3repE0EEENS1_30default_config_static_selectorELNS0_4arch9wavefront6targetE1EEEvT1_,@function
_ZN7rocprim17ROCPRIM_400000_NS6detail17trampoline_kernelINS0_14default_configENS1_25partition_config_selectorILNS1_17partition_subalgoE1EtNS0_10empty_typeEbEEZZNS1_14partition_implILS5_1ELb0ES3_jN6thrust23THRUST_200600_302600_NS6detail15normal_iteratorINSA_10device_ptrItEEEEPS6_NSA_18transform_iteratorI7is_evenItESF_NSA_11use_defaultESK_EENS0_5tupleIJSF_NSA_16discard_iteratorISK_EEEEENSM_IJSG_SG_EEES6_PlJS6_EEE10hipError_tPvRmT3_T4_T5_T6_T7_T9_mT8_P12ihipStream_tbDpT10_ENKUlT_T0_E_clISt17integral_constantIbLb0EES1B_EEDaS16_S17_EUlS16_E_NS1_11comp_targetILNS1_3genE2ELNS1_11target_archE906ELNS1_3gpuE6ELNS1_3repE0EEENS1_30default_config_static_selectorELNS0_4arch9wavefront6targetE1EEEvT1_: ; @_ZN7rocprim17ROCPRIM_400000_NS6detail17trampoline_kernelINS0_14default_configENS1_25partition_config_selectorILNS1_17partition_subalgoE1EtNS0_10empty_typeEbEEZZNS1_14partition_implILS5_1ELb0ES3_jN6thrust23THRUST_200600_302600_NS6detail15normal_iteratorINSA_10device_ptrItEEEEPS6_NSA_18transform_iteratorI7is_evenItESF_NSA_11use_defaultESK_EENS0_5tupleIJSF_NSA_16discard_iteratorISK_EEEEENSM_IJSG_SG_EEES6_PlJS6_EEE10hipError_tPvRmT3_T4_T5_T6_T7_T9_mT8_P12ihipStream_tbDpT10_ENKUlT_T0_E_clISt17integral_constantIbLb0EES1B_EEDaS16_S17_EUlS16_E_NS1_11comp_targetILNS1_3genE2ELNS1_11target_archE906ELNS1_3gpuE6ELNS1_3repE0EEENS1_30default_config_static_selectorELNS0_4arch9wavefront6targetE1EEEvT1_
; %bb.0:
	.section	.rodata,"a",@progbits
	.p2align	6, 0x0
	.amdhsa_kernel _ZN7rocprim17ROCPRIM_400000_NS6detail17trampoline_kernelINS0_14default_configENS1_25partition_config_selectorILNS1_17partition_subalgoE1EtNS0_10empty_typeEbEEZZNS1_14partition_implILS5_1ELb0ES3_jN6thrust23THRUST_200600_302600_NS6detail15normal_iteratorINSA_10device_ptrItEEEEPS6_NSA_18transform_iteratorI7is_evenItESF_NSA_11use_defaultESK_EENS0_5tupleIJSF_NSA_16discard_iteratorISK_EEEEENSM_IJSG_SG_EEES6_PlJS6_EEE10hipError_tPvRmT3_T4_T5_T6_T7_T9_mT8_P12ihipStream_tbDpT10_ENKUlT_T0_E_clISt17integral_constantIbLb0EES1B_EEDaS16_S17_EUlS16_E_NS1_11comp_targetILNS1_3genE2ELNS1_11target_archE906ELNS1_3gpuE6ELNS1_3repE0EEENS1_30default_config_static_selectorELNS0_4arch9wavefront6targetE1EEEvT1_
		.amdhsa_group_segment_fixed_size 0
		.amdhsa_private_segment_fixed_size 0
		.amdhsa_kernarg_size 136
		.amdhsa_user_sgpr_count 6
		.amdhsa_user_sgpr_private_segment_buffer 1
		.amdhsa_user_sgpr_dispatch_ptr 0
		.amdhsa_user_sgpr_queue_ptr 0
		.amdhsa_user_sgpr_kernarg_segment_ptr 1
		.amdhsa_user_sgpr_dispatch_id 0
		.amdhsa_user_sgpr_flat_scratch_init 0
		.amdhsa_user_sgpr_kernarg_preload_length 0
		.amdhsa_user_sgpr_kernarg_preload_offset 0
		.amdhsa_user_sgpr_private_segment_size 0
		.amdhsa_uses_dynamic_stack 0
		.amdhsa_system_sgpr_private_segment_wavefront_offset 0
		.amdhsa_system_sgpr_workgroup_id_x 1
		.amdhsa_system_sgpr_workgroup_id_y 0
		.amdhsa_system_sgpr_workgroup_id_z 0
		.amdhsa_system_sgpr_workgroup_info 0
		.amdhsa_system_vgpr_workitem_id 0
		.amdhsa_next_free_vgpr 1
		.amdhsa_next_free_sgpr 0
		.amdhsa_accum_offset 4
		.amdhsa_reserve_vcc 0
		.amdhsa_reserve_flat_scratch 0
		.amdhsa_float_round_mode_32 0
		.amdhsa_float_round_mode_16_64 0
		.amdhsa_float_denorm_mode_32 3
		.amdhsa_float_denorm_mode_16_64 3
		.amdhsa_dx10_clamp 1
		.amdhsa_ieee_mode 1
		.amdhsa_fp16_overflow 0
		.amdhsa_tg_split 0
		.amdhsa_exception_fp_ieee_invalid_op 0
		.amdhsa_exception_fp_denorm_src 0
		.amdhsa_exception_fp_ieee_div_zero 0
		.amdhsa_exception_fp_ieee_overflow 0
		.amdhsa_exception_fp_ieee_underflow 0
		.amdhsa_exception_fp_ieee_inexact 0
		.amdhsa_exception_int_div_zero 0
	.end_amdhsa_kernel
	.section	.text._ZN7rocprim17ROCPRIM_400000_NS6detail17trampoline_kernelINS0_14default_configENS1_25partition_config_selectorILNS1_17partition_subalgoE1EtNS0_10empty_typeEbEEZZNS1_14partition_implILS5_1ELb0ES3_jN6thrust23THRUST_200600_302600_NS6detail15normal_iteratorINSA_10device_ptrItEEEEPS6_NSA_18transform_iteratorI7is_evenItESF_NSA_11use_defaultESK_EENS0_5tupleIJSF_NSA_16discard_iteratorISK_EEEEENSM_IJSG_SG_EEES6_PlJS6_EEE10hipError_tPvRmT3_T4_T5_T6_T7_T9_mT8_P12ihipStream_tbDpT10_ENKUlT_T0_E_clISt17integral_constantIbLb0EES1B_EEDaS16_S17_EUlS16_E_NS1_11comp_targetILNS1_3genE2ELNS1_11target_archE906ELNS1_3gpuE6ELNS1_3repE0EEENS1_30default_config_static_selectorELNS0_4arch9wavefront6targetE1EEEvT1_,"axG",@progbits,_ZN7rocprim17ROCPRIM_400000_NS6detail17trampoline_kernelINS0_14default_configENS1_25partition_config_selectorILNS1_17partition_subalgoE1EtNS0_10empty_typeEbEEZZNS1_14partition_implILS5_1ELb0ES3_jN6thrust23THRUST_200600_302600_NS6detail15normal_iteratorINSA_10device_ptrItEEEEPS6_NSA_18transform_iteratorI7is_evenItESF_NSA_11use_defaultESK_EENS0_5tupleIJSF_NSA_16discard_iteratorISK_EEEEENSM_IJSG_SG_EEES6_PlJS6_EEE10hipError_tPvRmT3_T4_T5_T6_T7_T9_mT8_P12ihipStream_tbDpT10_ENKUlT_T0_E_clISt17integral_constantIbLb0EES1B_EEDaS16_S17_EUlS16_E_NS1_11comp_targetILNS1_3genE2ELNS1_11target_archE906ELNS1_3gpuE6ELNS1_3repE0EEENS1_30default_config_static_selectorELNS0_4arch9wavefront6targetE1EEEvT1_,comdat
.Lfunc_end3103:
	.size	_ZN7rocprim17ROCPRIM_400000_NS6detail17trampoline_kernelINS0_14default_configENS1_25partition_config_selectorILNS1_17partition_subalgoE1EtNS0_10empty_typeEbEEZZNS1_14partition_implILS5_1ELb0ES3_jN6thrust23THRUST_200600_302600_NS6detail15normal_iteratorINSA_10device_ptrItEEEEPS6_NSA_18transform_iteratorI7is_evenItESF_NSA_11use_defaultESK_EENS0_5tupleIJSF_NSA_16discard_iteratorISK_EEEEENSM_IJSG_SG_EEES6_PlJS6_EEE10hipError_tPvRmT3_T4_T5_T6_T7_T9_mT8_P12ihipStream_tbDpT10_ENKUlT_T0_E_clISt17integral_constantIbLb0EES1B_EEDaS16_S17_EUlS16_E_NS1_11comp_targetILNS1_3genE2ELNS1_11target_archE906ELNS1_3gpuE6ELNS1_3repE0EEENS1_30default_config_static_selectorELNS0_4arch9wavefront6targetE1EEEvT1_, .Lfunc_end3103-_ZN7rocprim17ROCPRIM_400000_NS6detail17trampoline_kernelINS0_14default_configENS1_25partition_config_selectorILNS1_17partition_subalgoE1EtNS0_10empty_typeEbEEZZNS1_14partition_implILS5_1ELb0ES3_jN6thrust23THRUST_200600_302600_NS6detail15normal_iteratorINSA_10device_ptrItEEEEPS6_NSA_18transform_iteratorI7is_evenItESF_NSA_11use_defaultESK_EENS0_5tupleIJSF_NSA_16discard_iteratorISK_EEEEENSM_IJSG_SG_EEES6_PlJS6_EEE10hipError_tPvRmT3_T4_T5_T6_T7_T9_mT8_P12ihipStream_tbDpT10_ENKUlT_T0_E_clISt17integral_constantIbLb0EES1B_EEDaS16_S17_EUlS16_E_NS1_11comp_targetILNS1_3genE2ELNS1_11target_archE906ELNS1_3gpuE6ELNS1_3repE0EEENS1_30default_config_static_selectorELNS0_4arch9wavefront6targetE1EEEvT1_
                                        ; -- End function
	.section	.AMDGPU.csdata,"",@progbits
; Kernel info:
; codeLenInByte = 0
; NumSgprs: 4
; NumVgprs: 0
; NumAgprs: 0
; TotalNumVgprs: 0
; ScratchSize: 0
; MemoryBound: 0
; FloatMode: 240
; IeeeMode: 1
; LDSByteSize: 0 bytes/workgroup (compile time only)
; SGPRBlocks: 0
; VGPRBlocks: 0
; NumSGPRsForWavesPerEU: 4
; NumVGPRsForWavesPerEU: 1
; AccumOffset: 4
; Occupancy: 8
; WaveLimiterHint : 0
; COMPUTE_PGM_RSRC2:SCRATCH_EN: 0
; COMPUTE_PGM_RSRC2:USER_SGPR: 6
; COMPUTE_PGM_RSRC2:TRAP_HANDLER: 0
; COMPUTE_PGM_RSRC2:TGID_X_EN: 1
; COMPUTE_PGM_RSRC2:TGID_Y_EN: 0
; COMPUTE_PGM_RSRC2:TGID_Z_EN: 0
; COMPUTE_PGM_RSRC2:TIDIG_COMP_CNT: 0
; COMPUTE_PGM_RSRC3_GFX90A:ACCUM_OFFSET: 0
; COMPUTE_PGM_RSRC3_GFX90A:TG_SPLIT: 0
	.section	.text._ZN7rocprim17ROCPRIM_400000_NS6detail17trampoline_kernelINS0_14default_configENS1_25partition_config_selectorILNS1_17partition_subalgoE1EtNS0_10empty_typeEbEEZZNS1_14partition_implILS5_1ELb0ES3_jN6thrust23THRUST_200600_302600_NS6detail15normal_iteratorINSA_10device_ptrItEEEEPS6_NSA_18transform_iteratorI7is_evenItESF_NSA_11use_defaultESK_EENS0_5tupleIJSF_NSA_16discard_iteratorISK_EEEEENSM_IJSG_SG_EEES6_PlJS6_EEE10hipError_tPvRmT3_T4_T5_T6_T7_T9_mT8_P12ihipStream_tbDpT10_ENKUlT_T0_E_clISt17integral_constantIbLb0EES1B_EEDaS16_S17_EUlS16_E_NS1_11comp_targetILNS1_3genE10ELNS1_11target_archE1200ELNS1_3gpuE4ELNS1_3repE0EEENS1_30default_config_static_selectorELNS0_4arch9wavefront6targetE1EEEvT1_,"axG",@progbits,_ZN7rocprim17ROCPRIM_400000_NS6detail17trampoline_kernelINS0_14default_configENS1_25partition_config_selectorILNS1_17partition_subalgoE1EtNS0_10empty_typeEbEEZZNS1_14partition_implILS5_1ELb0ES3_jN6thrust23THRUST_200600_302600_NS6detail15normal_iteratorINSA_10device_ptrItEEEEPS6_NSA_18transform_iteratorI7is_evenItESF_NSA_11use_defaultESK_EENS0_5tupleIJSF_NSA_16discard_iteratorISK_EEEEENSM_IJSG_SG_EEES6_PlJS6_EEE10hipError_tPvRmT3_T4_T5_T6_T7_T9_mT8_P12ihipStream_tbDpT10_ENKUlT_T0_E_clISt17integral_constantIbLb0EES1B_EEDaS16_S17_EUlS16_E_NS1_11comp_targetILNS1_3genE10ELNS1_11target_archE1200ELNS1_3gpuE4ELNS1_3repE0EEENS1_30default_config_static_selectorELNS0_4arch9wavefront6targetE1EEEvT1_,comdat
	.protected	_ZN7rocprim17ROCPRIM_400000_NS6detail17trampoline_kernelINS0_14default_configENS1_25partition_config_selectorILNS1_17partition_subalgoE1EtNS0_10empty_typeEbEEZZNS1_14partition_implILS5_1ELb0ES3_jN6thrust23THRUST_200600_302600_NS6detail15normal_iteratorINSA_10device_ptrItEEEEPS6_NSA_18transform_iteratorI7is_evenItESF_NSA_11use_defaultESK_EENS0_5tupleIJSF_NSA_16discard_iteratorISK_EEEEENSM_IJSG_SG_EEES6_PlJS6_EEE10hipError_tPvRmT3_T4_T5_T6_T7_T9_mT8_P12ihipStream_tbDpT10_ENKUlT_T0_E_clISt17integral_constantIbLb0EES1B_EEDaS16_S17_EUlS16_E_NS1_11comp_targetILNS1_3genE10ELNS1_11target_archE1200ELNS1_3gpuE4ELNS1_3repE0EEENS1_30default_config_static_selectorELNS0_4arch9wavefront6targetE1EEEvT1_ ; -- Begin function _ZN7rocprim17ROCPRIM_400000_NS6detail17trampoline_kernelINS0_14default_configENS1_25partition_config_selectorILNS1_17partition_subalgoE1EtNS0_10empty_typeEbEEZZNS1_14partition_implILS5_1ELb0ES3_jN6thrust23THRUST_200600_302600_NS6detail15normal_iteratorINSA_10device_ptrItEEEEPS6_NSA_18transform_iteratorI7is_evenItESF_NSA_11use_defaultESK_EENS0_5tupleIJSF_NSA_16discard_iteratorISK_EEEEENSM_IJSG_SG_EEES6_PlJS6_EEE10hipError_tPvRmT3_T4_T5_T6_T7_T9_mT8_P12ihipStream_tbDpT10_ENKUlT_T0_E_clISt17integral_constantIbLb0EES1B_EEDaS16_S17_EUlS16_E_NS1_11comp_targetILNS1_3genE10ELNS1_11target_archE1200ELNS1_3gpuE4ELNS1_3repE0EEENS1_30default_config_static_selectorELNS0_4arch9wavefront6targetE1EEEvT1_
	.globl	_ZN7rocprim17ROCPRIM_400000_NS6detail17trampoline_kernelINS0_14default_configENS1_25partition_config_selectorILNS1_17partition_subalgoE1EtNS0_10empty_typeEbEEZZNS1_14partition_implILS5_1ELb0ES3_jN6thrust23THRUST_200600_302600_NS6detail15normal_iteratorINSA_10device_ptrItEEEEPS6_NSA_18transform_iteratorI7is_evenItESF_NSA_11use_defaultESK_EENS0_5tupleIJSF_NSA_16discard_iteratorISK_EEEEENSM_IJSG_SG_EEES6_PlJS6_EEE10hipError_tPvRmT3_T4_T5_T6_T7_T9_mT8_P12ihipStream_tbDpT10_ENKUlT_T0_E_clISt17integral_constantIbLb0EES1B_EEDaS16_S17_EUlS16_E_NS1_11comp_targetILNS1_3genE10ELNS1_11target_archE1200ELNS1_3gpuE4ELNS1_3repE0EEENS1_30default_config_static_selectorELNS0_4arch9wavefront6targetE1EEEvT1_
	.p2align	8
	.type	_ZN7rocprim17ROCPRIM_400000_NS6detail17trampoline_kernelINS0_14default_configENS1_25partition_config_selectorILNS1_17partition_subalgoE1EtNS0_10empty_typeEbEEZZNS1_14partition_implILS5_1ELb0ES3_jN6thrust23THRUST_200600_302600_NS6detail15normal_iteratorINSA_10device_ptrItEEEEPS6_NSA_18transform_iteratorI7is_evenItESF_NSA_11use_defaultESK_EENS0_5tupleIJSF_NSA_16discard_iteratorISK_EEEEENSM_IJSG_SG_EEES6_PlJS6_EEE10hipError_tPvRmT3_T4_T5_T6_T7_T9_mT8_P12ihipStream_tbDpT10_ENKUlT_T0_E_clISt17integral_constantIbLb0EES1B_EEDaS16_S17_EUlS16_E_NS1_11comp_targetILNS1_3genE10ELNS1_11target_archE1200ELNS1_3gpuE4ELNS1_3repE0EEENS1_30default_config_static_selectorELNS0_4arch9wavefront6targetE1EEEvT1_,@function
_ZN7rocprim17ROCPRIM_400000_NS6detail17trampoline_kernelINS0_14default_configENS1_25partition_config_selectorILNS1_17partition_subalgoE1EtNS0_10empty_typeEbEEZZNS1_14partition_implILS5_1ELb0ES3_jN6thrust23THRUST_200600_302600_NS6detail15normal_iteratorINSA_10device_ptrItEEEEPS6_NSA_18transform_iteratorI7is_evenItESF_NSA_11use_defaultESK_EENS0_5tupleIJSF_NSA_16discard_iteratorISK_EEEEENSM_IJSG_SG_EEES6_PlJS6_EEE10hipError_tPvRmT3_T4_T5_T6_T7_T9_mT8_P12ihipStream_tbDpT10_ENKUlT_T0_E_clISt17integral_constantIbLb0EES1B_EEDaS16_S17_EUlS16_E_NS1_11comp_targetILNS1_3genE10ELNS1_11target_archE1200ELNS1_3gpuE4ELNS1_3repE0EEENS1_30default_config_static_selectorELNS0_4arch9wavefront6targetE1EEEvT1_: ; @_ZN7rocprim17ROCPRIM_400000_NS6detail17trampoline_kernelINS0_14default_configENS1_25partition_config_selectorILNS1_17partition_subalgoE1EtNS0_10empty_typeEbEEZZNS1_14partition_implILS5_1ELb0ES3_jN6thrust23THRUST_200600_302600_NS6detail15normal_iteratorINSA_10device_ptrItEEEEPS6_NSA_18transform_iteratorI7is_evenItESF_NSA_11use_defaultESK_EENS0_5tupleIJSF_NSA_16discard_iteratorISK_EEEEENSM_IJSG_SG_EEES6_PlJS6_EEE10hipError_tPvRmT3_T4_T5_T6_T7_T9_mT8_P12ihipStream_tbDpT10_ENKUlT_T0_E_clISt17integral_constantIbLb0EES1B_EEDaS16_S17_EUlS16_E_NS1_11comp_targetILNS1_3genE10ELNS1_11target_archE1200ELNS1_3gpuE4ELNS1_3repE0EEENS1_30default_config_static_selectorELNS0_4arch9wavefront6targetE1EEEvT1_
; %bb.0:
	.section	.rodata,"a",@progbits
	.p2align	6, 0x0
	.amdhsa_kernel _ZN7rocprim17ROCPRIM_400000_NS6detail17trampoline_kernelINS0_14default_configENS1_25partition_config_selectorILNS1_17partition_subalgoE1EtNS0_10empty_typeEbEEZZNS1_14partition_implILS5_1ELb0ES3_jN6thrust23THRUST_200600_302600_NS6detail15normal_iteratorINSA_10device_ptrItEEEEPS6_NSA_18transform_iteratorI7is_evenItESF_NSA_11use_defaultESK_EENS0_5tupleIJSF_NSA_16discard_iteratorISK_EEEEENSM_IJSG_SG_EEES6_PlJS6_EEE10hipError_tPvRmT3_T4_T5_T6_T7_T9_mT8_P12ihipStream_tbDpT10_ENKUlT_T0_E_clISt17integral_constantIbLb0EES1B_EEDaS16_S17_EUlS16_E_NS1_11comp_targetILNS1_3genE10ELNS1_11target_archE1200ELNS1_3gpuE4ELNS1_3repE0EEENS1_30default_config_static_selectorELNS0_4arch9wavefront6targetE1EEEvT1_
		.amdhsa_group_segment_fixed_size 0
		.amdhsa_private_segment_fixed_size 0
		.amdhsa_kernarg_size 136
		.amdhsa_user_sgpr_count 6
		.amdhsa_user_sgpr_private_segment_buffer 1
		.amdhsa_user_sgpr_dispatch_ptr 0
		.amdhsa_user_sgpr_queue_ptr 0
		.amdhsa_user_sgpr_kernarg_segment_ptr 1
		.amdhsa_user_sgpr_dispatch_id 0
		.amdhsa_user_sgpr_flat_scratch_init 0
		.amdhsa_user_sgpr_kernarg_preload_length 0
		.amdhsa_user_sgpr_kernarg_preload_offset 0
		.amdhsa_user_sgpr_private_segment_size 0
		.amdhsa_uses_dynamic_stack 0
		.amdhsa_system_sgpr_private_segment_wavefront_offset 0
		.amdhsa_system_sgpr_workgroup_id_x 1
		.amdhsa_system_sgpr_workgroup_id_y 0
		.amdhsa_system_sgpr_workgroup_id_z 0
		.amdhsa_system_sgpr_workgroup_info 0
		.amdhsa_system_vgpr_workitem_id 0
		.amdhsa_next_free_vgpr 1
		.amdhsa_next_free_sgpr 0
		.amdhsa_accum_offset 4
		.amdhsa_reserve_vcc 0
		.amdhsa_reserve_flat_scratch 0
		.amdhsa_float_round_mode_32 0
		.amdhsa_float_round_mode_16_64 0
		.amdhsa_float_denorm_mode_32 3
		.amdhsa_float_denorm_mode_16_64 3
		.amdhsa_dx10_clamp 1
		.amdhsa_ieee_mode 1
		.amdhsa_fp16_overflow 0
		.amdhsa_tg_split 0
		.amdhsa_exception_fp_ieee_invalid_op 0
		.amdhsa_exception_fp_denorm_src 0
		.amdhsa_exception_fp_ieee_div_zero 0
		.amdhsa_exception_fp_ieee_overflow 0
		.amdhsa_exception_fp_ieee_underflow 0
		.amdhsa_exception_fp_ieee_inexact 0
		.amdhsa_exception_int_div_zero 0
	.end_amdhsa_kernel
	.section	.text._ZN7rocprim17ROCPRIM_400000_NS6detail17trampoline_kernelINS0_14default_configENS1_25partition_config_selectorILNS1_17partition_subalgoE1EtNS0_10empty_typeEbEEZZNS1_14partition_implILS5_1ELb0ES3_jN6thrust23THRUST_200600_302600_NS6detail15normal_iteratorINSA_10device_ptrItEEEEPS6_NSA_18transform_iteratorI7is_evenItESF_NSA_11use_defaultESK_EENS0_5tupleIJSF_NSA_16discard_iteratorISK_EEEEENSM_IJSG_SG_EEES6_PlJS6_EEE10hipError_tPvRmT3_T4_T5_T6_T7_T9_mT8_P12ihipStream_tbDpT10_ENKUlT_T0_E_clISt17integral_constantIbLb0EES1B_EEDaS16_S17_EUlS16_E_NS1_11comp_targetILNS1_3genE10ELNS1_11target_archE1200ELNS1_3gpuE4ELNS1_3repE0EEENS1_30default_config_static_selectorELNS0_4arch9wavefront6targetE1EEEvT1_,"axG",@progbits,_ZN7rocprim17ROCPRIM_400000_NS6detail17trampoline_kernelINS0_14default_configENS1_25partition_config_selectorILNS1_17partition_subalgoE1EtNS0_10empty_typeEbEEZZNS1_14partition_implILS5_1ELb0ES3_jN6thrust23THRUST_200600_302600_NS6detail15normal_iteratorINSA_10device_ptrItEEEEPS6_NSA_18transform_iteratorI7is_evenItESF_NSA_11use_defaultESK_EENS0_5tupleIJSF_NSA_16discard_iteratorISK_EEEEENSM_IJSG_SG_EEES6_PlJS6_EEE10hipError_tPvRmT3_T4_T5_T6_T7_T9_mT8_P12ihipStream_tbDpT10_ENKUlT_T0_E_clISt17integral_constantIbLb0EES1B_EEDaS16_S17_EUlS16_E_NS1_11comp_targetILNS1_3genE10ELNS1_11target_archE1200ELNS1_3gpuE4ELNS1_3repE0EEENS1_30default_config_static_selectorELNS0_4arch9wavefront6targetE1EEEvT1_,comdat
.Lfunc_end3104:
	.size	_ZN7rocprim17ROCPRIM_400000_NS6detail17trampoline_kernelINS0_14default_configENS1_25partition_config_selectorILNS1_17partition_subalgoE1EtNS0_10empty_typeEbEEZZNS1_14partition_implILS5_1ELb0ES3_jN6thrust23THRUST_200600_302600_NS6detail15normal_iteratorINSA_10device_ptrItEEEEPS6_NSA_18transform_iteratorI7is_evenItESF_NSA_11use_defaultESK_EENS0_5tupleIJSF_NSA_16discard_iteratorISK_EEEEENSM_IJSG_SG_EEES6_PlJS6_EEE10hipError_tPvRmT3_T4_T5_T6_T7_T9_mT8_P12ihipStream_tbDpT10_ENKUlT_T0_E_clISt17integral_constantIbLb0EES1B_EEDaS16_S17_EUlS16_E_NS1_11comp_targetILNS1_3genE10ELNS1_11target_archE1200ELNS1_3gpuE4ELNS1_3repE0EEENS1_30default_config_static_selectorELNS0_4arch9wavefront6targetE1EEEvT1_, .Lfunc_end3104-_ZN7rocprim17ROCPRIM_400000_NS6detail17trampoline_kernelINS0_14default_configENS1_25partition_config_selectorILNS1_17partition_subalgoE1EtNS0_10empty_typeEbEEZZNS1_14partition_implILS5_1ELb0ES3_jN6thrust23THRUST_200600_302600_NS6detail15normal_iteratorINSA_10device_ptrItEEEEPS6_NSA_18transform_iteratorI7is_evenItESF_NSA_11use_defaultESK_EENS0_5tupleIJSF_NSA_16discard_iteratorISK_EEEEENSM_IJSG_SG_EEES6_PlJS6_EEE10hipError_tPvRmT3_T4_T5_T6_T7_T9_mT8_P12ihipStream_tbDpT10_ENKUlT_T0_E_clISt17integral_constantIbLb0EES1B_EEDaS16_S17_EUlS16_E_NS1_11comp_targetILNS1_3genE10ELNS1_11target_archE1200ELNS1_3gpuE4ELNS1_3repE0EEENS1_30default_config_static_selectorELNS0_4arch9wavefront6targetE1EEEvT1_
                                        ; -- End function
	.section	.AMDGPU.csdata,"",@progbits
; Kernel info:
; codeLenInByte = 0
; NumSgprs: 4
; NumVgprs: 0
; NumAgprs: 0
; TotalNumVgprs: 0
; ScratchSize: 0
; MemoryBound: 0
; FloatMode: 240
; IeeeMode: 1
; LDSByteSize: 0 bytes/workgroup (compile time only)
; SGPRBlocks: 0
; VGPRBlocks: 0
; NumSGPRsForWavesPerEU: 4
; NumVGPRsForWavesPerEU: 1
; AccumOffset: 4
; Occupancy: 8
; WaveLimiterHint : 0
; COMPUTE_PGM_RSRC2:SCRATCH_EN: 0
; COMPUTE_PGM_RSRC2:USER_SGPR: 6
; COMPUTE_PGM_RSRC2:TRAP_HANDLER: 0
; COMPUTE_PGM_RSRC2:TGID_X_EN: 1
; COMPUTE_PGM_RSRC2:TGID_Y_EN: 0
; COMPUTE_PGM_RSRC2:TGID_Z_EN: 0
; COMPUTE_PGM_RSRC2:TIDIG_COMP_CNT: 0
; COMPUTE_PGM_RSRC3_GFX90A:ACCUM_OFFSET: 0
; COMPUTE_PGM_RSRC3_GFX90A:TG_SPLIT: 0
	.section	.text._ZN7rocprim17ROCPRIM_400000_NS6detail17trampoline_kernelINS0_14default_configENS1_25partition_config_selectorILNS1_17partition_subalgoE1EtNS0_10empty_typeEbEEZZNS1_14partition_implILS5_1ELb0ES3_jN6thrust23THRUST_200600_302600_NS6detail15normal_iteratorINSA_10device_ptrItEEEEPS6_NSA_18transform_iteratorI7is_evenItESF_NSA_11use_defaultESK_EENS0_5tupleIJSF_NSA_16discard_iteratorISK_EEEEENSM_IJSG_SG_EEES6_PlJS6_EEE10hipError_tPvRmT3_T4_T5_T6_T7_T9_mT8_P12ihipStream_tbDpT10_ENKUlT_T0_E_clISt17integral_constantIbLb0EES1B_EEDaS16_S17_EUlS16_E_NS1_11comp_targetILNS1_3genE9ELNS1_11target_archE1100ELNS1_3gpuE3ELNS1_3repE0EEENS1_30default_config_static_selectorELNS0_4arch9wavefront6targetE1EEEvT1_,"axG",@progbits,_ZN7rocprim17ROCPRIM_400000_NS6detail17trampoline_kernelINS0_14default_configENS1_25partition_config_selectorILNS1_17partition_subalgoE1EtNS0_10empty_typeEbEEZZNS1_14partition_implILS5_1ELb0ES3_jN6thrust23THRUST_200600_302600_NS6detail15normal_iteratorINSA_10device_ptrItEEEEPS6_NSA_18transform_iteratorI7is_evenItESF_NSA_11use_defaultESK_EENS0_5tupleIJSF_NSA_16discard_iteratorISK_EEEEENSM_IJSG_SG_EEES6_PlJS6_EEE10hipError_tPvRmT3_T4_T5_T6_T7_T9_mT8_P12ihipStream_tbDpT10_ENKUlT_T0_E_clISt17integral_constantIbLb0EES1B_EEDaS16_S17_EUlS16_E_NS1_11comp_targetILNS1_3genE9ELNS1_11target_archE1100ELNS1_3gpuE3ELNS1_3repE0EEENS1_30default_config_static_selectorELNS0_4arch9wavefront6targetE1EEEvT1_,comdat
	.protected	_ZN7rocprim17ROCPRIM_400000_NS6detail17trampoline_kernelINS0_14default_configENS1_25partition_config_selectorILNS1_17partition_subalgoE1EtNS0_10empty_typeEbEEZZNS1_14partition_implILS5_1ELb0ES3_jN6thrust23THRUST_200600_302600_NS6detail15normal_iteratorINSA_10device_ptrItEEEEPS6_NSA_18transform_iteratorI7is_evenItESF_NSA_11use_defaultESK_EENS0_5tupleIJSF_NSA_16discard_iteratorISK_EEEEENSM_IJSG_SG_EEES6_PlJS6_EEE10hipError_tPvRmT3_T4_T5_T6_T7_T9_mT8_P12ihipStream_tbDpT10_ENKUlT_T0_E_clISt17integral_constantIbLb0EES1B_EEDaS16_S17_EUlS16_E_NS1_11comp_targetILNS1_3genE9ELNS1_11target_archE1100ELNS1_3gpuE3ELNS1_3repE0EEENS1_30default_config_static_selectorELNS0_4arch9wavefront6targetE1EEEvT1_ ; -- Begin function _ZN7rocprim17ROCPRIM_400000_NS6detail17trampoline_kernelINS0_14default_configENS1_25partition_config_selectorILNS1_17partition_subalgoE1EtNS0_10empty_typeEbEEZZNS1_14partition_implILS5_1ELb0ES3_jN6thrust23THRUST_200600_302600_NS6detail15normal_iteratorINSA_10device_ptrItEEEEPS6_NSA_18transform_iteratorI7is_evenItESF_NSA_11use_defaultESK_EENS0_5tupleIJSF_NSA_16discard_iteratorISK_EEEEENSM_IJSG_SG_EEES6_PlJS6_EEE10hipError_tPvRmT3_T4_T5_T6_T7_T9_mT8_P12ihipStream_tbDpT10_ENKUlT_T0_E_clISt17integral_constantIbLb0EES1B_EEDaS16_S17_EUlS16_E_NS1_11comp_targetILNS1_3genE9ELNS1_11target_archE1100ELNS1_3gpuE3ELNS1_3repE0EEENS1_30default_config_static_selectorELNS0_4arch9wavefront6targetE1EEEvT1_
	.globl	_ZN7rocprim17ROCPRIM_400000_NS6detail17trampoline_kernelINS0_14default_configENS1_25partition_config_selectorILNS1_17partition_subalgoE1EtNS0_10empty_typeEbEEZZNS1_14partition_implILS5_1ELb0ES3_jN6thrust23THRUST_200600_302600_NS6detail15normal_iteratorINSA_10device_ptrItEEEEPS6_NSA_18transform_iteratorI7is_evenItESF_NSA_11use_defaultESK_EENS0_5tupleIJSF_NSA_16discard_iteratorISK_EEEEENSM_IJSG_SG_EEES6_PlJS6_EEE10hipError_tPvRmT3_T4_T5_T6_T7_T9_mT8_P12ihipStream_tbDpT10_ENKUlT_T0_E_clISt17integral_constantIbLb0EES1B_EEDaS16_S17_EUlS16_E_NS1_11comp_targetILNS1_3genE9ELNS1_11target_archE1100ELNS1_3gpuE3ELNS1_3repE0EEENS1_30default_config_static_selectorELNS0_4arch9wavefront6targetE1EEEvT1_
	.p2align	8
	.type	_ZN7rocprim17ROCPRIM_400000_NS6detail17trampoline_kernelINS0_14default_configENS1_25partition_config_selectorILNS1_17partition_subalgoE1EtNS0_10empty_typeEbEEZZNS1_14partition_implILS5_1ELb0ES3_jN6thrust23THRUST_200600_302600_NS6detail15normal_iteratorINSA_10device_ptrItEEEEPS6_NSA_18transform_iteratorI7is_evenItESF_NSA_11use_defaultESK_EENS0_5tupleIJSF_NSA_16discard_iteratorISK_EEEEENSM_IJSG_SG_EEES6_PlJS6_EEE10hipError_tPvRmT3_T4_T5_T6_T7_T9_mT8_P12ihipStream_tbDpT10_ENKUlT_T0_E_clISt17integral_constantIbLb0EES1B_EEDaS16_S17_EUlS16_E_NS1_11comp_targetILNS1_3genE9ELNS1_11target_archE1100ELNS1_3gpuE3ELNS1_3repE0EEENS1_30default_config_static_selectorELNS0_4arch9wavefront6targetE1EEEvT1_,@function
_ZN7rocprim17ROCPRIM_400000_NS6detail17trampoline_kernelINS0_14default_configENS1_25partition_config_selectorILNS1_17partition_subalgoE1EtNS0_10empty_typeEbEEZZNS1_14partition_implILS5_1ELb0ES3_jN6thrust23THRUST_200600_302600_NS6detail15normal_iteratorINSA_10device_ptrItEEEEPS6_NSA_18transform_iteratorI7is_evenItESF_NSA_11use_defaultESK_EENS0_5tupleIJSF_NSA_16discard_iteratorISK_EEEEENSM_IJSG_SG_EEES6_PlJS6_EEE10hipError_tPvRmT3_T4_T5_T6_T7_T9_mT8_P12ihipStream_tbDpT10_ENKUlT_T0_E_clISt17integral_constantIbLb0EES1B_EEDaS16_S17_EUlS16_E_NS1_11comp_targetILNS1_3genE9ELNS1_11target_archE1100ELNS1_3gpuE3ELNS1_3repE0EEENS1_30default_config_static_selectorELNS0_4arch9wavefront6targetE1EEEvT1_: ; @_ZN7rocprim17ROCPRIM_400000_NS6detail17trampoline_kernelINS0_14default_configENS1_25partition_config_selectorILNS1_17partition_subalgoE1EtNS0_10empty_typeEbEEZZNS1_14partition_implILS5_1ELb0ES3_jN6thrust23THRUST_200600_302600_NS6detail15normal_iteratorINSA_10device_ptrItEEEEPS6_NSA_18transform_iteratorI7is_evenItESF_NSA_11use_defaultESK_EENS0_5tupleIJSF_NSA_16discard_iteratorISK_EEEEENSM_IJSG_SG_EEES6_PlJS6_EEE10hipError_tPvRmT3_T4_T5_T6_T7_T9_mT8_P12ihipStream_tbDpT10_ENKUlT_T0_E_clISt17integral_constantIbLb0EES1B_EEDaS16_S17_EUlS16_E_NS1_11comp_targetILNS1_3genE9ELNS1_11target_archE1100ELNS1_3gpuE3ELNS1_3repE0EEENS1_30default_config_static_selectorELNS0_4arch9wavefront6targetE1EEEvT1_
; %bb.0:
	.section	.rodata,"a",@progbits
	.p2align	6, 0x0
	.amdhsa_kernel _ZN7rocprim17ROCPRIM_400000_NS6detail17trampoline_kernelINS0_14default_configENS1_25partition_config_selectorILNS1_17partition_subalgoE1EtNS0_10empty_typeEbEEZZNS1_14partition_implILS5_1ELb0ES3_jN6thrust23THRUST_200600_302600_NS6detail15normal_iteratorINSA_10device_ptrItEEEEPS6_NSA_18transform_iteratorI7is_evenItESF_NSA_11use_defaultESK_EENS0_5tupleIJSF_NSA_16discard_iteratorISK_EEEEENSM_IJSG_SG_EEES6_PlJS6_EEE10hipError_tPvRmT3_T4_T5_T6_T7_T9_mT8_P12ihipStream_tbDpT10_ENKUlT_T0_E_clISt17integral_constantIbLb0EES1B_EEDaS16_S17_EUlS16_E_NS1_11comp_targetILNS1_3genE9ELNS1_11target_archE1100ELNS1_3gpuE3ELNS1_3repE0EEENS1_30default_config_static_selectorELNS0_4arch9wavefront6targetE1EEEvT1_
		.amdhsa_group_segment_fixed_size 0
		.amdhsa_private_segment_fixed_size 0
		.amdhsa_kernarg_size 136
		.amdhsa_user_sgpr_count 6
		.amdhsa_user_sgpr_private_segment_buffer 1
		.amdhsa_user_sgpr_dispatch_ptr 0
		.amdhsa_user_sgpr_queue_ptr 0
		.amdhsa_user_sgpr_kernarg_segment_ptr 1
		.amdhsa_user_sgpr_dispatch_id 0
		.amdhsa_user_sgpr_flat_scratch_init 0
		.amdhsa_user_sgpr_kernarg_preload_length 0
		.amdhsa_user_sgpr_kernarg_preload_offset 0
		.amdhsa_user_sgpr_private_segment_size 0
		.amdhsa_uses_dynamic_stack 0
		.amdhsa_system_sgpr_private_segment_wavefront_offset 0
		.amdhsa_system_sgpr_workgroup_id_x 1
		.amdhsa_system_sgpr_workgroup_id_y 0
		.amdhsa_system_sgpr_workgroup_id_z 0
		.amdhsa_system_sgpr_workgroup_info 0
		.amdhsa_system_vgpr_workitem_id 0
		.amdhsa_next_free_vgpr 1
		.amdhsa_next_free_sgpr 0
		.amdhsa_accum_offset 4
		.amdhsa_reserve_vcc 0
		.amdhsa_reserve_flat_scratch 0
		.amdhsa_float_round_mode_32 0
		.amdhsa_float_round_mode_16_64 0
		.amdhsa_float_denorm_mode_32 3
		.amdhsa_float_denorm_mode_16_64 3
		.amdhsa_dx10_clamp 1
		.amdhsa_ieee_mode 1
		.amdhsa_fp16_overflow 0
		.amdhsa_tg_split 0
		.amdhsa_exception_fp_ieee_invalid_op 0
		.amdhsa_exception_fp_denorm_src 0
		.amdhsa_exception_fp_ieee_div_zero 0
		.amdhsa_exception_fp_ieee_overflow 0
		.amdhsa_exception_fp_ieee_underflow 0
		.amdhsa_exception_fp_ieee_inexact 0
		.amdhsa_exception_int_div_zero 0
	.end_amdhsa_kernel
	.section	.text._ZN7rocprim17ROCPRIM_400000_NS6detail17trampoline_kernelINS0_14default_configENS1_25partition_config_selectorILNS1_17partition_subalgoE1EtNS0_10empty_typeEbEEZZNS1_14partition_implILS5_1ELb0ES3_jN6thrust23THRUST_200600_302600_NS6detail15normal_iteratorINSA_10device_ptrItEEEEPS6_NSA_18transform_iteratorI7is_evenItESF_NSA_11use_defaultESK_EENS0_5tupleIJSF_NSA_16discard_iteratorISK_EEEEENSM_IJSG_SG_EEES6_PlJS6_EEE10hipError_tPvRmT3_T4_T5_T6_T7_T9_mT8_P12ihipStream_tbDpT10_ENKUlT_T0_E_clISt17integral_constantIbLb0EES1B_EEDaS16_S17_EUlS16_E_NS1_11comp_targetILNS1_3genE9ELNS1_11target_archE1100ELNS1_3gpuE3ELNS1_3repE0EEENS1_30default_config_static_selectorELNS0_4arch9wavefront6targetE1EEEvT1_,"axG",@progbits,_ZN7rocprim17ROCPRIM_400000_NS6detail17trampoline_kernelINS0_14default_configENS1_25partition_config_selectorILNS1_17partition_subalgoE1EtNS0_10empty_typeEbEEZZNS1_14partition_implILS5_1ELb0ES3_jN6thrust23THRUST_200600_302600_NS6detail15normal_iteratorINSA_10device_ptrItEEEEPS6_NSA_18transform_iteratorI7is_evenItESF_NSA_11use_defaultESK_EENS0_5tupleIJSF_NSA_16discard_iteratorISK_EEEEENSM_IJSG_SG_EEES6_PlJS6_EEE10hipError_tPvRmT3_T4_T5_T6_T7_T9_mT8_P12ihipStream_tbDpT10_ENKUlT_T0_E_clISt17integral_constantIbLb0EES1B_EEDaS16_S17_EUlS16_E_NS1_11comp_targetILNS1_3genE9ELNS1_11target_archE1100ELNS1_3gpuE3ELNS1_3repE0EEENS1_30default_config_static_selectorELNS0_4arch9wavefront6targetE1EEEvT1_,comdat
.Lfunc_end3105:
	.size	_ZN7rocprim17ROCPRIM_400000_NS6detail17trampoline_kernelINS0_14default_configENS1_25partition_config_selectorILNS1_17partition_subalgoE1EtNS0_10empty_typeEbEEZZNS1_14partition_implILS5_1ELb0ES3_jN6thrust23THRUST_200600_302600_NS6detail15normal_iteratorINSA_10device_ptrItEEEEPS6_NSA_18transform_iteratorI7is_evenItESF_NSA_11use_defaultESK_EENS0_5tupleIJSF_NSA_16discard_iteratorISK_EEEEENSM_IJSG_SG_EEES6_PlJS6_EEE10hipError_tPvRmT3_T4_T5_T6_T7_T9_mT8_P12ihipStream_tbDpT10_ENKUlT_T0_E_clISt17integral_constantIbLb0EES1B_EEDaS16_S17_EUlS16_E_NS1_11comp_targetILNS1_3genE9ELNS1_11target_archE1100ELNS1_3gpuE3ELNS1_3repE0EEENS1_30default_config_static_selectorELNS0_4arch9wavefront6targetE1EEEvT1_, .Lfunc_end3105-_ZN7rocprim17ROCPRIM_400000_NS6detail17trampoline_kernelINS0_14default_configENS1_25partition_config_selectorILNS1_17partition_subalgoE1EtNS0_10empty_typeEbEEZZNS1_14partition_implILS5_1ELb0ES3_jN6thrust23THRUST_200600_302600_NS6detail15normal_iteratorINSA_10device_ptrItEEEEPS6_NSA_18transform_iteratorI7is_evenItESF_NSA_11use_defaultESK_EENS0_5tupleIJSF_NSA_16discard_iteratorISK_EEEEENSM_IJSG_SG_EEES6_PlJS6_EEE10hipError_tPvRmT3_T4_T5_T6_T7_T9_mT8_P12ihipStream_tbDpT10_ENKUlT_T0_E_clISt17integral_constantIbLb0EES1B_EEDaS16_S17_EUlS16_E_NS1_11comp_targetILNS1_3genE9ELNS1_11target_archE1100ELNS1_3gpuE3ELNS1_3repE0EEENS1_30default_config_static_selectorELNS0_4arch9wavefront6targetE1EEEvT1_
                                        ; -- End function
	.section	.AMDGPU.csdata,"",@progbits
; Kernel info:
; codeLenInByte = 0
; NumSgprs: 4
; NumVgprs: 0
; NumAgprs: 0
; TotalNumVgprs: 0
; ScratchSize: 0
; MemoryBound: 0
; FloatMode: 240
; IeeeMode: 1
; LDSByteSize: 0 bytes/workgroup (compile time only)
; SGPRBlocks: 0
; VGPRBlocks: 0
; NumSGPRsForWavesPerEU: 4
; NumVGPRsForWavesPerEU: 1
; AccumOffset: 4
; Occupancy: 8
; WaveLimiterHint : 0
; COMPUTE_PGM_RSRC2:SCRATCH_EN: 0
; COMPUTE_PGM_RSRC2:USER_SGPR: 6
; COMPUTE_PGM_RSRC2:TRAP_HANDLER: 0
; COMPUTE_PGM_RSRC2:TGID_X_EN: 1
; COMPUTE_PGM_RSRC2:TGID_Y_EN: 0
; COMPUTE_PGM_RSRC2:TGID_Z_EN: 0
; COMPUTE_PGM_RSRC2:TIDIG_COMP_CNT: 0
; COMPUTE_PGM_RSRC3_GFX90A:ACCUM_OFFSET: 0
; COMPUTE_PGM_RSRC3_GFX90A:TG_SPLIT: 0
	.section	.text._ZN7rocprim17ROCPRIM_400000_NS6detail17trampoline_kernelINS0_14default_configENS1_25partition_config_selectorILNS1_17partition_subalgoE1EtNS0_10empty_typeEbEEZZNS1_14partition_implILS5_1ELb0ES3_jN6thrust23THRUST_200600_302600_NS6detail15normal_iteratorINSA_10device_ptrItEEEEPS6_NSA_18transform_iteratorI7is_evenItESF_NSA_11use_defaultESK_EENS0_5tupleIJSF_NSA_16discard_iteratorISK_EEEEENSM_IJSG_SG_EEES6_PlJS6_EEE10hipError_tPvRmT3_T4_T5_T6_T7_T9_mT8_P12ihipStream_tbDpT10_ENKUlT_T0_E_clISt17integral_constantIbLb0EES1B_EEDaS16_S17_EUlS16_E_NS1_11comp_targetILNS1_3genE8ELNS1_11target_archE1030ELNS1_3gpuE2ELNS1_3repE0EEENS1_30default_config_static_selectorELNS0_4arch9wavefront6targetE1EEEvT1_,"axG",@progbits,_ZN7rocprim17ROCPRIM_400000_NS6detail17trampoline_kernelINS0_14default_configENS1_25partition_config_selectorILNS1_17partition_subalgoE1EtNS0_10empty_typeEbEEZZNS1_14partition_implILS5_1ELb0ES3_jN6thrust23THRUST_200600_302600_NS6detail15normal_iteratorINSA_10device_ptrItEEEEPS6_NSA_18transform_iteratorI7is_evenItESF_NSA_11use_defaultESK_EENS0_5tupleIJSF_NSA_16discard_iteratorISK_EEEEENSM_IJSG_SG_EEES6_PlJS6_EEE10hipError_tPvRmT3_T4_T5_T6_T7_T9_mT8_P12ihipStream_tbDpT10_ENKUlT_T0_E_clISt17integral_constantIbLb0EES1B_EEDaS16_S17_EUlS16_E_NS1_11comp_targetILNS1_3genE8ELNS1_11target_archE1030ELNS1_3gpuE2ELNS1_3repE0EEENS1_30default_config_static_selectorELNS0_4arch9wavefront6targetE1EEEvT1_,comdat
	.protected	_ZN7rocprim17ROCPRIM_400000_NS6detail17trampoline_kernelINS0_14default_configENS1_25partition_config_selectorILNS1_17partition_subalgoE1EtNS0_10empty_typeEbEEZZNS1_14partition_implILS5_1ELb0ES3_jN6thrust23THRUST_200600_302600_NS6detail15normal_iteratorINSA_10device_ptrItEEEEPS6_NSA_18transform_iteratorI7is_evenItESF_NSA_11use_defaultESK_EENS0_5tupleIJSF_NSA_16discard_iteratorISK_EEEEENSM_IJSG_SG_EEES6_PlJS6_EEE10hipError_tPvRmT3_T4_T5_T6_T7_T9_mT8_P12ihipStream_tbDpT10_ENKUlT_T0_E_clISt17integral_constantIbLb0EES1B_EEDaS16_S17_EUlS16_E_NS1_11comp_targetILNS1_3genE8ELNS1_11target_archE1030ELNS1_3gpuE2ELNS1_3repE0EEENS1_30default_config_static_selectorELNS0_4arch9wavefront6targetE1EEEvT1_ ; -- Begin function _ZN7rocprim17ROCPRIM_400000_NS6detail17trampoline_kernelINS0_14default_configENS1_25partition_config_selectorILNS1_17partition_subalgoE1EtNS0_10empty_typeEbEEZZNS1_14partition_implILS5_1ELb0ES3_jN6thrust23THRUST_200600_302600_NS6detail15normal_iteratorINSA_10device_ptrItEEEEPS6_NSA_18transform_iteratorI7is_evenItESF_NSA_11use_defaultESK_EENS0_5tupleIJSF_NSA_16discard_iteratorISK_EEEEENSM_IJSG_SG_EEES6_PlJS6_EEE10hipError_tPvRmT3_T4_T5_T6_T7_T9_mT8_P12ihipStream_tbDpT10_ENKUlT_T0_E_clISt17integral_constantIbLb0EES1B_EEDaS16_S17_EUlS16_E_NS1_11comp_targetILNS1_3genE8ELNS1_11target_archE1030ELNS1_3gpuE2ELNS1_3repE0EEENS1_30default_config_static_selectorELNS0_4arch9wavefront6targetE1EEEvT1_
	.globl	_ZN7rocprim17ROCPRIM_400000_NS6detail17trampoline_kernelINS0_14default_configENS1_25partition_config_selectorILNS1_17partition_subalgoE1EtNS0_10empty_typeEbEEZZNS1_14partition_implILS5_1ELb0ES3_jN6thrust23THRUST_200600_302600_NS6detail15normal_iteratorINSA_10device_ptrItEEEEPS6_NSA_18transform_iteratorI7is_evenItESF_NSA_11use_defaultESK_EENS0_5tupleIJSF_NSA_16discard_iteratorISK_EEEEENSM_IJSG_SG_EEES6_PlJS6_EEE10hipError_tPvRmT3_T4_T5_T6_T7_T9_mT8_P12ihipStream_tbDpT10_ENKUlT_T0_E_clISt17integral_constantIbLb0EES1B_EEDaS16_S17_EUlS16_E_NS1_11comp_targetILNS1_3genE8ELNS1_11target_archE1030ELNS1_3gpuE2ELNS1_3repE0EEENS1_30default_config_static_selectorELNS0_4arch9wavefront6targetE1EEEvT1_
	.p2align	8
	.type	_ZN7rocprim17ROCPRIM_400000_NS6detail17trampoline_kernelINS0_14default_configENS1_25partition_config_selectorILNS1_17partition_subalgoE1EtNS0_10empty_typeEbEEZZNS1_14partition_implILS5_1ELb0ES3_jN6thrust23THRUST_200600_302600_NS6detail15normal_iteratorINSA_10device_ptrItEEEEPS6_NSA_18transform_iteratorI7is_evenItESF_NSA_11use_defaultESK_EENS0_5tupleIJSF_NSA_16discard_iteratorISK_EEEEENSM_IJSG_SG_EEES6_PlJS6_EEE10hipError_tPvRmT3_T4_T5_T6_T7_T9_mT8_P12ihipStream_tbDpT10_ENKUlT_T0_E_clISt17integral_constantIbLb0EES1B_EEDaS16_S17_EUlS16_E_NS1_11comp_targetILNS1_3genE8ELNS1_11target_archE1030ELNS1_3gpuE2ELNS1_3repE0EEENS1_30default_config_static_selectorELNS0_4arch9wavefront6targetE1EEEvT1_,@function
_ZN7rocprim17ROCPRIM_400000_NS6detail17trampoline_kernelINS0_14default_configENS1_25partition_config_selectorILNS1_17partition_subalgoE1EtNS0_10empty_typeEbEEZZNS1_14partition_implILS5_1ELb0ES3_jN6thrust23THRUST_200600_302600_NS6detail15normal_iteratorINSA_10device_ptrItEEEEPS6_NSA_18transform_iteratorI7is_evenItESF_NSA_11use_defaultESK_EENS0_5tupleIJSF_NSA_16discard_iteratorISK_EEEEENSM_IJSG_SG_EEES6_PlJS6_EEE10hipError_tPvRmT3_T4_T5_T6_T7_T9_mT8_P12ihipStream_tbDpT10_ENKUlT_T0_E_clISt17integral_constantIbLb0EES1B_EEDaS16_S17_EUlS16_E_NS1_11comp_targetILNS1_3genE8ELNS1_11target_archE1030ELNS1_3gpuE2ELNS1_3repE0EEENS1_30default_config_static_selectorELNS0_4arch9wavefront6targetE1EEEvT1_: ; @_ZN7rocprim17ROCPRIM_400000_NS6detail17trampoline_kernelINS0_14default_configENS1_25partition_config_selectorILNS1_17partition_subalgoE1EtNS0_10empty_typeEbEEZZNS1_14partition_implILS5_1ELb0ES3_jN6thrust23THRUST_200600_302600_NS6detail15normal_iteratorINSA_10device_ptrItEEEEPS6_NSA_18transform_iteratorI7is_evenItESF_NSA_11use_defaultESK_EENS0_5tupleIJSF_NSA_16discard_iteratorISK_EEEEENSM_IJSG_SG_EEES6_PlJS6_EEE10hipError_tPvRmT3_T4_T5_T6_T7_T9_mT8_P12ihipStream_tbDpT10_ENKUlT_T0_E_clISt17integral_constantIbLb0EES1B_EEDaS16_S17_EUlS16_E_NS1_11comp_targetILNS1_3genE8ELNS1_11target_archE1030ELNS1_3gpuE2ELNS1_3repE0EEENS1_30default_config_static_selectorELNS0_4arch9wavefront6targetE1EEEvT1_
; %bb.0:
	.section	.rodata,"a",@progbits
	.p2align	6, 0x0
	.amdhsa_kernel _ZN7rocprim17ROCPRIM_400000_NS6detail17trampoline_kernelINS0_14default_configENS1_25partition_config_selectorILNS1_17partition_subalgoE1EtNS0_10empty_typeEbEEZZNS1_14partition_implILS5_1ELb0ES3_jN6thrust23THRUST_200600_302600_NS6detail15normal_iteratorINSA_10device_ptrItEEEEPS6_NSA_18transform_iteratorI7is_evenItESF_NSA_11use_defaultESK_EENS0_5tupleIJSF_NSA_16discard_iteratorISK_EEEEENSM_IJSG_SG_EEES6_PlJS6_EEE10hipError_tPvRmT3_T4_T5_T6_T7_T9_mT8_P12ihipStream_tbDpT10_ENKUlT_T0_E_clISt17integral_constantIbLb0EES1B_EEDaS16_S17_EUlS16_E_NS1_11comp_targetILNS1_3genE8ELNS1_11target_archE1030ELNS1_3gpuE2ELNS1_3repE0EEENS1_30default_config_static_selectorELNS0_4arch9wavefront6targetE1EEEvT1_
		.amdhsa_group_segment_fixed_size 0
		.amdhsa_private_segment_fixed_size 0
		.amdhsa_kernarg_size 136
		.amdhsa_user_sgpr_count 6
		.amdhsa_user_sgpr_private_segment_buffer 1
		.amdhsa_user_sgpr_dispatch_ptr 0
		.amdhsa_user_sgpr_queue_ptr 0
		.amdhsa_user_sgpr_kernarg_segment_ptr 1
		.amdhsa_user_sgpr_dispatch_id 0
		.amdhsa_user_sgpr_flat_scratch_init 0
		.amdhsa_user_sgpr_kernarg_preload_length 0
		.amdhsa_user_sgpr_kernarg_preload_offset 0
		.amdhsa_user_sgpr_private_segment_size 0
		.amdhsa_uses_dynamic_stack 0
		.amdhsa_system_sgpr_private_segment_wavefront_offset 0
		.amdhsa_system_sgpr_workgroup_id_x 1
		.amdhsa_system_sgpr_workgroup_id_y 0
		.amdhsa_system_sgpr_workgroup_id_z 0
		.amdhsa_system_sgpr_workgroup_info 0
		.amdhsa_system_vgpr_workitem_id 0
		.amdhsa_next_free_vgpr 1
		.amdhsa_next_free_sgpr 0
		.amdhsa_accum_offset 4
		.amdhsa_reserve_vcc 0
		.amdhsa_reserve_flat_scratch 0
		.amdhsa_float_round_mode_32 0
		.amdhsa_float_round_mode_16_64 0
		.amdhsa_float_denorm_mode_32 3
		.amdhsa_float_denorm_mode_16_64 3
		.amdhsa_dx10_clamp 1
		.amdhsa_ieee_mode 1
		.amdhsa_fp16_overflow 0
		.amdhsa_tg_split 0
		.amdhsa_exception_fp_ieee_invalid_op 0
		.amdhsa_exception_fp_denorm_src 0
		.amdhsa_exception_fp_ieee_div_zero 0
		.amdhsa_exception_fp_ieee_overflow 0
		.amdhsa_exception_fp_ieee_underflow 0
		.amdhsa_exception_fp_ieee_inexact 0
		.amdhsa_exception_int_div_zero 0
	.end_amdhsa_kernel
	.section	.text._ZN7rocprim17ROCPRIM_400000_NS6detail17trampoline_kernelINS0_14default_configENS1_25partition_config_selectorILNS1_17partition_subalgoE1EtNS0_10empty_typeEbEEZZNS1_14partition_implILS5_1ELb0ES3_jN6thrust23THRUST_200600_302600_NS6detail15normal_iteratorINSA_10device_ptrItEEEEPS6_NSA_18transform_iteratorI7is_evenItESF_NSA_11use_defaultESK_EENS0_5tupleIJSF_NSA_16discard_iteratorISK_EEEEENSM_IJSG_SG_EEES6_PlJS6_EEE10hipError_tPvRmT3_T4_T5_T6_T7_T9_mT8_P12ihipStream_tbDpT10_ENKUlT_T0_E_clISt17integral_constantIbLb0EES1B_EEDaS16_S17_EUlS16_E_NS1_11comp_targetILNS1_3genE8ELNS1_11target_archE1030ELNS1_3gpuE2ELNS1_3repE0EEENS1_30default_config_static_selectorELNS0_4arch9wavefront6targetE1EEEvT1_,"axG",@progbits,_ZN7rocprim17ROCPRIM_400000_NS6detail17trampoline_kernelINS0_14default_configENS1_25partition_config_selectorILNS1_17partition_subalgoE1EtNS0_10empty_typeEbEEZZNS1_14partition_implILS5_1ELb0ES3_jN6thrust23THRUST_200600_302600_NS6detail15normal_iteratorINSA_10device_ptrItEEEEPS6_NSA_18transform_iteratorI7is_evenItESF_NSA_11use_defaultESK_EENS0_5tupleIJSF_NSA_16discard_iteratorISK_EEEEENSM_IJSG_SG_EEES6_PlJS6_EEE10hipError_tPvRmT3_T4_T5_T6_T7_T9_mT8_P12ihipStream_tbDpT10_ENKUlT_T0_E_clISt17integral_constantIbLb0EES1B_EEDaS16_S17_EUlS16_E_NS1_11comp_targetILNS1_3genE8ELNS1_11target_archE1030ELNS1_3gpuE2ELNS1_3repE0EEENS1_30default_config_static_selectorELNS0_4arch9wavefront6targetE1EEEvT1_,comdat
.Lfunc_end3106:
	.size	_ZN7rocprim17ROCPRIM_400000_NS6detail17trampoline_kernelINS0_14default_configENS1_25partition_config_selectorILNS1_17partition_subalgoE1EtNS0_10empty_typeEbEEZZNS1_14partition_implILS5_1ELb0ES3_jN6thrust23THRUST_200600_302600_NS6detail15normal_iteratorINSA_10device_ptrItEEEEPS6_NSA_18transform_iteratorI7is_evenItESF_NSA_11use_defaultESK_EENS0_5tupleIJSF_NSA_16discard_iteratorISK_EEEEENSM_IJSG_SG_EEES6_PlJS6_EEE10hipError_tPvRmT3_T4_T5_T6_T7_T9_mT8_P12ihipStream_tbDpT10_ENKUlT_T0_E_clISt17integral_constantIbLb0EES1B_EEDaS16_S17_EUlS16_E_NS1_11comp_targetILNS1_3genE8ELNS1_11target_archE1030ELNS1_3gpuE2ELNS1_3repE0EEENS1_30default_config_static_selectorELNS0_4arch9wavefront6targetE1EEEvT1_, .Lfunc_end3106-_ZN7rocprim17ROCPRIM_400000_NS6detail17trampoline_kernelINS0_14default_configENS1_25partition_config_selectorILNS1_17partition_subalgoE1EtNS0_10empty_typeEbEEZZNS1_14partition_implILS5_1ELb0ES3_jN6thrust23THRUST_200600_302600_NS6detail15normal_iteratorINSA_10device_ptrItEEEEPS6_NSA_18transform_iteratorI7is_evenItESF_NSA_11use_defaultESK_EENS0_5tupleIJSF_NSA_16discard_iteratorISK_EEEEENSM_IJSG_SG_EEES6_PlJS6_EEE10hipError_tPvRmT3_T4_T5_T6_T7_T9_mT8_P12ihipStream_tbDpT10_ENKUlT_T0_E_clISt17integral_constantIbLb0EES1B_EEDaS16_S17_EUlS16_E_NS1_11comp_targetILNS1_3genE8ELNS1_11target_archE1030ELNS1_3gpuE2ELNS1_3repE0EEENS1_30default_config_static_selectorELNS0_4arch9wavefront6targetE1EEEvT1_
                                        ; -- End function
	.section	.AMDGPU.csdata,"",@progbits
; Kernel info:
; codeLenInByte = 0
; NumSgprs: 4
; NumVgprs: 0
; NumAgprs: 0
; TotalNumVgprs: 0
; ScratchSize: 0
; MemoryBound: 0
; FloatMode: 240
; IeeeMode: 1
; LDSByteSize: 0 bytes/workgroup (compile time only)
; SGPRBlocks: 0
; VGPRBlocks: 0
; NumSGPRsForWavesPerEU: 4
; NumVGPRsForWavesPerEU: 1
; AccumOffset: 4
; Occupancy: 8
; WaveLimiterHint : 0
; COMPUTE_PGM_RSRC2:SCRATCH_EN: 0
; COMPUTE_PGM_RSRC2:USER_SGPR: 6
; COMPUTE_PGM_RSRC2:TRAP_HANDLER: 0
; COMPUTE_PGM_RSRC2:TGID_X_EN: 1
; COMPUTE_PGM_RSRC2:TGID_Y_EN: 0
; COMPUTE_PGM_RSRC2:TGID_Z_EN: 0
; COMPUTE_PGM_RSRC2:TIDIG_COMP_CNT: 0
; COMPUTE_PGM_RSRC3_GFX90A:ACCUM_OFFSET: 0
; COMPUTE_PGM_RSRC3_GFX90A:TG_SPLIT: 0
	.section	.text._ZN7rocprim17ROCPRIM_400000_NS6detail17trampoline_kernelINS0_14default_configENS1_25partition_config_selectorILNS1_17partition_subalgoE1EtNS0_10empty_typeEbEEZZNS1_14partition_implILS5_1ELb0ES3_jN6thrust23THRUST_200600_302600_NS6detail15normal_iteratorINSA_10device_ptrItEEEEPS6_NSA_18transform_iteratorI7is_evenItESF_NSA_11use_defaultESK_EENS0_5tupleIJSF_NSA_16discard_iteratorISK_EEEEENSM_IJSG_SG_EEES6_PlJS6_EEE10hipError_tPvRmT3_T4_T5_T6_T7_T9_mT8_P12ihipStream_tbDpT10_ENKUlT_T0_E_clISt17integral_constantIbLb1EES1B_EEDaS16_S17_EUlS16_E_NS1_11comp_targetILNS1_3genE0ELNS1_11target_archE4294967295ELNS1_3gpuE0ELNS1_3repE0EEENS1_30default_config_static_selectorELNS0_4arch9wavefront6targetE1EEEvT1_,"axG",@progbits,_ZN7rocprim17ROCPRIM_400000_NS6detail17trampoline_kernelINS0_14default_configENS1_25partition_config_selectorILNS1_17partition_subalgoE1EtNS0_10empty_typeEbEEZZNS1_14partition_implILS5_1ELb0ES3_jN6thrust23THRUST_200600_302600_NS6detail15normal_iteratorINSA_10device_ptrItEEEEPS6_NSA_18transform_iteratorI7is_evenItESF_NSA_11use_defaultESK_EENS0_5tupleIJSF_NSA_16discard_iteratorISK_EEEEENSM_IJSG_SG_EEES6_PlJS6_EEE10hipError_tPvRmT3_T4_T5_T6_T7_T9_mT8_P12ihipStream_tbDpT10_ENKUlT_T0_E_clISt17integral_constantIbLb1EES1B_EEDaS16_S17_EUlS16_E_NS1_11comp_targetILNS1_3genE0ELNS1_11target_archE4294967295ELNS1_3gpuE0ELNS1_3repE0EEENS1_30default_config_static_selectorELNS0_4arch9wavefront6targetE1EEEvT1_,comdat
	.protected	_ZN7rocprim17ROCPRIM_400000_NS6detail17trampoline_kernelINS0_14default_configENS1_25partition_config_selectorILNS1_17partition_subalgoE1EtNS0_10empty_typeEbEEZZNS1_14partition_implILS5_1ELb0ES3_jN6thrust23THRUST_200600_302600_NS6detail15normal_iteratorINSA_10device_ptrItEEEEPS6_NSA_18transform_iteratorI7is_evenItESF_NSA_11use_defaultESK_EENS0_5tupleIJSF_NSA_16discard_iteratorISK_EEEEENSM_IJSG_SG_EEES6_PlJS6_EEE10hipError_tPvRmT3_T4_T5_T6_T7_T9_mT8_P12ihipStream_tbDpT10_ENKUlT_T0_E_clISt17integral_constantIbLb1EES1B_EEDaS16_S17_EUlS16_E_NS1_11comp_targetILNS1_3genE0ELNS1_11target_archE4294967295ELNS1_3gpuE0ELNS1_3repE0EEENS1_30default_config_static_selectorELNS0_4arch9wavefront6targetE1EEEvT1_ ; -- Begin function _ZN7rocprim17ROCPRIM_400000_NS6detail17trampoline_kernelINS0_14default_configENS1_25partition_config_selectorILNS1_17partition_subalgoE1EtNS0_10empty_typeEbEEZZNS1_14partition_implILS5_1ELb0ES3_jN6thrust23THRUST_200600_302600_NS6detail15normal_iteratorINSA_10device_ptrItEEEEPS6_NSA_18transform_iteratorI7is_evenItESF_NSA_11use_defaultESK_EENS0_5tupleIJSF_NSA_16discard_iteratorISK_EEEEENSM_IJSG_SG_EEES6_PlJS6_EEE10hipError_tPvRmT3_T4_T5_T6_T7_T9_mT8_P12ihipStream_tbDpT10_ENKUlT_T0_E_clISt17integral_constantIbLb1EES1B_EEDaS16_S17_EUlS16_E_NS1_11comp_targetILNS1_3genE0ELNS1_11target_archE4294967295ELNS1_3gpuE0ELNS1_3repE0EEENS1_30default_config_static_selectorELNS0_4arch9wavefront6targetE1EEEvT1_
	.globl	_ZN7rocprim17ROCPRIM_400000_NS6detail17trampoline_kernelINS0_14default_configENS1_25partition_config_selectorILNS1_17partition_subalgoE1EtNS0_10empty_typeEbEEZZNS1_14partition_implILS5_1ELb0ES3_jN6thrust23THRUST_200600_302600_NS6detail15normal_iteratorINSA_10device_ptrItEEEEPS6_NSA_18transform_iteratorI7is_evenItESF_NSA_11use_defaultESK_EENS0_5tupleIJSF_NSA_16discard_iteratorISK_EEEEENSM_IJSG_SG_EEES6_PlJS6_EEE10hipError_tPvRmT3_T4_T5_T6_T7_T9_mT8_P12ihipStream_tbDpT10_ENKUlT_T0_E_clISt17integral_constantIbLb1EES1B_EEDaS16_S17_EUlS16_E_NS1_11comp_targetILNS1_3genE0ELNS1_11target_archE4294967295ELNS1_3gpuE0ELNS1_3repE0EEENS1_30default_config_static_selectorELNS0_4arch9wavefront6targetE1EEEvT1_
	.p2align	8
	.type	_ZN7rocprim17ROCPRIM_400000_NS6detail17trampoline_kernelINS0_14default_configENS1_25partition_config_selectorILNS1_17partition_subalgoE1EtNS0_10empty_typeEbEEZZNS1_14partition_implILS5_1ELb0ES3_jN6thrust23THRUST_200600_302600_NS6detail15normal_iteratorINSA_10device_ptrItEEEEPS6_NSA_18transform_iteratorI7is_evenItESF_NSA_11use_defaultESK_EENS0_5tupleIJSF_NSA_16discard_iteratorISK_EEEEENSM_IJSG_SG_EEES6_PlJS6_EEE10hipError_tPvRmT3_T4_T5_T6_T7_T9_mT8_P12ihipStream_tbDpT10_ENKUlT_T0_E_clISt17integral_constantIbLb1EES1B_EEDaS16_S17_EUlS16_E_NS1_11comp_targetILNS1_3genE0ELNS1_11target_archE4294967295ELNS1_3gpuE0ELNS1_3repE0EEENS1_30default_config_static_selectorELNS0_4arch9wavefront6targetE1EEEvT1_,@function
_ZN7rocprim17ROCPRIM_400000_NS6detail17trampoline_kernelINS0_14default_configENS1_25partition_config_selectorILNS1_17partition_subalgoE1EtNS0_10empty_typeEbEEZZNS1_14partition_implILS5_1ELb0ES3_jN6thrust23THRUST_200600_302600_NS6detail15normal_iteratorINSA_10device_ptrItEEEEPS6_NSA_18transform_iteratorI7is_evenItESF_NSA_11use_defaultESK_EENS0_5tupleIJSF_NSA_16discard_iteratorISK_EEEEENSM_IJSG_SG_EEES6_PlJS6_EEE10hipError_tPvRmT3_T4_T5_T6_T7_T9_mT8_P12ihipStream_tbDpT10_ENKUlT_T0_E_clISt17integral_constantIbLb1EES1B_EEDaS16_S17_EUlS16_E_NS1_11comp_targetILNS1_3genE0ELNS1_11target_archE4294967295ELNS1_3gpuE0ELNS1_3repE0EEENS1_30default_config_static_selectorELNS0_4arch9wavefront6targetE1EEEvT1_: ; @_ZN7rocprim17ROCPRIM_400000_NS6detail17trampoline_kernelINS0_14default_configENS1_25partition_config_selectorILNS1_17partition_subalgoE1EtNS0_10empty_typeEbEEZZNS1_14partition_implILS5_1ELb0ES3_jN6thrust23THRUST_200600_302600_NS6detail15normal_iteratorINSA_10device_ptrItEEEEPS6_NSA_18transform_iteratorI7is_evenItESF_NSA_11use_defaultESK_EENS0_5tupleIJSF_NSA_16discard_iteratorISK_EEEEENSM_IJSG_SG_EEES6_PlJS6_EEE10hipError_tPvRmT3_T4_T5_T6_T7_T9_mT8_P12ihipStream_tbDpT10_ENKUlT_T0_E_clISt17integral_constantIbLb1EES1B_EEDaS16_S17_EUlS16_E_NS1_11comp_targetILNS1_3genE0ELNS1_11target_archE4294967295ELNS1_3gpuE0ELNS1_3repE0EEENS1_30default_config_static_selectorELNS0_4arch9wavefront6targetE1EEEvT1_
; %bb.0:
	.section	.rodata,"a",@progbits
	.p2align	6, 0x0
	.amdhsa_kernel _ZN7rocprim17ROCPRIM_400000_NS6detail17trampoline_kernelINS0_14default_configENS1_25partition_config_selectorILNS1_17partition_subalgoE1EtNS0_10empty_typeEbEEZZNS1_14partition_implILS5_1ELb0ES3_jN6thrust23THRUST_200600_302600_NS6detail15normal_iteratorINSA_10device_ptrItEEEEPS6_NSA_18transform_iteratorI7is_evenItESF_NSA_11use_defaultESK_EENS0_5tupleIJSF_NSA_16discard_iteratorISK_EEEEENSM_IJSG_SG_EEES6_PlJS6_EEE10hipError_tPvRmT3_T4_T5_T6_T7_T9_mT8_P12ihipStream_tbDpT10_ENKUlT_T0_E_clISt17integral_constantIbLb1EES1B_EEDaS16_S17_EUlS16_E_NS1_11comp_targetILNS1_3genE0ELNS1_11target_archE4294967295ELNS1_3gpuE0ELNS1_3repE0EEENS1_30default_config_static_selectorELNS0_4arch9wavefront6targetE1EEEvT1_
		.amdhsa_group_segment_fixed_size 0
		.amdhsa_private_segment_fixed_size 0
		.amdhsa_kernarg_size 152
		.amdhsa_user_sgpr_count 6
		.amdhsa_user_sgpr_private_segment_buffer 1
		.amdhsa_user_sgpr_dispatch_ptr 0
		.amdhsa_user_sgpr_queue_ptr 0
		.amdhsa_user_sgpr_kernarg_segment_ptr 1
		.amdhsa_user_sgpr_dispatch_id 0
		.amdhsa_user_sgpr_flat_scratch_init 0
		.amdhsa_user_sgpr_kernarg_preload_length 0
		.amdhsa_user_sgpr_kernarg_preload_offset 0
		.amdhsa_user_sgpr_private_segment_size 0
		.amdhsa_uses_dynamic_stack 0
		.amdhsa_system_sgpr_private_segment_wavefront_offset 0
		.amdhsa_system_sgpr_workgroup_id_x 1
		.amdhsa_system_sgpr_workgroup_id_y 0
		.amdhsa_system_sgpr_workgroup_id_z 0
		.amdhsa_system_sgpr_workgroup_info 0
		.amdhsa_system_vgpr_workitem_id 0
		.amdhsa_next_free_vgpr 1
		.amdhsa_next_free_sgpr 0
		.amdhsa_accum_offset 4
		.amdhsa_reserve_vcc 0
		.amdhsa_reserve_flat_scratch 0
		.amdhsa_float_round_mode_32 0
		.amdhsa_float_round_mode_16_64 0
		.amdhsa_float_denorm_mode_32 3
		.amdhsa_float_denorm_mode_16_64 3
		.amdhsa_dx10_clamp 1
		.amdhsa_ieee_mode 1
		.amdhsa_fp16_overflow 0
		.amdhsa_tg_split 0
		.amdhsa_exception_fp_ieee_invalid_op 0
		.amdhsa_exception_fp_denorm_src 0
		.amdhsa_exception_fp_ieee_div_zero 0
		.amdhsa_exception_fp_ieee_overflow 0
		.amdhsa_exception_fp_ieee_underflow 0
		.amdhsa_exception_fp_ieee_inexact 0
		.amdhsa_exception_int_div_zero 0
	.end_amdhsa_kernel
	.section	.text._ZN7rocprim17ROCPRIM_400000_NS6detail17trampoline_kernelINS0_14default_configENS1_25partition_config_selectorILNS1_17partition_subalgoE1EtNS0_10empty_typeEbEEZZNS1_14partition_implILS5_1ELb0ES3_jN6thrust23THRUST_200600_302600_NS6detail15normal_iteratorINSA_10device_ptrItEEEEPS6_NSA_18transform_iteratorI7is_evenItESF_NSA_11use_defaultESK_EENS0_5tupleIJSF_NSA_16discard_iteratorISK_EEEEENSM_IJSG_SG_EEES6_PlJS6_EEE10hipError_tPvRmT3_T4_T5_T6_T7_T9_mT8_P12ihipStream_tbDpT10_ENKUlT_T0_E_clISt17integral_constantIbLb1EES1B_EEDaS16_S17_EUlS16_E_NS1_11comp_targetILNS1_3genE0ELNS1_11target_archE4294967295ELNS1_3gpuE0ELNS1_3repE0EEENS1_30default_config_static_selectorELNS0_4arch9wavefront6targetE1EEEvT1_,"axG",@progbits,_ZN7rocprim17ROCPRIM_400000_NS6detail17trampoline_kernelINS0_14default_configENS1_25partition_config_selectorILNS1_17partition_subalgoE1EtNS0_10empty_typeEbEEZZNS1_14partition_implILS5_1ELb0ES3_jN6thrust23THRUST_200600_302600_NS6detail15normal_iteratorINSA_10device_ptrItEEEEPS6_NSA_18transform_iteratorI7is_evenItESF_NSA_11use_defaultESK_EENS0_5tupleIJSF_NSA_16discard_iteratorISK_EEEEENSM_IJSG_SG_EEES6_PlJS6_EEE10hipError_tPvRmT3_T4_T5_T6_T7_T9_mT8_P12ihipStream_tbDpT10_ENKUlT_T0_E_clISt17integral_constantIbLb1EES1B_EEDaS16_S17_EUlS16_E_NS1_11comp_targetILNS1_3genE0ELNS1_11target_archE4294967295ELNS1_3gpuE0ELNS1_3repE0EEENS1_30default_config_static_selectorELNS0_4arch9wavefront6targetE1EEEvT1_,comdat
.Lfunc_end3107:
	.size	_ZN7rocprim17ROCPRIM_400000_NS6detail17trampoline_kernelINS0_14default_configENS1_25partition_config_selectorILNS1_17partition_subalgoE1EtNS0_10empty_typeEbEEZZNS1_14partition_implILS5_1ELb0ES3_jN6thrust23THRUST_200600_302600_NS6detail15normal_iteratorINSA_10device_ptrItEEEEPS6_NSA_18transform_iteratorI7is_evenItESF_NSA_11use_defaultESK_EENS0_5tupleIJSF_NSA_16discard_iteratorISK_EEEEENSM_IJSG_SG_EEES6_PlJS6_EEE10hipError_tPvRmT3_T4_T5_T6_T7_T9_mT8_P12ihipStream_tbDpT10_ENKUlT_T0_E_clISt17integral_constantIbLb1EES1B_EEDaS16_S17_EUlS16_E_NS1_11comp_targetILNS1_3genE0ELNS1_11target_archE4294967295ELNS1_3gpuE0ELNS1_3repE0EEENS1_30default_config_static_selectorELNS0_4arch9wavefront6targetE1EEEvT1_, .Lfunc_end3107-_ZN7rocprim17ROCPRIM_400000_NS6detail17trampoline_kernelINS0_14default_configENS1_25partition_config_selectorILNS1_17partition_subalgoE1EtNS0_10empty_typeEbEEZZNS1_14partition_implILS5_1ELb0ES3_jN6thrust23THRUST_200600_302600_NS6detail15normal_iteratorINSA_10device_ptrItEEEEPS6_NSA_18transform_iteratorI7is_evenItESF_NSA_11use_defaultESK_EENS0_5tupleIJSF_NSA_16discard_iteratorISK_EEEEENSM_IJSG_SG_EEES6_PlJS6_EEE10hipError_tPvRmT3_T4_T5_T6_T7_T9_mT8_P12ihipStream_tbDpT10_ENKUlT_T0_E_clISt17integral_constantIbLb1EES1B_EEDaS16_S17_EUlS16_E_NS1_11comp_targetILNS1_3genE0ELNS1_11target_archE4294967295ELNS1_3gpuE0ELNS1_3repE0EEENS1_30default_config_static_selectorELNS0_4arch9wavefront6targetE1EEEvT1_
                                        ; -- End function
	.section	.AMDGPU.csdata,"",@progbits
; Kernel info:
; codeLenInByte = 0
; NumSgprs: 4
; NumVgprs: 0
; NumAgprs: 0
; TotalNumVgprs: 0
; ScratchSize: 0
; MemoryBound: 0
; FloatMode: 240
; IeeeMode: 1
; LDSByteSize: 0 bytes/workgroup (compile time only)
; SGPRBlocks: 0
; VGPRBlocks: 0
; NumSGPRsForWavesPerEU: 4
; NumVGPRsForWavesPerEU: 1
; AccumOffset: 4
; Occupancy: 8
; WaveLimiterHint : 0
; COMPUTE_PGM_RSRC2:SCRATCH_EN: 0
; COMPUTE_PGM_RSRC2:USER_SGPR: 6
; COMPUTE_PGM_RSRC2:TRAP_HANDLER: 0
; COMPUTE_PGM_RSRC2:TGID_X_EN: 1
; COMPUTE_PGM_RSRC2:TGID_Y_EN: 0
; COMPUTE_PGM_RSRC2:TGID_Z_EN: 0
; COMPUTE_PGM_RSRC2:TIDIG_COMP_CNT: 0
; COMPUTE_PGM_RSRC3_GFX90A:ACCUM_OFFSET: 0
; COMPUTE_PGM_RSRC3_GFX90A:TG_SPLIT: 0
	.section	.text._ZN7rocprim17ROCPRIM_400000_NS6detail17trampoline_kernelINS0_14default_configENS1_25partition_config_selectorILNS1_17partition_subalgoE1EtNS0_10empty_typeEbEEZZNS1_14partition_implILS5_1ELb0ES3_jN6thrust23THRUST_200600_302600_NS6detail15normal_iteratorINSA_10device_ptrItEEEEPS6_NSA_18transform_iteratorI7is_evenItESF_NSA_11use_defaultESK_EENS0_5tupleIJSF_NSA_16discard_iteratorISK_EEEEENSM_IJSG_SG_EEES6_PlJS6_EEE10hipError_tPvRmT3_T4_T5_T6_T7_T9_mT8_P12ihipStream_tbDpT10_ENKUlT_T0_E_clISt17integral_constantIbLb1EES1B_EEDaS16_S17_EUlS16_E_NS1_11comp_targetILNS1_3genE5ELNS1_11target_archE942ELNS1_3gpuE9ELNS1_3repE0EEENS1_30default_config_static_selectorELNS0_4arch9wavefront6targetE1EEEvT1_,"axG",@progbits,_ZN7rocprim17ROCPRIM_400000_NS6detail17trampoline_kernelINS0_14default_configENS1_25partition_config_selectorILNS1_17partition_subalgoE1EtNS0_10empty_typeEbEEZZNS1_14partition_implILS5_1ELb0ES3_jN6thrust23THRUST_200600_302600_NS6detail15normal_iteratorINSA_10device_ptrItEEEEPS6_NSA_18transform_iteratorI7is_evenItESF_NSA_11use_defaultESK_EENS0_5tupleIJSF_NSA_16discard_iteratorISK_EEEEENSM_IJSG_SG_EEES6_PlJS6_EEE10hipError_tPvRmT3_T4_T5_T6_T7_T9_mT8_P12ihipStream_tbDpT10_ENKUlT_T0_E_clISt17integral_constantIbLb1EES1B_EEDaS16_S17_EUlS16_E_NS1_11comp_targetILNS1_3genE5ELNS1_11target_archE942ELNS1_3gpuE9ELNS1_3repE0EEENS1_30default_config_static_selectorELNS0_4arch9wavefront6targetE1EEEvT1_,comdat
	.protected	_ZN7rocprim17ROCPRIM_400000_NS6detail17trampoline_kernelINS0_14default_configENS1_25partition_config_selectorILNS1_17partition_subalgoE1EtNS0_10empty_typeEbEEZZNS1_14partition_implILS5_1ELb0ES3_jN6thrust23THRUST_200600_302600_NS6detail15normal_iteratorINSA_10device_ptrItEEEEPS6_NSA_18transform_iteratorI7is_evenItESF_NSA_11use_defaultESK_EENS0_5tupleIJSF_NSA_16discard_iteratorISK_EEEEENSM_IJSG_SG_EEES6_PlJS6_EEE10hipError_tPvRmT3_T4_T5_T6_T7_T9_mT8_P12ihipStream_tbDpT10_ENKUlT_T0_E_clISt17integral_constantIbLb1EES1B_EEDaS16_S17_EUlS16_E_NS1_11comp_targetILNS1_3genE5ELNS1_11target_archE942ELNS1_3gpuE9ELNS1_3repE0EEENS1_30default_config_static_selectorELNS0_4arch9wavefront6targetE1EEEvT1_ ; -- Begin function _ZN7rocprim17ROCPRIM_400000_NS6detail17trampoline_kernelINS0_14default_configENS1_25partition_config_selectorILNS1_17partition_subalgoE1EtNS0_10empty_typeEbEEZZNS1_14partition_implILS5_1ELb0ES3_jN6thrust23THRUST_200600_302600_NS6detail15normal_iteratorINSA_10device_ptrItEEEEPS6_NSA_18transform_iteratorI7is_evenItESF_NSA_11use_defaultESK_EENS0_5tupleIJSF_NSA_16discard_iteratorISK_EEEEENSM_IJSG_SG_EEES6_PlJS6_EEE10hipError_tPvRmT3_T4_T5_T6_T7_T9_mT8_P12ihipStream_tbDpT10_ENKUlT_T0_E_clISt17integral_constantIbLb1EES1B_EEDaS16_S17_EUlS16_E_NS1_11comp_targetILNS1_3genE5ELNS1_11target_archE942ELNS1_3gpuE9ELNS1_3repE0EEENS1_30default_config_static_selectorELNS0_4arch9wavefront6targetE1EEEvT1_
	.globl	_ZN7rocprim17ROCPRIM_400000_NS6detail17trampoline_kernelINS0_14default_configENS1_25partition_config_selectorILNS1_17partition_subalgoE1EtNS0_10empty_typeEbEEZZNS1_14partition_implILS5_1ELb0ES3_jN6thrust23THRUST_200600_302600_NS6detail15normal_iteratorINSA_10device_ptrItEEEEPS6_NSA_18transform_iteratorI7is_evenItESF_NSA_11use_defaultESK_EENS0_5tupleIJSF_NSA_16discard_iteratorISK_EEEEENSM_IJSG_SG_EEES6_PlJS6_EEE10hipError_tPvRmT3_T4_T5_T6_T7_T9_mT8_P12ihipStream_tbDpT10_ENKUlT_T0_E_clISt17integral_constantIbLb1EES1B_EEDaS16_S17_EUlS16_E_NS1_11comp_targetILNS1_3genE5ELNS1_11target_archE942ELNS1_3gpuE9ELNS1_3repE0EEENS1_30default_config_static_selectorELNS0_4arch9wavefront6targetE1EEEvT1_
	.p2align	8
	.type	_ZN7rocprim17ROCPRIM_400000_NS6detail17trampoline_kernelINS0_14default_configENS1_25partition_config_selectorILNS1_17partition_subalgoE1EtNS0_10empty_typeEbEEZZNS1_14partition_implILS5_1ELb0ES3_jN6thrust23THRUST_200600_302600_NS6detail15normal_iteratorINSA_10device_ptrItEEEEPS6_NSA_18transform_iteratorI7is_evenItESF_NSA_11use_defaultESK_EENS0_5tupleIJSF_NSA_16discard_iteratorISK_EEEEENSM_IJSG_SG_EEES6_PlJS6_EEE10hipError_tPvRmT3_T4_T5_T6_T7_T9_mT8_P12ihipStream_tbDpT10_ENKUlT_T0_E_clISt17integral_constantIbLb1EES1B_EEDaS16_S17_EUlS16_E_NS1_11comp_targetILNS1_3genE5ELNS1_11target_archE942ELNS1_3gpuE9ELNS1_3repE0EEENS1_30default_config_static_selectorELNS0_4arch9wavefront6targetE1EEEvT1_,@function
_ZN7rocprim17ROCPRIM_400000_NS6detail17trampoline_kernelINS0_14default_configENS1_25partition_config_selectorILNS1_17partition_subalgoE1EtNS0_10empty_typeEbEEZZNS1_14partition_implILS5_1ELb0ES3_jN6thrust23THRUST_200600_302600_NS6detail15normal_iteratorINSA_10device_ptrItEEEEPS6_NSA_18transform_iteratorI7is_evenItESF_NSA_11use_defaultESK_EENS0_5tupleIJSF_NSA_16discard_iteratorISK_EEEEENSM_IJSG_SG_EEES6_PlJS6_EEE10hipError_tPvRmT3_T4_T5_T6_T7_T9_mT8_P12ihipStream_tbDpT10_ENKUlT_T0_E_clISt17integral_constantIbLb1EES1B_EEDaS16_S17_EUlS16_E_NS1_11comp_targetILNS1_3genE5ELNS1_11target_archE942ELNS1_3gpuE9ELNS1_3repE0EEENS1_30default_config_static_selectorELNS0_4arch9wavefront6targetE1EEEvT1_: ; @_ZN7rocprim17ROCPRIM_400000_NS6detail17trampoline_kernelINS0_14default_configENS1_25partition_config_selectorILNS1_17partition_subalgoE1EtNS0_10empty_typeEbEEZZNS1_14partition_implILS5_1ELb0ES3_jN6thrust23THRUST_200600_302600_NS6detail15normal_iteratorINSA_10device_ptrItEEEEPS6_NSA_18transform_iteratorI7is_evenItESF_NSA_11use_defaultESK_EENS0_5tupleIJSF_NSA_16discard_iteratorISK_EEEEENSM_IJSG_SG_EEES6_PlJS6_EEE10hipError_tPvRmT3_T4_T5_T6_T7_T9_mT8_P12ihipStream_tbDpT10_ENKUlT_T0_E_clISt17integral_constantIbLb1EES1B_EEDaS16_S17_EUlS16_E_NS1_11comp_targetILNS1_3genE5ELNS1_11target_archE942ELNS1_3gpuE9ELNS1_3repE0EEENS1_30default_config_static_selectorELNS0_4arch9wavefront6targetE1EEEvT1_
; %bb.0:
	.section	.rodata,"a",@progbits
	.p2align	6, 0x0
	.amdhsa_kernel _ZN7rocprim17ROCPRIM_400000_NS6detail17trampoline_kernelINS0_14default_configENS1_25partition_config_selectorILNS1_17partition_subalgoE1EtNS0_10empty_typeEbEEZZNS1_14partition_implILS5_1ELb0ES3_jN6thrust23THRUST_200600_302600_NS6detail15normal_iteratorINSA_10device_ptrItEEEEPS6_NSA_18transform_iteratorI7is_evenItESF_NSA_11use_defaultESK_EENS0_5tupleIJSF_NSA_16discard_iteratorISK_EEEEENSM_IJSG_SG_EEES6_PlJS6_EEE10hipError_tPvRmT3_T4_T5_T6_T7_T9_mT8_P12ihipStream_tbDpT10_ENKUlT_T0_E_clISt17integral_constantIbLb1EES1B_EEDaS16_S17_EUlS16_E_NS1_11comp_targetILNS1_3genE5ELNS1_11target_archE942ELNS1_3gpuE9ELNS1_3repE0EEENS1_30default_config_static_selectorELNS0_4arch9wavefront6targetE1EEEvT1_
		.amdhsa_group_segment_fixed_size 0
		.amdhsa_private_segment_fixed_size 0
		.amdhsa_kernarg_size 152
		.amdhsa_user_sgpr_count 6
		.amdhsa_user_sgpr_private_segment_buffer 1
		.amdhsa_user_sgpr_dispatch_ptr 0
		.amdhsa_user_sgpr_queue_ptr 0
		.amdhsa_user_sgpr_kernarg_segment_ptr 1
		.amdhsa_user_sgpr_dispatch_id 0
		.amdhsa_user_sgpr_flat_scratch_init 0
		.amdhsa_user_sgpr_kernarg_preload_length 0
		.amdhsa_user_sgpr_kernarg_preload_offset 0
		.amdhsa_user_sgpr_private_segment_size 0
		.amdhsa_uses_dynamic_stack 0
		.amdhsa_system_sgpr_private_segment_wavefront_offset 0
		.amdhsa_system_sgpr_workgroup_id_x 1
		.amdhsa_system_sgpr_workgroup_id_y 0
		.amdhsa_system_sgpr_workgroup_id_z 0
		.amdhsa_system_sgpr_workgroup_info 0
		.amdhsa_system_vgpr_workitem_id 0
		.amdhsa_next_free_vgpr 1
		.amdhsa_next_free_sgpr 0
		.amdhsa_accum_offset 4
		.amdhsa_reserve_vcc 0
		.amdhsa_reserve_flat_scratch 0
		.amdhsa_float_round_mode_32 0
		.amdhsa_float_round_mode_16_64 0
		.amdhsa_float_denorm_mode_32 3
		.amdhsa_float_denorm_mode_16_64 3
		.amdhsa_dx10_clamp 1
		.amdhsa_ieee_mode 1
		.amdhsa_fp16_overflow 0
		.amdhsa_tg_split 0
		.amdhsa_exception_fp_ieee_invalid_op 0
		.amdhsa_exception_fp_denorm_src 0
		.amdhsa_exception_fp_ieee_div_zero 0
		.amdhsa_exception_fp_ieee_overflow 0
		.amdhsa_exception_fp_ieee_underflow 0
		.amdhsa_exception_fp_ieee_inexact 0
		.amdhsa_exception_int_div_zero 0
	.end_amdhsa_kernel
	.section	.text._ZN7rocprim17ROCPRIM_400000_NS6detail17trampoline_kernelINS0_14default_configENS1_25partition_config_selectorILNS1_17partition_subalgoE1EtNS0_10empty_typeEbEEZZNS1_14partition_implILS5_1ELb0ES3_jN6thrust23THRUST_200600_302600_NS6detail15normal_iteratorINSA_10device_ptrItEEEEPS6_NSA_18transform_iteratorI7is_evenItESF_NSA_11use_defaultESK_EENS0_5tupleIJSF_NSA_16discard_iteratorISK_EEEEENSM_IJSG_SG_EEES6_PlJS6_EEE10hipError_tPvRmT3_T4_T5_T6_T7_T9_mT8_P12ihipStream_tbDpT10_ENKUlT_T0_E_clISt17integral_constantIbLb1EES1B_EEDaS16_S17_EUlS16_E_NS1_11comp_targetILNS1_3genE5ELNS1_11target_archE942ELNS1_3gpuE9ELNS1_3repE0EEENS1_30default_config_static_selectorELNS0_4arch9wavefront6targetE1EEEvT1_,"axG",@progbits,_ZN7rocprim17ROCPRIM_400000_NS6detail17trampoline_kernelINS0_14default_configENS1_25partition_config_selectorILNS1_17partition_subalgoE1EtNS0_10empty_typeEbEEZZNS1_14partition_implILS5_1ELb0ES3_jN6thrust23THRUST_200600_302600_NS6detail15normal_iteratorINSA_10device_ptrItEEEEPS6_NSA_18transform_iteratorI7is_evenItESF_NSA_11use_defaultESK_EENS0_5tupleIJSF_NSA_16discard_iteratorISK_EEEEENSM_IJSG_SG_EEES6_PlJS6_EEE10hipError_tPvRmT3_T4_T5_T6_T7_T9_mT8_P12ihipStream_tbDpT10_ENKUlT_T0_E_clISt17integral_constantIbLb1EES1B_EEDaS16_S17_EUlS16_E_NS1_11comp_targetILNS1_3genE5ELNS1_11target_archE942ELNS1_3gpuE9ELNS1_3repE0EEENS1_30default_config_static_selectorELNS0_4arch9wavefront6targetE1EEEvT1_,comdat
.Lfunc_end3108:
	.size	_ZN7rocprim17ROCPRIM_400000_NS6detail17trampoline_kernelINS0_14default_configENS1_25partition_config_selectorILNS1_17partition_subalgoE1EtNS0_10empty_typeEbEEZZNS1_14partition_implILS5_1ELb0ES3_jN6thrust23THRUST_200600_302600_NS6detail15normal_iteratorINSA_10device_ptrItEEEEPS6_NSA_18transform_iteratorI7is_evenItESF_NSA_11use_defaultESK_EENS0_5tupleIJSF_NSA_16discard_iteratorISK_EEEEENSM_IJSG_SG_EEES6_PlJS6_EEE10hipError_tPvRmT3_T4_T5_T6_T7_T9_mT8_P12ihipStream_tbDpT10_ENKUlT_T0_E_clISt17integral_constantIbLb1EES1B_EEDaS16_S17_EUlS16_E_NS1_11comp_targetILNS1_3genE5ELNS1_11target_archE942ELNS1_3gpuE9ELNS1_3repE0EEENS1_30default_config_static_selectorELNS0_4arch9wavefront6targetE1EEEvT1_, .Lfunc_end3108-_ZN7rocprim17ROCPRIM_400000_NS6detail17trampoline_kernelINS0_14default_configENS1_25partition_config_selectorILNS1_17partition_subalgoE1EtNS0_10empty_typeEbEEZZNS1_14partition_implILS5_1ELb0ES3_jN6thrust23THRUST_200600_302600_NS6detail15normal_iteratorINSA_10device_ptrItEEEEPS6_NSA_18transform_iteratorI7is_evenItESF_NSA_11use_defaultESK_EENS0_5tupleIJSF_NSA_16discard_iteratorISK_EEEEENSM_IJSG_SG_EEES6_PlJS6_EEE10hipError_tPvRmT3_T4_T5_T6_T7_T9_mT8_P12ihipStream_tbDpT10_ENKUlT_T0_E_clISt17integral_constantIbLb1EES1B_EEDaS16_S17_EUlS16_E_NS1_11comp_targetILNS1_3genE5ELNS1_11target_archE942ELNS1_3gpuE9ELNS1_3repE0EEENS1_30default_config_static_selectorELNS0_4arch9wavefront6targetE1EEEvT1_
                                        ; -- End function
	.section	.AMDGPU.csdata,"",@progbits
; Kernel info:
; codeLenInByte = 0
; NumSgprs: 4
; NumVgprs: 0
; NumAgprs: 0
; TotalNumVgprs: 0
; ScratchSize: 0
; MemoryBound: 0
; FloatMode: 240
; IeeeMode: 1
; LDSByteSize: 0 bytes/workgroup (compile time only)
; SGPRBlocks: 0
; VGPRBlocks: 0
; NumSGPRsForWavesPerEU: 4
; NumVGPRsForWavesPerEU: 1
; AccumOffset: 4
; Occupancy: 8
; WaveLimiterHint : 0
; COMPUTE_PGM_RSRC2:SCRATCH_EN: 0
; COMPUTE_PGM_RSRC2:USER_SGPR: 6
; COMPUTE_PGM_RSRC2:TRAP_HANDLER: 0
; COMPUTE_PGM_RSRC2:TGID_X_EN: 1
; COMPUTE_PGM_RSRC2:TGID_Y_EN: 0
; COMPUTE_PGM_RSRC2:TGID_Z_EN: 0
; COMPUTE_PGM_RSRC2:TIDIG_COMP_CNT: 0
; COMPUTE_PGM_RSRC3_GFX90A:ACCUM_OFFSET: 0
; COMPUTE_PGM_RSRC3_GFX90A:TG_SPLIT: 0
	.section	.text._ZN7rocprim17ROCPRIM_400000_NS6detail17trampoline_kernelINS0_14default_configENS1_25partition_config_selectorILNS1_17partition_subalgoE1EtNS0_10empty_typeEbEEZZNS1_14partition_implILS5_1ELb0ES3_jN6thrust23THRUST_200600_302600_NS6detail15normal_iteratorINSA_10device_ptrItEEEEPS6_NSA_18transform_iteratorI7is_evenItESF_NSA_11use_defaultESK_EENS0_5tupleIJSF_NSA_16discard_iteratorISK_EEEEENSM_IJSG_SG_EEES6_PlJS6_EEE10hipError_tPvRmT3_T4_T5_T6_T7_T9_mT8_P12ihipStream_tbDpT10_ENKUlT_T0_E_clISt17integral_constantIbLb1EES1B_EEDaS16_S17_EUlS16_E_NS1_11comp_targetILNS1_3genE4ELNS1_11target_archE910ELNS1_3gpuE8ELNS1_3repE0EEENS1_30default_config_static_selectorELNS0_4arch9wavefront6targetE1EEEvT1_,"axG",@progbits,_ZN7rocprim17ROCPRIM_400000_NS6detail17trampoline_kernelINS0_14default_configENS1_25partition_config_selectorILNS1_17partition_subalgoE1EtNS0_10empty_typeEbEEZZNS1_14partition_implILS5_1ELb0ES3_jN6thrust23THRUST_200600_302600_NS6detail15normal_iteratorINSA_10device_ptrItEEEEPS6_NSA_18transform_iteratorI7is_evenItESF_NSA_11use_defaultESK_EENS0_5tupleIJSF_NSA_16discard_iteratorISK_EEEEENSM_IJSG_SG_EEES6_PlJS6_EEE10hipError_tPvRmT3_T4_T5_T6_T7_T9_mT8_P12ihipStream_tbDpT10_ENKUlT_T0_E_clISt17integral_constantIbLb1EES1B_EEDaS16_S17_EUlS16_E_NS1_11comp_targetILNS1_3genE4ELNS1_11target_archE910ELNS1_3gpuE8ELNS1_3repE0EEENS1_30default_config_static_selectorELNS0_4arch9wavefront6targetE1EEEvT1_,comdat
	.protected	_ZN7rocprim17ROCPRIM_400000_NS6detail17trampoline_kernelINS0_14default_configENS1_25partition_config_selectorILNS1_17partition_subalgoE1EtNS0_10empty_typeEbEEZZNS1_14partition_implILS5_1ELb0ES3_jN6thrust23THRUST_200600_302600_NS6detail15normal_iteratorINSA_10device_ptrItEEEEPS6_NSA_18transform_iteratorI7is_evenItESF_NSA_11use_defaultESK_EENS0_5tupleIJSF_NSA_16discard_iteratorISK_EEEEENSM_IJSG_SG_EEES6_PlJS6_EEE10hipError_tPvRmT3_T4_T5_T6_T7_T9_mT8_P12ihipStream_tbDpT10_ENKUlT_T0_E_clISt17integral_constantIbLb1EES1B_EEDaS16_S17_EUlS16_E_NS1_11comp_targetILNS1_3genE4ELNS1_11target_archE910ELNS1_3gpuE8ELNS1_3repE0EEENS1_30default_config_static_selectorELNS0_4arch9wavefront6targetE1EEEvT1_ ; -- Begin function _ZN7rocprim17ROCPRIM_400000_NS6detail17trampoline_kernelINS0_14default_configENS1_25partition_config_selectorILNS1_17partition_subalgoE1EtNS0_10empty_typeEbEEZZNS1_14partition_implILS5_1ELb0ES3_jN6thrust23THRUST_200600_302600_NS6detail15normal_iteratorINSA_10device_ptrItEEEEPS6_NSA_18transform_iteratorI7is_evenItESF_NSA_11use_defaultESK_EENS0_5tupleIJSF_NSA_16discard_iteratorISK_EEEEENSM_IJSG_SG_EEES6_PlJS6_EEE10hipError_tPvRmT3_T4_T5_T6_T7_T9_mT8_P12ihipStream_tbDpT10_ENKUlT_T0_E_clISt17integral_constantIbLb1EES1B_EEDaS16_S17_EUlS16_E_NS1_11comp_targetILNS1_3genE4ELNS1_11target_archE910ELNS1_3gpuE8ELNS1_3repE0EEENS1_30default_config_static_selectorELNS0_4arch9wavefront6targetE1EEEvT1_
	.globl	_ZN7rocprim17ROCPRIM_400000_NS6detail17trampoline_kernelINS0_14default_configENS1_25partition_config_selectorILNS1_17partition_subalgoE1EtNS0_10empty_typeEbEEZZNS1_14partition_implILS5_1ELb0ES3_jN6thrust23THRUST_200600_302600_NS6detail15normal_iteratorINSA_10device_ptrItEEEEPS6_NSA_18transform_iteratorI7is_evenItESF_NSA_11use_defaultESK_EENS0_5tupleIJSF_NSA_16discard_iteratorISK_EEEEENSM_IJSG_SG_EEES6_PlJS6_EEE10hipError_tPvRmT3_T4_T5_T6_T7_T9_mT8_P12ihipStream_tbDpT10_ENKUlT_T0_E_clISt17integral_constantIbLb1EES1B_EEDaS16_S17_EUlS16_E_NS1_11comp_targetILNS1_3genE4ELNS1_11target_archE910ELNS1_3gpuE8ELNS1_3repE0EEENS1_30default_config_static_selectorELNS0_4arch9wavefront6targetE1EEEvT1_
	.p2align	8
	.type	_ZN7rocprim17ROCPRIM_400000_NS6detail17trampoline_kernelINS0_14default_configENS1_25partition_config_selectorILNS1_17partition_subalgoE1EtNS0_10empty_typeEbEEZZNS1_14partition_implILS5_1ELb0ES3_jN6thrust23THRUST_200600_302600_NS6detail15normal_iteratorINSA_10device_ptrItEEEEPS6_NSA_18transform_iteratorI7is_evenItESF_NSA_11use_defaultESK_EENS0_5tupleIJSF_NSA_16discard_iteratorISK_EEEEENSM_IJSG_SG_EEES6_PlJS6_EEE10hipError_tPvRmT3_T4_T5_T6_T7_T9_mT8_P12ihipStream_tbDpT10_ENKUlT_T0_E_clISt17integral_constantIbLb1EES1B_EEDaS16_S17_EUlS16_E_NS1_11comp_targetILNS1_3genE4ELNS1_11target_archE910ELNS1_3gpuE8ELNS1_3repE0EEENS1_30default_config_static_selectorELNS0_4arch9wavefront6targetE1EEEvT1_,@function
_ZN7rocprim17ROCPRIM_400000_NS6detail17trampoline_kernelINS0_14default_configENS1_25partition_config_selectorILNS1_17partition_subalgoE1EtNS0_10empty_typeEbEEZZNS1_14partition_implILS5_1ELb0ES3_jN6thrust23THRUST_200600_302600_NS6detail15normal_iteratorINSA_10device_ptrItEEEEPS6_NSA_18transform_iteratorI7is_evenItESF_NSA_11use_defaultESK_EENS0_5tupleIJSF_NSA_16discard_iteratorISK_EEEEENSM_IJSG_SG_EEES6_PlJS6_EEE10hipError_tPvRmT3_T4_T5_T6_T7_T9_mT8_P12ihipStream_tbDpT10_ENKUlT_T0_E_clISt17integral_constantIbLb1EES1B_EEDaS16_S17_EUlS16_E_NS1_11comp_targetILNS1_3genE4ELNS1_11target_archE910ELNS1_3gpuE8ELNS1_3repE0EEENS1_30default_config_static_selectorELNS0_4arch9wavefront6targetE1EEEvT1_: ; @_ZN7rocprim17ROCPRIM_400000_NS6detail17trampoline_kernelINS0_14default_configENS1_25partition_config_selectorILNS1_17partition_subalgoE1EtNS0_10empty_typeEbEEZZNS1_14partition_implILS5_1ELb0ES3_jN6thrust23THRUST_200600_302600_NS6detail15normal_iteratorINSA_10device_ptrItEEEEPS6_NSA_18transform_iteratorI7is_evenItESF_NSA_11use_defaultESK_EENS0_5tupleIJSF_NSA_16discard_iteratorISK_EEEEENSM_IJSG_SG_EEES6_PlJS6_EEE10hipError_tPvRmT3_T4_T5_T6_T7_T9_mT8_P12ihipStream_tbDpT10_ENKUlT_T0_E_clISt17integral_constantIbLb1EES1B_EEDaS16_S17_EUlS16_E_NS1_11comp_targetILNS1_3genE4ELNS1_11target_archE910ELNS1_3gpuE8ELNS1_3repE0EEENS1_30default_config_static_selectorELNS0_4arch9wavefront6targetE1EEEvT1_
; %bb.0:
	s_load_dwordx2 s[6:7], s[4:5], 0x20
	s_load_dwordx2 s[24:25], s[4:5], 0x30
	;; [unrolled: 1-line block ×3, first 2 shown]
	s_load_dwordx4 s[20:23], s[4:5], 0x58
	s_load_dwordx2 s[26:27], s[4:5], 0x78
	v_cmp_eq_u32_e64 s[0:1], 0, v0
	s_and_saveexec_b64 s[8:9], s[0:1]
	s_cbranch_execz .LBB3109_4
; %bb.1:
	s_mov_b64 s[12:13], exec
	v_mbcnt_lo_u32_b32 v1, s12, 0
	v_mbcnt_hi_u32_b32 v1, s13, v1
	v_cmp_eq_u32_e32 vcc, 0, v1
                                        ; implicit-def: $vgpr2
	s_and_saveexec_b64 s[10:11], vcc
	s_cbranch_execz .LBB3109_3
; %bb.2:
	s_load_dwordx2 s[14:15], s[4:5], 0x88
	s_bcnt1_i32_b64 s12, s[12:13]
	v_mov_b32_e32 v2, 0
	v_mov_b32_e32 v3, s12
	s_waitcnt lgkmcnt(0)
	global_atomic_add v2, v2, v3, s[14:15] glc
.LBB3109_3:
	s_or_b64 exec, exec, s[10:11]
	s_waitcnt vmcnt(0)
	v_readfirstlane_b32 s10, v2
	v_add_u32_e32 v1, s10, v1
	v_mov_b32_e32 v2, 0
	ds_write_b32 v2, v1
.LBB3109_4:
	s_or_b64 exec, exec, s[8:9]
	v_mov_b32_e32 v1, 0
	s_load_dwordx4 s[8:11], s[4:5], 0x8
	s_load_dword s12, s[4:5], 0x80
	s_waitcnt lgkmcnt(0)
	s_barrier
	ds_read_b32 v4, v1
	s_waitcnt lgkmcnt(0)
	s_barrier
	global_load_dwordx2 v[10:11], v1, s[22:23]
	s_lshl_b64 s[4:5], s[10:11], 1
	v_mov_b32_e32 v3, s3
	s_add_u32 s13, s8, s4
	s_mul_i32 s3, s12, 0x1400
	s_addc_u32 s14, s9, s5
	s_add_i32 s9, s3, s10
	s_sub_i32 s33, s2, s9
	s_add_i32 s15, s12, -1
	s_addk_i32 s33, 0x1400
	v_mov_b32_e32 v2, s2
	s_add_u32 s2, s10, s3
	v_readfirstlane_b32 s36, v4
	s_addc_u32 s3, s11, 0
	s_cmp_eq_u32 s36, s15
	s_cselect_b64 s[18:19], -1, 0
	s_cmp_lg_u32 s36, s15
	s_mul_i32 s8, s36, 0x1400
	s_mov_b32 s9, 0
	v_cmp_lt_u64_e32 vcc, s[2:3], v[2:3]
	s_cselect_b64 s[2:3], -1, 0
	s_or_b64 s[22:23], vcc, s[2:3]
	s_lshl_b64 s[8:9], s[8:9], 1
	s_add_u32 s12, s13, s8
	s_addc_u32 s13, s14, s9
	s_mov_b64 s[2:3], -1
	s_and_b64 vcc, exec, s[22:23]
	v_lshlrev_b32_e32 v1, 1, v0
	s_cbranch_vccz .LBB3109_6
; %bb.5:
	v_mov_b32_e32 v3, s13
	v_add_co_u32_e32 v2, vcc, s12, v1
	v_addc_co_u32_e32 v3, vcc, 0, v3, vcc
	v_add_co_u32_e32 v4, vcc, 0x1000, v2
	v_addc_co_u32_e32 v5, vcc, 0, v3, vcc
	flat_load_ushort v6, v[2:3]
	flat_load_ushort v7, v[2:3] offset:512
	flat_load_ushort v8, v[2:3] offset:1024
	;; [unrolled: 1-line block ×7, first 2 shown]
	v_add_co_u32_e32 v2, vcc, 0x2000, v2
	v_addc_co_u32_e32 v3, vcc, 0, v3, vcc
	flat_load_ushort v16, v[4:5]
	flat_load_ushort v17, v[4:5] offset:512
	flat_load_ushort v18, v[4:5] offset:1024
	;; [unrolled: 1-line block ×7, first 2 shown]
	s_nop 0
	flat_load_ushort v4, v[2:3]
	flat_load_ushort v5, v[2:3] offset:512
	flat_load_ushort v24, v[2:3] offset:1024
	;; [unrolled: 1-line block ×3, first 2 shown]
	s_mov_b64 s[2:3], 0
	s_waitcnt vmcnt(0) lgkmcnt(0)
	ds_write_b16 v1, v6
	ds_write_b16 v1, v7 offset:512
	ds_write_b16 v1, v8 offset:1024
	;; [unrolled: 1-line block ×19, first 2 shown]
	s_waitcnt lgkmcnt(0)
	s_barrier
.LBB3109_6:
	s_andn2_b64 vcc, exec, s[2:3]
	v_cmp_gt_u32_e64 s[2:3], s33, v0
	s_cbranch_vccnz .LBB3109_48
; %bb.7:
                                        ; implicit-def: $vgpr2
	s_and_saveexec_b64 s[10:11], s[2:3]
	s_cbranch_execz .LBB3109_9
; %bb.8:
	v_mov_b32_e32 v3, s13
	v_add_co_u32_e32 v2, vcc, s12, v1
	v_addc_co_u32_e32 v3, vcc, 0, v3, vcc
	flat_load_ushort v2, v[2:3]
.LBB3109_9:
	s_or_b64 exec, exec, s[10:11]
	v_or_b32_e32 v3, 0x100, v0
	v_cmp_gt_u32_e32 vcc, s33, v3
                                        ; implicit-def: $vgpr3
	s_and_saveexec_b64 s[2:3], vcc
	s_cbranch_execz .LBB3109_11
; %bb.10:
	v_mov_b32_e32 v3, s13
	v_add_co_u32_e32 v4, vcc, s12, v1
	v_addc_co_u32_e32 v5, vcc, 0, v3, vcc
	flat_load_ushort v3, v[4:5] offset:512
.LBB3109_11:
	s_or_b64 exec, exec, s[2:3]
	v_or_b32_e32 v4, 0x200, v0
	v_cmp_gt_u32_e32 vcc, s33, v4
                                        ; implicit-def: $vgpr4
	s_and_saveexec_b64 s[2:3], vcc
	s_cbranch_execz .LBB3109_13
; %bb.12:
	v_mov_b32_e32 v5, s13
	v_add_co_u32_e32 v4, vcc, s12, v1
	v_addc_co_u32_e32 v5, vcc, 0, v5, vcc
	flat_load_ushort v4, v[4:5] offset:1024
.LBB3109_13:
	s_or_b64 exec, exec, s[2:3]
	v_or_b32_e32 v5, 0x300, v0
	v_cmp_gt_u32_e32 vcc, s33, v5
                                        ; implicit-def: $vgpr5
	s_and_saveexec_b64 s[2:3], vcc
	s_cbranch_execz .LBB3109_15
; %bb.14:
	v_mov_b32_e32 v5, s13
	v_add_co_u32_e32 v6, vcc, s12, v1
	v_addc_co_u32_e32 v7, vcc, 0, v5, vcc
	flat_load_ushort v5, v[6:7] offset:1536
.LBB3109_15:
	s_or_b64 exec, exec, s[2:3]
	v_or_b32_e32 v6, 0x400, v0
	v_cmp_gt_u32_e32 vcc, s33, v6
                                        ; implicit-def: $vgpr6
	s_and_saveexec_b64 s[2:3], vcc
	s_cbranch_execz .LBB3109_17
; %bb.16:
	v_mov_b32_e32 v7, s13
	v_add_co_u32_e32 v6, vcc, s12, v1
	v_addc_co_u32_e32 v7, vcc, 0, v7, vcc
	flat_load_ushort v6, v[6:7] offset:2048
.LBB3109_17:
	s_or_b64 exec, exec, s[2:3]
	v_or_b32_e32 v7, 0x500, v0
	v_cmp_gt_u32_e32 vcc, s33, v7
                                        ; implicit-def: $vgpr7
	s_and_saveexec_b64 s[2:3], vcc
	s_cbranch_execz .LBB3109_19
; %bb.18:
	v_mov_b32_e32 v7, s13
	v_add_co_u32_e32 v8, vcc, s12, v1
	v_addc_co_u32_e32 v9, vcc, 0, v7, vcc
	flat_load_ushort v7, v[8:9] offset:2560
.LBB3109_19:
	s_or_b64 exec, exec, s[2:3]
	v_or_b32_e32 v8, 0x600, v0
	v_cmp_gt_u32_e32 vcc, s33, v8
                                        ; implicit-def: $vgpr8
	s_and_saveexec_b64 s[2:3], vcc
	s_cbranch_execz .LBB3109_21
; %bb.20:
	v_mov_b32_e32 v9, s13
	v_add_co_u32_e32 v8, vcc, s12, v1
	v_addc_co_u32_e32 v9, vcc, 0, v9, vcc
	flat_load_ushort v8, v[8:9] offset:3072
.LBB3109_21:
	s_or_b64 exec, exec, s[2:3]
	v_or_b32_e32 v9, 0x700, v0
	v_cmp_gt_u32_e32 vcc, s33, v9
                                        ; implicit-def: $vgpr9
	s_and_saveexec_b64 s[2:3], vcc
	s_cbranch_execz .LBB3109_23
; %bb.22:
	v_mov_b32_e32 v9, s13
	v_add_co_u32_e32 v12, vcc, s12, v1
	v_addc_co_u32_e32 v13, vcc, 0, v9, vcc
	flat_load_ushort v9, v[12:13] offset:3584
.LBB3109_23:
	s_or_b64 exec, exec, s[2:3]
	v_or_b32_e32 v13, 0x800, v0
	v_cmp_gt_u32_e32 vcc, s33, v13
                                        ; implicit-def: $vgpr12
	s_and_saveexec_b64 s[2:3], vcc
	s_cbranch_execz .LBB3109_25
; %bb.24:
	v_lshlrev_b32_e32 v12, 1, v13
	v_mov_b32_e32 v13, s13
	v_add_co_u32_e32 v12, vcc, s12, v12
	v_addc_co_u32_e32 v13, vcc, 0, v13, vcc
	flat_load_ushort v12, v[12:13]
.LBB3109_25:
	s_or_b64 exec, exec, s[2:3]
	v_or_b32_e32 v14, 0x900, v0
	v_cmp_gt_u32_e32 vcc, s33, v14
                                        ; implicit-def: $vgpr13
	s_and_saveexec_b64 s[2:3], vcc
	s_cbranch_execz .LBB3109_27
; %bb.26:
	v_lshlrev_b32_e32 v13, 1, v14
	v_mov_b32_e32 v15, s13
	v_add_co_u32_e32 v14, vcc, s12, v13
	v_addc_co_u32_e32 v15, vcc, 0, v15, vcc
	flat_load_ushort v13, v[14:15]
.LBB3109_27:
	s_or_b64 exec, exec, s[2:3]
	v_or_b32_e32 v15, 0xa00, v0
	v_cmp_gt_u32_e32 vcc, s33, v15
                                        ; implicit-def: $vgpr14
	s_and_saveexec_b64 s[2:3], vcc
	s_cbranch_execz .LBB3109_29
; %bb.28:
	v_lshlrev_b32_e32 v14, 1, v15
	v_mov_b32_e32 v15, s13
	v_add_co_u32_e32 v14, vcc, s12, v14
	v_addc_co_u32_e32 v15, vcc, 0, v15, vcc
	flat_load_ushort v14, v[14:15]
.LBB3109_29:
	s_or_b64 exec, exec, s[2:3]
	v_or_b32_e32 v16, 0xb00, v0
	v_cmp_gt_u32_e32 vcc, s33, v16
                                        ; implicit-def: $vgpr15
	s_and_saveexec_b64 s[2:3], vcc
	s_cbranch_execz .LBB3109_31
; %bb.30:
	v_lshlrev_b32_e32 v15, 1, v16
	v_mov_b32_e32 v17, s13
	v_add_co_u32_e32 v16, vcc, s12, v15
	v_addc_co_u32_e32 v17, vcc, 0, v17, vcc
	flat_load_ushort v15, v[16:17]
.LBB3109_31:
	s_or_b64 exec, exec, s[2:3]
	v_or_b32_e32 v17, 0xc00, v0
	v_cmp_gt_u32_e32 vcc, s33, v17
                                        ; implicit-def: $vgpr16
	s_and_saveexec_b64 s[2:3], vcc
	s_cbranch_execz .LBB3109_33
; %bb.32:
	v_lshlrev_b32_e32 v16, 1, v17
	v_mov_b32_e32 v17, s13
	v_add_co_u32_e32 v16, vcc, s12, v16
	v_addc_co_u32_e32 v17, vcc, 0, v17, vcc
	flat_load_ushort v16, v[16:17]
.LBB3109_33:
	s_or_b64 exec, exec, s[2:3]
	v_or_b32_e32 v18, 0xd00, v0
	v_cmp_gt_u32_e32 vcc, s33, v18
                                        ; implicit-def: $vgpr17
	s_and_saveexec_b64 s[2:3], vcc
	s_cbranch_execz .LBB3109_35
; %bb.34:
	v_lshlrev_b32_e32 v17, 1, v18
	v_mov_b32_e32 v19, s13
	v_add_co_u32_e32 v18, vcc, s12, v17
	v_addc_co_u32_e32 v19, vcc, 0, v19, vcc
	flat_load_ushort v17, v[18:19]
.LBB3109_35:
	s_or_b64 exec, exec, s[2:3]
	v_or_b32_e32 v19, 0xe00, v0
	v_cmp_gt_u32_e32 vcc, s33, v19
                                        ; implicit-def: $vgpr18
	s_and_saveexec_b64 s[2:3], vcc
	s_cbranch_execz .LBB3109_37
; %bb.36:
	v_lshlrev_b32_e32 v18, 1, v19
	v_mov_b32_e32 v19, s13
	v_add_co_u32_e32 v18, vcc, s12, v18
	v_addc_co_u32_e32 v19, vcc, 0, v19, vcc
	flat_load_ushort v18, v[18:19]
.LBB3109_37:
	s_or_b64 exec, exec, s[2:3]
	v_or_b32_e32 v20, 0xf00, v0
	v_cmp_gt_u32_e32 vcc, s33, v20
                                        ; implicit-def: $vgpr19
	s_and_saveexec_b64 s[2:3], vcc
	s_cbranch_execz .LBB3109_39
; %bb.38:
	v_lshlrev_b32_e32 v19, 1, v20
	v_mov_b32_e32 v21, s13
	v_add_co_u32_e32 v20, vcc, s12, v19
	v_addc_co_u32_e32 v21, vcc, 0, v21, vcc
	flat_load_ushort v19, v[20:21]
.LBB3109_39:
	s_or_b64 exec, exec, s[2:3]
	v_or_b32_e32 v21, 0x1000, v0
	v_cmp_gt_u32_e32 vcc, s33, v21
                                        ; implicit-def: $vgpr20
	s_and_saveexec_b64 s[2:3], vcc
	s_cbranch_execz .LBB3109_41
; %bb.40:
	v_lshlrev_b32_e32 v20, 1, v21
	v_mov_b32_e32 v21, s13
	v_add_co_u32_e32 v20, vcc, s12, v20
	v_addc_co_u32_e32 v21, vcc, 0, v21, vcc
	flat_load_ushort v20, v[20:21]
.LBB3109_41:
	s_or_b64 exec, exec, s[2:3]
	v_or_b32_e32 v22, 0x1100, v0
	v_cmp_gt_u32_e32 vcc, s33, v22
                                        ; implicit-def: $vgpr21
	s_and_saveexec_b64 s[2:3], vcc
	s_cbranch_execz .LBB3109_43
; %bb.42:
	v_lshlrev_b32_e32 v21, 1, v22
	v_mov_b32_e32 v23, s13
	v_add_co_u32_e32 v22, vcc, s12, v21
	v_addc_co_u32_e32 v23, vcc, 0, v23, vcc
	flat_load_ushort v21, v[22:23]
.LBB3109_43:
	s_or_b64 exec, exec, s[2:3]
	v_or_b32_e32 v23, 0x1200, v0
	v_cmp_gt_u32_e32 vcc, s33, v23
                                        ; implicit-def: $vgpr22
	s_and_saveexec_b64 s[2:3], vcc
	s_cbranch_execz .LBB3109_45
; %bb.44:
	v_lshlrev_b32_e32 v22, 1, v23
	v_mov_b32_e32 v23, s13
	v_add_co_u32_e32 v22, vcc, s12, v22
	v_addc_co_u32_e32 v23, vcc, 0, v23, vcc
	flat_load_ushort v22, v[22:23]
.LBB3109_45:
	s_or_b64 exec, exec, s[2:3]
	v_or_b32_e32 v24, 0x1300, v0
	v_cmp_gt_u32_e32 vcc, s33, v24
                                        ; implicit-def: $vgpr23
	s_and_saveexec_b64 s[2:3], vcc
	s_cbranch_execz .LBB3109_47
; %bb.46:
	v_lshlrev_b32_e32 v23, 1, v24
	v_mov_b32_e32 v25, s13
	v_add_co_u32_e32 v24, vcc, s12, v23
	v_addc_co_u32_e32 v25, vcc, 0, v25, vcc
	flat_load_ushort v23, v[24:25]
.LBB3109_47:
	s_or_b64 exec, exec, s[2:3]
	s_waitcnt vmcnt(0) lgkmcnt(0)
	ds_write_b16 v1, v2
	ds_write_b16 v1, v3 offset:512
	ds_write_b16 v1, v4 offset:1024
	;; [unrolled: 1-line block ×19, first 2 shown]
	s_waitcnt lgkmcnt(0)
	s_barrier
.LBB3109_48:
	v_mul_u32_u24_e32 v28, 20, v0
	v_lshlrev_b32_e32 v6, 1, v28
	ds_read_b64 v[12:13], v6 offset:32
	ds_read2_b64 v[2:5], v6 offset0:2 offset1:3
	ds_read2_b64 v[6:9], v6 offset1:1
	s_add_u32 s2, s6, s4
	s_addc_u32 s3, s7, s5
	s_add_u32 s2, s2, s8
	s_addc_u32 s3, s3, s9
	s_mov_b64 s[4:5], -1
	s_and_b64 vcc, exec, s[22:23]
	s_waitcnt lgkmcnt(0)
	s_barrier
	s_cbranch_vccz .LBB3109_50
; %bb.49:
	v_mov_b32_e32 v14, s3
	v_add_co_u32_e32 v16, vcc, s2, v1
	s_movk_i32 s4, 0x1000
	v_addc_co_u32_e32 v17, vcc, 0, v14, vcc
	v_add_co_u32_e32 v14, vcc, s4, v16
	s_movk_i32 s5, 0x2000
	v_addc_co_u32_e32 v15, vcc, 0, v17, vcc
	global_load_ubyte v18, v1, s[2:3]
	global_load_ubyte v19, v1, s[2:3] offset:512
	global_load_ubyte v20, v1, s[2:3] offset:1024
	;; [unrolled: 1-line block ×7, first 2 shown]
	v_add_co_u32_e32 v16, vcc, s5, v16
	v_addc_co_u32_e32 v17, vcc, 0, v17, vcc
	global_load_ubyte v26, v[16:17], off offset:-4096
	global_load_ubyte v27, v[14:15], off offset:512
	global_load_ubyte v29, v[14:15], off offset:1024
	;; [unrolled: 1-line block ×7, first 2 shown]
	global_load_ubyte v35, v[16:17], off
	global_load_ubyte v36, v[16:17], off offset:512
	global_load_ubyte v37, v[16:17], off offset:1024
	;; [unrolled: 1-line block ×3, first 2 shown]
	s_mov_b64 s[4:5], 0
	s_waitcnt vmcnt(19)
	v_xor_b32_e32 v14, -1, v18
	s_waitcnt vmcnt(18)
	v_xor_b32_e32 v15, -1, v19
	;; [unrolled: 2-line block ×8, first 2 shown]
	v_and_b32_e32 v14, 1, v14
	v_and_b32_e32 v15, 1, v15
	;; [unrolled: 1-line block ×8, first 2 shown]
	ds_write_b8 v0, v14
	ds_write_b8 v0, v15 offset:256
	ds_write_b8 v0, v16 offset:512
	;; [unrolled: 1-line block ×7, first 2 shown]
	s_waitcnt vmcnt(11)
	v_xor_b32_e32 v14, -1, v26
	s_waitcnt vmcnt(10)
	v_xor_b32_e32 v15, -1, v27
	;; [unrolled: 2-line block ×12, first 2 shown]
	v_and_b32_e32 v14, 1, v14
	v_and_b32_e32 v15, 1, v15
	;; [unrolled: 1-line block ×12, first 2 shown]
	ds_write_b8 v0, v14 offset:2048
	ds_write_b8 v0, v15 offset:2304
	;; [unrolled: 1-line block ×12, first 2 shown]
	s_waitcnt lgkmcnt(0)
	s_barrier
.LBB3109_50:
	s_andn2_b64 vcc, exec, s[4:5]
	s_cbranch_vccnz .LBB3109_92
; %bb.51:
	v_cmp_gt_u32_e32 vcc, s33, v0
	v_mov_b32_e32 v14, 0
	v_mov_b32_e32 v15, 0
	s_and_saveexec_b64 s[4:5], vcc
	s_cbranch_execz .LBB3109_53
; %bb.52:
	global_load_ubyte v15, v1, s[2:3]
	s_waitcnt vmcnt(0)
	v_xor_b32_e32 v15, -1, v15
	v_and_b32_e32 v15, 1, v15
.LBB3109_53:
	s_or_b64 exec, exec, s[4:5]
	v_or_b32_e32 v16, 0x100, v0
	v_cmp_gt_u32_e32 vcc, s33, v16
	s_and_saveexec_b64 s[4:5], vcc
	s_cbranch_execz .LBB3109_55
; %bb.54:
	global_load_ubyte v14, v1, s[2:3] offset:512
	s_waitcnt vmcnt(0)
	v_xor_b32_e32 v14, -1, v14
	v_and_b32_e32 v14, 1, v14
.LBB3109_55:
	s_or_b64 exec, exec, s[4:5]
	v_or_b32_e32 v16, 0x200, v0
	v_cmp_gt_u32_e32 vcc, s33, v16
	v_mov_b32_e32 v16, 0
	v_mov_b32_e32 v17, 0
	s_and_saveexec_b64 s[4:5], vcc
	s_cbranch_execz .LBB3109_57
; %bb.56:
	global_load_ubyte v17, v1, s[2:3] offset:1024
	s_waitcnt vmcnt(0)
	v_xor_b32_e32 v17, -1, v17
	v_and_b32_e32 v17, 1, v17
.LBB3109_57:
	s_or_b64 exec, exec, s[4:5]
	v_or_b32_e32 v18, 0x300, v0
	v_cmp_gt_u32_e32 vcc, s33, v18
	s_and_saveexec_b64 s[4:5], vcc
	s_cbranch_execz .LBB3109_59
; %bb.58:
	global_load_ubyte v16, v1, s[2:3] offset:1536
	s_waitcnt vmcnt(0)
	v_xor_b32_e32 v16, -1, v16
	v_and_b32_e32 v16, 1, v16
.LBB3109_59:
	s_or_b64 exec, exec, s[4:5]
	v_or_b32_e32 v18, 0x400, v0
	v_cmp_gt_u32_e32 vcc, s33, v18
	v_mov_b32_e32 v18, 0
	v_mov_b32_e32 v19, 0
	s_and_saveexec_b64 s[4:5], vcc
	s_cbranch_execz .LBB3109_61
; %bb.60:
	global_load_ubyte v19, v1, s[2:3] offset:2048
	s_waitcnt vmcnt(0)
	v_xor_b32_e32 v19, -1, v19
	v_and_b32_e32 v19, 1, v19
.LBB3109_61:
	;; [unrolled: 24-line block ×3, first 2 shown]
	s_or_b64 exec, exec, s[4:5]
	v_or_b32_e32 v22, 0x700, v0
	v_cmp_gt_u32_e32 vcc, s33, v22
	s_and_saveexec_b64 s[4:5], vcc
	s_cbranch_execz .LBB3109_67
; %bb.66:
	global_load_ubyte v20, v1, s[2:3] offset:3584
	s_waitcnt vmcnt(0)
	v_xor_b32_e32 v20, -1, v20
	v_and_b32_e32 v20, 1, v20
.LBB3109_67:
	s_or_b64 exec, exec, s[4:5]
	v_or_b32_e32 v24, 0x800, v0
	v_cmp_gt_u32_e32 vcc, s33, v24
	v_mov_b32_e32 v22, 0
	v_mov_b32_e32 v23, 0
	s_and_saveexec_b64 s[4:5], vcc
	s_cbranch_execz .LBB3109_69
; %bb.68:
	v_lshlrev_b32_e32 v23, 1, v24
	global_load_ubyte v23, v23, s[2:3]
	s_waitcnt vmcnt(0)
	v_xor_b32_e32 v23, -1, v23
	v_and_b32_e32 v23, 1, v23
.LBB3109_69:
	s_or_b64 exec, exec, s[4:5]
	v_or_b32_e32 v24, 0x900, v0
	v_cmp_gt_u32_e32 vcc, s33, v24
	s_and_saveexec_b64 s[4:5], vcc
	s_cbranch_execz .LBB3109_71
; %bb.70:
	v_lshlrev_b32_e32 v22, 1, v24
	global_load_ubyte v22, v22, s[2:3]
	s_waitcnt vmcnt(0)
	v_xor_b32_e32 v22, -1, v22
	v_and_b32_e32 v22, 1, v22
.LBB3109_71:
	s_or_b64 exec, exec, s[4:5]
	v_or_b32_e32 v26, 0xa00, v0
	v_cmp_gt_u32_e32 vcc, s33, v26
	v_mov_b32_e32 v24, 0
	v_mov_b32_e32 v25, 0
	s_and_saveexec_b64 s[4:5], vcc
	s_cbranch_execz .LBB3109_73
; %bb.72:
	v_lshlrev_b32_e32 v25, 1, v26
	global_load_ubyte v25, v25, s[2:3]
	s_waitcnt vmcnt(0)
	v_xor_b32_e32 v25, -1, v25
	v_and_b32_e32 v25, 1, v25
.LBB3109_73:
	s_or_b64 exec, exec, s[4:5]
	v_or_b32_e32 v26, 0xb00, v0
	v_cmp_gt_u32_e32 vcc, s33, v26
	s_and_saveexec_b64 s[4:5], vcc
	s_cbranch_execz .LBB3109_75
; %bb.74:
	v_lshlrev_b32_e32 v24, 1, v26
	global_load_ubyte v24, v24, s[2:3]
	s_waitcnt vmcnt(0)
	v_xor_b32_e32 v24, -1, v24
	v_and_b32_e32 v24, 1, v24
.LBB3109_75:
	;; [unrolled: 26-line block ×6, first 2 shown]
	s_or_b64 exec, exec, s[4:5]
	ds_write_b8 v0, v15
	ds_write_b8 v0, v14 offset:256
	ds_write_b8 v0, v17 offset:512
	;; [unrolled: 1-line block ×19, first 2 shown]
	s_waitcnt lgkmcnt(0)
	s_barrier
.LBB3109_92:
	ds_read2_b32 v[20:21], v28 offset1:1
	ds_read2_b32 v[18:19], v28 offset0:2 offset1:3
	ds_read_b32 v30, v28 offset:16
	s_cmp_lg_u32 s36, 0
	v_lshrrev_b32_e32 v49, 6, v0
	s_waitcnt lgkmcnt(2)
	v_lshrrev_b32_e32 v35, 24, v20
	v_bfe_u32 v47, v20, 16, 8
	v_add_u32_sdwa v14, v20, v20 dst_sel:DWORD dst_unused:UNUSED_PAD src0_sel:BYTE_1 src1_sel:BYTE_0
	v_and_b32_e32 v44, 0xff, v21
	v_bfe_u32 v45, v21, 8, 8
	v_add3_u32 v14, v14, v47, v35
	v_lshrrev_b32_e32 v34, 24, v21
	v_bfe_u32 v46, v21, 16, 8
	v_add3_u32 v14, v14, v44, v45
	s_waitcnt lgkmcnt(1)
	v_and_b32_e32 v41, 0xff, v18
	v_bfe_u32 v42, v18, 8, 8
	v_add3_u32 v14, v14, v46, v34
	v_lshrrev_b32_e32 v33, 24, v18
	v_bfe_u32 v43, v18, 16, 8
	v_add3_u32 v14, v14, v41, v42
	v_and_b32_e32 v38, 0xff, v19
	v_bfe_u32 v39, v19, 8, 8
	v_add3_u32 v14, v14, v43, v33
	v_lshrrev_b32_e32 v32, 24, v19
	v_bfe_u32 v40, v19, 16, 8
	v_add3_u32 v14, v14, v38, v39
	s_waitcnt lgkmcnt(0)
	v_and_b32_e32 v36, 0xff, v30
	v_bfe_u32 v37, v30, 8, 8
	v_add3_u32 v14, v14, v40, v32
	v_lshrrev_b32_e32 v29, 24, v30
	v_bfe_u32 v31, v30, 16, 8
	v_add3_u32 v14, v14, v36, v37
	v_add3_u32 v50, v14, v31, v29
	v_mbcnt_lo_u32_b32 v14, -1, 0
	v_mbcnt_hi_u32_b32 v48, -1, v14
	v_and_b32_e32 v14, 15, v48
	v_cmp_eq_u32_e64 s[14:15], 0, v14
	v_cmp_lt_u32_e64 s[12:13], 1, v14
	v_cmp_lt_u32_e64 s[10:11], 3, v14
	;; [unrolled: 1-line block ×3, first 2 shown]
	v_and_b32_e32 v14, 16, v48
	v_cmp_eq_u32_e64 s[6:7], 0, v14
	v_or_b32_e32 v14, 63, v0
	v_cmp_lt_u32_e64 s[2:3], 31, v48
	v_cmp_eq_u32_e64 s[4:5], v14, v0
	s_barrier
	s_cbranch_scc0 .LBB3109_123
; %bb.93:
	v_mov_b32_dpp v14, v50 row_shr:1 row_mask:0xf bank_mask:0xf
	v_cndmask_b32_e64 v14, v14, 0, s[14:15]
	v_add_u32_e32 v14, v14, v50
	s_nop 1
	v_mov_b32_dpp v15, v14 row_shr:2 row_mask:0xf bank_mask:0xf
	v_cndmask_b32_e64 v15, 0, v15, s[12:13]
	v_add_u32_e32 v14, v14, v15
	s_nop 1
	v_mov_b32_dpp v15, v14 row_shr:4 row_mask:0xf bank_mask:0xf
	v_cndmask_b32_e64 v15, 0, v15, s[10:11]
	v_add_u32_e32 v14, v14, v15
	s_nop 1
	v_mov_b32_dpp v15, v14 row_shr:8 row_mask:0xf bank_mask:0xf
	v_cndmask_b32_e64 v15, 0, v15, s[8:9]
	v_add_u32_e32 v14, v14, v15
	s_nop 1
	v_mov_b32_dpp v15, v14 row_bcast:15 row_mask:0xf bank_mask:0xf
	v_cndmask_b32_e64 v15, v15, 0, s[6:7]
	v_add_u32_e32 v14, v14, v15
	s_nop 1
	v_mov_b32_dpp v15, v14 row_bcast:31 row_mask:0xf bank_mask:0xf
	v_cndmask_b32_e64 v15, 0, v15, s[2:3]
	v_add_u32_e32 v14, v14, v15
	s_and_saveexec_b64 s[16:17], s[4:5]
	s_cbranch_execz .LBB3109_95
; %bb.94:
	v_lshlrev_b32_e32 v15, 2, v49
	ds_write_b32 v15, v14
.LBB3109_95:
	s_or_b64 exec, exec, s[16:17]
	v_cmp_gt_u32_e32 vcc, 4, v0
	s_waitcnt lgkmcnt(0)
	s_barrier
	s_and_saveexec_b64 s[16:17], vcc
	s_cbranch_execz .LBB3109_97
; %bb.96:
	v_lshlrev_b32_e32 v15, 2, v0
	ds_read_b32 v16, v15
	v_and_b32_e32 v17, 3, v48
	v_cmp_ne_u32_e32 vcc, 0, v17
	s_waitcnt lgkmcnt(0)
	v_mov_b32_dpp v22, v16 row_shr:1 row_mask:0xf bank_mask:0xf
	v_cndmask_b32_e32 v22, 0, v22, vcc
	v_add_u32_e32 v16, v22, v16
	v_cmp_lt_u32_e32 vcc, 1, v17
	s_nop 0
	v_mov_b32_dpp v22, v16 row_shr:2 row_mask:0xf bank_mask:0xf
	v_cndmask_b32_e32 v17, 0, v22, vcc
	v_add_u32_e32 v16, v16, v17
	ds_write_b32 v15, v16
.LBB3109_97:
	s_or_b64 exec, exec, s[16:17]
	v_cmp_gt_u32_e32 vcc, 64, v0
	v_cmp_lt_u32_e64 s[16:17], 63, v0
	s_waitcnt lgkmcnt(0)
	s_barrier
	s_waitcnt lgkmcnt(0)
                                        ; implicit-def: $vgpr51
	s_and_saveexec_b64 s[28:29], s[16:17]
	s_cbranch_execz .LBB3109_99
; %bb.98:
	v_lshl_add_u32 v15, v49, 2, -4
	ds_read_b32 v51, v15
	s_waitcnt lgkmcnt(0)
	v_add_u32_e32 v14, v51, v14
.LBB3109_99:
	s_or_b64 exec, exec, s[28:29]
	v_add_u32_e32 v15, -1, v48
	v_and_b32_e32 v16, 64, v48
	v_cmp_lt_i32_e64 s[16:17], v15, v16
	v_cndmask_b32_e64 v15, v15, v48, s[16:17]
	v_lshlrev_b32_e32 v15, 2, v15
	ds_bpermute_b32 v52, v15, v14
	v_cmp_eq_u32_e64 s[16:17], 0, v48
	s_and_saveexec_b64 s[28:29], vcc
	s_cbranch_execz .LBB3109_122
; %bb.100:
	v_mov_b32_e32 v27, 0
	ds_read_b32 v14, v27 offset:12
	s_and_saveexec_b64 s[30:31], s[16:17]
	s_cbranch_execz .LBB3109_102
; %bb.101:
	s_add_i32 s34, s36, 64
	s_mov_b32 s35, 0
	s_lshl_b64 s[34:35], s[34:35], 3
	s_add_u32 s34, s26, s34
	v_mov_b32_e32 v15, 1
	s_addc_u32 s35, s27, s35
	s_waitcnt lgkmcnt(0)
	global_store_dwordx2 v27, v[14:15], s[34:35]
.LBB3109_102:
	s_or_b64 exec, exec, s[30:31]
	v_xad_u32 v16, v48, -1, s36
	v_add_u32_e32 v26, 64, v16
	v_lshlrev_b64 v[22:23], 3, v[26:27]
	v_mov_b32_e32 v15, s27
	v_add_co_u32_e32 v22, vcc, s26, v22
	v_addc_co_u32_e32 v23, vcc, v15, v23, vcc
	global_load_dwordx2 v[24:25], v[22:23], off glc
	s_waitcnt vmcnt(0)
	v_cmp_eq_u16_sdwa s[34:35], v25, v27 src0_sel:BYTE_0 src1_sel:DWORD
	s_and_saveexec_b64 s[30:31], s[34:35]
	s_cbranch_execz .LBB3109_108
; %bb.103:
	s_mov_b32 s37, 1
	s_mov_b64 s[34:35], 0
	v_mov_b32_e32 v15, 0
.LBB3109_104:                           ; =>This Loop Header: Depth=1
                                        ;     Child Loop BB3109_105 Depth 2
	s_max_u32 s38, s37, 1
.LBB3109_105:                           ;   Parent Loop BB3109_104 Depth=1
                                        ; =>  This Inner Loop Header: Depth=2
	s_add_i32 s38, s38, -1
	s_cmp_eq_u32 s38, 0
	s_sleep 1
	s_cbranch_scc0 .LBB3109_105
; %bb.106:                              ;   in Loop: Header=BB3109_104 Depth=1
	global_load_dwordx2 v[24:25], v[22:23], off glc
	s_cmp_lt_u32 s37, 32
	s_cselect_b64 s[38:39], -1, 0
	s_cmp_lg_u64 s[38:39], 0
	s_addc_u32 s37, s37, 0
	s_waitcnt vmcnt(0)
	v_cmp_ne_u16_sdwa s[38:39], v25, v15 src0_sel:BYTE_0 src1_sel:DWORD
	s_or_b64 s[34:35], s[38:39], s[34:35]
	s_andn2_b64 exec, exec, s[34:35]
	s_cbranch_execnz .LBB3109_104
; %bb.107:
	s_or_b64 exec, exec, s[34:35]
.LBB3109_108:
	s_or_b64 exec, exec, s[30:31]
	v_and_b32_e32 v54, 63, v48
	v_mov_b32_e32 v53, 2
	v_cmp_ne_u32_e32 vcc, 63, v54
	v_cmp_eq_u16_sdwa s[30:31], v25, v53 src0_sel:BYTE_0 src1_sel:DWORD
	v_lshlrev_b64 v[22:23], v48, -1
	v_addc_co_u32_e32 v26, vcc, 0, v48, vcc
	v_and_b32_e32 v15, s31, v23
	v_lshlrev_b32_e32 v55, 2, v26
	v_or_b32_e32 v15, 0x80000000, v15
	ds_bpermute_b32 v26, v55, v24
	v_and_b32_e32 v17, s30, v22
	v_ffbl_b32_e32 v15, v15
	v_add_u32_e32 v15, 32, v15
	v_ffbl_b32_e32 v17, v17
	v_min_u32_e32 v15, v17, v15
	v_cmp_lt_u32_e32 vcc, v54, v15
	s_waitcnt lgkmcnt(0)
	v_cndmask_b32_e32 v17, 0, v26, vcc
	v_cmp_gt_u32_e32 vcc, 62, v54
	v_add_u32_e32 v17, v17, v24
	v_cndmask_b32_e64 v24, 0, 1, vcc
	v_lshlrev_b32_e32 v24, 1, v24
	v_add_lshl_u32 v56, v24, v48, 2
	ds_bpermute_b32 v24, v56, v17
	v_add_u32_e32 v57, 2, v54
	v_cmp_le_u32_e32 vcc, v57, v15
	v_add_u32_e32 v59, 4, v54
	v_add_u32_e32 v61, 8, v54
	s_waitcnt lgkmcnt(0)
	v_cndmask_b32_e32 v24, 0, v24, vcc
	v_cmp_gt_u32_e32 vcc, 60, v54
	v_add_u32_e32 v17, v17, v24
	v_cndmask_b32_e64 v24, 0, 1, vcc
	v_lshlrev_b32_e32 v24, 2, v24
	v_add_lshl_u32 v58, v24, v48, 2
	ds_bpermute_b32 v24, v58, v17
	v_cmp_le_u32_e32 vcc, v59, v15
	v_add_u32_e32 v63, 16, v54
	v_add_u32_e32 v65, 32, v54
	s_waitcnt lgkmcnt(0)
	v_cndmask_b32_e32 v24, 0, v24, vcc
	v_cmp_gt_u32_e32 vcc, 56, v54
	v_add_u32_e32 v17, v17, v24
	v_cndmask_b32_e64 v24, 0, 1, vcc
	v_lshlrev_b32_e32 v24, 3, v24
	v_add_lshl_u32 v60, v24, v48, 2
	ds_bpermute_b32 v24, v60, v17
	v_cmp_le_u32_e32 vcc, v61, v15
	s_waitcnt lgkmcnt(0)
	v_cndmask_b32_e32 v24, 0, v24, vcc
	v_cmp_gt_u32_e32 vcc, 48, v54
	v_add_u32_e32 v17, v17, v24
	v_cndmask_b32_e64 v24, 0, 1, vcc
	v_lshlrev_b32_e32 v24, 4, v24
	v_add_lshl_u32 v62, v24, v48, 2
	ds_bpermute_b32 v24, v62, v17
	v_cmp_le_u32_e32 vcc, v63, v15
	;; [unrolled: 9-line block ×3, first 2 shown]
	s_waitcnt lgkmcnt(0)
	v_cndmask_b32_e32 v15, 0, v24, vcc
	v_add_u32_e32 v24, v17, v15
	v_mov_b32_e32 v17, 0
	s_branch .LBB3109_110
.LBB3109_109:                           ;   in Loop: Header=BB3109_110 Depth=1
	s_or_b64 exec, exec, s[30:31]
	v_cmp_eq_u16_sdwa s[30:31], v25, v53 src0_sel:BYTE_0 src1_sel:DWORD
	v_and_b32_e32 v26, s31, v23
	v_or_b32_e32 v26, 0x80000000, v26
	ds_bpermute_b32 v66, v55, v24
	v_and_b32_e32 v27, s30, v22
	v_ffbl_b32_e32 v26, v26
	v_add_u32_e32 v26, 32, v26
	v_ffbl_b32_e32 v27, v27
	v_min_u32_e32 v26, v27, v26
	v_cmp_lt_u32_e32 vcc, v54, v26
	s_waitcnt lgkmcnt(0)
	v_cndmask_b32_e32 v27, 0, v66, vcc
	v_add_u32_e32 v24, v27, v24
	ds_bpermute_b32 v27, v56, v24
	v_cmp_le_u32_e32 vcc, v57, v26
	v_subrev_u32_e32 v16, 64, v16
	s_waitcnt lgkmcnt(0)
	v_cndmask_b32_e32 v27, 0, v27, vcc
	v_add_u32_e32 v24, v24, v27
	ds_bpermute_b32 v27, v58, v24
	v_cmp_le_u32_e32 vcc, v59, v26
	s_waitcnt lgkmcnt(0)
	v_cndmask_b32_e32 v27, 0, v27, vcc
	v_add_u32_e32 v24, v24, v27
	ds_bpermute_b32 v27, v60, v24
	v_cmp_le_u32_e32 vcc, v61, v26
	;; [unrolled: 5-line block ×4, first 2 shown]
	s_waitcnt lgkmcnt(0)
	v_cndmask_b32_e32 v26, 0, v27, vcc
	v_add3_u32 v24, v26, v15, v24
.LBB3109_110:                           ; =>This Loop Header: Depth=1
                                        ;     Child Loop BB3109_113 Depth 2
                                        ;       Child Loop BB3109_114 Depth 3
	v_cmp_ne_u16_sdwa s[30:31], v25, v53 src0_sel:BYTE_0 src1_sel:DWORD
	v_cndmask_b32_e64 v15, 0, 1, s[30:31]
	;;#ASMSTART
	;;#ASMEND
	v_cmp_ne_u32_e32 vcc, 0, v15
	s_cmp_lg_u64 vcc, exec
	v_mov_b32_e32 v15, v24
	s_cbranch_scc1 .LBB3109_117
; %bb.111:                              ;   in Loop: Header=BB3109_110 Depth=1
	v_lshlrev_b64 v[24:25], 3, v[16:17]
	v_mov_b32_e32 v27, s27
	v_add_co_u32_e32 v26, vcc, s26, v24
	v_addc_co_u32_e32 v27, vcc, v27, v25, vcc
	global_load_dwordx2 v[24:25], v[26:27], off glc
	s_waitcnt vmcnt(0)
	v_cmp_eq_u16_sdwa s[34:35], v25, v17 src0_sel:BYTE_0 src1_sel:DWORD
	s_and_saveexec_b64 s[30:31], s[34:35]
	s_cbranch_execz .LBB3109_109
; %bb.112:                              ;   in Loop: Header=BB3109_110 Depth=1
	s_mov_b32 s37, 1
	s_mov_b64 s[34:35], 0
.LBB3109_113:                           ;   Parent Loop BB3109_110 Depth=1
                                        ; =>  This Loop Header: Depth=2
                                        ;       Child Loop BB3109_114 Depth 3
	s_max_u32 s38, s37, 1
.LBB3109_114:                           ;   Parent Loop BB3109_110 Depth=1
                                        ;     Parent Loop BB3109_113 Depth=2
                                        ; =>    This Inner Loop Header: Depth=3
	s_add_i32 s38, s38, -1
	s_cmp_eq_u32 s38, 0
	s_sleep 1
	s_cbranch_scc0 .LBB3109_114
; %bb.115:                              ;   in Loop: Header=BB3109_113 Depth=2
	global_load_dwordx2 v[24:25], v[26:27], off glc
	s_cmp_lt_u32 s37, 32
	s_cselect_b64 s[38:39], -1, 0
	s_cmp_lg_u64 s[38:39], 0
	s_addc_u32 s37, s37, 0
	s_waitcnt vmcnt(0)
	v_cmp_ne_u16_sdwa s[38:39], v25, v17 src0_sel:BYTE_0 src1_sel:DWORD
	s_or_b64 s[34:35], s[38:39], s[34:35]
	s_andn2_b64 exec, exec, s[34:35]
	s_cbranch_execnz .LBB3109_113
; %bb.116:                              ;   in Loop: Header=BB3109_110 Depth=1
	s_or_b64 exec, exec, s[34:35]
	s_branch .LBB3109_109
.LBB3109_117:                           ;   in Loop: Header=BB3109_110 Depth=1
                                        ; implicit-def: $vgpr24
                                        ; implicit-def: $vgpr25
	s_cbranch_execz .LBB3109_110
; %bb.118:
	s_and_saveexec_b64 s[30:31], s[16:17]
	s_cbranch_execz .LBB3109_120
; %bb.119:
	s_add_i32 s34, s36, 64
	s_mov_b32 s35, 0
	s_lshl_b64 s[34:35], s[34:35], 3
	s_add_u32 s34, s26, s34
	v_add_u32_e32 v16, v15, v14
	v_mov_b32_e32 v17, 2
	s_addc_u32 s35, s27, s35
	v_mov_b32_e32 v22, 0
	global_store_dwordx2 v22, v[16:17], s[34:35]
	ds_write_b64 v22, v[14:15] offset:10240
.LBB3109_120:
	s_or_b64 exec, exec, s[30:31]
	s_and_b64 exec, exec, s[0:1]
	s_cbranch_execz .LBB3109_122
; %bb.121:
	v_mov_b32_e32 v14, 0
	ds_write_b32 v14, v15 offset:12
.LBB3109_122:
	s_or_b64 exec, exec, s[28:29]
	v_mov_b32_e32 v14, 0
	s_waitcnt lgkmcnt(0)
	s_barrier
	ds_read_b32 v16, v14 offset:12
	s_waitcnt lgkmcnt(0)
	s_barrier
	ds_read_b64 v[14:15], v14 offset:10240
	v_cndmask_b32_e64 v17, v52, v51, s[16:17]
	v_cndmask_b32_e64 v17, v17, 0, s[0:1]
	v_add_u32_e32 v24, v16, v17
	s_waitcnt lgkmcnt(0)
	v_mov_b32_e32 v16, v15
	s_branch .LBB3109_133
.LBB3109_123:
                                        ; implicit-def: $vgpr16
                                        ; implicit-def: $vgpr14
                                        ; implicit-def: $vgpr24
	s_cbranch_execz .LBB3109_133
; %bb.124:
	s_nop 0
	v_mov_b32_dpp v14, v50 row_shr:1 row_mask:0xf bank_mask:0xf
	v_cndmask_b32_e64 v14, v14, 0, s[14:15]
	v_add_u32_e32 v14, v14, v50
	s_nop 1
	v_mov_b32_dpp v15, v14 row_shr:2 row_mask:0xf bank_mask:0xf
	v_cndmask_b32_e64 v15, 0, v15, s[12:13]
	v_add_u32_e32 v14, v14, v15
	;; [unrolled: 4-line block ×4, first 2 shown]
	s_nop 1
	v_mov_b32_dpp v15, v14 row_bcast:15 row_mask:0xf bank_mask:0xf
	v_cndmask_b32_e64 v15, v15, 0, s[6:7]
	v_add_u32_e32 v14, v14, v15
	s_nop 1
	v_mov_b32_dpp v15, v14 row_bcast:31 row_mask:0xf bank_mask:0xf
	v_cndmask_b32_e64 v15, 0, v15, s[2:3]
	v_add_u32_e32 v14, v14, v15
	s_and_saveexec_b64 s[2:3], s[4:5]
	s_cbranch_execz .LBB3109_126
; %bb.125:
	v_lshlrev_b32_e32 v15, 2, v49
	ds_write_b32 v15, v14
.LBB3109_126:
	s_or_b64 exec, exec, s[2:3]
	v_cmp_gt_u32_e32 vcc, 4, v0
	s_waitcnt lgkmcnt(0)
	s_barrier
	s_and_saveexec_b64 s[2:3], vcc
	s_cbranch_execz .LBB3109_128
; %bb.127:
	v_lshlrev_b32_e32 v15, 2, v0
	ds_read_b32 v16, v15
	v_and_b32_e32 v17, 3, v48
	v_cmp_ne_u32_e32 vcc, 0, v17
	s_waitcnt lgkmcnt(0)
	v_mov_b32_dpp v22, v16 row_shr:1 row_mask:0xf bank_mask:0xf
	v_cndmask_b32_e32 v22, 0, v22, vcc
	v_add_u32_e32 v16, v22, v16
	v_cmp_lt_u32_e32 vcc, 1, v17
	s_nop 0
	v_mov_b32_dpp v22, v16 row_shr:2 row_mask:0xf bank_mask:0xf
	v_cndmask_b32_e32 v17, 0, v22, vcc
	v_add_u32_e32 v16, v16, v17
	ds_write_b32 v15, v16
.LBB3109_128:
	s_or_b64 exec, exec, s[2:3]
	v_cmp_lt_u32_e32 vcc, 63, v0
	v_mov_b32_e32 v15, 0
	v_mov_b32_e32 v16, 0
	s_waitcnt lgkmcnt(0)
	s_barrier
	s_and_saveexec_b64 s[2:3], vcc
	s_cbranch_execz .LBB3109_130
; %bb.129:
	v_lshl_add_u32 v16, v49, 2, -4
	ds_read_b32 v16, v16
.LBB3109_130:
	s_or_b64 exec, exec, s[2:3]
	v_add_u32_e32 v17, -1, v48
	v_and_b32_e32 v22, 64, v48
	v_cmp_lt_i32_e32 vcc, v17, v22
	v_cndmask_b32_e32 v17, v17, v48, vcc
	s_waitcnt lgkmcnt(0)
	v_add_u32_e32 v14, v16, v14
	v_lshlrev_b32_e32 v17, 2, v17
	ds_bpermute_b32 v17, v17, v14
	ds_read_b32 v14, v15 offset:12
	s_and_saveexec_b64 s[2:3], s[0:1]
	s_cbranch_execz .LBB3109_132
; %bb.131:
	v_mov_b32_e32 v22, 0
	v_mov_b32_e32 v15, 2
	s_waitcnt lgkmcnt(0)
	global_store_dwordx2 v22, v[14:15], s[26:27] offset:512
.LBB3109_132:
	s_or_b64 exec, exec, s[2:3]
	v_cmp_eq_u32_e32 vcc, 0, v48
	s_waitcnt lgkmcnt(1)
	v_cndmask_b32_e32 v15, v17, v16, vcc
	v_mov_b32_e32 v16, 0
	v_cndmask_b32_e64 v24, v15, 0, s[0:1]
	s_waitcnt lgkmcnt(0)
	s_barrier
.LBB3109_133:
	v_add_u32_sdwa v26, v24, v20 dst_sel:DWORD dst_unused:UNUSED_PAD src0_sel:DWORD src1_sel:BYTE_0
	v_add_u32_e32 v28, v14, v28
	v_sub_u32_e32 v24, v24, v16
	v_and_b32_e32 v53, 1, v20
	v_sub_u32_e32 v52, v28, v24
	v_cmp_eq_u32_e32 vcc, 1, v53
	v_cndmask_b32_e32 v24, v52, v24, vcc
	v_lshlrev_b32_e32 v24, 1, v24
	v_lshrrev_b32_e32 v25, 8, v20
	ds_write_b16 v24, v6
	v_sub_u32_e32 v24, v26, v16
	v_add_u32_sdwa v27, v26, v20 dst_sel:DWORD dst_unused:UNUSED_PAD src0_sel:DWORD src1_sel:BYTE_1
	v_sub_u32_e32 v26, v28, v24
	v_and_b32_e32 v25, 1, v25
	v_add_u32_e32 v26, 1, v26
	v_cmp_eq_u32_e32 vcc, 1, v25
	v_cndmask_b32_e32 v24, v26, v24, vcc
	v_lshlrev_b32_e32 v24, 1, v24
	ds_write_b16_d16_hi v24, v6
	v_sub_u32_e32 v6, v27, v16
	v_mov_b32_e32 v25, 1
	v_sub_u32_e32 v24, v28, v6
	v_and_b32_sdwa v20, v25, v20 dst_sel:DWORD dst_unused:UNUSED_PAD src0_sel:DWORD src1_sel:WORD_1
	v_add_u32_e32 v24, 2, v24
	v_cmp_eq_u32_e32 vcc, 1, v20
	v_cndmask_b32_e32 v6, v24, v6, vcc
	v_add_u32_e32 v47, v27, v47
	v_lshlrev_b32_e32 v6, 1, v6
	ds_write_b16 v6, v7
	v_sub_u32_e32 v6, v47, v16
	v_sub_u32_e32 v20, v28, v6
	v_and_b32_e32 v24, 1, v35
	v_add_u32_e32 v20, 3, v20
	v_cmp_eq_u32_e32 vcc, 1, v24
	v_cndmask_b32_e32 v6, v20, v6, vcc
	v_add_u32_e32 v48, v47, v35
	v_lshlrev_b32_e32 v6, 1, v6
	ds_write_b16_d16_hi v6, v7
	v_sub_u32_e32 v6, v48, v16
	v_sub_u32_e32 v7, v28, v6
	v_and_b32_e32 v20, 1, v21
	v_add_u32_e32 v7, 4, v7
	v_cmp_eq_u32_e32 vcc, 1, v20
	v_cndmask_b32_e32 v6, v7, v6, vcc
	v_add_u32_e32 v44, v48, v44
	v_lshlrev_b32_e32 v6, 1, v6
	v_lshrrev_b32_e32 v23, 8, v21
	ds_write_b16 v6, v8
	v_sub_u32_e32 v6, v44, v16
	v_sub_u32_e32 v7, v28, v6
	v_and_b32_e32 v20, 1, v23
	v_add_u32_e32 v7, 5, v7
	v_cmp_eq_u32_e32 vcc, 1, v20
	v_cndmask_b32_e32 v6, v7, v6, vcc
	v_add_u32_e32 v45, v44, v45
	v_lshlrev_b32_e32 v6, 1, v6
	ds_write_b16_d16_hi v6, v8
	v_sub_u32_e32 v6, v45, v16
	v_sub_u32_e32 v7, v28, v6
	v_and_b32_sdwa v8, v25, v21 dst_sel:DWORD dst_unused:UNUSED_PAD src0_sel:DWORD src1_sel:WORD_1
	v_add_u32_e32 v7, 6, v7
	v_cmp_eq_u32_e32 vcc, 1, v8
	v_cndmask_b32_e32 v6, v7, v6, vcc
	v_add_u32_e32 v46, v45, v46
	v_lshlrev_b32_e32 v6, 1, v6
	ds_write_b16 v6, v9
	v_sub_u32_e32 v6, v46, v16
	v_sub_u32_e32 v7, v28, v6
	v_and_b32_e32 v8, 1, v34
	v_add_u32_e32 v7, 7, v7
	v_cmp_eq_u32_e32 vcc, 1, v8
	v_cndmask_b32_e32 v6, v7, v6, vcc
	v_add_u32_e32 v49, v46, v34
	v_lshlrev_b32_e32 v6, 1, v6
	ds_write_b16_d16_hi v6, v9
	v_sub_u32_e32 v6, v49, v16
	v_sub_u32_e32 v7, v28, v6
	v_and_b32_e32 v8, 1, v18
	v_add_u32_e32 v7, 8, v7
	v_cmp_eq_u32_e32 vcc, 1, v8
	v_cndmask_b32_e32 v6, v7, v6, vcc
	v_add_u32_e32 v41, v49, v41
	v_lshlrev_b32_e32 v6, 1, v6
	v_lshrrev_b32_e32 v22, 8, v18
	ds_write_b16 v6, v2
	v_sub_u32_e32 v6, v41, v16
	v_sub_u32_e32 v7, v28, v6
	v_and_b32_e32 v8, 1, v22
	v_add_u32_e32 v7, 9, v7
	v_cmp_eq_u32_e32 vcc, 1, v8
	v_cndmask_b32_e32 v6, v7, v6, vcc
	v_add_u32_e32 v42, v41, v42
	v_lshlrev_b32_e32 v6, 1, v6
	ds_write_b16_d16_hi v6, v2
	v_sub_u32_e32 v2, v42, v16
	;; [unrolled: 37-line block ×4, first 2 shown]
	v_sub_u32_e32 v3, v28, v2
	v_and_b32_sdwa v4, v25, v30 dst_sel:DWORD dst_unused:UNUSED_PAD src0_sel:DWORD src1_sel:WORD_1
	v_add_u32_e32 v3, 18, v3
	v_cmp_eq_u32_e32 vcc, 1, v4
	v_cndmask_b32_e32 v2, v3, v2, vcc
	v_lshlrev_b32_e32 v2, 1, v2
	ds_write_b16 v2, v13
	v_sub_u32_e32 v2, v31, v16
	v_add_u32_e32 v2, v37, v2
	v_sub_u32_e32 v3, v28, v2
	v_and_b32_e32 v4, 1, v29
	v_add_u32_e32 v3, 19, v3
	v_cmp_eq_u32_e32 vcc, 1, v4
	v_cndmask_b32_e32 v2, v3, v2, vcc
	v_lshlrev_b32_e32 v2, 1, v2
	ds_write_b16_d16_hi v2, v13
	s_waitcnt lgkmcnt(0)
	s_barrier
	ds_read_u16 v49, v1
	ds_read_u16 v48, v1 offset:512
	ds_read_u16 v46, v1 offset:1024
	;; [unrolled: 1-line block ×19, first 2 shown]
	v_or_b32_e32 v47, 0x100, v0
	v_or_b32_e32 v45, 0x200, v0
	;; [unrolled: 1-line block ×19, first 2 shown]
	s_andn2_b64 vcc, exec, s[22:23]
	s_waitcnt vmcnt(0)
	v_lshlrev_b64 v[4:5], 1, v[10:11]
	s_cbranch_vccnz .LBB3109_155
; %bb.134:
	v_mov_b32_e32 v17, 0
	v_mov_b32_e32 v2, s25
	v_add_co_u32_e32 v50, vcc, s24, v4
	v_addc_co_u32_e32 v51, vcc, v2, v5, vcc
	v_lshlrev_b64 v[2:3], 1, v[16:17]
	v_add_co_u32_e32 v2, vcc, v50, v2
	v_addc_co_u32_e32 v3, vcc, v51, v3, vcc
	v_cmp_lt_u32_e32 vcc, v0, v14
	s_and_saveexec_b64 s[2:3], vcc
	s_cbranch_execnz .LBB3109_182
; %bb.135:
	s_or_b64 exec, exec, s[2:3]
	v_cmp_lt_u32_e32 vcc, v47, v14
	s_and_saveexec_b64 s[2:3], vcc
	s_cbranch_execnz .LBB3109_183
.LBB3109_136:
	s_or_b64 exec, exec, s[2:3]
	v_cmp_lt_u32_e32 vcc, v45, v14
	s_and_saveexec_b64 s[2:3], vcc
	s_cbranch_execnz .LBB3109_184
.LBB3109_137:
	s_or_b64 exec, exec, s[2:3]
	v_cmp_lt_u32_e32 vcc, v43, v14
	s_and_saveexec_b64 s[2:3], vcc
	s_cbranch_execnz .LBB3109_185
.LBB3109_138:
	s_or_b64 exec, exec, s[2:3]
	v_cmp_lt_u32_e32 vcc, v41, v14
	s_and_saveexec_b64 s[2:3], vcc
	s_cbranch_execnz .LBB3109_186
.LBB3109_139:
	s_or_b64 exec, exec, s[2:3]
	v_cmp_lt_u32_e32 vcc, v40, v14
	s_and_saveexec_b64 s[2:3], vcc
	s_cbranch_execnz .LBB3109_187
.LBB3109_140:
	s_or_b64 exec, exec, s[2:3]
	v_cmp_lt_u32_e32 vcc, v38, v14
	s_and_saveexec_b64 s[2:3], vcc
	s_cbranch_execnz .LBB3109_188
.LBB3109_141:
	s_or_b64 exec, exec, s[2:3]
	v_cmp_lt_u32_e32 vcc, v36, v14
	s_and_saveexec_b64 s[2:3], vcc
	s_cbranch_execnz .LBB3109_189
.LBB3109_142:
	s_or_b64 exec, exec, s[2:3]
	v_cmp_lt_u32_e32 vcc, v33, v14
	s_and_saveexec_b64 s[2:3], vcc
	s_cbranch_execnz .LBB3109_190
.LBB3109_143:
	s_or_b64 exec, exec, s[2:3]
	v_cmp_lt_u32_e32 vcc, v31, v14
	s_and_saveexec_b64 s[2:3], vcc
	s_cbranch_execnz .LBB3109_191
.LBB3109_144:
	s_or_b64 exec, exec, s[2:3]
	v_cmp_lt_u32_e32 vcc, v29, v14
	s_and_saveexec_b64 s[2:3], vcc
	s_cbranch_execnz .LBB3109_192
.LBB3109_145:
	s_or_b64 exec, exec, s[2:3]
	v_cmp_lt_u32_e32 vcc, v27, v14
	s_and_saveexec_b64 s[2:3], vcc
	s_cbranch_execnz .LBB3109_193
.LBB3109_146:
	s_or_b64 exec, exec, s[2:3]
	v_cmp_lt_u32_e32 vcc, v25, v14
	s_and_saveexec_b64 s[2:3], vcc
	s_cbranch_execnz .LBB3109_194
.LBB3109_147:
	s_or_b64 exec, exec, s[2:3]
	v_cmp_lt_u32_e32 vcc, v23, v14
	s_and_saveexec_b64 s[2:3], vcc
	s_cbranch_execnz .LBB3109_195
.LBB3109_148:
	s_or_b64 exec, exec, s[2:3]
	v_cmp_lt_u32_e32 vcc, v21, v14
	s_and_saveexec_b64 s[2:3], vcc
	s_cbranch_execnz .LBB3109_196
.LBB3109_149:
	s_or_b64 exec, exec, s[2:3]
	v_cmp_lt_u32_e32 vcc, v19, v14
	s_and_saveexec_b64 s[2:3], vcc
	s_cbranch_execnz .LBB3109_197
.LBB3109_150:
	s_or_b64 exec, exec, s[2:3]
	v_cmp_lt_u32_e32 vcc, v15, v14
	s_and_saveexec_b64 s[2:3], vcc
	s_cbranch_execnz .LBB3109_198
.LBB3109_151:
	s_or_b64 exec, exec, s[2:3]
	v_cmp_lt_u32_e32 vcc, v12, v14
	s_and_saveexec_b64 s[2:3], vcc
	s_cbranch_execnz .LBB3109_199
.LBB3109_152:
	s_or_b64 exec, exec, s[2:3]
	v_cmp_lt_u32_e32 vcc, v9, v14
	s_and_saveexec_b64 s[2:3], vcc
	s_cbranch_execz .LBB3109_154
.LBB3109_153:
	v_lshlrev_b32_e32 v17, 1, v9
	v_readfirstlane_b32 s4, v2
	v_readfirstlane_b32 s5, v3
	s_waitcnt lgkmcnt(1)
	s_nop 3
	global_store_short v17, v8, s[4:5]
.LBB3109_154:
	s_or_b64 exec, exec, s[2:3]
	v_cmp_lt_u32_e64 s[2:3], v7, v14
	s_branch .LBB3109_177
.LBB3109_155:
	s_mov_b64 s[2:3], 0
                                        ; implicit-def: $vgpr2_vgpr3
	s_cbranch_execz .LBB3109_177
; %bb.156:
	v_mov_b32_e32 v17, 0
	v_mov_b32_e32 v2, s25
	v_add_co_u32_e32 v4, vcc, s24, v4
	v_addc_co_u32_e32 v5, vcc, v2, v5, vcc
	v_lshlrev_b64 v[2:3], 1, v[16:17]
	v_add_co_u32_e32 v2, vcc, v4, v2
	v_min_u32_e32 v50, s33, v14
	v_addc_co_u32_e32 v3, vcc, v5, v3, vcc
	v_cmp_gt_u32_e32 vcc, v50, v0
	s_and_saveexec_b64 s[2:3], vcc
	s_cbranch_execnz .LBB3109_200
; %bb.157:
	s_or_b64 exec, exec, s[2:3]
	v_cmp_lt_u32_e32 vcc, v47, v50
	s_and_saveexec_b64 s[2:3], vcc
	s_cbranch_execnz .LBB3109_201
.LBB3109_158:
	s_or_b64 exec, exec, s[2:3]
	v_cmp_lt_u32_e32 vcc, v45, v50
	s_and_saveexec_b64 s[2:3], vcc
	s_cbranch_execnz .LBB3109_202
.LBB3109_159:
	s_or_b64 exec, exec, s[2:3]
	v_cmp_lt_u32_e32 vcc, v43, v50
	s_and_saveexec_b64 s[2:3], vcc
	s_cbranch_execnz .LBB3109_203
.LBB3109_160:
	s_or_b64 exec, exec, s[2:3]
	v_cmp_lt_u32_e32 vcc, v41, v50
	s_and_saveexec_b64 s[2:3], vcc
	s_cbranch_execnz .LBB3109_204
.LBB3109_161:
	s_or_b64 exec, exec, s[2:3]
	v_cmp_lt_u32_e32 vcc, v40, v50
	s_and_saveexec_b64 s[2:3], vcc
	s_cbranch_execnz .LBB3109_205
.LBB3109_162:
	s_or_b64 exec, exec, s[2:3]
	v_cmp_lt_u32_e32 vcc, v38, v50
	s_and_saveexec_b64 s[2:3], vcc
	s_cbranch_execnz .LBB3109_206
.LBB3109_163:
	s_or_b64 exec, exec, s[2:3]
	v_cmp_lt_u32_e32 vcc, v36, v50
	s_and_saveexec_b64 s[2:3], vcc
	s_cbranch_execnz .LBB3109_207
.LBB3109_164:
	s_or_b64 exec, exec, s[2:3]
	v_cmp_lt_u32_e32 vcc, v33, v50
	s_and_saveexec_b64 s[2:3], vcc
	s_cbranch_execnz .LBB3109_208
.LBB3109_165:
	s_or_b64 exec, exec, s[2:3]
	v_cmp_lt_u32_e32 vcc, v31, v50
	s_and_saveexec_b64 s[2:3], vcc
	s_cbranch_execnz .LBB3109_209
.LBB3109_166:
	s_or_b64 exec, exec, s[2:3]
	v_cmp_lt_u32_e32 vcc, v29, v50
	s_and_saveexec_b64 s[2:3], vcc
	s_cbranch_execnz .LBB3109_210
.LBB3109_167:
	s_or_b64 exec, exec, s[2:3]
	v_cmp_lt_u32_e32 vcc, v27, v50
	s_and_saveexec_b64 s[2:3], vcc
	s_cbranch_execnz .LBB3109_211
.LBB3109_168:
	s_or_b64 exec, exec, s[2:3]
	v_cmp_lt_u32_e32 vcc, v25, v50
	s_and_saveexec_b64 s[2:3], vcc
	s_cbranch_execnz .LBB3109_212
.LBB3109_169:
	s_or_b64 exec, exec, s[2:3]
	v_cmp_lt_u32_e32 vcc, v23, v50
	s_and_saveexec_b64 s[2:3], vcc
	s_cbranch_execnz .LBB3109_213
.LBB3109_170:
	s_or_b64 exec, exec, s[2:3]
	v_cmp_lt_u32_e32 vcc, v21, v50
	s_and_saveexec_b64 s[2:3], vcc
	s_cbranch_execnz .LBB3109_214
.LBB3109_171:
	s_or_b64 exec, exec, s[2:3]
	v_cmp_lt_u32_e32 vcc, v19, v50
	s_and_saveexec_b64 s[2:3], vcc
	s_cbranch_execnz .LBB3109_215
.LBB3109_172:
	s_or_b64 exec, exec, s[2:3]
	v_cmp_lt_u32_e32 vcc, v15, v50
	s_and_saveexec_b64 s[2:3], vcc
	s_cbranch_execnz .LBB3109_216
.LBB3109_173:
	s_or_b64 exec, exec, s[2:3]
	v_cmp_lt_u32_e32 vcc, v12, v50
	s_and_saveexec_b64 s[2:3], vcc
	s_cbranch_execnz .LBB3109_217
.LBB3109_174:
	s_or_b64 exec, exec, s[2:3]
	v_cmp_lt_u32_e32 vcc, v9, v50
	s_and_saveexec_b64 s[2:3], vcc
	s_cbranch_execz .LBB3109_176
.LBB3109_175:
	v_lshlrev_b32_e32 v0, 1, v9
	v_readfirstlane_b32 s4, v2
	v_readfirstlane_b32 s5, v3
	s_waitcnt lgkmcnt(1)
	s_nop 3
	global_store_short v0, v8, s[4:5]
.LBB3109_176:
	s_or_b64 exec, exec, s[2:3]
	v_cmp_lt_u32_e64 s[2:3], v7, v50
.LBB3109_177:
	s_and_saveexec_b64 s[4:5], s[2:3]
	s_cbranch_execnz .LBB3109_180
; %bb.178:
	s_or_b64 exec, exec, s[4:5]
	s_and_b64 s[0:1], s[0:1], s[18:19]
	s_and_saveexec_b64 s[2:3], s[0:1]
	s_cbranch_execnz .LBB3109_181
.LBB3109_179:
	s_endpgm
.LBB3109_180:
	v_lshlrev_b32_e32 v0, 1, v7
	v_readfirstlane_b32 s2, v2
	v_readfirstlane_b32 s3, v3
	s_waitcnt lgkmcnt(0)
	s_nop 3
	global_store_short v0, v6, s[2:3]
	s_or_b64 exec, exec, s[4:5]
	s_and_b64 s[0:1], s[0:1], s[18:19]
	s_and_saveexec_b64 s[2:3], s[0:1]
	s_cbranch_execz .LBB3109_179
.LBB3109_181:
	v_add_co_u32_e32 v0, vcc, v10, v14
	v_addc_co_u32_e32 v1, vcc, 0, v11, vcc
	v_add_co_u32_e32 v0, vcc, v0, v16
	v_mov_b32_e32 v2, 0
	v_addc_co_u32_e32 v1, vcc, 0, v1, vcc
	global_store_dwordx2 v2, v[0:1], s[20:21]
	s_endpgm
.LBB3109_182:
	v_readfirstlane_b32 s4, v2
	v_readfirstlane_b32 s5, v3
	s_waitcnt lgkmcnt(14)
	s_nop 3
	global_store_short v1, v49, s[4:5]
	s_or_b64 exec, exec, s[2:3]
	v_cmp_lt_u32_e32 vcc, v47, v14
	s_and_saveexec_b64 s[2:3], vcc
	s_cbranch_execz .LBB3109_136
.LBB3109_183:
	v_readfirstlane_b32 s4, v2
	v_readfirstlane_b32 s5, v3
	s_waitcnt lgkmcnt(14)
	s_nop 3
	global_store_short v1, v48, s[4:5] offset:512
	s_or_b64 exec, exec, s[2:3]
	v_cmp_lt_u32_e32 vcc, v45, v14
	s_and_saveexec_b64 s[2:3], vcc
	s_cbranch_execz .LBB3109_137
.LBB3109_184:
	v_readfirstlane_b32 s4, v2
	v_readfirstlane_b32 s5, v3
	s_waitcnt lgkmcnt(14)
	s_nop 3
	global_store_short v1, v46, s[4:5] offset:1024
	s_or_b64 exec, exec, s[2:3]
	v_cmp_lt_u32_e32 vcc, v43, v14
	s_and_saveexec_b64 s[2:3], vcc
	s_cbranch_execz .LBB3109_138
.LBB3109_185:
	v_readfirstlane_b32 s4, v2
	v_readfirstlane_b32 s5, v3
	s_waitcnt lgkmcnt(14)
	s_nop 3
	global_store_short v1, v44, s[4:5] offset:1536
	s_or_b64 exec, exec, s[2:3]
	v_cmp_lt_u32_e32 vcc, v41, v14
	s_and_saveexec_b64 s[2:3], vcc
	s_cbranch_execz .LBB3109_139
.LBB3109_186:
	v_readfirstlane_b32 s4, v2
	v_readfirstlane_b32 s5, v3
	s_waitcnt lgkmcnt(14)
	s_nop 3
	global_store_short v1, v42, s[4:5] offset:2048
	s_or_b64 exec, exec, s[2:3]
	v_cmp_lt_u32_e32 vcc, v40, v14
	s_and_saveexec_b64 s[2:3], vcc
	s_cbranch_execz .LBB3109_140
.LBB3109_187:
	v_readfirstlane_b32 s4, v2
	v_readfirstlane_b32 s5, v3
	s_waitcnt lgkmcnt(14)
	s_nop 3
	global_store_short v1, v39, s[4:5] offset:2560
	s_or_b64 exec, exec, s[2:3]
	v_cmp_lt_u32_e32 vcc, v38, v14
	s_and_saveexec_b64 s[2:3], vcc
	s_cbranch_execz .LBB3109_141
.LBB3109_188:
	v_readfirstlane_b32 s4, v2
	v_readfirstlane_b32 s5, v3
	s_waitcnt lgkmcnt(13)
	s_nop 3
	global_store_short v1, v37, s[4:5] offset:3072
	s_or_b64 exec, exec, s[2:3]
	v_cmp_lt_u32_e32 vcc, v36, v14
	s_and_saveexec_b64 s[2:3], vcc
	s_cbranch_execz .LBB3109_142
.LBB3109_189:
	v_readfirstlane_b32 s4, v2
	v_readfirstlane_b32 s5, v3
	s_waitcnt lgkmcnt(12)
	s_nop 3
	global_store_short v1, v34, s[4:5] offset:3584
	s_or_b64 exec, exec, s[2:3]
	v_cmp_lt_u32_e32 vcc, v33, v14
	s_and_saveexec_b64 s[2:3], vcc
	s_cbranch_execz .LBB3109_143
.LBB3109_190:
	v_lshlrev_b32_e32 v17, 1, v33
	v_readfirstlane_b32 s4, v2
	v_readfirstlane_b32 s5, v3
	s_waitcnt lgkmcnt(11)
	s_nop 3
	global_store_short v17, v35, s[4:5]
	s_or_b64 exec, exec, s[2:3]
	v_cmp_lt_u32_e32 vcc, v31, v14
	s_and_saveexec_b64 s[2:3], vcc
	s_cbranch_execz .LBB3109_144
.LBB3109_191:
	v_lshlrev_b32_e32 v17, 1, v31
	v_readfirstlane_b32 s4, v2
	v_readfirstlane_b32 s5, v3
	s_waitcnt lgkmcnt(10)
	s_nop 3
	global_store_short v17, v32, s[4:5]
	s_or_b64 exec, exec, s[2:3]
	v_cmp_lt_u32_e32 vcc, v29, v14
	s_and_saveexec_b64 s[2:3], vcc
	s_cbranch_execz .LBB3109_145
.LBB3109_192:
	v_lshlrev_b32_e32 v17, 1, v29
	v_readfirstlane_b32 s4, v2
	v_readfirstlane_b32 s5, v3
	s_waitcnt lgkmcnt(9)
	s_nop 3
	global_store_short v17, v30, s[4:5]
	s_or_b64 exec, exec, s[2:3]
	v_cmp_lt_u32_e32 vcc, v27, v14
	s_and_saveexec_b64 s[2:3], vcc
	s_cbranch_execz .LBB3109_146
.LBB3109_193:
	v_lshlrev_b32_e32 v17, 1, v27
	v_readfirstlane_b32 s4, v2
	v_readfirstlane_b32 s5, v3
	s_waitcnt lgkmcnt(8)
	s_nop 3
	global_store_short v17, v28, s[4:5]
	s_or_b64 exec, exec, s[2:3]
	v_cmp_lt_u32_e32 vcc, v25, v14
	s_and_saveexec_b64 s[2:3], vcc
	s_cbranch_execz .LBB3109_147
.LBB3109_194:
	v_lshlrev_b32_e32 v17, 1, v25
	v_readfirstlane_b32 s4, v2
	v_readfirstlane_b32 s5, v3
	s_waitcnt lgkmcnt(7)
	s_nop 3
	global_store_short v17, v26, s[4:5]
	s_or_b64 exec, exec, s[2:3]
	v_cmp_lt_u32_e32 vcc, v23, v14
	s_and_saveexec_b64 s[2:3], vcc
	s_cbranch_execz .LBB3109_148
.LBB3109_195:
	v_lshlrev_b32_e32 v17, 1, v23
	v_readfirstlane_b32 s4, v2
	v_readfirstlane_b32 s5, v3
	s_waitcnt lgkmcnt(6)
	s_nop 3
	global_store_short v17, v24, s[4:5]
	s_or_b64 exec, exec, s[2:3]
	v_cmp_lt_u32_e32 vcc, v21, v14
	s_and_saveexec_b64 s[2:3], vcc
	s_cbranch_execz .LBB3109_149
.LBB3109_196:
	v_lshlrev_b32_e32 v17, 1, v21
	v_readfirstlane_b32 s4, v2
	v_readfirstlane_b32 s5, v3
	s_waitcnt lgkmcnt(5)
	s_nop 3
	global_store_short v17, v22, s[4:5]
	s_or_b64 exec, exec, s[2:3]
	v_cmp_lt_u32_e32 vcc, v19, v14
	s_and_saveexec_b64 s[2:3], vcc
	s_cbranch_execz .LBB3109_150
.LBB3109_197:
	v_lshlrev_b32_e32 v17, 1, v19
	v_readfirstlane_b32 s4, v2
	v_readfirstlane_b32 s5, v3
	s_waitcnt lgkmcnt(4)
	s_nop 3
	global_store_short v17, v20, s[4:5]
	s_or_b64 exec, exec, s[2:3]
	v_cmp_lt_u32_e32 vcc, v15, v14
	s_and_saveexec_b64 s[2:3], vcc
	s_cbranch_execz .LBB3109_151
.LBB3109_198:
	v_lshlrev_b32_e32 v17, 1, v15
	v_readfirstlane_b32 s4, v2
	v_readfirstlane_b32 s5, v3
	s_waitcnt lgkmcnt(3)
	s_nop 3
	global_store_short v17, v18, s[4:5]
	s_or_b64 exec, exec, s[2:3]
	v_cmp_lt_u32_e32 vcc, v12, v14
	s_and_saveexec_b64 s[2:3], vcc
	s_cbranch_execz .LBB3109_152
.LBB3109_199:
	v_lshlrev_b32_e32 v17, 1, v12
	v_readfirstlane_b32 s4, v2
	v_readfirstlane_b32 s5, v3
	s_waitcnt lgkmcnt(2)
	s_nop 3
	global_store_short v17, v13, s[4:5]
	s_or_b64 exec, exec, s[2:3]
	v_cmp_lt_u32_e32 vcc, v9, v14
	s_and_saveexec_b64 s[2:3], vcc
	s_cbranch_execnz .LBB3109_153
	s_branch .LBB3109_154
.LBB3109_200:
	v_readfirstlane_b32 s4, v2
	v_readfirstlane_b32 s5, v3
	s_waitcnt lgkmcnt(14)
	s_nop 3
	global_store_short v1, v49, s[4:5]
	s_or_b64 exec, exec, s[2:3]
	v_cmp_lt_u32_e32 vcc, v47, v50
	s_and_saveexec_b64 s[2:3], vcc
	s_cbranch_execz .LBB3109_158
.LBB3109_201:
	v_readfirstlane_b32 s4, v2
	v_readfirstlane_b32 s5, v3
	s_waitcnt lgkmcnt(14)
	s_nop 3
	global_store_short v1, v48, s[4:5] offset:512
	s_or_b64 exec, exec, s[2:3]
	v_cmp_lt_u32_e32 vcc, v45, v50
	s_and_saveexec_b64 s[2:3], vcc
	s_cbranch_execz .LBB3109_159
.LBB3109_202:
	v_readfirstlane_b32 s4, v2
	v_readfirstlane_b32 s5, v3
	s_waitcnt lgkmcnt(14)
	s_nop 3
	global_store_short v1, v46, s[4:5] offset:1024
	s_or_b64 exec, exec, s[2:3]
	v_cmp_lt_u32_e32 vcc, v43, v50
	s_and_saveexec_b64 s[2:3], vcc
	s_cbranch_execz .LBB3109_160
.LBB3109_203:
	v_readfirstlane_b32 s4, v2
	v_readfirstlane_b32 s5, v3
	s_waitcnt lgkmcnt(14)
	s_nop 3
	global_store_short v1, v44, s[4:5] offset:1536
	s_or_b64 exec, exec, s[2:3]
	v_cmp_lt_u32_e32 vcc, v41, v50
	s_and_saveexec_b64 s[2:3], vcc
	s_cbranch_execz .LBB3109_161
.LBB3109_204:
	v_readfirstlane_b32 s4, v2
	v_readfirstlane_b32 s5, v3
	s_waitcnt lgkmcnt(14)
	s_nop 3
	global_store_short v1, v42, s[4:5] offset:2048
	s_or_b64 exec, exec, s[2:3]
	v_cmp_lt_u32_e32 vcc, v40, v50
	s_and_saveexec_b64 s[2:3], vcc
	s_cbranch_execz .LBB3109_162
.LBB3109_205:
	v_readfirstlane_b32 s4, v2
	v_readfirstlane_b32 s5, v3
	s_waitcnt lgkmcnt(14)
	s_nop 3
	global_store_short v1, v39, s[4:5] offset:2560
	s_or_b64 exec, exec, s[2:3]
	v_cmp_lt_u32_e32 vcc, v38, v50
	s_and_saveexec_b64 s[2:3], vcc
	s_cbranch_execz .LBB3109_163
.LBB3109_206:
	v_readfirstlane_b32 s4, v2
	v_readfirstlane_b32 s5, v3
	s_waitcnt lgkmcnt(13)
	s_nop 3
	global_store_short v1, v37, s[4:5] offset:3072
	s_or_b64 exec, exec, s[2:3]
	v_cmp_lt_u32_e32 vcc, v36, v50
	s_and_saveexec_b64 s[2:3], vcc
	s_cbranch_execz .LBB3109_164
.LBB3109_207:
	v_readfirstlane_b32 s4, v2
	v_readfirstlane_b32 s5, v3
	s_waitcnt lgkmcnt(12)
	s_nop 3
	global_store_short v1, v34, s[4:5] offset:3584
	s_or_b64 exec, exec, s[2:3]
	v_cmp_lt_u32_e32 vcc, v33, v50
	s_and_saveexec_b64 s[2:3], vcc
	s_cbranch_execz .LBB3109_165
.LBB3109_208:
	v_lshlrev_b32_e32 v0, 1, v33
	v_readfirstlane_b32 s4, v2
	v_readfirstlane_b32 s5, v3
	s_waitcnt lgkmcnt(11)
	s_nop 3
	global_store_short v0, v35, s[4:5]
	s_or_b64 exec, exec, s[2:3]
	v_cmp_lt_u32_e32 vcc, v31, v50
	s_and_saveexec_b64 s[2:3], vcc
	s_cbranch_execz .LBB3109_166
.LBB3109_209:
	v_lshlrev_b32_e32 v0, 1, v31
	v_readfirstlane_b32 s4, v2
	v_readfirstlane_b32 s5, v3
	s_waitcnt lgkmcnt(10)
	s_nop 3
	global_store_short v0, v32, s[4:5]
	s_or_b64 exec, exec, s[2:3]
	v_cmp_lt_u32_e32 vcc, v29, v50
	s_and_saveexec_b64 s[2:3], vcc
	s_cbranch_execz .LBB3109_167
.LBB3109_210:
	v_lshlrev_b32_e32 v0, 1, v29
	v_readfirstlane_b32 s4, v2
	v_readfirstlane_b32 s5, v3
	s_waitcnt lgkmcnt(9)
	s_nop 3
	global_store_short v0, v30, s[4:5]
	s_or_b64 exec, exec, s[2:3]
	v_cmp_lt_u32_e32 vcc, v27, v50
	s_and_saveexec_b64 s[2:3], vcc
	s_cbranch_execz .LBB3109_168
.LBB3109_211:
	v_lshlrev_b32_e32 v0, 1, v27
	v_readfirstlane_b32 s4, v2
	v_readfirstlane_b32 s5, v3
	s_waitcnt lgkmcnt(8)
	s_nop 3
	global_store_short v0, v28, s[4:5]
	s_or_b64 exec, exec, s[2:3]
	v_cmp_lt_u32_e32 vcc, v25, v50
	s_and_saveexec_b64 s[2:3], vcc
	s_cbranch_execz .LBB3109_169
.LBB3109_212:
	v_lshlrev_b32_e32 v0, 1, v25
	v_readfirstlane_b32 s4, v2
	v_readfirstlane_b32 s5, v3
	s_waitcnt lgkmcnt(7)
	s_nop 3
	global_store_short v0, v26, s[4:5]
	s_or_b64 exec, exec, s[2:3]
	v_cmp_lt_u32_e32 vcc, v23, v50
	s_and_saveexec_b64 s[2:3], vcc
	s_cbranch_execz .LBB3109_170
.LBB3109_213:
	v_lshlrev_b32_e32 v0, 1, v23
	v_readfirstlane_b32 s4, v2
	v_readfirstlane_b32 s5, v3
	s_waitcnt lgkmcnt(6)
	s_nop 3
	global_store_short v0, v24, s[4:5]
	s_or_b64 exec, exec, s[2:3]
	v_cmp_lt_u32_e32 vcc, v21, v50
	s_and_saveexec_b64 s[2:3], vcc
	s_cbranch_execz .LBB3109_171
.LBB3109_214:
	v_lshlrev_b32_e32 v0, 1, v21
	v_readfirstlane_b32 s4, v2
	v_readfirstlane_b32 s5, v3
	s_waitcnt lgkmcnt(5)
	s_nop 3
	global_store_short v0, v22, s[4:5]
	s_or_b64 exec, exec, s[2:3]
	v_cmp_lt_u32_e32 vcc, v19, v50
	s_and_saveexec_b64 s[2:3], vcc
	s_cbranch_execz .LBB3109_172
.LBB3109_215:
	v_lshlrev_b32_e32 v0, 1, v19
	v_readfirstlane_b32 s4, v2
	v_readfirstlane_b32 s5, v3
	s_waitcnt lgkmcnt(4)
	s_nop 3
	global_store_short v0, v20, s[4:5]
	s_or_b64 exec, exec, s[2:3]
	v_cmp_lt_u32_e32 vcc, v15, v50
	s_and_saveexec_b64 s[2:3], vcc
	s_cbranch_execz .LBB3109_173
.LBB3109_216:
	v_lshlrev_b32_e32 v0, 1, v15
	v_readfirstlane_b32 s4, v2
	v_readfirstlane_b32 s5, v3
	s_waitcnt lgkmcnt(3)
	s_nop 3
	global_store_short v0, v18, s[4:5]
	s_or_b64 exec, exec, s[2:3]
	v_cmp_lt_u32_e32 vcc, v12, v50
	s_and_saveexec_b64 s[2:3], vcc
	s_cbranch_execz .LBB3109_174
.LBB3109_217:
	v_lshlrev_b32_e32 v0, 1, v12
	v_readfirstlane_b32 s4, v2
	v_readfirstlane_b32 s5, v3
	s_waitcnt lgkmcnt(2)
	s_nop 3
	global_store_short v0, v13, s[4:5]
	s_or_b64 exec, exec, s[2:3]
	v_cmp_lt_u32_e32 vcc, v9, v50
	s_and_saveexec_b64 s[2:3], vcc
	s_cbranch_execnz .LBB3109_175
	s_branch .LBB3109_176
	.section	.rodata,"a",@progbits
	.p2align	6, 0x0
	.amdhsa_kernel _ZN7rocprim17ROCPRIM_400000_NS6detail17trampoline_kernelINS0_14default_configENS1_25partition_config_selectorILNS1_17partition_subalgoE1EtNS0_10empty_typeEbEEZZNS1_14partition_implILS5_1ELb0ES3_jN6thrust23THRUST_200600_302600_NS6detail15normal_iteratorINSA_10device_ptrItEEEEPS6_NSA_18transform_iteratorI7is_evenItESF_NSA_11use_defaultESK_EENS0_5tupleIJSF_NSA_16discard_iteratorISK_EEEEENSM_IJSG_SG_EEES6_PlJS6_EEE10hipError_tPvRmT3_T4_T5_T6_T7_T9_mT8_P12ihipStream_tbDpT10_ENKUlT_T0_E_clISt17integral_constantIbLb1EES1B_EEDaS16_S17_EUlS16_E_NS1_11comp_targetILNS1_3genE4ELNS1_11target_archE910ELNS1_3gpuE8ELNS1_3repE0EEENS1_30default_config_static_selectorELNS0_4arch9wavefront6targetE1EEEvT1_
		.amdhsa_group_segment_fixed_size 10248
		.amdhsa_private_segment_fixed_size 0
		.amdhsa_kernarg_size 152
		.amdhsa_user_sgpr_count 6
		.amdhsa_user_sgpr_private_segment_buffer 1
		.amdhsa_user_sgpr_dispatch_ptr 0
		.amdhsa_user_sgpr_queue_ptr 0
		.amdhsa_user_sgpr_kernarg_segment_ptr 1
		.amdhsa_user_sgpr_dispatch_id 0
		.amdhsa_user_sgpr_flat_scratch_init 0
		.amdhsa_user_sgpr_kernarg_preload_length 0
		.amdhsa_user_sgpr_kernarg_preload_offset 0
		.amdhsa_user_sgpr_private_segment_size 0
		.amdhsa_uses_dynamic_stack 0
		.amdhsa_system_sgpr_private_segment_wavefront_offset 0
		.amdhsa_system_sgpr_workgroup_id_x 1
		.amdhsa_system_sgpr_workgroup_id_y 0
		.amdhsa_system_sgpr_workgroup_id_z 0
		.amdhsa_system_sgpr_workgroup_info 0
		.amdhsa_system_vgpr_workitem_id 0
		.amdhsa_next_free_vgpr 67
		.amdhsa_next_free_sgpr 40
		.amdhsa_accum_offset 68
		.amdhsa_reserve_vcc 1
		.amdhsa_reserve_flat_scratch 0
		.amdhsa_float_round_mode_32 0
		.amdhsa_float_round_mode_16_64 0
		.amdhsa_float_denorm_mode_32 3
		.amdhsa_float_denorm_mode_16_64 3
		.amdhsa_dx10_clamp 1
		.amdhsa_ieee_mode 1
		.amdhsa_fp16_overflow 0
		.amdhsa_tg_split 0
		.amdhsa_exception_fp_ieee_invalid_op 0
		.amdhsa_exception_fp_denorm_src 0
		.amdhsa_exception_fp_ieee_div_zero 0
		.amdhsa_exception_fp_ieee_overflow 0
		.amdhsa_exception_fp_ieee_underflow 0
		.amdhsa_exception_fp_ieee_inexact 0
		.amdhsa_exception_int_div_zero 0
	.end_amdhsa_kernel
	.section	.text._ZN7rocprim17ROCPRIM_400000_NS6detail17trampoline_kernelINS0_14default_configENS1_25partition_config_selectorILNS1_17partition_subalgoE1EtNS0_10empty_typeEbEEZZNS1_14partition_implILS5_1ELb0ES3_jN6thrust23THRUST_200600_302600_NS6detail15normal_iteratorINSA_10device_ptrItEEEEPS6_NSA_18transform_iteratorI7is_evenItESF_NSA_11use_defaultESK_EENS0_5tupleIJSF_NSA_16discard_iteratorISK_EEEEENSM_IJSG_SG_EEES6_PlJS6_EEE10hipError_tPvRmT3_T4_T5_T6_T7_T9_mT8_P12ihipStream_tbDpT10_ENKUlT_T0_E_clISt17integral_constantIbLb1EES1B_EEDaS16_S17_EUlS16_E_NS1_11comp_targetILNS1_3genE4ELNS1_11target_archE910ELNS1_3gpuE8ELNS1_3repE0EEENS1_30default_config_static_selectorELNS0_4arch9wavefront6targetE1EEEvT1_,"axG",@progbits,_ZN7rocprim17ROCPRIM_400000_NS6detail17trampoline_kernelINS0_14default_configENS1_25partition_config_selectorILNS1_17partition_subalgoE1EtNS0_10empty_typeEbEEZZNS1_14partition_implILS5_1ELb0ES3_jN6thrust23THRUST_200600_302600_NS6detail15normal_iteratorINSA_10device_ptrItEEEEPS6_NSA_18transform_iteratorI7is_evenItESF_NSA_11use_defaultESK_EENS0_5tupleIJSF_NSA_16discard_iteratorISK_EEEEENSM_IJSG_SG_EEES6_PlJS6_EEE10hipError_tPvRmT3_T4_T5_T6_T7_T9_mT8_P12ihipStream_tbDpT10_ENKUlT_T0_E_clISt17integral_constantIbLb1EES1B_EEDaS16_S17_EUlS16_E_NS1_11comp_targetILNS1_3genE4ELNS1_11target_archE910ELNS1_3gpuE8ELNS1_3repE0EEENS1_30default_config_static_selectorELNS0_4arch9wavefront6targetE1EEEvT1_,comdat
.Lfunc_end3109:
	.size	_ZN7rocprim17ROCPRIM_400000_NS6detail17trampoline_kernelINS0_14default_configENS1_25partition_config_selectorILNS1_17partition_subalgoE1EtNS0_10empty_typeEbEEZZNS1_14partition_implILS5_1ELb0ES3_jN6thrust23THRUST_200600_302600_NS6detail15normal_iteratorINSA_10device_ptrItEEEEPS6_NSA_18transform_iteratorI7is_evenItESF_NSA_11use_defaultESK_EENS0_5tupleIJSF_NSA_16discard_iteratorISK_EEEEENSM_IJSG_SG_EEES6_PlJS6_EEE10hipError_tPvRmT3_T4_T5_T6_T7_T9_mT8_P12ihipStream_tbDpT10_ENKUlT_T0_E_clISt17integral_constantIbLb1EES1B_EEDaS16_S17_EUlS16_E_NS1_11comp_targetILNS1_3genE4ELNS1_11target_archE910ELNS1_3gpuE8ELNS1_3repE0EEENS1_30default_config_static_selectorELNS0_4arch9wavefront6targetE1EEEvT1_, .Lfunc_end3109-_ZN7rocprim17ROCPRIM_400000_NS6detail17trampoline_kernelINS0_14default_configENS1_25partition_config_selectorILNS1_17partition_subalgoE1EtNS0_10empty_typeEbEEZZNS1_14partition_implILS5_1ELb0ES3_jN6thrust23THRUST_200600_302600_NS6detail15normal_iteratorINSA_10device_ptrItEEEEPS6_NSA_18transform_iteratorI7is_evenItESF_NSA_11use_defaultESK_EENS0_5tupleIJSF_NSA_16discard_iteratorISK_EEEEENSM_IJSG_SG_EEES6_PlJS6_EEE10hipError_tPvRmT3_T4_T5_T6_T7_T9_mT8_P12ihipStream_tbDpT10_ENKUlT_T0_E_clISt17integral_constantIbLb1EES1B_EEDaS16_S17_EUlS16_E_NS1_11comp_targetILNS1_3genE4ELNS1_11target_archE910ELNS1_3gpuE8ELNS1_3repE0EEENS1_30default_config_static_selectorELNS0_4arch9wavefront6targetE1EEEvT1_
                                        ; -- End function
	.section	.AMDGPU.csdata,"",@progbits
; Kernel info:
; codeLenInByte = 9456
; NumSgprs: 44
; NumVgprs: 67
; NumAgprs: 0
; TotalNumVgprs: 67
; ScratchSize: 0
; MemoryBound: 0
; FloatMode: 240
; IeeeMode: 1
; LDSByteSize: 10248 bytes/workgroup (compile time only)
; SGPRBlocks: 5
; VGPRBlocks: 8
; NumSGPRsForWavesPerEU: 44
; NumVGPRsForWavesPerEU: 67
; AccumOffset: 68
; Occupancy: 6
; WaveLimiterHint : 1
; COMPUTE_PGM_RSRC2:SCRATCH_EN: 0
; COMPUTE_PGM_RSRC2:USER_SGPR: 6
; COMPUTE_PGM_RSRC2:TRAP_HANDLER: 0
; COMPUTE_PGM_RSRC2:TGID_X_EN: 1
; COMPUTE_PGM_RSRC2:TGID_Y_EN: 0
; COMPUTE_PGM_RSRC2:TGID_Z_EN: 0
; COMPUTE_PGM_RSRC2:TIDIG_COMP_CNT: 0
; COMPUTE_PGM_RSRC3_GFX90A:ACCUM_OFFSET: 16
; COMPUTE_PGM_RSRC3_GFX90A:TG_SPLIT: 0
	.section	.text._ZN7rocprim17ROCPRIM_400000_NS6detail17trampoline_kernelINS0_14default_configENS1_25partition_config_selectorILNS1_17partition_subalgoE1EtNS0_10empty_typeEbEEZZNS1_14partition_implILS5_1ELb0ES3_jN6thrust23THRUST_200600_302600_NS6detail15normal_iteratorINSA_10device_ptrItEEEEPS6_NSA_18transform_iteratorI7is_evenItESF_NSA_11use_defaultESK_EENS0_5tupleIJSF_NSA_16discard_iteratorISK_EEEEENSM_IJSG_SG_EEES6_PlJS6_EEE10hipError_tPvRmT3_T4_T5_T6_T7_T9_mT8_P12ihipStream_tbDpT10_ENKUlT_T0_E_clISt17integral_constantIbLb1EES1B_EEDaS16_S17_EUlS16_E_NS1_11comp_targetILNS1_3genE3ELNS1_11target_archE908ELNS1_3gpuE7ELNS1_3repE0EEENS1_30default_config_static_selectorELNS0_4arch9wavefront6targetE1EEEvT1_,"axG",@progbits,_ZN7rocprim17ROCPRIM_400000_NS6detail17trampoline_kernelINS0_14default_configENS1_25partition_config_selectorILNS1_17partition_subalgoE1EtNS0_10empty_typeEbEEZZNS1_14partition_implILS5_1ELb0ES3_jN6thrust23THRUST_200600_302600_NS6detail15normal_iteratorINSA_10device_ptrItEEEEPS6_NSA_18transform_iteratorI7is_evenItESF_NSA_11use_defaultESK_EENS0_5tupleIJSF_NSA_16discard_iteratorISK_EEEEENSM_IJSG_SG_EEES6_PlJS6_EEE10hipError_tPvRmT3_T4_T5_T6_T7_T9_mT8_P12ihipStream_tbDpT10_ENKUlT_T0_E_clISt17integral_constantIbLb1EES1B_EEDaS16_S17_EUlS16_E_NS1_11comp_targetILNS1_3genE3ELNS1_11target_archE908ELNS1_3gpuE7ELNS1_3repE0EEENS1_30default_config_static_selectorELNS0_4arch9wavefront6targetE1EEEvT1_,comdat
	.protected	_ZN7rocprim17ROCPRIM_400000_NS6detail17trampoline_kernelINS0_14default_configENS1_25partition_config_selectorILNS1_17partition_subalgoE1EtNS0_10empty_typeEbEEZZNS1_14partition_implILS5_1ELb0ES3_jN6thrust23THRUST_200600_302600_NS6detail15normal_iteratorINSA_10device_ptrItEEEEPS6_NSA_18transform_iteratorI7is_evenItESF_NSA_11use_defaultESK_EENS0_5tupleIJSF_NSA_16discard_iteratorISK_EEEEENSM_IJSG_SG_EEES6_PlJS6_EEE10hipError_tPvRmT3_T4_T5_T6_T7_T9_mT8_P12ihipStream_tbDpT10_ENKUlT_T0_E_clISt17integral_constantIbLb1EES1B_EEDaS16_S17_EUlS16_E_NS1_11comp_targetILNS1_3genE3ELNS1_11target_archE908ELNS1_3gpuE7ELNS1_3repE0EEENS1_30default_config_static_selectorELNS0_4arch9wavefront6targetE1EEEvT1_ ; -- Begin function _ZN7rocprim17ROCPRIM_400000_NS6detail17trampoline_kernelINS0_14default_configENS1_25partition_config_selectorILNS1_17partition_subalgoE1EtNS0_10empty_typeEbEEZZNS1_14partition_implILS5_1ELb0ES3_jN6thrust23THRUST_200600_302600_NS6detail15normal_iteratorINSA_10device_ptrItEEEEPS6_NSA_18transform_iteratorI7is_evenItESF_NSA_11use_defaultESK_EENS0_5tupleIJSF_NSA_16discard_iteratorISK_EEEEENSM_IJSG_SG_EEES6_PlJS6_EEE10hipError_tPvRmT3_T4_T5_T6_T7_T9_mT8_P12ihipStream_tbDpT10_ENKUlT_T0_E_clISt17integral_constantIbLb1EES1B_EEDaS16_S17_EUlS16_E_NS1_11comp_targetILNS1_3genE3ELNS1_11target_archE908ELNS1_3gpuE7ELNS1_3repE0EEENS1_30default_config_static_selectorELNS0_4arch9wavefront6targetE1EEEvT1_
	.globl	_ZN7rocprim17ROCPRIM_400000_NS6detail17trampoline_kernelINS0_14default_configENS1_25partition_config_selectorILNS1_17partition_subalgoE1EtNS0_10empty_typeEbEEZZNS1_14partition_implILS5_1ELb0ES3_jN6thrust23THRUST_200600_302600_NS6detail15normal_iteratorINSA_10device_ptrItEEEEPS6_NSA_18transform_iteratorI7is_evenItESF_NSA_11use_defaultESK_EENS0_5tupleIJSF_NSA_16discard_iteratorISK_EEEEENSM_IJSG_SG_EEES6_PlJS6_EEE10hipError_tPvRmT3_T4_T5_T6_T7_T9_mT8_P12ihipStream_tbDpT10_ENKUlT_T0_E_clISt17integral_constantIbLb1EES1B_EEDaS16_S17_EUlS16_E_NS1_11comp_targetILNS1_3genE3ELNS1_11target_archE908ELNS1_3gpuE7ELNS1_3repE0EEENS1_30default_config_static_selectorELNS0_4arch9wavefront6targetE1EEEvT1_
	.p2align	8
	.type	_ZN7rocprim17ROCPRIM_400000_NS6detail17trampoline_kernelINS0_14default_configENS1_25partition_config_selectorILNS1_17partition_subalgoE1EtNS0_10empty_typeEbEEZZNS1_14partition_implILS5_1ELb0ES3_jN6thrust23THRUST_200600_302600_NS6detail15normal_iteratorINSA_10device_ptrItEEEEPS6_NSA_18transform_iteratorI7is_evenItESF_NSA_11use_defaultESK_EENS0_5tupleIJSF_NSA_16discard_iteratorISK_EEEEENSM_IJSG_SG_EEES6_PlJS6_EEE10hipError_tPvRmT3_T4_T5_T6_T7_T9_mT8_P12ihipStream_tbDpT10_ENKUlT_T0_E_clISt17integral_constantIbLb1EES1B_EEDaS16_S17_EUlS16_E_NS1_11comp_targetILNS1_3genE3ELNS1_11target_archE908ELNS1_3gpuE7ELNS1_3repE0EEENS1_30default_config_static_selectorELNS0_4arch9wavefront6targetE1EEEvT1_,@function
_ZN7rocprim17ROCPRIM_400000_NS6detail17trampoline_kernelINS0_14default_configENS1_25partition_config_selectorILNS1_17partition_subalgoE1EtNS0_10empty_typeEbEEZZNS1_14partition_implILS5_1ELb0ES3_jN6thrust23THRUST_200600_302600_NS6detail15normal_iteratorINSA_10device_ptrItEEEEPS6_NSA_18transform_iteratorI7is_evenItESF_NSA_11use_defaultESK_EENS0_5tupleIJSF_NSA_16discard_iteratorISK_EEEEENSM_IJSG_SG_EEES6_PlJS6_EEE10hipError_tPvRmT3_T4_T5_T6_T7_T9_mT8_P12ihipStream_tbDpT10_ENKUlT_T0_E_clISt17integral_constantIbLb1EES1B_EEDaS16_S17_EUlS16_E_NS1_11comp_targetILNS1_3genE3ELNS1_11target_archE908ELNS1_3gpuE7ELNS1_3repE0EEENS1_30default_config_static_selectorELNS0_4arch9wavefront6targetE1EEEvT1_: ; @_ZN7rocprim17ROCPRIM_400000_NS6detail17trampoline_kernelINS0_14default_configENS1_25partition_config_selectorILNS1_17partition_subalgoE1EtNS0_10empty_typeEbEEZZNS1_14partition_implILS5_1ELb0ES3_jN6thrust23THRUST_200600_302600_NS6detail15normal_iteratorINSA_10device_ptrItEEEEPS6_NSA_18transform_iteratorI7is_evenItESF_NSA_11use_defaultESK_EENS0_5tupleIJSF_NSA_16discard_iteratorISK_EEEEENSM_IJSG_SG_EEES6_PlJS6_EEE10hipError_tPvRmT3_T4_T5_T6_T7_T9_mT8_P12ihipStream_tbDpT10_ENKUlT_T0_E_clISt17integral_constantIbLb1EES1B_EEDaS16_S17_EUlS16_E_NS1_11comp_targetILNS1_3genE3ELNS1_11target_archE908ELNS1_3gpuE7ELNS1_3repE0EEENS1_30default_config_static_selectorELNS0_4arch9wavefront6targetE1EEEvT1_
; %bb.0:
	.section	.rodata,"a",@progbits
	.p2align	6, 0x0
	.amdhsa_kernel _ZN7rocprim17ROCPRIM_400000_NS6detail17trampoline_kernelINS0_14default_configENS1_25partition_config_selectorILNS1_17partition_subalgoE1EtNS0_10empty_typeEbEEZZNS1_14partition_implILS5_1ELb0ES3_jN6thrust23THRUST_200600_302600_NS6detail15normal_iteratorINSA_10device_ptrItEEEEPS6_NSA_18transform_iteratorI7is_evenItESF_NSA_11use_defaultESK_EENS0_5tupleIJSF_NSA_16discard_iteratorISK_EEEEENSM_IJSG_SG_EEES6_PlJS6_EEE10hipError_tPvRmT3_T4_T5_T6_T7_T9_mT8_P12ihipStream_tbDpT10_ENKUlT_T0_E_clISt17integral_constantIbLb1EES1B_EEDaS16_S17_EUlS16_E_NS1_11comp_targetILNS1_3genE3ELNS1_11target_archE908ELNS1_3gpuE7ELNS1_3repE0EEENS1_30default_config_static_selectorELNS0_4arch9wavefront6targetE1EEEvT1_
		.amdhsa_group_segment_fixed_size 0
		.amdhsa_private_segment_fixed_size 0
		.amdhsa_kernarg_size 152
		.amdhsa_user_sgpr_count 6
		.amdhsa_user_sgpr_private_segment_buffer 1
		.amdhsa_user_sgpr_dispatch_ptr 0
		.amdhsa_user_sgpr_queue_ptr 0
		.amdhsa_user_sgpr_kernarg_segment_ptr 1
		.amdhsa_user_sgpr_dispatch_id 0
		.amdhsa_user_sgpr_flat_scratch_init 0
		.amdhsa_user_sgpr_kernarg_preload_length 0
		.amdhsa_user_sgpr_kernarg_preload_offset 0
		.amdhsa_user_sgpr_private_segment_size 0
		.amdhsa_uses_dynamic_stack 0
		.amdhsa_system_sgpr_private_segment_wavefront_offset 0
		.amdhsa_system_sgpr_workgroup_id_x 1
		.amdhsa_system_sgpr_workgroup_id_y 0
		.amdhsa_system_sgpr_workgroup_id_z 0
		.amdhsa_system_sgpr_workgroup_info 0
		.amdhsa_system_vgpr_workitem_id 0
		.amdhsa_next_free_vgpr 1
		.amdhsa_next_free_sgpr 0
		.amdhsa_accum_offset 4
		.amdhsa_reserve_vcc 0
		.amdhsa_reserve_flat_scratch 0
		.amdhsa_float_round_mode_32 0
		.amdhsa_float_round_mode_16_64 0
		.amdhsa_float_denorm_mode_32 3
		.amdhsa_float_denorm_mode_16_64 3
		.amdhsa_dx10_clamp 1
		.amdhsa_ieee_mode 1
		.amdhsa_fp16_overflow 0
		.amdhsa_tg_split 0
		.amdhsa_exception_fp_ieee_invalid_op 0
		.amdhsa_exception_fp_denorm_src 0
		.amdhsa_exception_fp_ieee_div_zero 0
		.amdhsa_exception_fp_ieee_overflow 0
		.amdhsa_exception_fp_ieee_underflow 0
		.amdhsa_exception_fp_ieee_inexact 0
		.amdhsa_exception_int_div_zero 0
	.end_amdhsa_kernel
	.section	.text._ZN7rocprim17ROCPRIM_400000_NS6detail17trampoline_kernelINS0_14default_configENS1_25partition_config_selectorILNS1_17partition_subalgoE1EtNS0_10empty_typeEbEEZZNS1_14partition_implILS5_1ELb0ES3_jN6thrust23THRUST_200600_302600_NS6detail15normal_iteratorINSA_10device_ptrItEEEEPS6_NSA_18transform_iteratorI7is_evenItESF_NSA_11use_defaultESK_EENS0_5tupleIJSF_NSA_16discard_iteratorISK_EEEEENSM_IJSG_SG_EEES6_PlJS6_EEE10hipError_tPvRmT3_T4_T5_T6_T7_T9_mT8_P12ihipStream_tbDpT10_ENKUlT_T0_E_clISt17integral_constantIbLb1EES1B_EEDaS16_S17_EUlS16_E_NS1_11comp_targetILNS1_3genE3ELNS1_11target_archE908ELNS1_3gpuE7ELNS1_3repE0EEENS1_30default_config_static_selectorELNS0_4arch9wavefront6targetE1EEEvT1_,"axG",@progbits,_ZN7rocprim17ROCPRIM_400000_NS6detail17trampoline_kernelINS0_14default_configENS1_25partition_config_selectorILNS1_17partition_subalgoE1EtNS0_10empty_typeEbEEZZNS1_14partition_implILS5_1ELb0ES3_jN6thrust23THRUST_200600_302600_NS6detail15normal_iteratorINSA_10device_ptrItEEEEPS6_NSA_18transform_iteratorI7is_evenItESF_NSA_11use_defaultESK_EENS0_5tupleIJSF_NSA_16discard_iteratorISK_EEEEENSM_IJSG_SG_EEES6_PlJS6_EEE10hipError_tPvRmT3_T4_T5_T6_T7_T9_mT8_P12ihipStream_tbDpT10_ENKUlT_T0_E_clISt17integral_constantIbLb1EES1B_EEDaS16_S17_EUlS16_E_NS1_11comp_targetILNS1_3genE3ELNS1_11target_archE908ELNS1_3gpuE7ELNS1_3repE0EEENS1_30default_config_static_selectorELNS0_4arch9wavefront6targetE1EEEvT1_,comdat
.Lfunc_end3110:
	.size	_ZN7rocprim17ROCPRIM_400000_NS6detail17trampoline_kernelINS0_14default_configENS1_25partition_config_selectorILNS1_17partition_subalgoE1EtNS0_10empty_typeEbEEZZNS1_14partition_implILS5_1ELb0ES3_jN6thrust23THRUST_200600_302600_NS6detail15normal_iteratorINSA_10device_ptrItEEEEPS6_NSA_18transform_iteratorI7is_evenItESF_NSA_11use_defaultESK_EENS0_5tupleIJSF_NSA_16discard_iteratorISK_EEEEENSM_IJSG_SG_EEES6_PlJS6_EEE10hipError_tPvRmT3_T4_T5_T6_T7_T9_mT8_P12ihipStream_tbDpT10_ENKUlT_T0_E_clISt17integral_constantIbLb1EES1B_EEDaS16_S17_EUlS16_E_NS1_11comp_targetILNS1_3genE3ELNS1_11target_archE908ELNS1_3gpuE7ELNS1_3repE0EEENS1_30default_config_static_selectorELNS0_4arch9wavefront6targetE1EEEvT1_, .Lfunc_end3110-_ZN7rocprim17ROCPRIM_400000_NS6detail17trampoline_kernelINS0_14default_configENS1_25partition_config_selectorILNS1_17partition_subalgoE1EtNS0_10empty_typeEbEEZZNS1_14partition_implILS5_1ELb0ES3_jN6thrust23THRUST_200600_302600_NS6detail15normal_iteratorINSA_10device_ptrItEEEEPS6_NSA_18transform_iteratorI7is_evenItESF_NSA_11use_defaultESK_EENS0_5tupleIJSF_NSA_16discard_iteratorISK_EEEEENSM_IJSG_SG_EEES6_PlJS6_EEE10hipError_tPvRmT3_T4_T5_T6_T7_T9_mT8_P12ihipStream_tbDpT10_ENKUlT_T0_E_clISt17integral_constantIbLb1EES1B_EEDaS16_S17_EUlS16_E_NS1_11comp_targetILNS1_3genE3ELNS1_11target_archE908ELNS1_3gpuE7ELNS1_3repE0EEENS1_30default_config_static_selectorELNS0_4arch9wavefront6targetE1EEEvT1_
                                        ; -- End function
	.section	.AMDGPU.csdata,"",@progbits
; Kernel info:
; codeLenInByte = 0
; NumSgprs: 4
; NumVgprs: 0
; NumAgprs: 0
; TotalNumVgprs: 0
; ScratchSize: 0
; MemoryBound: 0
; FloatMode: 240
; IeeeMode: 1
; LDSByteSize: 0 bytes/workgroup (compile time only)
; SGPRBlocks: 0
; VGPRBlocks: 0
; NumSGPRsForWavesPerEU: 4
; NumVGPRsForWavesPerEU: 1
; AccumOffset: 4
; Occupancy: 8
; WaveLimiterHint : 0
; COMPUTE_PGM_RSRC2:SCRATCH_EN: 0
; COMPUTE_PGM_RSRC2:USER_SGPR: 6
; COMPUTE_PGM_RSRC2:TRAP_HANDLER: 0
; COMPUTE_PGM_RSRC2:TGID_X_EN: 1
; COMPUTE_PGM_RSRC2:TGID_Y_EN: 0
; COMPUTE_PGM_RSRC2:TGID_Z_EN: 0
; COMPUTE_PGM_RSRC2:TIDIG_COMP_CNT: 0
; COMPUTE_PGM_RSRC3_GFX90A:ACCUM_OFFSET: 0
; COMPUTE_PGM_RSRC3_GFX90A:TG_SPLIT: 0
	.section	.text._ZN7rocprim17ROCPRIM_400000_NS6detail17trampoline_kernelINS0_14default_configENS1_25partition_config_selectorILNS1_17partition_subalgoE1EtNS0_10empty_typeEbEEZZNS1_14partition_implILS5_1ELb0ES3_jN6thrust23THRUST_200600_302600_NS6detail15normal_iteratorINSA_10device_ptrItEEEEPS6_NSA_18transform_iteratorI7is_evenItESF_NSA_11use_defaultESK_EENS0_5tupleIJSF_NSA_16discard_iteratorISK_EEEEENSM_IJSG_SG_EEES6_PlJS6_EEE10hipError_tPvRmT3_T4_T5_T6_T7_T9_mT8_P12ihipStream_tbDpT10_ENKUlT_T0_E_clISt17integral_constantIbLb1EES1B_EEDaS16_S17_EUlS16_E_NS1_11comp_targetILNS1_3genE2ELNS1_11target_archE906ELNS1_3gpuE6ELNS1_3repE0EEENS1_30default_config_static_selectorELNS0_4arch9wavefront6targetE1EEEvT1_,"axG",@progbits,_ZN7rocprim17ROCPRIM_400000_NS6detail17trampoline_kernelINS0_14default_configENS1_25partition_config_selectorILNS1_17partition_subalgoE1EtNS0_10empty_typeEbEEZZNS1_14partition_implILS5_1ELb0ES3_jN6thrust23THRUST_200600_302600_NS6detail15normal_iteratorINSA_10device_ptrItEEEEPS6_NSA_18transform_iteratorI7is_evenItESF_NSA_11use_defaultESK_EENS0_5tupleIJSF_NSA_16discard_iteratorISK_EEEEENSM_IJSG_SG_EEES6_PlJS6_EEE10hipError_tPvRmT3_T4_T5_T6_T7_T9_mT8_P12ihipStream_tbDpT10_ENKUlT_T0_E_clISt17integral_constantIbLb1EES1B_EEDaS16_S17_EUlS16_E_NS1_11comp_targetILNS1_3genE2ELNS1_11target_archE906ELNS1_3gpuE6ELNS1_3repE0EEENS1_30default_config_static_selectorELNS0_4arch9wavefront6targetE1EEEvT1_,comdat
	.protected	_ZN7rocprim17ROCPRIM_400000_NS6detail17trampoline_kernelINS0_14default_configENS1_25partition_config_selectorILNS1_17partition_subalgoE1EtNS0_10empty_typeEbEEZZNS1_14partition_implILS5_1ELb0ES3_jN6thrust23THRUST_200600_302600_NS6detail15normal_iteratorINSA_10device_ptrItEEEEPS6_NSA_18transform_iteratorI7is_evenItESF_NSA_11use_defaultESK_EENS0_5tupleIJSF_NSA_16discard_iteratorISK_EEEEENSM_IJSG_SG_EEES6_PlJS6_EEE10hipError_tPvRmT3_T4_T5_T6_T7_T9_mT8_P12ihipStream_tbDpT10_ENKUlT_T0_E_clISt17integral_constantIbLb1EES1B_EEDaS16_S17_EUlS16_E_NS1_11comp_targetILNS1_3genE2ELNS1_11target_archE906ELNS1_3gpuE6ELNS1_3repE0EEENS1_30default_config_static_selectorELNS0_4arch9wavefront6targetE1EEEvT1_ ; -- Begin function _ZN7rocprim17ROCPRIM_400000_NS6detail17trampoline_kernelINS0_14default_configENS1_25partition_config_selectorILNS1_17partition_subalgoE1EtNS0_10empty_typeEbEEZZNS1_14partition_implILS5_1ELb0ES3_jN6thrust23THRUST_200600_302600_NS6detail15normal_iteratorINSA_10device_ptrItEEEEPS6_NSA_18transform_iteratorI7is_evenItESF_NSA_11use_defaultESK_EENS0_5tupleIJSF_NSA_16discard_iteratorISK_EEEEENSM_IJSG_SG_EEES6_PlJS6_EEE10hipError_tPvRmT3_T4_T5_T6_T7_T9_mT8_P12ihipStream_tbDpT10_ENKUlT_T0_E_clISt17integral_constantIbLb1EES1B_EEDaS16_S17_EUlS16_E_NS1_11comp_targetILNS1_3genE2ELNS1_11target_archE906ELNS1_3gpuE6ELNS1_3repE0EEENS1_30default_config_static_selectorELNS0_4arch9wavefront6targetE1EEEvT1_
	.globl	_ZN7rocprim17ROCPRIM_400000_NS6detail17trampoline_kernelINS0_14default_configENS1_25partition_config_selectorILNS1_17partition_subalgoE1EtNS0_10empty_typeEbEEZZNS1_14partition_implILS5_1ELb0ES3_jN6thrust23THRUST_200600_302600_NS6detail15normal_iteratorINSA_10device_ptrItEEEEPS6_NSA_18transform_iteratorI7is_evenItESF_NSA_11use_defaultESK_EENS0_5tupleIJSF_NSA_16discard_iteratorISK_EEEEENSM_IJSG_SG_EEES6_PlJS6_EEE10hipError_tPvRmT3_T4_T5_T6_T7_T9_mT8_P12ihipStream_tbDpT10_ENKUlT_T0_E_clISt17integral_constantIbLb1EES1B_EEDaS16_S17_EUlS16_E_NS1_11comp_targetILNS1_3genE2ELNS1_11target_archE906ELNS1_3gpuE6ELNS1_3repE0EEENS1_30default_config_static_selectorELNS0_4arch9wavefront6targetE1EEEvT1_
	.p2align	8
	.type	_ZN7rocprim17ROCPRIM_400000_NS6detail17trampoline_kernelINS0_14default_configENS1_25partition_config_selectorILNS1_17partition_subalgoE1EtNS0_10empty_typeEbEEZZNS1_14partition_implILS5_1ELb0ES3_jN6thrust23THRUST_200600_302600_NS6detail15normal_iteratorINSA_10device_ptrItEEEEPS6_NSA_18transform_iteratorI7is_evenItESF_NSA_11use_defaultESK_EENS0_5tupleIJSF_NSA_16discard_iteratorISK_EEEEENSM_IJSG_SG_EEES6_PlJS6_EEE10hipError_tPvRmT3_T4_T5_T6_T7_T9_mT8_P12ihipStream_tbDpT10_ENKUlT_T0_E_clISt17integral_constantIbLb1EES1B_EEDaS16_S17_EUlS16_E_NS1_11comp_targetILNS1_3genE2ELNS1_11target_archE906ELNS1_3gpuE6ELNS1_3repE0EEENS1_30default_config_static_selectorELNS0_4arch9wavefront6targetE1EEEvT1_,@function
_ZN7rocprim17ROCPRIM_400000_NS6detail17trampoline_kernelINS0_14default_configENS1_25partition_config_selectorILNS1_17partition_subalgoE1EtNS0_10empty_typeEbEEZZNS1_14partition_implILS5_1ELb0ES3_jN6thrust23THRUST_200600_302600_NS6detail15normal_iteratorINSA_10device_ptrItEEEEPS6_NSA_18transform_iteratorI7is_evenItESF_NSA_11use_defaultESK_EENS0_5tupleIJSF_NSA_16discard_iteratorISK_EEEEENSM_IJSG_SG_EEES6_PlJS6_EEE10hipError_tPvRmT3_T4_T5_T6_T7_T9_mT8_P12ihipStream_tbDpT10_ENKUlT_T0_E_clISt17integral_constantIbLb1EES1B_EEDaS16_S17_EUlS16_E_NS1_11comp_targetILNS1_3genE2ELNS1_11target_archE906ELNS1_3gpuE6ELNS1_3repE0EEENS1_30default_config_static_selectorELNS0_4arch9wavefront6targetE1EEEvT1_: ; @_ZN7rocprim17ROCPRIM_400000_NS6detail17trampoline_kernelINS0_14default_configENS1_25partition_config_selectorILNS1_17partition_subalgoE1EtNS0_10empty_typeEbEEZZNS1_14partition_implILS5_1ELb0ES3_jN6thrust23THRUST_200600_302600_NS6detail15normal_iteratorINSA_10device_ptrItEEEEPS6_NSA_18transform_iteratorI7is_evenItESF_NSA_11use_defaultESK_EENS0_5tupleIJSF_NSA_16discard_iteratorISK_EEEEENSM_IJSG_SG_EEES6_PlJS6_EEE10hipError_tPvRmT3_T4_T5_T6_T7_T9_mT8_P12ihipStream_tbDpT10_ENKUlT_T0_E_clISt17integral_constantIbLb1EES1B_EEDaS16_S17_EUlS16_E_NS1_11comp_targetILNS1_3genE2ELNS1_11target_archE906ELNS1_3gpuE6ELNS1_3repE0EEENS1_30default_config_static_selectorELNS0_4arch9wavefront6targetE1EEEvT1_
; %bb.0:
	.section	.rodata,"a",@progbits
	.p2align	6, 0x0
	.amdhsa_kernel _ZN7rocprim17ROCPRIM_400000_NS6detail17trampoline_kernelINS0_14default_configENS1_25partition_config_selectorILNS1_17partition_subalgoE1EtNS0_10empty_typeEbEEZZNS1_14partition_implILS5_1ELb0ES3_jN6thrust23THRUST_200600_302600_NS6detail15normal_iteratorINSA_10device_ptrItEEEEPS6_NSA_18transform_iteratorI7is_evenItESF_NSA_11use_defaultESK_EENS0_5tupleIJSF_NSA_16discard_iteratorISK_EEEEENSM_IJSG_SG_EEES6_PlJS6_EEE10hipError_tPvRmT3_T4_T5_T6_T7_T9_mT8_P12ihipStream_tbDpT10_ENKUlT_T0_E_clISt17integral_constantIbLb1EES1B_EEDaS16_S17_EUlS16_E_NS1_11comp_targetILNS1_3genE2ELNS1_11target_archE906ELNS1_3gpuE6ELNS1_3repE0EEENS1_30default_config_static_selectorELNS0_4arch9wavefront6targetE1EEEvT1_
		.amdhsa_group_segment_fixed_size 0
		.amdhsa_private_segment_fixed_size 0
		.amdhsa_kernarg_size 152
		.amdhsa_user_sgpr_count 6
		.amdhsa_user_sgpr_private_segment_buffer 1
		.amdhsa_user_sgpr_dispatch_ptr 0
		.amdhsa_user_sgpr_queue_ptr 0
		.amdhsa_user_sgpr_kernarg_segment_ptr 1
		.amdhsa_user_sgpr_dispatch_id 0
		.amdhsa_user_sgpr_flat_scratch_init 0
		.amdhsa_user_sgpr_kernarg_preload_length 0
		.amdhsa_user_sgpr_kernarg_preload_offset 0
		.amdhsa_user_sgpr_private_segment_size 0
		.amdhsa_uses_dynamic_stack 0
		.amdhsa_system_sgpr_private_segment_wavefront_offset 0
		.amdhsa_system_sgpr_workgroup_id_x 1
		.amdhsa_system_sgpr_workgroup_id_y 0
		.amdhsa_system_sgpr_workgroup_id_z 0
		.amdhsa_system_sgpr_workgroup_info 0
		.amdhsa_system_vgpr_workitem_id 0
		.amdhsa_next_free_vgpr 1
		.amdhsa_next_free_sgpr 0
		.amdhsa_accum_offset 4
		.amdhsa_reserve_vcc 0
		.amdhsa_reserve_flat_scratch 0
		.amdhsa_float_round_mode_32 0
		.amdhsa_float_round_mode_16_64 0
		.amdhsa_float_denorm_mode_32 3
		.amdhsa_float_denorm_mode_16_64 3
		.amdhsa_dx10_clamp 1
		.amdhsa_ieee_mode 1
		.amdhsa_fp16_overflow 0
		.amdhsa_tg_split 0
		.amdhsa_exception_fp_ieee_invalid_op 0
		.amdhsa_exception_fp_denorm_src 0
		.amdhsa_exception_fp_ieee_div_zero 0
		.amdhsa_exception_fp_ieee_overflow 0
		.amdhsa_exception_fp_ieee_underflow 0
		.amdhsa_exception_fp_ieee_inexact 0
		.amdhsa_exception_int_div_zero 0
	.end_amdhsa_kernel
	.section	.text._ZN7rocprim17ROCPRIM_400000_NS6detail17trampoline_kernelINS0_14default_configENS1_25partition_config_selectorILNS1_17partition_subalgoE1EtNS0_10empty_typeEbEEZZNS1_14partition_implILS5_1ELb0ES3_jN6thrust23THRUST_200600_302600_NS6detail15normal_iteratorINSA_10device_ptrItEEEEPS6_NSA_18transform_iteratorI7is_evenItESF_NSA_11use_defaultESK_EENS0_5tupleIJSF_NSA_16discard_iteratorISK_EEEEENSM_IJSG_SG_EEES6_PlJS6_EEE10hipError_tPvRmT3_T4_T5_T6_T7_T9_mT8_P12ihipStream_tbDpT10_ENKUlT_T0_E_clISt17integral_constantIbLb1EES1B_EEDaS16_S17_EUlS16_E_NS1_11comp_targetILNS1_3genE2ELNS1_11target_archE906ELNS1_3gpuE6ELNS1_3repE0EEENS1_30default_config_static_selectorELNS0_4arch9wavefront6targetE1EEEvT1_,"axG",@progbits,_ZN7rocprim17ROCPRIM_400000_NS6detail17trampoline_kernelINS0_14default_configENS1_25partition_config_selectorILNS1_17partition_subalgoE1EtNS0_10empty_typeEbEEZZNS1_14partition_implILS5_1ELb0ES3_jN6thrust23THRUST_200600_302600_NS6detail15normal_iteratorINSA_10device_ptrItEEEEPS6_NSA_18transform_iteratorI7is_evenItESF_NSA_11use_defaultESK_EENS0_5tupleIJSF_NSA_16discard_iteratorISK_EEEEENSM_IJSG_SG_EEES6_PlJS6_EEE10hipError_tPvRmT3_T4_T5_T6_T7_T9_mT8_P12ihipStream_tbDpT10_ENKUlT_T0_E_clISt17integral_constantIbLb1EES1B_EEDaS16_S17_EUlS16_E_NS1_11comp_targetILNS1_3genE2ELNS1_11target_archE906ELNS1_3gpuE6ELNS1_3repE0EEENS1_30default_config_static_selectorELNS0_4arch9wavefront6targetE1EEEvT1_,comdat
.Lfunc_end3111:
	.size	_ZN7rocprim17ROCPRIM_400000_NS6detail17trampoline_kernelINS0_14default_configENS1_25partition_config_selectorILNS1_17partition_subalgoE1EtNS0_10empty_typeEbEEZZNS1_14partition_implILS5_1ELb0ES3_jN6thrust23THRUST_200600_302600_NS6detail15normal_iteratorINSA_10device_ptrItEEEEPS6_NSA_18transform_iteratorI7is_evenItESF_NSA_11use_defaultESK_EENS0_5tupleIJSF_NSA_16discard_iteratorISK_EEEEENSM_IJSG_SG_EEES6_PlJS6_EEE10hipError_tPvRmT3_T4_T5_T6_T7_T9_mT8_P12ihipStream_tbDpT10_ENKUlT_T0_E_clISt17integral_constantIbLb1EES1B_EEDaS16_S17_EUlS16_E_NS1_11comp_targetILNS1_3genE2ELNS1_11target_archE906ELNS1_3gpuE6ELNS1_3repE0EEENS1_30default_config_static_selectorELNS0_4arch9wavefront6targetE1EEEvT1_, .Lfunc_end3111-_ZN7rocprim17ROCPRIM_400000_NS6detail17trampoline_kernelINS0_14default_configENS1_25partition_config_selectorILNS1_17partition_subalgoE1EtNS0_10empty_typeEbEEZZNS1_14partition_implILS5_1ELb0ES3_jN6thrust23THRUST_200600_302600_NS6detail15normal_iteratorINSA_10device_ptrItEEEEPS6_NSA_18transform_iteratorI7is_evenItESF_NSA_11use_defaultESK_EENS0_5tupleIJSF_NSA_16discard_iteratorISK_EEEEENSM_IJSG_SG_EEES6_PlJS6_EEE10hipError_tPvRmT3_T4_T5_T6_T7_T9_mT8_P12ihipStream_tbDpT10_ENKUlT_T0_E_clISt17integral_constantIbLb1EES1B_EEDaS16_S17_EUlS16_E_NS1_11comp_targetILNS1_3genE2ELNS1_11target_archE906ELNS1_3gpuE6ELNS1_3repE0EEENS1_30default_config_static_selectorELNS0_4arch9wavefront6targetE1EEEvT1_
                                        ; -- End function
	.section	.AMDGPU.csdata,"",@progbits
; Kernel info:
; codeLenInByte = 0
; NumSgprs: 4
; NumVgprs: 0
; NumAgprs: 0
; TotalNumVgprs: 0
; ScratchSize: 0
; MemoryBound: 0
; FloatMode: 240
; IeeeMode: 1
; LDSByteSize: 0 bytes/workgroup (compile time only)
; SGPRBlocks: 0
; VGPRBlocks: 0
; NumSGPRsForWavesPerEU: 4
; NumVGPRsForWavesPerEU: 1
; AccumOffset: 4
; Occupancy: 8
; WaveLimiterHint : 0
; COMPUTE_PGM_RSRC2:SCRATCH_EN: 0
; COMPUTE_PGM_RSRC2:USER_SGPR: 6
; COMPUTE_PGM_RSRC2:TRAP_HANDLER: 0
; COMPUTE_PGM_RSRC2:TGID_X_EN: 1
; COMPUTE_PGM_RSRC2:TGID_Y_EN: 0
; COMPUTE_PGM_RSRC2:TGID_Z_EN: 0
; COMPUTE_PGM_RSRC2:TIDIG_COMP_CNT: 0
; COMPUTE_PGM_RSRC3_GFX90A:ACCUM_OFFSET: 0
; COMPUTE_PGM_RSRC3_GFX90A:TG_SPLIT: 0
	.section	.text._ZN7rocprim17ROCPRIM_400000_NS6detail17trampoline_kernelINS0_14default_configENS1_25partition_config_selectorILNS1_17partition_subalgoE1EtNS0_10empty_typeEbEEZZNS1_14partition_implILS5_1ELb0ES3_jN6thrust23THRUST_200600_302600_NS6detail15normal_iteratorINSA_10device_ptrItEEEEPS6_NSA_18transform_iteratorI7is_evenItESF_NSA_11use_defaultESK_EENS0_5tupleIJSF_NSA_16discard_iteratorISK_EEEEENSM_IJSG_SG_EEES6_PlJS6_EEE10hipError_tPvRmT3_T4_T5_T6_T7_T9_mT8_P12ihipStream_tbDpT10_ENKUlT_T0_E_clISt17integral_constantIbLb1EES1B_EEDaS16_S17_EUlS16_E_NS1_11comp_targetILNS1_3genE10ELNS1_11target_archE1200ELNS1_3gpuE4ELNS1_3repE0EEENS1_30default_config_static_selectorELNS0_4arch9wavefront6targetE1EEEvT1_,"axG",@progbits,_ZN7rocprim17ROCPRIM_400000_NS6detail17trampoline_kernelINS0_14default_configENS1_25partition_config_selectorILNS1_17partition_subalgoE1EtNS0_10empty_typeEbEEZZNS1_14partition_implILS5_1ELb0ES3_jN6thrust23THRUST_200600_302600_NS6detail15normal_iteratorINSA_10device_ptrItEEEEPS6_NSA_18transform_iteratorI7is_evenItESF_NSA_11use_defaultESK_EENS0_5tupleIJSF_NSA_16discard_iteratorISK_EEEEENSM_IJSG_SG_EEES6_PlJS6_EEE10hipError_tPvRmT3_T4_T5_T6_T7_T9_mT8_P12ihipStream_tbDpT10_ENKUlT_T0_E_clISt17integral_constantIbLb1EES1B_EEDaS16_S17_EUlS16_E_NS1_11comp_targetILNS1_3genE10ELNS1_11target_archE1200ELNS1_3gpuE4ELNS1_3repE0EEENS1_30default_config_static_selectorELNS0_4arch9wavefront6targetE1EEEvT1_,comdat
	.protected	_ZN7rocprim17ROCPRIM_400000_NS6detail17trampoline_kernelINS0_14default_configENS1_25partition_config_selectorILNS1_17partition_subalgoE1EtNS0_10empty_typeEbEEZZNS1_14partition_implILS5_1ELb0ES3_jN6thrust23THRUST_200600_302600_NS6detail15normal_iteratorINSA_10device_ptrItEEEEPS6_NSA_18transform_iteratorI7is_evenItESF_NSA_11use_defaultESK_EENS0_5tupleIJSF_NSA_16discard_iteratorISK_EEEEENSM_IJSG_SG_EEES6_PlJS6_EEE10hipError_tPvRmT3_T4_T5_T6_T7_T9_mT8_P12ihipStream_tbDpT10_ENKUlT_T0_E_clISt17integral_constantIbLb1EES1B_EEDaS16_S17_EUlS16_E_NS1_11comp_targetILNS1_3genE10ELNS1_11target_archE1200ELNS1_3gpuE4ELNS1_3repE0EEENS1_30default_config_static_selectorELNS0_4arch9wavefront6targetE1EEEvT1_ ; -- Begin function _ZN7rocprim17ROCPRIM_400000_NS6detail17trampoline_kernelINS0_14default_configENS1_25partition_config_selectorILNS1_17partition_subalgoE1EtNS0_10empty_typeEbEEZZNS1_14partition_implILS5_1ELb0ES3_jN6thrust23THRUST_200600_302600_NS6detail15normal_iteratorINSA_10device_ptrItEEEEPS6_NSA_18transform_iteratorI7is_evenItESF_NSA_11use_defaultESK_EENS0_5tupleIJSF_NSA_16discard_iteratorISK_EEEEENSM_IJSG_SG_EEES6_PlJS6_EEE10hipError_tPvRmT3_T4_T5_T6_T7_T9_mT8_P12ihipStream_tbDpT10_ENKUlT_T0_E_clISt17integral_constantIbLb1EES1B_EEDaS16_S17_EUlS16_E_NS1_11comp_targetILNS1_3genE10ELNS1_11target_archE1200ELNS1_3gpuE4ELNS1_3repE0EEENS1_30default_config_static_selectorELNS0_4arch9wavefront6targetE1EEEvT1_
	.globl	_ZN7rocprim17ROCPRIM_400000_NS6detail17trampoline_kernelINS0_14default_configENS1_25partition_config_selectorILNS1_17partition_subalgoE1EtNS0_10empty_typeEbEEZZNS1_14partition_implILS5_1ELb0ES3_jN6thrust23THRUST_200600_302600_NS6detail15normal_iteratorINSA_10device_ptrItEEEEPS6_NSA_18transform_iteratorI7is_evenItESF_NSA_11use_defaultESK_EENS0_5tupleIJSF_NSA_16discard_iteratorISK_EEEEENSM_IJSG_SG_EEES6_PlJS6_EEE10hipError_tPvRmT3_T4_T5_T6_T7_T9_mT8_P12ihipStream_tbDpT10_ENKUlT_T0_E_clISt17integral_constantIbLb1EES1B_EEDaS16_S17_EUlS16_E_NS1_11comp_targetILNS1_3genE10ELNS1_11target_archE1200ELNS1_3gpuE4ELNS1_3repE0EEENS1_30default_config_static_selectorELNS0_4arch9wavefront6targetE1EEEvT1_
	.p2align	8
	.type	_ZN7rocprim17ROCPRIM_400000_NS6detail17trampoline_kernelINS0_14default_configENS1_25partition_config_selectorILNS1_17partition_subalgoE1EtNS0_10empty_typeEbEEZZNS1_14partition_implILS5_1ELb0ES3_jN6thrust23THRUST_200600_302600_NS6detail15normal_iteratorINSA_10device_ptrItEEEEPS6_NSA_18transform_iteratorI7is_evenItESF_NSA_11use_defaultESK_EENS0_5tupleIJSF_NSA_16discard_iteratorISK_EEEEENSM_IJSG_SG_EEES6_PlJS6_EEE10hipError_tPvRmT3_T4_T5_T6_T7_T9_mT8_P12ihipStream_tbDpT10_ENKUlT_T0_E_clISt17integral_constantIbLb1EES1B_EEDaS16_S17_EUlS16_E_NS1_11comp_targetILNS1_3genE10ELNS1_11target_archE1200ELNS1_3gpuE4ELNS1_3repE0EEENS1_30default_config_static_selectorELNS0_4arch9wavefront6targetE1EEEvT1_,@function
_ZN7rocprim17ROCPRIM_400000_NS6detail17trampoline_kernelINS0_14default_configENS1_25partition_config_selectorILNS1_17partition_subalgoE1EtNS0_10empty_typeEbEEZZNS1_14partition_implILS5_1ELb0ES3_jN6thrust23THRUST_200600_302600_NS6detail15normal_iteratorINSA_10device_ptrItEEEEPS6_NSA_18transform_iteratorI7is_evenItESF_NSA_11use_defaultESK_EENS0_5tupleIJSF_NSA_16discard_iteratorISK_EEEEENSM_IJSG_SG_EEES6_PlJS6_EEE10hipError_tPvRmT3_T4_T5_T6_T7_T9_mT8_P12ihipStream_tbDpT10_ENKUlT_T0_E_clISt17integral_constantIbLb1EES1B_EEDaS16_S17_EUlS16_E_NS1_11comp_targetILNS1_3genE10ELNS1_11target_archE1200ELNS1_3gpuE4ELNS1_3repE0EEENS1_30default_config_static_selectorELNS0_4arch9wavefront6targetE1EEEvT1_: ; @_ZN7rocprim17ROCPRIM_400000_NS6detail17trampoline_kernelINS0_14default_configENS1_25partition_config_selectorILNS1_17partition_subalgoE1EtNS0_10empty_typeEbEEZZNS1_14partition_implILS5_1ELb0ES3_jN6thrust23THRUST_200600_302600_NS6detail15normal_iteratorINSA_10device_ptrItEEEEPS6_NSA_18transform_iteratorI7is_evenItESF_NSA_11use_defaultESK_EENS0_5tupleIJSF_NSA_16discard_iteratorISK_EEEEENSM_IJSG_SG_EEES6_PlJS6_EEE10hipError_tPvRmT3_T4_T5_T6_T7_T9_mT8_P12ihipStream_tbDpT10_ENKUlT_T0_E_clISt17integral_constantIbLb1EES1B_EEDaS16_S17_EUlS16_E_NS1_11comp_targetILNS1_3genE10ELNS1_11target_archE1200ELNS1_3gpuE4ELNS1_3repE0EEENS1_30default_config_static_selectorELNS0_4arch9wavefront6targetE1EEEvT1_
; %bb.0:
	.section	.rodata,"a",@progbits
	.p2align	6, 0x0
	.amdhsa_kernel _ZN7rocprim17ROCPRIM_400000_NS6detail17trampoline_kernelINS0_14default_configENS1_25partition_config_selectorILNS1_17partition_subalgoE1EtNS0_10empty_typeEbEEZZNS1_14partition_implILS5_1ELb0ES3_jN6thrust23THRUST_200600_302600_NS6detail15normal_iteratorINSA_10device_ptrItEEEEPS6_NSA_18transform_iteratorI7is_evenItESF_NSA_11use_defaultESK_EENS0_5tupleIJSF_NSA_16discard_iteratorISK_EEEEENSM_IJSG_SG_EEES6_PlJS6_EEE10hipError_tPvRmT3_T4_T5_T6_T7_T9_mT8_P12ihipStream_tbDpT10_ENKUlT_T0_E_clISt17integral_constantIbLb1EES1B_EEDaS16_S17_EUlS16_E_NS1_11comp_targetILNS1_3genE10ELNS1_11target_archE1200ELNS1_3gpuE4ELNS1_3repE0EEENS1_30default_config_static_selectorELNS0_4arch9wavefront6targetE1EEEvT1_
		.amdhsa_group_segment_fixed_size 0
		.amdhsa_private_segment_fixed_size 0
		.amdhsa_kernarg_size 152
		.amdhsa_user_sgpr_count 6
		.amdhsa_user_sgpr_private_segment_buffer 1
		.amdhsa_user_sgpr_dispatch_ptr 0
		.amdhsa_user_sgpr_queue_ptr 0
		.amdhsa_user_sgpr_kernarg_segment_ptr 1
		.amdhsa_user_sgpr_dispatch_id 0
		.amdhsa_user_sgpr_flat_scratch_init 0
		.amdhsa_user_sgpr_kernarg_preload_length 0
		.amdhsa_user_sgpr_kernarg_preload_offset 0
		.amdhsa_user_sgpr_private_segment_size 0
		.amdhsa_uses_dynamic_stack 0
		.amdhsa_system_sgpr_private_segment_wavefront_offset 0
		.amdhsa_system_sgpr_workgroup_id_x 1
		.amdhsa_system_sgpr_workgroup_id_y 0
		.amdhsa_system_sgpr_workgroup_id_z 0
		.amdhsa_system_sgpr_workgroup_info 0
		.amdhsa_system_vgpr_workitem_id 0
		.amdhsa_next_free_vgpr 1
		.amdhsa_next_free_sgpr 0
		.amdhsa_accum_offset 4
		.amdhsa_reserve_vcc 0
		.amdhsa_reserve_flat_scratch 0
		.amdhsa_float_round_mode_32 0
		.amdhsa_float_round_mode_16_64 0
		.amdhsa_float_denorm_mode_32 3
		.amdhsa_float_denorm_mode_16_64 3
		.amdhsa_dx10_clamp 1
		.amdhsa_ieee_mode 1
		.amdhsa_fp16_overflow 0
		.amdhsa_tg_split 0
		.amdhsa_exception_fp_ieee_invalid_op 0
		.amdhsa_exception_fp_denorm_src 0
		.amdhsa_exception_fp_ieee_div_zero 0
		.amdhsa_exception_fp_ieee_overflow 0
		.amdhsa_exception_fp_ieee_underflow 0
		.amdhsa_exception_fp_ieee_inexact 0
		.amdhsa_exception_int_div_zero 0
	.end_amdhsa_kernel
	.section	.text._ZN7rocprim17ROCPRIM_400000_NS6detail17trampoline_kernelINS0_14default_configENS1_25partition_config_selectorILNS1_17partition_subalgoE1EtNS0_10empty_typeEbEEZZNS1_14partition_implILS5_1ELb0ES3_jN6thrust23THRUST_200600_302600_NS6detail15normal_iteratorINSA_10device_ptrItEEEEPS6_NSA_18transform_iteratorI7is_evenItESF_NSA_11use_defaultESK_EENS0_5tupleIJSF_NSA_16discard_iteratorISK_EEEEENSM_IJSG_SG_EEES6_PlJS6_EEE10hipError_tPvRmT3_T4_T5_T6_T7_T9_mT8_P12ihipStream_tbDpT10_ENKUlT_T0_E_clISt17integral_constantIbLb1EES1B_EEDaS16_S17_EUlS16_E_NS1_11comp_targetILNS1_3genE10ELNS1_11target_archE1200ELNS1_3gpuE4ELNS1_3repE0EEENS1_30default_config_static_selectorELNS0_4arch9wavefront6targetE1EEEvT1_,"axG",@progbits,_ZN7rocprim17ROCPRIM_400000_NS6detail17trampoline_kernelINS0_14default_configENS1_25partition_config_selectorILNS1_17partition_subalgoE1EtNS0_10empty_typeEbEEZZNS1_14partition_implILS5_1ELb0ES3_jN6thrust23THRUST_200600_302600_NS6detail15normal_iteratorINSA_10device_ptrItEEEEPS6_NSA_18transform_iteratorI7is_evenItESF_NSA_11use_defaultESK_EENS0_5tupleIJSF_NSA_16discard_iteratorISK_EEEEENSM_IJSG_SG_EEES6_PlJS6_EEE10hipError_tPvRmT3_T4_T5_T6_T7_T9_mT8_P12ihipStream_tbDpT10_ENKUlT_T0_E_clISt17integral_constantIbLb1EES1B_EEDaS16_S17_EUlS16_E_NS1_11comp_targetILNS1_3genE10ELNS1_11target_archE1200ELNS1_3gpuE4ELNS1_3repE0EEENS1_30default_config_static_selectorELNS0_4arch9wavefront6targetE1EEEvT1_,comdat
.Lfunc_end3112:
	.size	_ZN7rocprim17ROCPRIM_400000_NS6detail17trampoline_kernelINS0_14default_configENS1_25partition_config_selectorILNS1_17partition_subalgoE1EtNS0_10empty_typeEbEEZZNS1_14partition_implILS5_1ELb0ES3_jN6thrust23THRUST_200600_302600_NS6detail15normal_iteratorINSA_10device_ptrItEEEEPS6_NSA_18transform_iteratorI7is_evenItESF_NSA_11use_defaultESK_EENS0_5tupleIJSF_NSA_16discard_iteratorISK_EEEEENSM_IJSG_SG_EEES6_PlJS6_EEE10hipError_tPvRmT3_T4_T5_T6_T7_T9_mT8_P12ihipStream_tbDpT10_ENKUlT_T0_E_clISt17integral_constantIbLb1EES1B_EEDaS16_S17_EUlS16_E_NS1_11comp_targetILNS1_3genE10ELNS1_11target_archE1200ELNS1_3gpuE4ELNS1_3repE0EEENS1_30default_config_static_selectorELNS0_4arch9wavefront6targetE1EEEvT1_, .Lfunc_end3112-_ZN7rocprim17ROCPRIM_400000_NS6detail17trampoline_kernelINS0_14default_configENS1_25partition_config_selectorILNS1_17partition_subalgoE1EtNS0_10empty_typeEbEEZZNS1_14partition_implILS5_1ELb0ES3_jN6thrust23THRUST_200600_302600_NS6detail15normal_iteratorINSA_10device_ptrItEEEEPS6_NSA_18transform_iteratorI7is_evenItESF_NSA_11use_defaultESK_EENS0_5tupleIJSF_NSA_16discard_iteratorISK_EEEEENSM_IJSG_SG_EEES6_PlJS6_EEE10hipError_tPvRmT3_T4_T5_T6_T7_T9_mT8_P12ihipStream_tbDpT10_ENKUlT_T0_E_clISt17integral_constantIbLb1EES1B_EEDaS16_S17_EUlS16_E_NS1_11comp_targetILNS1_3genE10ELNS1_11target_archE1200ELNS1_3gpuE4ELNS1_3repE0EEENS1_30default_config_static_selectorELNS0_4arch9wavefront6targetE1EEEvT1_
                                        ; -- End function
	.section	.AMDGPU.csdata,"",@progbits
; Kernel info:
; codeLenInByte = 0
; NumSgprs: 4
; NumVgprs: 0
; NumAgprs: 0
; TotalNumVgprs: 0
; ScratchSize: 0
; MemoryBound: 0
; FloatMode: 240
; IeeeMode: 1
; LDSByteSize: 0 bytes/workgroup (compile time only)
; SGPRBlocks: 0
; VGPRBlocks: 0
; NumSGPRsForWavesPerEU: 4
; NumVGPRsForWavesPerEU: 1
; AccumOffset: 4
; Occupancy: 8
; WaveLimiterHint : 0
; COMPUTE_PGM_RSRC2:SCRATCH_EN: 0
; COMPUTE_PGM_RSRC2:USER_SGPR: 6
; COMPUTE_PGM_RSRC2:TRAP_HANDLER: 0
; COMPUTE_PGM_RSRC2:TGID_X_EN: 1
; COMPUTE_PGM_RSRC2:TGID_Y_EN: 0
; COMPUTE_PGM_RSRC2:TGID_Z_EN: 0
; COMPUTE_PGM_RSRC2:TIDIG_COMP_CNT: 0
; COMPUTE_PGM_RSRC3_GFX90A:ACCUM_OFFSET: 0
; COMPUTE_PGM_RSRC3_GFX90A:TG_SPLIT: 0
	.section	.text._ZN7rocprim17ROCPRIM_400000_NS6detail17trampoline_kernelINS0_14default_configENS1_25partition_config_selectorILNS1_17partition_subalgoE1EtNS0_10empty_typeEbEEZZNS1_14partition_implILS5_1ELb0ES3_jN6thrust23THRUST_200600_302600_NS6detail15normal_iteratorINSA_10device_ptrItEEEEPS6_NSA_18transform_iteratorI7is_evenItESF_NSA_11use_defaultESK_EENS0_5tupleIJSF_NSA_16discard_iteratorISK_EEEEENSM_IJSG_SG_EEES6_PlJS6_EEE10hipError_tPvRmT3_T4_T5_T6_T7_T9_mT8_P12ihipStream_tbDpT10_ENKUlT_T0_E_clISt17integral_constantIbLb1EES1B_EEDaS16_S17_EUlS16_E_NS1_11comp_targetILNS1_3genE9ELNS1_11target_archE1100ELNS1_3gpuE3ELNS1_3repE0EEENS1_30default_config_static_selectorELNS0_4arch9wavefront6targetE1EEEvT1_,"axG",@progbits,_ZN7rocprim17ROCPRIM_400000_NS6detail17trampoline_kernelINS0_14default_configENS1_25partition_config_selectorILNS1_17partition_subalgoE1EtNS0_10empty_typeEbEEZZNS1_14partition_implILS5_1ELb0ES3_jN6thrust23THRUST_200600_302600_NS6detail15normal_iteratorINSA_10device_ptrItEEEEPS6_NSA_18transform_iteratorI7is_evenItESF_NSA_11use_defaultESK_EENS0_5tupleIJSF_NSA_16discard_iteratorISK_EEEEENSM_IJSG_SG_EEES6_PlJS6_EEE10hipError_tPvRmT3_T4_T5_T6_T7_T9_mT8_P12ihipStream_tbDpT10_ENKUlT_T0_E_clISt17integral_constantIbLb1EES1B_EEDaS16_S17_EUlS16_E_NS1_11comp_targetILNS1_3genE9ELNS1_11target_archE1100ELNS1_3gpuE3ELNS1_3repE0EEENS1_30default_config_static_selectorELNS0_4arch9wavefront6targetE1EEEvT1_,comdat
	.protected	_ZN7rocprim17ROCPRIM_400000_NS6detail17trampoline_kernelINS0_14default_configENS1_25partition_config_selectorILNS1_17partition_subalgoE1EtNS0_10empty_typeEbEEZZNS1_14partition_implILS5_1ELb0ES3_jN6thrust23THRUST_200600_302600_NS6detail15normal_iteratorINSA_10device_ptrItEEEEPS6_NSA_18transform_iteratorI7is_evenItESF_NSA_11use_defaultESK_EENS0_5tupleIJSF_NSA_16discard_iteratorISK_EEEEENSM_IJSG_SG_EEES6_PlJS6_EEE10hipError_tPvRmT3_T4_T5_T6_T7_T9_mT8_P12ihipStream_tbDpT10_ENKUlT_T0_E_clISt17integral_constantIbLb1EES1B_EEDaS16_S17_EUlS16_E_NS1_11comp_targetILNS1_3genE9ELNS1_11target_archE1100ELNS1_3gpuE3ELNS1_3repE0EEENS1_30default_config_static_selectorELNS0_4arch9wavefront6targetE1EEEvT1_ ; -- Begin function _ZN7rocprim17ROCPRIM_400000_NS6detail17trampoline_kernelINS0_14default_configENS1_25partition_config_selectorILNS1_17partition_subalgoE1EtNS0_10empty_typeEbEEZZNS1_14partition_implILS5_1ELb0ES3_jN6thrust23THRUST_200600_302600_NS6detail15normal_iteratorINSA_10device_ptrItEEEEPS6_NSA_18transform_iteratorI7is_evenItESF_NSA_11use_defaultESK_EENS0_5tupleIJSF_NSA_16discard_iteratorISK_EEEEENSM_IJSG_SG_EEES6_PlJS6_EEE10hipError_tPvRmT3_T4_T5_T6_T7_T9_mT8_P12ihipStream_tbDpT10_ENKUlT_T0_E_clISt17integral_constantIbLb1EES1B_EEDaS16_S17_EUlS16_E_NS1_11comp_targetILNS1_3genE9ELNS1_11target_archE1100ELNS1_3gpuE3ELNS1_3repE0EEENS1_30default_config_static_selectorELNS0_4arch9wavefront6targetE1EEEvT1_
	.globl	_ZN7rocprim17ROCPRIM_400000_NS6detail17trampoline_kernelINS0_14default_configENS1_25partition_config_selectorILNS1_17partition_subalgoE1EtNS0_10empty_typeEbEEZZNS1_14partition_implILS5_1ELb0ES3_jN6thrust23THRUST_200600_302600_NS6detail15normal_iteratorINSA_10device_ptrItEEEEPS6_NSA_18transform_iteratorI7is_evenItESF_NSA_11use_defaultESK_EENS0_5tupleIJSF_NSA_16discard_iteratorISK_EEEEENSM_IJSG_SG_EEES6_PlJS6_EEE10hipError_tPvRmT3_T4_T5_T6_T7_T9_mT8_P12ihipStream_tbDpT10_ENKUlT_T0_E_clISt17integral_constantIbLb1EES1B_EEDaS16_S17_EUlS16_E_NS1_11comp_targetILNS1_3genE9ELNS1_11target_archE1100ELNS1_3gpuE3ELNS1_3repE0EEENS1_30default_config_static_selectorELNS0_4arch9wavefront6targetE1EEEvT1_
	.p2align	8
	.type	_ZN7rocprim17ROCPRIM_400000_NS6detail17trampoline_kernelINS0_14default_configENS1_25partition_config_selectorILNS1_17partition_subalgoE1EtNS0_10empty_typeEbEEZZNS1_14partition_implILS5_1ELb0ES3_jN6thrust23THRUST_200600_302600_NS6detail15normal_iteratorINSA_10device_ptrItEEEEPS6_NSA_18transform_iteratorI7is_evenItESF_NSA_11use_defaultESK_EENS0_5tupleIJSF_NSA_16discard_iteratorISK_EEEEENSM_IJSG_SG_EEES6_PlJS6_EEE10hipError_tPvRmT3_T4_T5_T6_T7_T9_mT8_P12ihipStream_tbDpT10_ENKUlT_T0_E_clISt17integral_constantIbLb1EES1B_EEDaS16_S17_EUlS16_E_NS1_11comp_targetILNS1_3genE9ELNS1_11target_archE1100ELNS1_3gpuE3ELNS1_3repE0EEENS1_30default_config_static_selectorELNS0_4arch9wavefront6targetE1EEEvT1_,@function
_ZN7rocprim17ROCPRIM_400000_NS6detail17trampoline_kernelINS0_14default_configENS1_25partition_config_selectorILNS1_17partition_subalgoE1EtNS0_10empty_typeEbEEZZNS1_14partition_implILS5_1ELb0ES3_jN6thrust23THRUST_200600_302600_NS6detail15normal_iteratorINSA_10device_ptrItEEEEPS6_NSA_18transform_iteratorI7is_evenItESF_NSA_11use_defaultESK_EENS0_5tupleIJSF_NSA_16discard_iteratorISK_EEEEENSM_IJSG_SG_EEES6_PlJS6_EEE10hipError_tPvRmT3_T4_T5_T6_T7_T9_mT8_P12ihipStream_tbDpT10_ENKUlT_T0_E_clISt17integral_constantIbLb1EES1B_EEDaS16_S17_EUlS16_E_NS1_11comp_targetILNS1_3genE9ELNS1_11target_archE1100ELNS1_3gpuE3ELNS1_3repE0EEENS1_30default_config_static_selectorELNS0_4arch9wavefront6targetE1EEEvT1_: ; @_ZN7rocprim17ROCPRIM_400000_NS6detail17trampoline_kernelINS0_14default_configENS1_25partition_config_selectorILNS1_17partition_subalgoE1EtNS0_10empty_typeEbEEZZNS1_14partition_implILS5_1ELb0ES3_jN6thrust23THRUST_200600_302600_NS6detail15normal_iteratorINSA_10device_ptrItEEEEPS6_NSA_18transform_iteratorI7is_evenItESF_NSA_11use_defaultESK_EENS0_5tupleIJSF_NSA_16discard_iteratorISK_EEEEENSM_IJSG_SG_EEES6_PlJS6_EEE10hipError_tPvRmT3_T4_T5_T6_T7_T9_mT8_P12ihipStream_tbDpT10_ENKUlT_T0_E_clISt17integral_constantIbLb1EES1B_EEDaS16_S17_EUlS16_E_NS1_11comp_targetILNS1_3genE9ELNS1_11target_archE1100ELNS1_3gpuE3ELNS1_3repE0EEENS1_30default_config_static_selectorELNS0_4arch9wavefront6targetE1EEEvT1_
; %bb.0:
	.section	.rodata,"a",@progbits
	.p2align	6, 0x0
	.amdhsa_kernel _ZN7rocprim17ROCPRIM_400000_NS6detail17trampoline_kernelINS0_14default_configENS1_25partition_config_selectorILNS1_17partition_subalgoE1EtNS0_10empty_typeEbEEZZNS1_14partition_implILS5_1ELb0ES3_jN6thrust23THRUST_200600_302600_NS6detail15normal_iteratorINSA_10device_ptrItEEEEPS6_NSA_18transform_iteratorI7is_evenItESF_NSA_11use_defaultESK_EENS0_5tupleIJSF_NSA_16discard_iteratorISK_EEEEENSM_IJSG_SG_EEES6_PlJS6_EEE10hipError_tPvRmT3_T4_T5_T6_T7_T9_mT8_P12ihipStream_tbDpT10_ENKUlT_T0_E_clISt17integral_constantIbLb1EES1B_EEDaS16_S17_EUlS16_E_NS1_11comp_targetILNS1_3genE9ELNS1_11target_archE1100ELNS1_3gpuE3ELNS1_3repE0EEENS1_30default_config_static_selectorELNS0_4arch9wavefront6targetE1EEEvT1_
		.amdhsa_group_segment_fixed_size 0
		.amdhsa_private_segment_fixed_size 0
		.amdhsa_kernarg_size 152
		.amdhsa_user_sgpr_count 6
		.amdhsa_user_sgpr_private_segment_buffer 1
		.amdhsa_user_sgpr_dispatch_ptr 0
		.amdhsa_user_sgpr_queue_ptr 0
		.amdhsa_user_sgpr_kernarg_segment_ptr 1
		.amdhsa_user_sgpr_dispatch_id 0
		.amdhsa_user_sgpr_flat_scratch_init 0
		.amdhsa_user_sgpr_kernarg_preload_length 0
		.amdhsa_user_sgpr_kernarg_preload_offset 0
		.amdhsa_user_sgpr_private_segment_size 0
		.amdhsa_uses_dynamic_stack 0
		.amdhsa_system_sgpr_private_segment_wavefront_offset 0
		.amdhsa_system_sgpr_workgroup_id_x 1
		.amdhsa_system_sgpr_workgroup_id_y 0
		.amdhsa_system_sgpr_workgroup_id_z 0
		.amdhsa_system_sgpr_workgroup_info 0
		.amdhsa_system_vgpr_workitem_id 0
		.amdhsa_next_free_vgpr 1
		.amdhsa_next_free_sgpr 0
		.amdhsa_accum_offset 4
		.amdhsa_reserve_vcc 0
		.amdhsa_reserve_flat_scratch 0
		.amdhsa_float_round_mode_32 0
		.amdhsa_float_round_mode_16_64 0
		.amdhsa_float_denorm_mode_32 3
		.amdhsa_float_denorm_mode_16_64 3
		.amdhsa_dx10_clamp 1
		.amdhsa_ieee_mode 1
		.amdhsa_fp16_overflow 0
		.amdhsa_tg_split 0
		.amdhsa_exception_fp_ieee_invalid_op 0
		.amdhsa_exception_fp_denorm_src 0
		.amdhsa_exception_fp_ieee_div_zero 0
		.amdhsa_exception_fp_ieee_overflow 0
		.amdhsa_exception_fp_ieee_underflow 0
		.amdhsa_exception_fp_ieee_inexact 0
		.amdhsa_exception_int_div_zero 0
	.end_amdhsa_kernel
	.section	.text._ZN7rocprim17ROCPRIM_400000_NS6detail17trampoline_kernelINS0_14default_configENS1_25partition_config_selectorILNS1_17partition_subalgoE1EtNS0_10empty_typeEbEEZZNS1_14partition_implILS5_1ELb0ES3_jN6thrust23THRUST_200600_302600_NS6detail15normal_iteratorINSA_10device_ptrItEEEEPS6_NSA_18transform_iteratorI7is_evenItESF_NSA_11use_defaultESK_EENS0_5tupleIJSF_NSA_16discard_iteratorISK_EEEEENSM_IJSG_SG_EEES6_PlJS6_EEE10hipError_tPvRmT3_T4_T5_T6_T7_T9_mT8_P12ihipStream_tbDpT10_ENKUlT_T0_E_clISt17integral_constantIbLb1EES1B_EEDaS16_S17_EUlS16_E_NS1_11comp_targetILNS1_3genE9ELNS1_11target_archE1100ELNS1_3gpuE3ELNS1_3repE0EEENS1_30default_config_static_selectorELNS0_4arch9wavefront6targetE1EEEvT1_,"axG",@progbits,_ZN7rocprim17ROCPRIM_400000_NS6detail17trampoline_kernelINS0_14default_configENS1_25partition_config_selectorILNS1_17partition_subalgoE1EtNS0_10empty_typeEbEEZZNS1_14partition_implILS5_1ELb0ES3_jN6thrust23THRUST_200600_302600_NS6detail15normal_iteratorINSA_10device_ptrItEEEEPS6_NSA_18transform_iteratorI7is_evenItESF_NSA_11use_defaultESK_EENS0_5tupleIJSF_NSA_16discard_iteratorISK_EEEEENSM_IJSG_SG_EEES6_PlJS6_EEE10hipError_tPvRmT3_T4_T5_T6_T7_T9_mT8_P12ihipStream_tbDpT10_ENKUlT_T0_E_clISt17integral_constantIbLb1EES1B_EEDaS16_S17_EUlS16_E_NS1_11comp_targetILNS1_3genE9ELNS1_11target_archE1100ELNS1_3gpuE3ELNS1_3repE0EEENS1_30default_config_static_selectorELNS0_4arch9wavefront6targetE1EEEvT1_,comdat
.Lfunc_end3113:
	.size	_ZN7rocprim17ROCPRIM_400000_NS6detail17trampoline_kernelINS0_14default_configENS1_25partition_config_selectorILNS1_17partition_subalgoE1EtNS0_10empty_typeEbEEZZNS1_14partition_implILS5_1ELb0ES3_jN6thrust23THRUST_200600_302600_NS6detail15normal_iteratorINSA_10device_ptrItEEEEPS6_NSA_18transform_iteratorI7is_evenItESF_NSA_11use_defaultESK_EENS0_5tupleIJSF_NSA_16discard_iteratorISK_EEEEENSM_IJSG_SG_EEES6_PlJS6_EEE10hipError_tPvRmT3_T4_T5_T6_T7_T9_mT8_P12ihipStream_tbDpT10_ENKUlT_T0_E_clISt17integral_constantIbLb1EES1B_EEDaS16_S17_EUlS16_E_NS1_11comp_targetILNS1_3genE9ELNS1_11target_archE1100ELNS1_3gpuE3ELNS1_3repE0EEENS1_30default_config_static_selectorELNS0_4arch9wavefront6targetE1EEEvT1_, .Lfunc_end3113-_ZN7rocprim17ROCPRIM_400000_NS6detail17trampoline_kernelINS0_14default_configENS1_25partition_config_selectorILNS1_17partition_subalgoE1EtNS0_10empty_typeEbEEZZNS1_14partition_implILS5_1ELb0ES3_jN6thrust23THRUST_200600_302600_NS6detail15normal_iteratorINSA_10device_ptrItEEEEPS6_NSA_18transform_iteratorI7is_evenItESF_NSA_11use_defaultESK_EENS0_5tupleIJSF_NSA_16discard_iteratorISK_EEEEENSM_IJSG_SG_EEES6_PlJS6_EEE10hipError_tPvRmT3_T4_T5_T6_T7_T9_mT8_P12ihipStream_tbDpT10_ENKUlT_T0_E_clISt17integral_constantIbLb1EES1B_EEDaS16_S17_EUlS16_E_NS1_11comp_targetILNS1_3genE9ELNS1_11target_archE1100ELNS1_3gpuE3ELNS1_3repE0EEENS1_30default_config_static_selectorELNS0_4arch9wavefront6targetE1EEEvT1_
                                        ; -- End function
	.section	.AMDGPU.csdata,"",@progbits
; Kernel info:
; codeLenInByte = 0
; NumSgprs: 4
; NumVgprs: 0
; NumAgprs: 0
; TotalNumVgprs: 0
; ScratchSize: 0
; MemoryBound: 0
; FloatMode: 240
; IeeeMode: 1
; LDSByteSize: 0 bytes/workgroup (compile time only)
; SGPRBlocks: 0
; VGPRBlocks: 0
; NumSGPRsForWavesPerEU: 4
; NumVGPRsForWavesPerEU: 1
; AccumOffset: 4
; Occupancy: 8
; WaveLimiterHint : 0
; COMPUTE_PGM_RSRC2:SCRATCH_EN: 0
; COMPUTE_PGM_RSRC2:USER_SGPR: 6
; COMPUTE_PGM_RSRC2:TRAP_HANDLER: 0
; COMPUTE_PGM_RSRC2:TGID_X_EN: 1
; COMPUTE_PGM_RSRC2:TGID_Y_EN: 0
; COMPUTE_PGM_RSRC2:TGID_Z_EN: 0
; COMPUTE_PGM_RSRC2:TIDIG_COMP_CNT: 0
; COMPUTE_PGM_RSRC3_GFX90A:ACCUM_OFFSET: 0
; COMPUTE_PGM_RSRC3_GFX90A:TG_SPLIT: 0
	.section	.text._ZN7rocprim17ROCPRIM_400000_NS6detail17trampoline_kernelINS0_14default_configENS1_25partition_config_selectorILNS1_17partition_subalgoE1EtNS0_10empty_typeEbEEZZNS1_14partition_implILS5_1ELb0ES3_jN6thrust23THRUST_200600_302600_NS6detail15normal_iteratorINSA_10device_ptrItEEEEPS6_NSA_18transform_iteratorI7is_evenItESF_NSA_11use_defaultESK_EENS0_5tupleIJSF_NSA_16discard_iteratorISK_EEEEENSM_IJSG_SG_EEES6_PlJS6_EEE10hipError_tPvRmT3_T4_T5_T6_T7_T9_mT8_P12ihipStream_tbDpT10_ENKUlT_T0_E_clISt17integral_constantIbLb1EES1B_EEDaS16_S17_EUlS16_E_NS1_11comp_targetILNS1_3genE8ELNS1_11target_archE1030ELNS1_3gpuE2ELNS1_3repE0EEENS1_30default_config_static_selectorELNS0_4arch9wavefront6targetE1EEEvT1_,"axG",@progbits,_ZN7rocprim17ROCPRIM_400000_NS6detail17trampoline_kernelINS0_14default_configENS1_25partition_config_selectorILNS1_17partition_subalgoE1EtNS0_10empty_typeEbEEZZNS1_14partition_implILS5_1ELb0ES3_jN6thrust23THRUST_200600_302600_NS6detail15normal_iteratorINSA_10device_ptrItEEEEPS6_NSA_18transform_iteratorI7is_evenItESF_NSA_11use_defaultESK_EENS0_5tupleIJSF_NSA_16discard_iteratorISK_EEEEENSM_IJSG_SG_EEES6_PlJS6_EEE10hipError_tPvRmT3_T4_T5_T6_T7_T9_mT8_P12ihipStream_tbDpT10_ENKUlT_T0_E_clISt17integral_constantIbLb1EES1B_EEDaS16_S17_EUlS16_E_NS1_11comp_targetILNS1_3genE8ELNS1_11target_archE1030ELNS1_3gpuE2ELNS1_3repE0EEENS1_30default_config_static_selectorELNS0_4arch9wavefront6targetE1EEEvT1_,comdat
	.protected	_ZN7rocprim17ROCPRIM_400000_NS6detail17trampoline_kernelINS0_14default_configENS1_25partition_config_selectorILNS1_17partition_subalgoE1EtNS0_10empty_typeEbEEZZNS1_14partition_implILS5_1ELb0ES3_jN6thrust23THRUST_200600_302600_NS6detail15normal_iteratorINSA_10device_ptrItEEEEPS6_NSA_18transform_iteratorI7is_evenItESF_NSA_11use_defaultESK_EENS0_5tupleIJSF_NSA_16discard_iteratorISK_EEEEENSM_IJSG_SG_EEES6_PlJS6_EEE10hipError_tPvRmT3_T4_T5_T6_T7_T9_mT8_P12ihipStream_tbDpT10_ENKUlT_T0_E_clISt17integral_constantIbLb1EES1B_EEDaS16_S17_EUlS16_E_NS1_11comp_targetILNS1_3genE8ELNS1_11target_archE1030ELNS1_3gpuE2ELNS1_3repE0EEENS1_30default_config_static_selectorELNS0_4arch9wavefront6targetE1EEEvT1_ ; -- Begin function _ZN7rocprim17ROCPRIM_400000_NS6detail17trampoline_kernelINS0_14default_configENS1_25partition_config_selectorILNS1_17partition_subalgoE1EtNS0_10empty_typeEbEEZZNS1_14partition_implILS5_1ELb0ES3_jN6thrust23THRUST_200600_302600_NS6detail15normal_iteratorINSA_10device_ptrItEEEEPS6_NSA_18transform_iteratorI7is_evenItESF_NSA_11use_defaultESK_EENS0_5tupleIJSF_NSA_16discard_iteratorISK_EEEEENSM_IJSG_SG_EEES6_PlJS6_EEE10hipError_tPvRmT3_T4_T5_T6_T7_T9_mT8_P12ihipStream_tbDpT10_ENKUlT_T0_E_clISt17integral_constantIbLb1EES1B_EEDaS16_S17_EUlS16_E_NS1_11comp_targetILNS1_3genE8ELNS1_11target_archE1030ELNS1_3gpuE2ELNS1_3repE0EEENS1_30default_config_static_selectorELNS0_4arch9wavefront6targetE1EEEvT1_
	.globl	_ZN7rocprim17ROCPRIM_400000_NS6detail17trampoline_kernelINS0_14default_configENS1_25partition_config_selectorILNS1_17partition_subalgoE1EtNS0_10empty_typeEbEEZZNS1_14partition_implILS5_1ELb0ES3_jN6thrust23THRUST_200600_302600_NS6detail15normal_iteratorINSA_10device_ptrItEEEEPS6_NSA_18transform_iteratorI7is_evenItESF_NSA_11use_defaultESK_EENS0_5tupleIJSF_NSA_16discard_iteratorISK_EEEEENSM_IJSG_SG_EEES6_PlJS6_EEE10hipError_tPvRmT3_T4_T5_T6_T7_T9_mT8_P12ihipStream_tbDpT10_ENKUlT_T0_E_clISt17integral_constantIbLb1EES1B_EEDaS16_S17_EUlS16_E_NS1_11comp_targetILNS1_3genE8ELNS1_11target_archE1030ELNS1_3gpuE2ELNS1_3repE0EEENS1_30default_config_static_selectorELNS0_4arch9wavefront6targetE1EEEvT1_
	.p2align	8
	.type	_ZN7rocprim17ROCPRIM_400000_NS6detail17trampoline_kernelINS0_14default_configENS1_25partition_config_selectorILNS1_17partition_subalgoE1EtNS0_10empty_typeEbEEZZNS1_14partition_implILS5_1ELb0ES3_jN6thrust23THRUST_200600_302600_NS6detail15normal_iteratorINSA_10device_ptrItEEEEPS6_NSA_18transform_iteratorI7is_evenItESF_NSA_11use_defaultESK_EENS0_5tupleIJSF_NSA_16discard_iteratorISK_EEEEENSM_IJSG_SG_EEES6_PlJS6_EEE10hipError_tPvRmT3_T4_T5_T6_T7_T9_mT8_P12ihipStream_tbDpT10_ENKUlT_T0_E_clISt17integral_constantIbLb1EES1B_EEDaS16_S17_EUlS16_E_NS1_11comp_targetILNS1_3genE8ELNS1_11target_archE1030ELNS1_3gpuE2ELNS1_3repE0EEENS1_30default_config_static_selectorELNS0_4arch9wavefront6targetE1EEEvT1_,@function
_ZN7rocprim17ROCPRIM_400000_NS6detail17trampoline_kernelINS0_14default_configENS1_25partition_config_selectorILNS1_17partition_subalgoE1EtNS0_10empty_typeEbEEZZNS1_14partition_implILS5_1ELb0ES3_jN6thrust23THRUST_200600_302600_NS6detail15normal_iteratorINSA_10device_ptrItEEEEPS6_NSA_18transform_iteratorI7is_evenItESF_NSA_11use_defaultESK_EENS0_5tupleIJSF_NSA_16discard_iteratorISK_EEEEENSM_IJSG_SG_EEES6_PlJS6_EEE10hipError_tPvRmT3_T4_T5_T6_T7_T9_mT8_P12ihipStream_tbDpT10_ENKUlT_T0_E_clISt17integral_constantIbLb1EES1B_EEDaS16_S17_EUlS16_E_NS1_11comp_targetILNS1_3genE8ELNS1_11target_archE1030ELNS1_3gpuE2ELNS1_3repE0EEENS1_30default_config_static_selectorELNS0_4arch9wavefront6targetE1EEEvT1_: ; @_ZN7rocprim17ROCPRIM_400000_NS6detail17trampoline_kernelINS0_14default_configENS1_25partition_config_selectorILNS1_17partition_subalgoE1EtNS0_10empty_typeEbEEZZNS1_14partition_implILS5_1ELb0ES3_jN6thrust23THRUST_200600_302600_NS6detail15normal_iteratorINSA_10device_ptrItEEEEPS6_NSA_18transform_iteratorI7is_evenItESF_NSA_11use_defaultESK_EENS0_5tupleIJSF_NSA_16discard_iteratorISK_EEEEENSM_IJSG_SG_EEES6_PlJS6_EEE10hipError_tPvRmT3_T4_T5_T6_T7_T9_mT8_P12ihipStream_tbDpT10_ENKUlT_T0_E_clISt17integral_constantIbLb1EES1B_EEDaS16_S17_EUlS16_E_NS1_11comp_targetILNS1_3genE8ELNS1_11target_archE1030ELNS1_3gpuE2ELNS1_3repE0EEENS1_30default_config_static_selectorELNS0_4arch9wavefront6targetE1EEEvT1_
; %bb.0:
	.section	.rodata,"a",@progbits
	.p2align	6, 0x0
	.amdhsa_kernel _ZN7rocprim17ROCPRIM_400000_NS6detail17trampoline_kernelINS0_14default_configENS1_25partition_config_selectorILNS1_17partition_subalgoE1EtNS0_10empty_typeEbEEZZNS1_14partition_implILS5_1ELb0ES3_jN6thrust23THRUST_200600_302600_NS6detail15normal_iteratorINSA_10device_ptrItEEEEPS6_NSA_18transform_iteratorI7is_evenItESF_NSA_11use_defaultESK_EENS0_5tupleIJSF_NSA_16discard_iteratorISK_EEEEENSM_IJSG_SG_EEES6_PlJS6_EEE10hipError_tPvRmT3_T4_T5_T6_T7_T9_mT8_P12ihipStream_tbDpT10_ENKUlT_T0_E_clISt17integral_constantIbLb1EES1B_EEDaS16_S17_EUlS16_E_NS1_11comp_targetILNS1_3genE8ELNS1_11target_archE1030ELNS1_3gpuE2ELNS1_3repE0EEENS1_30default_config_static_selectorELNS0_4arch9wavefront6targetE1EEEvT1_
		.amdhsa_group_segment_fixed_size 0
		.amdhsa_private_segment_fixed_size 0
		.amdhsa_kernarg_size 152
		.amdhsa_user_sgpr_count 6
		.amdhsa_user_sgpr_private_segment_buffer 1
		.amdhsa_user_sgpr_dispatch_ptr 0
		.amdhsa_user_sgpr_queue_ptr 0
		.amdhsa_user_sgpr_kernarg_segment_ptr 1
		.amdhsa_user_sgpr_dispatch_id 0
		.amdhsa_user_sgpr_flat_scratch_init 0
		.amdhsa_user_sgpr_kernarg_preload_length 0
		.amdhsa_user_sgpr_kernarg_preload_offset 0
		.amdhsa_user_sgpr_private_segment_size 0
		.amdhsa_uses_dynamic_stack 0
		.amdhsa_system_sgpr_private_segment_wavefront_offset 0
		.amdhsa_system_sgpr_workgroup_id_x 1
		.amdhsa_system_sgpr_workgroup_id_y 0
		.amdhsa_system_sgpr_workgroup_id_z 0
		.amdhsa_system_sgpr_workgroup_info 0
		.amdhsa_system_vgpr_workitem_id 0
		.amdhsa_next_free_vgpr 1
		.amdhsa_next_free_sgpr 0
		.amdhsa_accum_offset 4
		.amdhsa_reserve_vcc 0
		.amdhsa_reserve_flat_scratch 0
		.amdhsa_float_round_mode_32 0
		.amdhsa_float_round_mode_16_64 0
		.amdhsa_float_denorm_mode_32 3
		.amdhsa_float_denorm_mode_16_64 3
		.amdhsa_dx10_clamp 1
		.amdhsa_ieee_mode 1
		.amdhsa_fp16_overflow 0
		.amdhsa_tg_split 0
		.amdhsa_exception_fp_ieee_invalid_op 0
		.amdhsa_exception_fp_denorm_src 0
		.amdhsa_exception_fp_ieee_div_zero 0
		.amdhsa_exception_fp_ieee_overflow 0
		.amdhsa_exception_fp_ieee_underflow 0
		.amdhsa_exception_fp_ieee_inexact 0
		.amdhsa_exception_int_div_zero 0
	.end_amdhsa_kernel
	.section	.text._ZN7rocprim17ROCPRIM_400000_NS6detail17trampoline_kernelINS0_14default_configENS1_25partition_config_selectorILNS1_17partition_subalgoE1EtNS0_10empty_typeEbEEZZNS1_14partition_implILS5_1ELb0ES3_jN6thrust23THRUST_200600_302600_NS6detail15normal_iteratorINSA_10device_ptrItEEEEPS6_NSA_18transform_iteratorI7is_evenItESF_NSA_11use_defaultESK_EENS0_5tupleIJSF_NSA_16discard_iteratorISK_EEEEENSM_IJSG_SG_EEES6_PlJS6_EEE10hipError_tPvRmT3_T4_T5_T6_T7_T9_mT8_P12ihipStream_tbDpT10_ENKUlT_T0_E_clISt17integral_constantIbLb1EES1B_EEDaS16_S17_EUlS16_E_NS1_11comp_targetILNS1_3genE8ELNS1_11target_archE1030ELNS1_3gpuE2ELNS1_3repE0EEENS1_30default_config_static_selectorELNS0_4arch9wavefront6targetE1EEEvT1_,"axG",@progbits,_ZN7rocprim17ROCPRIM_400000_NS6detail17trampoline_kernelINS0_14default_configENS1_25partition_config_selectorILNS1_17partition_subalgoE1EtNS0_10empty_typeEbEEZZNS1_14partition_implILS5_1ELb0ES3_jN6thrust23THRUST_200600_302600_NS6detail15normal_iteratorINSA_10device_ptrItEEEEPS6_NSA_18transform_iteratorI7is_evenItESF_NSA_11use_defaultESK_EENS0_5tupleIJSF_NSA_16discard_iteratorISK_EEEEENSM_IJSG_SG_EEES6_PlJS6_EEE10hipError_tPvRmT3_T4_T5_T6_T7_T9_mT8_P12ihipStream_tbDpT10_ENKUlT_T0_E_clISt17integral_constantIbLb1EES1B_EEDaS16_S17_EUlS16_E_NS1_11comp_targetILNS1_3genE8ELNS1_11target_archE1030ELNS1_3gpuE2ELNS1_3repE0EEENS1_30default_config_static_selectorELNS0_4arch9wavefront6targetE1EEEvT1_,comdat
.Lfunc_end3114:
	.size	_ZN7rocprim17ROCPRIM_400000_NS6detail17trampoline_kernelINS0_14default_configENS1_25partition_config_selectorILNS1_17partition_subalgoE1EtNS0_10empty_typeEbEEZZNS1_14partition_implILS5_1ELb0ES3_jN6thrust23THRUST_200600_302600_NS6detail15normal_iteratorINSA_10device_ptrItEEEEPS6_NSA_18transform_iteratorI7is_evenItESF_NSA_11use_defaultESK_EENS0_5tupleIJSF_NSA_16discard_iteratorISK_EEEEENSM_IJSG_SG_EEES6_PlJS6_EEE10hipError_tPvRmT3_T4_T5_T6_T7_T9_mT8_P12ihipStream_tbDpT10_ENKUlT_T0_E_clISt17integral_constantIbLb1EES1B_EEDaS16_S17_EUlS16_E_NS1_11comp_targetILNS1_3genE8ELNS1_11target_archE1030ELNS1_3gpuE2ELNS1_3repE0EEENS1_30default_config_static_selectorELNS0_4arch9wavefront6targetE1EEEvT1_, .Lfunc_end3114-_ZN7rocprim17ROCPRIM_400000_NS6detail17trampoline_kernelINS0_14default_configENS1_25partition_config_selectorILNS1_17partition_subalgoE1EtNS0_10empty_typeEbEEZZNS1_14partition_implILS5_1ELb0ES3_jN6thrust23THRUST_200600_302600_NS6detail15normal_iteratorINSA_10device_ptrItEEEEPS6_NSA_18transform_iteratorI7is_evenItESF_NSA_11use_defaultESK_EENS0_5tupleIJSF_NSA_16discard_iteratorISK_EEEEENSM_IJSG_SG_EEES6_PlJS6_EEE10hipError_tPvRmT3_T4_T5_T6_T7_T9_mT8_P12ihipStream_tbDpT10_ENKUlT_T0_E_clISt17integral_constantIbLb1EES1B_EEDaS16_S17_EUlS16_E_NS1_11comp_targetILNS1_3genE8ELNS1_11target_archE1030ELNS1_3gpuE2ELNS1_3repE0EEENS1_30default_config_static_selectorELNS0_4arch9wavefront6targetE1EEEvT1_
                                        ; -- End function
	.section	.AMDGPU.csdata,"",@progbits
; Kernel info:
; codeLenInByte = 0
; NumSgprs: 4
; NumVgprs: 0
; NumAgprs: 0
; TotalNumVgprs: 0
; ScratchSize: 0
; MemoryBound: 0
; FloatMode: 240
; IeeeMode: 1
; LDSByteSize: 0 bytes/workgroup (compile time only)
; SGPRBlocks: 0
; VGPRBlocks: 0
; NumSGPRsForWavesPerEU: 4
; NumVGPRsForWavesPerEU: 1
; AccumOffset: 4
; Occupancy: 8
; WaveLimiterHint : 0
; COMPUTE_PGM_RSRC2:SCRATCH_EN: 0
; COMPUTE_PGM_RSRC2:USER_SGPR: 6
; COMPUTE_PGM_RSRC2:TRAP_HANDLER: 0
; COMPUTE_PGM_RSRC2:TGID_X_EN: 1
; COMPUTE_PGM_RSRC2:TGID_Y_EN: 0
; COMPUTE_PGM_RSRC2:TGID_Z_EN: 0
; COMPUTE_PGM_RSRC2:TIDIG_COMP_CNT: 0
; COMPUTE_PGM_RSRC3_GFX90A:ACCUM_OFFSET: 0
; COMPUTE_PGM_RSRC3_GFX90A:TG_SPLIT: 0
	.section	.text._ZN7rocprim17ROCPRIM_400000_NS6detail17trampoline_kernelINS0_14default_configENS1_25partition_config_selectorILNS1_17partition_subalgoE1EtNS0_10empty_typeEbEEZZNS1_14partition_implILS5_1ELb0ES3_jN6thrust23THRUST_200600_302600_NS6detail15normal_iteratorINSA_10device_ptrItEEEEPS6_NSA_18transform_iteratorI7is_evenItESF_NSA_11use_defaultESK_EENS0_5tupleIJSF_NSA_16discard_iteratorISK_EEEEENSM_IJSG_SG_EEES6_PlJS6_EEE10hipError_tPvRmT3_T4_T5_T6_T7_T9_mT8_P12ihipStream_tbDpT10_ENKUlT_T0_E_clISt17integral_constantIbLb1EES1A_IbLb0EEEEDaS16_S17_EUlS16_E_NS1_11comp_targetILNS1_3genE0ELNS1_11target_archE4294967295ELNS1_3gpuE0ELNS1_3repE0EEENS1_30default_config_static_selectorELNS0_4arch9wavefront6targetE1EEEvT1_,"axG",@progbits,_ZN7rocprim17ROCPRIM_400000_NS6detail17trampoline_kernelINS0_14default_configENS1_25partition_config_selectorILNS1_17partition_subalgoE1EtNS0_10empty_typeEbEEZZNS1_14partition_implILS5_1ELb0ES3_jN6thrust23THRUST_200600_302600_NS6detail15normal_iteratorINSA_10device_ptrItEEEEPS6_NSA_18transform_iteratorI7is_evenItESF_NSA_11use_defaultESK_EENS0_5tupleIJSF_NSA_16discard_iteratorISK_EEEEENSM_IJSG_SG_EEES6_PlJS6_EEE10hipError_tPvRmT3_T4_T5_T6_T7_T9_mT8_P12ihipStream_tbDpT10_ENKUlT_T0_E_clISt17integral_constantIbLb1EES1A_IbLb0EEEEDaS16_S17_EUlS16_E_NS1_11comp_targetILNS1_3genE0ELNS1_11target_archE4294967295ELNS1_3gpuE0ELNS1_3repE0EEENS1_30default_config_static_selectorELNS0_4arch9wavefront6targetE1EEEvT1_,comdat
	.protected	_ZN7rocprim17ROCPRIM_400000_NS6detail17trampoline_kernelINS0_14default_configENS1_25partition_config_selectorILNS1_17partition_subalgoE1EtNS0_10empty_typeEbEEZZNS1_14partition_implILS5_1ELb0ES3_jN6thrust23THRUST_200600_302600_NS6detail15normal_iteratorINSA_10device_ptrItEEEEPS6_NSA_18transform_iteratorI7is_evenItESF_NSA_11use_defaultESK_EENS0_5tupleIJSF_NSA_16discard_iteratorISK_EEEEENSM_IJSG_SG_EEES6_PlJS6_EEE10hipError_tPvRmT3_T4_T5_T6_T7_T9_mT8_P12ihipStream_tbDpT10_ENKUlT_T0_E_clISt17integral_constantIbLb1EES1A_IbLb0EEEEDaS16_S17_EUlS16_E_NS1_11comp_targetILNS1_3genE0ELNS1_11target_archE4294967295ELNS1_3gpuE0ELNS1_3repE0EEENS1_30default_config_static_selectorELNS0_4arch9wavefront6targetE1EEEvT1_ ; -- Begin function _ZN7rocprim17ROCPRIM_400000_NS6detail17trampoline_kernelINS0_14default_configENS1_25partition_config_selectorILNS1_17partition_subalgoE1EtNS0_10empty_typeEbEEZZNS1_14partition_implILS5_1ELb0ES3_jN6thrust23THRUST_200600_302600_NS6detail15normal_iteratorINSA_10device_ptrItEEEEPS6_NSA_18transform_iteratorI7is_evenItESF_NSA_11use_defaultESK_EENS0_5tupleIJSF_NSA_16discard_iteratorISK_EEEEENSM_IJSG_SG_EEES6_PlJS6_EEE10hipError_tPvRmT3_T4_T5_T6_T7_T9_mT8_P12ihipStream_tbDpT10_ENKUlT_T0_E_clISt17integral_constantIbLb1EES1A_IbLb0EEEEDaS16_S17_EUlS16_E_NS1_11comp_targetILNS1_3genE0ELNS1_11target_archE4294967295ELNS1_3gpuE0ELNS1_3repE0EEENS1_30default_config_static_selectorELNS0_4arch9wavefront6targetE1EEEvT1_
	.globl	_ZN7rocprim17ROCPRIM_400000_NS6detail17trampoline_kernelINS0_14default_configENS1_25partition_config_selectorILNS1_17partition_subalgoE1EtNS0_10empty_typeEbEEZZNS1_14partition_implILS5_1ELb0ES3_jN6thrust23THRUST_200600_302600_NS6detail15normal_iteratorINSA_10device_ptrItEEEEPS6_NSA_18transform_iteratorI7is_evenItESF_NSA_11use_defaultESK_EENS0_5tupleIJSF_NSA_16discard_iteratorISK_EEEEENSM_IJSG_SG_EEES6_PlJS6_EEE10hipError_tPvRmT3_T4_T5_T6_T7_T9_mT8_P12ihipStream_tbDpT10_ENKUlT_T0_E_clISt17integral_constantIbLb1EES1A_IbLb0EEEEDaS16_S17_EUlS16_E_NS1_11comp_targetILNS1_3genE0ELNS1_11target_archE4294967295ELNS1_3gpuE0ELNS1_3repE0EEENS1_30default_config_static_selectorELNS0_4arch9wavefront6targetE1EEEvT1_
	.p2align	8
	.type	_ZN7rocprim17ROCPRIM_400000_NS6detail17trampoline_kernelINS0_14default_configENS1_25partition_config_selectorILNS1_17partition_subalgoE1EtNS0_10empty_typeEbEEZZNS1_14partition_implILS5_1ELb0ES3_jN6thrust23THRUST_200600_302600_NS6detail15normal_iteratorINSA_10device_ptrItEEEEPS6_NSA_18transform_iteratorI7is_evenItESF_NSA_11use_defaultESK_EENS0_5tupleIJSF_NSA_16discard_iteratorISK_EEEEENSM_IJSG_SG_EEES6_PlJS6_EEE10hipError_tPvRmT3_T4_T5_T6_T7_T9_mT8_P12ihipStream_tbDpT10_ENKUlT_T0_E_clISt17integral_constantIbLb1EES1A_IbLb0EEEEDaS16_S17_EUlS16_E_NS1_11comp_targetILNS1_3genE0ELNS1_11target_archE4294967295ELNS1_3gpuE0ELNS1_3repE0EEENS1_30default_config_static_selectorELNS0_4arch9wavefront6targetE1EEEvT1_,@function
_ZN7rocprim17ROCPRIM_400000_NS6detail17trampoline_kernelINS0_14default_configENS1_25partition_config_selectorILNS1_17partition_subalgoE1EtNS0_10empty_typeEbEEZZNS1_14partition_implILS5_1ELb0ES3_jN6thrust23THRUST_200600_302600_NS6detail15normal_iteratorINSA_10device_ptrItEEEEPS6_NSA_18transform_iteratorI7is_evenItESF_NSA_11use_defaultESK_EENS0_5tupleIJSF_NSA_16discard_iteratorISK_EEEEENSM_IJSG_SG_EEES6_PlJS6_EEE10hipError_tPvRmT3_T4_T5_T6_T7_T9_mT8_P12ihipStream_tbDpT10_ENKUlT_T0_E_clISt17integral_constantIbLb1EES1A_IbLb0EEEEDaS16_S17_EUlS16_E_NS1_11comp_targetILNS1_3genE0ELNS1_11target_archE4294967295ELNS1_3gpuE0ELNS1_3repE0EEENS1_30default_config_static_selectorELNS0_4arch9wavefront6targetE1EEEvT1_: ; @_ZN7rocprim17ROCPRIM_400000_NS6detail17trampoline_kernelINS0_14default_configENS1_25partition_config_selectorILNS1_17partition_subalgoE1EtNS0_10empty_typeEbEEZZNS1_14partition_implILS5_1ELb0ES3_jN6thrust23THRUST_200600_302600_NS6detail15normal_iteratorINSA_10device_ptrItEEEEPS6_NSA_18transform_iteratorI7is_evenItESF_NSA_11use_defaultESK_EENS0_5tupleIJSF_NSA_16discard_iteratorISK_EEEEENSM_IJSG_SG_EEES6_PlJS6_EEE10hipError_tPvRmT3_T4_T5_T6_T7_T9_mT8_P12ihipStream_tbDpT10_ENKUlT_T0_E_clISt17integral_constantIbLb1EES1A_IbLb0EEEEDaS16_S17_EUlS16_E_NS1_11comp_targetILNS1_3genE0ELNS1_11target_archE4294967295ELNS1_3gpuE0ELNS1_3repE0EEENS1_30default_config_static_selectorELNS0_4arch9wavefront6targetE1EEEvT1_
; %bb.0:
	.section	.rodata,"a",@progbits
	.p2align	6, 0x0
	.amdhsa_kernel _ZN7rocprim17ROCPRIM_400000_NS6detail17trampoline_kernelINS0_14default_configENS1_25partition_config_selectorILNS1_17partition_subalgoE1EtNS0_10empty_typeEbEEZZNS1_14partition_implILS5_1ELb0ES3_jN6thrust23THRUST_200600_302600_NS6detail15normal_iteratorINSA_10device_ptrItEEEEPS6_NSA_18transform_iteratorI7is_evenItESF_NSA_11use_defaultESK_EENS0_5tupleIJSF_NSA_16discard_iteratorISK_EEEEENSM_IJSG_SG_EEES6_PlJS6_EEE10hipError_tPvRmT3_T4_T5_T6_T7_T9_mT8_P12ihipStream_tbDpT10_ENKUlT_T0_E_clISt17integral_constantIbLb1EES1A_IbLb0EEEEDaS16_S17_EUlS16_E_NS1_11comp_targetILNS1_3genE0ELNS1_11target_archE4294967295ELNS1_3gpuE0ELNS1_3repE0EEENS1_30default_config_static_selectorELNS0_4arch9wavefront6targetE1EEEvT1_
		.amdhsa_group_segment_fixed_size 0
		.amdhsa_private_segment_fixed_size 0
		.amdhsa_kernarg_size 136
		.amdhsa_user_sgpr_count 6
		.amdhsa_user_sgpr_private_segment_buffer 1
		.amdhsa_user_sgpr_dispatch_ptr 0
		.amdhsa_user_sgpr_queue_ptr 0
		.amdhsa_user_sgpr_kernarg_segment_ptr 1
		.amdhsa_user_sgpr_dispatch_id 0
		.amdhsa_user_sgpr_flat_scratch_init 0
		.amdhsa_user_sgpr_kernarg_preload_length 0
		.amdhsa_user_sgpr_kernarg_preload_offset 0
		.amdhsa_user_sgpr_private_segment_size 0
		.amdhsa_uses_dynamic_stack 0
		.amdhsa_system_sgpr_private_segment_wavefront_offset 0
		.amdhsa_system_sgpr_workgroup_id_x 1
		.amdhsa_system_sgpr_workgroup_id_y 0
		.amdhsa_system_sgpr_workgroup_id_z 0
		.amdhsa_system_sgpr_workgroup_info 0
		.amdhsa_system_vgpr_workitem_id 0
		.amdhsa_next_free_vgpr 1
		.amdhsa_next_free_sgpr 0
		.amdhsa_accum_offset 4
		.amdhsa_reserve_vcc 0
		.amdhsa_reserve_flat_scratch 0
		.amdhsa_float_round_mode_32 0
		.amdhsa_float_round_mode_16_64 0
		.amdhsa_float_denorm_mode_32 3
		.amdhsa_float_denorm_mode_16_64 3
		.amdhsa_dx10_clamp 1
		.amdhsa_ieee_mode 1
		.amdhsa_fp16_overflow 0
		.amdhsa_tg_split 0
		.amdhsa_exception_fp_ieee_invalid_op 0
		.amdhsa_exception_fp_denorm_src 0
		.amdhsa_exception_fp_ieee_div_zero 0
		.amdhsa_exception_fp_ieee_overflow 0
		.amdhsa_exception_fp_ieee_underflow 0
		.amdhsa_exception_fp_ieee_inexact 0
		.amdhsa_exception_int_div_zero 0
	.end_amdhsa_kernel
	.section	.text._ZN7rocprim17ROCPRIM_400000_NS6detail17trampoline_kernelINS0_14default_configENS1_25partition_config_selectorILNS1_17partition_subalgoE1EtNS0_10empty_typeEbEEZZNS1_14partition_implILS5_1ELb0ES3_jN6thrust23THRUST_200600_302600_NS6detail15normal_iteratorINSA_10device_ptrItEEEEPS6_NSA_18transform_iteratorI7is_evenItESF_NSA_11use_defaultESK_EENS0_5tupleIJSF_NSA_16discard_iteratorISK_EEEEENSM_IJSG_SG_EEES6_PlJS6_EEE10hipError_tPvRmT3_T4_T5_T6_T7_T9_mT8_P12ihipStream_tbDpT10_ENKUlT_T0_E_clISt17integral_constantIbLb1EES1A_IbLb0EEEEDaS16_S17_EUlS16_E_NS1_11comp_targetILNS1_3genE0ELNS1_11target_archE4294967295ELNS1_3gpuE0ELNS1_3repE0EEENS1_30default_config_static_selectorELNS0_4arch9wavefront6targetE1EEEvT1_,"axG",@progbits,_ZN7rocprim17ROCPRIM_400000_NS6detail17trampoline_kernelINS0_14default_configENS1_25partition_config_selectorILNS1_17partition_subalgoE1EtNS0_10empty_typeEbEEZZNS1_14partition_implILS5_1ELb0ES3_jN6thrust23THRUST_200600_302600_NS6detail15normal_iteratorINSA_10device_ptrItEEEEPS6_NSA_18transform_iteratorI7is_evenItESF_NSA_11use_defaultESK_EENS0_5tupleIJSF_NSA_16discard_iteratorISK_EEEEENSM_IJSG_SG_EEES6_PlJS6_EEE10hipError_tPvRmT3_T4_T5_T6_T7_T9_mT8_P12ihipStream_tbDpT10_ENKUlT_T0_E_clISt17integral_constantIbLb1EES1A_IbLb0EEEEDaS16_S17_EUlS16_E_NS1_11comp_targetILNS1_3genE0ELNS1_11target_archE4294967295ELNS1_3gpuE0ELNS1_3repE0EEENS1_30default_config_static_selectorELNS0_4arch9wavefront6targetE1EEEvT1_,comdat
.Lfunc_end3115:
	.size	_ZN7rocprim17ROCPRIM_400000_NS6detail17trampoline_kernelINS0_14default_configENS1_25partition_config_selectorILNS1_17partition_subalgoE1EtNS0_10empty_typeEbEEZZNS1_14partition_implILS5_1ELb0ES3_jN6thrust23THRUST_200600_302600_NS6detail15normal_iteratorINSA_10device_ptrItEEEEPS6_NSA_18transform_iteratorI7is_evenItESF_NSA_11use_defaultESK_EENS0_5tupleIJSF_NSA_16discard_iteratorISK_EEEEENSM_IJSG_SG_EEES6_PlJS6_EEE10hipError_tPvRmT3_T4_T5_T6_T7_T9_mT8_P12ihipStream_tbDpT10_ENKUlT_T0_E_clISt17integral_constantIbLb1EES1A_IbLb0EEEEDaS16_S17_EUlS16_E_NS1_11comp_targetILNS1_3genE0ELNS1_11target_archE4294967295ELNS1_3gpuE0ELNS1_3repE0EEENS1_30default_config_static_selectorELNS0_4arch9wavefront6targetE1EEEvT1_, .Lfunc_end3115-_ZN7rocprim17ROCPRIM_400000_NS6detail17trampoline_kernelINS0_14default_configENS1_25partition_config_selectorILNS1_17partition_subalgoE1EtNS0_10empty_typeEbEEZZNS1_14partition_implILS5_1ELb0ES3_jN6thrust23THRUST_200600_302600_NS6detail15normal_iteratorINSA_10device_ptrItEEEEPS6_NSA_18transform_iteratorI7is_evenItESF_NSA_11use_defaultESK_EENS0_5tupleIJSF_NSA_16discard_iteratorISK_EEEEENSM_IJSG_SG_EEES6_PlJS6_EEE10hipError_tPvRmT3_T4_T5_T6_T7_T9_mT8_P12ihipStream_tbDpT10_ENKUlT_T0_E_clISt17integral_constantIbLb1EES1A_IbLb0EEEEDaS16_S17_EUlS16_E_NS1_11comp_targetILNS1_3genE0ELNS1_11target_archE4294967295ELNS1_3gpuE0ELNS1_3repE0EEENS1_30default_config_static_selectorELNS0_4arch9wavefront6targetE1EEEvT1_
                                        ; -- End function
	.section	.AMDGPU.csdata,"",@progbits
; Kernel info:
; codeLenInByte = 0
; NumSgprs: 4
; NumVgprs: 0
; NumAgprs: 0
; TotalNumVgprs: 0
; ScratchSize: 0
; MemoryBound: 0
; FloatMode: 240
; IeeeMode: 1
; LDSByteSize: 0 bytes/workgroup (compile time only)
; SGPRBlocks: 0
; VGPRBlocks: 0
; NumSGPRsForWavesPerEU: 4
; NumVGPRsForWavesPerEU: 1
; AccumOffset: 4
; Occupancy: 8
; WaveLimiterHint : 0
; COMPUTE_PGM_RSRC2:SCRATCH_EN: 0
; COMPUTE_PGM_RSRC2:USER_SGPR: 6
; COMPUTE_PGM_RSRC2:TRAP_HANDLER: 0
; COMPUTE_PGM_RSRC2:TGID_X_EN: 1
; COMPUTE_PGM_RSRC2:TGID_Y_EN: 0
; COMPUTE_PGM_RSRC2:TGID_Z_EN: 0
; COMPUTE_PGM_RSRC2:TIDIG_COMP_CNT: 0
; COMPUTE_PGM_RSRC3_GFX90A:ACCUM_OFFSET: 0
; COMPUTE_PGM_RSRC3_GFX90A:TG_SPLIT: 0
	.section	.text._ZN7rocprim17ROCPRIM_400000_NS6detail17trampoline_kernelINS0_14default_configENS1_25partition_config_selectorILNS1_17partition_subalgoE1EtNS0_10empty_typeEbEEZZNS1_14partition_implILS5_1ELb0ES3_jN6thrust23THRUST_200600_302600_NS6detail15normal_iteratorINSA_10device_ptrItEEEEPS6_NSA_18transform_iteratorI7is_evenItESF_NSA_11use_defaultESK_EENS0_5tupleIJSF_NSA_16discard_iteratorISK_EEEEENSM_IJSG_SG_EEES6_PlJS6_EEE10hipError_tPvRmT3_T4_T5_T6_T7_T9_mT8_P12ihipStream_tbDpT10_ENKUlT_T0_E_clISt17integral_constantIbLb1EES1A_IbLb0EEEEDaS16_S17_EUlS16_E_NS1_11comp_targetILNS1_3genE5ELNS1_11target_archE942ELNS1_3gpuE9ELNS1_3repE0EEENS1_30default_config_static_selectorELNS0_4arch9wavefront6targetE1EEEvT1_,"axG",@progbits,_ZN7rocprim17ROCPRIM_400000_NS6detail17trampoline_kernelINS0_14default_configENS1_25partition_config_selectorILNS1_17partition_subalgoE1EtNS0_10empty_typeEbEEZZNS1_14partition_implILS5_1ELb0ES3_jN6thrust23THRUST_200600_302600_NS6detail15normal_iteratorINSA_10device_ptrItEEEEPS6_NSA_18transform_iteratorI7is_evenItESF_NSA_11use_defaultESK_EENS0_5tupleIJSF_NSA_16discard_iteratorISK_EEEEENSM_IJSG_SG_EEES6_PlJS6_EEE10hipError_tPvRmT3_T4_T5_T6_T7_T9_mT8_P12ihipStream_tbDpT10_ENKUlT_T0_E_clISt17integral_constantIbLb1EES1A_IbLb0EEEEDaS16_S17_EUlS16_E_NS1_11comp_targetILNS1_3genE5ELNS1_11target_archE942ELNS1_3gpuE9ELNS1_3repE0EEENS1_30default_config_static_selectorELNS0_4arch9wavefront6targetE1EEEvT1_,comdat
	.protected	_ZN7rocprim17ROCPRIM_400000_NS6detail17trampoline_kernelINS0_14default_configENS1_25partition_config_selectorILNS1_17partition_subalgoE1EtNS0_10empty_typeEbEEZZNS1_14partition_implILS5_1ELb0ES3_jN6thrust23THRUST_200600_302600_NS6detail15normal_iteratorINSA_10device_ptrItEEEEPS6_NSA_18transform_iteratorI7is_evenItESF_NSA_11use_defaultESK_EENS0_5tupleIJSF_NSA_16discard_iteratorISK_EEEEENSM_IJSG_SG_EEES6_PlJS6_EEE10hipError_tPvRmT3_T4_T5_T6_T7_T9_mT8_P12ihipStream_tbDpT10_ENKUlT_T0_E_clISt17integral_constantIbLb1EES1A_IbLb0EEEEDaS16_S17_EUlS16_E_NS1_11comp_targetILNS1_3genE5ELNS1_11target_archE942ELNS1_3gpuE9ELNS1_3repE0EEENS1_30default_config_static_selectorELNS0_4arch9wavefront6targetE1EEEvT1_ ; -- Begin function _ZN7rocprim17ROCPRIM_400000_NS6detail17trampoline_kernelINS0_14default_configENS1_25partition_config_selectorILNS1_17partition_subalgoE1EtNS0_10empty_typeEbEEZZNS1_14partition_implILS5_1ELb0ES3_jN6thrust23THRUST_200600_302600_NS6detail15normal_iteratorINSA_10device_ptrItEEEEPS6_NSA_18transform_iteratorI7is_evenItESF_NSA_11use_defaultESK_EENS0_5tupleIJSF_NSA_16discard_iteratorISK_EEEEENSM_IJSG_SG_EEES6_PlJS6_EEE10hipError_tPvRmT3_T4_T5_T6_T7_T9_mT8_P12ihipStream_tbDpT10_ENKUlT_T0_E_clISt17integral_constantIbLb1EES1A_IbLb0EEEEDaS16_S17_EUlS16_E_NS1_11comp_targetILNS1_3genE5ELNS1_11target_archE942ELNS1_3gpuE9ELNS1_3repE0EEENS1_30default_config_static_selectorELNS0_4arch9wavefront6targetE1EEEvT1_
	.globl	_ZN7rocprim17ROCPRIM_400000_NS6detail17trampoline_kernelINS0_14default_configENS1_25partition_config_selectorILNS1_17partition_subalgoE1EtNS0_10empty_typeEbEEZZNS1_14partition_implILS5_1ELb0ES3_jN6thrust23THRUST_200600_302600_NS6detail15normal_iteratorINSA_10device_ptrItEEEEPS6_NSA_18transform_iteratorI7is_evenItESF_NSA_11use_defaultESK_EENS0_5tupleIJSF_NSA_16discard_iteratorISK_EEEEENSM_IJSG_SG_EEES6_PlJS6_EEE10hipError_tPvRmT3_T4_T5_T6_T7_T9_mT8_P12ihipStream_tbDpT10_ENKUlT_T0_E_clISt17integral_constantIbLb1EES1A_IbLb0EEEEDaS16_S17_EUlS16_E_NS1_11comp_targetILNS1_3genE5ELNS1_11target_archE942ELNS1_3gpuE9ELNS1_3repE0EEENS1_30default_config_static_selectorELNS0_4arch9wavefront6targetE1EEEvT1_
	.p2align	8
	.type	_ZN7rocprim17ROCPRIM_400000_NS6detail17trampoline_kernelINS0_14default_configENS1_25partition_config_selectorILNS1_17partition_subalgoE1EtNS0_10empty_typeEbEEZZNS1_14partition_implILS5_1ELb0ES3_jN6thrust23THRUST_200600_302600_NS6detail15normal_iteratorINSA_10device_ptrItEEEEPS6_NSA_18transform_iteratorI7is_evenItESF_NSA_11use_defaultESK_EENS0_5tupleIJSF_NSA_16discard_iteratorISK_EEEEENSM_IJSG_SG_EEES6_PlJS6_EEE10hipError_tPvRmT3_T4_T5_T6_T7_T9_mT8_P12ihipStream_tbDpT10_ENKUlT_T0_E_clISt17integral_constantIbLb1EES1A_IbLb0EEEEDaS16_S17_EUlS16_E_NS1_11comp_targetILNS1_3genE5ELNS1_11target_archE942ELNS1_3gpuE9ELNS1_3repE0EEENS1_30default_config_static_selectorELNS0_4arch9wavefront6targetE1EEEvT1_,@function
_ZN7rocprim17ROCPRIM_400000_NS6detail17trampoline_kernelINS0_14default_configENS1_25partition_config_selectorILNS1_17partition_subalgoE1EtNS0_10empty_typeEbEEZZNS1_14partition_implILS5_1ELb0ES3_jN6thrust23THRUST_200600_302600_NS6detail15normal_iteratorINSA_10device_ptrItEEEEPS6_NSA_18transform_iteratorI7is_evenItESF_NSA_11use_defaultESK_EENS0_5tupleIJSF_NSA_16discard_iteratorISK_EEEEENSM_IJSG_SG_EEES6_PlJS6_EEE10hipError_tPvRmT3_T4_T5_T6_T7_T9_mT8_P12ihipStream_tbDpT10_ENKUlT_T0_E_clISt17integral_constantIbLb1EES1A_IbLb0EEEEDaS16_S17_EUlS16_E_NS1_11comp_targetILNS1_3genE5ELNS1_11target_archE942ELNS1_3gpuE9ELNS1_3repE0EEENS1_30default_config_static_selectorELNS0_4arch9wavefront6targetE1EEEvT1_: ; @_ZN7rocprim17ROCPRIM_400000_NS6detail17trampoline_kernelINS0_14default_configENS1_25partition_config_selectorILNS1_17partition_subalgoE1EtNS0_10empty_typeEbEEZZNS1_14partition_implILS5_1ELb0ES3_jN6thrust23THRUST_200600_302600_NS6detail15normal_iteratorINSA_10device_ptrItEEEEPS6_NSA_18transform_iteratorI7is_evenItESF_NSA_11use_defaultESK_EENS0_5tupleIJSF_NSA_16discard_iteratorISK_EEEEENSM_IJSG_SG_EEES6_PlJS6_EEE10hipError_tPvRmT3_T4_T5_T6_T7_T9_mT8_P12ihipStream_tbDpT10_ENKUlT_T0_E_clISt17integral_constantIbLb1EES1A_IbLb0EEEEDaS16_S17_EUlS16_E_NS1_11comp_targetILNS1_3genE5ELNS1_11target_archE942ELNS1_3gpuE9ELNS1_3repE0EEENS1_30default_config_static_selectorELNS0_4arch9wavefront6targetE1EEEvT1_
; %bb.0:
	.section	.rodata,"a",@progbits
	.p2align	6, 0x0
	.amdhsa_kernel _ZN7rocprim17ROCPRIM_400000_NS6detail17trampoline_kernelINS0_14default_configENS1_25partition_config_selectorILNS1_17partition_subalgoE1EtNS0_10empty_typeEbEEZZNS1_14partition_implILS5_1ELb0ES3_jN6thrust23THRUST_200600_302600_NS6detail15normal_iteratorINSA_10device_ptrItEEEEPS6_NSA_18transform_iteratorI7is_evenItESF_NSA_11use_defaultESK_EENS0_5tupleIJSF_NSA_16discard_iteratorISK_EEEEENSM_IJSG_SG_EEES6_PlJS6_EEE10hipError_tPvRmT3_T4_T5_T6_T7_T9_mT8_P12ihipStream_tbDpT10_ENKUlT_T0_E_clISt17integral_constantIbLb1EES1A_IbLb0EEEEDaS16_S17_EUlS16_E_NS1_11comp_targetILNS1_3genE5ELNS1_11target_archE942ELNS1_3gpuE9ELNS1_3repE0EEENS1_30default_config_static_selectorELNS0_4arch9wavefront6targetE1EEEvT1_
		.amdhsa_group_segment_fixed_size 0
		.amdhsa_private_segment_fixed_size 0
		.amdhsa_kernarg_size 136
		.amdhsa_user_sgpr_count 6
		.amdhsa_user_sgpr_private_segment_buffer 1
		.amdhsa_user_sgpr_dispatch_ptr 0
		.amdhsa_user_sgpr_queue_ptr 0
		.amdhsa_user_sgpr_kernarg_segment_ptr 1
		.amdhsa_user_sgpr_dispatch_id 0
		.amdhsa_user_sgpr_flat_scratch_init 0
		.amdhsa_user_sgpr_kernarg_preload_length 0
		.amdhsa_user_sgpr_kernarg_preload_offset 0
		.amdhsa_user_sgpr_private_segment_size 0
		.amdhsa_uses_dynamic_stack 0
		.amdhsa_system_sgpr_private_segment_wavefront_offset 0
		.amdhsa_system_sgpr_workgroup_id_x 1
		.amdhsa_system_sgpr_workgroup_id_y 0
		.amdhsa_system_sgpr_workgroup_id_z 0
		.amdhsa_system_sgpr_workgroup_info 0
		.amdhsa_system_vgpr_workitem_id 0
		.amdhsa_next_free_vgpr 1
		.amdhsa_next_free_sgpr 0
		.amdhsa_accum_offset 4
		.amdhsa_reserve_vcc 0
		.amdhsa_reserve_flat_scratch 0
		.amdhsa_float_round_mode_32 0
		.amdhsa_float_round_mode_16_64 0
		.amdhsa_float_denorm_mode_32 3
		.amdhsa_float_denorm_mode_16_64 3
		.amdhsa_dx10_clamp 1
		.amdhsa_ieee_mode 1
		.amdhsa_fp16_overflow 0
		.amdhsa_tg_split 0
		.amdhsa_exception_fp_ieee_invalid_op 0
		.amdhsa_exception_fp_denorm_src 0
		.amdhsa_exception_fp_ieee_div_zero 0
		.amdhsa_exception_fp_ieee_overflow 0
		.amdhsa_exception_fp_ieee_underflow 0
		.amdhsa_exception_fp_ieee_inexact 0
		.amdhsa_exception_int_div_zero 0
	.end_amdhsa_kernel
	.section	.text._ZN7rocprim17ROCPRIM_400000_NS6detail17trampoline_kernelINS0_14default_configENS1_25partition_config_selectorILNS1_17partition_subalgoE1EtNS0_10empty_typeEbEEZZNS1_14partition_implILS5_1ELb0ES3_jN6thrust23THRUST_200600_302600_NS6detail15normal_iteratorINSA_10device_ptrItEEEEPS6_NSA_18transform_iteratorI7is_evenItESF_NSA_11use_defaultESK_EENS0_5tupleIJSF_NSA_16discard_iteratorISK_EEEEENSM_IJSG_SG_EEES6_PlJS6_EEE10hipError_tPvRmT3_T4_T5_T6_T7_T9_mT8_P12ihipStream_tbDpT10_ENKUlT_T0_E_clISt17integral_constantIbLb1EES1A_IbLb0EEEEDaS16_S17_EUlS16_E_NS1_11comp_targetILNS1_3genE5ELNS1_11target_archE942ELNS1_3gpuE9ELNS1_3repE0EEENS1_30default_config_static_selectorELNS0_4arch9wavefront6targetE1EEEvT1_,"axG",@progbits,_ZN7rocprim17ROCPRIM_400000_NS6detail17trampoline_kernelINS0_14default_configENS1_25partition_config_selectorILNS1_17partition_subalgoE1EtNS0_10empty_typeEbEEZZNS1_14partition_implILS5_1ELb0ES3_jN6thrust23THRUST_200600_302600_NS6detail15normal_iteratorINSA_10device_ptrItEEEEPS6_NSA_18transform_iteratorI7is_evenItESF_NSA_11use_defaultESK_EENS0_5tupleIJSF_NSA_16discard_iteratorISK_EEEEENSM_IJSG_SG_EEES6_PlJS6_EEE10hipError_tPvRmT3_T4_T5_T6_T7_T9_mT8_P12ihipStream_tbDpT10_ENKUlT_T0_E_clISt17integral_constantIbLb1EES1A_IbLb0EEEEDaS16_S17_EUlS16_E_NS1_11comp_targetILNS1_3genE5ELNS1_11target_archE942ELNS1_3gpuE9ELNS1_3repE0EEENS1_30default_config_static_selectorELNS0_4arch9wavefront6targetE1EEEvT1_,comdat
.Lfunc_end3116:
	.size	_ZN7rocprim17ROCPRIM_400000_NS6detail17trampoline_kernelINS0_14default_configENS1_25partition_config_selectorILNS1_17partition_subalgoE1EtNS0_10empty_typeEbEEZZNS1_14partition_implILS5_1ELb0ES3_jN6thrust23THRUST_200600_302600_NS6detail15normal_iteratorINSA_10device_ptrItEEEEPS6_NSA_18transform_iteratorI7is_evenItESF_NSA_11use_defaultESK_EENS0_5tupleIJSF_NSA_16discard_iteratorISK_EEEEENSM_IJSG_SG_EEES6_PlJS6_EEE10hipError_tPvRmT3_T4_T5_T6_T7_T9_mT8_P12ihipStream_tbDpT10_ENKUlT_T0_E_clISt17integral_constantIbLb1EES1A_IbLb0EEEEDaS16_S17_EUlS16_E_NS1_11comp_targetILNS1_3genE5ELNS1_11target_archE942ELNS1_3gpuE9ELNS1_3repE0EEENS1_30default_config_static_selectorELNS0_4arch9wavefront6targetE1EEEvT1_, .Lfunc_end3116-_ZN7rocprim17ROCPRIM_400000_NS6detail17trampoline_kernelINS0_14default_configENS1_25partition_config_selectorILNS1_17partition_subalgoE1EtNS0_10empty_typeEbEEZZNS1_14partition_implILS5_1ELb0ES3_jN6thrust23THRUST_200600_302600_NS6detail15normal_iteratorINSA_10device_ptrItEEEEPS6_NSA_18transform_iteratorI7is_evenItESF_NSA_11use_defaultESK_EENS0_5tupleIJSF_NSA_16discard_iteratorISK_EEEEENSM_IJSG_SG_EEES6_PlJS6_EEE10hipError_tPvRmT3_T4_T5_T6_T7_T9_mT8_P12ihipStream_tbDpT10_ENKUlT_T0_E_clISt17integral_constantIbLb1EES1A_IbLb0EEEEDaS16_S17_EUlS16_E_NS1_11comp_targetILNS1_3genE5ELNS1_11target_archE942ELNS1_3gpuE9ELNS1_3repE0EEENS1_30default_config_static_selectorELNS0_4arch9wavefront6targetE1EEEvT1_
                                        ; -- End function
	.section	.AMDGPU.csdata,"",@progbits
; Kernel info:
; codeLenInByte = 0
; NumSgprs: 4
; NumVgprs: 0
; NumAgprs: 0
; TotalNumVgprs: 0
; ScratchSize: 0
; MemoryBound: 0
; FloatMode: 240
; IeeeMode: 1
; LDSByteSize: 0 bytes/workgroup (compile time only)
; SGPRBlocks: 0
; VGPRBlocks: 0
; NumSGPRsForWavesPerEU: 4
; NumVGPRsForWavesPerEU: 1
; AccumOffset: 4
; Occupancy: 8
; WaveLimiterHint : 0
; COMPUTE_PGM_RSRC2:SCRATCH_EN: 0
; COMPUTE_PGM_RSRC2:USER_SGPR: 6
; COMPUTE_PGM_RSRC2:TRAP_HANDLER: 0
; COMPUTE_PGM_RSRC2:TGID_X_EN: 1
; COMPUTE_PGM_RSRC2:TGID_Y_EN: 0
; COMPUTE_PGM_RSRC2:TGID_Z_EN: 0
; COMPUTE_PGM_RSRC2:TIDIG_COMP_CNT: 0
; COMPUTE_PGM_RSRC3_GFX90A:ACCUM_OFFSET: 0
; COMPUTE_PGM_RSRC3_GFX90A:TG_SPLIT: 0
	.section	.text._ZN7rocprim17ROCPRIM_400000_NS6detail17trampoline_kernelINS0_14default_configENS1_25partition_config_selectorILNS1_17partition_subalgoE1EtNS0_10empty_typeEbEEZZNS1_14partition_implILS5_1ELb0ES3_jN6thrust23THRUST_200600_302600_NS6detail15normal_iteratorINSA_10device_ptrItEEEEPS6_NSA_18transform_iteratorI7is_evenItESF_NSA_11use_defaultESK_EENS0_5tupleIJSF_NSA_16discard_iteratorISK_EEEEENSM_IJSG_SG_EEES6_PlJS6_EEE10hipError_tPvRmT3_T4_T5_T6_T7_T9_mT8_P12ihipStream_tbDpT10_ENKUlT_T0_E_clISt17integral_constantIbLb1EES1A_IbLb0EEEEDaS16_S17_EUlS16_E_NS1_11comp_targetILNS1_3genE4ELNS1_11target_archE910ELNS1_3gpuE8ELNS1_3repE0EEENS1_30default_config_static_selectorELNS0_4arch9wavefront6targetE1EEEvT1_,"axG",@progbits,_ZN7rocprim17ROCPRIM_400000_NS6detail17trampoline_kernelINS0_14default_configENS1_25partition_config_selectorILNS1_17partition_subalgoE1EtNS0_10empty_typeEbEEZZNS1_14partition_implILS5_1ELb0ES3_jN6thrust23THRUST_200600_302600_NS6detail15normal_iteratorINSA_10device_ptrItEEEEPS6_NSA_18transform_iteratorI7is_evenItESF_NSA_11use_defaultESK_EENS0_5tupleIJSF_NSA_16discard_iteratorISK_EEEEENSM_IJSG_SG_EEES6_PlJS6_EEE10hipError_tPvRmT3_T4_T5_T6_T7_T9_mT8_P12ihipStream_tbDpT10_ENKUlT_T0_E_clISt17integral_constantIbLb1EES1A_IbLb0EEEEDaS16_S17_EUlS16_E_NS1_11comp_targetILNS1_3genE4ELNS1_11target_archE910ELNS1_3gpuE8ELNS1_3repE0EEENS1_30default_config_static_selectorELNS0_4arch9wavefront6targetE1EEEvT1_,comdat
	.protected	_ZN7rocprim17ROCPRIM_400000_NS6detail17trampoline_kernelINS0_14default_configENS1_25partition_config_selectorILNS1_17partition_subalgoE1EtNS0_10empty_typeEbEEZZNS1_14partition_implILS5_1ELb0ES3_jN6thrust23THRUST_200600_302600_NS6detail15normal_iteratorINSA_10device_ptrItEEEEPS6_NSA_18transform_iteratorI7is_evenItESF_NSA_11use_defaultESK_EENS0_5tupleIJSF_NSA_16discard_iteratorISK_EEEEENSM_IJSG_SG_EEES6_PlJS6_EEE10hipError_tPvRmT3_T4_T5_T6_T7_T9_mT8_P12ihipStream_tbDpT10_ENKUlT_T0_E_clISt17integral_constantIbLb1EES1A_IbLb0EEEEDaS16_S17_EUlS16_E_NS1_11comp_targetILNS1_3genE4ELNS1_11target_archE910ELNS1_3gpuE8ELNS1_3repE0EEENS1_30default_config_static_selectorELNS0_4arch9wavefront6targetE1EEEvT1_ ; -- Begin function _ZN7rocprim17ROCPRIM_400000_NS6detail17trampoline_kernelINS0_14default_configENS1_25partition_config_selectorILNS1_17partition_subalgoE1EtNS0_10empty_typeEbEEZZNS1_14partition_implILS5_1ELb0ES3_jN6thrust23THRUST_200600_302600_NS6detail15normal_iteratorINSA_10device_ptrItEEEEPS6_NSA_18transform_iteratorI7is_evenItESF_NSA_11use_defaultESK_EENS0_5tupleIJSF_NSA_16discard_iteratorISK_EEEEENSM_IJSG_SG_EEES6_PlJS6_EEE10hipError_tPvRmT3_T4_T5_T6_T7_T9_mT8_P12ihipStream_tbDpT10_ENKUlT_T0_E_clISt17integral_constantIbLb1EES1A_IbLb0EEEEDaS16_S17_EUlS16_E_NS1_11comp_targetILNS1_3genE4ELNS1_11target_archE910ELNS1_3gpuE8ELNS1_3repE0EEENS1_30default_config_static_selectorELNS0_4arch9wavefront6targetE1EEEvT1_
	.globl	_ZN7rocprim17ROCPRIM_400000_NS6detail17trampoline_kernelINS0_14default_configENS1_25partition_config_selectorILNS1_17partition_subalgoE1EtNS0_10empty_typeEbEEZZNS1_14partition_implILS5_1ELb0ES3_jN6thrust23THRUST_200600_302600_NS6detail15normal_iteratorINSA_10device_ptrItEEEEPS6_NSA_18transform_iteratorI7is_evenItESF_NSA_11use_defaultESK_EENS0_5tupleIJSF_NSA_16discard_iteratorISK_EEEEENSM_IJSG_SG_EEES6_PlJS6_EEE10hipError_tPvRmT3_T4_T5_T6_T7_T9_mT8_P12ihipStream_tbDpT10_ENKUlT_T0_E_clISt17integral_constantIbLb1EES1A_IbLb0EEEEDaS16_S17_EUlS16_E_NS1_11comp_targetILNS1_3genE4ELNS1_11target_archE910ELNS1_3gpuE8ELNS1_3repE0EEENS1_30default_config_static_selectorELNS0_4arch9wavefront6targetE1EEEvT1_
	.p2align	8
	.type	_ZN7rocprim17ROCPRIM_400000_NS6detail17trampoline_kernelINS0_14default_configENS1_25partition_config_selectorILNS1_17partition_subalgoE1EtNS0_10empty_typeEbEEZZNS1_14partition_implILS5_1ELb0ES3_jN6thrust23THRUST_200600_302600_NS6detail15normal_iteratorINSA_10device_ptrItEEEEPS6_NSA_18transform_iteratorI7is_evenItESF_NSA_11use_defaultESK_EENS0_5tupleIJSF_NSA_16discard_iteratorISK_EEEEENSM_IJSG_SG_EEES6_PlJS6_EEE10hipError_tPvRmT3_T4_T5_T6_T7_T9_mT8_P12ihipStream_tbDpT10_ENKUlT_T0_E_clISt17integral_constantIbLb1EES1A_IbLb0EEEEDaS16_S17_EUlS16_E_NS1_11comp_targetILNS1_3genE4ELNS1_11target_archE910ELNS1_3gpuE8ELNS1_3repE0EEENS1_30default_config_static_selectorELNS0_4arch9wavefront6targetE1EEEvT1_,@function
_ZN7rocprim17ROCPRIM_400000_NS6detail17trampoline_kernelINS0_14default_configENS1_25partition_config_selectorILNS1_17partition_subalgoE1EtNS0_10empty_typeEbEEZZNS1_14partition_implILS5_1ELb0ES3_jN6thrust23THRUST_200600_302600_NS6detail15normal_iteratorINSA_10device_ptrItEEEEPS6_NSA_18transform_iteratorI7is_evenItESF_NSA_11use_defaultESK_EENS0_5tupleIJSF_NSA_16discard_iteratorISK_EEEEENSM_IJSG_SG_EEES6_PlJS6_EEE10hipError_tPvRmT3_T4_T5_T6_T7_T9_mT8_P12ihipStream_tbDpT10_ENKUlT_T0_E_clISt17integral_constantIbLb1EES1A_IbLb0EEEEDaS16_S17_EUlS16_E_NS1_11comp_targetILNS1_3genE4ELNS1_11target_archE910ELNS1_3gpuE8ELNS1_3repE0EEENS1_30default_config_static_selectorELNS0_4arch9wavefront6targetE1EEEvT1_: ; @_ZN7rocprim17ROCPRIM_400000_NS6detail17trampoline_kernelINS0_14default_configENS1_25partition_config_selectorILNS1_17partition_subalgoE1EtNS0_10empty_typeEbEEZZNS1_14partition_implILS5_1ELb0ES3_jN6thrust23THRUST_200600_302600_NS6detail15normal_iteratorINSA_10device_ptrItEEEEPS6_NSA_18transform_iteratorI7is_evenItESF_NSA_11use_defaultESK_EENS0_5tupleIJSF_NSA_16discard_iteratorISK_EEEEENSM_IJSG_SG_EEES6_PlJS6_EEE10hipError_tPvRmT3_T4_T5_T6_T7_T9_mT8_P12ihipStream_tbDpT10_ENKUlT_T0_E_clISt17integral_constantIbLb1EES1A_IbLb0EEEEDaS16_S17_EUlS16_E_NS1_11comp_targetILNS1_3genE4ELNS1_11target_archE910ELNS1_3gpuE8ELNS1_3repE0EEENS1_30default_config_static_selectorELNS0_4arch9wavefront6targetE1EEEvT1_
; %bb.0:
	s_load_dwordx2 s[0:1], s[4:5], 0x68
	s_load_dwordx4 s[12:15], s[4:5], 0x8
	s_load_dwordx2 s[2:3], s[4:5], 0x20
	s_load_dwordx4 s[20:23], s[4:5], 0x58
	s_mul_i32 s10, s6, 0x1400
	s_waitcnt lgkmcnt(0)
	v_mov_b32_e32 v3, s1
	s_load_dword s1, s[4:5], 0x80
	s_lshl_b64 s[8:9], s[14:15], 1
	s_add_u32 s7, s12, s8
	s_addc_u32 s12, s13, s9
	v_mov_b32_e32 v2, s0
	s_waitcnt lgkmcnt(0)
	s_add_i32 s13, s1, -1
	s_mulk_i32 s1, 0x1400
	s_add_i32 s11, s1, s14
	s_sub_i32 s33, s0, s11
	s_addk_i32 s33, 0x1400
	s_add_u32 s0, s14, s1
	s_addc_u32 s1, s15, 0
	s_cmp_eq_u32 s6, s13
	s_load_dwordx2 s[22:23], s[22:23], 0x0
	s_cselect_b64 s[24:25], -1, 0
	s_cmp_lg_u32 s6, s13
	s_mov_b32 s11, 0
	v_cmp_lt_u64_e32 vcc, s[0:1], v[2:3]
	s_cselect_b64 s[0:1], -1, 0
	s_or_b64 s[26:27], s[0:1], vcc
	s_lshl_b64 s[10:11], s[10:11], 1
	s_add_u32 s7, s7, s10
	s_addc_u32 s14, s12, s11
	s_mov_b64 s[0:1], -1
	s_and_b64 vcc, exec, s[26:27]
	v_lshlrev_b32_e32 v1, 1, v0
	s_cbranch_vccz .LBB3117_2
; %bb.1:
	v_mov_b32_e32 v3, s14
	v_add_co_u32_e32 v2, vcc, s7, v1
	v_addc_co_u32_e32 v3, vcc, 0, v3, vcc
	v_add_co_u32_e32 v4, vcc, 0x1000, v2
	v_addc_co_u32_e32 v5, vcc, 0, v3, vcc
	flat_load_ushort v6, v[2:3]
	flat_load_ushort v7, v[2:3] offset:512
	flat_load_ushort v8, v[2:3] offset:1024
	;; [unrolled: 1-line block ×7, first 2 shown]
	v_add_co_u32_e32 v2, vcc, 0x2000, v2
	v_addc_co_u32_e32 v3, vcc, 0, v3, vcc
	flat_load_ushort v14, v[4:5]
	flat_load_ushort v15, v[4:5] offset:512
	flat_load_ushort v16, v[4:5] offset:1024
	;; [unrolled: 1-line block ×7, first 2 shown]
	s_nop 0
	flat_load_ushort v4, v[2:3]
	flat_load_ushort v5, v[2:3] offset:512
	flat_load_ushort v22, v[2:3] offset:1024
	;; [unrolled: 1-line block ×3, first 2 shown]
	s_mov_b64 s[0:1], 0
	s_waitcnt vmcnt(0) lgkmcnt(0)
	ds_write_b16 v1, v6
	ds_write_b16 v1, v7 offset:512
	ds_write_b16 v1, v8 offset:1024
	;; [unrolled: 1-line block ×19, first 2 shown]
	s_waitcnt lgkmcnt(0)
	s_barrier
.LBB3117_2:
	s_andn2_b64 vcc, exec, s[0:1]
	v_cmp_gt_u32_e64 s[0:1], s33, v0
	s_cbranch_vccnz .LBB3117_44
; %bb.3:
                                        ; implicit-def: $vgpr2
	s_and_saveexec_b64 s[12:13], s[0:1]
	s_cbranch_execz .LBB3117_5
; %bb.4:
	v_mov_b32_e32 v3, s14
	v_add_co_u32_e32 v2, vcc, s7, v1
	v_addc_co_u32_e32 v3, vcc, 0, v3, vcc
	flat_load_ushort v2, v[2:3]
.LBB3117_5:
	s_or_b64 exec, exec, s[12:13]
	v_or_b32_e32 v3, 0x100, v0
	v_cmp_gt_u32_e32 vcc, s33, v3
                                        ; implicit-def: $vgpr3
	s_and_saveexec_b64 s[0:1], vcc
	s_cbranch_execz .LBB3117_7
; %bb.6:
	v_mov_b32_e32 v3, s14
	v_add_co_u32_e32 v4, vcc, s7, v1
	v_addc_co_u32_e32 v5, vcc, 0, v3, vcc
	flat_load_ushort v3, v[4:5] offset:512
.LBB3117_7:
	s_or_b64 exec, exec, s[0:1]
	v_or_b32_e32 v4, 0x200, v0
	v_cmp_gt_u32_e32 vcc, s33, v4
                                        ; implicit-def: $vgpr4
	s_and_saveexec_b64 s[0:1], vcc
	s_cbranch_execz .LBB3117_9
; %bb.8:
	v_mov_b32_e32 v5, s14
	v_add_co_u32_e32 v4, vcc, s7, v1
	v_addc_co_u32_e32 v5, vcc, 0, v5, vcc
	flat_load_ushort v4, v[4:5] offset:1024
.LBB3117_9:
	s_or_b64 exec, exec, s[0:1]
	v_or_b32_e32 v5, 0x300, v0
	v_cmp_gt_u32_e32 vcc, s33, v5
                                        ; implicit-def: $vgpr5
	s_and_saveexec_b64 s[0:1], vcc
	s_cbranch_execz .LBB3117_11
; %bb.10:
	v_mov_b32_e32 v5, s14
	v_add_co_u32_e32 v6, vcc, s7, v1
	v_addc_co_u32_e32 v7, vcc, 0, v5, vcc
	flat_load_ushort v5, v[6:7] offset:1536
.LBB3117_11:
	s_or_b64 exec, exec, s[0:1]
	v_or_b32_e32 v6, 0x400, v0
	v_cmp_gt_u32_e32 vcc, s33, v6
                                        ; implicit-def: $vgpr6
	s_and_saveexec_b64 s[0:1], vcc
	s_cbranch_execz .LBB3117_13
; %bb.12:
	v_mov_b32_e32 v7, s14
	v_add_co_u32_e32 v6, vcc, s7, v1
	v_addc_co_u32_e32 v7, vcc, 0, v7, vcc
	flat_load_ushort v6, v[6:7] offset:2048
.LBB3117_13:
	s_or_b64 exec, exec, s[0:1]
	v_or_b32_e32 v7, 0x500, v0
	v_cmp_gt_u32_e32 vcc, s33, v7
                                        ; implicit-def: $vgpr7
	s_and_saveexec_b64 s[0:1], vcc
	s_cbranch_execz .LBB3117_15
; %bb.14:
	v_mov_b32_e32 v7, s14
	v_add_co_u32_e32 v8, vcc, s7, v1
	v_addc_co_u32_e32 v9, vcc, 0, v7, vcc
	flat_load_ushort v7, v[8:9] offset:2560
.LBB3117_15:
	s_or_b64 exec, exec, s[0:1]
	v_or_b32_e32 v8, 0x600, v0
	v_cmp_gt_u32_e32 vcc, s33, v8
                                        ; implicit-def: $vgpr8
	s_and_saveexec_b64 s[0:1], vcc
	s_cbranch_execz .LBB3117_17
; %bb.16:
	v_mov_b32_e32 v9, s14
	v_add_co_u32_e32 v8, vcc, s7, v1
	v_addc_co_u32_e32 v9, vcc, 0, v9, vcc
	flat_load_ushort v8, v[8:9] offset:3072
.LBB3117_17:
	s_or_b64 exec, exec, s[0:1]
	v_or_b32_e32 v9, 0x700, v0
	v_cmp_gt_u32_e32 vcc, s33, v9
                                        ; implicit-def: $vgpr9
	s_and_saveexec_b64 s[0:1], vcc
	s_cbranch_execz .LBB3117_19
; %bb.18:
	v_mov_b32_e32 v9, s14
	v_add_co_u32_e32 v10, vcc, s7, v1
	v_addc_co_u32_e32 v11, vcc, 0, v9, vcc
	flat_load_ushort v9, v[10:11] offset:3584
.LBB3117_19:
	s_or_b64 exec, exec, s[0:1]
	v_or_b32_e32 v11, 0x800, v0
	v_cmp_gt_u32_e32 vcc, s33, v11
                                        ; implicit-def: $vgpr10
	s_and_saveexec_b64 s[0:1], vcc
	s_cbranch_execz .LBB3117_21
; %bb.20:
	v_lshlrev_b32_e32 v10, 1, v11
	v_mov_b32_e32 v11, s14
	v_add_co_u32_e32 v10, vcc, s7, v10
	v_addc_co_u32_e32 v11, vcc, 0, v11, vcc
	flat_load_ushort v10, v[10:11]
.LBB3117_21:
	s_or_b64 exec, exec, s[0:1]
	v_or_b32_e32 v12, 0x900, v0
	v_cmp_gt_u32_e32 vcc, s33, v12
                                        ; implicit-def: $vgpr11
	s_and_saveexec_b64 s[0:1], vcc
	s_cbranch_execz .LBB3117_23
; %bb.22:
	v_lshlrev_b32_e32 v11, 1, v12
	v_mov_b32_e32 v13, s14
	v_add_co_u32_e32 v12, vcc, s7, v11
	v_addc_co_u32_e32 v13, vcc, 0, v13, vcc
	flat_load_ushort v11, v[12:13]
.LBB3117_23:
	s_or_b64 exec, exec, s[0:1]
	v_or_b32_e32 v13, 0xa00, v0
	v_cmp_gt_u32_e32 vcc, s33, v13
                                        ; implicit-def: $vgpr12
	s_and_saveexec_b64 s[0:1], vcc
	s_cbranch_execz .LBB3117_25
; %bb.24:
	v_lshlrev_b32_e32 v12, 1, v13
	v_mov_b32_e32 v13, s14
	v_add_co_u32_e32 v12, vcc, s7, v12
	v_addc_co_u32_e32 v13, vcc, 0, v13, vcc
	flat_load_ushort v12, v[12:13]
.LBB3117_25:
	s_or_b64 exec, exec, s[0:1]
	v_or_b32_e32 v14, 0xb00, v0
	v_cmp_gt_u32_e32 vcc, s33, v14
                                        ; implicit-def: $vgpr13
	s_and_saveexec_b64 s[0:1], vcc
	s_cbranch_execz .LBB3117_27
; %bb.26:
	v_lshlrev_b32_e32 v13, 1, v14
	v_mov_b32_e32 v15, s14
	v_add_co_u32_e32 v14, vcc, s7, v13
	v_addc_co_u32_e32 v15, vcc, 0, v15, vcc
	flat_load_ushort v13, v[14:15]
.LBB3117_27:
	s_or_b64 exec, exec, s[0:1]
	v_or_b32_e32 v15, 0xc00, v0
	v_cmp_gt_u32_e32 vcc, s33, v15
                                        ; implicit-def: $vgpr14
	s_and_saveexec_b64 s[0:1], vcc
	s_cbranch_execz .LBB3117_29
; %bb.28:
	v_lshlrev_b32_e32 v14, 1, v15
	v_mov_b32_e32 v15, s14
	v_add_co_u32_e32 v14, vcc, s7, v14
	v_addc_co_u32_e32 v15, vcc, 0, v15, vcc
	flat_load_ushort v14, v[14:15]
.LBB3117_29:
	s_or_b64 exec, exec, s[0:1]
	v_or_b32_e32 v16, 0xd00, v0
	v_cmp_gt_u32_e32 vcc, s33, v16
                                        ; implicit-def: $vgpr15
	s_and_saveexec_b64 s[0:1], vcc
	s_cbranch_execz .LBB3117_31
; %bb.30:
	v_lshlrev_b32_e32 v15, 1, v16
	v_mov_b32_e32 v17, s14
	v_add_co_u32_e32 v16, vcc, s7, v15
	v_addc_co_u32_e32 v17, vcc, 0, v17, vcc
	flat_load_ushort v15, v[16:17]
.LBB3117_31:
	s_or_b64 exec, exec, s[0:1]
	v_or_b32_e32 v17, 0xe00, v0
	v_cmp_gt_u32_e32 vcc, s33, v17
                                        ; implicit-def: $vgpr16
	s_and_saveexec_b64 s[0:1], vcc
	s_cbranch_execz .LBB3117_33
; %bb.32:
	v_lshlrev_b32_e32 v16, 1, v17
	v_mov_b32_e32 v17, s14
	v_add_co_u32_e32 v16, vcc, s7, v16
	v_addc_co_u32_e32 v17, vcc, 0, v17, vcc
	flat_load_ushort v16, v[16:17]
.LBB3117_33:
	s_or_b64 exec, exec, s[0:1]
	v_or_b32_e32 v18, 0xf00, v0
	v_cmp_gt_u32_e32 vcc, s33, v18
                                        ; implicit-def: $vgpr17
	s_and_saveexec_b64 s[0:1], vcc
	s_cbranch_execz .LBB3117_35
; %bb.34:
	v_lshlrev_b32_e32 v17, 1, v18
	v_mov_b32_e32 v19, s14
	v_add_co_u32_e32 v18, vcc, s7, v17
	v_addc_co_u32_e32 v19, vcc, 0, v19, vcc
	flat_load_ushort v17, v[18:19]
.LBB3117_35:
	s_or_b64 exec, exec, s[0:1]
	v_or_b32_e32 v19, 0x1000, v0
	v_cmp_gt_u32_e32 vcc, s33, v19
                                        ; implicit-def: $vgpr18
	s_and_saveexec_b64 s[0:1], vcc
	s_cbranch_execz .LBB3117_37
; %bb.36:
	v_lshlrev_b32_e32 v18, 1, v19
	v_mov_b32_e32 v19, s14
	v_add_co_u32_e32 v18, vcc, s7, v18
	v_addc_co_u32_e32 v19, vcc, 0, v19, vcc
	flat_load_ushort v18, v[18:19]
.LBB3117_37:
	s_or_b64 exec, exec, s[0:1]
	v_or_b32_e32 v20, 0x1100, v0
	v_cmp_gt_u32_e32 vcc, s33, v20
                                        ; implicit-def: $vgpr19
	s_and_saveexec_b64 s[0:1], vcc
	s_cbranch_execz .LBB3117_39
; %bb.38:
	v_lshlrev_b32_e32 v19, 1, v20
	v_mov_b32_e32 v21, s14
	v_add_co_u32_e32 v20, vcc, s7, v19
	v_addc_co_u32_e32 v21, vcc, 0, v21, vcc
	flat_load_ushort v19, v[20:21]
.LBB3117_39:
	s_or_b64 exec, exec, s[0:1]
	v_or_b32_e32 v21, 0x1200, v0
	v_cmp_gt_u32_e32 vcc, s33, v21
                                        ; implicit-def: $vgpr20
	s_and_saveexec_b64 s[0:1], vcc
	s_cbranch_execz .LBB3117_41
; %bb.40:
	v_lshlrev_b32_e32 v20, 1, v21
	v_mov_b32_e32 v21, s14
	v_add_co_u32_e32 v20, vcc, s7, v20
	v_addc_co_u32_e32 v21, vcc, 0, v21, vcc
	flat_load_ushort v20, v[20:21]
.LBB3117_41:
	s_or_b64 exec, exec, s[0:1]
	v_or_b32_e32 v22, 0x1300, v0
	v_cmp_gt_u32_e32 vcc, s33, v22
                                        ; implicit-def: $vgpr21
	s_and_saveexec_b64 s[0:1], vcc
	s_cbranch_execz .LBB3117_43
; %bb.42:
	v_lshlrev_b32_e32 v21, 1, v22
	v_mov_b32_e32 v23, s14
	v_add_co_u32_e32 v22, vcc, s7, v21
	v_addc_co_u32_e32 v23, vcc, 0, v23, vcc
	flat_load_ushort v21, v[22:23]
.LBB3117_43:
	s_or_b64 exec, exec, s[0:1]
	s_waitcnt vmcnt(0) lgkmcnt(0)
	ds_write_b16 v1, v2
	ds_write_b16 v1, v3 offset:512
	ds_write_b16 v1, v4 offset:1024
	;; [unrolled: 1-line block ×19, first 2 shown]
	s_waitcnt lgkmcnt(0)
	s_barrier
.LBB3117_44:
	v_mul_u32_u24_e32 v26, 20, v0
	v_lshlrev_b32_e32 v6, 1, v26
	s_waitcnt lgkmcnt(0)
	ds_read_b64 v[10:11], v6 offset:32
	ds_read2_b64 v[2:5], v6 offset0:2 offset1:3
	ds_read2_b64 v[6:9], v6 offset1:1
	s_add_u32 s0, s2, s8
	s_addc_u32 s1, s3, s9
	s_add_u32 s0, s0, s10
	s_addc_u32 s1, s1, s11
	s_mov_b64 s[2:3], -1
	s_and_b64 vcc, exec, s[26:27]
	s_waitcnt lgkmcnt(0)
	s_barrier
	s_cbranch_vccz .LBB3117_46
; %bb.45:
	v_mov_b32_e32 v12, s1
	v_add_co_u32_e32 v14, vcc, s0, v1
	s_movk_i32 s2, 0x1000
	v_addc_co_u32_e32 v15, vcc, 0, v12, vcc
	v_add_co_u32_e32 v12, vcc, s2, v14
	s_movk_i32 s3, 0x2000
	v_addc_co_u32_e32 v13, vcc, 0, v15, vcc
	global_load_ubyte v16, v1, s[0:1]
	global_load_ubyte v17, v1, s[0:1] offset:512
	global_load_ubyte v18, v1, s[0:1] offset:1024
	;; [unrolled: 1-line block ×7, first 2 shown]
	v_add_co_u32_e32 v14, vcc, s3, v14
	v_addc_co_u32_e32 v15, vcc, 0, v15, vcc
	global_load_ubyte v24, v[14:15], off offset:-4096
	global_load_ubyte v25, v[12:13], off offset:512
	global_load_ubyte v27, v[12:13], off offset:1024
	;; [unrolled: 1-line block ×7, first 2 shown]
	global_load_ubyte v33, v[14:15], off
	global_load_ubyte v34, v[14:15], off offset:512
	global_load_ubyte v35, v[14:15], off offset:1024
	;; [unrolled: 1-line block ×3, first 2 shown]
	s_mov_b64 s[2:3], 0
	s_waitcnt vmcnt(19)
	v_xor_b32_e32 v12, -1, v16
	s_waitcnt vmcnt(18)
	v_xor_b32_e32 v13, -1, v17
	;; [unrolled: 2-line block ×8, first 2 shown]
	v_and_b32_e32 v12, 1, v12
	v_and_b32_e32 v13, 1, v13
	;; [unrolled: 1-line block ×8, first 2 shown]
	ds_write_b8 v0, v12
	ds_write_b8 v0, v13 offset:256
	ds_write_b8 v0, v14 offset:512
	ds_write_b8 v0, v15 offset:768
	ds_write_b8 v0, v16 offset:1024
	ds_write_b8 v0, v17 offset:1280
	ds_write_b8 v0, v18 offset:1536
	ds_write_b8 v0, v19 offset:1792
	s_waitcnt vmcnt(11)
	v_xor_b32_e32 v12, -1, v24
	s_waitcnt vmcnt(10)
	v_xor_b32_e32 v13, -1, v25
	s_waitcnt vmcnt(9)
	v_xor_b32_e32 v14, -1, v27
	s_waitcnt vmcnt(8)
	v_xor_b32_e32 v15, -1, v28
	s_waitcnt vmcnt(7)
	v_xor_b32_e32 v16, -1, v29
	s_waitcnt vmcnt(6)
	v_xor_b32_e32 v17, -1, v30
	s_waitcnt vmcnt(5)
	v_xor_b32_e32 v18, -1, v31
	s_waitcnt vmcnt(4)
	v_xor_b32_e32 v19, -1, v32
	s_waitcnt vmcnt(3)
	v_xor_b32_e32 v20, -1, v33
	s_waitcnt vmcnt(2)
	v_xor_b32_e32 v21, -1, v34
	s_waitcnt vmcnt(1)
	v_xor_b32_e32 v22, -1, v35
	s_waitcnt vmcnt(0)
	v_xor_b32_e32 v23, -1, v36
	v_and_b32_e32 v12, 1, v12
	v_and_b32_e32 v13, 1, v13
	;; [unrolled: 1-line block ×12, first 2 shown]
	ds_write_b8 v0, v12 offset:2048
	ds_write_b8 v0, v13 offset:2304
	;; [unrolled: 1-line block ×12, first 2 shown]
	s_waitcnt lgkmcnt(0)
	s_barrier
.LBB3117_46:
	s_load_dwordx2 s[28:29], s[4:5], 0x78
	s_andn2_b64 vcc, exec, s[2:3]
	s_cbranch_vccnz .LBB3117_88
; %bb.47:
	v_cmp_gt_u32_e32 vcc, s33, v0
	v_mov_b32_e32 v12, 0
	v_mov_b32_e32 v13, 0
	s_and_saveexec_b64 s[2:3], vcc
	s_cbranch_execz .LBB3117_49
; %bb.48:
	global_load_ubyte v13, v1, s[0:1]
	s_waitcnt vmcnt(0)
	v_xor_b32_e32 v13, -1, v13
	v_and_b32_e32 v13, 1, v13
.LBB3117_49:
	s_or_b64 exec, exec, s[2:3]
	v_or_b32_e32 v14, 0x100, v0
	v_cmp_gt_u32_e32 vcc, s33, v14
	s_and_saveexec_b64 s[2:3], vcc
	s_cbranch_execz .LBB3117_51
; %bb.50:
	global_load_ubyte v12, v1, s[0:1] offset:512
	s_waitcnt vmcnt(0)
	v_xor_b32_e32 v12, -1, v12
	v_and_b32_e32 v12, 1, v12
.LBB3117_51:
	s_or_b64 exec, exec, s[2:3]
	v_or_b32_e32 v14, 0x200, v0
	v_cmp_gt_u32_e32 vcc, s33, v14
	v_mov_b32_e32 v14, 0
	v_mov_b32_e32 v15, 0
	s_and_saveexec_b64 s[2:3], vcc
	s_cbranch_execz .LBB3117_53
; %bb.52:
	global_load_ubyte v15, v1, s[0:1] offset:1024
	s_waitcnt vmcnt(0)
	v_xor_b32_e32 v15, -1, v15
	v_and_b32_e32 v15, 1, v15
.LBB3117_53:
	s_or_b64 exec, exec, s[2:3]
	v_or_b32_e32 v16, 0x300, v0
	v_cmp_gt_u32_e32 vcc, s33, v16
	s_and_saveexec_b64 s[2:3], vcc
	s_cbranch_execz .LBB3117_55
; %bb.54:
	global_load_ubyte v14, v1, s[0:1] offset:1536
	s_waitcnt vmcnt(0)
	v_xor_b32_e32 v14, -1, v14
	v_and_b32_e32 v14, 1, v14
.LBB3117_55:
	s_or_b64 exec, exec, s[2:3]
	v_or_b32_e32 v16, 0x400, v0
	v_cmp_gt_u32_e32 vcc, s33, v16
	v_mov_b32_e32 v16, 0
	v_mov_b32_e32 v17, 0
	s_and_saveexec_b64 s[2:3], vcc
	s_cbranch_execz .LBB3117_57
; %bb.56:
	global_load_ubyte v17, v1, s[0:1] offset:2048
	s_waitcnt vmcnt(0)
	v_xor_b32_e32 v17, -1, v17
	v_and_b32_e32 v17, 1, v17
.LBB3117_57:
	;; [unrolled: 24-line block ×3, first 2 shown]
	s_or_b64 exec, exec, s[2:3]
	v_or_b32_e32 v20, 0x700, v0
	v_cmp_gt_u32_e32 vcc, s33, v20
	s_and_saveexec_b64 s[2:3], vcc
	s_cbranch_execz .LBB3117_63
; %bb.62:
	global_load_ubyte v18, v1, s[0:1] offset:3584
	s_waitcnt vmcnt(0)
	v_xor_b32_e32 v18, -1, v18
	v_and_b32_e32 v18, 1, v18
.LBB3117_63:
	s_or_b64 exec, exec, s[2:3]
	v_or_b32_e32 v22, 0x800, v0
	v_cmp_gt_u32_e32 vcc, s33, v22
	v_mov_b32_e32 v20, 0
	v_mov_b32_e32 v21, 0
	s_and_saveexec_b64 s[2:3], vcc
	s_cbranch_execz .LBB3117_65
; %bb.64:
	v_lshlrev_b32_e32 v21, 1, v22
	global_load_ubyte v21, v21, s[0:1]
	s_waitcnt vmcnt(0)
	v_xor_b32_e32 v21, -1, v21
	v_and_b32_e32 v21, 1, v21
.LBB3117_65:
	s_or_b64 exec, exec, s[2:3]
	v_or_b32_e32 v22, 0x900, v0
	v_cmp_gt_u32_e32 vcc, s33, v22
	s_and_saveexec_b64 s[2:3], vcc
	s_cbranch_execz .LBB3117_67
; %bb.66:
	v_lshlrev_b32_e32 v20, 1, v22
	global_load_ubyte v20, v20, s[0:1]
	s_waitcnt vmcnt(0)
	v_xor_b32_e32 v20, -1, v20
	v_and_b32_e32 v20, 1, v20
.LBB3117_67:
	s_or_b64 exec, exec, s[2:3]
	v_or_b32_e32 v24, 0xa00, v0
	v_cmp_gt_u32_e32 vcc, s33, v24
	v_mov_b32_e32 v22, 0
	v_mov_b32_e32 v23, 0
	s_and_saveexec_b64 s[2:3], vcc
	s_cbranch_execz .LBB3117_69
; %bb.68:
	v_lshlrev_b32_e32 v23, 1, v24
	global_load_ubyte v23, v23, s[0:1]
	s_waitcnt vmcnt(0)
	v_xor_b32_e32 v23, -1, v23
	v_and_b32_e32 v23, 1, v23
.LBB3117_69:
	s_or_b64 exec, exec, s[2:3]
	v_or_b32_e32 v24, 0xb00, v0
	v_cmp_gt_u32_e32 vcc, s33, v24
	s_and_saveexec_b64 s[2:3], vcc
	s_cbranch_execz .LBB3117_71
; %bb.70:
	v_lshlrev_b32_e32 v22, 1, v24
	global_load_ubyte v22, v22, s[0:1]
	s_waitcnt vmcnt(0)
	v_xor_b32_e32 v22, -1, v22
	v_and_b32_e32 v22, 1, v22
.LBB3117_71:
	s_or_b64 exec, exec, s[2:3]
	v_or_b32_e32 v27, 0xc00, v0
	v_cmp_gt_u32_e32 vcc, s33, v27
	v_mov_b32_e32 v24, 0
	v_mov_b32_e32 v25, 0
	s_and_saveexec_b64 s[2:3], vcc
	s_cbranch_execz .LBB3117_73
; %bb.72:
	v_lshlrev_b32_e32 v25, 1, v27
	global_load_ubyte v25, v25, s[0:1]
	s_waitcnt vmcnt(0)
	v_xor_b32_e32 v25, -1, v25
	v_and_b32_e32 v25, 1, v25
.LBB3117_73:
	s_or_b64 exec, exec, s[2:3]
	v_or_b32_e32 v27, 0xd00, v0
	v_cmp_gt_u32_e32 vcc, s33, v27
	s_and_saveexec_b64 s[2:3], vcc
	s_cbranch_execz .LBB3117_75
; %bb.74:
	v_lshlrev_b32_e32 v24, 1, v27
	global_load_ubyte v24, v24, s[0:1]
	s_waitcnt vmcnt(0)
	v_xor_b32_e32 v24, -1, v24
	v_and_b32_e32 v24, 1, v24
.LBB3117_75:
	s_or_b64 exec, exec, s[2:3]
	v_or_b32_e32 v29, 0xe00, v0
	v_cmp_gt_u32_e32 vcc, s33, v29
	v_mov_b32_e32 v27, 0
	v_mov_b32_e32 v28, 0
	s_and_saveexec_b64 s[2:3], vcc
	s_cbranch_execz .LBB3117_77
; %bb.76:
	v_lshlrev_b32_e32 v28, 1, v29
	global_load_ubyte v28, v28, s[0:1]
	s_waitcnt vmcnt(0)
	v_xor_b32_e32 v28, -1, v28
	v_and_b32_e32 v28, 1, v28
.LBB3117_77:
	s_or_b64 exec, exec, s[2:3]
	v_or_b32_e32 v29, 0xf00, v0
	v_cmp_gt_u32_e32 vcc, s33, v29
	s_and_saveexec_b64 s[2:3], vcc
	s_cbranch_execz .LBB3117_79
; %bb.78:
	v_lshlrev_b32_e32 v27, 1, v29
	global_load_ubyte v27, v27, s[0:1]
	s_waitcnt vmcnt(0)
	v_xor_b32_e32 v27, -1, v27
	v_and_b32_e32 v27, 1, v27
.LBB3117_79:
	s_or_b64 exec, exec, s[2:3]
	v_or_b32_e32 v31, 0x1000, v0
	v_cmp_gt_u32_e32 vcc, s33, v31
	v_mov_b32_e32 v29, 0
	v_mov_b32_e32 v30, 0
	s_and_saveexec_b64 s[2:3], vcc
	s_cbranch_execz .LBB3117_81
; %bb.80:
	v_lshlrev_b32_e32 v30, 1, v31
	global_load_ubyte v30, v30, s[0:1]
	s_waitcnt vmcnt(0)
	v_xor_b32_e32 v30, -1, v30
	v_and_b32_e32 v30, 1, v30
.LBB3117_81:
	s_or_b64 exec, exec, s[2:3]
	v_or_b32_e32 v31, 0x1100, v0
	v_cmp_gt_u32_e32 vcc, s33, v31
	s_and_saveexec_b64 s[2:3], vcc
	s_cbranch_execz .LBB3117_83
; %bb.82:
	v_lshlrev_b32_e32 v29, 1, v31
	global_load_ubyte v29, v29, s[0:1]
	s_waitcnt vmcnt(0)
	v_xor_b32_e32 v29, -1, v29
	v_and_b32_e32 v29, 1, v29
.LBB3117_83:
	s_or_b64 exec, exec, s[2:3]
	v_or_b32_e32 v33, 0x1200, v0
	v_cmp_gt_u32_e32 vcc, s33, v33
	v_mov_b32_e32 v31, 0
	v_mov_b32_e32 v32, 0
	s_and_saveexec_b64 s[2:3], vcc
	s_cbranch_execz .LBB3117_85
; %bb.84:
	v_lshlrev_b32_e32 v32, 1, v33
	global_load_ubyte v32, v32, s[0:1]
	s_waitcnt vmcnt(0)
	v_xor_b32_e32 v32, -1, v32
	v_and_b32_e32 v32, 1, v32
.LBB3117_85:
	s_or_b64 exec, exec, s[2:3]
	v_or_b32_e32 v33, 0x1300, v0
	v_cmp_gt_u32_e32 vcc, s33, v33
	s_and_saveexec_b64 s[2:3], vcc
	s_cbranch_execz .LBB3117_87
; %bb.86:
	v_lshlrev_b32_e32 v31, 1, v33
	global_load_ubyte v31, v31, s[0:1]
	s_waitcnt vmcnt(0)
	v_xor_b32_e32 v31, -1, v31
	v_and_b32_e32 v31, 1, v31
.LBB3117_87:
	s_or_b64 exec, exec, s[2:3]
	ds_write_b8 v0, v13
	ds_write_b8 v0, v12 offset:256
	ds_write_b8 v0, v15 offset:512
	;; [unrolled: 1-line block ×19, first 2 shown]
	s_waitcnt lgkmcnt(0)
	s_barrier
.LBB3117_88:
	s_waitcnt lgkmcnt(0)
	ds_read2_b32 v[18:19], v26 offset1:1
	ds_read2_b32 v[16:17], v26 offset0:2 offset1:3
	ds_read_b32 v28, v26 offset:16
	s_cmp_lg_u32 s6, 0
	v_lshrrev_b32_e32 v47, 6, v0
	s_waitcnt lgkmcnt(2)
	v_lshrrev_b32_e32 v33, 24, v18
	v_bfe_u32 v45, v18, 16, 8
	v_add_u32_sdwa v12, v18, v18 dst_sel:DWORD dst_unused:UNUSED_PAD src0_sel:BYTE_1 src1_sel:BYTE_0
	v_and_b32_e32 v42, 0xff, v19
	v_bfe_u32 v43, v19, 8, 8
	v_add3_u32 v12, v12, v45, v33
	v_lshrrev_b32_e32 v32, 24, v19
	v_bfe_u32 v44, v19, 16, 8
	v_add3_u32 v12, v12, v42, v43
	s_waitcnt lgkmcnt(1)
	v_and_b32_e32 v39, 0xff, v16
	v_bfe_u32 v40, v16, 8, 8
	v_add3_u32 v12, v12, v44, v32
	v_lshrrev_b32_e32 v31, 24, v16
	v_bfe_u32 v41, v16, 16, 8
	v_add3_u32 v12, v12, v39, v40
	v_and_b32_e32 v36, 0xff, v17
	v_bfe_u32 v37, v17, 8, 8
	v_add3_u32 v12, v12, v41, v31
	v_lshrrev_b32_e32 v30, 24, v17
	v_bfe_u32 v38, v17, 16, 8
	v_add3_u32 v12, v12, v36, v37
	s_waitcnt lgkmcnt(0)
	v_and_b32_e32 v34, 0xff, v28
	v_bfe_u32 v35, v28, 8, 8
	v_add3_u32 v12, v12, v38, v30
	v_lshrrev_b32_e32 v27, 24, v28
	v_bfe_u32 v29, v28, 16, 8
	v_add3_u32 v12, v12, v34, v35
	v_add3_u32 v48, v12, v29, v27
	v_mbcnt_lo_u32_b32 v12, -1, 0
	v_mbcnt_hi_u32_b32 v46, -1, v12
	v_and_b32_e32 v12, 15, v46
	v_cmp_eq_u32_e64 s[14:15], 0, v12
	v_cmp_lt_u32_e64 s[12:13], 1, v12
	v_cmp_lt_u32_e64 s[10:11], 3, v12
	v_cmp_lt_u32_e64 s[8:9], 7, v12
	v_and_b32_e32 v12, 16, v46
	v_cmp_eq_u32_e64 s[18:19], 0, v12
	v_or_b32_e32 v12, 63, v0
	v_cmp_lt_u32_e64 s[0:1], 31, v46
	v_cmp_eq_u32_e64 s[2:3], v12, v0
	s_barrier
	s_cbranch_scc0 .LBB3117_119
; %bb.89:
	v_mov_b32_dpp v12, v48 row_shr:1 row_mask:0xf bank_mask:0xf
	v_cndmask_b32_e64 v12, v12, 0, s[14:15]
	v_add_u32_e32 v12, v12, v48
	s_nop 1
	v_mov_b32_dpp v13, v12 row_shr:2 row_mask:0xf bank_mask:0xf
	v_cndmask_b32_e64 v13, 0, v13, s[12:13]
	v_add_u32_e32 v12, v12, v13
	s_nop 1
	;; [unrolled: 4-line block ×4, first 2 shown]
	v_mov_b32_dpp v13, v12 row_bcast:15 row_mask:0xf bank_mask:0xf
	v_cndmask_b32_e64 v13, v13, 0, s[18:19]
	v_add_u32_e32 v12, v12, v13
	s_nop 1
	v_mov_b32_dpp v13, v12 row_bcast:31 row_mask:0xf bank_mask:0xf
	v_cndmask_b32_e64 v13, 0, v13, s[0:1]
	v_add_u32_e32 v12, v12, v13
	s_and_saveexec_b64 s[16:17], s[2:3]
	s_cbranch_execz .LBB3117_91
; %bb.90:
	v_lshlrev_b32_e32 v13, 2, v47
	ds_write_b32 v13, v12
.LBB3117_91:
	s_or_b64 exec, exec, s[16:17]
	v_cmp_gt_u32_e32 vcc, 4, v0
	s_waitcnt lgkmcnt(0)
	s_barrier
	s_and_saveexec_b64 s[16:17], vcc
	s_cbranch_execz .LBB3117_93
; %bb.92:
	v_lshlrev_b32_e32 v13, 2, v0
	ds_read_b32 v14, v13
	v_and_b32_e32 v15, 3, v46
	v_cmp_ne_u32_e32 vcc, 0, v15
	s_waitcnt lgkmcnt(0)
	v_mov_b32_dpp v20, v14 row_shr:1 row_mask:0xf bank_mask:0xf
	v_cndmask_b32_e32 v20, 0, v20, vcc
	v_add_u32_e32 v14, v20, v14
	v_cmp_lt_u32_e32 vcc, 1, v15
	s_nop 0
	v_mov_b32_dpp v20, v14 row_shr:2 row_mask:0xf bank_mask:0xf
	v_cndmask_b32_e32 v15, 0, v20, vcc
	v_add_u32_e32 v14, v14, v15
	ds_write_b32 v13, v14
.LBB3117_93:
	s_or_b64 exec, exec, s[16:17]
	v_cmp_gt_u32_e32 vcc, 64, v0
	v_cmp_lt_u32_e64 s[16:17], 63, v0
	s_waitcnt lgkmcnt(0)
	s_barrier
	s_waitcnt lgkmcnt(0)
                                        ; implicit-def: $vgpr49
	s_and_saveexec_b64 s[30:31], s[16:17]
	s_cbranch_execz .LBB3117_95
; %bb.94:
	v_lshl_add_u32 v13, v47, 2, -4
	ds_read_b32 v49, v13
	s_waitcnt lgkmcnt(0)
	v_add_u32_e32 v12, v49, v12
.LBB3117_95:
	s_or_b64 exec, exec, s[30:31]
	v_add_u32_e32 v13, -1, v46
	v_and_b32_e32 v14, 64, v46
	v_cmp_lt_i32_e64 s[16:17], v13, v14
	v_cndmask_b32_e64 v13, v13, v46, s[16:17]
	v_lshlrev_b32_e32 v13, 2, v13
	ds_bpermute_b32 v50, v13, v12
	v_cmp_eq_u32_e64 s[16:17], 0, v46
	s_and_saveexec_b64 s[30:31], vcc
	s_cbranch_execz .LBB3117_118
; %bb.96:
	v_mov_b32_e32 v25, 0
	ds_read_b32 v12, v25 offset:12
	s_and_saveexec_b64 s[34:35], s[16:17]
	s_cbranch_execz .LBB3117_98
; %bb.97:
	s_add_i32 s36, s6, 64
	s_mov_b32 s37, 0
	s_lshl_b64 s[36:37], s[36:37], 3
	s_add_u32 s36, s28, s36
	v_mov_b32_e32 v13, 1
	s_addc_u32 s37, s29, s37
	s_waitcnt lgkmcnt(0)
	global_store_dwordx2 v25, v[12:13], s[36:37]
.LBB3117_98:
	s_or_b64 exec, exec, s[34:35]
	v_xad_u32 v14, v46, -1, s6
	v_add_u32_e32 v24, 64, v14
	v_lshlrev_b64 v[20:21], 3, v[24:25]
	v_mov_b32_e32 v13, s29
	v_add_co_u32_e32 v20, vcc, s28, v20
	v_addc_co_u32_e32 v21, vcc, v13, v21, vcc
	global_load_dwordx2 v[22:23], v[20:21], off glc
	s_waitcnt vmcnt(0)
	v_cmp_eq_u16_sdwa s[36:37], v23, v25 src0_sel:BYTE_0 src1_sel:DWORD
	s_and_saveexec_b64 s[34:35], s[36:37]
	s_cbranch_execz .LBB3117_104
; %bb.99:
	s_mov_b32 s7, 1
	s_mov_b64 s[36:37], 0
	v_mov_b32_e32 v13, 0
.LBB3117_100:                           ; =>This Loop Header: Depth=1
                                        ;     Child Loop BB3117_101 Depth 2
	s_max_u32 s38, s7, 1
.LBB3117_101:                           ;   Parent Loop BB3117_100 Depth=1
                                        ; =>  This Inner Loop Header: Depth=2
	s_add_i32 s38, s38, -1
	s_cmp_eq_u32 s38, 0
	s_sleep 1
	s_cbranch_scc0 .LBB3117_101
; %bb.102:                              ;   in Loop: Header=BB3117_100 Depth=1
	global_load_dwordx2 v[22:23], v[20:21], off glc
	s_cmp_lt_u32 s7, 32
	s_cselect_b64 s[38:39], -1, 0
	s_cmp_lg_u64 s[38:39], 0
	s_addc_u32 s7, s7, 0
	s_waitcnt vmcnt(0)
	v_cmp_ne_u16_sdwa s[38:39], v23, v13 src0_sel:BYTE_0 src1_sel:DWORD
	s_or_b64 s[36:37], s[38:39], s[36:37]
	s_andn2_b64 exec, exec, s[36:37]
	s_cbranch_execnz .LBB3117_100
; %bb.103:
	s_or_b64 exec, exec, s[36:37]
.LBB3117_104:
	s_or_b64 exec, exec, s[34:35]
	v_and_b32_e32 v52, 63, v46
	v_mov_b32_e32 v51, 2
	v_cmp_ne_u32_e32 vcc, 63, v52
	v_cmp_eq_u16_sdwa s[34:35], v23, v51 src0_sel:BYTE_0 src1_sel:DWORD
	v_lshlrev_b64 v[20:21], v46, -1
	v_addc_co_u32_e32 v24, vcc, 0, v46, vcc
	v_and_b32_e32 v13, s35, v21
	v_lshlrev_b32_e32 v53, 2, v24
	v_or_b32_e32 v13, 0x80000000, v13
	ds_bpermute_b32 v24, v53, v22
	v_and_b32_e32 v15, s34, v20
	v_ffbl_b32_e32 v13, v13
	v_add_u32_e32 v13, 32, v13
	v_ffbl_b32_e32 v15, v15
	v_min_u32_e32 v13, v15, v13
	v_cmp_lt_u32_e32 vcc, v52, v13
	s_waitcnt lgkmcnt(0)
	v_cndmask_b32_e32 v15, 0, v24, vcc
	v_cmp_gt_u32_e32 vcc, 62, v52
	v_add_u32_e32 v15, v15, v22
	v_cndmask_b32_e64 v22, 0, 1, vcc
	v_lshlrev_b32_e32 v22, 1, v22
	v_add_lshl_u32 v54, v22, v46, 2
	ds_bpermute_b32 v22, v54, v15
	v_add_u32_e32 v55, 2, v52
	v_cmp_le_u32_e32 vcc, v55, v13
	v_add_u32_e32 v57, 4, v52
	v_add_u32_e32 v59, 8, v52
	s_waitcnt lgkmcnt(0)
	v_cndmask_b32_e32 v22, 0, v22, vcc
	v_cmp_gt_u32_e32 vcc, 60, v52
	v_add_u32_e32 v15, v15, v22
	v_cndmask_b32_e64 v22, 0, 1, vcc
	v_lshlrev_b32_e32 v22, 2, v22
	v_add_lshl_u32 v56, v22, v46, 2
	ds_bpermute_b32 v22, v56, v15
	v_cmp_le_u32_e32 vcc, v57, v13
	v_add_u32_e32 v61, 16, v52
	v_add_u32_e32 v63, 32, v52
	s_waitcnt lgkmcnt(0)
	v_cndmask_b32_e32 v22, 0, v22, vcc
	v_cmp_gt_u32_e32 vcc, 56, v52
	v_add_u32_e32 v15, v15, v22
	v_cndmask_b32_e64 v22, 0, 1, vcc
	v_lshlrev_b32_e32 v22, 3, v22
	v_add_lshl_u32 v58, v22, v46, 2
	ds_bpermute_b32 v22, v58, v15
	v_cmp_le_u32_e32 vcc, v59, v13
	s_waitcnt lgkmcnt(0)
	v_cndmask_b32_e32 v22, 0, v22, vcc
	v_cmp_gt_u32_e32 vcc, 48, v52
	v_add_u32_e32 v15, v15, v22
	v_cndmask_b32_e64 v22, 0, 1, vcc
	v_lshlrev_b32_e32 v22, 4, v22
	v_add_lshl_u32 v60, v22, v46, 2
	ds_bpermute_b32 v22, v60, v15
	v_cmp_le_u32_e32 vcc, v61, v13
	;; [unrolled: 9-line block ×3, first 2 shown]
	s_waitcnt lgkmcnt(0)
	v_cndmask_b32_e32 v13, 0, v22, vcc
	v_add_u32_e32 v22, v15, v13
	v_mov_b32_e32 v15, 0
	s_branch .LBB3117_106
.LBB3117_105:                           ;   in Loop: Header=BB3117_106 Depth=1
	s_or_b64 exec, exec, s[34:35]
	v_cmp_eq_u16_sdwa s[34:35], v23, v51 src0_sel:BYTE_0 src1_sel:DWORD
	v_and_b32_e32 v24, s35, v21
	v_or_b32_e32 v24, 0x80000000, v24
	ds_bpermute_b32 v64, v53, v22
	v_and_b32_e32 v25, s34, v20
	v_ffbl_b32_e32 v24, v24
	v_add_u32_e32 v24, 32, v24
	v_ffbl_b32_e32 v25, v25
	v_min_u32_e32 v24, v25, v24
	v_cmp_lt_u32_e32 vcc, v52, v24
	s_waitcnt lgkmcnt(0)
	v_cndmask_b32_e32 v25, 0, v64, vcc
	v_add_u32_e32 v22, v25, v22
	ds_bpermute_b32 v25, v54, v22
	v_cmp_le_u32_e32 vcc, v55, v24
	v_subrev_u32_e32 v14, 64, v14
	s_waitcnt lgkmcnt(0)
	v_cndmask_b32_e32 v25, 0, v25, vcc
	v_add_u32_e32 v22, v22, v25
	ds_bpermute_b32 v25, v56, v22
	v_cmp_le_u32_e32 vcc, v57, v24
	s_waitcnt lgkmcnt(0)
	v_cndmask_b32_e32 v25, 0, v25, vcc
	v_add_u32_e32 v22, v22, v25
	ds_bpermute_b32 v25, v58, v22
	v_cmp_le_u32_e32 vcc, v59, v24
	;; [unrolled: 5-line block ×4, first 2 shown]
	s_waitcnt lgkmcnt(0)
	v_cndmask_b32_e32 v24, 0, v25, vcc
	v_add3_u32 v22, v24, v13, v22
.LBB3117_106:                           ; =>This Loop Header: Depth=1
                                        ;     Child Loop BB3117_109 Depth 2
                                        ;       Child Loop BB3117_110 Depth 3
	v_cmp_ne_u16_sdwa s[34:35], v23, v51 src0_sel:BYTE_0 src1_sel:DWORD
	v_cndmask_b32_e64 v13, 0, 1, s[34:35]
	;;#ASMSTART
	;;#ASMEND
	v_cmp_ne_u32_e32 vcc, 0, v13
	s_cmp_lg_u64 vcc, exec
	v_mov_b32_e32 v13, v22
	s_cbranch_scc1 .LBB3117_113
; %bb.107:                              ;   in Loop: Header=BB3117_106 Depth=1
	v_lshlrev_b64 v[22:23], 3, v[14:15]
	v_mov_b32_e32 v25, s29
	v_add_co_u32_e32 v24, vcc, s28, v22
	v_addc_co_u32_e32 v25, vcc, v25, v23, vcc
	global_load_dwordx2 v[22:23], v[24:25], off glc
	s_waitcnt vmcnt(0)
	v_cmp_eq_u16_sdwa s[36:37], v23, v15 src0_sel:BYTE_0 src1_sel:DWORD
	s_and_saveexec_b64 s[34:35], s[36:37]
	s_cbranch_execz .LBB3117_105
; %bb.108:                              ;   in Loop: Header=BB3117_106 Depth=1
	s_mov_b32 s7, 1
	s_mov_b64 s[36:37], 0
.LBB3117_109:                           ;   Parent Loop BB3117_106 Depth=1
                                        ; =>  This Loop Header: Depth=2
                                        ;       Child Loop BB3117_110 Depth 3
	s_max_u32 s38, s7, 1
.LBB3117_110:                           ;   Parent Loop BB3117_106 Depth=1
                                        ;     Parent Loop BB3117_109 Depth=2
                                        ; =>    This Inner Loop Header: Depth=3
	s_add_i32 s38, s38, -1
	s_cmp_eq_u32 s38, 0
	s_sleep 1
	s_cbranch_scc0 .LBB3117_110
; %bb.111:                              ;   in Loop: Header=BB3117_109 Depth=2
	global_load_dwordx2 v[22:23], v[24:25], off glc
	s_cmp_lt_u32 s7, 32
	s_cselect_b64 s[38:39], -1, 0
	s_cmp_lg_u64 s[38:39], 0
	s_addc_u32 s7, s7, 0
	s_waitcnt vmcnt(0)
	v_cmp_ne_u16_sdwa s[38:39], v23, v15 src0_sel:BYTE_0 src1_sel:DWORD
	s_or_b64 s[36:37], s[38:39], s[36:37]
	s_andn2_b64 exec, exec, s[36:37]
	s_cbranch_execnz .LBB3117_109
; %bb.112:                              ;   in Loop: Header=BB3117_106 Depth=1
	s_or_b64 exec, exec, s[36:37]
	s_branch .LBB3117_105
.LBB3117_113:                           ;   in Loop: Header=BB3117_106 Depth=1
                                        ; implicit-def: $vgpr22
                                        ; implicit-def: $vgpr23
	s_cbranch_execz .LBB3117_106
; %bb.114:
	s_and_saveexec_b64 s[34:35], s[16:17]
	s_cbranch_execz .LBB3117_116
; %bb.115:
	s_add_i32 s6, s6, 64
	s_mov_b32 s7, 0
	s_lshl_b64 s[6:7], s[6:7], 3
	s_add_u32 s6, s28, s6
	v_add_u32_e32 v14, v13, v12
	v_mov_b32_e32 v15, 2
	s_addc_u32 s7, s29, s7
	v_mov_b32_e32 v20, 0
	global_store_dwordx2 v20, v[14:15], s[6:7]
	ds_write_b64 v20, v[12:13] offset:10240
.LBB3117_116:
	s_or_b64 exec, exec, s[34:35]
	v_cmp_eq_u32_e32 vcc, 0, v0
	s_and_b64 exec, exec, vcc
	s_cbranch_execz .LBB3117_118
; %bb.117:
	v_mov_b32_e32 v12, 0
	ds_write_b32 v12, v13 offset:12
.LBB3117_118:
	s_or_b64 exec, exec, s[30:31]
	v_mov_b32_e32 v12, 0
	s_waitcnt lgkmcnt(0)
	s_barrier
	ds_read_b32 v15, v12 offset:12
	s_waitcnt lgkmcnt(0)
	s_barrier
	ds_read_b64 v[12:13], v12 offset:10240
	v_cndmask_b32_e64 v14, v50, v49, s[16:17]
	v_cmp_ne_u32_e32 vcc, 0, v0
	v_cndmask_b32_e32 v14, 0, v14, vcc
	v_add_u32_e32 v22, v15, v14
	s_waitcnt lgkmcnt(0)
	v_mov_b32_e32 v14, v13
	s_load_dwordx2 s[4:5], s[4:5], 0x30
	s_branch .LBB3117_129
.LBB3117_119:
                                        ; implicit-def: $vgpr14
                                        ; implicit-def: $vgpr12
                                        ; implicit-def: $vgpr22
	s_load_dwordx2 s[4:5], s[4:5], 0x30
	s_cbranch_execz .LBB3117_129
; %bb.120:
	v_mov_b32_dpp v12, v48 row_shr:1 row_mask:0xf bank_mask:0xf
	v_cndmask_b32_e64 v12, v12, 0, s[14:15]
	v_add_u32_e32 v12, v12, v48
	s_nop 1
	v_mov_b32_dpp v13, v12 row_shr:2 row_mask:0xf bank_mask:0xf
	v_cndmask_b32_e64 v13, 0, v13, s[12:13]
	v_add_u32_e32 v12, v12, v13
	s_nop 1
	;; [unrolled: 4-line block ×4, first 2 shown]
	v_mov_b32_dpp v13, v12 row_bcast:15 row_mask:0xf bank_mask:0xf
	v_cndmask_b32_e64 v13, v13, 0, s[18:19]
	v_add_u32_e32 v12, v12, v13
	s_nop 1
	v_mov_b32_dpp v13, v12 row_bcast:31 row_mask:0xf bank_mask:0xf
	v_cndmask_b32_e64 v13, 0, v13, s[0:1]
	v_add_u32_e32 v12, v12, v13
	s_and_saveexec_b64 s[0:1], s[2:3]
	s_cbranch_execz .LBB3117_122
; %bb.121:
	v_lshlrev_b32_e32 v13, 2, v47
	ds_write_b32 v13, v12
.LBB3117_122:
	s_or_b64 exec, exec, s[0:1]
	v_cmp_gt_u32_e32 vcc, 4, v0
	s_waitcnt lgkmcnt(0)
	s_barrier
	s_and_saveexec_b64 s[0:1], vcc
	s_cbranch_execz .LBB3117_124
; %bb.123:
	v_lshlrev_b32_e32 v13, 2, v0
	ds_read_b32 v14, v13
	v_and_b32_e32 v15, 3, v46
	v_cmp_ne_u32_e32 vcc, 0, v15
	s_waitcnt lgkmcnt(0)
	v_mov_b32_dpp v20, v14 row_shr:1 row_mask:0xf bank_mask:0xf
	v_cndmask_b32_e32 v20, 0, v20, vcc
	v_add_u32_e32 v14, v20, v14
	v_cmp_lt_u32_e32 vcc, 1, v15
	s_nop 0
	v_mov_b32_dpp v20, v14 row_shr:2 row_mask:0xf bank_mask:0xf
	v_cndmask_b32_e32 v15, 0, v20, vcc
	v_add_u32_e32 v14, v14, v15
	ds_write_b32 v13, v14
.LBB3117_124:
	s_or_b64 exec, exec, s[0:1]
	v_cmp_lt_u32_e32 vcc, 63, v0
	v_mov_b32_e32 v13, 0
	v_mov_b32_e32 v14, 0
	s_waitcnt lgkmcnt(0)
	s_barrier
	s_and_saveexec_b64 s[0:1], vcc
	s_cbranch_execz .LBB3117_126
; %bb.125:
	v_lshl_add_u32 v14, v47, 2, -4
	ds_read_b32 v14, v14
.LBB3117_126:
	s_or_b64 exec, exec, s[0:1]
	v_add_u32_e32 v15, -1, v46
	v_and_b32_e32 v20, 64, v46
	v_cmp_lt_i32_e32 vcc, v15, v20
	v_cndmask_b32_e32 v15, v15, v46, vcc
	s_waitcnt lgkmcnt(0)
	v_add_u32_e32 v12, v14, v12
	v_lshlrev_b32_e32 v15, 2, v15
	ds_bpermute_b32 v15, v15, v12
	ds_read_b32 v12, v13 offset:12
	v_cmp_eq_u32_e32 vcc, 0, v0
	s_and_saveexec_b64 s[0:1], vcc
	s_cbranch_execz .LBB3117_128
; %bb.127:
	v_mov_b32_e32 v20, 0
	v_mov_b32_e32 v13, 2
	s_waitcnt lgkmcnt(0)
	global_store_dwordx2 v20, v[12:13], s[28:29] offset:512
.LBB3117_128:
	s_or_b64 exec, exec, s[0:1]
	v_cmp_eq_u32_e64 s[0:1], 0, v46
	s_waitcnt lgkmcnt(1)
	v_cndmask_b32_e64 v13, v15, v14, s[0:1]
	v_mov_b32_e32 v14, 0
	v_cndmask_b32_e64 v22, v13, 0, vcc
	s_waitcnt lgkmcnt(0)
	s_barrier
.LBB3117_129:
	v_add_u32_sdwa v24, v22, v18 dst_sel:DWORD dst_unused:UNUSED_PAD src0_sel:DWORD src1_sel:BYTE_0
	v_add_u32_e32 v26, v12, v26
	v_sub_u32_e32 v22, v22, v14
	v_and_b32_e32 v51, 1, v18
	v_sub_u32_e32 v50, v26, v22
	v_cmp_eq_u32_e32 vcc, 1, v51
	v_cndmask_b32_e32 v22, v50, v22, vcc
	v_lshlrev_b32_e32 v22, 1, v22
	v_lshrrev_b32_e32 v23, 8, v18
	ds_write_b16 v22, v6
	v_sub_u32_e32 v22, v24, v14
	v_add_u32_sdwa v25, v24, v18 dst_sel:DWORD dst_unused:UNUSED_PAD src0_sel:DWORD src1_sel:BYTE_1
	v_sub_u32_e32 v24, v26, v22
	v_and_b32_e32 v23, 1, v23
	v_add_u32_e32 v24, 1, v24
	v_cmp_eq_u32_e32 vcc, 1, v23
	v_cndmask_b32_e32 v22, v24, v22, vcc
	v_lshlrev_b32_e32 v22, 1, v22
	ds_write_b16_d16_hi v22, v6
	v_sub_u32_e32 v6, v25, v14
	v_mov_b32_e32 v23, 1
	v_sub_u32_e32 v22, v26, v6
	v_and_b32_sdwa v18, v23, v18 dst_sel:DWORD dst_unused:UNUSED_PAD src0_sel:DWORD src1_sel:WORD_1
	v_add_u32_e32 v22, 2, v22
	v_cmp_eq_u32_e32 vcc, 1, v18
	v_cndmask_b32_e32 v6, v22, v6, vcc
	v_add_u32_e32 v45, v25, v45
	v_lshlrev_b32_e32 v6, 1, v6
	ds_write_b16 v6, v7
	v_sub_u32_e32 v6, v45, v14
	v_sub_u32_e32 v18, v26, v6
	v_and_b32_e32 v22, 1, v33
	v_add_u32_e32 v18, 3, v18
	v_cmp_eq_u32_e32 vcc, 1, v22
	v_cndmask_b32_e32 v6, v18, v6, vcc
	v_add_u32_e32 v46, v45, v33
	v_lshlrev_b32_e32 v6, 1, v6
	ds_write_b16_d16_hi v6, v7
	v_sub_u32_e32 v6, v46, v14
	v_sub_u32_e32 v7, v26, v6
	v_and_b32_e32 v18, 1, v19
	v_add_u32_e32 v7, 4, v7
	v_cmp_eq_u32_e32 vcc, 1, v18
	v_cndmask_b32_e32 v6, v7, v6, vcc
	v_add_u32_e32 v42, v46, v42
	v_lshlrev_b32_e32 v6, 1, v6
	v_lshrrev_b32_e32 v21, 8, v19
	ds_write_b16 v6, v8
	v_sub_u32_e32 v6, v42, v14
	v_sub_u32_e32 v7, v26, v6
	v_and_b32_e32 v18, 1, v21
	v_add_u32_e32 v7, 5, v7
	v_cmp_eq_u32_e32 vcc, 1, v18
	v_cndmask_b32_e32 v6, v7, v6, vcc
	v_add_u32_e32 v43, v42, v43
	v_lshlrev_b32_e32 v6, 1, v6
	ds_write_b16_d16_hi v6, v8
	v_sub_u32_e32 v6, v43, v14
	v_sub_u32_e32 v7, v26, v6
	v_and_b32_sdwa v8, v23, v19 dst_sel:DWORD dst_unused:UNUSED_PAD src0_sel:DWORD src1_sel:WORD_1
	v_add_u32_e32 v7, 6, v7
	v_cmp_eq_u32_e32 vcc, 1, v8
	v_cndmask_b32_e32 v6, v7, v6, vcc
	v_add_u32_e32 v44, v43, v44
	v_lshlrev_b32_e32 v6, 1, v6
	ds_write_b16 v6, v9
	v_sub_u32_e32 v6, v44, v14
	v_sub_u32_e32 v7, v26, v6
	v_and_b32_e32 v8, 1, v32
	v_add_u32_e32 v7, 7, v7
	v_cmp_eq_u32_e32 vcc, 1, v8
	v_cndmask_b32_e32 v6, v7, v6, vcc
	v_add_u32_e32 v47, v44, v32
	v_lshlrev_b32_e32 v6, 1, v6
	ds_write_b16_d16_hi v6, v9
	v_sub_u32_e32 v6, v47, v14
	v_sub_u32_e32 v7, v26, v6
	v_and_b32_e32 v8, 1, v16
	v_add_u32_e32 v7, 8, v7
	v_cmp_eq_u32_e32 vcc, 1, v8
	v_cndmask_b32_e32 v6, v7, v6, vcc
	v_add_u32_e32 v39, v47, v39
	v_lshlrev_b32_e32 v6, 1, v6
	v_lshrrev_b32_e32 v20, 8, v16
	ds_write_b16 v6, v2
	v_sub_u32_e32 v6, v39, v14
	v_sub_u32_e32 v7, v26, v6
	v_and_b32_e32 v8, 1, v20
	v_add_u32_e32 v7, 9, v7
	v_cmp_eq_u32_e32 vcc, 1, v8
	v_cndmask_b32_e32 v6, v7, v6, vcc
	v_add_u32_e32 v40, v39, v40
	v_lshlrev_b32_e32 v6, 1, v6
	ds_write_b16_d16_hi v6, v2
	v_sub_u32_e32 v2, v40, v14
	;; [unrolled: 37-line block ×4, first 2 shown]
	v_sub_u32_e32 v3, v26, v2
	v_and_b32_sdwa v4, v23, v28 dst_sel:DWORD dst_unused:UNUSED_PAD src0_sel:DWORD src1_sel:WORD_1
	v_add_u32_e32 v3, 18, v3
	v_cmp_eq_u32_e32 vcc, 1, v4
	v_cndmask_b32_e32 v2, v3, v2, vcc
	v_lshlrev_b32_e32 v2, 1, v2
	ds_write_b16 v2, v11
	v_sub_u32_e32 v2, v29, v14
	v_add_u32_e32 v2, v35, v2
	v_sub_u32_e32 v3, v26, v2
	v_and_b32_e32 v4, 1, v27
	v_add_u32_e32 v3, 19, v3
	v_cmp_eq_u32_e32 vcc, 1, v4
	v_cndmask_b32_e32 v2, v3, v2, vcc
	v_lshlrev_b32_e32 v2, 1, v2
	ds_write_b16_d16_hi v2, v11
	s_waitcnt lgkmcnt(0)
	s_barrier
	ds_read_u16 v45, v1
	ds_read_u16 v44, v1 offset:512
	ds_read_u16 v42, v1 offset:1024
	;; [unrolled: 1-line block ×19, first 2 shown]
	v_or_b32_e32 v43, 0x100, v0
	v_or_b32_e32 v41, 0x200, v0
	;; [unrolled: 1-line block ×18, first 2 shown]
	s_andn2_b64 vcc, exec, s[26:27]
	v_or_b32_e32 v5, 0x1300, v0
	s_cbranch_vccnz .LBB3117_151
; %bb.130:
	s_lshl_b64 s[0:1], s[22:23], 1
	v_mov_b32_e32 v15, 0
	s_add_u32 s0, s4, s0
	s_addc_u32 s1, s5, s1
	v_lshlrev_b64 v[2:3], 1, v[14:15]
	v_mov_b32_e32 v15, s1
	v_add_co_u32_e32 v2, vcc, s0, v2
	v_addc_co_u32_e32 v3, vcc, v15, v3, vcc
	v_cmp_lt_u32_e32 vcc, v0, v12
	s_and_saveexec_b64 s[0:1], vcc
	s_cbranch_execnz .LBB3117_178
; %bb.131:
	s_or_b64 exec, exec, s[0:1]
	v_cmp_lt_u32_e32 vcc, v43, v12
	s_and_saveexec_b64 s[0:1], vcc
	s_cbranch_execnz .LBB3117_179
.LBB3117_132:
	s_or_b64 exec, exec, s[0:1]
	v_cmp_lt_u32_e32 vcc, v41, v12
	s_and_saveexec_b64 s[0:1], vcc
	s_cbranch_execnz .LBB3117_180
.LBB3117_133:
	s_or_b64 exec, exec, s[0:1]
	v_cmp_lt_u32_e32 vcc, v39, v12
	s_and_saveexec_b64 s[0:1], vcc
	s_cbranch_execnz .LBB3117_181
.LBB3117_134:
	s_or_b64 exec, exec, s[0:1]
	v_cmp_lt_u32_e32 vcc, v37, v12
	s_and_saveexec_b64 s[0:1], vcc
	s_cbranch_execnz .LBB3117_182
.LBB3117_135:
	s_or_b64 exec, exec, s[0:1]
	v_cmp_lt_u32_e32 vcc, v36, v12
	s_and_saveexec_b64 s[0:1], vcc
	s_cbranch_execnz .LBB3117_183
.LBB3117_136:
	s_or_b64 exec, exec, s[0:1]
	v_cmp_lt_u32_e32 vcc, v34, v12
	s_and_saveexec_b64 s[0:1], vcc
	s_cbranch_execnz .LBB3117_184
.LBB3117_137:
	s_or_b64 exec, exec, s[0:1]
	v_cmp_lt_u32_e32 vcc, v32, v12
	s_and_saveexec_b64 s[0:1], vcc
	s_cbranch_execnz .LBB3117_185
.LBB3117_138:
	s_or_b64 exec, exec, s[0:1]
	v_cmp_lt_u32_e32 vcc, v29, v12
	s_and_saveexec_b64 s[0:1], vcc
	s_cbranch_execnz .LBB3117_186
.LBB3117_139:
	s_or_b64 exec, exec, s[0:1]
	v_cmp_lt_u32_e32 vcc, v27, v12
	s_and_saveexec_b64 s[0:1], vcc
	s_cbranch_execnz .LBB3117_187
.LBB3117_140:
	s_or_b64 exec, exec, s[0:1]
	v_cmp_lt_u32_e32 vcc, v25, v12
	s_and_saveexec_b64 s[0:1], vcc
	s_cbranch_execnz .LBB3117_188
.LBB3117_141:
	s_or_b64 exec, exec, s[0:1]
	v_cmp_lt_u32_e32 vcc, v23, v12
	s_and_saveexec_b64 s[0:1], vcc
	s_cbranch_execnz .LBB3117_189
.LBB3117_142:
	s_or_b64 exec, exec, s[0:1]
	v_cmp_lt_u32_e32 vcc, v21, v12
	s_and_saveexec_b64 s[0:1], vcc
	s_cbranch_execnz .LBB3117_190
.LBB3117_143:
	s_or_b64 exec, exec, s[0:1]
	v_cmp_lt_u32_e32 vcc, v19, v12
	s_and_saveexec_b64 s[0:1], vcc
	s_cbranch_execnz .LBB3117_191
.LBB3117_144:
	s_or_b64 exec, exec, s[0:1]
	v_cmp_lt_u32_e32 vcc, v17, v12
	s_and_saveexec_b64 s[0:1], vcc
	s_cbranch_execnz .LBB3117_192
.LBB3117_145:
	s_or_b64 exec, exec, s[0:1]
	v_cmp_lt_u32_e32 vcc, v13, v12
	s_and_saveexec_b64 s[0:1], vcc
	s_cbranch_execnz .LBB3117_193
.LBB3117_146:
	s_or_b64 exec, exec, s[0:1]
	v_cmp_lt_u32_e32 vcc, v11, v12
	s_and_saveexec_b64 s[0:1], vcc
	s_cbranch_execnz .LBB3117_194
.LBB3117_147:
	s_or_b64 exec, exec, s[0:1]
	v_cmp_lt_u32_e32 vcc, v9, v12
	s_and_saveexec_b64 s[0:1], vcc
	s_cbranch_execnz .LBB3117_195
.LBB3117_148:
	s_or_b64 exec, exec, s[0:1]
	v_cmp_lt_u32_e32 vcc, v7, v12
	s_and_saveexec_b64 s[0:1], vcc
	s_cbranch_execz .LBB3117_150
.LBB3117_149:
	v_lshlrev_b32_e32 v15, 1, v7
	v_readfirstlane_b32 s2, v2
	v_readfirstlane_b32 s3, v3
	s_waitcnt lgkmcnt(1)
	s_nop 3
	global_store_short v15, v6, s[2:3]
.LBB3117_150:
	s_or_b64 exec, exec, s[0:1]
	v_cmp_lt_u32_e64 s[0:1], v5, v12
	s_branch .LBB3117_173
.LBB3117_151:
	s_mov_b64 s[0:1], 0
                                        ; implicit-def: $vgpr2_vgpr3
	s_cbranch_execz .LBB3117_173
; %bb.152:
	s_lshl_b64 s[0:1], s[22:23], 1
	v_mov_b32_e32 v15, 0
	s_add_u32 s0, s4, s0
	s_addc_u32 s1, s5, s1
	v_lshlrev_b64 v[2:3], 1, v[14:15]
	v_mov_b32_e32 v15, s1
	v_add_co_u32_e32 v2, vcc, s0, v2
	v_min_u32_e32 v46, s33, v12
	v_addc_co_u32_e32 v3, vcc, v15, v3, vcc
	v_cmp_gt_u32_e32 vcc, v46, v0
	s_and_saveexec_b64 s[0:1], vcc
	s_cbranch_execnz .LBB3117_196
; %bb.153:
	s_or_b64 exec, exec, s[0:1]
	v_cmp_lt_u32_e32 vcc, v43, v46
	s_and_saveexec_b64 s[0:1], vcc
	s_cbranch_execnz .LBB3117_197
.LBB3117_154:
	s_or_b64 exec, exec, s[0:1]
	v_cmp_lt_u32_e32 vcc, v41, v46
	s_and_saveexec_b64 s[0:1], vcc
	s_cbranch_execnz .LBB3117_198
.LBB3117_155:
	s_or_b64 exec, exec, s[0:1]
	v_cmp_lt_u32_e32 vcc, v39, v46
	s_and_saveexec_b64 s[0:1], vcc
	s_cbranch_execnz .LBB3117_199
.LBB3117_156:
	s_or_b64 exec, exec, s[0:1]
	v_cmp_lt_u32_e32 vcc, v37, v46
	s_and_saveexec_b64 s[0:1], vcc
	s_cbranch_execnz .LBB3117_200
.LBB3117_157:
	s_or_b64 exec, exec, s[0:1]
	v_cmp_lt_u32_e32 vcc, v36, v46
	s_and_saveexec_b64 s[0:1], vcc
	s_cbranch_execnz .LBB3117_201
.LBB3117_158:
	s_or_b64 exec, exec, s[0:1]
	v_cmp_lt_u32_e32 vcc, v34, v46
	s_and_saveexec_b64 s[0:1], vcc
	s_cbranch_execnz .LBB3117_202
.LBB3117_159:
	s_or_b64 exec, exec, s[0:1]
	v_cmp_lt_u32_e32 vcc, v32, v46
	s_and_saveexec_b64 s[0:1], vcc
	s_cbranch_execnz .LBB3117_203
.LBB3117_160:
	s_or_b64 exec, exec, s[0:1]
	v_cmp_lt_u32_e32 vcc, v29, v46
	s_and_saveexec_b64 s[0:1], vcc
	s_cbranch_execnz .LBB3117_204
.LBB3117_161:
	s_or_b64 exec, exec, s[0:1]
	v_cmp_lt_u32_e32 vcc, v27, v46
	s_and_saveexec_b64 s[0:1], vcc
	s_cbranch_execnz .LBB3117_205
.LBB3117_162:
	s_or_b64 exec, exec, s[0:1]
	v_cmp_lt_u32_e32 vcc, v25, v46
	s_and_saveexec_b64 s[0:1], vcc
	s_cbranch_execnz .LBB3117_206
.LBB3117_163:
	s_or_b64 exec, exec, s[0:1]
	v_cmp_lt_u32_e32 vcc, v23, v46
	s_and_saveexec_b64 s[0:1], vcc
	s_cbranch_execnz .LBB3117_207
.LBB3117_164:
	s_or_b64 exec, exec, s[0:1]
	v_cmp_lt_u32_e32 vcc, v21, v46
	s_and_saveexec_b64 s[0:1], vcc
	s_cbranch_execnz .LBB3117_208
.LBB3117_165:
	s_or_b64 exec, exec, s[0:1]
	v_cmp_lt_u32_e32 vcc, v19, v46
	s_and_saveexec_b64 s[0:1], vcc
	s_cbranch_execnz .LBB3117_209
.LBB3117_166:
	s_or_b64 exec, exec, s[0:1]
	v_cmp_lt_u32_e32 vcc, v17, v46
	s_and_saveexec_b64 s[0:1], vcc
	s_cbranch_execnz .LBB3117_210
.LBB3117_167:
	s_or_b64 exec, exec, s[0:1]
	v_cmp_lt_u32_e32 vcc, v13, v46
	s_and_saveexec_b64 s[0:1], vcc
	s_cbranch_execnz .LBB3117_211
.LBB3117_168:
	s_or_b64 exec, exec, s[0:1]
	v_cmp_lt_u32_e32 vcc, v11, v46
	s_and_saveexec_b64 s[0:1], vcc
	s_cbranch_execnz .LBB3117_212
.LBB3117_169:
	s_or_b64 exec, exec, s[0:1]
	v_cmp_lt_u32_e32 vcc, v9, v46
	s_and_saveexec_b64 s[0:1], vcc
	s_cbranch_execnz .LBB3117_213
.LBB3117_170:
	s_or_b64 exec, exec, s[0:1]
	v_cmp_lt_u32_e32 vcc, v7, v46
	s_and_saveexec_b64 s[0:1], vcc
	s_cbranch_execz .LBB3117_172
.LBB3117_171:
	v_lshlrev_b32_e32 v1, 1, v7
	v_readfirstlane_b32 s2, v2
	v_readfirstlane_b32 s3, v3
	s_waitcnt lgkmcnt(1)
	s_nop 3
	global_store_short v1, v6, s[2:3]
.LBB3117_172:
	s_or_b64 exec, exec, s[0:1]
	v_cmp_lt_u32_e64 s[0:1], v5, v46
.LBB3117_173:
	s_and_saveexec_b64 s[2:3], s[0:1]
	s_cbranch_execz .LBB3117_175
; %bb.174:
	v_lshlrev_b32_e32 v1, 1, v5
	v_readfirstlane_b32 s0, v2
	v_readfirstlane_b32 s1, v3
	s_waitcnt lgkmcnt(0)
	s_nop 3
	global_store_short v1, v4, s[0:1]
.LBB3117_175:
	s_or_b64 exec, exec, s[2:3]
	v_cmp_eq_u32_e32 vcc, 0, v0
	s_and_b64 s[0:1], vcc, s[24:25]
	s_and_saveexec_b64 s[2:3], s[0:1]
	s_cbranch_execz .LBB3117_177
; %bb.176:
	v_mov_b32_e32 v0, s23
	v_add_co_u32_e32 v1, vcc, s22, v12
	v_addc_co_u32_e32 v3, vcc, 0, v0, vcc
	v_add_co_u32_e32 v0, vcc, v1, v14
	v_mov_b32_e32 v2, 0
	v_addc_co_u32_e32 v1, vcc, 0, v3, vcc
	global_store_dwordx2 v2, v[0:1], s[20:21]
.LBB3117_177:
	s_endpgm
.LBB3117_178:
	v_readfirstlane_b32 s2, v2
	v_readfirstlane_b32 s3, v3
	s_waitcnt lgkmcnt(14)
	s_nop 3
	global_store_short v1, v45, s[2:3]
	s_or_b64 exec, exec, s[0:1]
	v_cmp_lt_u32_e32 vcc, v43, v12
	s_and_saveexec_b64 s[0:1], vcc
	s_cbranch_execz .LBB3117_132
.LBB3117_179:
	v_readfirstlane_b32 s2, v2
	v_readfirstlane_b32 s3, v3
	s_waitcnt lgkmcnt(14)
	s_nop 3
	global_store_short v1, v44, s[2:3] offset:512
	s_or_b64 exec, exec, s[0:1]
	v_cmp_lt_u32_e32 vcc, v41, v12
	s_and_saveexec_b64 s[0:1], vcc
	s_cbranch_execz .LBB3117_133
.LBB3117_180:
	v_readfirstlane_b32 s2, v2
	v_readfirstlane_b32 s3, v3
	s_waitcnt lgkmcnt(14)
	s_nop 3
	global_store_short v1, v42, s[2:3] offset:1024
	s_or_b64 exec, exec, s[0:1]
	v_cmp_lt_u32_e32 vcc, v39, v12
	s_and_saveexec_b64 s[0:1], vcc
	s_cbranch_execz .LBB3117_134
.LBB3117_181:
	v_readfirstlane_b32 s2, v2
	v_readfirstlane_b32 s3, v3
	s_waitcnt lgkmcnt(14)
	s_nop 3
	global_store_short v1, v40, s[2:3] offset:1536
	s_or_b64 exec, exec, s[0:1]
	v_cmp_lt_u32_e32 vcc, v37, v12
	s_and_saveexec_b64 s[0:1], vcc
	s_cbranch_execz .LBB3117_135
.LBB3117_182:
	v_readfirstlane_b32 s2, v2
	v_readfirstlane_b32 s3, v3
	s_waitcnt lgkmcnt(14)
	s_nop 3
	global_store_short v1, v38, s[2:3] offset:2048
	s_or_b64 exec, exec, s[0:1]
	v_cmp_lt_u32_e32 vcc, v36, v12
	s_and_saveexec_b64 s[0:1], vcc
	s_cbranch_execz .LBB3117_136
.LBB3117_183:
	v_readfirstlane_b32 s2, v2
	v_readfirstlane_b32 s3, v3
	s_waitcnt lgkmcnt(14)
	s_nop 3
	global_store_short v1, v35, s[2:3] offset:2560
	s_or_b64 exec, exec, s[0:1]
	v_cmp_lt_u32_e32 vcc, v34, v12
	s_and_saveexec_b64 s[0:1], vcc
	s_cbranch_execz .LBB3117_137
.LBB3117_184:
	v_readfirstlane_b32 s2, v2
	v_readfirstlane_b32 s3, v3
	s_waitcnt lgkmcnt(13)
	s_nop 3
	global_store_short v1, v33, s[2:3] offset:3072
	s_or_b64 exec, exec, s[0:1]
	v_cmp_lt_u32_e32 vcc, v32, v12
	s_and_saveexec_b64 s[0:1], vcc
	s_cbranch_execz .LBB3117_138
.LBB3117_185:
	v_readfirstlane_b32 s2, v2
	v_readfirstlane_b32 s3, v3
	s_waitcnt lgkmcnt(12)
	s_nop 3
	global_store_short v1, v30, s[2:3] offset:3584
	s_or_b64 exec, exec, s[0:1]
	v_cmp_lt_u32_e32 vcc, v29, v12
	s_and_saveexec_b64 s[0:1], vcc
	s_cbranch_execz .LBB3117_139
.LBB3117_186:
	v_lshlrev_b32_e32 v15, 1, v29
	v_readfirstlane_b32 s2, v2
	v_readfirstlane_b32 s3, v3
	s_waitcnt lgkmcnt(11)
	s_nop 3
	global_store_short v15, v31, s[2:3]
	s_or_b64 exec, exec, s[0:1]
	v_cmp_lt_u32_e32 vcc, v27, v12
	s_and_saveexec_b64 s[0:1], vcc
	s_cbranch_execz .LBB3117_140
.LBB3117_187:
	v_lshlrev_b32_e32 v15, 1, v27
	v_readfirstlane_b32 s2, v2
	v_readfirstlane_b32 s3, v3
	s_waitcnt lgkmcnt(10)
	s_nop 3
	global_store_short v15, v28, s[2:3]
	s_or_b64 exec, exec, s[0:1]
	v_cmp_lt_u32_e32 vcc, v25, v12
	s_and_saveexec_b64 s[0:1], vcc
	s_cbranch_execz .LBB3117_141
.LBB3117_188:
	v_lshlrev_b32_e32 v15, 1, v25
	v_readfirstlane_b32 s2, v2
	v_readfirstlane_b32 s3, v3
	s_waitcnt lgkmcnt(9)
	s_nop 3
	global_store_short v15, v26, s[2:3]
	s_or_b64 exec, exec, s[0:1]
	v_cmp_lt_u32_e32 vcc, v23, v12
	s_and_saveexec_b64 s[0:1], vcc
	s_cbranch_execz .LBB3117_142
.LBB3117_189:
	v_lshlrev_b32_e32 v15, 1, v23
	v_readfirstlane_b32 s2, v2
	v_readfirstlane_b32 s3, v3
	s_waitcnt lgkmcnt(8)
	s_nop 3
	global_store_short v15, v24, s[2:3]
	s_or_b64 exec, exec, s[0:1]
	v_cmp_lt_u32_e32 vcc, v21, v12
	s_and_saveexec_b64 s[0:1], vcc
	s_cbranch_execz .LBB3117_143
.LBB3117_190:
	v_lshlrev_b32_e32 v15, 1, v21
	v_readfirstlane_b32 s2, v2
	v_readfirstlane_b32 s3, v3
	s_waitcnt lgkmcnt(7)
	s_nop 3
	global_store_short v15, v22, s[2:3]
	s_or_b64 exec, exec, s[0:1]
	v_cmp_lt_u32_e32 vcc, v19, v12
	s_and_saveexec_b64 s[0:1], vcc
	s_cbranch_execz .LBB3117_144
.LBB3117_191:
	v_lshlrev_b32_e32 v15, 1, v19
	v_readfirstlane_b32 s2, v2
	v_readfirstlane_b32 s3, v3
	s_waitcnt lgkmcnt(6)
	s_nop 3
	global_store_short v15, v20, s[2:3]
	s_or_b64 exec, exec, s[0:1]
	v_cmp_lt_u32_e32 vcc, v17, v12
	s_and_saveexec_b64 s[0:1], vcc
	s_cbranch_execz .LBB3117_145
.LBB3117_192:
	v_lshlrev_b32_e32 v15, 1, v17
	v_readfirstlane_b32 s2, v2
	v_readfirstlane_b32 s3, v3
	s_waitcnt lgkmcnt(5)
	s_nop 3
	global_store_short v15, v18, s[2:3]
	s_or_b64 exec, exec, s[0:1]
	v_cmp_lt_u32_e32 vcc, v13, v12
	s_and_saveexec_b64 s[0:1], vcc
	s_cbranch_execz .LBB3117_146
.LBB3117_193:
	v_lshlrev_b32_e32 v15, 1, v13
	v_readfirstlane_b32 s2, v2
	v_readfirstlane_b32 s3, v3
	s_waitcnt lgkmcnt(4)
	s_nop 3
	global_store_short v15, v16, s[2:3]
	s_or_b64 exec, exec, s[0:1]
	v_cmp_lt_u32_e32 vcc, v11, v12
	s_and_saveexec_b64 s[0:1], vcc
	s_cbranch_execz .LBB3117_147
.LBB3117_194:
	v_lshlrev_b32_e32 v15, 1, v11
	v_readfirstlane_b32 s2, v2
	v_readfirstlane_b32 s3, v3
	s_waitcnt lgkmcnt(3)
	s_nop 3
	global_store_short v15, v10, s[2:3]
	s_or_b64 exec, exec, s[0:1]
	v_cmp_lt_u32_e32 vcc, v9, v12
	s_and_saveexec_b64 s[0:1], vcc
	s_cbranch_execz .LBB3117_148
.LBB3117_195:
	v_lshlrev_b32_e32 v15, 1, v9
	v_readfirstlane_b32 s2, v2
	v_readfirstlane_b32 s3, v3
	s_waitcnt lgkmcnt(2)
	s_nop 3
	global_store_short v15, v8, s[2:3]
	s_or_b64 exec, exec, s[0:1]
	v_cmp_lt_u32_e32 vcc, v7, v12
	s_and_saveexec_b64 s[0:1], vcc
	s_cbranch_execnz .LBB3117_149
	s_branch .LBB3117_150
.LBB3117_196:
	v_readfirstlane_b32 s2, v2
	v_readfirstlane_b32 s3, v3
	s_waitcnt lgkmcnt(14)
	s_nop 3
	global_store_short v1, v45, s[2:3]
	s_or_b64 exec, exec, s[0:1]
	v_cmp_lt_u32_e32 vcc, v43, v46
	s_and_saveexec_b64 s[0:1], vcc
	s_cbranch_execz .LBB3117_154
.LBB3117_197:
	v_readfirstlane_b32 s2, v2
	v_readfirstlane_b32 s3, v3
	s_waitcnt lgkmcnt(14)
	s_nop 3
	global_store_short v1, v44, s[2:3] offset:512
	s_or_b64 exec, exec, s[0:1]
	v_cmp_lt_u32_e32 vcc, v41, v46
	s_and_saveexec_b64 s[0:1], vcc
	s_cbranch_execz .LBB3117_155
.LBB3117_198:
	v_readfirstlane_b32 s2, v2
	v_readfirstlane_b32 s3, v3
	s_waitcnt lgkmcnt(14)
	s_nop 3
	global_store_short v1, v42, s[2:3] offset:1024
	s_or_b64 exec, exec, s[0:1]
	v_cmp_lt_u32_e32 vcc, v39, v46
	s_and_saveexec_b64 s[0:1], vcc
	s_cbranch_execz .LBB3117_156
.LBB3117_199:
	v_readfirstlane_b32 s2, v2
	v_readfirstlane_b32 s3, v3
	s_waitcnt lgkmcnt(14)
	s_nop 3
	global_store_short v1, v40, s[2:3] offset:1536
	s_or_b64 exec, exec, s[0:1]
	v_cmp_lt_u32_e32 vcc, v37, v46
	s_and_saveexec_b64 s[0:1], vcc
	s_cbranch_execz .LBB3117_157
.LBB3117_200:
	v_readfirstlane_b32 s2, v2
	v_readfirstlane_b32 s3, v3
	s_waitcnt lgkmcnt(14)
	s_nop 3
	global_store_short v1, v38, s[2:3] offset:2048
	s_or_b64 exec, exec, s[0:1]
	v_cmp_lt_u32_e32 vcc, v36, v46
	s_and_saveexec_b64 s[0:1], vcc
	s_cbranch_execz .LBB3117_158
.LBB3117_201:
	v_readfirstlane_b32 s2, v2
	v_readfirstlane_b32 s3, v3
	s_waitcnt lgkmcnt(14)
	s_nop 3
	global_store_short v1, v35, s[2:3] offset:2560
	s_or_b64 exec, exec, s[0:1]
	v_cmp_lt_u32_e32 vcc, v34, v46
	s_and_saveexec_b64 s[0:1], vcc
	s_cbranch_execz .LBB3117_159
.LBB3117_202:
	v_readfirstlane_b32 s2, v2
	v_readfirstlane_b32 s3, v3
	s_waitcnt lgkmcnt(13)
	s_nop 3
	global_store_short v1, v33, s[2:3] offset:3072
	s_or_b64 exec, exec, s[0:1]
	v_cmp_lt_u32_e32 vcc, v32, v46
	s_and_saveexec_b64 s[0:1], vcc
	s_cbranch_execz .LBB3117_160
.LBB3117_203:
	v_readfirstlane_b32 s2, v2
	v_readfirstlane_b32 s3, v3
	s_waitcnt lgkmcnt(12)
	s_nop 3
	global_store_short v1, v30, s[2:3] offset:3584
	s_or_b64 exec, exec, s[0:1]
	v_cmp_lt_u32_e32 vcc, v29, v46
	s_and_saveexec_b64 s[0:1], vcc
	s_cbranch_execz .LBB3117_161
.LBB3117_204:
	v_lshlrev_b32_e32 v1, 1, v29
	v_readfirstlane_b32 s2, v2
	v_readfirstlane_b32 s3, v3
	s_waitcnt lgkmcnt(11)
	s_nop 3
	global_store_short v1, v31, s[2:3]
	s_or_b64 exec, exec, s[0:1]
	v_cmp_lt_u32_e32 vcc, v27, v46
	s_and_saveexec_b64 s[0:1], vcc
	s_cbranch_execz .LBB3117_162
.LBB3117_205:
	v_lshlrev_b32_e32 v1, 1, v27
	v_readfirstlane_b32 s2, v2
	v_readfirstlane_b32 s3, v3
	s_waitcnt lgkmcnt(10)
	s_nop 3
	global_store_short v1, v28, s[2:3]
	s_or_b64 exec, exec, s[0:1]
	v_cmp_lt_u32_e32 vcc, v25, v46
	s_and_saveexec_b64 s[0:1], vcc
	s_cbranch_execz .LBB3117_163
.LBB3117_206:
	v_lshlrev_b32_e32 v1, 1, v25
	v_readfirstlane_b32 s2, v2
	v_readfirstlane_b32 s3, v3
	s_waitcnt lgkmcnt(9)
	s_nop 3
	global_store_short v1, v26, s[2:3]
	s_or_b64 exec, exec, s[0:1]
	v_cmp_lt_u32_e32 vcc, v23, v46
	s_and_saveexec_b64 s[0:1], vcc
	s_cbranch_execz .LBB3117_164
.LBB3117_207:
	v_lshlrev_b32_e32 v1, 1, v23
	v_readfirstlane_b32 s2, v2
	v_readfirstlane_b32 s3, v3
	s_waitcnt lgkmcnt(8)
	s_nop 3
	global_store_short v1, v24, s[2:3]
	s_or_b64 exec, exec, s[0:1]
	v_cmp_lt_u32_e32 vcc, v21, v46
	s_and_saveexec_b64 s[0:1], vcc
	s_cbranch_execz .LBB3117_165
.LBB3117_208:
	v_lshlrev_b32_e32 v1, 1, v21
	v_readfirstlane_b32 s2, v2
	v_readfirstlane_b32 s3, v3
	s_waitcnt lgkmcnt(7)
	s_nop 3
	global_store_short v1, v22, s[2:3]
	s_or_b64 exec, exec, s[0:1]
	v_cmp_lt_u32_e32 vcc, v19, v46
	s_and_saveexec_b64 s[0:1], vcc
	s_cbranch_execz .LBB3117_166
.LBB3117_209:
	v_lshlrev_b32_e32 v1, 1, v19
	v_readfirstlane_b32 s2, v2
	v_readfirstlane_b32 s3, v3
	s_waitcnt lgkmcnt(6)
	s_nop 3
	global_store_short v1, v20, s[2:3]
	s_or_b64 exec, exec, s[0:1]
	v_cmp_lt_u32_e32 vcc, v17, v46
	s_and_saveexec_b64 s[0:1], vcc
	s_cbranch_execz .LBB3117_167
.LBB3117_210:
	v_lshlrev_b32_e32 v1, 1, v17
	v_readfirstlane_b32 s2, v2
	v_readfirstlane_b32 s3, v3
	s_waitcnt lgkmcnt(5)
	s_nop 3
	global_store_short v1, v18, s[2:3]
	s_or_b64 exec, exec, s[0:1]
	v_cmp_lt_u32_e32 vcc, v13, v46
	s_and_saveexec_b64 s[0:1], vcc
	s_cbranch_execz .LBB3117_168
.LBB3117_211:
	v_lshlrev_b32_e32 v1, 1, v13
	v_readfirstlane_b32 s2, v2
	v_readfirstlane_b32 s3, v3
	s_waitcnt lgkmcnt(4)
	s_nop 3
	global_store_short v1, v16, s[2:3]
	s_or_b64 exec, exec, s[0:1]
	v_cmp_lt_u32_e32 vcc, v11, v46
	s_and_saveexec_b64 s[0:1], vcc
	s_cbranch_execz .LBB3117_169
.LBB3117_212:
	v_lshlrev_b32_e32 v1, 1, v11
	v_readfirstlane_b32 s2, v2
	v_readfirstlane_b32 s3, v3
	s_waitcnt lgkmcnt(3)
	s_nop 3
	global_store_short v1, v10, s[2:3]
	s_or_b64 exec, exec, s[0:1]
	v_cmp_lt_u32_e32 vcc, v9, v46
	s_and_saveexec_b64 s[0:1], vcc
	s_cbranch_execz .LBB3117_170
.LBB3117_213:
	v_lshlrev_b32_e32 v1, 1, v9
	v_readfirstlane_b32 s2, v2
	v_readfirstlane_b32 s3, v3
	s_waitcnt lgkmcnt(2)
	s_nop 3
	global_store_short v1, v8, s[2:3]
	s_or_b64 exec, exec, s[0:1]
	v_cmp_lt_u32_e32 vcc, v7, v46
	s_and_saveexec_b64 s[0:1], vcc
	s_cbranch_execnz .LBB3117_171
	s_branch .LBB3117_172
	.section	.rodata,"a",@progbits
	.p2align	6, 0x0
	.amdhsa_kernel _ZN7rocprim17ROCPRIM_400000_NS6detail17trampoline_kernelINS0_14default_configENS1_25partition_config_selectorILNS1_17partition_subalgoE1EtNS0_10empty_typeEbEEZZNS1_14partition_implILS5_1ELb0ES3_jN6thrust23THRUST_200600_302600_NS6detail15normal_iteratorINSA_10device_ptrItEEEEPS6_NSA_18transform_iteratorI7is_evenItESF_NSA_11use_defaultESK_EENS0_5tupleIJSF_NSA_16discard_iteratorISK_EEEEENSM_IJSG_SG_EEES6_PlJS6_EEE10hipError_tPvRmT3_T4_T5_T6_T7_T9_mT8_P12ihipStream_tbDpT10_ENKUlT_T0_E_clISt17integral_constantIbLb1EES1A_IbLb0EEEEDaS16_S17_EUlS16_E_NS1_11comp_targetILNS1_3genE4ELNS1_11target_archE910ELNS1_3gpuE8ELNS1_3repE0EEENS1_30default_config_static_selectorELNS0_4arch9wavefront6targetE1EEEvT1_
		.amdhsa_group_segment_fixed_size 10248
		.amdhsa_private_segment_fixed_size 0
		.amdhsa_kernarg_size 136
		.amdhsa_user_sgpr_count 6
		.amdhsa_user_sgpr_private_segment_buffer 1
		.amdhsa_user_sgpr_dispatch_ptr 0
		.amdhsa_user_sgpr_queue_ptr 0
		.amdhsa_user_sgpr_kernarg_segment_ptr 1
		.amdhsa_user_sgpr_dispatch_id 0
		.amdhsa_user_sgpr_flat_scratch_init 0
		.amdhsa_user_sgpr_kernarg_preload_length 0
		.amdhsa_user_sgpr_kernarg_preload_offset 0
		.amdhsa_user_sgpr_private_segment_size 0
		.amdhsa_uses_dynamic_stack 0
		.amdhsa_system_sgpr_private_segment_wavefront_offset 0
		.amdhsa_system_sgpr_workgroup_id_x 1
		.amdhsa_system_sgpr_workgroup_id_y 0
		.amdhsa_system_sgpr_workgroup_id_z 0
		.amdhsa_system_sgpr_workgroup_info 0
		.amdhsa_system_vgpr_workitem_id 0
		.amdhsa_next_free_vgpr 65
		.amdhsa_next_free_sgpr 40
		.amdhsa_accum_offset 68
		.amdhsa_reserve_vcc 1
		.amdhsa_reserve_flat_scratch 0
		.amdhsa_float_round_mode_32 0
		.amdhsa_float_round_mode_16_64 0
		.amdhsa_float_denorm_mode_32 3
		.amdhsa_float_denorm_mode_16_64 3
		.amdhsa_dx10_clamp 1
		.amdhsa_ieee_mode 1
		.amdhsa_fp16_overflow 0
		.amdhsa_tg_split 0
		.amdhsa_exception_fp_ieee_invalid_op 0
		.amdhsa_exception_fp_denorm_src 0
		.amdhsa_exception_fp_ieee_div_zero 0
		.amdhsa_exception_fp_ieee_overflow 0
		.amdhsa_exception_fp_ieee_underflow 0
		.amdhsa_exception_fp_ieee_inexact 0
		.amdhsa_exception_int_div_zero 0
	.end_amdhsa_kernel
	.section	.text._ZN7rocprim17ROCPRIM_400000_NS6detail17trampoline_kernelINS0_14default_configENS1_25partition_config_selectorILNS1_17partition_subalgoE1EtNS0_10empty_typeEbEEZZNS1_14partition_implILS5_1ELb0ES3_jN6thrust23THRUST_200600_302600_NS6detail15normal_iteratorINSA_10device_ptrItEEEEPS6_NSA_18transform_iteratorI7is_evenItESF_NSA_11use_defaultESK_EENS0_5tupleIJSF_NSA_16discard_iteratorISK_EEEEENSM_IJSG_SG_EEES6_PlJS6_EEE10hipError_tPvRmT3_T4_T5_T6_T7_T9_mT8_P12ihipStream_tbDpT10_ENKUlT_T0_E_clISt17integral_constantIbLb1EES1A_IbLb0EEEEDaS16_S17_EUlS16_E_NS1_11comp_targetILNS1_3genE4ELNS1_11target_archE910ELNS1_3gpuE8ELNS1_3repE0EEENS1_30default_config_static_selectorELNS0_4arch9wavefront6targetE1EEEvT1_,"axG",@progbits,_ZN7rocprim17ROCPRIM_400000_NS6detail17trampoline_kernelINS0_14default_configENS1_25partition_config_selectorILNS1_17partition_subalgoE1EtNS0_10empty_typeEbEEZZNS1_14partition_implILS5_1ELb0ES3_jN6thrust23THRUST_200600_302600_NS6detail15normal_iteratorINSA_10device_ptrItEEEEPS6_NSA_18transform_iteratorI7is_evenItESF_NSA_11use_defaultESK_EENS0_5tupleIJSF_NSA_16discard_iteratorISK_EEEEENSM_IJSG_SG_EEES6_PlJS6_EEE10hipError_tPvRmT3_T4_T5_T6_T7_T9_mT8_P12ihipStream_tbDpT10_ENKUlT_T0_E_clISt17integral_constantIbLb1EES1A_IbLb0EEEEDaS16_S17_EUlS16_E_NS1_11comp_targetILNS1_3genE4ELNS1_11target_archE910ELNS1_3gpuE8ELNS1_3repE0EEENS1_30default_config_static_selectorELNS0_4arch9wavefront6targetE1EEEvT1_,comdat
.Lfunc_end3117:
	.size	_ZN7rocprim17ROCPRIM_400000_NS6detail17trampoline_kernelINS0_14default_configENS1_25partition_config_selectorILNS1_17partition_subalgoE1EtNS0_10empty_typeEbEEZZNS1_14partition_implILS5_1ELb0ES3_jN6thrust23THRUST_200600_302600_NS6detail15normal_iteratorINSA_10device_ptrItEEEEPS6_NSA_18transform_iteratorI7is_evenItESF_NSA_11use_defaultESK_EENS0_5tupleIJSF_NSA_16discard_iteratorISK_EEEEENSM_IJSG_SG_EEES6_PlJS6_EEE10hipError_tPvRmT3_T4_T5_T6_T7_T9_mT8_P12ihipStream_tbDpT10_ENKUlT_T0_E_clISt17integral_constantIbLb1EES1A_IbLb0EEEEDaS16_S17_EUlS16_E_NS1_11comp_targetILNS1_3genE4ELNS1_11target_archE910ELNS1_3gpuE8ELNS1_3repE0EEENS1_30default_config_static_selectorELNS0_4arch9wavefront6targetE1EEEvT1_, .Lfunc_end3117-_ZN7rocprim17ROCPRIM_400000_NS6detail17trampoline_kernelINS0_14default_configENS1_25partition_config_selectorILNS1_17partition_subalgoE1EtNS0_10empty_typeEbEEZZNS1_14partition_implILS5_1ELb0ES3_jN6thrust23THRUST_200600_302600_NS6detail15normal_iteratorINSA_10device_ptrItEEEEPS6_NSA_18transform_iteratorI7is_evenItESF_NSA_11use_defaultESK_EENS0_5tupleIJSF_NSA_16discard_iteratorISK_EEEEENSM_IJSG_SG_EEES6_PlJS6_EEE10hipError_tPvRmT3_T4_T5_T6_T7_T9_mT8_P12ihipStream_tbDpT10_ENKUlT_T0_E_clISt17integral_constantIbLb1EES1A_IbLb0EEEEDaS16_S17_EUlS16_E_NS1_11comp_targetILNS1_3genE4ELNS1_11target_archE910ELNS1_3gpuE8ELNS1_3repE0EEENS1_30default_config_static_selectorELNS0_4arch9wavefront6targetE1EEEvT1_
                                        ; -- End function
	.section	.AMDGPU.csdata,"",@progbits
; Kernel info:
; codeLenInByte = 9328
; NumSgprs: 44
; NumVgprs: 65
; NumAgprs: 0
; TotalNumVgprs: 65
; ScratchSize: 0
; MemoryBound: 0
; FloatMode: 240
; IeeeMode: 1
; LDSByteSize: 10248 bytes/workgroup (compile time only)
; SGPRBlocks: 5
; VGPRBlocks: 8
; NumSGPRsForWavesPerEU: 44
; NumVGPRsForWavesPerEU: 65
; AccumOffset: 68
; Occupancy: 6
; WaveLimiterHint : 1
; COMPUTE_PGM_RSRC2:SCRATCH_EN: 0
; COMPUTE_PGM_RSRC2:USER_SGPR: 6
; COMPUTE_PGM_RSRC2:TRAP_HANDLER: 0
; COMPUTE_PGM_RSRC2:TGID_X_EN: 1
; COMPUTE_PGM_RSRC2:TGID_Y_EN: 0
; COMPUTE_PGM_RSRC2:TGID_Z_EN: 0
; COMPUTE_PGM_RSRC2:TIDIG_COMP_CNT: 0
; COMPUTE_PGM_RSRC3_GFX90A:ACCUM_OFFSET: 16
; COMPUTE_PGM_RSRC3_GFX90A:TG_SPLIT: 0
	.section	.text._ZN7rocprim17ROCPRIM_400000_NS6detail17trampoline_kernelINS0_14default_configENS1_25partition_config_selectorILNS1_17partition_subalgoE1EtNS0_10empty_typeEbEEZZNS1_14partition_implILS5_1ELb0ES3_jN6thrust23THRUST_200600_302600_NS6detail15normal_iteratorINSA_10device_ptrItEEEEPS6_NSA_18transform_iteratorI7is_evenItESF_NSA_11use_defaultESK_EENS0_5tupleIJSF_NSA_16discard_iteratorISK_EEEEENSM_IJSG_SG_EEES6_PlJS6_EEE10hipError_tPvRmT3_T4_T5_T6_T7_T9_mT8_P12ihipStream_tbDpT10_ENKUlT_T0_E_clISt17integral_constantIbLb1EES1A_IbLb0EEEEDaS16_S17_EUlS16_E_NS1_11comp_targetILNS1_3genE3ELNS1_11target_archE908ELNS1_3gpuE7ELNS1_3repE0EEENS1_30default_config_static_selectorELNS0_4arch9wavefront6targetE1EEEvT1_,"axG",@progbits,_ZN7rocprim17ROCPRIM_400000_NS6detail17trampoline_kernelINS0_14default_configENS1_25partition_config_selectorILNS1_17partition_subalgoE1EtNS0_10empty_typeEbEEZZNS1_14partition_implILS5_1ELb0ES3_jN6thrust23THRUST_200600_302600_NS6detail15normal_iteratorINSA_10device_ptrItEEEEPS6_NSA_18transform_iteratorI7is_evenItESF_NSA_11use_defaultESK_EENS0_5tupleIJSF_NSA_16discard_iteratorISK_EEEEENSM_IJSG_SG_EEES6_PlJS6_EEE10hipError_tPvRmT3_T4_T5_T6_T7_T9_mT8_P12ihipStream_tbDpT10_ENKUlT_T0_E_clISt17integral_constantIbLb1EES1A_IbLb0EEEEDaS16_S17_EUlS16_E_NS1_11comp_targetILNS1_3genE3ELNS1_11target_archE908ELNS1_3gpuE7ELNS1_3repE0EEENS1_30default_config_static_selectorELNS0_4arch9wavefront6targetE1EEEvT1_,comdat
	.protected	_ZN7rocprim17ROCPRIM_400000_NS6detail17trampoline_kernelINS0_14default_configENS1_25partition_config_selectorILNS1_17partition_subalgoE1EtNS0_10empty_typeEbEEZZNS1_14partition_implILS5_1ELb0ES3_jN6thrust23THRUST_200600_302600_NS6detail15normal_iteratorINSA_10device_ptrItEEEEPS6_NSA_18transform_iteratorI7is_evenItESF_NSA_11use_defaultESK_EENS0_5tupleIJSF_NSA_16discard_iteratorISK_EEEEENSM_IJSG_SG_EEES6_PlJS6_EEE10hipError_tPvRmT3_T4_T5_T6_T7_T9_mT8_P12ihipStream_tbDpT10_ENKUlT_T0_E_clISt17integral_constantIbLb1EES1A_IbLb0EEEEDaS16_S17_EUlS16_E_NS1_11comp_targetILNS1_3genE3ELNS1_11target_archE908ELNS1_3gpuE7ELNS1_3repE0EEENS1_30default_config_static_selectorELNS0_4arch9wavefront6targetE1EEEvT1_ ; -- Begin function _ZN7rocprim17ROCPRIM_400000_NS6detail17trampoline_kernelINS0_14default_configENS1_25partition_config_selectorILNS1_17partition_subalgoE1EtNS0_10empty_typeEbEEZZNS1_14partition_implILS5_1ELb0ES3_jN6thrust23THRUST_200600_302600_NS6detail15normal_iteratorINSA_10device_ptrItEEEEPS6_NSA_18transform_iteratorI7is_evenItESF_NSA_11use_defaultESK_EENS0_5tupleIJSF_NSA_16discard_iteratorISK_EEEEENSM_IJSG_SG_EEES6_PlJS6_EEE10hipError_tPvRmT3_T4_T5_T6_T7_T9_mT8_P12ihipStream_tbDpT10_ENKUlT_T0_E_clISt17integral_constantIbLb1EES1A_IbLb0EEEEDaS16_S17_EUlS16_E_NS1_11comp_targetILNS1_3genE3ELNS1_11target_archE908ELNS1_3gpuE7ELNS1_3repE0EEENS1_30default_config_static_selectorELNS0_4arch9wavefront6targetE1EEEvT1_
	.globl	_ZN7rocprim17ROCPRIM_400000_NS6detail17trampoline_kernelINS0_14default_configENS1_25partition_config_selectorILNS1_17partition_subalgoE1EtNS0_10empty_typeEbEEZZNS1_14partition_implILS5_1ELb0ES3_jN6thrust23THRUST_200600_302600_NS6detail15normal_iteratorINSA_10device_ptrItEEEEPS6_NSA_18transform_iteratorI7is_evenItESF_NSA_11use_defaultESK_EENS0_5tupleIJSF_NSA_16discard_iteratorISK_EEEEENSM_IJSG_SG_EEES6_PlJS6_EEE10hipError_tPvRmT3_T4_T5_T6_T7_T9_mT8_P12ihipStream_tbDpT10_ENKUlT_T0_E_clISt17integral_constantIbLb1EES1A_IbLb0EEEEDaS16_S17_EUlS16_E_NS1_11comp_targetILNS1_3genE3ELNS1_11target_archE908ELNS1_3gpuE7ELNS1_3repE0EEENS1_30default_config_static_selectorELNS0_4arch9wavefront6targetE1EEEvT1_
	.p2align	8
	.type	_ZN7rocprim17ROCPRIM_400000_NS6detail17trampoline_kernelINS0_14default_configENS1_25partition_config_selectorILNS1_17partition_subalgoE1EtNS0_10empty_typeEbEEZZNS1_14partition_implILS5_1ELb0ES3_jN6thrust23THRUST_200600_302600_NS6detail15normal_iteratorINSA_10device_ptrItEEEEPS6_NSA_18transform_iteratorI7is_evenItESF_NSA_11use_defaultESK_EENS0_5tupleIJSF_NSA_16discard_iteratorISK_EEEEENSM_IJSG_SG_EEES6_PlJS6_EEE10hipError_tPvRmT3_T4_T5_T6_T7_T9_mT8_P12ihipStream_tbDpT10_ENKUlT_T0_E_clISt17integral_constantIbLb1EES1A_IbLb0EEEEDaS16_S17_EUlS16_E_NS1_11comp_targetILNS1_3genE3ELNS1_11target_archE908ELNS1_3gpuE7ELNS1_3repE0EEENS1_30default_config_static_selectorELNS0_4arch9wavefront6targetE1EEEvT1_,@function
_ZN7rocprim17ROCPRIM_400000_NS6detail17trampoline_kernelINS0_14default_configENS1_25partition_config_selectorILNS1_17partition_subalgoE1EtNS0_10empty_typeEbEEZZNS1_14partition_implILS5_1ELb0ES3_jN6thrust23THRUST_200600_302600_NS6detail15normal_iteratorINSA_10device_ptrItEEEEPS6_NSA_18transform_iteratorI7is_evenItESF_NSA_11use_defaultESK_EENS0_5tupleIJSF_NSA_16discard_iteratorISK_EEEEENSM_IJSG_SG_EEES6_PlJS6_EEE10hipError_tPvRmT3_T4_T5_T6_T7_T9_mT8_P12ihipStream_tbDpT10_ENKUlT_T0_E_clISt17integral_constantIbLb1EES1A_IbLb0EEEEDaS16_S17_EUlS16_E_NS1_11comp_targetILNS1_3genE3ELNS1_11target_archE908ELNS1_3gpuE7ELNS1_3repE0EEENS1_30default_config_static_selectorELNS0_4arch9wavefront6targetE1EEEvT1_: ; @_ZN7rocprim17ROCPRIM_400000_NS6detail17trampoline_kernelINS0_14default_configENS1_25partition_config_selectorILNS1_17partition_subalgoE1EtNS0_10empty_typeEbEEZZNS1_14partition_implILS5_1ELb0ES3_jN6thrust23THRUST_200600_302600_NS6detail15normal_iteratorINSA_10device_ptrItEEEEPS6_NSA_18transform_iteratorI7is_evenItESF_NSA_11use_defaultESK_EENS0_5tupleIJSF_NSA_16discard_iteratorISK_EEEEENSM_IJSG_SG_EEES6_PlJS6_EEE10hipError_tPvRmT3_T4_T5_T6_T7_T9_mT8_P12ihipStream_tbDpT10_ENKUlT_T0_E_clISt17integral_constantIbLb1EES1A_IbLb0EEEEDaS16_S17_EUlS16_E_NS1_11comp_targetILNS1_3genE3ELNS1_11target_archE908ELNS1_3gpuE7ELNS1_3repE0EEENS1_30default_config_static_selectorELNS0_4arch9wavefront6targetE1EEEvT1_
; %bb.0:
	.section	.rodata,"a",@progbits
	.p2align	6, 0x0
	.amdhsa_kernel _ZN7rocprim17ROCPRIM_400000_NS6detail17trampoline_kernelINS0_14default_configENS1_25partition_config_selectorILNS1_17partition_subalgoE1EtNS0_10empty_typeEbEEZZNS1_14partition_implILS5_1ELb0ES3_jN6thrust23THRUST_200600_302600_NS6detail15normal_iteratorINSA_10device_ptrItEEEEPS6_NSA_18transform_iteratorI7is_evenItESF_NSA_11use_defaultESK_EENS0_5tupleIJSF_NSA_16discard_iteratorISK_EEEEENSM_IJSG_SG_EEES6_PlJS6_EEE10hipError_tPvRmT3_T4_T5_T6_T7_T9_mT8_P12ihipStream_tbDpT10_ENKUlT_T0_E_clISt17integral_constantIbLb1EES1A_IbLb0EEEEDaS16_S17_EUlS16_E_NS1_11comp_targetILNS1_3genE3ELNS1_11target_archE908ELNS1_3gpuE7ELNS1_3repE0EEENS1_30default_config_static_selectorELNS0_4arch9wavefront6targetE1EEEvT1_
		.amdhsa_group_segment_fixed_size 0
		.amdhsa_private_segment_fixed_size 0
		.amdhsa_kernarg_size 136
		.amdhsa_user_sgpr_count 6
		.amdhsa_user_sgpr_private_segment_buffer 1
		.amdhsa_user_sgpr_dispatch_ptr 0
		.amdhsa_user_sgpr_queue_ptr 0
		.amdhsa_user_sgpr_kernarg_segment_ptr 1
		.amdhsa_user_sgpr_dispatch_id 0
		.amdhsa_user_sgpr_flat_scratch_init 0
		.amdhsa_user_sgpr_kernarg_preload_length 0
		.amdhsa_user_sgpr_kernarg_preload_offset 0
		.amdhsa_user_sgpr_private_segment_size 0
		.amdhsa_uses_dynamic_stack 0
		.amdhsa_system_sgpr_private_segment_wavefront_offset 0
		.amdhsa_system_sgpr_workgroup_id_x 1
		.amdhsa_system_sgpr_workgroup_id_y 0
		.amdhsa_system_sgpr_workgroup_id_z 0
		.amdhsa_system_sgpr_workgroup_info 0
		.amdhsa_system_vgpr_workitem_id 0
		.amdhsa_next_free_vgpr 1
		.amdhsa_next_free_sgpr 0
		.amdhsa_accum_offset 4
		.amdhsa_reserve_vcc 0
		.amdhsa_reserve_flat_scratch 0
		.amdhsa_float_round_mode_32 0
		.amdhsa_float_round_mode_16_64 0
		.amdhsa_float_denorm_mode_32 3
		.amdhsa_float_denorm_mode_16_64 3
		.amdhsa_dx10_clamp 1
		.amdhsa_ieee_mode 1
		.amdhsa_fp16_overflow 0
		.amdhsa_tg_split 0
		.amdhsa_exception_fp_ieee_invalid_op 0
		.amdhsa_exception_fp_denorm_src 0
		.amdhsa_exception_fp_ieee_div_zero 0
		.amdhsa_exception_fp_ieee_overflow 0
		.amdhsa_exception_fp_ieee_underflow 0
		.amdhsa_exception_fp_ieee_inexact 0
		.amdhsa_exception_int_div_zero 0
	.end_amdhsa_kernel
	.section	.text._ZN7rocprim17ROCPRIM_400000_NS6detail17trampoline_kernelINS0_14default_configENS1_25partition_config_selectorILNS1_17partition_subalgoE1EtNS0_10empty_typeEbEEZZNS1_14partition_implILS5_1ELb0ES3_jN6thrust23THRUST_200600_302600_NS6detail15normal_iteratorINSA_10device_ptrItEEEEPS6_NSA_18transform_iteratorI7is_evenItESF_NSA_11use_defaultESK_EENS0_5tupleIJSF_NSA_16discard_iteratorISK_EEEEENSM_IJSG_SG_EEES6_PlJS6_EEE10hipError_tPvRmT3_T4_T5_T6_T7_T9_mT8_P12ihipStream_tbDpT10_ENKUlT_T0_E_clISt17integral_constantIbLb1EES1A_IbLb0EEEEDaS16_S17_EUlS16_E_NS1_11comp_targetILNS1_3genE3ELNS1_11target_archE908ELNS1_3gpuE7ELNS1_3repE0EEENS1_30default_config_static_selectorELNS0_4arch9wavefront6targetE1EEEvT1_,"axG",@progbits,_ZN7rocprim17ROCPRIM_400000_NS6detail17trampoline_kernelINS0_14default_configENS1_25partition_config_selectorILNS1_17partition_subalgoE1EtNS0_10empty_typeEbEEZZNS1_14partition_implILS5_1ELb0ES3_jN6thrust23THRUST_200600_302600_NS6detail15normal_iteratorINSA_10device_ptrItEEEEPS6_NSA_18transform_iteratorI7is_evenItESF_NSA_11use_defaultESK_EENS0_5tupleIJSF_NSA_16discard_iteratorISK_EEEEENSM_IJSG_SG_EEES6_PlJS6_EEE10hipError_tPvRmT3_T4_T5_T6_T7_T9_mT8_P12ihipStream_tbDpT10_ENKUlT_T0_E_clISt17integral_constantIbLb1EES1A_IbLb0EEEEDaS16_S17_EUlS16_E_NS1_11comp_targetILNS1_3genE3ELNS1_11target_archE908ELNS1_3gpuE7ELNS1_3repE0EEENS1_30default_config_static_selectorELNS0_4arch9wavefront6targetE1EEEvT1_,comdat
.Lfunc_end3118:
	.size	_ZN7rocprim17ROCPRIM_400000_NS6detail17trampoline_kernelINS0_14default_configENS1_25partition_config_selectorILNS1_17partition_subalgoE1EtNS0_10empty_typeEbEEZZNS1_14partition_implILS5_1ELb0ES3_jN6thrust23THRUST_200600_302600_NS6detail15normal_iteratorINSA_10device_ptrItEEEEPS6_NSA_18transform_iteratorI7is_evenItESF_NSA_11use_defaultESK_EENS0_5tupleIJSF_NSA_16discard_iteratorISK_EEEEENSM_IJSG_SG_EEES6_PlJS6_EEE10hipError_tPvRmT3_T4_T5_T6_T7_T9_mT8_P12ihipStream_tbDpT10_ENKUlT_T0_E_clISt17integral_constantIbLb1EES1A_IbLb0EEEEDaS16_S17_EUlS16_E_NS1_11comp_targetILNS1_3genE3ELNS1_11target_archE908ELNS1_3gpuE7ELNS1_3repE0EEENS1_30default_config_static_selectorELNS0_4arch9wavefront6targetE1EEEvT1_, .Lfunc_end3118-_ZN7rocprim17ROCPRIM_400000_NS6detail17trampoline_kernelINS0_14default_configENS1_25partition_config_selectorILNS1_17partition_subalgoE1EtNS0_10empty_typeEbEEZZNS1_14partition_implILS5_1ELb0ES3_jN6thrust23THRUST_200600_302600_NS6detail15normal_iteratorINSA_10device_ptrItEEEEPS6_NSA_18transform_iteratorI7is_evenItESF_NSA_11use_defaultESK_EENS0_5tupleIJSF_NSA_16discard_iteratorISK_EEEEENSM_IJSG_SG_EEES6_PlJS6_EEE10hipError_tPvRmT3_T4_T5_T6_T7_T9_mT8_P12ihipStream_tbDpT10_ENKUlT_T0_E_clISt17integral_constantIbLb1EES1A_IbLb0EEEEDaS16_S17_EUlS16_E_NS1_11comp_targetILNS1_3genE3ELNS1_11target_archE908ELNS1_3gpuE7ELNS1_3repE0EEENS1_30default_config_static_selectorELNS0_4arch9wavefront6targetE1EEEvT1_
                                        ; -- End function
	.section	.AMDGPU.csdata,"",@progbits
; Kernel info:
; codeLenInByte = 0
; NumSgprs: 4
; NumVgprs: 0
; NumAgprs: 0
; TotalNumVgprs: 0
; ScratchSize: 0
; MemoryBound: 0
; FloatMode: 240
; IeeeMode: 1
; LDSByteSize: 0 bytes/workgroup (compile time only)
; SGPRBlocks: 0
; VGPRBlocks: 0
; NumSGPRsForWavesPerEU: 4
; NumVGPRsForWavesPerEU: 1
; AccumOffset: 4
; Occupancy: 8
; WaveLimiterHint : 0
; COMPUTE_PGM_RSRC2:SCRATCH_EN: 0
; COMPUTE_PGM_RSRC2:USER_SGPR: 6
; COMPUTE_PGM_RSRC2:TRAP_HANDLER: 0
; COMPUTE_PGM_RSRC2:TGID_X_EN: 1
; COMPUTE_PGM_RSRC2:TGID_Y_EN: 0
; COMPUTE_PGM_RSRC2:TGID_Z_EN: 0
; COMPUTE_PGM_RSRC2:TIDIG_COMP_CNT: 0
; COMPUTE_PGM_RSRC3_GFX90A:ACCUM_OFFSET: 0
; COMPUTE_PGM_RSRC3_GFX90A:TG_SPLIT: 0
	.section	.text._ZN7rocprim17ROCPRIM_400000_NS6detail17trampoline_kernelINS0_14default_configENS1_25partition_config_selectorILNS1_17partition_subalgoE1EtNS0_10empty_typeEbEEZZNS1_14partition_implILS5_1ELb0ES3_jN6thrust23THRUST_200600_302600_NS6detail15normal_iteratorINSA_10device_ptrItEEEEPS6_NSA_18transform_iteratorI7is_evenItESF_NSA_11use_defaultESK_EENS0_5tupleIJSF_NSA_16discard_iteratorISK_EEEEENSM_IJSG_SG_EEES6_PlJS6_EEE10hipError_tPvRmT3_T4_T5_T6_T7_T9_mT8_P12ihipStream_tbDpT10_ENKUlT_T0_E_clISt17integral_constantIbLb1EES1A_IbLb0EEEEDaS16_S17_EUlS16_E_NS1_11comp_targetILNS1_3genE2ELNS1_11target_archE906ELNS1_3gpuE6ELNS1_3repE0EEENS1_30default_config_static_selectorELNS0_4arch9wavefront6targetE1EEEvT1_,"axG",@progbits,_ZN7rocprim17ROCPRIM_400000_NS6detail17trampoline_kernelINS0_14default_configENS1_25partition_config_selectorILNS1_17partition_subalgoE1EtNS0_10empty_typeEbEEZZNS1_14partition_implILS5_1ELb0ES3_jN6thrust23THRUST_200600_302600_NS6detail15normal_iteratorINSA_10device_ptrItEEEEPS6_NSA_18transform_iteratorI7is_evenItESF_NSA_11use_defaultESK_EENS0_5tupleIJSF_NSA_16discard_iteratorISK_EEEEENSM_IJSG_SG_EEES6_PlJS6_EEE10hipError_tPvRmT3_T4_T5_T6_T7_T9_mT8_P12ihipStream_tbDpT10_ENKUlT_T0_E_clISt17integral_constantIbLb1EES1A_IbLb0EEEEDaS16_S17_EUlS16_E_NS1_11comp_targetILNS1_3genE2ELNS1_11target_archE906ELNS1_3gpuE6ELNS1_3repE0EEENS1_30default_config_static_selectorELNS0_4arch9wavefront6targetE1EEEvT1_,comdat
	.protected	_ZN7rocprim17ROCPRIM_400000_NS6detail17trampoline_kernelINS0_14default_configENS1_25partition_config_selectorILNS1_17partition_subalgoE1EtNS0_10empty_typeEbEEZZNS1_14partition_implILS5_1ELb0ES3_jN6thrust23THRUST_200600_302600_NS6detail15normal_iteratorINSA_10device_ptrItEEEEPS6_NSA_18transform_iteratorI7is_evenItESF_NSA_11use_defaultESK_EENS0_5tupleIJSF_NSA_16discard_iteratorISK_EEEEENSM_IJSG_SG_EEES6_PlJS6_EEE10hipError_tPvRmT3_T4_T5_T6_T7_T9_mT8_P12ihipStream_tbDpT10_ENKUlT_T0_E_clISt17integral_constantIbLb1EES1A_IbLb0EEEEDaS16_S17_EUlS16_E_NS1_11comp_targetILNS1_3genE2ELNS1_11target_archE906ELNS1_3gpuE6ELNS1_3repE0EEENS1_30default_config_static_selectorELNS0_4arch9wavefront6targetE1EEEvT1_ ; -- Begin function _ZN7rocprim17ROCPRIM_400000_NS6detail17trampoline_kernelINS0_14default_configENS1_25partition_config_selectorILNS1_17partition_subalgoE1EtNS0_10empty_typeEbEEZZNS1_14partition_implILS5_1ELb0ES3_jN6thrust23THRUST_200600_302600_NS6detail15normal_iteratorINSA_10device_ptrItEEEEPS6_NSA_18transform_iteratorI7is_evenItESF_NSA_11use_defaultESK_EENS0_5tupleIJSF_NSA_16discard_iteratorISK_EEEEENSM_IJSG_SG_EEES6_PlJS6_EEE10hipError_tPvRmT3_T4_T5_T6_T7_T9_mT8_P12ihipStream_tbDpT10_ENKUlT_T0_E_clISt17integral_constantIbLb1EES1A_IbLb0EEEEDaS16_S17_EUlS16_E_NS1_11comp_targetILNS1_3genE2ELNS1_11target_archE906ELNS1_3gpuE6ELNS1_3repE0EEENS1_30default_config_static_selectorELNS0_4arch9wavefront6targetE1EEEvT1_
	.globl	_ZN7rocprim17ROCPRIM_400000_NS6detail17trampoline_kernelINS0_14default_configENS1_25partition_config_selectorILNS1_17partition_subalgoE1EtNS0_10empty_typeEbEEZZNS1_14partition_implILS5_1ELb0ES3_jN6thrust23THRUST_200600_302600_NS6detail15normal_iteratorINSA_10device_ptrItEEEEPS6_NSA_18transform_iteratorI7is_evenItESF_NSA_11use_defaultESK_EENS0_5tupleIJSF_NSA_16discard_iteratorISK_EEEEENSM_IJSG_SG_EEES6_PlJS6_EEE10hipError_tPvRmT3_T4_T5_T6_T7_T9_mT8_P12ihipStream_tbDpT10_ENKUlT_T0_E_clISt17integral_constantIbLb1EES1A_IbLb0EEEEDaS16_S17_EUlS16_E_NS1_11comp_targetILNS1_3genE2ELNS1_11target_archE906ELNS1_3gpuE6ELNS1_3repE0EEENS1_30default_config_static_selectorELNS0_4arch9wavefront6targetE1EEEvT1_
	.p2align	8
	.type	_ZN7rocprim17ROCPRIM_400000_NS6detail17trampoline_kernelINS0_14default_configENS1_25partition_config_selectorILNS1_17partition_subalgoE1EtNS0_10empty_typeEbEEZZNS1_14partition_implILS5_1ELb0ES3_jN6thrust23THRUST_200600_302600_NS6detail15normal_iteratorINSA_10device_ptrItEEEEPS6_NSA_18transform_iteratorI7is_evenItESF_NSA_11use_defaultESK_EENS0_5tupleIJSF_NSA_16discard_iteratorISK_EEEEENSM_IJSG_SG_EEES6_PlJS6_EEE10hipError_tPvRmT3_T4_T5_T6_T7_T9_mT8_P12ihipStream_tbDpT10_ENKUlT_T0_E_clISt17integral_constantIbLb1EES1A_IbLb0EEEEDaS16_S17_EUlS16_E_NS1_11comp_targetILNS1_3genE2ELNS1_11target_archE906ELNS1_3gpuE6ELNS1_3repE0EEENS1_30default_config_static_selectorELNS0_4arch9wavefront6targetE1EEEvT1_,@function
_ZN7rocprim17ROCPRIM_400000_NS6detail17trampoline_kernelINS0_14default_configENS1_25partition_config_selectorILNS1_17partition_subalgoE1EtNS0_10empty_typeEbEEZZNS1_14partition_implILS5_1ELb0ES3_jN6thrust23THRUST_200600_302600_NS6detail15normal_iteratorINSA_10device_ptrItEEEEPS6_NSA_18transform_iteratorI7is_evenItESF_NSA_11use_defaultESK_EENS0_5tupleIJSF_NSA_16discard_iteratorISK_EEEEENSM_IJSG_SG_EEES6_PlJS6_EEE10hipError_tPvRmT3_T4_T5_T6_T7_T9_mT8_P12ihipStream_tbDpT10_ENKUlT_T0_E_clISt17integral_constantIbLb1EES1A_IbLb0EEEEDaS16_S17_EUlS16_E_NS1_11comp_targetILNS1_3genE2ELNS1_11target_archE906ELNS1_3gpuE6ELNS1_3repE0EEENS1_30default_config_static_selectorELNS0_4arch9wavefront6targetE1EEEvT1_: ; @_ZN7rocprim17ROCPRIM_400000_NS6detail17trampoline_kernelINS0_14default_configENS1_25partition_config_selectorILNS1_17partition_subalgoE1EtNS0_10empty_typeEbEEZZNS1_14partition_implILS5_1ELb0ES3_jN6thrust23THRUST_200600_302600_NS6detail15normal_iteratorINSA_10device_ptrItEEEEPS6_NSA_18transform_iteratorI7is_evenItESF_NSA_11use_defaultESK_EENS0_5tupleIJSF_NSA_16discard_iteratorISK_EEEEENSM_IJSG_SG_EEES6_PlJS6_EEE10hipError_tPvRmT3_T4_T5_T6_T7_T9_mT8_P12ihipStream_tbDpT10_ENKUlT_T0_E_clISt17integral_constantIbLb1EES1A_IbLb0EEEEDaS16_S17_EUlS16_E_NS1_11comp_targetILNS1_3genE2ELNS1_11target_archE906ELNS1_3gpuE6ELNS1_3repE0EEENS1_30default_config_static_selectorELNS0_4arch9wavefront6targetE1EEEvT1_
; %bb.0:
	.section	.rodata,"a",@progbits
	.p2align	6, 0x0
	.amdhsa_kernel _ZN7rocprim17ROCPRIM_400000_NS6detail17trampoline_kernelINS0_14default_configENS1_25partition_config_selectorILNS1_17partition_subalgoE1EtNS0_10empty_typeEbEEZZNS1_14partition_implILS5_1ELb0ES3_jN6thrust23THRUST_200600_302600_NS6detail15normal_iteratorINSA_10device_ptrItEEEEPS6_NSA_18transform_iteratorI7is_evenItESF_NSA_11use_defaultESK_EENS0_5tupleIJSF_NSA_16discard_iteratorISK_EEEEENSM_IJSG_SG_EEES6_PlJS6_EEE10hipError_tPvRmT3_T4_T5_T6_T7_T9_mT8_P12ihipStream_tbDpT10_ENKUlT_T0_E_clISt17integral_constantIbLb1EES1A_IbLb0EEEEDaS16_S17_EUlS16_E_NS1_11comp_targetILNS1_3genE2ELNS1_11target_archE906ELNS1_3gpuE6ELNS1_3repE0EEENS1_30default_config_static_selectorELNS0_4arch9wavefront6targetE1EEEvT1_
		.amdhsa_group_segment_fixed_size 0
		.amdhsa_private_segment_fixed_size 0
		.amdhsa_kernarg_size 136
		.amdhsa_user_sgpr_count 6
		.amdhsa_user_sgpr_private_segment_buffer 1
		.amdhsa_user_sgpr_dispatch_ptr 0
		.amdhsa_user_sgpr_queue_ptr 0
		.amdhsa_user_sgpr_kernarg_segment_ptr 1
		.amdhsa_user_sgpr_dispatch_id 0
		.amdhsa_user_sgpr_flat_scratch_init 0
		.amdhsa_user_sgpr_kernarg_preload_length 0
		.amdhsa_user_sgpr_kernarg_preload_offset 0
		.amdhsa_user_sgpr_private_segment_size 0
		.amdhsa_uses_dynamic_stack 0
		.amdhsa_system_sgpr_private_segment_wavefront_offset 0
		.amdhsa_system_sgpr_workgroup_id_x 1
		.amdhsa_system_sgpr_workgroup_id_y 0
		.amdhsa_system_sgpr_workgroup_id_z 0
		.amdhsa_system_sgpr_workgroup_info 0
		.amdhsa_system_vgpr_workitem_id 0
		.amdhsa_next_free_vgpr 1
		.amdhsa_next_free_sgpr 0
		.amdhsa_accum_offset 4
		.amdhsa_reserve_vcc 0
		.amdhsa_reserve_flat_scratch 0
		.amdhsa_float_round_mode_32 0
		.amdhsa_float_round_mode_16_64 0
		.amdhsa_float_denorm_mode_32 3
		.amdhsa_float_denorm_mode_16_64 3
		.amdhsa_dx10_clamp 1
		.amdhsa_ieee_mode 1
		.amdhsa_fp16_overflow 0
		.amdhsa_tg_split 0
		.amdhsa_exception_fp_ieee_invalid_op 0
		.amdhsa_exception_fp_denorm_src 0
		.amdhsa_exception_fp_ieee_div_zero 0
		.amdhsa_exception_fp_ieee_overflow 0
		.amdhsa_exception_fp_ieee_underflow 0
		.amdhsa_exception_fp_ieee_inexact 0
		.amdhsa_exception_int_div_zero 0
	.end_amdhsa_kernel
	.section	.text._ZN7rocprim17ROCPRIM_400000_NS6detail17trampoline_kernelINS0_14default_configENS1_25partition_config_selectorILNS1_17partition_subalgoE1EtNS0_10empty_typeEbEEZZNS1_14partition_implILS5_1ELb0ES3_jN6thrust23THRUST_200600_302600_NS6detail15normal_iteratorINSA_10device_ptrItEEEEPS6_NSA_18transform_iteratorI7is_evenItESF_NSA_11use_defaultESK_EENS0_5tupleIJSF_NSA_16discard_iteratorISK_EEEEENSM_IJSG_SG_EEES6_PlJS6_EEE10hipError_tPvRmT3_T4_T5_T6_T7_T9_mT8_P12ihipStream_tbDpT10_ENKUlT_T0_E_clISt17integral_constantIbLb1EES1A_IbLb0EEEEDaS16_S17_EUlS16_E_NS1_11comp_targetILNS1_3genE2ELNS1_11target_archE906ELNS1_3gpuE6ELNS1_3repE0EEENS1_30default_config_static_selectorELNS0_4arch9wavefront6targetE1EEEvT1_,"axG",@progbits,_ZN7rocprim17ROCPRIM_400000_NS6detail17trampoline_kernelINS0_14default_configENS1_25partition_config_selectorILNS1_17partition_subalgoE1EtNS0_10empty_typeEbEEZZNS1_14partition_implILS5_1ELb0ES3_jN6thrust23THRUST_200600_302600_NS6detail15normal_iteratorINSA_10device_ptrItEEEEPS6_NSA_18transform_iteratorI7is_evenItESF_NSA_11use_defaultESK_EENS0_5tupleIJSF_NSA_16discard_iteratorISK_EEEEENSM_IJSG_SG_EEES6_PlJS6_EEE10hipError_tPvRmT3_T4_T5_T6_T7_T9_mT8_P12ihipStream_tbDpT10_ENKUlT_T0_E_clISt17integral_constantIbLb1EES1A_IbLb0EEEEDaS16_S17_EUlS16_E_NS1_11comp_targetILNS1_3genE2ELNS1_11target_archE906ELNS1_3gpuE6ELNS1_3repE0EEENS1_30default_config_static_selectorELNS0_4arch9wavefront6targetE1EEEvT1_,comdat
.Lfunc_end3119:
	.size	_ZN7rocprim17ROCPRIM_400000_NS6detail17trampoline_kernelINS0_14default_configENS1_25partition_config_selectorILNS1_17partition_subalgoE1EtNS0_10empty_typeEbEEZZNS1_14partition_implILS5_1ELb0ES3_jN6thrust23THRUST_200600_302600_NS6detail15normal_iteratorINSA_10device_ptrItEEEEPS6_NSA_18transform_iteratorI7is_evenItESF_NSA_11use_defaultESK_EENS0_5tupleIJSF_NSA_16discard_iteratorISK_EEEEENSM_IJSG_SG_EEES6_PlJS6_EEE10hipError_tPvRmT3_T4_T5_T6_T7_T9_mT8_P12ihipStream_tbDpT10_ENKUlT_T0_E_clISt17integral_constantIbLb1EES1A_IbLb0EEEEDaS16_S17_EUlS16_E_NS1_11comp_targetILNS1_3genE2ELNS1_11target_archE906ELNS1_3gpuE6ELNS1_3repE0EEENS1_30default_config_static_selectorELNS0_4arch9wavefront6targetE1EEEvT1_, .Lfunc_end3119-_ZN7rocprim17ROCPRIM_400000_NS6detail17trampoline_kernelINS0_14default_configENS1_25partition_config_selectorILNS1_17partition_subalgoE1EtNS0_10empty_typeEbEEZZNS1_14partition_implILS5_1ELb0ES3_jN6thrust23THRUST_200600_302600_NS6detail15normal_iteratorINSA_10device_ptrItEEEEPS6_NSA_18transform_iteratorI7is_evenItESF_NSA_11use_defaultESK_EENS0_5tupleIJSF_NSA_16discard_iteratorISK_EEEEENSM_IJSG_SG_EEES6_PlJS6_EEE10hipError_tPvRmT3_T4_T5_T6_T7_T9_mT8_P12ihipStream_tbDpT10_ENKUlT_T0_E_clISt17integral_constantIbLb1EES1A_IbLb0EEEEDaS16_S17_EUlS16_E_NS1_11comp_targetILNS1_3genE2ELNS1_11target_archE906ELNS1_3gpuE6ELNS1_3repE0EEENS1_30default_config_static_selectorELNS0_4arch9wavefront6targetE1EEEvT1_
                                        ; -- End function
	.section	.AMDGPU.csdata,"",@progbits
; Kernel info:
; codeLenInByte = 0
; NumSgprs: 4
; NumVgprs: 0
; NumAgprs: 0
; TotalNumVgprs: 0
; ScratchSize: 0
; MemoryBound: 0
; FloatMode: 240
; IeeeMode: 1
; LDSByteSize: 0 bytes/workgroup (compile time only)
; SGPRBlocks: 0
; VGPRBlocks: 0
; NumSGPRsForWavesPerEU: 4
; NumVGPRsForWavesPerEU: 1
; AccumOffset: 4
; Occupancy: 8
; WaveLimiterHint : 0
; COMPUTE_PGM_RSRC2:SCRATCH_EN: 0
; COMPUTE_PGM_RSRC2:USER_SGPR: 6
; COMPUTE_PGM_RSRC2:TRAP_HANDLER: 0
; COMPUTE_PGM_RSRC2:TGID_X_EN: 1
; COMPUTE_PGM_RSRC2:TGID_Y_EN: 0
; COMPUTE_PGM_RSRC2:TGID_Z_EN: 0
; COMPUTE_PGM_RSRC2:TIDIG_COMP_CNT: 0
; COMPUTE_PGM_RSRC3_GFX90A:ACCUM_OFFSET: 0
; COMPUTE_PGM_RSRC3_GFX90A:TG_SPLIT: 0
	.section	.text._ZN7rocprim17ROCPRIM_400000_NS6detail17trampoline_kernelINS0_14default_configENS1_25partition_config_selectorILNS1_17partition_subalgoE1EtNS0_10empty_typeEbEEZZNS1_14partition_implILS5_1ELb0ES3_jN6thrust23THRUST_200600_302600_NS6detail15normal_iteratorINSA_10device_ptrItEEEEPS6_NSA_18transform_iteratorI7is_evenItESF_NSA_11use_defaultESK_EENS0_5tupleIJSF_NSA_16discard_iteratorISK_EEEEENSM_IJSG_SG_EEES6_PlJS6_EEE10hipError_tPvRmT3_T4_T5_T6_T7_T9_mT8_P12ihipStream_tbDpT10_ENKUlT_T0_E_clISt17integral_constantIbLb1EES1A_IbLb0EEEEDaS16_S17_EUlS16_E_NS1_11comp_targetILNS1_3genE10ELNS1_11target_archE1200ELNS1_3gpuE4ELNS1_3repE0EEENS1_30default_config_static_selectorELNS0_4arch9wavefront6targetE1EEEvT1_,"axG",@progbits,_ZN7rocprim17ROCPRIM_400000_NS6detail17trampoline_kernelINS0_14default_configENS1_25partition_config_selectorILNS1_17partition_subalgoE1EtNS0_10empty_typeEbEEZZNS1_14partition_implILS5_1ELb0ES3_jN6thrust23THRUST_200600_302600_NS6detail15normal_iteratorINSA_10device_ptrItEEEEPS6_NSA_18transform_iteratorI7is_evenItESF_NSA_11use_defaultESK_EENS0_5tupleIJSF_NSA_16discard_iteratorISK_EEEEENSM_IJSG_SG_EEES6_PlJS6_EEE10hipError_tPvRmT3_T4_T5_T6_T7_T9_mT8_P12ihipStream_tbDpT10_ENKUlT_T0_E_clISt17integral_constantIbLb1EES1A_IbLb0EEEEDaS16_S17_EUlS16_E_NS1_11comp_targetILNS1_3genE10ELNS1_11target_archE1200ELNS1_3gpuE4ELNS1_3repE0EEENS1_30default_config_static_selectorELNS0_4arch9wavefront6targetE1EEEvT1_,comdat
	.protected	_ZN7rocprim17ROCPRIM_400000_NS6detail17trampoline_kernelINS0_14default_configENS1_25partition_config_selectorILNS1_17partition_subalgoE1EtNS0_10empty_typeEbEEZZNS1_14partition_implILS5_1ELb0ES3_jN6thrust23THRUST_200600_302600_NS6detail15normal_iteratorINSA_10device_ptrItEEEEPS6_NSA_18transform_iteratorI7is_evenItESF_NSA_11use_defaultESK_EENS0_5tupleIJSF_NSA_16discard_iteratorISK_EEEEENSM_IJSG_SG_EEES6_PlJS6_EEE10hipError_tPvRmT3_T4_T5_T6_T7_T9_mT8_P12ihipStream_tbDpT10_ENKUlT_T0_E_clISt17integral_constantIbLb1EES1A_IbLb0EEEEDaS16_S17_EUlS16_E_NS1_11comp_targetILNS1_3genE10ELNS1_11target_archE1200ELNS1_3gpuE4ELNS1_3repE0EEENS1_30default_config_static_selectorELNS0_4arch9wavefront6targetE1EEEvT1_ ; -- Begin function _ZN7rocprim17ROCPRIM_400000_NS6detail17trampoline_kernelINS0_14default_configENS1_25partition_config_selectorILNS1_17partition_subalgoE1EtNS0_10empty_typeEbEEZZNS1_14partition_implILS5_1ELb0ES3_jN6thrust23THRUST_200600_302600_NS6detail15normal_iteratorINSA_10device_ptrItEEEEPS6_NSA_18transform_iteratorI7is_evenItESF_NSA_11use_defaultESK_EENS0_5tupleIJSF_NSA_16discard_iteratorISK_EEEEENSM_IJSG_SG_EEES6_PlJS6_EEE10hipError_tPvRmT3_T4_T5_T6_T7_T9_mT8_P12ihipStream_tbDpT10_ENKUlT_T0_E_clISt17integral_constantIbLb1EES1A_IbLb0EEEEDaS16_S17_EUlS16_E_NS1_11comp_targetILNS1_3genE10ELNS1_11target_archE1200ELNS1_3gpuE4ELNS1_3repE0EEENS1_30default_config_static_selectorELNS0_4arch9wavefront6targetE1EEEvT1_
	.globl	_ZN7rocprim17ROCPRIM_400000_NS6detail17trampoline_kernelINS0_14default_configENS1_25partition_config_selectorILNS1_17partition_subalgoE1EtNS0_10empty_typeEbEEZZNS1_14partition_implILS5_1ELb0ES3_jN6thrust23THRUST_200600_302600_NS6detail15normal_iteratorINSA_10device_ptrItEEEEPS6_NSA_18transform_iteratorI7is_evenItESF_NSA_11use_defaultESK_EENS0_5tupleIJSF_NSA_16discard_iteratorISK_EEEEENSM_IJSG_SG_EEES6_PlJS6_EEE10hipError_tPvRmT3_T4_T5_T6_T7_T9_mT8_P12ihipStream_tbDpT10_ENKUlT_T0_E_clISt17integral_constantIbLb1EES1A_IbLb0EEEEDaS16_S17_EUlS16_E_NS1_11comp_targetILNS1_3genE10ELNS1_11target_archE1200ELNS1_3gpuE4ELNS1_3repE0EEENS1_30default_config_static_selectorELNS0_4arch9wavefront6targetE1EEEvT1_
	.p2align	8
	.type	_ZN7rocprim17ROCPRIM_400000_NS6detail17trampoline_kernelINS0_14default_configENS1_25partition_config_selectorILNS1_17partition_subalgoE1EtNS0_10empty_typeEbEEZZNS1_14partition_implILS5_1ELb0ES3_jN6thrust23THRUST_200600_302600_NS6detail15normal_iteratorINSA_10device_ptrItEEEEPS6_NSA_18transform_iteratorI7is_evenItESF_NSA_11use_defaultESK_EENS0_5tupleIJSF_NSA_16discard_iteratorISK_EEEEENSM_IJSG_SG_EEES6_PlJS6_EEE10hipError_tPvRmT3_T4_T5_T6_T7_T9_mT8_P12ihipStream_tbDpT10_ENKUlT_T0_E_clISt17integral_constantIbLb1EES1A_IbLb0EEEEDaS16_S17_EUlS16_E_NS1_11comp_targetILNS1_3genE10ELNS1_11target_archE1200ELNS1_3gpuE4ELNS1_3repE0EEENS1_30default_config_static_selectorELNS0_4arch9wavefront6targetE1EEEvT1_,@function
_ZN7rocprim17ROCPRIM_400000_NS6detail17trampoline_kernelINS0_14default_configENS1_25partition_config_selectorILNS1_17partition_subalgoE1EtNS0_10empty_typeEbEEZZNS1_14partition_implILS5_1ELb0ES3_jN6thrust23THRUST_200600_302600_NS6detail15normal_iteratorINSA_10device_ptrItEEEEPS6_NSA_18transform_iteratorI7is_evenItESF_NSA_11use_defaultESK_EENS0_5tupleIJSF_NSA_16discard_iteratorISK_EEEEENSM_IJSG_SG_EEES6_PlJS6_EEE10hipError_tPvRmT3_T4_T5_T6_T7_T9_mT8_P12ihipStream_tbDpT10_ENKUlT_T0_E_clISt17integral_constantIbLb1EES1A_IbLb0EEEEDaS16_S17_EUlS16_E_NS1_11comp_targetILNS1_3genE10ELNS1_11target_archE1200ELNS1_3gpuE4ELNS1_3repE0EEENS1_30default_config_static_selectorELNS0_4arch9wavefront6targetE1EEEvT1_: ; @_ZN7rocprim17ROCPRIM_400000_NS6detail17trampoline_kernelINS0_14default_configENS1_25partition_config_selectorILNS1_17partition_subalgoE1EtNS0_10empty_typeEbEEZZNS1_14partition_implILS5_1ELb0ES3_jN6thrust23THRUST_200600_302600_NS6detail15normal_iteratorINSA_10device_ptrItEEEEPS6_NSA_18transform_iteratorI7is_evenItESF_NSA_11use_defaultESK_EENS0_5tupleIJSF_NSA_16discard_iteratorISK_EEEEENSM_IJSG_SG_EEES6_PlJS6_EEE10hipError_tPvRmT3_T4_T5_T6_T7_T9_mT8_P12ihipStream_tbDpT10_ENKUlT_T0_E_clISt17integral_constantIbLb1EES1A_IbLb0EEEEDaS16_S17_EUlS16_E_NS1_11comp_targetILNS1_3genE10ELNS1_11target_archE1200ELNS1_3gpuE4ELNS1_3repE0EEENS1_30default_config_static_selectorELNS0_4arch9wavefront6targetE1EEEvT1_
; %bb.0:
	.section	.rodata,"a",@progbits
	.p2align	6, 0x0
	.amdhsa_kernel _ZN7rocprim17ROCPRIM_400000_NS6detail17trampoline_kernelINS0_14default_configENS1_25partition_config_selectorILNS1_17partition_subalgoE1EtNS0_10empty_typeEbEEZZNS1_14partition_implILS5_1ELb0ES3_jN6thrust23THRUST_200600_302600_NS6detail15normal_iteratorINSA_10device_ptrItEEEEPS6_NSA_18transform_iteratorI7is_evenItESF_NSA_11use_defaultESK_EENS0_5tupleIJSF_NSA_16discard_iteratorISK_EEEEENSM_IJSG_SG_EEES6_PlJS6_EEE10hipError_tPvRmT3_T4_T5_T6_T7_T9_mT8_P12ihipStream_tbDpT10_ENKUlT_T0_E_clISt17integral_constantIbLb1EES1A_IbLb0EEEEDaS16_S17_EUlS16_E_NS1_11comp_targetILNS1_3genE10ELNS1_11target_archE1200ELNS1_3gpuE4ELNS1_3repE0EEENS1_30default_config_static_selectorELNS0_4arch9wavefront6targetE1EEEvT1_
		.amdhsa_group_segment_fixed_size 0
		.amdhsa_private_segment_fixed_size 0
		.amdhsa_kernarg_size 136
		.amdhsa_user_sgpr_count 6
		.amdhsa_user_sgpr_private_segment_buffer 1
		.amdhsa_user_sgpr_dispatch_ptr 0
		.amdhsa_user_sgpr_queue_ptr 0
		.amdhsa_user_sgpr_kernarg_segment_ptr 1
		.amdhsa_user_sgpr_dispatch_id 0
		.amdhsa_user_sgpr_flat_scratch_init 0
		.amdhsa_user_sgpr_kernarg_preload_length 0
		.amdhsa_user_sgpr_kernarg_preload_offset 0
		.amdhsa_user_sgpr_private_segment_size 0
		.amdhsa_uses_dynamic_stack 0
		.amdhsa_system_sgpr_private_segment_wavefront_offset 0
		.amdhsa_system_sgpr_workgroup_id_x 1
		.amdhsa_system_sgpr_workgroup_id_y 0
		.amdhsa_system_sgpr_workgroup_id_z 0
		.amdhsa_system_sgpr_workgroup_info 0
		.amdhsa_system_vgpr_workitem_id 0
		.amdhsa_next_free_vgpr 1
		.amdhsa_next_free_sgpr 0
		.amdhsa_accum_offset 4
		.amdhsa_reserve_vcc 0
		.amdhsa_reserve_flat_scratch 0
		.amdhsa_float_round_mode_32 0
		.amdhsa_float_round_mode_16_64 0
		.amdhsa_float_denorm_mode_32 3
		.amdhsa_float_denorm_mode_16_64 3
		.amdhsa_dx10_clamp 1
		.amdhsa_ieee_mode 1
		.amdhsa_fp16_overflow 0
		.amdhsa_tg_split 0
		.amdhsa_exception_fp_ieee_invalid_op 0
		.amdhsa_exception_fp_denorm_src 0
		.amdhsa_exception_fp_ieee_div_zero 0
		.amdhsa_exception_fp_ieee_overflow 0
		.amdhsa_exception_fp_ieee_underflow 0
		.amdhsa_exception_fp_ieee_inexact 0
		.amdhsa_exception_int_div_zero 0
	.end_amdhsa_kernel
	.section	.text._ZN7rocprim17ROCPRIM_400000_NS6detail17trampoline_kernelINS0_14default_configENS1_25partition_config_selectorILNS1_17partition_subalgoE1EtNS0_10empty_typeEbEEZZNS1_14partition_implILS5_1ELb0ES3_jN6thrust23THRUST_200600_302600_NS6detail15normal_iteratorINSA_10device_ptrItEEEEPS6_NSA_18transform_iteratorI7is_evenItESF_NSA_11use_defaultESK_EENS0_5tupleIJSF_NSA_16discard_iteratorISK_EEEEENSM_IJSG_SG_EEES6_PlJS6_EEE10hipError_tPvRmT3_T4_T5_T6_T7_T9_mT8_P12ihipStream_tbDpT10_ENKUlT_T0_E_clISt17integral_constantIbLb1EES1A_IbLb0EEEEDaS16_S17_EUlS16_E_NS1_11comp_targetILNS1_3genE10ELNS1_11target_archE1200ELNS1_3gpuE4ELNS1_3repE0EEENS1_30default_config_static_selectorELNS0_4arch9wavefront6targetE1EEEvT1_,"axG",@progbits,_ZN7rocprim17ROCPRIM_400000_NS6detail17trampoline_kernelINS0_14default_configENS1_25partition_config_selectorILNS1_17partition_subalgoE1EtNS0_10empty_typeEbEEZZNS1_14partition_implILS5_1ELb0ES3_jN6thrust23THRUST_200600_302600_NS6detail15normal_iteratorINSA_10device_ptrItEEEEPS6_NSA_18transform_iteratorI7is_evenItESF_NSA_11use_defaultESK_EENS0_5tupleIJSF_NSA_16discard_iteratorISK_EEEEENSM_IJSG_SG_EEES6_PlJS6_EEE10hipError_tPvRmT3_T4_T5_T6_T7_T9_mT8_P12ihipStream_tbDpT10_ENKUlT_T0_E_clISt17integral_constantIbLb1EES1A_IbLb0EEEEDaS16_S17_EUlS16_E_NS1_11comp_targetILNS1_3genE10ELNS1_11target_archE1200ELNS1_3gpuE4ELNS1_3repE0EEENS1_30default_config_static_selectorELNS0_4arch9wavefront6targetE1EEEvT1_,comdat
.Lfunc_end3120:
	.size	_ZN7rocprim17ROCPRIM_400000_NS6detail17trampoline_kernelINS0_14default_configENS1_25partition_config_selectorILNS1_17partition_subalgoE1EtNS0_10empty_typeEbEEZZNS1_14partition_implILS5_1ELb0ES3_jN6thrust23THRUST_200600_302600_NS6detail15normal_iteratorINSA_10device_ptrItEEEEPS6_NSA_18transform_iteratorI7is_evenItESF_NSA_11use_defaultESK_EENS0_5tupleIJSF_NSA_16discard_iteratorISK_EEEEENSM_IJSG_SG_EEES6_PlJS6_EEE10hipError_tPvRmT3_T4_T5_T6_T7_T9_mT8_P12ihipStream_tbDpT10_ENKUlT_T0_E_clISt17integral_constantIbLb1EES1A_IbLb0EEEEDaS16_S17_EUlS16_E_NS1_11comp_targetILNS1_3genE10ELNS1_11target_archE1200ELNS1_3gpuE4ELNS1_3repE0EEENS1_30default_config_static_selectorELNS0_4arch9wavefront6targetE1EEEvT1_, .Lfunc_end3120-_ZN7rocprim17ROCPRIM_400000_NS6detail17trampoline_kernelINS0_14default_configENS1_25partition_config_selectorILNS1_17partition_subalgoE1EtNS0_10empty_typeEbEEZZNS1_14partition_implILS5_1ELb0ES3_jN6thrust23THRUST_200600_302600_NS6detail15normal_iteratorINSA_10device_ptrItEEEEPS6_NSA_18transform_iteratorI7is_evenItESF_NSA_11use_defaultESK_EENS0_5tupleIJSF_NSA_16discard_iteratorISK_EEEEENSM_IJSG_SG_EEES6_PlJS6_EEE10hipError_tPvRmT3_T4_T5_T6_T7_T9_mT8_P12ihipStream_tbDpT10_ENKUlT_T0_E_clISt17integral_constantIbLb1EES1A_IbLb0EEEEDaS16_S17_EUlS16_E_NS1_11comp_targetILNS1_3genE10ELNS1_11target_archE1200ELNS1_3gpuE4ELNS1_3repE0EEENS1_30default_config_static_selectorELNS0_4arch9wavefront6targetE1EEEvT1_
                                        ; -- End function
	.section	.AMDGPU.csdata,"",@progbits
; Kernel info:
; codeLenInByte = 0
; NumSgprs: 4
; NumVgprs: 0
; NumAgprs: 0
; TotalNumVgprs: 0
; ScratchSize: 0
; MemoryBound: 0
; FloatMode: 240
; IeeeMode: 1
; LDSByteSize: 0 bytes/workgroup (compile time only)
; SGPRBlocks: 0
; VGPRBlocks: 0
; NumSGPRsForWavesPerEU: 4
; NumVGPRsForWavesPerEU: 1
; AccumOffset: 4
; Occupancy: 8
; WaveLimiterHint : 0
; COMPUTE_PGM_RSRC2:SCRATCH_EN: 0
; COMPUTE_PGM_RSRC2:USER_SGPR: 6
; COMPUTE_PGM_RSRC2:TRAP_HANDLER: 0
; COMPUTE_PGM_RSRC2:TGID_X_EN: 1
; COMPUTE_PGM_RSRC2:TGID_Y_EN: 0
; COMPUTE_PGM_RSRC2:TGID_Z_EN: 0
; COMPUTE_PGM_RSRC2:TIDIG_COMP_CNT: 0
; COMPUTE_PGM_RSRC3_GFX90A:ACCUM_OFFSET: 0
; COMPUTE_PGM_RSRC3_GFX90A:TG_SPLIT: 0
	.section	.text._ZN7rocprim17ROCPRIM_400000_NS6detail17trampoline_kernelINS0_14default_configENS1_25partition_config_selectorILNS1_17partition_subalgoE1EtNS0_10empty_typeEbEEZZNS1_14partition_implILS5_1ELb0ES3_jN6thrust23THRUST_200600_302600_NS6detail15normal_iteratorINSA_10device_ptrItEEEEPS6_NSA_18transform_iteratorI7is_evenItESF_NSA_11use_defaultESK_EENS0_5tupleIJSF_NSA_16discard_iteratorISK_EEEEENSM_IJSG_SG_EEES6_PlJS6_EEE10hipError_tPvRmT3_T4_T5_T6_T7_T9_mT8_P12ihipStream_tbDpT10_ENKUlT_T0_E_clISt17integral_constantIbLb1EES1A_IbLb0EEEEDaS16_S17_EUlS16_E_NS1_11comp_targetILNS1_3genE9ELNS1_11target_archE1100ELNS1_3gpuE3ELNS1_3repE0EEENS1_30default_config_static_selectorELNS0_4arch9wavefront6targetE1EEEvT1_,"axG",@progbits,_ZN7rocprim17ROCPRIM_400000_NS6detail17trampoline_kernelINS0_14default_configENS1_25partition_config_selectorILNS1_17partition_subalgoE1EtNS0_10empty_typeEbEEZZNS1_14partition_implILS5_1ELb0ES3_jN6thrust23THRUST_200600_302600_NS6detail15normal_iteratorINSA_10device_ptrItEEEEPS6_NSA_18transform_iteratorI7is_evenItESF_NSA_11use_defaultESK_EENS0_5tupleIJSF_NSA_16discard_iteratorISK_EEEEENSM_IJSG_SG_EEES6_PlJS6_EEE10hipError_tPvRmT3_T4_T5_T6_T7_T9_mT8_P12ihipStream_tbDpT10_ENKUlT_T0_E_clISt17integral_constantIbLb1EES1A_IbLb0EEEEDaS16_S17_EUlS16_E_NS1_11comp_targetILNS1_3genE9ELNS1_11target_archE1100ELNS1_3gpuE3ELNS1_3repE0EEENS1_30default_config_static_selectorELNS0_4arch9wavefront6targetE1EEEvT1_,comdat
	.protected	_ZN7rocprim17ROCPRIM_400000_NS6detail17trampoline_kernelINS0_14default_configENS1_25partition_config_selectorILNS1_17partition_subalgoE1EtNS0_10empty_typeEbEEZZNS1_14partition_implILS5_1ELb0ES3_jN6thrust23THRUST_200600_302600_NS6detail15normal_iteratorINSA_10device_ptrItEEEEPS6_NSA_18transform_iteratorI7is_evenItESF_NSA_11use_defaultESK_EENS0_5tupleIJSF_NSA_16discard_iteratorISK_EEEEENSM_IJSG_SG_EEES6_PlJS6_EEE10hipError_tPvRmT3_T4_T5_T6_T7_T9_mT8_P12ihipStream_tbDpT10_ENKUlT_T0_E_clISt17integral_constantIbLb1EES1A_IbLb0EEEEDaS16_S17_EUlS16_E_NS1_11comp_targetILNS1_3genE9ELNS1_11target_archE1100ELNS1_3gpuE3ELNS1_3repE0EEENS1_30default_config_static_selectorELNS0_4arch9wavefront6targetE1EEEvT1_ ; -- Begin function _ZN7rocprim17ROCPRIM_400000_NS6detail17trampoline_kernelINS0_14default_configENS1_25partition_config_selectorILNS1_17partition_subalgoE1EtNS0_10empty_typeEbEEZZNS1_14partition_implILS5_1ELb0ES3_jN6thrust23THRUST_200600_302600_NS6detail15normal_iteratorINSA_10device_ptrItEEEEPS6_NSA_18transform_iteratorI7is_evenItESF_NSA_11use_defaultESK_EENS0_5tupleIJSF_NSA_16discard_iteratorISK_EEEEENSM_IJSG_SG_EEES6_PlJS6_EEE10hipError_tPvRmT3_T4_T5_T6_T7_T9_mT8_P12ihipStream_tbDpT10_ENKUlT_T0_E_clISt17integral_constantIbLb1EES1A_IbLb0EEEEDaS16_S17_EUlS16_E_NS1_11comp_targetILNS1_3genE9ELNS1_11target_archE1100ELNS1_3gpuE3ELNS1_3repE0EEENS1_30default_config_static_selectorELNS0_4arch9wavefront6targetE1EEEvT1_
	.globl	_ZN7rocprim17ROCPRIM_400000_NS6detail17trampoline_kernelINS0_14default_configENS1_25partition_config_selectorILNS1_17partition_subalgoE1EtNS0_10empty_typeEbEEZZNS1_14partition_implILS5_1ELb0ES3_jN6thrust23THRUST_200600_302600_NS6detail15normal_iteratorINSA_10device_ptrItEEEEPS6_NSA_18transform_iteratorI7is_evenItESF_NSA_11use_defaultESK_EENS0_5tupleIJSF_NSA_16discard_iteratorISK_EEEEENSM_IJSG_SG_EEES6_PlJS6_EEE10hipError_tPvRmT3_T4_T5_T6_T7_T9_mT8_P12ihipStream_tbDpT10_ENKUlT_T0_E_clISt17integral_constantIbLb1EES1A_IbLb0EEEEDaS16_S17_EUlS16_E_NS1_11comp_targetILNS1_3genE9ELNS1_11target_archE1100ELNS1_3gpuE3ELNS1_3repE0EEENS1_30default_config_static_selectorELNS0_4arch9wavefront6targetE1EEEvT1_
	.p2align	8
	.type	_ZN7rocprim17ROCPRIM_400000_NS6detail17trampoline_kernelINS0_14default_configENS1_25partition_config_selectorILNS1_17partition_subalgoE1EtNS0_10empty_typeEbEEZZNS1_14partition_implILS5_1ELb0ES3_jN6thrust23THRUST_200600_302600_NS6detail15normal_iteratorINSA_10device_ptrItEEEEPS6_NSA_18transform_iteratorI7is_evenItESF_NSA_11use_defaultESK_EENS0_5tupleIJSF_NSA_16discard_iteratorISK_EEEEENSM_IJSG_SG_EEES6_PlJS6_EEE10hipError_tPvRmT3_T4_T5_T6_T7_T9_mT8_P12ihipStream_tbDpT10_ENKUlT_T0_E_clISt17integral_constantIbLb1EES1A_IbLb0EEEEDaS16_S17_EUlS16_E_NS1_11comp_targetILNS1_3genE9ELNS1_11target_archE1100ELNS1_3gpuE3ELNS1_3repE0EEENS1_30default_config_static_selectorELNS0_4arch9wavefront6targetE1EEEvT1_,@function
_ZN7rocprim17ROCPRIM_400000_NS6detail17trampoline_kernelINS0_14default_configENS1_25partition_config_selectorILNS1_17partition_subalgoE1EtNS0_10empty_typeEbEEZZNS1_14partition_implILS5_1ELb0ES3_jN6thrust23THRUST_200600_302600_NS6detail15normal_iteratorINSA_10device_ptrItEEEEPS6_NSA_18transform_iteratorI7is_evenItESF_NSA_11use_defaultESK_EENS0_5tupleIJSF_NSA_16discard_iteratorISK_EEEEENSM_IJSG_SG_EEES6_PlJS6_EEE10hipError_tPvRmT3_T4_T5_T6_T7_T9_mT8_P12ihipStream_tbDpT10_ENKUlT_T0_E_clISt17integral_constantIbLb1EES1A_IbLb0EEEEDaS16_S17_EUlS16_E_NS1_11comp_targetILNS1_3genE9ELNS1_11target_archE1100ELNS1_3gpuE3ELNS1_3repE0EEENS1_30default_config_static_selectorELNS0_4arch9wavefront6targetE1EEEvT1_: ; @_ZN7rocprim17ROCPRIM_400000_NS6detail17trampoline_kernelINS0_14default_configENS1_25partition_config_selectorILNS1_17partition_subalgoE1EtNS0_10empty_typeEbEEZZNS1_14partition_implILS5_1ELb0ES3_jN6thrust23THRUST_200600_302600_NS6detail15normal_iteratorINSA_10device_ptrItEEEEPS6_NSA_18transform_iteratorI7is_evenItESF_NSA_11use_defaultESK_EENS0_5tupleIJSF_NSA_16discard_iteratorISK_EEEEENSM_IJSG_SG_EEES6_PlJS6_EEE10hipError_tPvRmT3_T4_T5_T6_T7_T9_mT8_P12ihipStream_tbDpT10_ENKUlT_T0_E_clISt17integral_constantIbLb1EES1A_IbLb0EEEEDaS16_S17_EUlS16_E_NS1_11comp_targetILNS1_3genE9ELNS1_11target_archE1100ELNS1_3gpuE3ELNS1_3repE0EEENS1_30default_config_static_selectorELNS0_4arch9wavefront6targetE1EEEvT1_
; %bb.0:
	.section	.rodata,"a",@progbits
	.p2align	6, 0x0
	.amdhsa_kernel _ZN7rocprim17ROCPRIM_400000_NS6detail17trampoline_kernelINS0_14default_configENS1_25partition_config_selectorILNS1_17partition_subalgoE1EtNS0_10empty_typeEbEEZZNS1_14partition_implILS5_1ELb0ES3_jN6thrust23THRUST_200600_302600_NS6detail15normal_iteratorINSA_10device_ptrItEEEEPS6_NSA_18transform_iteratorI7is_evenItESF_NSA_11use_defaultESK_EENS0_5tupleIJSF_NSA_16discard_iteratorISK_EEEEENSM_IJSG_SG_EEES6_PlJS6_EEE10hipError_tPvRmT3_T4_T5_T6_T7_T9_mT8_P12ihipStream_tbDpT10_ENKUlT_T0_E_clISt17integral_constantIbLb1EES1A_IbLb0EEEEDaS16_S17_EUlS16_E_NS1_11comp_targetILNS1_3genE9ELNS1_11target_archE1100ELNS1_3gpuE3ELNS1_3repE0EEENS1_30default_config_static_selectorELNS0_4arch9wavefront6targetE1EEEvT1_
		.amdhsa_group_segment_fixed_size 0
		.amdhsa_private_segment_fixed_size 0
		.amdhsa_kernarg_size 136
		.amdhsa_user_sgpr_count 6
		.amdhsa_user_sgpr_private_segment_buffer 1
		.amdhsa_user_sgpr_dispatch_ptr 0
		.amdhsa_user_sgpr_queue_ptr 0
		.amdhsa_user_sgpr_kernarg_segment_ptr 1
		.amdhsa_user_sgpr_dispatch_id 0
		.amdhsa_user_sgpr_flat_scratch_init 0
		.amdhsa_user_sgpr_kernarg_preload_length 0
		.amdhsa_user_sgpr_kernarg_preload_offset 0
		.amdhsa_user_sgpr_private_segment_size 0
		.amdhsa_uses_dynamic_stack 0
		.amdhsa_system_sgpr_private_segment_wavefront_offset 0
		.amdhsa_system_sgpr_workgroup_id_x 1
		.amdhsa_system_sgpr_workgroup_id_y 0
		.amdhsa_system_sgpr_workgroup_id_z 0
		.amdhsa_system_sgpr_workgroup_info 0
		.amdhsa_system_vgpr_workitem_id 0
		.amdhsa_next_free_vgpr 1
		.amdhsa_next_free_sgpr 0
		.amdhsa_accum_offset 4
		.amdhsa_reserve_vcc 0
		.amdhsa_reserve_flat_scratch 0
		.amdhsa_float_round_mode_32 0
		.amdhsa_float_round_mode_16_64 0
		.amdhsa_float_denorm_mode_32 3
		.amdhsa_float_denorm_mode_16_64 3
		.amdhsa_dx10_clamp 1
		.amdhsa_ieee_mode 1
		.amdhsa_fp16_overflow 0
		.amdhsa_tg_split 0
		.amdhsa_exception_fp_ieee_invalid_op 0
		.amdhsa_exception_fp_denorm_src 0
		.amdhsa_exception_fp_ieee_div_zero 0
		.amdhsa_exception_fp_ieee_overflow 0
		.amdhsa_exception_fp_ieee_underflow 0
		.amdhsa_exception_fp_ieee_inexact 0
		.amdhsa_exception_int_div_zero 0
	.end_amdhsa_kernel
	.section	.text._ZN7rocprim17ROCPRIM_400000_NS6detail17trampoline_kernelINS0_14default_configENS1_25partition_config_selectorILNS1_17partition_subalgoE1EtNS0_10empty_typeEbEEZZNS1_14partition_implILS5_1ELb0ES3_jN6thrust23THRUST_200600_302600_NS6detail15normal_iteratorINSA_10device_ptrItEEEEPS6_NSA_18transform_iteratorI7is_evenItESF_NSA_11use_defaultESK_EENS0_5tupleIJSF_NSA_16discard_iteratorISK_EEEEENSM_IJSG_SG_EEES6_PlJS6_EEE10hipError_tPvRmT3_T4_T5_T6_T7_T9_mT8_P12ihipStream_tbDpT10_ENKUlT_T0_E_clISt17integral_constantIbLb1EES1A_IbLb0EEEEDaS16_S17_EUlS16_E_NS1_11comp_targetILNS1_3genE9ELNS1_11target_archE1100ELNS1_3gpuE3ELNS1_3repE0EEENS1_30default_config_static_selectorELNS0_4arch9wavefront6targetE1EEEvT1_,"axG",@progbits,_ZN7rocprim17ROCPRIM_400000_NS6detail17trampoline_kernelINS0_14default_configENS1_25partition_config_selectorILNS1_17partition_subalgoE1EtNS0_10empty_typeEbEEZZNS1_14partition_implILS5_1ELb0ES3_jN6thrust23THRUST_200600_302600_NS6detail15normal_iteratorINSA_10device_ptrItEEEEPS6_NSA_18transform_iteratorI7is_evenItESF_NSA_11use_defaultESK_EENS0_5tupleIJSF_NSA_16discard_iteratorISK_EEEEENSM_IJSG_SG_EEES6_PlJS6_EEE10hipError_tPvRmT3_T4_T5_T6_T7_T9_mT8_P12ihipStream_tbDpT10_ENKUlT_T0_E_clISt17integral_constantIbLb1EES1A_IbLb0EEEEDaS16_S17_EUlS16_E_NS1_11comp_targetILNS1_3genE9ELNS1_11target_archE1100ELNS1_3gpuE3ELNS1_3repE0EEENS1_30default_config_static_selectorELNS0_4arch9wavefront6targetE1EEEvT1_,comdat
.Lfunc_end3121:
	.size	_ZN7rocprim17ROCPRIM_400000_NS6detail17trampoline_kernelINS0_14default_configENS1_25partition_config_selectorILNS1_17partition_subalgoE1EtNS0_10empty_typeEbEEZZNS1_14partition_implILS5_1ELb0ES3_jN6thrust23THRUST_200600_302600_NS6detail15normal_iteratorINSA_10device_ptrItEEEEPS6_NSA_18transform_iteratorI7is_evenItESF_NSA_11use_defaultESK_EENS0_5tupleIJSF_NSA_16discard_iteratorISK_EEEEENSM_IJSG_SG_EEES6_PlJS6_EEE10hipError_tPvRmT3_T4_T5_T6_T7_T9_mT8_P12ihipStream_tbDpT10_ENKUlT_T0_E_clISt17integral_constantIbLb1EES1A_IbLb0EEEEDaS16_S17_EUlS16_E_NS1_11comp_targetILNS1_3genE9ELNS1_11target_archE1100ELNS1_3gpuE3ELNS1_3repE0EEENS1_30default_config_static_selectorELNS0_4arch9wavefront6targetE1EEEvT1_, .Lfunc_end3121-_ZN7rocprim17ROCPRIM_400000_NS6detail17trampoline_kernelINS0_14default_configENS1_25partition_config_selectorILNS1_17partition_subalgoE1EtNS0_10empty_typeEbEEZZNS1_14partition_implILS5_1ELb0ES3_jN6thrust23THRUST_200600_302600_NS6detail15normal_iteratorINSA_10device_ptrItEEEEPS6_NSA_18transform_iteratorI7is_evenItESF_NSA_11use_defaultESK_EENS0_5tupleIJSF_NSA_16discard_iteratorISK_EEEEENSM_IJSG_SG_EEES6_PlJS6_EEE10hipError_tPvRmT3_T4_T5_T6_T7_T9_mT8_P12ihipStream_tbDpT10_ENKUlT_T0_E_clISt17integral_constantIbLb1EES1A_IbLb0EEEEDaS16_S17_EUlS16_E_NS1_11comp_targetILNS1_3genE9ELNS1_11target_archE1100ELNS1_3gpuE3ELNS1_3repE0EEENS1_30default_config_static_selectorELNS0_4arch9wavefront6targetE1EEEvT1_
                                        ; -- End function
	.section	.AMDGPU.csdata,"",@progbits
; Kernel info:
; codeLenInByte = 0
; NumSgprs: 4
; NumVgprs: 0
; NumAgprs: 0
; TotalNumVgprs: 0
; ScratchSize: 0
; MemoryBound: 0
; FloatMode: 240
; IeeeMode: 1
; LDSByteSize: 0 bytes/workgroup (compile time only)
; SGPRBlocks: 0
; VGPRBlocks: 0
; NumSGPRsForWavesPerEU: 4
; NumVGPRsForWavesPerEU: 1
; AccumOffset: 4
; Occupancy: 8
; WaveLimiterHint : 0
; COMPUTE_PGM_RSRC2:SCRATCH_EN: 0
; COMPUTE_PGM_RSRC2:USER_SGPR: 6
; COMPUTE_PGM_RSRC2:TRAP_HANDLER: 0
; COMPUTE_PGM_RSRC2:TGID_X_EN: 1
; COMPUTE_PGM_RSRC2:TGID_Y_EN: 0
; COMPUTE_PGM_RSRC2:TGID_Z_EN: 0
; COMPUTE_PGM_RSRC2:TIDIG_COMP_CNT: 0
; COMPUTE_PGM_RSRC3_GFX90A:ACCUM_OFFSET: 0
; COMPUTE_PGM_RSRC3_GFX90A:TG_SPLIT: 0
	.section	.text._ZN7rocprim17ROCPRIM_400000_NS6detail17trampoline_kernelINS0_14default_configENS1_25partition_config_selectorILNS1_17partition_subalgoE1EtNS0_10empty_typeEbEEZZNS1_14partition_implILS5_1ELb0ES3_jN6thrust23THRUST_200600_302600_NS6detail15normal_iteratorINSA_10device_ptrItEEEEPS6_NSA_18transform_iteratorI7is_evenItESF_NSA_11use_defaultESK_EENS0_5tupleIJSF_NSA_16discard_iteratorISK_EEEEENSM_IJSG_SG_EEES6_PlJS6_EEE10hipError_tPvRmT3_T4_T5_T6_T7_T9_mT8_P12ihipStream_tbDpT10_ENKUlT_T0_E_clISt17integral_constantIbLb1EES1A_IbLb0EEEEDaS16_S17_EUlS16_E_NS1_11comp_targetILNS1_3genE8ELNS1_11target_archE1030ELNS1_3gpuE2ELNS1_3repE0EEENS1_30default_config_static_selectorELNS0_4arch9wavefront6targetE1EEEvT1_,"axG",@progbits,_ZN7rocprim17ROCPRIM_400000_NS6detail17trampoline_kernelINS0_14default_configENS1_25partition_config_selectorILNS1_17partition_subalgoE1EtNS0_10empty_typeEbEEZZNS1_14partition_implILS5_1ELb0ES3_jN6thrust23THRUST_200600_302600_NS6detail15normal_iteratorINSA_10device_ptrItEEEEPS6_NSA_18transform_iteratorI7is_evenItESF_NSA_11use_defaultESK_EENS0_5tupleIJSF_NSA_16discard_iteratorISK_EEEEENSM_IJSG_SG_EEES6_PlJS6_EEE10hipError_tPvRmT3_T4_T5_T6_T7_T9_mT8_P12ihipStream_tbDpT10_ENKUlT_T0_E_clISt17integral_constantIbLb1EES1A_IbLb0EEEEDaS16_S17_EUlS16_E_NS1_11comp_targetILNS1_3genE8ELNS1_11target_archE1030ELNS1_3gpuE2ELNS1_3repE0EEENS1_30default_config_static_selectorELNS0_4arch9wavefront6targetE1EEEvT1_,comdat
	.protected	_ZN7rocprim17ROCPRIM_400000_NS6detail17trampoline_kernelINS0_14default_configENS1_25partition_config_selectorILNS1_17partition_subalgoE1EtNS0_10empty_typeEbEEZZNS1_14partition_implILS5_1ELb0ES3_jN6thrust23THRUST_200600_302600_NS6detail15normal_iteratorINSA_10device_ptrItEEEEPS6_NSA_18transform_iteratorI7is_evenItESF_NSA_11use_defaultESK_EENS0_5tupleIJSF_NSA_16discard_iteratorISK_EEEEENSM_IJSG_SG_EEES6_PlJS6_EEE10hipError_tPvRmT3_T4_T5_T6_T7_T9_mT8_P12ihipStream_tbDpT10_ENKUlT_T0_E_clISt17integral_constantIbLb1EES1A_IbLb0EEEEDaS16_S17_EUlS16_E_NS1_11comp_targetILNS1_3genE8ELNS1_11target_archE1030ELNS1_3gpuE2ELNS1_3repE0EEENS1_30default_config_static_selectorELNS0_4arch9wavefront6targetE1EEEvT1_ ; -- Begin function _ZN7rocprim17ROCPRIM_400000_NS6detail17trampoline_kernelINS0_14default_configENS1_25partition_config_selectorILNS1_17partition_subalgoE1EtNS0_10empty_typeEbEEZZNS1_14partition_implILS5_1ELb0ES3_jN6thrust23THRUST_200600_302600_NS6detail15normal_iteratorINSA_10device_ptrItEEEEPS6_NSA_18transform_iteratorI7is_evenItESF_NSA_11use_defaultESK_EENS0_5tupleIJSF_NSA_16discard_iteratorISK_EEEEENSM_IJSG_SG_EEES6_PlJS6_EEE10hipError_tPvRmT3_T4_T5_T6_T7_T9_mT8_P12ihipStream_tbDpT10_ENKUlT_T0_E_clISt17integral_constantIbLb1EES1A_IbLb0EEEEDaS16_S17_EUlS16_E_NS1_11comp_targetILNS1_3genE8ELNS1_11target_archE1030ELNS1_3gpuE2ELNS1_3repE0EEENS1_30default_config_static_selectorELNS0_4arch9wavefront6targetE1EEEvT1_
	.globl	_ZN7rocprim17ROCPRIM_400000_NS6detail17trampoline_kernelINS0_14default_configENS1_25partition_config_selectorILNS1_17partition_subalgoE1EtNS0_10empty_typeEbEEZZNS1_14partition_implILS5_1ELb0ES3_jN6thrust23THRUST_200600_302600_NS6detail15normal_iteratorINSA_10device_ptrItEEEEPS6_NSA_18transform_iteratorI7is_evenItESF_NSA_11use_defaultESK_EENS0_5tupleIJSF_NSA_16discard_iteratorISK_EEEEENSM_IJSG_SG_EEES6_PlJS6_EEE10hipError_tPvRmT3_T4_T5_T6_T7_T9_mT8_P12ihipStream_tbDpT10_ENKUlT_T0_E_clISt17integral_constantIbLb1EES1A_IbLb0EEEEDaS16_S17_EUlS16_E_NS1_11comp_targetILNS1_3genE8ELNS1_11target_archE1030ELNS1_3gpuE2ELNS1_3repE0EEENS1_30default_config_static_selectorELNS0_4arch9wavefront6targetE1EEEvT1_
	.p2align	8
	.type	_ZN7rocprim17ROCPRIM_400000_NS6detail17trampoline_kernelINS0_14default_configENS1_25partition_config_selectorILNS1_17partition_subalgoE1EtNS0_10empty_typeEbEEZZNS1_14partition_implILS5_1ELb0ES3_jN6thrust23THRUST_200600_302600_NS6detail15normal_iteratorINSA_10device_ptrItEEEEPS6_NSA_18transform_iteratorI7is_evenItESF_NSA_11use_defaultESK_EENS0_5tupleIJSF_NSA_16discard_iteratorISK_EEEEENSM_IJSG_SG_EEES6_PlJS6_EEE10hipError_tPvRmT3_T4_T5_T6_T7_T9_mT8_P12ihipStream_tbDpT10_ENKUlT_T0_E_clISt17integral_constantIbLb1EES1A_IbLb0EEEEDaS16_S17_EUlS16_E_NS1_11comp_targetILNS1_3genE8ELNS1_11target_archE1030ELNS1_3gpuE2ELNS1_3repE0EEENS1_30default_config_static_selectorELNS0_4arch9wavefront6targetE1EEEvT1_,@function
_ZN7rocprim17ROCPRIM_400000_NS6detail17trampoline_kernelINS0_14default_configENS1_25partition_config_selectorILNS1_17partition_subalgoE1EtNS0_10empty_typeEbEEZZNS1_14partition_implILS5_1ELb0ES3_jN6thrust23THRUST_200600_302600_NS6detail15normal_iteratorINSA_10device_ptrItEEEEPS6_NSA_18transform_iteratorI7is_evenItESF_NSA_11use_defaultESK_EENS0_5tupleIJSF_NSA_16discard_iteratorISK_EEEEENSM_IJSG_SG_EEES6_PlJS6_EEE10hipError_tPvRmT3_T4_T5_T6_T7_T9_mT8_P12ihipStream_tbDpT10_ENKUlT_T0_E_clISt17integral_constantIbLb1EES1A_IbLb0EEEEDaS16_S17_EUlS16_E_NS1_11comp_targetILNS1_3genE8ELNS1_11target_archE1030ELNS1_3gpuE2ELNS1_3repE0EEENS1_30default_config_static_selectorELNS0_4arch9wavefront6targetE1EEEvT1_: ; @_ZN7rocprim17ROCPRIM_400000_NS6detail17trampoline_kernelINS0_14default_configENS1_25partition_config_selectorILNS1_17partition_subalgoE1EtNS0_10empty_typeEbEEZZNS1_14partition_implILS5_1ELb0ES3_jN6thrust23THRUST_200600_302600_NS6detail15normal_iteratorINSA_10device_ptrItEEEEPS6_NSA_18transform_iteratorI7is_evenItESF_NSA_11use_defaultESK_EENS0_5tupleIJSF_NSA_16discard_iteratorISK_EEEEENSM_IJSG_SG_EEES6_PlJS6_EEE10hipError_tPvRmT3_T4_T5_T6_T7_T9_mT8_P12ihipStream_tbDpT10_ENKUlT_T0_E_clISt17integral_constantIbLb1EES1A_IbLb0EEEEDaS16_S17_EUlS16_E_NS1_11comp_targetILNS1_3genE8ELNS1_11target_archE1030ELNS1_3gpuE2ELNS1_3repE0EEENS1_30default_config_static_selectorELNS0_4arch9wavefront6targetE1EEEvT1_
; %bb.0:
	.section	.rodata,"a",@progbits
	.p2align	6, 0x0
	.amdhsa_kernel _ZN7rocprim17ROCPRIM_400000_NS6detail17trampoline_kernelINS0_14default_configENS1_25partition_config_selectorILNS1_17partition_subalgoE1EtNS0_10empty_typeEbEEZZNS1_14partition_implILS5_1ELb0ES3_jN6thrust23THRUST_200600_302600_NS6detail15normal_iteratorINSA_10device_ptrItEEEEPS6_NSA_18transform_iteratorI7is_evenItESF_NSA_11use_defaultESK_EENS0_5tupleIJSF_NSA_16discard_iteratorISK_EEEEENSM_IJSG_SG_EEES6_PlJS6_EEE10hipError_tPvRmT3_T4_T5_T6_T7_T9_mT8_P12ihipStream_tbDpT10_ENKUlT_T0_E_clISt17integral_constantIbLb1EES1A_IbLb0EEEEDaS16_S17_EUlS16_E_NS1_11comp_targetILNS1_3genE8ELNS1_11target_archE1030ELNS1_3gpuE2ELNS1_3repE0EEENS1_30default_config_static_selectorELNS0_4arch9wavefront6targetE1EEEvT1_
		.amdhsa_group_segment_fixed_size 0
		.amdhsa_private_segment_fixed_size 0
		.amdhsa_kernarg_size 136
		.amdhsa_user_sgpr_count 6
		.amdhsa_user_sgpr_private_segment_buffer 1
		.amdhsa_user_sgpr_dispatch_ptr 0
		.amdhsa_user_sgpr_queue_ptr 0
		.amdhsa_user_sgpr_kernarg_segment_ptr 1
		.amdhsa_user_sgpr_dispatch_id 0
		.amdhsa_user_sgpr_flat_scratch_init 0
		.amdhsa_user_sgpr_kernarg_preload_length 0
		.amdhsa_user_sgpr_kernarg_preload_offset 0
		.amdhsa_user_sgpr_private_segment_size 0
		.amdhsa_uses_dynamic_stack 0
		.amdhsa_system_sgpr_private_segment_wavefront_offset 0
		.amdhsa_system_sgpr_workgroup_id_x 1
		.amdhsa_system_sgpr_workgroup_id_y 0
		.amdhsa_system_sgpr_workgroup_id_z 0
		.amdhsa_system_sgpr_workgroup_info 0
		.amdhsa_system_vgpr_workitem_id 0
		.amdhsa_next_free_vgpr 1
		.amdhsa_next_free_sgpr 0
		.amdhsa_accum_offset 4
		.amdhsa_reserve_vcc 0
		.amdhsa_reserve_flat_scratch 0
		.amdhsa_float_round_mode_32 0
		.amdhsa_float_round_mode_16_64 0
		.amdhsa_float_denorm_mode_32 3
		.amdhsa_float_denorm_mode_16_64 3
		.amdhsa_dx10_clamp 1
		.amdhsa_ieee_mode 1
		.amdhsa_fp16_overflow 0
		.amdhsa_tg_split 0
		.amdhsa_exception_fp_ieee_invalid_op 0
		.amdhsa_exception_fp_denorm_src 0
		.amdhsa_exception_fp_ieee_div_zero 0
		.amdhsa_exception_fp_ieee_overflow 0
		.amdhsa_exception_fp_ieee_underflow 0
		.amdhsa_exception_fp_ieee_inexact 0
		.amdhsa_exception_int_div_zero 0
	.end_amdhsa_kernel
	.section	.text._ZN7rocprim17ROCPRIM_400000_NS6detail17trampoline_kernelINS0_14default_configENS1_25partition_config_selectorILNS1_17partition_subalgoE1EtNS0_10empty_typeEbEEZZNS1_14partition_implILS5_1ELb0ES3_jN6thrust23THRUST_200600_302600_NS6detail15normal_iteratorINSA_10device_ptrItEEEEPS6_NSA_18transform_iteratorI7is_evenItESF_NSA_11use_defaultESK_EENS0_5tupleIJSF_NSA_16discard_iteratorISK_EEEEENSM_IJSG_SG_EEES6_PlJS6_EEE10hipError_tPvRmT3_T4_T5_T6_T7_T9_mT8_P12ihipStream_tbDpT10_ENKUlT_T0_E_clISt17integral_constantIbLb1EES1A_IbLb0EEEEDaS16_S17_EUlS16_E_NS1_11comp_targetILNS1_3genE8ELNS1_11target_archE1030ELNS1_3gpuE2ELNS1_3repE0EEENS1_30default_config_static_selectorELNS0_4arch9wavefront6targetE1EEEvT1_,"axG",@progbits,_ZN7rocprim17ROCPRIM_400000_NS6detail17trampoline_kernelINS0_14default_configENS1_25partition_config_selectorILNS1_17partition_subalgoE1EtNS0_10empty_typeEbEEZZNS1_14partition_implILS5_1ELb0ES3_jN6thrust23THRUST_200600_302600_NS6detail15normal_iteratorINSA_10device_ptrItEEEEPS6_NSA_18transform_iteratorI7is_evenItESF_NSA_11use_defaultESK_EENS0_5tupleIJSF_NSA_16discard_iteratorISK_EEEEENSM_IJSG_SG_EEES6_PlJS6_EEE10hipError_tPvRmT3_T4_T5_T6_T7_T9_mT8_P12ihipStream_tbDpT10_ENKUlT_T0_E_clISt17integral_constantIbLb1EES1A_IbLb0EEEEDaS16_S17_EUlS16_E_NS1_11comp_targetILNS1_3genE8ELNS1_11target_archE1030ELNS1_3gpuE2ELNS1_3repE0EEENS1_30default_config_static_selectorELNS0_4arch9wavefront6targetE1EEEvT1_,comdat
.Lfunc_end3122:
	.size	_ZN7rocprim17ROCPRIM_400000_NS6detail17trampoline_kernelINS0_14default_configENS1_25partition_config_selectorILNS1_17partition_subalgoE1EtNS0_10empty_typeEbEEZZNS1_14partition_implILS5_1ELb0ES3_jN6thrust23THRUST_200600_302600_NS6detail15normal_iteratorINSA_10device_ptrItEEEEPS6_NSA_18transform_iteratorI7is_evenItESF_NSA_11use_defaultESK_EENS0_5tupleIJSF_NSA_16discard_iteratorISK_EEEEENSM_IJSG_SG_EEES6_PlJS6_EEE10hipError_tPvRmT3_T4_T5_T6_T7_T9_mT8_P12ihipStream_tbDpT10_ENKUlT_T0_E_clISt17integral_constantIbLb1EES1A_IbLb0EEEEDaS16_S17_EUlS16_E_NS1_11comp_targetILNS1_3genE8ELNS1_11target_archE1030ELNS1_3gpuE2ELNS1_3repE0EEENS1_30default_config_static_selectorELNS0_4arch9wavefront6targetE1EEEvT1_, .Lfunc_end3122-_ZN7rocprim17ROCPRIM_400000_NS6detail17trampoline_kernelINS0_14default_configENS1_25partition_config_selectorILNS1_17partition_subalgoE1EtNS0_10empty_typeEbEEZZNS1_14partition_implILS5_1ELb0ES3_jN6thrust23THRUST_200600_302600_NS6detail15normal_iteratorINSA_10device_ptrItEEEEPS6_NSA_18transform_iteratorI7is_evenItESF_NSA_11use_defaultESK_EENS0_5tupleIJSF_NSA_16discard_iteratorISK_EEEEENSM_IJSG_SG_EEES6_PlJS6_EEE10hipError_tPvRmT3_T4_T5_T6_T7_T9_mT8_P12ihipStream_tbDpT10_ENKUlT_T0_E_clISt17integral_constantIbLb1EES1A_IbLb0EEEEDaS16_S17_EUlS16_E_NS1_11comp_targetILNS1_3genE8ELNS1_11target_archE1030ELNS1_3gpuE2ELNS1_3repE0EEENS1_30default_config_static_selectorELNS0_4arch9wavefront6targetE1EEEvT1_
                                        ; -- End function
	.section	.AMDGPU.csdata,"",@progbits
; Kernel info:
; codeLenInByte = 0
; NumSgprs: 4
; NumVgprs: 0
; NumAgprs: 0
; TotalNumVgprs: 0
; ScratchSize: 0
; MemoryBound: 0
; FloatMode: 240
; IeeeMode: 1
; LDSByteSize: 0 bytes/workgroup (compile time only)
; SGPRBlocks: 0
; VGPRBlocks: 0
; NumSGPRsForWavesPerEU: 4
; NumVGPRsForWavesPerEU: 1
; AccumOffset: 4
; Occupancy: 8
; WaveLimiterHint : 0
; COMPUTE_PGM_RSRC2:SCRATCH_EN: 0
; COMPUTE_PGM_RSRC2:USER_SGPR: 6
; COMPUTE_PGM_RSRC2:TRAP_HANDLER: 0
; COMPUTE_PGM_RSRC2:TGID_X_EN: 1
; COMPUTE_PGM_RSRC2:TGID_Y_EN: 0
; COMPUTE_PGM_RSRC2:TGID_Z_EN: 0
; COMPUTE_PGM_RSRC2:TIDIG_COMP_CNT: 0
; COMPUTE_PGM_RSRC3_GFX90A:ACCUM_OFFSET: 0
; COMPUTE_PGM_RSRC3_GFX90A:TG_SPLIT: 0
	.section	.text._ZN7rocprim17ROCPRIM_400000_NS6detail17trampoline_kernelINS0_14default_configENS1_25partition_config_selectorILNS1_17partition_subalgoE1EtNS0_10empty_typeEbEEZZNS1_14partition_implILS5_1ELb0ES3_jN6thrust23THRUST_200600_302600_NS6detail15normal_iteratorINSA_10device_ptrItEEEEPS6_NSA_18transform_iteratorI7is_evenItESF_NSA_11use_defaultESK_EENS0_5tupleIJSF_NSA_16discard_iteratorISK_EEEEENSM_IJSG_SG_EEES6_PlJS6_EEE10hipError_tPvRmT3_T4_T5_T6_T7_T9_mT8_P12ihipStream_tbDpT10_ENKUlT_T0_E_clISt17integral_constantIbLb0EES1A_IbLb1EEEEDaS16_S17_EUlS16_E_NS1_11comp_targetILNS1_3genE0ELNS1_11target_archE4294967295ELNS1_3gpuE0ELNS1_3repE0EEENS1_30default_config_static_selectorELNS0_4arch9wavefront6targetE1EEEvT1_,"axG",@progbits,_ZN7rocprim17ROCPRIM_400000_NS6detail17trampoline_kernelINS0_14default_configENS1_25partition_config_selectorILNS1_17partition_subalgoE1EtNS0_10empty_typeEbEEZZNS1_14partition_implILS5_1ELb0ES3_jN6thrust23THRUST_200600_302600_NS6detail15normal_iteratorINSA_10device_ptrItEEEEPS6_NSA_18transform_iteratorI7is_evenItESF_NSA_11use_defaultESK_EENS0_5tupleIJSF_NSA_16discard_iteratorISK_EEEEENSM_IJSG_SG_EEES6_PlJS6_EEE10hipError_tPvRmT3_T4_T5_T6_T7_T9_mT8_P12ihipStream_tbDpT10_ENKUlT_T0_E_clISt17integral_constantIbLb0EES1A_IbLb1EEEEDaS16_S17_EUlS16_E_NS1_11comp_targetILNS1_3genE0ELNS1_11target_archE4294967295ELNS1_3gpuE0ELNS1_3repE0EEENS1_30default_config_static_selectorELNS0_4arch9wavefront6targetE1EEEvT1_,comdat
	.protected	_ZN7rocprim17ROCPRIM_400000_NS6detail17trampoline_kernelINS0_14default_configENS1_25partition_config_selectorILNS1_17partition_subalgoE1EtNS0_10empty_typeEbEEZZNS1_14partition_implILS5_1ELb0ES3_jN6thrust23THRUST_200600_302600_NS6detail15normal_iteratorINSA_10device_ptrItEEEEPS6_NSA_18transform_iteratorI7is_evenItESF_NSA_11use_defaultESK_EENS0_5tupleIJSF_NSA_16discard_iteratorISK_EEEEENSM_IJSG_SG_EEES6_PlJS6_EEE10hipError_tPvRmT3_T4_T5_T6_T7_T9_mT8_P12ihipStream_tbDpT10_ENKUlT_T0_E_clISt17integral_constantIbLb0EES1A_IbLb1EEEEDaS16_S17_EUlS16_E_NS1_11comp_targetILNS1_3genE0ELNS1_11target_archE4294967295ELNS1_3gpuE0ELNS1_3repE0EEENS1_30default_config_static_selectorELNS0_4arch9wavefront6targetE1EEEvT1_ ; -- Begin function _ZN7rocprim17ROCPRIM_400000_NS6detail17trampoline_kernelINS0_14default_configENS1_25partition_config_selectorILNS1_17partition_subalgoE1EtNS0_10empty_typeEbEEZZNS1_14partition_implILS5_1ELb0ES3_jN6thrust23THRUST_200600_302600_NS6detail15normal_iteratorINSA_10device_ptrItEEEEPS6_NSA_18transform_iteratorI7is_evenItESF_NSA_11use_defaultESK_EENS0_5tupleIJSF_NSA_16discard_iteratorISK_EEEEENSM_IJSG_SG_EEES6_PlJS6_EEE10hipError_tPvRmT3_T4_T5_T6_T7_T9_mT8_P12ihipStream_tbDpT10_ENKUlT_T0_E_clISt17integral_constantIbLb0EES1A_IbLb1EEEEDaS16_S17_EUlS16_E_NS1_11comp_targetILNS1_3genE0ELNS1_11target_archE4294967295ELNS1_3gpuE0ELNS1_3repE0EEENS1_30default_config_static_selectorELNS0_4arch9wavefront6targetE1EEEvT1_
	.globl	_ZN7rocprim17ROCPRIM_400000_NS6detail17trampoline_kernelINS0_14default_configENS1_25partition_config_selectorILNS1_17partition_subalgoE1EtNS0_10empty_typeEbEEZZNS1_14partition_implILS5_1ELb0ES3_jN6thrust23THRUST_200600_302600_NS6detail15normal_iteratorINSA_10device_ptrItEEEEPS6_NSA_18transform_iteratorI7is_evenItESF_NSA_11use_defaultESK_EENS0_5tupleIJSF_NSA_16discard_iteratorISK_EEEEENSM_IJSG_SG_EEES6_PlJS6_EEE10hipError_tPvRmT3_T4_T5_T6_T7_T9_mT8_P12ihipStream_tbDpT10_ENKUlT_T0_E_clISt17integral_constantIbLb0EES1A_IbLb1EEEEDaS16_S17_EUlS16_E_NS1_11comp_targetILNS1_3genE0ELNS1_11target_archE4294967295ELNS1_3gpuE0ELNS1_3repE0EEENS1_30default_config_static_selectorELNS0_4arch9wavefront6targetE1EEEvT1_
	.p2align	8
	.type	_ZN7rocprim17ROCPRIM_400000_NS6detail17trampoline_kernelINS0_14default_configENS1_25partition_config_selectorILNS1_17partition_subalgoE1EtNS0_10empty_typeEbEEZZNS1_14partition_implILS5_1ELb0ES3_jN6thrust23THRUST_200600_302600_NS6detail15normal_iteratorINSA_10device_ptrItEEEEPS6_NSA_18transform_iteratorI7is_evenItESF_NSA_11use_defaultESK_EENS0_5tupleIJSF_NSA_16discard_iteratorISK_EEEEENSM_IJSG_SG_EEES6_PlJS6_EEE10hipError_tPvRmT3_T4_T5_T6_T7_T9_mT8_P12ihipStream_tbDpT10_ENKUlT_T0_E_clISt17integral_constantIbLb0EES1A_IbLb1EEEEDaS16_S17_EUlS16_E_NS1_11comp_targetILNS1_3genE0ELNS1_11target_archE4294967295ELNS1_3gpuE0ELNS1_3repE0EEENS1_30default_config_static_selectorELNS0_4arch9wavefront6targetE1EEEvT1_,@function
_ZN7rocprim17ROCPRIM_400000_NS6detail17trampoline_kernelINS0_14default_configENS1_25partition_config_selectorILNS1_17partition_subalgoE1EtNS0_10empty_typeEbEEZZNS1_14partition_implILS5_1ELb0ES3_jN6thrust23THRUST_200600_302600_NS6detail15normal_iteratorINSA_10device_ptrItEEEEPS6_NSA_18transform_iteratorI7is_evenItESF_NSA_11use_defaultESK_EENS0_5tupleIJSF_NSA_16discard_iteratorISK_EEEEENSM_IJSG_SG_EEES6_PlJS6_EEE10hipError_tPvRmT3_T4_T5_T6_T7_T9_mT8_P12ihipStream_tbDpT10_ENKUlT_T0_E_clISt17integral_constantIbLb0EES1A_IbLb1EEEEDaS16_S17_EUlS16_E_NS1_11comp_targetILNS1_3genE0ELNS1_11target_archE4294967295ELNS1_3gpuE0ELNS1_3repE0EEENS1_30default_config_static_selectorELNS0_4arch9wavefront6targetE1EEEvT1_: ; @_ZN7rocprim17ROCPRIM_400000_NS6detail17trampoline_kernelINS0_14default_configENS1_25partition_config_selectorILNS1_17partition_subalgoE1EtNS0_10empty_typeEbEEZZNS1_14partition_implILS5_1ELb0ES3_jN6thrust23THRUST_200600_302600_NS6detail15normal_iteratorINSA_10device_ptrItEEEEPS6_NSA_18transform_iteratorI7is_evenItESF_NSA_11use_defaultESK_EENS0_5tupleIJSF_NSA_16discard_iteratorISK_EEEEENSM_IJSG_SG_EEES6_PlJS6_EEE10hipError_tPvRmT3_T4_T5_T6_T7_T9_mT8_P12ihipStream_tbDpT10_ENKUlT_T0_E_clISt17integral_constantIbLb0EES1A_IbLb1EEEEDaS16_S17_EUlS16_E_NS1_11comp_targetILNS1_3genE0ELNS1_11target_archE4294967295ELNS1_3gpuE0ELNS1_3repE0EEENS1_30default_config_static_selectorELNS0_4arch9wavefront6targetE1EEEvT1_
; %bb.0:
	.section	.rodata,"a",@progbits
	.p2align	6, 0x0
	.amdhsa_kernel _ZN7rocprim17ROCPRIM_400000_NS6detail17trampoline_kernelINS0_14default_configENS1_25partition_config_selectorILNS1_17partition_subalgoE1EtNS0_10empty_typeEbEEZZNS1_14partition_implILS5_1ELb0ES3_jN6thrust23THRUST_200600_302600_NS6detail15normal_iteratorINSA_10device_ptrItEEEEPS6_NSA_18transform_iteratorI7is_evenItESF_NSA_11use_defaultESK_EENS0_5tupleIJSF_NSA_16discard_iteratorISK_EEEEENSM_IJSG_SG_EEES6_PlJS6_EEE10hipError_tPvRmT3_T4_T5_T6_T7_T9_mT8_P12ihipStream_tbDpT10_ENKUlT_T0_E_clISt17integral_constantIbLb0EES1A_IbLb1EEEEDaS16_S17_EUlS16_E_NS1_11comp_targetILNS1_3genE0ELNS1_11target_archE4294967295ELNS1_3gpuE0ELNS1_3repE0EEENS1_30default_config_static_selectorELNS0_4arch9wavefront6targetE1EEEvT1_
		.amdhsa_group_segment_fixed_size 0
		.amdhsa_private_segment_fixed_size 0
		.amdhsa_kernarg_size 152
		.amdhsa_user_sgpr_count 6
		.amdhsa_user_sgpr_private_segment_buffer 1
		.amdhsa_user_sgpr_dispatch_ptr 0
		.amdhsa_user_sgpr_queue_ptr 0
		.amdhsa_user_sgpr_kernarg_segment_ptr 1
		.amdhsa_user_sgpr_dispatch_id 0
		.amdhsa_user_sgpr_flat_scratch_init 0
		.amdhsa_user_sgpr_kernarg_preload_length 0
		.amdhsa_user_sgpr_kernarg_preload_offset 0
		.amdhsa_user_sgpr_private_segment_size 0
		.amdhsa_uses_dynamic_stack 0
		.amdhsa_system_sgpr_private_segment_wavefront_offset 0
		.amdhsa_system_sgpr_workgroup_id_x 1
		.amdhsa_system_sgpr_workgroup_id_y 0
		.amdhsa_system_sgpr_workgroup_id_z 0
		.amdhsa_system_sgpr_workgroup_info 0
		.amdhsa_system_vgpr_workitem_id 0
		.amdhsa_next_free_vgpr 1
		.amdhsa_next_free_sgpr 0
		.amdhsa_accum_offset 4
		.amdhsa_reserve_vcc 0
		.amdhsa_reserve_flat_scratch 0
		.amdhsa_float_round_mode_32 0
		.amdhsa_float_round_mode_16_64 0
		.amdhsa_float_denorm_mode_32 3
		.amdhsa_float_denorm_mode_16_64 3
		.amdhsa_dx10_clamp 1
		.amdhsa_ieee_mode 1
		.amdhsa_fp16_overflow 0
		.amdhsa_tg_split 0
		.amdhsa_exception_fp_ieee_invalid_op 0
		.amdhsa_exception_fp_denorm_src 0
		.amdhsa_exception_fp_ieee_div_zero 0
		.amdhsa_exception_fp_ieee_overflow 0
		.amdhsa_exception_fp_ieee_underflow 0
		.amdhsa_exception_fp_ieee_inexact 0
		.amdhsa_exception_int_div_zero 0
	.end_amdhsa_kernel
	.section	.text._ZN7rocprim17ROCPRIM_400000_NS6detail17trampoline_kernelINS0_14default_configENS1_25partition_config_selectorILNS1_17partition_subalgoE1EtNS0_10empty_typeEbEEZZNS1_14partition_implILS5_1ELb0ES3_jN6thrust23THRUST_200600_302600_NS6detail15normal_iteratorINSA_10device_ptrItEEEEPS6_NSA_18transform_iteratorI7is_evenItESF_NSA_11use_defaultESK_EENS0_5tupleIJSF_NSA_16discard_iteratorISK_EEEEENSM_IJSG_SG_EEES6_PlJS6_EEE10hipError_tPvRmT3_T4_T5_T6_T7_T9_mT8_P12ihipStream_tbDpT10_ENKUlT_T0_E_clISt17integral_constantIbLb0EES1A_IbLb1EEEEDaS16_S17_EUlS16_E_NS1_11comp_targetILNS1_3genE0ELNS1_11target_archE4294967295ELNS1_3gpuE0ELNS1_3repE0EEENS1_30default_config_static_selectorELNS0_4arch9wavefront6targetE1EEEvT1_,"axG",@progbits,_ZN7rocprim17ROCPRIM_400000_NS6detail17trampoline_kernelINS0_14default_configENS1_25partition_config_selectorILNS1_17partition_subalgoE1EtNS0_10empty_typeEbEEZZNS1_14partition_implILS5_1ELb0ES3_jN6thrust23THRUST_200600_302600_NS6detail15normal_iteratorINSA_10device_ptrItEEEEPS6_NSA_18transform_iteratorI7is_evenItESF_NSA_11use_defaultESK_EENS0_5tupleIJSF_NSA_16discard_iteratorISK_EEEEENSM_IJSG_SG_EEES6_PlJS6_EEE10hipError_tPvRmT3_T4_T5_T6_T7_T9_mT8_P12ihipStream_tbDpT10_ENKUlT_T0_E_clISt17integral_constantIbLb0EES1A_IbLb1EEEEDaS16_S17_EUlS16_E_NS1_11comp_targetILNS1_3genE0ELNS1_11target_archE4294967295ELNS1_3gpuE0ELNS1_3repE0EEENS1_30default_config_static_selectorELNS0_4arch9wavefront6targetE1EEEvT1_,comdat
.Lfunc_end3123:
	.size	_ZN7rocprim17ROCPRIM_400000_NS6detail17trampoline_kernelINS0_14default_configENS1_25partition_config_selectorILNS1_17partition_subalgoE1EtNS0_10empty_typeEbEEZZNS1_14partition_implILS5_1ELb0ES3_jN6thrust23THRUST_200600_302600_NS6detail15normal_iteratorINSA_10device_ptrItEEEEPS6_NSA_18transform_iteratorI7is_evenItESF_NSA_11use_defaultESK_EENS0_5tupleIJSF_NSA_16discard_iteratorISK_EEEEENSM_IJSG_SG_EEES6_PlJS6_EEE10hipError_tPvRmT3_T4_T5_T6_T7_T9_mT8_P12ihipStream_tbDpT10_ENKUlT_T0_E_clISt17integral_constantIbLb0EES1A_IbLb1EEEEDaS16_S17_EUlS16_E_NS1_11comp_targetILNS1_3genE0ELNS1_11target_archE4294967295ELNS1_3gpuE0ELNS1_3repE0EEENS1_30default_config_static_selectorELNS0_4arch9wavefront6targetE1EEEvT1_, .Lfunc_end3123-_ZN7rocprim17ROCPRIM_400000_NS6detail17trampoline_kernelINS0_14default_configENS1_25partition_config_selectorILNS1_17partition_subalgoE1EtNS0_10empty_typeEbEEZZNS1_14partition_implILS5_1ELb0ES3_jN6thrust23THRUST_200600_302600_NS6detail15normal_iteratorINSA_10device_ptrItEEEEPS6_NSA_18transform_iteratorI7is_evenItESF_NSA_11use_defaultESK_EENS0_5tupleIJSF_NSA_16discard_iteratorISK_EEEEENSM_IJSG_SG_EEES6_PlJS6_EEE10hipError_tPvRmT3_T4_T5_T6_T7_T9_mT8_P12ihipStream_tbDpT10_ENKUlT_T0_E_clISt17integral_constantIbLb0EES1A_IbLb1EEEEDaS16_S17_EUlS16_E_NS1_11comp_targetILNS1_3genE0ELNS1_11target_archE4294967295ELNS1_3gpuE0ELNS1_3repE0EEENS1_30default_config_static_selectorELNS0_4arch9wavefront6targetE1EEEvT1_
                                        ; -- End function
	.section	.AMDGPU.csdata,"",@progbits
; Kernel info:
; codeLenInByte = 0
; NumSgprs: 4
; NumVgprs: 0
; NumAgprs: 0
; TotalNumVgprs: 0
; ScratchSize: 0
; MemoryBound: 0
; FloatMode: 240
; IeeeMode: 1
; LDSByteSize: 0 bytes/workgroup (compile time only)
; SGPRBlocks: 0
; VGPRBlocks: 0
; NumSGPRsForWavesPerEU: 4
; NumVGPRsForWavesPerEU: 1
; AccumOffset: 4
; Occupancy: 8
; WaveLimiterHint : 0
; COMPUTE_PGM_RSRC2:SCRATCH_EN: 0
; COMPUTE_PGM_RSRC2:USER_SGPR: 6
; COMPUTE_PGM_RSRC2:TRAP_HANDLER: 0
; COMPUTE_PGM_RSRC2:TGID_X_EN: 1
; COMPUTE_PGM_RSRC2:TGID_Y_EN: 0
; COMPUTE_PGM_RSRC2:TGID_Z_EN: 0
; COMPUTE_PGM_RSRC2:TIDIG_COMP_CNT: 0
; COMPUTE_PGM_RSRC3_GFX90A:ACCUM_OFFSET: 0
; COMPUTE_PGM_RSRC3_GFX90A:TG_SPLIT: 0
	.section	.text._ZN7rocprim17ROCPRIM_400000_NS6detail17trampoline_kernelINS0_14default_configENS1_25partition_config_selectorILNS1_17partition_subalgoE1EtNS0_10empty_typeEbEEZZNS1_14partition_implILS5_1ELb0ES3_jN6thrust23THRUST_200600_302600_NS6detail15normal_iteratorINSA_10device_ptrItEEEEPS6_NSA_18transform_iteratorI7is_evenItESF_NSA_11use_defaultESK_EENS0_5tupleIJSF_NSA_16discard_iteratorISK_EEEEENSM_IJSG_SG_EEES6_PlJS6_EEE10hipError_tPvRmT3_T4_T5_T6_T7_T9_mT8_P12ihipStream_tbDpT10_ENKUlT_T0_E_clISt17integral_constantIbLb0EES1A_IbLb1EEEEDaS16_S17_EUlS16_E_NS1_11comp_targetILNS1_3genE5ELNS1_11target_archE942ELNS1_3gpuE9ELNS1_3repE0EEENS1_30default_config_static_selectorELNS0_4arch9wavefront6targetE1EEEvT1_,"axG",@progbits,_ZN7rocprim17ROCPRIM_400000_NS6detail17trampoline_kernelINS0_14default_configENS1_25partition_config_selectorILNS1_17partition_subalgoE1EtNS0_10empty_typeEbEEZZNS1_14partition_implILS5_1ELb0ES3_jN6thrust23THRUST_200600_302600_NS6detail15normal_iteratorINSA_10device_ptrItEEEEPS6_NSA_18transform_iteratorI7is_evenItESF_NSA_11use_defaultESK_EENS0_5tupleIJSF_NSA_16discard_iteratorISK_EEEEENSM_IJSG_SG_EEES6_PlJS6_EEE10hipError_tPvRmT3_T4_T5_T6_T7_T9_mT8_P12ihipStream_tbDpT10_ENKUlT_T0_E_clISt17integral_constantIbLb0EES1A_IbLb1EEEEDaS16_S17_EUlS16_E_NS1_11comp_targetILNS1_3genE5ELNS1_11target_archE942ELNS1_3gpuE9ELNS1_3repE0EEENS1_30default_config_static_selectorELNS0_4arch9wavefront6targetE1EEEvT1_,comdat
	.protected	_ZN7rocprim17ROCPRIM_400000_NS6detail17trampoline_kernelINS0_14default_configENS1_25partition_config_selectorILNS1_17partition_subalgoE1EtNS0_10empty_typeEbEEZZNS1_14partition_implILS5_1ELb0ES3_jN6thrust23THRUST_200600_302600_NS6detail15normal_iteratorINSA_10device_ptrItEEEEPS6_NSA_18transform_iteratorI7is_evenItESF_NSA_11use_defaultESK_EENS0_5tupleIJSF_NSA_16discard_iteratorISK_EEEEENSM_IJSG_SG_EEES6_PlJS6_EEE10hipError_tPvRmT3_T4_T5_T6_T7_T9_mT8_P12ihipStream_tbDpT10_ENKUlT_T0_E_clISt17integral_constantIbLb0EES1A_IbLb1EEEEDaS16_S17_EUlS16_E_NS1_11comp_targetILNS1_3genE5ELNS1_11target_archE942ELNS1_3gpuE9ELNS1_3repE0EEENS1_30default_config_static_selectorELNS0_4arch9wavefront6targetE1EEEvT1_ ; -- Begin function _ZN7rocprim17ROCPRIM_400000_NS6detail17trampoline_kernelINS0_14default_configENS1_25partition_config_selectorILNS1_17partition_subalgoE1EtNS0_10empty_typeEbEEZZNS1_14partition_implILS5_1ELb0ES3_jN6thrust23THRUST_200600_302600_NS6detail15normal_iteratorINSA_10device_ptrItEEEEPS6_NSA_18transform_iteratorI7is_evenItESF_NSA_11use_defaultESK_EENS0_5tupleIJSF_NSA_16discard_iteratorISK_EEEEENSM_IJSG_SG_EEES6_PlJS6_EEE10hipError_tPvRmT3_T4_T5_T6_T7_T9_mT8_P12ihipStream_tbDpT10_ENKUlT_T0_E_clISt17integral_constantIbLb0EES1A_IbLb1EEEEDaS16_S17_EUlS16_E_NS1_11comp_targetILNS1_3genE5ELNS1_11target_archE942ELNS1_3gpuE9ELNS1_3repE0EEENS1_30default_config_static_selectorELNS0_4arch9wavefront6targetE1EEEvT1_
	.globl	_ZN7rocprim17ROCPRIM_400000_NS6detail17trampoline_kernelINS0_14default_configENS1_25partition_config_selectorILNS1_17partition_subalgoE1EtNS0_10empty_typeEbEEZZNS1_14partition_implILS5_1ELb0ES3_jN6thrust23THRUST_200600_302600_NS6detail15normal_iteratorINSA_10device_ptrItEEEEPS6_NSA_18transform_iteratorI7is_evenItESF_NSA_11use_defaultESK_EENS0_5tupleIJSF_NSA_16discard_iteratorISK_EEEEENSM_IJSG_SG_EEES6_PlJS6_EEE10hipError_tPvRmT3_T4_T5_T6_T7_T9_mT8_P12ihipStream_tbDpT10_ENKUlT_T0_E_clISt17integral_constantIbLb0EES1A_IbLb1EEEEDaS16_S17_EUlS16_E_NS1_11comp_targetILNS1_3genE5ELNS1_11target_archE942ELNS1_3gpuE9ELNS1_3repE0EEENS1_30default_config_static_selectorELNS0_4arch9wavefront6targetE1EEEvT1_
	.p2align	8
	.type	_ZN7rocprim17ROCPRIM_400000_NS6detail17trampoline_kernelINS0_14default_configENS1_25partition_config_selectorILNS1_17partition_subalgoE1EtNS0_10empty_typeEbEEZZNS1_14partition_implILS5_1ELb0ES3_jN6thrust23THRUST_200600_302600_NS6detail15normal_iteratorINSA_10device_ptrItEEEEPS6_NSA_18transform_iteratorI7is_evenItESF_NSA_11use_defaultESK_EENS0_5tupleIJSF_NSA_16discard_iteratorISK_EEEEENSM_IJSG_SG_EEES6_PlJS6_EEE10hipError_tPvRmT3_T4_T5_T6_T7_T9_mT8_P12ihipStream_tbDpT10_ENKUlT_T0_E_clISt17integral_constantIbLb0EES1A_IbLb1EEEEDaS16_S17_EUlS16_E_NS1_11comp_targetILNS1_3genE5ELNS1_11target_archE942ELNS1_3gpuE9ELNS1_3repE0EEENS1_30default_config_static_selectorELNS0_4arch9wavefront6targetE1EEEvT1_,@function
_ZN7rocprim17ROCPRIM_400000_NS6detail17trampoline_kernelINS0_14default_configENS1_25partition_config_selectorILNS1_17partition_subalgoE1EtNS0_10empty_typeEbEEZZNS1_14partition_implILS5_1ELb0ES3_jN6thrust23THRUST_200600_302600_NS6detail15normal_iteratorINSA_10device_ptrItEEEEPS6_NSA_18transform_iteratorI7is_evenItESF_NSA_11use_defaultESK_EENS0_5tupleIJSF_NSA_16discard_iteratorISK_EEEEENSM_IJSG_SG_EEES6_PlJS6_EEE10hipError_tPvRmT3_T4_T5_T6_T7_T9_mT8_P12ihipStream_tbDpT10_ENKUlT_T0_E_clISt17integral_constantIbLb0EES1A_IbLb1EEEEDaS16_S17_EUlS16_E_NS1_11comp_targetILNS1_3genE5ELNS1_11target_archE942ELNS1_3gpuE9ELNS1_3repE0EEENS1_30default_config_static_selectorELNS0_4arch9wavefront6targetE1EEEvT1_: ; @_ZN7rocprim17ROCPRIM_400000_NS6detail17trampoline_kernelINS0_14default_configENS1_25partition_config_selectorILNS1_17partition_subalgoE1EtNS0_10empty_typeEbEEZZNS1_14partition_implILS5_1ELb0ES3_jN6thrust23THRUST_200600_302600_NS6detail15normal_iteratorINSA_10device_ptrItEEEEPS6_NSA_18transform_iteratorI7is_evenItESF_NSA_11use_defaultESK_EENS0_5tupleIJSF_NSA_16discard_iteratorISK_EEEEENSM_IJSG_SG_EEES6_PlJS6_EEE10hipError_tPvRmT3_T4_T5_T6_T7_T9_mT8_P12ihipStream_tbDpT10_ENKUlT_T0_E_clISt17integral_constantIbLb0EES1A_IbLb1EEEEDaS16_S17_EUlS16_E_NS1_11comp_targetILNS1_3genE5ELNS1_11target_archE942ELNS1_3gpuE9ELNS1_3repE0EEENS1_30default_config_static_selectorELNS0_4arch9wavefront6targetE1EEEvT1_
; %bb.0:
	.section	.rodata,"a",@progbits
	.p2align	6, 0x0
	.amdhsa_kernel _ZN7rocprim17ROCPRIM_400000_NS6detail17trampoline_kernelINS0_14default_configENS1_25partition_config_selectorILNS1_17partition_subalgoE1EtNS0_10empty_typeEbEEZZNS1_14partition_implILS5_1ELb0ES3_jN6thrust23THRUST_200600_302600_NS6detail15normal_iteratorINSA_10device_ptrItEEEEPS6_NSA_18transform_iteratorI7is_evenItESF_NSA_11use_defaultESK_EENS0_5tupleIJSF_NSA_16discard_iteratorISK_EEEEENSM_IJSG_SG_EEES6_PlJS6_EEE10hipError_tPvRmT3_T4_T5_T6_T7_T9_mT8_P12ihipStream_tbDpT10_ENKUlT_T0_E_clISt17integral_constantIbLb0EES1A_IbLb1EEEEDaS16_S17_EUlS16_E_NS1_11comp_targetILNS1_3genE5ELNS1_11target_archE942ELNS1_3gpuE9ELNS1_3repE0EEENS1_30default_config_static_selectorELNS0_4arch9wavefront6targetE1EEEvT1_
		.amdhsa_group_segment_fixed_size 0
		.amdhsa_private_segment_fixed_size 0
		.amdhsa_kernarg_size 152
		.amdhsa_user_sgpr_count 6
		.amdhsa_user_sgpr_private_segment_buffer 1
		.amdhsa_user_sgpr_dispatch_ptr 0
		.amdhsa_user_sgpr_queue_ptr 0
		.amdhsa_user_sgpr_kernarg_segment_ptr 1
		.amdhsa_user_sgpr_dispatch_id 0
		.amdhsa_user_sgpr_flat_scratch_init 0
		.amdhsa_user_sgpr_kernarg_preload_length 0
		.amdhsa_user_sgpr_kernarg_preload_offset 0
		.amdhsa_user_sgpr_private_segment_size 0
		.amdhsa_uses_dynamic_stack 0
		.amdhsa_system_sgpr_private_segment_wavefront_offset 0
		.amdhsa_system_sgpr_workgroup_id_x 1
		.amdhsa_system_sgpr_workgroup_id_y 0
		.amdhsa_system_sgpr_workgroup_id_z 0
		.amdhsa_system_sgpr_workgroup_info 0
		.amdhsa_system_vgpr_workitem_id 0
		.amdhsa_next_free_vgpr 1
		.amdhsa_next_free_sgpr 0
		.amdhsa_accum_offset 4
		.amdhsa_reserve_vcc 0
		.amdhsa_reserve_flat_scratch 0
		.amdhsa_float_round_mode_32 0
		.amdhsa_float_round_mode_16_64 0
		.amdhsa_float_denorm_mode_32 3
		.amdhsa_float_denorm_mode_16_64 3
		.amdhsa_dx10_clamp 1
		.amdhsa_ieee_mode 1
		.amdhsa_fp16_overflow 0
		.amdhsa_tg_split 0
		.amdhsa_exception_fp_ieee_invalid_op 0
		.amdhsa_exception_fp_denorm_src 0
		.amdhsa_exception_fp_ieee_div_zero 0
		.amdhsa_exception_fp_ieee_overflow 0
		.amdhsa_exception_fp_ieee_underflow 0
		.amdhsa_exception_fp_ieee_inexact 0
		.amdhsa_exception_int_div_zero 0
	.end_amdhsa_kernel
	.section	.text._ZN7rocprim17ROCPRIM_400000_NS6detail17trampoline_kernelINS0_14default_configENS1_25partition_config_selectorILNS1_17partition_subalgoE1EtNS0_10empty_typeEbEEZZNS1_14partition_implILS5_1ELb0ES3_jN6thrust23THRUST_200600_302600_NS6detail15normal_iteratorINSA_10device_ptrItEEEEPS6_NSA_18transform_iteratorI7is_evenItESF_NSA_11use_defaultESK_EENS0_5tupleIJSF_NSA_16discard_iteratorISK_EEEEENSM_IJSG_SG_EEES6_PlJS6_EEE10hipError_tPvRmT3_T4_T5_T6_T7_T9_mT8_P12ihipStream_tbDpT10_ENKUlT_T0_E_clISt17integral_constantIbLb0EES1A_IbLb1EEEEDaS16_S17_EUlS16_E_NS1_11comp_targetILNS1_3genE5ELNS1_11target_archE942ELNS1_3gpuE9ELNS1_3repE0EEENS1_30default_config_static_selectorELNS0_4arch9wavefront6targetE1EEEvT1_,"axG",@progbits,_ZN7rocprim17ROCPRIM_400000_NS6detail17trampoline_kernelINS0_14default_configENS1_25partition_config_selectorILNS1_17partition_subalgoE1EtNS0_10empty_typeEbEEZZNS1_14partition_implILS5_1ELb0ES3_jN6thrust23THRUST_200600_302600_NS6detail15normal_iteratorINSA_10device_ptrItEEEEPS6_NSA_18transform_iteratorI7is_evenItESF_NSA_11use_defaultESK_EENS0_5tupleIJSF_NSA_16discard_iteratorISK_EEEEENSM_IJSG_SG_EEES6_PlJS6_EEE10hipError_tPvRmT3_T4_T5_T6_T7_T9_mT8_P12ihipStream_tbDpT10_ENKUlT_T0_E_clISt17integral_constantIbLb0EES1A_IbLb1EEEEDaS16_S17_EUlS16_E_NS1_11comp_targetILNS1_3genE5ELNS1_11target_archE942ELNS1_3gpuE9ELNS1_3repE0EEENS1_30default_config_static_selectorELNS0_4arch9wavefront6targetE1EEEvT1_,comdat
.Lfunc_end3124:
	.size	_ZN7rocprim17ROCPRIM_400000_NS6detail17trampoline_kernelINS0_14default_configENS1_25partition_config_selectorILNS1_17partition_subalgoE1EtNS0_10empty_typeEbEEZZNS1_14partition_implILS5_1ELb0ES3_jN6thrust23THRUST_200600_302600_NS6detail15normal_iteratorINSA_10device_ptrItEEEEPS6_NSA_18transform_iteratorI7is_evenItESF_NSA_11use_defaultESK_EENS0_5tupleIJSF_NSA_16discard_iteratorISK_EEEEENSM_IJSG_SG_EEES6_PlJS6_EEE10hipError_tPvRmT3_T4_T5_T6_T7_T9_mT8_P12ihipStream_tbDpT10_ENKUlT_T0_E_clISt17integral_constantIbLb0EES1A_IbLb1EEEEDaS16_S17_EUlS16_E_NS1_11comp_targetILNS1_3genE5ELNS1_11target_archE942ELNS1_3gpuE9ELNS1_3repE0EEENS1_30default_config_static_selectorELNS0_4arch9wavefront6targetE1EEEvT1_, .Lfunc_end3124-_ZN7rocprim17ROCPRIM_400000_NS6detail17trampoline_kernelINS0_14default_configENS1_25partition_config_selectorILNS1_17partition_subalgoE1EtNS0_10empty_typeEbEEZZNS1_14partition_implILS5_1ELb0ES3_jN6thrust23THRUST_200600_302600_NS6detail15normal_iteratorINSA_10device_ptrItEEEEPS6_NSA_18transform_iteratorI7is_evenItESF_NSA_11use_defaultESK_EENS0_5tupleIJSF_NSA_16discard_iteratorISK_EEEEENSM_IJSG_SG_EEES6_PlJS6_EEE10hipError_tPvRmT3_T4_T5_T6_T7_T9_mT8_P12ihipStream_tbDpT10_ENKUlT_T0_E_clISt17integral_constantIbLb0EES1A_IbLb1EEEEDaS16_S17_EUlS16_E_NS1_11comp_targetILNS1_3genE5ELNS1_11target_archE942ELNS1_3gpuE9ELNS1_3repE0EEENS1_30default_config_static_selectorELNS0_4arch9wavefront6targetE1EEEvT1_
                                        ; -- End function
	.section	.AMDGPU.csdata,"",@progbits
; Kernel info:
; codeLenInByte = 0
; NumSgprs: 4
; NumVgprs: 0
; NumAgprs: 0
; TotalNumVgprs: 0
; ScratchSize: 0
; MemoryBound: 0
; FloatMode: 240
; IeeeMode: 1
; LDSByteSize: 0 bytes/workgroup (compile time only)
; SGPRBlocks: 0
; VGPRBlocks: 0
; NumSGPRsForWavesPerEU: 4
; NumVGPRsForWavesPerEU: 1
; AccumOffset: 4
; Occupancy: 8
; WaveLimiterHint : 0
; COMPUTE_PGM_RSRC2:SCRATCH_EN: 0
; COMPUTE_PGM_RSRC2:USER_SGPR: 6
; COMPUTE_PGM_RSRC2:TRAP_HANDLER: 0
; COMPUTE_PGM_RSRC2:TGID_X_EN: 1
; COMPUTE_PGM_RSRC2:TGID_Y_EN: 0
; COMPUTE_PGM_RSRC2:TGID_Z_EN: 0
; COMPUTE_PGM_RSRC2:TIDIG_COMP_CNT: 0
; COMPUTE_PGM_RSRC3_GFX90A:ACCUM_OFFSET: 0
; COMPUTE_PGM_RSRC3_GFX90A:TG_SPLIT: 0
	.section	.text._ZN7rocprim17ROCPRIM_400000_NS6detail17trampoline_kernelINS0_14default_configENS1_25partition_config_selectorILNS1_17partition_subalgoE1EtNS0_10empty_typeEbEEZZNS1_14partition_implILS5_1ELb0ES3_jN6thrust23THRUST_200600_302600_NS6detail15normal_iteratorINSA_10device_ptrItEEEEPS6_NSA_18transform_iteratorI7is_evenItESF_NSA_11use_defaultESK_EENS0_5tupleIJSF_NSA_16discard_iteratorISK_EEEEENSM_IJSG_SG_EEES6_PlJS6_EEE10hipError_tPvRmT3_T4_T5_T6_T7_T9_mT8_P12ihipStream_tbDpT10_ENKUlT_T0_E_clISt17integral_constantIbLb0EES1A_IbLb1EEEEDaS16_S17_EUlS16_E_NS1_11comp_targetILNS1_3genE4ELNS1_11target_archE910ELNS1_3gpuE8ELNS1_3repE0EEENS1_30default_config_static_selectorELNS0_4arch9wavefront6targetE1EEEvT1_,"axG",@progbits,_ZN7rocprim17ROCPRIM_400000_NS6detail17trampoline_kernelINS0_14default_configENS1_25partition_config_selectorILNS1_17partition_subalgoE1EtNS0_10empty_typeEbEEZZNS1_14partition_implILS5_1ELb0ES3_jN6thrust23THRUST_200600_302600_NS6detail15normal_iteratorINSA_10device_ptrItEEEEPS6_NSA_18transform_iteratorI7is_evenItESF_NSA_11use_defaultESK_EENS0_5tupleIJSF_NSA_16discard_iteratorISK_EEEEENSM_IJSG_SG_EEES6_PlJS6_EEE10hipError_tPvRmT3_T4_T5_T6_T7_T9_mT8_P12ihipStream_tbDpT10_ENKUlT_T0_E_clISt17integral_constantIbLb0EES1A_IbLb1EEEEDaS16_S17_EUlS16_E_NS1_11comp_targetILNS1_3genE4ELNS1_11target_archE910ELNS1_3gpuE8ELNS1_3repE0EEENS1_30default_config_static_selectorELNS0_4arch9wavefront6targetE1EEEvT1_,comdat
	.protected	_ZN7rocprim17ROCPRIM_400000_NS6detail17trampoline_kernelINS0_14default_configENS1_25partition_config_selectorILNS1_17partition_subalgoE1EtNS0_10empty_typeEbEEZZNS1_14partition_implILS5_1ELb0ES3_jN6thrust23THRUST_200600_302600_NS6detail15normal_iteratorINSA_10device_ptrItEEEEPS6_NSA_18transform_iteratorI7is_evenItESF_NSA_11use_defaultESK_EENS0_5tupleIJSF_NSA_16discard_iteratorISK_EEEEENSM_IJSG_SG_EEES6_PlJS6_EEE10hipError_tPvRmT3_T4_T5_T6_T7_T9_mT8_P12ihipStream_tbDpT10_ENKUlT_T0_E_clISt17integral_constantIbLb0EES1A_IbLb1EEEEDaS16_S17_EUlS16_E_NS1_11comp_targetILNS1_3genE4ELNS1_11target_archE910ELNS1_3gpuE8ELNS1_3repE0EEENS1_30default_config_static_selectorELNS0_4arch9wavefront6targetE1EEEvT1_ ; -- Begin function _ZN7rocprim17ROCPRIM_400000_NS6detail17trampoline_kernelINS0_14default_configENS1_25partition_config_selectorILNS1_17partition_subalgoE1EtNS0_10empty_typeEbEEZZNS1_14partition_implILS5_1ELb0ES3_jN6thrust23THRUST_200600_302600_NS6detail15normal_iteratorINSA_10device_ptrItEEEEPS6_NSA_18transform_iteratorI7is_evenItESF_NSA_11use_defaultESK_EENS0_5tupleIJSF_NSA_16discard_iteratorISK_EEEEENSM_IJSG_SG_EEES6_PlJS6_EEE10hipError_tPvRmT3_T4_T5_T6_T7_T9_mT8_P12ihipStream_tbDpT10_ENKUlT_T0_E_clISt17integral_constantIbLb0EES1A_IbLb1EEEEDaS16_S17_EUlS16_E_NS1_11comp_targetILNS1_3genE4ELNS1_11target_archE910ELNS1_3gpuE8ELNS1_3repE0EEENS1_30default_config_static_selectorELNS0_4arch9wavefront6targetE1EEEvT1_
	.globl	_ZN7rocprim17ROCPRIM_400000_NS6detail17trampoline_kernelINS0_14default_configENS1_25partition_config_selectorILNS1_17partition_subalgoE1EtNS0_10empty_typeEbEEZZNS1_14partition_implILS5_1ELb0ES3_jN6thrust23THRUST_200600_302600_NS6detail15normal_iteratorINSA_10device_ptrItEEEEPS6_NSA_18transform_iteratorI7is_evenItESF_NSA_11use_defaultESK_EENS0_5tupleIJSF_NSA_16discard_iteratorISK_EEEEENSM_IJSG_SG_EEES6_PlJS6_EEE10hipError_tPvRmT3_T4_T5_T6_T7_T9_mT8_P12ihipStream_tbDpT10_ENKUlT_T0_E_clISt17integral_constantIbLb0EES1A_IbLb1EEEEDaS16_S17_EUlS16_E_NS1_11comp_targetILNS1_3genE4ELNS1_11target_archE910ELNS1_3gpuE8ELNS1_3repE0EEENS1_30default_config_static_selectorELNS0_4arch9wavefront6targetE1EEEvT1_
	.p2align	8
	.type	_ZN7rocprim17ROCPRIM_400000_NS6detail17trampoline_kernelINS0_14default_configENS1_25partition_config_selectorILNS1_17partition_subalgoE1EtNS0_10empty_typeEbEEZZNS1_14partition_implILS5_1ELb0ES3_jN6thrust23THRUST_200600_302600_NS6detail15normal_iteratorINSA_10device_ptrItEEEEPS6_NSA_18transform_iteratorI7is_evenItESF_NSA_11use_defaultESK_EENS0_5tupleIJSF_NSA_16discard_iteratorISK_EEEEENSM_IJSG_SG_EEES6_PlJS6_EEE10hipError_tPvRmT3_T4_T5_T6_T7_T9_mT8_P12ihipStream_tbDpT10_ENKUlT_T0_E_clISt17integral_constantIbLb0EES1A_IbLb1EEEEDaS16_S17_EUlS16_E_NS1_11comp_targetILNS1_3genE4ELNS1_11target_archE910ELNS1_3gpuE8ELNS1_3repE0EEENS1_30default_config_static_selectorELNS0_4arch9wavefront6targetE1EEEvT1_,@function
_ZN7rocprim17ROCPRIM_400000_NS6detail17trampoline_kernelINS0_14default_configENS1_25partition_config_selectorILNS1_17partition_subalgoE1EtNS0_10empty_typeEbEEZZNS1_14partition_implILS5_1ELb0ES3_jN6thrust23THRUST_200600_302600_NS6detail15normal_iteratorINSA_10device_ptrItEEEEPS6_NSA_18transform_iteratorI7is_evenItESF_NSA_11use_defaultESK_EENS0_5tupleIJSF_NSA_16discard_iteratorISK_EEEEENSM_IJSG_SG_EEES6_PlJS6_EEE10hipError_tPvRmT3_T4_T5_T6_T7_T9_mT8_P12ihipStream_tbDpT10_ENKUlT_T0_E_clISt17integral_constantIbLb0EES1A_IbLb1EEEEDaS16_S17_EUlS16_E_NS1_11comp_targetILNS1_3genE4ELNS1_11target_archE910ELNS1_3gpuE8ELNS1_3repE0EEENS1_30default_config_static_selectorELNS0_4arch9wavefront6targetE1EEEvT1_: ; @_ZN7rocprim17ROCPRIM_400000_NS6detail17trampoline_kernelINS0_14default_configENS1_25partition_config_selectorILNS1_17partition_subalgoE1EtNS0_10empty_typeEbEEZZNS1_14partition_implILS5_1ELb0ES3_jN6thrust23THRUST_200600_302600_NS6detail15normal_iteratorINSA_10device_ptrItEEEEPS6_NSA_18transform_iteratorI7is_evenItESF_NSA_11use_defaultESK_EENS0_5tupleIJSF_NSA_16discard_iteratorISK_EEEEENSM_IJSG_SG_EEES6_PlJS6_EEE10hipError_tPvRmT3_T4_T5_T6_T7_T9_mT8_P12ihipStream_tbDpT10_ENKUlT_T0_E_clISt17integral_constantIbLb0EES1A_IbLb1EEEEDaS16_S17_EUlS16_E_NS1_11comp_targetILNS1_3genE4ELNS1_11target_archE910ELNS1_3gpuE8ELNS1_3repE0EEENS1_30default_config_static_selectorELNS0_4arch9wavefront6targetE1EEEvT1_
; %bb.0:
	s_load_dwordx2 s[6:7], s[4:5], 0x20
	s_load_dwordx2 s[24:25], s[4:5], 0x30
	;; [unrolled: 1-line block ×3, first 2 shown]
	s_load_dwordx4 s[20:23], s[4:5], 0x58
	s_load_dwordx2 s[26:27], s[4:5], 0x78
	v_cmp_eq_u32_e64 s[0:1], 0, v0
	s_and_saveexec_b64 s[8:9], s[0:1]
	s_cbranch_execz .LBB3125_4
; %bb.1:
	s_mov_b64 s[12:13], exec
	v_mbcnt_lo_u32_b32 v1, s12, 0
	v_mbcnt_hi_u32_b32 v1, s13, v1
	v_cmp_eq_u32_e32 vcc, 0, v1
                                        ; implicit-def: $vgpr2
	s_and_saveexec_b64 s[10:11], vcc
	s_cbranch_execz .LBB3125_3
; %bb.2:
	s_load_dwordx2 s[14:15], s[4:5], 0x88
	s_bcnt1_i32_b64 s12, s[12:13]
	v_mov_b32_e32 v2, 0
	v_mov_b32_e32 v3, s12
	s_waitcnt lgkmcnt(0)
	global_atomic_add v2, v2, v3, s[14:15] glc
.LBB3125_3:
	s_or_b64 exec, exec, s[10:11]
	s_waitcnt vmcnt(0)
	v_readfirstlane_b32 s10, v2
	v_add_u32_e32 v1, s10, v1
	v_mov_b32_e32 v2, 0
	ds_write_b32 v2, v1
.LBB3125_4:
	s_or_b64 exec, exec, s[8:9]
	v_mov_b32_e32 v1, 0
	s_load_dwordx4 s[8:11], s[4:5], 0x8
	s_load_dword s12, s[4:5], 0x80
	s_waitcnt lgkmcnt(0)
	s_barrier
	ds_read_b32 v4, v1
	s_waitcnt lgkmcnt(0)
	s_barrier
	global_load_dwordx2 v[10:11], v1, s[22:23]
	s_lshl_b64 s[4:5], s[10:11], 1
	v_mov_b32_e32 v3, s3
	s_add_u32 s13, s8, s4
	s_mul_i32 s3, s12, 0x1400
	s_addc_u32 s14, s9, s5
	s_add_i32 s9, s3, s10
	s_sub_i32 s33, s2, s9
	s_add_i32 s15, s12, -1
	s_addk_i32 s33, 0x1400
	v_mov_b32_e32 v2, s2
	s_add_u32 s2, s10, s3
	v_readfirstlane_b32 s36, v4
	s_addc_u32 s3, s11, 0
	s_cmp_eq_u32 s36, s15
	s_cselect_b64 s[18:19], -1, 0
	s_cmp_lg_u32 s36, s15
	s_mul_i32 s8, s36, 0x1400
	s_mov_b32 s9, 0
	v_cmp_lt_u64_e32 vcc, s[2:3], v[2:3]
	s_cselect_b64 s[2:3], -1, 0
	s_or_b64 s[22:23], vcc, s[2:3]
	s_lshl_b64 s[8:9], s[8:9], 1
	s_add_u32 s12, s13, s8
	s_addc_u32 s13, s14, s9
	s_mov_b64 s[2:3], -1
	s_and_b64 vcc, exec, s[22:23]
	v_lshlrev_b32_e32 v1, 1, v0
	s_cbranch_vccz .LBB3125_6
; %bb.5:
	v_mov_b32_e32 v3, s13
	v_add_co_u32_e32 v2, vcc, s12, v1
	v_addc_co_u32_e32 v3, vcc, 0, v3, vcc
	v_add_co_u32_e32 v4, vcc, 0x1000, v2
	v_addc_co_u32_e32 v5, vcc, 0, v3, vcc
	flat_load_ushort v6, v[2:3]
	flat_load_ushort v7, v[2:3] offset:512
	flat_load_ushort v8, v[2:3] offset:1024
	;; [unrolled: 1-line block ×7, first 2 shown]
	v_add_co_u32_e32 v2, vcc, 0x2000, v2
	v_addc_co_u32_e32 v3, vcc, 0, v3, vcc
	flat_load_ushort v16, v[4:5]
	flat_load_ushort v17, v[4:5] offset:512
	flat_load_ushort v18, v[4:5] offset:1024
	;; [unrolled: 1-line block ×7, first 2 shown]
	s_nop 0
	flat_load_ushort v4, v[2:3]
	flat_load_ushort v5, v[2:3] offset:512
	flat_load_ushort v24, v[2:3] offset:1024
	;; [unrolled: 1-line block ×3, first 2 shown]
	s_mov_b64 s[2:3], 0
	s_waitcnt vmcnt(0) lgkmcnt(0)
	ds_write_b16 v1, v6
	ds_write_b16 v1, v7 offset:512
	ds_write_b16 v1, v8 offset:1024
	;; [unrolled: 1-line block ×19, first 2 shown]
	s_waitcnt lgkmcnt(0)
	s_barrier
.LBB3125_6:
	s_andn2_b64 vcc, exec, s[2:3]
	v_cmp_gt_u32_e64 s[2:3], s33, v0
	s_cbranch_vccnz .LBB3125_48
; %bb.7:
                                        ; implicit-def: $vgpr2
	s_and_saveexec_b64 s[10:11], s[2:3]
	s_cbranch_execz .LBB3125_9
; %bb.8:
	v_mov_b32_e32 v3, s13
	v_add_co_u32_e32 v2, vcc, s12, v1
	v_addc_co_u32_e32 v3, vcc, 0, v3, vcc
	flat_load_ushort v2, v[2:3]
.LBB3125_9:
	s_or_b64 exec, exec, s[10:11]
	v_or_b32_e32 v3, 0x100, v0
	v_cmp_gt_u32_e32 vcc, s33, v3
                                        ; implicit-def: $vgpr3
	s_and_saveexec_b64 s[2:3], vcc
	s_cbranch_execz .LBB3125_11
; %bb.10:
	v_mov_b32_e32 v3, s13
	v_add_co_u32_e32 v4, vcc, s12, v1
	v_addc_co_u32_e32 v5, vcc, 0, v3, vcc
	flat_load_ushort v3, v[4:5] offset:512
.LBB3125_11:
	s_or_b64 exec, exec, s[2:3]
	v_or_b32_e32 v4, 0x200, v0
	v_cmp_gt_u32_e32 vcc, s33, v4
                                        ; implicit-def: $vgpr4
	s_and_saveexec_b64 s[2:3], vcc
	s_cbranch_execz .LBB3125_13
; %bb.12:
	v_mov_b32_e32 v5, s13
	v_add_co_u32_e32 v4, vcc, s12, v1
	v_addc_co_u32_e32 v5, vcc, 0, v5, vcc
	flat_load_ushort v4, v[4:5] offset:1024
.LBB3125_13:
	s_or_b64 exec, exec, s[2:3]
	v_or_b32_e32 v5, 0x300, v0
	v_cmp_gt_u32_e32 vcc, s33, v5
                                        ; implicit-def: $vgpr5
	s_and_saveexec_b64 s[2:3], vcc
	s_cbranch_execz .LBB3125_15
; %bb.14:
	v_mov_b32_e32 v5, s13
	v_add_co_u32_e32 v6, vcc, s12, v1
	v_addc_co_u32_e32 v7, vcc, 0, v5, vcc
	flat_load_ushort v5, v[6:7] offset:1536
.LBB3125_15:
	s_or_b64 exec, exec, s[2:3]
	v_or_b32_e32 v6, 0x400, v0
	v_cmp_gt_u32_e32 vcc, s33, v6
                                        ; implicit-def: $vgpr6
	s_and_saveexec_b64 s[2:3], vcc
	s_cbranch_execz .LBB3125_17
; %bb.16:
	v_mov_b32_e32 v7, s13
	v_add_co_u32_e32 v6, vcc, s12, v1
	v_addc_co_u32_e32 v7, vcc, 0, v7, vcc
	flat_load_ushort v6, v[6:7] offset:2048
.LBB3125_17:
	s_or_b64 exec, exec, s[2:3]
	v_or_b32_e32 v7, 0x500, v0
	v_cmp_gt_u32_e32 vcc, s33, v7
                                        ; implicit-def: $vgpr7
	s_and_saveexec_b64 s[2:3], vcc
	s_cbranch_execz .LBB3125_19
; %bb.18:
	v_mov_b32_e32 v7, s13
	v_add_co_u32_e32 v8, vcc, s12, v1
	v_addc_co_u32_e32 v9, vcc, 0, v7, vcc
	flat_load_ushort v7, v[8:9] offset:2560
.LBB3125_19:
	s_or_b64 exec, exec, s[2:3]
	v_or_b32_e32 v8, 0x600, v0
	v_cmp_gt_u32_e32 vcc, s33, v8
                                        ; implicit-def: $vgpr8
	s_and_saveexec_b64 s[2:3], vcc
	s_cbranch_execz .LBB3125_21
; %bb.20:
	v_mov_b32_e32 v9, s13
	v_add_co_u32_e32 v8, vcc, s12, v1
	v_addc_co_u32_e32 v9, vcc, 0, v9, vcc
	flat_load_ushort v8, v[8:9] offset:3072
.LBB3125_21:
	s_or_b64 exec, exec, s[2:3]
	v_or_b32_e32 v9, 0x700, v0
	v_cmp_gt_u32_e32 vcc, s33, v9
                                        ; implicit-def: $vgpr9
	s_and_saveexec_b64 s[2:3], vcc
	s_cbranch_execz .LBB3125_23
; %bb.22:
	v_mov_b32_e32 v9, s13
	v_add_co_u32_e32 v12, vcc, s12, v1
	v_addc_co_u32_e32 v13, vcc, 0, v9, vcc
	flat_load_ushort v9, v[12:13] offset:3584
.LBB3125_23:
	s_or_b64 exec, exec, s[2:3]
	v_or_b32_e32 v13, 0x800, v0
	v_cmp_gt_u32_e32 vcc, s33, v13
                                        ; implicit-def: $vgpr12
	s_and_saveexec_b64 s[2:3], vcc
	s_cbranch_execz .LBB3125_25
; %bb.24:
	v_lshlrev_b32_e32 v12, 1, v13
	v_mov_b32_e32 v13, s13
	v_add_co_u32_e32 v12, vcc, s12, v12
	v_addc_co_u32_e32 v13, vcc, 0, v13, vcc
	flat_load_ushort v12, v[12:13]
.LBB3125_25:
	s_or_b64 exec, exec, s[2:3]
	v_or_b32_e32 v14, 0x900, v0
	v_cmp_gt_u32_e32 vcc, s33, v14
                                        ; implicit-def: $vgpr13
	s_and_saveexec_b64 s[2:3], vcc
	s_cbranch_execz .LBB3125_27
; %bb.26:
	v_lshlrev_b32_e32 v13, 1, v14
	v_mov_b32_e32 v15, s13
	v_add_co_u32_e32 v14, vcc, s12, v13
	v_addc_co_u32_e32 v15, vcc, 0, v15, vcc
	flat_load_ushort v13, v[14:15]
.LBB3125_27:
	s_or_b64 exec, exec, s[2:3]
	v_or_b32_e32 v15, 0xa00, v0
	v_cmp_gt_u32_e32 vcc, s33, v15
                                        ; implicit-def: $vgpr14
	s_and_saveexec_b64 s[2:3], vcc
	s_cbranch_execz .LBB3125_29
; %bb.28:
	v_lshlrev_b32_e32 v14, 1, v15
	v_mov_b32_e32 v15, s13
	v_add_co_u32_e32 v14, vcc, s12, v14
	v_addc_co_u32_e32 v15, vcc, 0, v15, vcc
	flat_load_ushort v14, v[14:15]
.LBB3125_29:
	s_or_b64 exec, exec, s[2:3]
	v_or_b32_e32 v16, 0xb00, v0
	v_cmp_gt_u32_e32 vcc, s33, v16
                                        ; implicit-def: $vgpr15
	s_and_saveexec_b64 s[2:3], vcc
	s_cbranch_execz .LBB3125_31
; %bb.30:
	v_lshlrev_b32_e32 v15, 1, v16
	v_mov_b32_e32 v17, s13
	v_add_co_u32_e32 v16, vcc, s12, v15
	v_addc_co_u32_e32 v17, vcc, 0, v17, vcc
	flat_load_ushort v15, v[16:17]
.LBB3125_31:
	s_or_b64 exec, exec, s[2:3]
	v_or_b32_e32 v17, 0xc00, v0
	v_cmp_gt_u32_e32 vcc, s33, v17
                                        ; implicit-def: $vgpr16
	s_and_saveexec_b64 s[2:3], vcc
	s_cbranch_execz .LBB3125_33
; %bb.32:
	v_lshlrev_b32_e32 v16, 1, v17
	v_mov_b32_e32 v17, s13
	v_add_co_u32_e32 v16, vcc, s12, v16
	v_addc_co_u32_e32 v17, vcc, 0, v17, vcc
	flat_load_ushort v16, v[16:17]
.LBB3125_33:
	s_or_b64 exec, exec, s[2:3]
	v_or_b32_e32 v18, 0xd00, v0
	v_cmp_gt_u32_e32 vcc, s33, v18
                                        ; implicit-def: $vgpr17
	s_and_saveexec_b64 s[2:3], vcc
	s_cbranch_execz .LBB3125_35
; %bb.34:
	v_lshlrev_b32_e32 v17, 1, v18
	v_mov_b32_e32 v19, s13
	v_add_co_u32_e32 v18, vcc, s12, v17
	v_addc_co_u32_e32 v19, vcc, 0, v19, vcc
	flat_load_ushort v17, v[18:19]
.LBB3125_35:
	s_or_b64 exec, exec, s[2:3]
	v_or_b32_e32 v19, 0xe00, v0
	v_cmp_gt_u32_e32 vcc, s33, v19
                                        ; implicit-def: $vgpr18
	s_and_saveexec_b64 s[2:3], vcc
	s_cbranch_execz .LBB3125_37
; %bb.36:
	v_lshlrev_b32_e32 v18, 1, v19
	v_mov_b32_e32 v19, s13
	v_add_co_u32_e32 v18, vcc, s12, v18
	v_addc_co_u32_e32 v19, vcc, 0, v19, vcc
	flat_load_ushort v18, v[18:19]
.LBB3125_37:
	s_or_b64 exec, exec, s[2:3]
	v_or_b32_e32 v20, 0xf00, v0
	v_cmp_gt_u32_e32 vcc, s33, v20
                                        ; implicit-def: $vgpr19
	s_and_saveexec_b64 s[2:3], vcc
	s_cbranch_execz .LBB3125_39
; %bb.38:
	v_lshlrev_b32_e32 v19, 1, v20
	v_mov_b32_e32 v21, s13
	v_add_co_u32_e32 v20, vcc, s12, v19
	v_addc_co_u32_e32 v21, vcc, 0, v21, vcc
	flat_load_ushort v19, v[20:21]
.LBB3125_39:
	s_or_b64 exec, exec, s[2:3]
	v_or_b32_e32 v21, 0x1000, v0
	v_cmp_gt_u32_e32 vcc, s33, v21
                                        ; implicit-def: $vgpr20
	s_and_saveexec_b64 s[2:3], vcc
	s_cbranch_execz .LBB3125_41
; %bb.40:
	v_lshlrev_b32_e32 v20, 1, v21
	v_mov_b32_e32 v21, s13
	v_add_co_u32_e32 v20, vcc, s12, v20
	v_addc_co_u32_e32 v21, vcc, 0, v21, vcc
	flat_load_ushort v20, v[20:21]
.LBB3125_41:
	s_or_b64 exec, exec, s[2:3]
	v_or_b32_e32 v22, 0x1100, v0
	v_cmp_gt_u32_e32 vcc, s33, v22
                                        ; implicit-def: $vgpr21
	s_and_saveexec_b64 s[2:3], vcc
	s_cbranch_execz .LBB3125_43
; %bb.42:
	v_lshlrev_b32_e32 v21, 1, v22
	v_mov_b32_e32 v23, s13
	v_add_co_u32_e32 v22, vcc, s12, v21
	v_addc_co_u32_e32 v23, vcc, 0, v23, vcc
	flat_load_ushort v21, v[22:23]
.LBB3125_43:
	s_or_b64 exec, exec, s[2:3]
	v_or_b32_e32 v23, 0x1200, v0
	v_cmp_gt_u32_e32 vcc, s33, v23
                                        ; implicit-def: $vgpr22
	s_and_saveexec_b64 s[2:3], vcc
	s_cbranch_execz .LBB3125_45
; %bb.44:
	v_lshlrev_b32_e32 v22, 1, v23
	v_mov_b32_e32 v23, s13
	v_add_co_u32_e32 v22, vcc, s12, v22
	v_addc_co_u32_e32 v23, vcc, 0, v23, vcc
	flat_load_ushort v22, v[22:23]
.LBB3125_45:
	s_or_b64 exec, exec, s[2:3]
	v_or_b32_e32 v24, 0x1300, v0
	v_cmp_gt_u32_e32 vcc, s33, v24
                                        ; implicit-def: $vgpr23
	s_and_saveexec_b64 s[2:3], vcc
	s_cbranch_execz .LBB3125_47
; %bb.46:
	v_lshlrev_b32_e32 v23, 1, v24
	v_mov_b32_e32 v25, s13
	v_add_co_u32_e32 v24, vcc, s12, v23
	v_addc_co_u32_e32 v25, vcc, 0, v25, vcc
	flat_load_ushort v23, v[24:25]
.LBB3125_47:
	s_or_b64 exec, exec, s[2:3]
	s_waitcnt vmcnt(0) lgkmcnt(0)
	ds_write_b16 v1, v2
	ds_write_b16 v1, v3 offset:512
	ds_write_b16 v1, v4 offset:1024
	;; [unrolled: 1-line block ×19, first 2 shown]
	s_waitcnt lgkmcnt(0)
	s_barrier
.LBB3125_48:
	v_mul_u32_u24_e32 v28, 20, v0
	v_lshlrev_b32_e32 v6, 1, v28
	ds_read_b64 v[12:13], v6 offset:32
	ds_read2_b64 v[2:5], v6 offset0:2 offset1:3
	ds_read2_b64 v[6:9], v6 offset1:1
	s_add_u32 s2, s6, s4
	s_addc_u32 s3, s7, s5
	s_add_u32 s2, s2, s8
	s_addc_u32 s3, s3, s9
	s_mov_b64 s[4:5], -1
	s_and_b64 vcc, exec, s[22:23]
	s_waitcnt lgkmcnt(0)
	s_barrier
	s_cbranch_vccz .LBB3125_50
; %bb.49:
	v_mov_b32_e32 v14, s3
	v_add_co_u32_e32 v16, vcc, s2, v1
	s_movk_i32 s4, 0x1000
	v_addc_co_u32_e32 v17, vcc, 0, v14, vcc
	v_add_co_u32_e32 v14, vcc, s4, v16
	s_movk_i32 s5, 0x2000
	v_addc_co_u32_e32 v15, vcc, 0, v17, vcc
	global_load_ubyte v18, v1, s[2:3]
	global_load_ubyte v19, v1, s[2:3] offset:512
	global_load_ubyte v20, v1, s[2:3] offset:1024
	;; [unrolled: 1-line block ×7, first 2 shown]
	v_add_co_u32_e32 v16, vcc, s5, v16
	v_addc_co_u32_e32 v17, vcc, 0, v17, vcc
	global_load_ubyte v26, v[16:17], off offset:-4096
	global_load_ubyte v27, v[14:15], off offset:512
	global_load_ubyte v29, v[14:15], off offset:1024
	;; [unrolled: 1-line block ×7, first 2 shown]
	global_load_ubyte v35, v[16:17], off
	global_load_ubyte v36, v[16:17], off offset:512
	global_load_ubyte v37, v[16:17], off offset:1024
	;; [unrolled: 1-line block ×3, first 2 shown]
	s_mov_b64 s[4:5], 0
	s_waitcnt vmcnt(19)
	v_xor_b32_e32 v14, -1, v18
	s_waitcnt vmcnt(18)
	v_xor_b32_e32 v15, -1, v19
	;; [unrolled: 2-line block ×8, first 2 shown]
	v_and_b32_e32 v14, 1, v14
	v_and_b32_e32 v15, 1, v15
	v_and_b32_e32 v16, 1, v16
	v_and_b32_e32 v17, 1, v17
	v_and_b32_e32 v18, 1, v18
	v_and_b32_e32 v19, 1, v19
	v_and_b32_e32 v20, 1, v20
	v_and_b32_e32 v21, 1, v21
	ds_write_b8 v0, v14
	ds_write_b8 v0, v15 offset:256
	ds_write_b8 v0, v16 offset:512
	ds_write_b8 v0, v17 offset:768
	ds_write_b8 v0, v18 offset:1024
	ds_write_b8 v0, v19 offset:1280
	ds_write_b8 v0, v20 offset:1536
	ds_write_b8 v0, v21 offset:1792
	s_waitcnt vmcnt(11)
	v_xor_b32_e32 v14, -1, v26
	s_waitcnt vmcnt(10)
	v_xor_b32_e32 v15, -1, v27
	;; [unrolled: 2-line block ×12, first 2 shown]
	v_and_b32_e32 v14, 1, v14
	v_and_b32_e32 v15, 1, v15
	;; [unrolled: 1-line block ×12, first 2 shown]
	ds_write_b8 v0, v14 offset:2048
	ds_write_b8 v0, v15 offset:2304
	;; [unrolled: 1-line block ×12, first 2 shown]
	s_waitcnt lgkmcnt(0)
	s_barrier
.LBB3125_50:
	s_andn2_b64 vcc, exec, s[4:5]
	s_cbranch_vccnz .LBB3125_92
; %bb.51:
	v_cmp_gt_u32_e32 vcc, s33, v0
	v_mov_b32_e32 v14, 0
	v_mov_b32_e32 v15, 0
	s_and_saveexec_b64 s[4:5], vcc
	s_cbranch_execz .LBB3125_53
; %bb.52:
	global_load_ubyte v15, v1, s[2:3]
	s_waitcnt vmcnt(0)
	v_xor_b32_e32 v15, -1, v15
	v_and_b32_e32 v15, 1, v15
.LBB3125_53:
	s_or_b64 exec, exec, s[4:5]
	v_or_b32_e32 v16, 0x100, v0
	v_cmp_gt_u32_e32 vcc, s33, v16
	s_and_saveexec_b64 s[4:5], vcc
	s_cbranch_execz .LBB3125_55
; %bb.54:
	global_load_ubyte v14, v1, s[2:3] offset:512
	s_waitcnt vmcnt(0)
	v_xor_b32_e32 v14, -1, v14
	v_and_b32_e32 v14, 1, v14
.LBB3125_55:
	s_or_b64 exec, exec, s[4:5]
	v_or_b32_e32 v16, 0x200, v0
	v_cmp_gt_u32_e32 vcc, s33, v16
	v_mov_b32_e32 v16, 0
	v_mov_b32_e32 v17, 0
	s_and_saveexec_b64 s[4:5], vcc
	s_cbranch_execz .LBB3125_57
; %bb.56:
	global_load_ubyte v17, v1, s[2:3] offset:1024
	s_waitcnt vmcnt(0)
	v_xor_b32_e32 v17, -1, v17
	v_and_b32_e32 v17, 1, v17
.LBB3125_57:
	s_or_b64 exec, exec, s[4:5]
	v_or_b32_e32 v18, 0x300, v0
	v_cmp_gt_u32_e32 vcc, s33, v18
	s_and_saveexec_b64 s[4:5], vcc
	s_cbranch_execz .LBB3125_59
; %bb.58:
	global_load_ubyte v16, v1, s[2:3] offset:1536
	s_waitcnt vmcnt(0)
	v_xor_b32_e32 v16, -1, v16
	v_and_b32_e32 v16, 1, v16
.LBB3125_59:
	s_or_b64 exec, exec, s[4:5]
	v_or_b32_e32 v18, 0x400, v0
	v_cmp_gt_u32_e32 vcc, s33, v18
	v_mov_b32_e32 v18, 0
	v_mov_b32_e32 v19, 0
	s_and_saveexec_b64 s[4:5], vcc
	s_cbranch_execz .LBB3125_61
; %bb.60:
	global_load_ubyte v19, v1, s[2:3] offset:2048
	s_waitcnt vmcnt(0)
	v_xor_b32_e32 v19, -1, v19
	v_and_b32_e32 v19, 1, v19
.LBB3125_61:
	;; [unrolled: 24-line block ×3, first 2 shown]
	s_or_b64 exec, exec, s[4:5]
	v_or_b32_e32 v22, 0x700, v0
	v_cmp_gt_u32_e32 vcc, s33, v22
	s_and_saveexec_b64 s[4:5], vcc
	s_cbranch_execz .LBB3125_67
; %bb.66:
	global_load_ubyte v20, v1, s[2:3] offset:3584
	s_waitcnt vmcnt(0)
	v_xor_b32_e32 v20, -1, v20
	v_and_b32_e32 v20, 1, v20
.LBB3125_67:
	s_or_b64 exec, exec, s[4:5]
	v_or_b32_e32 v24, 0x800, v0
	v_cmp_gt_u32_e32 vcc, s33, v24
	v_mov_b32_e32 v22, 0
	v_mov_b32_e32 v23, 0
	s_and_saveexec_b64 s[4:5], vcc
	s_cbranch_execz .LBB3125_69
; %bb.68:
	v_lshlrev_b32_e32 v23, 1, v24
	global_load_ubyte v23, v23, s[2:3]
	s_waitcnt vmcnt(0)
	v_xor_b32_e32 v23, -1, v23
	v_and_b32_e32 v23, 1, v23
.LBB3125_69:
	s_or_b64 exec, exec, s[4:5]
	v_or_b32_e32 v24, 0x900, v0
	v_cmp_gt_u32_e32 vcc, s33, v24
	s_and_saveexec_b64 s[4:5], vcc
	s_cbranch_execz .LBB3125_71
; %bb.70:
	v_lshlrev_b32_e32 v22, 1, v24
	global_load_ubyte v22, v22, s[2:3]
	s_waitcnt vmcnt(0)
	v_xor_b32_e32 v22, -1, v22
	v_and_b32_e32 v22, 1, v22
.LBB3125_71:
	s_or_b64 exec, exec, s[4:5]
	v_or_b32_e32 v26, 0xa00, v0
	v_cmp_gt_u32_e32 vcc, s33, v26
	v_mov_b32_e32 v24, 0
	v_mov_b32_e32 v25, 0
	s_and_saveexec_b64 s[4:5], vcc
	s_cbranch_execz .LBB3125_73
; %bb.72:
	v_lshlrev_b32_e32 v25, 1, v26
	global_load_ubyte v25, v25, s[2:3]
	s_waitcnt vmcnt(0)
	v_xor_b32_e32 v25, -1, v25
	v_and_b32_e32 v25, 1, v25
.LBB3125_73:
	s_or_b64 exec, exec, s[4:5]
	v_or_b32_e32 v26, 0xb00, v0
	v_cmp_gt_u32_e32 vcc, s33, v26
	s_and_saveexec_b64 s[4:5], vcc
	s_cbranch_execz .LBB3125_75
; %bb.74:
	v_lshlrev_b32_e32 v24, 1, v26
	global_load_ubyte v24, v24, s[2:3]
	s_waitcnt vmcnt(0)
	v_xor_b32_e32 v24, -1, v24
	v_and_b32_e32 v24, 1, v24
.LBB3125_75:
	;; [unrolled: 26-line block ×6, first 2 shown]
	s_or_b64 exec, exec, s[4:5]
	ds_write_b8 v0, v15
	ds_write_b8 v0, v14 offset:256
	ds_write_b8 v0, v17 offset:512
	;; [unrolled: 1-line block ×19, first 2 shown]
	s_waitcnt lgkmcnt(0)
	s_barrier
.LBB3125_92:
	ds_read2_b32 v[20:21], v28 offset1:1
	ds_read2_b32 v[18:19], v28 offset0:2 offset1:3
	ds_read_b32 v30, v28 offset:16
	s_cmp_lg_u32 s36, 0
	v_lshrrev_b32_e32 v49, 6, v0
	s_waitcnt lgkmcnt(2)
	v_lshrrev_b32_e32 v35, 24, v20
	v_bfe_u32 v47, v20, 16, 8
	v_add_u32_sdwa v14, v20, v20 dst_sel:DWORD dst_unused:UNUSED_PAD src0_sel:BYTE_1 src1_sel:BYTE_0
	v_and_b32_e32 v44, 0xff, v21
	v_bfe_u32 v45, v21, 8, 8
	v_add3_u32 v14, v14, v47, v35
	v_lshrrev_b32_e32 v34, 24, v21
	v_bfe_u32 v46, v21, 16, 8
	v_add3_u32 v14, v14, v44, v45
	s_waitcnt lgkmcnt(1)
	v_and_b32_e32 v41, 0xff, v18
	v_bfe_u32 v42, v18, 8, 8
	v_add3_u32 v14, v14, v46, v34
	v_lshrrev_b32_e32 v33, 24, v18
	v_bfe_u32 v43, v18, 16, 8
	v_add3_u32 v14, v14, v41, v42
	v_and_b32_e32 v38, 0xff, v19
	v_bfe_u32 v39, v19, 8, 8
	v_add3_u32 v14, v14, v43, v33
	v_lshrrev_b32_e32 v32, 24, v19
	v_bfe_u32 v40, v19, 16, 8
	v_add3_u32 v14, v14, v38, v39
	s_waitcnt lgkmcnt(0)
	v_and_b32_e32 v36, 0xff, v30
	v_bfe_u32 v37, v30, 8, 8
	v_add3_u32 v14, v14, v40, v32
	v_lshrrev_b32_e32 v29, 24, v30
	v_bfe_u32 v31, v30, 16, 8
	v_add3_u32 v14, v14, v36, v37
	v_add3_u32 v50, v14, v31, v29
	v_mbcnt_lo_u32_b32 v14, -1, 0
	v_mbcnt_hi_u32_b32 v48, -1, v14
	v_and_b32_e32 v14, 15, v48
	v_cmp_eq_u32_e64 s[14:15], 0, v14
	v_cmp_lt_u32_e64 s[12:13], 1, v14
	v_cmp_lt_u32_e64 s[10:11], 3, v14
	v_cmp_lt_u32_e64 s[8:9], 7, v14
	v_and_b32_e32 v14, 16, v48
	v_cmp_eq_u32_e64 s[6:7], 0, v14
	v_or_b32_e32 v14, 63, v0
	v_cmp_lt_u32_e64 s[2:3], 31, v48
	v_cmp_eq_u32_e64 s[4:5], v14, v0
	s_barrier
	s_cbranch_scc0 .LBB3125_119
; %bb.93:
	v_mov_b32_dpp v14, v50 row_shr:1 row_mask:0xf bank_mask:0xf
	v_cndmask_b32_e64 v14, v14, 0, s[14:15]
	v_add_u32_e32 v14, v14, v50
	s_nop 1
	v_mov_b32_dpp v15, v14 row_shr:2 row_mask:0xf bank_mask:0xf
	v_cndmask_b32_e64 v15, 0, v15, s[12:13]
	v_add_u32_e32 v14, v14, v15
	s_nop 1
	;; [unrolled: 4-line block ×4, first 2 shown]
	v_mov_b32_dpp v15, v14 row_bcast:15 row_mask:0xf bank_mask:0xf
	v_cndmask_b32_e64 v15, v15, 0, s[6:7]
	v_add_u32_e32 v14, v14, v15
	s_nop 1
	v_mov_b32_dpp v15, v14 row_bcast:31 row_mask:0xf bank_mask:0xf
	v_cndmask_b32_e64 v15, 0, v15, s[2:3]
	v_add_u32_e32 v14, v14, v15
	s_and_saveexec_b64 s[16:17], s[4:5]
	s_cbranch_execz .LBB3125_95
; %bb.94:
	v_lshlrev_b32_e32 v15, 2, v49
	ds_write_b32 v15, v14
.LBB3125_95:
	s_or_b64 exec, exec, s[16:17]
	v_cmp_gt_u32_e32 vcc, 4, v0
	s_waitcnt lgkmcnt(0)
	s_barrier
	s_and_saveexec_b64 s[16:17], vcc
	s_cbranch_execz .LBB3125_97
; %bb.96:
	v_lshlrev_b32_e32 v15, 2, v0
	ds_read_b32 v16, v15
	v_and_b32_e32 v17, 3, v48
	v_cmp_ne_u32_e32 vcc, 0, v17
	s_waitcnt lgkmcnt(0)
	v_mov_b32_dpp v22, v16 row_shr:1 row_mask:0xf bank_mask:0xf
	v_cndmask_b32_e32 v22, 0, v22, vcc
	v_add_u32_e32 v16, v22, v16
	v_cmp_lt_u32_e32 vcc, 1, v17
	s_nop 0
	v_mov_b32_dpp v22, v16 row_shr:2 row_mask:0xf bank_mask:0xf
	v_cndmask_b32_e32 v17, 0, v22, vcc
	v_add_u32_e32 v16, v16, v17
	ds_write_b32 v15, v16
.LBB3125_97:
	s_or_b64 exec, exec, s[16:17]
	v_cmp_gt_u32_e32 vcc, 64, v0
	v_cmp_lt_u32_e64 s[16:17], 63, v0
	s_waitcnt lgkmcnt(0)
	s_barrier
	s_waitcnt lgkmcnt(0)
                                        ; implicit-def: $vgpr51
	s_and_saveexec_b64 s[28:29], s[16:17]
	s_cbranch_execz .LBB3125_99
; %bb.98:
	v_lshl_add_u32 v15, v49, 2, -4
	ds_read_b32 v51, v15
	s_waitcnt lgkmcnt(0)
	v_add_u32_e32 v14, v51, v14
.LBB3125_99:
	s_or_b64 exec, exec, s[28:29]
	v_add_u32_e32 v15, -1, v48
	v_and_b32_e32 v16, 64, v48
	v_cmp_lt_i32_e64 s[16:17], v15, v16
	v_cndmask_b32_e64 v15, v15, v48, s[16:17]
	v_lshlrev_b32_e32 v15, 2, v15
	ds_bpermute_b32 v52, v15, v14
	v_cmp_eq_u32_e64 s[16:17], 0, v48
	s_and_saveexec_b64 s[28:29], vcc
	s_cbranch_execz .LBB3125_118
; %bb.100:
	v_mov_b32_e32 v25, 0
	ds_read_b32 v14, v25 offset:12
	s_and_saveexec_b64 s[30:31], s[16:17]
	s_cbranch_execz .LBB3125_102
; %bb.101:
	s_add_i32 s34, s36, 64
	s_mov_b32 s35, 0
	s_lshl_b64 s[34:35], s[34:35], 3
	s_add_u32 s34, s26, s34
	v_mov_b32_e32 v15, 1
	s_addc_u32 s35, s27, s35
	s_waitcnt lgkmcnt(0)
	global_store_dwordx2 v25, v[14:15], s[34:35]
.LBB3125_102:
	s_or_b64 exec, exec, s[30:31]
	v_xad_u32 v16, v48, -1, s36
	v_add_u32_e32 v24, 64, v16
	v_lshlrev_b64 v[22:23], 3, v[24:25]
	v_mov_b32_e32 v15, s27
	v_add_co_u32_e32 v26, vcc, s26, v22
	v_addc_co_u32_e32 v27, vcc, v15, v23, vcc
	global_load_dwordx2 v[22:23], v[26:27], off glc
	s_waitcnt vmcnt(0)
	v_cmp_eq_u16_sdwa s[34:35], v23, v25 src0_sel:BYTE_0 src1_sel:DWORD
	s_and_saveexec_b64 s[30:31], s[34:35]
	s_cbranch_execz .LBB3125_106
; %bb.103:
	s_mov_b64 s[34:35], 0
	v_mov_b32_e32 v15, 0
.LBB3125_104:                           ; =>This Inner Loop Header: Depth=1
	global_load_dwordx2 v[22:23], v[26:27], off glc
	s_waitcnt vmcnt(0)
	v_cmp_ne_u16_sdwa s[38:39], v23, v15 src0_sel:BYTE_0 src1_sel:DWORD
	s_or_b64 s[34:35], s[38:39], s[34:35]
	s_andn2_b64 exec, exec, s[34:35]
	s_cbranch_execnz .LBB3125_104
; %bb.105:
	s_or_b64 exec, exec, s[34:35]
.LBB3125_106:
	s_or_b64 exec, exec, s[30:31]
	v_and_b32_e32 v54, 63, v48
	v_mov_b32_e32 v53, 2
	v_cmp_ne_u32_e32 vcc, 63, v54
	v_cmp_eq_u16_sdwa s[30:31], v23, v53 src0_sel:BYTE_0 src1_sel:DWORD
	v_lshlrev_b64 v[24:25], v48, -1
	v_addc_co_u32_e32 v26, vcc, 0, v48, vcc
	v_and_b32_e32 v15, s31, v25
	v_lshlrev_b32_e32 v55, 2, v26
	v_or_b32_e32 v15, 0x80000000, v15
	ds_bpermute_b32 v26, v55, v22
	v_and_b32_e32 v17, s30, v24
	v_ffbl_b32_e32 v15, v15
	v_add_u32_e32 v15, 32, v15
	v_ffbl_b32_e32 v17, v17
	v_min_u32_e32 v15, v17, v15
	v_cmp_lt_u32_e32 vcc, v54, v15
	s_waitcnt lgkmcnt(0)
	v_cndmask_b32_e32 v17, 0, v26, vcc
	v_cmp_gt_u32_e32 vcc, 62, v54
	v_add_u32_e32 v17, v17, v22
	v_cndmask_b32_e64 v22, 0, 1, vcc
	v_lshlrev_b32_e32 v22, 1, v22
	v_add_lshl_u32 v56, v22, v48, 2
	ds_bpermute_b32 v22, v56, v17
	v_add_u32_e32 v57, 2, v54
	v_cmp_le_u32_e32 vcc, v57, v15
	v_add_u32_e32 v59, 4, v54
	v_add_u32_e32 v61, 8, v54
	s_waitcnt lgkmcnt(0)
	v_cndmask_b32_e32 v22, 0, v22, vcc
	v_cmp_gt_u32_e32 vcc, 60, v54
	v_add_u32_e32 v17, v17, v22
	v_cndmask_b32_e64 v22, 0, 1, vcc
	v_lshlrev_b32_e32 v22, 2, v22
	v_add_lshl_u32 v58, v22, v48, 2
	ds_bpermute_b32 v22, v58, v17
	v_cmp_le_u32_e32 vcc, v59, v15
	v_add_u32_e32 v63, 16, v54
	v_add_u32_e32 v65, 32, v54
	s_waitcnt lgkmcnt(0)
	v_cndmask_b32_e32 v22, 0, v22, vcc
	v_cmp_gt_u32_e32 vcc, 56, v54
	v_add_u32_e32 v17, v17, v22
	v_cndmask_b32_e64 v22, 0, 1, vcc
	v_lshlrev_b32_e32 v22, 3, v22
	v_add_lshl_u32 v60, v22, v48, 2
	ds_bpermute_b32 v22, v60, v17
	v_cmp_le_u32_e32 vcc, v61, v15
	s_waitcnt lgkmcnt(0)
	v_cndmask_b32_e32 v22, 0, v22, vcc
	v_cmp_gt_u32_e32 vcc, 48, v54
	v_add_u32_e32 v17, v17, v22
	v_cndmask_b32_e64 v22, 0, 1, vcc
	v_lshlrev_b32_e32 v22, 4, v22
	v_add_lshl_u32 v62, v22, v48, 2
	ds_bpermute_b32 v22, v62, v17
	v_cmp_le_u32_e32 vcc, v63, v15
	;; [unrolled: 9-line block ×3, first 2 shown]
	s_waitcnt lgkmcnt(0)
	v_cndmask_b32_e32 v15, 0, v22, vcc
	v_add_u32_e32 v22, v17, v15
	v_mov_b32_e32 v17, 0
	s_branch .LBB3125_108
.LBB3125_107:                           ;   in Loop: Header=BB3125_108 Depth=1
	s_or_b64 exec, exec, s[30:31]
	v_cmp_eq_u16_sdwa s[30:31], v23, v53 src0_sel:BYTE_0 src1_sel:DWORD
	v_and_b32_e32 v26, s31, v25
	v_or_b32_e32 v26, 0x80000000, v26
	ds_bpermute_b32 v66, v55, v22
	v_and_b32_e32 v27, s30, v24
	v_ffbl_b32_e32 v26, v26
	v_add_u32_e32 v26, 32, v26
	v_ffbl_b32_e32 v27, v27
	v_min_u32_e32 v26, v27, v26
	v_cmp_lt_u32_e32 vcc, v54, v26
	s_waitcnt lgkmcnt(0)
	v_cndmask_b32_e32 v27, 0, v66, vcc
	v_add_u32_e32 v22, v27, v22
	ds_bpermute_b32 v27, v56, v22
	v_cmp_le_u32_e32 vcc, v57, v26
	v_subrev_u32_e32 v16, 64, v16
	s_waitcnt lgkmcnt(0)
	v_cndmask_b32_e32 v27, 0, v27, vcc
	v_add_u32_e32 v22, v22, v27
	ds_bpermute_b32 v27, v58, v22
	v_cmp_le_u32_e32 vcc, v59, v26
	s_waitcnt lgkmcnt(0)
	v_cndmask_b32_e32 v27, 0, v27, vcc
	v_add_u32_e32 v22, v22, v27
	ds_bpermute_b32 v27, v60, v22
	v_cmp_le_u32_e32 vcc, v61, v26
	;; [unrolled: 5-line block ×4, first 2 shown]
	s_waitcnt lgkmcnt(0)
	v_cndmask_b32_e32 v26, 0, v27, vcc
	v_add3_u32 v22, v26, v15, v22
.LBB3125_108:                           ; =>This Loop Header: Depth=1
                                        ;     Child Loop BB3125_111 Depth 2
	v_cmp_ne_u16_sdwa s[30:31], v23, v53 src0_sel:BYTE_0 src1_sel:DWORD
	v_cndmask_b32_e64 v15, 0, 1, s[30:31]
	;;#ASMSTART
	;;#ASMEND
	v_cmp_ne_u32_e32 vcc, 0, v15
	s_cmp_lg_u64 vcc, exec
	v_mov_b32_e32 v15, v22
	s_cbranch_scc1 .LBB3125_113
; %bb.109:                              ;   in Loop: Header=BB3125_108 Depth=1
	v_lshlrev_b64 v[22:23], 3, v[16:17]
	v_mov_b32_e32 v27, s27
	v_add_co_u32_e32 v26, vcc, s26, v22
	v_addc_co_u32_e32 v27, vcc, v27, v23, vcc
	global_load_dwordx2 v[22:23], v[26:27], off glc
	s_waitcnt vmcnt(0)
	v_cmp_eq_u16_sdwa s[34:35], v23, v17 src0_sel:BYTE_0 src1_sel:DWORD
	s_and_saveexec_b64 s[30:31], s[34:35]
	s_cbranch_execz .LBB3125_107
; %bb.110:                              ;   in Loop: Header=BB3125_108 Depth=1
	s_mov_b64 s[34:35], 0
.LBB3125_111:                           ;   Parent Loop BB3125_108 Depth=1
                                        ; =>  This Inner Loop Header: Depth=2
	global_load_dwordx2 v[22:23], v[26:27], off glc
	s_waitcnt vmcnt(0)
	v_cmp_ne_u16_sdwa s[38:39], v23, v17 src0_sel:BYTE_0 src1_sel:DWORD
	s_or_b64 s[34:35], s[38:39], s[34:35]
	s_andn2_b64 exec, exec, s[34:35]
	s_cbranch_execnz .LBB3125_111
; %bb.112:                              ;   in Loop: Header=BB3125_108 Depth=1
	s_or_b64 exec, exec, s[34:35]
	s_branch .LBB3125_107
.LBB3125_113:                           ;   in Loop: Header=BB3125_108 Depth=1
                                        ; implicit-def: $vgpr22
                                        ; implicit-def: $vgpr23
	s_cbranch_execz .LBB3125_108
; %bb.114:
	s_and_saveexec_b64 s[30:31], s[16:17]
	s_cbranch_execz .LBB3125_116
; %bb.115:
	s_add_i32 s34, s36, 64
	s_mov_b32 s35, 0
	s_lshl_b64 s[34:35], s[34:35], 3
	s_add_u32 s34, s26, s34
	v_add_u32_e32 v16, v15, v14
	v_mov_b32_e32 v17, 2
	s_addc_u32 s35, s27, s35
	v_mov_b32_e32 v22, 0
	global_store_dwordx2 v22, v[16:17], s[34:35]
	ds_write_b64 v22, v[14:15] offset:10240
.LBB3125_116:
	s_or_b64 exec, exec, s[30:31]
	s_and_b64 exec, exec, s[0:1]
	s_cbranch_execz .LBB3125_118
; %bb.117:
	v_mov_b32_e32 v14, 0
	ds_write_b32 v14, v15 offset:12
.LBB3125_118:
	s_or_b64 exec, exec, s[28:29]
	v_mov_b32_e32 v14, 0
	s_waitcnt lgkmcnt(0)
	s_barrier
	ds_read_b32 v16, v14 offset:12
	s_waitcnt lgkmcnt(0)
	s_barrier
	ds_read_b64 v[14:15], v14 offset:10240
	v_cndmask_b32_e64 v17, v52, v51, s[16:17]
	v_cndmask_b32_e64 v17, v17, 0, s[0:1]
	v_add_u32_e32 v24, v16, v17
	s_waitcnt lgkmcnt(0)
	v_mov_b32_e32 v16, v15
	s_branch .LBB3125_129
.LBB3125_119:
                                        ; implicit-def: $vgpr16
                                        ; implicit-def: $vgpr14
                                        ; implicit-def: $vgpr24
	s_cbranch_execz .LBB3125_129
; %bb.120:
	s_nop 0
	v_mov_b32_dpp v14, v50 row_shr:1 row_mask:0xf bank_mask:0xf
	v_cndmask_b32_e64 v14, v14, 0, s[14:15]
	v_add_u32_e32 v14, v14, v50
	s_nop 1
	v_mov_b32_dpp v15, v14 row_shr:2 row_mask:0xf bank_mask:0xf
	v_cndmask_b32_e64 v15, 0, v15, s[12:13]
	v_add_u32_e32 v14, v14, v15
	;; [unrolled: 4-line block ×4, first 2 shown]
	s_nop 1
	v_mov_b32_dpp v15, v14 row_bcast:15 row_mask:0xf bank_mask:0xf
	v_cndmask_b32_e64 v15, v15, 0, s[6:7]
	v_add_u32_e32 v14, v14, v15
	s_nop 1
	v_mov_b32_dpp v15, v14 row_bcast:31 row_mask:0xf bank_mask:0xf
	v_cndmask_b32_e64 v15, 0, v15, s[2:3]
	v_add_u32_e32 v14, v14, v15
	s_and_saveexec_b64 s[2:3], s[4:5]
	s_cbranch_execz .LBB3125_122
; %bb.121:
	v_lshlrev_b32_e32 v15, 2, v49
	ds_write_b32 v15, v14
.LBB3125_122:
	s_or_b64 exec, exec, s[2:3]
	v_cmp_gt_u32_e32 vcc, 4, v0
	s_waitcnt lgkmcnt(0)
	s_barrier
	s_and_saveexec_b64 s[2:3], vcc
	s_cbranch_execz .LBB3125_124
; %bb.123:
	v_lshlrev_b32_e32 v15, 2, v0
	ds_read_b32 v16, v15
	v_and_b32_e32 v17, 3, v48
	v_cmp_ne_u32_e32 vcc, 0, v17
	s_waitcnt lgkmcnt(0)
	v_mov_b32_dpp v22, v16 row_shr:1 row_mask:0xf bank_mask:0xf
	v_cndmask_b32_e32 v22, 0, v22, vcc
	v_add_u32_e32 v16, v22, v16
	v_cmp_lt_u32_e32 vcc, 1, v17
	s_nop 0
	v_mov_b32_dpp v22, v16 row_shr:2 row_mask:0xf bank_mask:0xf
	v_cndmask_b32_e32 v17, 0, v22, vcc
	v_add_u32_e32 v16, v16, v17
	ds_write_b32 v15, v16
.LBB3125_124:
	s_or_b64 exec, exec, s[2:3]
	v_cmp_lt_u32_e32 vcc, 63, v0
	v_mov_b32_e32 v15, 0
	v_mov_b32_e32 v16, 0
	s_waitcnt lgkmcnt(0)
	s_barrier
	s_and_saveexec_b64 s[2:3], vcc
	s_cbranch_execz .LBB3125_126
; %bb.125:
	v_lshl_add_u32 v16, v49, 2, -4
	ds_read_b32 v16, v16
.LBB3125_126:
	s_or_b64 exec, exec, s[2:3]
	v_add_u32_e32 v17, -1, v48
	v_and_b32_e32 v22, 64, v48
	v_cmp_lt_i32_e32 vcc, v17, v22
	v_cndmask_b32_e32 v17, v17, v48, vcc
	s_waitcnt lgkmcnt(0)
	v_add_u32_e32 v14, v16, v14
	v_lshlrev_b32_e32 v17, 2, v17
	ds_bpermute_b32 v17, v17, v14
	ds_read_b32 v14, v15 offset:12
	s_and_saveexec_b64 s[2:3], s[0:1]
	s_cbranch_execz .LBB3125_128
; %bb.127:
	v_mov_b32_e32 v22, 0
	v_mov_b32_e32 v15, 2
	s_waitcnt lgkmcnt(0)
	global_store_dwordx2 v22, v[14:15], s[26:27] offset:512
.LBB3125_128:
	s_or_b64 exec, exec, s[2:3]
	v_cmp_eq_u32_e32 vcc, 0, v48
	s_waitcnt lgkmcnt(1)
	v_cndmask_b32_e32 v15, v17, v16, vcc
	v_mov_b32_e32 v16, 0
	v_cndmask_b32_e64 v24, v15, 0, s[0:1]
	s_waitcnt lgkmcnt(0)
	s_barrier
.LBB3125_129:
	v_add_u32_sdwa v26, v24, v20 dst_sel:DWORD dst_unused:UNUSED_PAD src0_sel:DWORD src1_sel:BYTE_0
	v_add_u32_e32 v28, v14, v28
	v_sub_u32_e32 v24, v24, v16
	v_and_b32_e32 v53, 1, v20
	v_sub_u32_e32 v52, v28, v24
	v_cmp_eq_u32_e32 vcc, 1, v53
	v_cndmask_b32_e32 v24, v52, v24, vcc
	v_lshlrev_b32_e32 v24, 1, v24
	v_lshrrev_b32_e32 v25, 8, v20
	ds_write_b16 v24, v6
	v_sub_u32_e32 v24, v26, v16
	v_add_u32_sdwa v27, v26, v20 dst_sel:DWORD dst_unused:UNUSED_PAD src0_sel:DWORD src1_sel:BYTE_1
	v_sub_u32_e32 v26, v28, v24
	v_and_b32_e32 v25, 1, v25
	v_add_u32_e32 v26, 1, v26
	v_cmp_eq_u32_e32 vcc, 1, v25
	v_cndmask_b32_e32 v24, v26, v24, vcc
	v_lshlrev_b32_e32 v24, 1, v24
	ds_write_b16_d16_hi v24, v6
	v_sub_u32_e32 v6, v27, v16
	v_mov_b32_e32 v25, 1
	v_sub_u32_e32 v24, v28, v6
	v_and_b32_sdwa v20, v25, v20 dst_sel:DWORD dst_unused:UNUSED_PAD src0_sel:DWORD src1_sel:WORD_1
	v_add_u32_e32 v24, 2, v24
	v_cmp_eq_u32_e32 vcc, 1, v20
	v_cndmask_b32_e32 v6, v24, v6, vcc
	v_add_u32_e32 v47, v27, v47
	v_lshlrev_b32_e32 v6, 1, v6
	ds_write_b16 v6, v7
	v_sub_u32_e32 v6, v47, v16
	v_sub_u32_e32 v20, v28, v6
	v_and_b32_e32 v24, 1, v35
	v_add_u32_e32 v20, 3, v20
	v_cmp_eq_u32_e32 vcc, 1, v24
	v_cndmask_b32_e32 v6, v20, v6, vcc
	v_add_u32_e32 v48, v47, v35
	v_lshlrev_b32_e32 v6, 1, v6
	ds_write_b16_d16_hi v6, v7
	v_sub_u32_e32 v6, v48, v16
	v_sub_u32_e32 v7, v28, v6
	v_and_b32_e32 v20, 1, v21
	v_add_u32_e32 v7, 4, v7
	v_cmp_eq_u32_e32 vcc, 1, v20
	v_cndmask_b32_e32 v6, v7, v6, vcc
	v_add_u32_e32 v44, v48, v44
	v_lshlrev_b32_e32 v6, 1, v6
	v_lshrrev_b32_e32 v23, 8, v21
	ds_write_b16 v6, v8
	v_sub_u32_e32 v6, v44, v16
	v_sub_u32_e32 v7, v28, v6
	v_and_b32_e32 v20, 1, v23
	v_add_u32_e32 v7, 5, v7
	v_cmp_eq_u32_e32 vcc, 1, v20
	v_cndmask_b32_e32 v6, v7, v6, vcc
	v_add_u32_e32 v45, v44, v45
	v_lshlrev_b32_e32 v6, 1, v6
	ds_write_b16_d16_hi v6, v8
	v_sub_u32_e32 v6, v45, v16
	v_sub_u32_e32 v7, v28, v6
	v_and_b32_sdwa v8, v25, v21 dst_sel:DWORD dst_unused:UNUSED_PAD src0_sel:DWORD src1_sel:WORD_1
	v_add_u32_e32 v7, 6, v7
	v_cmp_eq_u32_e32 vcc, 1, v8
	v_cndmask_b32_e32 v6, v7, v6, vcc
	v_add_u32_e32 v46, v45, v46
	v_lshlrev_b32_e32 v6, 1, v6
	ds_write_b16 v6, v9
	v_sub_u32_e32 v6, v46, v16
	v_sub_u32_e32 v7, v28, v6
	v_and_b32_e32 v8, 1, v34
	v_add_u32_e32 v7, 7, v7
	v_cmp_eq_u32_e32 vcc, 1, v8
	v_cndmask_b32_e32 v6, v7, v6, vcc
	v_add_u32_e32 v49, v46, v34
	v_lshlrev_b32_e32 v6, 1, v6
	ds_write_b16_d16_hi v6, v9
	v_sub_u32_e32 v6, v49, v16
	v_sub_u32_e32 v7, v28, v6
	v_and_b32_e32 v8, 1, v18
	v_add_u32_e32 v7, 8, v7
	v_cmp_eq_u32_e32 vcc, 1, v8
	v_cndmask_b32_e32 v6, v7, v6, vcc
	v_add_u32_e32 v41, v49, v41
	v_lshlrev_b32_e32 v6, 1, v6
	v_lshrrev_b32_e32 v22, 8, v18
	ds_write_b16 v6, v2
	v_sub_u32_e32 v6, v41, v16
	v_sub_u32_e32 v7, v28, v6
	v_and_b32_e32 v8, 1, v22
	v_add_u32_e32 v7, 9, v7
	v_cmp_eq_u32_e32 vcc, 1, v8
	v_cndmask_b32_e32 v6, v7, v6, vcc
	v_add_u32_e32 v42, v41, v42
	v_lshlrev_b32_e32 v6, 1, v6
	ds_write_b16_d16_hi v6, v2
	v_sub_u32_e32 v2, v42, v16
	;; [unrolled: 37-line block ×4, first 2 shown]
	v_sub_u32_e32 v3, v28, v2
	v_and_b32_sdwa v4, v25, v30 dst_sel:DWORD dst_unused:UNUSED_PAD src0_sel:DWORD src1_sel:WORD_1
	v_add_u32_e32 v3, 18, v3
	v_cmp_eq_u32_e32 vcc, 1, v4
	v_cndmask_b32_e32 v2, v3, v2, vcc
	v_lshlrev_b32_e32 v2, 1, v2
	ds_write_b16 v2, v13
	v_sub_u32_e32 v2, v31, v16
	v_add_u32_e32 v2, v37, v2
	v_sub_u32_e32 v3, v28, v2
	v_and_b32_e32 v4, 1, v29
	v_add_u32_e32 v3, 19, v3
	v_cmp_eq_u32_e32 vcc, 1, v4
	v_cndmask_b32_e32 v2, v3, v2, vcc
	v_lshlrev_b32_e32 v2, 1, v2
	ds_write_b16_d16_hi v2, v13
	s_waitcnt lgkmcnt(0)
	s_barrier
	ds_read_u16 v49, v1
	ds_read_u16 v48, v1 offset:512
	ds_read_u16 v46, v1 offset:1024
	;; [unrolled: 1-line block ×19, first 2 shown]
	v_or_b32_e32 v47, 0x100, v0
	v_or_b32_e32 v45, 0x200, v0
	v_or_b32_e32 v43, 0x300, v0
	v_or_b32_e32 v41, 0x400, v0
	v_or_b32_e32 v40, 0x500, v0
	v_or_b32_e32 v38, 0x600, v0
	v_or_b32_e32 v36, 0x700, v0
	v_or_b32_e32 v33, 0x800, v0
	v_or_b32_e32 v31, 0x900, v0
	v_or_b32_e32 v29, 0xa00, v0
	v_or_b32_e32 v27, 0xb00, v0
	v_or_b32_e32 v25, 0xc00, v0
	v_or_b32_e32 v23, 0xd00, v0
	v_or_b32_e32 v21, 0xe00, v0
	v_or_b32_e32 v19, 0xf00, v0
	v_or_b32_e32 v15, 0x1000, v0
	v_or_b32_e32 v12, 0x1100, v0
	v_or_b32_e32 v9, 0x1200, v0
	v_or_b32_e32 v7, 0x1300, v0
	s_andn2_b64 vcc, exec, s[22:23]
	s_waitcnt vmcnt(0)
	v_lshlrev_b64 v[4:5], 1, v[10:11]
	s_cbranch_vccnz .LBB3125_151
; %bb.130:
	v_mov_b32_e32 v17, 0
	v_mov_b32_e32 v2, s25
	v_add_co_u32_e32 v50, vcc, s24, v4
	v_addc_co_u32_e32 v51, vcc, v2, v5, vcc
	v_lshlrev_b64 v[2:3], 1, v[16:17]
	v_add_co_u32_e32 v2, vcc, v50, v2
	v_addc_co_u32_e32 v3, vcc, v51, v3, vcc
	v_cmp_lt_u32_e32 vcc, v0, v14
	s_and_saveexec_b64 s[2:3], vcc
	s_cbranch_execnz .LBB3125_178
; %bb.131:
	s_or_b64 exec, exec, s[2:3]
	v_cmp_lt_u32_e32 vcc, v47, v14
	s_and_saveexec_b64 s[2:3], vcc
	s_cbranch_execnz .LBB3125_179
.LBB3125_132:
	s_or_b64 exec, exec, s[2:3]
	v_cmp_lt_u32_e32 vcc, v45, v14
	s_and_saveexec_b64 s[2:3], vcc
	s_cbranch_execnz .LBB3125_180
.LBB3125_133:
	s_or_b64 exec, exec, s[2:3]
	v_cmp_lt_u32_e32 vcc, v43, v14
	s_and_saveexec_b64 s[2:3], vcc
	s_cbranch_execnz .LBB3125_181
.LBB3125_134:
	s_or_b64 exec, exec, s[2:3]
	v_cmp_lt_u32_e32 vcc, v41, v14
	s_and_saveexec_b64 s[2:3], vcc
	s_cbranch_execnz .LBB3125_182
.LBB3125_135:
	s_or_b64 exec, exec, s[2:3]
	v_cmp_lt_u32_e32 vcc, v40, v14
	s_and_saveexec_b64 s[2:3], vcc
	s_cbranch_execnz .LBB3125_183
.LBB3125_136:
	s_or_b64 exec, exec, s[2:3]
	v_cmp_lt_u32_e32 vcc, v38, v14
	s_and_saveexec_b64 s[2:3], vcc
	s_cbranch_execnz .LBB3125_184
.LBB3125_137:
	s_or_b64 exec, exec, s[2:3]
	v_cmp_lt_u32_e32 vcc, v36, v14
	s_and_saveexec_b64 s[2:3], vcc
	s_cbranch_execnz .LBB3125_185
.LBB3125_138:
	s_or_b64 exec, exec, s[2:3]
	v_cmp_lt_u32_e32 vcc, v33, v14
	s_and_saveexec_b64 s[2:3], vcc
	s_cbranch_execnz .LBB3125_186
.LBB3125_139:
	s_or_b64 exec, exec, s[2:3]
	v_cmp_lt_u32_e32 vcc, v31, v14
	s_and_saveexec_b64 s[2:3], vcc
	s_cbranch_execnz .LBB3125_187
.LBB3125_140:
	s_or_b64 exec, exec, s[2:3]
	v_cmp_lt_u32_e32 vcc, v29, v14
	s_and_saveexec_b64 s[2:3], vcc
	s_cbranch_execnz .LBB3125_188
.LBB3125_141:
	s_or_b64 exec, exec, s[2:3]
	v_cmp_lt_u32_e32 vcc, v27, v14
	s_and_saveexec_b64 s[2:3], vcc
	s_cbranch_execnz .LBB3125_189
.LBB3125_142:
	s_or_b64 exec, exec, s[2:3]
	v_cmp_lt_u32_e32 vcc, v25, v14
	s_and_saveexec_b64 s[2:3], vcc
	s_cbranch_execnz .LBB3125_190
.LBB3125_143:
	s_or_b64 exec, exec, s[2:3]
	v_cmp_lt_u32_e32 vcc, v23, v14
	s_and_saveexec_b64 s[2:3], vcc
	s_cbranch_execnz .LBB3125_191
.LBB3125_144:
	s_or_b64 exec, exec, s[2:3]
	v_cmp_lt_u32_e32 vcc, v21, v14
	s_and_saveexec_b64 s[2:3], vcc
	s_cbranch_execnz .LBB3125_192
.LBB3125_145:
	s_or_b64 exec, exec, s[2:3]
	v_cmp_lt_u32_e32 vcc, v19, v14
	s_and_saveexec_b64 s[2:3], vcc
	s_cbranch_execnz .LBB3125_193
.LBB3125_146:
	s_or_b64 exec, exec, s[2:3]
	v_cmp_lt_u32_e32 vcc, v15, v14
	s_and_saveexec_b64 s[2:3], vcc
	s_cbranch_execnz .LBB3125_194
.LBB3125_147:
	s_or_b64 exec, exec, s[2:3]
	v_cmp_lt_u32_e32 vcc, v12, v14
	s_and_saveexec_b64 s[2:3], vcc
	s_cbranch_execnz .LBB3125_195
.LBB3125_148:
	s_or_b64 exec, exec, s[2:3]
	v_cmp_lt_u32_e32 vcc, v9, v14
	s_and_saveexec_b64 s[2:3], vcc
	s_cbranch_execz .LBB3125_150
.LBB3125_149:
	v_lshlrev_b32_e32 v17, 1, v9
	v_readfirstlane_b32 s4, v2
	v_readfirstlane_b32 s5, v3
	s_waitcnt lgkmcnt(1)
	s_nop 3
	global_store_short v17, v8, s[4:5]
.LBB3125_150:
	s_or_b64 exec, exec, s[2:3]
	v_cmp_lt_u32_e64 s[2:3], v7, v14
	s_branch .LBB3125_173
.LBB3125_151:
	s_mov_b64 s[2:3], 0
                                        ; implicit-def: $vgpr2_vgpr3
	s_cbranch_execz .LBB3125_173
; %bb.152:
	v_mov_b32_e32 v17, 0
	v_mov_b32_e32 v2, s25
	v_add_co_u32_e32 v4, vcc, s24, v4
	v_addc_co_u32_e32 v5, vcc, v2, v5, vcc
	v_lshlrev_b64 v[2:3], 1, v[16:17]
	v_add_co_u32_e32 v2, vcc, v4, v2
	v_min_u32_e32 v50, s33, v14
	v_addc_co_u32_e32 v3, vcc, v5, v3, vcc
	v_cmp_gt_u32_e32 vcc, v50, v0
	s_and_saveexec_b64 s[2:3], vcc
	s_cbranch_execnz .LBB3125_196
; %bb.153:
	s_or_b64 exec, exec, s[2:3]
	v_cmp_lt_u32_e32 vcc, v47, v50
	s_and_saveexec_b64 s[2:3], vcc
	s_cbranch_execnz .LBB3125_197
.LBB3125_154:
	s_or_b64 exec, exec, s[2:3]
	v_cmp_lt_u32_e32 vcc, v45, v50
	s_and_saveexec_b64 s[2:3], vcc
	s_cbranch_execnz .LBB3125_198
.LBB3125_155:
	s_or_b64 exec, exec, s[2:3]
	v_cmp_lt_u32_e32 vcc, v43, v50
	s_and_saveexec_b64 s[2:3], vcc
	s_cbranch_execnz .LBB3125_199
.LBB3125_156:
	s_or_b64 exec, exec, s[2:3]
	v_cmp_lt_u32_e32 vcc, v41, v50
	s_and_saveexec_b64 s[2:3], vcc
	s_cbranch_execnz .LBB3125_200
.LBB3125_157:
	s_or_b64 exec, exec, s[2:3]
	v_cmp_lt_u32_e32 vcc, v40, v50
	s_and_saveexec_b64 s[2:3], vcc
	s_cbranch_execnz .LBB3125_201
.LBB3125_158:
	s_or_b64 exec, exec, s[2:3]
	v_cmp_lt_u32_e32 vcc, v38, v50
	s_and_saveexec_b64 s[2:3], vcc
	s_cbranch_execnz .LBB3125_202
.LBB3125_159:
	s_or_b64 exec, exec, s[2:3]
	v_cmp_lt_u32_e32 vcc, v36, v50
	s_and_saveexec_b64 s[2:3], vcc
	s_cbranch_execnz .LBB3125_203
.LBB3125_160:
	s_or_b64 exec, exec, s[2:3]
	v_cmp_lt_u32_e32 vcc, v33, v50
	s_and_saveexec_b64 s[2:3], vcc
	s_cbranch_execnz .LBB3125_204
.LBB3125_161:
	s_or_b64 exec, exec, s[2:3]
	v_cmp_lt_u32_e32 vcc, v31, v50
	s_and_saveexec_b64 s[2:3], vcc
	s_cbranch_execnz .LBB3125_205
.LBB3125_162:
	s_or_b64 exec, exec, s[2:3]
	v_cmp_lt_u32_e32 vcc, v29, v50
	s_and_saveexec_b64 s[2:3], vcc
	s_cbranch_execnz .LBB3125_206
.LBB3125_163:
	s_or_b64 exec, exec, s[2:3]
	v_cmp_lt_u32_e32 vcc, v27, v50
	s_and_saveexec_b64 s[2:3], vcc
	s_cbranch_execnz .LBB3125_207
.LBB3125_164:
	s_or_b64 exec, exec, s[2:3]
	v_cmp_lt_u32_e32 vcc, v25, v50
	s_and_saveexec_b64 s[2:3], vcc
	s_cbranch_execnz .LBB3125_208
.LBB3125_165:
	s_or_b64 exec, exec, s[2:3]
	v_cmp_lt_u32_e32 vcc, v23, v50
	s_and_saveexec_b64 s[2:3], vcc
	s_cbranch_execnz .LBB3125_209
.LBB3125_166:
	s_or_b64 exec, exec, s[2:3]
	v_cmp_lt_u32_e32 vcc, v21, v50
	s_and_saveexec_b64 s[2:3], vcc
	s_cbranch_execnz .LBB3125_210
.LBB3125_167:
	s_or_b64 exec, exec, s[2:3]
	v_cmp_lt_u32_e32 vcc, v19, v50
	s_and_saveexec_b64 s[2:3], vcc
	s_cbranch_execnz .LBB3125_211
.LBB3125_168:
	s_or_b64 exec, exec, s[2:3]
	v_cmp_lt_u32_e32 vcc, v15, v50
	s_and_saveexec_b64 s[2:3], vcc
	s_cbranch_execnz .LBB3125_212
.LBB3125_169:
	s_or_b64 exec, exec, s[2:3]
	v_cmp_lt_u32_e32 vcc, v12, v50
	s_and_saveexec_b64 s[2:3], vcc
	s_cbranch_execnz .LBB3125_213
.LBB3125_170:
	s_or_b64 exec, exec, s[2:3]
	v_cmp_lt_u32_e32 vcc, v9, v50
	s_and_saveexec_b64 s[2:3], vcc
	s_cbranch_execz .LBB3125_172
.LBB3125_171:
	v_lshlrev_b32_e32 v0, 1, v9
	v_readfirstlane_b32 s4, v2
	v_readfirstlane_b32 s5, v3
	s_waitcnt lgkmcnt(1)
	s_nop 3
	global_store_short v0, v8, s[4:5]
.LBB3125_172:
	s_or_b64 exec, exec, s[2:3]
	v_cmp_lt_u32_e64 s[2:3], v7, v50
.LBB3125_173:
	s_and_saveexec_b64 s[4:5], s[2:3]
	s_cbranch_execnz .LBB3125_176
; %bb.174:
	s_or_b64 exec, exec, s[4:5]
	s_and_b64 s[0:1], s[0:1], s[18:19]
	s_and_saveexec_b64 s[2:3], s[0:1]
	s_cbranch_execnz .LBB3125_177
.LBB3125_175:
	s_endpgm
.LBB3125_176:
	v_lshlrev_b32_e32 v0, 1, v7
	v_readfirstlane_b32 s2, v2
	v_readfirstlane_b32 s3, v3
	s_waitcnt lgkmcnt(0)
	s_nop 3
	global_store_short v0, v6, s[2:3]
	s_or_b64 exec, exec, s[4:5]
	s_and_b64 s[0:1], s[0:1], s[18:19]
	s_and_saveexec_b64 s[2:3], s[0:1]
	s_cbranch_execz .LBB3125_175
.LBB3125_177:
	v_add_co_u32_e32 v0, vcc, v10, v14
	v_addc_co_u32_e32 v1, vcc, 0, v11, vcc
	v_add_co_u32_e32 v0, vcc, v0, v16
	v_mov_b32_e32 v2, 0
	v_addc_co_u32_e32 v1, vcc, 0, v1, vcc
	global_store_dwordx2 v2, v[0:1], s[20:21]
	s_endpgm
.LBB3125_178:
	v_readfirstlane_b32 s4, v2
	v_readfirstlane_b32 s5, v3
	s_waitcnt lgkmcnt(14)
	s_nop 3
	global_store_short v1, v49, s[4:5]
	s_or_b64 exec, exec, s[2:3]
	v_cmp_lt_u32_e32 vcc, v47, v14
	s_and_saveexec_b64 s[2:3], vcc
	s_cbranch_execz .LBB3125_132
.LBB3125_179:
	v_readfirstlane_b32 s4, v2
	v_readfirstlane_b32 s5, v3
	s_waitcnt lgkmcnt(14)
	s_nop 3
	global_store_short v1, v48, s[4:5] offset:512
	s_or_b64 exec, exec, s[2:3]
	v_cmp_lt_u32_e32 vcc, v45, v14
	s_and_saveexec_b64 s[2:3], vcc
	s_cbranch_execz .LBB3125_133
.LBB3125_180:
	v_readfirstlane_b32 s4, v2
	v_readfirstlane_b32 s5, v3
	s_waitcnt lgkmcnt(14)
	s_nop 3
	global_store_short v1, v46, s[4:5] offset:1024
	s_or_b64 exec, exec, s[2:3]
	v_cmp_lt_u32_e32 vcc, v43, v14
	s_and_saveexec_b64 s[2:3], vcc
	s_cbranch_execz .LBB3125_134
.LBB3125_181:
	v_readfirstlane_b32 s4, v2
	v_readfirstlane_b32 s5, v3
	s_waitcnt lgkmcnt(14)
	s_nop 3
	global_store_short v1, v44, s[4:5] offset:1536
	s_or_b64 exec, exec, s[2:3]
	v_cmp_lt_u32_e32 vcc, v41, v14
	s_and_saveexec_b64 s[2:3], vcc
	s_cbranch_execz .LBB3125_135
.LBB3125_182:
	v_readfirstlane_b32 s4, v2
	v_readfirstlane_b32 s5, v3
	s_waitcnt lgkmcnt(14)
	s_nop 3
	global_store_short v1, v42, s[4:5] offset:2048
	s_or_b64 exec, exec, s[2:3]
	v_cmp_lt_u32_e32 vcc, v40, v14
	s_and_saveexec_b64 s[2:3], vcc
	s_cbranch_execz .LBB3125_136
.LBB3125_183:
	v_readfirstlane_b32 s4, v2
	v_readfirstlane_b32 s5, v3
	s_waitcnt lgkmcnt(14)
	s_nop 3
	global_store_short v1, v39, s[4:5] offset:2560
	s_or_b64 exec, exec, s[2:3]
	v_cmp_lt_u32_e32 vcc, v38, v14
	s_and_saveexec_b64 s[2:3], vcc
	s_cbranch_execz .LBB3125_137
.LBB3125_184:
	v_readfirstlane_b32 s4, v2
	v_readfirstlane_b32 s5, v3
	s_waitcnt lgkmcnt(13)
	s_nop 3
	global_store_short v1, v37, s[4:5] offset:3072
	s_or_b64 exec, exec, s[2:3]
	v_cmp_lt_u32_e32 vcc, v36, v14
	s_and_saveexec_b64 s[2:3], vcc
	s_cbranch_execz .LBB3125_138
.LBB3125_185:
	v_readfirstlane_b32 s4, v2
	v_readfirstlane_b32 s5, v3
	s_waitcnt lgkmcnt(12)
	s_nop 3
	global_store_short v1, v34, s[4:5] offset:3584
	s_or_b64 exec, exec, s[2:3]
	v_cmp_lt_u32_e32 vcc, v33, v14
	s_and_saveexec_b64 s[2:3], vcc
	s_cbranch_execz .LBB3125_139
.LBB3125_186:
	v_lshlrev_b32_e32 v17, 1, v33
	v_readfirstlane_b32 s4, v2
	v_readfirstlane_b32 s5, v3
	s_waitcnt lgkmcnt(11)
	s_nop 3
	global_store_short v17, v35, s[4:5]
	s_or_b64 exec, exec, s[2:3]
	v_cmp_lt_u32_e32 vcc, v31, v14
	s_and_saveexec_b64 s[2:3], vcc
	s_cbranch_execz .LBB3125_140
.LBB3125_187:
	v_lshlrev_b32_e32 v17, 1, v31
	v_readfirstlane_b32 s4, v2
	v_readfirstlane_b32 s5, v3
	s_waitcnt lgkmcnt(10)
	s_nop 3
	global_store_short v17, v32, s[4:5]
	s_or_b64 exec, exec, s[2:3]
	v_cmp_lt_u32_e32 vcc, v29, v14
	s_and_saveexec_b64 s[2:3], vcc
	s_cbranch_execz .LBB3125_141
.LBB3125_188:
	v_lshlrev_b32_e32 v17, 1, v29
	v_readfirstlane_b32 s4, v2
	v_readfirstlane_b32 s5, v3
	s_waitcnt lgkmcnt(9)
	s_nop 3
	global_store_short v17, v30, s[4:5]
	s_or_b64 exec, exec, s[2:3]
	v_cmp_lt_u32_e32 vcc, v27, v14
	s_and_saveexec_b64 s[2:3], vcc
	s_cbranch_execz .LBB3125_142
.LBB3125_189:
	v_lshlrev_b32_e32 v17, 1, v27
	v_readfirstlane_b32 s4, v2
	v_readfirstlane_b32 s5, v3
	s_waitcnt lgkmcnt(8)
	s_nop 3
	global_store_short v17, v28, s[4:5]
	s_or_b64 exec, exec, s[2:3]
	v_cmp_lt_u32_e32 vcc, v25, v14
	s_and_saveexec_b64 s[2:3], vcc
	s_cbranch_execz .LBB3125_143
.LBB3125_190:
	v_lshlrev_b32_e32 v17, 1, v25
	v_readfirstlane_b32 s4, v2
	v_readfirstlane_b32 s5, v3
	s_waitcnt lgkmcnt(7)
	s_nop 3
	global_store_short v17, v26, s[4:5]
	s_or_b64 exec, exec, s[2:3]
	v_cmp_lt_u32_e32 vcc, v23, v14
	s_and_saveexec_b64 s[2:3], vcc
	s_cbranch_execz .LBB3125_144
.LBB3125_191:
	v_lshlrev_b32_e32 v17, 1, v23
	v_readfirstlane_b32 s4, v2
	v_readfirstlane_b32 s5, v3
	s_waitcnt lgkmcnt(6)
	s_nop 3
	global_store_short v17, v24, s[4:5]
	s_or_b64 exec, exec, s[2:3]
	v_cmp_lt_u32_e32 vcc, v21, v14
	s_and_saveexec_b64 s[2:3], vcc
	s_cbranch_execz .LBB3125_145
.LBB3125_192:
	v_lshlrev_b32_e32 v17, 1, v21
	v_readfirstlane_b32 s4, v2
	v_readfirstlane_b32 s5, v3
	s_waitcnt lgkmcnt(5)
	s_nop 3
	global_store_short v17, v22, s[4:5]
	s_or_b64 exec, exec, s[2:3]
	v_cmp_lt_u32_e32 vcc, v19, v14
	s_and_saveexec_b64 s[2:3], vcc
	s_cbranch_execz .LBB3125_146
.LBB3125_193:
	v_lshlrev_b32_e32 v17, 1, v19
	v_readfirstlane_b32 s4, v2
	v_readfirstlane_b32 s5, v3
	s_waitcnt lgkmcnt(4)
	s_nop 3
	global_store_short v17, v20, s[4:5]
	s_or_b64 exec, exec, s[2:3]
	v_cmp_lt_u32_e32 vcc, v15, v14
	s_and_saveexec_b64 s[2:3], vcc
	s_cbranch_execz .LBB3125_147
.LBB3125_194:
	v_lshlrev_b32_e32 v17, 1, v15
	v_readfirstlane_b32 s4, v2
	v_readfirstlane_b32 s5, v3
	s_waitcnt lgkmcnt(3)
	s_nop 3
	global_store_short v17, v18, s[4:5]
	s_or_b64 exec, exec, s[2:3]
	v_cmp_lt_u32_e32 vcc, v12, v14
	s_and_saveexec_b64 s[2:3], vcc
	s_cbranch_execz .LBB3125_148
.LBB3125_195:
	v_lshlrev_b32_e32 v17, 1, v12
	v_readfirstlane_b32 s4, v2
	v_readfirstlane_b32 s5, v3
	s_waitcnt lgkmcnt(2)
	s_nop 3
	global_store_short v17, v13, s[4:5]
	s_or_b64 exec, exec, s[2:3]
	v_cmp_lt_u32_e32 vcc, v9, v14
	s_and_saveexec_b64 s[2:3], vcc
	s_cbranch_execnz .LBB3125_149
	s_branch .LBB3125_150
.LBB3125_196:
	v_readfirstlane_b32 s4, v2
	v_readfirstlane_b32 s5, v3
	s_waitcnt lgkmcnt(14)
	s_nop 3
	global_store_short v1, v49, s[4:5]
	s_or_b64 exec, exec, s[2:3]
	v_cmp_lt_u32_e32 vcc, v47, v50
	s_and_saveexec_b64 s[2:3], vcc
	s_cbranch_execz .LBB3125_154
.LBB3125_197:
	v_readfirstlane_b32 s4, v2
	v_readfirstlane_b32 s5, v3
	s_waitcnt lgkmcnt(14)
	s_nop 3
	global_store_short v1, v48, s[4:5] offset:512
	s_or_b64 exec, exec, s[2:3]
	v_cmp_lt_u32_e32 vcc, v45, v50
	s_and_saveexec_b64 s[2:3], vcc
	s_cbranch_execz .LBB3125_155
.LBB3125_198:
	v_readfirstlane_b32 s4, v2
	v_readfirstlane_b32 s5, v3
	s_waitcnt lgkmcnt(14)
	s_nop 3
	global_store_short v1, v46, s[4:5] offset:1024
	s_or_b64 exec, exec, s[2:3]
	v_cmp_lt_u32_e32 vcc, v43, v50
	s_and_saveexec_b64 s[2:3], vcc
	s_cbranch_execz .LBB3125_156
.LBB3125_199:
	v_readfirstlane_b32 s4, v2
	v_readfirstlane_b32 s5, v3
	s_waitcnt lgkmcnt(14)
	s_nop 3
	global_store_short v1, v44, s[4:5] offset:1536
	s_or_b64 exec, exec, s[2:3]
	v_cmp_lt_u32_e32 vcc, v41, v50
	s_and_saveexec_b64 s[2:3], vcc
	s_cbranch_execz .LBB3125_157
.LBB3125_200:
	v_readfirstlane_b32 s4, v2
	v_readfirstlane_b32 s5, v3
	s_waitcnt lgkmcnt(14)
	s_nop 3
	global_store_short v1, v42, s[4:5] offset:2048
	s_or_b64 exec, exec, s[2:3]
	v_cmp_lt_u32_e32 vcc, v40, v50
	s_and_saveexec_b64 s[2:3], vcc
	s_cbranch_execz .LBB3125_158
.LBB3125_201:
	v_readfirstlane_b32 s4, v2
	v_readfirstlane_b32 s5, v3
	s_waitcnt lgkmcnt(14)
	s_nop 3
	global_store_short v1, v39, s[4:5] offset:2560
	s_or_b64 exec, exec, s[2:3]
	v_cmp_lt_u32_e32 vcc, v38, v50
	s_and_saveexec_b64 s[2:3], vcc
	s_cbranch_execz .LBB3125_159
.LBB3125_202:
	v_readfirstlane_b32 s4, v2
	v_readfirstlane_b32 s5, v3
	s_waitcnt lgkmcnt(13)
	s_nop 3
	global_store_short v1, v37, s[4:5] offset:3072
	s_or_b64 exec, exec, s[2:3]
	v_cmp_lt_u32_e32 vcc, v36, v50
	s_and_saveexec_b64 s[2:3], vcc
	s_cbranch_execz .LBB3125_160
.LBB3125_203:
	v_readfirstlane_b32 s4, v2
	v_readfirstlane_b32 s5, v3
	s_waitcnt lgkmcnt(12)
	s_nop 3
	global_store_short v1, v34, s[4:5] offset:3584
	s_or_b64 exec, exec, s[2:3]
	v_cmp_lt_u32_e32 vcc, v33, v50
	s_and_saveexec_b64 s[2:3], vcc
	s_cbranch_execz .LBB3125_161
.LBB3125_204:
	v_lshlrev_b32_e32 v0, 1, v33
	v_readfirstlane_b32 s4, v2
	v_readfirstlane_b32 s5, v3
	s_waitcnt lgkmcnt(11)
	s_nop 3
	global_store_short v0, v35, s[4:5]
	s_or_b64 exec, exec, s[2:3]
	v_cmp_lt_u32_e32 vcc, v31, v50
	s_and_saveexec_b64 s[2:3], vcc
	s_cbranch_execz .LBB3125_162
.LBB3125_205:
	v_lshlrev_b32_e32 v0, 1, v31
	v_readfirstlane_b32 s4, v2
	v_readfirstlane_b32 s5, v3
	s_waitcnt lgkmcnt(10)
	s_nop 3
	global_store_short v0, v32, s[4:5]
	s_or_b64 exec, exec, s[2:3]
	v_cmp_lt_u32_e32 vcc, v29, v50
	s_and_saveexec_b64 s[2:3], vcc
	s_cbranch_execz .LBB3125_163
.LBB3125_206:
	v_lshlrev_b32_e32 v0, 1, v29
	v_readfirstlane_b32 s4, v2
	v_readfirstlane_b32 s5, v3
	s_waitcnt lgkmcnt(9)
	s_nop 3
	global_store_short v0, v30, s[4:5]
	s_or_b64 exec, exec, s[2:3]
	v_cmp_lt_u32_e32 vcc, v27, v50
	s_and_saveexec_b64 s[2:3], vcc
	s_cbranch_execz .LBB3125_164
.LBB3125_207:
	v_lshlrev_b32_e32 v0, 1, v27
	v_readfirstlane_b32 s4, v2
	v_readfirstlane_b32 s5, v3
	s_waitcnt lgkmcnt(8)
	s_nop 3
	global_store_short v0, v28, s[4:5]
	s_or_b64 exec, exec, s[2:3]
	v_cmp_lt_u32_e32 vcc, v25, v50
	s_and_saveexec_b64 s[2:3], vcc
	s_cbranch_execz .LBB3125_165
.LBB3125_208:
	v_lshlrev_b32_e32 v0, 1, v25
	v_readfirstlane_b32 s4, v2
	v_readfirstlane_b32 s5, v3
	s_waitcnt lgkmcnt(7)
	s_nop 3
	global_store_short v0, v26, s[4:5]
	s_or_b64 exec, exec, s[2:3]
	v_cmp_lt_u32_e32 vcc, v23, v50
	s_and_saveexec_b64 s[2:3], vcc
	s_cbranch_execz .LBB3125_166
.LBB3125_209:
	v_lshlrev_b32_e32 v0, 1, v23
	v_readfirstlane_b32 s4, v2
	v_readfirstlane_b32 s5, v3
	s_waitcnt lgkmcnt(6)
	s_nop 3
	global_store_short v0, v24, s[4:5]
	s_or_b64 exec, exec, s[2:3]
	v_cmp_lt_u32_e32 vcc, v21, v50
	s_and_saveexec_b64 s[2:3], vcc
	s_cbranch_execz .LBB3125_167
.LBB3125_210:
	v_lshlrev_b32_e32 v0, 1, v21
	v_readfirstlane_b32 s4, v2
	v_readfirstlane_b32 s5, v3
	s_waitcnt lgkmcnt(5)
	s_nop 3
	global_store_short v0, v22, s[4:5]
	s_or_b64 exec, exec, s[2:3]
	v_cmp_lt_u32_e32 vcc, v19, v50
	s_and_saveexec_b64 s[2:3], vcc
	s_cbranch_execz .LBB3125_168
.LBB3125_211:
	v_lshlrev_b32_e32 v0, 1, v19
	v_readfirstlane_b32 s4, v2
	v_readfirstlane_b32 s5, v3
	s_waitcnt lgkmcnt(4)
	s_nop 3
	global_store_short v0, v20, s[4:5]
	s_or_b64 exec, exec, s[2:3]
	v_cmp_lt_u32_e32 vcc, v15, v50
	s_and_saveexec_b64 s[2:3], vcc
	s_cbranch_execz .LBB3125_169
.LBB3125_212:
	v_lshlrev_b32_e32 v0, 1, v15
	v_readfirstlane_b32 s4, v2
	v_readfirstlane_b32 s5, v3
	s_waitcnt lgkmcnt(3)
	s_nop 3
	global_store_short v0, v18, s[4:5]
	s_or_b64 exec, exec, s[2:3]
	v_cmp_lt_u32_e32 vcc, v12, v50
	s_and_saveexec_b64 s[2:3], vcc
	s_cbranch_execz .LBB3125_170
.LBB3125_213:
	v_lshlrev_b32_e32 v0, 1, v12
	v_readfirstlane_b32 s4, v2
	v_readfirstlane_b32 s5, v3
	s_waitcnt lgkmcnt(2)
	s_nop 3
	global_store_short v0, v13, s[4:5]
	s_or_b64 exec, exec, s[2:3]
	v_cmp_lt_u32_e32 vcc, v9, v50
	s_and_saveexec_b64 s[2:3], vcc
	s_cbranch_execnz .LBB3125_171
	s_branch .LBB3125_172
	.section	.rodata,"a",@progbits
	.p2align	6, 0x0
	.amdhsa_kernel _ZN7rocprim17ROCPRIM_400000_NS6detail17trampoline_kernelINS0_14default_configENS1_25partition_config_selectorILNS1_17partition_subalgoE1EtNS0_10empty_typeEbEEZZNS1_14partition_implILS5_1ELb0ES3_jN6thrust23THRUST_200600_302600_NS6detail15normal_iteratorINSA_10device_ptrItEEEEPS6_NSA_18transform_iteratorI7is_evenItESF_NSA_11use_defaultESK_EENS0_5tupleIJSF_NSA_16discard_iteratorISK_EEEEENSM_IJSG_SG_EEES6_PlJS6_EEE10hipError_tPvRmT3_T4_T5_T6_T7_T9_mT8_P12ihipStream_tbDpT10_ENKUlT_T0_E_clISt17integral_constantIbLb0EES1A_IbLb1EEEEDaS16_S17_EUlS16_E_NS1_11comp_targetILNS1_3genE4ELNS1_11target_archE910ELNS1_3gpuE8ELNS1_3repE0EEENS1_30default_config_static_selectorELNS0_4arch9wavefront6targetE1EEEvT1_
		.amdhsa_group_segment_fixed_size 10248
		.amdhsa_private_segment_fixed_size 0
		.amdhsa_kernarg_size 152
		.amdhsa_user_sgpr_count 6
		.amdhsa_user_sgpr_private_segment_buffer 1
		.amdhsa_user_sgpr_dispatch_ptr 0
		.amdhsa_user_sgpr_queue_ptr 0
		.amdhsa_user_sgpr_kernarg_segment_ptr 1
		.amdhsa_user_sgpr_dispatch_id 0
		.amdhsa_user_sgpr_flat_scratch_init 0
		.amdhsa_user_sgpr_kernarg_preload_length 0
		.amdhsa_user_sgpr_kernarg_preload_offset 0
		.amdhsa_user_sgpr_private_segment_size 0
		.amdhsa_uses_dynamic_stack 0
		.amdhsa_system_sgpr_private_segment_wavefront_offset 0
		.amdhsa_system_sgpr_workgroup_id_x 1
		.amdhsa_system_sgpr_workgroup_id_y 0
		.amdhsa_system_sgpr_workgroup_id_z 0
		.amdhsa_system_sgpr_workgroup_info 0
		.amdhsa_system_vgpr_workitem_id 0
		.amdhsa_next_free_vgpr 67
		.amdhsa_next_free_sgpr 40
		.amdhsa_accum_offset 68
		.amdhsa_reserve_vcc 1
		.amdhsa_reserve_flat_scratch 0
		.amdhsa_float_round_mode_32 0
		.amdhsa_float_round_mode_16_64 0
		.amdhsa_float_denorm_mode_32 3
		.amdhsa_float_denorm_mode_16_64 3
		.amdhsa_dx10_clamp 1
		.amdhsa_ieee_mode 1
		.amdhsa_fp16_overflow 0
		.amdhsa_tg_split 0
		.amdhsa_exception_fp_ieee_invalid_op 0
		.amdhsa_exception_fp_denorm_src 0
		.amdhsa_exception_fp_ieee_div_zero 0
		.amdhsa_exception_fp_ieee_overflow 0
		.amdhsa_exception_fp_ieee_underflow 0
		.amdhsa_exception_fp_ieee_inexact 0
		.amdhsa_exception_int_div_zero 0
	.end_amdhsa_kernel
	.section	.text._ZN7rocprim17ROCPRIM_400000_NS6detail17trampoline_kernelINS0_14default_configENS1_25partition_config_selectorILNS1_17partition_subalgoE1EtNS0_10empty_typeEbEEZZNS1_14partition_implILS5_1ELb0ES3_jN6thrust23THRUST_200600_302600_NS6detail15normal_iteratorINSA_10device_ptrItEEEEPS6_NSA_18transform_iteratorI7is_evenItESF_NSA_11use_defaultESK_EENS0_5tupleIJSF_NSA_16discard_iteratorISK_EEEEENSM_IJSG_SG_EEES6_PlJS6_EEE10hipError_tPvRmT3_T4_T5_T6_T7_T9_mT8_P12ihipStream_tbDpT10_ENKUlT_T0_E_clISt17integral_constantIbLb0EES1A_IbLb1EEEEDaS16_S17_EUlS16_E_NS1_11comp_targetILNS1_3genE4ELNS1_11target_archE910ELNS1_3gpuE8ELNS1_3repE0EEENS1_30default_config_static_selectorELNS0_4arch9wavefront6targetE1EEEvT1_,"axG",@progbits,_ZN7rocprim17ROCPRIM_400000_NS6detail17trampoline_kernelINS0_14default_configENS1_25partition_config_selectorILNS1_17partition_subalgoE1EtNS0_10empty_typeEbEEZZNS1_14partition_implILS5_1ELb0ES3_jN6thrust23THRUST_200600_302600_NS6detail15normal_iteratorINSA_10device_ptrItEEEEPS6_NSA_18transform_iteratorI7is_evenItESF_NSA_11use_defaultESK_EENS0_5tupleIJSF_NSA_16discard_iteratorISK_EEEEENSM_IJSG_SG_EEES6_PlJS6_EEE10hipError_tPvRmT3_T4_T5_T6_T7_T9_mT8_P12ihipStream_tbDpT10_ENKUlT_T0_E_clISt17integral_constantIbLb0EES1A_IbLb1EEEEDaS16_S17_EUlS16_E_NS1_11comp_targetILNS1_3genE4ELNS1_11target_archE910ELNS1_3gpuE8ELNS1_3repE0EEENS1_30default_config_static_selectorELNS0_4arch9wavefront6targetE1EEEvT1_,comdat
.Lfunc_end3125:
	.size	_ZN7rocprim17ROCPRIM_400000_NS6detail17trampoline_kernelINS0_14default_configENS1_25partition_config_selectorILNS1_17partition_subalgoE1EtNS0_10empty_typeEbEEZZNS1_14partition_implILS5_1ELb0ES3_jN6thrust23THRUST_200600_302600_NS6detail15normal_iteratorINSA_10device_ptrItEEEEPS6_NSA_18transform_iteratorI7is_evenItESF_NSA_11use_defaultESK_EENS0_5tupleIJSF_NSA_16discard_iteratorISK_EEEEENSM_IJSG_SG_EEES6_PlJS6_EEE10hipError_tPvRmT3_T4_T5_T6_T7_T9_mT8_P12ihipStream_tbDpT10_ENKUlT_T0_E_clISt17integral_constantIbLb0EES1A_IbLb1EEEEDaS16_S17_EUlS16_E_NS1_11comp_targetILNS1_3genE4ELNS1_11target_archE910ELNS1_3gpuE8ELNS1_3repE0EEENS1_30default_config_static_selectorELNS0_4arch9wavefront6targetE1EEEvT1_, .Lfunc_end3125-_ZN7rocprim17ROCPRIM_400000_NS6detail17trampoline_kernelINS0_14default_configENS1_25partition_config_selectorILNS1_17partition_subalgoE1EtNS0_10empty_typeEbEEZZNS1_14partition_implILS5_1ELb0ES3_jN6thrust23THRUST_200600_302600_NS6detail15normal_iteratorINSA_10device_ptrItEEEEPS6_NSA_18transform_iteratorI7is_evenItESF_NSA_11use_defaultESK_EENS0_5tupleIJSF_NSA_16discard_iteratorISK_EEEEENSM_IJSG_SG_EEES6_PlJS6_EEE10hipError_tPvRmT3_T4_T5_T6_T7_T9_mT8_P12ihipStream_tbDpT10_ENKUlT_T0_E_clISt17integral_constantIbLb0EES1A_IbLb1EEEEDaS16_S17_EUlS16_E_NS1_11comp_targetILNS1_3genE4ELNS1_11target_archE910ELNS1_3gpuE8ELNS1_3repE0EEENS1_30default_config_static_selectorELNS0_4arch9wavefront6targetE1EEEvT1_
                                        ; -- End function
	.section	.AMDGPU.csdata,"",@progbits
; Kernel info:
; codeLenInByte = 9376
; NumSgprs: 44
; NumVgprs: 67
; NumAgprs: 0
; TotalNumVgprs: 67
; ScratchSize: 0
; MemoryBound: 0
; FloatMode: 240
; IeeeMode: 1
; LDSByteSize: 10248 bytes/workgroup (compile time only)
; SGPRBlocks: 5
; VGPRBlocks: 8
; NumSGPRsForWavesPerEU: 44
; NumVGPRsForWavesPerEU: 67
; AccumOffset: 68
; Occupancy: 6
; WaveLimiterHint : 1
; COMPUTE_PGM_RSRC2:SCRATCH_EN: 0
; COMPUTE_PGM_RSRC2:USER_SGPR: 6
; COMPUTE_PGM_RSRC2:TRAP_HANDLER: 0
; COMPUTE_PGM_RSRC2:TGID_X_EN: 1
; COMPUTE_PGM_RSRC2:TGID_Y_EN: 0
; COMPUTE_PGM_RSRC2:TGID_Z_EN: 0
; COMPUTE_PGM_RSRC2:TIDIG_COMP_CNT: 0
; COMPUTE_PGM_RSRC3_GFX90A:ACCUM_OFFSET: 16
; COMPUTE_PGM_RSRC3_GFX90A:TG_SPLIT: 0
	.section	.text._ZN7rocprim17ROCPRIM_400000_NS6detail17trampoline_kernelINS0_14default_configENS1_25partition_config_selectorILNS1_17partition_subalgoE1EtNS0_10empty_typeEbEEZZNS1_14partition_implILS5_1ELb0ES3_jN6thrust23THRUST_200600_302600_NS6detail15normal_iteratorINSA_10device_ptrItEEEEPS6_NSA_18transform_iteratorI7is_evenItESF_NSA_11use_defaultESK_EENS0_5tupleIJSF_NSA_16discard_iteratorISK_EEEEENSM_IJSG_SG_EEES6_PlJS6_EEE10hipError_tPvRmT3_T4_T5_T6_T7_T9_mT8_P12ihipStream_tbDpT10_ENKUlT_T0_E_clISt17integral_constantIbLb0EES1A_IbLb1EEEEDaS16_S17_EUlS16_E_NS1_11comp_targetILNS1_3genE3ELNS1_11target_archE908ELNS1_3gpuE7ELNS1_3repE0EEENS1_30default_config_static_selectorELNS0_4arch9wavefront6targetE1EEEvT1_,"axG",@progbits,_ZN7rocprim17ROCPRIM_400000_NS6detail17trampoline_kernelINS0_14default_configENS1_25partition_config_selectorILNS1_17partition_subalgoE1EtNS0_10empty_typeEbEEZZNS1_14partition_implILS5_1ELb0ES3_jN6thrust23THRUST_200600_302600_NS6detail15normal_iteratorINSA_10device_ptrItEEEEPS6_NSA_18transform_iteratorI7is_evenItESF_NSA_11use_defaultESK_EENS0_5tupleIJSF_NSA_16discard_iteratorISK_EEEEENSM_IJSG_SG_EEES6_PlJS6_EEE10hipError_tPvRmT3_T4_T5_T6_T7_T9_mT8_P12ihipStream_tbDpT10_ENKUlT_T0_E_clISt17integral_constantIbLb0EES1A_IbLb1EEEEDaS16_S17_EUlS16_E_NS1_11comp_targetILNS1_3genE3ELNS1_11target_archE908ELNS1_3gpuE7ELNS1_3repE0EEENS1_30default_config_static_selectorELNS0_4arch9wavefront6targetE1EEEvT1_,comdat
	.protected	_ZN7rocprim17ROCPRIM_400000_NS6detail17trampoline_kernelINS0_14default_configENS1_25partition_config_selectorILNS1_17partition_subalgoE1EtNS0_10empty_typeEbEEZZNS1_14partition_implILS5_1ELb0ES3_jN6thrust23THRUST_200600_302600_NS6detail15normal_iteratorINSA_10device_ptrItEEEEPS6_NSA_18transform_iteratorI7is_evenItESF_NSA_11use_defaultESK_EENS0_5tupleIJSF_NSA_16discard_iteratorISK_EEEEENSM_IJSG_SG_EEES6_PlJS6_EEE10hipError_tPvRmT3_T4_T5_T6_T7_T9_mT8_P12ihipStream_tbDpT10_ENKUlT_T0_E_clISt17integral_constantIbLb0EES1A_IbLb1EEEEDaS16_S17_EUlS16_E_NS1_11comp_targetILNS1_3genE3ELNS1_11target_archE908ELNS1_3gpuE7ELNS1_3repE0EEENS1_30default_config_static_selectorELNS0_4arch9wavefront6targetE1EEEvT1_ ; -- Begin function _ZN7rocprim17ROCPRIM_400000_NS6detail17trampoline_kernelINS0_14default_configENS1_25partition_config_selectorILNS1_17partition_subalgoE1EtNS0_10empty_typeEbEEZZNS1_14partition_implILS5_1ELb0ES3_jN6thrust23THRUST_200600_302600_NS6detail15normal_iteratorINSA_10device_ptrItEEEEPS6_NSA_18transform_iteratorI7is_evenItESF_NSA_11use_defaultESK_EENS0_5tupleIJSF_NSA_16discard_iteratorISK_EEEEENSM_IJSG_SG_EEES6_PlJS6_EEE10hipError_tPvRmT3_T4_T5_T6_T7_T9_mT8_P12ihipStream_tbDpT10_ENKUlT_T0_E_clISt17integral_constantIbLb0EES1A_IbLb1EEEEDaS16_S17_EUlS16_E_NS1_11comp_targetILNS1_3genE3ELNS1_11target_archE908ELNS1_3gpuE7ELNS1_3repE0EEENS1_30default_config_static_selectorELNS0_4arch9wavefront6targetE1EEEvT1_
	.globl	_ZN7rocprim17ROCPRIM_400000_NS6detail17trampoline_kernelINS0_14default_configENS1_25partition_config_selectorILNS1_17partition_subalgoE1EtNS0_10empty_typeEbEEZZNS1_14partition_implILS5_1ELb0ES3_jN6thrust23THRUST_200600_302600_NS6detail15normal_iteratorINSA_10device_ptrItEEEEPS6_NSA_18transform_iteratorI7is_evenItESF_NSA_11use_defaultESK_EENS0_5tupleIJSF_NSA_16discard_iteratorISK_EEEEENSM_IJSG_SG_EEES6_PlJS6_EEE10hipError_tPvRmT3_T4_T5_T6_T7_T9_mT8_P12ihipStream_tbDpT10_ENKUlT_T0_E_clISt17integral_constantIbLb0EES1A_IbLb1EEEEDaS16_S17_EUlS16_E_NS1_11comp_targetILNS1_3genE3ELNS1_11target_archE908ELNS1_3gpuE7ELNS1_3repE0EEENS1_30default_config_static_selectorELNS0_4arch9wavefront6targetE1EEEvT1_
	.p2align	8
	.type	_ZN7rocprim17ROCPRIM_400000_NS6detail17trampoline_kernelINS0_14default_configENS1_25partition_config_selectorILNS1_17partition_subalgoE1EtNS0_10empty_typeEbEEZZNS1_14partition_implILS5_1ELb0ES3_jN6thrust23THRUST_200600_302600_NS6detail15normal_iteratorINSA_10device_ptrItEEEEPS6_NSA_18transform_iteratorI7is_evenItESF_NSA_11use_defaultESK_EENS0_5tupleIJSF_NSA_16discard_iteratorISK_EEEEENSM_IJSG_SG_EEES6_PlJS6_EEE10hipError_tPvRmT3_T4_T5_T6_T7_T9_mT8_P12ihipStream_tbDpT10_ENKUlT_T0_E_clISt17integral_constantIbLb0EES1A_IbLb1EEEEDaS16_S17_EUlS16_E_NS1_11comp_targetILNS1_3genE3ELNS1_11target_archE908ELNS1_3gpuE7ELNS1_3repE0EEENS1_30default_config_static_selectorELNS0_4arch9wavefront6targetE1EEEvT1_,@function
_ZN7rocprim17ROCPRIM_400000_NS6detail17trampoline_kernelINS0_14default_configENS1_25partition_config_selectorILNS1_17partition_subalgoE1EtNS0_10empty_typeEbEEZZNS1_14partition_implILS5_1ELb0ES3_jN6thrust23THRUST_200600_302600_NS6detail15normal_iteratorINSA_10device_ptrItEEEEPS6_NSA_18transform_iteratorI7is_evenItESF_NSA_11use_defaultESK_EENS0_5tupleIJSF_NSA_16discard_iteratorISK_EEEEENSM_IJSG_SG_EEES6_PlJS6_EEE10hipError_tPvRmT3_T4_T5_T6_T7_T9_mT8_P12ihipStream_tbDpT10_ENKUlT_T0_E_clISt17integral_constantIbLb0EES1A_IbLb1EEEEDaS16_S17_EUlS16_E_NS1_11comp_targetILNS1_3genE3ELNS1_11target_archE908ELNS1_3gpuE7ELNS1_3repE0EEENS1_30default_config_static_selectorELNS0_4arch9wavefront6targetE1EEEvT1_: ; @_ZN7rocprim17ROCPRIM_400000_NS6detail17trampoline_kernelINS0_14default_configENS1_25partition_config_selectorILNS1_17partition_subalgoE1EtNS0_10empty_typeEbEEZZNS1_14partition_implILS5_1ELb0ES3_jN6thrust23THRUST_200600_302600_NS6detail15normal_iteratorINSA_10device_ptrItEEEEPS6_NSA_18transform_iteratorI7is_evenItESF_NSA_11use_defaultESK_EENS0_5tupleIJSF_NSA_16discard_iteratorISK_EEEEENSM_IJSG_SG_EEES6_PlJS6_EEE10hipError_tPvRmT3_T4_T5_T6_T7_T9_mT8_P12ihipStream_tbDpT10_ENKUlT_T0_E_clISt17integral_constantIbLb0EES1A_IbLb1EEEEDaS16_S17_EUlS16_E_NS1_11comp_targetILNS1_3genE3ELNS1_11target_archE908ELNS1_3gpuE7ELNS1_3repE0EEENS1_30default_config_static_selectorELNS0_4arch9wavefront6targetE1EEEvT1_
; %bb.0:
	.section	.rodata,"a",@progbits
	.p2align	6, 0x0
	.amdhsa_kernel _ZN7rocprim17ROCPRIM_400000_NS6detail17trampoline_kernelINS0_14default_configENS1_25partition_config_selectorILNS1_17partition_subalgoE1EtNS0_10empty_typeEbEEZZNS1_14partition_implILS5_1ELb0ES3_jN6thrust23THRUST_200600_302600_NS6detail15normal_iteratorINSA_10device_ptrItEEEEPS6_NSA_18transform_iteratorI7is_evenItESF_NSA_11use_defaultESK_EENS0_5tupleIJSF_NSA_16discard_iteratorISK_EEEEENSM_IJSG_SG_EEES6_PlJS6_EEE10hipError_tPvRmT3_T4_T5_T6_T7_T9_mT8_P12ihipStream_tbDpT10_ENKUlT_T0_E_clISt17integral_constantIbLb0EES1A_IbLb1EEEEDaS16_S17_EUlS16_E_NS1_11comp_targetILNS1_3genE3ELNS1_11target_archE908ELNS1_3gpuE7ELNS1_3repE0EEENS1_30default_config_static_selectorELNS0_4arch9wavefront6targetE1EEEvT1_
		.amdhsa_group_segment_fixed_size 0
		.amdhsa_private_segment_fixed_size 0
		.amdhsa_kernarg_size 152
		.amdhsa_user_sgpr_count 6
		.amdhsa_user_sgpr_private_segment_buffer 1
		.amdhsa_user_sgpr_dispatch_ptr 0
		.amdhsa_user_sgpr_queue_ptr 0
		.amdhsa_user_sgpr_kernarg_segment_ptr 1
		.amdhsa_user_sgpr_dispatch_id 0
		.amdhsa_user_sgpr_flat_scratch_init 0
		.amdhsa_user_sgpr_kernarg_preload_length 0
		.amdhsa_user_sgpr_kernarg_preload_offset 0
		.amdhsa_user_sgpr_private_segment_size 0
		.amdhsa_uses_dynamic_stack 0
		.amdhsa_system_sgpr_private_segment_wavefront_offset 0
		.amdhsa_system_sgpr_workgroup_id_x 1
		.amdhsa_system_sgpr_workgroup_id_y 0
		.amdhsa_system_sgpr_workgroup_id_z 0
		.amdhsa_system_sgpr_workgroup_info 0
		.amdhsa_system_vgpr_workitem_id 0
		.amdhsa_next_free_vgpr 1
		.amdhsa_next_free_sgpr 0
		.amdhsa_accum_offset 4
		.amdhsa_reserve_vcc 0
		.amdhsa_reserve_flat_scratch 0
		.amdhsa_float_round_mode_32 0
		.amdhsa_float_round_mode_16_64 0
		.amdhsa_float_denorm_mode_32 3
		.amdhsa_float_denorm_mode_16_64 3
		.amdhsa_dx10_clamp 1
		.amdhsa_ieee_mode 1
		.amdhsa_fp16_overflow 0
		.amdhsa_tg_split 0
		.amdhsa_exception_fp_ieee_invalid_op 0
		.amdhsa_exception_fp_denorm_src 0
		.amdhsa_exception_fp_ieee_div_zero 0
		.amdhsa_exception_fp_ieee_overflow 0
		.amdhsa_exception_fp_ieee_underflow 0
		.amdhsa_exception_fp_ieee_inexact 0
		.amdhsa_exception_int_div_zero 0
	.end_amdhsa_kernel
	.section	.text._ZN7rocprim17ROCPRIM_400000_NS6detail17trampoline_kernelINS0_14default_configENS1_25partition_config_selectorILNS1_17partition_subalgoE1EtNS0_10empty_typeEbEEZZNS1_14partition_implILS5_1ELb0ES3_jN6thrust23THRUST_200600_302600_NS6detail15normal_iteratorINSA_10device_ptrItEEEEPS6_NSA_18transform_iteratorI7is_evenItESF_NSA_11use_defaultESK_EENS0_5tupleIJSF_NSA_16discard_iteratorISK_EEEEENSM_IJSG_SG_EEES6_PlJS6_EEE10hipError_tPvRmT3_T4_T5_T6_T7_T9_mT8_P12ihipStream_tbDpT10_ENKUlT_T0_E_clISt17integral_constantIbLb0EES1A_IbLb1EEEEDaS16_S17_EUlS16_E_NS1_11comp_targetILNS1_3genE3ELNS1_11target_archE908ELNS1_3gpuE7ELNS1_3repE0EEENS1_30default_config_static_selectorELNS0_4arch9wavefront6targetE1EEEvT1_,"axG",@progbits,_ZN7rocprim17ROCPRIM_400000_NS6detail17trampoline_kernelINS0_14default_configENS1_25partition_config_selectorILNS1_17partition_subalgoE1EtNS0_10empty_typeEbEEZZNS1_14partition_implILS5_1ELb0ES3_jN6thrust23THRUST_200600_302600_NS6detail15normal_iteratorINSA_10device_ptrItEEEEPS6_NSA_18transform_iteratorI7is_evenItESF_NSA_11use_defaultESK_EENS0_5tupleIJSF_NSA_16discard_iteratorISK_EEEEENSM_IJSG_SG_EEES6_PlJS6_EEE10hipError_tPvRmT3_T4_T5_T6_T7_T9_mT8_P12ihipStream_tbDpT10_ENKUlT_T0_E_clISt17integral_constantIbLb0EES1A_IbLb1EEEEDaS16_S17_EUlS16_E_NS1_11comp_targetILNS1_3genE3ELNS1_11target_archE908ELNS1_3gpuE7ELNS1_3repE0EEENS1_30default_config_static_selectorELNS0_4arch9wavefront6targetE1EEEvT1_,comdat
.Lfunc_end3126:
	.size	_ZN7rocprim17ROCPRIM_400000_NS6detail17trampoline_kernelINS0_14default_configENS1_25partition_config_selectorILNS1_17partition_subalgoE1EtNS0_10empty_typeEbEEZZNS1_14partition_implILS5_1ELb0ES3_jN6thrust23THRUST_200600_302600_NS6detail15normal_iteratorINSA_10device_ptrItEEEEPS6_NSA_18transform_iteratorI7is_evenItESF_NSA_11use_defaultESK_EENS0_5tupleIJSF_NSA_16discard_iteratorISK_EEEEENSM_IJSG_SG_EEES6_PlJS6_EEE10hipError_tPvRmT3_T4_T5_T6_T7_T9_mT8_P12ihipStream_tbDpT10_ENKUlT_T0_E_clISt17integral_constantIbLb0EES1A_IbLb1EEEEDaS16_S17_EUlS16_E_NS1_11comp_targetILNS1_3genE3ELNS1_11target_archE908ELNS1_3gpuE7ELNS1_3repE0EEENS1_30default_config_static_selectorELNS0_4arch9wavefront6targetE1EEEvT1_, .Lfunc_end3126-_ZN7rocprim17ROCPRIM_400000_NS6detail17trampoline_kernelINS0_14default_configENS1_25partition_config_selectorILNS1_17partition_subalgoE1EtNS0_10empty_typeEbEEZZNS1_14partition_implILS5_1ELb0ES3_jN6thrust23THRUST_200600_302600_NS6detail15normal_iteratorINSA_10device_ptrItEEEEPS6_NSA_18transform_iteratorI7is_evenItESF_NSA_11use_defaultESK_EENS0_5tupleIJSF_NSA_16discard_iteratorISK_EEEEENSM_IJSG_SG_EEES6_PlJS6_EEE10hipError_tPvRmT3_T4_T5_T6_T7_T9_mT8_P12ihipStream_tbDpT10_ENKUlT_T0_E_clISt17integral_constantIbLb0EES1A_IbLb1EEEEDaS16_S17_EUlS16_E_NS1_11comp_targetILNS1_3genE3ELNS1_11target_archE908ELNS1_3gpuE7ELNS1_3repE0EEENS1_30default_config_static_selectorELNS0_4arch9wavefront6targetE1EEEvT1_
                                        ; -- End function
	.section	.AMDGPU.csdata,"",@progbits
; Kernel info:
; codeLenInByte = 0
; NumSgprs: 4
; NumVgprs: 0
; NumAgprs: 0
; TotalNumVgprs: 0
; ScratchSize: 0
; MemoryBound: 0
; FloatMode: 240
; IeeeMode: 1
; LDSByteSize: 0 bytes/workgroup (compile time only)
; SGPRBlocks: 0
; VGPRBlocks: 0
; NumSGPRsForWavesPerEU: 4
; NumVGPRsForWavesPerEU: 1
; AccumOffset: 4
; Occupancy: 8
; WaveLimiterHint : 0
; COMPUTE_PGM_RSRC2:SCRATCH_EN: 0
; COMPUTE_PGM_RSRC2:USER_SGPR: 6
; COMPUTE_PGM_RSRC2:TRAP_HANDLER: 0
; COMPUTE_PGM_RSRC2:TGID_X_EN: 1
; COMPUTE_PGM_RSRC2:TGID_Y_EN: 0
; COMPUTE_PGM_RSRC2:TGID_Z_EN: 0
; COMPUTE_PGM_RSRC2:TIDIG_COMP_CNT: 0
; COMPUTE_PGM_RSRC3_GFX90A:ACCUM_OFFSET: 0
; COMPUTE_PGM_RSRC3_GFX90A:TG_SPLIT: 0
	.section	.text._ZN7rocprim17ROCPRIM_400000_NS6detail17trampoline_kernelINS0_14default_configENS1_25partition_config_selectorILNS1_17partition_subalgoE1EtNS0_10empty_typeEbEEZZNS1_14partition_implILS5_1ELb0ES3_jN6thrust23THRUST_200600_302600_NS6detail15normal_iteratorINSA_10device_ptrItEEEEPS6_NSA_18transform_iteratorI7is_evenItESF_NSA_11use_defaultESK_EENS0_5tupleIJSF_NSA_16discard_iteratorISK_EEEEENSM_IJSG_SG_EEES6_PlJS6_EEE10hipError_tPvRmT3_T4_T5_T6_T7_T9_mT8_P12ihipStream_tbDpT10_ENKUlT_T0_E_clISt17integral_constantIbLb0EES1A_IbLb1EEEEDaS16_S17_EUlS16_E_NS1_11comp_targetILNS1_3genE2ELNS1_11target_archE906ELNS1_3gpuE6ELNS1_3repE0EEENS1_30default_config_static_selectorELNS0_4arch9wavefront6targetE1EEEvT1_,"axG",@progbits,_ZN7rocprim17ROCPRIM_400000_NS6detail17trampoline_kernelINS0_14default_configENS1_25partition_config_selectorILNS1_17partition_subalgoE1EtNS0_10empty_typeEbEEZZNS1_14partition_implILS5_1ELb0ES3_jN6thrust23THRUST_200600_302600_NS6detail15normal_iteratorINSA_10device_ptrItEEEEPS6_NSA_18transform_iteratorI7is_evenItESF_NSA_11use_defaultESK_EENS0_5tupleIJSF_NSA_16discard_iteratorISK_EEEEENSM_IJSG_SG_EEES6_PlJS6_EEE10hipError_tPvRmT3_T4_T5_T6_T7_T9_mT8_P12ihipStream_tbDpT10_ENKUlT_T0_E_clISt17integral_constantIbLb0EES1A_IbLb1EEEEDaS16_S17_EUlS16_E_NS1_11comp_targetILNS1_3genE2ELNS1_11target_archE906ELNS1_3gpuE6ELNS1_3repE0EEENS1_30default_config_static_selectorELNS0_4arch9wavefront6targetE1EEEvT1_,comdat
	.protected	_ZN7rocprim17ROCPRIM_400000_NS6detail17trampoline_kernelINS0_14default_configENS1_25partition_config_selectorILNS1_17partition_subalgoE1EtNS0_10empty_typeEbEEZZNS1_14partition_implILS5_1ELb0ES3_jN6thrust23THRUST_200600_302600_NS6detail15normal_iteratorINSA_10device_ptrItEEEEPS6_NSA_18transform_iteratorI7is_evenItESF_NSA_11use_defaultESK_EENS0_5tupleIJSF_NSA_16discard_iteratorISK_EEEEENSM_IJSG_SG_EEES6_PlJS6_EEE10hipError_tPvRmT3_T4_T5_T6_T7_T9_mT8_P12ihipStream_tbDpT10_ENKUlT_T0_E_clISt17integral_constantIbLb0EES1A_IbLb1EEEEDaS16_S17_EUlS16_E_NS1_11comp_targetILNS1_3genE2ELNS1_11target_archE906ELNS1_3gpuE6ELNS1_3repE0EEENS1_30default_config_static_selectorELNS0_4arch9wavefront6targetE1EEEvT1_ ; -- Begin function _ZN7rocprim17ROCPRIM_400000_NS6detail17trampoline_kernelINS0_14default_configENS1_25partition_config_selectorILNS1_17partition_subalgoE1EtNS0_10empty_typeEbEEZZNS1_14partition_implILS5_1ELb0ES3_jN6thrust23THRUST_200600_302600_NS6detail15normal_iteratorINSA_10device_ptrItEEEEPS6_NSA_18transform_iteratorI7is_evenItESF_NSA_11use_defaultESK_EENS0_5tupleIJSF_NSA_16discard_iteratorISK_EEEEENSM_IJSG_SG_EEES6_PlJS6_EEE10hipError_tPvRmT3_T4_T5_T6_T7_T9_mT8_P12ihipStream_tbDpT10_ENKUlT_T0_E_clISt17integral_constantIbLb0EES1A_IbLb1EEEEDaS16_S17_EUlS16_E_NS1_11comp_targetILNS1_3genE2ELNS1_11target_archE906ELNS1_3gpuE6ELNS1_3repE0EEENS1_30default_config_static_selectorELNS0_4arch9wavefront6targetE1EEEvT1_
	.globl	_ZN7rocprim17ROCPRIM_400000_NS6detail17trampoline_kernelINS0_14default_configENS1_25partition_config_selectorILNS1_17partition_subalgoE1EtNS0_10empty_typeEbEEZZNS1_14partition_implILS5_1ELb0ES3_jN6thrust23THRUST_200600_302600_NS6detail15normal_iteratorINSA_10device_ptrItEEEEPS6_NSA_18transform_iteratorI7is_evenItESF_NSA_11use_defaultESK_EENS0_5tupleIJSF_NSA_16discard_iteratorISK_EEEEENSM_IJSG_SG_EEES6_PlJS6_EEE10hipError_tPvRmT3_T4_T5_T6_T7_T9_mT8_P12ihipStream_tbDpT10_ENKUlT_T0_E_clISt17integral_constantIbLb0EES1A_IbLb1EEEEDaS16_S17_EUlS16_E_NS1_11comp_targetILNS1_3genE2ELNS1_11target_archE906ELNS1_3gpuE6ELNS1_3repE0EEENS1_30default_config_static_selectorELNS0_4arch9wavefront6targetE1EEEvT1_
	.p2align	8
	.type	_ZN7rocprim17ROCPRIM_400000_NS6detail17trampoline_kernelINS0_14default_configENS1_25partition_config_selectorILNS1_17partition_subalgoE1EtNS0_10empty_typeEbEEZZNS1_14partition_implILS5_1ELb0ES3_jN6thrust23THRUST_200600_302600_NS6detail15normal_iteratorINSA_10device_ptrItEEEEPS6_NSA_18transform_iteratorI7is_evenItESF_NSA_11use_defaultESK_EENS0_5tupleIJSF_NSA_16discard_iteratorISK_EEEEENSM_IJSG_SG_EEES6_PlJS6_EEE10hipError_tPvRmT3_T4_T5_T6_T7_T9_mT8_P12ihipStream_tbDpT10_ENKUlT_T0_E_clISt17integral_constantIbLb0EES1A_IbLb1EEEEDaS16_S17_EUlS16_E_NS1_11comp_targetILNS1_3genE2ELNS1_11target_archE906ELNS1_3gpuE6ELNS1_3repE0EEENS1_30default_config_static_selectorELNS0_4arch9wavefront6targetE1EEEvT1_,@function
_ZN7rocprim17ROCPRIM_400000_NS6detail17trampoline_kernelINS0_14default_configENS1_25partition_config_selectorILNS1_17partition_subalgoE1EtNS0_10empty_typeEbEEZZNS1_14partition_implILS5_1ELb0ES3_jN6thrust23THRUST_200600_302600_NS6detail15normal_iteratorINSA_10device_ptrItEEEEPS6_NSA_18transform_iteratorI7is_evenItESF_NSA_11use_defaultESK_EENS0_5tupleIJSF_NSA_16discard_iteratorISK_EEEEENSM_IJSG_SG_EEES6_PlJS6_EEE10hipError_tPvRmT3_T4_T5_T6_T7_T9_mT8_P12ihipStream_tbDpT10_ENKUlT_T0_E_clISt17integral_constantIbLb0EES1A_IbLb1EEEEDaS16_S17_EUlS16_E_NS1_11comp_targetILNS1_3genE2ELNS1_11target_archE906ELNS1_3gpuE6ELNS1_3repE0EEENS1_30default_config_static_selectorELNS0_4arch9wavefront6targetE1EEEvT1_: ; @_ZN7rocprim17ROCPRIM_400000_NS6detail17trampoline_kernelINS0_14default_configENS1_25partition_config_selectorILNS1_17partition_subalgoE1EtNS0_10empty_typeEbEEZZNS1_14partition_implILS5_1ELb0ES3_jN6thrust23THRUST_200600_302600_NS6detail15normal_iteratorINSA_10device_ptrItEEEEPS6_NSA_18transform_iteratorI7is_evenItESF_NSA_11use_defaultESK_EENS0_5tupleIJSF_NSA_16discard_iteratorISK_EEEEENSM_IJSG_SG_EEES6_PlJS6_EEE10hipError_tPvRmT3_T4_T5_T6_T7_T9_mT8_P12ihipStream_tbDpT10_ENKUlT_T0_E_clISt17integral_constantIbLb0EES1A_IbLb1EEEEDaS16_S17_EUlS16_E_NS1_11comp_targetILNS1_3genE2ELNS1_11target_archE906ELNS1_3gpuE6ELNS1_3repE0EEENS1_30default_config_static_selectorELNS0_4arch9wavefront6targetE1EEEvT1_
; %bb.0:
	.section	.rodata,"a",@progbits
	.p2align	6, 0x0
	.amdhsa_kernel _ZN7rocprim17ROCPRIM_400000_NS6detail17trampoline_kernelINS0_14default_configENS1_25partition_config_selectorILNS1_17partition_subalgoE1EtNS0_10empty_typeEbEEZZNS1_14partition_implILS5_1ELb0ES3_jN6thrust23THRUST_200600_302600_NS6detail15normal_iteratorINSA_10device_ptrItEEEEPS6_NSA_18transform_iteratorI7is_evenItESF_NSA_11use_defaultESK_EENS0_5tupleIJSF_NSA_16discard_iteratorISK_EEEEENSM_IJSG_SG_EEES6_PlJS6_EEE10hipError_tPvRmT3_T4_T5_T6_T7_T9_mT8_P12ihipStream_tbDpT10_ENKUlT_T0_E_clISt17integral_constantIbLb0EES1A_IbLb1EEEEDaS16_S17_EUlS16_E_NS1_11comp_targetILNS1_3genE2ELNS1_11target_archE906ELNS1_3gpuE6ELNS1_3repE0EEENS1_30default_config_static_selectorELNS0_4arch9wavefront6targetE1EEEvT1_
		.amdhsa_group_segment_fixed_size 0
		.amdhsa_private_segment_fixed_size 0
		.amdhsa_kernarg_size 152
		.amdhsa_user_sgpr_count 6
		.amdhsa_user_sgpr_private_segment_buffer 1
		.amdhsa_user_sgpr_dispatch_ptr 0
		.amdhsa_user_sgpr_queue_ptr 0
		.amdhsa_user_sgpr_kernarg_segment_ptr 1
		.amdhsa_user_sgpr_dispatch_id 0
		.amdhsa_user_sgpr_flat_scratch_init 0
		.amdhsa_user_sgpr_kernarg_preload_length 0
		.amdhsa_user_sgpr_kernarg_preload_offset 0
		.amdhsa_user_sgpr_private_segment_size 0
		.amdhsa_uses_dynamic_stack 0
		.amdhsa_system_sgpr_private_segment_wavefront_offset 0
		.amdhsa_system_sgpr_workgroup_id_x 1
		.amdhsa_system_sgpr_workgroup_id_y 0
		.amdhsa_system_sgpr_workgroup_id_z 0
		.amdhsa_system_sgpr_workgroup_info 0
		.amdhsa_system_vgpr_workitem_id 0
		.amdhsa_next_free_vgpr 1
		.amdhsa_next_free_sgpr 0
		.amdhsa_accum_offset 4
		.amdhsa_reserve_vcc 0
		.amdhsa_reserve_flat_scratch 0
		.amdhsa_float_round_mode_32 0
		.amdhsa_float_round_mode_16_64 0
		.amdhsa_float_denorm_mode_32 3
		.amdhsa_float_denorm_mode_16_64 3
		.amdhsa_dx10_clamp 1
		.amdhsa_ieee_mode 1
		.amdhsa_fp16_overflow 0
		.amdhsa_tg_split 0
		.amdhsa_exception_fp_ieee_invalid_op 0
		.amdhsa_exception_fp_denorm_src 0
		.amdhsa_exception_fp_ieee_div_zero 0
		.amdhsa_exception_fp_ieee_overflow 0
		.amdhsa_exception_fp_ieee_underflow 0
		.amdhsa_exception_fp_ieee_inexact 0
		.amdhsa_exception_int_div_zero 0
	.end_amdhsa_kernel
	.section	.text._ZN7rocprim17ROCPRIM_400000_NS6detail17trampoline_kernelINS0_14default_configENS1_25partition_config_selectorILNS1_17partition_subalgoE1EtNS0_10empty_typeEbEEZZNS1_14partition_implILS5_1ELb0ES3_jN6thrust23THRUST_200600_302600_NS6detail15normal_iteratorINSA_10device_ptrItEEEEPS6_NSA_18transform_iteratorI7is_evenItESF_NSA_11use_defaultESK_EENS0_5tupleIJSF_NSA_16discard_iteratorISK_EEEEENSM_IJSG_SG_EEES6_PlJS6_EEE10hipError_tPvRmT3_T4_T5_T6_T7_T9_mT8_P12ihipStream_tbDpT10_ENKUlT_T0_E_clISt17integral_constantIbLb0EES1A_IbLb1EEEEDaS16_S17_EUlS16_E_NS1_11comp_targetILNS1_3genE2ELNS1_11target_archE906ELNS1_3gpuE6ELNS1_3repE0EEENS1_30default_config_static_selectorELNS0_4arch9wavefront6targetE1EEEvT1_,"axG",@progbits,_ZN7rocprim17ROCPRIM_400000_NS6detail17trampoline_kernelINS0_14default_configENS1_25partition_config_selectorILNS1_17partition_subalgoE1EtNS0_10empty_typeEbEEZZNS1_14partition_implILS5_1ELb0ES3_jN6thrust23THRUST_200600_302600_NS6detail15normal_iteratorINSA_10device_ptrItEEEEPS6_NSA_18transform_iteratorI7is_evenItESF_NSA_11use_defaultESK_EENS0_5tupleIJSF_NSA_16discard_iteratorISK_EEEEENSM_IJSG_SG_EEES6_PlJS6_EEE10hipError_tPvRmT3_T4_T5_T6_T7_T9_mT8_P12ihipStream_tbDpT10_ENKUlT_T0_E_clISt17integral_constantIbLb0EES1A_IbLb1EEEEDaS16_S17_EUlS16_E_NS1_11comp_targetILNS1_3genE2ELNS1_11target_archE906ELNS1_3gpuE6ELNS1_3repE0EEENS1_30default_config_static_selectorELNS0_4arch9wavefront6targetE1EEEvT1_,comdat
.Lfunc_end3127:
	.size	_ZN7rocprim17ROCPRIM_400000_NS6detail17trampoline_kernelINS0_14default_configENS1_25partition_config_selectorILNS1_17partition_subalgoE1EtNS0_10empty_typeEbEEZZNS1_14partition_implILS5_1ELb0ES3_jN6thrust23THRUST_200600_302600_NS6detail15normal_iteratorINSA_10device_ptrItEEEEPS6_NSA_18transform_iteratorI7is_evenItESF_NSA_11use_defaultESK_EENS0_5tupleIJSF_NSA_16discard_iteratorISK_EEEEENSM_IJSG_SG_EEES6_PlJS6_EEE10hipError_tPvRmT3_T4_T5_T6_T7_T9_mT8_P12ihipStream_tbDpT10_ENKUlT_T0_E_clISt17integral_constantIbLb0EES1A_IbLb1EEEEDaS16_S17_EUlS16_E_NS1_11comp_targetILNS1_3genE2ELNS1_11target_archE906ELNS1_3gpuE6ELNS1_3repE0EEENS1_30default_config_static_selectorELNS0_4arch9wavefront6targetE1EEEvT1_, .Lfunc_end3127-_ZN7rocprim17ROCPRIM_400000_NS6detail17trampoline_kernelINS0_14default_configENS1_25partition_config_selectorILNS1_17partition_subalgoE1EtNS0_10empty_typeEbEEZZNS1_14partition_implILS5_1ELb0ES3_jN6thrust23THRUST_200600_302600_NS6detail15normal_iteratorINSA_10device_ptrItEEEEPS6_NSA_18transform_iteratorI7is_evenItESF_NSA_11use_defaultESK_EENS0_5tupleIJSF_NSA_16discard_iteratorISK_EEEEENSM_IJSG_SG_EEES6_PlJS6_EEE10hipError_tPvRmT3_T4_T5_T6_T7_T9_mT8_P12ihipStream_tbDpT10_ENKUlT_T0_E_clISt17integral_constantIbLb0EES1A_IbLb1EEEEDaS16_S17_EUlS16_E_NS1_11comp_targetILNS1_3genE2ELNS1_11target_archE906ELNS1_3gpuE6ELNS1_3repE0EEENS1_30default_config_static_selectorELNS0_4arch9wavefront6targetE1EEEvT1_
                                        ; -- End function
	.section	.AMDGPU.csdata,"",@progbits
; Kernel info:
; codeLenInByte = 0
; NumSgprs: 4
; NumVgprs: 0
; NumAgprs: 0
; TotalNumVgprs: 0
; ScratchSize: 0
; MemoryBound: 0
; FloatMode: 240
; IeeeMode: 1
; LDSByteSize: 0 bytes/workgroup (compile time only)
; SGPRBlocks: 0
; VGPRBlocks: 0
; NumSGPRsForWavesPerEU: 4
; NumVGPRsForWavesPerEU: 1
; AccumOffset: 4
; Occupancy: 8
; WaveLimiterHint : 0
; COMPUTE_PGM_RSRC2:SCRATCH_EN: 0
; COMPUTE_PGM_RSRC2:USER_SGPR: 6
; COMPUTE_PGM_RSRC2:TRAP_HANDLER: 0
; COMPUTE_PGM_RSRC2:TGID_X_EN: 1
; COMPUTE_PGM_RSRC2:TGID_Y_EN: 0
; COMPUTE_PGM_RSRC2:TGID_Z_EN: 0
; COMPUTE_PGM_RSRC2:TIDIG_COMP_CNT: 0
; COMPUTE_PGM_RSRC3_GFX90A:ACCUM_OFFSET: 0
; COMPUTE_PGM_RSRC3_GFX90A:TG_SPLIT: 0
	.section	.text._ZN7rocprim17ROCPRIM_400000_NS6detail17trampoline_kernelINS0_14default_configENS1_25partition_config_selectorILNS1_17partition_subalgoE1EtNS0_10empty_typeEbEEZZNS1_14partition_implILS5_1ELb0ES3_jN6thrust23THRUST_200600_302600_NS6detail15normal_iteratorINSA_10device_ptrItEEEEPS6_NSA_18transform_iteratorI7is_evenItESF_NSA_11use_defaultESK_EENS0_5tupleIJSF_NSA_16discard_iteratorISK_EEEEENSM_IJSG_SG_EEES6_PlJS6_EEE10hipError_tPvRmT3_T4_T5_T6_T7_T9_mT8_P12ihipStream_tbDpT10_ENKUlT_T0_E_clISt17integral_constantIbLb0EES1A_IbLb1EEEEDaS16_S17_EUlS16_E_NS1_11comp_targetILNS1_3genE10ELNS1_11target_archE1200ELNS1_3gpuE4ELNS1_3repE0EEENS1_30default_config_static_selectorELNS0_4arch9wavefront6targetE1EEEvT1_,"axG",@progbits,_ZN7rocprim17ROCPRIM_400000_NS6detail17trampoline_kernelINS0_14default_configENS1_25partition_config_selectorILNS1_17partition_subalgoE1EtNS0_10empty_typeEbEEZZNS1_14partition_implILS5_1ELb0ES3_jN6thrust23THRUST_200600_302600_NS6detail15normal_iteratorINSA_10device_ptrItEEEEPS6_NSA_18transform_iteratorI7is_evenItESF_NSA_11use_defaultESK_EENS0_5tupleIJSF_NSA_16discard_iteratorISK_EEEEENSM_IJSG_SG_EEES6_PlJS6_EEE10hipError_tPvRmT3_T4_T5_T6_T7_T9_mT8_P12ihipStream_tbDpT10_ENKUlT_T0_E_clISt17integral_constantIbLb0EES1A_IbLb1EEEEDaS16_S17_EUlS16_E_NS1_11comp_targetILNS1_3genE10ELNS1_11target_archE1200ELNS1_3gpuE4ELNS1_3repE0EEENS1_30default_config_static_selectorELNS0_4arch9wavefront6targetE1EEEvT1_,comdat
	.protected	_ZN7rocprim17ROCPRIM_400000_NS6detail17trampoline_kernelINS0_14default_configENS1_25partition_config_selectorILNS1_17partition_subalgoE1EtNS0_10empty_typeEbEEZZNS1_14partition_implILS5_1ELb0ES3_jN6thrust23THRUST_200600_302600_NS6detail15normal_iteratorINSA_10device_ptrItEEEEPS6_NSA_18transform_iteratorI7is_evenItESF_NSA_11use_defaultESK_EENS0_5tupleIJSF_NSA_16discard_iteratorISK_EEEEENSM_IJSG_SG_EEES6_PlJS6_EEE10hipError_tPvRmT3_T4_T5_T6_T7_T9_mT8_P12ihipStream_tbDpT10_ENKUlT_T0_E_clISt17integral_constantIbLb0EES1A_IbLb1EEEEDaS16_S17_EUlS16_E_NS1_11comp_targetILNS1_3genE10ELNS1_11target_archE1200ELNS1_3gpuE4ELNS1_3repE0EEENS1_30default_config_static_selectorELNS0_4arch9wavefront6targetE1EEEvT1_ ; -- Begin function _ZN7rocprim17ROCPRIM_400000_NS6detail17trampoline_kernelINS0_14default_configENS1_25partition_config_selectorILNS1_17partition_subalgoE1EtNS0_10empty_typeEbEEZZNS1_14partition_implILS5_1ELb0ES3_jN6thrust23THRUST_200600_302600_NS6detail15normal_iteratorINSA_10device_ptrItEEEEPS6_NSA_18transform_iteratorI7is_evenItESF_NSA_11use_defaultESK_EENS0_5tupleIJSF_NSA_16discard_iteratorISK_EEEEENSM_IJSG_SG_EEES6_PlJS6_EEE10hipError_tPvRmT3_T4_T5_T6_T7_T9_mT8_P12ihipStream_tbDpT10_ENKUlT_T0_E_clISt17integral_constantIbLb0EES1A_IbLb1EEEEDaS16_S17_EUlS16_E_NS1_11comp_targetILNS1_3genE10ELNS1_11target_archE1200ELNS1_3gpuE4ELNS1_3repE0EEENS1_30default_config_static_selectorELNS0_4arch9wavefront6targetE1EEEvT1_
	.globl	_ZN7rocprim17ROCPRIM_400000_NS6detail17trampoline_kernelINS0_14default_configENS1_25partition_config_selectorILNS1_17partition_subalgoE1EtNS0_10empty_typeEbEEZZNS1_14partition_implILS5_1ELb0ES3_jN6thrust23THRUST_200600_302600_NS6detail15normal_iteratorINSA_10device_ptrItEEEEPS6_NSA_18transform_iteratorI7is_evenItESF_NSA_11use_defaultESK_EENS0_5tupleIJSF_NSA_16discard_iteratorISK_EEEEENSM_IJSG_SG_EEES6_PlJS6_EEE10hipError_tPvRmT3_T4_T5_T6_T7_T9_mT8_P12ihipStream_tbDpT10_ENKUlT_T0_E_clISt17integral_constantIbLb0EES1A_IbLb1EEEEDaS16_S17_EUlS16_E_NS1_11comp_targetILNS1_3genE10ELNS1_11target_archE1200ELNS1_3gpuE4ELNS1_3repE0EEENS1_30default_config_static_selectorELNS0_4arch9wavefront6targetE1EEEvT1_
	.p2align	8
	.type	_ZN7rocprim17ROCPRIM_400000_NS6detail17trampoline_kernelINS0_14default_configENS1_25partition_config_selectorILNS1_17partition_subalgoE1EtNS0_10empty_typeEbEEZZNS1_14partition_implILS5_1ELb0ES3_jN6thrust23THRUST_200600_302600_NS6detail15normal_iteratorINSA_10device_ptrItEEEEPS6_NSA_18transform_iteratorI7is_evenItESF_NSA_11use_defaultESK_EENS0_5tupleIJSF_NSA_16discard_iteratorISK_EEEEENSM_IJSG_SG_EEES6_PlJS6_EEE10hipError_tPvRmT3_T4_T5_T6_T7_T9_mT8_P12ihipStream_tbDpT10_ENKUlT_T0_E_clISt17integral_constantIbLb0EES1A_IbLb1EEEEDaS16_S17_EUlS16_E_NS1_11comp_targetILNS1_3genE10ELNS1_11target_archE1200ELNS1_3gpuE4ELNS1_3repE0EEENS1_30default_config_static_selectorELNS0_4arch9wavefront6targetE1EEEvT1_,@function
_ZN7rocprim17ROCPRIM_400000_NS6detail17trampoline_kernelINS0_14default_configENS1_25partition_config_selectorILNS1_17partition_subalgoE1EtNS0_10empty_typeEbEEZZNS1_14partition_implILS5_1ELb0ES3_jN6thrust23THRUST_200600_302600_NS6detail15normal_iteratorINSA_10device_ptrItEEEEPS6_NSA_18transform_iteratorI7is_evenItESF_NSA_11use_defaultESK_EENS0_5tupleIJSF_NSA_16discard_iteratorISK_EEEEENSM_IJSG_SG_EEES6_PlJS6_EEE10hipError_tPvRmT3_T4_T5_T6_T7_T9_mT8_P12ihipStream_tbDpT10_ENKUlT_T0_E_clISt17integral_constantIbLb0EES1A_IbLb1EEEEDaS16_S17_EUlS16_E_NS1_11comp_targetILNS1_3genE10ELNS1_11target_archE1200ELNS1_3gpuE4ELNS1_3repE0EEENS1_30default_config_static_selectorELNS0_4arch9wavefront6targetE1EEEvT1_: ; @_ZN7rocprim17ROCPRIM_400000_NS6detail17trampoline_kernelINS0_14default_configENS1_25partition_config_selectorILNS1_17partition_subalgoE1EtNS0_10empty_typeEbEEZZNS1_14partition_implILS5_1ELb0ES3_jN6thrust23THRUST_200600_302600_NS6detail15normal_iteratorINSA_10device_ptrItEEEEPS6_NSA_18transform_iteratorI7is_evenItESF_NSA_11use_defaultESK_EENS0_5tupleIJSF_NSA_16discard_iteratorISK_EEEEENSM_IJSG_SG_EEES6_PlJS6_EEE10hipError_tPvRmT3_T4_T5_T6_T7_T9_mT8_P12ihipStream_tbDpT10_ENKUlT_T0_E_clISt17integral_constantIbLb0EES1A_IbLb1EEEEDaS16_S17_EUlS16_E_NS1_11comp_targetILNS1_3genE10ELNS1_11target_archE1200ELNS1_3gpuE4ELNS1_3repE0EEENS1_30default_config_static_selectorELNS0_4arch9wavefront6targetE1EEEvT1_
; %bb.0:
	.section	.rodata,"a",@progbits
	.p2align	6, 0x0
	.amdhsa_kernel _ZN7rocprim17ROCPRIM_400000_NS6detail17trampoline_kernelINS0_14default_configENS1_25partition_config_selectorILNS1_17partition_subalgoE1EtNS0_10empty_typeEbEEZZNS1_14partition_implILS5_1ELb0ES3_jN6thrust23THRUST_200600_302600_NS6detail15normal_iteratorINSA_10device_ptrItEEEEPS6_NSA_18transform_iteratorI7is_evenItESF_NSA_11use_defaultESK_EENS0_5tupleIJSF_NSA_16discard_iteratorISK_EEEEENSM_IJSG_SG_EEES6_PlJS6_EEE10hipError_tPvRmT3_T4_T5_T6_T7_T9_mT8_P12ihipStream_tbDpT10_ENKUlT_T0_E_clISt17integral_constantIbLb0EES1A_IbLb1EEEEDaS16_S17_EUlS16_E_NS1_11comp_targetILNS1_3genE10ELNS1_11target_archE1200ELNS1_3gpuE4ELNS1_3repE0EEENS1_30default_config_static_selectorELNS0_4arch9wavefront6targetE1EEEvT1_
		.amdhsa_group_segment_fixed_size 0
		.amdhsa_private_segment_fixed_size 0
		.amdhsa_kernarg_size 152
		.amdhsa_user_sgpr_count 6
		.amdhsa_user_sgpr_private_segment_buffer 1
		.amdhsa_user_sgpr_dispatch_ptr 0
		.amdhsa_user_sgpr_queue_ptr 0
		.amdhsa_user_sgpr_kernarg_segment_ptr 1
		.amdhsa_user_sgpr_dispatch_id 0
		.amdhsa_user_sgpr_flat_scratch_init 0
		.amdhsa_user_sgpr_kernarg_preload_length 0
		.amdhsa_user_sgpr_kernarg_preload_offset 0
		.amdhsa_user_sgpr_private_segment_size 0
		.amdhsa_uses_dynamic_stack 0
		.amdhsa_system_sgpr_private_segment_wavefront_offset 0
		.amdhsa_system_sgpr_workgroup_id_x 1
		.amdhsa_system_sgpr_workgroup_id_y 0
		.amdhsa_system_sgpr_workgroup_id_z 0
		.amdhsa_system_sgpr_workgroup_info 0
		.amdhsa_system_vgpr_workitem_id 0
		.amdhsa_next_free_vgpr 1
		.amdhsa_next_free_sgpr 0
		.amdhsa_accum_offset 4
		.amdhsa_reserve_vcc 0
		.amdhsa_reserve_flat_scratch 0
		.amdhsa_float_round_mode_32 0
		.amdhsa_float_round_mode_16_64 0
		.amdhsa_float_denorm_mode_32 3
		.amdhsa_float_denorm_mode_16_64 3
		.amdhsa_dx10_clamp 1
		.amdhsa_ieee_mode 1
		.amdhsa_fp16_overflow 0
		.amdhsa_tg_split 0
		.amdhsa_exception_fp_ieee_invalid_op 0
		.amdhsa_exception_fp_denorm_src 0
		.amdhsa_exception_fp_ieee_div_zero 0
		.amdhsa_exception_fp_ieee_overflow 0
		.amdhsa_exception_fp_ieee_underflow 0
		.amdhsa_exception_fp_ieee_inexact 0
		.amdhsa_exception_int_div_zero 0
	.end_amdhsa_kernel
	.section	.text._ZN7rocprim17ROCPRIM_400000_NS6detail17trampoline_kernelINS0_14default_configENS1_25partition_config_selectorILNS1_17partition_subalgoE1EtNS0_10empty_typeEbEEZZNS1_14partition_implILS5_1ELb0ES3_jN6thrust23THRUST_200600_302600_NS6detail15normal_iteratorINSA_10device_ptrItEEEEPS6_NSA_18transform_iteratorI7is_evenItESF_NSA_11use_defaultESK_EENS0_5tupleIJSF_NSA_16discard_iteratorISK_EEEEENSM_IJSG_SG_EEES6_PlJS6_EEE10hipError_tPvRmT3_T4_T5_T6_T7_T9_mT8_P12ihipStream_tbDpT10_ENKUlT_T0_E_clISt17integral_constantIbLb0EES1A_IbLb1EEEEDaS16_S17_EUlS16_E_NS1_11comp_targetILNS1_3genE10ELNS1_11target_archE1200ELNS1_3gpuE4ELNS1_3repE0EEENS1_30default_config_static_selectorELNS0_4arch9wavefront6targetE1EEEvT1_,"axG",@progbits,_ZN7rocprim17ROCPRIM_400000_NS6detail17trampoline_kernelINS0_14default_configENS1_25partition_config_selectorILNS1_17partition_subalgoE1EtNS0_10empty_typeEbEEZZNS1_14partition_implILS5_1ELb0ES3_jN6thrust23THRUST_200600_302600_NS6detail15normal_iteratorINSA_10device_ptrItEEEEPS6_NSA_18transform_iteratorI7is_evenItESF_NSA_11use_defaultESK_EENS0_5tupleIJSF_NSA_16discard_iteratorISK_EEEEENSM_IJSG_SG_EEES6_PlJS6_EEE10hipError_tPvRmT3_T4_T5_T6_T7_T9_mT8_P12ihipStream_tbDpT10_ENKUlT_T0_E_clISt17integral_constantIbLb0EES1A_IbLb1EEEEDaS16_S17_EUlS16_E_NS1_11comp_targetILNS1_3genE10ELNS1_11target_archE1200ELNS1_3gpuE4ELNS1_3repE0EEENS1_30default_config_static_selectorELNS0_4arch9wavefront6targetE1EEEvT1_,comdat
.Lfunc_end3128:
	.size	_ZN7rocprim17ROCPRIM_400000_NS6detail17trampoline_kernelINS0_14default_configENS1_25partition_config_selectorILNS1_17partition_subalgoE1EtNS0_10empty_typeEbEEZZNS1_14partition_implILS5_1ELb0ES3_jN6thrust23THRUST_200600_302600_NS6detail15normal_iteratorINSA_10device_ptrItEEEEPS6_NSA_18transform_iteratorI7is_evenItESF_NSA_11use_defaultESK_EENS0_5tupleIJSF_NSA_16discard_iteratorISK_EEEEENSM_IJSG_SG_EEES6_PlJS6_EEE10hipError_tPvRmT3_T4_T5_T6_T7_T9_mT8_P12ihipStream_tbDpT10_ENKUlT_T0_E_clISt17integral_constantIbLb0EES1A_IbLb1EEEEDaS16_S17_EUlS16_E_NS1_11comp_targetILNS1_3genE10ELNS1_11target_archE1200ELNS1_3gpuE4ELNS1_3repE0EEENS1_30default_config_static_selectorELNS0_4arch9wavefront6targetE1EEEvT1_, .Lfunc_end3128-_ZN7rocprim17ROCPRIM_400000_NS6detail17trampoline_kernelINS0_14default_configENS1_25partition_config_selectorILNS1_17partition_subalgoE1EtNS0_10empty_typeEbEEZZNS1_14partition_implILS5_1ELb0ES3_jN6thrust23THRUST_200600_302600_NS6detail15normal_iteratorINSA_10device_ptrItEEEEPS6_NSA_18transform_iteratorI7is_evenItESF_NSA_11use_defaultESK_EENS0_5tupleIJSF_NSA_16discard_iteratorISK_EEEEENSM_IJSG_SG_EEES6_PlJS6_EEE10hipError_tPvRmT3_T4_T5_T6_T7_T9_mT8_P12ihipStream_tbDpT10_ENKUlT_T0_E_clISt17integral_constantIbLb0EES1A_IbLb1EEEEDaS16_S17_EUlS16_E_NS1_11comp_targetILNS1_3genE10ELNS1_11target_archE1200ELNS1_3gpuE4ELNS1_3repE0EEENS1_30default_config_static_selectorELNS0_4arch9wavefront6targetE1EEEvT1_
                                        ; -- End function
	.section	.AMDGPU.csdata,"",@progbits
; Kernel info:
; codeLenInByte = 0
; NumSgprs: 4
; NumVgprs: 0
; NumAgprs: 0
; TotalNumVgprs: 0
; ScratchSize: 0
; MemoryBound: 0
; FloatMode: 240
; IeeeMode: 1
; LDSByteSize: 0 bytes/workgroup (compile time only)
; SGPRBlocks: 0
; VGPRBlocks: 0
; NumSGPRsForWavesPerEU: 4
; NumVGPRsForWavesPerEU: 1
; AccumOffset: 4
; Occupancy: 8
; WaveLimiterHint : 0
; COMPUTE_PGM_RSRC2:SCRATCH_EN: 0
; COMPUTE_PGM_RSRC2:USER_SGPR: 6
; COMPUTE_PGM_RSRC2:TRAP_HANDLER: 0
; COMPUTE_PGM_RSRC2:TGID_X_EN: 1
; COMPUTE_PGM_RSRC2:TGID_Y_EN: 0
; COMPUTE_PGM_RSRC2:TGID_Z_EN: 0
; COMPUTE_PGM_RSRC2:TIDIG_COMP_CNT: 0
; COMPUTE_PGM_RSRC3_GFX90A:ACCUM_OFFSET: 0
; COMPUTE_PGM_RSRC3_GFX90A:TG_SPLIT: 0
	.section	.text._ZN7rocprim17ROCPRIM_400000_NS6detail17trampoline_kernelINS0_14default_configENS1_25partition_config_selectorILNS1_17partition_subalgoE1EtNS0_10empty_typeEbEEZZNS1_14partition_implILS5_1ELb0ES3_jN6thrust23THRUST_200600_302600_NS6detail15normal_iteratorINSA_10device_ptrItEEEEPS6_NSA_18transform_iteratorI7is_evenItESF_NSA_11use_defaultESK_EENS0_5tupleIJSF_NSA_16discard_iteratorISK_EEEEENSM_IJSG_SG_EEES6_PlJS6_EEE10hipError_tPvRmT3_T4_T5_T6_T7_T9_mT8_P12ihipStream_tbDpT10_ENKUlT_T0_E_clISt17integral_constantIbLb0EES1A_IbLb1EEEEDaS16_S17_EUlS16_E_NS1_11comp_targetILNS1_3genE9ELNS1_11target_archE1100ELNS1_3gpuE3ELNS1_3repE0EEENS1_30default_config_static_selectorELNS0_4arch9wavefront6targetE1EEEvT1_,"axG",@progbits,_ZN7rocprim17ROCPRIM_400000_NS6detail17trampoline_kernelINS0_14default_configENS1_25partition_config_selectorILNS1_17partition_subalgoE1EtNS0_10empty_typeEbEEZZNS1_14partition_implILS5_1ELb0ES3_jN6thrust23THRUST_200600_302600_NS6detail15normal_iteratorINSA_10device_ptrItEEEEPS6_NSA_18transform_iteratorI7is_evenItESF_NSA_11use_defaultESK_EENS0_5tupleIJSF_NSA_16discard_iteratorISK_EEEEENSM_IJSG_SG_EEES6_PlJS6_EEE10hipError_tPvRmT3_T4_T5_T6_T7_T9_mT8_P12ihipStream_tbDpT10_ENKUlT_T0_E_clISt17integral_constantIbLb0EES1A_IbLb1EEEEDaS16_S17_EUlS16_E_NS1_11comp_targetILNS1_3genE9ELNS1_11target_archE1100ELNS1_3gpuE3ELNS1_3repE0EEENS1_30default_config_static_selectorELNS0_4arch9wavefront6targetE1EEEvT1_,comdat
	.protected	_ZN7rocprim17ROCPRIM_400000_NS6detail17trampoline_kernelINS0_14default_configENS1_25partition_config_selectorILNS1_17partition_subalgoE1EtNS0_10empty_typeEbEEZZNS1_14partition_implILS5_1ELb0ES3_jN6thrust23THRUST_200600_302600_NS6detail15normal_iteratorINSA_10device_ptrItEEEEPS6_NSA_18transform_iteratorI7is_evenItESF_NSA_11use_defaultESK_EENS0_5tupleIJSF_NSA_16discard_iteratorISK_EEEEENSM_IJSG_SG_EEES6_PlJS6_EEE10hipError_tPvRmT3_T4_T5_T6_T7_T9_mT8_P12ihipStream_tbDpT10_ENKUlT_T0_E_clISt17integral_constantIbLb0EES1A_IbLb1EEEEDaS16_S17_EUlS16_E_NS1_11comp_targetILNS1_3genE9ELNS1_11target_archE1100ELNS1_3gpuE3ELNS1_3repE0EEENS1_30default_config_static_selectorELNS0_4arch9wavefront6targetE1EEEvT1_ ; -- Begin function _ZN7rocprim17ROCPRIM_400000_NS6detail17trampoline_kernelINS0_14default_configENS1_25partition_config_selectorILNS1_17partition_subalgoE1EtNS0_10empty_typeEbEEZZNS1_14partition_implILS5_1ELb0ES3_jN6thrust23THRUST_200600_302600_NS6detail15normal_iteratorINSA_10device_ptrItEEEEPS6_NSA_18transform_iteratorI7is_evenItESF_NSA_11use_defaultESK_EENS0_5tupleIJSF_NSA_16discard_iteratorISK_EEEEENSM_IJSG_SG_EEES6_PlJS6_EEE10hipError_tPvRmT3_T4_T5_T6_T7_T9_mT8_P12ihipStream_tbDpT10_ENKUlT_T0_E_clISt17integral_constantIbLb0EES1A_IbLb1EEEEDaS16_S17_EUlS16_E_NS1_11comp_targetILNS1_3genE9ELNS1_11target_archE1100ELNS1_3gpuE3ELNS1_3repE0EEENS1_30default_config_static_selectorELNS0_4arch9wavefront6targetE1EEEvT1_
	.globl	_ZN7rocprim17ROCPRIM_400000_NS6detail17trampoline_kernelINS0_14default_configENS1_25partition_config_selectorILNS1_17partition_subalgoE1EtNS0_10empty_typeEbEEZZNS1_14partition_implILS5_1ELb0ES3_jN6thrust23THRUST_200600_302600_NS6detail15normal_iteratorINSA_10device_ptrItEEEEPS6_NSA_18transform_iteratorI7is_evenItESF_NSA_11use_defaultESK_EENS0_5tupleIJSF_NSA_16discard_iteratorISK_EEEEENSM_IJSG_SG_EEES6_PlJS6_EEE10hipError_tPvRmT3_T4_T5_T6_T7_T9_mT8_P12ihipStream_tbDpT10_ENKUlT_T0_E_clISt17integral_constantIbLb0EES1A_IbLb1EEEEDaS16_S17_EUlS16_E_NS1_11comp_targetILNS1_3genE9ELNS1_11target_archE1100ELNS1_3gpuE3ELNS1_3repE0EEENS1_30default_config_static_selectorELNS0_4arch9wavefront6targetE1EEEvT1_
	.p2align	8
	.type	_ZN7rocprim17ROCPRIM_400000_NS6detail17trampoline_kernelINS0_14default_configENS1_25partition_config_selectorILNS1_17partition_subalgoE1EtNS0_10empty_typeEbEEZZNS1_14partition_implILS5_1ELb0ES3_jN6thrust23THRUST_200600_302600_NS6detail15normal_iteratorINSA_10device_ptrItEEEEPS6_NSA_18transform_iteratorI7is_evenItESF_NSA_11use_defaultESK_EENS0_5tupleIJSF_NSA_16discard_iteratorISK_EEEEENSM_IJSG_SG_EEES6_PlJS6_EEE10hipError_tPvRmT3_T4_T5_T6_T7_T9_mT8_P12ihipStream_tbDpT10_ENKUlT_T0_E_clISt17integral_constantIbLb0EES1A_IbLb1EEEEDaS16_S17_EUlS16_E_NS1_11comp_targetILNS1_3genE9ELNS1_11target_archE1100ELNS1_3gpuE3ELNS1_3repE0EEENS1_30default_config_static_selectorELNS0_4arch9wavefront6targetE1EEEvT1_,@function
_ZN7rocprim17ROCPRIM_400000_NS6detail17trampoline_kernelINS0_14default_configENS1_25partition_config_selectorILNS1_17partition_subalgoE1EtNS0_10empty_typeEbEEZZNS1_14partition_implILS5_1ELb0ES3_jN6thrust23THRUST_200600_302600_NS6detail15normal_iteratorINSA_10device_ptrItEEEEPS6_NSA_18transform_iteratorI7is_evenItESF_NSA_11use_defaultESK_EENS0_5tupleIJSF_NSA_16discard_iteratorISK_EEEEENSM_IJSG_SG_EEES6_PlJS6_EEE10hipError_tPvRmT3_T4_T5_T6_T7_T9_mT8_P12ihipStream_tbDpT10_ENKUlT_T0_E_clISt17integral_constantIbLb0EES1A_IbLb1EEEEDaS16_S17_EUlS16_E_NS1_11comp_targetILNS1_3genE9ELNS1_11target_archE1100ELNS1_3gpuE3ELNS1_3repE0EEENS1_30default_config_static_selectorELNS0_4arch9wavefront6targetE1EEEvT1_: ; @_ZN7rocprim17ROCPRIM_400000_NS6detail17trampoline_kernelINS0_14default_configENS1_25partition_config_selectorILNS1_17partition_subalgoE1EtNS0_10empty_typeEbEEZZNS1_14partition_implILS5_1ELb0ES3_jN6thrust23THRUST_200600_302600_NS6detail15normal_iteratorINSA_10device_ptrItEEEEPS6_NSA_18transform_iteratorI7is_evenItESF_NSA_11use_defaultESK_EENS0_5tupleIJSF_NSA_16discard_iteratorISK_EEEEENSM_IJSG_SG_EEES6_PlJS6_EEE10hipError_tPvRmT3_T4_T5_T6_T7_T9_mT8_P12ihipStream_tbDpT10_ENKUlT_T0_E_clISt17integral_constantIbLb0EES1A_IbLb1EEEEDaS16_S17_EUlS16_E_NS1_11comp_targetILNS1_3genE9ELNS1_11target_archE1100ELNS1_3gpuE3ELNS1_3repE0EEENS1_30default_config_static_selectorELNS0_4arch9wavefront6targetE1EEEvT1_
; %bb.0:
	.section	.rodata,"a",@progbits
	.p2align	6, 0x0
	.amdhsa_kernel _ZN7rocprim17ROCPRIM_400000_NS6detail17trampoline_kernelINS0_14default_configENS1_25partition_config_selectorILNS1_17partition_subalgoE1EtNS0_10empty_typeEbEEZZNS1_14partition_implILS5_1ELb0ES3_jN6thrust23THRUST_200600_302600_NS6detail15normal_iteratorINSA_10device_ptrItEEEEPS6_NSA_18transform_iteratorI7is_evenItESF_NSA_11use_defaultESK_EENS0_5tupleIJSF_NSA_16discard_iteratorISK_EEEEENSM_IJSG_SG_EEES6_PlJS6_EEE10hipError_tPvRmT3_T4_T5_T6_T7_T9_mT8_P12ihipStream_tbDpT10_ENKUlT_T0_E_clISt17integral_constantIbLb0EES1A_IbLb1EEEEDaS16_S17_EUlS16_E_NS1_11comp_targetILNS1_3genE9ELNS1_11target_archE1100ELNS1_3gpuE3ELNS1_3repE0EEENS1_30default_config_static_selectorELNS0_4arch9wavefront6targetE1EEEvT1_
		.amdhsa_group_segment_fixed_size 0
		.amdhsa_private_segment_fixed_size 0
		.amdhsa_kernarg_size 152
		.amdhsa_user_sgpr_count 6
		.amdhsa_user_sgpr_private_segment_buffer 1
		.amdhsa_user_sgpr_dispatch_ptr 0
		.amdhsa_user_sgpr_queue_ptr 0
		.amdhsa_user_sgpr_kernarg_segment_ptr 1
		.amdhsa_user_sgpr_dispatch_id 0
		.amdhsa_user_sgpr_flat_scratch_init 0
		.amdhsa_user_sgpr_kernarg_preload_length 0
		.amdhsa_user_sgpr_kernarg_preload_offset 0
		.amdhsa_user_sgpr_private_segment_size 0
		.amdhsa_uses_dynamic_stack 0
		.amdhsa_system_sgpr_private_segment_wavefront_offset 0
		.amdhsa_system_sgpr_workgroup_id_x 1
		.amdhsa_system_sgpr_workgroup_id_y 0
		.amdhsa_system_sgpr_workgroup_id_z 0
		.amdhsa_system_sgpr_workgroup_info 0
		.amdhsa_system_vgpr_workitem_id 0
		.amdhsa_next_free_vgpr 1
		.amdhsa_next_free_sgpr 0
		.amdhsa_accum_offset 4
		.amdhsa_reserve_vcc 0
		.amdhsa_reserve_flat_scratch 0
		.amdhsa_float_round_mode_32 0
		.amdhsa_float_round_mode_16_64 0
		.amdhsa_float_denorm_mode_32 3
		.amdhsa_float_denorm_mode_16_64 3
		.amdhsa_dx10_clamp 1
		.amdhsa_ieee_mode 1
		.amdhsa_fp16_overflow 0
		.amdhsa_tg_split 0
		.amdhsa_exception_fp_ieee_invalid_op 0
		.amdhsa_exception_fp_denorm_src 0
		.amdhsa_exception_fp_ieee_div_zero 0
		.amdhsa_exception_fp_ieee_overflow 0
		.amdhsa_exception_fp_ieee_underflow 0
		.amdhsa_exception_fp_ieee_inexact 0
		.amdhsa_exception_int_div_zero 0
	.end_amdhsa_kernel
	.section	.text._ZN7rocprim17ROCPRIM_400000_NS6detail17trampoline_kernelINS0_14default_configENS1_25partition_config_selectorILNS1_17partition_subalgoE1EtNS0_10empty_typeEbEEZZNS1_14partition_implILS5_1ELb0ES3_jN6thrust23THRUST_200600_302600_NS6detail15normal_iteratorINSA_10device_ptrItEEEEPS6_NSA_18transform_iteratorI7is_evenItESF_NSA_11use_defaultESK_EENS0_5tupleIJSF_NSA_16discard_iteratorISK_EEEEENSM_IJSG_SG_EEES6_PlJS6_EEE10hipError_tPvRmT3_T4_T5_T6_T7_T9_mT8_P12ihipStream_tbDpT10_ENKUlT_T0_E_clISt17integral_constantIbLb0EES1A_IbLb1EEEEDaS16_S17_EUlS16_E_NS1_11comp_targetILNS1_3genE9ELNS1_11target_archE1100ELNS1_3gpuE3ELNS1_3repE0EEENS1_30default_config_static_selectorELNS0_4arch9wavefront6targetE1EEEvT1_,"axG",@progbits,_ZN7rocprim17ROCPRIM_400000_NS6detail17trampoline_kernelINS0_14default_configENS1_25partition_config_selectorILNS1_17partition_subalgoE1EtNS0_10empty_typeEbEEZZNS1_14partition_implILS5_1ELb0ES3_jN6thrust23THRUST_200600_302600_NS6detail15normal_iteratorINSA_10device_ptrItEEEEPS6_NSA_18transform_iteratorI7is_evenItESF_NSA_11use_defaultESK_EENS0_5tupleIJSF_NSA_16discard_iteratorISK_EEEEENSM_IJSG_SG_EEES6_PlJS6_EEE10hipError_tPvRmT3_T4_T5_T6_T7_T9_mT8_P12ihipStream_tbDpT10_ENKUlT_T0_E_clISt17integral_constantIbLb0EES1A_IbLb1EEEEDaS16_S17_EUlS16_E_NS1_11comp_targetILNS1_3genE9ELNS1_11target_archE1100ELNS1_3gpuE3ELNS1_3repE0EEENS1_30default_config_static_selectorELNS0_4arch9wavefront6targetE1EEEvT1_,comdat
.Lfunc_end3129:
	.size	_ZN7rocprim17ROCPRIM_400000_NS6detail17trampoline_kernelINS0_14default_configENS1_25partition_config_selectorILNS1_17partition_subalgoE1EtNS0_10empty_typeEbEEZZNS1_14partition_implILS5_1ELb0ES3_jN6thrust23THRUST_200600_302600_NS6detail15normal_iteratorINSA_10device_ptrItEEEEPS6_NSA_18transform_iteratorI7is_evenItESF_NSA_11use_defaultESK_EENS0_5tupleIJSF_NSA_16discard_iteratorISK_EEEEENSM_IJSG_SG_EEES6_PlJS6_EEE10hipError_tPvRmT3_T4_T5_T6_T7_T9_mT8_P12ihipStream_tbDpT10_ENKUlT_T0_E_clISt17integral_constantIbLb0EES1A_IbLb1EEEEDaS16_S17_EUlS16_E_NS1_11comp_targetILNS1_3genE9ELNS1_11target_archE1100ELNS1_3gpuE3ELNS1_3repE0EEENS1_30default_config_static_selectorELNS0_4arch9wavefront6targetE1EEEvT1_, .Lfunc_end3129-_ZN7rocprim17ROCPRIM_400000_NS6detail17trampoline_kernelINS0_14default_configENS1_25partition_config_selectorILNS1_17partition_subalgoE1EtNS0_10empty_typeEbEEZZNS1_14partition_implILS5_1ELb0ES3_jN6thrust23THRUST_200600_302600_NS6detail15normal_iteratorINSA_10device_ptrItEEEEPS6_NSA_18transform_iteratorI7is_evenItESF_NSA_11use_defaultESK_EENS0_5tupleIJSF_NSA_16discard_iteratorISK_EEEEENSM_IJSG_SG_EEES6_PlJS6_EEE10hipError_tPvRmT3_T4_T5_T6_T7_T9_mT8_P12ihipStream_tbDpT10_ENKUlT_T0_E_clISt17integral_constantIbLb0EES1A_IbLb1EEEEDaS16_S17_EUlS16_E_NS1_11comp_targetILNS1_3genE9ELNS1_11target_archE1100ELNS1_3gpuE3ELNS1_3repE0EEENS1_30default_config_static_selectorELNS0_4arch9wavefront6targetE1EEEvT1_
                                        ; -- End function
	.section	.AMDGPU.csdata,"",@progbits
; Kernel info:
; codeLenInByte = 0
; NumSgprs: 4
; NumVgprs: 0
; NumAgprs: 0
; TotalNumVgprs: 0
; ScratchSize: 0
; MemoryBound: 0
; FloatMode: 240
; IeeeMode: 1
; LDSByteSize: 0 bytes/workgroup (compile time only)
; SGPRBlocks: 0
; VGPRBlocks: 0
; NumSGPRsForWavesPerEU: 4
; NumVGPRsForWavesPerEU: 1
; AccumOffset: 4
; Occupancy: 8
; WaveLimiterHint : 0
; COMPUTE_PGM_RSRC2:SCRATCH_EN: 0
; COMPUTE_PGM_RSRC2:USER_SGPR: 6
; COMPUTE_PGM_RSRC2:TRAP_HANDLER: 0
; COMPUTE_PGM_RSRC2:TGID_X_EN: 1
; COMPUTE_PGM_RSRC2:TGID_Y_EN: 0
; COMPUTE_PGM_RSRC2:TGID_Z_EN: 0
; COMPUTE_PGM_RSRC2:TIDIG_COMP_CNT: 0
; COMPUTE_PGM_RSRC3_GFX90A:ACCUM_OFFSET: 0
; COMPUTE_PGM_RSRC3_GFX90A:TG_SPLIT: 0
	.section	.text._ZN7rocprim17ROCPRIM_400000_NS6detail17trampoline_kernelINS0_14default_configENS1_25partition_config_selectorILNS1_17partition_subalgoE1EtNS0_10empty_typeEbEEZZNS1_14partition_implILS5_1ELb0ES3_jN6thrust23THRUST_200600_302600_NS6detail15normal_iteratorINSA_10device_ptrItEEEEPS6_NSA_18transform_iteratorI7is_evenItESF_NSA_11use_defaultESK_EENS0_5tupleIJSF_NSA_16discard_iteratorISK_EEEEENSM_IJSG_SG_EEES6_PlJS6_EEE10hipError_tPvRmT3_T4_T5_T6_T7_T9_mT8_P12ihipStream_tbDpT10_ENKUlT_T0_E_clISt17integral_constantIbLb0EES1A_IbLb1EEEEDaS16_S17_EUlS16_E_NS1_11comp_targetILNS1_3genE8ELNS1_11target_archE1030ELNS1_3gpuE2ELNS1_3repE0EEENS1_30default_config_static_selectorELNS0_4arch9wavefront6targetE1EEEvT1_,"axG",@progbits,_ZN7rocprim17ROCPRIM_400000_NS6detail17trampoline_kernelINS0_14default_configENS1_25partition_config_selectorILNS1_17partition_subalgoE1EtNS0_10empty_typeEbEEZZNS1_14partition_implILS5_1ELb0ES3_jN6thrust23THRUST_200600_302600_NS6detail15normal_iteratorINSA_10device_ptrItEEEEPS6_NSA_18transform_iteratorI7is_evenItESF_NSA_11use_defaultESK_EENS0_5tupleIJSF_NSA_16discard_iteratorISK_EEEEENSM_IJSG_SG_EEES6_PlJS6_EEE10hipError_tPvRmT3_T4_T5_T6_T7_T9_mT8_P12ihipStream_tbDpT10_ENKUlT_T0_E_clISt17integral_constantIbLb0EES1A_IbLb1EEEEDaS16_S17_EUlS16_E_NS1_11comp_targetILNS1_3genE8ELNS1_11target_archE1030ELNS1_3gpuE2ELNS1_3repE0EEENS1_30default_config_static_selectorELNS0_4arch9wavefront6targetE1EEEvT1_,comdat
	.protected	_ZN7rocprim17ROCPRIM_400000_NS6detail17trampoline_kernelINS0_14default_configENS1_25partition_config_selectorILNS1_17partition_subalgoE1EtNS0_10empty_typeEbEEZZNS1_14partition_implILS5_1ELb0ES3_jN6thrust23THRUST_200600_302600_NS6detail15normal_iteratorINSA_10device_ptrItEEEEPS6_NSA_18transform_iteratorI7is_evenItESF_NSA_11use_defaultESK_EENS0_5tupleIJSF_NSA_16discard_iteratorISK_EEEEENSM_IJSG_SG_EEES6_PlJS6_EEE10hipError_tPvRmT3_T4_T5_T6_T7_T9_mT8_P12ihipStream_tbDpT10_ENKUlT_T0_E_clISt17integral_constantIbLb0EES1A_IbLb1EEEEDaS16_S17_EUlS16_E_NS1_11comp_targetILNS1_3genE8ELNS1_11target_archE1030ELNS1_3gpuE2ELNS1_3repE0EEENS1_30default_config_static_selectorELNS0_4arch9wavefront6targetE1EEEvT1_ ; -- Begin function _ZN7rocprim17ROCPRIM_400000_NS6detail17trampoline_kernelINS0_14default_configENS1_25partition_config_selectorILNS1_17partition_subalgoE1EtNS0_10empty_typeEbEEZZNS1_14partition_implILS5_1ELb0ES3_jN6thrust23THRUST_200600_302600_NS6detail15normal_iteratorINSA_10device_ptrItEEEEPS6_NSA_18transform_iteratorI7is_evenItESF_NSA_11use_defaultESK_EENS0_5tupleIJSF_NSA_16discard_iteratorISK_EEEEENSM_IJSG_SG_EEES6_PlJS6_EEE10hipError_tPvRmT3_T4_T5_T6_T7_T9_mT8_P12ihipStream_tbDpT10_ENKUlT_T0_E_clISt17integral_constantIbLb0EES1A_IbLb1EEEEDaS16_S17_EUlS16_E_NS1_11comp_targetILNS1_3genE8ELNS1_11target_archE1030ELNS1_3gpuE2ELNS1_3repE0EEENS1_30default_config_static_selectorELNS0_4arch9wavefront6targetE1EEEvT1_
	.globl	_ZN7rocprim17ROCPRIM_400000_NS6detail17trampoline_kernelINS0_14default_configENS1_25partition_config_selectorILNS1_17partition_subalgoE1EtNS0_10empty_typeEbEEZZNS1_14partition_implILS5_1ELb0ES3_jN6thrust23THRUST_200600_302600_NS6detail15normal_iteratorINSA_10device_ptrItEEEEPS6_NSA_18transform_iteratorI7is_evenItESF_NSA_11use_defaultESK_EENS0_5tupleIJSF_NSA_16discard_iteratorISK_EEEEENSM_IJSG_SG_EEES6_PlJS6_EEE10hipError_tPvRmT3_T4_T5_T6_T7_T9_mT8_P12ihipStream_tbDpT10_ENKUlT_T0_E_clISt17integral_constantIbLb0EES1A_IbLb1EEEEDaS16_S17_EUlS16_E_NS1_11comp_targetILNS1_3genE8ELNS1_11target_archE1030ELNS1_3gpuE2ELNS1_3repE0EEENS1_30default_config_static_selectorELNS0_4arch9wavefront6targetE1EEEvT1_
	.p2align	8
	.type	_ZN7rocprim17ROCPRIM_400000_NS6detail17trampoline_kernelINS0_14default_configENS1_25partition_config_selectorILNS1_17partition_subalgoE1EtNS0_10empty_typeEbEEZZNS1_14partition_implILS5_1ELb0ES3_jN6thrust23THRUST_200600_302600_NS6detail15normal_iteratorINSA_10device_ptrItEEEEPS6_NSA_18transform_iteratorI7is_evenItESF_NSA_11use_defaultESK_EENS0_5tupleIJSF_NSA_16discard_iteratorISK_EEEEENSM_IJSG_SG_EEES6_PlJS6_EEE10hipError_tPvRmT3_T4_T5_T6_T7_T9_mT8_P12ihipStream_tbDpT10_ENKUlT_T0_E_clISt17integral_constantIbLb0EES1A_IbLb1EEEEDaS16_S17_EUlS16_E_NS1_11comp_targetILNS1_3genE8ELNS1_11target_archE1030ELNS1_3gpuE2ELNS1_3repE0EEENS1_30default_config_static_selectorELNS0_4arch9wavefront6targetE1EEEvT1_,@function
_ZN7rocprim17ROCPRIM_400000_NS6detail17trampoline_kernelINS0_14default_configENS1_25partition_config_selectorILNS1_17partition_subalgoE1EtNS0_10empty_typeEbEEZZNS1_14partition_implILS5_1ELb0ES3_jN6thrust23THRUST_200600_302600_NS6detail15normal_iteratorINSA_10device_ptrItEEEEPS6_NSA_18transform_iteratorI7is_evenItESF_NSA_11use_defaultESK_EENS0_5tupleIJSF_NSA_16discard_iteratorISK_EEEEENSM_IJSG_SG_EEES6_PlJS6_EEE10hipError_tPvRmT3_T4_T5_T6_T7_T9_mT8_P12ihipStream_tbDpT10_ENKUlT_T0_E_clISt17integral_constantIbLb0EES1A_IbLb1EEEEDaS16_S17_EUlS16_E_NS1_11comp_targetILNS1_3genE8ELNS1_11target_archE1030ELNS1_3gpuE2ELNS1_3repE0EEENS1_30default_config_static_selectorELNS0_4arch9wavefront6targetE1EEEvT1_: ; @_ZN7rocprim17ROCPRIM_400000_NS6detail17trampoline_kernelINS0_14default_configENS1_25partition_config_selectorILNS1_17partition_subalgoE1EtNS0_10empty_typeEbEEZZNS1_14partition_implILS5_1ELb0ES3_jN6thrust23THRUST_200600_302600_NS6detail15normal_iteratorINSA_10device_ptrItEEEEPS6_NSA_18transform_iteratorI7is_evenItESF_NSA_11use_defaultESK_EENS0_5tupleIJSF_NSA_16discard_iteratorISK_EEEEENSM_IJSG_SG_EEES6_PlJS6_EEE10hipError_tPvRmT3_T4_T5_T6_T7_T9_mT8_P12ihipStream_tbDpT10_ENKUlT_T0_E_clISt17integral_constantIbLb0EES1A_IbLb1EEEEDaS16_S17_EUlS16_E_NS1_11comp_targetILNS1_3genE8ELNS1_11target_archE1030ELNS1_3gpuE2ELNS1_3repE0EEENS1_30default_config_static_selectorELNS0_4arch9wavefront6targetE1EEEvT1_
; %bb.0:
	.section	.rodata,"a",@progbits
	.p2align	6, 0x0
	.amdhsa_kernel _ZN7rocprim17ROCPRIM_400000_NS6detail17trampoline_kernelINS0_14default_configENS1_25partition_config_selectorILNS1_17partition_subalgoE1EtNS0_10empty_typeEbEEZZNS1_14partition_implILS5_1ELb0ES3_jN6thrust23THRUST_200600_302600_NS6detail15normal_iteratorINSA_10device_ptrItEEEEPS6_NSA_18transform_iteratorI7is_evenItESF_NSA_11use_defaultESK_EENS0_5tupleIJSF_NSA_16discard_iteratorISK_EEEEENSM_IJSG_SG_EEES6_PlJS6_EEE10hipError_tPvRmT3_T4_T5_T6_T7_T9_mT8_P12ihipStream_tbDpT10_ENKUlT_T0_E_clISt17integral_constantIbLb0EES1A_IbLb1EEEEDaS16_S17_EUlS16_E_NS1_11comp_targetILNS1_3genE8ELNS1_11target_archE1030ELNS1_3gpuE2ELNS1_3repE0EEENS1_30default_config_static_selectorELNS0_4arch9wavefront6targetE1EEEvT1_
		.amdhsa_group_segment_fixed_size 0
		.amdhsa_private_segment_fixed_size 0
		.amdhsa_kernarg_size 152
		.amdhsa_user_sgpr_count 6
		.amdhsa_user_sgpr_private_segment_buffer 1
		.amdhsa_user_sgpr_dispatch_ptr 0
		.amdhsa_user_sgpr_queue_ptr 0
		.amdhsa_user_sgpr_kernarg_segment_ptr 1
		.amdhsa_user_sgpr_dispatch_id 0
		.amdhsa_user_sgpr_flat_scratch_init 0
		.amdhsa_user_sgpr_kernarg_preload_length 0
		.amdhsa_user_sgpr_kernarg_preload_offset 0
		.amdhsa_user_sgpr_private_segment_size 0
		.amdhsa_uses_dynamic_stack 0
		.amdhsa_system_sgpr_private_segment_wavefront_offset 0
		.amdhsa_system_sgpr_workgroup_id_x 1
		.amdhsa_system_sgpr_workgroup_id_y 0
		.amdhsa_system_sgpr_workgroup_id_z 0
		.amdhsa_system_sgpr_workgroup_info 0
		.amdhsa_system_vgpr_workitem_id 0
		.amdhsa_next_free_vgpr 1
		.amdhsa_next_free_sgpr 0
		.amdhsa_accum_offset 4
		.amdhsa_reserve_vcc 0
		.amdhsa_reserve_flat_scratch 0
		.amdhsa_float_round_mode_32 0
		.amdhsa_float_round_mode_16_64 0
		.amdhsa_float_denorm_mode_32 3
		.amdhsa_float_denorm_mode_16_64 3
		.amdhsa_dx10_clamp 1
		.amdhsa_ieee_mode 1
		.amdhsa_fp16_overflow 0
		.amdhsa_tg_split 0
		.amdhsa_exception_fp_ieee_invalid_op 0
		.amdhsa_exception_fp_denorm_src 0
		.amdhsa_exception_fp_ieee_div_zero 0
		.amdhsa_exception_fp_ieee_overflow 0
		.amdhsa_exception_fp_ieee_underflow 0
		.amdhsa_exception_fp_ieee_inexact 0
		.amdhsa_exception_int_div_zero 0
	.end_amdhsa_kernel
	.section	.text._ZN7rocprim17ROCPRIM_400000_NS6detail17trampoline_kernelINS0_14default_configENS1_25partition_config_selectorILNS1_17partition_subalgoE1EtNS0_10empty_typeEbEEZZNS1_14partition_implILS5_1ELb0ES3_jN6thrust23THRUST_200600_302600_NS6detail15normal_iteratorINSA_10device_ptrItEEEEPS6_NSA_18transform_iteratorI7is_evenItESF_NSA_11use_defaultESK_EENS0_5tupleIJSF_NSA_16discard_iteratorISK_EEEEENSM_IJSG_SG_EEES6_PlJS6_EEE10hipError_tPvRmT3_T4_T5_T6_T7_T9_mT8_P12ihipStream_tbDpT10_ENKUlT_T0_E_clISt17integral_constantIbLb0EES1A_IbLb1EEEEDaS16_S17_EUlS16_E_NS1_11comp_targetILNS1_3genE8ELNS1_11target_archE1030ELNS1_3gpuE2ELNS1_3repE0EEENS1_30default_config_static_selectorELNS0_4arch9wavefront6targetE1EEEvT1_,"axG",@progbits,_ZN7rocprim17ROCPRIM_400000_NS6detail17trampoline_kernelINS0_14default_configENS1_25partition_config_selectorILNS1_17partition_subalgoE1EtNS0_10empty_typeEbEEZZNS1_14partition_implILS5_1ELb0ES3_jN6thrust23THRUST_200600_302600_NS6detail15normal_iteratorINSA_10device_ptrItEEEEPS6_NSA_18transform_iteratorI7is_evenItESF_NSA_11use_defaultESK_EENS0_5tupleIJSF_NSA_16discard_iteratorISK_EEEEENSM_IJSG_SG_EEES6_PlJS6_EEE10hipError_tPvRmT3_T4_T5_T6_T7_T9_mT8_P12ihipStream_tbDpT10_ENKUlT_T0_E_clISt17integral_constantIbLb0EES1A_IbLb1EEEEDaS16_S17_EUlS16_E_NS1_11comp_targetILNS1_3genE8ELNS1_11target_archE1030ELNS1_3gpuE2ELNS1_3repE0EEENS1_30default_config_static_selectorELNS0_4arch9wavefront6targetE1EEEvT1_,comdat
.Lfunc_end3130:
	.size	_ZN7rocprim17ROCPRIM_400000_NS6detail17trampoline_kernelINS0_14default_configENS1_25partition_config_selectorILNS1_17partition_subalgoE1EtNS0_10empty_typeEbEEZZNS1_14partition_implILS5_1ELb0ES3_jN6thrust23THRUST_200600_302600_NS6detail15normal_iteratorINSA_10device_ptrItEEEEPS6_NSA_18transform_iteratorI7is_evenItESF_NSA_11use_defaultESK_EENS0_5tupleIJSF_NSA_16discard_iteratorISK_EEEEENSM_IJSG_SG_EEES6_PlJS6_EEE10hipError_tPvRmT3_T4_T5_T6_T7_T9_mT8_P12ihipStream_tbDpT10_ENKUlT_T0_E_clISt17integral_constantIbLb0EES1A_IbLb1EEEEDaS16_S17_EUlS16_E_NS1_11comp_targetILNS1_3genE8ELNS1_11target_archE1030ELNS1_3gpuE2ELNS1_3repE0EEENS1_30default_config_static_selectorELNS0_4arch9wavefront6targetE1EEEvT1_, .Lfunc_end3130-_ZN7rocprim17ROCPRIM_400000_NS6detail17trampoline_kernelINS0_14default_configENS1_25partition_config_selectorILNS1_17partition_subalgoE1EtNS0_10empty_typeEbEEZZNS1_14partition_implILS5_1ELb0ES3_jN6thrust23THRUST_200600_302600_NS6detail15normal_iteratorINSA_10device_ptrItEEEEPS6_NSA_18transform_iteratorI7is_evenItESF_NSA_11use_defaultESK_EENS0_5tupleIJSF_NSA_16discard_iteratorISK_EEEEENSM_IJSG_SG_EEES6_PlJS6_EEE10hipError_tPvRmT3_T4_T5_T6_T7_T9_mT8_P12ihipStream_tbDpT10_ENKUlT_T0_E_clISt17integral_constantIbLb0EES1A_IbLb1EEEEDaS16_S17_EUlS16_E_NS1_11comp_targetILNS1_3genE8ELNS1_11target_archE1030ELNS1_3gpuE2ELNS1_3repE0EEENS1_30default_config_static_selectorELNS0_4arch9wavefront6targetE1EEEvT1_
                                        ; -- End function
	.section	.AMDGPU.csdata,"",@progbits
; Kernel info:
; codeLenInByte = 0
; NumSgprs: 4
; NumVgprs: 0
; NumAgprs: 0
; TotalNumVgprs: 0
; ScratchSize: 0
; MemoryBound: 0
; FloatMode: 240
; IeeeMode: 1
; LDSByteSize: 0 bytes/workgroup (compile time only)
; SGPRBlocks: 0
; VGPRBlocks: 0
; NumSGPRsForWavesPerEU: 4
; NumVGPRsForWavesPerEU: 1
; AccumOffset: 4
; Occupancy: 8
; WaveLimiterHint : 0
; COMPUTE_PGM_RSRC2:SCRATCH_EN: 0
; COMPUTE_PGM_RSRC2:USER_SGPR: 6
; COMPUTE_PGM_RSRC2:TRAP_HANDLER: 0
; COMPUTE_PGM_RSRC2:TGID_X_EN: 1
; COMPUTE_PGM_RSRC2:TGID_Y_EN: 0
; COMPUTE_PGM_RSRC2:TGID_Z_EN: 0
; COMPUTE_PGM_RSRC2:TIDIG_COMP_CNT: 0
; COMPUTE_PGM_RSRC3_GFX90A:ACCUM_OFFSET: 0
; COMPUTE_PGM_RSRC3_GFX90A:TG_SPLIT: 0
	.section	.text._ZN7rocprim17ROCPRIM_400000_NS6detail17trampoline_kernelINS0_14default_configENS1_25partition_config_selectorILNS1_17partition_subalgoE1EtNS0_10empty_typeEbEEZZNS1_14partition_implILS5_1ELb0ES3_jN6thrust23THRUST_200600_302600_NS6detail15normal_iteratorINSA_10device_ptrItEEEEPS6_NSA_18transform_iteratorI7is_evenItESF_NSA_11use_defaultESK_EENS0_5tupleIJNSA_16discard_iteratorISK_EESF_EEENSM_IJSG_SG_EEES6_PlJS6_EEE10hipError_tPvRmT3_T4_T5_T6_T7_T9_mT8_P12ihipStream_tbDpT10_ENKUlT_T0_E_clISt17integral_constantIbLb0EES1B_EEDaS16_S17_EUlS16_E_NS1_11comp_targetILNS1_3genE0ELNS1_11target_archE4294967295ELNS1_3gpuE0ELNS1_3repE0EEENS1_30default_config_static_selectorELNS0_4arch9wavefront6targetE1EEEvT1_,"axG",@progbits,_ZN7rocprim17ROCPRIM_400000_NS6detail17trampoline_kernelINS0_14default_configENS1_25partition_config_selectorILNS1_17partition_subalgoE1EtNS0_10empty_typeEbEEZZNS1_14partition_implILS5_1ELb0ES3_jN6thrust23THRUST_200600_302600_NS6detail15normal_iteratorINSA_10device_ptrItEEEEPS6_NSA_18transform_iteratorI7is_evenItESF_NSA_11use_defaultESK_EENS0_5tupleIJNSA_16discard_iteratorISK_EESF_EEENSM_IJSG_SG_EEES6_PlJS6_EEE10hipError_tPvRmT3_T4_T5_T6_T7_T9_mT8_P12ihipStream_tbDpT10_ENKUlT_T0_E_clISt17integral_constantIbLb0EES1B_EEDaS16_S17_EUlS16_E_NS1_11comp_targetILNS1_3genE0ELNS1_11target_archE4294967295ELNS1_3gpuE0ELNS1_3repE0EEENS1_30default_config_static_selectorELNS0_4arch9wavefront6targetE1EEEvT1_,comdat
	.protected	_ZN7rocprim17ROCPRIM_400000_NS6detail17trampoline_kernelINS0_14default_configENS1_25partition_config_selectorILNS1_17partition_subalgoE1EtNS0_10empty_typeEbEEZZNS1_14partition_implILS5_1ELb0ES3_jN6thrust23THRUST_200600_302600_NS6detail15normal_iteratorINSA_10device_ptrItEEEEPS6_NSA_18transform_iteratorI7is_evenItESF_NSA_11use_defaultESK_EENS0_5tupleIJNSA_16discard_iteratorISK_EESF_EEENSM_IJSG_SG_EEES6_PlJS6_EEE10hipError_tPvRmT3_T4_T5_T6_T7_T9_mT8_P12ihipStream_tbDpT10_ENKUlT_T0_E_clISt17integral_constantIbLb0EES1B_EEDaS16_S17_EUlS16_E_NS1_11comp_targetILNS1_3genE0ELNS1_11target_archE4294967295ELNS1_3gpuE0ELNS1_3repE0EEENS1_30default_config_static_selectorELNS0_4arch9wavefront6targetE1EEEvT1_ ; -- Begin function _ZN7rocprim17ROCPRIM_400000_NS6detail17trampoline_kernelINS0_14default_configENS1_25partition_config_selectorILNS1_17partition_subalgoE1EtNS0_10empty_typeEbEEZZNS1_14partition_implILS5_1ELb0ES3_jN6thrust23THRUST_200600_302600_NS6detail15normal_iteratorINSA_10device_ptrItEEEEPS6_NSA_18transform_iteratorI7is_evenItESF_NSA_11use_defaultESK_EENS0_5tupleIJNSA_16discard_iteratorISK_EESF_EEENSM_IJSG_SG_EEES6_PlJS6_EEE10hipError_tPvRmT3_T4_T5_T6_T7_T9_mT8_P12ihipStream_tbDpT10_ENKUlT_T0_E_clISt17integral_constantIbLb0EES1B_EEDaS16_S17_EUlS16_E_NS1_11comp_targetILNS1_3genE0ELNS1_11target_archE4294967295ELNS1_3gpuE0ELNS1_3repE0EEENS1_30default_config_static_selectorELNS0_4arch9wavefront6targetE1EEEvT1_
	.globl	_ZN7rocprim17ROCPRIM_400000_NS6detail17trampoline_kernelINS0_14default_configENS1_25partition_config_selectorILNS1_17partition_subalgoE1EtNS0_10empty_typeEbEEZZNS1_14partition_implILS5_1ELb0ES3_jN6thrust23THRUST_200600_302600_NS6detail15normal_iteratorINSA_10device_ptrItEEEEPS6_NSA_18transform_iteratorI7is_evenItESF_NSA_11use_defaultESK_EENS0_5tupleIJNSA_16discard_iteratorISK_EESF_EEENSM_IJSG_SG_EEES6_PlJS6_EEE10hipError_tPvRmT3_T4_T5_T6_T7_T9_mT8_P12ihipStream_tbDpT10_ENKUlT_T0_E_clISt17integral_constantIbLb0EES1B_EEDaS16_S17_EUlS16_E_NS1_11comp_targetILNS1_3genE0ELNS1_11target_archE4294967295ELNS1_3gpuE0ELNS1_3repE0EEENS1_30default_config_static_selectorELNS0_4arch9wavefront6targetE1EEEvT1_
	.p2align	8
	.type	_ZN7rocprim17ROCPRIM_400000_NS6detail17trampoline_kernelINS0_14default_configENS1_25partition_config_selectorILNS1_17partition_subalgoE1EtNS0_10empty_typeEbEEZZNS1_14partition_implILS5_1ELb0ES3_jN6thrust23THRUST_200600_302600_NS6detail15normal_iteratorINSA_10device_ptrItEEEEPS6_NSA_18transform_iteratorI7is_evenItESF_NSA_11use_defaultESK_EENS0_5tupleIJNSA_16discard_iteratorISK_EESF_EEENSM_IJSG_SG_EEES6_PlJS6_EEE10hipError_tPvRmT3_T4_T5_T6_T7_T9_mT8_P12ihipStream_tbDpT10_ENKUlT_T0_E_clISt17integral_constantIbLb0EES1B_EEDaS16_S17_EUlS16_E_NS1_11comp_targetILNS1_3genE0ELNS1_11target_archE4294967295ELNS1_3gpuE0ELNS1_3repE0EEENS1_30default_config_static_selectorELNS0_4arch9wavefront6targetE1EEEvT1_,@function
_ZN7rocprim17ROCPRIM_400000_NS6detail17trampoline_kernelINS0_14default_configENS1_25partition_config_selectorILNS1_17partition_subalgoE1EtNS0_10empty_typeEbEEZZNS1_14partition_implILS5_1ELb0ES3_jN6thrust23THRUST_200600_302600_NS6detail15normal_iteratorINSA_10device_ptrItEEEEPS6_NSA_18transform_iteratorI7is_evenItESF_NSA_11use_defaultESK_EENS0_5tupleIJNSA_16discard_iteratorISK_EESF_EEENSM_IJSG_SG_EEES6_PlJS6_EEE10hipError_tPvRmT3_T4_T5_T6_T7_T9_mT8_P12ihipStream_tbDpT10_ENKUlT_T0_E_clISt17integral_constantIbLb0EES1B_EEDaS16_S17_EUlS16_E_NS1_11comp_targetILNS1_3genE0ELNS1_11target_archE4294967295ELNS1_3gpuE0ELNS1_3repE0EEENS1_30default_config_static_selectorELNS0_4arch9wavefront6targetE1EEEvT1_: ; @_ZN7rocprim17ROCPRIM_400000_NS6detail17trampoline_kernelINS0_14default_configENS1_25partition_config_selectorILNS1_17partition_subalgoE1EtNS0_10empty_typeEbEEZZNS1_14partition_implILS5_1ELb0ES3_jN6thrust23THRUST_200600_302600_NS6detail15normal_iteratorINSA_10device_ptrItEEEEPS6_NSA_18transform_iteratorI7is_evenItESF_NSA_11use_defaultESK_EENS0_5tupleIJNSA_16discard_iteratorISK_EESF_EEENSM_IJSG_SG_EEES6_PlJS6_EEE10hipError_tPvRmT3_T4_T5_T6_T7_T9_mT8_P12ihipStream_tbDpT10_ENKUlT_T0_E_clISt17integral_constantIbLb0EES1B_EEDaS16_S17_EUlS16_E_NS1_11comp_targetILNS1_3genE0ELNS1_11target_archE4294967295ELNS1_3gpuE0ELNS1_3repE0EEENS1_30default_config_static_selectorELNS0_4arch9wavefront6targetE1EEEvT1_
; %bb.0:
	.section	.rodata,"a",@progbits
	.p2align	6, 0x0
	.amdhsa_kernel _ZN7rocprim17ROCPRIM_400000_NS6detail17trampoline_kernelINS0_14default_configENS1_25partition_config_selectorILNS1_17partition_subalgoE1EtNS0_10empty_typeEbEEZZNS1_14partition_implILS5_1ELb0ES3_jN6thrust23THRUST_200600_302600_NS6detail15normal_iteratorINSA_10device_ptrItEEEEPS6_NSA_18transform_iteratorI7is_evenItESF_NSA_11use_defaultESK_EENS0_5tupleIJNSA_16discard_iteratorISK_EESF_EEENSM_IJSG_SG_EEES6_PlJS6_EEE10hipError_tPvRmT3_T4_T5_T6_T7_T9_mT8_P12ihipStream_tbDpT10_ENKUlT_T0_E_clISt17integral_constantIbLb0EES1B_EEDaS16_S17_EUlS16_E_NS1_11comp_targetILNS1_3genE0ELNS1_11target_archE4294967295ELNS1_3gpuE0ELNS1_3repE0EEENS1_30default_config_static_selectorELNS0_4arch9wavefront6targetE1EEEvT1_
		.amdhsa_group_segment_fixed_size 0
		.amdhsa_private_segment_fixed_size 0
		.amdhsa_kernarg_size 136
		.amdhsa_user_sgpr_count 6
		.amdhsa_user_sgpr_private_segment_buffer 1
		.amdhsa_user_sgpr_dispatch_ptr 0
		.amdhsa_user_sgpr_queue_ptr 0
		.amdhsa_user_sgpr_kernarg_segment_ptr 1
		.amdhsa_user_sgpr_dispatch_id 0
		.amdhsa_user_sgpr_flat_scratch_init 0
		.amdhsa_user_sgpr_kernarg_preload_length 0
		.amdhsa_user_sgpr_kernarg_preload_offset 0
		.amdhsa_user_sgpr_private_segment_size 0
		.amdhsa_uses_dynamic_stack 0
		.amdhsa_system_sgpr_private_segment_wavefront_offset 0
		.amdhsa_system_sgpr_workgroup_id_x 1
		.amdhsa_system_sgpr_workgroup_id_y 0
		.amdhsa_system_sgpr_workgroup_id_z 0
		.amdhsa_system_sgpr_workgroup_info 0
		.amdhsa_system_vgpr_workitem_id 0
		.amdhsa_next_free_vgpr 1
		.amdhsa_next_free_sgpr 0
		.amdhsa_accum_offset 4
		.amdhsa_reserve_vcc 0
		.amdhsa_reserve_flat_scratch 0
		.amdhsa_float_round_mode_32 0
		.amdhsa_float_round_mode_16_64 0
		.amdhsa_float_denorm_mode_32 3
		.amdhsa_float_denorm_mode_16_64 3
		.amdhsa_dx10_clamp 1
		.amdhsa_ieee_mode 1
		.amdhsa_fp16_overflow 0
		.amdhsa_tg_split 0
		.amdhsa_exception_fp_ieee_invalid_op 0
		.amdhsa_exception_fp_denorm_src 0
		.amdhsa_exception_fp_ieee_div_zero 0
		.amdhsa_exception_fp_ieee_overflow 0
		.amdhsa_exception_fp_ieee_underflow 0
		.amdhsa_exception_fp_ieee_inexact 0
		.amdhsa_exception_int_div_zero 0
	.end_amdhsa_kernel
	.section	.text._ZN7rocprim17ROCPRIM_400000_NS6detail17trampoline_kernelINS0_14default_configENS1_25partition_config_selectorILNS1_17partition_subalgoE1EtNS0_10empty_typeEbEEZZNS1_14partition_implILS5_1ELb0ES3_jN6thrust23THRUST_200600_302600_NS6detail15normal_iteratorINSA_10device_ptrItEEEEPS6_NSA_18transform_iteratorI7is_evenItESF_NSA_11use_defaultESK_EENS0_5tupleIJNSA_16discard_iteratorISK_EESF_EEENSM_IJSG_SG_EEES6_PlJS6_EEE10hipError_tPvRmT3_T4_T5_T6_T7_T9_mT8_P12ihipStream_tbDpT10_ENKUlT_T0_E_clISt17integral_constantIbLb0EES1B_EEDaS16_S17_EUlS16_E_NS1_11comp_targetILNS1_3genE0ELNS1_11target_archE4294967295ELNS1_3gpuE0ELNS1_3repE0EEENS1_30default_config_static_selectorELNS0_4arch9wavefront6targetE1EEEvT1_,"axG",@progbits,_ZN7rocprim17ROCPRIM_400000_NS6detail17trampoline_kernelINS0_14default_configENS1_25partition_config_selectorILNS1_17partition_subalgoE1EtNS0_10empty_typeEbEEZZNS1_14partition_implILS5_1ELb0ES3_jN6thrust23THRUST_200600_302600_NS6detail15normal_iteratorINSA_10device_ptrItEEEEPS6_NSA_18transform_iteratorI7is_evenItESF_NSA_11use_defaultESK_EENS0_5tupleIJNSA_16discard_iteratorISK_EESF_EEENSM_IJSG_SG_EEES6_PlJS6_EEE10hipError_tPvRmT3_T4_T5_T6_T7_T9_mT8_P12ihipStream_tbDpT10_ENKUlT_T0_E_clISt17integral_constantIbLb0EES1B_EEDaS16_S17_EUlS16_E_NS1_11comp_targetILNS1_3genE0ELNS1_11target_archE4294967295ELNS1_3gpuE0ELNS1_3repE0EEENS1_30default_config_static_selectorELNS0_4arch9wavefront6targetE1EEEvT1_,comdat
.Lfunc_end3131:
	.size	_ZN7rocprim17ROCPRIM_400000_NS6detail17trampoline_kernelINS0_14default_configENS1_25partition_config_selectorILNS1_17partition_subalgoE1EtNS0_10empty_typeEbEEZZNS1_14partition_implILS5_1ELb0ES3_jN6thrust23THRUST_200600_302600_NS6detail15normal_iteratorINSA_10device_ptrItEEEEPS6_NSA_18transform_iteratorI7is_evenItESF_NSA_11use_defaultESK_EENS0_5tupleIJNSA_16discard_iteratorISK_EESF_EEENSM_IJSG_SG_EEES6_PlJS6_EEE10hipError_tPvRmT3_T4_T5_T6_T7_T9_mT8_P12ihipStream_tbDpT10_ENKUlT_T0_E_clISt17integral_constantIbLb0EES1B_EEDaS16_S17_EUlS16_E_NS1_11comp_targetILNS1_3genE0ELNS1_11target_archE4294967295ELNS1_3gpuE0ELNS1_3repE0EEENS1_30default_config_static_selectorELNS0_4arch9wavefront6targetE1EEEvT1_, .Lfunc_end3131-_ZN7rocprim17ROCPRIM_400000_NS6detail17trampoline_kernelINS0_14default_configENS1_25partition_config_selectorILNS1_17partition_subalgoE1EtNS0_10empty_typeEbEEZZNS1_14partition_implILS5_1ELb0ES3_jN6thrust23THRUST_200600_302600_NS6detail15normal_iteratorINSA_10device_ptrItEEEEPS6_NSA_18transform_iteratorI7is_evenItESF_NSA_11use_defaultESK_EENS0_5tupleIJNSA_16discard_iteratorISK_EESF_EEENSM_IJSG_SG_EEES6_PlJS6_EEE10hipError_tPvRmT3_T4_T5_T6_T7_T9_mT8_P12ihipStream_tbDpT10_ENKUlT_T0_E_clISt17integral_constantIbLb0EES1B_EEDaS16_S17_EUlS16_E_NS1_11comp_targetILNS1_3genE0ELNS1_11target_archE4294967295ELNS1_3gpuE0ELNS1_3repE0EEENS1_30default_config_static_selectorELNS0_4arch9wavefront6targetE1EEEvT1_
                                        ; -- End function
	.section	.AMDGPU.csdata,"",@progbits
; Kernel info:
; codeLenInByte = 0
; NumSgprs: 4
; NumVgprs: 0
; NumAgprs: 0
; TotalNumVgprs: 0
; ScratchSize: 0
; MemoryBound: 0
; FloatMode: 240
; IeeeMode: 1
; LDSByteSize: 0 bytes/workgroup (compile time only)
; SGPRBlocks: 0
; VGPRBlocks: 0
; NumSGPRsForWavesPerEU: 4
; NumVGPRsForWavesPerEU: 1
; AccumOffset: 4
; Occupancy: 8
; WaveLimiterHint : 0
; COMPUTE_PGM_RSRC2:SCRATCH_EN: 0
; COMPUTE_PGM_RSRC2:USER_SGPR: 6
; COMPUTE_PGM_RSRC2:TRAP_HANDLER: 0
; COMPUTE_PGM_RSRC2:TGID_X_EN: 1
; COMPUTE_PGM_RSRC2:TGID_Y_EN: 0
; COMPUTE_PGM_RSRC2:TGID_Z_EN: 0
; COMPUTE_PGM_RSRC2:TIDIG_COMP_CNT: 0
; COMPUTE_PGM_RSRC3_GFX90A:ACCUM_OFFSET: 0
; COMPUTE_PGM_RSRC3_GFX90A:TG_SPLIT: 0
	.section	.text._ZN7rocprim17ROCPRIM_400000_NS6detail17trampoline_kernelINS0_14default_configENS1_25partition_config_selectorILNS1_17partition_subalgoE1EtNS0_10empty_typeEbEEZZNS1_14partition_implILS5_1ELb0ES3_jN6thrust23THRUST_200600_302600_NS6detail15normal_iteratorINSA_10device_ptrItEEEEPS6_NSA_18transform_iteratorI7is_evenItESF_NSA_11use_defaultESK_EENS0_5tupleIJNSA_16discard_iteratorISK_EESF_EEENSM_IJSG_SG_EEES6_PlJS6_EEE10hipError_tPvRmT3_T4_T5_T6_T7_T9_mT8_P12ihipStream_tbDpT10_ENKUlT_T0_E_clISt17integral_constantIbLb0EES1B_EEDaS16_S17_EUlS16_E_NS1_11comp_targetILNS1_3genE5ELNS1_11target_archE942ELNS1_3gpuE9ELNS1_3repE0EEENS1_30default_config_static_selectorELNS0_4arch9wavefront6targetE1EEEvT1_,"axG",@progbits,_ZN7rocprim17ROCPRIM_400000_NS6detail17trampoline_kernelINS0_14default_configENS1_25partition_config_selectorILNS1_17partition_subalgoE1EtNS0_10empty_typeEbEEZZNS1_14partition_implILS5_1ELb0ES3_jN6thrust23THRUST_200600_302600_NS6detail15normal_iteratorINSA_10device_ptrItEEEEPS6_NSA_18transform_iteratorI7is_evenItESF_NSA_11use_defaultESK_EENS0_5tupleIJNSA_16discard_iteratorISK_EESF_EEENSM_IJSG_SG_EEES6_PlJS6_EEE10hipError_tPvRmT3_T4_T5_T6_T7_T9_mT8_P12ihipStream_tbDpT10_ENKUlT_T0_E_clISt17integral_constantIbLb0EES1B_EEDaS16_S17_EUlS16_E_NS1_11comp_targetILNS1_3genE5ELNS1_11target_archE942ELNS1_3gpuE9ELNS1_3repE0EEENS1_30default_config_static_selectorELNS0_4arch9wavefront6targetE1EEEvT1_,comdat
	.protected	_ZN7rocprim17ROCPRIM_400000_NS6detail17trampoline_kernelINS0_14default_configENS1_25partition_config_selectorILNS1_17partition_subalgoE1EtNS0_10empty_typeEbEEZZNS1_14partition_implILS5_1ELb0ES3_jN6thrust23THRUST_200600_302600_NS6detail15normal_iteratorINSA_10device_ptrItEEEEPS6_NSA_18transform_iteratorI7is_evenItESF_NSA_11use_defaultESK_EENS0_5tupleIJNSA_16discard_iteratorISK_EESF_EEENSM_IJSG_SG_EEES6_PlJS6_EEE10hipError_tPvRmT3_T4_T5_T6_T7_T9_mT8_P12ihipStream_tbDpT10_ENKUlT_T0_E_clISt17integral_constantIbLb0EES1B_EEDaS16_S17_EUlS16_E_NS1_11comp_targetILNS1_3genE5ELNS1_11target_archE942ELNS1_3gpuE9ELNS1_3repE0EEENS1_30default_config_static_selectorELNS0_4arch9wavefront6targetE1EEEvT1_ ; -- Begin function _ZN7rocprim17ROCPRIM_400000_NS6detail17trampoline_kernelINS0_14default_configENS1_25partition_config_selectorILNS1_17partition_subalgoE1EtNS0_10empty_typeEbEEZZNS1_14partition_implILS5_1ELb0ES3_jN6thrust23THRUST_200600_302600_NS6detail15normal_iteratorINSA_10device_ptrItEEEEPS6_NSA_18transform_iteratorI7is_evenItESF_NSA_11use_defaultESK_EENS0_5tupleIJNSA_16discard_iteratorISK_EESF_EEENSM_IJSG_SG_EEES6_PlJS6_EEE10hipError_tPvRmT3_T4_T5_T6_T7_T9_mT8_P12ihipStream_tbDpT10_ENKUlT_T0_E_clISt17integral_constantIbLb0EES1B_EEDaS16_S17_EUlS16_E_NS1_11comp_targetILNS1_3genE5ELNS1_11target_archE942ELNS1_3gpuE9ELNS1_3repE0EEENS1_30default_config_static_selectorELNS0_4arch9wavefront6targetE1EEEvT1_
	.globl	_ZN7rocprim17ROCPRIM_400000_NS6detail17trampoline_kernelINS0_14default_configENS1_25partition_config_selectorILNS1_17partition_subalgoE1EtNS0_10empty_typeEbEEZZNS1_14partition_implILS5_1ELb0ES3_jN6thrust23THRUST_200600_302600_NS6detail15normal_iteratorINSA_10device_ptrItEEEEPS6_NSA_18transform_iteratorI7is_evenItESF_NSA_11use_defaultESK_EENS0_5tupleIJNSA_16discard_iteratorISK_EESF_EEENSM_IJSG_SG_EEES6_PlJS6_EEE10hipError_tPvRmT3_T4_T5_T6_T7_T9_mT8_P12ihipStream_tbDpT10_ENKUlT_T0_E_clISt17integral_constantIbLb0EES1B_EEDaS16_S17_EUlS16_E_NS1_11comp_targetILNS1_3genE5ELNS1_11target_archE942ELNS1_3gpuE9ELNS1_3repE0EEENS1_30default_config_static_selectorELNS0_4arch9wavefront6targetE1EEEvT1_
	.p2align	8
	.type	_ZN7rocprim17ROCPRIM_400000_NS6detail17trampoline_kernelINS0_14default_configENS1_25partition_config_selectorILNS1_17partition_subalgoE1EtNS0_10empty_typeEbEEZZNS1_14partition_implILS5_1ELb0ES3_jN6thrust23THRUST_200600_302600_NS6detail15normal_iteratorINSA_10device_ptrItEEEEPS6_NSA_18transform_iteratorI7is_evenItESF_NSA_11use_defaultESK_EENS0_5tupleIJNSA_16discard_iteratorISK_EESF_EEENSM_IJSG_SG_EEES6_PlJS6_EEE10hipError_tPvRmT3_T4_T5_T6_T7_T9_mT8_P12ihipStream_tbDpT10_ENKUlT_T0_E_clISt17integral_constantIbLb0EES1B_EEDaS16_S17_EUlS16_E_NS1_11comp_targetILNS1_3genE5ELNS1_11target_archE942ELNS1_3gpuE9ELNS1_3repE0EEENS1_30default_config_static_selectorELNS0_4arch9wavefront6targetE1EEEvT1_,@function
_ZN7rocprim17ROCPRIM_400000_NS6detail17trampoline_kernelINS0_14default_configENS1_25partition_config_selectorILNS1_17partition_subalgoE1EtNS0_10empty_typeEbEEZZNS1_14partition_implILS5_1ELb0ES3_jN6thrust23THRUST_200600_302600_NS6detail15normal_iteratorINSA_10device_ptrItEEEEPS6_NSA_18transform_iteratorI7is_evenItESF_NSA_11use_defaultESK_EENS0_5tupleIJNSA_16discard_iteratorISK_EESF_EEENSM_IJSG_SG_EEES6_PlJS6_EEE10hipError_tPvRmT3_T4_T5_T6_T7_T9_mT8_P12ihipStream_tbDpT10_ENKUlT_T0_E_clISt17integral_constantIbLb0EES1B_EEDaS16_S17_EUlS16_E_NS1_11comp_targetILNS1_3genE5ELNS1_11target_archE942ELNS1_3gpuE9ELNS1_3repE0EEENS1_30default_config_static_selectorELNS0_4arch9wavefront6targetE1EEEvT1_: ; @_ZN7rocprim17ROCPRIM_400000_NS6detail17trampoline_kernelINS0_14default_configENS1_25partition_config_selectorILNS1_17partition_subalgoE1EtNS0_10empty_typeEbEEZZNS1_14partition_implILS5_1ELb0ES3_jN6thrust23THRUST_200600_302600_NS6detail15normal_iteratorINSA_10device_ptrItEEEEPS6_NSA_18transform_iteratorI7is_evenItESF_NSA_11use_defaultESK_EENS0_5tupleIJNSA_16discard_iteratorISK_EESF_EEENSM_IJSG_SG_EEES6_PlJS6_EEE10hipError_tPvRmT3_T4_T5_T6_T7_T9_mT8_P12ihipStream_tbDpT10_ENKUlT_T0_E_clISt17integral_constantIbLb0EES1B_EEDaS16_S17_EUlS16_E_NS1_11comp_targetILNS1_3genE5ELNS1_11target_archE942ELNS1_3gpuE9ELNS1_3repE0EEENS1_30default_config_static_selectorELNS0_4arch9wavefront6targetE1EEEvT1_
; %bb.0:
	.section	.rodata,"a",@progbits
	.p2align	6, 0x0
	.amdhsa_kernel _ZN7rocprim17ROCPRIM_400000_NS6detail17trampoline_kernelINS0_14default_configENS1_25partition_config_selectorILNS1_17partition_subalgoE1EtNS0_10empty_typeEbEEZZNS1_14partition_implILS5_1ELb0ES3_jN6thrust23THRUST_200600_302600_NS6detail15normal_iteratorINSA_10device_ptrItEEEEPS6_NSA_18transform_iteratorI7is_evenItESF_NSA_11use_defaultESK_EENS0_5tupleIJNSA_16discard_iteratorISK_EESF_EEENSM_IJSG_SG_EEES6_PlJS6_EEE10hipError_tPvRmT3_T4_T5_T6_T7_T9_mT8_P12ihipStream_tbDpT10_ENKUlT_T0_E_clISt17integral_constantIbLb0EES1B_EEDaS16_S17_EUlS16_E_NS1_11comp_targetILNS1_3genE5ELNS1_11target_archE942ELNS1_3gpuE9ELNS1_3repE0EEENS1_30default_config_static_selectorELNS0_4arch9wavefront6targetE1EEEvT1_
		.amdhsa_group_segment_fixed_size 0
		.amdhsa_private_segment_fixed_size 0
		.amdhsa_kernarg_size 136
		.amdhsa_user_sgpr_count 6
		.amdhsa_user_sgpr_private_segment_buffer 1
		.amdhsa_user_sgpr_dispatch_ptr 0
		.amdhsa_user_sgpr_queue_ptr 0
		.amdhsa_user_sgpr_kernarg_segment_ptr 1
		.amdhsa_user_sgpr_dispatch_id 0
		.amdhsa_user_sgpr_flat_scratch_init 0
		.amdhsa_user_sgpr_kernarg_preload_length 0
		.amdhsa_user_sgpr_kernarg_preload_offset 0
		.amdhsa_user_sgpr_private_segment_size 0
		.amdhsa_uses_dynamic_stack 0
		.amdhsa_system_sgpr_private_segment_wavefront_offset 0
		.amdhsa_system_sgpr_workgroup_id_x 1
		.amdhsa_system_sgpr_workgroup_id_y 0
		.amdhsa_system_sgpr_workgroup_id_z 0
		.amdhsa_system_sgpr_workgroup_info 0
		.amdhsa_system_vgpr_workitem_id 0
		.amdhsa_next_free_vgpr 1
		.amdhsa_next_free_sgpr 0
		.amdhsa_accum_offset 4
		.amdhsa_reserve_vcc 0
		.amdhsa_reserve_flat_scratch 0
		.amdhsa_float_round_mode_32 0
		.amdhsa_float_round_mode_16_64 0
		.amdhsa_float_denorm_mode_32 3
		.amdhsa_float_denorm_mode_16_64 3
		.amdhsa_dx10_clamp 1
		.amdhsa_ieee_mode 1
		.amdhsa_fp16_overflow 0
		.amdhsa_tg_split 0
		.amdhsa_exception_fp_ieee_invalid_op 0
		.amdhsa_exception_fp_denorm_src 0
		.amdhsa_exception_fp_ieee_div_zero 0
		.amdhsa_exception_fp_ieee_overflow 0
		.amdhsa_exception_fp_ieee_underflow 0
		.amdhsa_exception_fp_ieee_inexact 0
		.amdhsa_exception_int_div_zero 0
	.end_amdhsa_kernel
	.section	.text._ZN7rocprim17ROCPRIM_400000_NS6detail17trampoline_kernelINS0_14default_configENS1_25partition_config_selectorILNS1_17partition_subalgoE1EtNS0_10empty_typeEbEEZZNS1_14partition_implILS5_1ELb0ES3_jN6thrust23THRUST_200600_302600_NS6detail15normal_iteratorINSA_10device_ptrItEEEEPS6_NSA_18transform_iteratorI7is_evenItESF_NSA_11use_defaultESK_EENS0_5tupleIJNSA_16discard_iteratorISK_EESF_EEENSM_IJSG_SG_EEES6_PlJS6_EEE10hipError_tPvRmT3_T4_T5_T6_T7_T9_mT8_P12ihipStream_tbDpT10_ENKUlT_T0_E_clISt17integral_constantIbLb0EES1B_EEDaS16_S17_EUlS16_E_NS1_11comp_targetILNS1_3genE5ELNS1_11target_archE942ELNS1_3gpuE9ELNS1_3repE0EEENS1_30default_config_static_selectorELNS0_4arch9wavefront6targetE1EEEvT1_,"axG",@progbits,_ZN7rocprim17ROCPRIM_400000_NS6detail17trampoline_kernelINS0_14default_configENS1_25partition_config_selectorILNS1_17partition_subalgoE1EtNS0_10empty_typeEbEEZZNS1_14partition_implILS5_1ELb0ES3_jN6thrust23THRUST_200600_302600_NS6detail15normal_iteratorINSA_10device_ptrItEEEEPS6_NSA_18transform_iteratorI7is_evenItESF_NSA_11use_defaultESK_EENS0_5tupleIJNSA_16discard_iteratorISK_EESF_EEENSM_IJSG_SG_EEES6_PlJS6_EEE10hipError_tPvRmT3_T4_T5_T6_T7_T9_mT8_P12ihipStream_tbDpT10_ENKUlT_T0_E_clISt17integral_constantIbLb0EES1B_EEDaS16_S17_EUlS16_E_NS1_11comp_targetILNS1_3genE5ELNS1_11target_archE942ELNS1_3gpuE9ELNS1_3repE0EEENS1_30default_config_static_selectorELNS0_4arch9wavefront6targetE1EEEvT1_,comdat
.Lfunc_end3132:
	.size	_ZN7rocprim17ROCPRIM_400000_NS6detail17trampoline_kernelINS0_14default_configENS1_25partition_config_selectorILNS1_17partition_subalgoE1EtNS0_10empty_typeEbEEZZNS1_14partition_implILS5_1ELb0ES3_jN6thrust23THRUST_200600_302600_NS6detail15normal_iteratorINSA_10device_ptrItEEEEPS6_NSA_18transform_iteratorI7is_evenItESF_NSA_11use_defaultESK_EENS0_5tupleIJNSA_16discard_iteratorISK_EESF_EEENSM_IJSG_SG_EEES6_PlJS6_EEE10hipError_tPvRmT3_T4_T5_T6_T7_T9_mT8_P12ihipStream_tbDpT10_ENKUlT_T0_E_clISt17integral_constantIbLb0EES1B_EEDaS16_S17_EUlS16_E_NS1_11comp_targetILNS1_3genE5ELNS1_11target_archE942ELNS1_3gpuE9ELNS1_3repE0EEENS1_30default_config_static_selectorELNS0_4arch9wavefront6targetE1EEEvT1_, .Lfunc_end3132-_ZN7rocprim17ROCPRIM_400000_NS6detail17trampoline_kernelINS0_14default_configENS1_25partition_config_selectorILNS1_17partition_subalgoE1EtNS0_10empty_typeEbEEZZNS1_14partition_implILS5_1ELb0ES3_jN6thrust23THRUST_200600_302600_NS6detail15normal_iteratorINSA_10device_ptrItEEEEPS6_NSA_18transform_iteratorI7is_evenItESF_NSA_11use_defaultESK_EENS0_5tupleIJNSA_16discard_iteratorISK_EESF_EEENSM_IJSG_SG_EEES6_PlJS6_EEE10hipError_tPvRmT3_T4_T5_T6_T7_T9_mT8_P12ihipStream_tbDpT10_ENKUlT_T0_E_clISt17integral_constantIbLb0EES1B_EEDaS16_S17_EUlS16_E_NS1_11comp_targetILNS1_3genE5ELNS1_11target_archE942ELNS1_3gpuE9ELNS1_3repE0EEENS1_30default_config_static_selectorELNS0_4arch9wavefront6targetE1EEEvT1_
                                        ; -- End function
	.section	.AMDGPU.csdata,"",@progbits
; Kernel info:
; codeLenInByte = 0
; NumSgprs: 4
; NumVgprs: 0
; NumAgprs: 0
; TotalNumVgprs: 0
; ScratchSize: 0
; MemoryBound: 0
; FloatMode: 240
; IeeeMode: 1
; LDSByteSize: 0 bytes/workgroup (compile time only)
; SGPRBlocks: 0
; VGPRBlocks: 0
; NumSGPRsForWavesPerEU: 4
; NumVGPRsForWavesPerEU: 1
; AccumOffset: 4
; Occupancy: 8
; WaveLimiterHint : 0
; COMPUTE_PGM_RSRC2:SCRATCH_EN: 0
; COMPUTE_PGM_RSRC2:USER_SGPR: 6
; COMPUTE_PGM_RSRC2:TRAP_HANDLER: 0
; COMPUTE_PGM_RSRC2:TGID_X_EN: 1
; COMPUTE_PGM_RSRC2:TGID_Y_EN: 0
; COMPUTE_PGM_RSRC2:TGID_Z_EN: 0
; COMPUTE_PGM_RSRC2:TIDIG_COMP_CNT: 0
; COMPUTE_PGM_RSRC3_GFX90A:ACCUM_OFFSET: 0
; COMPUTE_PGM_RSRC3_GFX90A:TG_SPLIT: 0
	.section	.text._ZN7rocprim17ROCPRIM_400000_NS6detail17trampoline_kernelINS0_14default_configENS1_25partition_config_selectorILNS1_17partition_subalgoE1EtNS0_10empty_typeEbEEZZNS1_14partition_implILS5_1ELb0ES3_jN6thrust23THRUST_200600_302600_NS6detail15normal_iteratorINSA_10device_ptrItEEEEPS6_NSA_18transform_iteratorI7is_evenItESF_NSA_11use_defaultESK_EENS0_5tupleIJNSA_16discard_iteratorISK_EESF_EEENSM_IJSG_SG_EEES6_PlJS6_EEE10hipError_tPvRmT3_T4_T5_T6_T7_T9_mT8_P12ihipStream_tbDpT10_ENKUlT_T0_E_clISt17integral_constantIbLb0EES1B_EEDaS16_S17_EUlS16_E_NS1_11comp_targetILNS1_3genE4ELNS1_11target_archE910ELNS1_3gpuE8ELNS1_3repE0EEENS1_30default_config_static_selectorELNS0_4arch9wavefront6targetE1EEEvT1_,"axG",@progbits,_ZN7rocprim17ROCPRIM_400000_NS6detail17trampoline_kernelINS0_14default_configENS1_25partition_config_selectorILNS1_17partition_subalgoE1EtNS0_10empty_typeEbEEZZNS1_14partition_implILS5_1ELb0ES3_jN6thrust23THRUST_200600_302600_NS6detail15normal_iteratorINSA_10device_ptrItEEEEPS6_NSA_18transform_iteratorI7is_evenItESF_NSA_11use_defaultESK_EENS0_5tupleIJNSA_16discard_iteratorISK_EESF_EEENSM_IJSG_SG_EEES6_PlJS6_EEE10hipError_tPvRmT3_T4_T5_T6_T7_T9_mT8_P12ihipStream_tbDpT10_ENKUlT_T0_E_clISt17integral_constantIbLb0EES1B_EEDaS16_S17_EUlS16_E_NS1_11comp_targetILNS1_3genE4ELNS1_11target_archE910ELNS1_3gpuE8ELNS1_3repE0EEENS1_30default_config_static_selectorELNS0_4arch9wavefront6targetE1EEEvT1_,comdat
	.protected	_ZN7rocprim17ROCPRIM_400000_NS6detail17trampoline_kernelINS0_14default_configENS1_25partition_config_selectorILNS1_17partition_subalgoE1EtNS0_10empty_typeEbEEZZNS1_14partition_implILS5_1ELb0ES3_jN6thrust23THRUST_200600_302600_NS6detail15normal_iteratorINSA_10device_ptrItEEEEPS6_NSA_18transform_iteratorI7is_evenItESF_NSA_11use_defaultESK_EENS0_5tupleIJNSA_16discard_iteratorISK_EESF_EEENSM_IJSG_SG_EEES6_PlJS6_EEE10hipError_tPvRmT3_T4_T5_T6_T7_T9_mT8_P12ihipStream_tbDpT10_ENKUlT_T0_E_clISt17integral_constantIbLb0EES1B_EEDaS16_S17_EUlS16_E_NS1_11comp_targetILNS1_3genE4ELNS1_11target_archE910ELNS1_3gpuE8ELNS1_3repE0EEENS1_30default_config_static_selectorELNS0_4arch9wavefront6targetE1EEEvT1_ ; -- Begin function _ZN7rocprim17ROCPRIM_400000_NS6detail17trampoline_kernelINS0_14default_configENS1_25partition_config_selectorILNS1_17partition_subalgoE1EtNS0_10empty_typeEbEEZZNS1_14partition_implILS5_1ELb0ES3_jN6thrust23THRUST_200600_302600_NS6detail15normal_iteratorINSA_10device_ptrItEEEEPS6_NSA_18transform_iteratorI7is_evenItESF_NSA_11use_defaultESK_EENS0_5tupleIJNSA_16discard_iteratorISK_EESF_EEENSM_IJSG_SG_EEES6_PlJS6_EEE10hipError_tPvRmT3_T4_T5_T6_T7_T9_mT8_P12ihipStream_tbDpT10_ENKUlT_T0_E_clISt17integral_constantIbLb0EES1B_EEDaS16_S17_EUlS16_E_NS1_11comp_targetILNS1_3genE4ELNS1_11target_archE910ELNS1_3gpuE8ELNS1_3repE0EEENS1_30default_config_static_selectorELNS0_4arch9wavefront6targetE1EEEvT1_
	.globl	_ZN7rocprim17ROCPRIM_400000_NS6detail17trampoline_kernelINS0_14default_configENS1_25partition_config_selectorILNS1_17partition_subalgoE1EtNS0_10empty_typeEbEEZZNS1_14partition_implILS5_1ELb0ES3_jN6thrust23THRUST_200600_302600_NS6detail15normal_iteratorINSA_10device_ptrItEEEEPS6_NSA_18transform_iteratorI7is_evenItESF_NSA_11use_defaultESK_EENS0_5tupleIJNSA_16discard_iteratorISK_EESF_EEENSM_IJSG_SG_EEES6_PlJS6_EEE10hipError_tPvRmT3_T4_T5_T6_T7_T9_mT8_P12ihipStream_tbDpT10_ENKUlT_T0_E_clISt17integral_constantIbLb0EES1B_EEDaS16_S17_EUlS16_E_NS1_11comp_targetILNS1_3genE4ELNS1_11target_archE910ELNS1_3gpuE8ELNS1_3repE0EEENS1_30default_config_static_selectorELNS0_4arch9wavefront6targetE1EEEvT1_
	.p2align	8
	.type	_ZN7rocprim17ROCPRIM_400000_NS6detail17trampoline_kernelINS0_14default_configENS1_25partition_config_selectorILNS1_17partition_subalgoE1EtNS0_10empty_typeEbEEZZNS1_14partition_implILS5_1ELb0ES3_jN6thrust23THRUST_200600_302600_NS6detail15normal_iteratorINSA_10device_ptrItEEEEPS6_NSA_18transform_iteratorI7is_evenItESF_NSA_11use_defaultESK_EENS0_5tupleIJNSA_16discard_iteratorISK_EESF_EEENSM_IJSG_SG_EEES6_PlJS6_EEE10hipError_tPvRmT3_T4_T5_T6_T7_T9_mT8_P12ihipStream_tbDpT10_ENKUlT_T0_E_clISt17integral_constantIbLb0EES1B_EEDaS16_S17_EUlS16_E_NS1_11comp_targetILNS1_3genE4ELNS1_11target_archE910ELNS1_3gpuE8ELNS1_3repE0EEENS1_30default_config_static_selectorELNS0_4arch9wavefront6targetE1EEEvT1_,@function
_ZN7rocprim17ROCPRIM_400000_NS6detail17trampoline_kernelINS0_14default_configENS1_25partition_config_selectorILNS1_17partition_subalgoE1EtNS0_10empty_typeEbEEZZNS1_14partition_implILS5_1ELb0ES3_jN6thrust23THRUST_200600_302600_NS6detail15normal_iteratorINSA_10device_ptrItEEEEPS6_NSA_18transform_iteratorI7is_evenItESF_NSA_11use_defaultESK_EENS0_5tupleIJNSA_16discard_iteratorISK_EESF_EEENSM_IJSG_SG_EEES6_PlJS6_EEE10hipError_tPvRmT3_T4_T5_T6_T7_T9_mT8_P12ihipStream_tbDpT10_ENKUlT_T0_E_clISt17integral_constantIbLb0EES1B_EEDaS16_S17_EUlS16_E_NS1_11comp_targetILNS1_3genE4ELNS1_11target_archE910ELNS1_3gpuE8ELNS1_3repE0EEENS1_30default_config_static_selectorELNS0_4arch9wavefront6targetE1EEEvT1_: ; @_ZN7rocprim17ROCPRIM_400000_NS6detail17trampoline_kernelINS0_14default_configENS1_25partition_config_selectorILNS1_17partition_subalgoE1EtNS0_10empty_typeEbEEZZNS1_14partition_implILS5_1ELb0ES3_jN6thrust23THRUST_200600_302600_NS6detail15normal_iteratorINSA_10device_ptrItEEEEPS6_NSA_18transform_iteratorI7is_evenItESF_NSA_11use_defaultESK_EENS0_5tupleIJNSA_16discard_iteratorISK_EESF_EEENSM_IJSG_SG_EEES6_PlJS6_EEE10hipError_tPvRmT3_T4_T5_T6_T7_T9_mT8_P12ihipStream_tbDpT10_ENKUlT_T0_E_clISt17integral_constantIbLb0EES1B_EEDaS16_S17_EUlS16_E_NS1_11comp_targetILNS1_3genE4ELNS1_11target_archE910ELNS1_3gpuE8ELNS1_3repE0EEENS1_30default_config_static_selectorELNS0_4arch9wavefront6targetE1EEEvT1_
; %bb.0:
	s_load_dwordx2 s[0:1], s[4:5], 0x68
	s_load_dwordx4 s[24:27], s[4:5], 0x8
	s_load_dwordx2 s[2:3], s[4:5], 0x20
	s_load_dwordx4 s[20:23], s[4:5], 0x58
	s_mul_i32 s10, s6, 0x1400
	s_waitcnt lgkmcnt(0)
	v_mov_b32_e32 v3, s1
	s_load_dword s1, s[4:5], 0x80
	s_lshl_b64 s[8:9], s[26:27], 1
	s_add_u32 s7, s24, s8
	s_addc_u32 s12, s25, s9
	v_mov_b32_e32 v2, s0
	s_waitcnt lgkmcnt(0)
	s_add_i32 s13, s1, -1
	s_mulk_i32 s1, 0x1400
	s_add_i32 s11, s1, s26
	s_sub_i32 s33, s0, s11
	s_addk_i32 s33, 0x1400
	s_add_u32 s0, s26, s1
	s_addc_u32 s1, s27, 0
	s_cmp_eq_u32 s6, s13
	s_load_dwordx2 s[28:29], s[22:23], 0x0
	s_cselect_b64 s[22:23], -1, 0
	s_cmp_lg_u32 s6, s13
	s_mov_b32 s11, 0
	v_cmp_lt_u64_e32 vcc, s[0:1], v[2:3]
	s_cselect_b64 s[0:1], -1, 0
	s_or_b64 s[24:25], s[0:1], vcc
	s_lshl_b64 s[30:31], s[10:11], 1
	s_add_u32 s7, s7, s30
	s_addc_u32 s12, s12, s31
	s_mov_b64 s[0:1], -1
	s_and_b64 vcc, exec, s[24:25]
	v_lshlrev_b32_e32 v26, 1, v0
	s_cbranch_vccz .LBB3133_2
; %bb.1:
	v_mov_b32_e32 v1, s12
	v_add_co_u32_e32 v2, vcc, s7, v26
	v_addc_co_u32_e32 v3, vcc, 0, v1, vcc
	v_add_co_u32_e32 v4, vcc, 0x1000, v2
	v_addc_co_u32_e32 v5, vcc, 0, v3, vcc
	flat_load_ushort v1, v[2:3]
	flat_load_ushort v6, v[2:3] offset:512
	flat_load_ushort v7, v[2:3] offset:1024
	;; [unrolled: 1-line block ×7, first 2 shown]
	v_add_co_u32_e32 v2, vcc, 0x2000, v2
	v_addc_co_u32_e32 v3, vcc, 0, v3, vcc
	flat_load_ushort v13, v[4:5]
	flat_load_ushort v14, v[4:5] offset:512
	flat_load_ushort v15, v[4:5] offset:1024
	;; [unrolled: 1-line block ×7, first 2 shown]
	s_nop 0
	flat_load_ushort v4, v[2:3]
	flat_load_ushort v5, v[2:3] offset:512
	flat_load_ushort v21, v[2:3] offset:1024
	;; [unrolled: 1-line block ×3, first 2 shown]
	s_mov_b64 s[0:1], 0
	s_waitcnt vmcnt(0) lgkmcnt(0)
	ds_write_b16 v26, v1
	ds_write_b16 v26, v6 offset:512
	ds_write_b16 v26, v7 offset:1024
	;; [unrolled: 1-line block ×19, first 2 shown]
	s_waitcnt lgkmcnt(0)
	s_barrier
.LBB3133_2:
	s_andn2_b64 vcc, exec, s[0:1]
	v_cmp_gt_u32_e64 s[0:1], s33, v0
	s_cbranch_vccnz .LBB3133_44
; %bb.3:
                                        ; implicit-def: $vgpr1
	s_and_saveexec_b64 s[10:11], s[0:1]
	s_cbranch_execz .LBB3133_5
; %bb.4:
	v_mov_b32_e32 v1, s12
	v_add_co_u32_e32 v2, vcc, s7, v26
	v_addc_co_u32_e32 v3, vcc, 0, v1, vcc
	flat_load_ushort v1, v[2:3]
.LBB3133_5:
	s_or_b64 exec, exec, s[10:11]
	v_or_b32_e32 v2, 0x100, v0
	v_cmp_gt_u32_e32 vcc, s33, v2
                                        ; implicit-def: $vgpr2
	s_and_saveexec_b64 s[0:1], vcc
	s_cbranch_execz .LBB3133_7
; %bb.6:
	v_mov_b32_e32 v3, s12
	v_add_co_u32_e32 v2, vcc, s7, v26
	v_addc_co_u32_e32 v3, vcc, 0, v3, vcc
	flat_load_ushort v2, v[2:3] offset:512
.LBB3133_7:
	s_or_b64 exec, exec, s[0:1]
	v_or_b32_e32 v3, 0x200, v0
	v_cmp_gt_u32_e32 vcc, s33, v3
                                        ; implicit-def: $vgpr3
	s_and_saveexec_b64 s[0:1], vcc
	s_cbranch_execz .LBB3133_9
; %bb.8:
	v_mov_b32_e32 v3, s12
	v_add_co_u32_e32 v4, vcc, s7, v26
	v_addc_co_u32_e32 v5, vcc, 0, v3, vcc
	flat_load_ushort v3, v[4:5] offset:1024
.LBB3133_9:
	s_or_b64 exec, exec, s[0:1]
	v_or_b32_e32 v4, 0x300, v0
	v_cmp_gt_u32_e32 vcc, s33, v4
                                        ; implicit-def: $vgpr4
	s_and_saveexec_b64 s[0:1], vcc
	s_cbranch_execz .LBB3133_11
; %bb.10:
	v_mov_b32_e32 v5, s12
	v_add_co_u32_e32 v4, vcc, s7, v26
	v_addc_co_u32_e32 v5, vcc, 0, v5, vcc
	flat_load_ushort v4, v[4:5] offset:1536
.LBB3133_11:
	s_or_b64 exec, exec, s[0:1]
	v_or_b32_e32 v5, 0x400, v0
	v_cmp_gt_u32_e32 vcc, s33, v5
                                        ; implicit-def: $vgpr5
	s_and_saveexec_b64 s[0:1], vcc
	s_cbranch_execz .LBB3133_13
; %bb.12:
	v_mov_b32_e32 v5, s12
	v_add_co_u32_e32 v6, vcc, s7, v26
	v_addc_co_u32_e32 v7, vcc, 0, v5, vcc
	flat_load_ushort v5, v[6:7] offset:2048
.LBB3133_13:
	s_or_b64 exec, exec, s[0:1]
	v_or_b32_e32 v6, 0x500, v0
	v_cmp_gt_u32_e32 vcc, s33, v6
                                        ; implicit-def: $vgpr6
	s_and_saveexec_b64 s[0:1], vcc
	s_cbranch_execz .LBB3133_15
; %bb.14:
	v_mov_b32_e32 v7, s12
	v_add_co_u32_e32 v6, vcc, s7, v26
	v_addc_co_u32_e32 v7, vcc, 0, v7, vcc
	flat_load_ushort v6, v[6:7] offset:2560
.LBB3133_15:
	s_or_b64 exec, exec, s[0:1]
	v_or_b32_e32 v7, 0x600, v0
	v_cmp_gt_u32_e32 vcc, s33, v7
                                        ; implicit-def: $vgpr7
	s_and_saveexec_b64 s[0:1], vcc
	s_cbranch_execz .LBB3133_17
; %bb.16:
	v_mov_b32_e32 v7, s12
	v_add_co_u32_e32 v8, vcc, s7, v26
	v_addc_co_u32_e32 v9, vcc, 0, v7, vcc
	flat_load_ushort v7, v[8:9] offset:3072
.LBB3133_17:
	s_or_b64 exec, exec, s[0:1]
	v_or_b32_e32 v8, 0x700, v0
	v_cmp_gt_u32_e32 vcc, s33, v8
                                        ; implicit-def: $vgpr8
	s_and_saveexec_b64 s[0:1], vcc
	s_cbranch_execz .LBB3133_19
; %bb.18:
	v_mov_b32_e32 v9, s12
	v_add_co_u32_e32 v8, vcc, s7, v26
	v_addc_co_u32_e32 v9, vcc, 0, v9, vcc
	flat_load_ushort v8, v[8:9] offset:3584
.LBB3133_19:
	s_or_b64 exec, exec, s[0:1]
	v_or_b32_e32 v10, 0x800, v0
	v_cmp_gt_u32_e32 vcc, s33, v10
                                        ; implicit-def: $vgpr9
	s_and_saveexec_b64 s[0:1], vcc
	s_cbranch_execz .LBB3133_21
; %bb.20:
	v_lshlrev_b32_e32 v9, 1, v10
	v_mov_b32_e32 v11, s12
	v_add_co_u32_e32 v10, vcc, s7, v9
	v_addc_co_u32_e32 v11, vcc, 0, v11, vcc
	flat_load_ushort v9, v[10:11]
.LBB3133_21:
	s_or_b64 exec, exec, s[0:1]
	v_or_b32_e32 v11, 0x900, v0
	v_cmp_gt_u32_e32 vcc, s33, v11
                                        ; implicit-def: $vgpr10
	s_and_saveexec_b64 s[0:1], vcc
	s_cbranch_execz .LBB3133_23
; %bb.22:
	v_lshlrev_b32_e32 v10, 1, v11
	v_mov_b32_e32 v11, s12
	v_add_co_u32_e32 v10, vcc, s7, v10
	v_addc_co_u32_e32 v11, vcc, 0, v11, vcc
	flat_load_ushort v10, v[10:11]
.LBB3133_23:
	s_or_b64 exec, exec, s[0:1]
	v_or_b32_e32 v12, 0xa00, v0
	v_cmp_gt_u32_e32 vcc, s33, v12
                                        ; implicit-def: $vgpr11
	s_and_saveexec_b64 s[0:1], vcc
	s_cbranch_execz .LBB3133_25
; %bb.24:
	v_lshlrev_b32_e32 v11, 1, v12
	v_mov_b32_e32 v13, s12
	v_add_co_u32_e32 v12, vcc, s7, v11
	v_addc_co_u32_e32 v13, vcc, 0, v13, vcc
	flat_load_ushort v11, v[12:13]
.LBB3133_25:
	s_or_b64 exec, exec, s[0:1]
	v_or_b32_e32 v13, 0xb00, v0
	v_cmp_gt_u32_e32 vcc, s33, v13
                                        ; implicit-def: $vgpr12
	s_and_saveexec_b64 s[0:1], vcc
	s_cbranch_execz .LBB3133_27
; %bb.26:
	v_lshlrev_b32_e32 v12, 1, v13
	v_mov_b32_e32 v13, s12
	v_add_co_u32_e32 v12, vcc, s7, v12
	v_addc_co_u32_e32 v13, vcc, 0, v13, vcc
	flat_load_ushort v12, v[12:13]
.LBB3133_27:
	s_or_b64 exec, exec, s[0:1]
	v_or_b32_e32 v14, 0xc00, v0
	v_cmp_gt_u32_e32 vcc, s33, v14
                                        ; implicit-def: $vgpr13
	s_and_saveexec_b64 s[0:1], vcc
	s_cbranch_execz .LBB3133_29
; %bb.28:
	v_lshlrev_b32_e32 v13, 1, v14
	v_mov_b32_e32 v15, s12
	v_add_co_u32_e32 v14, vcc, s7, v13
	v_addc_co_u32_e32 v15, vcc, 0, v15, vcc
	flat_load_ushort v13, v[14:15]
.LBB3133_29:
	s_or_b64 exec, exec, s[0:1]
	v_or_b32_e32 v15, 0xd00, v0
	v_cmp_gt_u32_e32 vcc, s33, v15
                                        ; implicit-def: $vgpr14
	s_and_saveexec_b64 s[0:1], vcc
	s_cbranch_execz .LBB3133_31
; %bb.30:
	v_lshlrev_b32_e32 v14, 1, v15
	v_mov_b32_e32 v15, s12
	v_add_co_u32_e32 v14, vcc, s7, v14
	v_addc_co_u32_e32 v15, vcc, 0, v15, vcc
	flat_load_ushort v14, v[14:15]
.LBB3133_31:
	s_or_b64 exec, exec, s[0:1]
	v_or_b32_e32 v16, 0xe00, v0
	v_cmp_gt_u32_e32 vcc, s33, v16
                                        ; implicit-def: $vgpr15
	s_and_saveexec_b64 s[0:1], vcc
	s_cbranch_execz .LBB3133_33
; %bb.32:
	v_lshlrev_b32_e32 v15, 1, v16
	v_mov_b32_e32 v17, s12
	v_add_co_u32_e32 v16, vcc, s7, v15
	v_addc_co_u32_e32 v17, vcc, 0, v17, vcc
	flat_load_ushort v15, v[16:17]
.LBB3133_33:
	s_or_b64 exec, exec, s[0:1]
	v_or_b32_e32 v17, 0xf00, v0
	v_cmp_gt_u32_e32 vcc, s33, v17
                                        ; implicit-def: $vgpr16
	s_and_saveexec_b64 s[0:1], vcc
	s_cbranch_execz .LBB3133_35
; %bb.34:
	v_lshlrev_b32_e32 v16, 1, v17
	v_mov_b32_e32 v17, s12
	v_add_co_u32_e32 v16, vcc, s7, v16
	v_addc_co_u32_e32 v17, vcc, 0, v17, vcc
	flat_load_ushort v16, v[16:17]
.LBB3133_35:
	s_or_b64 exec, exec, s[0:1]
	v_or_b32_e32 v18, 0x1000, v0
	v_cmp_gt_u32_e32 vcc, s33, v18
                                        ; implicit-def: $vgpr17
	s_and_saveexec_b64 s[0:1], vcc
	s_cbranch_execz .LBB3133_37
; %bb.36:
	v_lshlrev_b32_e32 v17, 1, v18
	v_mov_b32_e32 v19, s12
	v_add_co_u32_e32 v18, vcc, s7, v17
	v_addc_co_u32_e32 v19, vcc, 0, v19, vcc
	flat_load_ushort v17, v[18:19]
.LBB3133_37:
	s_or_b64 exec, exec, s[0:1]
	v_or_b32_e32 v19, 0x1100, v0
	v_cmp_gt_u32_e32 vcc, s33, v19
                                        ; implicit-def: $vgpr18
	s_and_saveexec_b64 s[0:1], vcc
	s_cbranch_execz .LBB3133_39
; %bb.38:
	v_lshlrev_b32_e32 v18, 1, v19
	v_mov_b32_e32 v19, s12
	v_add_co_u32_e32 v18, vcc, s7, v18
	v_addc_co_u32_e32 v19, vcc, 0, v19, vcc
	flat_load_ushort v18, v[18:19]
.LBB3133_39:
	s_or_b64 exec, exec, s[0:1]
	v_or_b32_e32 v20, 0x1200, v0
	v_cmp_gt_u32_e32 vcc, s33, v20
                                        ; implicit-def: $vgpr19
	s_and_saveexec_b64 s[0:1], vcc
	s_cbranch_execz .LBB3133_41
; %bb.40:
	v_lshlrev_b32_e32 v19, 1, v20
	v_mov_b32_e32 v21, s12
	v_add_co_u32_e32 v20, vcc, s7, v19
	v_addc_co_u32_e32 v21, vcc, 0, v21, vcc
	flat_load_ushort v19, v[20:21]
.LBB3133_41:
	s_or_b64 exec, exec, s[0:1]
	v_or_b32_e32 v21, 0x1300, v0
	v_cmp_gt_u32_e32 vcc, s33, v21
                                        ; implicit-def: $vgpr20
	s_and_saveexec_b64 s[0:1], vcc
	s_cbranch_execz .LBB3133_43
; %bb.42:
	v_lshlrev_b32_e32 v20, 1, v21
	v_mov_b32_e32 v21, s12
	v_add_co_u32_e32 v20, vcc, s7, v20
	v_addc_co_u32_e32 v21, vcc, 0, v21, vcc
	flat_load_ushort v20, v[20:21]
.LBB3133_43:
	s_or_b64 exec, exec, s[0:1]
	s_waitcnt vmcnt(0) lgkmcnt(0)
	ds_write_b16 v26, v1
	ds_write_b16 v26, v2 offset:512
	ds_write_b16 v26, v3 offset:1024
	;; [unrolled: 1-line block ×19, first 2 shown]
	s_waitcnt lgkmcnt(0)
	s_barrier
.LBB3133_44:
	v_mul_u32_u24_e32 v1, 20, v0
	v_lshlrev_b32_e32 v6, 1, v1
	s_waitcnt lgkmcnt(0)
	ds_read_b64 v[10:11], v6 offset:32
	ds_read2_b64 v[2:5], v6 offset0:2 offset1:3
	ds_read2_b64 v[6:9], v6 offset1:1
	s_add_u32 s0, s2, s8
	s_addc_u32 s1, s3, s9
	s_add_u32 s0, s0, s30
	s_addc_u32 s1, s1, s31
	s_mov_b64 s[2:3], -1
	s_and_b64 vcc, exec, s[24:25]
	s_waitcnt lgkmcnt(0)
	s_barrier
	s_cbranch_vccz .LBB3133_46
; %bb.45:
	v_mov_b32_e32 v12, s1
	v_add_co_u32_e32 v14, vcc, s0, v26
	s_movk_i32 s2, 0x1000
	v_addc_co_u32_e32 v15, vcc, 0, v12, vcc
	v_add_co_u32_e32 v12, vcc, s2, v14
	s_movk_i32 s3, 0x2000
	v_addc_co_u32_e32 v13, vcc, 0, v15, vcc
	global_load_ubyte v16, v26, s[0:1]
	global_load_ubyte v17, v26, s[0:1] offset:512
	global_load_ubyte v18, v26, s[0:1] offset:1024
	;; [unrolled: 1-line block ×7, first 2 shown]
	v_add_co_u32_e32 v14, vcc, s3, v14
	v_addc_co_u32_e32 v15, vcc, 0, v15, vcc
	global_load_ubyte v24, v[14:15], off offset:-4096
	global_load_ubyte v25, v[12:13], off offset:512
	global_load_ubyte v27, v[12:13], off offset:1024
	;; [unrolled: 1-line block ×7, first 2 shown]
	global_load_ubyte v33, v[14:15], off
	global_load_ubyte v34, v[14:15], off offset:512
	global_load_ubyte v35, v[14:15], off offset:1024
	global_load_ubyte v36, v[14:15], off offset:1536
	s_mov_b64 s[2:3], 0
	s_waitcnt vmcnt(19)
	v_xor_b32_e32 v12, -1, v16
	s_waitcnt vmcnt(18)
	v_xor_b32_e32 v13, -1, v17
	;; [unrolled: 2-line block ×8, first 2 shown]
	v_and_b32_e32 v12, 1, v12
	v_and_b32_e32 v13, 1, v13
	v_and_b32_e32 v14, 1, v14
	v_and_b32_e32 v15, 1, v15
	v_and_b32_e32 v16, 1, v16
	v_and_b32_e32 v17, 1, v17
	v_and_b32_e32 v18, 1, v18
	v_and_b32_e32 v19, 1, v19
	ds_write_b8 v0, v12
	ds_write_b8 v0, v13 offset:256
	ds_write_b8 v0, v14 offset:512
	;; [unrolled: 1-line block ×7, first 2 shown]
	s_waitcnt vmcnt(11)
	v_xor_b32_e32 v12, -1, v24
	s_waitcnt vmcnt(10)
	v_xor_b32_e32 v13, -1, v25
	;; [unrolled: 2-line block ×12, first 2 shown]
	v_and_b32_e32 v12, 1, v12
	v_and_b32_e32 v13, 1, v13
	;; [unrolled: 1-line block ×12, first 2 shown]
	ds_write_b8 v0, v12 offset:2048
	ds_write_b8 v0, v13 offset:2304
	;; [unrolled: 1-line block ×12, first 2 shown]
	s_waitcnt lgkmcnt(0)
	s_barrier
.LBB3133_46:
	s_load_dwordx2 s[34:35], s[4:5], 0x78
	s_andn2_b64 vcc, exec, s[2:3]
	s_cbranch_vccnz .LBB3133_88
; %bb.47:
	v_cmp_gt_u32_e32 vcc, s33, v0
	v_mov_b32_e32 v12, 0
	v_mov_b32_e32 v13, 0
	s_and_saveexec_b64 s[2:3], vcc
	s_cbranch_execz .LBB3133_49
; %bb.48:
	global_load_ubyte v13, v26, s[0:1]
	s_waitcnt vmcnt(0)
	v_xor_b32_e32 v13, -1, v13
	v_and_b32_e32 v13, 1, v13
.LBB3133_49:
	s_or_b64 exec, exec, s[2:3]
	v_or_b32_e32 v14, 0x100, v0
	v_cmp_gt_u32_e32 vcc, s33, v14
	s_and_saveexec_b64 s[2:3], vcc
	s_cbranch_execz .LBB3133_51
; %bb.50:
	global_load_ubyte v12, v26, s[0:1] offset:512
	s_waitcnt vmcnt(0)
	v_xor_b32_e32 v12, -1, v12
	v_and_b32_e32 v12, 1, v12
.LBB3133_51:
	s_or_b64 exec, exec, s[2:3]
	v_or_b32_e32 v14, 0x200, v0
	v_cmp_gt_u32_e32 vcc, s33, v14
	v_mov_b32_e32 v14, 0
	v_mov_b32_e32 v15, 0
	s_and_saveexec_b64 s[2:3], vcc
	s_cbranch_execz .LBB3133_53
; %bb.52:
	global_load_ubyte v15, v26, s[0:1] offset:1024
	s_waitcnt vmcnt(0)
	v_xor_b32_e32 v15, -1, v15
	v_and_b32_e32 v15, 1, v15
.LBB3133_53:
	s_or_b64 exec, exec, s[2:3]
	v_or_b32_e32 v16, 0x300, v0
	v_cmp_gt_u32_e32 vcc, s33, v16
	s_and_saveexec_b64 s[2:3], vcc
	s_cbranch_execz .LBB3133_55
; %bb.54:
	global_load_ubyte v14, v26, s[0:1] offset:1536
	s_waitcnt vmcnt(0)
	v_xor_b32_e32 v14, -1, v14
	v_and_b32_e32 v14, 1, v14
.LBB3133_55:
	s_or_b64 exec, exec, s[2:3]
	v_or_b32_e32 v16, 0x400, v0
	v_cmp_gt_u32_e32 vcc, s33, v16
	v_mov_b32_e32 v16, 0
	v_mov_b32_e32 v17, 0
	s_and_saveexec_b64 s[2:3], vcc
	s_cbranch_execz .LBB3133_57
; %bb.56:
	global_load_ubyte v17, v26, s[0:1] offset:2048
	s_waitcnt vmcnt(0)
	v_xor_b32_e32 v17, -1, v17
	v_and_b32_e32 v17, 1, v17
.LBB3133_57:
	;; [unrolled: 24-line block ×3, first 2 shown]
	s_or_b64 exec, exec, s[2:3]
	v_or_b32_e32 v20, 0x700, v0
	v_cmp_gt_u32_e32 vcc, s33, v20
	s_and_saveexec_b64 s[2:3], vcc
	s_cbranch_execz .LBB3133_63
; %bb.62:
	global_load_ubyte v18, v26, s[0:1] offset:3584
	s_waitcnt vmcnt(0)
	v_xor_b32_e32 v18, -1, v18
	v_and_b32_e32 v18, 1, v18
.LBB3133_63:
	s_or_b64 exec, exec, s[2:3]
	v_or_b32_e32 v22, 0x800, v0
	v_cmp_gt_u32_e32 vcc, s33, v22
	v_mov_b32_e32 v20, 0
	v_mov_b32_e32 v21, 0
	s_and_saveexec_b64 s[2:3], vcc
	s_cbranch_execz .LBB3133_65
; %bb.64:
	v_lshlrev_b32_e32 v21, 1, v22
	global_load_ubyte v21, v21, s[0:1]
	s_waitcnt vmcnt(0)
	v_xor_b32_e32 v21, -1, v21
	v_and_b32_e32 v21, 1, v21
.LBB3133_65:
	s_or_b64 exec, exec, s[2:3]
	v_or_b32_e32 v22, 0x900, v0
	v_cmp_gt_u32_e32 vcc, s33, v22
	s_and_saveexec_b64 s[2:3], vcc
	s_cbranch_execz .LBB3133_67
; %bb.66:
	v_lshlrev_b32_e32 v20, 1, v22
	global_load_ubyte v20, v20, s[0:1]
	s_waitcnt vmcnt(0)
	v_xor_b32_e32 v20, -1, v20
	v_and_b32_e32 v20, 1, v20
.LBB3133_67:
	s_or_b64 exec, exec, s[2:3]
	v_or_b32_e32 v24, 0xa00, v0
	v_cmp_gt_u32_e32 vcc, s33, v24
	v_mov_b32_e32 v22, 0
	v_mov_b32_e32 v23, 0
	s_and_saveexec_b64 s[2:3], vcc
	s_cbranch_execz .LBB3133_69
; %bb.68:
	v_lshlrev_b32_e32 v23, 1, v24
	global_load_ubyte v23, v23, s[0:1]
	s_waitcnt vmcnt(0)
	v_xor_b32_e32 v23, -1, v23
	v_and_b32_e32 v23, 1, v23
.LBB3133_69:
	s_or_b64 exec, exec, s[2:3]
	v_or_b32_e32 v24, 0xb00, v0
	v_cmp_gt_u32_e32 vcc, s33, v24
	s_and_saveexec_b64 s[2:3], vcc
	s_cbranch_execz .LBB3133_71
; %bb.70:
	v_lshlrev_b32_e32 v22, 1, v24
	global_load_ubyte v22, v22, s[0:1]
	s_waitcnt vmcnt(0)
	v_xor_b32_e32 v22, -1, v22
	v_and_b32_e32 v22, 1, v22
.LBB3133_71:
	;; [unrolled: 26-line block ×6, first 2 shown]
	s_or_b64 exec, exec, s[2:3]
	ds_write_b8 v0, v13
	ds_write_b8 v0, v12 offset:256
	ds_write_b8 v0, v15 offset:512
	;; [unrolled: 1-line block ×19, first 2 shown]
	s_waitcnt lgkmcnt(0)
	s_barrier
.LBB3133_88:
	s_waitcnt lgkmcnt(0)
	ds_read2_b32 v[16:17], v1 offset1:1
	ds_read2_b32 v[14:15], v1 offset0:2 offset1:3
	ds_read_b32 v28, v1 offset:16
	s_cmp_lg_u32 s6, 0
	v_lshrrev_b32_e32 v47, 6, v0
	s_waitcnt lgkmcnt(2)
	v_lshrrev_b32_e32 v33, 24, v16
	v_bfe_u32 v45, v16, 16, 8
	v_add_u32_sdwa v12, v16, v16 dst_sel:DWORD dst_unused:UNUSED_PAD src0_sel:BYTE_1 src1_sel:BYTE_0
	v_and_b32_e32 v42, 0xff, v17
	v_bfe_u32 v43, v17, 8, 8
	v_add3_u32 v12, v12, v45, v33
	v_lshrrev_b32_e32 v32, 24, v17
	v_bfe_u32 v44, v17, 16, 8
	v_add3_u32 v12, v12, v42, v43
	s_waitcnt lgkmcnt(1)
	v_and_b32_e32 v39, 0xff, v14
	v_bfe_u32 v40, v14, 8, 8
	v_add3_u32 v12, v12, v44, v32
	v_lshrrev_b32_e32 v31, 24, v14
	v_bfe_u32 v41, v14, 16, 8
	v_add3_u32 v12, v12, v39, v40
	v_and_b32_e32 v36, 0xff, v15
	v_bfe_u32 v37, v15, 8, 8
	v_add3_u32 v12, v12, v41, v31
	v_lshrrev_b32_e32 v30, 24, v15
	v_bfe_u32 v38, v15, 16, 8
	v_add3_u32 v12, v12, v36, v37
	s_waitcnt lgkmcnt(0)
	v_and_b32_e32 v34, 0xff, v28
	v_bfe_u32 v35, v28, 8, 8
	v_add3_u32 v12, v12, v38, v30
	v_lshrrev_b32_e32 v27, 24, v28
	v_bfe_u32 v29, v28, 16, 8
	v_add3_u32 v12, v12, v34, v35
	v_add3_u32 v48, v12, v29, v27
	v_mbcnt_lo_u32_b32 v12, -1, 0
	v_mbcnt_hi_u32_b32 v46, -1, v12
	v_and_b32_e32 v12, 15, v46
	v_cmp_eq_u32_e64 s[14:15], 0, v12
	v_cmp_lt_u32_e64 s[12:13], 1, v12
	v_cmp_lt_u32_e64 s[10:11], 3, v12
	v_cmp_lt_u32_e64 s[8:9], 7, v12
	v_and_b32_e32 v12, 16, v46
	v_cmp_eq_u32_e64 s[18:19], 0, v12
	v_or_b32_e32 v12, 63, v0
	v_cmp_lt_u32_e64 s[0:1], 31, v46
	v_cmp_eq_u32_e64 s[2:3], v12, v0
	s_barrier
	s_cbranch_scc0 .LBB3133_115
; %bb.89:
	v_mov_b32_dpp v12, v48 row_shr:1 row_mask:0xf bank_mask:0xf
	v_cndmask_b32_e64 v12, v12, 0, s[14:15]
	v_add_u32_e32 v12, v12, v48
	s_nop 1
	v_mov_b32_dpp v13, v12 row_shr:2 row_mask:0xf bank_mask:0xf
	v_cndmask_b32_e64 v13, 0, v13, s[12:13]
	v_add_u32_e32 v12, v12, v13
	s_nop 1
	;; [unrolled: 4-line block ×4, first 2 shown]
	v_mov_b32_dpp v13, v12 row_bcast:15 row_mask:0xf bank_mask:0xf
	v_cndmask_b32_e64 v13, v13, 0, s[18:19]
	v_add_u32_e32 v12, v12, v13
	s_nop 1
	v_mov_b32_dpp v13, v12 row_bcast:31 row_mask:0xf bank_mask:0xf
	v_cndmask_b32_e64 v13, 0, v13, s[0:1]
	v_add_u32_e32 v12, v12, v13
	s_and_saveexec_b64 s[16:17], s[2:3]
	s_cbranch_execz .LBB3133_91
; %bb.90:
	v_lshlrev_b32_e32 v13, 2, v47
	ds_write_b32 v13, v12
.LBB3133_91:
	s_or_b64 exec, exec, s[16:17]
	v_cmp_gt_u32_e32 vcc, 4, v0
	s_waitcnt lgkmcnt(0)
	s_barrier
	s_and_saveexec_b64 s[16:17], vcc
	s_cbranch_execz .LBB3133_93
; %bb.92:
	v_lshlrev_b32_e32 v13, 2, v0
	ds_read_b32 v18, v13
	v_and_b32_e32 v19, 3, v46
	v_cmp_ne_u32_e32 vcc, 0, v19
	s_waitcnt lgkmcnt(0)
	v_mov_b32_dpp v20, v18 row_shr:1 row_mask:0xf bank_mask:0xf
	v_cndmask_b32_e32 v20, 0, v20, vcc
	v_add_u32_e32 v18, v20, v18
	v_cmp_lt_u32_e32 vcc, 1, v19
	s_nop 0
	v_mov_b32_dpp v20, v18 row_shr:2 row_mask:0xf bank_mask:0xf
	v_cndmask_b32_e32 v19, 0, v20, vcc
	v_add_u32_e32 v18, v18, v19
	ds_write_b32 v13, v18
.LBB3133_93:
	s_or_b64 exec, exec, s[16:17]
	v_cmp_gt_u32_e32 vcc, 64, v0
	v_cmp_lt_u32_e64 s[16:17], 63, v0
	s_waitcnt lgkmcnt(0)
	s_barrier
	s_waitcnt lgkmcnt(0)
                                        ; implicit-def: $vgpr49
	s_and_saveexec_b64 s[36:37], s[16:17]
	s_cbranch_execz .LBB3133_95
; %bb.94:
	v_lshl_add_u32 v13, v47, 2, -4
	ds_read_b32 v49, v13
	s_waitcnt lgkmcnt(0)
	v_add_u32_e32 v12, v49, v12
.LBB3133_95:
	s_or_b64 exec, exec, s[36:37]
	v_add_u32_e32 v13, -1, v46
	v_and_b32_e32 v18, 64, v46
	v_cmp_lt_i32_e64 s[16:17], v13, v18
	v_cndmask_b32_e64 v13, v13, v46, s[16:17]
	v_lshlrev_b32_e32 v13, 2, v13
	ds_bpermute_b32 v50, v13, v12
	v_cmp_eq_u32_e64 s[16:17], 0, v46
	s_and_saveexec_b64 s[36:37], vcc
	s_cbranch_execz .LBB3133_114
; %bb.96:
	v_mov_b32_e32 v23, 0
	ds_read_b32 v12, v23 offset:12
	s_and_saveexec_b64 s[38:39], s[16:17]
	s_cbranch_execz .LBB3133_98
; %bb.97:
	s_add_i32 s40, s6, 64
	s_mov_b32 s41, 0
	s_lshl_b64 s[40:41], s[40:41], 3
	s_add_u32 s40, s34, s40
	v_mov_b32_e32 v13, 1
	s_addc_u32 s41, s35, s41
	s_waitcnt lgkmcnt(0)
	global_store_dwordx2 v23, v[12:13], s[40:41]
.LBB3133_98:
	s_or_b64 exec, exec, s[38:39]
	v_xad_u32 v18, v46, -1, s6
	v_add_u32_e32 v22, 64, v18
	v_lshlrev_b64 v[20:21], 3, v[22:23]
	v_mov_b32_e32 v13, s35
	v_add_co_u32_e32 v24, vcc, s34, v20
	v_addc_co_u32_e32 v25, vcc, v13, v21, vcc
	global_load_dwordx2 v[20:21], v[24:25], off glc
	s_waitcnt vmcnt(0)
	v_cmp_eq_u16_sdwa s[40:41], v21, v23 src0_sel:BYTE_0 src1_sel:DWORD
	s_and_saveexec_b64 s[38:39], s[40:41]
	s_cbranch_execz .LBB3133_102
; %bb.99:
	s_mov_b64 s[40:41], 0
	v_mov_b32_e32 v13, 0
.LBB3133_100:                           ; =>This Inner Loop Header: Depth=1
	global_load_dwordx2 v[20:21], v[24:25], off glc
	s_waitcnt vmcnt(0)
	v_cmp_ne_u16_sdwa s[42:43], v21, v13 src0_sel:BYTE_0 src1_sel:DWORD
	s_or_b64 s[40:41], s[42:43], s[40:41]
	s_andn2_b64 exec, exec, s[40:41]
	s_cbranch_execnz .LBB3133_100
; %bb.101:
	s_or_b64 exec, exec, s[40:41]
.LBB3133_102:
	s_or_b64 exec, exec, s[38:39]
	v_and_b32_e32 v52, 63, v46
	v_mov_b32_e32 v51, 2
	v_cmp_ne_u32_e32 vcc, 63, v52
	v_cmp_eq_u16_sdwa s[38:39], v21, v51 src0_sel:BYTE_0 src1_sel:DWORD
	v_lshlrev_b64 v[22:23], v46, -1
	v_addc_co_u32_e32 v24, vcc, 0, v46, vcc
	v_and_b32_e32 v13, s39, v23
	v_lshlrev_b32_e32 v53, 2, v24
	v_or_b32_e32 v13, 0x80000000, v13
	ds_bpermute_b32 v24, v53, v20
	v_and_b32_e32 v19, s38, v22
	v_ffbl_b32_e32 v13, v13
	v_add_u32_e32 v13, 32, v13
	v_ffbl_b32_e32 v19, v19
	v_min_u32_e32 v13, v19, v13
	v_cmp_lt_u32_e32 vcc, v52, v13
	s_waitcnt lgkmcnt(0)
	v_cndmask_b32_e32 v19, 0, v24, vcc
	v_cmp_gt_u32_e32 vcc, 62, v52
	v_add_u32_e32 v19, v19, v20
	v_cndmask_b32_e64 v20, 0, 1, vcc
	v_lshlrev_b32_e32 v20, 1, v20
	v_add_lshl_u32 v54, v20, v46, 2
	ds_bpermute_b32 v20, v54, v19
	v_add_u32_e32 v55, 2, v52
	v_cmp_le_u32_e32 vcc, v55, v13
	v_add_u32_e32 v57, 4, v52
	v_add_u32_e32 v59, 8, v52
	s_waitcnt lgkmcnt(0)
	v_cndmask_b32_e32 v20, 0, v20, vcc
	v_cmp_gt_u32_e32 vcc, 60, v52
	v_add_u32_e32 v19, v19, v20
	v_cndmask_b32_e64 v20, 0, 1, vcc
	v_lshlrev_b32_e32 v20, 2, v20
	v_add_lshl_u32 v56, v20, v46, 2
	ds_bpermute_b32 v20, v56, v19
	v_cmp_le_u32_e32 vcc, v57, v13
	v_add_u32_e32 v61, 16, v52
	v_add_u32_e32 v63, 32, v52
	s_waitcnt lgkmcnt(0)
	v_cndmask_b32_e32 v20, 0, v20, vcc
	v_cmp_gt_u32_e32 vcc, 56, v52
	v_add_u32_e32 v19, v19, v20
	v_cndmask_b32_e64 v20, 0, 1, vcc
	v_lshlrev_b32_e32 v20, 3, v20
	v_add_lshl_u32 v58, v20, v46, 2
	ds_bpermute_b32 v20, v58, v19
	v_cmp_le_u32_e32 vcc, v59, v13
	s_waitcnt lgkmcnt(0)
	v_cndmask_b32_e32 v20, 0, v20, vcc
	v_cmp_gt_u32_e32 vcc, 48, v52
	v_add_u32_e32 v19, v19, v20
	v_cndmask_b32_e64 v20, 0, 1, vcc
	v_lshlrev_b32_e32 v20, 4, v20
	v_add_lshl_u32 v60, v20, v46, 2
	ds_bpermute_b32 v20, v60, v19
	v_cmp_le_u32_e32 vcc, v61, v13
	;; [unrolled: 9-line block ×3, first 2 shown]
	s_waitcnt lgkmcnt(0)
	v_cndmask_b32_e32 v13, 0, v20, vcc
	v_add_u32_e32 v20, v19, v13
	v_mov_b32_e32 v19, 0
	s_branch .LBB3133_104
.LBB3133_103:                           ;   in Loop: Header=BB3133_104 Depth=1
	s_or_b64 exec, exec, s[38:39]
	v_cmp_eq_u16_sdwa s[38:39], v21, v51 src0_sel:BYTE_0 src1_sel:DWORD
	v_and_b32_e32 v24, s39, v23
	v_or_b32_e32 v24, 0x80000000, v24
	ds_bpermute_b32 v64, v53, v20
	v_and_b32_e32 v25, s38, v22
	v_ffbl_b32_e32 v24, v24
	v_add_u32_e32 v24, 32, v24
	v_ffbl_b32_e32 v25, v25
	v_min_u32_e32 v24, v25, v24
	v_cmp_lt_u32_e32 vcc, v52, v24
	s_waitcnt lgkmcnt(0)
	v_cndmask_b32_e32 v25, 0, v64, vcc
	v_add_u32_e32 v20, v25, v20
	ds_bpermute_b32 v25, v54, v20
	v_cmp_le_u32_e32 vcc, v55, v24
	v_subrev_u32_e32 v18, 64, v18
	s_waitcnt lgkmcnt(0)
	v_cndmask_b32_e32 v25, 0, v25, vcc
	v_add_u32_e32 v20, v20, v25
	ds_bpermute_b32 v25, v56, v20
	v_cmp_le_u32_e32 vcc, v57, v24
	s_waitcnt lgkmcnt(0)
	v_cndmask_b32_e32 v25, 0, v25, vcc
	v_add_u32_e32 v20, v20, v25
	ds_bpermute_b32 v25, v58, v20
	v_cmp_le_u32_e32 vcc, v59, v24
	;; [unrolled: 5-line block ×4, first 2 shown]
	s_waitcnt lgkmcnt(0)
	v_cndmask_b32_e32 v24, 0, v25, vcc
	v_add3_u32 v20, v24, v13, v20
.LBB3133_104:                           ; =>This Loop Header: Depth=1
                                        ;     Child Loop BB3133_107 Depth 2
	v_cmp_ne_u16_sdwa s[38:39], v21, v51 src0_sel:BYTE_0 src1_sel:DWORD
	v_cndmask_b32_e64 v13, 0, 1, s[38:39]
	;;#ASMSTART
	;;#ASMEND
	v_cmp_ne_u32_e32 vcc, 0, v13
	s_cmp_lg_u64 vcc, exec
	v_mov_b32_e32 v13, v20
	s_cbranch_scc1 .LBB3133_109
; %bb.105:                              ;   in Loop: Header=BB3133_104 Depth=1
	v_lshlrev_b64 v[20:21], 3, v[18:19]
	v_mov_b32_e32 v25, s35
	v_add_co_u32_e32 v24, vcc, s34, v20
	v_addc_co_u32_e32 v25, vcc, v25, v21, vcc
	global_load_dwordx2 v[20:21], v[24:25], off glc
	s_waitcnt vmcnt(0)
	v_cmp_eq_u16_sdwa s[40:41], v21, v19 src0_sel:BYTE_0 src1_sel:DWORD
	s_and_saveexec_b64 s[38:39], s[40:41]
	s_cbranch_execz .LBB3133_103
; %bb.106:                              ;   in Loop: Header=BB3133_104 Depth=1
	s_mov_b64 s[40:41], 0
.LBB3133_107:                           ;   Parent Loop BB3133_104 Depth=1
                                        ; =>  This Inner Loop Header: Depth=2
	global_load_dwordx2 v[20:21], v[24:25], off glc
	s_waitcnt vmcnt(0)
	v_cmp_ne_u16_sdwa s[42:43], v21, v19 src0_sel:BYTE_0 src1_sel:DWORD
	s_or_b64 s[40:41], s[42:43], s[40:41]
	s_andn2_b64 exec, exec, s[40:41]
	s_cbranch_execnz .LBB3133_107
; %bb.108:                              ;   in Loop: Header=BB3133_104 Depth=1
	s_or_b64 exec, exec, s[40:41]
	s_branch .LBB3133_103
.LBB3133_109:                           ;   in Loop: Header=BB3133_104 Depth=1
                                        ; implicit-def: $vgpr20
                                        ; implicit-def: $vgpr21
	s_cbranch_execz .LBB3133_104
; %bb.110:
	s_and_saveexec_b64 s[38:39], s[16:17]
	s_cbranch_execz .LBB3133_112
; %bb.111:
	s_add_i32 s6, s6, 64
	s_mov_b32 s7, 0
	s_lshl_b64 s[6:7], s[6:7], 3
	s_add_u32 s6, s34, s6
	v_add_u32_e32 v18, v13, v12
	v_mov_b32_e32 v19, 2
	s_addc_u32 s7, s35, s7
	v_mov_b32_e32 v20, 0
	global_store_dwordx2 v20, v[18:19], s[6:7]
	ds_write_b64 v20, v[12:13] offset:10240
.LBB3133_112:
	s_or_b64 exec, exec, s[38:39]
	v_cmp_eq_u32_e32 vcc, 0, v0
	s_and_b64 exec, exec, vcc
	s_cbranch_execz .LBB3133_114
; %bb.113:
	v_mov_b32_e32 v12, 0
	ds_write_b32 v12, v13 offset:12
.LBB3133_114:
	s_or_b64 exec, exec, s[36:37]
	v_mov_b32_e32 v12, 0
	s_waitcnt lgkmcnt(0)
	s_barrier
	ds_read_b32 v19, v12 offset:12
	s_waitcnt lgkmcnt(0)
	s_barrier
	ds_read_b64 v[12:13], v12 offset:10240
	v_cndmask_b32_e64 v18, v50, v49, s[16:17]
	v_cmp_ne_u32_e32 vcc, 0, v0
	v_cndmask_b32_e32 v18, 0, v18, vcc
	v_add_u32_e32 v22, v19, v18
	s_load_dwordx2 s[4:5], s[4:5], 0x40
	s_branch .LBB3133_125
.LBB3133_115:
                                        ; implicit-def: $vgpr13
                                        ; implicit-def: $vgpr22
	s_load_dwordx2 s[4:5], s[4:5], 0x40
	s_cbranch_execz .LBB3133_125
; %bb.116:
	s_waitcnt lgkmcnt(0)
	v_mov_b32_dpp v12, v48 row_shr:1 row_mask:0xf bank_mask:0xf
	v_cndmask_b32_e64 v12, v12, 0, s[14:15]
	v_add_u32_e32 v12, v12, v48
	s_nop 1
	v_mov_b32_dpp v13, v12 row_shr:2 row_mask:0xf bank_mask:0xf
	v_cndmask_b32_e64 v13, 0, v13, s[12:13]
	v_add_u32_e32 v12, v12, v13
	s_nop 1
	;; [unrolled: 4-line block ×4, first 2 shown]
	v_mov_b32_dpp v13, v12 row_bcast:15 row_mask:0xf bank_mask:0xf
	v_cndmask_b32_e64 v13, v13, 0, s[18:19]
	v_add_u32_e32 v12, v12, v13
	s_nop 1
	v_mov_b32_dpp v13, v12 row_bcast:31 row_mask:0xf bank_mask:0xf
	v_cndmask_b32_e64 v13, 0, v13, s[0:1]
	v_add_u32_e32 v12, v12, v13
	s_and_saveexec_b64 s[0:1], s[2:3]
	s_cbranch_execz .LBB3133_118
; %bb.117:
	v_lshlrev_b32_e32 v13, 2, v47
	ds_write_b32 v13, v12
.LBB3133_118:
	s_or_b64 exec, exec, s[0:1]
	v_cmp_gt_u32_e32 vcc, 4, v0
	s_waitcnt lgkmcnt(0)
	s_barrier
	s_and_saveexec_b64 s[0:1], vcc
	s_cbranch_execz .LBB3133_120
; %bb.119:
	v_lshlrev_b32_e32 v13, 2, v0
	ds_read_b32 v18, v13
	v_and_b32_e32 v19, 3, v46
	v_cmp_ne_u32_e32 vcc, 0, v19
	s_waitcnt lgkmcnt(0)
	v_mov_b32_dpp v20, v18 row_shr:1 row_mask:0xf bank_mask:0xf
	v_cndmask_b32_e32 v20, 0, v20, vcc
	v_add_u32_e32 v18, v20, v18
	v_cmp_lt_u32_e32 vcc, 1, v19
	s_nop 0
	v_mov_b32_dpp v20, v18 row_shr:2 row_mask:0xf bank_mask:0xf
	v_cndmask_b32_e32 v19, 0, v20, vcc
	v_add_u32_e32 v18, v18, v19
	ds_write_b32 v13, v18
.LBB3133_120:
	s_or_b64 exec, exec, s[0:1]
	v_cmp_lt_u32_e32 vcc, 63, v0
	v_mov_b32_e32 v13, 0
	v_mov_b32_e32 v18, 0
	s_waitcnt lgkmcnt(0)
	s_barrier
	s_and_saveexec_b64 s[0:1], vcc
	s_cbranch_execz .LBB3133_122
; %bb.121:
	v_lshl_add_u32 v18, v47, 2, -4
	ds_read_b32 v18, v18
.LBB3133_122:
	s_or_b64 exec, exec, s[0:1]
	v_add_u32_e32 v19, -1, v46
	v_and_b32_e32 v20, 64, v46
	v_cmp_lt_i32_e32 vcc, v19, v20
	v_cndmask_b32_e32 v19, v19, v46, vcc
	s_waitcnt lgkmcnt(0)
	v_add_u32_e32 v12, v18, v12
	v_lshlrev_b32_e32 v19, 2, v19
	ds_bpermute_b32 v19, v19, v12
	ds_read_b32 v12, v13 offset:12
	v_cmp_eq_u32_e32 vcc, 0, v0
	s_and_saveexec_b64 s[0:1], vcc
	s_cbranch_execz .LBB3133_124
; %bb.123:
	v_mov_b32_e32 v20, 0
	v_mov_b32_e32 v13, 2
	s_waitcnt lgkmcnt(0)
	global_store_dwordx2 v20, v[12:13], s[34:35] offset:512
.LBB3133_124:
	s_or_b64 exec, exec, s[0:1]
	v_cmp_eq_u32_e64 s[0:1], 0, v46
	s_waitcnt lgkmcnt(1)
	v_cndmask_b32_e64 v18, v19, v18, s[0:1]
	v_mov_b32_e32 v13, 0
	v_cndmask_b32_e64 v22, v18, 0, vcc
	s_waitcnt lgkmcnt(0)
	s_barrier
.LBB3133_125:
	v_add_u32_sdwa v24, v22, v16 dst_sel:DWORD dst_unused:UNUSED_PAD src0_sel:DWORD src1_sel:BYTE_0
	s_waitcnt lgkmcnt(0)
	v_add_u32_e32 v1, v12, v1
	v_sub_u32_e32 v22, v22, v13
	v_and_b32_e32 v51, 1, v16
	v_sub_u32_e32 v50, v1, v22
	v_cmp_eq_u32_e32 vcc, 1, v51
	v_cndmask_b32_e32 v22, v50, v22, vcc
	v_lshlrev_b32_e32 v22, 1, v22
	v_lshrrev_b32_e32 v23, 8, v16
	ds_write_b16 v22, v6
	v_sub_u32_e32 v22, v24, v13
	v_add_u32_sdwa v25, v24, v16 dst_sel:DWORD dst_unused:UNUSED_PAD src0_sel:DWORD src1_sel:BYTE_1
	v_sub_u32_e32 v24, v1, v22
	v_and_b32_e32 v23, 1, v23
	v_add_u32_e32 v24, 1, v24
	v_cmp_eq_u32_e32 vcc, 1, v23
	v_cndmask_b32_e32 v22, v24, v22, vcc
	v_lshlrev_b32_e32 v22, 1, v22
	ds_write_b16_d16_hi v22, v6
	v_sub_u32_e32 v6, v25, v13
	v_mov_b32_e32 v23, 1
	v_sub_u32_e32 v22, v1, v6
	v_and_b32_sdwa v16, v23, v16 dst_sel:DWORD dst_unused:UNUSED_PAD src0_sel:DWORD src1_sel:WORD_1
	v_add_u32_e32 v22, 2, v22
	v_cmp_eq_u32_e32 vcc, 1, v16
	v_cndmask_b32_e32 v6, v22, v6, vcc
	v_add_u32_e32 v45, v25, v45
	v_lshlrev_b32_e32 v6, 1, v6
	ds_write_b16 v6, v7
	v_sub_u32_e32 v6, v45, v13
	v_sub_u32_e32 v16, v1, v6
	v_and_b32_e32 v22, 1, v33
	v_add_u32_e32 v16, 3, v16
	v_cmp_eq_u32_e32 vcc, 1, v22
	v_cndmask_b32_e32 v6, v16, v6, vcc
	v_add_u32_e32 v46, v45, v33
	v_lshlrev_b32_e32 v6, 1, v6
	ds_write_b16_d16_hi v6, v7
	v_sub_u32_e32 v6, v46, v13
	v_sub_u32_e32 v7, v1, v6
	v_and_b32_e32 v16, 1, v17
	v_add_u32_e32 v7, 4, v7
	v_cmp_eq_u32_e32 vcc, 1, v16
	v_cndmask_b32_e32 v6, v7, v6, vcc
	v_add_u32_e32 v42, v46, v42
	v_lshlrev_b32_e32 v6, 1, v6
	v_lshrrev_b32_e32 v21, 8, v17
	ds_write_b16 v6, v8
	v_sub_u32_e32 v6, v42, v13
	v_sub_u32_e32 v7, v1, v6
	v_and_b32_e32 v16, 1, v21
	v_add_u32_e32 v7, 5, v7
	v_cmp_eq_u32_e32 vcc, 1, v16
	v_cndmask_b32_e32 v6, v7, v6, vcc
	v_add_u32_e32 v43, v42, v43
	v_lshlrev_b32_e32 v6, 1, v6
	ds_write_b16_d16_hi v6, v8
	v_sub_u32_e32 v6, v43, v13
	v_sub_u32_e32 v7, v1, v6
	v_and_b32_sdwa v8, v23, v17 dst_sel:DWORD dst_unused:UNUSED_PAD src0_sel:DWORD src1_sel:WORD_1
	v_add_u32_e32 v7, 6, v7
	v_cmp_eq_u32_e32 vcc, 1, v8
	v_cndmask_b32_e32 v6, v7, v6, vcc
	v_add_u32_e32 v44, v43, v44
	v_lshlrev_b32_e32 v6, 1, v6
	ds_write_b16 v6, v9
	v_sub_u32_e32 v6, v44, v13
	v_sub_u32_e32 v7, v1, v6
	v_and_b32_e32 v8, 1, v32
	v_add_u32_e32 v7, 7, v7
	v_cmp_eq_u32_e32 vcc, 1, v8
	v_cndmask_b32_e32 v6, v7, v6, vcc
	v_add_u32_e32 v47, v44, v32
	v_lshlrev_b32_e32 v6, 1, v6
	ds_write_b16_d16_hi v6, v9
	v_sub_u32_e32 v6, v47, v13
	v_sub_u32_e32 v7, v1, v6
	v_and_b32_e32 v8, 1, v14
	v_add_u32_e32 v7, 8, v7
	v_cmp_eq_u32_e32 vcc, 1, v8
	v_cndmask_b32_e32 v6, v7, v6, vcc
	v_add_u32_e32 v39, v47, v39
	v_lshlrev_b32_e32 v6, 1, v6
	v_lshrrev_b32_e32 v20, 8, v14
	ds_write_b16 v6, v2
	v_sub_u32_e32 v6, v39, v13
	v_sub_u32_e32 v7, v1, v6
	v_and_b32_e32 v8, 1, v20
	v_add_u32_e32 v7, 9, v7
	v_cmp_eq_u32_e32 vcc, 1, v8
	v_cndmask_b32_e32 v6, v7, v6, vcc
	v_add_u32_e32 v40, v39, v40
	v_lshlrev_b32_e32 v6, 1, v6
	ds_write_b16_d16_hi v6, v2
	v_sub_u32_e32 v2, v40, v13
	;; [unrolled: 37-line block ×4, first 2 shown]
	v_sub_u32_e32 v3, v1, v2
	v_and_b32_sdwa v4, v23, v28 dst_sel:DWORD dst_unused:UNUSED_PAD src0_sel:DWORD src1_sel:WORD_1
	v_add_u32_e32 v3, 18, v3
	v_cmp_eq_u32_e32 vcc, 1, v4
	v_cndmask_b32_e32 v2, v3, v2, vcc
	v_lshlrev_b32_e32 v2, 1, v2
	ds_write_b16 v2, v11
	v_sub_u32_e32 v2, v29, v13
	v_add_u32_e32 v2, v35, v2
	v_sub_u32_e32 v1, v1, v2
	v_and_b32_e32 v3, 1, v27
	v_add_u32_e32 v1, 19, v1
	v_cmp_eq_u32_e32 vcc, 1, v3
	v_cndmask_b32_e32 v1, v1, v2, vcc
	v_lshlrev_b32_e32 v1, 1, v1
	ds_write_b16_d16_hi v1, v11
	v_mov_b32_e32 v1, s29
	v_add_co_u32_e32 v2, vcc, s28, v12
	s_waitcnt lgkmcnt(0)
	s_barrier
	ds_read_u16 v46, v26
	ds_read_u16 v45, v26 offset:512
	ds_read_u16 v43, v26 offset:1024
	ds_read_u16 v41, v26 offset:1536
	ds_read_u16 v38, v26 offset:2048
	ds_read_u16 v36, v26 offset:2560
	ds_read_u16 v34, v26 offset:3072
	ds_read_u16 v32, v26 offset:3584
	ds_read_u16 v31, v26 offset:4096
	ds_read_u16 v29, v26 offset:4608
	ds_read_u16 v27, v26 offset:5120
	ds_read_u16 v24, v26 offset:5632
	ds_read_u16 v22, v26 offset:6144
	ds_read_u16 v20, v26 offset:6656
	ds_read_u16 v18, v26 offset:7168
	ds_read_u16 v16, v26 offset:7680
	v_addc_co_u32_e32 v1, vcc, 0, v1, vcc
	v_add_co_u32_e32 v2, vcc, v2, v13
	v_addc_co_u32_e32 v3, vcc, 0, v1, vcc
	v_mov_b32_e32 v1, s27
	v_sub_co_u32_e32 v48, vcc, s26, v2
	ds_read_u16 v14, v26 offset:8192
	ds_read_u16 v10, v26 offset:8704
	;; [unrolled: 1-line block ×4, first 2 shown]
	v_subb_co_u32_e32 v49, vcc, v1, v3, vcc
	v_lshlrev_b64 v[48:49], 1, v[48:49]
	v_mov_b32_e32 v1, s5
	v_add_co_u32_e32 v4, vcc, s4, v48
	v_addc_co_u32_e32 v1, vcc, v1, v49, vcc
	v_mov_b32_e32 v13, s31
	v_add_co_u32_e32 v4, vcc, s30, v4
	v_addc_co_u32_e32 v1, vcc, v1, v13, vcc
	v_or_b32_e32 v44, 0x100, v0
	v_or_b32_e32 v42, 0x200, v0
	;; [unrolled: 1-line block ×19, first 2 shown]
	s_andn2_b64 vcc, exec, s[24:25]
	v_cmp_ge_u32_e64 s[0:1], v0, v12
	s_cbranch_vccnz .LBB3133_147
; %bb.126:
	s_and_saveexec_b64 s[2:3], s[0:1]
	s_cbranch_execnz .LBB3133_192
; %bb.127:
	s_or_b64 exec, exec, s[2:3]
	v_cmp_ge_u32_e32 vcc, v44, v12
	s_and_saveexec_b64 s[0:1], vcc
	s_cbranch_execnz .LBB3133_193
.LBB3133_128:
	s_or_b64 exec, exec, s[0:1]
	v_cmp_ge_u32_e32 vcc, v42, v12
	s_and_saveexec_b64 s[0:1], vcc
	s_cbranch_execnz .LBB3133_194
.LBB3133_129:
	s_or_b64 exec, exec, s[0:1]
	v_cmp_ge_u32_e32 vcc, v40, v12
	s_and_saveexec_b64 s[0:1], vcc
	s_cbranch_execnz .LBB3133_195
.LBB3133_130:
	s_or_b64 exec, exec, s[0:1]
	v_cmp_ge_u32_e32 vcc, v39, v12
	s_and_saveexec_b64 s[0:1], vcc
	s_cbranch_execnz .LBB3133_196
.LBB3133_131:
	s_or_b64 exec, exec, s[0:1]
	v_cmp_ge_u32_e32 vcc, v37, v12
	s_and_saveexec_b64 s[0:1], vcc
	s_cbranch_execnz .LBB3133_197
.LBB3133_132:
	s_or_b64 exec, exec, s[0:1]
	v_cmp_ge_u32_e32 vcc, v35, v12
	s_and_saveexec_b64 s[0:1], vcc
	s_cbranch_execnz .LBB3133_198
.LBB3133_133:
	s_or_b64 exec, exec, s[0:1]
	v_cmp_ge_u32_e32 vcc, v33, v12
	s_and_saveexec_b64 s[0:1], vcc
	s_cbranch_execnz .LBB3133_199
.LBB3133_134:
	s_or_b64 exec, exec, s[0:1]
	v_cmp_ge_u32_e32 vcc, v30, v12
	s_and_saveexec_b64 s[0:1], vcc
	s_cbranch_execnz .LBB3133_200
.LBB3133_135:
	s_or_b64 exec, exec, s[0:1]
	v_cmp_ge_u32_e32 vcc, v28, v12
	s_and_saveexec_b64 s[0:1], vcc
	s_cbranch_execnz .LBB3133_201
.LBB3133_136:
	s_or_b64 exec, exec, s[0:1]
	v_cmp_ge_u32_e32 vcc, v25, v12
	s_and_saveexec_b64 s[0:1], vcc
	s_cbranch_execnz .LBB3133_202
.LBB3133_137:
	s_or_b64 exec, exec, s[0:1]
	v_cmp_ge_u32_e32 vcc, v23, v12
	s_and_saveexec_b64 s[0:1], vcc
	s_cbranch_execnz .LBB3133_203
.LBB3133_138:
	s_or_b64 exec, exec, s[0:1]
	v_cmp_ge_u32_e32 vcc, v21, v12
	s_and_saveexec_b64 s[0:1], vcc
	s_cbranch_execnz .LBB3133_204
.LBB3133_139:
	s_or_b64 exec, exec, s[0:1]
	v_cmp_ge_u32_e32 vcc, v19, v12
	s_and_saveexec_b64 s[0:1], vcc
	s_cbranch_execnz .LBB3133_205
.LBB3133_140:
	s_or_b64 exec, exec, s[0:1]
	v_cmp_ge_u32_e32 vcc, v17, v12
	s_and_saveexec_b64 s[0:1], vcc
	s_cbranch_execnz .LBB3133_206
.LBB3133_141:
	s_or_b64 exec, exec, s[0:1]
	v_cmp_ge_u32_e32 vcc, v15, v12
	s_and_saveexec_b64 s[0:1], vcc
	s_cbranch_execnz .LBB3133_207
.LBB3133_142:
	s_or_b64 exec, exec, s[0:1]
	v_cmp_ge_u32_e32 vcc, v11, v12
	s_and_saveexec_b64 s[0:1], vcc
	s_cbranch_execnz .LBB3133_208
.LBB3133_143:
	s_or_b64 exec, exec, s[0:1]
	v_cmp_ge_u32_e32 vcc, v9, v12
	s_and_saveexec_b64 s[0:1], vcc
	s_cbranch_execnz .LBB3133_209
.LBB3133_144:
	s_or_b64 exec, exec, s[0:1]
	v_cmp_ge_u32_e32 vcc, v8, v12
	s_and_saveexec_b64 s[0:1], vcc
	s_cbranch_execz .LBB3133_146
.LBB3133_145:
	v_lshlrev_b32_e32 v13, 1, v8
	v_readfirstlane_b32 s2, v4
	v_readfirstlane_b32 s3, v1
	s_waitcnt lgkmcnt(1)
	s_nop 3
	global_store_short v13, v7, s[2:3]
.LBB3133_146:
	s_or_b64 exec, exec, s[0:1]
	v_cmp_ge_u32_e64 s[0:1], v6, v12
	s_branch .LBB3133_187
.LBB3133_147:
	s_mov_b64 s[0:1], 0
	s_cbranch_execz .LBB3133_187
; %bb.148:
	v_cmp_gt_u32_e32 vcc, s33, v0
	v_cmp_ge_u32_e64 s[0:1], v0, v12
	s_and_b64 s[2:3], vcc, s[0:1]
	s_and_saveexec_b64 s[0:1], s[2:3]
	s_cbranch_execz .LBB3133_150
; %bb.149:
	v_readfirstlane_b32 s2, v4
	v_readfirstlane_b32 s3, v1
	s_waitcnt lgkmcnt(14)
	s_nop 3
	global_store_short v26, v46, s[2:3]
.LBB3133_150:
	s_or_b64 exec, exec, s[0:1]
	v_cmp_gt_u32_e32 vcc, s33, v44
	v_cmp_ge_u32_e64 s[0:1], v44, v12
	s_and_b64 s[2:3], vcc, s[0:1]
	s_and_saveexec_b64 s[0:1], s[2:3]
	s_cbranch_execz .LBB3133_152
; %bb.151:
	v_readfirstlane_b32 s2, v4
	v_readfirstlane_b32 s3, v1
	s_waitcnt lgkmcnt(14)
	s_nop 3
	global_store_short v26, v45, s[2:3] offset:512
.LBB3133_152:
	s_or_b64 exec, exec, s[0:1]
	v_cmp_gt_u32_e32 vcc, s33, v42
	v_cmp_ge_u32_e64 s[0:1], v42, v12
	s_and_b64 s[2:3], vcc, s[0:1]
	s_and_saveexec_b64 s[0:1], s[2:3]
	s_cbranch_execz .LBB3133_154
; %bb.153:
	v_readfirstlane_b32 s2, v4
	v_readfirstlane_b32 s3, v1
	s_waitcnt lgkmcnt(14)
	s_nop 3
	global_store_short v26, v43, s[2:3] offset:1024
.LBB3133_154:
	;; [unrolled: 13-line block ×7, first 2 shown]
	s_or_b64 exec, exec, s[0:1]
	v_cmp_gt_u32_e32 vcc, s33, v30
	v_cmp_ge_u32_e64 s[0:1], v30, v12
	s_and_b64 s[2:3], vcc, s[0:1]
	s_and_saveexec_b64 s[0:1], s[2:3]
	s_cbranch_execz .LBB3133_166
; %bb.165:
	v_lshlrev_b32_e32 v13, 1, v30
	v_readfirstlane_b32 s2, v4
	v_readfirstlane_b32 s3, v1
	s_waitcnt lgkmcnt(11)
	s_nop 3
	global_store_short v13, v31, s[2:3]
.LBB3133_166:
	s_or_b64 exec, exec, s[0:1]
	v_cmp_gt_u32_e32 vcc, s33, v28
	v_cmp_ge_u32_e64 s[0:1], v28, v12
	s_and_b64 s[2:3], vcc, s[0:1]
	s_and_saveexec_b64 s[0:1], s[2:3]
	s_cbranch_execz .LBB3133_168
; %bb.167:
	v_lshlrev_b32_e32 v13, 1, v28
	v_readfirstlane_b32 s2, v4
	v_readfirstlane_b32 s3, v1
	s_waitcnt lgkmcnt(10)
	s_nop 3
	global_store_short v13, v29, s[2:3]
.LBB3133_168:
	;; [unrolled: 14-line block ×11, first 2 shown]
	s_or_b64 exec, exec, s[0:1]
	v_cmp_gt_u32_e32 vcc, s33, v6
	v_cmp_ge_u32_e64 s[0:1], v6, v12
	s_and_b64 s[0:1], vcc, s[0:1]
.LBB3133_187:
	s_and_saveexec_b64 s[2:3], s[0:1]
	s_cbranch_execz .LBB3133_189
; %bb.188:
	v_lshlrev_b32_e32 v6, 1, v6
	v_readfirstlane_b32 s0, v4
	v_readfirstlane_b32 s1, v1
	s_waitcnt lgkmcnt(0)
	s_nop 3
	global_store_short v6, v5, s[0:1]
.LBB3133_189:
	s_or_b64 exec, exec, s[2:3]
	v_cmp_eq_u32_e32 vcc, 0, v0
	s_and_b64 s[0:1], vcc, s[22:23]
	s_and_saveexec_b64 s[2:3], s[0:1]
	s_cbranch_execz .LBB3133_191
; %bb.190:
	v_mov_b32_e32 v0, 0
	global_store_dwordx2 v0, v[2:3], s[20:21]
.LBB3133_191:
	s_endpgm
.LBB3133_192:
	v_readfirstlane_b32 s0, v4
	v_readfirstlane_b32 s1, v1
	s_waitcnt lgkmcnt(14)
	s_nop 3
	global_store_short v26, v46, s[0:1]
	s_or_b64 exec, exec, s[2:3]
	v_cmp_ge_u32_e32 vcc, v44, v12
	s_and_saveexec_b64 s[0:1], vcc
	s_cbranch_execz .LBB3133_128
.LBB3133_193:
	v_readfirstlane_b32 s2, v4
	v_readfirstlane_b32 s3, v1
	s_waitcnt lgkmcnt(14)
	s_nop 3
	global_store_short v26, v45, s[2:3] offset:512
	s_or_b64 exec, exec, s[0:1]
	v_cmp_ge_u32_e32 vcc, v42, v12
	s_and_saveexec_b64 s[0:1], vcc
	s_cbranch_execz .LBB3133_129
.LBB3133_194:
	v_readfirstlane_b32 s2, v4
	v_readfirstlane_b32 s3, v1
	s_waitcnt lgkmcnt(14)
	s_nop 3
	global_store_short v26, v43, s[2:3] offset:1024
	s_or_b64 exec, exec, s[0:1]
	v_cmp_ge_u32_e32 vcc, v40, v12
	s_and_saveexec_b64 s[0:1], vcc
	s_cbranch_execz .LBB3133_130
.LBB3133_195:
	v_readfirstlane_b32 s2, v4
	v_readfirstlane_b32 s3, v1
	s_waitcnt lgkmcnt(14)
	s_nop 3
	global_store_short v26, v41, s[2:3] offset:1536
	s_or_b64 exec, exec, s[0:1]
	v_cmp_ge_u32_e32 vcc, v39, v12
	s_and_saveexec_b64 s[0:1], vcc
	s_cbranch_execz .LBB3133_131
.LBB3133_196:
	v_readfirstlane_b32 s2, v4
	v_readfirstlane_b32 s3, v1
	s_waitcnt lgkmcnt(14)
	s_nop 3
	global_store_short v26, v38, s[2:3] offset:2048
	s_or_b64 exec, exec, s[0:1]
	v_cmp_ge_u32_e32 vcc, v37, v12
	s_and_saveexec_b64 s[0:1], vcc
	s_cbranch_execz .LBB3133_132
.LBB3133_197:
	v_readfirstlane_b32 s2, v4
	v_readfirstlane_b32 s3, v1
	s_waitcnt lgkmcnt(14)
	s_nop 3
	global_store_short v26, v36, s[2:3] offset:2560
	s_or_b64 exec, exec, s[0:1]
	v_cmp_ge_u32_e32 vcc, v35, v12
	s_and_saveexec_b64 s[0:1], vcc
	s_cbranch_execz .LBB3133_133
.LBB3133_198:
	v_readfirstlane_b32 s2, v4
	v_readfirstlane_b32 s3, v1
	s_waitcnt lgkmcnt(13)
	s_nop 3
	global_store_short v26, v34, s[2:3] offset:3072
	s_or_b64 exec, exec, s[0:1]
	v_cmp_ge_u32_e32 vcc, v33, v12
	s_and_saveexec_b64 s[0:1], vcc
	s_cbranch_execz .LBB3133_134
.LBB3133_199:
	v_readfirstlane_b32 s2, v4
	v_readfirstlane_b32 s3, v1
	s_waitcnt lgkmcnt(12)
	s_nop 3
	global_store_short v26, v32, s[2:3] offset:3584
	s_or_b64 exec, exec, s[0:1]
	v_cmp_ge_u32_e32 vcc, v30, v12
	s_and_saveexec_b64 s[0:1], vcc
	s_cbranch_execz .LBB3133_135
.LBB3133_200:
	v_lshlrev_b32_e32 v13, 1, v30
	v_readfirstlane_b32 s2, v4
	v_readfirstlane_b32 s3, v1
	s_waitcnt lgkmcnt(11)
	s_nop 3
	global_store_short v13, v31, s[2:3]
	s_or_b64 exec, exec, s[0:1]
	v_cmp_ge_u32_e32 vcc, v28, v12
	s_and_saveexec_b64 s[0:1], vcc
	s_cbranch_execz .LBB3133_136
.LBB3133_201:
	v_lshlrev_b32_e32 v13, 1, v28
	v_readfirstlane_b32 s2, v4
	v_readfirstlane_b32 s3, v1
	s_waitcnt lgkmcnt(10)
	s_nop 3
	global_store_short v13, v29, s[2:3]
	s_or_b64 exec, exec, s[0:1]
	v_cmp_ge_u32_e32 vcc, v25, v12
	s_and_saveexec_b64 s[0:1], vcc
	s_cbranch_execz .LBB3133_137
.LBB3133_202:
	v_lshlrev_b32_e32 v13, 1, v25
	v_readfirstlane_b32 s2, v4
	v_readfirstlane_b32 s3, v1
	s_waitcnt lgkmcnt(9)
	s_nop 3
	global_store_short v13, v27, s[2:3]
	s_or_b64 exec, exec, s[0:1]
	v_cmp_ge_u32_e32 vcc, v23, v12
	s_and_saveexec_b64 s[0:1], vcc
	s_cbranch_execz .LBB3133_138
.LBB3133_203:
	v_lshlrev_b32_e32 v13, 1, v23
	v_readfirstlane_b32 s2, v4
	v_readfirstlane_b32 s3, v1
	s_waitcnt lgkmcnt(8)
	s_nop 3
	global_store_short v13, v24, s[2:3]
	s_or_b64 exec, exec, s[0:1]
	v_cmp_ge_u32_e32 vcc, v21, v12
	s_and_saveexec_b64 s[0:1], vcc
	s_cbranch_execz .LBB3133_139
.LBB3133_204:
	v_lshlrev_b32_e32 v13, 1, v21
	v_readfirstlane_b32 s2, v4
	v_readfirstlane_b32 s3, v1
	s_waitcnt lgkmcnt(7)
	s_nop 3
	global_store_short v13, v22, s[2:3]
	s_or_b64 exec, exec, s[0:1]
	v_cmp_ge_u32_e32 vcc, v19, v12
	s_and_saveexec_b64 s[0:1], vcc
	s_cbranch_execz .LBB3133_140
.LBB3133_205:
	v_lshlrev_b32_e32 v13, 1, v19
	v_readfirstlane_b32 s2, v4
	v_readfirstlane_b32 s3, v1
	s_waitcnt lgkmcnt(6)
	s_nop 3
	global_store_short v13, v20, s[2:3]
	s_or_b64 exec, exec, s[0:1]
	v_cmp_ge_u32_e32 vcc, v17, v12
	s_and_saveexec_b64 s[0:1], vcc
	s_cbranch_execz .LBB3133_141
.LBB3133_206:
	v_lshlrev_b32_e32 v13, 1, v17
	v_readfirstlane_b32 s2, v4
	v_readfirstlane_b32 s3, v1
	s_waitcnt lgkmcnt(5)
	s_nop 3
	global_store_short v13, v18, s[2:3]
	s_or_b64 exec, exec, s[0:1]
	v_cmp_ge_u32_e32 vcc, v15, v12
	s_and_saveexec_b64 s[0:1], vcc
	s_cbranch_execz .LBB3133_142
.LBB3133_207:
	v_lshlrev_b32_e32 v13, 1, v15
	v_readfirstlane_b32 s2, v4
	v_readfirstlane_b32 s3, v1
	s_waitcnt lgkmcnt(4)
	s_nop 3
	global_store_short v13, v16, s[2:3]
	s_or_b64 exec, exec, s[0:1]
	v_cmp_ge_u32_e32 vcc, v11, v12
	s_and_saveexec_b64 s[0:1], vcc
	s_cbranch_execz .LBB3133_143
.LBB3133_208:
	v_lshlrev_b32_e32 v13, 1, v11
	v_readfirstlane_b32 s2, v4
	v_readfirstlane_b32 s3, v1
	s_waitcnt lgkmcnt(3)
	s_nop 3
	global_store_short v13, v14, s[2:3]
	s_or_b64 exec, exec, s[0:1]
	v_cmp_ge_u32_e32 vcc, v9, v12
	s_and_saveexec_b64 s[0:1], vcc
	s_cbranch_execz .LBB3133_144
.LBB3133_209:
	v_lshlrev_b32_e32 v13, 1, v9
	v_readfirstlane_b32 s2, v4
	v_readfirstlane_b32 s3, v1
	s_waitcnt lgkmcnt(2)
	s_nop 3
	global_store_short v13, v10, s[2:3]
	s_or_b64 exec, exec, s[0:1]
	v_cmp_ge_u32_e32 vcc, v8, v12
	s_and_saveexec_b64 s[0:1], vcc
	s_cbranch_execnz .LBB3133_145
	s_branch .LBB3133_146
	.section	.rodata,"a",@progbits
	.p2align	6, 0x0
	.amdhsa_kernel _ZN7rocprim17ROCPRIM_400000_NS6detail17trampoline_kernelINS0_14default_configENS1_25partition_config_selectorILNS1_17partition_subalgoE1EtNS0_10empty_typeEbEEZZNS1_14partition_implILS5_1ELb0ES3_jN6thrust23THRUST_200600_302600_NS6detail15normal_iteratorINSA_10device_ptrItEEEEPS6_NSA_18transform_iteratorI7is_evenItESF_NSA_11use_defaultESK_EENS0_5tupleIJNSA_16discard_iteratorISK_EESF_EEENSM_IJSG_SG_EEES6_PlJS6_EEE10hipError_tPvRmT3_T4_T5_T6_T7_T9_mT8_P12ihipStream_tbDpT10_ENKUlT_T0_E_clISt17integral_constantIbLb0EES1B_EEDaS16_S17_EUlS16_E_NS1_11comp_targetILNS1_3genE4ELNS1_11target_archE910ELNS1_3gpuE8ELNS1_3repE0EEENS1_30default_config_static_selectorELNS0_4arch9wavefront6targetE1EEEvT1_
		.amdhsa_group_segment_fixed_size 10248
		.amdhsa_private_segment_fixed_size 0
		.amdhsa_kernarg_size 136
		.amdhsa_user_sgpr_count 6
		.amdhsa_user_sgpr_private_segment_buffer 1
		.amdhsa_user_sgpr_dispatch_ptr 0
		.amdhsa_user_sgpr_queue_ptr 0
		.amdhsa_user_sgpr_kernarg_segment_ptr 1
		.amdhsa_user_sgpr_dispatch_id 0
		.amdhsa_user_sgpr_flat_scratch_init 0
		.amdhsa_user_sgpr_kernarg_preload_length 0
		.amdhsa_user_sgpr_kernarg_preload_offset 0
		.amdhsa_user_sgpr_private_segment_size 0
		.amdhsa_uses_dynamic_stack 0
		.amdhsa_system_sgpr_private_segment_wavefront_offset 0
		.amdhsa_system_sgpr_workgroup_id_x 1
		.amdhsa_system_sgpr_workgroup_id_y 0
		.amdhsa_system_sgpr_workgroup_id_z 0
		.amdhsa_system_sgpr_workgroup_info 0
		.amdhsa_system_vgpr_workitem_id 0
		.amdhsa_next_free_vgpr 65
		.amdhsa_next_free_sgpr 44
		.amdhsa_accum_offset 68
		.amdhsa_reserve_vcc 1
		.amdhsa_reserve_flat_scratch 0
		.amdhsa_float_round_mode_32 0
		.amdhsa_float_round_mode_16_64 0
		.amdhsa_float_denorm_mode_32 3
		.amdhsa_float_denorm_mode_16_64 3
		.amdhsa_dx10_clamp 1
		.amdhsa_ieee_mode 1
		.amdhsa_fp16_overflow 0
		.amdhsa_tg_split 0
		.amdhsa_exception_fp_ieee_invalid_op 0
		.amdhsa_exception_fp_denorm_src 0
		.amdhsa_exception_fp_ieee_div_zero 0
		.amdhsa_exception_fp_ieee_overflow 0
		.amdhsa_exception_fp_ieee_underflow 0
		.amdhsa_exception_fp_ieee_inexact 0
		.amdhsa_exception_int_div_zero 0
	.end_amdhsa_kernel
	.section	.text._ZN7rocprim17ROCPRIM_400000_NS6detail17trampoline_kernelINS0_14default_configENS1_25partition_config_selectorILNS1_17partition_subalgoE1EtNS0_10empty_typeEbEEZZNS1_14partition_implILS5_1ELb0ES3_jN6thrust23THRUST_200600_302600_NS6detail15normal_iteratorINSA_10device_ptrItEEEEPS6_NSA_18transform_iteratorI7is_evenItESF_NSA_11use_defaultESK_EENS0_5tupleIJNSA_16discard_iteratorISK_EESF_EEENSM_IJSG_SG_EEES6_PlJS6_EEE10hipError_tPvRmT3_T4_T5_T6_T7_T9_mT8_P12ihipStream_tbDpT10_ENKUlT_T0_E_clISt17integral_constantIbLb0EES1B_EEDaS16_S17_EUlS16_E_NS1_11comp_targetILNS1_3genE4ELNS1_11target_archE910ELNS1_3gpuE8ELNS1_3repE0EEENS1_30default_config_static_selectorELNS0_4arch9wavefront6targetE1EEEvT1_,"axG",@progbits,_ZN7rocprim17ROCPRIM_400000_NS6detail17trampoline_kernelINS0_14default_configENS1_25partition_config_selectorILNS1_17partition_subalgoE1EtNS0_10empty_typeEbEEZZNS1_14partition_implILS5_1ELb0ES3_jN6thrust23THRUST_200600_302600_NS6detail15normal_iteratorINSA_10device_ptrItEEEEPS6_NSA_18transform_iteratorI7is_evenItESF_NSA_11use_defaultESK_EENS0_5tupleIJNSA_16discard_iteratorISK_EESF_EEENSM_IJSG_SG_EEES6_PlJS6_EEE10hipError_tPvRmT3_T4_T5_T6_T7_T9_mT8_P12ihipStream_tbDpT10_ENKUlT_T0_E_clISt17integral_constantIbLb0EES1B_EEDaS16_S17_EUlS16_E_NS1_11comp_targetILNS1_3genE4ELNS1_11target_archE910ELNS1_3gpuE8ELNS1_3repE0EEENS1_30default_config_static_selectorELNS0_4arch9wavefront6targetE1EEEvT1_,comdat
.Lfunc_end3133:
	.size	_ZN7rocprim17ROCPRIM_400000_NS6detail17trampoline_kernelINS0_14default_configENS1_25partition_config_selectorILNS1_17partition_subalgoE1EtNS0_10empty_typeEbEEZZNS1_14partition_implILS5_1ELb0ES3_jN6thrust23THRUST_200600_302600_NS6detail15normal_iteratorINSA_10device_ptrItEEEEPS6_NSA_18transform_iteratorI7is_evenItESF_NSA_11use_defaultESK_EENS0_5tupleIJNSA_16discard_iteratorISK_EESF_EEENSM_IJSG_SG_EEES6_PlJS6_EEE10hipError_tPvRmT3_T4_T5_T6_T7_T9_mT8_P12ihipStream_tbDpT10_ENKUlT_T0_E_clISt17integral_constantIbLb0EES1B_EEDaS16_S17_EUlS16_E_NS1_11comp_targetILNS1_3genE4ELNS1_11target_archE910ELNS1_3gpuE8ELNS1_3repE0EEENS1_30default_config_static_selectorELNS0_4arch9wavefront6targetE1EEEvT1_, .Lfunc_end3133-_ZN7rocprim17ROCPRIM_400000_NS6detail17trampoline_kernelINS0_14default_configENS1_25partition_config_selectorILNS1_17partition_subalgoE1EtNS0_10empty_typeEbEEZZNS1_14partition_implILS5_1ELb0ES3_jN6thrust23THRUST_200600_302600_NS6detail15normal_iteratorINSA_10device_ptrItEEEEPS6_NSA_18transform_iteratorI7is_evenItESF_NSA_11use_defaultESK_EENS0_5tupleIJNSA_16discard_iteratorISK_EESF_EEENSM_IJSG_SG_EEES6_PlJS6_EEE10hipError_tPvRmT3_T4_T5_T6_T7_T9_mT8_P12ihipStream_tbDpT10_ENKUlT_T0_E_clISt17integral_constantIbLb0EES1B_EEDaS16_S17_EUlS16_E_NS1_11comp_targetILNS1_3genE4ELNS1_11target_archE910ELNS1_3gpuE8ELNS1_3repE0EEENS1_30default_config_static_selectorELNS0_4arch9wavefront6targetE1EEEvT1_
                                        ; -- End function
	.section	.AMDGPU.csdata,"",@progbits
; Kernel info:
; codeLenInByte = 9164
; NumSgprs: 48
; NumVgprs: 65
; NumAgprs: 0
; TotalNumVgprs: 65
; ScratchSize: 0
; MemoryBound: 0
; FloatMode: 240
; IeeeMode: 1
; LDSByteSize: 10248 bytes/workgroup (compile time only)
; SGPRBlocks: 5
; VGPRBlocks: 8
; NumSGPRsForWavesPerEU: 48
; NumVGPRsForWavesPerEU: 65
; AccumOffset: 68
; Occupancy: 6
; WaveLimiterHint : 1
; COMPUTE_PGM_RSRC2:SCRATCH_EN: 0
; COMPUTE_PGM_RSRC2:USER_SGPR: 6
; COMPUTE_PGM_RSRC2:TRAP_HANDLER: 0
; COMPUTE_PGM_RSRC2:TGID_X_EN: 1
; COMPUTE_PGM_RSRC2:TGID_Y_EN: 0
; COMPUTE_PGM_RSRC2:TGID_Z_EN: 0
; COMPUTE_PGM_RSRC2:TIDIG_COMP_CNT: 0
; COMPUTE_PGM_RSRC3_GFX90A:ACCUM_OFFSET: 16
; COMPUTE_PGM_RSRC3_GFX90A:TG_SPLIT: 0
	.section	.text._ZN7rocprim17ROCPRIM_400000_NS6detail17trampoline_kernelINS0_14default_configENS1_25partition_config_selectorILNS1_17partition_subalgoE1EtNS0_10empty_typeEbEEZZNS1_14partition_implILS5_1ELb0ES3_jN6thrust23THRUST_200600_302600_NS6detail15normal_iteratorINSA_10device_ptrItEEEEPS6_NSA_18transform_iteratorI7is_evenItESF_NSA_11use_defaultESK_EENS0_5tupleIJNSA_16discard_iteratorISK_EESF_EEENSM_IJSG_SG_EEES6_PlJS6_EEE10hipError_tPvRmT3_T4_T5_T6_T7_T9_mT8_P12ihipStream_tbDpT10_ENKUlT_T0_E_clISt17integral_constantIbLb0EES1B_EEDaS16_S17_EUlS16_E_NS1_11comp_targetILNS1_3genE3ELNS1_11target_archE908ELNS1_3gpuE7ELNS1_3repE0EEENS1_30default_config_static_selectorELNS0_4arch9wavefront6targetE1EEEvT1_,"axG",@progbits,_ZN7rocprim17ROCPRIM_400000_NS6detail17trampoline_kernelINS0_14default_configENS1_25partition_config_selectorILNS1_17partition_subalgoE1EtNS0_10empty_typeEbEEZZNS1_14partition_implILS5_1ELb0ES3_jN6thrust23THRUST_200600_302600_NS6detail15normal_iteratorINSA_10device_ptrItEEEEPS6_NSA_18transform_iteratorI7is_evenItESF_NSA_11use_defaultESK_EENS0_5tupleIJNSA_16discard_iteratorISK_EESF_EEENSM_IJSG_SG_EEES6_PlJS6_EEE10hipError_tPvRmT3_T4_T5_T6_T7_T9_mT8_P12ihipStream_tbDpT10_ENKUlT_T0_E_clISt17integral_constantIbLb0EES1B_EEDaS16_S17_EUlS16_E_NS1_11comp_targetILNS1_3genE3ELNS1_11target_archE908ELNS1_3gpuE7ELNS1_3repE0EEENS1_30default_config_static_selectorELNS0_4arch9wavefront6targetE1EEEvT1_,comdat
	.protected	_ZN7rocprim17ROCPRIM_400000_NS6detail17trampoline_kernelINS0_14default_configENS1_25partition_config_selectorILNS1_17partition_subalgoE1EtNS0_10empty_typeEbEEZZNS1_14partition_implILS5_1ELb0ES3_jN6thrust23THRUST_200600_302600_NS6detail15normal_iteratorINSA_10device_ptrItEEEEPS6_NSA_18transform_iteratorI7is_evenItESF_NSA_11use_defaultESK_EENS0_5tupleIJNSA_16discard_iteratorISK_EESF_EEENSM_IJSG_SG_EEES6_PlJS6_EEE10hipError_tPvRmT3_T4_T5_T6_T7_T9_mT8_P12ihipStream_tbDpT10_ENKUlT_T0_E_clISt17integral_constantIbLb0EES1B_EEDaS16_S17_EUlS16_E_NS1_11comp_targetILNS1_3genE3ELNS1_11target_archE908ELNS1_3gpuE7ELNS1_3repE0EEENS1_30default_config_static_selectorELNS0_4arch9wavefront6targetE1EEEvT1_ ; -- Begin function _ZN7rocprim17ROCPRIM_400000_NS6detail17trampoline_kernelINS0_14default_configENS1_25partition_config_selectorILNS1_17partition_subalgoE1EtNS0_10empty_typeEbEEZZNS1_14partition_implILS5_1ELb0ES3_jN6thrust23THRUST_200600_302600_NS6detail15normal_iteratorINSA_10device_ptrItEEEEPS6_NSA_18transform_iteratorI7is_evenItESF_NSA_11use_defaultESK_EENS0_5tupleIJNSA_16discard_iteratorISK_EESF_EEENSM_IJSG_SG_EEES6_PlJS6_EEE10hipError_tPvRmT3_T4_T5_T6_T7_T9_mT8_P12ihipStream_tbDpT10_ENKUlT_T0_E_clISt17integral_constantIbLb0EES1B_EEDaS16_S17_EUlS16_E_NS1_11comp_targetILNS1_3genE3ELNS1_11target_archE908ELNS1_3gpuE7ELNS1_3repE0EEENS1_30default_config_static_selectorELNS0_4arch9wavefront6targetE1EEEvT1_
	.globl	_ZN7rocprim17ROCPRIM_400000_NS6detail17trampoline_kernelINS0_14default_configENS1_25partition_config_selectorILNS1_17partition_subalgoE1EtNS0_10empty_typeEbEEZZNS1_14partition_implILS5_1ELb0ES3_jN6thrust23THRUST_200600_302600_NS6detail15normal_iteratorINSA_10device_ptrItEEEEPS6_NSA_18transform_iteratorI7is_evenItESF_NSA_11use_defaultESK_EENS0_5tupleIJNSA_16discard_iteratorISK_EESF_EEENSM_IJSG_SG_EEES6_PlJS6_EEE10hipError_tPvRmT3_T4_T5_T6_T7_T9_mT8_P12ihipStream_tbDpT10_ENKUlT_T0_E_clISt17integral_constantIbLb0EES1B_EEDaS16_S17_EUlS16_E_NS1_11comp_targetILNS1_3genE3ELNS1_11target_archE908ELNS1_3gpuE7ELNS1_3repE0EEENS1_30default_config_static_selectorELNS0_4arch9wavefront6targetE1EEEvT1_
	.p2align	8
	.type	_ZN7rocprim17ROCPRIM_400000_NS6detail17trampoline_kernelINS0_14default_configENS1_25partition_config_selectorILNS1_17partition_subalgoE1EtNS0_10empty_typeEbEEZZNS1_14partition_implILS5_1ELb0ES3_jN6thrust23THRUST_200600_302600_NS6detail15normal_iteratorINSA_10device_ptrItEEEEPS6_NSA_18transform_iteratorI7is_evenItESF_NSA_11use_defaultESK_EENS0_5tupleIJNSA_16discard_iteratorISK_EESF_EEENSM_IJSG_SG_EEES6_PlJS6_EEE10hipError_tPvRmT3_T4_T5_T6_T7_T9_mT8_P12ihipStream_tbDpT10_ENKUlT_T0_E_clISt17integral_constantIbLb0EES1B_EEDaS16_S17_EUlS16_E_NS1_11comp_targetILNS1_3genE3ELNS1_11target_archE908ELNS1_3gpuE7ELNS1_3repE0EEENS1_30default_config_static_selectorELNS0_4arch9wavefront6targetE1EEEvT1_,@function
_ZN7rocprim17ROCPRIM_400000_NS6detail17trampoline_kernelINS0_14default_configENS1_25partition_config_selectorILNS1_17partition_subalgoE1EtNS0_10empty_typeEbEEZZNS1_14partition_implILS5_1ELb0ES3_jN6thrust23THRUST_200600_302600_NS6detail15normal_iteratorINSA_10device_ptrItEEEEPS6_NSA_18transform_iteratorI7is_evenItESF_NSA_11use_defaultESK_EENS0_5tupleIJNSA_16discard_iteratorISK_EESF_EEENSM_IJSG_SG_EEES6_PlJS6_EEE10hipError_tPvRmT3_T4_T5_T6_T7_T9_mT8_P12ihipStream_tbDpT10_ENKUlT_T0_E_clISt17integral_constantIbLb0EES1B_EEDaS16_S17_EUlS16_E_NS1_11comp_targetILNS1_3genE3ELNS1_11target_archE908ELNS1_3gpuE7ELNS1_3repE0EEENS1_30default_config_static_selectorELNS0_4arch9wavefront6targetE1EEEvT1_: ; @_ZN7rocprim17ROCPRIM_400000_NS6detail17trampoline_kernelINS0_14default_configENS1_25partition_config_selectorILNS1_17partition_subalgoE1EtNS0_10empty_typeEbEEZZNS1_14partition_implILS5_1ELb0ES3_jN6thrust23THRUST_200600_302600_NS6detail15normal_iteratorINSA_10device_ptrItEEEEPS6_NSA_18transform_iteratorI7is_evenItESF_NSA_11use_defaultESK_EENS0_5tupleIJNSA_16discard_iteratorISK_EESF_EEENSM_IJSG_SG_EEES6_PlJS6_EEE10hipError_tPvRmT3_T4_T5_T6_T7_T9_mT8_P12ihipStream_tbDpT10_ENKUlT_T0_E_clISt17integral_constantIbLb0EES1B_EEDaS16_S17_EUlS16_E_NS1_11comp_targetILNS1_3genE3ELNS1_11target_archE908ELNS1_3gpuE7ELNS1_3repE0EEENS1_30default_config_static_selectorELNS0_4arch9wavefront6targetE1EEEvT1_
; %bb.0:
	.section	.rodata,"a",@progbits
	.p2align	6, 0x0
	.amdhsa_kernel _ZN7rocprim17ROCPRIM_400000_NS6detail17trampoline_kernelINS0_14default_configENS1_25partition_config_selectorILNS1_17partition_subalgoE1EtNS0_10empty_typeEbEEZZNS1_14partition_implILS5_1ELb0ES3_jN6thrust23THRUST_200600_302600_NS6detail15normal_iteratorINSA_10device_ptrItEEEEPS6_NSA_18transform_iteratorI7is_evenItESF_NSA_11use_defaultESK_EENS0_5tupleIJNSA_16discard_iteratorISK_EESF_EEENSM_IJSG_SG_EEES6_PlJS6_EEE10hipError_tPvRmT3_T4_T5_T6_T7_T9_mT8_P12ihipStream_tbDpT10_ENKUlT_T0_E_clISt17integral_constantIbLb0EES1B_EEDaS16_S17_EUlS16_E_NS1_11comp_targetILNS1_3genE3ELNS1_11target_archE908ELNS1_3gpuE7ELNS1_3repE0EEENS1_30default_config_static_selectorELNS0_4arch9wavefront6targetE1EEEvT1_
		.amdhsa_group_segment_fixed_size 0
		.amdhsa_private_segment_fixed_size 0
		.amdhsa_kernarg_size 136
		.amdhsa_user_sgpr_count 6
		.amdhsa_user_sgpr_private_segment_buffer 1
		.amdhsa_user_sgpr_dispatch_ptr 0
		.amdhsa_user_sgpr_queue_ptr 0
		.amdhsa_user_sgpr_kernarg_segment_ptr 1
		.amdhsa_user_sgpr_dispatch_id 0
		.amdhsa_user_sgpr_flat_scratch_init 0
		.amdhsa_user_sgpr_kernarg_preload_length 0
		.amdhsa_user_sgpr_kernarg_preload_offset 0
		.amdhsa_user_sgpr_private_segment_size 0
		.amdhsa_uses_dynamic_stack 0
		.amdhsa_system_sgpr_private_segment_wavefront_offset 0
		.amdhsa_system_sgpr_workgroup_id_x 1
		.amdhsa_system_sgpr_workgroup_id_y 0
		.amdhsa_system_sgpr_workgroup_id_z 0
		.amdhsa_system_sgpr_workgroup_info 0
		.amdhsa_system_vgpr_workitem_id 0
		.amdhsa_next_free_vgpr 1
		.amdhsa_next_free_sgpr 0
		.amdhsa_accum_offset 4
		.amdhsa_reserve_vcc 0
		.amdhsa_reserve_flat_scratch 0
		.amdhsa_float_round_mode_32 0
		.amdhsa_float_round_mode_16_64 0
		.amdhsa_float_denorm_mode_32 3
		.amdhsa_float_denorm_mode_16_64 3
		.amdhsa_dx10_clamp 1
		.amdhsa_ieee_mode 1
		.amdhsa_fp16_overflow 0
		.amdhsa_tg_split 0
		.amdhsa_exception_fp_ieee_invalid_op 0
		.amdhsa_exception_fp_denorm_src 0
		.amdhsa_exception_fp_ieee_div_zero 0
		.amdhsa_exception_fp_ieee_overflow 0
		.amdhsa_exception_fp_ieee_underflow 0
		.amdhsa_exception_fp_ieee_inexact 0
		.amdhsa_exception_int_div_zero 0
	.end_amdhsa_kernel
	.section	.text._ZN7rocprim17ROCPRIM_400000_NS6detail17trampoline_kernelINS0_14default_configENS1_25partition_config_selectorILNS1_17partition_subalgoE1EtNS0_10empty_typeEbEEZZNS1_14partition_implILS5_1ELb0ES3_jN6thrust23THRUST_200600_302600_NS6detail15normal_iteratorINSA_10device_ptrItEEEEPS6_NSA_18transform_iteratorI7is_evenItESF_NSA_11use_defaultESK_EENS0_5tupleIJNSA_16discard_iteratorISK_EESF_EEENSM_IJSG_SG_EEES6_PlJS6_EEE10hipError_tPvRmT3_T4_T5_T6_T7_T9_mT8_P12ihipStream_tbDpT10_ENKUlT_T0_E_clISt17integral_constantIbLb0EES1B_EEDaS16_S17_EUlS16_E_NS1_11comp_targetILNS1_3genE3ELNS1_11target_archE908ELNS1_3gpuE7ELNS1_3repE0EEENS1_30default_config_static_selectorELNS0_4arch9wavefront6targetE1EEEvT1_,"axG",@progbits,_ZN7rocprim17ROCPRIM_400000_NS6detail17trampoline_kernelINS0_14default_configENS1_25partition_config_selectorILNS1_17partition_subalgoE1EtNS0_10empty_typeEbEEZZNS1_14partition_implILS5_1ELb0ES3_jN6thrust23THRUST_200600_302600_NS6detail15normal_iteratorINSA_10device_ptrItEEEEPS6_NSA_18transform_iteratorI7is_evenItESF_NSA_11use_defaultESK_EENS0_5tupleIJNSA_16discard_iteratorISK_EESF_EEENSM_IJSG_SG_EEES6_PlJS6_EEE10hipError_tPvRmT3_T4_T5_T6_T7_T9_mT8_P12ihipStream_tbDpT10_ENKUlT_T0_E_clISt17integral_constantIbLb0EES1B_EEDaS16_S17_EUlS16_E_NS1_11comp_targetILNS1_3genE3ELNS1_11target_archE908ELNS1_3gpuE7ELNS1_3repE0EEENS1_30default_config_static_selectorELNS0_4arch9wavefront6targetE1EEEvT1_,comdat
.Lfunc_end3134:
	.size	_ZN7rocprim17ROCPRIM_400000_NS6detail17trampoline_kernelINS0_14default_configENS1_25partition_config_selectorILNS1_17partition_subalgoE1EtNS0_10empty_typeEbEEZZNS1_14partition_implILS5_1ELb0ES3_jN6thrust23THRUST_200600_302600_NS6detail15normal_iteratorINSA_10device_ptrItEEEEPS6_NSA_18transform_iteratorI7is_evenItESF_NSA_11use_defaultESK_EENS0_5tupleIJNSA_16discard_iteratorISK_EESF_EEENSM_IJSG_SG_EEES6_PlJS6_EEE10hipError_tPvRmT3_T4_T5_T6_T7_T9_mT8_P12ihipStream_tbDpT10_ENKUlT_T0_E_clISt17integral_constantIbLb0EES1B_EEDaS16_S17_EUlS16_E_NS1_11comp_targetILNS1_3genE3ELNS1_11target_archE908ELNS1_3gpuE7ELNS1_3repE0EEENS1_30default_config_static_selectorELNS0_4arch9wavefront6targetE1EEEvT1_, .Lfunc_end3134-_ZN7rocprim17ROCPRIM_400000_NS6detail17trampoline_kernelINS0_14default_configENS1_25partition_config_selectorILNS1_17partition_subalgoE1EtNS0_10empty_typeEbEEZZNS1_14partition_implILS5_1ELb0ES3_jN6thrust23THRUST_200600_302600_NS6detail15normal_iteratorINSA_10device_ptrItEEEEPS6_NSA_18transform_iteratorI7is_evenItESF_NSA_11use_defaultESK_EENS0_5tupleIJNSA_16discard_iteratorISK_EESF_EEENSM_IJSG_SG_EEES6_PlJS6_EEE10hipError_tPvRmT3_T4_T5_T6_T7_T9_mT8_P12ihipStream_tbDpT10_ENKUlT_T0_E_clISt17integral_constantIbLb0EES1B_EEDaS16_S17_EUlS16_E_NS1_11comp_targetILNS1_3genE3ELNS1_11target_archE908ELNS1_3gpuE7ELNS1_3repE0EEENS1_30default_config_static_selectorELNS0_4arch9wavefront6targetE1EEEvT1_
                                        ; -- End function
	.section	.AMDGPU.csdata,"",@progbits
; Kernel info:
; codeLenInByte = 0
; NumSgprs: 4
; NumVgprs: 0
; NumAgprs: 0
; TotalNumVgprs: 0
; ScratchSize: 0
; MemoryBound: 0
; FloatMode: 240
; IeeeMode: 1
; LDSByteSize: 0 bytes/workgroup (compile time only)
; SGPRBlocks: 0
; VGPRBlocks: 0
; NumSGPRsForWavesPerEU: 4
; NumVGPRsForWavesPerEU: 1
; AccumOffset: 4
; Occupancy: 8
; WaveLimiterHint : 0
; COMPUTE_PGM_RSRC2:SCRATCH_EN: 0
; COMPUTE_PGM_RSRC2:USER_SGPR: 6
; COMPUTE_PGM_RSRC2:TRAP_HANDLER: 0
; COMPUTE_PGM_RSRC2:TGID_X_EN: 1
; COMPUTE_PGM_RSRC2:TGID_Y_EN: 0
; COMPUTE_PGM_RSRC2:TGID_Z_EN: 0
; COMPUTE_PGM_RSRC2:TIDIG_COMP_CNT: 0
; COMPUTE_PGM_RSRC3_GFX90A:ACCUM_OFFSET: 0
; COMPUTE_PGM_RSRC3_GFX90A:TG_SPLIT: 0
	.section	.text._ZN7rocprim17ROCPRIM_400000_NS6detail17trampoline_kernelINS0_14default_configENS1_25partition_config_selectorILNS1_17partition_subalgoE1EtNS0_10empty_typeEbEEZZNS1_14partition_implILS5_1ELb0ES3_jN6thrust23THRUST_200600_302600_NS6detail15normal_iteratorINSA_10device_ptrItEEEEPS6_NSA_18transform_iteratorI7is_evenItESF_NSA_11use_defaultESK_EENS0_5tupleIJNSA_16discard_iteratorISK_EESF_EEENSM_IJSG_SG_EEES6_PlJS6_EEE10hipError_tPvRmT3_T4_T5_T6_T7_T9_mT8_P12ihipStream_tbDpT10_ENKUlT_T0_E_clISt17integral_constantIbLb0EES1B_EEDaS16_S17_EUlS16_E_NS1_11comp_targetILNS1_3genE2ELNS1_11target_archE906ELNS1_3gpuE6ELNS1_3repE0EEENS1_30default_config_static_selectorELNS0_4arch9wavefront6targetE1EEEvT1_,"axG",@progbits,_ZN7rocprim17ROCPRIM_400000_NS6detail17trampoline_kernelINS0_14default_configENS1_25partition_config_selectorILNS1_17partition_subalgoE1EtNS0_10empty_typeEbEEZZNS1_14partition_implILS5_1ELb0ES3_jN6thrust23THRUST_200600_302600_NS6detail15normal_iteratorINSA_10device_ptrItEEEEPS6_NSA_18transform_iteratorI7is_evenItESF_NSA_11use_defaultESK_EENS0_5tupleIJNSA_16discard_iteratorISK_EESF_EEENSM_IJSG_SG_EEES6_PlJS6_EEE10hipError_tPvRmT3_T4_T5_T6_T7_T9_mT8_P12ihipStream_tbDpT10_ENKUlT_T0_E_clISt17integral_constantIbLb0EES1B_EEDaS16_S17_EUlS16_E_NS1_11comp_targetILNS1_3genE2ELNS1_11target_archE906ELNS1_3gpuE6ELNS1_3repE0EEENS1_30default_config_static_selectorELNS0_4arch9wavefront6targetE1EEEvT1_,comdat
	.protected	_ZN7rocprim17ROCPRIM_400000_NS6detail17trampoline_kernelINS0_14default_configENS1_25partition_config_selectorILNS1_17partition_subalgoE1EtNS0_10empty_typeEbEEZZNS1_14partition_implILS5_1ELb0ES3_jN6thrust23THRUST_200600_302600_NS6detail15normal_iteratorINSA_10device_ptrItEEEEPS6_NSA_18transform_iteratorI7is_evenItESF_NSA_11use_defaultESK_EENS0_5tupleIJNSA_16discard_iteratorISK_EESF_EEENSM_IJSG_SG_EEES6_PlJS6_EEE10hipError_tPvRmT3_T4_T5_T6_T7_T9_mT8_P12ihipStream_tbDpT10_ENKUlT_T0_E_clISt17integral_constantIbLb0EES1B_EEDaS16_S17_EUlS16_E_NS1_11comp_targetILNS1_3genE2ELNS1_11target_archE906ELNS1_3gpuE6ELNS1_3repE0EEENS1_30default_config_static_selectorELNS0_4arch9wavefront6targetE1EEEvT1_ ; -- Begin function _ZN7rocprim17ROCPRIM_400000_NS6detail17trampoline_kernelINS0_14default_configENS1_25partition_config_selectorILNS1_17partition_subalgoE1EtNS0_10empty_typeEbEEZZNS1_14partition_implILS5_1ELb0ES3_jN6thrust23THRUST_200600_302600_NS6detail15normal_iteratorINSA_10device_ptrItEEEEPS6_NSA_18transform_iteratorI7is_evenItESF_NSA_11use_defaultESK_EENS0_5tupleIJNSA_16discard_iteratorISK_EESF_EEENSM_IJSG_SG_EEES6_PlJS6_EEE10hipError_tPvRmT3_T4_T5_T6_T7_T9_mT8_P12ihipStream_tbDpT10_ENKUlT_T0_E_clISt17integral_constantIbLb0EES1B_EEDaS16_S17_EUlS16_E_NS1_11comp_targetILNS1_3genE2ELNS1_11target_archE906ELNS1_3gpuE6ELNS1_3repE0EEENS1_30default_config_static_selectorELNS0_4arch9wavefront6targetE1EEEvT1_
	.globl	_ZN7rocprim17ROCPRIM_400000_NS6detail17trampoline_kernelINS0_14default_configENS1_25partition_config_selectorILNS1_17partition_subalgoE1EtNS0_10empty_typeEbEEZZNS1_14partition_implILS5_1ELb0ES3_jN6thrust23THRUST_200600_302600_NS6detail15normal_iteratorINSA_10device_ptrItEEEEPS6_NSA_18transform_iteratorI7is_evenItESF_NSA_11use_defaultESK_EENS0_5tupleIJNSA_16discard_iteratorISK_EESF_EEENSM_IJSG_SG_EEES6_PlJS6_EEE10hipError_tPvRmT3_T4_T5_T6_T7_T9_mT8_P12ihipStream_tbDpT10_ENKUlT_T0_E_clISt17integral_constantIbLb0EES1B_EEDaS16_S17_EUlS16_E_NS1_11comp_targetILNS1_3genE2ELNS1_11target_archE906ELNS1_3gpuE6ELNS1_3repE0EEENS1_30default_config_static_selectorELNS0_4arch9wavefront6targetE1EEEvT1_
	.p2align	8
	.type	_ZN7rocprim17ROCPRIM_400000_NS6detail17trampoline_kernelINS0_14default_configENS1_25partition_config_selectorILNS1_17partition_subalgoE1EtNS0_10empty_typeEbEEZZNS1_14partition_implILS5_1ELb0ES3_jN6thrust23THRUST_200600_302600_NS6detail15normal_iteratorINSA_10device_ptrItEEEEPS6_NSA_18transform_iteratorI7is_evenItESF_NSA_11use_defaultESK_EENS0_5tupleIJNSA_16discard_iteratorISK_EESF_EEENSM_IJSG_SG_EEES6_PlJS6_EEE10hipError_tPvRmT3_T4_T5_T6_T7_T9_mT8_P12ihipStream_tbDpT10_ENKUlT_T0_E_clISt17integral_constantIbLb0EES1B_EEDaS16_S17_EUlS16_E_NS1_11comp_targetILNS1_3genE2ELNS1_11target_archE906ELNS1_3gpuE6ELNS1_3repE0EEENS1_30default_config_static_selectorELNS0_4arch9wavefront6targetE1EEEvT1_,@function
_ZN7rocprim17ROCPRIM_400000_NS6detail17trampoline_kernelINS0_14default_configENS1_25partition_config_selectorILNS1_17partition_subalgoE1EtNS0_10empty_typeEbEEZZNS1_14partition_implILS5_1ELb0ES3_jN6thrust23THRUST_200600_302600_NS6detail15normal_iteratorINSA_10device_ptrItEEEEPS6_NSA_18transform_iteratorI7is_evenItESF_NSA_11use_defaultESK_EENS0_5tupleIJNSA_16discard_iteratorISK_EESF_EEENSM_IJSG_SG_EEES6_PlJS6_EEE10hipError_tPvRmT3_T4_T5_T6_T7_T9_mT8_P12ihipStream_tbDpT10_ENKUlT_T0_E_clISt17integral_constantIbLb0EES1B_EEDaS16_S17_EUlS16_E_NS1_11comp_targetILNS1_3genE2ELNS1_11target_archE906ELNS1_3gpuE6ELNS1_3repE0EEENS1_30default_config_static_selectorELNS0_4arch9wavefront6targetE1EEEvT1_: ; @_ZN7rocprim17ROCPRIM_400000_NS6detail17trampoline_kernelINS0_14default_configENS1_25partition_config_selectorILNS1_17partition_subalgoE1EtNS0_10empty_typeEbEEZZNS1_14partition_implILS5_1ELb0ES3_jN6thrust23THRUST_200600_302600_NS6detail15normal_iteratorINSA_10device_ptrItEEEEPS6_NSA_18transform_iteratorI7is_evenItESF_NSA_11use_defaultESK_EENS0_5tupleIJNSA_16discard_iteratorISK_EESF_EEENSM_IJSG_SG_EEES6_PlJS6_EEE10hipError_tPvRmT3_T4_T5_T6_T7_T9_mT8_P12ihipStream_tbDpT10_ENKUlT_T0_E_clISt17integral_constantIbLb0EES1B_EEDaS16_S17_EUlS16_E_NS1_11comp_targetILNS1_3genE2ELNS1_11target_archE906ELNS1_3gpuE6ELNS1_3repE0EEENS1_30default_config_static_selectorELNS0_4arch9wavefront6targetE1EEEvT1_
; %bb.0:
	.section	.rodata,"a",@progbits
	.p2align	6, 0x0
	.amdhsa_kernel _ZN7rocprim17ROCPRIM_400000_NS6detail17trampoline_kernelINS0_14default_configENS1_25partition_config_selectorILNS1_17partition_subalgoE1EtNS0_10empty_typeEbEEZZNS1_14partition_implILS5_1ELb0ES3_jN6thrust23THRUST_200600_302600_NS6detail15normal_iteratorINSA_10device_ptrItEEEEPS6_NSA_18transform_iteratorI7is_evenItESF_NSA_11use_defaultESK_EENS0_5tupleIJNSA_16discard_iteratorISK_EESF_EEENSM_IJSG_SG_EEES6_PlJS6_EEE10hipError_tPvRmT3_T4_T5_T6_T7_T9_mT8_P12ihipStream_tbDpT10_ENKUlT_T0_E_clISt17integral_constantIbLb0EES1B_EEDaS16_S17_EUlS16_E_NS1_11comp_targetILNS1_3genE2ELNS1_11target_archE906ELNS1_3gpuE6ELNS1_3repE0EEENS1_30default_config_static_selectorELNS0_4arch9wavefront6targetE1EEEvT1_
		.amdhsa_group_segment_fixed_size 0
		.amdhsa_private_segment_fixed_size 0
		.amdhsa_kernarg_size 136
		.amdhsa_user_sgpr_count 6
		.amdhsa_user_sgpr_private_segment_buffer 1
		.amdhsa_user_sgpr_dispatch_ptr 0
		.amdhsa_user_sgpr_queue_ptr 0
		.amdhsa_user_sgpr_kernarg_segment_ptr 1
		.amdhsa_user_sgpr_dispatch_id 0
		.amdhsa_user_sgpr_flat_scratch_init 0
		.amdhsa_user_sgpr_kernarg_preload_length 0
		.amdhsa_user_sgpr_kernarg_preload_offset 0
		.amdhsa_user_sgpr_private_segment_size 0
		.amdhsa_uses_dynamic_stack 0
		.amdhsa_system_sgpr_private_segment_wavefront_offset 0
		.amdhsa_system_sgpr_workgroup_id_x 1
		.amdhsa_system_sgpr_workgroup_id_y 0
		.amdhsa_system_sgpr_workgroup_id_z 0
		.amdhsa_system_sgpr_workgroup_info 0
		.amdhsa_system_vgpr_workitem_id 0
		.amdhsa_next_free_vgpr 1
		.amdhsa_next_free_sgpr 0
		.amdhsa_accum_offset 4
		.amdhsa_reserve_vcc 0
		.amdhsa_reserve_flat_scratch 0
		.amdhsa_float_round_mode_32 0
		.amdhsa_float_round_mode_16_64 0
		.amdhsa_float_denorm_mode_32 3
		.amdhsa_float_denorm_mode_16_64 3
		.amdhsa_dx10_clamp 1
		.amdhsa_ieee_mode 1
		.amdhsa_fp16_overflow 0
		.amdhsa_tg_split 0
		.amdhsa_exception_fp_ieee_invalid_op 0
		.amdhsa_exception_fp_denorm_src 0
		.amdhsa_exception_fp_ieee_div_zero 0
		.amdhsa_exception_fp_ieee_overflow 0
		.amdhsa_exception_fp_ieee_underflow 0
		.amdhsa_exception_fp_ieee_inexact 0
		.amdhsa_exception_int_div_zero 0
	.end_amdhsa_kernel
	.section	.text._ZN7rocprim17ROCPRIM_400000_NS6detail17trampoline_kernelINS0_14default_configENS1_25partition_config_selectorILNS1_17partition_subalgoE1EtNS0_10empty_typeEbEEZZNS1_14partition_implILS5_1ELb0ES3_jN6thrust23THRUST_200600_302600_NS6detail15normal_iteratorINSA_10device_ptrItEEEEPS6_NSA_18transform_iteratorI7is_evenItESF_NSA_11use_defaultESK_EENS0_5tupleIJNSA_16discard_iteratorISK_EESF_EEENSM_IJSG_SG_EEES6_PlJS6_EEE10hipError_tPvRmT3_T4_T5_T6_T7_T9_mT8_P12ihipStream_tbDpT10_ENKUlT_T0_E_clISt17integral_constantIbLb0EES1B_EEDaS16_S17_EUlS16_E_NS1_11comp_targetILNS1_3genE2ELNS1_11target_archE906ELNS1_3gpuE6ELNS1_3repE0EEENS1_30default_config_static_selectorELNS0_4arch9wavefront6targetE1EEEvT1_,"axG",@progbits,_ZN7rocprim17ROCPRIM_400000_NS6detail17trampoline_kernelINS0_14default_configENS1_25partition_config_selectorILNS1_17partition_subalgoE1EtNS0_10empty_typeEbEEZZNS1_14partition_implILS5_1ELb0ES3_jN6thrust23THRUST_200600_302600_NS6detail15normal_iteratorINSA_10device_ptrItEEEEPS6_NSA_18transform_iteratorI7is_evenItESF_NSA_11use_defaultESK_EENS0_5tupleIJNSA_16discard_iteratorISK_EESF_EEENSM_IJSG_SG_EEES6_PlJS6_EEE10hipError_tPvRmT3_T4_T5_T6_T7_T9_mT8_P12ihipStream_tbDpT10_ENKUlT_T0_E_clISt17integral_constantIbLb0EES1B_EEDaS16_S17_EUlS16_E_NS1_11comp_targetILNS1_3genE2ELNS1_11target_archE906ELNS1_3gpuE6ELNS1_3repE0EEENS1_30default_config_static_selectorELNS0_4arch9wavefront6targetE1EEEvT1_,comdat
.Lfunc_end3135:
	.size	_ZN7rocprim17ROCPRIM_400000_NS6detail17trampoline_kernelINS0_14default_configENS1_25partition_config_selectorILNS1_17partition_subalgoE1EtNS0_10empty_typeEbEEZZNS1_14partition_implILS5_1ELb0ES3_jN6thrust23THRUST_200600_302600_NS6detail15normal_iteratorINSA_10device_ptrItEEEEPS6_NSA_18transform_iteratorI7is_evenItESF_NSA_11use_defaultESK_EENS0_5tupleIJNSA_16discard_iteratorISK_EESF_EEENSM_IJSG_SG_EEES6_PlJS6_EEE10hipError_tPvRmT3_T4_T5_T6_T7_T9_mT8_P12ihipStream_tbDpT10_ENKUlT_T0_E_clISt17integral_constantIbLb0EES1B_EEDaS16_S17_EUlS16_E_NS1_11comp_targetILNS1_3genE2ELNS1_11target_archE906ELNS1_3gpuE6ELNS1_3repE0EEENS1_30default_config_static_selectorELNS0_4arch9wavefront6targetE1EEEvT1_, .Lfunc_end3135-_ZN7rocprim17ROCPRIM_400000_NS6detail17trampoline_kernelINS0_14default_configENS1_25partition_config_selectorILNS1_17partition_subalgoE1EtNS0_10empty_typeEbEEZZNS1_14partition_implILS5_1ELb0ES3_jN6thrust23THRUST_200600_302600_NS6detail15normal_iteratorINSA_10device_ptrItEEEEPS6_NSA_18transform_iteratorI7is_evenItESF_NSA_11use_defaultESK_EENS0_5tupleIJNSA_16discard_iteratorISK_EESF_EEENSM_IJSG_SG_EEES6_PlJS6_EEE10hipError_tPvRmT3_T4_T5_T6_T7_T9_mT8_P12ihipStream_tbDpT10_ENKUlT_T0_E_clISt17integral_constantIbLb0EES1B_EEDaS16_S17_EUlS16_E_NS1_11comp_targetILNS1_3genE2ELNS1_11target_archE906ELNS1_3gpuE6ELNS1_3repE0EEENS1_30default_config_static_selectorELNS0_4arch9wavefront6targetE1EEEvT1_
                                        ; -- End function
	.section	.AMDGPU.csdata,"",@progbits
; Kernel info:
; codeLenInByte = 0
; NumSgprs: 4
; NumVgprs: 0
; NumAgprs: 0
; TotalNumVgprs: 0
; ScratchSize: 0
; MemoryBound: 0
; FloatMode: 240
; IeeeMode: 1
; LDSByteSize: 0 bytes/workgroup (compile time only)
; SGPRBlocks: 0
; VGPRBlocks: 0
; NumSGPRsForWavesPerEU: 4
; NumVGPRsForWavesPerEU: 1
; AccumOffset: 4
; Occupancy: 8
; WaveLimiterHint : 0
; COMPUTE_PGM_RSRC2:SCRATCH_EN: 0
; COMPUTE_PGM_RSRC2:USER_SGPR: 6
; COMPUTE_PGM_RSRC2:TRAP_HANDLER: 0
; COMPUTE_PGM_RSRC2:TGID_X_EN: 1
; COMPUTE_PGM_RSRC2:TGID_Y_EN: 0
; COMPUTE_PGM_RSRC2:TGID_Z_EN: 0
; COMPUTE_PGM_RSRC2:TIDIG_COMP_CNT: 0
; COMPUTE_PGM_RSRC3_GFX90A:ACCUM_OFFSET: 0
; COMPUTE_PGM_RSRC3_GFX90A:TG_SPLIT: 0
	.section	.text._ZN7rocprim17ROCPRIM_400000_NS6detail17trampoline_kernelINS0_14default_configENS1_25partition_config_selectorILNS1_17partition_subalgoE1EtNS0_10empty_typeEbEEZZNS1_14partition_implILS5_1ELb0ES3_jN6thrust23THRUST_200600_302600_NS6detail15normal_iteratorINSA_10device_ptrItEEEEPS6_NSA_18transform_iteratorI7is_evenItESF_NSA_11use_defaultESK_EENS0_5tupleIJNSA_16discard_iteratorISK_EESF_EEENSM_IJSG_SG_EEES6_PlJS6_EEE10hipError_tPvRmT3_T4_T5_T6_T7_T9_mT8_P12ihipStream_tbDpT10_ENKUlT_T0_E_clISt17integral_constantIbLb0EES1B_EEDaS16_S17_EUlS16_E_NS1_11comp_targetILNS1_3genE10ELNS1_11target_archE1200ELNS1_3gpuE4ELNS1_3repE0EEENS1_30default_config_static_selectorELNS0_4arch9wavefront6targetE1EEEvT1_,"axG",@progbits,_ZN7rocprim17ROCPRIM_400000_NS6detail17trampoline_kernelINS0_14default_configENS1_25partition_config_selectorILNS1_17partition_subalgoE1EtNS0_10empty_typeEbEEZZNS1_14partition_implILS5_1ELb0ES3_jN6thrust23THRUST_200600_302600_NS6detail15normal_iteratorINSA_10device_ptrItEEEEPS6_NSA_18transform_iteratorI7is_evenItESF_NSA_11use_defaultESK_EENS0_5tupleIJNSA_16discard_iteratorISK_EESF_EEENSM_IJSG_SG_EEES6_PlJS6_EEE10hipError_tPvRmT3_T4_T5_T6_T7_T9_mT8_P12ihipStream_tbDpT10_ENKUlT_T0_E_clISt17integral_constantIbLb0EES1B_EEDaS16_S17_EUlS16_E_NS1_11comp_targetILNS1_3genE10ELNS1_11target_archE1200ELNS1_3gpuE4ELNS1_3repE0EEENS1_30default_config_static_selectorELNS0_4arch9wavefront6targetE1EEEvT1_,comdat
	.protected	_ZN7rocprim17ROCPRIM_400000_NS6detail17trampoline_kernelINS0_14default_configENS1_25partition_config_selectorILNS1_17partition_subalgoE1EtNS0_10empty_typeEbEEZZNS1_14partition_implILS5_1ELb0ES3_jN6thrust23THRUST_200600_302600_NS6detail15normal_iteratorINSA_10device_ptrItEEEEPS6_NSA_18transform_iteratorI7is_evenItESF_NSA_11use_defaultESK_EENS0_5tupleIJNSA_16discard_iteratorISK_EESF_EEENSM_IJSG_SG_EEES6_PlJS6_EEE10hipError_tPvRmT3_T4_T5_T6_T7_T9_mT8_P12ihipStream_tbDpT10_ENKUlT_T0_E_clISt17integral_constantIbLb0EES1B_EEDaS16_S17_EUlS16_E_NS1_11comp_targetILNS1_3genE10ELNS1_11target_archE1200ELNS1_3gpuE4ELNS1_3repE0EEENS1_30default_config_static_selectorELNS0_4arch9wavefront6targetE1EEEvT1_ ; -- Begin function _ZN7rocprim17ROCPRIM_400000_NS6detail17trampoline_kernelINS0_14default_configENS1_25partition_config_selectorILNS1_17partition_subalgoE1EtNS0_10empty_typeEbEEZZNS1_14partition_implILS5_1ELb0ES3_jN6thrust23THRUST_200600_302600_NS6detail15normal_iteratorINSA_10device_ptrItEEEEPS6_NSA_18transform_iteratorI7is_evenItESF_NSA_11use_defaultESK_EENS0_5tupleIJNSA_16discard_iteratorISK_EESF_EEENSM_IJSG_SG_EEES6_PlJS6_EEE10hipError_tPvRmT3_T4_T5_T6_T7_T9_mT8_P12ihipStream_tbDpT10_ENKUlT_T0_E_clISt17integral_constantIbLb0EES1B_EEDaS16_S17_EUlS16_E_NS1_11comp_targetILNS1_3genE10ELNS1_11target_archE1200ELNS1_3gpuE4ELNS1_3repE0EEENS1_30default_config_static_selectorELNS0_4arch9wavefront6targetE1EEEvT1_
	.globl	_ZN7rocprim17ROCPRIM_400000_NS6detail17trampoline_kernelINS0_14default_configENS1_25partition_config_selectorILNS1_17partition_subalgoE1EtNS0_10empty_typeEbEEZZNS1_14partition_implILS5_1ELb0ES3_jN6thrust23THRUST_200600_302600_NS6detail15normal_iteratorINSA_10device_ptrItEEEEPS6_NSA_18transform_iteratorI7is_evenItESF_NSA_11use_defaultESK_EENS0_5tupleIJNSA_16discard_iteratorISK_EESF_EEENSM_IJSG_SG_EEES6_PlJS6_EEE10hipError_tPvRmT3_T4_T5_T6_T7_T9_mT8_P12ihipStream_tbDpT10_ENKUlT_T0_E_clISt17integral_constantIbLb0EES1B_EEDaS16_S17_EUlS16_E_NS1_11comp_targetILNS1_3genE10ELNS1_11target_archE1200ELNS1_3gpuE4ELNS1_3repE0EEENS1_30default_config_static_selectorELNS0_4arch9wavefront6targetE1EEEvT1_
	.p2align	8
	.type	_ZN7rocprim17ROCPRIM_400000_NS6detail17trampoline_kernelINS0_14default_configENS1_25partition_config_selectorILNS1_17partition_subalgoE1EtNS0_10empty_typeEbEEZZNS1_14partition_implILS5_1ELb0ES3_jN6thrust23THRUST_200600_302600_NS6detail15normal_iteratorINSA_10device_ptrItEEEEPS6_NSA_18transform_iteratorI7is_evenItESF_NSA_11use_defaultESK_EENS0_5tupleIJNSA_16discard_iteratorISK_EESF_EEENSM_IJSG_SG_EEES6_PlJS6_EEE10hipError_tPvRmT3_T4_T5_T6_T7_T9_mT8_P12ihipStream_tbDpT10_ENKUlT_T0_E_clISt17integral_constantIbLb0EES1B_EEDaS16_S17_EUlS16_E_NS1_11comp_targetILNS1_3genE10ELNS1_11target_archE1200ELNS1_3gpuE4ELNS1_3repE0EEENS1_30default_config_static_selectorELNS0_4arch9wavefront6targetE1EEEvT1_,@function
_ZN7rocprim17ROCPRIM_400000_NS6detail17trampoline_kernelINS0_14default_configENS1_25partition_config_selectorILNS1_17partition_subalgoE1EtNS0_10empty_typeEbEEZZNS1_14partition_implILS5_1ELb0ES3_jN6thrust23THRUST_200600_302600_NS6detail15normal_iteratorINSA_10device_ptrItEEEEPS6_NSA_18transform_iteratorI7is_evenItESF_NSA_11use_defaultESK_EENS0_5tupleIJNSA_16discard_iteratorISK_EESF_EEENSM_IJSG_SG_EEES6_PlJS6_EEE10hipError_tPvRmT3_T4_T5_T6_T7_T9_mT8_P12ihipStream_tbDpT10_ENKUlT_T0_E_clISt17integral_constantIbLb0EES1B_EEDaS16_S17_EUlS16_E_NS1_11comp_targetILNS1_3genE10ELNS1_11target_archE1200ELNS1_3gpuE4ELNS1_3repE0EEENS1_30default_config_static_selectorELNS0_4arch9wavefront6targetE1EEEvT1_: ; @_ZN7rocprim17ROCPRIM_400000_NS6detail17trampoline_kernelINS0_14default_configENS1_25partition_config_selectorILNS1_17partition_subalgoE1EtNS0_10empty_typeEbEEZZNS1_14partition_implILS5_1ELb0ES3_jN6thrust23THRUST_200600_302600_NS6detail15normal_iteratorINSA_10device_ptrItEEEEPS6_NSA_18transform_iteratorI7is_evenItESF_NSA_11use_defaultESK_EENS0_5tupleIJNSA_16discard_iteratorISK_EESF_EEENSM_IJSG_SG_EEES6_PlJS6_EEE10hipError_tPvRmT3_T4_T5_T6_T7_T9_mT8_P12ihipStream_tbDpT10_ENKUlT_T0_E_clISt17integral_constantIbLb0EES1B_EEDaS16_S17_EUlS16_E_NS1_11comp_targetILNS1_3genE10ELNS1_11target_archE1200ELNS1_3gpuE4ELNS1_3repE0EEENS1_30default_config_static_selectorELNS0_4arch9wavefront6targetE1EEEvT1_
; %bb.0:
	.section	.rodata,"a",@progbits
	.p2align	6, 0x0
	.amdhsa_kernel _ZN7rocprim17ROCPRIM_400000_NS6detail17trampoline_kernelINS0_14default_configENS1_25partition_config_selectorILNS1_17partition_subalgoE1EtNS0_10empty_typeEbEEZZNS1_14partition_implILS5_1ELb0ES3_jN6thrust23THRUST_200600_302600_NS6detail15normal_iteratorINSA_10device_ptrItEEEEPS6_NSA_18transform_iteratorI7is_evenItESF_NSA_11use_defaultESK_EENS0_5tupleIJNSA_16discard_iteratorISK_EESF_EEENSM_IJSG_SG_EEES6_PlJS6_EEE10hipError_tPvRmT3_T4_T5_T6_T7_T9_mT8_P12ihipStream_tbDpT10_ENKUlT_T0_E_clISt17integral_constantIbLb0EES1B_EEDaS16_S17_EUlS16_E_NS1_11comp_targetILNS1_3genE10ELNS1_11target_archE1200ELNS1_3gpuE4ELNS1_3repE0EEENS1_30default_config_static_selectorELNS0_4arch9wavefront6targetE1EEEvT1_
		.amdhsa_group_segment_fixed_size 0
		.amdhsa_private_segment_fixed_size 0
		.amdhsa_kernarg_size 136
		.amdhsa_user_sgpr_count 6
		.amdhsa_user_sgpr_private_segment_buffer 1
		.amdhsa_user_sgpr_dispatch_ptr 0
		.amdhsa_user_sgpr_queue_ptr 0
		.amdhsa_user_sgpr_kernarg_segment_ptr 1
		.amdhsa_user_sgpr_dispatch_id 0
		.amdhsa_user_sgpr_flat_scratch_init 0
		.amdhsa_user_sgpr_kernarg_preload_length 0
		.amdhsa_user_sgpr_kernarg_preload_offset 0
		.amdhsa_user_sgpr_private_segment_size 0
		.amdhsa_uses_dynamic_stack 0
		.amdhsa_system_sgpr_private_segment_wavefront_offset 0
		.amdhsa_system_sgpr_workgroup_id_x 1
		.amdhsa_system_sgpr_workgroup_id_y 0
		.amdhsa_system_sgpr_workgroup_id_z 0
		.amdhsa_system_sgpr_workgroup_info 0
		.amdhsa_system_vgpr_workitem_id 0
		.amdhsa_next_free_vgpr 1
		.amdhsa_next_free_sgpr 0
		.amdhsa_accum_offset 4
		.amdhsa_reserve_vcc 0
		.amdhsa_reserve_flat_scratch 0
		.amdhsa_float_round_mode_32 0
		.amdhsa_float_round_mode_16_64 0
		.amdhsa_float_denorm_mode_32 3
		.amdhsa_float_denorm_mode_16_64 3
		.amdhsa_dx10_clamp 1
		.amdhsa_ieee_mode 1
		.amdhsa_fp16_overflow 0
		.amdhsa_tg_split 0
		.amdhsa_exception_fp_ieee_invalid_op 0
		.amdhsa_exception_fp_denorm_src 0
		.amdhsa_exception_fp_ieee_div_zero 0
		.amdhsa_exception_fp_ieee_overflow 0
		.amdhsa_exception_fp_ieee_underflow 0
		.amdhsa_exception_fp_ieee_inexact 0
		.amdhsa_exception_int_div_zero 0
	.end_amdhsa_kernel
	.section	.text._ZN7rocprim17ROCPRIM_400000_NS6detail17trampoline_kernelINS0_14default_configENS1_25partition_config_selectorILNS1_17partition_subalgoE1EtNS0_10empty_typeEbEEZZNS1_14partition_implILS5_1ELb0ES3_jN6thrust23THRUST_200600_302600_NS6detail15normal_iteratorINSA_10device_ptrItEEEEPS6_NSA_18transform_iteratorI7is_evenItESF_NSA_11use_defaultESK_EENS0_5tupleIJNSA_16discard_iteratorISK_EESF_EEENSM_IJSG_SG_EEES6_PlJS6_EEE10hipError_tPvRmT3_T4_T5_T6_T7_T9_mT8_P12ihipStream_tbDpT10_ENKUlT_T0_E_clISt17integral_constantIbLb0EES1B_EEDaS16_S17_EUlS16_E_NS1_11comp_targetILNS1_3genE10ELNS1_11target_archE1200ELNS1_3gpuE4ELNS1_3repE0EEENS1_30default_config_static_selectorELNS0_4arch9wavefront6targetE1EEEvT1_,"axG",@progbits,_ZN7rocprim17ROCPRIM_400000_NS6detail17trampoline_kernelINS0_14default_configENS1_25partition_config_selectorILNS1_17partition_subalgoE1EtNS0_10empty_typeEbEEZZNS1_14partition_implILS5_1ELb0ES3_jN6thrust23THRUST_200600_302600_NS6detail15normal_iteratorINSA_10device_ptrItEEEEPS6_NSA_18transform_iteratorI7is_evenItESF_NSA_11use_defaultESK_EENS0_5tupleIJNSA_16discard_iteratorISK_EESF_EEENSM_IJSG_SG_EEES6_PlJS6_EEE10hipError_tPvRmT3_T4_T5_T6_T7_T9_mT8_P12ihipStream_tbDpT10_ENKUlT_T0_E_clISt17integral_constantIbLb0EES1B_EEDaS16_S17_EUlS16_E_NS1_11comp_targetILNS1_3genE10ELNS1_11target_archE1200ELNS1_3gpuE4ELNS1_3repE0EEENS1_30default_config_static_selectorELNS0_4arch9wavefront6targetE1EEEvT1_,comdat
.Lfunc_end3136:
	.size	_ZN7rocprim17ROCPRIM_400000_NS6detail17trampoline_kernelINS0_14default_configENS1_25partition_config_selectorILNS1_17partition_subalgoE1EtNS0_10empty_typeEbEEZZNS1_14partition_implILS5_1ELb0ES3_jN6thrust23THRUST_200600_302600_NS6detail15normal_iteratorINSA_10device_ptrItEEEEPS6_NSA_18transform_iteratorI7is_evenItESF_NSA_11use_defaultESK_EENS0_5tupleIJNSA_16discard_iteratorISK_EESF_EEENSM_IJSG_SG_EEES6_PlJS6_EEE10hipError_tPvRmT3_T4_T5_T6_T7_T9_mT8_P12ihipStream_tbDpT10_ENKUlT_T0_E_clISt17integral_constantIbLb0EES1B_EEDaS16_S17_EUlS16_E_NS1_11comp_targetILNS1_3genE10ELNS1_11target_archE1200ELNS1_3gpuE4ELNS1_3repE0EEENS1_30default_config_static_selectorELNS0_4arch9wavefront6targetE1EEEvT1_, .Lfunc_end3136-_ZN7rocprim17ROCPRIM_400000_NS6detail17trampoline_kernelINS0_14default_configENS1_25partition_config_selectorILNS1_17partition_subalgoE1EtNS0_10empty_typeEbEEZZNS1_14partition_implILS5_1ELb0ES3_jN6thrust23THRUST_200600_302600_NS6detail15normal_iteratorINSA_10device_ptrItEEEEPS6_NSA_18transform_iteratorI7is_evenItESF_NSA_11use_defaultESK_EENS0_5tupleIJNSA_16discard_iteratorISK_EESF_EEENSM_IJSG_SG_EEES6_PlJS6_EEE10hipError_tPvRmT3_T4_T5_T6_T7_T9_mT8_P12ihipStream_tbDpT10_ENKUlT_T0_E_clISt17integral_constantIbLb0EES1B_EEDaS16_S17_EUlS16_E_NS1_11comp_targetILNS1_3genE10ELNS1_11target_archE1200ELNS1_3gpuE4ELNS1_3repE0EEENS1_30default_config_static_selectorELNS0_4arch9wavefront6targetE1EEEvT1_
                                        ; -- End function
	.section	.AMDGPU.csdata,"",@progbits
; Kernel info:
; codeLenInByte = 0
; NumSgprs: 4
; NumVgprs: 0
; NumAgprs: 0
; TotalNumVgprs: 0
; ScratchSize: 0
; MemoryBound: 0
; FloatMode: 240
; IeeeMode: 1
; LDSByteSize: 0 bytes/workgroup (compile time only)
; SGPRBlocks: 0
; VGPRBlocks: 0
; NumSGPRsForWavesPerEU: 4
; NumVGPRsForWavesPerEU: 1
; AccumOffset: 4
; Occupancy: 8
; WaveLimiterHint : 0
; COMPUTE_PGM_RSRC2:SCRATCH_EN: 0
; COMPUTE_PGM_RSRC2:USER_SGPR: 6
; COMPUTE_PGM_RSRC2:TRAP_HANDLER: 0
; COMPUTE_PGM_RSRC2:TGID_X_EN: 1
; COMPUTE_PGM_RSRC2:TGID_Y_EN: 0
; COMPUTE_PGM_RSRC2:TGID_Z_EN: 0
; COMPUTE_PGM_RSRC2:TIDIG_COMP_CNT: 0
; COMPUTE_PGM_RSRC3_GFX90A:ACCUM_OFFSET: 0
; COMPUTE_PGM_RSRC3_GFX90A:TG_SPLIT: 0
	.section	.text._ZN7rocprim17ROCPRIM_400000_NS6detail17trampoline_kernelINS0_14default_configENS1_25partition_config_selectorILNS1_17partition_subalgoE1EtNS0_10empty_typeEbEEZZNS1_14partition_implILS5_1ELb0ES3_jN6thrust23THRUST_200600_302600_NS6detail15normal_iteratorINSA_10device_ptrItEEEEPS6_NSA_18transform_iteratorI7is_evenItESF_NSA_11use_defaultESK_EENS0_5tupleIJNSA_16discard_iteratorISK_EESF_EEENSM_IJSG_SG_EEES6_PlJS6_EEE10hipError_tPvRmT3_T4_T5_T6_T7_T9_mT8_P12ihipStream_tbDpT10_ENKUlT_T0_E_clISt17integral_constantIbLb0EES1B_EEDaS16_S17_EUlS16_E_NS1_11comp_targetILNS1_3genE9ELNS1_11target_archE1100ELNS1_3gpuE3ELNS1_3repE0EEENS1_30default_config_static_selectorELNS0_4arch9wavefront6targetE1EEEvT1_,"axG",@progbits,_ZN7rocprim17ROCPRIM_400000_NS6detail17trampoline_kernelINS0_14default_configENS1_25partition_config_selectorILNS1_17partition_subalgoE1EtNS0_10empty_typeEbEEZZNS1_14partition_implILS5_1ELb0ES3_jN6thrust23THRUST_200600_302600_NS6detail15normal_iteratorINSA_10device_ptrItEEEEPS6_NSA_18transform_iteratorI7is_evenItESF_NSA_11use_defaultESK_EENS0_5tupleIJNSA_16discard_iteratorISK_EESF_EEENSM_IJSG_SG_EEES6_PlJS6_EEE10hipError_tPvRmT3_T4_T5_T6_T7_T9_mT8_P12ihipStream_tbDpT10_ENKUlT_T0_E_clISt17integral_constantIbLb0EES1B_EEDaS16_S17_EUlS16_E_NS1_11comp_targetILNS1_3genE9ELNS1_11target_archE1100ELNS1_3gpuE3ELNS1_3repE0EEENS1_30default_config_static_selectorELNS0_4arch9wavefront6targetE1EEEvT1_,comdat
	.protected	_ZN7rocprim17ROCPRIM_400000_NS6detail17trampoline_kernelINS0_14default_configENS1_25partition_config_selectorILNS1_17partition_subalgoE1EtNS0_10empty_typeEbEEZZNS1_14partition_implILS5_1ELb0ES3_jN6thrust23THRUST_200600_302600_NS6detail15normal_iteratorINSA_10device_ptrItEEEEPS6_NSA_18transform_iteratorI7is_evenItESF_NSA_11use_defaultESK_EENS0_5tupleIJNSA_16discard_iteratorISK_EESF_EEENSM_IJSG_SG_EEES6_PlJS6_EEE10hipError_tPvRmT3_T4_T5_T6_T7_T9_mT8_P12ihipStream_tbDpT10_ENKUlT_T0_E_clISt17integral_constantIbLb0EES1B_EEDaS16_S17_EUlS16_E_NS1_11comp_targetILNS1_3genE9ELNS1_11target_archE1100ELNS1_3gpuE3ELNS1_3repE0EEENS1_30default_config_static_selectorELNS0_4arch9wavefront6targetE1EEEvT1_ ; -- Begin function _ZN7rocprim17ROCPRIM_400000_NS6detail17trampoline_kernelINS0_14default_configENS1_25partition_config_selectorILNS1_17partition_subalgoE1EtNS0_10empty_typeEbEEZZNS1_14partition_implILS5_1ELb0ES3_jN6thrust23THRUST_200600_302600_NS6detail15normal_iteratorINSA_10device_ptrItEEEEPS6_NSA_18transform_iteratorI7is_evenItESF_NSA_11use_defaultESK_EENS0_5tupleIJNSA_16discard_iteratorISK_EESF_EEENSM_IJSG_SG_EEES6_PlJS6_EEE10hipError_tPvRmT3_T4_T5_T6_T7_T9_mT8_P12ihipStream_tbDpT10_ENKUlT_T0_E_clISt17integral_constantIbLb0EES1B_EEDaS16_S17_EUlS16_E_NS1_11comp_targetILNS1_3genE9ELNS1_11target_archE1100ELNS1_3gpuE3ELNS1_3repE0EEENS1_30default_config_static_selectorELNS0_4arch9wavefront6targetE1EEEvT1_
	.globl	_ZN7rocprim17ROCPRIM_400000_NS6detail17trampoline_kernelINS0_14default_configENS1_25partition_config_selectorILNS1_17partition_subalgoE1EtNS0_10empty_typeEbEEZZNS1_14partition_implILS5_1ELb0ES3_jN6thrust23THRUST_200600_302600_NS6detail15normal_iteratorINSA_10device_ptrItEEEEPS6_NSA_18transform_iteratorI7is_evenItESF_NSA_11use_defaultESK_EENS0_5tupleIJNSA_16discard_iteratorISK_EESF_EEENSM_IJSG_SG_EEES6_PlJS6_EEE10hipError_tPvRmT3_T4_T5_T6_T7_T9_mT8_P12ihipStream_tbDpT10_ENKUlT_T0_E_clISt17integral_constantIbLb0EES1B_EEDaS16_S17_EUlS16_E_NS1_11comp_targetILNS1_3genE9ELNS1_11target_archE1100ELNS1_3gpuE3ELNS1_3repE0EEENS1_30default_config_static_selectorELNS0_4arch9wavefront6targetE1EEEvT1_
	.p2align	8
	.type	_ZN7rocprim17ROCPRIM_400000_NS6detail17trampoline_kernelINS0_14default_configENS1_25partition_config_selectorILNS1_17partition_subalgoE1EtNS0_10empty_typeEbEEZZNS1_14partition_implILS5_1ELb0ES3_jN6thrust23THRUST_200600_302600_NS6detail15normal_iteratorINSA_10device_ptrItEEEEPS6_NSA_18transform_iteratorI7is_evenItESF_NSA_11use_defaultESK_EENS0_5tupleIJNSA_16discard_iteratorISK_EESF_EEENSM_IJSG_SG_EEES6_PlJS6_EEE10hipError_tPvRmT3_T4_T5_T6_T7_T9_mT8_P12ihipStream_tbDpT10_ENKUlT_T0_E_clISt17integral_constantIbLb0EES1B_EEDaS16_S17_EUlS16_E_NS1_11comp_targetILNS1_3genE9ELNS1_11target_archE1100ELNS1_3gpuE3ELNS1_3repE0EEENS1_30default_config_static_selectorELNS0_4arch9wavefront6targetE1EEEvT1_,@function
_ZN7rocprim17ROCPRIM_400000_NS6detail17trampoline_kernelINS0_14default_configENS1_25partition_config_selectorILNS1_17partition_subalgoE1EtNS0_10empty_typeEbEEZZNS1_14partition_implILS5_1ELb0ES3_jN6thrust23THRUST_200600_302600_NS6detail15normal_iteratorINSA_10device_ptrItEEEEPS6_NSA_18transform_iteratorI7is_evenItESF_NSA_11use_defaultESK_EENS0_5tupleIJNSA_16discard_iteratorISK_EESF_EEENSM_IJSG_SG_EEES6_PlJS6_EEE10hipError_tPvRmT3_T4_T5_T6_T7_T9_mT8_P12ihipStream_tbDpT10_ENKUlT_T0_E_clISt17integral_constantIbLb0EES1B_EEDaS16_S17_EUlS16_E_NS1_11comp_targetILNS1_3genE9ELNS1_11target_archE1100ELNS1_3gpuE3ELNS1_3repE0EEENS1_30default_config_static_selectorELNS0_4arch9wavefront6targetE1EEEvT1_: ; @_ZN7rocprim17ROCPRIM_400000_NS6detail17trampoline_kernelINS0_14default_configENS1_25partition_config_selectorILNS1_17partition_subalgoE1EtNS0_10empty_typeEbEEZZNS1_14partition_implILS5_1ELb0ES3_jN6thrust23THRUST_200600_302600_NS6detail15normal_iteratorINSA_10device_ptrItEEEEPS6_NSA_18transform_iteratorI7is_evenItESF_NSA_11use_defaultESK_EENS0_5tupleIJNSA_16discard_iteratorISK_EESF_EEENSM_IJSG_SG_EEES6_PlJS6_EEE10hipError_tPvRmT3_T4_T5_T6_T7_T9_mT8_P12ihipStream_tbDpT10_ENKUlT_T0_E_clISt17integral_constantIbLb0EES1B_EEDaS16_S17_EUlS16_E_NS1_11comp_targetILNS1_3genE9ELNS1_11target_archE1100ELNS1_3gpuE3ELNS1_3repE0EEENS1_30default_config_static_selectorELNS0_4arch9wavefront6targetE1EEEvT1_
; %bb.0:
	.section	.rodata,"a",@progbits
	.p2align	6, 0x0
	.amdhsa_kernel _ZN7rocprim17ROCPRIM_400000_NS6detail17trampoline_kernelINS0_14default_configENS1_25partition_config_selectorILNS1_17partition_subalgoE1EtNS0_10empty_typeEbEEZZNS1_14partition_implILS5_1ELb0ES3_jN6thrust23THRUST_200600_302600_NS6detail15normal_iteratorINSA_10device_ptrItEEEEPS6_NSA_18transform_iteratorI7is_evenItESF_NSA_11use_defaultESK_EENS0_5tupleIJNSA_16discard_iteratorISK_EESF_EEENSM_IJSG_SG_EEES6_PlJS6_EEE10hipError_tPvRmT3_T4_T5_T6_T7_T9_mT8_P12ihipStream_tbDpT10_ENKUlT_T0_E_clISt17integral_constantIbLb0EES1B_EEDaS16_S17_EUlS16_E_NS1_11comp_targetILNS1_3genE9ELNS1_11target_archE1100ELNS1_3gpuE3ELNS1_3repE0EEENS1_30default_config_static_selectorELNS0_4arch9wavefront6targetE1EEEvT1_
		.amdhsa_group_segment_fixed_size 0
		.amdhsa_private_segment_fixed_size 0
		.amdhsa_kernarg_size 136
		.amdhsa_user_sgpr_count 6
		.amdhsa_user_sgpr_private_segment_buffer 1
		.amdhsa_user_sgpr_dispatch_ptr 0
		.amdhsa_user_sgpr_queue_ptr 0
		.amdhsa_user_sgpr_kernarg_segment_ptr 1
		.amdhsa_user_sgpr_dispatch_id 0
		.amdhsa_user_sgpr_flat_scratch_init 0
		.amdhsa_user_sgpr_kernarg_preload_length 0
		.amdhsa_user_sgpr_kernarg_preload_offset 0
		.amdhsa_user_sgpr_private_segment_size 0
		.amdhsa_uses_dynamic_stack 0
		.amdhsa_system_sgpr_private_segment_wavefront_offset 0
		.amdhsa_system_sgpr_workgroup_id_x 1
		.amdhsa_system_sgpr_workgroup_id_y 0
		.amdhsa_system_sgpr_workgroup_id_z 0
		.amdhsa_system_sgpr_workgroup_info 0
		.amdhsa_system_vgpr_workitem_id 0
		.amdhsa_next_free_vgpr 1
		.amdhsa_next_free_sgpr 0
		.amdhsa_accum_offset 4
		.amdhsa_reserve_vcc 0
		.amdhsa_reserve_flat_scratch 0
		.amdhsa_float_round_mode_32 0
		.amdhsa_float_round_mode_16_64 0
		.amdhsa_float_denorm_mode_32 3
		.amdhsa_float_denorm_mode_16_64 3
		.amdhsa_dx10_clamp 1
		.amdhsa_ieee_mode 1
		.amdhsa_fp16_overflow 0
		.amdhsa_tg_split 0
		.amdhsa_exception_fp_ieee_invalid_op 0
		.amdhsa_exception_fp_denorm_src 0
		.amdhsa_exception_fp_ieee_div_zero 0
		.amdhsa_exception_fp_ieee_overflow 0
		.amdhsa_exception_fp_ieee_underflow 0
		.amdhsa_exception_fp_ieee_inexact 0
		.amdhsa_exception_int_div_zero 0
	.end_amdhsa_kernel
	.section	.text._ZN7rocprim17ROCPRIM_400000_NS6detail17trampoline_kernelINS0_14default_configENS1_25partition_config_selectorILNS1_17partition_subalgoE1EtNS0_10empty_typeEbEEZZNS1_14partition_implILS5_1ELb0ES3_jN6thrust23THRUST_200600_302600_NS6detail15normal_iteratorINSA_10device_ptrItEEEEPS6_NSA_18transform_iteratorI7is_evenItESF_NSA_11use_defaultESK_EENS0_5tupleIJNSA_16discard_iteratorISK_EESF_EEENSM_IJSG_SG_EEES6_PlJS6_EEE10hipError_tPvRmT3_T4_T5_T6_T7_T9_mT8_P12ihipStream_tbDpT10_ENKUlT_T0_E_clISt17integral_constantIbLb0EES1B_EEDaS16_S17_EUlS16_E_NS1_11comp_targetILNS1_3genE9ELNS1_11target_archE1100ELNS1_3gpuE3ELNS1_3repE0EEENS1_30default_config_static_selectorELNS0_4arch9wavefront6targetE1EEEvT1_,"axG",@progbits,_ZN7rocprim17ROCPRIM_400000_NS6detail17trampoline_kernelINS0_14default_configENS1_25partition_config_selectorILNS1_17partition_subalgoE1EtNS0_10empty_typeEbEEZZNS1_14partition_implILS5_1ELb0ES3_jN6thrust23THRUST_200600_302600_NS6detail15normal_iteratorINSA_10device_ptrItEEEEPS6_NSA_18transform_iteratorI7is_evenItESF_NSA_11use_defaultESK_EENS0_5tupleIJNSA_16discard_iteratorISK_EESF_EEENSM_IJSG_SG_EEES6_PlJS6_EEE10hipError_tPvRmT3_T4_T5_T6_T7_T9_mT8_P12ihipStream_tbDpT10_ENKUlT_T0_E_clISt17integral_constantIbLb0EES1B_EEDaS16_S17_EUlS16_E_NS1_11comp_targetILNS1_3genE9ELNS1_11target_archE1100ELNS1_3gpuE3ELNS1_3repE0EEENS1_30default_config_static_selectorELNS0_4arch9wavefront6targetE1EEEvT1_,comdat
.Lfunc_end3137:
	.size	_ZN7rocprim17ROCPRIM_400000_NS6detail17trampoline_kernelINS0_14default_configENS1_25partition_config_selectorILNS1_17partition_subalgoE1EtNS0_10empty_typeEbEEZZNS1_14partition_implILS5_1ELb0ES3_jN6thrust23THRUST_200600_302600_NS6detail15normal_iteratorINSA_10device_ptrItEEEEPS6_NSA_18transform_iteratorI7is_evenItESF_NSA_11use_defaultESK_EENS0_5tupleIJNSA_16discard_iteratorISK_EESF_EEENSM_IJSG_SG_EEES6_PlJS6_EEE10hipError_tPvRmT3_T4_T5_T6_T7_T9_mT8_P12ihipStream_tbDpT10_ENKUlT_T0_E_clISt17integral_constantIbLb0EES1B_EEDaS16_S17_EUlS16_E_NS1_11comp_targetILNS1_3genE9ELNS1_11target_archE1100ELNS1_3gpuE3ELNS1_3repE0EEENS1_30default_config_static_selectorELNS0_4arch9wavefront6targetE1EEEvT1_, .Lfunc_end3137-_ZN7rocprim17ROCPRIM_400000_NS6detail17trampoline_kernelINS0_14default_configENS1_25partition_config_selectorILNS1_17partition_subalgoE1EtNS0_10empty_typeEbEEZZNS1_14partition_implILS5_1ELb0ES3_jN6thrust23THRUST_200600_302600_NS6detail15normal_iteratorINSA_10device_ptrItEEEEPS6_NSA_18transform_iteratorI7is_evenItESF_NSA_11use_defaultESK_EENS0_5tupleIJNSA_16discard_iteratorISK_EESF_EEENSM_IJSG_SG_EEES6_PlJS6_EEE10hipError_tPvRmT3_T4_T5_T6_T7_T9_mT8_P12ihipStream_tbDpT10_ENKUlT_T0_E_clISt17integral_constantIbLb0EES1B_EEDaS16_S17_EUlS16_E_NS1_11comp_targetILNS1_3genE9ELNS1_11target_archE1100ELNS1_3gpuE3ELNS1_3repE0EEENS1_30default_config_static_selectorELNS0_4arch9wavefront6targetE1EEEvT1_
                                        ; -- End function
	.section	.AMDGPU.csdata,"",@progbits
; Kernel info:
; codeLenInByte = 0
; NumSgprs: 4
; NumVgprs: 0
; NumAgprs: 0
; TotalNumVgprs: 0
; ScratchSize: 0
; MemoryBound: 0
; FloatMode: 240
; IeeeMode: 1
; LDSByteSize: 0 bytes/workgroup (compile time only)
; SGPRBlocks: 0
; VGPRBlocks: 0
; NumSGPRsForWavesPerEU: 4
; NumVGPRsForWavesPerEU: 1
; AccumOffset: 4
; Occupancy: 8
; WaveLimiterHint : 0
; COMPUTE_PGM_RSRC2:SCRATCH_EN: 0
; COMPUTE_PGM_RSRC2:USER_SGPR: 6
; COMPUTE_PGM_RSRC2:TRAP_HANDLER: 0
; COMPUTE_PGM_RSRC2:TGID_X_EN: 1
; COMPUTE_PGM_RSRC2:TGID_Y_EN: 0
; COMPUTE_PGM_RSRC2:TGID_Z_EN: 0
; COMPUTE_PGM_RSRC2:TIDIG_COMP_CNT: 0
; COMPUTE_PGM_RSRC3_GFX90A:ACCUM_OFFSET: 0
; COMPUTE_PGM_RSRC3_GFX90A:TG_SPLIT: 0
	.section	.text._ZN7rocprim17ROCPRIM_400000_NS6detail17trampoline_kernelINS0_14default_configENS1_25partition_config_selectorILNS1_17partition_subalgoE1EtNS0_10empty_typeEbEEZZNS1_14partition_implILS5_1ELb0ES3_jN6thrust23THRUST_200600_302600_NS6detail15normal_iteratorINSA_10device_ptrItEEEEPS6_NSA_18transform_iteratorI7is_evenItESF_NSA_11use_defaultESK_EENS0_5tupleIJNSA_16discard_iteratorISK_EESF_EEENSM_IJSG_SG_EEES6_PlJS6_EEE10hipError_tPvRmT3_T4_T5_T6_T7_T9_mT8_P12ihipStream_tbDpT10_ENKUlT_T0_E_clISt17integral_constantIbLb0EES1B_EEDaS16_S17_EUlS16_E_NS1_11comp_targetILNS1_3genE8ELNS1_11target_archE1030ELNS1_3gpuE2ELNS1_3repE0EEENS1_30default_config_static_selectorELNS0_4arch9wavefront6targetE1EEEvT1_,"axG",@progbits,_ZN7rocprim17ROCPRIM_400000_NS6detail17trampoline_kernelINS0_14default_configENS1_25partition_config_selectorILNS1_17partition_subalgoE1EtNS0_10empty_typeEbEEZZNS1_14partition_implILS5_1ELb0ES3_jN6thrust23THRUST_200600_302600_NS6detail15normal_iteratorINSA_10device_ptrItEEEEPS6_NSA_18transform_iteratorI7is_evenItESF_NSA_11use_defaultESK_EENS0_5tupleIJNSA_16discard_iteratorISK_EESF_EEENSM_IJSG_SG_EEES6_PlJS6_EEE10hipError_tPvRmT3_T4_T5_T6_T7_T9_mT8_P12ihipStream_tbDpT10_ENKUlT_T0_E_clISt17integral_constantIbLb0EES1B_EEDaS16_S17_EUlS16_E_NS1_11comp_targetILNS1_3genE8ELNS1_11target_archE1030ELNS1_3gpuE2ELNS1_3repE0EEENS1_30default_config_static_selectorELNS0_4arch9wavefront6targetE1EEEvT1_,comdat
	.protected	_ZN7rocprim17ROCPRIM_400000_NS6detail17trampoline_kernelINS0_14default_configENS1_25partition_config_selectorILNS1_17partition_subalgoE1EtNS0_10empty_typeEbEEZZNS1_14partition_implILS5_1ELb0ES3_jN6thrust23THRUST_200600_302600_NS6detail15normal_iteratorINSA_10device_ptrItEEEEPS6_NSA_18transform_iteratorI7is_evenItESF_NSA_11use_defaultESK_EENS0_5tupleIJNSA_16discard_iteratorISK_EESF_EEENSM_IJSG_SG_EEES6_PlJS6_EEE10hipError_tPvRmT3_T4_T5_T6_T7_T9_mT8_P12ihipStream_tbDpT10_ENKUlT_T0_E_clISt17integral_constantIbLb0EES1B_EEDaS16_S17_EUlS16_E_NS1_11comp_targetILNS1_3genE8ELNS1_11target_archE1030ELNS1_3gpuE2ELNS1_3repE0EEENS1_30default_config_static_selectorELNS0_4arch9wavefront6targetE1EEEvT1_ ; -- Begin function _ZN7rocprim17ROCPRIM_400000_NS6detail17trampoline_kernelINS0_14default_configENS1_25partition_config_selectorILNS1_17partition_subalgoE1EtNS0_10empty_typeEbEEZZNS1_14partition_implILS5_1ELb0ES3_jN6thrust23THRUST_200600_302600_NS6detail15normal_iteratorINSA_10device_ptrItEEEEPS6_NSA_18transform_iteratorI7is_evenItESF_NSA_11use_defaultESK_EENS0_5tupleIJNSA_16discard_iteratorISK_EESF_EEENSM_IJSG_SG_EEES6_PlJS6_EEE10hipError_tPvRmT3_T4_T5_T6_T7_T9_mT8_P12ihipStream_tbDpT10_ENKUlT_T0_E_clISt17integral_constantIbLb0EES1B_EEDaS16_S17_EUlS16_E_NS1_11comp_targetILNS1_3genE8ELNS1_11target_archE1030ELNS1_3gpuE2ELNS1_3repE0EEENS1_30default_config_static_selectorELNS0_4arch9wavefront6targetE1EEEvT1_
	.globl	_ZN7rocprim17ROCPRIM_400000_NS6detail17trampoline_kernelINS0_14default_configENS1_25partition_config_selectorILNS1_17partition_subalgoE1EtNS0_10empty_typeEbEEZZNS1_14partition_implILS5_1ELb0ES3_jN6thrust23THRUST_200600_302600_NS6detail15normal_iteratorINSA_10device_ptrItEEEEPS6_NSA_18transform_iteratorI7is_evenItESF_NSA_11use_defaultESK_EENS0_5tupleIJNSA_16discard_iteratorISK_EESF_EEENSM_IJSG_SG_EEES6_PlJS6_EEE10hipError_tPvRmT3_T4_T5_T6_T7_T9_mT8_P12ihipStream_tbDpT10_ENKUlT_T0_E_clISt17integral_constantIbLb0EES1B_EEDaS16_S17_EUlS16_E_NS1_11comp_targetILNS1_3genE8ELNS1_11target_archE1030ELNS1_3gpuE2ELNS1_3repE0EEENS1_30default_config_static_selectorELNS0_4arch9wavefront6targetE1EEEvT1_
	.p2align	8
	.type	_ZN7rocprim17ROCPRIM_400000_NS6detail17trampoline_kernelINS0_14default_configENS1_25partition_config_selectorILNS1_17partition_subalgoE1EtNS0_10empty_typeEbEEZZNS1_14partition_implILS5_1ELb0ES3_jN6thrust23THRUST_200600_302600_NS6detail15normal_iteratorINSA_10device_ptrItEEEEPS6_NSA_18transform_iteratorI7is_evenItESF_NSA_11use_defaultESK_EENS0_5tupleIJNSA_16discard_iteratorISK_EESF_EEENSM_IJSG_SG_EEES6_PlJS6_EEE10hipError_tPvRmT3_T4_T5_T6_T7_T9_mT8_P12ihipStream_tbDpT10_ENKUlT_T0_E_clISt17integral_constantIbLb0EES1B_EEDaS16_S17_EUlS16_E_NS1_11comp_targetILNS1_3genE8ELNS1_11target_archE1030ELNS1_3gpuE2ELNS1_3repE0EEENS1_30default_config_static_selectorELNS0_4arch9wavefront6targetE1EEEvT1_,@function
_ZN7rocprim17ROCPRIM_400000_NS6detail17trampoline_kernelINS0_14default_configENS1_25partition_config_selectorILNS1_17partition_subalgoE1EtNS0_10empty_typeEbEEZZNS1_14partition_implILS5_1ELb0ES3_jN6thrust23THRUST_200600_302600_NS6detail15normal_iteratorINSA_10device_ptrItEEEEPS6_NSA_18transform_iteratorI7is_evenItESF_NSA_11use_defaultESK_EENS0_5tupleIJNSA_16discard_iteratorISK_EESF_EEENSM_IJSG_SG_EEES6_PlJS6_EEE10hipError_tPvRmT3_T4_T5_T6_T7_T9_mT8_P12ihipStream_tbDpT10_ENKUlT_T0_E_clISt17integral_constantIbLb0EES1B_EEDaS16_S17_EUlS16_E_NS1_11comp_targetILNS1_3genE8ELNS1_11target_archE1030ELNS1_3gpuE2ELNS1_3repE0EEENS1_30default_config_static_selectorELNS0_4arch9wavefront6targetE1EEEvT1_: ; @_ZN7rocprim17ROCPRIM_400000_NS6detail17trampoline_kernelINS0_14default_configENS1_25partition_config_selectorILNS1_17partition_subalgoE1EtNS0_10empty_typeEbEEZZNS1_14partition_implILS5_1ELb0ES3_jN6thrust23THRUST_200600_302600_NS6detail15normal_iteratorINSA_10device_ptrItEEEEPS6_NSA_18transform_iteratorI7is_evenItESF_NSA_11use_defaultESK_EENS0_5tupleIJNSA_16discard_iteratorISK_EESF_EEENSM_IJSG_SG_EEES6_PlJS6_EEE10hipError_tPvRmT3_T4_T5_T6_T7_T9_mT8_P12ihipStream_tbDpT10_ENKUlT_T0_E_clISt17integral_constantIbLb0EES1B_EEDaS16_S17_EUlS16_E_NS1_11comp_targetILNS1_3genE8ELNS1_11target_archE1030ELNS1_3gpuE2ELNS1_3repE0EEENS1_30default_config_static_selectorELNS0_4arch9wavefront6targetE1EEEvT1_
; %bb.0:
	.section	.rodata,"a",@progbits
	.p2align	6, 0x0
	.amdhsa_kernel _ZN7rocprim17ROCPRIM_400000_NS6detail17trampoline_kernelINS0_14default_configENS1_25partition_config_selectorILNS1_17partition_subalgoE1EtNS0_10empty_typeEbEEZZNS1_14partition_implILS5_1ELb0ES3_jN6thrust23THRUST_200600_302600_NS6detail15normal_iteratorINSA_10device_ptrItEEEEPS6_NSA_18transform_iteratorI7is_evenItESF_NSA_11use_defaultESK_EENS0_5tupleIJNSA_16discard_iteratorISK_EESF_EEENSM_IJSG_SG_EEES6_PlJS6_EEE10hipError_tPvRmT3_T4_T5_T6_T7_T9_mT8_P12ihipStream_tbDpT10_ENKUlT_T0_E_clISt17integral_constantIbLb0EES1B_EEDaS16_S17_EUlS16_E_NS1_11comp_targetILNS1_3genE8ELNS1_11target_archE1030ELNS1_3gpuE2ELNS1_3repE0EEENS1_30default_config_static_selectorELNS0_4arch9wavefront6targetE1EEEvT1_
		.amdhsa_group_segment_fixed_size 0
		.amdhsa_private_segment_fixed_size 0
		.amdhsa_kernarg_size 136
		.amdhsa_user_sgpr_count 6
		.amdhsa_user_sgpr_private_segment_buffer 1
		.amdhsa_user_sgpr_dispatch_ptr 0
		.amdhsa_user_sgpr_queue_ptr 0
		.amdhsa_user_sgpr_kernarg_segment_ptr 1
		.amdhsa_user_sgpr_dispatch_id 0
		.amdhsa_user_sgpr_flat_scratch_init 0
		.amdhsa_user_sgpr_kernarg_preload_length 0
		.amdhsa_user_sgpr_kernarg_preload_offset 0
		.amdhsa_user_sgpr_private_segment_size 0
		.amdhsa_uses_dynamic_stack 0
		.amdhsa_system_sgpr_private_segment_wavefront_offset 0
		.amdhsa_system_sgpr_workgroup_id_x 1
		.amdhsa_system_sgpr_workgroup_id_y 0
		.amdhsa_system_sgpr_workgroup_id_z 0
		.amdhsa_system_sgpr_workgroup_info 0
		.amdhsa_system_vgpr_workitem_id 0
		.amdhsa_next_free_vgpr 1
		.amdhsa_next_free_sgpr 0
		.amdhsa_accum_offset 4
		.amdhsa_reserve_vcc 0
		.amdhsa_reserve_flat_scratch 0
		.amdhsa_float_round_mode_32 0
		.amdhsa_float_round_mode_16_64 0
		.amdhsa_float_denorm_mode_32 3
		.amdhsa_float_denorm_mode_16_64 3
		.amdhsa_dx10_clamp 1
		.amdhsa_ieee_mode 1
		.amdhsa_fp16_overflow 0
		.amdhsa_tg_split 0
		.amdhsa_exception_fp_ieee_invalid_op 0
		.amdhsa_exception_fp_denorm_src 0
		.amdhsa_exception_fp_ieee_div_zero 0
		.amdhsa_exception_fp_ieee_overflow 0
		.amdhsa_exception_fp_ieee_underflow 0
		.amdhsa_exception_fp_ieee_inexact 0
		.amdhsa_exception_int_div_zero 0
	.end_amdhsa_kernel
	.section	.text._ZN7rocprim17ROCPRIM_400000_NS6detail17trampoline_kernelINS0_14default_configENS1_25partition_config_selectorILNS1_17partition_subalgoE1EtNS0_10empty_typeEbEEZZNS1_14partition_implILS5_1ELb0ES3_jN6thrust23THRUST_200600_302600_NS6detail15normal_iteratorINSA_10device_ptrItEEEEPS6_NSA_18transform_iteratorI7is_evenItESF_NSA_11use_defaultESK_EENS0_5tupleIJNSA_16discard_iteratorISK_EESF_EEENSM_IJSG_SG_EEES6_PlJS6_EEE10hipError_tPvRmT3_T4_T5_T6_T7_T9_mT8_P12ihipStream_tbDpT10_ENKUlT_T0_E_clISt17integral_constantIbLb0EES1B_EEDaS16_S17_EUlS16_E_NS1_11comp_targetILNS1_3genE8ELNS1_11target_archE1030ELNS1_3gpuE2ELNS1_3repE0EEENS1_30default_config_static_selectorELNS0_4arch9wavefront6targetE1EEEvT1_,"axG",@progbits,_ZN7rocprim17ROCPRIM_400000_NS6detail17trampoline_kernelINS0_14default_configENS1_25partition_config_selectorILNS1_17partition_subalgoE1EtNS0_10empty_typeEbEEZZNS1_14partition_implILS5_1ELb0ES3_jN6thrust23THRUST_200600_302600_NS6detail15normal_iteratorINSA_10device_ptrItEEEEPS6_NSA_18transform_iteratorI7is_evenItESF_NSA_11use_defaultESK_EENS0_5tupleIJNSA_16discard_iteratorISK_EESF_EEENSM_IJSG_SG_EEES6_PlJS6_EEE10hipError_tPvRmT3_T4_T5_T6_T7_T9_mT8_P12ihipStream_tbDpT10_ENKUlT_T0_E_clISt17integral_constantIbLb0EES1B_EEDaS16_S17_EUlS16_E_NS1_11comp_targetILNS1_3genE8ELNS1_11target_archE1030ELNS1_3gpuE2ELNS1_3repE0EEENS1_30default_config_static_selectorELNS0_4arch9wavefront6targetE1EEEvT1_,comdat
.Lfunc_end3138:
	.size	_ZN7rocprim17ROCPRIM_400000_NS6detail17trampoline_kernelINS0_14default_configENS1_25partition_config_selectorILNS1_17partition_subalgoE1EtNS0_10empty_typeEbEEZZNS1_14partition_implILS5_1ELb0ES3_jN6thrust23THRUST_200600_302600_NS6detail15normal_iteratorINSA_10device_ptrItEEEEPS6_NSA_18transform_iteratorI7is_evenItESF_NSA_11use_defaultESK_EENS0_5tupleIJNSA_16discard_iteratorISK_EESF_EEENSM_IJSG_SG_EEES6_PlJS6_EEE10hipError_tPvRmT3_T4_T5_T6_T7_T9_mT8_P12ihipStream_tbDpT10_ENKUlT_T0_E_clISt17integral_constantIbLb0EES1B_EEDaS16_S17_EUlS16_E_NS1_11comp_targetILNS1_3genE8ELNS1_11target_archE1030ELNS1_3gpuE2ELNS1_3repE0EEENS1_30default_config_static_selectorELNS0_4arch9wavefront6targetE1EEEvT1_, .Lfunc_end3138-_ZN7rocprim17ROCPRIM_400000_NS6detail17trampoline_kernelINS0_14default_configENS1_25partition_config_selectorILNS1_17partition_subalgoE1EtNS0_10empty_typeEbEEZZNS1_14partition_implILS5_1ELb0ES3_jN6thrust23THRUST_200600_302600_NS6detail15normal_iteratorINSA_10device_ptrItEEEEPS6_NSA_18transform_iteratorI7is_evenItESF_NSA_11use_defaultESK_EENS0_5tupleIJNSA_16discard_iteratorISK_EESF_EEENSM_IJSG_SG_EEES6_PlJS6_EEE10hipError_tPvRmT3_T4_T5_T6_T7_T9_mT8_P12ihipStream_tbDpT10_ENKUlT_T0_E_clISt17integral_constantIbLb0EES1B_EEDaS16_S17_EUlS16_E_NS1_11comp_targetILNS1_3genE8ELNS1_11target_archE1030ELNS1_3gpuE2ELNS1_3repE0EEENS1_30default_config_static_selectorELNS0_4arch9wavefront6targetE1EEEvT1_
                                        ; -- End function
	.section	.AMDGPU.csdata,"",@progbits
; Kernel info:
; codeLenInByte = 0
; NumSgprs: 4
; NumVgprs: 0
; NumAgprs: 0
; TotalNumVgprs: 0
; ScratchSize: 0
; MemoryBound: 0
; FloatMode: 240
; IeeeMode: 1
; LDSByteSize: 0 bytes/workgroup (compile time only)
; SGPRBlocks: 0
; VGPRBlocks: 0
; NumSGPRsForWavesPerEU: 4
; NumVGPRsForWavesPerEU: 1
; AccumOffset: 4
; Occupancy: 8
; WaveLimiterHint : 0
; COMPUTE_PGM_RSRC2:SCRATCH_EN: 0
; COMPUTE_PGM_RSRC2:USER_SGPR: 6
; COMPUTE_PGM_RSRC2:TRAP_HANDLER: 0
; COMPUTE_PGM_RSRC2:TGID_X_EN: 1
; COMPUTE_PGM_RSRC2:TGID_Y_EN: 0
; COMPUTE_PGM_RSRC2:TGID_Z_EN: 0
; COMPUTE_PGM_RSRC2:TIDIG_COMP_CNT: 0
; COMPUTE_PGM_RSRC3_GFX90A:ACCUM_OFFSET: 0
; COMPUTE_PGM_RSRC3_GFX90A:TG_SPLIT: 0
	.section	.text._ZN7rocprim17ROCPRIM_400000_NS6detail17trampoline_kernelINS0_14default_configENS1_25partition_config_selectorILNS1_17partition_subalgoE1EtNS0_10empty_typeEbEEZZNS1_14partition_implILS5_1ELb0ES3_jN6thrust23THRUST_200600_302600_NS6detail15normal_iteratorINSA_10device_ptrItEEEEPS6_NSA_18transform_iteratorI7is_evenItESF_NSA_11use_defaultESK_EENS0_5tupleIJNSA_16discard_iteratorISK_EESF_EEENSM_IJSG_SG_EEES6_PlJS6_EEE10hipError_tPvRmT3_T4_T5_T6_T7_T9_mT8_P12ihipStream_tbDpT10_ENKUlT_T0_E_clISt17integral_constantIbLb1EES1B_EEDaS16_S17_EUlS16_E_NS1_11comp_targetILNS1_3genE0ELNS1_11target_archE4294967295ELNS1_3gpuE0ELNS1_3repE0EEENS1_30default_config_static_selectorELNS0_4arch9wavefront6targetE1EEEvT1_,"axG",@progbits,_ZN7rocprim17ROCPRIM_400000_NS6detail17trampoline_kernelINS0_14default_configENS1_25partition_config_selectorILNS1_17partition_subalgoE1EtNS0_10empty_typeEbEEZZNS1_14partition_implILS5_1ELb0ES3_jN6thrust23THRUST_200600_302600_NS6detail15normal_iteratorINSA_10device_ptrItEEEEPS6_NSA_18transform_iteratorI7is_evenItESF_NSA_11use_defaultESK_EENS0_5tupleIJNSA_16discard_iteratorISK_EESF_EEENSM_IJSG_SG_EEES6_PlJS6_EEE10hipError_tPvRmT3_T4_T5_T6_T7_T9_mT8_P12ihipStream_tbDpT10_ENKUlT_T0_E_clISt17integral_constantIbLb1EES1B_EEDaS16_S17_EUlS16_E_NS1_11comp_targetILNS1_3genE0ELNS1_11target_archE4294967295ELNS1_3gpuE0ELNS1_3repE0EEENS1_30default_config_static_selectorELNS0_4arch9wavefront6targetE1EEEvT1_,comdat
	.protected	_ZN7rocprim17ROCPRIM_400000_NS6detail17trampoline_kernelINS0_14default_configENS1_25partition_config_selectorILNS1_17partition_subalgoE1EtNS0_10empty_typeEbEEZZNS1_14partition_implILS5_1ELb0ES3_jN6thrust23THRUST_200600_302600_NS6detail15normal_iteratorINSA_10device_ptrItEEEEPS6_NSA_18transform_iteratorI7is_evenItESF_NSA_11use_defaultESK_EENS0_5tupleIJNSA_16discard_iteratorISK_EESF_EEENSM_IJSG_SG_EEES6_PlJS6_EEE10hipError_tPvRmT3_T4_T5_T6_T7_T9_mT8_P12ihipStream_tbDpT10_ENKUlT_T0_E_clISt17integral_constantIbLb1EES1B_EEDaS16_S17_EUlS16_E_NS1_11comp_targetILNS1_3genE0ELNS1_11target_archE4294967295ELNS1_3gpuE0ELNS1_3repE0EEENS1_30default_config_static_selectorELNS0_4arch9wavefront6targetE1EEEvT1_ ; -- Begin function _ZN7rocprim17ROCPRIM_400000_NS6detail17trampoline_kernelINS0_14default_configENS1_25partition_config_selectorILNS1_17partition_subalgoE1EtNS0_10empty_typeEbEEZZNS1_14partition_implILS5_1ELb0ES3_jN6thrust23THRUST_200600_302600_NS6detail15normal_iteratorINSA_10device_ptrItEEEEPS6_NSA_18transform_iteratorI7is_evenItESF_NSA_11use_defaultESK_EENS0_5tupleIJNSA_16discard_iteratorISK_EESF_EEENSM_IJSG_SG_EEES6_PlJS6_EEE10hipError_tPvRmT3_T4_T5_T6_T7_T9_mT8_P12ihipStream_tbDpT10_ENKUlT_T0_E_clISt17integral_constantIbLb1EES1B_EEDaS16_S17_EUlS16_E_NS1_11comp_targetILNS1_3genE0ELNS1_11target_archE4294967295ELNS1_3gpuE0ELNS1_3repE0EEENS1_30default_config_static_selectorELNS0_4arch9wavefront6targetE1EEEvT1_
	.globl	_ZN7rocprim17ROCPRIM_400000_NS6detail17trampoline_kernelINS0_14default_configENS1_25partition_config_selectorILNS1_17partition_subalgoE1EtNS0_10empty_typeEbEEZZNS1_14partition_implILS5_1ELb0ES3_jN6thrust23THRUST_200600_302600_NS6detail15normal_iteratorINSA_10device_ptrItEEEEPS6_NSA_18transform_iteratorI7is_evenItESF_NSA_11use_defaultESK_EENS0_5tupleIJNSA_16discard_iteratorISK_EESF_EEENSM_IJSG_SG_EEES6_PlJS6_EEE10hipError_tPvRmT3_T4_T5_T6_T7_T9_mT8_P12ihipStream_tbDpT10_ENKUlT_T0_E_clISt17integral_constantIbLb1EES1B_EEDaS16_S17_EUlS16_E_NS1_11comp_targetILNS1_3genE0ELNS1_11target_archE4294967295ELNS1_3gpuE0ELNS1_3repE0EEENS1_30default_config_static_selectorELNS0_4arch9wavefront6targetE1EEEvT1_
	.p2align	8
	.type	_ZN7rocprim17ROCPRIM_400000_NS6detail17trampoline_kernelINS0_14default_configENS1_25partition_config_selectorILNS1_17partition_subalgoE1EtNS0_10empty_typeEbEEZZNS1_14partition_implILS5_1ELb0ES3_jN6thrust23THRUST_200600_302600_NS6detail15normal_iteratorINSA_10device_ptrItEEEEPS6_NSA_18transform_iteratorI7is_evenItESF_NSA_11use_defaultESK_EENS0_5tupleIJNSA_16discard_iteratorISK_EESF_EEENSM_IJSG_SG_EEES6_PlJS6_EEE10hipError_tPvRmT3_T4_T5_T6_T7_T9_mT8_P12ihipStream_tbDpT10_ENKUlT_T0_E_clISt17integral_constantIbLb1EES1B_EEDaS16_S17_EUlS16_E_NS1_11comp_targetILNS1_3genE0ELNS1_11target_archE4294967295ELNS1_3gpuE0ELNS1_3repE0EEENS1_30default_config_static_selectorELNS0_4arch9wavefront6targetE1EEEvT1_,@function
_ZN7rocprim17ROCPRIM_400000_NS6detail17trampoline_kernelINS0_14default_configENS1_25partition_config_selectorILNS1_17partition_subalgoE1EtNS0_10empty_typeEbEEZZNS1_14partition_implILS5_1ELb0ES3_jN6thrust23THRUST_200600_302600_NS6detail15normal_iteratorINSA_10device_ptrItEEEEPS6_NSA_18transform_iteratorI7is_evenItESF_NSA_11use_defaultESK_EENS0_5tupleIJNSA_16discard_iteratorISK_EESF_EEENSM_IJSG_SG_EEES6_PlJS6_EEE10hipError_tPvRmT3_T4_T5_T6_T7_T9_mT8_P12ihipStream_tbDpT10_ENKUlT_T0_E_clISt17integral_constantIbLb1EES1B_EEDaS16_S17_EUlS16_E_NS1_11comp_targetILNS1_3genE0ELNS1_11target_archE4294967295ELNS1_3gpuE0ELNS1_3repE0EEENS1_30default_config_static_selectorELNS0_4arch9wavefront6targetE1EEEvT1_: ; @_ZN7rocprim17ROCPRIM_400000_NS6detail17trampoline_kernelINS0_14default_configENS1_25partition_config_selectorILNS1_17partition_subalgoE1EtNS0_10empty_typeEbEEZZNS1_14partition_implILS5_1ELb0ES3_jN6thrust23THRUST_200600_302600_NS6detail15normal_iteratorINSA_10device_ptrItEEEEPS6_NSA_18transform_iteratorI7is_evenItESF_NSA_11use_defaultESK_EENS0_5tupleIJNSA_16discard_iteratorISK_EESF_EEENSM_IJSG_SG_EEES6_PlJS6_EEE10hipError_tPvRmT3_T4_T5_T6_T7_T9_mT8_P12ihipStream_tbDpT10_ENKUlT_T0_E_clISt17integral_constantIbLb1EES1B_EEDaS16_S17_EUlS16_E_NS1_11comp_targetILNS1_3genE0ELNS1_11target_archE4294967295ELNS1_3gpuE0ELNS1_3repE0EEENS1_30default_config_static_selectorELNS0_4arch9wavefront6targetE1EEEvT1_
; %bb.0:
	.section	.rodata,"a",@progbits
	.p2align	6, 0x0
	.amdhsa_kernel _ZN7rocprim17ROCPRIM_400000_NS6detail17trampoline_kernelINS0_14default_configENS1_25partition_config_selectorILNS1_17partition_subalgoE1EtNS0_10empty_typeEbEEZZNS1_14partition_implILS5_1ELb0ES3_jN6thrust23THRUST_200600_302600_NS6detail15normal_iteratorINSA_10device_ptrItEEEEPS6_NSA_18transform_iteratorI7is_evenItESF_NSA_11use_defaultESK_EENS0_5tupleIJNSA_16discard_iteratorISK_EESF_EEENSM_IJSG_SG_EEES6_PlJS6_EEE10hipError_tPvRmT3_T4_T5_T6_T7_T9_mT8_P12ihipStream_tbDpT10_ENKUlT_T0_E_clISt17integral_constantIbLb1EES1B_EEDaS16_S17_EUlS16_E_NS1_11comp_targetILNS1_3genE0ELNS1_11target_archE4294967295ELNS1_3gpuE0ELNS1_3repE0EEENS1_30default_config_static_selectorELNS0_4arch9wavefront6targetE1EEEvT1_
		.amdhsa_group_segment_fixed_size 0
		.amdhsa_private_segment_fixed_size 0
		.amdhsa_kernarg_size 152
		.amdhsa_user_sgpr_count 6
		.amdhsa_user_sgpr_private_segment_buffer 1
		.amdhsa_user_sgpr_dispatch_ptr 0
		.amdhsa_user_sgpr_queue_ptr 0
		.amdhsa_user_sgpr_kernarg_segment_ptr 1
		.amdhsa_user_sgpr_dispatch_id 0
		.amdhsa_user_sgpr_flat_scratch_init 0
		.amdhsa_user_sgpr_kernarg_preload_length 0
		.amdhsa_user_sgpr_kernarg_preload_offset 0
		.amdhsa_user_sgpr_private_segment_size 0
		.amdhsa_uses_dynamic_stack 0
		.amdhsa_system_sgpr_private_segment_wavefront_offset 0
		.amdhsa_system_sgpr_workgroup_id_x 1
		.amdhsa_system_sgpr_workgroup_id_y 0
		.amdhsa_system_sgpr_workgroup_id_z 0
		.amdhsa_system_sgpr_workgroup_info 0
		.amdhsa_system_vgpr_workitem_id 0
		.amdhsa_next_free_vgpr 1
		.amdhsa_next_free_sgpr 0
		.amdhsa_accum_offset 4
		.amdhsa_reserve_vcc 0
		.amdhsa_reserve_flat_scratch 0
		.amdhsa_float_round_mode_32 0
		.amdhsa_float_round_mode_16_64 0
		.amdhsa_float_denorm_mode_32 3
		.amdhsa_float_denorm_mode_16_64 3
		.amdhsa_dx10_clamp 1
		.amdhsa_ieee_mode 1
		.amdhsa_fp16_overflow 0
		.amdhsa_tg_split 0
		.amdhsa_exception_fp_ieee_invalid_op 0
		.amdhsa_exception_fp_denorm_src 0
		.amdhsa_exception_fp_ieee_div_zero 0
		.amdhsa_exception_fp_ieee_overflow 0
		.amdhsa_exception_fp_ieee_underflow 0
		.amdhsa_exception_fp_ieee_inexact 0
		.amdhsa_exception_int_div_zero 0
	.end_amdhsa_kernel
	.section	.text._ZN7rocprim17ROCPRIM_400000_NS6detail17trampoline_kernelINS0_14default_configENS1_25partition_config_selectorILNS1_17partition_subalgoE1EtNS0_10empty_typeEbEEZZNS1_14partition_implILS5_1ELb0ES3_jN6thrust23THRUST_200600_302600_NS6detail15normal_iteratorINSA_10device_ptrItEEEEPS6_NSA_18transform_iteratorI7is_evenItESF_NSA_11use_defaultESK_EENS0_5tupleIJNSA_16discard_iteratorISK_EESF_EEENSM_IJSG_SG_EEES6_PlJS6_EEE10hipError_tPvRmT3_T4_T5_T6_T7_T9_mT8_P12ihipStream_tbDpT10_ENKUlT_T0_E_clISt17integral_constantIbLb1EES1B_EEDaS16_S17_EUlS16_E_NS1_11comp_targetILNS1_3genE0ELNS1_11target_archE4294967295ELNS1_3gpuE0ELNS1_3repE0EEENS1_30default_config_static_selectorELNS0_4arch9wavefront6targetE1EEEvT1_,"axG",@progbits,_ZN7rocprim17ROCPRIM_400000_NS6detail17trampoline_kernelINS0_14default_configENS1_25partition_config_selectorILNS1_17partition_subalgoE1EtNS0_10empty_typeEbEEZZNS1_14partition_implILS5_1ELb0ES3_jN6thrust23THRUST_200600_302600_NS6detail15normal_iteratorINSA_10device_ptrItEEEEPS6_NSA_18transform_iteratorI7is_evenItESF_NSA_11use_defaultESK_EENS0_5tupleIJNSA_16discard_iteratorISK_EESF_EEENSM_IJSG_SG_EEES6_PlJS6_EEE10hipError_tPvRmT3_T4_T5_T6_T7_T9_mT8_P12ihipStream_tbDpT10_ENKUlT_T0_E_clISt17integral_constantIbLb1EES1B_EEDaS16_S17_EUlS16_E_NS1_11comp_targetILNS1_3genE0ELNS1_11target_archE4294967295ELNS1_3gpuE0ELNS1_3repE0EEENS1_30default_config_static_selectorELNS0_4arch9wavefront6targetE1EEEvT1_,comdat
.Lfunc_end3139:
	.size	_ZN7rocprim17ROCPRIM_400000_NS6detail17trampoline_kernelINS0_14default_configENS1_25partition_config_selectorILNS1_17partition_subalgoE1EtNS0_10empty_typeEbEEZZNS1_14partition_implILS5_1ELb0ES3_jN6thrust23THRUST_200600_302600_NS6detail15normal_iteratorINSA_10device_ptrItEEEEPS6_NSA_18transform_iteratorI7is_evenItESF_NSA_11use_defaultESK_EENS0_5tupleIJNSA_16discard_iteratorISK_EESF_EEENSM_IJSG_SG_EEES6_PlJS6_EEE10hipError_tPvRmT3_T4_T5_T6_T7_T9_mT8_P12ihipStream_tbDpT10_ENKUlT_T0_E_clISt17integral_constantIbLb1EES1B_EEDaS16_S17_EUlS16_E_NS1_11comp_targetILNS1_3genE0ELNS1_11target_archE4294967295ELNS1_3gpuE0ELNS1_3repE0EEENS1_30default_config_static_selectorELNS0_4arch9wavefront6targetE1EEEvT1_, .Lfunc_end3139-_ZN7rocprim17ROCPRIM_400000_NS6detail17trampoline_kernelINS0_14default_configENS1_25partition_config_selectorILNS1_17partition_subalgoE1EtNS0_10empty_typeEbEEZZNS1_14partition_implILS5_1ELb0ES3_jN6thrust23THRUST_200600_302600_NS6detail15normal_iteratorINSA_10device_ptrItEEEEPS6_NSA_18transform_iteratorI7is_evenItESF_NSA_11use_defaultESK_EENS0_5tupleIJNSA_16discard_iteratorISK_EESF_EEENSM_IJSG_SG_EEES6_PlJS6_EEE10hipError_tPvRmT3_T4_T5_T6_T7_T9_mT8_P12ihipStream_tbDpT10_ENKUlT_T0_E_clISt17integral_constantIbLb1EES1B_EEDaS16_S17_EUlS16_E_NS1_11comp_targetILNS1_3genE0ELNS1_11target_archE4294967295ELNS1_3gpuE0ELNS1_3repE0EEENS1_30default_config_static_selectorELNS0_4arch9wavefront6targetE1EEEvT1_
                                        ; -- End function
	.section	.AMDGPU.csdata,"",@progbits
; Kernel info:
; codeLenInByte = 0
; NumSgprs: 4
; NumVgprs: 0
; NumAgprs: 0
; TotalNumVgprs: 0
; ScratchSize: 0
; MemoryBound: 0
; FloatMode: 240
; IeeeMode: 1
; LDSByteSize: 0 bytes/workgroup (compile time only)
; SGPRBlocks: 0
; VGPRBlocks: 0
; NumSGPRsForWavesPerEU: 4
; NumVGPRsForWavesPerEU: 1
; AccumOffset: 4
; Occupancy: 8
; WaveLimiterHint : 0
; COMPUTE_PGM_RSRC2:SCRATCH_EN: 0
; COMPUTE_PGM_RSRC2:USER_SGPR: 6
; COMPUTE_PGM_RSRC2:TRAP_HANDLER: 0
; COMPUTE_PGM_RSRC2:TGID_X_EN: 1
; COMPUTE_PGM_RSRC2:TGID_Y_EN: 0
; COMPUTE_PGM_RSRC2:TGID_Z_EN: 0
; COMPUTE_PGM_RSRC2:TIDIG_COMP_CNT: 0
; COMPUTE_PGM_RSRC3_GFX90A:ACCUM_OFFSET: 0
; COMPUTE_PGM_RSRC3_GFX90A:TG_SPLIT: 0
	.section	.text._ZN7rocprim17ROCPRIM_400000_NS6detail17trampoline_kernelINS0_14default_configENS1_25partition_config_selectorILNS1_17partition_subalgoE1EtNS0_10empty_typeEbEEZZNS1_14partition_implILS5_1ELb0ES3_jN6thrust23THRUST_200600_302600_NS6detail15normal_iteratorINSA_10device_ptrItEEEEPS6_NSA_18transform_iteratorI7is_evenItESF_NSA_11use_defaultESK_EENS0_5tupleIJNSA_16discard_iteratorISK_EESF_EEENSM_IJSG_SG_EEES6_PlJS6_EEE10hipError_tPvRmT3_T4_T5_T6_T7_T9_mT8_P12ihipStream_tbDpT10_ENKUlT_T0_E_clISt17integral_constantIbLb1EES1B_EEDaS16_S17_EUlS16_E_NS1_11comp_targetILNS1_3genE5ELNS1_11target_archE942ELNS1_3gpuE9ELNS1_3repE0EEENS1_30default_config_static_selectorELNS0_4arch9wavefront6targetE1EEEvT1_,"axG",@progbits,_ZN7rocprim17ROCPRIM_400000_NS6detail17trampoline_kernelINS0_14default_configENS1_25partition_config_selectorILNS1_17partition_subalgoE1EtNS0_10empty_typeEbEEZZNS1_14partition_implILS5_1ELb0ES3_jN6thrust23THRUST_200600_302600_NS6detail15normal_iteratorINSA_10device_ptrItEEEEPS6_NSA_18transform_iteratorI7is_evenItESF_NSA_11use_defaultESK_EENS0_5tupleIJNSA_16discard_iteratorISK_EESF_EEENSM_IJSG_SG_EEES6_PlJS6_EEE10hipError_tPvRmT3_T4_T5_T6_T7_T9_mT8_P12ihipStream_tbDpT10_ENKUlT_T0_E_clISt17integral_constantIbLb1EES1B_EEDaS16_S17_EUlS16_E_NS1_11comp_targetILNS1_3genE5ELNS1_11target_archE942ELNS1_3gpuE9ELNS1_3repE0EEENS1_30default_config_static_selectorELNS0_4arch9wavefront6targetE1EEEvT1_,comdat
	.protected	_ZN7rocprim17ROCPRIM_400000_NS6detail17trampoline_kernelINS0_14default_configENS1_25partition_config_selectorILNS1_17partition_subalgoE1EtNS0_10empty_typeEbEEZZNS1_14partition_implILS5_1ELb0ES3_jN6thrust23THRUST_200600_302600_NS6detail15normal_iteratorINSA_10device_ptrItEEEEPS6_NSA_18transform_iteratorI7is_evenItESF_NSA_11use_defaultESK_EENS0_5tupleIJNSA_16discard_iteratorISK_EESF_EEENSM_IJSG_SG_EEES6_PlJS6_EEE10hipError_tPvRmT3_T4_T5_T6_T7_T9_mT8_P12ihipStream_tbDpT10_ENKUlT_T0_E_clISt17integral_constantIbLb1EES1B_EEDaS16_S17_EUlS16_E_NS1_11comp_targetILNS1_3genE5ELNS1_11target_archE942ELNS1_3gpuE9ELNS1_3repE0EEENS1_30default_config_static_selectorELNS0_4arch9wavefront6targetE1EEEvT1_ ; -- Begin function _ZN7rocprim17ROCPRIM_400000_NS6detail17trampoline_kernelINS0_14default_configENS1_25partition_config_selectorILNS1_17partition_subalgoE1EtNS0_10empty_typeEbEEZZNS1_14partition_implILS5_1ELb0ES3_jN6thrust23THRUST_200600_302600_NS6detail15normal_iteratorINSA_10device_ptrItEEEEPS6_NSA_18transform_iteratorI7is_evenItESF_NSA_11use_defaultESK_EENS0_5tupleIJNSA_16discard_iteratorISK_EESF_EEENSM_IJSG_SG_EEES6_PlJS6_EEE10hipError_tPvRmT3_T4_T5_T6_T7_T9_mT8_P12ihipStream_tbDpT10_ENKUlT_T0_E_clISt17integral_constantIbLb1EES1B_EEDaS16_S17_EUlS16_E_NS1_11comp_targetILNS1_3genE5ELNS1_11target_archE942ELNS1_3gpuE9ELNS1_3repE0EEENS1_30default_config_static_selectorELNS0_4arch9wavefront6targetE1EEEvT1_
	.globl	_ZN7rocprim17ROCPRIM_400000_NS6detail17trampoline_kernelINS0_14default_configENS1_25partition_config_selectorILNS1_17partition_subalgoE1EtNS0_10empty_typeEbEEZZNS1_14partition_implILS5_1ELb0ES3_jN6thrust23THRUST_200600_302600_NS6detail15normal_iteratorINSA_10device_ptrItEEEEPS6_NSA_18transform_iteratorI7is_evenItESF_NSA_11use_defaultESK_EENS0_5tupleIJNSA_16discard_iteratorISK_EESF_EEENSM_IJSG_SG_EEES6_PlJS6_EEE10hipError_tPvRmT3_T4_T5_T6_T7_T9_mT8_P12ihipStream_tbDpT10_ENKUlT_T0_E_clISt17integral_constantIbLb1EES1B_EEDaS16_S17_EUlS16_E_NS1_11comp_targetILNS1_3genE5ELNS1_11target_archE942ELNS1_3gpuE9ELNS1_3repE0EEENS1_30default_config_static_selectorELNS0_4arch9wavefront6targetE1EEEvT1_
	.p2align	8
	.type	_ZN7rocprim17ROCPRIM_400000_NS6detail17trampoline_kernelINS0_14default_configENS1_25partition_config_selectorILNS1_17partition_subalgoE1EtNS0_10empty_typeEbEEZZNS1_14partition_implILS5_1ELb0ES3_jN6thrust23THRUST_200600_302600_NS6detail15normal_iteratorINSA_10device_ptrItEEEEPS6_NSA_18transform_iteratorI7is_evenItESF_NSA_11use_defaultESK_EENS0_5tupleIJNSA_16discard_iteratorISK_EESF_EEENSM_IJSG_SG_EEES6_PlJS6_EEE10hipError_tPvRmT3_T4_T5_T6_T7_T9_mT8_P12ihipStream_tbDpT10_ENKUlT_T0_E_clISt17integral_constantIbLb1EES1B_EEDaS16_S17_EUlS16_E_NS1_11comp_targetILNS1_3genE5ELNS1_11target_archE942ELNS1_3gpuE9ELNS1_3repE0EEENS1_30default_config_static_selectorELNS0_4arch9wavefront6targetE1EEEvT1_,@function
_ZN7rocprim17ROCPRIM_400000_NS6detail17trampoline_kernelINS0_14default_configENS1_25partition_config_selectorILNS1_17partition_subalgoE1EtNS0_10empty_typeEbEEZZNS1_14partition_implILS5_1ELb0ES3_jN6thrust23THRUST_200600_302600_NS6detail15normal_iteratorINSA_10device_ptrItEEEEPS6_NSA_18transform_iteratorI7is_evenItESF_NSA_11use_defaultESK_EENS0_5tupleIJNSA_16discard_iteratorISK_EESF_EEENSM_IJSG_SG_EEES6_PlJS6_EEE10hipError_tPvRmT3_T4_T5_T6_T7_T9_mT8_P12ihipStream_tbDpT10_ENKUlT_T0_E_clISt17integral_constantIbLb1EES1B_EEDaS16_S17_EUlS16_E_NS1_11comp_targetILNS1_3genE5ELNS1_11target_archE942ELNS1_3gpuE9ELNS1_3repE0EEENS1_30default_config_static_selectorELNS0_4arch9wavefront6targetE1EEEvT1_: ; @_ZN7rocprim17ROCPRIM_400000_NS6detail17trampoline_kernelINS0_14default_configENS1_25partition_config_selectorILNS1_17partition_subalgoE1EtNS0_10empty_typeEbEEZZNS1_14partition_implILS5_1ELb0ES3_jN6thrust23THRUST_200600_302600_NS6detail15normal_iteratorINSA_10device_ptrItEEEEPS6_NSA_18transform_iteratorI7is_evenItESF_NSA_11use_defaultESK_EENS0_5tupleIJNSA_16discard_iteratorISK_EESF_EEENSM_IJSG_SG_EEES6_PlJS6_EEE10hipError_tPvRmT3_T4_T5_T6_T7_T9_mT8_P12ihipStream_tbDpT10_ENKUlT_T0_E_clISt17integral_constantIbLb1EES1B_EEDaS16_S17_EUlS16_E_NS1_11comp_targetILNS1_3genE5ELNS1_11target_archE942ELNS1_3gpuE9ELNS1_3repE0EEENS1_30default_config_static_selectorELNS0_4arch9wavefront6targetE1EEEvT1_
; %bb.0:
	.section	.rodata,"a",@progbits
	.p2align	6, 0x0
	.amdhsa_kernel _ZN7rocprim17ROCPRIM_400000_NS6detail17trampoline_kernelINS0_14default_configENS1_25partition_config_selectorILNS1_17partition_subalgoE1EtNS0_10empty_typeEbEEZZNS1_14partition_implILS5_1ELb0ES3_jN6thrust23THRUST_200600_302600_NS6detail15normal_iteratorINSA_10device_ptrItEEEEPS6_NSA_18transform_iteratorI7is_evenItESF_NSA_11use_defaultESK_EENS0_5tupleIJNSA_16discard_iteratorISK_EESF_EEENSM_IJSG_SG_EEES6_PlJS6_EEE10hipError_tPvRmT3_T4_T5_T6_T7_T9_mT8_P12ihipStream_tbDpT10_ENKUlT_T0_E_clISt17integral_constantIbLb1EES1B_EEDaS16_S17_EUlS16_E_NS1_11comp_targetILNS1_3genE5ELNS1_11target_archE942ELNS1_3gpuE9ELNS1_3repE0EEENS1_30default_config_static_selectorELNS0_4arch9wavefront6targetE1EEEvT1_
		.amdhsa_group_segment_fixed_size 0
		.amdhsa_private_segment_fixed_size 0
		.amdhsa_kernarg_size 152
		.amdhsa_user_sgpr_count 6
		.amdhsa_user_sgpr_private_segment_buffer 1
		.amdhsa_user_sgpr_dispatch_ptr 0
		.amdhsa_user_sgpr_queue_ptr 0
		.amdhsa_user_sgpr_kernarg_segment_ptr 1
		.amdhsa_user_sgpr_dispatch_id 0
		.amdhsa_user_sgpr_flat_scratch_init 0
		.amdhsa_user_sgpr_kernarg_preload_length 0
		.amdhsa_user_sgpr_kernarg_preload_offset 0
		.amdhsa_user_sgpr_private_segment_size 0
		.amdhsa_uses_dynamic_stack 0
		.amdhsa_system_sgpr_private_segment_wavefront_offset 0
		.amdhsa_system_sgpr_workgroup_id_x 1
		.amdhsa_system_sgpr_workgroup_id_y 0
		.amdhsa_system_sgpr_workgroup_id_z 0
		.amdhsa_system_sgpr_workgroup_info 0
		.amdhsa_system_vgpr_workitem_id 0
		.amdhsa_next_free_vgpr 1
		.amdhsa_next_free_sgpr 0
		.amdhsa_accum_offset 4
		.amdhsa_reserve_vcc 0
		.amdhsa_reserve_flat_scratch 0
		.amdhsa_float_round_mode_32 0
		.amdhsa_float_round_mode_16_64 0
		.amdhsa_float_denorm_mode_32 3
		.amdhsa_float_denorm_mode_16_64 3
		.amdhsa_dx10_clamp 1
		.amdhsa_ieee_mode 1
		.amdhsa_fp16_overflow 0
		.amdhsa_tg_split 0
		.amdhsa_exception_fp_ieee_invalid_op 0
		.amdhsa_exception_fp_denorm_src 0
		.amdhsa_exception_fp_ieee_div_zero 0
		.amdhsa_exception_fp_ieee_overflow 0
		.amdhsa_exception_fp_ieee_underflow 0
		.amdhsa_exception_fp_ieee_inexact 0
		.amdhsa_exception_int_div_zero 0
	.end_amdhsa_kernel
	.section	.text._ZN7rocprim17ROCPRIM_400000_NS6detail17trampoline_kernelINS0_14default_configENS1_25partition_config_selectorILNS1_17partition_subalgoE1EtNS0_10empty_typeEbEEZZNS1_14partition_implILS5_1ELb0ES3_jN6thrust23THRUST_200600_302600_NS6detail15normal_iteratorINSA_10device_ptrItEEEEPS6_NSA_18transform_iteratorI7is_evenItESF_NSA_11use_defaultESK_EENS0_5tupleIJNSA_16discard_iteratorISK_EESF_EEENSM_IJSG_SG_EEES6_PlJS6_EEE10hipError_tPvRmT3_T4_T5_T6_T7_T9_mT8_P12ihipStream_tbDpT10_ENKUlT_T0_E_clISt17integral_constantIbLb1EES1B_EEDaS16_S17_EUlS16_E_NS1_11comp_targetILNS1_3genE5ELNS1_11target_archE942ELNS1_3gpuE9ELNS1_3repE0EEENS1_30default_config_static_selectorELNS0_4arch9wavefront6targetE1EEEvT1_,"axG",@progbits,_ZN7rocprim17ROCPRIM_400000_NS6detail17trampoline_kernelINS0_14default_configENS1_25partition_config_selectorILNS1_17partition_subalgoE1EtNS0_10empty_typeEbEEZZNS1_14partition_implILS5_1ELb0ES3_jN6thrust23THRUST_200600_302600_NS6detail15normal_iteratorINSA_10device_ptrItEEEEPS6_NSA_18transform_iteratorI7is_evenItESF_NSA_11use_defaultESK_EENS0_5tupleIJNSA_16discard_iteratorISK_EESF_EEENSM_IJSG_SG_EEES6_PlJS6_EEE10hipError_tPvRmT3_T4_T5_T6_T7_T9_mT8_P12ihipStream_tbDpT10_ENKUlT_T0_E_clISt17integral_constantIbLb1EES1B_EEDaS16_S17_EUlS16_E_NS1_11comp_targetILNS1_3genE5ELNS1_11target_archE942ELNS1_3gpuE9ELNS1_3repE0EEENS1_30default_config_static_selectorELNS0_4arch9wavefront6targetE1EEEvT1_,comdat
.Lfunc_end3140:
	.size	_ZN7rocprim17ROCPRIM_400000_NS6detail17trampoline_kernelINS0_14default_configENS1_25partition_config_selectorILNS1_17partition_subalgoE1EtNS0_10empty_typeEbEEZZNS1_14partition_implILS5_1ELb0ES3_jN6thrust23THRUST_200600_302600_NS6detail15normal_iteratorINSA_10device_ptrItEEEEPS6_NSA_18transform_iteratorI7is_evenItESF_NSA_11use_defaultESK_EENS0_5tupleIJNSA_16discard_iteratorISK_EESF_EEENSM_IJSG_SG_EEES6_PlJS6_EEE10hipError_tPvRmT3_T4_T5_T6_T7_T9_mT8_P12ihipStream_tbDpT10_ENKUlT_T0_E_clISt17integral_constantIbLb1EES1B_EEDaS16_S17_EUlS16_E_NS1_11comp_targetILNS1_3genE5ELNS1_11target_archE942ELNS1_3gpuE9ELNS1_3repE0EEENS1_30default_config_static_selectorELNS0_4arch9wavefront6targetE1EEEvT1_, .Lfunc_end3140-_ZN7rocprim17ROCPRIM_400000_NS6detail17trampoline_kernelINS0_14default_configENS1_25partition_config_selectorILNS1_17partition_subalgoE1EtNS0_10empty_typeEbEEZZNS1_14partition_implILS5_1ELb0ES3_jN6thrust23THRUST_200600_302600_NS6detail15normal_iteratorINSA_10device_ptrItEEEEPS6_NSA_18transform_iteratorI7is_evenItESF_NSA_11use_defaultESK_EENS0_5tupleIJNSA_16discard_iteratorISK_EESF_EEENSM_IJSG_SG_EEES6_PlJS6_EEE10hipError_tPvRmT3_T4_T5_T6_T7_T9_mT8_P12ihipStream_tbDpT10_ENKUlT_T0_E_clISt17integral_constantIbLb1EES1B_EEDaS16_S17_EUlS16_E_NS1_11comp_targetILNS1_3genE5ELNS1_11target_archE942ELNS1_3gpuE9ELNS1_3repE0EEENS1_30default_config_static_selectorELNS0_4arch9wavefront6targetE1EEEvT1_
                                        ; -- End function
	.section	.AMDGPU.csdata,"",@progbits
; Kernel info:
; codeLenInByte = 0
; NumSgprs: 4
; NumVgprs: 0
; NumAgprs: 0
; TotalNumVgprs: 0
; ScratchSize: 0
; MemoryBound: 0
; FloatMode: 240
; IeeeMode: 1
; LDSByteSize: 0 bytes/workgroup (compile time only)
; SGPRBlocks: 0
; VGPRBlocks: 0
; NumSGPRsForWavesPerEU: 4
; NumVGPRsForWavesPerEU: 1
; AccumOffset: 4
; Occupancy: 8
; WaveLimiterHint : 0
; COMPUTE_PGM_RSRC2:SCRATCH_EN: 0
; COMPUTE_PGM_RSRC2:USER_SGPR: 6
; COMPUTE_PGM_RSRC2:TRAP_HANDLER: 0
; COMPUTE_PGM_RSRC2:TGID_X_EN: 1
; COMPUTE_PGM_RSRC2:TGID_Y_EN: 0
; COMPUTE_PGM_RSRC2:TGID_Z_EN: 0
; COMPUTE_PGM_RSRC2:TIDIG_COMP_CNT: 0
; COMPUTE_PGM_RSRC3_GFX90A:ACCUM_OFFSET: 0
; COMPUTE_PGM_RSRC3_GFX90A:TG_SPLIT: 0
	.section	.text._ZN7rocprim17ROCPRIM_400000_NS6detail17trampoline_kernelINS0_14default_configENS1_25partition_config_selectorILNS1_17partition_subalgoE1EtNS0_10empty_typeEbEEZZNS1_14partition_implILS5_1ELb0ES3_jN6thrust23THRUST_200600_302600_NS6detail15normal_iteratorINSA_10device_ptrItEEEEPS6_NSA_18transform_iteratorI7is_evenItESF_NSA_11use_defaultESK_EENS0_5tupleIJNSA_16discard_iteratorISK_EESF_EEENSM_IJSG_SG_EEES6_PlJS6_EEE10hipError_tPvRmT3_T4_T5_T6_T7_T9_mT8_P12ihipStream_tbDpT10_ENKUlT_T0_E_clISt17integral_constantIbLb1EES1B_EEDaS16_S17_EUlS16_E_NS1_11comp_targetILNS1_3genE4ELNS1_11target_archE910ELNS1_3gpuE8ELNS1_3repE0EEENS1_30default_config_static_selectorELNS0_4arch9wavefront6targetE1EEEvT1_,"axG",@progbits,_ZN7rocprim17ROCPRIM_400000_NS6detail17trampoline_kernelINS0_14default_configENS1_25partition_config_selectorILNS1_17partition_subalgoE1EtNS0_10empty_typeEbEEZZNS1_14partition_implILS5_1ELb0ES3_jN6thrust23THRUST_200600_302600_NS6detail15normal_iteratorINSA_10device_ptrItEEEEPS6_NSA_18transform_iteratorI7is_evenItESF_NSA_11use_defaultESK_EENS0_5tupleIJNSA_16discard_iteratorISK_EESF_EEENSM_IJSG_SG_EEES6_PlJS6_EEE10hipError_tPvRmT3_T4_T5_T6_T7_T9_mT8_P12ihipStream_tbDpT10_ENKUlT_T0_E_clISt17integral_constantIbLb1EES1B_EEDaS16_S17_EUlS16_E_NS1_11comp_targetILNS1_3genE4ELNS1_11target_archE910ELNS1_3gpuE8ELNS1_3repE0EEENS1_30default_config_static_selectorELNS0_4arch9wavefront6targetE1EEEvT1_,comdat
	.protected	_ZN7rocprim17ROCPRIM_400000_NS6detail17trampoline_kernelINS0_14default_configENS1_25partition_config_selectorILNS1_17partition_subalgoE1EtNS0_10empty_typeEbEEZZNS1_14partition_implILS5_1ELb0ES3_jN6thrust23THRUST_200600_302600_NS6detail15normal_iteratorINSA_10device_ptrItEEEEPS6_NSA_18transform_iteratorI7is_evenItESF_NSA_11use_defaultESK_EENS0_5tupleIJNSA_16discard_iteratorISK_EESF_EEENSM_IJSG_SG_EEES6_PlJS6_EEE10hipError_tPvRmT3_T4_T5_T6_T7_T9_mT8_P12ihipStream_tbDpT10_ENKUlT_T0_E_clISt17integral_constantIbLb1EES1B_EEDaS16_S17_EUlS16_E_NS1_11comp_targetILNS1_3genE4ELNS1_11target_archE910ELNS1_3gpuE8ELNS1_3repE0EEENS1_30default_config_static_selectorELNS0_4arch9wavefront6targetE1EEEvT1_ ; -- Begin function _ZN7rocprim17ROCPRIM_400000_NS6detail17trampoline_kernelINS0_14default_configENS1_25partition_config_selectorILNS1_17partition_subalgoE1EtNS0_10empty_typeEbEEZZNS1_14partition_implILS5_1ELb0ES3_jN6thrust23THRUST_200600_302600_NS6detail15normal_iteratorINSA_10device_ptrItEEEEPS6_NSA_18transform_iteratorI7is_evenItESF_NSA_11use_defaultESK_EENS0_5tupleIJNSA_16discard_iteratorISK_EESF_EEENSM_IJSG_SG_EEES6_PlJS6_EEE10hipError_tPvRmT3_T4_T5_T6_T7_T9_mT8_P12ihipStream_tbDpT10_ENKUlT_T0_E_clISt17integral_constantIbLb1EES1B_EEDaS16_S17_EUlS16_E_NS1_11comp_targetILNS1_3genE4ELNS1_11target_archE910ELNS1_3gpuE8ELNS1_3repE0EEENS1_30default_config_static_selectorELNS0_4arch9wavefront6targetE1EEEvT1_
	.globl	_ZN7rocprim17ROCPRIM_400000_NS6detail17trampoline_kernelINS0_14default_configENS1_25partition_config_selectorILNS1_17partition_subalgoE1EtNS0_10empty_typeEbEEZZNS1_14partition_implILS5_1ELb0ES3_jN6thrust23THRUST_200600_302600_NS6detail15normal_iteratorINSA_10device_ptrItEEEEPS6_NSA_18transform_iteratorI7is_evenItESF_NSA_11use_defaultESK_EENS0_5tupleIJNSA_16discard_iteratorISK_EESF_EEENSM_IJSG_SG_EEES6_PlJS6_EEE10hipError_tPvRmT3_T4_T5_T6_T7_T9_mT8_P12ihipStream_tbDpT10_ENKUlT_T0_E_clISt17integral_constantIbLb1EES1B_EEDaS16_S17_EUlS16_E_NS1_11comp_targetILNS1_3genE4ELNS1_11target_archE910ELNS1_3gpuE8ELNS1_3repE0EEENS1_30default_config_static_selectorELNS0_4arch9wavefront6targetE1EEEvT1_
	.p2align	8
	.type	_ZN7rocprim17ROCPRIM_400000_NS6detail17trampoline_kernelINS0_14default_configENS1_25partition_config_selectorILNS1_17partition_subalgoE1EtNS0_10empty_typeEbEEZZNS1_14partition_implILS5_1ELb0ES3_jN6thrust23THRUST_200600_302600_NS6detail15normal_iteratorINSA_10device_ptrItEEEEPS6_NSA_18transform_iteratorI7is_evenItESF_NSA_11use_defaultESK_EENS0_5tupleIJNSA_16discard_iteratorISK_EESF_EEENSM_IJSG_SG_EEES6_PlJS6_EEE10hipError_tPvRmT3_T4_T5_T6_T7_T9_mT8_P12ihipStream_tbDpT10_ENKUlT_T0_E_clISt17integral_constantIbLb1EES1B_EEDaS16_S17_EUlS16_E_NS1_11comp_targetILNS1_3genE4ELNS1_11target_archE910ELNS1_3gpuE8ELNS1_3repE0EEENS1_30default_config_static_selectorELNS0_4arch9wavefront6targetE1EEEvT1_,@function
_ZN7rocprim17ROCPRIM_400000_NS6detail17trampoline_kernelINS0_14default_configENS1_25partition_config_selectorILNS1_17partition_subalgoE1EtNS0_10empty_typeEbEEZZNS1_14partition_implILS5_1ELb0ES3_jN6thrust23THRUST_200600_302600_NS6detail15normal_iteratorINSA_10device_ptrItEEEEPS6_NSA_18transform_iteratorI7is_evenItESF_NSA_11use_defaultESK_EENS0_5tupleIJNSA_16discard_iteratorISK_EESF_EEENSM_IJSG_SG_EEES6_PlJS6_EEE10hipError_tPvRmT3_T4_T5_T6_T7_T9_mT8_P12ihipStream_tbDpT10_ENKUlT_T0_E_clISt17integral_constantIbLb1EES1B_EEDaS16_S17_EUlS16_E_NS1_11comp_targetILNS1_3genE4ELNS1_11target_archE910ELNS1_3gpuE8ELNS1_3repE0EEENS1_30default_config_static_selectorELNS0_4arch9wavefront6targetE1EEEvT1_: ; @_ZN7rocprim17ROCPRIM_400000_NS6detail17trampoline_kernelINS0_14default_configENS1_25partition_config_selectorILNS1_17partition_subalgoE1EtNS0_10empty_typeEbEEZZNS1_14partition_implILS5_1ELb0ES3_jN6thrust23THRUST_200600_302600_NS6detail15normal_iteratorINSA_10device_ptrItEEEEPS6_NSA_18transform_iteratorI7is_evenItESF_NSA_11use_defaultESK_EENS0_5tupleIJNSA_16discard_iteratorISK_EESF_EEENSM_IJSG_SG_EEES6_PlJS6_EEE10hipError_tPvRmT3_T4_T5_T6_T7_T9_mT8_P12ihipStream_tbDpT10_ENKUlT_T0_E_clISt17integral_constantIbLb1EES1B_EEDaS16_S17_EUlS16_E_NS1_11comp_targetILNS1_3genE4ELNS1_11target_archE910ELNS1_3gpuE8ELNS1_3repE0EEENS1_30default_config_static_selectorELNS0_4arch9wavefront6targetE1EEEvT1_
; %bb.0:
	s_load_dwordx2 s[6:7], s[4:5], 0x20
	s_load_dwordx2 s[24:25], s[4:5], 0x40
	s_load_dwordx2 s[2:3], s[4:5], 0x68
	s_load_dwordx4 s[20:23], s[4:5], 0x58
	s_load_dwordx2 s[28:29], s[4:5], 0x78
	v_cmp_eq_u32_e64 s[0:1], 0, v0
	s_and_saveexec_b64 s[8:9], s[0:1]
	s_cbranch_execz .LBB3141_4
; %bb.1:
	s_mov_b64 s[12:13], exec
	v_mbcnt_lo_u32_b32 v1, s12, 0
	v_mbcnt_hi_u32_b32 v1, s13, v1
	v_cmp_eq_u32_e32 vcc, 0, v1
                                        ; implicit-def: $vgpr2
	s_and_saveexec_b64 s[10:11], vcc
	s_cbranch_execz .LBB3141_3
; %bb.2:
	s_load_dwordx2 s[14:15], s[4:5], 0x88
	s_bcnt1_i32_b64 s12, s[12:13]
	v_mov_b32_e32 v2, 0
	v_mov_b32_e32 v3, s12
	s_waitcnt lgkmcnt(0)
	global_atomic_add v2, v2, v3, s[14:15] glc
.LBB3141_3:
	s_or_b64 exec, exec, s[10:11]
	s_waitcnt vmcnt(0)
	v_readfirstlane_b32 s10, v2
	v_add_u32_e32 v1, s10, v1
	v_mov_b32_e32 v2, 0
	ds_write_b32 v2, v1
.LBB3141_4:
	s_or_b64 exec, exec, s[8:9]
	v_mov_b32_e32 v3, 0
	s_load_dwordx4 s[16:19], s[4:5], 0x8
	s_load_dword s8, s[4:5], 0x80
	s_waitcnt lgkmcnt(0)
	s_barrier
	ds_read_b32 v1, v3
	s_waitcnt lgkmcnt(0)
	s_barrier
	global_load_dwordx2 v[10:11], v3, s[22:23]
	v_mov_b32_e32 v5, s3
	s_lshl_b64 s[4:5], s[18:19], 1
	s_movk_i32 s3, 0x1400
	s_add_u32 s9, s16, s4
	v_mul_lo_u32 v2, v1, s3
	s_mul_i32 s3, s8, 0x1400
	s_addc_u32 s10, s17, s5
	s_add_i32 s11, s8, -1
	s_add_i32 s8, s3, s18
	s_sub_i32 s33, s2, s8
	s_addk_i32 s33, 0x1400
	v_mov_b32_e32 v4, s2
	s_add_u32 s2, s18, s3
	v_readfirstlane_b32 s38, v1
	s_addc_u32 s3, s19, 0
	s_cmp_eq_u32 s38, s11
	s_cselect_b64 s[22:23], -1, 0
	s_cmp_lg_u32 s38, s11
	v_cmp_lt_u64_e32 vcc, s[2:3], v[4:5]
	s_cselect_b64 s[2:3], -1, 0
	v_lshlrev_b64 v[12:13], 1, v[2:3]
	s_or_b64 s[26:27], vcc, s[2:3]
	v_mov_b32_e32 v2, s10
	v_add_co_u32_e32 v1, vcc, s9, v12
	v_addc_co_u32_e32 v2, vcc, v2, v13, vcc
	s_mov_b64 s[2:3], -1
	s_and_b64 vcc, exec, s[26:27]
	v_lshlrev_b32_e32 v30, 1, v0
	s_cbranch_vccz .LBB3141_6
; %bb.5:
	v_add_co_u32_e32 v4, vcc, v1, v30
	v_addc_co_u32_e32 v5, vcc, 0, v2, vcc
	v_add_co_u32_e32 v6, vcc, 0x1000, v4
	v_addc_co_u32_e32 v7, vcc, 0, v5, vcc
	flat_load_ushort v3, v[4:5]
	flat_load_ushort v8, v[4:5] offset:512
	flat_load_ushort v9, v[4:5] offset:1024
	;; [unrolled: 1-line block ×7, first 2 shown]
	v_add_co_u32_e32 v4, vcc, 0x2000, v4
	v_addc_co_u32_e32 v5, vcc, 0, v5, vcc
	flat_load_ushort v19, v[6:7]
	flat_load_ushort v20, v[6:7] offset:512
	flat_load_ushort v21, v[6:7] offset:1024
	;; [unrolled: 1-line block ×7, first 2 shown]
	s_nop 0
	flat_load_ushort v6, v[4:5]
	flat_load_ushort v7, v[4:5] offset:512
	flat_load_ushort v27, v[4:5] offset:1024
	;; [unrolled: 1-line block ×3, first 2 shown]
	s_mov_b64 s[2:3], 0
	s_waitcnt vmcnt(0) lgkmcnt(0)
	ds_write_b16 v30, v3
	ds_write_b16 v30, v8 offset:512
	ds_write_b16 v30, v9 offset:1024
	;; [unrolled: 1-line block ×19, first 2 shown]
	s_waitcnt lgkmcnt(0)
	s_barrier
.LBB3141_6:
	s_andn2_b64 vcc, exec, s[2:3]
	v_cmp_gt_u32_e64 s[2:3], s33, v0
	s_cbranch_vccnz .LBB3141_48
; %bb.7:
                                        ; implicit-def: $vgpr3
	s_and_saveexec_b64 s[8:9], s[2:3]
	s_cbranch_execz .LBB3141_9
; %bb.8:
	v_add_co_u32_e32 v4, vcc, v1, v30
	v_addc_co_u32_e32 v5, vcc, 0, v2, vcc
	flat_load_ushort v3, v[4:5]
.LBB3141_9:
	s_or_b64 exec, exec, s[8:9]
	v_or_b32_e32 v4, 0x100, v0
	v_cmp_gt_u32_e32 vcc, s33, v4
                                        ; implicit-def: $vgpr4
	s_and_saveexec_b64 s[2:3], vcc
	s_cbranch_execz .LBB3141_11
; %bb.10:
	v_add_co_u32_e32 v4, vcc, v1, v30
	v_addc_co_u32_e32 v5, vcc, 0, v2, vcc
	flat_load_ushort v4, v[4:5] offset:512
.LBB3141_11:
	s_or_b64 exec, exec, s[2:3]
	v_or_b32_e32 v5, 0x200, v0
	v_cmp_gt_u32_e32 vcc, s33, v5
                                        ; implicit-def: $vgpr5
	s_and_saveexec_b64 s[2:3], vcc
	s_cbranch_execz .LBB3141_13
; %bb.12:
	v_add_co_u32_e32 v6, vcc, v1, v30
	v_addc_co_u32_e32 v7, vcc, 0, v2, vcc
	flat_load_ushort v5, v[6:7] offset:1024
.LBB3141_13:
	s_or_b64 exec, exec, s[2:3]
	v_or_b32_e32 v6, 0x300, v0
	v_cmp_gt_u32_e32 vcc, s33, v6
                                        ; implicit-def: $vgpr6
	s_and_saveexec_b64 s[2:3], vcc
	s_cbranch_execz .LBB3141_15
; %bb.14:
	v_add_co_u32_e32 v6, vcc, v1, v30
	v_addc_co_u32_e32 v7, vcc, 0, v2, vcc
	flat_load_ushort v6, v[6:7] offset:1536
.LBB3141_15:
	s_or_b64 exec, exec, s[2:3]
	v_or_b32_e32 v7, 0x400, v0
	v_cmp_gt_u32_e32 vcc, s33, v7
                                        ; implicit-def: $vgpr7
	s_and_saveexec_b64 s[2:3], vcc
	s_cbranch_execz .LBB3141_17
; %bb.16:
	v_add_co_u32_e32 v8, vcc, v1, v30
	v_addc_co_u32_e32 v9, vcc, 0, v2, vcc
	flat_load_ushort v7, v[8:9] offset:2048
.LBB3141_17:
	s_or_b64 exec, exec, s[2:3]
	v_or_b32_e32 v8, 0x500, v0
	v_cmp_gt_u32_e32 vcc, s33, v8
                                        ; implicit-def: $vgpr8
	s_and_saveexec_b64 s[2:3], vcc
	s_cbranch_execz .LBB3141_19
; %bb.18:
	v_add_co_u32_e32 v8, vcc, v1, v30
	v_addc_co_u32_e32 v9, vcc, 0, v2, vcc
	flat_load_ushort v8, v[8:9] offset:2560
.LBB3141_19:
	s_or_b64 exec, exec, s[2:3]
	v_or_b32_e32 v9, 0x600, v0
	v_cmp_gt_u32_e32 vcc, s33, v9
                                        ; implicit-def: $vgpr9
	s_and_saveexec_b64 s[2:3], vcc
	s_cbranch_execz .LBB3141_21
; %bb.20:
	v_add_co_u32_e32 v14, vcc, v1, v30
	v_addc_co_u32_e32 v15, vcc, 0, v2, vcc
	flat_load_ushort v9, v[14:15] offset:3072
.LBB3141_21:
	s_or_b64 exec, exec, s[2:3]
	v_or_b32_e32 v14, 0x700, v0
	v_cmp_gt_u32_e32 vcc, s33, v14
                                        ; implicit-def: $vgpr14
	s_and_saveexec_b64 s[2:3], vcc
	s_cbranch_execz .LBB3141_23
; %bb.22:
	v_add_co_u32_e32 v14, vcc, v1, v30
	v_addc_co_u32_e32 v15, vcc, 0, v2, vcc
	flat_load_ushort v14, v[14:15] offset:3584
.LBB3141_23:
	s_or_b64 exec, exec, s[2:3]
	v_or_b32_e32 v16, 0x800, v0
	v_cmp_gt_u32_e32 vcc, s33, v16
                                        ; implicit-def: $vgpr15
	s_and_saveexec_b64 s[2:3], vcc
	s_cbranch_execz .LBB3141_25
; %bb.24:
	v_lshlrev_b32_e32 v15, 1, v16
	v_add_co_u32_e32 v16, vcc, v1, v15
	v_addc_co_u32_e32 v17, vcc, 0, v2, vcc
	flat_load_ushort v15, v[16:17]
.LBB3141_25:
	s_or_b64 exec, exec, s[2:3]
	v_or_b32_e32 v17, 0x900, v0
	v_cmp_gt_u32_e32 vcc, s33, v17
                                        ; implicit-def: $vgpr16
	s_and_saveexec_b64 s[2:3], vcc
	s_cbranch_execz .LBB3141_27
; %bb.26:
	v_lshlrev_b32_e32 v16, 1, v17
	v_add_co_u32_e32 v16, vcc, v1, v16
	v_addc_co_u32_e32 v17, vcc, 0, v2, vcc
	flat_load_ushort v16, v[16:17]
.LBB3141_27:
	s_or_b64 exec, exec, s[2:3]
	v_or_b32_e32 v18, 0xa00, v0
	v_cmp_gt_u32_e32 vcc, s33, v18
                                        ; implicit-def: $vgpr17
	s_and_saveexec_b64 s[2:3], vcc
	s_cbranch_execz .LBB3141_29
; %bb.28:
	v_lshlrev_b32_e32 v17, 1, v18
	v_add_co_u32_e32 v18, vcc, v1, v17
	v_addc_co_u32_e32 v19, vcc, 0, v2, vcc
	flat_load_ushort v17, v[18:19]
.LBB3141_29:
	s_or_b64 exec, exec, s[2:3]
	v_or_b32_e32 v19, 0xb00, v0
	v_cmp_gt_u32_e32 vcc, s33, v19
                                        ; implicit-def: $vgpr18
	s_and_saveexec_b64 s[2:3], vcc
	s_cbranch_execz .LBB3141_31
; %bb.30:
	v_lshlrev_b32_e32 v18, 1, v19
	v_add_co_u32_e32 v18, vcc, v1, v18
	v_addc_co_u32_e32 v19, vcc, 0, v2, vcc
	flat_load_ushort v18, v[18:19]
.LBB3141_31:
	s_or_b64 exec, exec, s[2:3]
	v_or_b32_e32 v20, 0xc00, v0
	v_cmp_gt_u32_e32 vcc, s33, v20
                                        ; implicit-def: $vgpr19
	s_and_saveexec_b64 s[2:3], vcc
	s_cbranch_execz .LBB3141_33
; %bb.32:
	v_lshlrev_b32_e32 v19, 1, v20
	v_add_co_u32_e32 v20, vcc, v1, v19
	v_addc_co_u32_e32 v21, vcc, 0, v2, vcc
	flat_load_ushort v19, v[20:21]
.LBB3141_33:
	s_or_b64 exec, exec, s[2:3]
	v_or_b32_e32 v21, 0xd00, v0
	v_cmp_gt_u32_e32 vcc, s33, v21
                                        ; implicit-def: $vgpr20
	s_and_saveexec_b64 s[2:3], vcc
	s_cbranch_execz .LBB3141_35
; %bb.34:
	v_lshlrev_b32_e32 v20, 1, v21
	v_add_co_u32_e32 v20, vcc, v1, v20
	v_addc_co_u32_e32 v21, vcc, 0, v2, vcc
	flat_load_ushort v20, v[20:21]
.LBB3141_35:
	s_or_b64 exec, exec, s[2:3]
	v_or_b32_e32 v22, 0xe00, v0
	v_cmp_gt_u32_e32 vcc, s33, v22
                                        ; implicit-def: $vgpr21
	s_and_saveexec_b64 s[2:3], vcc
	s_cbranch_execz .LBB3141_37
; %bb.36:
	v_lshlrev_b32_e32 v21, 1, v22
	v_add_co_u32_e32 v22, vcc, v1, v21
	v_addc_co_u32_e32 v23, vcc, 0, v2, vcc
	flat_load_ushort v21, v[22:23]
.LBB3141_37:
	s_or_b64 exec, exec, s[2:3]
	v_or_b32_e32 v23, 0xf00, v0
	v_cmp_gt_u32_e32 vcc, s33, v23
                                        ; implicit-def: $vgpr22
	s_and_saveexec_b64 s[2:3], vcc
	s_cbranch_execz .LBB3141_39
; %bb.38:
	v_lshlrev_b32_e32 v22, 1, v23
	v_add_co_u32_e32 v22, vcc, v1, v22
	v_addc_co_u32_e32 v23, vcc, 0, v2, vcc
	flat_load_ushort v22, v[22:23]
.LBB3141_39:
	s_or_b64 exec, exec, s[2:3]
	v_or_b32_e32 v24, 0x1000, v0
	v_cmp_gt_u32_e32 vcc, s33, v24
                                        ; implicit-def: $vgpr23
	s_and_saveexec_b64 s[2:3], vcc
	s_cbranch_execz .LBB3141_41
; %bb.40:
	v_lshlrev_b32_e32 v23, 1, v24
	v_add_co_u32_e32 v24, vcc, v1, v23
	v_addc_co_u32_e32 v25, vcc, 0, v2, vcc
	flat_load_ushort v23, v[24:25]
.LBB3141_41:
	s_or_b64 exec, exec, s[2:3]
	v_or_b32_e32 v25, 0x1100, v0
	v_cmp_gt_u32_e32 vcc, s33, v25
                                        ; implicit-def: $vgpr24
	s_and_saveexec_b64 s[2:3], vcc
	s_cbranch_execz .LBB3141_43
; %bb.42:
	v_lshlrev_b32_e32 v24, 1, v25
	v_add_co_u32_e32 v24, vcc, v1, v24
	v_addc_co_u32_e32 v25, vcc, 0, v2, vcc
	flat_load_ushort v24, v[24:25]
.LBB3141_43:
	s_or_b64 exec, exec, s[2:3]
	v_or_b32_e32 v26, 0x1200, v0
	v_cmp_gt_u32_e32 vcc, s33, v26
                                        ; implicit-def: $vgpr25
	s_and_saveexec_b64 s[2:3], vcc
	s_cbranch_execz .LBB3141_45
; %bb.44:
	v_lshlrev_b32_e32 v25, 1, v26
	v_add_co_u32_e32 v26, vcc, v1, v25
	v_addc_co_u32_e32 v27, vcc, 0, v2, vcc
	flat_load_ushort v25, v[26:27]
.LBB3141_45:
	s_or_b64 exec, exec, s[2:3]
	v_or_b32_e32 v27, 0x1300, v0
	v_cmp_gt_u32_e32 vcc, s33, v27
                                        ; implicit-def: $vgpr26
	s_and_saveexec_b64 s[2:3], vcc
	s_cbranch_execz .LBB3141_47
; %bb.46:
	v_lshlrev_b32_e32 v26, 1, v27
	v_add_co_u32_e32 v26, vcc, v1, v26
	v_addc_co_u32_e32 v27, vcc, 0, v2, vcc
	flat_load_ushort v26, v[26:27]
.LBB3141_47:
	s_or_b64 exec, exec, s[2:3]
	s_waitcnt vmcnt(0) lgkmcnt(0)
	ds_write_b16 v30, v3
	ds_write_b16 v30, v4 offset:512
	ds_write_b16 v30, v5 offset:1024
	;; [unrolled: 1-line block ×19, first 2 shown]
	s_waitcnt lgkmcnt(0)
	s_barrier
.LBB3141_48:
	v_mul_u32_u24_e32 v31, 20, v0
	v_lshlrev_b32_e32 v1, 1, v31
	ds_read_b64 v[14:15], v1 offset:32
	ds_read2_b64 v[2:5], v1 offset0:2 offset1:3
	ds_read2_b64 v[6:9], v1 offset1:1
	s_add_u32 s2, s6, s4
	s_addc_u32 s3, s7, s5
	v_mov_b32_e32 v1, s3
	v_add_co_u32_e32 v16, vcc, s2, v12
	v_addc_co_u32_e32 v1, vcc, v1, v13, vcc
	s_mov_b64 s[2:3], -1
	s_and_b64 vcc, exec, s[26:27]
	s_waitcnt lgkmcnt(0)
	s_barrier
	s_cbranch_vccz .LBB3141_50
; %bb.49:
	v_add_co_u32_e32 v17, vcc, v16, v30
	v_readfirstlane_b32 s2, v16
	v_readfirstlane_b32 s3, v1
	v_addc_co_u32_e32 v21, vcc, 0, v1, vcc
	s_nop 3
	global_load_ubyte v22, v30, s[2:3]
	global_load_ubyte v23, v30, s[2:3] offset:512
	global_load_ubyte v24, v30, s[2:3] offset:1024
	;; [unrolled: 1-line block ×7, first 2 shown]
	s_movk_i32 s2, 0x1000
	v_add_co_u32_e32 v18, vcc, s2, v17
	v_addc_co_u32_e32 v19, vcc, 0, v21, vcc
	s_movk_i32 s2, 0x2000
	v_add_co_u32_e32 v20, vcc, s2, v17
	v_addc_co_u32_e32 v21, vcc, 0, v21, vcc
	global_load_ubyte v17, v[20:21], off offset:-4096
	global_load_ubyte v32, v[18:19], off offset:512
	global_load_ubyte v33, v[18:19], off offset:1024
	global_load_ubyte v34, v[18:19], off offset:1536
	global_load_ubyte v35, v[18:19], off offset:2048
	global_load_ubyte v36, v[18:19], off offset:2560
	global_load_ubyte v37, v[18:19], off offset:3072
	global_load_ubyte v38, v[18:19], off offset:3584
	global_load_ubyte v39, v[20:21], off
	global_load_ubyte v40, v[20:21], off offset:512
	global_load_ubyte v41, v[20:21], off offset:1024
	;; [unrolled: 1-line block ×3, first 2 shown]
	s_mov_b64 s[2:3], 0
	s_waitcnt vmcnt(19)
	v_xor_b32_e32 v18, -1, v22
	s_waitcnt vmcnt(18)
	v_xor_b32_e32 v19, -1, v23
	;; [unrolled: 2-line block ×8, first 2 shown]
	v_and_b32_e32 v18, 1, v18
	s_waitcnt vmcnt(11)
	v_xor_b32_e32 v17, -1, v17
	s_waitcnt vmcnt(10)
	v_xor_b32_e32 v26, -1, v32
	;; [unrolled: 2-line block ×12, first 2 shown]
	v_and_b32_e32 v19, 1, v19
	v_and_b32_e32 v20, 1, v20
	;; [unrolled: 1-line block ×19, first 2 shown]
	ds_write_b8 v0, v18
	ds_write_b8 v0, v19 offset:256
	ds_write_b8 v0, v20 offset:512
	ds_write_b8 v0, v21 offset:768
	ds_write_b8 v0, v22 offset:1024
	ds_write_b8 v0, v23 offset:1280
	ds_write_b8 v0, v24 offset:1536
	ds_write_b8 v0, v25 offset:1792
	ds_write_b8 v0, v17 offset:2048
	ds_write_b8 v0, v26 offset:2304
	ds_write_b8 v0, v27 offset:2560
	ds_write_b8 v0, v28 offset:2816
	ds_write_b8 v0, v29 offset:3072
	ds_write_b8 v0, v32 offset:3328
	ds_write_b8 v0, v33 offset:3584
	ds_write_b8 v0, v34 offset:3840
	ds_write_b8 v0, v35 offset:4096
	ds_write_b8 v0, v36 offset:4352
	ds_write_b8 v0, v37 offset:4608
	ds_write_b8 v0, v38 offset:4864
	s_waitcnt lgkmcnt(0)
	s_barrier
.LBB3141_50:
	s_andn2_b64 vcc, exec, s[2:3]
	s_cbranch_vccnz .LBB3141_92
; %bb.51:
	v_cmp_gt_u32_e32 vcc, s33, v0
	v_mov_b32_e32 v17, 0
	v_mov_b32_e32 v18, 0
	s_and_saveexec_b64 s[2:3], vcc
	s_cbranch_execz .LBB3141_53
; %bb.52:
	v_readfirstlane_b32 s4, v16
	v_readfirstlane_b32 s5, v1
	s_nop 4
	global_load_ubyte v18, v30, s[4:5]
	s_waitcnt vmcnt(0)
	v_xor_b32_e32 v18, -1, v18
	v_and_b32_e32 v18, 1, v18
.LBB3141_53:
	s_or_b64 exec, exec, s[2:3]
	v_or_b32_e32 v19, 0x100, v0
	v_cmp_gt_u32_e32 vcc, s33, v19
	s_and_saveexec_b64 s[2:3], vcc
	s_cbranch_execz .LBB3141_55
; %bb.54:
	v_readfirstlane_b32 s4, v16
	v_readfirstlane_b32 s5, v1
	s_nop 4
	global_load_ubyte v17, v30, s[4:5] offset:512
	s_waitcnt vmcnt(0)
	v_xor_b32_e32 v17, -1, v17
	v_and_b32_e32 v17, 1, v17
.LBB3141_55:
	s_or_b64 exec, exec, s[2:3]
	v_or_b32_e32 v19, 0x200, v0
	v_cmp_gt_u32_e32 vcc, s33, v19
	v_mov_b32_e32 v19, 0
	v_mov_b32_e32 v20, 0
	s_and_saveexec_b64 s[2:3], vcc
	s_cbranch_execz .LBB3141_57
; %bb.56:
	v_readfirstlane_b32 s4, v16
	v_readfirstlane_b32 s5, v1
	s_nop 4
	global_load_ubyte v20, v30, s[4:5] offset:1024
	s_waitcnt vmcnt(0)
	v_xor_b32_e32 v20, -1, v20
	v_and_b32_e32 v20, 1, v20
.LBB3141_57:
	s_or_b64 exec, exec, s[2:3]
	v_or_b32_e32 v21, 0x300, v0
	v_cmp_gt_u32_e32 vcc, s33, v21
	s_and_saveexec_b64 s[2:3], vcc
	s_cbranch_execz .LBB3141_59
; %bb.58:
	v_readfirstlane_b32 s4, v16
	v_readfirstlane_b32 s5, v1
	s_nop 4
	global_load_ubyte v19, v30, s[4:5] offset:1536
	s_waitcnt vmcnt(0)
	v_xor_b32_e32 v19, -1, v19
	v_and_b32_e32 v19, 1, v19
.LBB3141_59:
	s_or_b64 exec, exec, s[2:3]
	v_or_b32_e32 v21, 0x400, v0
	v_cmp_gt_u32_e32 vcc, s33, v21
	v_mov_b32_e32 v21, 0
	v_mov_b32_e32 v22, 0
	s_and_saveexec_b64 s[2:3], vcc
	s_cbranch_execz .LBB3141_61
; %bb.60:
	v_readfirstlane_b32 s4, v16
	v_readfirstlane_b32 s5, v1
	s_nop 4
	global_load_ubyte v22, v30, s[4:5] offset:2048
	s_waitcnt vmcnt(0)
	v_xor_b32_e32 v22, -1, v22
	v_and_b32_e32 v22, 1, v22
.LBB3141_61:
	;; [unrolled: 30-line block ×3, first 2 shown]
	s_or_b64 exec, exec, s[2:3]
	v_or_b32_e32 v25, 0x700, v0
	v_cmp_gt_u32_e32 vcc, s33, v25
	s_and_saveexec_b64 s[2:3], vcc
	s_cbranch_execz .LBB3141_67
; %bb.66:
	v_readfirstlane_b32 s4, v16
	v_readfirstlane_b32 s5, v1
	s_nop 4
	global_load_ubyte v23, v30, s[4:5] offset:3584
	s_waitcnt vmcnt(0)
	v_xor_b32_e32 v23, -1, v23
	v_and_b32_e32 v23, 1, v23
.LBB3141_67:
	s_or_b64 exec, exec, s[2:3]
	v_or_b32_e32 v27, 0x800, v0
	v_cmp_gt_u32_e32 vcc, s33, v27
	v_mov_b32_e32 v25, 0
	v_mov_b32_e32 v26, 0
	s_and_saveexec_b64 s[2:3], vcc
	s_cbranch_execz .LBB3141_69
; %bb.68:
	v_lshlrev_b32_e32 v26, 1, v27
	v_readfirstlane_b32 s4, v16
	v_readfirstlane_b32 s5, v1
	s_nop 4
	global_load_ubyte v26, v26, s[4:5]
	s_waitcnt vmcnt(0)
	v_xor_b32_e32 v26, -1, v26
	v_and_b32_e32 v26, 1, v26
.LBB3141_69:
	s_or_b64 exec, exec, s[2:3]
	v_or_b32_e32 v27, 0x900, v0
	v_cmp_gt_u32_e32 vcc, s33, v27
	s_and_saveexec_b64 s[2:3], vcc
	s_cbranch_execz .LBB3141_71
; %bb.70:
	v_lshlrev_b32_e32 v25, 1, v27
	v_readfirstlane_b32 s4, v16
	v_readfirstlane_b32 s5, v1
	s_nop 4
	global_load_ubyte v25, v25, s[4:5]
	s_waitcnt vmcnt(0)
	v_xor_b32_e32 v25, -1, v25
	v_and_b32_e32 v25, 1, v25
.LBB3141_71:
	s_or_b64 exec, exec, s[2:3]
	v_or_b32_e32 v29, 0xa00, v0
	v_cmp_gt_u32_e32 vcc, s33, v29
	v_mov_b32_e32 v27, 0
	v_mov_b32_e32 v28, 0
	s_and_saveexec_b64 s[2:3], vcc
	s_cbranch_execz .LBB3141_73
; %bb.72:
	v_lshlrev_b32_e32 v28, 1, v29
	v_readfirstlane_b32 s4, v16
	v_readfirstlane_b32 s5, v1
	s_nop 4
	global_load_ubyte v28, v28, s[4:5]
	s_waitcnt vmcnt(0)
	v_xor_b32_e32 v28, -1, v28
	v_and_b32_e32 v28, 1, v28
.LBB3141_73:
	s_or_b64 exec, exec, s[2:3]
	v_or_b32_e32 v29, 0xb00, v0
	v_cmp_gt_u32_e32 vcc, s33, v29
	s_and_saveexec_b64 s[2:3], vcc
	s_cbranch_execz .LBB3141_75
; %bb.74:
	v_lshlrev_b32_e32 v27, 1, v29
	v_readfirstlane_b32 s4, v16
	v_readfirstlane_b32 s5, v1
	s_nop 4
	global_load_ubyte v27, v27, s[4:5]
	s_waitcnt vmcnt(0)
	v_xor_b32_e32 v27, -1, v27
	v_and_b32_e32 v27, 1, v27
.LBB3141_75:
	;; [unrolled: 32-line block ×6, first 2 shown]
	s_or_b64 exec, exec, s[2:3]
	ds_write_b8 v0, v18
	ds_write_b8 v0, v17 offset:256
	ds_write_b8 v0, v20 offset:512
	;; [unrolled: 1-line block ×19, first 2 shown]
	s_waitcnt lgkmcnt(0)
	s_barrier
.LBB3141_92:
	ds_read2_b32 v[20:21], v31 offset1:1
	ds_read2_b32 v[18:19], v31 offset0:2 offset1:3
	ds_read_b32 v32, v31 offset:16
	s_cmp_lg_u32 s38, 0
	v_lshrrev_b32_e32 v51, 6, v0
	s_waitcnt lgkmcnt(2)
	v_lshrrev_b32_e32 v37, 24, v20
	v_bfe_u32 v49, v20, 16, 8
	v_add_u32_sdwa v16, v20, v20 dst_sel:DWORD dst_unused:UNUSED_PAD src0_sel:BYTE_1 src1_sel:BYTE_0
	v_and_b32_e32 v46, 0xff, v21
	v_bfe_u32 v47, v21, 8, 8
	v_add3_u32 v16, v16, v49, v37
	v_lshrrev_b32_e32 v36, 24, v21
	v_bfe_u32 v48, v21, 16, 8
	v_add3_u32 v16, v16, v46, v47
	s_waitcnt lgkmcnt(1)
	v_and_b32_e32 v43, 0xff, v18
	v_bfe_u32 v44, v18, 8, 8
	v_add3_u32 v16, v16, v48, v36
	v_lshrrev_b32_e32 v35, 24, v18
	v_bfe_u32 v45, v18, 16, 8
	v_add3_u32 v16, v16, v43, v44
	v_and_b32_e32 v40, 0xff, v19
	v_bfe_u32 v41, v19, 8, 8
	v_add3_u32 v16, v16, v45, v35
	v_lshrrev_b32_e32 v34, 24, v19
	v_bfe_u32 v42, v19, 16, 8
	v_add3_u32 v16, v16, v40, v41
	s_waitcnt lgkmcnt(0)
	v_and_b32_e32 v38, 0xff, v32
	v_bfe_u32 v39, v32, 8, 8
	v_add3_u32 v16, v16, v42, v34
	v_lshrrev_b32_e32 v1, 24, v32
	v_bfe_u32 v33, v32, 16, 8
	v_add3_u32 v16, v16, v38, v39
	v_add3_u32 v52, v16, v33, v1
	v_mbcnt_lo_u32_b32 v16, -1, 0
	v_mbcnt_hi_u32_b32 v50, -1, v16
	v_and_b32_e32 v16, 15, v50
	v_cmp_eq_u32_e64 s[14:15], 0, v16
	v_cmp_lt_u32_e64 s[12:13], 1, v16
	v_cmp_lt_u32_e64 s[10:11], 3, v16
	;; [unrolled: 1-line block ×3, first 2 shown]
	v_and_b32_e32 v16, 16, v50
	v_cmp_eq_u32_e64 s[6:7], 0, v16
	v_or_b32_e32 v16, 63, v0
	v_cmp_lt_u32_e64 s[2:3], 31, v50
	v_cmp_eq_u32_e64 s[4:5], v16, v0
	s_barrier
	s_cbranch_scc0 .LBB3141_123
; %bb.93:
	v_mov_b32_dpp v16, v52 row_shr:1 row_mask:0xf bank_mask:0xf
	v_cndmask_b32_e64 v16, v16, 0, s[14:15]
	v_add_u32_e32 v16, v16, v52
	s_nop 1
	v_mov_b32_dpp v17, v16 row_shr:2 row_mask:0xf bank_mask:0xf
	v_cndmask_b32_e64 v17, 0, v17, s[12:13]
	v_add_u32_e32 v16, v16, v17
	s_nop 1
	;; [unrolled: 4-line block ×4, first 2 shown]
	v_mov_b32_dpp v17, v16 row_bcast:15 row_mask:0xf bank_mask:0xf
	v_cndmask_b32_e64 v17, v17, 0, s[6:7]
	v_add_u32_e32 v16, v16, v17
	s_nop 1
	v_mov_b32_dpp v17, v16 row_bcast:31 row_mask:0xf bank_mask:0xf
	v_cndmask_b32_e64 v17, 0, v17, s[2:3]
	v_add_u32_e32 v16, v16, v17
	s_and_saveexec_b64 s[16:17], s[4:5]
	s_cbranch_execz .LBB3141_95
; %bb.94:
	v_lshlrev_b32_e32 v17, 2, v51
	ds_write_b32 v17, v16
.LBB3141_95:
	s_or_b64 exec, exec, s[16:17]
	v_cmp_gt_u32_e32 vcc, 4, v0
	s_waitcnt lgkmcnt(0)
	s_barrier
	s_and_saveexec_b64 s[16:17], vcc
	s_cbranch_execz .LBB3141_97
; %bb.96:
	v_lshlrev_b32_e32 v17, 2, v0
	ds_read_b32 v22, v17
	v_and_b32_e32 v23, 3, v50
	v_cmp_ne_u32_e32 vcc, 0, v23
	s_waitcnt lgkmcnt(0)
	v_mov_b32_dpp v24, v22 row_shr:1 row_mask:0xf bank_mask:0xf
	v_cndmask_b32_e32 v24, 0, v24, vcc
	v_add_u32_e32 v22, v24, v22
	v_cmp_lt_u32_e32 vcc, 1, v23
	s_nop 0
	v_mov_b32_dpp v24, v22 row_shr:2 row_mask:0xf bank_mask:0xf
	v_cndmask_b32_e32 v23, 0, v24, vcc
	v_add_u32_e32 v22, v22, v23
	ds_write_b32 v17, v22
.LBB3141_97:
	s_or_b64 exec, exec, s[16:17]
	v_cmp_gt_u32_e32 vcc, 64, v0
	v_cmp_lt_u32_e64 s[16:17], 63, v0
	s_waitcnt lgkmcnt(0)
	s_barrier
	s_waitcnt lgkmcnt(0)
                                        ; implicit-def: $vgpr53
	s_and_saveexec_b64 s[30:31], s[16:17]
	s_cbranch_execz .LBB3141_99
; %bb.98:
	v_lshl_add_u32 v17, v51, 2, -4
	ds_read_b32 v53, v17
	s_waitcnt lgkmcnt(0)
	v_add_u32_e32 v16, v53, v16
.LBB3141_99:
	s_or_b64 exec, exec, s[30:31]
	v_add_u32_e32 v17, -1, v50
	v_and_b32_e32 v22, 64, v50
	v_cmp_lt_i32_e64 s[16:17], v17, v22
	v_cndmask_b32_e64 v17, v17, v50, s[16:17]
	v_lshlrev_b32_e32 v17, 2, v17
	ds_bpermute_b32 v54, v17, v16
	v_cmp_eq_u32_e64 s[16:17], 0, v50
	s_and_saveexec_b64 s[30:31], vcc
	s_cbranch_execz .LBB3141_122
; %bb.100:
	v_mov_b32_e32 v29, 0
	ds_read_b32 v16, v29 offset:12
	s_and_saveexec_b64 s[34:35], s[16:17]
	s_cbranch_execz .LBB3141_102
; %bb.101:
	s_add_i32 s36, s38, 64
	s_mov_b32 s37, 0
	s_lshl_b64 s[36:37], s[36:37], 3
	s_add_u32 s36, s28, s36
	v_mov_b32_e32 v17, 1
	s_addc_u32 s37, s29, s37
	s_waitcnt lgkmcnt(0)
	global_store_dwordx2 v29, v[16:17], s[36:37]
.LBB3141_102:
	s_or_b64 exec, exec, s[34:35]
	v_xad_u32 v22, v50, -1, s38
	v_add_u32_e32 v28, 64, v22
	v_lshlrev_b64 v[24:25], 3, v[28:29]
	v_mov_b32_e32 v17, s29
	v_add_co_u32_e32 v24, vcc, s28, v24
	v_addc_co_u32_e32 v25, vcc, v17, v25, vcc
	global_load_dwordx2 v[26:27], v[24:25], off glc
	s_waitcnt vmcnt(0)
	v_cmp_eq_u16_sdwa s[36:37], v27, v29 src0_sel:BYTE_0 src1_sel:DWORD
	s_and_saveexec_b64 s[34:35], s[36:37]
	s_cbranch_execz .LBB3141_108
; %bb.103:
	s_mov_b32 s39, 1
	s_mov_b64 s[36:37], 0
	v_mov_b32_e32 v17, 0
.LBB3141_104:                           ; =>This Loop Header: Depth=1
                                        ;     Child Loop BB3141_105 Depth 2
	s_max_u32 s40, s39, 1
.LBB3141_105:                           ;   Parent Loop BB3141_104 Depth=1
                                        ; =>  This Inner Loop Header: Depth=2
	s_add_i32 s40, s40, -1
	s_cmp_eq_u32 s40, 0
	s_sleep 1
	s_cbranch_scc0 .LBB3141_105
; %bb.106:                              ;   in Loop: Header=BB3141_104 Depth=1
	global_load_dwordx2 v[26:27], v[24:25], off glc
	s_cmp_lt_u32 s39, 32
	s_cselect_b64 s[40:41], -1, 0
	s_cmp_lg_u64 s[40:41], 0
	s_addc_u32 s39, s39, 0
	s_waitcnt vmcnt(0)
	v_cmp_ne_u16_sdwa s[40:41], v27, v17 src0_sel:BYTE_0 src1_sel:DWORD
	s_or_b64 s[36:37], s[40:41], s[36:37]
	s_andn2_b64 exec, exec, s[36:37]
	s_cbranch_execnz .LBB3141_104
; %bb.107:
	s_or_b64 exec, exec, s[36:37]
.LBB3141_108:
	s_or_b64 exec, exec, s[34:35]
	v_and_b32_e32 v56, 63, v50
	v_mov_b32_e32 v55, 2
	v_cmp_ne_u32_e32 vcc, 63, v56
	v_cmp_eq_u16_sdwa s[34:35], v27, v55 src0_sel:BYTE_0 src1_sel:DWORD
	v_lshlrev_b64 v[24:25], v50, -1
	v_addc_co_u32_e32 v28, vcc, 0, v50, vcc
	v_and_b32_e32 v17, s35, v25
	v_lshlrev_b32_e32 v57, 2, v28
	v_or_b32_e32 v17, 0x80000000, v17
	ds_bpermute_b32 v28, v57, v26
	v_and_b32_e32 v23, s34, v24
	v_ffbl_b32_e32 v17, v17
	v_add_u32_e32 v17, 32, v17
	v_ffbl_b32_e32 v23, v23
	v_min_u32_e32 v17, v23, v17
	v_cmp_lt_u32_e32 vcc, v56, v17
	s_waitcnt lgkmcnt(0)
	v_cndmask_b32_e32 v23, 0, v28, vcc
	v_cmp_gt_u32_e32 vcc, 62, v56
	v_add_u32_e32 v23, v23, v26
	v_cndmask_b32_e64 v26, 0, 1, vcc
	v_lshlrev_b32_e32 v26, 1, v26
	v_add_lshl_u32 v58, v26, v50, 2
	ds_bpermute_b32 v26, v58, v23
	v_add_u32_e32 v59, 2, v56
	v_cmp_le_u32_e32 vcc, v59, v17
	v_add_u32_e32 v61, 4, v56
	v_add_u32_e32 v63, 8, v56
	s_waitcnt lgkmcnt(0)
	v_cndmask_b32_e32 v26, 0, v26, vcc
	v_cmp_gt_u32_e32 vcc, 60, v56
	v_add_u32_e32 v23, v23, v26
	v_cndmask_b32_e64 v26, 0, 1, vcc
	v_lshlrev_b32_e32 v26, 2, v26
	v_add_lshl_u32 v60, v26, v50, 2
	ds_bpermute_b32 v26, v60, v23
	v_cmp_le_u32_e32 vcc, v61, v17
	v_add_u32_e32 v65, 16, v56
	v_add_u32_e32 v67, 32, v56
	s_waitcnt lgkmcnt(0)
	v_cndmask_b32_e32 v26, 0, v26, vcc
	v_cmp_gt_u32_e32 vcc, 56, v56
	v_add_u32_e32 v23, v23, v26
	v_cndmask_b32_e64 v26, 0, 1, vcc
	v_lshlrev_b32_e32 v26, 3, v26
	v_add_lshl_u32 v62, v26, v50, 2
	ds_bpermute_b32 v26, v62, v23
	v_cmp_le_u32_e32 vcc, v63, v17
	s_waitcnt lgkmcnt(0)
	v_cndmask_b32_e32 v26, 0, v26, vcc
	v_cmp_gt_u32_e32 vcc, 48, v56
	v_add_u32_e32 v23, v23, v26
	v_cndmask_b32_e64 v26, 0, 1, vcc
	v_lshlrev_b32_e32 v26, 4, v26
	v_add_lshl_u32 v64, v26, v50, 2
	ds_bpermute_b32 v26, v64, v23
	v_cmp_le_u32_e32 vcc, v65, v17
	;; [unrolled: 9-line block ×3, first 2 shown]
	s_waitcnt lgkmcnt(0)
	v_cndmask_b32_e32 v17, 0, v26, vcc
	v_add_u32_e32 v26, v23, v17
	v_mov_b32_e32 v23, 0
	s_branch .LBB3141_110
.LBB3141_109:                           ;   in Loop: Header=BB3141_110 Depth=1
	s_or_b64 exec, exec, s[34:35]
	v_cmp_eq_u16_sdwa s[34:35], v27, v55 src0_sel:BYTE_0 src1_sel:DWORD
	v_and_b32_e32 v28, s35, v25
	v_or_b32_e32 v28, 0x80000000, v28
	ds_bpermute_b32 v68, v57, v26
	v_and_b32_e32 v29, s34, v24
	v_ffbl_b32_e32 v28, v28
	v_add_u32_e32 v28, 32, v28
	v_ffbl_b32_e32 v29, v29
	v_min_u32_e32 v28, v29, v28
	v_cmp_lt_u32_e32 vcc, v56, v28
	s_waitcnt lgkmcnt(0)
	v_cndmask_b32_e32 v29, 0, v68, vcc
	v_add_u32_e32 v26, v29, v26
	ds_bpermute_b32 v29, v58, v26
	v_cmp_le_u32_e32 vcc, v59, v28
	v_subrev_u32_e32 v22, 64, v22
	s_waitcnt lgkmcnt(0)
	v_cndmask_b32_e32 v29, 0, v29, vcc
	v_add_u32_e32 v26, v26, v29
	ds_bpermute_b32 v29, v60, v26
	v_cmp_le_u32_e32 vcc, v61, v28
	s_waitcnt lgkmcnt(0)
	v_cndmask_b32_e32 v29, 0, v29, vcc
	v_add_u32_e32 v26, v26, v29
	ds_bpermute_b32 v29, v62, v26
	v_cmp_le_u32_e32 vcc, v63, v28
	;; [unrolled: 5-line block ×4, first 2 shown]
	s_waitcnt lgkmcnt(0)
	v_cndmask_b32_e32 v28, 0, v29, vcc
	v_add3_u32 v26, v28, v17, v26
.LBB3141_110:                           ; =>This Loop Header: Depth=1
                                        ;     Child Loop BB3141_113 Depth 2
                                        ;       Child Loop BB3141_114 Depth 3
	v_cmp_ne_u16_sdwa s[34:35], v27, v55 src0_sel:BYTE_0 src1_sel:DWORD
	v_cndmask_b32_e64 v17, 0, 1, s[34:35]
	;;#ASMSTART
	;;#ASMEND
	v_cmp_ne_u32_e32 vcc, 0, v17
	s_cmp_lg_u64 vcc, exec
	v_mov_b32_e32 v17, v26
	s_cbranch_scc1 .LBB3141_117
; %bb.111:                              ;   in Loop: Header=BB3141_110 Depth=1
	v_lshlrev_b64 v[26:27], 3, v[22:23]
	v_mov_b32_e32 v29, s29
	v_add_co_u32_e32 v28, vcc, s28, v26
	v_addc_co_u32_e32 v29, vcc, v29, v27, vcc
	global_load_dwordx2 v[26:27], v[28:29], off glc
	s_waitcnt vmcnt(0)
	v_cmp_eq_u16_sdwa s[36:37], v27, v23 src0_sel:BYTE_0 src1_sel:DWORD
	s_and_saveexec_b64 s[34:35], s[36:37]
	s_cbranch_execz .LBB3141_109
; %bb.112:                              ;   in Loop: Header=BB3141_110 Depth=1
	s_mov_b32 s39, 1
	s_mov_b64 s[36:37], 0
.LBB3141_113:                           ;   Parent Loop BB3141_110 Depth=1
                                        ; =>  This Loop Header: Depth=2
                                        ;       Child Loop BB3141_114 Depth 3
	s_max_u32 s40, s39, 1
.LBB3141_114:                           ;   Parent Loop BB3141_110 Depth=1
                                        ;     Parent Loop BB3141_113 Depth=2
                                        ; =>    This Inner Loop Header: Depth=3
	s_add_i32 s40, s40, -1
	s_cmp_eq_u32 s40, 0
	s_sleep 1
	s_cbranch_scc0 .LBB3141_114
; %bb.115:                              ;   in Loop: Header=BB3141_113 Depth=2
	global_load_dwordx2 v[26:27], v[28:29], off glc
	s_cmp_lt_u32 s39, 32
	s_cselect_b64 s[40:41], -1, 0
	s_cmp_lg_u64 s[40:41], 0
	s_addc_u32 s39, s39, 0
	s_waitcnt vmcnt(0)
	v_cmp_ne_u16_sdwa s[40:41], v27, v23 src0_sel:BYTE_0 src1_sel:DWORD
	s_or_b64 s[36:37], s[40:41], s[36:37]
	s_andn2_b64 exec, exec, s[36:37]
	s_cbranch_execnz .LBB3141_113
; %bb.116:                              ;   in Loop: Header=BB3141_110 Depth=1
	s_or_b64 exec, exec, s[36:37]
	s_branch .LBB3141_109
.LBB3141_117:                           ;   in Loop: Header=BB3141_110 Depth=1
                                        ; implicit-def: $vgpr26
                                        ; implicit-def: $vgpr27
	s_cbranch_execz .LBB3141_110
; %bb.118:
	s_and_saveexec_b64 s[34:35], s[16:17]
	s_cbranch_execz .LBB3141_120
; %bb.119:
	s_add_i32 s36, s38, 64
	s_mov_b32 s37, 0
	s_lshl_b64 s[36:37], s[36:37], 3
	s_add_u32 s36, s28, s36
	v_add_u32_e32 v22, v17, v16
	v_mov_b32_e32 v23, 2
	s_addc_u32 s37, s29, s37
	v_mov_b32_e32 v24, 0
	global_store_dwordx2 v24, v[22:23], s[36:37]
	ds_write_b64 v24, v[16:17] offset:10240
.LBB3141_120:
	s_or_b64 exec, exec, s[34:35]
	s_and_b64 exec, exec, s[0:1]
	s_cbranch_execz .LBB3141_122
; %bb.121:
	v_mov_b32_e32 v16, 0
	ds_write_b32 v16, v17 offset:12
.LBB3141_122:
	s_or_b64 exec, exec, s[30:31]
	v_mov_b32_e32 v16, 0
	s_waitcnt lgkmcnt(0)
	s_barrier
	ds_read_b32 v22, v16 offset:12
	s_waitcnt lgkmcnt(0)
	s_barrier
	ds_read_b64 v[16:17], v16 offset:10240
	v_cndmask_b32_e64 v23, v54, v53, s[16:17]
	v_cndmask_b32_e64 v23, v23, 0, s[0:1]
	v_add_u32_e32 v26, v22, v23
	s_branch .LBB3141_133
.LBB3141_123:
                                        ; implicit-def: $vgpr17
                                        ; implicit-def: $vgpr26
	s_cbranch_execz .LBB3141_133
; %bb.124:
	s_waitcnt lgkmcnt(0)
	v_mov_b32_dpp v16, v52 row_shr:1 row_mask:0xf bank_mask:0xf
	v_cndmask_b32_e64 v16, v16, 0, s[14:15]
	v_add_u32_e32 v16, v16, v52
	s_nop 1
	v_mov_b32_dpp v17, v16 row_shr:2 row_mask:0xf bank_mask:0xf
	v_cndmask_b32_e64 v17, 0, v17, s[12:13]
	v_add_u32_e32 v16, v16, v17
	s_nop 1
	;; [unrolled: 4-line block ×4, first 2 shown]
	v_mov_b32_dpp v17, v16 row_bcast:15 row_mask:0xf bank_mask:0xf
	v_cndmask_b32_e64 v17, v17, 0, s[6:7]
	v_add_u32_e32 v16, v16, v17
	s_nop 1
	v_mov_b32_dpp v17, v16 row_bcast:31 row_mask:0xf bank_mask:0xf
	v_cndmask_b32_e64 v17, 0, v17, s[2:3]
	v_add_u32_e32 v16, v16, v17
	s_and_saveexec_b64 s[2:3], s[4:5]
	s_cbranch_execz .LBB3141_126
; %bb.125:
	v_lshlrev_b32_e32 v17, 2, v51
	ds_write_b32 v17, v16
.LBB3141_126:
	s_or_b64 exec, exec, s[2:3]
	v_cmp_gt_u32_e32 vcc, 4, v0
	s_waitcnt lgkmcnt(0)
	s_barrier
	s_and_saveexec_b64 s[2:3], vcc
	s_cbranch_execz .LBB3141_128
; %bb.127:
	v_lshlrev_b32_e32 v17, 2, v0
	ds_read_b32 v22, v17
	v_and_b32_e32 v23, 3, v50
	v_cmp_ne_u32_e32 vcc, 0, v23
	s_waitcnt lgkmcnt(0)
	v_mov_b32_dpp v24, v22 row_shr:1 row_mask:0xf bank_mask:0xf
	v_cndmask_b32_e32 v24, 0, v24, vcc
	v_add_u32_e32 v22, v24, v22
	v_cmp_lt_u32_e32 vcc, 1, v23
	s_nop 0
	v_mov_b32_dpp v24, v22 row_shr:2 row_mask:0xf bank_mask:0xf
	v_cndmask_b32_e32 v23, 0, v24, vcc
	v_add_u32_e32 v22, v22, v23
	ds_write_b32 v17, v22
.LBB3141_128:
	s_or_b64 exec, exec, s[2:3]
	v_cmp_lt_u32_e32 vcc, 63, v0
	v_mov_b32_e32 v17, 0
	v_mov_b32_e32 v22, 0
	s_waitcnt lgkmcnt(0)
	s_barrier
	s_and_saveexec_b64 s[2:3], vcc
	s_cbranch_execz .LBB3141_130
; %bb.129:
	v_lshl_add_u32 v22, v51, 2, -4
	ds_read_b32 v22, v22
.LBB3141_130:
	s_or_b64 exec, exec, s[2:3]
	v_add_u32_e32 v23, -1, v50
	v_and_b32_e32 v24, 64, v50
	v_cmp_lt_i32_e32 vcc, v23, v24
	v_cndmask_b32_e32 v23, v23, v50, vcc
	s_waitcnt lgkmcnt(0)
	v_add_u32_e32 v16, v22, v16
	v_lshlrev_b32_e32 v23, 2, v23
	ds_bpermute_b32 v23, v23, v16
	ds_read_b32 v16, v17 offset:12
	s_and_saveexec_b64 s[2:3], s[0:1]
	s_cbranch_execz .LBB3141_132
; %bb.131:
	v_mov_b32_e32 v24, 0
	v_mov_b32_e32 v17, 2
	s_waitcnt lgkmcnt(0)
	global_store_dwordx2 v24, v[16:17], s[28:29] offset:512
.LBB3141_132:
	s_or_b64 exec, exec, s[2:3]
	v_cmp_eq_u32_e32 vcc, 0, v50
	s_waitcnt lgkmcnt(1)
	v_cndmask_b32_e32 v22, v23, v22, vcc
	v_mov_b32_e32 v17, 0
	v_cndmask_b32_e64 v26, v22, 0, s[0:1]
	s_waitcnt lgkmcnt(0)
	s_barrier
.LBB3141_133:
	v_add_u32_sdwa v28, v26, v20 dst_sel:DWORD dst_unused:UNUSED_PAD src0_sel:DWORD src1_sel:BYTE_0
	s_waitcnt lgkmcnt(0)
	v_add_u32_e32 v31, v16, v31
	v_sub_u32_e32 v26, v26, v17
	v_and_b32_e32 v55, 1, v20
	v_sub_u32_e32 v54, v31, v26
	v_cmp_eq_u32_e32 vcc, 1, v55
	v_cndmask_b32_e32 v26, v54, v26, vcc
	v_lshlrev_b32_e32 v26, 1, v26
	v_lshrrev_b32_e32 v27, 8, v20
	ds_write_b16 v26, v6
	v_sub_u32_e32 v26, v28, v17
	v_add_u32_sdwa v29, v28, v20 dst_sel:DWORD dst_unused:UNUSED_PAD src0_sel:DWORD src1_sel:BYTE_1
	v_sub_u32_e32 v28, v31, v26
	v_and_b32_e32 v27, 1, v27
	v_add_u32_e32 v28, 1, v28
	v_cmp_eq_u32_e32 vcc, 1, v27
	v_cndmask_b32_e32 v26, v28, v26, vcc
	v_lshlrev_b32_e32 v26, 1, v26
	ds_write_b16_d16_hi v26, v6
	v_sub_u32_e32 v6, v29, v17
	v_mov_b32_e32 v27, 1
	v_sub_u32_e32 v26, v31, v6
	v_and_b32_sdwa v20, v27, v20 dst_sel:DWORD dst_unused:UNUSED_PAD src0_sel:DWORD src1_sel:WORD_1
	v_add_u32_e32 v26, 2, v26
	v_cmp_eq_u32_e32 vcc, 1, v20
	v_cndmask_b32_e32 v6, v26, v6, vcc
	v_add_u32_e32 v49, v29, v49
	v_lshlrev_b32_e32 v6, 1, v6
	ds_write_b16 v6, v7
	v_sub_u32_e32 v6, v49, v17
	v_sub_u32_e32 v20, v31, v6
	v_and_b32_e32 v26, 1, v37
	v_add_u32_e32 v20, 3, v20
	v_cmp_eq_u32_e32 vcc, 1, v26
	v_cndmask_b32_e32 v6, v20, v6, vcc
	v_add_u32_e32 v50, v49, v37
	v_lshlrev_b32_e32 v6, 1, v6
	ds_write_b16_d16_hi v6, v7
	v_sub_u32_e32 v6, v50, v17
	v_sub_u32_e32 v7, v31, v6
	v_and_b32_e32 v20, 1, v21
	v_add_u32_e32 v7, 4, v7
	v_cmp_eq_u32_e32 vcc, 1, v20
	v_cndmask_b32_e32 v6, v7, v6, vcc
	v_add_u32_e32 v46, v50, v46
	v_lshlrev_b32_e32 v6, 1, v6
	v_lshrrev_b32_e32 v25, 8, v21
	ds_write_b16 v6, v8
	v_sub_u32_e32 v6, v46, v17
	v_sub_u32_e32 v7, v31, v6
	v_and_b32_e32 v20, 1, v25
	v_add_u32_e32 v7, 5, v7
	v_cmp_eq_u32_e32 vcc, 1, v20
	v_cndmask_b32_e32 v6, v7, v6, vcc
	v_add_u32_e32 v47, v46, v47
	v_lshlrev_b32_e32 v6, 1, v6
	ds_write_b16_d16_hi v6, v8
	v_sub_u32_e32 v6, v47, v17
	v_sub_u32_e32 v7, v31, v6
	v_and_b32_sdwa v8, v27, v21 dst_sel:DWORD dst_unused:UNUSED_PAD src0_sel:DWORD src1_sel:WORD_1
	v_add_u32_e32 v7, 6, v7
	v_cmp_eq_u32_e32 vcc, 1, v8
	v_cndmask_b32_e32 v6, v7, v6, vcc
	v_add_u32_e32 v48, v47, v48
	v_lshlrev_b32_e32 v6, 1, v6
	ds_write_b16 v6, v9
	v_sub_u32_e32 v6, v48, v17
	v_sub_u32_e32 v7, v31, v6
	v_and_b32_e32 v8, 1, v36
	v_add_u32_e32 v7, 7, v7
	v_cmp_eq_u32_e32 vcc, 1, v8
	v_cndmask_b32_e32 v6, v7, v6, vcc
	v_add_u32_e32 v51, v48, v36
	v_lshlrev_b32_e32 v6, 1, v6
	ds_write_b16_d16_hi v6, v9
	v_sub_u32_e32 v6, v51, v17
	v_sub_u32_e32 v7, v31, v6
	v_and_b32_e32 v8, 1, v18
	v_add_u32_e32 v7, 8, v7
	v_cmp_eq_u32_e32 vcc, 1, v8
	v_cndmask_b32_e32 v6, v7, v6, vcc
	v_add_u32_e32 v43, v51, v43
	v_lshlrev_b32_e32 v6, 1, v6
	v_lshrrev_b32_e32 v24, 8, v18
	ds_write_b16 v6, v2
	v_sub_u32_e32 v6, v43, v17
	v_sub_u32_e32 v7, v31, v6
	v_and_b32_e32 v8, 1, v24
	v_add_u32_e32 v7, 9, v7
	v_cmp_eq_u32_e32 vcc, 1, v8
	v_cndmask_b32_e32 v6, v7, v6, vcc
	v_add_u32_e32 v44, v43, v44
	v_lshlrev_b32_e32 v6, 1, v6
	ds_write_b16_d16_hi v6, v2
	v_sub_u32_e32 v2, v44, v17
	;; [unrolled: 37-line block ×4, first 2 shown]
	v_sub_u32_e32 v3, v31, v2
	v_and_b32_sdwa v4, v27, v32 dst_sel:DWORD dst_unused:UNUSED_PAD src0_sel:DWORD src1_sel:WORD_1
	v_add_u32_e32 v3, 18, v3
	v_cmp_eq_u32_e32 vcc, 1, v4
	v_cndmask_b32_e32 v2, v3, v2, vcc
	v_lshlrev_b32_e32 v2, 1, v2
	ds_write_b16 v2, v15
	v_sub_u32_e32 v2, v33, v17
	v_add_u32_e32 v2, v39, v2
	v_sub_u32_e32 v3, v31, v2
	v_and_b32_e32 v1, 1, v1
	v_add_u32_e32 v3, 19, v3
	v_cmp_eq_u32_e32 vcc, 1, v1
	v_cndmask_b32_e32 v1, v3, v2, vcc
	v_lshlrev_b32_e32 v1, 1, v1
	ds_write_b16_d16_hi v1, v15
	s_waitcnt vmcnt(0)
	v_add_co_u32_e32 v1, vcc, v10, v16
	s_waitcnt lgkmcnt(0)
	s_barrier
	ds_read_u16 v50, v30
	ds_read_u16 v49, v30 offset:512
	ds_read_u16 v47, v30 offset:1024
	;; [unrolled: 1-line block ×15, first 2 shown]
	v_addc_co_u32_e32 v3, vcc, 0, v11, vcc
	v_add_co_u32_e32 v2, vcc, v1, v17
	v_addc_co_u32_e32 v3, vcc, 0, v3, vcc
	v_mov_b32_e32 v1, s19
	v_sub_co_u32_e32 v10, vcc, s18, v2
	ds_read_u16 v18, v30 offset:8192
	ds_read_u16 v14, v30 offset:8704
	;; [unrolled: 1-line block ×4, first 2 shown]
	v_subb_co_u32_e32 v11, vcc, v1, v3, vcc
	v_lshlrev_b64 v[10:11], 1, v[10:11]
	v_mov_b32_e32 v1, s25
	v_add_co_u32_e32 v4, vcc, s24, v10
	v_addc_co_u32_e32 v1, vcc, v1, v11, vcc
	v_add_co_u32_e32 v4, vcc, v4, v12
	v_addc_co_u32_e32 v1, vcc, v1, v13, vcc
	v_or_b32_e32 v48, 0x100, v0
	v_or_b32_e32 v46, 0x200, v0
	;; [unrolled: 1-line block ×19, first 2 shown]
	s_andn2_b64 vcc, exec, s[26:27]
	v_cmp_ge_u32_e64 s[2:3], v0, v16
	s_cbranch_vccnz .LBB3141_155
; %bb.134:
	s_and_saveexec_b64 s[4:5], s[2:3]
	s_cbranch_execnz .LBB3141_200
; %bb.135:
	s_or_b64 exec, exec, s[4:5]
	v_cmp_ge_u32_e32 vcc, v48, v16
	s_and_saveexec_b64 s[2:3], vcc
	s_cbranch_execnz .LBB3141_201
.LBB3141_136:
	s_or_b64 exec, exec, s[2:3]
	v_cmp_ge_u32_e32 vcc, v46, v16
	s_and_saveexec_b64 s[2:3], vcc
	s_cbranch_execnz .LBB3141_202
.LBB3141_137:
	s_or_b64 exec, exec, s[2:3]
	v_cmp_ge_u32_e32 vcc, v44, v16
	s_and_saveexec_b64 s[2:3], vcc
	s_cbranch_execnz .LBB3141_203
.LBB3141_138:
	s_or_b64 exec, exec, s[2:3]
	v_cmp_ge_u32_e32 vcc, v43, v16
	s_and_saveexec_b64 s[2:3], vcc
	s_cbranch_execnz .LBB3141_204
.LBB3141_139:
	s_or_b64 exec, exec, s[2:3]
	v_cmp_ge_u32_e32 vcc, v41, v16
	s_and_saveexec_b64 s[2:3], vcc
	s_cbranch_execnz .LBB3141_205
.LBB3141_140:
	s_or_b64 exec, exec, s[2:3]
	v_cmp_ge_u32_e32 vcc, v39, v16
	s_and_saveexec_b64 s[2:3], vcc
	s_cbranch_execnz .LBB3141_206
.LBB3141_141:
	s_or_b64 exec, exec, s[2:3]
	v_cmp_ge_u32_e32 vcc, v37, v16
	s_and_saveexec_b64 s[2:3], vcc
	s_cbranch_execnz .LBB3141_207
.LBB3141_142:
	s_or_b64 exec, exec, s[2:3]
	v_cmp_ge_u32_e32 vcc, v34, v16
	s_and_saveexec_b64 s[2:3], vcc
	s_cbranch_execnz .LBB3141_208
.LBB3141_143:
	s_or_b64 exec, exec, s[2:3]
	v_cmp_ge_u32_e32 vcc, v32, v16
	s_and_saveexec_b64 s[2:3], vcc
	s_cbranch_execnz .LBB3141_209
.LBB3141_144:
	s_or_b64 exec, exec, s[2:3]
	v_cmp_ge_u32_e32 vcc, v29, v16
	s_and_saveexec_b64 s[2:3], vcc
	s_cbranch_execnz .LBB3141_210
.LBB3141_145:
	s_or_b64 exec, exec, s[2:3]
	v_cmp_ge_u32_e32 vcc, v27, v16
	s_and_saveexec_b64 s[2:3], vcc
	s_cbranch_execnz .LBB3141_211
.LBB3141_146:
	s_or_b64 exec, exec, s[2:3]
	v_cmp_ge_u32_e32 vcc, v25, v16
	s_and_saveexec_b64 s[2:3], vcc
	s_cbranch_execnz .LBB3141_212
.LBB3141_147:
	s_or_b64 exec, exec, s[2:3]
	v_cmp_ge_u32_e32 vcc, v23, v16
	s_and_saveexec_b64 s[2:3], vcc
	s_cbranch_execnz .LBB3141_213
.LBB3141_148:
	s_or_b64 exec, exec, s[2:3]
	v_cmp_ge_u32_e32 vcc, v21, v16
	s_and_saveexec_b64 s[2:3], vcc
	s_cbranch_execnz .LBB3141_214
.LBB3141_149:
	s_or_b64 exec, exec, s[2:3]
	v_cmp_ge_u32_e32 vcc, v19, v16
	s_and_saveexec_b64 s[2:3], vcc
	s_cbranch_execnz .LBB3141_215
.LBB3141_150:
	s_or_b64 exec, exec, s[2:3]
	v_cmp_ge_u32_e32 vcc, v15, v16
	s_and_saveexec_b64 s[2:3], vcc
	s_cbranch_execnz .LBB3141_216
.LBB3141_151:
	s_or_b64 exec, exec, s[2:3]
	v_cmp_ge_u32_e32 vcc, v9, v16
	s_and_saveexec_b64 s[2:3], vcc
	s_cbranch_execnz .LBB3141_217
.LBB3141_152:
	s_or_b64 exec, exec, s[2:3]
	v_cmp_ge_u32_e32 vcc, v8, v16
	s_and_saveexec_b64 s[2:3], vcc
	s_cbranch_execz .LBB3141_154
.LBB3141_153:
	v_lshlrev_b32_e32 v10, 1, v8
	v_readfirstlane_b32 s4, v4
	v_readfirstlane_b32 s5, v1
	s_waitcnt lgkmcnt(1)
	s_nop 3
	global_store_short v10, v7, s[4:5]
.LBB3141_154:
	s_or_b64 exec, exec, s[2:3]
	v_cmp_ge_u32_e64 s[2:3], v6, v16
	s_branch .LBB3141_195
.LBB3141_155:
	s_mov_b64 s[2:3], 0
	s_cbranch_execz .LBB3141_195
; %bb.156:
	v_cmp_gt_u32_e32 vcc, s33, v0
	v_cmp_ge_u32_e64 s[2:3], v0, v16
	s_and_b64 s[4:5], vcc, s[2:3]
	s_and_saveexec_b64 s[2:3], s[4:5]
	s_cbranch_execz .LBB3141_158
; %bb.157:
	v_readfirstlane_b32 s4, v4
	v_readfirstlane_b32 s5, v1
	s_waitcnt lgkmcnt(14)
	s_nop 3
	global_store_short v30, v50, s[4:5]
.LBB3141_158:
	s_or_b64 exec, exec, s[2:3]
	v_cmp_gt_u32_e32 vcc, s33, v48
	v_cmp_ge_u32_e64 s[2:3], v48, v16
	s_and_b64 s[4:5], vcc, s[2:3]
	s_and_saveexec_b64 s[2:3], s[4:5]
	s_cbranch_execz .LBB3141_160
; %bb.159:
	v_readfirstlane_b32 s4, v4
	v_readfirstlane_b32 s5, v1
	s_waitcnt lgkmcnt(14)
	s_nop 3
	global_store_short v30, v49, s[4:5] offset:512
.LBB3141_160:
	s_or_b64 exec, exec, s[2:3]
	v_cmp_gt_u32_e32 vcc, s33, v46
	v_cmp_ge_u32_e64 s[2:3], v46, v16
	s_and_b64 s[4:5], vcc, s[2:3]
	s_and_saveexec_b64 s[2:3], s[4:5]
	s_cbranch_execz .LBB3141_162
; %bb.161:
	v_readfirstlane_b32 s4, v4
	v_readfirstlane_b32 s5, v1
	s_waitcnt lgkmcnt(14)
	s_nop 3
	global_store_short v30, v47, s[4:5] offset:1024
.LBB3141_162:
	;; [unrolled: 13-line block ×7, first 2 shown]
	s_or_b64 exec, exec, s[2:3]
	v_cmp_gt_u32_e32 vcc, s33, v34
	v_cmp_ge_u32_e64 s[2:3], v34, v16
	s_and_b64 s[4:5], vcc, s[2:3]
	s_and_saveexec_b64 s[2:3], s[4:5]
	s_cbranch_execz .LBB3141_174
; %bb.173:
	v_lshlrev_b32_e32 v0, 1, v34
	v_readfirstlane_b32 s4, v4
	v_readfirstlane_b32 s5, v1
	s_waitcnt lgkmcnt(11)
	s_nop 3
	global_store_short v0, v35, s[4:5]
.LBB3141_174:
	s_or_b64 exec, exec, s[2:3]
	v_cmp_gt_u32_e32 vcc, s33, v32
	v_cmp_ge_u32_e64 s[2:3], v32, v16
	s_and_b64 s[4:5], vcc, s[2:3]
	s_and_saveexec_b64 s[2:3], s[4:5]
	s_cbranch_execz .LBB3141_176
; %bb.175:
	v_lshlrev_b32_e32 v0, 1, v32
	v_readfirstlane_b32 s4, v4
	v_readfirstlane_b32 s5, v1
	s_waitcnt lgkmcnt(10)
	s_nop 3
	global_store_short v0, v33, s[4:5]
.LBB3141_176:
	;; [unrolled: 14-line block ×11, first 2 shown]
	s_or_b64 exec, exec, s[2:3]
	v_cmp_gt_u32_e32 vcc, s33, v6
	v_cmp_ge_u32_e64 s[2:3], v6, v16
	s_and_b64 s[2:3], vcc, s[2:3]
.LBB3141_195:
	s_and_saveexec_b64 s[4:5], s[2:3]
	s_cbranch_execnz .LBB3141_198
; %bb.196:
	s_or_b64 exec, exec, s[4:5]
	s_and_b64 s[0:1], s[0:1], s[22:23]
	s_and_saveexec_b64 s[2:3], s[0:1]
	s_cbranch_execnz .LBB3141_199
.LBB3141_197:
	s_endpgm
.LBB3141_198:
	v_lshlrev_b32_e32 v0, 1, v6
	v_readfirstlane_b32 s2, v4
	v_readfirstlane_b32 s3, v1
	s_waitcnt lgkmcnt(0)
	s_nop 3
	global_store_short v0, v5, s[2:3]
	s_or_b64 exec, exec, s[4:5]
	s_and_b64 s[0:1], s[0:1], s[22:23]
	s_and_saveexec_b64 s[2:3], s[0:1]
	s_cbranch_execz .LBB3141_197
.LBB3141_199:
	v_mov_b32_e32 v0, 0
	global_store_dwordx2 v0, v[2:3], s[20:21]
	s_endpgm
.LBB3141_200:
	v_readfirstlane_b32 s2, v4
	v_readfirstlane_b32 s3, v1
	s_waitcnt lgkmcnt(14)
	s_nop 3
	global_store_short v30, v50, s[2:3]
	s_or_b64 exec, exec, s[4:5]
	v_cmp_ge_u32_e32 vcc, v48, v16
	s_and_saveexec_b64 s[2:3], vcc
	s_cbranch_execz .LBB3141_136
.LBB3141_201:
	v_readfirstlane_b32 s4, v4
	v_readfirstlane_b32 s5, v1
	s_waitcnt lgkmcnt(14)
	s_nop 3
	global_store_short v30, v49, s[4:5] offset:512
	s_or_b64 exec, exec, s[2:3]
	v_cmp_ge_u32_e32 vcc, v46, v16
	s_and_saveexec_b64 s[2:3], vcc
	s_cbranch_execz .LBB3141_137
.LBB3141_202:
	v_readfirstlane_b32 s4, v4
	v_readfirstlane_b32 s5, v1
	s_waitcnt lgkmcnt(14)
	s_nop 3
	global_store_short v30, v47, s[4:5] offset:1024
	s_or_b64 exec, exec, s[2:3]
	v_cmp_ge_u32_e32 vcc, v44, v16
	s_and_saveexec_b64 s[2:3], vcc
	s_cbranch_execz .LBB3141_138
.LBB3141_203:
	v_readfirstlane_b32 s4, v4
	v_readfirstlane_b32 s5, v1
	s_waitcnt lgkmcnt(14)
	s_nop 3
	global_store_short v30, v45, s[4:5] offset:1536
	s_or_b64 exec, exec, s[2:3]
	v_cmp_ge_u32_e32 vcc, v43, v16
	s_and_saveexec_b64 s[2:3], vcc
	s_cbranch_execz .LBB3141_139
.LBB3141_204:
	v_readfirstlane_b32 s4, v4
	v_readfirstlane_b32 s5, v1
	s_waitcnt lgkmcnt(14)
	s_nop 3
	global_store_short v30, v42, s[4:5] offset:2048
	s_or_b64 exec, exec, s[2:3]
	v_cmp_ge_u32_e32 vcc, v41, v16
	s_and_saveexec_b64 s[2:3], vcc
	s_cbranch_execz .LBB3141_140
.LBB3141_205:
	v_readfirstlane_b32 s4, v4
	v_readfirstlane_b32 s5, v1
	s_waitcnt lgkmcnt(14)
	s_nop 3
	global_store_short v30, v40, s[4:5] offset:2560
	s_or_b64 exec, exec, s[2:3]
	v_cmp_ge_u32_e32 vcc, v39, v16
	s_and_saveexec_b64 s[2:3], vcc
	s_cbranch_execz .LBB3141_141
.LBB3141_206:
	v_readfirstlane_b32 s4, v4
	v_readfirstlane_b32 s5, v1
	s_waitcnt lgkmcnt(13)
	s_nop 3
	global_store_short v30, v38, s[4:5] offset:3072
	s_or_b64 exec, exec, s[2:3]
	v_cmp_ge_u32_e32 vcc, v37, v16
	s_and_saveexec_b64 s[2:3], vcc
	s_cbranch_execz .LBB3141_142
.LBB3141_207:
	v_readfirstlane_b32 s4, v4
	v_readfirstlane_b32 s5, v1
	s_waitcnt lgkmcnt(12)
	s_nop 3
	global_store_short v30, v36, s[4:5] offset:3584
	s_or_b64 exec, exec, s[2:3]
	v_cmp_ge_u32_e32 vcc, v34, v16
	s_and_saveexec_b64 s[2:3], vcc
	s_cbranch_execz .LBB3141_143
.LBB3141_208:
	v_lshlrev_b32_e32 v10, 1, v34
	v_readfirstlane_b32 s4, v4
	v_readfirstlane_b32 s5, v1
	s_waitcnt lgkmcnt(11)
	s_nop 3
	global_store_short v10, v35, s[4:5]
	s_or_b64 exec, exec, s[2:3]
	v_cmp_ge_u32_e32 vcc, v32, v16
	s_and_saveexec_b64 s[2:3], vcc
	s_cbranch_execz .LBB3141_144
.LBB3141_209:
	v_lshlrev_b32_e32 v10, 1, v32
	v_readfirstlane_b32 s4, v4
	v_readfirstlane_b32 s5, v1
	s_waitcnt lgkmcnt(10)
	s_nop 3
	global_store_short v10, v33, s[4:5]
	s_or_b64 exec, exec, s[2:3]
	v_cmp_ge_u32_e32 vcc, v29, v16
	s_and_saveexec_b64 s[2:3], vcc
	s_cbranch_execz .LBB3141_145
.LBB3141_210:
	v_lshlrev_b32_e32 v10, 1, v29
	v_readfirstlane_b32 s4, v4
	v_readfirstlane_b32 s5, v1
	s_waitcnt lgkmcnt(9)
	s_nop 3
	global_store_short v10, v31, s[4:5]
	s_or_b64 exec, exec, s[2:3]
	v_cmp_ge_u32_e32 vcc, v27, v16
	s_and_saveexec_b64 s[2:3], vcc
	s_cbranch_execz .LBB3141_146
.LBB3141_211:
	v_lshlrev_b32_e32 v10, 1, v27
	v_readfirstlane_b32 s4, v4
	v_readfirstlane_b32 s5, v1
	s_waitcnt lgkmcnt(8)
	s_nop 3
	global_store_short v10, v28, s[4:5]
	s_or_b64 exec, exec, s[2:3]
	v_cmp_ge_u32_e32 vcc, v25, v16
	s_and_saveexec_b64 s[2:3], vcc
	s_cbranch_execz .LBB3141_147
.LBB3141_212:
	v_lshlrev_b32_e32 v10, 1, v25
	v_readfirstlane_b32 s4, v4
	v_readfirstlane_b32 s5, v1
	s_waitcnt lgkmcnt(7)
	s_nop 3
	global_store_short v10, v26, s[4:5]
	s_or_b64 exec, exec, s[2:3]
	v_cmp_ge_u32_e32 vcc, v23, v16
	s_and_saveexec_b64 s[2:3], vcc
	s_cbranch_execz .LBB3141_148
.LBB3141_213:
	v_lshlrev_b32_e32 v10, 1, v23
	v_readfirstlane_b32 s4, v4
	v_readfirstlane_b32 s5, v1
	s_waitcnt lgkmcnt(6)
	s_nop 3
	global_store_short v10, v24, s[4:5]
	s_or_b64 exec, exec, s[2:3]
	v_cmp_ge_u32_e32 vcc, v21, v16
	s_and_saveexec_b64 s[2:3], vcc
	s_cbranch_execz .LBB3141_149
.LBB3141_214:
	v_lshlrev_b32_e32 v10, 1, v21
	v_readfirstlane_b32 s4, v4
	v_readfirstlane_b32 s5, v1
	s_waitcnt lgkmcnt(5)
	s_nop 3
	global_store_short v10, v22, s[4:5]
	s_or_b64 exec, exec, s[2:3]
	v_cmp_ge_u32_e32 vcc, v19, v16
	s_and_saveexec_b64 s[2:3], vcc
	s_cbranch_execz .LBB3141_150
.LBB3141_215:
	v_lshlrev_b32_e32 v10, 1, v19
	v_readfirstlane_b32 s4, v4
	v_readfirstlane_b32 s5, v1
	s_waitcnt lgkmcnt(4)
	s_nop 3
	global_store_short v10, v20, s[4:5]
	s_or_b64 exec, exec, s[2:3]
	v_cmp_ge_u32_e32 vcc, v15, v16
	s_and_saveexec_b64 s[2:3], vcc
	s_cbranch_execz .LBB3141_151
.LBB3141_216:
	v_lshlrev_b32_e32 v10, 1, v15
	v_readfirstlane_b32 s4, v4
	v_readfirstlane_b32 s5, v1
	s_waitcnt lgkmcnt(3)
	s_nop 3
	global_store_short v10, v18, s[4:5]
	s_or_b64 exec, exec, s[2:3]
	v_cmp_ge_u32_e32 vcc, v9, v16
	s_and_saveexec_b64 s[2:3], vcc
	s_cbranch_execz .LBB3141_152
.LBB3141_217:
	v_lshlrev_b32_e32 v10, 1, v9
	v_readfirstlane_b32 s4, v4
	v_readfirstlane_b32 s5, v1
	s_waitcnt lgkmcnt(2)
	s_nop 3
	global_store_short v10, v14, s[4:5]
	s_or_b64 exec, exec, s[2:3]
	v_cmp_ge_u32_e32 vcc, v8, v16
	s_and_saveexec_b64 s[2:3], vcc
	s_cbranch_execnz .LBB3141_153
	s_branch .LBB3141_154
	.section	.rodata,"a",@progbits
	.p2align	6, 0x0
	.amdhsa_kernel _ZN7rocprim17ROCPRIM_400000_NS6detail17trampoline_kernelINS0_14default_configENS1_25partition_config_selectorILNS1_17partition_subalgoE1EtNS0_10empty_typeEbEEZZNS1_14partition_implILS5_1ELb0ES3_jN6thrust23THRUST_200600_302600_NS6detail15normal_iteratorINSA_10device_ptrItEEEEPS6_NSA_18transform_iteratorI7is_evenItESF_NSA_11use_defaultESK_EENS0_5tupleIJNSA_16discard_iteratorISK_EESF_EEENSM_IJSG_SG_EEES6_PlJS6_EEE10hipError_tPvRmT3_T4_T5_T6_T7_T9_mT8_P12ihipStream_tbDpT10_ENKUlT_T0_E_clISt17integral_constantIbLb1EES1B_EEDaS16_S17_EUlS16_E_NS1_11comp_targetILNS1_3genE4ELNS1_11target_archE910ELNS1_3gpuE8ELNS1_3repE0EEENS1_30default_config_static_selectorELNS0_4arch9wavefront6targetE1EEEvT1_
		.amdhsa_group_segment_fixed_size 10248
		.amdhsa_private_segment_fixed_size 0
		.amdhsa_kernarg_size 152
		.amdhsa_user_sgpr_count 6
		.amdhsa_user_sgpr_private_segment_buffer 1
		.amdhsa_user_sgpr_dispatch_ptr 0
		.amdhsa_user_sgpr_queue_ptr 0
		.amdhsa_user_sgpr_kernarg_segment_ptr 1
		.amdhsa_user_sgpr_dispatch_id 0
		.amdhsa_user_sgpr_flat_scratch_init 0
		.amdhsa_user_sgpr_kernarg_preload_length 0
		.amdhsa_user_sgpr_kernarg_preload_offset 0
		.amdhsa_user_sgpr_private_segment_size 0
		.amdhsa_uses_dynamic_stack 0
		.amdhsa_system_sgpr_private_segment_wavefront_offset 0
		.amdhsa_system_sgpr_workgroup_id_x 1
		.amdhsa_system_sgpr_workgroup_id_y 0
		.amdhsa_system_sgpr_workgroup_id_z 0
		.amdhsa_system_sgpr_workgroup_info 0
		.amdhsa_system_vgpr_workitem_id 0
		.amdhsa_next_free_vgpr 69
		.amdhsa_next_free_sgpr 42
		.amdhsa_accum_offset 72
		.amdhsa_reserve_vcc 1
		.amdhsa_reserve_flat_scratch 0
		.amdhsa_float_round_mode_32 0
		.amdhsa_float_round_mode_16_64 0
		.amdhsa_float_denorm_mode_32 3
		.amdhsa_float_denorm_mode_16_64 3
		.amdhsa_dx10_clamp 1
		.amdhsa_ieee_mode 1
		.amdhsa_fp16_overflow 0
		.amdhsa_tg_split 0
		.amdhsa_exception_fp_ieee_invalid_op 0
		.amdhsa_exception_fp_denorm_src 0
		.amdhsa_exception_fp_ieee_div_zero 0
		.amdhsa_exception_fp_ieee_overflow 0
		.amdhsa_exception_fp_ieee_underflow 0
		.amdhsa_exception_fp_ieee_inexact 0
		.amdhsa_exception_int_div_zero 0
	.end_amdhsa_kernel
	.section	.text._ZN7rocprim17ROCPRIM_400000_NS6detail17trampoline_kernelINS0_14default_configENS1_25partition_config_selectorILNS1_17partition_subalgoE1EtNS0_10empty_typeEbEEZZNS1_14partition_implILS5_1ELb0ES3_jN6thrust23THRUST_200600_302600_NS6detail15normal_iteratorINSA_10device_ptrItEEEEPS6_NSA_18transform_iteratorI7is_evenItESF_NSA_11use_defaultESK_EENS0_5tupleIJNSA_16discard_iteratorISK_EESF_EEENSM_IJSG_SG_EEES6_PlJS6_EEE10hipError_tPvRmT3_T4_T5_T6_T7_T9_mT8_P12ihipStream_tbDpT10_ENKUlT_T0_E_clISt17integral_constantIbLb1EES1B_EEDaS16_S17_EUlS16_E_NS1_11comp_targetILNS1_3genE4ELNS1_11target_archE910ELNS1_3gpuE8ELNS1_3repE0EEENS1_30default_config_static_selectorELNS0_4arch9wavefront6targetE1EEEvT1_,"axG",@progbits,_ZN7rocprim17ROCPRIM_400000_NS6detail17trampoline_kernelINS0_14default_configENS1_25partition_config_selectorILNS1_17partition_subalgoE1EtNS0_10empty_typeEbEEZZNS1_14partition_implILS5_1ELb0ES3_jN6thrust23THRUST_200600_302600_NS6detail15normal_iteratorINSA_10device_ptrItEEEEPS6_NSA_18transform_iteratorI7is_evenItESF_NSA_11use_defaultESK_EENS0_5tupleIJNSA_16discard_iteratorISK_EESF_EEENSM_IJSG_SG_EEES6_PlJS6_EEE10hipError_tPvRmT3_T4_T5_T6_T7_T9_mT8_P12ihipStream_tbDpT10_ENKUlT_T0_E_clISt17integral_constantIbLb1EES1B_EEDaS16_S17_EUlS16_E_NS1_11comp_targetILNS1_3genE4ELNS1_11target_archE910ELNS1_3gpuE8ELNS1_3repE0EEENS1_30default_config_static_selectorELNS0_4arch9wavefront6targetE1EEEvT1_,comdat
.Lfunc_end3141:
	.size	_ZN7rocprim17ROCPRIM_400000_NS6detail17trampoline_kernelINS0_14default_configENS1_25partition_config_selectorILNS1_17partition_subalgoE1EtNS0_10empty_typeEbEEZZNS1_14partition_implILS5_1ELb0ES3_jN6thrust23THRUST_200600_302600_NS6detail15normal_iteratorINSA_10device_ptrItEEEEPS6_NSA_18transform_iteratorI7is_evenItESF_NSA_11use_defaultESK_EENS0_5tupleIJNSA_16discard_iteratorISK_EESF_EEENSM_IJSG_SG_EEES6_PlJS6_EEE10hipError_tPvRmT3_T4_T5_T6_T7_T9_mT8_P12ihipStream_tbDpT10_ENKUlT_T0_E_clISt17integral_constantIbLb1EES1B_EEDaS16_S17_EUlS16_E_NS1_11comp_targetILNS1_3genE4ELNS1_11target_archE910ELNS1_3gpuE8ELNS1_3repE0EEENS1_30default_config_static_selectorELNS0_4arch9wavefront6targetE1EEEvT1_, .Lfunc_end3141-_ZN7rocprim17ROCPRIM_400000_NS6detail17trampoline_kernelINS0_14default_configENS1_25partition_config_selectorILNS1_17partition_subalgoE1EtNS0_10empty_typeEbEEZZNS1_14partition_implILS5_1ELb0ES3_jN6thrust23THRUST_200600_302600_NS6detail15normal_iteratorINSA_10device_ptrItEEEEPS6_NSA_18transform_iteratorI7is_evenItESF_NSA_11use_defaultESK_EENS0_5tupleIJNSA_16discard_iteratorISK_EESF_EEENSM_IJSG_SG_EEES6_PlJS6_EEE10hipError_tPvRmT3_T4_T5_T6_T7_T9_mT8_P12ihipStream_tbDpT10_ENKUlT_T0_E_clISt17integral_constantIbLb1EES1B_EEDaS16_S17_EUlS16_E_NS1_11comp_targetILNS1_3genE4ELNS1_11target_archE910ELNS1_3gpuE8ELNS1_3repE0EEENS1_30default_config_static_selectorELNS0_4arch9wavefront6targetE1EEEvT1_
                                        ; -- End function
	.section	.AMDGPU.csdata,"",@progbits
; Kernel info:
; codeLenInByte = 9540
; NumSgprs: 46
; NumVgprs: 69
; NumAgprs: 0
; TotalNumVgprs: 69
; ScratchSize: 0
; MemoryBound: 0
; FloatMode: 240
; IeeeMode: 1
; LDSByteSize: 10248 bytes/workgroup (compile time only)
; SGPRBlocks: 5
; VGPRBlocks: 8
; NumSGPRsForWavesPerEU: 46
; NumVGPRsForWavesPerEU: 69
; AccumOffset: 72
; Occupancy: 6
; WaveLimiterHint : 1
; COMPUTE_PGM_RSRC2:SCRATCH_EN: 0
; COMPUTE_PGM_RSRC2:USER_SGPR: 6
; COMPUTE_PGM_RSRC2:TRAP_HANDLER: 0
; COMPUTE_PGM_RSRC2:TGID_X_EN: 1
; COMPUTE_PGM_RSRC2:TGID_Y_EN: 0
; COMPUTE_PGM_RSRC2:TGID_Z_EN: 0
; COMPUTE_PGM_RSRC2:TIDIG_COMP_CNT: 0
; COMPUTE_PGM_RSRC3_GFX90A:ACCUM_OFFSET: 17
; COMPUTE_PGM_RSRC3_GFX90A:TG_SPLIT: 0
	.section	.text._ZN7rocprim17ROCPRIM_400000_NS6detail17trampoline_kernelINS0_14default_configENS1_25partition_config_selectorILNS1_17partition_subalgoE1EtNS0_10empty_typeEbEEZZNS1_14partition_implILS5_1ELb0ES3_jN6thrust23THRUST_200600_302600_NS6detail15normal_iteratorINSA_10device_ptrItEEEEPS6_NSA_18transform_iteratorI7is_evenItESF_NSA_11use_defaultESK_EENS0_5tupleIJNSA_16discard_iteratorISK_EESF_EEENSM_IJSG_SG_EEES6_PlJS6_EEE10hipError_tPvRmT3_T4_T5_T6_T7_T9_mT8_P12ihipStream_tbDpT10_ENKUlT_T0_E_clISt17integral_constantIbLb1EES1B_EEDaS16_S17_EUlS16_E_NS1_11comp_targetILNS1_3genE3ELNS1_11target_archE908ELNS1_3gpuE7ELNS1_3repE0EEENS1_30default_config_static_selectorELNS0_4arch9wavefront6targetE1EEEvT1_,"axG",@progbits,_ZN7rocprim17ROCPRIM_400000_NS6detail17trampoline_kernelINS0_14default_configENS1_25partition_config_selectorILNS1_17partition_subalgoE1EtNS0_10empty_typeEbEEZZNS1_14partition_implILS5_1ELb0ES3_jN6thrust23THRUST_200600_302600_NS6detail15normal_iteratorINSA_10device_ptrItEEEEPS6_NSA_18transform_iteratorI7is_evenItESF_NSA_11use_defaultESK_EENS0_5tupleIJNSA_16discard_iteratorISK_EESF_EEENSM_IJSG_SG_EEES6_PlJS6_EEE10hipError_tPvRmT3_T4_T5_T6_T7_T9_mT8_P12ihipStream_tbDpT10_ENKUlT_T0_E_clISt17integral_constantIbLb1EES1B_EEDaS16_S17_EUlS16_E_NS1_11comp_targetILNS1_3genE3ELNS1_11target_archE908ELNS1_3gpuE7ELNS1_3repE0EEENS1_30default_config_static_selectorELNS0_4arch9wavefront6targetE1EEEvT1_,comdat
	.protected	_ZN7rocprim17ROCPRIM_400000_NS6detail17trampoline_kernelINS0_14default_configENS1_25partition_config_selectorILNS1_17partition_subalgoE1EtNS0_10empty_typeEbEEZZNS1_14partition_implILS5_1ELb0ES3_jN6thrust23THRUST_200600_302600_NS6detail15normal_iteratorINSA_10device_ptrItEEEEPS6_NSA_18transform_iteratorI7is_evenItESF_NSA_11use_defaultESK_EENS0_5tupleIJNSA_16discard_iteratorISK_EESF_EEENSM_IJSG_SG_EEES6_PlJS6_EEE10hipError_tPvRmT3_T4_T5_T6_T7_T9_mT8_P12ihipStream_tbDpT10_ENKUlT_T0_E_clISt17integral_constantIbLb1EES1B_EEDaS16_S17_EUlS16_E_NS1_11comp_targetILNS1_3genE3ELNS1_11target_archE908ELNS1_3gpuE7ELNS1_3repE0EEENS1_30default_config_static_selectorELNS0_4arch9wavefront6targetE1EEEvT1_ ; -- Begin function _ZN7rocprim17ROCPRIM_400000_NS6detail17trampoline_kernelINS0_14default_configENS1_25partition_config_selectorILNS1_17partition_subalgoE1EtNS0_10empty_typeEbEEZZNS1_14partition_implILS5_1ELb0ES3_jN6thrust23THRUST_200600_302600_NS6detail15normal_iteratorINSA_10device_ptrItEEEEPS6_NSA_18transform_iteratorI7is_evenItESF_NSA_11use_defaultESK_EENS0_5tupleIJNSA_16discard_iteratorISK_EESF_EEENSM_IJSG_SG_EEES6_PlJS6_EEE10hipError_tPvRmT3_T4_T5_T6_T7_T9_mT8_P12ihipStream_tbDpT10_ENKUlT_T0_E_clISt17integral_constantIbLb1EES1B_EEDaS16_S17_EUlS16_E_NS1_11comp_targetILNS1_3genE3ELNS1_11target_archE908ELNS1_3gpuE7ELNS1_3repE0EEENS1_30default_config_static_selectorELNS0_4arch9wavefront6targetE1EEEvT1_
	.globl	_ZN7rocprim17ROCPRIM_400000_NS6detail17trampoline_kernelINS0_14default_configENS1_25partition_config_selectorILNS1_17partition_subalgoE1EtNS0_10empty_typeEbEEZZNS1_14partition_implILS5_1ELb0ES3_jN6thrust23THRUST_200600_302600_NS6detail15normal_iteratorINSA_10device_ptrItEEEEPS6_NSA_18transform_iteratorI7is_evenItESF_NSA_11use_defaultESK_EENS0_5tupleIJNSA_16discard_iteratorISK_EESF_EEENSM_IJSG_SG_EEES6_PlJS6_EEE10hipError_tPvRmT3_T4_T5_T6_T7_T9_mT8_P12ihipStream_tbDpT10_ENKUlT_T0_E_clISt17integral_constantIbLb1EES1B_EEDaS16_S17_EUlS16_E_NS1_11comp_targetILNS1_3genE3ELNS1_11target_archE908ELNS1_3gpuE7ELNS1_3repE0EEENS1_30default_config_static_selectorELNS0_4arch9wavefront6targetE1EEEvT1_
	.p2align	8
	.type	_ZN7rocprim17ROCPRIM_400000_NS6detail17trampoline_kernelINS0_14default_configENS1_25partition_config_selectorILNS1_17partition_subalgoE1EtNS0_10empty_typeEbEEZZNS1_14partition_implILS5_1ELb0ES3_jN6thrust23THRUST_200600_302600_NS6detail15normal_iteratorINSA_10device_ptrItEEEEPS6_NSA_18transform_iteratorI7is_evenItESF_NSA_11use_defaultESK_EENS0_5tupleIJNSA_16discard_iteratorISK_EESF_EEENSM_IJSG_SG_EEES6_PlJS6_EEE10hipError_tPvRmT3_T4_T5_T6_T7_T9_mT8_P12ihipStream_tbDpT10_ENKUlT_T0_E_clISt17integral_constantIbLb1EES1B_EEDaS16_S17_EUlS16_E_NS1_11comp_targetILNS1_3genE3ELNS1_11target_archE908ELNS1_3gpuE7ELNS1_3repE0EEENS1_30default_config_static_selectorELNS0_4arch9wavefront6targetE1EEEvT1_,@function
_ZN7rocprim17ROCPRIM_400000_NS6detail17trampoline_kernelINS0_14default_configENS1_25partition_config_selectorILNS1_17partition_subalgoE1EtNS0_10empty_typeEbEEZZNS1_14partition_implILS5_1ELb0ES3_jN6thrust23THRUST_200600_302600_NS6detail15normal_iteratorINSA_10device_ptrItEEEEPS6_NSA_18transform_iteratorI7is_evenItESF_NSA_11use_defaultESK_EENS0_5tupleIJNSA_16discard_iteratorISK_EESF_EEENSM_IJSG_SG_EEES6_PlJS6_EEE10hipError_tPvRmT3_T4_T5_T6_T7_T9_mT8_P12ihipStream_tbDpT10_ENKUlT_T0_E_clISt17integral_constantIbLb1EES1B_EEDaS16_S17_EUlS16_E_NS1_11comp_targetILNS1_3genE3ELNS1_11target_archE908ELNS1_3gpuE7ELNS1_3repE0EEENS1_30default_config_static_selectorELNS0_4arch9wavefront6targetE1EEEvT1_: ; @_ZN7rocprim17ROCPRIM_400000_NS6detail17trampoline_kernelINS0_14default_configENS1_25partition_config_selectorILNS1_17partition_subalgoE1EtNS0_10empty_typeEbEEZZNS1_14partition_implILS5_1ELb0ES3_jN6thrust23THRUST_200600_302600_NS6detail15normal_iteratorINSA_10device_ptrItEEEEPS6_NSA_18transform_iteratorI7is_evenItESF_NSA_11use_defaultESK_EENS0_5tupleIJNSA_16discard_iteratorISK_EESF_EEENSM_IJSG_SG_EEES6_PlJS6_EEE10hipError_tPvRmT3_T4_T5_T6_T7_T9_mT8_P12ihipStream_tbDpT10_ENKUlT_T0_E_clISt17integral_constantIbLb1EES1B_EEDaS16_S17_EUlS16_E_NS1_11comp_targetILNS1_3genE3ELNS1_11target_archE908ELNS1_3gpuE7ELNS1_3repE0EEENS1_30default_config_static_selectorELNS0_4arch9wavefront6targetE1EEEvT1_
; %bb.0:
	.section	.rodata,"a",@progbits
	.p2align	6, 0x0
	.amdhsa_kernel _ZN7rocprim17ROCPRIM_400000_NS6detail17trampoline_kernelINS0_14default_configENS1_25partition_config_selectorILNS1_17partition_subalgoE1EtNS0_10empty_typeEbEEZZNS1_14partition_implILS5_1ELb0ES3_jN6thrust23THRUST_200600_302600_NS6detail15normal_iteratorINSA_10device_ptrItEEEEPS6_NSA_18transform_iteratorI7is_evenItESF_NSA_11use_defaultESK_EENS0_5tupleIJNSA_16discard_iteratorISK_EESF_EEENSM_IJSG_SG_EEES6_PlJS6_EEE10hipError_tPvRmT3_T4_T5_T6_T7_T9_mT8_P12ihipStream_tbDpT10_ENKUlT_T0_E_clISt17integral_constantIbLb1EES1B_EEDaS16_S17_EUlS16_E_NS1_11comp_targetILNS1_3genE3ELNS1_11target_archE908ELNS1_3gpuE7ELNS1_3repE0EEENS1_30default_config_static_selectorELNS0_4arch9wavefront6targetE1EEEvT1_
		.amdhsa_group_segment_fixed_size 0
		.amdhsa_private_segment_fixed_size 0
		.amdhsa_kernarg_size 152
		.amdhsa_user_sgpr_count 6
		.amdhsa_user_sgpr_private_segment_buffer 1
		.amdhsa_user_sgpr_dispatch_ptr 0
		.amdhsa_user_sgpr_queue_ptr 0
		.amdhsa_user_sgpr_kernarg_segment_ptr 1
		.amdhsa_user_sgpr_dispatch_id 0
		.amdhsa_user_sgpr_flat_scratch_init 0
		.amdhsa_user_sgpr_kernarg_preload_length 0
		.amdhsa_user_sgpr_kernarg_preload_offset 0
		.amdhsa_user_sgpr_private_segment_size 0
		.amdhsa_uses_dynamic_stack 0
		.amdhsa_system_sgpr_private_segment_wavefront_offset 0
		.amdhsa_system_sgpr_workgroup_id_x 1
		.amdhsa_system_sgpr_workgroup_id_y 0
		.amdhsa_system_sgpr_workgroup_id_z 0
		.amdhsa_system_sgpr_workgroup_info 0
		.amdhsa_system_vgpr_workitem_id 0
		.amdhsa_next_free_vgpr 1
		.amdhsa_next_free_sgpr 0
		.amdhsa_accum_offset 4
		.amdhsa_reserve_vcc 0
		.amdhsa_reserve_flat_scratch 0
		.amdhsa_float_round_mode_32 0
		.amdhsa_float_round_mode_16_64 0
		.amdhsa_float_denorm_mode_32 3
		.amdhsa_float_denorm_mode_16_64 3
		.amdhsa_dx10_clamp 1
		.amdhsa_ieee_mode 1
		.amdhsa_fp16_overflow 0
		.amdhsa_tg_split 0
		.amdhsa_exception_fp_ieee_invalid_op 0
		.amdhsa_exception_fp_denorm_src 0
		.amdhsa_exception_fp_ieee_div_zero 0
		.amdhsa_exception_fp_ieee_overflow 0
		.amdhsa_exception_fp_ieee_underflow 0
		.amdhsa_exception_fp_ieee_inexact 0
		.amdhsa_exception_int_div_zero 0
	.end_amdhsa_kernel
	.section	.text._ZN7rocprim17ROCPRIM_400000_NS6detail17trampoline_kernelINS0_14default_configENS1_25partition_config_selectorILNS1_17partition_subalgoE1EtNS0_10empty_typeEbEEZZNS1_14partition_implILS5_1ELb0ES3_jN6thrust23THRUST_200600_302600_NS6detail15normal_iteratorINSA_10device_ptrItEEEEPS6_NSA_18transform_iteratorI7is_evenItESF_NSA_11use_defaultESK_EENS0_5tupleIJNSA_16discard_iteratorISK_EESF_EEENSM_IJSG_SG_EEES6_PlJS6_EEE10hipError_tPvRmT3_T4_T5_T6_T7_T9_mT8_P12ihipStream_tbDpT10_ENKUlT_T0_E_clISt17integral_constantIbLb1EES1B_EEDaS16_S17_EUlS16_E_NS1_11comp_targetILNS1_3genE3ELNS1_11target_archE908ELNS1_3gpuE7ELNS1_3repE0EEENS1_30default_config_static_selectorELNS0_4arch9wavefront6targetE1EEEvT1_,"axG",@progbits,_ZN7rocprim17ROCPRIM_400000_NS6detail17trampoline_kernelINS0_14default_configENS1_25partition_config_selectorILNS1_17partition_subalgoE1EtNS0_10empty_typeEbEEZZNS1_14partition_implILS5_1ELb0ES3_jN6thrust23THRUST_200600_302600_NS6detail15normal_iteratorINSA_10device_ptrItEEEEPS6_NSA_18transform_iteratorI7is_evenItESF_NSA_11use_defaultESK_EENS0_5tupleIJNSA_16discard_iteratorISK_EESF_EEENSM_IJSG_SG_EEES6_PlJS6_EEE10hipError_tPvRmT3_T4_T5_T6_T7_T9_mT8_P12ihipStream_tbDpT10_ENKUlT_T0_E_clISt17integral_constantIbLb1EES1B_EEDaS16_S17_EUlS16_E_NS1_11comp_targetILNS1_3genE3ELNS1_11target_archE908ELNS1_3gpuE7ELNS1_3repE0EEENS1_30default_config_static_selectorELNS0_4arch9wavefront6targetE1EEEvT1_,comdat
.Lfunc_end3142:
	.size	_ZN7rocprim17ROCPRIM_400000_NS6detail17trampoline_kernelINS0_14default_configENS1_25partition_config_selectorILNS1_17partition_subalgoE1EtNS0_10empty_typeEbEEZZNS1_14partition_implILS5_1ELb0ES3_jN6thrust23THRUST_200600_302600_NS6detail15normal_iteratorINSA_10device_ptrItEEEEPS6_NSA_18transform_iteratorI7is_evenItESF_NSA_11use_defaultESK_EENS0_5tupleIJNSA_16discard_iteratorISK_EESF_EEENSM_IJSG_SG_EEES6_PlJS6_EEE10hipError_tPvRmT3_T4_T5_T6_T7_T9_mT8_P12ihipStream_tbDpT10_ENKUlT_T0_E_clISt17integral_constantIbLb1EES1B_EEDaS16_S17_EUlS16_E_NS1_11comp_targetILNS1_3genE3ELNS1_11target_archE908ELNS1_3gpuE7ELNS1_3repE0EEENS1_30default_config_static_selectorELNS0_4arch9wavefront6targetE1EEEvT1_, .Lfunc_end3142-_ZN7rocprim17ROCPRIM_400000_NS6detail17trampoline_kernelINS0_14default_configENS1_25partition_config_selectorILNS1_17partition_subalgoE1EtNS0_10empty_typeEbEEZZNS1_14partition_implILS5_1ELb0ES3_jN6thrust23THRUST_200600_302600_NS6detail15normal_iteratorINSA_10device_ptrItEEEEPS6_NSA_18transform_iteratorI7is_evenItESF_NSA_11use_defaultESK_EENS0_5tupleIJNSA_16discard_iteratorISK_EESF_EEENSM_IJSG_SG_EEES6_PlJS6_EEE10hipError_tPvRmT3_T4_T5_T6_T7_T9_mT8_P12ihipStream_tbDpT10_ENKUlT_T0_E_clISt17integral_constantIbLb1EES1B_EEDaS16_S17_EUlS16_E_NS1_11comp_targetILNS1_3genE3ELNS1_11target_archE908ELNS1_3gpuE7ELNS1_3repE0EEENS1_30default_config_static_selectorELNS0_4arch9wavefront6targetE1EEEvT1_
                                        ; -- End function
	.section	.AMDGPU.csdata,"",@progbits
; Kernel info:
; codeLenInByte = 0
; NumSgprs: 4
; NumVgprs: 0
; NumAgprs: 0
; TotalNumVgprs: 0
; ScratchSize: 0
; MemoryBound: 0
; FloatMode: 240
; IeeeMode: 1
; LDSByteSize: 0 bytes/workgroup (compile time only)
; SGPRBlocks: 0
; VGPRBlocks: 0
; NumSGPRsForWavesPerEU: 4
; NumVGPRsForWavesPerEU: 1
; AccumOffset: 4
; Occupancy: 8
; WaveLimiterHint : 0
; COMPUTE_PGM_RSRC2:SCRATCH_EN: 0
; COMPUTE_PGM_RSRC2:USER_SGPR: 6
; COMPUTE_PGM_RSRC2:TRAP_HANDLER: 0
; COMPUTE_PGM_RSRC2:TGID_X_EN: 1
; COMPUTE_PGM_RSRC2:TGID_Y_EN: 0
; COMPUTE_PGM_RSRC2:TGID_Z_EN: 0
; COMPUTE_PGM_RSRC2:TIDIG_COMP_CNT: 0
; COMPUTE_PGM_RSRC3_GFX90A:ACCUM_OFFSET: 0
; COMPUTE_PGM_RSRC3_GFX90A:TG_SPLIT: 0
	.section	.text._ZN7rocprim17ROCPRIM_400000_NS6detail17trampoline_kernelINS0_14default_configENS1_25partition_config_selectorILNS1_17partition_subalgoE1EtNS0_10empty_typeEbEEZZNS1_14partition_implILS5_1ELb0ES3_jN6thrust23THRUST_200600_302600_NS6detail15normal_iteratorINSA_10device_ptrItEEEEPS6_NSA_18transform_iteratorI7is_evenItESF_NSA_11use_defaultESK_EENS0_5tupleIJNSA_16discard_iteratorISK_EESF_EEENSM_IJSG_SG_EEES6_PlJS6_EEE10hipError_tPvRmT3_T4_T5_T6_T7_T9_mT8_P12ihipStream_tbDpT10_ENKUlT_T0_E_clISt17integral_constantIbLb1EES1B_EEDaS16_S17_EUlS16_E_NS1_11comp_targetILNS1_3genE2ELNS1_11target_archE906ELNS1_3gpuE6ELNS1_3repE0EEENS1_30default_config_static_selectorELNS0_4arch9wavefront6targetE1EEEvT1_,"axG",@progbits,_ZN7rocprim17ROCPRIM_400000_NS6detail17trampoline_kernelINS0_14default_configENS1_25partition_config_selectorILNS1_17partition_subalgoE1EtNS0_10empty_typeEbEEZZNS1_14partition_implILS5_1ELb0ES3_jN6thrust23THRUST_200600_302600_NS6detail15normal_iteratorINSA_10device_ptrItEEEEPS6_NSA_18transform_iteratorI7is_evenItESF_NSA_11use_defaultESK_EENS0_5tupleIJNSA_16discard_iteratorISK_EESF_EEENSM_IJSG_SG_EEES6_PlJS6_EEE10hipError_tPvRmT3_T4_T5_T6_T7_T9_mT8_P12ihipStream_tbDpT10_ENKUlT_T0_E_clISt17integral_constantIbLb1EES1B_EEDaS16_S17_EUlS16_E_NS1_11comp_targetILNS1_3genE2ELNS1_11target_archE906ELNS1_3gpuE6ELNS1_3repE0EEENS1_30default_config_static_selectorELNS0_4arch9wavefront6targetE1EEEvT1_,comdat
	.protected	_ZN7rocprim17ROCPRIM_400000_NS6detail17trampoline_kernelINS0_14default_configENS1_25partition_config_selectorILNS1_17partition_subalgoE1EtNS0_10empty_typeEbEEZZNS1_14partition_implILS5_1ELb0ES3_jN6thrust23THRUST_200600_302600_NS6detail15normal_iteratorINSA_10device_ptrItEEEEPS6_NSA_18transform_iteratorI7is_evenItESF_NSA_11use_defaultESK_EENS0_5tupleIJNSA_16discard_iteratorISK_EESF_EEENSM_IJSG_SG_EEES6_PlJS6_EEE10hipError_tPvRmT3_T4_T5_T6_T7_T9_mT8_P12ihipStream_tbDpT10_ENKUlT_T0_E_clISt17integral_constantIbLb1EES1B_EEDaS16_S17_EUlS16_E_NS1_11comp_targetILNS1_3genE2ELNS1_11target_archE906ELNS1_3gpuE6ELNS1_3repE0EEENS1_30default_config_static_selectorELNS0_4arch9wavefront6targetE1EEEvT1_ ; -- Begin function _ZN7rocprim17ROCPRIM_400000_NS6detail17trampoline_kernelINS0_14default_configENS1_25partition_config_selectorILNS1_17partition_subalgoE1EtNS0_10empty_typeEbEEZZNS1_14partition_implILS5_1ELb0ES3_jN6thrust23THRUST_200600_302600_NS6detail15normal_iteratorINSA_10device_ptrItEEEEPS6_NSA_18transform_iteratorI7is_evenItESF_NSA_11use_defaultESK_EENS0_5tupleIJNSA_16discard_iteratorISK_EESF_EEENSM_IJSG_SG_EEES6_PlJS6_EEE10hipError_tPvRmT3_T4_T5_T6_T7_T9_mT8_P12ihipStream_tbDpT10_ENKUlT_T0_E_clISt17integral_constantIbLb1EES1B_EEDaS16_S17_EUlS16_E_NS1_11comp_targetILNS1_3genE2ELNS1_11target_archE906ELNS1_3gpuE6ELNS1_3repE0EEENS1_30default_config_static_selectorELNS0_4arch9wavefront6targetE1EEEvT1_
	.globl	_ZN7rocprim17ROCPRIM_400000_NS6detail17trampoline_kernelINS0_14default_configENS1_25partition_config_selectorILNS1_17partition_subalgoE1EtNS0_10empty_typeEbEEZZNS1_14partition_implILS5_1ELb0ES3_jN6thrust23THRUST_200600_302600_NS6detail15normal_iteratorINSA_10device_ptrItEEEEPS6_NSA_18transform_iteratorI7is_evenItESF_NSA_11use_defaultESK_EENS0_5tupleIJNSA_16discard_iteratorISK_EESF_EEENSM_IJSG_SG_EEES6_PlJS6_EEE10hipError_tPvRmT3_T4_T5_T6_T7_T9_mT8_P12ihipStream_tbDpT10_ENKUlT_T0_E_clISt17integral_constantIbLb1EES1B_EEDaS16_S17_EUlS16_E_NS1_11comp_targetILNS1_3genE2ELNS1_11target_archE906ELNS1_3gpuE6ELNS1_3repE0EEENS1_30default_config_static_selectorELNS0_4arch9wavefront6targetE1EEEvT1_
	.p2align	8
	.type	_ZN7rocprim17ROCPRIM_400000_NS6detail17trampoline_kernelINS0_14default_configENS1_25partition_config_selectorILNS1_17partition_subalgoE1EtNS0_10empty_typeEbEEZZNS1_14partition_implILS5_1ELb0ES3_jN6thrust23THRUST_200600_302600_NS6detail15normal_iteratorINSA_10device_ptrItEEEEPS6_NSA_18transform_iteratorI7is_evenItESF_NSA_11use_defaultESK_EENS0_5tupleIJNSA_16discard_iteratorISK_EESF_EEENSM_IJSG_SG_EEES6_PlJS6_EEE10hipError_tPvRmT3_T4_T5_T6_T7_T9_mT8_P12ihipStream_tbDpT10_ENKUlT_T0_E_clISt17integral_constantIbLb1EES1B_EEDaS16_S17_EUlS16_E_NS1_11comp_targetILNS1_3genE2ELNS1_11target_archE906ELNS1_3gpuE6ELNS1_3repE0EEENS1_30default_config_static_selectorELNS0_4arch9wavefront6targetE1EEEvT1_,@function
_ZN7rocprim17ROCPRIM_400000_NS6detail17trampoline_kernelINS0_14default_configENS1_25partition_config_selectorILNS1_17partition_subalgoE1EtNS0_10empty_typeEbEEZZNS1_14partition_implILS5_1ELb0ES3_jN6thrust23THRUST_200600_302600_NS6detail15normal_iteratorINSA_10device_ptrItEEEEPS6_NSA_18transform_iteratorI7is_evenItESF_NSA_11use_defaultESK_EENS0_5tupleIJNSA_16discard_iteratorISK_EESF_EEENSM_IJSG_SG_EEES6_PlJS6_EEE10hipError_tPvRmT3_T4_T5_T6_T7_T9_mT8_P12ihipStream_tbDpT10_ENKUlT_T0_E_clISt17integral_constantIbLb1EES1B_EEDaS16_S17_EUlS16_E_NS1_11comp_targetILNS1_3genE2ELNS1_11target_archE906ELNS1_3gpuE6ELNS1_3repE0EEENS1_30default_config_static_selectorELNS0_4arch9wavefront6targetE1EEEvT1_: ; @_ZN7rocprim17ROCPRIM_400000_NS6detail17trampoline_kernelINS0_14default_configENS1_25partition_config_selectorILNS1_17partition_subalgoE1EtNS0_10empty_typeEbEEZZNS1_14partition_implILS5_1ELb0ES3_jN6thrust23THRUST_200600_302600_NS6detail15normal_iteratorINSA_10device_ptrItEEEEPS6_NSA_18transform_iteratorI7is_evenItESF_NSA_11use_defaultESK_EENS0_5tupleIJNSA_16discard_iteratorISK_EESF_EEENSM_IJSG_SG_EEES6_PlJS6_EEE10hipError_tPvRmT3_T4_T5_T6_T7_T9_mT8_P12ihipStream_tbDpT10_ENKUlT_T0_E_clISt17integral_constantIbLb1EES1B_EEDaS16_S17_EUlS16_E_NS1_11comp_targetILNS1_3genE2ELNS1_11target_archE906ELNS1_3gpuE6ELNS1_3repE0EEENS1_30default_config_static_selectorELNS0_4arch9wavefront6targetE1EEEvT1_
; %bb.0:
	.section	.rodata,"a",@progbits
	.p2align	6, 0x0
	.amdhsa_kernel _ZN7rocprim17ROCPRIM_400000_NS6detail17trampoline_kernelINS0_14default_configENS1_25partition_config_selectorILNS1_17partition_subalgoE1EtNS0_10empty_typeEbEEZZNS1_14partition_implILS5_1ELb0ES3_jN6thrust23THRUST_200600_302600_NS6detail15normal_iteratorINSA_10device_ptrItEEEEPS6_NSA_18transform_iteratorI7is_evenItESF_NSA_11use_defaultESK_EENS0_5tupleIJNSA_16discard_iteratorISK_EESF_EEENSM_IJSG_SG_EEES6_PlJS6_EEE10hipError_tPvRmT3_T4_T5_T6_T7_T9_mT8_P12ihipStream_tbDpT10_ENKUlT_T0_E_clISt17integral_constantIbLb1EES1B_EEDaS16_S17_EUlS16_E_NS1_11comp_targetILNS1_3genE2ELNS1_11target_archE906ELNS1_3gpuE6ELNS1_3repE0EEENS1_30default_config_static_selectorELNS0_4arch9wavefront6targetE1EEEvT1_
		.amdhsa_group_segment_fixed_size 0
		.amdhsa_private_segment_fixed_size 0
		.amdhsa_kernarg_size 152
		.amdhsa_user_sgpr_count 6
		.amdhsa_user_sgpr_private_segment_buffer 1
		.amdhsa_user_sgpr_dispatch_ptr 0
		.amdhsa_user_sgpr_queue_ptr 0
		.amdhsa_user_sgpr_kernarg_segment_ptr 1
		.amdhsa_user_sgpr_dispatch_id 0
		.amdhsa_user_sgpr_flat_scratch_init 0
		.amdhsa_user_sgpr_kernarg_preload_length 0
		.amdhsa_user_sgpr_kernarg_preload_offset 0
		.amdhsa_user_sgpr_private_segment_size 0
		.amdhsa_uses_dynamic_stack 0
		.amdhsa_system_sgpr_private_segment_wavefront_offset 0
		.amdhsa_system_sgpr_workgroup_id_x 1
		.amdhsa_system_sgpr_workgroup_id_y 0
		.amdhsa_system_sgpr_workgroup_id_z 0
		.amdhsa_system_sgpr_workgroup_info 0
		.amdhsa_system_vgpr_workitem_id 0
		.amdhsa_next_free_vgpr 1
		.amdhsa_next_free_sgpr 0
		.amdhsa_accum_offset 4
		.amdhsa_reserve_vcc 0
		.amdhsa_reserve_flat_scratch 0
		.amdhsa_float_round_mode_32 0
		.amdhsa_float_round_mode_16_64 0
		.amdhsa_float_denorm_mode_32 3
		.amdhsa_float_denorm_mode_16_64 3
		.amdhsa_dx10_clamp 1
		.amdhsa_ieee_mode 1
		.amdhsa_fp16_overflow 0
		.amdhsa_tg_split 0
		.amdhsa_exception_fp_ieee_invalid_op 0
		.amdhsa_exception_fp_denorm_src 0
		.amdhsa_exception_fp_ieee_div_zero 0
		.amdhsa_exception_fp_ieee_overflow 0
		.amdhsa_exception_fp_ieee_underflow 0
		.amdhsa_exception_fp_ieee_inexact 0
		.amdhsa_exception_int_div_zero 0
	.end_amdhsa_kernel
	.section	.text._ZN7rocprim17ROCPRIM_400000_NS6detail17trampoline_kernelINS0_14default_configENS1_25partition_config_selectorILNS1_17partition_subalgoE1EtNS0_10empty_typeEbEEZZNS1_14partition_implILS5_1ELb0ES3_jN6thrust23THRUST_200600_302600_NS6detail15normal_iteratorINSA_10device_ptrItEEEEPS6_NSA_18transform_iteratorI7is_evenItESF_NSA_11use_defaultESK_EENS0_5tupleIJNSA_16discard_iteratorISK_EESF_EEENSM_IJSG_SG_EEES6_PlJS6_EEE10hipError_tPvRmT3_T4_T5_T6_T7_T9_mT8_P12ihipStream_tbDpT10_ENKUlT_T0_E_clISt17integral_constantIbLb1EES1B_EEDaS16_S17_EUlS16_E_NS1_11comp_targetILNS1_3genE2ELNS1_11target_archE906ELNS1_3gpuE6ELNS1_3repE0EEENS1_30default_config_static_selectorELNS0_4arch9wavefront6targetE1EEEvT1_,"axG",@progbits,_ZN7rocprim17ROCPRIM_400000_NS6detail17trampoline_kernelINS0_14default_configENS1_25partition_config_selectorILNS1_17partition_subalgoE1EtNS0_10empty_typeEbEEZZNS1_14partition_implILS5_1ELb0ES3_jN6thrust23THRUST_200600_302600_NS6detail15normal_iteratorINSA_10device_ptrItEEEEPS6_NSA_18transform_iteratorI7is_evenItESF_NSA_11use_defaultESK_EENS0_5tupleIJNSA_16discard_iteratorISK_EESF_EEENSM_IJSG_SG_EEES6_PlJS6_EEE10hipError_tPvRmT3_T4_T5_T6_T7_T9_mT8_P12ihipStream_tbDpT10_ENKUlT_T0_E_clISt17integral_constantIbLb1EES1B_EEDaS16_S17_EUlS16_E_NS1_11comp_targetILNS1_3genE2ELNS1_11target_archE906ELNS1_3gpuE6ELNS1_3repE0EEENS1_30default_config_static_selectorELNS0_4arch9wavefront6targetE1EEEvT1_,comdat
.Lfunc_end3143:
	.size	_ZN7rocprim17ROCPRIM_400000_NS6detail17trampoline_kernelINS0_14default_configENS1_25partition_config_selectorILNS1_17partition_subalgoE1EtNS0_10empty_typeEbEEZZNS1_14partition_implILS5_1ELb0ES3_jN6thrust23THRUST_200600_302600_NS6detail15normal_iteratorINSA_10device_ptrItEEEEPS6_NSA_18transform_iteratorI7is_evenItESF_NSA_11use_defaultESK_EENS0_5tupleIJNSA_16discard_iteratorISK_EESF_EEENSM_IJSG_SG_EEES6_PlJS6_EEE10hipError_tPvRmT3_T4_T5_T6_T7_T9_mT8_P12ihipStream_tbDpT10_ENKUlT_T0_E_clISt17integral_constantIbLb1EES1B_EEDaS16_S17_EUlS16_E_NS1_11comp_targetILNS1_3genE2ELNS1_11target_archE906ELNS1_3gpuE6ELNS1_3repE0EEENS1_30default_config_static_selectorELNS0_4arch9wavefront6targetE1EEEvT1_, .Lfunc_end3143-_ZN7rocprim17ROCPRIM_400000_NS6detail17trampoline_kernelINS0_14default_configENS1_25partition_config_selectorILNS1_17partition_subalgoE1EtNS0_10empty_typeEbEEZZNS1_14partition_implILS5_1ELb0ES3_jN6thrust23THRUST_200600_302600_NS6detail15normal_iteratorINSA_10device_ptrItEEEEPS6_NSA_18transform_iteratorI7is_evenItESF_NSA_11use_defaultESK_EENS0_5tupleIJNSA_16discard_iteratorISK_EESF_EEENSM_IJSG_SG_EEES6_PlJS6_EEE10hipError_tPvRmT3_T4_T5_T6_T7_T9_mT8_P12ihipStream_tbDpT10_ENKUlT_T0_E_clISt17integral_constantIbLb1EES1B_EEDaS16_S17_EUlS16_E_NS1_11comp_targetILNS1_3genE2ELNS1_11target_archE906ELNS1_3gpuE6ELNS1_3repE0EEENS1_30default_config_static_selectorELNS0_4arch9wavefront6targetE1EEEvT1_
                                        ; -- End function
	.section	.AMDGPU.csdata,"",@progbits
; Kernel info:
; codeLenInByte = 0
; NumSgprs: 4
; NumVgprs: 0
; NumAgprs: 0
; TotalNumVgprs: 0
; ScratchSize: 0
; MemoryBound: 0
; FloatMode: 240
; IeeeMode: 1
; LDSByteSize: 0 bytes/workgroup (compile time only)
; SGPRBlocks: 0
; VGPRBlocks: 0
; NumSGPRsForWavesPerEU: 4
; NumVGPRsForWavesPerEU: 1
; AccumOffset: 4
; Occupancy: 8
; WaveLimiterHint : 0
; COMPUTE_PGM_RSRC2:SCRATCH_EN: 0
; COMPUTE_PGM_RSRC2:USER_SGPR: 6
; COMPUTE_PGM_RSRC2:TRAP_HANDLER: 0
; COMPUTE_PGM_RSRC2:TGID_X_EN: 1
; COMPUTE_PGM_RSRC2:TGID_Y_EN: 0
; COMPUTE_PGM_RSRC2:TGID_Z_EN: 0
; COMPUTE_PGM_RSRC2:TIDIG_COMP_CNT: 0
; COMPUTE_PGM_RSRC3_GFX90A:ACCUM_OFFSET: 0
; COMPUTE_PGM_RSRC3_GFX90A:TG_SPLIT: 0
	.section	.text._ZN7rocprim17ROCPRIM_400000_NS6detail17trampoline_kernelINS0_14default_configENS1_25partition_config_selectorILNS1_17partition_subalgoE1EtNS0_10empty_typeEbEEZZNS1_14partition_implILS5_1ELb0ES3_jN6thrust23THRUST_200600_302600_NS6detail15normal_iteratorINSA_10device_ptrItEEEEPS6_NSA_18transform_iteratorI7is_evenItESF_NSA_11use_defaultESK_EENS0_5tupleIJNSA_16discard_iteratorISK_EESF_EEENSM_IJSG_SG_EEES6_PlJS6_EEE10hipError_tPvRmT3_T4_T5_T6_T7_T9_mT8_P12ihipStream_tbDpT10_ENKUlT_T0_E_clISt17integral_constantIbLb1EES1B_EEDaS16_S17_EUlS16_E_NS1_11comp_targetILNS1_3genE10ELNS1_11target_archE1200ELNS1_3gpuE4ELNS1_3repE0EEENS1_30default_config_static_selectorELNS0_4arch9wavefront6targetE1EEEvT1_,"axG",@progbits,_ZN7rocprim17ROCPRIM_400000_NS6detail17trampoline_kernelINS0_14default_configENS1_25partition_config_selectorILNS1_17partition_subalgoE1EtNS0_10empty_typeEbEEZZNS1_14partition_implILS5_1ELb0ES3_jN6thrust23THRUST_200600_302600_NS6detail15normal_iteratorINSA_10device_ptrItEEEEPS6_NSA_18transform_iteratorI7is_evenItESF_NSA_11use_defaultESK_EENS0_5tupleIJNSA_16discard_iteratorISK_EESF_EEENSM_IJSG_SG_EEES6_PlJS6_EEE10hipError_tPvRmT3_T4_T5_T6_T7_T9_mT8_P12ihipStream_tbDpT10_ENKUlT_T0_E_clISt17integral_constantIbLb1EES1B_EEDaS16_S17_EUlS16_E_NS1_11comp_targetILNS1_3genE10ELNS1_11target_archE1200ELNS1_3gpuE4ELNS1_3repE0EEENS1_30default_config_static_selectorELNS0_4arch9wavefront6targetE1EEEvT1_,comdat
	.protected	_ZN7rocprim17ROCPRIM_400000_NS6detail17trampoline_kernelINS0_14default_configENS1_25partition_config_selectorILNS1_17partition_subalgoE1EtNS0_10empty_typeEbEEZZNS1_14partition_implILS5_1ELb0ES3_jN6thrust23THRUST_200600_302600_NS6detail15normal_iteratorINSA_10device_ptrItEEEEPS6_NSA_18transform_iteratorI7is_evenItESF_NSA_11use_defaultESK_EENS0_5tupleIJNSA_16discard_iteratorISK_EESF_EEENSM_IJSG_SG_EEES6_PlJS6_EEE10hipError_tPvRmT3_T4_T5_T6_T7_T9_mT8_P12ihipStream_tbDpT10_ENKUlT_T0_E_clISt17integral_constantIbLb1EES1B_EEDaS16_S17_EUlS16_E_NS1_11comp_targetILNS1_3genE10ELNS1_11target_archE1200ELNS1_3gpuE4ELNS1_3repE0EEENS1_30default_config_static_selectorELNS0_4arch9wavefront6targetE1EEEvT1_ ; -- Begin function _ZN7rocprim17ROCPRIM_400000_NS6detail17trampoline_kernelINS0_14default_configENS1_25partition_config_selectorILNS1_17partition_subalgoE1EtNS0_10empty_typeEbEEZZNS1_14partition_implILS5_1ELb0ES3_jN6thrust23THRUST_200600_302600_NS6detail15normal_iteratorINSA_10device_ptrItEEEEPS6_NSA_18transform_iteratorI7is_evenItESF_NSA_11use_defaultESK_EENS0_5tupleIJNSA_16discard_iteratorISK_EESF_EEENSM_IJSG_SG_EEES6_PlJS6_EEE10hipError_tPvRmT3_T4_T5_T6_T7_T9_mT8_P12ihipStream_tbDpT10_ENKUlT_T0_E_clISt17integral_constantIbLb1EES1B_EEDaS16_S17_EUlS16_E_NS1_11comp_targetILNS1_3genE10ELNS1_11target_archE1200ELNS1_3gpuE4ELNS1_3repE0EEENS1_30default_config_static_selectorELNS0_4arch9wavefront6targetE1EEEvT1_
	.globl	_ZN7rocprim17ROCPRIM_400000_NS6detail17trampoline_kernelINS0_14default_configENS1_25partition_config_selectorILNS1_17partition_subalgoE1EtNS0_10empty_typeEbEEZZNS1_14partition_implILS5_1ELb0ES3_jN6thrust23THRUST_200600_302600_NS6detail15normal_iteratorINSA_10device_ptrItEEEEPS6_NSA_18transform_iteratorI7is_evenItESF_NSA_11use_defaultESK_EENS0_5tupleIJNSA_16discard_iteratorISK_EESF_EEENSM_IJSG_SG_EEES6_PlJS6_EEE10hipError_tPvRmT3_T4_T5_T6_T7_T9_mT8_P12ihipStream_tbDpT10_ENKUlT_T0_E_clISt17integral_constantIbLb1EES1B_EEDaS16_S17_EUlS16_E_NS1_11comp_targetILNS1_3genE10ELNS1_11target_archE1200ELNS1_3gpuE4ELNS1_3repE0EEENS1_30default_config_static_selectorELNS0_4arch9wavefront6targetE1EEEvT1_
	.p2align	8
	.type	_ZN7rocprim17ROCPRIM_400000_NS6detail17trampoline_kernelINS0_14default_configENS1_25partition_config_selectorILNS1_17partition_subalgoE1EtNS0_10empty_typeEbEEZZNS1_14partition_implILS5_1ELb0ES3_jN6thrust23THRUST_200600_302600_NS6detail15normal_iteratorINSA_10device_ptrItEEEEPS6_NSA_18transform_iteratorI7is_evenItESF_NSA_11use_defaultESK_EENS0_5tupleIJNSA_16discard_iteratorISK_EESF_EEENSM_IJSG_SG_EEES6_PlJS6_EEE10hipError_tPvRmT3_T4_T5_T6_T7_T9_mT8_P12ihipStream_tbDpT10_ENKUlT_T0_E_clISt17integral_constantIbLb1EES1B_EEDaS16_S17_EUlS16_E_NS1_11comp_targetILNS1_3genE10ELNS1_11target_archE1200ELNS1_3gpuE4ELNS1_3repE0EEENS1_30default_config_static_selectorELNS0_4arch9wavefront6targetE1EEEvT1_,@function
_ZN7rocprim17ROCPRIM_400000_NS6detail17trampoline_kernelINS0_14default_configENS1_25partition_config_selectorILNS1_17partition_subalgoE1EtNS0_10empty_typeEbEEZZNS1_14partition_implILS5_1ELb0ES3_jN6thrust23THRUST_200600_302600_NS6detail15normal_iteratorINSA_10device_ptrItEEEEPS6_NSA_18transform_iteratorI7is_evenItESF_NSA_11use_defaultESK_EENS0_5tupleIJNSA_16discard_iteratorISK_EESF_EEENSM_IJSG_SG_EEES6_PlJS6_EEE10hipError_tPvRmT3_T4_T5_T6_T7_T9_mT8_P12ihipStream_tbDpT10_ENKUlT_T0_E_clISt17integral_constantIbLb1EES1B_EEDaS16_S17_EUlS16_E_NS1_11comp_targetILNS1_3genE10ELNS1_11target_archE1200ELNS1_3gpuE4ELNS1_3repE0EEENS1_30default_config_static_selectorELNS0_4arch9wavefront6targetE1EEEvT1_: ; @_ZN7rocprim17ROCPRIM_400000_NS6detail17trampoline_kernelINS0_14default_configENS1_25partition_config_selectorILNS1_17partition_subalgoE1EtNS0_10empty_typeEbEEZZNS1_14partition_implILS5_1ELb0ES3_jN6thrust23THRUST_200600_302600_NS6detail15normal_iteratorINSA_10device_ptrItEEEEPS6_NSA_18transform_iteratorI7is_evenItESF_NSA_11use_defaultESK_EENS0_5tupleIJNSA_16discard_iteratorISK_EESF_EEENSM_IJSG_SG_EEES6_PlJS6_EEE10hipError_tPvRmT3_T4_T5_T6_T7_T9_mT8_P12ihipStream_tbDpT10_ENKUlT_T0_E_clISt17integral_constantIbLb1EES1B_EEDaS16_S17_EUlS16_E_NS1_11comp_targetILNS1_3genE10ELNS1_11target_archE1200ELNS1_3gpuE4ELNS1_3repE0EEENS1_30default_config_static_selectorELNS0_4arch9wavefront6targetE1EEEvT1_
; %bb.0:
	.section	.rodata,"a",@progbits
	.p2align	6, 0x0
	.amdhsa_kernel _ZN7rocprim17ROCPRIM_400000_NS6detail17trampoline_kernelINS0_14default_configENS1_25partition_config_selectorILNS1_17partition_subalgoE1EtNS0_10empty_typeEbEEZZNS1_14partition_implILS5_1ELb0ES3_jN6thrust23THRUST_200600_302600_NS6detail15normal_iteratorINSA_10device_ptrItEEEEPS6_NSA_18transform_iteratorI7is_evenItESF_NSA_11use_defaultESK_EENS0_5tupleIJNSA_16discard_iteratorISK_EESF_EEENSM_IJSG_SG_EEES6_PlJS6_EEE10hipError_tPvRmT3_T4_T5_T6_T7_T9_mT8_P12ihipStream_tbDpT10_ENKUlT_T0_E_clISt17integral_constantIbLb1EES1B_EEDaS16_S17_EUlS16_E_NS1_11comp_targetILNS1_3genE10ELNS1_11target_archE1200ELNS1_3gpuE4ELNS1_3repE0EEENS1_30default_config_static_selectorELNS0_4arch9wavefront6targetE1EEEvT1_
		.amdhsa_group_segment_fixed_size 0
		.amdhsa_private_segment_fixed_size 0
		.amdhsa_kernarg_size 152
		.amdhsa_user_sgpr_count 6
		.amdhsa_user_sgpr_private_segment_buffer 1
		.amdhsa_user_sgpr_dispatch_ptr 0
		.amdhsa_user_sgpr_queue_ptr 0
		.amdhsa_user_sgpr_kernarg_segment_ptr 1
		.amdhsa_user_sgpr_dispatch_id 0
		.amdhsa_user_sgpr_flat_scratch_init 0
		.amdhsa_user_sgpr_kernarg_preload_length 0
		.amdhsa_user_sgpr_kernarg_preload_offset 0
		.amdhsa_user_sgpr_private_segment_size 0
		.amdhsa_uses_dynamic_stack 0
		.amdhsa_system_sgpr_private_segment_wavefront_offset 0
		.amdhsa_system_sgpr_workgroup_id_x 1
		.amdhsa_system_sgpr_workgroup_id_y 0
		.amdhsa_system_sgpr_workgroup_id_z 0
		.amdhsa_system_sgpr_workgroup_info 0
		.amdhsa_system_vgpr_workitem_id 0
		.amdhsa_next_free_vgpr 1
		.amdhsa_next_free_sgpr 0
		.amdhsa_accum_offset 4
		.amdhsa_reserve_vcc 0
		.amdhsa_reserve_flat_scratch 0
		.amdhsa_float_round_mode_32 0
		.amdhsa_float_round_mode_16_64 0
		.amdhsa_float_denorm_mode_32 3
		.amdhsa_float_denorm_mode_16_64 3
		.amdhsa_dx10_clamp 1
		.amdhsa_ieee_mode 1
		.amdhsa_fp16_overflow 0
		.amdhsa_tg_split 0
		.amdhsa_exception_fp_ieee_invalid_op 0
		.amdhsa_exception_fp_denorm_src 0
		.amdhsa_exception_fp_ieee_div_zero 0
		.amdhsa_exception_fp_ieee_overflow 0
		.amdhsa_exception_fp_ieee_underflow 0
		.amdhsa_exception_fp_ieee_inexact 0
		.amdhsa_exception_int_div_zero 0
	.end_amdhsa_kernel
	.section	.text._ZN7rocprim17ROCPRIM_400000_NS6detail17trampoline_kernelINS0_14default_configENS1_25partition_config_selectorILNS1_17partition_subalgoE1EtNS0_10empty_typeEbEEZZNS1_14partition_implILS5_1ELb0ES3_jN6thrust23THRUST_200600_302600_NS6detail15normal_iteratorINSA_10device_ptrItEEEEPS6_NSA_18transform_iteratorI7is_evenItESF_NSA_11use_defaultESK_EENS0_5tupleIJNSA_16discard_iteratorISK_EESF_EEENSM_IJSG_SG_EEES6_PlJS6_EEE10hipError_tPvRmT3_T4_T5_T6_T7_T9_mT8_P12ihipStream_tbDpT10_ENKUlT_T0_E_clISt17integral_constantIbLb1EES1B_EEDaS16_S17_EUlS16_E_NS1_11comp_targetILNS1_3genE10ELNS1_11target_archE1200ELNS1_3gpuE4ELNS1_3repE0EEENS1_30default_config_static_selectorELNS0_4arch9wavefront6targetE1EEEvT1_,"axG",@progbits,_ZN7rocprim17ROCPRIM_400000_NS6detail17trampoline_kernelINS0_14default_configENS1_25partition_config_selectorILNS1_17partition_subalgoE1EtNS0_10empty_typeEbEEZZNS1_14partition_implILS5_1ELb0ES3_jN6thrust23THRUST_200600_302600_NS6detail15normal_iteratorINSA_10device_ptrItEEEEPS6_NSA_18transform_iteratorI7is_evenItESF_NSA_11use_defaultESK_EENS0_5tupleIJNSA_16discard_iteratorISK_EESF_EEENSM_IJSG_SG_EEES6_PlJS6_EEE10hipError_tPvRmT3_T4_T5_T6_T7_T9_mT8_P12ihipStream_tbDpT10_ENKUlT_T0_E_clISt17integral_constantIbLb1EES1B_EEDaS16_S17_EUlS16_E_NS1_11comp_targetILNS1_3genE10ELNS1_11target_archE1200ELNS1_3gpuE4ELNS1_3repE0EEENS1_30default_config_static_selectorELNS0_4arch9wavefront6targetE1EEEvT1_,comdat
.Lfunc_end3144:
	.size	_ZN7rocprim17ROCPRIM_400000_NS6detail17trampoline_kernelINS0_14default_configENS1_25partition_config_selectorILNS1_17partition_subalgoE1EtNS0_10empty_typeEbEEZZNS1_14partition_implILS5_1ELb0ES3_jN6thrust23THRUST_200600_302600_NS6detail15normal_iteratorINSA_10device_ptrItEEEEPS6_NSA_18transform_iteratorI7is_evenItESF_NSA_11use_defaultESK_EENS0_5tupleIJNSA_16discard_iteratorISK_EESF_EEENSM_IJSG_SG_EEES6_PlJS6_EEE10hipError_tPvRmT3_T4_T5_T6_T7_T9_mT8_P12ihipStream_tbDpT10_ENKUlT_T0_E_clISt17integral_constantIbLb1EES1B_EEDaS16_S17_EUlS16_E_NS1_11comp_targetILNS1_3genE10ELNS1_11target_archE1200ELNS1_3gpuE4ELNS1_3repE0EEENS1_30default_config_static_selectorELNS0_4arch9wavefront6targetE1EEEvT1_, .Lfunc_end3144-_ZN7rocprim17ROCPRIM_400000_NS6detail17trampoline_kernelINS0_14default_configENS1_25partition_config_selectorILNS1_17partition_subalgoE1EtNS0_10empty_typeEbEEZZNS1_14partition_implILS5_1ELb0ES3_jN6thrust23THRUST_200600_302600_NS6detail15normal_iteratorINSA_10device_ptrItEEEEPS6_NSA_18transform_iteratorI7is_evenItESF_NSA_11use_defaultESK_EENS0_5tupleIJNSA_16discard_iteratorISK_EESF_EEENSM_IJSG_SG_EEES6_PlJS6_EEE10hipError_tPvRmT3_T4_T5_T6_T7_T9_mT8_P12ihipStream_tbDpT10_ENKUlT_T0_E_clISt17integral_constantIbLb1EES1B_EEDaS16_S17_EUlS16_E_NS1_11comp_targetILNS1_3genE10ELNS1_11target_archE1200ELNS1_3gpuE4ELNS1_3repE0EEENS1_30default_config_static_selectorELNS0_4arch9wavefront6targetE1EEEvT1_
                                        ; -- End function
	.section	.AMDGPU.csdata,"",@progbits
; Kernel info:
; codeLenInByte = 0
; NumSgprs: 4
; NumVgprs: 0
; NumAgprs: 0
; TotalNumVgprs: 0
; ScratchSize: 0
; MemoryBound: 0
; FloatMode: 240
; IeeeMode: 1
; LDSByteSize: 0 bytes/workgroup (compile time only)
; SGPRBlocks: 0
; VGPRBlocks: 0
; NumSGPRsForWavesPerEU: 4
; NumVGPRsForWavesPerEU: 1
; AccumOffset: 4
; Occupancy: 8
; WaveLimiterHint : 0
; COMPUTE_PGM_RSRC2:SCRATCH_EN: 0
; COMPUTE_PGM_RSRC2:USER_SGPR: 6
; COMPUTE_PGM_RSRC2:TRAP_HANDLER: 0
; COMPUTE_PGM_RSRC2:TGID_X_EN: 1
; COMPUTE_PGM_RSRC2:TGID_Y_EN: 0
; COMPUTE_PGM_RSRC2:TGID_Z_EN: 0
; COMPUTE_PGM_RSRC2:TIDIG_COMP_CNT: 0
; COMPUTE_PGM_RSRC3_GFX90A:ACCUM_OFFSET: 0
; COMPUTE_PGM_RSRC3_GFX90A:TG_SPLIT: 0
	.section	.text._ZN7rocprim17ROCPRIM_400000_NS6detail17trampoline_kernelINS0_14default_configENS1_25partition_config_selectorILNS1_17partition_subalgoE1EtNS0_10empty_typeEbEEZZNS1_14partition_implILS5_1ELb0ES3_jN6thrust23THRUST_200600_302600_NS6detail15normal_iteratorINSA_10device_ptrItEEEEPS6_NSA_18transform_iteratorI7is_evenItESF_NSA_11use_defaultESK_EENS0_5tupleIJNSA_16discard_iteratorISK_EESF_EEENSM_IJSG_SG_EEES6_PlJS6_EEE10hipError_tPvRmT3_T4_T5_T6_T7_T9_mT8_P12ihipStream_tbDpT10_ENKUlT_T0_E_clISt17integral_constantIbLb1EES1B_EEDaS16_S17_EUlS16_E_NS1_11comp_targetILNS1_3genE9ELNS1_11target_archE1100ELNS1_3gpuE3ELNS1_3repE0EEENS1_30default_config_static_selectorELNS0_4arch9wavefront6targetE1EEEvT1_,"axG",@progbits,_ZN7rocprim17ROCPRIM_400000_NS6detail17trampoline_kernelINS0_14default_configENS1_25partition_config_selectorILNS1_17partition_subalgoE1EtNS0_10empty_typeEbEEZZNS1_14partition_implILS5_1ELb0ES3_jN6thrust23THRUST_200600_302600_NS6detail15normal_iteratorINSA_10device_ptrItEEEEPS6_NSA_18transform_iteratorI7is_evenItESF_NSA_11use_defaultESK_EENS0_5tupleIJNSA_16discard_iteratorISK_EESF_EEENSM_IJSG_SG_EEES6_PlJS6_EEE10hipError_tPvRmT3_T4_T5_T6_T7_T9_mT8_P12ihipStream_tbDpT10_ENKUlT_T0_E_clISt17integral_constantIbLb1EES1B_EEDaS16_S17_EUlS16_E_NS1_11comp_targetILNS1_3genE9ELNS1_11target_archE1100ELNS1_3gpuE3ELNS1_3repE0EEENS1_30default_config_static_selectorELNS0_4arch9wavefront6targetE1EEEvT1_,comdat
	.protected	_ZN7rocprim17ROCPRIM_400000_NS6detail17trampoline_kernelINS0_14default_configENS1_25partition_config_selectorILNS1_17partition_subalgoE1EtNS0_10empty_typeEbEEZZNS1_14partition_implILS5_1ELb0ES3_jN6thrust23THRUST_200600_302600_NS6detail15normal_iteratorINSA_10device_ptrItEEEEPS6_NSA_18transform_iteratorI7is_evenItESF_NSA_11use_defaultESK_EENS0_5tupleIJNSA_16discard_iteratorISK_EESF_EEENSM_IJSG_SG_EEES6_PlJS6_EEE10hipError_tPvRmT3_T4_T5_T6_T7_T9_mT8_P12ihipStream_tbDpT10_ENKUlT_T0_E_clISt17integral_constantIbLb1EES1B_EEDaS16_S17_EUlS16_E_NS1_11comp_targetILNS1_3genE9ELNS1_11target_archE1100ELNS1_3gpuE3ELNS1_3repE0EEENS1_30default_config_static_selectorELNS0_4arch9wavefront6targetE1EEEvT1_ ; -- Begin function _ZN7rocprim17ROCPRIM_400000_NS6detail17trampoline_kernelINS0_14default_configENS1_25partition_config_selectorILNS1_17partition_subalgoE1EtNS0_10empty_typeEbEEZZNS1_14partition_implILS5_1ELb0ES3_jN6thrust23THRUST_200600_302600_NS6detail15normal_iteratorINSA_10device_ptrItEEEEPS6_NSA_18transform_iteratorI7is_evenItESF_NSA_11use_defaultESK_EENS0_5tupleIJNSA_16discard_iteratorISK_EESF_EEENSM_IJSG_SG_EEES6_PlJS6_EEE10hipError_tPvRmT3_T4_T5_T6_T7_T9_mT8_P12ihipStream_tbDpT10_ENKUlT_T0_E_clISt17integral_constantIbLb1EES1B_EEDaS16_S17_EUlS16_E_NS1_11comp_targetILNS1_3genE9ELNS1_11target_archE1100ELNS1_3gpuE3ELNS1_3repE0EEENS1_30default_config_static_selectorELNS0_4arch9wavefront6targetE1EEEvT1_
	.globl	_ZN7rocprim17ROCPRIM_400000_NS6detail17trampoline_kernelINS0_14default_configENS1_25partition_config_selectorILNS1_17partition_subalgoE1EtNS0_10empty_typeEbEEZZNS1_14partition_implILS5_1ELb0ES3_jN6thrust23THRUST_200600_302600_NS6detail15normal_iteratorINSA_10device_ptrItEEEEPS6_NSA_18transform_iteratorI7is_evenItESF_NSA_11use_defaultESK_EENS0_5tupleIJNSA_16discard_iteratorISK_EESF_EEENSM_IJSG_SG_EEES6_PlJS6_EEE10hipError_tPvRmT3_T4_T5_T6_T7_T9_mT8_P12ihipStream_tbDpT10_ENKUlT_T0_E_clISt17integral_constantIbLb1EES1B_EEDaS16_S17_EUlS16_E_NS1_11comp_targetILNS1_3genE9ELNS1_11target_archE1100ELNS1_3gpuE3ELNS1_3repE0EEENS1_30default_config_static_selectorELNS0_4arch9wavefront6targetE1EEEvT1_
	.p2align	8
	.type	_ZN7rocprim17ROCPRIM_400000_NS6detail17trampoline_kernelINS0_14default_configENS1_25partition_config_selectorILNS1_17partition_subalgoE1EtNS0_10empty_typeEbEEZZNS1_14partition_implILS5_1ELb0ES3_jN6thrust23THRUST_200600_302600_NS6detail15normal_iteratorINSA_10device_ptrItEEEEPS6_NSA_18transform_iteratorI7is_evenItESF_NSA_11use_defaultESK_EENS0_5tupleIJNSA_16discard_iteratorISK_EESF_EEENSM_IJSG_SG_EEES6_PlJS6_EEE10hipError_tPvRmT3_T4_T5_T6_T7_T9_mT8_P12ihipStream_tbDpT10_ENKUlT_T0_E_clISt17integral_constantIbLb1EES1B_EEDaS16_S17_EUlS16_E_NS1_11comp_targetILNS1_3genE9ELNS1_11target_archE1100ELNS1_3gpuE3ELNS1_3repE0EEENS1_30default_config_static_selectorELNS0_4arch9wavefront6targetE1EEEvT1_,@function
_ZN7rocprim17ROCPRIM_400000_NS6detail17trampoline_kernelINS0_14default_configENS1_25partition_config_selectorILNS1_17partition_subalgoE1EtNS0_10empty_typeEbEEZZNS1_14partition_implILS5_1ELb0ES3_jN6thrust23THRUST_200600_302600_NS6detail15normal_iteratorINSA_10device_ptrItEEEEPS6_NSA_18transform_iteratorI7is_evenItESF_NSA_11use_defaultESK_EENS0_5tupleIJNSA_16discard_iteratorISK_EESF_EEENSM_IJSG_SG_EEES6_PlJS6_EEE10hipError_tPvRmT3_T4_T5_T6_T7_T9_mT8_P12ihipStream_tbDpT10_ENKUlT_T0_E_clISt17integral_constantIbLb1EES1B_EEDaS16_S17_EUlS16_E_NS1_11comp_targetILNS1_3genE9ELNS1_11target_archE1100ELNS1_3gpuE3ELNS1_3repE0EEENS1_30default_config_static_selectorELNS0_4arch9wavefront6targetE1EEEvT1_: ; @_ZN7rocprim17ROCPRIM_400000_NS6detail17trampoline_kernelINS0_14default_configENS1_25partition_config_selectorILNS1_17partition_subalgoE1EtNS0_10empty_typeEbEEZZNS1_14partition_implILS5_1ELb0ES3_jN6thrust23THRUST_200600_302600_NS6detail15normal_iteratorINSA_10device_ptrItEEEEPS6_NSA_18transform_iteratorI7is_evenItESF_NSA_11use_defaultESK_EENS0_5tupleIJNSA_16discard_iteratorISK_EESF_EEENSM_IJSG_SG_EEES6_PlJS6_EEE10hipError_tPvRmT3_T4_T5_T6_T7_T9_mT8_P12ihipStream_tbDpT10_ENKUlT_T0_E_clISt17integral_constantIbLb1EES1B_EEDaS16_S17_EUlS16_E_NS1_11comp_targetILNS1_3genE9ELNS1_11target_archE1100ELNS1_3gpuE3ELNS1_3repE0EEENS1_30default_config_static_selectorELNS0_4arch9wavefront6targetE1EEEvT1_
; %bb.0:
	.section	.rodata,"a",@progbits
	.p2align	6, 0x0
	.amdhsa_kernel _ZN7rocprim17ROCPRIM_400000_NS6detail17trampoline_kernelINS0_14default_configENS1_25partition_config_selectorILNS1_17partition_subalgoE1EtNS0_10empty_typeEbEEZZNS1_14partition_implILS5_1ELb0ES3_jN6thrust23THRUST_200600_302600_NS6detail15normal_iteratorINSA_10device_ptrItEEEEPS6_NSA_18transform_iteratorI7is_evenItESF_NSA_11use_defaultESK_EENS0_5tupleIJNSA_16discard_iteratorISK_EESF_EEENSM_IJSG_SG_EEES6_PlJS6_EEE10hipError_tPvRmT3_T4_T5_T6_T7_T9_mT8_P12ihipStream_tbDpT10_ENKUlT_T0_E_clISt17integral_constantIbLb1EES1B_EEDaS16_S17_EUlS16_E_NS1_11comp_targetILNS1_3genE9ELNS1_11target_archE1100ELNS1_3gpuE3ELNS1_3repE0EEENS1_30default_config_static_selectorELNS0_4arch9wavefront6targetE1EEEvT1_
		.amdhsa_group_segment_fixed_size 0
		.amdhsa_private_segment_fixed_size 0
		.amdhsa_kernarg_size 152
		.amdhsa_user_sgpr_count 6
		.amdhsa_user_sgpr_private_segment_buffer 1
		.amdhsa_user_sgpr_dispatch_ptr 0
		.amdhsa_user_sgpr_queue_ptr 0
		.amdhsa_user_sgpr_kernarg_segment_ptr 1
		.amdhsa_user_sgpr_dispatch_id 0
		.amdhsa_user_sgpr_flat_scratch_init 0
		.amdhsa_user_sgpr_kernarg_preload_length 0
		.amdhsa_user_sgpr_kernarg_preload_offset 0
		.amdhsa_user_sgpr_private_segment_size 0
		.amdhsa_uses_dynamic_stack 0
		.amdhsa_system_sgpr_private_segment_wavefront_offset 0
		.amdhsa_system_sgpr_workgroup_id_x 1
		.amdhsa_system_sgpr_workgroup_id_y 0
		.amdhsa_system_sgpr_workgroup_id_z 0
		.amdhsa_system_sgpr_workgroup_info 0
		.amdhsa_system_vgpr_workitem_id 0
		.amdhsa_next_free_vgpr 1
		.amdhsa_next_free_sgpr 0
		.amdhsa_accum_offset 4
		.amdhsa_reserve_vcc 0
		.amdhsa_reserve_flat_scratch 0
		.amdhsa_float_round_mode_32 0
		.amdhsa_float_round_mode_16_64 0
		.amdhsa_float_denorm_mode_32 3
		.amdhsa_float_denorm_mode_16_64 3
		.amdhsa_dx10_clamp 1
		.amdhsa_ieee_mode 1
		.amdhsa_fp16_overflow 0
		.amdhsa_tg_split 0
		.amdhsa_exception_fp_ieee_invalid_op 0
		.amdhsa_exception_fp_denorm_src 0
		.amdhsa_exception_fp_ieee_div_zero 0
		.amdhsa_exception_fp_ieee_overflow 0
		.amdhsa_exception_fp_ieee_underflow 0
		.amdhsa_exception_fp_ieee_inexact 0
		.amdhsa_exception_int_div_zero 0
	.end_amdhsa_kernel
	.section	.text._ZN7rocprim17ROCPRIM_400000_NS6detail17trampoline_kernelINS0_14default_configENS1_25partition_config_selectorILNS1_17partition_subalgoE1EtNS0_10empty_typeEbEEZZNS1_14partition_implILS5_1ELb0ES3_jN6thrust23THRUST_200600_302600_NS6detail15normal_iteratorINSA_10device_ptrItEEEEPS6_NSA_18transform_iteratorI7is_evenItESF_NSA_11use_defaultESK_EENS0_5tupleIJNSA_16discard_iteratorISK_EESF_EEENSM_IJSG_SG_EEES6_PlJS6_EEE10hipError_tPvRmT3_T4_T5_T6_T7_T9_mT8_P12ihipStream_tbDpT10_ENKUlT_T0_E_clISt17integral_constantIbLb1EES1B_EEDaS16_S17_EUlS16_E_NS1_11comp_targetILNS1_3genE9ELNS1_11target_archE1100ELNS1_3gpuE3ELNS1_3repE0EEENS1_30default_config_static_selectorELNS0_4arch9wavefront6targetE1EEEvT1_,"axG",@progbits,_ZN7rocprim17ROCPRIM_400000_NS6detail17trampoline_kernelINS0_14default_configENS1_25partition_config_selectorILNS1_17partition_subalgoE1EtNS0_10empty_typeEbEEZZNS1_14partition_implILS5_1ELb0ES3_jN6thrust23THRUST_200600_302600_NS6detail15normal_iteratorINSA_10device_ptrItEEEEPS6_NSA_18transform_iteratorI7is_evenItESF_NSA_11use_defaultESK_EENS0_5tupleIJNSA_16discard_iteratorISK_EESF_EEENSM_IJSG_SG_EEES6_PlJS6_EEE10hipError_tPvRmT3_T4_T5_T6_T7_T9_mT8_P12ihipStream_tbDpT10_ENKUlT_T0_E_clISt17integral_constantIbLb1EES1B_EEDaS16_S17_EUlS16_E_NS1_11comp_targetILNS1_3genE9ELNS1_11target_archE1100ELNS1_3gpuE3ELNS1_3repE0EEENS1_30default_config_static_selectorELNS0_4arch9wavefront6targetE1EEEvT1_,comdat
.Lfunc_end3145:
	.size	_ZN7rocprim17ROCPRIM_400000_NS6detail17trampoline_kernelINS0_14default_configENS1_25partition_config_selectorILNS1_17partition_subalgoE1EtNS0_10empty_typeEbEEZZNS1_14partition_implILS5_1ELb0ES3_jN6thrust23THRUST_200600_302600_NS6detail15normal_iteratorINSA_10device_ptrItEEEEPS6_NSA_18transform_iteratorI7is_evenItESF_NSA_11use_defaultESK_EENS0_5tupleIJNSA_16discard_iteratorISK_EESF_EEENSM_IJSG_SG_EEES6_PlJS6_EEE10hipError_tPvRmT3_T4_T5_T6_T7_T9_mT8_P12ihipStream_tbDpT10_ENKUlT_T0_E_clISt17integral_constantIbLb1EES1B_EEDaS16_S17_EUlS16_E_NS1_11comp_targetILNS1_3genE9ELNS1_11target_archE1100ELNS1_3gpuE3ELNS1_3repE0EEENS1_30default_config_static_selectorELNS0_4arch9wavefront6targetE1EEEvT1_, .Lfunc_end3145-_ZN7rocprim17ROCPRIM_400000_NS6detail17trampoline_kernelINS0_14default_configENS1_25partition_config_selectorILNS1_17partition_subalgoE1EtNS0_10empty_typeEbEEZZNS1_14partition_implILS5_1ELb0ES3_jN6thrust23THRUST_200600_302600_NS6detail15normal_iteratorINSA_10device_ptrItEEEEPS6_NSA_18transform_iteratorI7is_evenItESF_NSA_11use_defaultESK_EENS0_5tupleIJNSA_16discard_iteratorISK_EESF_EEENSM_IJSG_SG_EEES6_PlJS6_EEE10hipError_tPvRmT3_T4_T5_T6_T7_T9_mT8_P12ihipStream_tbDpT10_ENKUlT_T0_E_clISt17integral_constantIbLb1EES1B_EEDaS16_S17_EUlS16_E_NS1_11comp_targetILNS1_3genE9ELNS1_11target_archE1100ELNS1_3gpuE3ELNS1_3repE0EEENS1_30default_config_static_selectorELNS0_4arch9wavefront6targetE1EEEvT1_
                                        ; -- End function
	.section	.AMDGPU.csdata,"",@progbits
; Kernel info:
; codeLenInByte = 0
; NumSgprs: 4
; NumVgprs: 0
; NumAgprs: 0
; TotalNumVgprs: 0
; ScratchSize: 0
; MemoryBound: 0
; FloatMode: 240
; IeeeMode: 1
; LDSByteSize: 0 bytes/workgroup (compile time only)
; SGPRBlocks: 0
; VGPRBlocks: 0
; NumSGPRsForWavesPerEU: 4
; NumVGPRsForWavesPerEU: 1
; AccumOffset: 4
; Occupancy: 8
; WaveLimiterHint : 0
; COMPUTE_PGM_RSRC2:SCRATCH_EN: 0
; COMPUTE_PGM_RSRC2:USER_SGPR: 6
; COMPUTE_PGM_RSRC2:TRAP_HANDLER: 0
; COMPUTE_PGM_RSRC2:TGID_X_EN: 1
; COMPUTE_PGM_RSRC2:TGID_Y_EN: 0
; COMPUTE_PGM_RSRC2:TGID_Z_EN: 0
; COMPUTE_PGM_RSRC2:TIDIG_COMP_CNT: 0
; COMPUTE_PGM_RSRC3_GFX90A:ACCUM_OFFSET: 0
; COMPUTE_PGM_RSRC3_GFX90A:TG_SPLIT: 0
	.section	.text._ZN7rocprim17ROCPRIM_400000_NS6detail17trampoline_kernelINS0_14default_configENS1_25partition_config_selectorILNS1_17partition_subalgoE1EtNS0_10empty_typeEbEEZZNS1_14partition_implILS5_1ELb0ES3_jN6thrust23THRUST_200600_302600_NS6detail15normal_iteratorINSA_10device_ptrItEEEEPS6_NSA_18transform_iteratorI7is_evenItESF_NSA_11use_defaultESK_EENS0_5tupleIJNSA_16discard_iteratorISK_EESF_EEENSM_IJSG_SG_EEES6_PlJS6_EEE10hipError_tPvRmT3_T4_T5_T6_T7_T9_mT8_P12ihipStream_tbDpT10_ENKUlT_T0_E_clISt17integral_constantIbLb1EES1B_EEDaS16_S17_EUlS16_E_NS1_11comp_targetILNS1_3genE8ELNS1_11target_archE1030ELNS1_3gpuE2ELNS1_3repE0EEENS1_30default_config_static_selectorELNS0_4arch9wavefront6targetE1EEEvT1_,"axG",@progbits,_ZN7rocprim17ROCPRIM_400000_NS6detail17trampoline_kernelINS0_14default_configENS1_25partition_config_selectorILNS1_17partition_subalgoE1EtNS0_10empty_typeEbEEZZNS1_14partition_implILS5_1ELb0ES3_jN6thrust23THRUST_200600_302600_NS6detail15normal_iteratorINSA_10device_ptrItEEEEPS6_NSA_18transform_iteratorI7is_evenItESF_NSA_11use_defaultESK_EENS0_5tupleIJNSA_16discard_iteratorISK_EESF_EEENSM_IJSG_SG_EEES6_PlJS6_EEE10hipError_tPvRmT3_T4_T5_T6_T7_T9_mT8_P12ihipStream_tbDpT10_ENKUlT_T0_E_clISt17integral_constantIbLb1EES1B_EEDaS16_S17_EUlS16_E_NS1_11comp_targetILNS1_3genE8ELNS1_11target_archE1030ELNS1_3gpuE2ELNS1_3repE0EEENS1_30default_config_static_selectorELNS0_4arch9wavefront6targetE1EEEvT1_,comdat
	.protected	_ZN7rocprim17ROCPRIM_400000_NS6detail17trampoline_kernelINS0_14default_configENS1_25partition_config_selectorILNS1_17partition_subalgoE1EtNS0_10empty_typeEbEEZZNS1_14partition_implILS5_1ELb0ES3_jN6thrust23THRUST_200600_302600_NS6detail15normal_iteratorINSA_10device_ptrItEEEEPS6_NSA_18transform_iteratorI7is_evenItESF_NSA_11use_defaultESK_EENS0_5tupleIJNSA_16discard_iteratorISK_EESF_EEENSM_IJSG_SG_EEES6_PlJS6_EEE10hipError_tPvRmT3_T4_T5_T6_T7_T9_mT8_P12ihipStream_tbDpT10_ENKUlT_T0_E_clISt17integral_constantIbLb1EES1B_EEDaS16_S17_EUlS16_E_NS1_11comp_targetILNS1_3genE8ELNS1_11target_archE1030ELNS1_3gpuE2ELNS1_3repE0EEENS1_30default_config_static_selectorELNS0_4arch9wavefront6targetE1EEEvT1_ ; -- Begin function _ZN7rocprim17ROCPRIM_400000_NS6detail17trampoline_kernelINS0_14default_configENS1_25partition_config_selectorILNS1_17partition_subalgoE1EtNS0_10empty_typeEbEEZZNS1_14partition_implILS5_1ELb0ES3_jN6thrust23THRUST_200600_302600_NS6detail15normal_iteratorINSA_10device_ptrItEEEEPS6_NSA_18transform_iteratorI7is_evenItESF_NSA_11use_defaultESK_EENS0_5tupleIJNSA_16discard_iteratorISK_EESF_EEENSM_IJSG_SG_EEES6_PlJS6_EEE10hipError_tPvRmT3_T4_T5_T6_T7_T9_mT8_P12ihipStream_tbDpT10_ENKUlT_T0_E_clISt17integral_constantIbLb1EES1B_EEDaS16_S17_EUlS16_E_NS1_11comp_targetILNS1_3genE8ELNS1_11target_archE1030ELNS1_3gpuE2ELNS1_3repE0EEENS1_30default_config_static_selectorELNS0_4arch9wavefront6targetE1EEEvT1_
	.globl	_ZN7rocprim17ROCPRIM_400000_NS6detail17trampoline_kernelINS0_14default_configENS1_25partition_config_selectorILNS1_17partition_subalgoE1EtNS0_10empty_typeEbEEZZNS1_14partition_implILS5_1ELb0ES3_jN6thrust23THRUST_200600_302600_NS6detail15normal_iteratorINSA_10device_ptrItEEEEPS6_NSA_18transform_iteratorI7is_evenItESF_NSA_11use_defaultESK_EENS0_5tupleIJNSA_16discard_iteratorISK_EESF_EEENSM_IJSG_SG_EEES6_PlJS6_EEE10hipError_tPvRmT3_T4_T5_T6_T7_T9_mT8_P12ihipStream_tbDpT10_ENKUlT_T0_E_clISt17integral_constantIbLb1EES1B_EEDaS16_S17_EUlS16_E_NS1_11comp_targetILNS1_3genE8ELNS1_11target_archE1030ELNS1_3gpuE2ELNS1_3repE0EEENS1_30default_config_static_selectorELNS0_4arch9wavefront6targetE1EEEvT1_
	.p2align	8
	.type	_ZN7rocprim17ROCPRIM_400000_NS6detail17trampoline_kernelINS0_14default_configENS1_25partition_config_selectorILNS1_17partition_subalgoE1EtNS0_10empty_typeEbEEZZNS1_14partition_implILS5_1ELb0ES3_jN6thrust23THRUST_200600_302600_NS6detail15normal_iteratorINSA_10device_ptrItEEEEPS6_NSA_18transform_iteratorI7is_evenItESF_NSA_11use_defaultESK_EENS0_5tupleIJNSA_16discard_iteratorISK_EESF_EEENSM_IJSG_SG_EEES6_PlJS6_EEE10hipError_tPvRmT3_T4_T5_T6_T7_T9_mT8_P12ihipStream_tbDpT10_ENKUlT_T0_E_clISt17integral_constantIbLb1EES1B_EEDaS16_S17_EUlS16_E_NS1_11comp_targetILNS1_3genE8ELNS1_11target_archE1030ELNS1_3gpuE2ELNS1_3repE0EEENS1_30default_config_static_selectorELNS0_4arch9wavefront6targetE1EEEvT1_,@function
_ZN7rocprim17ROCPRIM_400000_NS6detail17trampoline_kernelINS0_14default_configENS1_25partition_config_selectorILNS1_17partition_subalgoE1EtNS0_10empty_typeEbEEZZNS1_14partition_implILS5_1ELb0ES3_jN6thrust23THRUST_200600_302600_NS6detail15normal_iteratorINSA_10device_ptrItEEEEPS6_NSA_18transform_iteratorI7is_evenItESF_NSA_11use_defaultESK_EENS0_5tupleIJNSA_16discard_iteratorISK_EESF_EEENSM_IJSG_SG_EEES6_PlJS6_EEE10hipError_tPvRmT3_T4_T5_T6_T7_T9_mT8_P12ihipStream_tbDpT10_ENKUlT_T0_E_clISt17integral_constantIbLb1EES1B_EEDaS16_S17_EUlS16_E_NS1_11comp_targetILNS1_3genE8ELNS1_11target_archE1030ELNS1_3gpuE2ELNS1_3repE0EEENS1_30default_config_static_selectorELNS0_4arch9wavefront6targetE1EEEvT1_: ; @_ZN7rocprim17ROCPRIM_400000_NS6detail17trampoline_kernelINS0_14default_configENS1_25partition_config_selectorILNS1_17partition_subalgoE1EtNS0_10empty_typeEbEEZZNS1_14partition_implILS5_1ELb0ES3_jN6thrust23THRUST_200600_302600_NS6detail15normal_iteratorINSA_10device_ptrItEEEEPS6_NSA_18transform_iteratorI7is_evenItESF_NSA_11use_defaultESK_EENS0_5tupleIJNSA_16discard_iteratorISK_EESF_EEENSM_IJSG_SG_EEES6_PlJS6_EEE10hipError_tPvRmT3_T4_T5_T6_T7_T9_mT8_P12ihipStream_tbDpT10_ENKUlT_T0_E_clISt17integral_constantIbLb1EES1B_EEDaS16_S17_EUlS16_E_NS1_11comp_targetILNS1_3genE8ELNS1_11target_archE1030ELNS1_3gpuE2ELNS1_3repE0EEENS1_30default_config_static_selectorELNS0_4arch9wavefront6targetE1EEEvT1_
; %bb.0:
	.section	.rodata,"a",@progbits
	.p2align	6, 0x0
	.amdhsa_kernel _ZN7rocprim17ROCPRIM_400000_NS6detail17trampoline_kernelINS0_14default_configENS1_25partition_config_selectorILNS1_17partition_subalgoE1EtNS0_10empty_typeEbEEZZNS1_14partition_implILS5_1ELb0ES3_jN6thrust23THRUST_200600_302600_NS6detail15normal_iteratorINSA_10device_ptrItEEEEPS6_NSA_18transform_iteratorI7is_evenItESF_NSA_11use_defaultESK_EENS0_5tupleIJNSA_16discard_iteratorISK_EESF_EEENSM_IJSG_SG_EEES6_PlJS6_EEE10hipError_tPvRmT3_T4_T5_T6_T7_T9_mT8_P12ihipStream_tbDpT10_ENKUlT_T0_E_clISt17integral_constantIbLb1EES1B_EEDaS16_S17_EUlS16_E_NS1_11comp_targetILNS1_3genE8ELNS1_11target_archE1030ELNS1_3gpuE2ELNS1_3repE0EEENS1_30default_config_static_selectorELNS0_4arch9wavefront6targetE1EEEvT1_
		.amdhsa_group_segment_fixed_size 0
		.amdhsa_private_segment_fixed_size 0
		.amdhsa_kernarg_size 152
		.amdhsa_user_sgpr_count 6
		.amdhsa_user_sgpr_private_segment_buffer 1
		.amdhsa_user_sgpr_dispatch_ptr 0
		.amdhsa_user_sgpr_queue_ptr 0
		.amdhsa_user_sgpr_kernarg_segment_ptr 1
		.amdhsa_user_sgpr_dispatch_id 0
		.amdhsa_user_sgpr_flat_scratch_init 0
		.amdhsa_user_sgpr_kernarg_preload_length 0
		.amdhsa_user_sgpr_kernarg_preload_offset 0
		.amdhsa_user_sgpr_private_segment_size 0
		.amdhsa_uses_dynamic_stack 0
		.amdhsa_system_sgpr_private_segment_wavefront_offset 0
		.amdhsa_system_sgpr_workgroup_id_x 1
		.amdhsa_system_sgpr_workgroup_id_y 0
		.amdhsa_system_sgpr_workgroup_id_z 0
		.amdhsa_system_sgpr_workgroup_info 0
		.amdhsa_system_vgpr_workitem_id 0
		.amdhsa_next_free_vgpr 1
		.amdhsa_next_free_sgpr 0
		.amdhsa_accum_offset 4
		.amdhsa_reserve_vcc 0
		.amdhsa_reserve_flat_scratch 0
		.amdhsa_float_round_mode_32 0
		.amdhsa_float_round_mode_16_64 0
		.amdhsa_float_denorm_mode_32 3
		.amdhsa_float_denorm_mode_16_64 3
		.amdhsa_dx10_clamp 1
		.amdhsa_ieee_mode 1
		.amdhsa_fp16_overflow 0
		.amdhsa_tg_split 0
		.amdhsa_exception_fp_ieee_invalid_op 0
		.amdhsa_exception_fp_denorm_src 0
		.amdhsa_exception_fp_ieee_div_zero 0
		.amdhsa_exception_fp_ieee_overflow 0
		.amdhsa_exception_fp_ieee_underflow 0
		.amdhsa_exception_fp_ieee_inexact 0
		.amdhsa_exception_int_div_zero 0
	.end_amdhsa_kernel
	.section	.text._ZN7rocprim17ROCPRIM_400000_NS6detail17trampoline_kernelINS0_14default_configENS1_25partition_config_selectorILNS1_17partition_subalgoE1EtNS0_10empty_typeEbEEZZNS1_14partition_implILS5_1ELb0ES3_jN6thrust23THRUST_200600_302600_NS6detail15normal_iteratorINSA_10device_ptrItEEEEPS6_NSA_18transform_iteratorI7is_evenItESF_NSA_11use_defaultESK_EENS0_5tupleIJNSA_16discard_iteratorISK_EESF_EEENSM_IJSG_SG_EEES6_PlJS6_EEE10hipError_tPvRmT3_T4_T5_T6_T7_T9_mT8_P12ihipStream_tbDpT10_ENKUlT_T0_E_clISt17integral_constantIbLb1EES1B_EEDaS16_S17_EUlS16_E_NS1_11comp_targetILNS1_3genE8ELNS1_11target_archE1030ELNS1_3gpuE2ELNS1_3repE0EEENS1_30default_config_static_selectorELNS0_4arch9wavefront6targetE1EEEvT1_,"axG",@progbits,_ZN7rocprim17ROCPRIM_400000_NS6detail17trampoline_kernelINS0_14default_configENS1_25partition_config_selectorILNS1_17partition_subalgoE1EtNS0_10empty_typeEbEEZZNS1_14partition_implILS5_1ELb0ES3_jN6thrust23THRUST_200600_302600_NS6detail15normal_iteratorINSA_10device_ptrItEEEEPS6_NSA_18transform_iteratorI7is_evenItESF_NSA_11use_defaultESK_EENS0_5tupleIJNSA_16discard_iteratorISK_EESF_EEENSM_IJSG_SG_EEES6_PlJS6_EEE10hipError_tPvRmT3_T4_T5_T6_T7_T9_mT8_P12ihipStream_tbDpT10_ENKUlT_T0_E_clISt17integral_constantIbLb1EES1B_EEDaS16_S17_EUlS16_E_NS1_11comp_targetILNS1_3genE8ELNS1_11target_archE1030ELNS1_3gpuE2ELNS1_3repE0EEENS1_30default_config_static_selectorELNS0_4arch9wavefront6targetE1EEEvT1_,comdat
.Lfunc_end3146:
	.size	_ZN7rocprim17ROCPRIM_400000_NS6detail17trampoline_kernelINS0_14default_configENS1_25partition_config_selectorILNS1_17partition_subalgoE1EtNS0_10empty_typeEbEEZZNS1_14partition_implILS5_1ELb0ES3_jN6thrust23THRUST_200600_302600_NS6detail15normal_iteratorINSA_10device_ptrItEEEEPS6_NSA_18transform_iteratorI7is_evenItESF_NSA_11use_defaultESK_EENS0_5tupleIJNSA_16discard_iteratorISK_EESF_EEENSM_IJSG_SG_EEES6_PlJS6_EEE10hipError_tPvRmT3_T4_T5_T6_T7_T9_mT8_P12ihipStream_tbDpT10_ENKUlT_T0_E_clISt17integral_constantIbLb1EES1B_EEDaS16_S17_EUlS16_E_NS1_11comp_targetILNS1_3genE8ELNS1_11target_archE1030ELNS1_3gpuE2ELNS1_3repE0EEENS1_30default_config_static_selectorELNS0_4arch9wavefront6targetE1EEEvT1_, .Lfunc_end3146-_ZN7rocprim17ROCPRIM_400000_NS6detail17trampoline_kernelINS0_14default_configENS1_25partition_config_selectorILNS1_17partition_subalgoE1EtNS0_10empty_typeEbEEZZNS1_14partition_implILS5_1ELb0ES3_jN6thrust23THRUST_200600_302600_NS6detail15normal_iteratorINSA_10device_ptrItEEEEPS6_NSA_18transform_iteratorI7is_evenItESF_NSA_11use_defaultESK_EENS0_5tupleIJNSA_16discard_iteratorISK_EESF_EEENSM_IJSG_SG_EEES6_PlJS6_EEE10hipError_tPvRmT3_T4_T5_T6_T7_T9_mT8_P12ihipStream_tbDpT10_ENKUlT_T0_E_clISt17integral_constantIbLb1EES1B_EEDaS16_S17_EUlS16_E_NS1_11comp_targetILNS1_3genE8ELNS1_11target_archE1030ELNS1_3gpuE2ELNS1_3repE0EEENS1_30default_config_static_selectorELNS0_4arch9wavefront6targetE1EEEvT1_
                                        ; -- End function
	.section	.AMDGPU.csdata,"",@progbits
; Kernel info:
; codeLenInByte = 0
; NumSgprs: 4
; NumVgprs: 0
; NumAgprs: 0
; TotalNumVgprs: 0
; ScratchSize: 0
; MemoryBound: 0
; FloatMode: 240
; IeeeMode: 1
; LDSByteSize: 0 bytes/workgroup (compile time only)
; SGPRBlocks: 0
; VGPRBlocks: 0
; NumSGPRsForWavesPerEU: 4
; NumVGPRsForWavesPerEU: 1
; AccumOffset: 4
; Occupancy: 8
; WaveLimiterHint : 0
; COMPUTE_PGM_RSRC2:SCRATCH_EN: 0
; COMPUTE_PGM_RSRC2:USER_SGPR: 6
; COMPUTE_PGM_RSRC2:TRAP_HANDLER: 0
; COMPUTE_PGM_RSRC2:TGID_X_EN: 1
; COMPUTE_PGM_RSRC2:TGID_Y_EN: 0
; COMPUTE_PGM_RSRC2:TGID_Z_EN: 0
; COMPUTE_PGM_RSRC2:TIDIG_COMP_CNT: 0
; COMPUTE_PGM_RSRC3_GFX90A:ACCUM_OFFSET: 0
; COMPUTE_PGM_RSRC3_GFX90A:TG_SPLIT: 0
	.section	.text._ZN7rocprim17ROCPRIM_400000_NS6detail17trampoline_kernelINS0_14default_configENS1_25partition_config_selectorILNS1_17partition_subalgoE1EtNS0_10empty_typeEbEEZZNS1_14partition_implILS5_1ELb0ES3_jN6thrust23THRUST_200600_302600_NS6detail15normal_iteratorINSA_10device_ptrItEEEEPS6_NSA_18transform_iteratorI7is_evenItESF_NSA_11use_defaultESK_EENS0_5tupleIJNSA_16discard_iteratorISK_EESF_EEENSM_IJSG_SG_EEES6_PlJS6_EEE10hipError_tPvRmT3_T4_T5_T6_T7_T9_mT8_P12ihipStream_tbDpT10_ENKUlT_T0_E_clISt17integral_constantIbLb1EES1A_IbLb0EEEEDaS16_S17_EUlS16_E_NS1_11comp_targetILNS1_3genE0ELNS1_11target_archE4294967295ELNS1_3gpuE0ELNS1_3repE0EEENS1_30default_config_static_selectorELNS0_4arch9wavefront6targetE1EEEvT1_,"axG",@progbits,_ZN7rocprim17ROCPRIM_400000_NS6detail17trampoline_kernelINS0_14default_configENS1_25partition_config_selectorILNS1_17partition_subalgoE1EtNS0_10empty_typeEbEEZZNS1_14partition_implILS5_1ELb0ES3_jN6thrust23THRUST_200600_302600_NS6detail15normal_iteratorINSA_10device_ptrItEEEEPS6_NSA_18transform_iteratorI7is_evenItESF_NSA_11use_defaultESK_EENS0_5tupleIJNSA_16discard_iteratorISK_EESF_EEENSM_IJSG_SG_EEES6_PlJS6_EEE10hipError_tPvRmT3_T4_T5_T6_T7_T9_mT8_P12ihipStream_tbDpT10_ENKUlT_T0_E_clISt17integral_constantIbLb1EES1A_IbLb0EEEEDaS16_S17_EUlS16_E_NS1_11comp_targetILNS1_3genE0ELNS1_11target_archE4294967295ELNS1_3gpuE0ELNS1_3repE0EEENS1_30default_config_static_selectorELNS0_4arch9wavefront6targetE1EEEvT1_,comdat
	.protected	_ZN7rocprim17ROCPRIM_400000_NS6detail17trampoline_kernelINS0_14default_configENS1_25partition_config_selectorILNS1_17partition_subalgoE1EtNS0_10empty_typeEbEEZZNS1_14partition_implILS5_1ELb0ES3_jN6thrust23THRUST_200600_302600_NS6detail15normal_iteratorINSA_10device_ptrItEEEEPS6_NSA_18transform_iteratorI7is_evenItESF_NSA_11use_defaultESK_EENS0_5tupleIJNSA_16discard_iteratorISK_EESF_EEENSM_IJSG_SG_EEES6_PlJS6_EEE10hipError_tPvRmT3_T4_T5_T6_T7_T9_mT8_P12ihipStream_tbDpT10_ENKUlT_T0_E_clISt17integral_constantIbLb1EES1A_IbLb0EEEEDaS16_S17_EUlS16_E_NS1_11comp_targetILNS1_3genE0ELNS1_11target_archE4294967295ELNS1_3gpuE0ELNS1_3repE0EEENS1_30default_config_static_selectorELNS0_4arch9wavefront6targetE1EEEvT1_ ; -- Begin function _ZN7rocprim17ROCPRIM_400000_NS6detail17trampoline_kernelINS0_14default_configENS1_25partition_config_selectorILNS1_17partition_subalgoE1EtNS0_10empty_typeEbEEZZNS1_14partition_implILS5_1ELb0ES3_jN6thrust23THRUST_200600_302600_NS6detail15normal_iteratorINSA_10device_ptrItEEEEPS6_NSA_18transform_iteratorI7is_evenItESF_NSA_11use_defaultESK_EENS0_5tupleIJNSA_16discard_iteratorISK_EESF_EEENSM_IJSG_SG_EEES6_PlJS6_EEE10hipError_tPvRmT3_T4_T5_T6_T7_T9_mT8_P12ihipStream_tbDpT10_ENKUlT_T0_E_clISt17integral_constantIbLb1EES1A_IbLb0EEEEDaS16_S17_EUlS16_E_NS1_11comp_targetILNS1_3genE0ELNS1_11target_archE4294967295ELNS1_3gpuE0ELNS1_3repE0EEENS1_30default_config_static_selectorELNS0_4arch9wavefront6targetE1EEEvT1_
	.globl	_ZN7rocprim17ROCPRIM_400000_NS6detail17trampoline_kernelINS0_14default_configENS1_25partition_config_selectorILNS1_17partition_subalgoE1EtNS0_10empty_typeEbEEZZNS1_14partition_implILS5_1ELb0ES3_jN6thrust23THRUST_200600_302600_NS6detail15normal_iteratorINSA_10device_ptrItEEEEPS6_NSA_18transform_iteratorI7is_evenItESF_NSA_11use_defaultESK_EENS0_5tupleIJNSA_16discard_iteratorISK_EESF_EEENSM_IJSG_SG_EEES6_PlJS6_EEE10hipError_tPvRmT3_T4_T5_T6_T7_T9_mT8_P12ihipStream_tbDpT10_ENKUlT_T0_E_clISt17integral_constantIbLb1EES1A_IbLb0EEEEDaS16_S17_EUlS16_E_NS1_11comp_targetILNS1_3genE0ELNS1_11target_archE4294967295ELNS1_3gpuE0ELNS1_3repE0EEENS1_30default_config_static_selectorELNS0_4arch9wavefront6targetE1EEEvT1_
	.p2align	8
	.type	_ZN7rocprim17ROCPRIM_400000_NS6detail17trampoline_kernelINS0_14default_configENS1_25partition_config_selectorILNS1_17partition_subalgoE1EtNS0_10empty_typeEbEEZZNS1_14partition_implILS5_1ELb0ES3_jN6thrust23THRUST_200600_302600_NS6detail15normal_iteratorINSA_10device_ptrItEEEEPS6_NSA_18transform_iteratorI7is_evenItESF_NSA_11use_defaultESK_EENS0_5tupleIJNSA_16discard_iteratorISK_EESF_EEENSM_IJSG_SG_EEES6_PlJS6_EEE10hipError_tPvRmT3_T4_T5_T6_T7_T9_mT8_P12ihipStream_tbDpT10_ENKUlT_T0_E_clISt17integral_constantIbLb1EES1A_IbLb0EEEEDaS16_S17_EUlS16_E_NS1_11comp_targetILNS1_3genE0ELNS1_11target_archE4294967295ELNS1_3gpuE0ELNS1_3repE0EEENS1_30default_config_static_selectorELNS0_4arch9wavefront6targetE1EEEvT1_,@function
_ZN7rocprim17ROCPRIM_400000_NS6detail17trampoline_kernelINS0_14default_configENS1_25partition_config_selectorILNS1_17partition_subalgoE1EtNS0_10empty_typeEbEEZZNS1_14partition_implILS5_1ELb0ES3_jN6thrust23THRUST_200600_302600_NS6detail15normal_iteratorINSA_10device_ptrItEEEEPS6_NSA_18transform_iteratorI7is_evenItESF_NSA_11use_defaultESK_EENS0_5tupleIJNSA_16discard_iteratorISK_EESF_EEENSM_IJSG_SG_EEES6_PlJS6_EEE10hipError_tPvRmT3_T4_T5_T6_T7_T9_mT8_P12ihipStream_tbDpT10_ENKUlT_T0_E_clISt17integral_constantIbLb1EES1A_IbLb0EEEEDaS16_S17_EUlS16_E_NS1_11comp_targetILNS1_3genE0ELNS1_11target_archE4294967295ELNS1_3gpuE0ELNS1_3repE0EEENS1_30default_config_static_selectorELNS0_4arch9wavefront6targetE1EEEvT1_: ; @_ZN7rocprim17ROCPRIM_400000_NS6detail17trampoline_kernelINS0_14default_configENS1_25partition_config_selectorILNS1_17partition_subalgoE1EtNS0_10empty_typeEbEEZZNS1_14partition_implILS5_1ELb0ES3_jN6thrust23THRUST_200600_302600_NS6detail15normal_iteratorINSA_10device_ptrItEEEEPS6_NSA_18transform_iteratorI7is_evenItESF_NSA_11use_defaultESK_EENS0_5tupleIJNSA_16discard_iteratorISK_EESF_EEENSM_IJSG_SG_EEES6_PlJS6_EEE10hipError_tPvRmT3_T4_T5_T6_T7_T9_mT8_P12ihipStream_tbDpT10_ENKUlT_T0_E_clISt17integral_constantIbLb1EES1A_IbLb0EEEEDaS16_S17_EUlS16_E_NS1_11comp_targetILNS1_3genE0ELNS1_11target_archE4294967295ELNS1_3gpuE0ELNS1_3repE0EEENS1_30default_config_static_selectorELNS0_4arch9wavefront6targetE1EEEvT1_
; %bb.0:
	.section	.rodata,"a",@progbits
	.p2align	6, 0x0
	.amdhsa_kernel _ZN7rocprim17ROCPRIM_400000_NS6detail17trampoline_kernelINS0_14default_configENS1_25partition_config_selectorILNS1_17partition_subalgoE1EtNS0_10empty_typeEbEEZZNS1_14partition_implILS5_1ELb0ES3_jN6thrust23THRUST_200600_302600_NS6detail15normal_iteratorINSA_10device_ptrItEEEEPS6_NSA_18transform_iteratorI7is_evenItESF_NSA_11use_defaultESK_EENS0_5tupleIJNSA_16discard_iteratorISK_EESF_EEENSM_IJSG_SG_EEES6_PlJS6_EEE10hipError_tPvRmT3_T4_T5_T6_T7_T9_mT8_P12ihipStream_tbDpT10_ENKUlT_T0_E_clISt17integral_constantIbLb1EES1A_IbLb0EEEEDaS16_S17_EUlS16_E_NS1_11comp_targetILNS1_3genE0ELNS1_11target_archE4294967295ELNS1_3gpuE0ELNS1_3repE0EEENS1_30default_config_static_selectorELNS0_4arch9wavefront6targetE1EEEvT1_
		.amdhsa_group_segment_fixed_size 0
		.amdhsa_private_segment_fixed_size 0
		.amdhsa_kernarg_size 136
		.amdhsa_user_sgpr_count 6
		.amdhsa_user_sgpr_private_segment_buffer 1
		.amdhsa_user_sgpr_dispatch_ptr 0
		.amdhsa_user_sgpr_queue_ptr 0
		.amdhsa_user_sgpr_kernarg_segment_ptr 1
		.amdhsa_user_sgpr_dispatch_id 0
		.amdhsa_user_sgpr_flat_scratch_init 0
		.amdhsa_user_sgpr_kernarg_preload_length 0
		.amdhsa_user_sgpr_kernarg_preload_offset 0
		.amdhsa_user_sgpr_private_segment_size 0
		.amdhsa_uses_dynamic_stack 0
		.amdhsa_system_sgpr_private_segment_wavefront_offset 0
		.amdhsa_system_sgpr_workgroup_id_x 1
		.amdhsa_system_sgpr_workgroup_id_y 0
		.amdhsa_system_sgpr_workgroup_id_z 0
		.amdhsa_system_sgpr_workgroup_info 0
		.amdhsa_system_vgpr_workitem_id 0
		.amdhsa_next_free_vgpr 1
		.amdhsa_next_free_sgpr 0
		.amdhsa_accum_offset 4
		.amdhsa_reserve_vcc 0
		.amdhsa_reserve_flat_scratch 0
		.amdhsa_float_round_mode_32 0
		.amdhsa_float_round_mode_16_64 0
		.amdhsa_float_denorm_mode_32 3
		.amdhsa_float_denorm_mode_16_64 3
		.amdhsa_dx10_clamp 1
		.amdhsa_ieee_mode 1
		.amdhsa_fp16_overflow 0
		.amdhsa_tg_split 0
		.amdhsa_exception_fp_ieee_invalid_op 0
		.amdhsa_exception_fp_denorm_src 0
		.amdhsa_exception_fp_ieee_div_zero 0
		.amdhsa_exception_fp_ieee_overflow 0
		.amdhsa_exception_fp_ieee_underflow 0
		.amdhsa_exception_fp_ieee_inexact 0
		.amdhsa_exception_int_div_zero 0
	.end_amdhsa_kernel
	.section	.text._ZN7rocprim17ROCPRIM_400000_NS6detail17trampoline_kernelINS0_14default_configENS1_25partition_config_selectorILNS1_17partition_subalgoE1EtNS0_10empty_typeEbEEZZNS1_14partition_implILS5_1ELb0ES3_jN6thrust23THRUST_200600_302600_NS6detail15normal_iteratorINSA_10device_ptrItEEEEPS6_NSA_18transform_iteratorI7is_evenItESF_NSA_11use_defaultESK_EENS0_5tupleIJNSA_16discard_iteratorISK_EESF_EEENSM_IJSG_SG_EEES6_PlJS6_EEE10hipError_tPvRmT3_T4_T5_T6_T7_T9_mT8_P12ihipStream_tbDpT10_ENKUlT_T0_E_clISt17integral_constantIbLb1EES1A_IbLb0EEEEDaS16_S17_EUlS16_E_NS1_11comp_targetILNS1_3genE0ELNS1_11target_archE4294967295ELNS1_3gpuE0ELNS1_3repE0EEENS1_30default_config_static_selectorELNS0_4arch9wavefront6targetE1EEEvT1_,"axG",@progbits,_ZN7rocprim17ROCPRIM_400000_NS6detail17trampoline_kernelINS0_14default_configENS1_25partition_config_selectorILNS1_17partition_subalgoE1EtNS0_10empty_typeEbEEZZNS1_14partition_implILS5_1ELb0ES3_jN6thrust23THRUST_200600_302600_NS6detail15normal_iteratorINSA_10device_ptrItEEEEPS6_NSA_18transform_iteratorI7is_evenItESF_NSA_11use_defaultESK_EENS0_5tupleIJNSA_16discard_iteratorISK_EESF_EEENSM_IJSG_SG_EEES6_PlJS6_EEE10hipError_tPvRmT3_T4_T5_T6_T7_T9_mT8_P12ihipStream_tbDpT10_ENKUlT_T0_E_clISt17integral_constantIbLb1EES1A_IbLb0EEEEDaS16_S17_EUlS16_E_NS1_11comp_targetILNS1_3genE0ELNS1_11target_archE4294967295ELNS1_3gpuE0ELNS1_3repE0EEENS1_30default_config_static_selectorELNS0_4arch9wavefront6targetE1EEEvT1_,comdat
.Lfunc_end3147:
	.size	_ZN7rocprim17ROCPRIM_400000_NS6detail17trampoline_kernelINS0_14default_configENS1_25partition_config_selectorILNS1_17partition_subalgoE1EtNS0_10empty_typeEbEEZZNS1_14partition_implILS5_1ELb0ES3_jN6thrust23THRUST_200600_302600_NS6detail15normal_iteratorINSA_10device_ptrItEEEEPS6_NSA_18transform_iteratorI7is_evenItESF_NSA_11use_defaultESK_EENS0_5tupleIJNSA_16discard_iteratorISK_EESF_EEENSM_IJSG_SG_EEES6_PlJS6_EEE10hipError_tPvRmT3_T4_T5_T6_T7_T9_mT8_P12ihipStream_tbDpT10_ENKUlT_T0_E_clISt17integral_constantIbLb1EES1A_IbLb0EEEEDaS16_S17_EUlS16_E_NS1_11comp_targetILNS1_3genE0ELNS1_11target_archE4294967295ELNS1_3gpuE0ELNS1_3repE0EEENS1_30default_config_static_selectorELNS0_4arch9wavefront6targetE1EEEvT1_, .Lfunc_end3147-_ZN7rocprim17ROCPRIM_400000_NS6detail17trampoline_kernelINS0_14default_configENS1_25partition_config_selectorILNS1_17partition_subalgoE1EtNS0_10empty_typeEbEEZZNS1_14partition_implILS5_1ELb0ES3_jN6thrust23THRUST_200600_302600_NS6detail15normal_iteratorINSA_10device_ptrItEEEEPS6_NSA_18transform_iteratorI7is_evenItESF_NSA_11use_defaultESK_EENS0_5tupleIJNSA_16discard_iteratorISK_EESF_EEENSM_IJSG_SG_EEES6_PlJS6_EEE10hipError_tPvRmT3_T4_T5_T6_T7_T9_mT8_P12ihipStream_tbDpT10_ENKUlT_T0_E_clISt17integral_constantIbLb1EES1A_IbLb0EEEEDaS16_S17_EUlS16_E_NS1_11comp_targetILNS1_3genE0ELNS1_11target_archE4294967295ELNS1_3gpuE0ELNS1_3repE0EEENS1_30default_config_static_selectorELNS0_4arch9wavefront6targetE1EEEvT1_
                                        ; -- End function
	.section	.AMDGPU.csdata,"",@progbits
; Kernel info:
; codeLenInByte = 0
; NumSgprs: 4
; NumVgprs: 0
; NumAgprs: 0
; TotalNumVgprs: 0
; ScratchSize: 0
; MemoryBound: 0
; FloatMode: 240
; IeeeMode: 1
; LDSByteSize: 0 bytes/workgroup (compile time only)
; SGPRBlocks: 0
; VGPRBlocks: 0
; NumSGPRsForWavesPerEU: 4
; NumVGPRsForWavesPerEU: 1
; AccumOffset: 4
; Occupancy: 8
; WaveLimiterHint : 0
; COMPUTE_PGM_RSRC2:SCRATCH_EN: 0
; COMPUTE_PGM_RSRC2:USER_SGPR: 6
; COMPUTE_PGM_RSRC2:TRAP_HANDLER: 0
; COMPUTE_PGM_RSRC2:TGID_X_EN: 1
; COMPUTE_PGM_RSRC2:TGID_Y_EN: 0
; COMPUTE_PGM_RSRC2:TGID_Z_EN: 0
; COMPUTE_PGM_RSRC2:TIDIG_COMP_CNT: 0
; COMPUTE_PGM_RSRC3_GFX90A:ACCUM_OFFSET: 0
; COMPUTE_PGM_RSRC3_GFX90A:TG_SPLIT: 0
	.section	.text._ZN7rocprim17ROCPRIM_400000_NS6detail17trampoline_kernelINS0_14default_configENS1_25partition_config_selectorILNS1_17partition_subalgoE1EtNS0_10empty_typeEbEEZZNS1_14partition_implILS5_1ELb0ES3_jN6thrust23THRUST_200600_302600_NS6detail15normal_iteratorINSA_10device_ptrItEEEEPS6_NSA_18transform_iteratorI7is_evenItESF_NSA_11use_defaultESK_EENS0_5tupleIJNSA_16discard_iteratorISK_EESF_EEENSM_IJSG_SG_EEES6_PlJS6_EEE10hipError_tPvRmT3_T4_T5_T6_T7_T9_mT8_P12ihipStream_tbDpT10_ENKUlT_T0_E_clISt17integral_constantIbLb1EES1A_IbLb0EEEEDaS16_S17_EUlS16_E_NS1_11comp_targetILNS1_3genE5ELNS1_11target_archE942ELNS1_3gpuE9ELNS1_3repE0EEENS1_30default_config_static_selectorELNS0_4arch9wavefront6targetE1EEEvT1_,"axG",@progbits,_ZN7rocprim17ROCPRIM_400000_NS6detail17trampoline_kernelINS0_14default_configENS1_25partition_config_selectorILNS1_17partition_subalgoE1EtNS0_10empty_typeEbEEZZNS1_14partition_implILS5_1ELb0ES3_jN6thrust23THRUST_200600_302600_NS6detail15normal_iteratorINSA_10device_ptrItEEEEPS6_NSA_18transform_iteratorI7is_evenItESF_NSA_11use_defaultESK_EENS0_5tupleIJNSA_16discard_iteratorISK_EESF_EEENSM_IJSG_SG_EEES6_PlJS6_EEE10hipError_tPvRmT3_T4_T5_T6_T7_T9_mT8_P12ihipStream_tbDpT10_ENKUlT_T0_E_clISt17integral_constantIbLb1EES1A_IbLb0EEEEDaS16_S17_EUlS16_E_NS1_11comp_targetILNS1_3genE5ELNS1_11target_archE942ELNS1_3gpuE9ELNS1_3repE0EEENS1_30default_config_static_selectorELNS0_4arch9wavefront6targetE1EEEvT1_,comdat
	.protected	_ZN7rocprim17ROCPRIM_400000_NS6detail17trampoline_kernelINS0_14default_configENS1_25partition_config_selectorILNS1_17partition_subalgoE1EtNS0_10empty_typeEbEEZZNS1_14partition_implILS5_1ELb0ES3_jN6thrust23THRUST_200600_302600_NS6detail15normal_iteratorINSA_10device_ptrItEEEEPS6_NSA_18transform_iteratorI7is_evenItESF_NSA_11use_defaultESK_EENS0_5tupleIJNSA_16discard_iteratorISK_EESF_EEENSM_IJSG_SG_EEES6_PlJS6_EEE10hipError_tPvRmT3_T4_T5_T6_T7_T9_mT8_P12ihipStream_tbDpT10_ENKUlT_T0_E_clISt17integral_constantIbLb1EES1A_IbLb0EEEEDaS16_S17_EUlS16_E_NS1_11comp_targetILNS1_3genE5ELNS1_11target_archE942ELNS1_3gpuE9ELNS1_3repE0EEENS1_30default_config_static_selectorELNS0_4arch9wavefront6targetE1EEEvT1_ ; -- Begin function _ZN7rocprim17ROCPRIM_400000_NS6detail17trampoline_kernelINS0_14default_configENS1_25partition_config_selectorILNS1_17partition_subalgoE1EtNS0_10empty_typeEbEEZZNS1_14partition_implILS5_1ELb0ES3_jN6thrust23THRUST_200600_302600_NS6detail15normal_iteratorINSA_10device_ptrItEEEEPS6_NSA_18transform_iteratorI7is_evenItESF_NSA_11use_defaultESK_EENS0_5tupleIJNSA_16discard_iteratorISK_EESF_EEENSM_IJSG_SG_EEES6_PlJS6_EEE10hipError_tPvRmT3_T4_T5_T6_T7_T9_mT8_P12ihipStream_tbDpT10_ENKUlT_T0_E_clISt17integral_constantIbLb1EES1A_IbLb0EEEEDaS16_S17_EUlS16_E_NS1_11comp_targetILNS1_3genE5ELNS1_11target_archE942ELNS1_3gpuE9ELNS1_3repE0EEENS1_30default_config_static_selectorELNS0_4arch9wavefront6targetE1EEEvT1_
	.globl	_ZN7rocprim17ROCPRIM_400000_NS6detail17trampoline_kernelINS0_14default_configENS1_25partition_config_selectorILNS1_17partition_subalgoE1EtNS0_10empty_typeEbEEZZNS1_14partition_implILS5_1ELb0ES3_jN6thrust23THRUST_200600_302600_NS6detail15normal_iteratorINSA_10device_ptrItEEEEPS6_NSA_18transform_iteratorI7is_evenItESF_NSA_11use_defaultESK_EENS0_5tupleIJNSA_16discard_iteratorISK_EESF_EEENSM_IJSG_SG_EEES6_PlJS6_EEE10hipError_tPvRmT3_T4_T5_T6_T7_T9_mT8_P12ihipStream_tbDpT10_ENKUlT_T0_E_clISt17integral_constantIbLb1EES1A_IbLb0EEEEDaS16_S17_EUlS16_E_NS1_11comp_targetILNS1_3genE5ELNS1_11target_archE942ELNS1_3gpuE9ELNS1_3repE0EEENS1_30default_config_static_selectorELNS0_4arch9wavefront6targetE1EEEvT1_
	.p2align	8
	.type	_ZN7rocprim17ROCPRIM_400000_NS6detail17trampoline_kernelINS0_14default_configENS1_25partition_config_selectorILNS1_17partition_subalgoE1EtNS0_10empty_typeEbEEZZNS1_14partition_implILS5_1ELb0ES3_jN6thrust23THRUST_200600_302600_NS6detail15normal_iteratorINSA_10device_ptrItEEEEPS6_NSA_18transform_iteratorI7is_evenItESF_NSA_11use_defaultESK_EENS0_5tupleIJNSA_16discard_iteratorISK_EESF_EEENSM_IJSG_SG_EEES6_PlJS6_EEE10hipError_tPvRmT3_T4_T5_T6_T7_T9_mT8_P12ihipStream_tbDpT10_ENKUlT_T0_E_clISt17integral_constantIbLb1EES1A_IbLb0EEEEDaS16_S17_EUlS16_E_NS1_11comp_targetILNS1_3genE5ELNS1_11target_archE942ELNS1_3gpuE9ELNS1_3repE0EEENS1_30default_config_static_selectorELNS0_4arch9wavefront6targetE1EEEvT1_,@function
_ZN7rocprim17ROCPRIM_400000_NS6detail17trampoline_kernelINS0_14default_configENS1_25partition_config_selectorILNS1_17partition_subalgoE1EtNS0_10empty_typeEbEEZZNS1_14partition_implILS5_1ELb0ES3_jN6thrust23THRUST_200600_302600_NS6detail15normal_iteratorINSA_10device_ptrItEEEEPS6_NSA_18transform_iteratorI7is_evenItESF_NSA_11use_defaultESK_EENS0_5tupleIJNSA_16discard_iteratorISK_EESF_EEENSM_IJSG_SG_EEES6_PlJS6_EEE10hipError_tPvRmT3_T4_T5_T6_T7_T9_mT8_P12ihipStream_tbDpT10_ENKUlT_T0_E_clISt17integral_constantIbLb1EES1A_IbLb0EEEEDaS16_S17_EUlS16_E_NS1_11comp_targetILNS1_3genE5ELNS1_11target_archE942ELNS1_3gpuE9ELNS1_3repE0EEENS1_30default_config_static_selectorELNS0_4arch9wavefront6targetE1EEEvT1_: ; @_ZN7rocprim17ROCPRIM_400000_NS6detail17trampoline_kernelINS0_14default_configENS1_25partition_config_selectorILNS1_17partition_subalgoE1EtNS0_10empty_typeEbEEZZNS1_14partition_implILS5_1ELb0ES3_jN6thrust23THRUST_200600_302600_NS6detail15normal_iteratorINSA_10device_ptrItEEEEPS6_NSA_18transform_iteratorI7is_evenItESF_NSA_11use_defaultESK_EENS0_5tupleIJNSA_16discard_iteratorISK_EESF_EEENSM_IJSG_SG_EEES6_PlJS6_EEE10hipError_tPvRmT3_T4_T5_T6_T7_T9_mT8_P12ihipStream_tbDpT10_ENKUlT_T0_E_clISt17integral_constantIbLb1EES1A_IbLb0EEEEDaS16_S17_EUlS16_E_NS1_11comp_targetILNS1_3genE5ELNS1_11target_archE942ELNS1_3gpuE9ELNS1_3repE0EEENS1_30default_config_static_selectorELNS0_4arch9wavefront6targetE1EEEvT1_
; %bb.0:
	.section	.rodata,"a",@progbits
	.p2align	6, 0x0
	.amdhsa_kernel _ZN7rocprim17ROCPRIM_400000_NS6detail17trampoline_kernelINS0_14default_configENS1_25partition_config_selectorILNS1_17partition_subalgoE1EtNS0_10empty_typeEbEEZZNS1_14partition_implILS5_1ELb0ES3_jN6thrust23THRUST_200600_302600_NS6detail15normal_iteratorINSA_10device_ptrItEEEEPS6_NSA_18transform_iteratorI7is_evenItESF_NSA_11use_defaultESK_EENS0_5tupleIJNSA_16discard_iteratorISK_EESF_EEENSM_IJSG_SG_EEES6_PlJS6_EEE10hipError_tPvRmT3_T4_T5_T6_T7_T9_mT8_P12ihipStream_tbDpT10_ENKUlT_T0_E_clISt17integral_constantIbLb1EES1A_IbLb0EEEEDaS16_S17_EUlS16_E_NS1_11comp_targetILNS1_3genE5ELNS1_11target_archE942ELNS1_3gpuE9ELNS1_3repE0EEENS1_30default_config_static_selectorELNS0_4arch9wavefront6targetE1EEEvT1_
		.amdhsa_group_segment_fixed_size 0
		.amdhsa_private_segment_fixed_size 0
		.amdhsa_kernarg_size 136
		.amdhsa_user_sgpr_count 6
		.amdhsa_user_sgpr_private_segment_buffer 1
		.amdhsa_user_sgpr_dispatch_ptr 0
		.amdhsa_user_sgpr_queue_ptr 0
		.amdhsa_user_sgpr_kernarg_segment_ptr 1
		.amdhsa_user_sgpr_dispatch_id 0
		.amdhsa_user_sgpr_flat_scratch_init 0
		.amdhsa_user_sgpr_kernarg_preload_length 0
		.amdhsa_user_sgpr_kernarg_preload_offset 0
		.amdhsa_user_sgpr_private_segment_size 0
		.amdhsa_uses_dynamic_stack 0
		.amdhsa_system_sgpr_private_segment_wavefront_offset 0
		.amdhsa_system_sgpr_workgroup_id_x 1
		.amdhsa_system_sgpr_workgroup_id_y 0
		.amdhsa_system_sgpr_workgroup_id_z 0
		.amdhsa_system_sgpr_workgroup_info 0
		.amdhsa_system_vgpr_workitem_id 0
		.amdhsa_next_free_vgpr 1
		.amdhsa_next_free_sgpr 0
		.amdhsa_accum_offset 4
		.amdhsa_reserve_vcc 0
		.amdhsa_reserve_flat_scratch 0
		.amdhsa_float_round_mode_32 0
		.amdhsa_float_round_mode_16_64 0
		.amdhsa_float_denorm_mode_32 3
		.amdhsa_float_denorm_mode_16_64 3
		.amdhsa_dx10_clamp 1
		.amdhsa_ieee_mode 1
		.amdhsa_fp16_overflow 0
		.amdhsa_tg_split 0
		.amdhsa_exception_fp_ieee_invalid_op 0
		.amdhsa_exception_fp_denorm_src 0
		.amdhsa_exception_fp_ieee_div_zero 0
		.amdhsa_exception_fp_ieee_overflow 0
		.amdhsa_exception_fp_ieee_underflow 0
		.amdhsa_exception_fp_ieee_inexact 0
		.amdhsa_exception_int_div_zero 0
	.end_amdhsa_kernel
	.section	.text._ZN7rocprim17ROCPRIM_400000_NS6detail17trampoline_kernelINS0_14default_configENS1_25partition_config_selectorILNS1_17partition_subalgoE1EtNS0_10empty_typeEbEEZZNS1_14partition_implILS5_1ELb0ES3_jN6thrust23THRUST_200600_302600_NS6detail15normal_iteratorINSA_10device_ptrItEEEEPS6_NSA_18transform_iteratorI7is_evenItESF_NSA_11use_defaultESK_EENS0_5tupleIJNSA_16discard_iteratorISK_EESF_EEENSM_IJSG_SG_EEES6_PlJS6_EEE10hipError_tPvRmT3_T4_T5_T6_T7_T9_mT8_P12ihipStream_tbDpT10_ENKUlT_T0_E_clISt17integral_constantIbLb1EES1A_IbLb0EEEEDaS16_S17_EUlS16_E_NS1_11comp_targetILNS1_3genE5ELNS1_11target_archE942ELNS1_3gpuE9ELNS1_3repE0EEENS1_30default_config_static_selectorELNS0_4arch9wavefront6targetE1EEEvT1_,"axG",@progbits,_ZN7rocprim17ROCPRIM_400000_NS6detail17trampoline_kernelINS0_14default_configENS1_25partition_config_selectorILNS1_17partition_subalgoE1EtNS0_10empty_typeEbEEZZNS1_14partition_implILS5_1ELb0ES3_jN6thrust23THRUST_200600_302600_NS6detail15normal_iteratorINSA_10device_ptrItEEEEPS6_NSA_18transform_iteratorI7is_evenItESF_NSA_11use_defaultESK_EENS0_5tupleIJNSA_16discard_iteratorISK_EESF_EEENSM_IJSG_SG_EEES6_PlJS6_EEE10hipError_tPvRmT3_T4_T5_T6_T7_T9_mT8_P12ihipStream_tbDpT10_ENKUlT_T0_E_clISt17integral_constantIbLb1EES1A_IbLb0EEEEDaS16_S17_EUlS16_E_NS1_11comp_targetILNS1_3genE5ELNS1_11target_archE942ELNS1_3gpuE9ELNS1_3repE0EEENS1_30default_config_static_selectorELNS0_4arch9wavefront6targetE1EEEvT1_,comdat
.Lfunc_end3148:
	.size	_ZN7rocprim17ROCPRIM_400000_NS6detail17trampoline_kernelINS0_14default_configENS1_25partition_config_selectorILNS1_17partition_subalgoE1EtNS0_10empty_typeEbEEZZNS1_14partition_implILS5_1ELb0ES3_jN6thrust23THRUST_200600_302600_NS6detail15normal_iteratorINSA_10device_ptrItEEEEPS6_NSA_18transform_iteratorI7is_evenItESF_NSA_11use_defaultESK_EENS0_5tupleIJNSA_16discard_iteratorISK_EESF_EEENSM_IJSG_SG_EEES6_PlJS6_EEE10hipError_tPvRmT3_T4_T5_T6_T7_T9_mT8_P12ihipStream_tbDpT10_ENKUlT_T0_E_clISt17integral_constantIbLb1EES1A_IbLb0EEEEDaS16_S17_EUlS16_E_NS1_11comp_targetILNS1_3genE5ELNS1_11target_archE942ELNS1_3gpuE9ELNS1_3repE0EEENS1_30default_config_static_selectorELNS0_4arch9wavefront6targetE1EEEvT1_, .Lfunc_end3148-_ZN7rocprim17ROCPRIM_400000_NS6detail17trampoline_kernelINS0_14default_configENS1_25partition_config_selectorILNS1_17partition_subalgoE1EtNS0_10empty_typeEbEEZZNS1_14partition_implILS5_1ELb0ES3_jN6thrust23THRUST_200600_302600_NS6detail15normal_iteratorINSA_10device_ptrItEEEEPS6_NSA_18transform_iteratorI7is_evenItESF_NSA_11use_defaultESK_EENS0_5tupleIJNSA_16discard_iteratorISK_EESF_EEENSM_IJSG_SG_EEES6_PlJS6_EEE10hipError_tPvRmT3_T4_T5_T6_T7_T9_mT8_P12ihipStream_tbDpT10_ENKUlT_T0_E_clISt17integral_constantIbLb1EES1A_IbLb0EEEEDaS16_S17_EUlS16_E_NS1_11comp_targetILNS1_3genE5ELNS1_11target_archE942ELNS1_3gpuE9ELNS1_3repE0EEENS1_30default_config_static_selectorELNS0_4arch9wavefront6targetE1EEEvT1_
                                        ; -- End function
	.section	.AMDGPU.csdata,"",@progbits
; Kernel info:
; codeLenInByte = 0
; NumSgprs: 4
; NumVgprs: 0
; NumAgprs: 0
; TotalNumVgprs: 0
; ScratchSize: 0
; MemoryBound: 0
; FloatMode: 240
; IeeeMode: 1
; LDSByteSize: 0 bytes/workgroup (compile time only)
; SGPRBlocks: 0
; VGPRBlocks: 0
; NumSGPRsForWavesPerEU: 4
; NumVGPRsForWavesPerEU: 1
; AccumOffset: 4
; Occupancy: 8
; WaveLimiterHint : 0
; COMPUTE_PGM_RSRC2:SCRATCH_EN: 0
; COMPUTE_PGM_RSRC2:USER_SGPR: 6
; COMPUTE_PGM_RSRC2:TRAP_HANDLER: 0
; COMPUTE_PGM_RSRC2:TGID_X_EN: 1
; COMPUTE_PGM_RSRC2:TGID_Y_EN: 0
; COMPUTE_PGM_RSRC2:TGID_Z_EN: 0
; COMPUTE_PGM_RSRC2:TIDIG_COMP_CNT: 0
; COMPUTE_PGM_RSRC3_GFX90A:ACCUM_OFFSET: 0
; COMPUTE_PGM_RSRC3_GFX90A:TG_SPLIT: 0
	.section	.text._ZN7rocprim17ROCPRIM_400000_NS6detail17trampoline_kernelINS0_14default_configENS1_25partition_config_selectorILNS1_17partition_subalgoE1EtNS0_10empty_typeEbEEZZNS1_14partition_implILS5_1ELb0ES3_jN6thrust23THRUST_200600_302600_NS6detail15normal_iteratorINSA_10device_ptrItEEEEPS6_NSA_18transform_iteratorI7is_evenItESF_NSA_11use_defaultESK_EENS0_5tupleIJNSA_16discard_iteratorISK_EESF_EEENSM_IJSG_SG_EEES6_PlJS6_EEE10hipError_tPvRmT3_T4_T5_T6_T7_T9_mT8_P12ihipStream_tbDpT10_ENKUlT_T0_E_clISt17integral_constantIbLb1EES1A_IbLb0EEEEDaS16_S17_EUlS16_E_NS1_11comp_targetILNS1_3genE4ELNS1_11target_archE910ELNS1_3gpuE8ELNS1_3repE0EEENS1_30default_config_static_selectorELNS0_4arch9wavefront6targetE1EEEvT1_,"axG",@progbits,_ZN7rocprim17ROCPRIM_400000_NS6detail17trampoline_kernelINS0_14default_configENS1_25partition_config_selectorILNS1_17partition_subalgoE1EtNS0_10empty_typeEbEEZZNS1_14partition_implILS5_1ELb0ES3_jN6thrust23THRUST_200600_302600_NS6detail15normal_iteratorINSA_10device_ptrItEEEEPS6_NSA_18transform_iteratorI7is_evenItESF_NSA_11use_defaultESK_EENS0_5tupleIJNSA_16discard_iteratorISK_EESF_EEENSM_IJSG_SG_EEES6_PlJS6_EEE10hipError_tPvRmT3_T4_T5_T6_T7_T9_mT8_P12ihipStream_tbDpT10_ENKUlT_T0_E_clISt17integral_constantIbLb1EES1A_IbLb0EEEEDaS16_S17_EUlS16_E_NS1_11comp_targetILNS1_3genE4ELNS1_11target_archE910ELNS1_3gpuE8ELNS1_3repE0EEENS1_30default_config_static_selectorELNS0_4arch9wavefront6targetE1EEEvT1_,comdat
	.protected	_ZN7rocprim17ROCPRIM_400000_NS6detail17trampoline_kernelINS0_14default_configENS1_25partition_config_selectorILNS1_17partition_subalgoE1EtNS0_10empty_typeEbEEZZNS1_14partition_implILS5_1ELb0ES3_jN6thrust23THRUST_200600_302600_NS6detail15normal_iteratorINSA_10device_ptrItEEEEPS6_NSA_18transform_iteratorI7is_evenItESF_NSA_11use_defaultESK_EENS0_5tupleIJNSA_16discard_iteratorISK_EESF_EEENSM_IJSG_SG_EEES6_PlJS6_EEE10hipError_tPvRmT3_T4_T5_T6_T7_T9_mT8_P12ihipStream_tbDpT10_ENKUlT_T0_E_clISt17integral_constantIbLb1EES1A_IbLb0EEEEDaS16_S17_EUlS16_E_NS1_11comp_targetILNS1_3genE4ELNS1_11target_archE910ELNS1_3gpuE8ELNS1_3repE0EEENS1_30default_config_static_selectorELNS0_4arch9wavefront6targetE1EEEvT1_ ; -- Begin function _ZN7rocprim17ROCPRIM_400000_NS6detail17trampoline_kernelINS0_14default_configENS1_25partition_config_selectorILNS1_17partition_subalgoE1EtNS0_10empty_typeEbEEZZNS1_14partition_implILS5_1ELb0ES3_jN6thrust23THRUST_200600_302600_NS6detail15normal_iteratorINSA_10device_ptrItEEEEPS6_NSA_18transform_iteratorI7is_evenItESF_NSA_11use_defaultESK_EENS0_5tupleIJNSA_16discard_iteratorISK_EESF_EEENSM_IJSG_SG_EEES6_PlJS6_EEE10hipError_tPvRmT3_T4_T5_T6_T7_T9_mT8_P12ihipStream_tbDpT10_ENKUlT_T0_E_clISt17integral_constantIbLb1EES1A_IbLb0EEEEDaS16_S17_EUlS16_E_NS1_11comp_targetILNS1_3genE4ELNS1_11target_archE910ELNS1_3gpuE8ELNS1_3repE0EEENS1_30default_config_static_selectorELNS0_4arch9wavefront6targetE1EEEvT1_
	.globl	_ZN7rocprim17ROCPRIM_400000_NS6detail17trampoline_kernelINS0_14default_configENS1_25partition_config_selectorILNS1_17partition_subalgoE1EtNS0_10empty_typeEbEEZZNS1_14partition_implILS5_1ELb0ES3_jN6thrust23THRUST_200600_302600_NS6detail15normal_iteratorINSA_10device_ptrItEEEEPS6_NSA_18transform_iteratorI7is_evenItESF_NSA_11use_defaultESK_EENS0_5tupleIJNSA_16discard_iteratorISK_EESF_EEENSM_IJSG_SG_EEES6_PlJS6_EEE10hipError_tPvRmT3_T4_T5_T6_T7_T9_mT8_P12ihipStream_tbDpT10_ENKUlT_T0_E_clISt17integral_constantIbLb1EES1A_IbLb0EEEEDaS16_S17_EUlS16_E_NS1_11comp_targetILNS1_3genE4ELNS1_11target_archE910ELNS1_3gpuE8ELNS1_3repE0EEENS1_30default_config_static_selectorELNS0_4arch9wavefront6targetE1EEEvT1_
	.p2align	8
	.type	_ZN7rocprim17ROCPRIM_400000_NS6detail17trampoline_kernelINS0_14default_configENS1_25partition_config_selectorILNS1_17partition_subalgoE1EtNS0_10empty_typeEbEEZZNS1_14partition_implILS5_1ELb0ES3_jN6thrust23THRUST_200600_302600_NS6detail15normal_iteratorINSA_10device_ptrItEEEEPS6_NSA_18transform_iteratorI7is_evenItESF_NSA_11use_defaultESK_EENS0_5tupleIJNSA_16discard_iteratorISK_EESF_EEENSM_IJSG_SG_EEES6_PlJS6_EEE10hipError_tPvRmT3_T4_T5_T6_T7_T9_mT8_P12ihipStream_tbDpT10_ENKUlT_T0_E_clISt17integral_constantIbLb1EES1A_IbLb0EEEEDaS16_S17_EUlS16_E_NS1_11comp_targetILNS1_3genE4ELNS1_11target_archE910ELNS1_3gpuE8ELNS1_3repE0EEENS1_30default_config_static_selectorELNS0_4arch9wavefront6targetE1EEEvT1_,@function
_ZN7rocprim17ROCPRIM_400000_NS6detail17trampoline_kernelINS0_14default_configENS1_25partition_config_selectorILNS1_17partition_subalgoE1EtNS0_10empty_typeEbEEZZNS1_14partition_implILS5_1ELb0ES3_jN6thrust23THRUST_200600_302600_NS6detail15normal_iteratorINSA_10device_ptrItEEEEPS6_NSA_18transform_iteratorI7is_evenItESF_NSA_11use_defaultESK_EENS0_5tupleIJNSA_16discard_iteratorISK_EESF_EEENSM_IJSG_SG_EEES6_PlJS6_EEE10hipError_tPvRmT3_T4_T5_T6_T7_T9_mT8_P12ihipStream_tbDpT10_ENKUlT_T0_E_clISt17integral_constantIbLb1EES1A_IbLb0EEEEDaS16_S17_EUlS16_E_NS1_11comp_targetILNS1_3genE4ELNS1_11target_archE910ELNS1_3gpuE8ELNS1_3repE0EEENS1_30default_config_static_selectorELNS0_4arch9wavefront6targetE1EEEvT1_: ; @_ZN7rocprim17ROCPRIM_400000_NS6detail17trampoline_kernelINS0_14default_configENS1_25partition_config_selectorILNS1_17partition_subalgoE1EtNS0_10empty_typeEbEEZZNS1_14partition_implILS5_1ELb0ES3_jN6thrust23THRUST_200600_302600_NS6detail15normal_iteratorINSA_10device_ptrItEEEEPS6_NSA_18transform_iteratorI7is_evenItESF_NSA_11use_defaultESK_EENS0_5tupleIJNSA_16discard_iteratorISK_EESF_EEENSM_IJSG_SG_EEES6_PlJS6_EEE10hipError_tPvRmT3_T4_T5_T6_T7_T9_mT8_P12ihipStream_tbDpT10_ENKUlT_T0_E_clISt17integral_constantIbLb1EES1A_IbLb0EEEEDaS16_S17_EUlS16_E_NS1_11comp_targetILNS1_3genE4ELNS1_11target_archE910ELNS1_3gpuE8ELNS1_3repE0EEENS1_30default_config_static_selectorELNS0_4arch9wavefront6targetE1EEEvT1_
; %bb.0:
	s_load_dwordx2 s[0:1], s[4:5], 0x68
	s_load_dwordx4 s[24:27], s[4:5], 0x8
	s_load_dwordx2 s[2:3], s[4:5], 0x20
	s_load_dwordx4 s[20:23], s[4:5], 0x58
	s_mul_i32 s10, s6, 0x1400
	s_waitcnt lgkmcnt(0)
	v_mov_b32_e32 v3, s1
	s_load_dword s1, s[4:5], 0x80
	s_lshl_b64 s[8:9], s[26:27], 1
	s_add_u32 s7, s24, s8
	s_addc_u32 s12, s25, s9
	v_mov_b32_e32 v2, s0
	s_waitcnt lgkmcnt(0)
	s_add_i32 s13, s1, -1
	s_mulk_i32 s1, 0x1400
	s_add_i32 s11, s1, s26
	s_sub_i32 s33, s0, s11
	s_addk_i32 s33, 0x1400
	s_add_u32 s0, s26, s1
	s_addc_u32 s1, s27, 0
	s_cmp_eq_u32 s6, s13
	s_load_dwordx2 s[28:29], s[22:23], 0x0
	s_cselect_b64 s[22:23], -1, 0
	s_cmp_lg_u32 s6, s13
	s_mov_b32 s11, 0
	v_cmp_lt_u64_e32 vcc, s[0:1], v[2:3]
	s_cselect_b64 s[0:1], -1, 0
	s_or_b64 s[24:25], s[0:1], vcc
	s_lshl_b64 s[30:31], s[10:11], 1
	s_add_u32 s7, s7, s30
	s_addc_u32 s12, s12, s31
	s_mov_b64 s[0:1], -1
	s_and_b64 vcc, exec, s[24:25]
	v_lshlrev_b32_e32 v26, 1, v0
	s_cbranch_vccz .LBB3149_2
; %bb.1:
	v_mov_b32_e32 v1, s12
	v_add_co_u32_e32 v2, vcc, s7, v26
	v_addc_co_u32_e32 v3, vcc, 0, v1, vcc
	v_add_co_u32_e32 v4, vcc, 0x1000, v2
	v_addc_co_u32_e32 v5, vcc, 0, v3, vcc
	flat_load_ushort v1, v[2:3]
	flat_load_ushort v6, v[2:3] offset:512
	flat_load_ushort v7, v[2:3] offset:1024
	;; [unrolled: 1-line block ×7, first 2 shown]
	v_add_co_u32_e32 v2, vcc, 0x2000, v2
	v_addc_co_u32_e32 v3, vcc, 0, v3, vcc
	flat_load_ushort v13, v[4:5]
	flat_load_ushort v14, v[4:5] offset:512
	flat_load_ushort v15, v[4:5] offset:1024
	;; [unrolled: 1-line block ×7, first 2 shown]
	s_nop 0
	flat_load_ushort v4, v[2:3]
	flat_load_ushort v5, v[2:3] offset:512
	flat_load_ushort v21, v[2:3] offset:1024
	;; [unrolled: 1-line block ×3, first 2 shown]
	s_mov_b64 s[0:1], 0
	s_waitcnt vmcnt(0) lgkmcnt(0)
	ds_write_b16 v26, v1
	ds_write_b16 v26, v6 offset:512
	ds_write_b16 v26, v7 offset:1024
	;; [unrolled: 1-line block ×19, first 2 shown]
	s_waitcnt lgkmcnt(0)
	s_barrier
.LBB3149_2:
	s_andn2_b64 vcc, exec, s[0:1]
	v_cmp_gt_u32_e64 s[0:1], s33, v0
	s_cbranch_vccnz .LBB3149_44
; %bb.3:
                                        ; implicit-def: $vgpr1
	s_and_saveexec_b64 s[10:11], s[0:1]
	s_cbranch_execz .LBB3149_5
; %bb.4:
	v_mov_b32_e32 v1, s12
	v_add_co_u32_e32 v2, vcc, s7, v26
	v_addc_co_u32_e32 v3, vcc, 0, v1, vcc
	flat_load_ushort v1, v[2:3]
.LBB3149_5:
	s_or_b64 exec, exec, s[10:11]
	v_or_b32_e32 v2, 0x100, v0
	v_cmp_gt_u32_e32 vcc, s33, v2
                                        ; implicit-def: $vgpr2
	s_and_saveexec_b64 s[0:1], vcc
	s_cbranch_execz .LBB3149_7
; %bb.6:
	v_mov_b32_e32 v3, s12
	v_add_co_u32_e32 v2, vcc, s7, v26
	v_addc_co_u32_e32 v3, vcc, 0, v3, vcc
	flat_load_ushort v2, v[2:3] offset:512
.LBB3149_7:
	s_or_b64 exec, exec, s[0:1]
	v_or_b32_e32 v3, 0x200, v0
	v_cmp_gt_u32_e32 vcc, s33, v3
                                        ; implicit-def: $vgpr3
	s_and_saveexec_b64 s[0:1], vcc
	s_cbranch_execz .LBB3149_9
; %bb.8:
	v_mov_b32_e32 v3, s12
	v_add_co_u32_e32 v4, vcc, s7, v26
	v_addc_co_u32_e32 v5, vcc, 0, v3, vcc
	flat_load_ushort v3, v[4:5] offset:1024
.LBB3149_9:
	s_or_b64 exec, exec, s[0:1]
	v_or_b32_e32 v4, 0x300, v0
	v_cmp_gt_u32_e32 vcc, s33, v4
                                        ; implicit-def: $vgpr4
	s_and_saveexec_b64 s[0:1], vcc
	s_cbranch_execz .LBB3149_11
; %bb.10:
	v_mov_b32_e32 v5, s12
	v_add_co_u32_e32 v4, vcc, s7, v26
	v_addc_co_u32_e32 v5, vcc, 0, v5, vcc
	flat_load_ushort v4, v[4:5] offset:1536
.LBB3149_11:
	s_or_b64 exec, exec, s[0:1]
	v_or_b32_e32 v5, 0x400, v0
	v_cmp_gt_u32_e32 vcc, s33, v5
                                        ; implicit-def: $vgpr5
	s_and_saveexec_b64 s[0:1], vcc
	s_cbranch_execz .LBB3149_13
; %bb.12:
	v_mov_b32_e32 v5, s12
	v_add_co_u32_e32 v6, vcc, s7, v26
	v_addc_co_u32_e32 v7, vcc, 0, v5, vcc
	flat_load_ushort v5, v[6:7] offset:2048
.LBB3149_13:
	s_or_b64 exec, exec, s[0:1]
	v_or_b32_e32 v6, 0x500, v0
	v_cmp_gt_u32_e32 vcc, s33, v6
                                        ; implicit-def: $vgpr6
	s_and_saveexec_b64 s[0:1], vcc
	s_cbranch_execz .LBB3149_15
; %bb.14:
	v_mov_b32_e32 v7, s12
	v_add_co_u32_e32 v6, vcc, s7, v26
	v_addc_co_u32_e32 v7, vcc, 0, v7, vcc
	flat_load_ushort v6, v[6:7] offset:2560
.LBB3149_15:
	s_or_b64 exec, exec, s[0:1]
	v_or_b32_e32 v7, 0x600, v0
	v_cmp_gt_u32_e32 vcc, s33, v7
                                        ; implicit-def: $vgpr7
	s_and_saveexec_b64 s[0:1], vcc
	s_cbranch_execz .LBB3149_17
; %bb.16:
	v_mov_b32_e32 v7, s12
	v_add_co_u32_e32 v8, vcc, s7, v26
	v_addc_co_u32_e32 v9, vcc, 0, v7, vcc
	flat_load_ushort v7, v[8:9] offset:3072
.LBB3149_17:
	s_or_b64 exec, exec, s[0:1]
	v_or_b32_e32 v8, 0x700, v0
	v_cmp_gt_u32_e32 vcc, s33, v8
                                        ; implicit-def: $vgpr8
	s_and_saveexec_b64 s[0:1], vcc
	s_cbranch_execz .LBB3149_19
; %bb.18:
	v_mov_b32_e32 v9, s12
	v_add_co_u32_e32 v8, vcc, s7, v26
	v_addc_co_u32_e32 v9, vcc, 0, v9, vcc
	flat_load_ushort v8, v[8:9] offset:3584
.LBB3149_19:
	s_or_b64 exec, exec, s[0:1]
	v_or_b32_e32 v10, 0x800, v0
	v_cmp_gt_u32_e32 vcc, s33, v10
                                        ; implicit-def: $vgpr9
	s_and_saveexec_b64 s[0:1], vcc
	s_cbranch_execz .LBB3149_21
; %bb.20:
	v_lshlrev_b32_e32 v9, 1, v10
	v_mov_b32_e32 v11, s12
	v_add_co_u32_e32 v10, vcc, s7, v9
	v_addc_co_u32_e32 v11, vcc, 0, v11, vcc
	flat_load_ushort v9, v[10:11]
.LBB3149_21:
	s_or_b64 exec, exec, s[0:1]
	v_or_b32_e32 v11, 0x900, v0
	v_cmp_gt_u32_e32 vcc, s33, v11
                                        ; implicit-def: $vgpr10
	s_and_saveexec_b64 s[0:1], vcc
	s_cbranch_execz .LBB3149_23
; %bb.22:
	v_lshlrev_b32_e32 v10, 1, v11
	v_mov_b32_e32 v11, s12
	v_add_co_u32_e32 v10, vcc, s7, v10
	v_addc_co_u32_e32 v11, vcc, 0, v11, vcc
	flat_load_ushort v10, v[10:11]
.LBB3149_23:
	s_or_b64 exec, exec, s[0:1]
	v_or_b32_e32 v12, 0xa00, v0
	v_cmp_gt_u32_e32 vcc, s33, v12
                                        ; implicit-def: $vgpr11
	s_and_saveexec_b64 s[0:1], vcc
	s_cbranch_execz .LBB3149_25
; %bb.24:
	v_lshlrev_b32_e32 v11, 1, v12
	v_mov_b32_e32 v13, s12
	v_add_co_u32_e32 v12, vcc, s7, v11
	v_addc_co_u32_e32 v13, vcc, 0, v13, vcc
	flat_load_ushort v11, v[12:13]
.LBB3149_25:
	s_or_b64 exec, exec, s[0:1]
	v_or_b32_e32 v13, 0xb00, v0
	v_cmp_gt_u32_e32 vcc, s33, v13
                                        ; implicit-def: $vgpr12
	s_and_saveexec_b64 s[0:1], vcc
	s_cbranch_execz .LBB3149_27
; %bb.26:
	v_lshlrev_b32_e32 v12, 1, v13
	v_mov_b32_e32 v13, s12
	v_add_co_u32_e32 v12, vcc, s7, v12
	v_addc_co_u32_e32 v13, vcc, 0, v13, vcc
	flat_load_ushort v12, v[12:13]
.LBB3149_27:
	s_or_b64 exec, exec, s[0:1]
	v_or_b32_e32 v14, 0xc00, v0
	v_cmp_gt_u32_e32 vcc, s33, v14
                                        ; implicit-def: $vgpr13
	s_and_saveexec_b64 s[0:1], vcc
	s_cbranch_execz .LBB3149_29
; %bb.28:
	v_lshlrev_b32_e32 v13, 1, v14
	v_mov_b32_e32 v15, s12
	v_add_co_u32_e32 v14, vcc, s7, v13
	v_addc_co_u32_e32 v15, vcc, 0, v15, vcc
	flat_load_ushort v13, v[14:15]
.LBB3149_29:
	s_or_b64 exec, exec, s[0:1]
	v_or_b32_e32 v15, 0xd00, v0
	v_cmp_gt_u32_e32 vcc, s33, v15
                                        ; implicit-def: $vgpr14
	s_and_saveexec_b64 s[0:1], vcc
	s_cbranch_execz .LBB3149_31
; %bb.30:
	v_lshlrev_b32_e32 v14, 1, v15
	v_mov_b32_e32 v15, s12
	v_add_co_u32_e32 v14, vcc, s7, v14
	v_addc_co_u32_e32 v15, vcc, 0, v15, vcc
	flat_load_ushort v14, v[14:15]
.LBB3149_31:
	s_or_b64 exec, exec, s[0:1]
	v_or_b32_e32 v16, 0xe00, v0
	v_cmp_gt_u32_e32 vcc, s33, v16
                                        ; implicit-def: $vgpr15
	s_and_saveexec_b64 s[0:1], vcc
	s_cbranch_execz .LBB3149_33
; %bb.32:
	v_lshlrev_b32_e32 v15, 1, v16
	v_mov_b32_e32 v17, s12
	v_add_co_u32_e32 v16, vcc, s7, v15
	v_addc_co_u32_e32 v17, vcc, 0, v17, vcc
	flat_load_ushort v15, v[16:17]
.LBB3149_33:
	s_or_b64 exec, exec, s[0:1]
	v_or_b32_e32 v17, 0xf00, v0
	v_cmp_gt_u32_e32 vcc, s33, v17
                                        ; implicit-def: $vgpr16
	s_and_saveexec_b64 s[0:1], vcc
	s_cbranch_execz .LBB3149_35
; %bb.34:
	v_lshlrev_b32_e32 v16, 1, v17
	v_mov_b32_e32 v17, s12
	v_add_co_u32_e32 v16, vcc, s7, v16
	v_addc_co_u32_e32 v17, vcc, 0, v17, vcc
	flat_load_ushort v16, v[16:17]
.LBB3149_35:
	s_or_b64 exec, exec, s[0:1]
	v_or_b32_e32 v18, 0x1000, v0
	v_cmp_gt_u32_e32 vcc, s33, v18
                                        ; implicit-def: $vgpr17
	s_and_saveexec_b64 s[0:1], vcc
	s_cbranch_execz .LBB3149_37
; %bb.36:
	v_lshlrev_b32_e32 v17, 1, v18
	v_mov_b32_e32 v19, s12
	v_add_co_u32_e32 v18, vcc, s7, v17
	v_addc_co_u32_e32 v19, vcc, 0, v19, vcc
	flat_load_ushort v17, v[18:19]
.LBB3149_37:
	s_or_b64 exec, exec, s[0:1]
	v_or_b32_e32 v19, 0x1100, v0
	v_cmp_gt_u32_e32 vcc, s33, v19
                                        ; implicit-def: $vgpr18
	s_and_saveexec_b64 s[0:1], vcc
	s_cbranch_execz .LBB3149_39
; %bb.38:
	v_lshlrev_b32_e32 v18, 1, v19
	v_mov_b32_e32 v19, s12
	v_add_co_u32_e32 v18, vcc, s7, v18
	v_addc_co_u32_e32 v19, vcc, 0, v19, vcc
	flat_load_ushort v18, v[18:19]
.LBB3149_39:
	s_or_b64 exec, exec, s[0:1]
	v_or_b32_e32 v20, 0x1200, v0
	v_cmp_gt_u32_e32 vcc, s33, v20
                                        ; implicit-def: $vgpr19
	s_and_saveexec_b64 s[0:1], vcc
	s_cbranch_execz .LBB3149_41
; %bb.40:
	v_lshlrev_b32_e32 v19, 1, v20
	v_mov_b32_e32 v21, s12
	v_add_co_u32_e32 v20, vcc, s7, v19
	v_addc_co_u32_e32 v21, vcc, 0, v21, vcc
	flat_load_ushort v19, v[20:21]
.LBB3149_41:
	s_or_b64 exec, exec, s[0:1]
	v_or_b32_e32 v21, 0x1300, v0
	v_cmp_gt_u32_e32 vcc, s33, v21
                                        ; implicit-def: $vgpr20
	s_and_saveexec_b64 s[0:1], vcc
	s_cbranch_execz .LBB3149_43
; %bb.42:
	v_lshlrev_b32_e32 v20, 1, v21
	v_mov_b32_e32 v21, s12
	v_add_co_u32_e32 v20, vcc, s7, v20
	v_addc_co_u32_e32 v21, vcc, 0, v21, vcc
	flat_load_ushort v20, v[20:21]
.LBB3149_43:
	s_or_b64 exec, exec, s[0:1]
	s_waitcnt vmcnt(0) lgkmcnt(0)
	ds_write_b16 v26, v1
	ds_write_b16 v26, v2 offset:512
	ds_write_b16 v26, v3 offset:1024
	;; [unrolled: 1-line block ×19, first 2 shown]
	s_waitcnt lgkmcnt(0)
	s_barrier
.LBB3149_44:
	v_mul_u32_u24_e32 v1, 20, v0
	v_lshlrev_b32_e32 v6, 1, v1
	s_waitcnt lgkmcnt(0)
	ds_read_b64 v[10:11], v6 offset:32
	ds_read2_b64 v[2:5], v6 offset0:2 offset1:3
	ds_read2_b64 v[6:9], v6 offset1:1
	s_add_u32 s0, s2, s8
	s_addc_u32 s1, s3, s9
	s_add_u32 s0, s0, s30
	s_addc_u32 s1, s1, s31
	s_mov_b64 s[2:3], -1
	s_and_b64 vcc, exec, s[24:25]
	s_waitcnt lgkmcnt(0)
	s_barrier
	s_cbranch_vccz .LBB3149_46
; %bb.45:
	v_mov_b32_e32 v12, s1
	v_add_co_u32_e32 v14, vcc, s0, v26
	s_movk_i32 s2, 0x1000
	v_addc_co_u32_e32 v15, vcc, 0, v12, vcc
	v_add_co_u32_e32 v12, vcc, s2, v14
	s_movk_i32 s3, 0x2000
	v_addc_co_u32_e32 v13, vcc, 0, v15, vcc
	global_load_ubyte v16, v26, s[0:1]
	global_load_ubyte v17, v26, s[0:1] offset:512
	global_load_ubyte v18, v26, s[0:1] offset:1024
	;; [unrolled: 1-line block ×7, first 2 shown]
	v_add_co_u32_e32 v14, vcc, s3, v14
	v_addc_co_u32_e32 v15, vcc, 0, v15, vcc
	global_load_ubyte v24, v[14:15], off offset:-4096
	global_load_ubyte v25, v[12:13], off offset:512
	global_load_ubyte v27, v[12:13], off offset:1024
	;; [unrolled: 1-line block ×7, first 2 shown]
	global_load_ubyte v33, v[14:15], off
	global_load_ubyte v34, v[14:15], off offset:512
	global_load_ubyte v35, v[14:15], off offset:1024
	;; [unrolled: 1-line block ×3, first 2 shown]
	s_mov_b64 s[2:3], 0
	s_waitcnt vmcnt(19)
	v_xor_b32_e32 v12, -1, v16
	s_waitcnt vmcnt(18)
	v_xor_b32_e32 v13, -1, v17
	;; [unrolled: 2-line block ×8, first 2 shown]
	v_and_b32_e32 v12, 1, v12
	v_and_b32_e32 v13, 1, v13
	;; [unrolled: 1-line block ×8, first 2 shown]
	ds_write_b8 v0, v12
	ds_write_b8 v0, v13 offset:256
	ds_write_b8 v0, v14 offset:512
	;; [unrolled: 1-line block ×7, first 2 shown]
	s_waitcnt vmcnt(11)
	v_xor_b32_e32 v12, -1, v24
	s_waitcnt vmcnt(10)
	v_xor_b32_e32 v13, -1, v25
	;; [unrolled: 2-line block ×12, first 2 shown]
	v_and_b32_e32 v12, 1, v12
	v_and_b32_e32 v13, 1, v13
	;; [unrolled: 1-line block ×12, first 2 shown]
	ds_write_b8 v0, v12 offset:2048
	ds_write_b8 v0, v13 offset:2304
	;; [unrolled: 1-line block ×12, first 2 shown]
	s_waitcnt lgkmcnt(0)
	s_barrier
.LBB3149_46:
	s_load_dwordx2 s[34:35], s[4:5], 0x78
	s_andn2_b64 vcc, exec, s[2:3]
	s_cbranch_vccnz .LBB3149_88
; %bb.47:
	v_cmp_gt_u32_e32 vcc, s33, v0
	v_mov_b32_e32 v12, 0
	v_mov_b32_e32 v13, 0
	s_and_saveexec_b64 s[2:3], vcc
	s_cbranch_execz .LBB3149_49
; %bb.48:
	global_load_ubyte v13, v26, s[0:1]
	s_waitcnt vmcnt(0)
	v_xor_b32_e32 v13, -1, v13
	v_and_b32_e32 v13, 1, v13
.LBB3149_49:
	s_or_b64 exec, exec, s[2:3]
	v_or_b32_e32 v14, 0x100, v0
	v_cmp_gt_u32_e32 vcc, s33, v14
	s_and_saveexec_b64 s[2:3], vcc
	s_cbranch_execz .LBB3149_51
; %bb.50:
	global_load_ubyte v12, v26, s[0:1] offset:512
	s_waitcnt vmcnt(0)
	v_xor_b32_e32 v12, -1, v12
	v_and_b32_e32 v12, 1, v12
.LBB3149_51:
	s_or_b64 exec, exec, s[2:3]
	v_or_b32_e32 v14, 0x200, v0
	v_cmp_gt_u32_e32 vcc, s33, v14
	v_mov_b32_e32 v14, 0
	v_mov_b32_e32 v15, 0
	s_and_saveexec_b64 s[2:3], vcc
	s_cbranch_execz .LBB3149_53
; %bb.52:
	global_load_ubyte v15, v26, s[0:1] offset:1024
	s_waitcnt vmcnt(0)
	v_xor_b32_e32 v15, -1, v15
	v_and_b32_e32 v15, 1, v15
.LBB3149_53:
	s_or_b64 exec, exec, s[2:3]
	v_or_b32_e32 v16, 0x300, v0
	v_cmp_gt_u32_e32 vcc, s33, v16
	s_and_saveexec_b64 s[2:3], vcc
	s_cbranch_execz .LBB3149_55
; %bb.54:
	global_load_ubyte v14, v26, s[0:1] offset:1536
	s_waitcnt vmcnt(0)
	v_xor_b32_e32 v14, -1, v14
	v_and_b32_e32 v14, 1, v14
.LBB3149_55:
	s_or_b64 exec, exec, s[2:3]
	v_or_b32_e32 v16, 0x400, v0
	v_cmp_gt_u32_e32 vcc, s33, v16
	v_mov_b32_e32 v16, 0
	v_mov_b32_e32 v17, 0
	s_and_saveexec_b64 s[2:3], vcc
	s_cbranch_execz .LBB3149_57
; %bb.56:
	global_load_ubyte v17, v26, s[0:1] offset:2048
	s_waitcnt vmcnt(0)
	v_xor_b32_e32 v17, -1, v17
	v_and_b32_e32 v17, 1, v17
.LBB3149_57:
	;; [unrolled: 24-line block ×3, first 2 shown]
	s_or_b64 exec, exec, s[2:3]
	v_or_b32_e32 v20, 0x700, v0
	v_cmp_gt_u32_e32 vcc, s33, v20
	s_and_saveexec_b64 s[2:3], vcc
	s_cbranch_execz .LBB3149_63
; %bb.62:
	global_load_ubyte v18, v26, s[0:1] offset:3584
	s_waitcnt vmcnt(0)
	v_xor_b32_e32 v18, -1, v18
	v_and_b32_e32 v18, 1, v18
.LBB3149_63:
	s_or_b64 exec, exec, s[2:3]
	v_or_b32_e32 v22, 0x800, v0
	v_cmp_gt_u32_e32 vcc, s33, v22
	v_mov_b32_e32 v20, 0
	v_mov_b32_e32 v21, 0
	s_and_saveexec_b64 s[2:3], vcc
	s_cbranch_execz .LBB3149_65
; %bb.64:
	v_lshlrev_b32_e32 v21, 1, v22
	global_load_ubyte v21, v21, s[0:1]
	s_waitcnt vmcnt(0)
	v_xor_b32_e32 v21, -1, v21
	v_and_b32_e32 v21, 1, v21
.LBB3149_65:
	s_or_b64 exec, exec, s[2:3]
	v_or_b32_e32 v22, 0x900, v0
	v_cmp_gt_u32_e32 vcc, s33, v22
	s_and_saveexec_b64 s[2:3], vcc
	s_cbranch_execz .LBB3149_67
; %bb.66:
	v_lshlrev_b32_e32 v20, 1, v22
	global_load_ubyte v20, v20, s[0:1]
	s_waitcnt vmcnt(0)
	v_xor_b32_e32 v20, -1, v20
	v_and_b32_e32 v20, 1, v20
.LBB3149_67:
	s_or_b64 exec, exec, s[2:3]
	v_or_b32_e32 v24, 0xa00, v0
	v_cmp_gt_u32_e32 vcc, s33, v24
	v_mov_b32_e32 v22, 0
	v_mov_b32_e32 v23, 0
	s_and_saveexec_b64 s[2:3], vcc
	s_cbranch_execz .LBB3149_69
; %bb.68:
	v_lshlrev_b32_e32 v23, 1, v24
	global_load_ubyte v23, v23, s[0:1]
	s_waitcnt vmcnt(0)
	v_xor_b32_e32 v23, -1, v23
	v_and_b32_e32 v23, 1, v23
.LBB3149_69:
	s_or_b64 exec, exec, s[2:3]
	v_or_b32_e32 v24, 0xb00, v0
	v_cmp_gt_u32_e32 vcc, s33, v24
	s_and_saveexec_b64 s[2:3], vcc
	s_cbranch_execz .LBB3149_71
; %bb.70:
	v_lshlrev_b32_e32 v22, 1, v24
	global_load_ubyte v22, v22, s[0:1]
	s_waitcnt vmcnt(0)
	v_xor_b32_e32 v22, -1, v22
	v_and_b32_e32 v22, 1, v22
.LBB3149_71:
	;; [unrolled: 26-line block ×6, first 2 shown]
	s_or_b64 exec, exec, s[2:3]
	ds_write_b8 v0, v13
	ds_write_b8 v0, v12 offset:256
	ds_write_b8 v0, v15 offset:512
	;; [unrolled: 1-line block ×19, first 2 shown]
	s_waitcnt lgkmcnt(0)
	s_barrier
.LBB3149_88:
	s_waitcnt lgkmcnt(0)
	ds_read2_b32 v[16:17], v1 offset1:1
	ds_read2_b32 v[14:15], v1 offset0:2 offset1:3
	ds_read_b32 v28, v1 offset:16
	s_cmp_lg_u32 s6, 0
	v_lshrrev_b32_e32 v47, 6, v0
	s_waitcnt lgkmcnt(2)
	v_lshrrev_b32_e32 v33, 24, v16
	v_bfe_u32 v45, v16, 16, 8
	v_add_u32_sdwa v12, v16, v16 dst_sel:DWORD dst_unused:UNUSED_PAD src0_sel:BYTE_1 src1_sel:BYTE_0
	v_and_b32_e32 v42, 0xff, v17
	v_bfe_u32 v43, v17, 8, 8
	v_add3_u32 v12, v12, v45, v33
	v_lshrrev_b32_e32 v32, 24, v17
	v_bfe_u32 v44, v17, 16, 8
	v_add3_u32 v12, v12, v42, v43
	s_waitcnt lgkmcnt(1)
	v_and_b32_e32 v39, 0xff, v14
	v_bfe_u32 v40, v14, 8, 8
	v_add3_u32 v12, v12, v44, v32
	v_lshrrev_b32_e32 v31, 24, v14
	v_bfe_u32 v41, v14, 16, 8
	v_add3_u32 v12, v12, v39, v40
	v_and_b32_e32 v36, 0xff, v15
	v_bfe_u32 v37, v15, 8, 8
	v_add3_u32 v12, v12, v41, v31
	v_lshrrev_b32_e32 v30, 24, v15
	v_bfe_u32 v38, v15, 16, 8
	v_add3_u32 v12, v12, v36, v37
	s_waitcnt lgkmcnt(0)
	v_and_b32_e32 v34, 0xff, v28
	v_bfe_u32 v35, v28, 8, 8
	v_add3_u32 v12, v12, v38, v30
	v_lshrrev_b32_e32 v27, 24, v28
	v_bfe_u32 v29, v28, 16, 8
	v_add3_u32 v12, v12, v34, v35
	v_add3_u32 v48, v12, v29, v27
	v_mbcnt_lo_u32_b32 v12, -1, 0
	v_mbcnt_hi_u32_b32 v46, -1, v12
	v_and_b32_e32 v12, 15, v46
	v_cmp_eq_u32_e64 s[14:15], 0, v12
	v_cmp_lt_u32_e64 s[12:13], 1, v12
	v_cmp_lt_u32_e64 s[10:11], 3, v12
	;; [unrolled: 1-line block ×3, first 2 shown]
	v_and_b32_e32 v12, 16, v46
	v_cmp_eq_u32_e64 s[18:19], 0, v12
	v_or_b32_e32 v12, 63, v0
	v_cmp_lt_u32_e64 s[0:1], 31, v46
	v_cmp_eq_u32_e64 s[2:3], v12, v0
	s_barrier
	s_cbranch_scc0 .LBB3149_119
; %bb.89:
	v_mov_b32_dpp v12, v48 row_shr:1 row_mask:0xf bank_mask:0xf
	v_cndmask_b32_e64 v12, v12, 0, s[14:15]
	v_add_u32_e32 v12, v12, v48
	s_nop 1
	v_mov_b32_dpp v13, v12 row_shr:2 row_mask:0xf bank_mask:0xf
	v_cndmask_b32_e64 v13, 0, v13, s[12:13]
	v_add_u32_e32 v12, v12, v13
	s_nop 1
	v_mov_b32_dpp v13, v12 row_shr:4 row_mask:0xf bank_mask:0xf
	v_cndmask_b32_e64 v13, 0, v13, s[10:11]
	v_add_u32_e32 v12, v12, v13
	s_nop 1
	v_mov_b32_dpp v13, v12 row_shr:8 row_mask:0xf bank_mask:0xf
	v_cndmask_b32_e64 v13, 0, v13, s[8:9]
	v_add_u32_e32 v12, v12, v13
	s_nop 1
	v_mov_b32_dpp v13, v12 row_bcast:15 row_mask:0xf bank_mask:0xf
	v_cndmask_b32_e64 v13, v13, 0, s[18:19]
	v_add_u32_e32 v12, v12, v13
	s_nop 1
	v_mov_b32_dpp v13, v12 row_bcast:31 row_mask:0xf bank_mask:0xf
	v_cndmask_b32_e64 v13, 0, v13, s[0:1]
	v_add_u32_e32 v12, v12, v13
	s_and_saveexec_b64 s[16:17], s[2:3]
	s_cbranch_execz .LBB3149_91
; %bb.90:
	v_lshlrev_b32_e32 v13, 2, v47
	ds_write_b32 v13, v12
.LBB3149_91:
	s_or_b64 exec, exec, s[16:17]
	v_cmp_gt_u32_e32 vcc, 4, v0
	s_waitcnt lgkmcnt(0)
	s_barrier
	s_and_saveexec_b64 s[16:17], vcc
	s_cbranch_execz .LBB3149_93
; %bb.92:
	v_lshlrev_b32_e32 v13, 2, v0
	ds_read_b32 v18, v13
	v_and_b32_e32 v19, 3, v46
	v_cmp_ne_u32_e32 vcc, 0, v19
	s_waitcnt lgkmcnt(0)
	v_mov_b32_dpp v20, v18 row_shr:1 row_mask:0xf bank_mask:0xf
	v_cndmask_b32_e32 v20, 0, v20, vcc
	v_add_u32_e32 v18, v20, v18
	v_cmp_lt_u32_e32 vcc, 1, v19
	s_nop 0
	v_mov_b32_dpp v20, v18 row_shr:2 row_mask:0xf bank_mask:0xf
	v_cndmask_b32_e32 v19, 0, v20, vcc
	v_add_u32_e32 v18, v18, v19
	ds_write_b32 v13, v18
.LBB3149_93:
	s_or_b64 exec, exec, s[16:17]
	v_cmp_gt_u32_e32 vcc, 64, v0
	v_cmp_lt_u32_e64 s[16:17], 63, v0
	s_waitcnt lgkmcnt(0)
	s_barrier
	s_waitcnt lgkmcnt(0)
                                        ; implicit-def: $vgpr49
	s_and_saveexec_b64 s[36:37], s[16:17]
	s_cbranch_execz .LBB3149_95
; %bb.94:
	v_lshl_add_u32 v13, v47, 2, -4
	ds_read_b32 v49, v13
	s_waitcnt lgkmcnt(0)
	v_add_u32_e32 v12, v49, v12
.LBB3149_95:
	s_or_b64 exec, exec, s[36:37]
	v_add_u32_e32 v13, -1, v46
	v_and_b32_e32 v18, 64, v46
	v_cmp_lt_i32_e64 s[16:17], v13, v18
	v_cndmask_b32_e64 v13, v13, v46, s[16:17]
	v_lshlrev_b32_e32 v13, 2, v13
	ds_bpermute_b32 v50, v13, v12
	v_cmp_eq_u32_e64 s[16:17], 0, v46
	s_and_saveexec_b64 s[36:37], vcc
	s_cbranch_execz .LBB3149_118
; %bb.96:
	v_mov_b32_e32 v25, 0
	ds_read_b32 v12, v25 offset:12
	s_and_saveexec_b64 s[38:39], s[16:17]
	s_cbranch_execz .LBB3149_98
; %bb.97:
	s_add_i32 s40, s6, 64
	s_mov_b32 s41, 0
	s_lshl_b64 s[40:41], s[40:41], 3
	s_add_u32 s40, s34, s40
	v_mov_b32_e32 v13, 1
	s_addc_u32 s41, s35, s41
	s_waitcnt lgkmcnt(0)
	global_store_dwordx2 v25, v[12:13], s[40:41]
.LBB3149_98:
	s_or_b64 exec, exec, s[38:39]
	v_xad_u32 v18, v46, -1, s6
	v_add_u32_e32 v24, 64, v18
	v_lshlrev_b64 v[20:21], 3, v[24:25]
	v_mov_b32_e32 v13, s35
	v_add_co_u32_e32 v20, vcc, s34, v20
	v_addc_co_u32_e32 v21, vcc, v13, v21, vcc
	global_load_dwordx2 v[22:23], v[20:21], off glc
	s_waitcnt vmcnt(0)
	v_cmp_eq_u16_sdwa s[40:41], v23, v25 src0_sel:BYTE_0 src1_sel:DWORD
	s_and_saveexec_b64 s[38:39], s[40:41]
	s_cbranch_execz .LBB3149_104
; %bb.99:
	s_mov_b32 s7, 1
	s_mov_b64 s[40:41], 0
	v_mov_b32_e32 v13, 0
.LBB3149_100:                           ; =>This Loop Header: Depth=1
                                        ;     Child Loop BB3149_101 Depth 2
	s_max_u32 s42, s7, 1
.LBB3149_101:                           ;   Parent Loop BB3149_100 Depth=1
                                        ; =>  This Inner Loop Header: Depth=2
	s_add_i32 s42, s42, -1
	s_cmp_eq_u32 s42, 0
	s_sleep 1
	s_cbranch_scc0 .LBB3149_101
; %bb.102:                              ;   in Loop: Header=BB3149_100 Depth=1
	global_load_dwordx2 v[22:23], v[20:21], off glc
	s_cmp_lt_u32 s7, 32
	s_cselect_b64 s[42:43], -1, 0
	s_cmp_lg_u64 s[42:43], 0
	s_addc_u32 s7, s7, 0
	s_waitcnt vmcnt(0)
	v_cmp_ne_u16_sdwa s[42:43], v23, v13 src0_sel:BYTE_0 src1_sel:DWORD
	s_or_b64 s[40:41], s[42:43], s[40:41]
	s_andn2_b64 exec, exec, s[40:41]
	s_cbranch_execnz .LBB3149_100
; %bb.103:
	s_or_b64 exec, exec, s[40:41]
.LBB3149_104:
	s_or_b64 exec, exec, s[38:39]
	v_and_b32_e32 v52, 63, v46
	v_mov_b32_e32 v51, 2
	v_cmp_ne_u32_e32 vcc, 63, v52
	v_cmp_eq_u16_sdwa s[38:39], v23, v51 src0_sel:BYTE_0 src1_sel:DWORD
	v_lshlrev_b64 v[20:21], v46, -1
	v_addc_co_u32_e32 v24, vcc, 0, v46, vcc
	v_and_b32_e32 v13, s39, v21
	v_lshlrev_b32_e32 v53, 2, v24
	v_or_b32_e32 v13, 0x80000000, v13
	ds_bpermute_b32 v24, v53, v22
	v_and_b32_e32 v19, s38, v20
	v_ffbl_b32_e32 v13, v13
	v_add_u32_e32 v13, 32, v13
	v_ffbl_b32_e32 v19, v19
	v_min_u32_e32 v13, v19, v13
	v_cmp_lt_u32_e32 vcc, v52, v13
	s_waitcnt lgkmcnt(0)
	v_cndmask_b32_e32 v19, 0, v24, vcc
	v_cmp_gt_u32_e32 vcc, 62, v52
	v_add_u32_e32 v19, v19, v22
	v_cndmask_b32_e64 v22, 0, 1, vcc
	v_lshlrev_b32_e32 v22, 1, v22
	v_add_lshl_u32 v54, v22, v46, 2
	ds_bpermute_b32 v22, v54, v19
	v_add_u32_e32 v55, 2, v52
	v_cmp_le_u32_e32 vcc, v55, v13
	v_add_u32_e32 v57, 4, v52
	v_add_u32_e32 v59, 8, v52
	s_waitcnt lgkmcnt(0)
	v_cndmask_b32_e32 v22, 0, v22, vcc
	v_cmp_gt_u32_e32 vcc, 60, v52
	v_add_u32_e32 v19, v19, v22
	v_cndmask_b32_e64 v22, 0, 1, vcc
	v_lshlrev_b32_e32 v22, 2, v22
	v_add_lshl_u32 v56, v22, v46, 2
	ds_bpermute_b32 v22, v56, v19
	v_cmp_le_u32_e32 vcc, v57, v13
	v_add_u32_e32 v61, 16, v52
	v_add_u32_e32 v63, 32, v52
	s_waitcnt lgkmcnt(0)
	v_cndmask_b32_e32 v22, 0, v22, vcc
	v_cmp_gt_u32_e32 vcc, 56, v52
	v_add_u32_e32 v19, v19, v22
	v_cndmask_b32_e64 v22, 0, 1, vcc
	v_lshlrev_b32_e32 v22, 3, v22
	v_add_lshl_u32 v58, v22, v46, 2
	ds_bpermute_b32 v22, v58, v19
	v_cmp_le_u32_e32 vcc, v59, v13
	s_waitcnt lgkmcnt(0)
	v_cndmask_b32_e32 v22, 0, v22, vcc
	v_cmp_gt_u32_e32 vcc, 48, v52
	v_add_u32_e32 v19, v19, v22
	v_cndmask_b32_e64 v22, 0, 1, vcc
	v_lshlrev_b32_e32 v22, 4, v22
	v_add_lshl_u32 v60, v22, v46, 2
	ds_bpermute_b32 v22, v60, v19
	v_cmp_le_u32_e32 vcc, v61, v13
	;; [unrolled: 9-line block ×3, first 2 shown]
	s_waitcnt lgkmcnt(0)
	v_cndmask_b32_e32 v13, 0, v22, vcc
	v_add_u32_e32 v22, v19, v13
	v_mov_b32_e32 v19, 0
	s_branch .LBB3149_106
.LBB3149_105:                           ;   in Loop: Header=BB3149_106 Depth=1
	s_or_b64 exec, exec, s[38:39]
	v_cmp_eq_u16_sdwa s[38:39], v23, v51 src0_sel:BYTE_0 src1_sel:DWORD
	v_and_b32_e32 v24, s39, v21
	v_or_b32_e32 v24, 0x80000000, v24
	ds_bpermute_b32 v64, v53, v22
	v_and_b32_e32 v25, s38, v20
	v_ffbl_b32_e32 v24, v24
	v_add_u32_e32 v24, 32, v24
	v_ffbl_b32_e32 v25, v25
	v_min_u32_e32 v24, v25, v24
	v_cmp_lt_u32_e32 vcc, v52, v24
	s_waitcnt lgkmcnt(0)
	v_cndmask_b32_e32 v25, 0, v64, vcc
	v_add_u32_e32 v22, v25, v22
	ds_bpermute_b32 v25, v54, v22
	v_cmp_le_u32_e32 vcc, v55, v24
	v_subrev_u32_e32 v18, 64, v18
	s_waitcnt lgkmcnt(0)
	v_cndmask_b32_e32 v25, 0, v25, vcc
	v_add_u32_e32 v22, v22, v25
	ds_bpermute_b32 v25, v56, v22
	v_cmp_le_u32_e32 vcc, v57, v24
	s_waitcnt lgkmcnt(0)
	v_cndmask_b32_e32 v25, 0, v25, vcc
	v_add_u32_e32 v22, v22, v25
	ds_bpermute_b32 v25, v58, v22
	v_cmp_le_u32_e32 vcc, v59, v24
	;; [unrolled: 5-line block ×4, first 2 shown]
	s_waitcnt lgkmcnt(0)
	v_cndmask_b32_e32 v24, 0, v25, vcc
	v_add3_u32 v22, v24, v13, v22
.LBB3149_106:                           ; =>This Loop Header: Depth=1
                                        ;     Child Loop BB3149_109 Depth 2
                                        ;       Child Loop BB3149_110 Depth 3
	v_cmp_ne_u16_sdwa s[38:39], v23, v51 src0_sel:BYTE_0 src1_sel:DWORD
	v_cndmask_b32_e64 v13, 0, 1, s[38:39]
	;;#ASMSTART
	;;#ASMEND
	v_cmp_ne_u32_e32 vcc, 0, v13
	s_cmp_lg_u64 vcc, exec
	v_mov_b32_e32 v13, v22
	s_cbranch_scc1 .LBB3149_113
; %bb.107:                              ;   in Loop: Header=BB3149_106 Depth=1
	v_lshlrev_b64 v[22:23], 3, v[18:19]
	v_mov_b32_e32 v25, s35
	v_add_co_u32_e32 v24, vcc, s34, v22
	v_addc_co_u32_e32 v25, vcc, v25, v23, vcc
	global_load_dwordx2 v[22:23], v[24:25], off glc
	s_waitcnt vmcnt(0)
	v_cmp_eq_u16_sdwa s[40:41], v23, v19 src0_sel:BYTE_0 src1_sel:DWORD
	s_and_saveexec_b64 s[38:39], s[40:41]
	s_cbranch_execz .LBB3149_105
; %bb.108:                              ;   in Loop: Header=BB3149_106 Depth=1
	s_mov_b32 s7, 1
	s_mov_b64 s[40:41], 0
.LBB3149_109:                           ;   Parent Loop BB3149_106 Depth=1
                                        ; =>  This Loop Header: Depth=2
                                        ;       Child Loop BB3149_110 Depth 3
	s_max_u32 s42, s7, 1
.LBB3149_110:                           ;   Parent Loop BB3149_106 Depth=1
                                        ;     Parent Loop BB3149_109 Depth=2
                                        ; =>    This Inner Loop Header: Depth=3
	s_add_i32 s42, s42, -1
	s_cmp_eq_u32 s42, 0
	s_sleep 1
	s_cbranch_scc0 .LBB3149_110
; %bb.111:                              ;   in Loop: Header=BB3149_109 Depth=2
	global_load_dwordx2 v[22:23], v[24:25], off glc
	s_cmp_lt_u32 s7, 32
	s_cselect_b64 s[42:43], -1, 0
	s_cmp_lg_u64 s[42:43], 0
	s_addc_u32 s7, s7, 0
	s_waitcnt vmcnt(0)
	v_cmp_ne_u16_sdwa s[42:43], v23, v19 src0_sel:BYTE_0 src1_sel:DWORD
	s_or_b64 s[40:41], s[42:43], s[40:41]
	s_andn2_b64 exec, exec, s[40:41]
	s_cbranch_execnz .LBB3149_109
; %bb.112:                              ;   in Loop: Header=BB3149_106 Depth=1
	s_or_b64 exec, exec, s[40:41]
	s_branch .LBB3149_105
.LBB3149_113:                           ;   in Loop: Header=BB3149_106 Depth=1
                                        ; implicit-def: $vgpr22
                                        ; implicit-def: $vgpr23
	s_cbranch_execz .LBB3149_106
; %bb.114:
	s_and_saveexec_b64 s[38:39], s[16:17]
	s_cbranch_execz .LBB3149_116
; %bb.115:
	s_add_i32 s6, s6, 64
	s_mov_b32 s7, 0
	s_lshl_b64 s[6:7], s[6:7], 3
	s_add_u32 s6, s34, s6
	v_add_u32_e32 v18, v13, v12
	v_mov_b32_e32 v19, 2
	s_addc_u32 s7, s35, s7
	v_mov_b32_e32 v20, 0
	global_store_dwordx2 v20, v[18:19], s[6:7]
	ds_write_b64 v20, v[12:13] offset:10240
.LBB3149_116:
	s_or_b64 exec, exec, s[38:39]
	v_cmp_eq_u32_e32 vcc, 0, v0
	s_and_b64 exec, exec, vcc
	s_cbranch_execz .LBB3149_118
; %bb.117:
	v_mov_b32_e32 v12, 0
	ds_write_b32 v12, v13 offset:12
.LBB3149_118:
	s_or_b64 exec, exec, s[36:37]
	v_mov_b32_e32 v12, 0
	s_waitcnt lgkmcnt(0)
	s_barrier
	ds_read_b32 v19, v12 offset:12
	s_waitcnt lgkmcnt(0)
	s_barrier
	ds_read_b64 v[12:13], v12 offset:10240
	v_cndmask_b32_e64 v18, v50, v49, s[16:17]
	v_cmp_ne_u32_e32 vcc, 0, v0
	v_cndmask_b32_e32 v18, 0, v18, vcc
	v_add_u32_e32 v22, v19, v18
	s_load_dwordx2 s[4:5], s[4:5], 0x40
	s_branch .LBB3149_129
.LBB3149_119:
                                        ; implicit-def: $vgpr13
                                        ; implicit-def: $vgpr22
	s_load_dwordx2 s[4:5], s[4:5], 0x40
	s_cbranch_execz .LBB3149_129
; %bb.120:
	s_waitcnt lgkmcnt(0)
	v_mov_b32_dpp v12, v48 row_shr:1 row_mask:0xf bank_mask:0xf
	v_cndmask_b32_e64 v12, v12, 0, s[14:15]
	v_add_u32_e32 v12, v12, v48
	s_nop 1
	v_mov_b32_dpp v13, v12 row_shr:2 row_mask:0xf bank_mask:0xf
	v_cndmask_b32_e64 v13, 0, v13, s[12:13]
	v_add_u32_e32 v12, v12, v13
	s_nop 1
	;; [unrolled: 4-line block ×4, first 2 shown]
	v_mov_b32_dpp v13, v12 row_bcast:15 row_mask:0xf bank_mask:0xf
	v_cndmask_b32_e64 v13, v13, 0, s[18:19]
	v_add_u32_e32 v12, v12, v13
	s_nop 1
	v_mov_b32_dpp v13, v12 row_bcast:31 row_mask:0xf bank_mask:0xf
	v_cndmask_b32_e64 v13, 0, v13, s[0:1]
	v_add_u32_e32 v12, v12, v13
	s_and_saveexec_b64 s[0:1], s[2:3]
	s_cbranch_execz .LBB3149_122
; %bb.121:
	v_lshlrev_b32_e32 v13, 2, v47
	ds_write_b32 v13, v12
.LBB3149_122:
	s_or_b64 exec, exec, s[0:1]
	v_cmp_gt_u32_e32 vcc, 4, v0
	s_waitcnt lgkmcnt(0)
	s_barrier
	s_and_saveexec_b64 s[0:1], vcc
	s_cbranch_execz .LBB3149_124
; %bb.123:
	v_lshlrev_b32_e32 v13, 2, v0
	ds_read_b32 v18, v13
	v_and_b32_e32 v19, 3, v46
	v_cmp_ne_u32_e32 vcc, 0, v19
	s_waitcnt lgkmcnt(0)
	v_mov_b32_dpp v20, v18 row_shr:1 row_mask:0xf bank_mask:0xf
	v_cndmask_b32_e32 v20, 0, v20, vcc
	v_add_u32_e32 v18, v20, v18
	v_cmp_lt_u32_e32 vcc, 1, v19
	s_nop 0
	v_mov_b32_dpp v20, v18 row_shr:2 row_mask:0xf bank_mask:0xf
	v_cndmask_b32_e32 v19, 0, v20, vcc
	v_add_u32_e32 v18, v18, v19
	ds_write_b32 v13, v18
.LBB3149_124:
	s_or_b64 exec, exec, s[0:1]
	v_cmp_lt_u32_e32 vcc, 63, v0
	v_mov_b32_e32 v13, 0
	v_mov_b32_e32 v18, 0
	s_waitcnt lgkmcnt(0)
	s_barrier
	s_and_saveexec_b64 s[0:1], vcc
	s_cbranch_execz .LBB3149_126
; %bb.125:
	v_lshl_add_u32 v18, v47, 2, -4
	ds_read_b32 v18, v18
.LBB3149_126:
	s_or_b64 exec, exec, s[0:1]
	v_add_u32_e32 v19, -1, v46
	v_and_b32_e32 v20, 64, v46
	v_cmp_lt_i32_e32 vcc, v19, v20
	v_cndmask_b32_e32 v19, v19, v46, vcc
	s_waitcnt lgkmcnt(0)
	v_add_u32_e32 v12, v18, v12
	v_lshlrev_b32_e32 v19, 2, v19
	ds_bpermute_b32 v19, v19, v12
	ds_read_b32 v12, v13 offset:12
	v_cmp_eq_u32_e32 vcc, 0, v0
	s_and_saveexec_b64 s[0:1], vcc
	s_cbranch_execz .LBB3149_128
; %bb.127:
	v_mov_b32_e32 v20, 0
	v_mov_b32_e32 v13, 2
	s_waitcnt lgkmcnt(0)
	global_store_dwordx2 v20, v[12:13], s[34:35] offset:512
.LBB3149_128:
	s_or_b64 exec, exec, s[0:1]
	v_cmp_eq_u32_e64 s[0:1], 0, v46
	s_waitcnt lgkmcnt(1)
	v_cndmask_b32_e64 v18, v19, v18, s[0:1]
	v_mov_b32_e32 v13, 0
	v_cndmask_b32_e64 v22, v18, 0, vcc
	s_waitcnt lgkmcnt(0)
	s_barrier
.LBB3149_129:
	v_add_u32_sdwa v24, v22, v16 dst_sel:DWORD dst_unused:UNUSED_PAD src0_sel:DWORD src1_sel:BYTE_0
	s_waitcnt lgkmcnt(0)
	v_add_u32_e32 v1, v12, v1
	v_sub_u32_e32 v22, v22, v13
	v_and_b32_e32 v51, 1, v16
	v_sub_u32_e32 v50, v1, v22
	v_cmp_eq_u32_e32 vcc, 1, v51
	v_cndmask_b32_e32 v22, v50, v22, vcc
	v_lshlrev_b32_e32 v22, 1, v22
	v_lshrrev_b32_e32 v23, 8, v16
	ds_write_b16 v22, v6
	v_sub_u32_e32 v22, v24, v13
	v_add_u32_sdwa v25, v24, v16 dst_sel:DWORD dst_unused:UNUSED_PAD src0_sel:DWORD src1_sel:BYTE_1
	v_sub_u32_e32 v24, v1, v22
	v_and_b32_e32 v23, 1, v23
	v_add_u32_e32 v24, 1, v24
	v_cmp_eq_u32_e32 vcc, 1, v23
	v_cndmask_b32_e32 v22, v24, v22, vcc
	v_lshlrev_b32_e32 v22, 1, v22
	ds_write_b16_d16_hi v22, v6
	v_sub_u32_e32 v6, v25, v13
	v_mov_b32_e32 v23, 1
	v_sub_u32_e32 v22, v1, v6
	v_and_b32_sdwa v16, v23, v16 dst_sel:DWORD dst_unused:UNUSED_PAD src0_sel:DWORD src1_sel:WORD_1
	v_add_u32_e32 v22, 2, v22
	v_cmp_eq_u32_e32 vcc, 1, v16
	v_cndmask_b32_e32 v6, v22, v6, vcc
	v_add_u32_e32 v45, v25, v45
	v_lshlrev_b32_e32 v6, 1, v6
	ds_write_b16 v6, v7
	v_sub_u32_e32 v6, v45, v13
	v_sub_u32_e32 v16, v1, v6
	v_and_b32_e32 v22, 1, v33
	v_add_u32_e32 v16, 3, v16
	v_cmp_eq_u32_e32 vcc, 1, v22
	v_cndmask_b32_e32 v6, v16, v6, vcc
	v_add_u32_e32 v46, v45, v33
	v_lshlrev_b32_e32 v6, 1, v6
	ds_write_b16_d16_hi v6, v7
	v_sub_u32_e32 v6, v46, v13
	v_sub_u32_e32 v7, v1, v6
	v_and_b32_e32 v16, 1, v17
	v_add_u32_e32 v7, 4, v7
	v_cmp_eq_u32_e32 vcc, 1, v16
	v_cndmask_b32_e32 v6, v7, v6, vcc
	v_add_u32_e32 v42, v46, v42
	v_lshlrev_b32_e32 v6, 1, v6
	v_lshrrev_b32_e32 v21, 8, v17
	ds_write_b16 v6, v8
	v_sub_u32_e32 v6, v42, v13
	v_sub_u32_e32 v7, v1, v6
	v_and_b32_e32 v16, 1, v21
	v_add_u32_e32 v7, 5, v7
	v_cmp_eq_u32_e32 vcc, 1, v16
	v_cndmask_b32_e32 v6, v7, v6, vcc
	v_add_u32_e32 v43, v42, v43
	v_lshlrev_b32_e32 v6, 1, v6
	ds_write_b16_d16_hi v6, v8
	v_sub_u32_e32 v6, v43, v13
	v_sub_u32_e32 v7, v1, v6
	v_and_b32_sdwa v8, v23, v17 dst_sel:DWORD dst_unused:UNUSED_PAD src0_sel:DWORD src1_sel:WORD_1
	v_add_u32_e32 v7, 6, v7
	v_cmp_eq_u32_e32 vcc, 1, v8
	v_cndmask_b32_e32 v6, v7, v6, vcc
	v_add_u32_e32 v44, v43, v44
	v_lshlrev_b32_e32 v6, 1, v6
	ds_write_b16 v6, v9
	v_sub_u32_e32 v6, v44, v13
	v_sub_u32_e32 v7, v1, v6
	v_and_b32_e32 v8, 1, v32
	v_add_u32_e32 v7, 7, v7
	v_cmp_eq_u32_e32 vcc, 1, v8
	v_cndmask_b32_e32 v6, v7, v6, vcc
	v_add_u32_e32 v47, v44, v32
	v_lshlrev_b32_e32 v6, 1, v6
	ds_write_b16_d16_hi v6, v9
	v_sub_u32_e32 v6, v47, v13
	v_sub_u32_e32 v7, v1, v6
	v_and_b32_e32 v8, 1, v14
	v_add_u32_e32 v7, 8, v7
	v_cmp_eq_u32_e32 vcc, 1, v8
	v_cndmask_b32_e32 v6, v7, v6, vcc
	v_add_u32_e32 v39, v47, v39
	v_lshlrev_b32_e32 v6, 1, v6
	v_lshrrev_b32_e32 v20, 8, v14
	ds_write_b16 v6, v2
	v_sub_u32_e32 v6, v39, v13
	v_sub_u32_e32 v7, v1, v6
	v_and_b32_e32 v8, 1, v20
	v_add_u32_e32 v7, 9, v7
	v_cmp_eq_u32_e32 vcc, 1, v8
	v_cndmask_b32_e32 v6, v7, v6, vcc
	v_add_u32_e32 v40, v39, v40
	v_lshlrev_b32_e32 v6, 1, v6
	ds_write_b16_d16_hi v6, v2
	v_sub_u32_e32 v2, v40, v13
	;; [unrolled: 37-line block ×4, first 2 shown]
	v_sub_u32_e32 v3, v1, v2
	v_and_b32_sdwa v4, v23, v28 dst_sel:DWORD dst_unused:UNUSED_PAD src0_sel:DWORD src1_sel:WORD_1
	v_add_u32_e32 v3, 18, v3
	v_cmp_eq_u32_e32 vcc, 1, v4
	v_cndmask_b32_e32 v2, v3, v2, vcc
	v_lshlrev_b32_e32 v2, 1, v2
	ds_write_b16 v2, v11
	v_sub_u32_e32 v2, v29, v13
	v_add_u32_e32 v2, v35, v2
	v_sub_u32_e32 v1, v1, v2
	v_and_b32_e32 v3, 1, v27
	v_add_u32_e32 v1, 19, v1
	v_cmp_eq_u32_e32 vcc, 1, v3
	v_cndmask_b32_e32 v1, v1, v2, vcc
	v_lshlrev_b32_e32 v1, 1, v1
	ds_write_b16_d16_hi v1, v11
	v_mov_b32_e32 v1, s29
	v_add_co_u32_e32 v2, vcc, s28, v12
	s_waitcnt lgkmcnt(0)
	s_barrier
	ds_read_u16 v46, v26
	ds_read_u16 v45, v26 offset:512
	ds_read_u16 v43, v26 offset:1024
	;; [unrolled: 1-line block ×15, first 2 shown]
	v_addc_co_u32_e32 v1, vcc, 0, v1, vcc
	v_add_co_u32_e32 v2, vcc, v2, v13
	v_addc_co_u32_e32 v3, vcc, 0, v1, vcc
	v_mov_b32_e32 v1, s27
	v_sub_co_u32_e32 v48, vcc, s26, v2
	ds_read_u16 v14, v26 offset:8192
	ds_read_u16 v10, v26 offset:8704
	;; [unrolled: 1-line block ×4, first 2 shown]
	v_subb_co_u32_e32 v49, vcc, v1, v3, vcc
	v_lshlrev_b64 v[48:49], 1, v[48:49]
	v_mov_b32_e32 v1, s5
	v_add_co_u32_e32 v4, vcc, s4, v48
	v_addc_co_u32_e32 v1, vcc, v1, v49, vcc
	v_mov_b32_e32 v13, s31
	v_add_co_u32_e32 v4, vcc, s30, v4
	v_addc_co_u32_e32 v1, vcc, v1, v13, vcc
	v_or_b32_e32 v44, 0x100, v0
	v_or_b32_e32 v42, 0x200, v0
	v_or_b32_e32 v40, 0x300, v0
	v_or_b32_e32 v39, 0x400, v0
	v_or_b32_e32 v37, 0x500, v0
	v_or_b32_e32 v35, 0x600, v0
	v_or_b32_e32 v33, 0x700, v0
	v_or_b32_e32 v30, 0x800, v0
	v_or_b32_e32 v28, 0x900, v0
	v_or_b32_e32 v25, 0xa00, v0
	v_or_b32_e32 v23, 0xb00, v0
	v_or_b32_e32 v21, 0xc00, v0
	v_or_b32_e32 v19, 0xd00, v0
	v_or_b32_e32 v17, 0xe00, v0
	v_or_b32_e32 v15, 0xf00, v0
	v_or_b32_e32 v11, 0x1000, v0
	v_or_b32_e32 v9, 0x1100, v0
	v_or_b32_e32 v8, 0x1200, v0
	v_or_b32_e32 v6, 0x1300, v0
	s_andn2_b64 vcc, exec, s[24:25]
	v_cmp_ge_u32_e64 s[0:1], v0, v12
	s_cbranch_vccnz .LBB3149_151
; %bb.130:
	s_and_saveexec_b64 s[2:3], s[0:1]
	s_cbranch_execnz .LBB3149_196
; %bb.131:
	s_or_b64 exec, exec, s[2:3]
	v_cmp_ge_u32_e32 vcc, v44, v12
	s_and_saveexec_b64 s[0:1], vcc
	s_cbranch_execnz .LBB3149_197
.LBB3149_132:
	s_or_b64 exec, exec, s[0:1]
	v_cmp_ge_u32_e32 vcc, v42, v12
	s_and_saveexec_b64 s[0:1], vcc
	s_cbranch_execnz .LBB3149_198
.LBB3149_133:
	s_or_b64 exec, exec, s[0:1]
	v_cmp_ge_u32_e32 vcc, v40, v12
	s_and_saveexec_b64 s[0:1], vcc
	s_cbranch_execnz .LBB3149_199
.LBB3149_134:
	s_or_b64 exec, exec, s[0:1]
	v_cmp_ge_u32_e32 vcc, v39, v12
	s_and_saveexec_b64 s[0:1], vcc
	s_cbranch_execnz .LBB3149_200
.LBB3149_135:
	s_or_b64 exec, exec, s[0:1]
	v_cmp_ge_u32_e32 vcc, v37, v12
	s_and_saveexec_b64 s[0:1], vcc
	s_cbranch_execnz .LBB3149_201
.LBB3149_136:
	s_or_b64 exec, exec, s[0:1]
	v_cmp_ge_u32_e32 vcc, v35, v12
	s_and_saveexec_b64 s[0:1], vcc
	s_cbranch_execnz .LBB3149_202
.LBB3149_137:
	s_or_b64 exec, exec, s[0:1]
	v_cmp_ge_u32_e32 vcc, v33, v12
	s_and_saveexec_b64 s[0:1], vcc
	s_cbranch_execnz .LBB3149_203
.LBB3149_138:
	s_or_b64 exec, exec, s[0:1]
	v_cmp_ge_u32_e32 vcc, v30, v12
	s_and_saveexec_b64 s[0:1], vcc
	s_cbranch_execnz .LBB3149_204
.LBB3149_139:
	s_or_b64 exec, exec, s[0:1]
	v_cmp_ge_u32_e32 vcc, v28, v12
	s_and_saveexec_b64 s[0:1], vcc
	s_cbranch_execnz .LBB3149_205
.LBB3149_140:
	s_or_b64 exec, exec, s[0:1]
	v_cmp_ge_u32_e32 vcc, v25, v12
	s_and_saveexec_b64 s[0:1], vcc
	s_cbranch_execnz .LBB3149_206
.LBB3149_141:
	s_or_b64 exec, exec, s[0:1]
	v_cmp_ge_u32_e32 vcc, v23, v12
	s_and_saveexec_b64 s[0:1], vcc
	s_cbranch_execnz .LBB3149_207
.LBB3149_142:
	s_or_b64 exec, exec, s[0:1]
	v_cmp_ge_u32_e32 vcc, v21, v12
	s_and_saveexec_b64 s[0:1], vcc
	s_cbranch_execnz .LBB3149_208
.LBB3149_143:
	s_or_b64 exec, exec, s[0:1]
	v_cmp_ge_u32_e32 vcc, v19, v12
	s_and_saveexec_b64 s[0:1], vcc
	s_cbranch_execnz .LBB3149_209
.LBB3149_144:
	s_or_b64 exec, exec, s[0:1]
	v_cmp_ge_u32_e32 vcc, v17, v12
	s_and_saveexec_b64 s[0:1], vcc
	s_cbranch_execnz .LBB3149_210
.LBB3149_145:
	s_or_b64 exec, exec, s[0:1]
	v_cmp_ge_u32_e32 vcc, v15, v12
	s_and_saveexec_b64 s[0:1], vcc
	s_cbranch_execnz .LBB3149_211
.LBB3149_146:
	s_or_b64 exec, exec, s[0:1]
	v_cmp_ge_u32_e32 vcc, v11, v12
	s_and_saveexec_b64 s[0:1], vcc
	s_cbranch_execnz .LBB3149_212
.LBB3149_147:
	s_or_b64 exec, exec, s[0:1]
	v_cmp_ge_u32_e32 vcc, v9, v12
	s_and_saveexec_b64 s[0:1], vcc
	s_cbranch_execnz .LBB3149_213
.LBB3149_148:
	s_or_b64 exec, exec, s[0:1]
	v_cmp_ge_u32_e32 vcc, v8, v12
	s_and_saveexec_b64 s[0:1], vcc
	s_cbranch_execz .LBB3149_150
.LBB3149_149:
	v_lshlrev_b32_e32 v13, 1, v8
	v_readfirstlane_b32 s2, v4
	v_readfirstlane_b32 s3, v1
	s_waitcnt lgkmcnt(1)
	s_nop 3
	global_store_short v13, v7, s[2:3]
.LBB3149_150:
	s_or_b64 exec, exec, s[0:1]
	v_cmp_ge_u32_e64 s[0:1], v6, v12
	s_branch .LBB3149_191
.LBB3149_151:
	s_mov_b64 s[0:1], 0
	s_cbranch_execz .LBB3149_191
; %bb.152:
	v_cmp_gt_u32_e32 vcc, s33, v0
	v_cmp_ge_u32_e64 s[0:1], v0, v12
	s_and_b64 s[2:3], vcc, s[0:1]
	s_and_saveexec_b64 s[0:1], s[2:3]
	s_cbranch_execz .LBB3149_154
; %bb.153:
	v_readfirstlane_b32 s2, v4
	v_readfirstlane_b32 s3, v1
	s_waitcnt lgkmcnt(14)
	s_nop 3
	global_store_short v26, v46, s[2:3]
.LBB3149_154:
	s_or_b64 exec, exec, s[0:1]
	v_cmp_gt_u32_e32 vcc, s33, v44
	v_cmp_ge_u32_e64 s[0:1], v44, v12
	s_and_b64 s[2:3], vcc, s[0:1]
	s_and_saveexec_b64 s[0:1], s[2:3]
	s_cbranch_execz .LBB3149_156
; %bb.155:
	v_readfirstlane_b32 s2, v4
	v_readfirstlane_b32 s3, v1
	s_waitcnt lgkmcnt(14)
	s_nop 3
	global_store_short v26, v45, s[2:3] offset:512
.LBB3149_156:
	s_or_b64 exec, exec, s[0:1]
	v_cmp_gt_u32_e32 vcc, s33, v42
	v_cmp_ge_u32_e64 s[0:1], v42, v12
	s_and_b64 s[2:3], vcc, s[0:1]
	s_and_saveexec_b64 s[0:1], s[2:3]
	s_cbranch_execz .LBB3149_158
; %bb.157:
	v_readfirstlane_b32 s2, v4
	v_readfirstlane_b32 s3, v1
	s_waitcnt lgkmcnt(14)
	s_nop 3
	global_store_short v26, v43, s[2:3] offset:1024
.LBB3149_158:
	;; [unrolled: 13-line block ×7, first 2 shown]
	s_or_b64 exec, exec, s[0:1]
	v_cmp_gt_u32_e32 vcc, s33, v30
	v_cmp_ge_u32_e64 s[0:1], v30, v12
	s_and_b64 s[2:3], vcc, s[0:1]
	s_and_saveexec_b64 s[0:1], s[2:3]
	s_cbranch_execz .LBB3149_170
; %bb.169:
	v_lshlrev_b32_e32 v13, 1, v30
	v_readfirstlane_b32 s2, v4
	v_readfirstlane_b32 s3, v1
	s_waitcnt lgkmcnt(11)
	s_nop 3
	global_store_short v13, v31, s[2:3]
.LBB3149_170:
	s_or_b64 exec, exec, s[0:1]
	v_cmp_gt_u32_e32 vcc, s33, v28
	v_cmp_ge_u32_e64 s[0:1], v28, v12
	s_and_b64 s[2:3], vcc, s[0:1]
	s_and_saveexec_b64 s[0:1], s[2:3]
	s_cbranch_execz .LBB3149_172
; %bb.171:
	v_lshlrev_b32_e32 v13, 1, v28
	v_readfirstlane_b32 s2, v4
	v_readfirstlane_b32 s3, v1
	s_waitcnt lgkmcnt(10)
	s_nop 3
	global_store_short v13, v29, s[2:3]
.LBB3149_172:
	;; [unrolled: 14-line block ×11, first 2 shown]
	s_or_b64 exec, exec, s[0:1]
	v_cmp_gt_u32_e32 vcc, s33, v6
	v_cmp_ge_u32_e64 s[0:1], v6, v12
	s_and_b64 s[0:1], vcc, s[0:1]
.LBB3149_191:
	s_and_saveexec_b64 s[2:3], s[0:1]
	s_cbranch_execz .LBB3149_193
; %bb.192:
	v_lshlrev_b32_e32 v6, 1, v6
	v_readfirstlane_b32 s0, v4
	v_readfirstlane_b32 s1, v1
	s_waitcnt lgkmcnt(0)
	s_nop 3
	global_store_short v6, v5, s[0:1]
.LBB3149_193:
	s_or_b64 exec, exec, s[2:3]
	v_cmp_eq_u32_e32 vcc, 0, v0
	s_and_b64 s[0:1], vcc, s[22:23]
	s_and_saveexec_b64 s[2:3], s[0:1]
	s_cbranch_execz .LBB3149_195
; %bb.194:
	v_mov_b32_e32 v0, 0
	global_store_dwordx2 v0, v[2:3], s[20:21]
.LBB3149_195:
	s_endpgm
.LBB3149_196:
	v_readfirstlane_b32 s0, v4
	v_readfirstlane_b32 s1, v1
	s_waitcnt lgkmcnt(14)
	s_nop 3
	global_store_short v26, v46, s[0:1]
	s_or_b64 exec, exec, s[2:3]
	v_cmp_ge_u32_e32 vcc, v44, v12
	s_and_saveexec_b64 s[0:1], vcc
	s_cbranch_execz .LBB3149_132
.LBB3149_197:
	v_readfirstlane_b32 s2, v4
	v_readfirstlane_b32 s3, v1
	s_waitcnt lgkmcnt(14)
	s_nop 3
	global_store_short v26, v45, s[2:3] offset:512
	s_or_b64 exec, exec, s[0:1]
	v_cmp_ge_u32_e32 vcc, v42, v12
	s_and_saveexec_b64 s[0:1], vcc
	s_cbranch_execz .LBB3149_133
.LBB3149_198:
	v_readfirstlane_b32 s2, v4
	v_readfirstlane_b32 s3, v1
	s_waitcnt lgkmcnt(14)
	s_nop 3
	global_store_short v26, v43, s[2:3] offset:1024
	s_or_b64 exec, exec, s[0:1]
	v_cmp_ge_u32_e32 vcc, v40, v12
	s_and_saveexec_b64 s[0:1], vcc
	s_cbranch_execz .LBB3149_134
.LBB3149_199:
	v_readfirstlane_b32 s2, v4
	v_readfirstlane_b32 s3, v1
	s_waitcnt lgkmcnt(14)
	s_nop 3
	global_store_short v26, v41, s[2:3] offset:1536
	s_or_b64 exec, exec, s[0:1]
	v_cmp_ge_u32_e32 vcc, v39, v12
	s_and_saveexec_b64 s[0:1], vcc
	s_cbranch_execz .LBB3149_135
.LBB3149_200:
	v_readfirstlane_b32 s2, v4
	v_readfirstlane_b32 s3, v1
	s_waitcnt lgkmcnt(14)
	s_nop 3
	global_store_short v26, v38, s[2:3] offset:2048
	s_or_b64 exec, exec, s[0:1]
	v_cmp_ge_u32_e32 vcc, v37, v12
	s_and_saveexec_b64 s[0:1], vcc
	s_cbranch_execz .LBB3149_136
.LBB3149_201:
	v_readfirstlane_b32 s2, v4
	v_readfirstlane_b32 s3, v1
	s_waitcnt lgkmcnt(14)
	s_nop 3
	global_store_short v26, v36, s[2:3] offset:2560
	s_or_b64 exec, exec, s[0:1]
	v_cmp_ge_u32_e32 vcc, v35, v12
	s_and_saveexec_b64 s[0:1], vcc
	s_cbranch_execz .LBB3149_137
.LBB3149_202:
	v_readfirstlane_b32 s2, v4
	v_readfirstlane_b32 s3, v1
	s_waitcnt lgkmcnt(13)
	s_nop 3
	global_store_short v26, v34, s[2:3] offset:3072
	s_or_b64 exec, exec, s[0:1]
	v_cmp_ge_u32_e32 vcc, v33, v12
	s_and_saveexec_b64 s[0:1], vcc
	s_cbranch_execz .LBB3149_138
.LBB3149_203:
	v_readfirstlane_b32 s2, v4
	v_readfirstlane_b32 s3, v1
	s_waitcnt lgkmcnt(12)
	s_nop 3
	global_store_short v26, v32, s[2:3] offset:3584
	s_or_b64 exec, exec, s[0:1]
	v_cmp_ge_u32_e32 vcc, v30, v12
	s_and_saveexec_b64 s[0:1], vcc
	s_cbranch_execz .LBB3149_139
.LBB3149_204:
	v_lshlrev_b32_e32 v13, 1, v30
	v_readfirstlane_b32 s2, v4
	v_readfirstlane_b32 s3, v1
	s_waitcnt lgkmcnt(11)
	s_nop 3
	global_store_short v13, v31, s[2:3]
	s_or_b64 exec, exec, s[0:1]
	v_cmp_ge_u32_e32 vcc, v28, v12
	s_and_saveexec_b64 s[0:1], vcc
	s_cbranch_execz .LBB3149_140
.LBB3149_205:
	v_lshlrev_b32_e32 v13, 1, v28
	v_readfirstlane_b32 s2, v4
	v_readfirstlane_b32 s3, v1
	s_waitcnt lgkmcnt(10)
	s_nop 3
	global_store_short v13, v29, s[2:3]
	s_or_b64 exec, exec, s[0:1]
	v_cmp_ge_u32_e32 vcc, v25, v12
	s_and_saveexec_b64 s[0:1], vcc
	s_cbranch_execz .LBB3149_141
.LBB3149_206:
	v_lshlrev_b32_e32 v13, 1, v25
	v_readfirstlane_b32 s2, v4
	v_readfirstlane_b32 s3, v1
	s_waitcnt lgkmcnt(9)
	s_nop 3
	global_store_short v13, v27, s[2:3]
	s_or_b64 exec, exec, s[0:1]
	v_cmp_ge_u32_e32 vcc, v23, v12
	s_and_saveexec_b64 s[0:1], vcc
	s_cbranch_execz .LBB3149_142
.LBB3149_207:
	v_lshlrev_b32_e32 v13, 1, v23
	v_readfirstlane_b32 s2, v4
	v_readfirstlane_b32 s3, v1
	s_waitcnt lgkmcnt(8)
	s_nop 3
	global_store_short v13, v24, s[2:3]
	s_or_b64 exec, exec, s[0:1]
	v_cmp_ge_u32_e32 vcc, v21, v12
	s_and_saveexec_b64 s[0:1], vcc
	s_cbranch_execz .LBB3149_143
.LBB3149_208:
	v_lshlrev_b32_e32 v13, 1, v21
	v_readfirstlane_b32 s2, v4
	v_readfirstlane_b32 s3, v1
	s_waitcnt lgkmcnt(7)
	s_nop 3
	global_store_short v13, v22, s[2:3]
	s_or_b64 exec, exec, s[0:1]
	v_cmp_ge_u32_e32 vcc, v19, v12
	s_and_saveexec_b64 s[0:1], vcc
	s_cbranch_execz .LBB3149_144
.LBB3149_209:
	v_lshlrev_b32_e32 v13, 1, v19
	v_readfirstlane_b32 s2, v4
	v_readfirstlane_b32 s3, v1
	s_waitcnt lgkmcnt(6)
	s_nop 3
	global_store_short v13, v20, s[2:3]
	s_or_b64 exec, exec, s[0:1]
	v_cmp_ge_u32_e32 vcc, v17, v12
	s_and_saveexec_b64 s[0:1], vcc
	s_cbranch_execz .LBB3149_145
.LBB3149_210:
	v_lshlrev_b32_e32 v13, 1, v17
	v_readfirstlane_b32 s2, v4
	v_readfirstlane_b32 s3, v1
	s_waitcnt lgkmcnt(5)
	s_nop 3
	global_store_short v13, v18, s[2:3]
	s_or_b64 exec, exec, s[0:1]
	v_cmp_ge_u32_e32 vcc, v15, v12
	s_and_saveexec_b64 s[0:1], vcc
	s_cbranch_execz .LBB3149_146
.LBB3149_211:
	v_lshlrev_b32_e32 v13, 1, v15
	v_readfirstlane_b32 s2, v4
	v_readfirstlane_b32 s3, v1
	s_waitcnt lgkmcnt(4)
	s_nop 3
	global_store_short v13, v16, s[2:3]
	s_or_b64 exec, exec, s[0:1]
	v_cmp_ge_u32_e32 vcc, v11, v12
	s_and_saveexec_b64 s[0:1], vcc
	s_cbranch_execz .LBB3149_147
.LBB3149_212:
	v_lshlrev_b32_e32 v13, 1, v11
	v_readfirstlane_b32 s2, v4
	v_readfirstlane_b32 s3, v1
	s_waitcnt lgkmcnt(3)
	s_nop 3
	global_store_short v13, v14, s[2:3]
	s_or_b64 exec, exec, s[0:1]
	v_cmp_ge_u32_e32 vcc, v9, v12
	s_and_saveexec_b64 s[0:1], vcc
	s_cbranch_execz .LBB3149_148
.LBB3149_213:
	v_lshlrev_b32_e32 v13, 1, v9
	v_readfirstlane_b32 s2, v4
	v_readfirstlane_b32 s3, v1
	s_waitcnt lgkmcnt(2)
	s_nop 3
	global_store_short v13, v10, s[2:3]
	s_or_b64 exec, exec, s[0:1]
	v_cmp_ge_u32_e32 vcc, v8, v12
	s_and_saveexec_b64 s[0:1], vcc
	s_cbranch_execnz .LBB3149_149
	s_branch .LBB3149_150
	.section	.rodata,"a",@progbits
	.p2align	6, 0x0
	.amdhsa_kernel _ZN7rocprim17ROCPRIM_400000_NS6detail17trampoline_kernelINS0_14default_configENS1_25partition_config_selectorILNS1_17partition_subalgoE1EtNS0_10empty_typeEbEEZZNS1_14partition_implILS5_1ELb0ES3_jN6thrust23THRUST_200600_302600_NS6detail15normal_iteratorINSA_10device_ptrItEEEEPS6_NSA_18transform_iteratorI7is_evenItESF_NSA_11use_defaultESK_EENS0_5tupleIJNSA_16discard_iteratorISK_EESF_EEENSM_IJSG_SG_EEES6_PlJS6_EEE10hipError_tPvRmT3_T4_T5_T6_T7_T9_mT8_P12ihipStream_tbDpT10_ENKUlT_T0_E_clISt17integral_constantIbLb1EES1A_IbLb0EEEEDaS16_S17_EUlS16_E_NS1_11comp_targetILNS1_3genE4ELNS1_11target_archE910ELNS1_3gpuE8ELNS1_3repE0EEENS1_30default_config_static_selectorELNS0_4arch9wavefront6targetE1EEEvT1_
		.amdhsa_group_segment_fixed_size 10248
		.amdhsa_private_segment_fixed_size 0
		.amdhsa_kernarg_size 136
		.amdhsa_user_sgpr_count 6
		.amdhsa_user_sgpr_private_segment_buffer 1
		.amdhsa_user_sgpr_dispatch_ptr 0
		.amdhsa_user_sgpr_queue_ptr 0
		.amdhsa_user_sgpr_kernarg_segment_ptr 1
		.amdhsa_user_sgpr_dispatch_id 0
		.amdhsa_user_sgpr_flat_scratch_init 0
		.amdhsa_user_sgpr_kernarg_preload_length 0
		.amdhsa_user_sgpr_kernarg_preload_offset 0
		.amdhsa_user_sgpr_private_segment_size 0
		.amdhsa_uses_dynamic_stack 0
		.amdhsa_system_sgpr_private_segment_wavefront_offset 0
		.amdhsa_system_sgpr_workgroup_id_x 1
		.amdhsa_system_sgpr_workgroup_id_y 0
		.amdhsa_system_sgpr_workgroup_id_z 0
		.amdhsa_system_sgpr_workgroup_info 0
		.amdhsa_system_vgpr_workitem_id 0
		.amdhsa_next_free_vgpr 65
		.amdhsa_next_free_sgpr 44
		.amdhsa_accum_offset 68
		.amdhsa_reserve_vcc 1
		.amdhsa_reserve_flat_scratch 0
		.amdhsa_float_round_mode_32 0
		.amdhsa_float_round_mode_16_64 0
		.amdhsa_float_denorm_mode_32 3
		.amdhsa_float_denorm_mode_16_64 3
		.amdhsa_dx10_clamp 1
		.amdhsa_ieee_mode 1
		.amdhsa_fp16_overflow 0
		.amdhsa_tg_split 0
		.amdhsa_exception_fp_ieee_invalid_op 0
		.amdhsa_exception_fp_denorm_src 0
		.amdhsa_exception_fp_ieee_div_zero 0
		.amdhsa_exception_fp_ieee_overflow 0
		.amdhsa_exception_fp_ieee_underflow 0
		.amdhsa_exception_fp_ieee_inexact 0
		.amdhsa_exception_int_div_zero 0
	.end_amdhsa_kernel
	.section	.text._ZN7rocprim17ROCPRIM_400000_NS6detail17trampoline_kernelINS0_14default_configENS1_25partition_config_selectorILNS1_17partition_subalgoE1EtNS0_10empty_typeEbEEZZNS1_14partition_implILS5_1ELb0ES3_jN6thrust23THRUST_200600_302600_NS6detail15normal_iteratorINSA_10device_ptrItEEEEPS6_NSA_18transform_iteratorI7is_evenItESF_NSA_11use_defaultESK_EENS0_5tupleIJNSA_16discard_iteratorISK_EESF_EEENSM_IJSG_SG_EEES6_PlJS6_EEE10hipError_tPvRmT3_T4_T5_T6_T7_T9_mT8_P12ihipStream_tbDpT10_ENKUlT_T0_E_clISt17integral_constantIbLb1EES1A_IbLb0EEEEDaS16_S17_EUlS16_E_NS1_11comp_targetILNS1_3genE4ELNS1_11target_archE910ELNS1_3gpuE8ELNS1_3repE0EEENS1_30default_config_static_selectorELNS0_4arch9wavefront6targetE1EEEvT1_,"axG",@progbits,_ZN7rocprim17ROCPRIM_400000_NS6detail17trampoline_kernelINS0_14default_configENS1_25partition_config_selectorILNS1_17partition_subalgoE1EtNS0_10empty_typeEbEEZZNS1_14partition_implILS5_1ELb0ES3_jN6thrust23THRUST_200600_302600_NS6detail15normal_iteratorINSA_10device_ptrItEEEEPS6_NSA_18transform_iteratorI7is_evenItESF_NSA_11use_defaultESK_EENS0_5tupleIJNSA_16discard_iteratorISK_EESF_EEENSM_IJSG_SG_EEES6_PlJS6_EEE10hipError_tPvRmT3_T4_T5_T6_T7_T9_mT8_P12ihipStream_tbDpT10_ENKUlT_T0_E_clISt17integral_constantIbLb1EES1A_IbLb0EEEEDaS16_S17_EUlS16_E_NS1_11comp_targetILNS1_3genE4ELNS1_11target_archE910ELNS1_3gpuE8ELNS1_3repE0EEENS1_30default_config_static_selectorELNS0_4arch9wavefront6targetE1EEEvT1_,comdat
.Lfunc_end3149:
	.size	_ZN7rocprim17ROCPRIM_400000_NS6detail17trampoline_kernelINS0_14default_configENS1_25partition_config_selectorILNS1_17partition_subalgoE1EtNS0_10empty_typeEbEEZZNS1_14partition_implILS5_1ELb0ES3_jN6thrust23THRUST_200600_302600_NS6detail15normal_iteratorINSA_10device_ptrItEEEEPS6_NSA_18transform_iteratorI7is_evenItESF_NSA_11use_defaultESK_EENS0_5tupleIJNSA_16discard_iteratorISK_EESF_EEENSM_IJSG_SG_EEES6_PlJS6_EEE10hipError_tPvRmT3_T4_T5_T6_T7_T9_mT8_P12ihipStream_tbDpT10_ENKUlT_T0_E_clISt17integral_constantIbLb1EES1A_IbLb0EEEEDaS16_S17_EUlS16_E_NS1_11comp_targetILNS1_3genE4ELNS1_11target_archE910ELNS1_3gpuE8ELNS1_3repE0EEENS1_30default_config_static_selectorELNS0_4arch9wavefront6targetE1EEEvT1_, .Lfunc_end3149-_ZN7rocprim17ROCPRIM_400000_NS6detail17trampoline_kernelINS0_14default_configENS1_25partition_config_selectorILNS1_17partition_subalgoE1EtNS0_10empty_typeEbEEZZNS1_14partition_implILS5_1ELb0ES3_jN6thrust23THRUST_200600_302600_NS6detail15normal_iteratorINSA_10device_ptrItEEEEPS6_NSA_18transform_iteratorI7is_evenItESF_NSA_11use_defaultESK_EENS0_5tupleIJNSA_16discard_iteratorISK_EESF_EEENSM_IJSG_SG_EEES6_PlJS6_EEE10hipError_tPvRmT3_T4_T5_T6_T7_T9_mT8_P12ihipStream_tbDpT10_ENKUlT_T0_E_clISt17integral_constantIbLb1EES1A_IbLb0EEEEDaS16_S17_EUlS16_E_NS1_11comp_targetILNS1_3genE4ELNS1_11target_archE910ELNS1_3gpuE8ELNS1_3repE0EEENS1_30default_config_static_selectorELNS0_4arch9wavefront6targetE1EEEvT1_
                                        ; -- End function
	.section	.AMDGPU.csdata,"",@progbits
; Kernel info:
; codeLenInByte = 9244
; NumSgprs: 48
; NumVgprs: 65
; NumAgprs: 0
; TotalNumVgprs: 65
; ScratchSize: 0
; MemoryBound: 0
; FloatMode: 240
; IeeeMode: 1
; LDSByteSize: 10248 bytes/workgroup (compile time only)
; SGPRBlocks: 5
; VGPRBlocks: 8
; NumSGPRsForWavesPerEU: 48
; NumVGPRsForWavesPerEU: 65
; AccumOffset: 68
; Occupancy: 6
; WaveLimiterHint : 1
; COMPUTE_PGM_RSRC2:SCRATCH_EN: 0
; COMPUTE_PGM_RSRC2:USER_SGPR: 6
; COMPUTE_PGM_RSRC2:TRAP_HANDLER: 0
; COMPUTE_PGM_RSRC2:TGID_X_EN: 1
; COMPUTE_PGM_RSRC2:TGID_Y_EN: 0
; COMPUTE_PGM_RSRC2:TGID_Z_EN: 0
; COMPUTE_PGM_RSRC2:TIDIG_COMP_CNT: 0
; COMPUTE_PGM_RSRC3_GFX90A:ACCUM_OFFSET: 16
; COMPUTE_PGM_RSRC3_GFX90A:TG_SPLIT: 0
	.section	.text._ZN7rocprim17ROCPRIM_400000_NS6detail17trampoline_kernelINS0_14default_configENS1_25partition_config_selectorILNS1_17partition_subalgoE1EtNS0_10empty_typeEbEEZZNS1_14partition_implILS5_1ELb0ES3_jN6thrust23THRUST_200600_302600_NS6detail15normal_iteratorINSA_10device_ptrItEEEEPS6_NSA_18transform_iteratorI7is_evenItESF_NSA_11use_defaultESK_EENS0_5tupleIJNSA_16discard_iteratorISK_EESF_EEENSM_IJSG_SG_EEES6_PlJS6_EEE10hipError_tPvRmT3_T4_T5_T6_T7_T9_mT8_P12ihipStream_tbDpT10_ENKUlT_T0_E_clISt17integral_constantIbLb1EES1A_IbLb0EEEEDaS16_S17_EUlS16_E_NS1_11comp_targetILNS1_3genE3ELNS1_11target_archE908ELNS1_3gpuE7ELNS1_3repE0EEENS1_30default_config_static_selectorELNS0_4arch9wavefront6targetE1EEEvT1_,"axG",@progbits,_ZN7rocprim17ROCPRIM_400000_NS6detail17trampoline_kernelINS0_14default_configENS1_25partition_config_selectorILNS1_17partition_subalgoE1EtNS0_10empty_typeEbEEZZNS1_14partition_implILS5_1ELb0ES3_jN6thrust23THRUST_200600_302600_NS6detail15normal_iteratorINSA_10device_ptrItEEEEPS6_NSA_18transform_iteratorI7is_evenItESF_NSA_11use_defaultESK_EENS0_5tupleIJNSA_16discard_iteratorISK_EESF_EEENSM_IJSG_SG_EEES6_PlJS6_EEE10hipError_tPvRmT3_T4_T5_T6_T7_T9_mT8_P12ihipStream_tbDpT10_ENKUlT_T0_E_clISt17integral_constantIbLb1EES1A_IbLb0EEEEDaS16_S17_EUlS16_E_NS1_11comp_targetILNS1_3genE3ELNS1_11target_archE908ELNS1_3gpuE7ELNS1_3repE0EEENS1_30default_config_static_selectorELNS0_4arch9wavefront6targetE1EEEvT1_,comdat
	.protected	_ZN7rocprim17ROCPRIM_400000_NS6detail17trampoline_kernelINS0_14default_configENS1_25partition_config_selectorILNS1_17partition_subalgoE1EtNS0_10empty_typeEbEEZZNS1_14partition_implILS5_1ELb0ES3_jN6thrust23THRUST_200600_302600_NS6detail15normal_iteratorINSA_10device_ptrItEEEEPS6_NSA_18transform_iteratorI7is_evenItESF_NSA_11use_defaultESK_EENS0_5tupleIJNSA_16discard_iteratorISK_EESF_EEENSM_IJSG_SG_EEES6_PlJS6_EEE10hipError_tPvRmT3_T4_T5_T6_T7_T9_mT8_P12ihipStream_tbDpT10_ENKUlT_T0_E_clISt17integral_constantIbLb1EES1A_IbLb0EEEEDaS16_S17_EUlS16_E_NS1_11comp_targetILNS1_3genE3ELNS1_11target_archE908ELNS1_3gpuE7ELNS1_3repE0EEENS1_30default_config_static_selectorELNS0_4arch9wavefront6targetE1EEEvT1_ ; -- Begin function _ZN7rocprim17ROCPRIM_400000_NS6detail17trampoline_kernelINS0_14default_configENS1_25partition_config_selectorILNS1_17partition_subalgoE1EtNS0_10empty_typeEbEEZZNS1_14partition_implILS5_1ELb0ES3_jN6thrust23THRUST_200600_302600_NS6detail15normal_iteratorINSA_10device_ptrItEEEEPS6_NSA_18transform_iteratorI7is_evenItESF_NSA_11use_defaultESK_EENS0_5tupleIJNSA_16discard_iteratorISK_EESF_EEENSM_IJSG_SG_EEES6_PlJS6_EEE10hipError_tPvRmT3_T4_T5_T6_T7_T9_mT8_P12ihipStream_tbDpT10_ENKUlT_T0_E_clISt17integral_constantIbLb1EES1A_IbLb0EEEEDaS16_S17_EUlS16_E_NS1_11comp_targetILNS1_3genE3ELNS1_11target_archE908ELNS1_3gpuE7ELNS1_3repE0EEENS1_30default_config_static_selectorELNS0_4arch9wavefront6targetE1EEEvT1_
	.globl	_ZN7rocprim17ROCPRIM_400000_NS6detail17trampoline_kernelINS0_14default_configENS1_25partition_config_selectorILNS1_17partition_subalgoE1EtNS0_10empty_typeEbEEZZNS1_14partition_implILS5_1ELb0ES3_jN6thrust23THRUST_200600_302600_NS6detail15normal_iteratorINSA_10device_ptrItEEEEPS6_NSA_18transform_iteratorI7is_evenItESF_NSA_11use_defaultESK_EENS0_5tupleIJNSA_16discard_iteratorISK_EESF_EEENSM_IJSG_SG_EEES6_PlJS6_EEE10hipError_tPvRmT3_T4_T5_T6_T7_T9_mT8_P12ihipStream_tbDpT10_ENKUlT_T0_E_clISt17integral_constantIbLb1EES1A_IbLb0EEEEDaS16_S17_EUlS16_E_NS1_11comp_targetILNS1_3genE3ELNS1_11target_archE908ELNS1_3gpuE7ELNS1_3repE0EEENS1_30default_config_static_selectorELNS0_4arch9wavefront6targetE1EEEvT1_
	.p2align	8
	.type	_ZN7rocprim17ROCPRIM_400000_NS6detail17trampoline_kernelINS0_14default_configENS1_25partition_config_selectorILNS1_17partition_subalgoE1EtNS0_10empty_typeEbEEZZNS1_14partition_implILS5_1ELb0ES3_jN6thrust23THRUST_200600_302600_NS6detail15normal_iteratorINSA_10device_ptrItEEEEPS6_NSA_18transform_iteratorI7is_evenItESF_NSA_11use_defaultESK_EENS0_5tupleIJNSA_16discard_iteratorISK_EESF_EEENSM_IJSG_SG_EEES6_PlJS6_EEE10hipError_tPvRmT3_T4_T5_T6_T7_T9_mT8_P12ihipStream_tbDpT10_ENKUlT_T0_E_clISt17integral_constantIbLb1EES1A_IbLb0EEEEDaS16_S17_EUlS16_E_NS1_11comp_targetILNS1_3genE3ELNS1_11target_archE908ELNS1_3gpuE7ELNS1_3repE0EEENS1_30default_config_static_selectorELNS0_4arch9wavefront6targetE1EEEvT1_,@function
_ZN7rocprim17ROCPRIM_400000_NS6detail17trampoline_kernelINS0_14default_configENS1_25partition_config_selectorILNS1_17partition_subalgoE1EtNS0_10empty_typeEbEEZZNS1_14partition_implILS5_1ELb0ES3_jN6thrust23THRUST_200600_302600_NS6detail15normal_iteratorINSA_10device_ptrItEEEEPS6_NSA_18transform_iteratorI7is_evenItESF_NSA_11use_defaultESK_EENS0_5tupleIJNSA_16discard_iteratorISK_EESF_EEENSM_IJSG_SG_EEES6_PlJS6_EEE10hipError_tPvRmT3_T4_T5_T6_T7_T9_mT8_P12ihipStream_tbDpT10_ENKUlT_T0_E_clISt17integral_constantIbLb1EES1A_IbLb0EEEEDaS16_S17_EUlS16_E_NS1_11comp_targetILNS1_3genE3ELNS1_11target_archE908ELNS1_3gpuE7ELNS1_3repE0EEENS1_30default_config_static_selectorELNS0_4arch9wavefront6targetE1EEEvT1_: ; @_ZN7rocprim17ROCPRIM_400000_NS6detail17trampoline_kernelINS0_14default_configENS1_25partition_config_selectorILNS1_17partition_subalgoE1EtNS0_10empty_typeEbEEZZNS1_14partition_implILS5_1ELb0ES3_jN6thrust23THRUST_200600_302600_NS6detail15normal_iteratorINSA_10device_ptrItEEEEPS6_NSA_18transform_iteratorI7is_evenItESF_NSA_11use_defaultESK_EENS0_5tupleIJNSA_16discard_iteratorISK_EESF_EEENSM_IJSG_SG_EEES6_PlJS6_EEE10hipError_tPvRmT3_T4_T5_T6_T7_T9_mT8_P12ihipStream_tbDpT10_ENKUlT_T0_E_clISt17integral_constantIbLb1EES1A_IbLb0EEEEDaS16_S17_EUlS16_E_NS1_11comp_targetILNS1_3genE3ELNS1_11target_archE908ELNS1_3gpuE7ELNS1_3repE0EEENS1_30default_config_static_selectorELNS0_4arch9wavefront6targetE1EEEvT1_
; %bb.0:
	.section	.rodata,"a",@progbits
	.p2align	6, 0x0
	.amdhsa_kernel _ZN7rocprim17ROCPRIM_400000_NS6detail17trampoline_kernelINS0_14default_configENS1_25partition_config_selectorILNS1_17partition_subalgoE1EtNS0_10empty_typeEbEEZZNS1_14partition_implILS5_1ELb0ES3_jN6thrust23THRUST_200600_302600_NS6detail15normal_iteratorINSA_10device_ptrItEEEEPS6_NSA_18transform_iteratorI7is_evenItESF_NSA_11use_defaultESK_EENS0_5tupleIJNSA_16discard_iteratorISK_EESF_EEENSM_IJSG_SG_EEES6_PlJS6_EEE10hipError_tPvRmT3_T4_T5_T6_T7_T9_mT8_P12ihipStream_tbDpT10_ENKUlT_T0_E_clISt17integral_constantIbLb1EES1A_IbLb0EEEEDaS16_S17_EUlS16_E_NS1_11comp_targetILNS1_3genE3ELNS1_11target_archE908ELNS1_3gpuE7ELNS1_3repE0EEENS1_30default_config_static_selectorELNS0_4arch9wavefront6targetE1EEEvT1_
		.amdhsa_group_segment_fixed_size 0
		.amdhsa_private_segment_fixed_size 0
		.amdhsa_kernarg_size 136
		.amdhsa_user_sgpr_count 6
		.amdhsa_user_sgpr_private_segment_buffer 1
		.amdhsa_user_sgpr_dispatch_ptr 0
		.amdhsa_user_sgpr_queue_ptr 0
		.amdhsa_user_sgpr_kernarg_segment_ptr 1
		.amdhsa_user_sgpr_dispatch_id 0
		.amdhsa_user_sgpr_flat_scratch_init 0
		.amdhsa_user_sgpr_kernarg_preload_length 0
		.amdhsa_user_sgpr_kernarg_preload_offset 0
		.amdhsa_user_sgpr_private_segment_size 0
		.amdhsa_uses_dynamic_stack 0
		.amdhsa_system_sgpr_private_segment_wavefront_offset 0
		.amdhsa_system_sgpr_workgroup_id_x 1
		.amdhsa_system_sgpr_workgroup_id_y 0
		.amdhsa_system_sgpr_workgroup_id_z 0
		.amdhsa_system_sgpr_workgroup_info 0
		.amdhsa_system_vgpr_workitem_id 0
		.amdhsa_next_free_vgpr 1
		.amdhsa_next_free_sgpr 0
		.amdhsa_accum_offset 4
		.amdhsa_reserve_vcc 0
		.amdhsa_reserve_flat_scratch 0
		.amdhsa_float_round_mode_32 0
		.amdhsa_float_round_mode_16_64 0
		.amdhsa_float_denorm_mode_32 3
		.amdhsa_float_denorm_mode_16_64 3
		.amdhsa_dx10_clamp 1
		.amdhsa_ieee_mode 1
		.amdhsa_fp16_overflow 0
		.amdhsa_tg_split 0
		.amdhsa_exception_fp_ieee_invalid_op 0
		.amdhsa_exception_fp_denorm_src 0
		.amdhsa_exception_fp_ieee_div_zero 0
		.amdhsa_exception_fp_ieee_overflow 0
		.amdhsa_exception_fp_ieee_underflow 0
		.amdhsa_exception_fp_ieee_inexact 0
		.amdhsa_exception_int_div_zero 0
	.end_amdhsa_kernel
	.section	.text._ZN7rocprim17ROCPRIM_400000_NS6detail17trampoline_kernelINS0_14default_configENS1_25partition_config_selectorILNS1_17partition_subalgoE1EtNS0_10empty_typeEbEEZZNS1_14partition_implILS5_1ELb0ES3_jN6thrust23THRUST_200600_302600_NS6detail15normal_iteratorINSA_10device_ptrItEEEEPS6_NSA_18transform_iteratorI7is_evenItESF_NSA_11use_defaultESK_EENS0_5tupleIJNSA_16discard_iteratorISK_EESF_EEENSM_IJSG_SG_EEES6_PlJS6_EEE10hipError_tPvRmT3_T4_T5_T6_T7_T9_mT8_P12ihipStream_tbDpT10_ENKUlT_T0_E_clISt17integral_constantIbLb1EES1A_IbLb0EEEEDaS16_S17_EUlS16_E_NS1_11comp_targetILNS1_3genE3ELNS1_11target_archE908ELNS1_3gpuE7ELNS1_3repE0EEENS1_30default_config_static_selectorELNS0_4arch9wavefront6targetE1EEEvT1_,"axG",@progbits,_ZN7rocprim17ROCPRIM_400000_NS6detail17trampoline_kernelINS0_14default_configENS1_25partition_config_selectorILNS1_17partition_subalgoE1EtNS0_10empty_typeEbEEZZNS1_14partition_implILS5_1ELb0ES3_jN6thrust23THRUST_200600_302600_NS6detail15normal_iteratorINSA_10device_ptrItEEEEPS6_NSA_18transform_iteratorI7is_evenItESF_NSA_11use_defaultESK_EENS0_5tupleIJNSA_16discard_iteratorISK_EESF_EEENSM_IJSG_SG_EEES6_PlJS6_EEE10hipError_tPvRmT3_T4_T5_T6_T7_T9_mT8_P12ihipStream_tbDpT10_ENKUlT_T0_E_clISt17integral_constantIbLb1EES1A_IbLb0EEEEDaS16_S17_EUlS16_E_NS1_11comp_targetILNS1_3genE3ELNS1_11target_archE908ELNS1_3gpuE7ELNS1_3repE0EEENS1_30default_config_static_selectorELNS0_4arch9wavefront6targetE1EEEvT1_,comdat
.Lfunc_end3150:
	.size	_ZN7rocprim17ROCPRIM_400000_NS6detail17trampoline_kernelINS0_14default_configENS1_25partition_config_selectorILNS1_17partition_subalgoE1EtNS0_10empty_typeEbEEZZNS1_14partition_implILS5_1ELb0ES3_jN6thrust23THRUST_200600_302600_NS6detail15normal_iteratorINSA_10device_ptrItEEEEPS6_NSA_18transform_iteratorI7is_evenItESF_NSA_11use_defaultESK_EENS0_5tupleIJNSA_16discard_iteratorISK_EESF_EEENSM_IJSG_SG_EEES6_PlJS6_EEE10hipError_tPvRmT3_T4_T5_T6_T7_T9_mT8_P12ihipStream_tbDpT10_ENKUlT_T0_E_clISt17integral_constantIbLb1EES1A_IbLb0EEEEDaS16_S17_EUlS16_E_NS1_11comp_targetILNS1_3genE3ELNS1_11target_archE908ELNS1_3gpuE7ELNS1_3repE0EEENS1_30default_config_static_selectorELNS0_4arch9wavefront6targetE1EEEvT1_, .Lfunc_end3150-_ZN7rocprim17ROCPRIM_400000_NS6detail17trampoline_kernelINS0_14default_configENS1_25partition_config_selectorILNS1_17partition_subalgoE1EtNS0_10empty_typeEbEEZZNS1_14partition_implILS5_1ELb0ES3_jN6thrust23THRUST_200600_302600_NS6detail15normal_iteratorINSA_10device_ptrItEEEEPS6_NSA_18transform_iteratorI7is_evenItESF_NSA_11use_defaultESK_EENS0_5tupleIJNSA_16discard_iteratorISK_EESF_EEENSM_IJSG_SG_EEES6_PlJS6_EEE10hipError_tPvRmT3_T4_T5_T6_T7_T9_mT8_P12ihipStream_tbDpT10_ENKUlT_T0_E_clISt17integral_constantIbLb1EES1A_IbLb0EEEEDaS16_S17_EUlS16_E_NS1_11comp_targetILNS1_3genE3ELNS1_11target_archE908ELNS1_3gpuE7ELNS1_3repE0EEENS1_30default_config_static_selectorELNS0_4arch9wavefront6targetE1EEEvT1_
                                        ; -- End function
	.section	.AMDGPU.csdata,"",@progbits
; Kernel info:
; codeLenInByte = 0
; NumSgprs: 4
; NumVgprs: 0
; NumAgprs: 0
; TotalNumVgprs: 0
; ScratchSize: 0
; MemoryBound: 0
; FloatMode: 240
; IeeeMode: 1
; LDSByteSize: 0 bytes/workgroup (compile time only)
; SGPRBlocks: 0
; VGPRBlocks: 0
; NumSGPRsForWavesPerEU: 4
; NumVGPRsForWavesPerEU: 1
; AccumOffset: 4
; Occupancy: 8
; WaveLimiterHint : 0
; COMPUTE_PGM_RSRC2:SCRATCH_EN: 0
; COMPUTE_PGM_RSRC2:USER_SGPR: 6
; COMPUTE_PGM_RSRC2:TRAP_HANDLER: 0
; COMPUTE_PGM_RSRC2:TGID_X_EN: 1
; COMPUTE_PGM_RSRC2:TGID_Y_EN: 0
; COMPUTE_PGM_RSRC2:TGID_Z_EN: 0
; COMPUTE_PGM_RSRC2:TIDIG_COMP_CNT: 0
; COMPUTE_PGM_RSRC3_GFX90A:ACCUM_OFFSET: 0
; COMPUTE_PGM_RSRC3_GFX90A:TG_SPLIT: 0
	.section	.text._ZN7rocprim17ROCPRIM_400000_NS6detail17trampoline_kernelINS0_14default_configENS1_25partition_config_selectorILNS1_17partition_subalgoE1EtNS0_10empty_typeEbEEZZNS1_14partition_implILS5_1ELb0ES3_jN6thrust23THRUST_200600_302600_NS6detail15normal_iteratorINSA_10device_ptrItEEEEPS6_NSA_18transform_iteratorI7is_evenItESF_NSA_11use_defaultESK_EENS0_5tupleIJNSA_16discard_iteratorISK_EESF_EEENSM_IJSG_SG_EEES6_PlJS6_EEE10hipError_tPvRmT3_T4_T5_T6_T7_T9_mT8_P12ihipStream_tbDpT10_ENKUlT_T0_E_clISt17integral_constantIbLb1EES1A_IbLb0EEEEDaS16_S17_EUlS16_E_NS1_11comp_targetILNS1_3genE2ELNS1_11target_archE906ELNS1_3gpuE6ELNS1_3repE0EEENS1_30default_config_static_selectorELNS0_4arch9wavefront6targetE1EEEvT1_,"axG",@progbits,_ZN7rocprim17ROCPRIM_400000_NS6detail17trampoline_kernelINS0_14default_configENS1_25partition_config_selectorILNS1_17partition_subalgoE1EtNS0_10empty_typeEbEEZZNS1_14partition_implILS5_1ELb0ES3_jN6thrust23THRUST_200600_302600_NS6detail15normal_iteratorINSA_10device_ptrItEEEEPS6_NSA_18transform_iteratorI7is_evenItESF_NSA_11use_defaultESK_EENS0_5tupleIJNSA_16discard_iteratorISK_EESF_EEENSM_IJSG_SG_EEES6_PlJS6_EEE10hipError_tPvRmT3_T4_T5_T6_T7_T9_mT8_P12ihipStream_tbDpT10_ENKUlT_T0_E_clISt17integral_constantIbLb1EES1A_IbLb0EEEEDaS16_S17_EUlS16_E_NS1_11comp_targetILNS1_3genE2ELNS1_11target_archE906ELNS1_3gpuE6ELNS1_3repE0EEENS1_30default_config_static_selectorELNS0_4arch9wavefront6targetE1EEEvT1_,comdat
	.protected	_ZN7rocprim17ROCPRIM_400000_NS6detail17trampoline_kernelINS0_14default_configENS1_25partition_config_selectorILNS1_17partition_subalgoE1EtNS0_10empty_typeEbEEZZNS1_14partition_implILS5_1ELb0ES3_jN6thrust23THRUST_200600_302600_NS6detail15normal_iteratorINSA_10device_ptrItEEEEPS6_NSA_18transform_iteratorI7is_evenItESF_NSA_11use_defaultESK_EENS0_5tupleIJNSA_16discard_iteratorISK_EESF_EEENSM_IJSG_SG_EEES6_PlJS6_EEE10hipError_tPvRmT3_T4_T5_T6_T7_T9_mT8_P12ihipStream_tbDpT10_ENKUlT_T0_E_clISt17integral_constantIbLb1EES1A_IbLb0EEEEDaS16_S17_EUlS16_E_NS1_11comp_targetILNS1_3genE2ELNS1_11target_archE906ELNS1_3gpuE6ELNS1_3repE0EEENS1_30default_config_static_selectorELNS0_4arch9wavefront6targetE1EEEvT1_ ; -- Begin function _ZN7rocprim17ROCPRIM_400000_NS6detail17trampoline_kernelINS0_14default_configENS1_25partition_config_selectorILNS1_17partition_subalgoE1EtNS0_10empty_typeEbEEZZNS1_14partition_implILS5_1ELb0ES3_jN6thrust23THRUST_200600_302600_NS6detail15normal_iteratorINSA_10device_ptrItEEEEPS6_NSA_18transform_iteratorI7is_evenItESF_NSA_11use_defaultESK_EENS0_5tupleIJNSA_16discard_iteratorISK_EESF_EEENSM_IJSG_SG_EEES6_PlJS6_EEE10hipError_tPvRmT3_T4_T5_T6_T7_T9_mT8_P12ihipStream_tbDpT10_ENKUlT_T0_E_clISt17integral_constantIbLb1EES1A_IbLb0EEEEDaS16_S17_EUlS16_E_NS1_11comp_targetILNS1_3genE2ELNS1_11target_archE906ELNS1_3gpuE6ELNS1_3repE0EEENS1_30default_config_static_selectorELNS0_4arch9wavefront6targetE1EEEvT1_
	.globl	_ZN7rocprim17ROCPRIM_400000_NS6detail17trampoline_kernelINS0_14default_configENS1_25partition_config_selectorILNS1_17partition_subalgoE1EtNS0_10empty_typeEbEEZZNS1_14partition_implILS5_1ELb0ES3_jN6thrust23THRUST_200600_302600_NS6detail15normal_iteratorINSA_10device_ptrItEEEEPS6_NSA_18transform_iteratorI7is_evenItESF_NSA_11use_defaultESK_EENS0_5tupleIJNSA_16discard_iteratorISK_EESF_EEENSM_IJSG_SG_EEES6_PlJS6_EEE10hipError_tPvRmT3_T4_T5_T6_T7_T9_mT8_P12ihipStream_tbDpT10_ENKUlT_T0_E_clISt17integral_constantIbLb1EES1A_IbLb0EEEEDaS16_S17_EUlS16_E_NS1_11comp_targetILNS1_3genE2ELNS1_11target_archE906ELNS1_3gpuE6ELNS1_3repE0EEENS1_30default_config_static_selectorELNS0_4arch9wavefront6targetE1EEEvT1_
	.p2align	8
	.type	_ZN7rocprim17ROCPRIM_400000_NS6detail17trampoline_kernelINS0_14default_configENS1_25partition_config_selectorILNS1_17partition_subalgoE1EtNS0_10empty_typeEbEEZZNS1_14partition_implILS5_1ELb0ES3_jN6thrust23THRUST_200600_302600_NS6detail15normal_iteratorINSA_10device_ptrItEEEEPS6_NSA_18transform_iteratorI7is_evenItESF_NSA_11use_defaultESK_EENS0_5tupleIJNSA_16discard_iteratorISK_EESF_EEENSM_IJSG_SG_EEES6_PlJS6_EEE10hipError_tPvRmT3_T4_T5_T6_T7_T9_mT8_P12ihipStream_tbDpT10_ENKUlT_T0_E_clISt17integral_constantIbLb1EES1A_IbLb0EEEEDaS16_S17_EUlS16_E_NS1_11comp_targetILNS1_3genE2ELNS1_11target_archE906ELNS1_3gpuE6ELNS1_3repE0EEENS1_30default_config_static_selectorELNS0_4arch9wavefront6targetE1EEEvT1_,@function
_ZN7rocprim17ROCPRIM_400000_NS6detail17trampoline_kernelINS0_14default_configENS1_25partition_config_selectorILNS1_17partition_subalgoE1EtNS0_10empty_typeEbEEZZNS1_14partition_implILS5_1ELb0ES3_jN6thrust23THRUST_200600_302600_NS6detail15normal_iteratorINSA_10device_ptrItEEEEPS6_NSA_18transform_iteratorI7is_evenItESF_NSA_11use_defaultESK_EENS0_5tupleIJNSA_16discard_iteratorISK_EESF_EEENSM_IJSG_SG_EEES6_PlJS6_EEE10hipError_tPvRmT3_T4_T5_T6_T7_T9_mT8_P12ihipStream_tbDpT10_ENKUlT_T0_E_clISt17integral_constantIbLb1EES1A_IbLb0EEEEDaS16_S17_EUlS16_E_NS1_11comp_targetILNS1_3genE2ELNS1_11target_archE906ELNS1_3gpuE6ELNS1_3repE0EEENS1_30default_config_static_selectorELNS0_4arch9wavefront6targetE1EEEvT1_: ; @_ZN7rocprim17ROCPRIM_400000_NS6detail17trampoline_kernelINS0_14default_configENS1_25partition_config_selectorILNS1_17partition_subalgoE1EtNS0_10empty_typeEbEEZZNS1_14partition_implILS5_1ELb0ES3_jN6thrust23THRUST_200600_302600_NS6detail15normal_iteratorINSA_10device_ptrItEEEEPS6_NSA_18transform_iteratorI7is_evenItESF_NSA_11use_defaultESK_EENS0_5tupleIJNSA_16discard_iteratorISK_EESF_EEENSM_IJSG_SG_EEES6_PlJS6_EEE10hipError_tPvRmT3_T4_T5_T6_T7_T9_mT8_P12ihipStream_tbDpT10_ENKUlT_T0_E_clISt17integral_constantIbLb1EES1A_IbLb0EEEEDaS16_S17_EUlS16_E_NS1_11comp_targetILNS1_3genE2ELNS1_11target_archE906ELNS1_3gpuE6ELNS1_3repE0EEENS1_30default_config_static_selectorELNS0_4arch9wavefront6targetE1EEEvT1_
; %bb.0:
	.section	.rodata,"a",@progbits
	.p2align	6, 0x0
	.amdhsa_kernel _ZN7rocprim17ROCPRIM_400000_NS6detail17trampoline_kernelINS0_14default_configENS1_25partition_config_selectorILNS1_17partition_subalgoE1EtNS0_10empty_typeEbEEZZNS1_14partition_implILS5_1ELb0ES3_jN6thrust23THRUST_200600_302600_NS6detail15normal_iteratorINSA_10device_ptrItEEEEPS6_NSA_18transform_iteratorI7is_evenItESF_NSA_11use_defaultESK_EENS0_5tupleIJNSA_16discard_iteratorISK_EESF_EEENSM_IJSG_SG_EEES6_PlJS6_EEE10hipError_tPvRmT3_T4_T5_T6_T7_T9_mT8_P12ihipStream_tbDpT10_ENKUlT_T0_E_clISt17integral_constantIbLb1EES1A_IbLb0EEEEDaS16_S17_EUlS16_E_NS1_11comp_targetILNS1_3genE2ELNS1_11target_archE906ELNS1_3gpuE6ELNS1_3repE0EEENS1_30default_config_static_selectorELNS0_4arch9wavefront6targetE1EEEvT1_
		.amdhsa_group_segment_fixed_size 0
		.amdhsa_private_segment_fixed_size 0
		.amdhsa_kernarg_size 136
		.amdhsa_user_sgpr_count 6
		.amdhsa_user_sgpr_private_segment_buffer 1
		.amdhsa_user_sgpr_dispatch_ptr 0
		.amdhsa_user_sgpr_queue_ptr 0
		.amdhsa_user_sgpr_kernarg_segment_ptr 1
		.amdhsa_user_sgpr_dispatch_id 0
		.amdhsa_user_sgpr_flat_scratch_init 0
		.amdhsa_user_sgpr_kernarg_preload_length 0
		.amdhsa_user_sgpr_kernarg_preload_offset 0
		.amdhsa_user_sgpr_private_segment_size 0
		.amdhsa_uses_dynamic_stack 0
		.amdhsa_system_sgpr_private_segment_wavefront_offset 0
		.amdhsa_system_sgpr_workgroup_id_x 1
		.amdhsa_system_sgpr_workgroup_id_y 0
		.amdhsa_system_sgpr_workgroup_id_z 0
		.amdhsa_system_sgpr_workgroup_info 0
		.amdhsa_system_vgpr_workitem_id 0
		.amdhsa_next_free_vgpr 1
		.amdhsa_next_free_sgpr 0
		.amdhsa_accum_offset 4
		.amdhsa_reserve_vcc 0
		.amdhsa_reserve_flat_scratch 0
		.amdhsa_float_round_mode_32 0
		.amdhsa_float_round_mode_16_64 0
		.amdhsa_float_denorm_mode_32 3
		.amdhsa_float_denorm_mode_16_64 3
		.amdhsa_dx10_clamp 1
		.amdhsa_ieee_mode 1
		.amdhsa_fp16_overflow 0
		.amdhsa_tg_split 0
		.amdhsa_exception_fp_ieee_invalid_op 0
		.amdhsa_exception_fp_denorm_src 0
		.amdhsa_exception_fp_ieee_div_zero 0
		.amdhsa_exception_fp_ieee_overflow 0
		.amdhsa_exception_fp_ieee_underflow 0
		.amdhsa_exception_fp_ieee_inexact 0
		.amdhsa_exception_int_div_zero 0
	.end_amdhsa_kernel
	.section	.text._ZN7rocprim17ROCPRIM_400000_NS6detail17trampoline_kernelINS0_14default_configENS1_25partition_config_selectorILNS1_17partition_subalgoE1EtNS0_10empty_typeEbEEZZNS1_14partition_implILS5_1ELb0ES3_jN6thrust23THRUST_200600_302600_NS6detail15normal_iteratorINSA_10device_ptrItEEEEPS6_NSA_18transform_iteratorI7is_evenItESF_NSA_11use_defaultESK_EENS0_5tupleIJNSA_16discard_iteratorISK_EESF_EEENSM_IJSG_SG_EEES6_PlJS6_EEE10hipError_tPvRmT3_T4_T5_T6_T7_T9_mT8_P12ihipStream_tbDpT10_ENKUlT_T0_E_clISt17integral_constantIbLb1EES1A_IbLb0EEEEDaS16_S17_EUlS16_E_NS1_11comp_targetILNS1_3genE2ELNS1_11target_archE906ELNS1_3gpuE6ELNS1_3repE0EEENS1_30default_config_static_selectorELNS0_4arch9wavefront6targetE1EEEvT1_,"axG",@progbits,_ZN7rocprim17ROCPRIM_400000_NS6detail17trampoline_kernelINS0_14default_configENS1_25partition_config_selectorILNS1_17partition_subalgoE1EtNS0_10empty_typeEbEEZZNS1_14partition_implILS5_1ELb0ES3_jN6thrust23THRUST_200600_302600_NS6detail15normal_iteratorINSA_10device_ptrItEEEEPS6_NSA_18transform_iteratorI7is_evenItESF_NSA_11use_defaultESK_EENS0_5tupleIJNSA_16discard_iteratorISK_EESF_EEENSM_IJSG_SG_EEES6_PlJS6_EEE10hipError_tPvRmT3_T4_T5_T6_T7_T9_mT8_P12ihipStream_tbDpT10_ENKUlT_T0_E_clISt17integral_constantIbLb1EES1A_IbLb0EEEEDaS16_S17_EUlS16_E_NS1_11comp_targetILNS1_3genE2ELNS1_11target_archE906ELNS1_3gpuE6ELNS1_3repE0EEENS1_30default_config_static_selectorELNS0_4arch9wavefront6targetE1EEEvT1_,comdat
.Lfunc_end3151:
	.size	_ZN7rocprim17ROCPRIM_400000_NS6detail17trampoline_kernelINS0_14default_configENS1_25partition_config_selectorILNS1_17partition_subalgoE1EtNS0_10empty_typeEbEEZZNS1_14partition_implILS5_1ELb0ES3_jN6thrust23THRUST_200600_302600_NS6detail15normal_iteratorINSA_10device_ptrItEEEEPS6_NSA_18transform_iteratorI7is_evenItESF_NSA_11use_defaultESK_EENS0_5tupleIJNSA_16discard_iteratorISK_EESF_EEENSM_IJSG_SG_EEES6_PlJS6_EEE10hipError_tPvRmT3_T4_T5_T6_T7_T9_mT8_P12ihipStream_tbDpT10_ENKUlT_T0_E_clISt17integral_constantIbLb1EES1A_IbLb0EEEEDaS16_S17_EUlS16_E_NS1_11comp_targetILNS1_3genE2ELNS1_11target_archE906ELNS1_3gpuE6ELNS1_3repE0EEENS1_30default_config_static_selectorELNS0_4arch9wavefront6targetE1EEEvT1_, .Lfunc_end3151-_ZN7rocprim17ROCPRIM_400000_NS6detail17trampoline_kernelINS0_14default_configENS1_25partition_config_selectorILNS1_17partition_subalgoE1EtNS0_10empty_typeEbEEZZNS1_14partition_implILS5_1ELb0ES3_jN6thrust23THRUST_200600_302600_NS6detail15normal_iteratorINSA_10device_ptrItEEEEPS6_NSA_18transform_iteratorI7is_evenItESF_NSA_11use_defaultESK_EENS0_5tupleIJNSA_16discard_iteratorISK_EESF_EEENSM_IJSG_SG_EEES6_PlJS6_EEE10hipError_tPvRmT3_T4_T5_T6_T7_T9_mT8_P12ihipStream_tbDpT10_ENKUlT_T0_E_clISt17integral_constantIbLb1EES1A_IbLb0EEEEDaS16_S17_EUlS16_E_NS1_11comp_targetILNS1_3genE2ELNS1_11target_archE906ELNS1_3gpuE6ELNS1_3repE0EEENS1_30default_config_static_selectorELNS0_4arch9wavefront6targetE1EEEvT1_
                                        ; -- End function
	.section	.AMDGPU.csdata,"",@progbits
; Kernel info:
; codeLenInByte = 0
; NumSgprs: 4
; NumVgprs: 0
; NumAgprs: 0
; TotalNumVgprs: 0
; ScratchSize: 0
; MemoryBound: 0
; FloatMode: 240
; IeeeMode: 1
; LDSByteSize: 0 bytes/workgroup (compile time only)
; SGPRBlocks: 0
; VGPRBlocks: 0
; NumSGPRsForWavesPerEU: 4
; NumVGPRsForWavesPerEU: 1
; AccumOffset: 4
; Occupancy: 8
; WaveLimiterHint : 0
; COMPUTE_PGM_RSRC2:SCRATCH_EN: 0
; COMPUTE_PGM_RSRC2:USER_SGPR: 6
; COMPUTE_PGM_RSRC2:TRAP_HANDLER: 0
; COMPUTE_PGM_RSRC2:TGID_X_EN: 1
; COMPUTE_PGM_RSRC2:TGID_Y_EN: 0
; COMPUTE_PGM_RSRC2:TGID_Z_EN: 0
; COMPUTE_PGM_RSRC2:TIDIG_COMP_CNT: 0
; COMPUTE_PGM_RSRC3_GFX90A:ACCUM_OFFSET: 0
; COMPUTE_PGM_RSRC3_GFX90A:TG_SPLIT: 0
	.section	.text._ZN7rocprim17ROCPRIM_400000_NS6detail17trampoline_kernelINS0_14default_configENS1_25partition_config_selectorILNS1_17partition_subalgoE1EtNS0_10empty_typeEbEEZZNS1_14partition_implILS5_1ELb0ES3_jN6thrust23THRUST_200600_302600_NS6detail15normal_iteratorINSA_10device_ptrItEEEEPS6_NSA_18transform_iteratorI7is_evenItESF_NSA_11use_defaultESK_EENS0_5tupleIJNSA_16discard_iteratorISK_EESF_EEENSM_IJSG_SG_EEES6_PlJS6_EEE10hipError_tPvRmT3_T4_T5_T6_T7_T9_mT8_P12ihipStream_tbDpT10_ENKUlT_T0_E_clISt17integral_constantIbLb1EES1A_IbLb0EEEEDaS16_S17_EUlS16_E_NS1_11comp_targetILNS1_3genE10ELNS1_11target_archE1200ELNS1_3gpuE4ELNS1_3repE0EEENS1_30default_config_static_selectorELNS0_4arch9wavefront6targetE1EEEvT1_,"axG",@progbits,_ZN7rocprim17ROCPRIM_400000_NS6detail17trampoline_kernelINS0_14default_configENS1_25partition_config_selectorILNS1_17partition_subalgoE1EtNS0_10empty_typeEbEEZZNS1_14partition_implILS5_1ELb0ES3_jN6thrust23THRUST_200600_302600_NS6detail15normal_iteratorINSA_10device_ptrItEEEEPS6_NSA_18transform_iteratorI7is_evenItESF_NSA_11use_defaultESK_EENS0_5tupleIJNSA_16discard_iteratorISK_EESF_EEENSM_IJSG_SG_EEES6_PlJS6_EEE10hipError_tPvRmT3_T4_T5_T6_T7_T9_mT8_P12ihipStream_tbDpT10_ENKUlT_T0_E_clISt17integral_constantIbLb1EES1A_IbLb0EEEEDaS16_S17_EUlS16_E_NS1_11comp_targetILNS1_3genE10ELNS1_11target_archE1200ELNS1_3gpuE4ELNS1_3repE0EEENS1_30default_config_static_selectorELNS0_4arch9wavefront6targetE1EEEvT1_,comdat
	.protected	_ZN7rocprim17ROCPRIM_400000_NS6detail17trampoline_kernelINS0_14default_configENS1_25partition_config_selectorILNS1_17partition_subalgoE1EtNS0_10empty_typeEbEEZZNS1_14partition_implILS5_1ELb0ES3_jN6thrust23THRUST_200600_302600_NS6detail15normal_iteratorINSA_10device_ptrItEEEEPS6_NSA_18transform_iteratorI7is_evenItESF_NSA_11use_defaultESK_EENS0_5tupleIJNSA_16discard_iteratorISK_EESF_EEENSM_IJSG_SG_EEES6_PlJS6_EEE10hipError_tPvRmT3_T4_T5_T6_T7_T9_mT8_P12ihipStream_tbDpT10_ENKUlT_T0_E_clISt17integral_constantIbLb1EES1A_IbLb0EEEEDaS16_S17_EUlS16_E_NS1_11comp_targetILNS1_3genE10ELNS1_11target_archE1200ELNS1_3gpuE4ELNS1_3repE0EEENS1_30default_config_static_selectorELNS0_4arch9wavefront6targetE1EEEvT1_ ; -- Begin function _ZN7rocprim17ROCPRIM_400000_NS6detail17trampoline_kernelINS0_14default_configENS1_25partition_config_selectorILNS1_17partition_subalgoE1EtNS0_10empty_typeEbEEZZNS1_14partition_implILS5_1ELb0ES3_jN6thrust23THRUST_200600_302600_NS6detail15normal_iteratorINSA_10device_ptrItEEEEPS6_NSA_18transform_iteratorI7is_evenItESF_NSA_11use_defaultESK_EENS0_5tupleIJNSA_16discard_iteratorISK_EESF_EEENSM_IJSG_SG_EEES6_PlJS6_EEE10hipError_tPvRmT3_T4_T5_T6_T7_T9_mT8_P12ihipStream_tbDpT10_ENKUlT_T0_E_clISt17integral_constantIbLb1EES1A_IbLb0EEEEDaS16_S17_EUlS16_E_NS1_11comp_targetILNS1_3genE10ELNS1_11target_archE1200ELNS1_3gpuE4ELNS1_3repE0EEENS1_30default_config_static_selectorELNS0_4arch9wavefront6targetE1EEEvT1_
	.globl	_ZN7rocprim17ROCPRIM_400000_NS6detail17trampoline_kernelINS0_14default_configENS1_25partition_config_selectorILNS1_17partition_subalgoE1EtNS0_10empty_typeEbEEZZNS1_14partition_implILS5_1ELb0ES3_jN6thrust23THRUST_200600_302600_NS6detail15normal_iteratorINSA_10device_ptrItEEEEPS6_NSA_18transform_iteratorI7is_evenItESF_NSA_11use_defaultESK_EENS0_5tupleIJNSA_16discard_iteratorISK_EESF_EEENSM_IJSG_SG_EEES6_PlJS6_EEE10hipError_tPvRmT3_T4_T5_T6_T7_T9_mT8_P12ihipStream_tbDpT10_ENKUlT_T0_E_clISt17integral_constantIbLb1EES1A_IbLb0EEEEDaS16_S17_EUlS16_E_NS1_11comp_targetILNS1_3genE10ELNS1_11target_archE1200ELNS1_3gpuE4ELNS1_3repE0EEENS1_30default_config_static_selectorELNS0_4arch9wavefront6targetE1EEEvT1_
	.p2align	8
	.type	_ZN7rocprim17ROCPRIM_400000_NS6detail17trampoline_kernelINS0_14default_configENS1_25partition_config_selectorILNS1_17partition_subalgoE1EtNS0_10empty_typeEbEEZZNS1_14partition_implILS5_1ELb0ES3_jN6thrust23THRUST_200600_302600_NS6detail15normal_iteratorINSA_10device_ptrItEEEEPS6_NSA_18transform_iteratorI7is_evenItESF_NSA_11use_defaultESK_EENS0_5tupleIJNSA_16discard_iteratorISK_EESF_EEENSM_IJSG_SG_EEES6_PlJS6_EEE10hipError_tPvRmT3_T4_T5_T6_T7_T9_mT8_P12ihipStream_tbDpT10_ENKUlT_T0_E_clISt17integral_constantIbLb1EES1A_IbLb0EEEEDaS16_S17_EUlS16_E_NS1_11comp_targetILNS1_3genE10ELNS1_11target_archE1200ELNS1_3gpuE4ELNS1_3repE0EEENS1_30default_config_static_selectorELNS0_4arch9wavefront6targetE1EEEvT1_,@function
_ZN7rocprim17ROCPRIM_400000_NS6detail17trampoline_kernelINS0_14default_configENS1_25partition_config_selectorILNS1_17partition_subalgoE1EtNS0_10empty_typeEbEEZZNS1_14partition_implILS5_1ELb0ES3_jN6thrust23THRUST_200600_302600_NS6detail15normal_iteratorINSA_10device_ptrItEEEEPS6_NSA_18transform_iteratorI7is_evenItESF_NSA_11use_defaultESK_EENS0_5tupleIJNSA_16discard_iteratorISK_EESF_EEENSM_IJSG_SG_EEES6_PlJS6_EEE10hipError_tPvRmT3_T4_T5_T6_T7_T9_mT8_P12ihipStream_tbDpT10_ENKUlT_T0_E_clISt17integral_constantIbLb1EES1A_IbLb0EEEEDaS16_S17_EUlS16_E_NS1_11comp_targetILNS1_3genE10ELNS1_11target_archE1200ELNS1_3gpuE4ELNS1_3repE0EEENS1_30default_config_static_selectorELNS0_4arch9wavefront6targetE1EEEvT1_: ; @_ZN7rocprim17ROCPRIM_400000_NS6detail17trampoline_kernelINS0_14default_configENS1_25partition_config_selectorILNS1_17partition_subalgoE1EtNS0_10empty_typeEbEEZZNS1_14partition_implILS5_1ELb0ES3_jN6thrust23THRUST_200600_302600_NS6detail15normal_iteratorINSA_10device_ptrItEEEEPS6_NSA_18transform_iteratorI7is_evenItESF_NSA_11use_defaultESK_EENS0_5tupleIJNSA_16discard_iteratorISK_EESF_EEENSM_IJSG_SG_EEES6_PlJS6_EEE10hipError_tPvRmT3_T4_T5_T6_T7_T9_mT8_P12ihipStream_tbDpT10_ENKUlT_T0_E_clISt17integral_constantIbLb1EES1A_IbLb0EEEEDaS16_S17_EUlS16_E_NS1_11comp_targetILNS1_3genE10ELNS1_11target_archE1200ELNS1_3gpuE4ELNS1_3repE0EEENS1_30default_config_static_selectorELNS0_4arch9wavefront6targetE1EEEvT1_
; %bb.0:
	.section	.rodata,"a",@progbits
	.p2align	6, 0x0
	.amdhsa_kernel _ZN7rocprim17ROCPRIM_400000_NS6detail17trampoline_kernelINS0_14default_configENS1_25partition_config_selectorILNS1_17partition_subalgoE1EtNS0_10empty_typeEbEEZZNS1_14partition_implILS5_1ELb0ES3_jN6thrust23THRUST_200600_302600_NS6detail15normal_iteratorINSA_10device_ptrItEEEEPS6_NSA_18transform_iteratorI7is_evenItESF_NSA_11use_defaultESK_EENS0_5tupleIJNSA_16discard_iteratorISK_EESF_EEENSM_IJSG_SG_EEES6_PlJS6_EEE10hipError_tPvRmT3_T4_T5_T6_T7_T9_mT8_P12ihipStream_tbDpT10_ENKUlT_T0_E_clISt17integral_constantIbLb1EES1A_IbLb0EEEEDaS16_S17_EUlS16_E_NS1_11comp_targetILNS1_3genE10ELNS1_11target_archE1200ELNS1_3gpuE4ELNS1_3repE0EEENS1_30default_config_static_selectorELNS0_4arch9wavefront6targetE1EEEvT1_
		.amdhsa_group_segment_fixed_size 0
		.amdhsa_private_segment_fixed_size 0
		.amdhsa_kernarg_size 136
		.amdhsa_user_sgpr_count 6
		.amdhsa_user_sgpr_private_segment_buffer 1
		.amdhsa_user_sgpr_dispatch_ptr 0
		.amdhsa_user_sgpr_queue_ptr 0
		.amdhsa_user_sgpr_kernarg_segment_ptr 1
		.amdhsa_user_sgpr_dispatch_id 0
		.amdhsa_user_sgpr_flat_scratch_init 0
		.amdhsa_user_sgpr_kernarg_preload_length 0
		.amdhsa_user_sgpr_kernarg_preload_offset 0
		.amdhsa_user_sgpr_private_segment_size 0
		.amdhsa_uses_dynamic_stack 0
		.amdhsa_system_sgpr_private_segment_wavefront_offset 0
		.amdhsa_system_sgpr_workgroup_id_x 1
		.amdhsa_system_sgpr_workgroup_id_y 0
		.amdhsa_system_sgpr_workgroup_id_z 0
		.amdhsa_system_sgpr_workgroup_info 0
		.amdhsa_system_vgpr_workitem_id 0
		.amdhsa_next_free_vgpr 1
		.amdhsa_next_free_sgpr 0
		.amdhsa_accum_offset 4
		.amdhsa_reserve_vcc 0
		.amdhsa_reserve_flat_scratch 0
		.amdhsa_float_round_mode_32 0
		.amdhsa_float_round_mode_16_64 0
		.amdhsa_float_denorm_mode_32 3
		.amdhsa_float_denorm_mode_16_64 3
		.amdhsa_dx10_clamp 1
		.amdhsa_ieee_mode 1
		.amdhsa_fp16_overflow 0
		.amdhsa_tg_split 0
		.amdhsa_exception_fp_ieee_invalid_op 0
		.amdhsa_exception_fp_denorm_src 0
		.amdhsa_exception_fp_ieee_div_zero 0
		.amdhsa_exception_fp_ieee_overflow 0
		.amdhsa_exception_fp_ieee_underflow 0
		.amdhsa_exception_fp_ieee_inexact 0
		.amdhsa_exception_int_div_zero 0
	.end_amdhsa_kernel
	.section	.text._ZN7rocprim17ROCPRIM_400000_NS6detail17trampoline_kernelINS0_14default_configENS1_25partition_config_selectorILNS1_17partition_subalgoE1EtNS0_10empty_typeEbEEZZNS1_14partition_implILS5_1ELb0ES3_jN6thrust23THRUST_200600_302600_NS6detail15normal_iteratorINSA_10device_ptrItEEEEPS6_NSA_18transform_iteratorI7is_evenItESF_NSA_11use_defaultESK_EENS0_5tupleIJNSA_16discard_iteratorISK_EESF_EEENSM_IJSG_SG_EEES6_PlJS6_EEE10hipError_tPvRmT3_T4_T5_T6_T7_T9_mT8_P12ihipStream_tbDpT10_ENKUlT_T0_E_clISt17integral_constantIbLb1EES1A_IbLb0EEEEDaS16_S17_EUlS16_E_NS1_11comp_targetILNS1_3genE10ELNS1_11target_archE1200ELNS1_3gpuE4ELNS1_3repE0EEENS1_30default_config_static_selectorELNS0_4arch9wavefront6targetE1EEEvT1_,"axG",@progbits,_ZN7rocprim17ROCPRIM_400000_NS6detail17trampoline_kernelINS0_14default_configENS1_25partition_config_selectorILNS1_17partition_subalgoE1EtNS0_10empty_typeEbEEZZNS1_14partition_implILS5_1ELb0ES3_jN6thrust23THRUST_200600_302600_NS6detail15normal_iteratorINSA_10device_ptrItEEEEPS6_NSA_18transform_iteratorI7is_evenItESF_NSA_11use_defaultESK_EENS0_5tupleIJNSA_16discard_iteratorISK_EESF_EEENSM_IJSG_SG_EEES6_PlJS6_EEE10hipError_tPvRmT3_T4_T5_T6_T7_T9_mT8_P12ihipStream_tbDpT10_ENKUlT_T0_E_clISt17integral_constantIbLb1EES1A_IbLb0EEEEDaS16_S17_EUlS16_E_NS1_11comp_targetILNS1_3genE10ELNS1_11target_archE1200ELNS1_3gpuE4ELNS1_3repE0EEENS1_30default_config_static_selectorELNS0_4arch9wavefront6targetE1EEEvT1_,comdat
.Lfunc_end3152:
	.size	_ZN7rocprim17ROCPRIM_400000_NS6detail17trampoline_kernelINS0_14default_configENS1_25partition_config_selectorILNS1_17partition_subalgoE1EtNS0_10empty_typeEbEEZZNS1_14partition_implILS5_1ELb0ES3_jN6thrust23THRUST_200600_302600_NS6detail15normal_iteratorINSA_10device_ptrItEEEEPS6_NSA_18transform_iteratorI7is_evenItESF_NSA_11use_defaultESK_EENS0_5tupleIJNSA_16discard_iteratorISK_EESF_EEENSM_IJSG_SG_EEES6_PlJS6_EEE10hipError_tPvRmT3_T4_T5_T6_T7_T9_mT8_P12ihipStream_tbDpT10_ENKUlT_T0_E_clISt17integral_constantIbLb1EES1A_IbLb0EEEEDaS16_S17_EUlS16_E_NS1_11comp_targetILNS1_3genE10ELNS1_11target_archE1200ELNS1_3gpuE4ELNS1_3repE0EEENS1_30default_config_static_selectorELNS0_4arch9wavefront6targetE1EEEvT1_, .Lfunc_end3152-_ZN7rocprim17ROCPRIM_400000_NS6detail17trampoline_kernelINS0_14default_configENS1_25partition_config_selectorILNS1_17partition_subalgoE1EtNS0_10empty_typeEbEEZZNS1_14partition_implILS5_1ELb0ES3_jN6thrust23THRUST_200600_302600_NS6detail15normal_iteratorINSA_10device_ptrItEEEEPS6_NSA_18transform_iteratorI7is_evenItESF_NSA_11use_defaultESK_EENS0_5tupleIJNSA_16discard_iteratorISK_EESF_EEENSM_IJSG_SG_EEES6_PlJS6_EEE10hipError_tPvRmT3_T4_T5_T6_T7_T9_mT8_P12ihipStream_tbDpT10_ENKUlT_T0_E_clISt17integral_constantIbLb1EES1A_IbLb0EEEEDaS16_S17_EUlS16_E_NS1_11comp_targetILNS1_3genE10ELNS1_11target_archE1200ELNS1_3gpuE4ELNS1_3repE0EEENS1_30default_config_static_selectorELNS0_4arch9wavefront6targetE1EEEvT1_
                                        ; -- End function
	.section	.AMDGPU.csdata,"",@progbits
; Kernel info:
; codeLenInByte = 0
; NumSgprs: 4
; NumVgprs: 0
; NumAgprs: 0
; TotalNumVgprs: 0
; ScratchSize: 0
; MemoryBound: 0
; FloatMode: 240
; IeeeMode: 1
; LDSByteSize: 0 bytes/workgroup (compile time only)
; SGPRBlocks: 0
; VGPRBlocks: 0
; NumSGPRsForWavesPerEU: 4
; NumVGPRsForWavesPerEU: 1
; AccumOffset: 4
; Occupancy: 8
; WaveLimiterHint : 0
; COMPUTE_PGM_RSRC2:SCRATCH_EN: 0
; COMPUTE_PGM_RSRC2:USER_SGPR: 6
; COMPUTE_PGM_RSRC2:TRAP_HANDLER: 0
; COMPUTE_PGM_RSRC2:TGID_X_EN: 1
; COMPUTE_PGM_RSRC2:TGID_Y_EN: 0
; COMPUTE_PGM_RSRC2:TGID_Z_EN: 0
; COMPUTE_PGM_RSRC2:TIDIG_COMP_CNT: 0
; COMPUTE_PGM_RSRC3_GFX90A:ACCUM_OFFSET: 0
; COMPUTE_PGM_RSRC3_GFX90A:TG_SPLIT: 0
	.section	.text._ZN7rocprim17ROCPRIM_400000_NS6detail17trampoline_kernelINS0_14default_configENS1_25partition_config_selectorILNS1_17partition_subalgoE1EtNS0_10empty_typeEbEEZZNS1_14partition_implILS5_1ELb0ES3_jN6thrust23THRUST_200600_302600_NS6detail15normal_iteratorINSA_10device_ptrItEEEEPS6_NSA_18transform_iteratorI7is_evenItESF_NSA_11use_defaultESK_EENS0_5tupleIJNSA_16discard_iteratorISK_EESF_EEENSM_IJSG_SG_EEES6_PlJS6_EEE10hipError_tPvRmT3_T4_T5_T6_T7_T9_mT8_P12ihipStream_tbDpT10_ENKUlT_T0_E_clISt17integral_constantIbLb1EES1A_IbLb0EEEEDaS16_S17_EUlS16_E_NS1_11comp_targetILNS1_3genE9ELNS1_11target_archE1100ELNS1_3gpuE3ELNS1_3repE0EEENS1_30default_config_static_selectorELNS0_4arch9wavefront6targetE1EEEvT1_,"axG",@progbits,_ZN7rocprim17ROCPRIM_400000_NS6detail17trampoline_kernelINS0_14default_configENS1_25partition_config_selectorILNS1_17partition_subalgoE1EtNS0_10empty_typeEbEEZZNS1_14partition_implILS5_1ELb0ES3_jN6thrust23THRUST_200600_302600_NS6detail15normal_iteratorINSA_10device_ptrItEEEEPS6_NSA_18transform_iteratorI7is_evenItESF_NSA_11use_defaultESK_EENS0_5tupleIJNSA_16discard_iteratorISK_EESF_EEENSM_IJSG_SG_EEES6_PlJS6_EEE10hipError_tPvRmT3_T4_T5_T6_T7_T9_mT8_P12ihipStream_tbDpT10_ENKUlT_T0_E_clISt17integral_constantIbLb1EES1A_IbLb0EEEEDaS16_S17_EUlS16_E_NS1_11comp_targetILNS1_3genE9ELNS1_11target_archE1100ELNS1_3gpuE3ELNS1_3repE0EEENS1_30default_config_static_selectorELNS0_4arch9wavefront6targetE1EEEvT1_,comdat
	.protected	_ZN7rocprim17ROCPRIM_400000_NS6detail17trampoline_kernelINS0_14default_configENS1_25partition_config_selectorILNS1_17partition_subalgoE1EtNS0_10empty_typeEbEEZZNS1_14partition_implILS5_1ELb0ES3_jN6thrust23THRUST_200600_302600_NS6detail15normal_iteratorINSA_10device_ptrItEEEEPS6_NSA_18transform_iteratorI7is_evenItESF_NSA_11use_defaultESK_EENS0_5tupleIJNSA_16discard_iteratorISK_EESF_EEENSM_IJSG_SG_EEES6_PlJS6_EEE10hipError_tPvRmT3_T4_T5_T6_T7_T9_mT8_P12ihipStream_tbDpT10_ENKUlT_T0_E_clISt17integral_constantIbLb1EES1A_IbLb0EEEEDaS16_S17_EUlS16_E_NS1_11comp_targetILNS1_3genE9ELNS1_11target_archE1100ELNS1_3gpuE3ELNS1_3repE0EEENS1_30default_config_static_selectorELNS0_4arch9wavefront6targetE1EEEvT1_ ; -- Begin function _ZN7rocprim17ROCPRIM_400000_NS6detail17trampoline_kernelINS0_14default_configENS1_25partition_config_selectorILNS1_17partition_subalgoE1EtNS0_10empty_typeEbEEZZNS1_14partition_implILS5_1ELb0ES3_jN6thrust23THRUST_200600_302600_NS6detail15normal_iteratorINSA_10device_ptrItEEEEPS6_NSA_18transform_iteratorI7is_evenItESF_NSA_11use_defaultESK_EENS0_5tupleIJNSA_16discard_iteratorISK_EESF_EEENSM_IJSG_SG_EEES6_PlJS6_EEE10hipError_tPvRmT3_T4_T5_T6_T7_T9_mT8_P12ihipStream_tbDpT10_ENKUlT_T0_E_clISt17integral_constantIbLb1EES1A_IbLb0EEEEDaS16_S17_EUlS16_E_NS1_11comp_targetILNS1_3genE9ELNS1_11target_archE1100ELNS1_3gpuE3ELNS1_3repE0EEENS1_30default_config_static_selectorELNS0_4arch9wavefront6targetE1EEEvT1_
	.globl	_ZN7rocprim17ROCPRIM_400000_NS6detail17trampoline_kernelINS0_14default_configENS1_25partition_config_selectorILNS1_17partition_subalgoE1EtNS0_10empty_typeEbEEZZNS1_14partition_implILS5_1ELb0ES3_jN6thrust23THRUST_200600_302600_NS6detail15normal_iteratorINSA_10device_ptrItEEEEPS6_NSA_18transform_iteratorI7is_evenItESF_NSA_11use_defaultESK_EENS0_5tupleIJNSA_16discard_iteratorISK_EESF_EEENSM_IJSG_SG_EEES6_PlJS6_EEE10hipError_tPvRmT3_T4_T5_T6_T7_T9_mT8_P12ihipStream_tbDpT10_ENKUlT_T0_E_clISt17integral_constantIbLb1EES1A_IbLb0EEEEDaS16_S17_EUlS16_E_NS1_11comp_targetILNS1_3genE9ELNS1_11target_archE1100ELNS1_3gpuE3ELNS1_3repE0EEENS1_30default_config_static_selectorELNS0_4arch9wavefront6targetE1EEEvT1_
	.p2align	8
	.type	_ZN7rocprim17ROCPRIM_400000_NS6detail17trampoline_kernelINS0_14default_configENS1_25partition_config_selectorILNS1_17partition_subalgoE1EtNS0_10empty_typeEbEEZZNS1_14partition_implILS5_1ELb0ES3_jN6thrust23THRUST_200600_302600_NS6detail15normal_iteratorINSA_10device_ptrItEEEEPS6_NSA_18transform_iteratorI7is_evenItESF_NSA_11use_defaultESK_EENS0_5tupleIJNSA_16discard_iteratorISK_EESF_EEENSM_IJSG_SG_EEES6_PlJS6_EEE10hipError_tPvRmT3_T4_T5_T6_T7_T9_mT8_P12ihipStream_tbDpT10_ENKUlT_T0_E_clISt17integral_constantIbLb1EES1A_IbLb0EEEEDaS16_S17_EUlS16_E_NS1_11comp_targetILNS1_3genE9ELNS1_11target_archE1100ELNS1_3gpuE3ELNS1_3repE0EEENS1_30default_config_static_selectorELNS0_4arch9wavefront6targetE1EEEvT1_,@function
_ZN7rocprim17ROCPRIM_400000_NS6detail17trampoline_kernelINS0_14default_configENS1_25partition_config_selectorILNS1_17partition_subalgoE1EtNS0_10empty_typeEbEEZZNS1_14partition_implILS5_1ELb0ES3_jN6thrust23THRUST_200600_302600_NS6detail15normal_iteratorINSA_10device_ptrItEEEEPS6_NSA_18transform_iteratorI7is_evenItESF_NSA_11use_defaultESK_EENS0_5tupleIJNSA_16discard_iteratorISK_EESF_EEENSM_IJSG_SG_EEES6_PlJS6_EEE10hipError_tPvRmT3_T4_T5_T6_T7_T9_mT8_P12ihipStream_tbDpT10_ENKUlT_T0_E_clISt17integral_constantIbLb1EES1A_IbLb0EEEEDaS16_S17_EUlS16_E_NS1_11comp_targetILNS1_3genE9ELNS1_11target_archE1100ELNS1_3gpuE3ELNS1_3repE0EEENS1_30default_config_static_selectorELNS0_4arch9wavefront6targetE1EEEvT1_: ; @_ZN7rocprim17ROCPRIM_400000_NS6detail17trampoline_kernelINS0_14default_configENS1_25partition_config_selectorILNS1_17partition_subalgoE1EtNS0_10empty_typeEbEEZZNS1_14partition_implILS5_1ELb0ES3_jN6thrust23THRUST_200600_302600_NS6detail15normal_iteratorINSA_10device_ptrItEEEEPS6_NSA_18transform_iteratorI7is_evenItESF_NSA_11use_defaultESK_EENS0_5tupleIJNSA_16discard_iteratorISK_EESF_EEENSM_IJSG_SG_EEES6_PlJS6_EEE10hipError_tPvRmT3_T4_T5_T6_T7_T9_mT8_P12ihipStream_tbDpT10_ENKUlT_T0_E_clISt17integral_constantIbLb1EES1A_IbLb0EEEEDaS16_S17_EUlS16_E_NS1_11comp_targetILNS1_3genE9ELNS1_11target_archE1100ELNS1_3gpuE3ELNS1_3repE0EEENS1_30default_config_static_selectorELNS0_4arch9wavefront6targetE1EEEvT1_
; %bb.0:
	.section	.rodata,"a",@progbits
	.p2align	6, 0x0
	.amdhsa_kernel _ZN7rocprim17ROCPRIM_400000_NS6detail17trampoline_kernelINS0_14default_configENS1_25partition_config_selectorILNS1_17partition_subalgoE1EtNS0_10empty_typeEbEEZZNS1_14partition_implILS5_1ELb0ES3_jN6thrust23THRUST_200600_302600_NS6detail15normal_iteratorINSA_10device_ptrItEEEEPS6_NSA_18transform_iteratorI7is_evenItESF_NSA_11use_defaultESK_EENS0_5tupleIJNSA_16discard_iteratorISK_EESF_EEENSM_IJSG_SG_EEES6_PlJS6_EEE10hipError_tPvRmT3_T4_T5_T6_T7_T9_mT8_P12ihipStream_tbDpT10_ENKUlT_T0_E_clISt17integral_constantIbLb1EES1A_IbLb0EEEEDaS16_S17_EUlS16_E_NS1_11comp_targetILNS1_3genE9ELNS1_11target_archE1100ELNS1_3gpuE3ELNS1_3repE0EEENS1_30default_config_static_selectorELNS0_4arch9wavefront6targetE1EEEvT1_
		.amdhsa_group_segment_fixed_size 0
		.amdhsa_private_segment_fixed_size 0
		.amdhsa_kernarg_size 136
		.amdhsa_user_sgpr_count 6
		.amdhsa_user_sgpr_private_segment_buffer 1
		.amdhsa_user_sgpr_dispatch_ptr 0
		.amdhsa_user_sgpr_queue_ptr 0
		.amdhsa_user_sgpr_kernarg_segment_ptr 1
		.amdhsa_user_sgpr_dispatch_id 0
		.amdhsa_user_sgpr_flat_scratch_init 0
		.amdhsa_user_sgpr_kernarg_preload_length 0
		.amdhsa_user_sgpr_kernarg_preload_offset 0
		.amdhsa_user_sgpr_private_segment_size 0
		.amdhsa_uses_dynamic_stack 0
		.amdhsa_system_sgpr_private_segment_wavefront_offset 0
		.amdhsa_system_sgpr_workgroup_id_x 1
		.amdhsa_system_sgpr_workgroup_id_y 0
		.amdhsa_system_sgpr_workgroup_id_z 0
		.amdhsa_system_sgpr_workgroup_info 0
		.amdhsa_system_vgpr_workitem_id 0
		.amdhsa_next_free_vgpr 1
		.amdhsa_next_free_sgpr 0
		.amdhsa_accum_offset 4
		.amdhsa_reserve_vcc 0
		.amdhsa_reserve_flat_scratch 0
		.amdhsa_float_round_mode_32 0
		.amdhsa_float_round_mode_16_64 0
		.amdhsa_float_denorm_mode_32 3
		.amdhsa_float_denorm_mode_16_64 3
		.amdhsa_dx10_clamp 1
		.amdhsa_ieee_mode 1
		.amdhsa_fp16_overflow 0
		.amdhsa_tg_split 0
		.amdhsa_exception_fp_ieee_invalid_op 0
		.amdhsa_exception_fp_denorm_src 0
		.amdhsa_exception_fp_ieee_div_zero 0
		.amdhsa_exception_fp_ieee_overflow 0
		.amdhsa_exception_fp_ieee_underflow 0
		.amdhsa_exception_fp_ieee_inexact 0
		.amdhsa_exception_int_div_zero 0
	.end_amdhsa_kernel
	.section	.text._ZN7rocprim17ROCPRIM_400000_NS6detail17trampoline_kernelINS0_14default_configENS1_25partition_config_selectorILNS1_17partition_subalgoE1EtNS0_10empty_typeEbEEZZNS1_14partition_implILS5_1ELb0ES3_jN6thrust23THRUST_200600_302600_NS6detail15normal_iteratorINSA_10device_ptrItEEEEPS6_NSA_18transform_iteratorI7is_evenItESF_NSA_11use_defaultESK_EENS0_5tupleIJNSA_16discard_iteratorISK_EESF_EEENSM_IJSG_SG_EEES6_PlJS6_EEE10hipError_tPvRmT3_T4_T5_T6_T7_T9_mT8_P12ihipStream_tbDpT10_ENKUlT_T0_E_clISt17integral_constantIbLb1EES1A_IbLb0EEEEDaS16_S17_EUlS16_E_NS1_11comp_targetILNS1_3genE9ELNS1_11target_archE1100ELNS1_3gpuE3ELNS1_3repE0EEENS1_30default_config_static_selectorELNS0_4arch9wavefront6targetE1EEEvT1_,"axG",@progbits,_ZN7rocprim17ROCPRIM_400000_NS6detail17trampoline_kernelINS0_14default_configENS1_25partition_config_selectorILNS1_17partition_subalgoE1EtNS0_10empty_typeEbEEZZNS1_14partition_implILS5_1ELb0ES3_jN6thrust23THRUST_200600_302600_NS6detail15normal_iteratorINSA_10device_ptrItEEEEPS6_NSA_18transform_iteratorI7is_evenItESF_NSA_11use_defaultESK_EENS0_5tupleIJNSA_16discard_iteratorISK_EESF_EEENSM_IJSG_SG_EEES6_PlJS6_EEE10hipError_tPvRmT3_T4_T5_T6_T7_T9_mT8_P12ihipStream_tbDpT10_ENKUlT_T0_E_clISt17integral_constantIbLb1EES1A_IbLb0EEEEDaS16_S17_EUlS16_E_NS1_11comp_targetILNS1_3genE9ELNS1_11target_archE1100ELNS1_3gpuE3ELNS1_3repE0EEENS1_30default_config_static_selectorELNS0_4arch9wavefront6targetE1EEEvT1_,comdat
.Lfunc_end3153:
	.size	_ZN7rocprim17ROCPRIM_400000_NS6detail17trampoline_kernelINS0_14default_configENS1_25partition_config_selectorILNS1_17partition_subalgoE1EtNS0_10empty_typeEbEEZZNS1_14partition_implILS5_1ELb0ES3_jN6thrust23THRUST_200600_302600_NS6detail15normal_iteratorINSA_10device_ptrItEEEEPS6_NSA_18transform_iteratorI7is_evenItESF_NSA_11use_defaultESK_EENS0_5tupleIJNSA_16discard_iteratorISK_EESF_EEENSM_IJSG_SG_EEES6_PlJS6_EEE10hipError_tPvRmT3_T4_T5_T6_T7_T9_mT8_P12ihipStream_tbDpT10_ENKUlT_T0_E_clISt17integral_constantIbLb1EES1A_IbLb0EEEEDaS16_S17_EUlS16_E_NS1_11comp_targetILNS1_3genE9ELNS1_11target_archE1100ELNS1_3gpuE3ELNS1_3repE0EEENS1_30default_config_static_selectorELNS0_4arch9wavefront6targetE1EEEvT1_, .Lfunc_end3153-_ZN7rocprim17ROCPRIM_400000_NS6detail17trampoline_kernelINS0_14default_configENS1_25partition_config_selectorILNS1_17partition_subalgoE1EtNS0_10empty_typeEbEEZZNS1_14partition_implILS5_1ELb0ES3_jN6thrust23THRUST_200600_302600_NS6detail15normal_iteratorINSA_10device_ptrItEEEEPS6_NSA_18transform_iteratorI7is_evenItESF_NSA_11use_defaultESK_EENS0_5tupleIJNSA_16discard_iteratorISK_EESF_EEENSM_IJSG_SG_EEES6_PlJS6_EEE10hipError_tPvRmT3_T4_T5_T6_T7_T9_mT8_P12ihipStream_tbDpT10_ENKUlT_T0_E_clISt17integral_constantIbLb1EES1A_IbLb0EEEEDaS16_S17_EUlS16_E_NS1_11comp_targetILNS1_3genE9ELNS1_11target_archE1100ELNS1_3gpuE3ELNS1_3repE0EEENS1_30default_config_static_selectorELNS0_4arch9wavefront6targetE1EEEvT1_
                                        ; -- End function
	.section	.AMDGPU.csdata,"",@progbits
; Kernel info:
; codeLenInByte = 0
; NumSgprs: 4
; NumVgprs: 0
; NumAgprs: 0
; TotalNumVgprs: 0
; ScratchSize: 0
; MemoryBound: 0
; FloatMode: 240
; IeeeMode: 1
; LDSByteSize: 0 bytes/workgroup (compile time only)
; SGPRBlocks: 0
; VGPRBlocks: 0
; NumSGPRsForWavesPerEU: 4
; NumVGPRsForWavesPerEU: 1
; AccumOffset: 4
; Occupancy: 8
; WaveLimiterHint : 0
; COMPUTE_PGM_RSRC2:SCRATCH_EN: 0
; COMPUTE_PGM_RSRC2:USER_SGPR: 6
; COMPUTE_PGM_RSRC2:TRAP_HANDLER: 0
; COMPUTE_PGM_RSRC2:TGID_X_EN: 1
; COMPUTE_PGM_RSRC2:TGID_Y_EN: 0
; COMPUTE_PGM_RSRC2:TGID_Z_EN: 0
; COMPUTE_PGM_RSRC2:TIDIG_COMP_CNT: 0
; COMPUTE_PGM_RSRC3_GFX90A:ACCUM_OFFSET: 0
; COMPUTE_PGM_RSRC3_GFX90A:TG_SPLIT: 0
	.section	.text._ZN7rocprim17ROCPRIM_400000_NS6detail17trampoline_kernelINS0_14default_configENS1_25partition_config_selectorILNS1_17partition_subalgoE1EtNS0_10empty_typeEbEEZZNS1_14partition_implILS5_1ELb0ES3_jN6thrust23THRUST_200600_302600_NS6detail15normal_iteratorINSA_10device_ptrItEEEEPS6_NSA_18transform_iteratorI7is_evenItESF_NSA_11use_defaultESK_EENS0_5tupleIJNSA_16discard_iteratorISK_EESF_EEENSM_IJSG_SG_EEES6_PlJS6_EEE10hipError_tPvRmT3_T4_T5_T6_T7_T9_mT8_P12ihipStream_tbDpT10_ENKUlT_T0_E_clISt17integral_constantIbLb1EES1A_IbLb0EEEEDaS16_S17_EUlS16_E_NS1_11comp_targetILNS1_3genE8ELNS1_11target_archE1030ELNS1_3gpuE2ELNS1_3repE0EEENS1_30default_config_static_selectorELNS0_4arch9wavefront6targetE1EEEvT1_,"axG",@progbits,_ZN7rocprim17ROCPRIM_400000_NS6detail17trampoline_kernelINS0_14default_configENS1_25partition_config_selectorILNS1_17partition_subalgoE1EtNS0_10empty_typeEbEEZZNS1_14partition_implILS5_1ELb0ES3_jN6thrust23THRUST_200600_302600_NS6detail15normal_iteratorINSA_10device_ptrItEEEEPS6_NSA_18transform_iteratorI7is_evenItESF_NSA_11use_defaultESK_EENS0_5tupleIJNSA_16discard_iteratorISK_EESF_EEENSM_IJSG_SG_EEES6_PlJS6_EEE10hipError_tPvRmT3_T4_T5_T6_T7_T9_mT8_P12ihipStream_tbDpT10_ENKUlT_T0_E_clISt17integral_constantIbLb1EES1A_IbLb0EEEEDaS16_S17_EUlS16_E_NS1_11comp_targetILNS1_3genE8ELNS1_11target_archE1030ELNS1_3gpuE2ELNS1_3repE0EEENS1_30default_config_static_selectorELNS0_4arch9wavefront6targetE1EEEvT1_,comdat
	.protected	_ZN7rocprim17ROCPRIM_400000_NS6detail17trampoline_kernelINS0_14default_configENS1_25partition_config_selectorILNS1_17partition_subalgoE1EtNS0_10empty_typeEbEEZZNS1_14partition_implILS5_1ELb0ES3_jN6thrust23THRUST_200600_302600_NS6detail15normal_iteratorINSA_10device_ptrItEEEEPS6_NSA_18transform_iteratorI7is_evenItESF_NSA_11use_defaultESK_EENS0_5tupleIJNSA_16discard_iteratorISK_EESF_EEENSM_IJSG_SG_EEES6_PlJS6_EEE10hipError_tPvRmT3_T4_T5_T6_T7_T9_mT8_P12ihipStream_tbDpT10_ENKUlT_T0_E_clISt17integral_constantIbLb1EES1A_IbLb0EEEEDaS16_S17_EUlS16_E_NS1_11comp_targetILNS1_3genE8ELNS1_11target_archE1030ELNS1_3gpuE2ELNS1_3repE0EEENS1_30default_config_static_selectorELNS0_4arch9wavefront6targetE1EEEvT1_ ; -- Begin function _ZN7rocprim17ROCPRIM_400000_NS6detail17trampoline_kernelINS0_14default_configENS1_25partition_config_selectorILNS1_17partition_subalgoE1EtNS0_10empty_typeEbEEZZNS1_14partition_implILS5_1ELb0ES3_jN6thrust23THRUST_200600_302600_NS6detail15normal_iteratorINSA_10device_ptrItEEEEPS6_NSA_18transform_iteratorI7is_evenItESF_NSA_11use_defaultESK_EENS0_5tupleIJNSA_16discard_iteratorISK_EESF_EEENSM_IJSG_SG_EEES6_PlJS6_EEE10hipError_tPvRmT3_T4_T5_T6_T7_T9_mT8_P12ihipStream_tbDpT10_ENKUlT_T0_E_clISt17integral_constantIbLb1EES1A_IbLb0EEEEDaS16_S17_EUlS16_E_NS1_11comp_targetILNS1_3genE8ELNS1_11target_archE1030ELNS1_3gpuE2ELNS1_3repE0EEENS1_30default_config_static_selectorELNS0_4arch9wavefront6targetE1EEEvT1_
	.globl	_ZN7rocprim17ROCPRIM_400000_NS6detail17trampoline_kernelINS0_14default_configENS1_25partition_config_selectorILNS1_17partition_subalgoE1EtNS0_10empty_typeEbEEZZNS1_14partition_implILS5_1ELb0ES3_jN6thrust23THRUST_200600_302600_NS6detail15normal_iteratorINSA_10device_ptrItEEEEPS6_NSA_18transform_iteratorI7is_evenItESF_NSA_11use_defaultESK_EENS0_5tupleIJNSA_16discard_iteratorISK_EESF_EEENSM_IJSG_SG_EEES6_PlJS6_EEE10hipError_tPvRmT3_T4_T5_T6_T7_T9_mT8_P12ihipStream_tbDpT10_ENKUlT_T0_E_clISt17integral_constantIbLb1EES1A_IbLb0EEEEDaS16_S17_EUlS16_E_NS1_11comp_targetILNS1_3genE8ELNS1_11target_archE1030ELNS1_3gpuE2ELNS1_3repE0EEENS1_30default_config_static_selectorELNS0_4arch9wavefront6targetE1EEEvT1_
	.p2align	8
	.type	_ZN7rocprim17ROCPRIM_400000_NS6detail17trampoline_kernelINS0_14default_configENS1_25partition_config_selectorILNS1_17partition_subalgoE1EtNS0_10empty_typeEbEEZZNS1_14partition_implILS5_1ELb0ES3_jN6thrust23THRUST_200600_302600_NS6detail15normal_iteratorINSA_10device_ptrItEEEEPS6_NSA_18transform_iteratorI7is_evenItESF_NSA_11use_defaultESK_EENS0_5tupleIJNSA_16discard_iteratorISK_EESF_EEENSM_IJSG_SG_EEES6_PlJS6_EEE10hipError_tPvRmT3_T4_T5_T6_T7_T9_mT8_P12ihipStream_tbDpT10_ENKUlT_T0_E_clISt17integral_constantIbLb1EES1A_IbLb0EEEEDaS16_S17_EUlS16_E_NS1_11comp_targetILNS1_3genE8ELNS1_11target_archE1030ELNS1_3gpuE2ELNS1_3repE0EEENS1_30default_config_static_selectorELNS0_4arch9wavefront6targetE1EEEvT1_,@function
_ZN7rocprim17ROCPRIM_400000_NS6detail17trampoline_kernelINS0_14default_configENS1_25partition_config_selectorILNS1_17partition_subalgoE1EtNS0_10empty_typeEbEEZZNS1_14partition_implILS5_1ELb0ES3_jN6thrust23THRUST_200600_302600_NS6detail15normal_iteratorINSA_10device_ptrItEEEEPS6_NSA_18transform_iteratorI7is_evenItESF_NSA_11use_defaultESK_EENS0_5tupleIJNSA_16discard_iteratorISK_EESF_EEENSM_IJSG_SG_EEES6_PlJS6_EEE10hipError_tPvRmT3_T4_T5_T6_T7_T9_mT8_P12ihipStream_tbDpT10_ENKUlT_T0_E_clISt17integral_constantIbLb1EES1A_IbLb0EEEEDaS16_S17_EUlS16_E_NS1_11comp_targetILNS1_3genE8ELNS1_11target_archE1030ELNS1_3gpuE2ELNS1_3repE0EEENS1_30default_config_static_selectorELNS0_4arch9wavefront6targetE1EEEvT1_: ; @_ZN7rocprim17ROCPRIM_400000_NS6detail17trampoline_kernelINS0_14default_configENS1_25partition_config_selectorILNS1_17partition_subalgoE1EtNS0_10empty_typeEbEEZZNS1_14partition_implILS5_1ELb0ES3_jN6thrust23THRUST_200600_302600_NS6detail15normal_iteratorINSA_10device_ptrItEEEEPS6_NSA_18transform_iteratorI7is_evenItESF_NSA_11use_defaultESK_EENS0_5tupleIJNSA_16discard_iteratorISK_EESF_EEENSM_IJSG_SG_EEES6_PlJS6_EEE10hipError_tPvRmT3_T4_T5_T6_T7_T9_mT8_P12ihipStream_tbDpT10_ENKUlT_T0_E_clISt17integral_constantIbLb1EES1A_IbLb0EEEEDaS16_S17_EUlS16_E_NS1_11comp_targetILNS1_3genE8ELNS1_11target_archE1030ELNS1_3gpuE2ELNS1_3repE0EEENS1_30default_config_static_selectorELNS0_4arch9wavefront6targetE1EEEvT1_
; %bb.0:
	.section	.rodata,"a",@progbits
	.p2align	6, 0x0
	.amdhsa_kernel _ZN7rocprim17ROCPRIM_400000_NS6detail17trampoline_kernelINS0_14default_configENS1_25partition_config_selectorILNS1_17partition_subalgoE1EtNS0_10empty_typeEbEEZZNS1_14partition_implILS5_1ELb0ES3_jN6thrust23THRUST_200600_302600_NS6detail15normal_iteratorINSA_10device_ptrItEEEEPS6_NSA_18transform_iteratorI7is_evenItESF_NSA_11use_defaultESK_EENS0_5tupleIJNSA_16discard_iteratorISK_EESF_EEENSM_IJSG_SG_EEES6_PlJS6_EEE10hipError_tPvRmT3_T4_T5_T6_T7_T9_mT8_P12ihipStream_tbDpT10_ENKUlT_T0_E_clISt17integral_constantIbLb1EES1A_IbLb0EEEEDaS16_S17_EUlS16_E_NS1_11comp_targetILNS1_3genE8ELNS1_11target_archE1030ELNS1_3gpuE2ELNS1_3repE0EEENS1_30default_config_static_selectorELNS0_4arch9wavefront6targetE1EEEvT1_
		.amdhsa_group_segment_fixed_size 0
		.amdhsa_private_segment_fixed_size 0
		.amdhsa_kernarg_size 136
		.amdhsa_user_sgpr_count 6
		.amdhsa_user_sgpr_private_segment_buffer 1
		.amdhsa_user_sgpr_dispatch_ptr 0
		.amdhsa_user_sgpr_queue_ptr 0
		.amdhsa_user_sgpr_kernarg_segment_ptr 1
		.amdhsa_user_sgpr_dispatch_id 0
		.amdhsa_user_sgpr_flat_scratch_init 0
		.amdhsa_user_sgpr_kernarg_preload_length 0
		.amdhsa_user_sgpr_kernarg_preload_offset 0
		.amdhsa_user_sgpr_private_segment_size 0
		.amdhsa_uses_dynamic_stack 0
		.amdhsa_system_sgpr_private_segment_wavefront_offset 0
		.amdhsa_system_sgpr_workgroup_id_x 1
		.amdhsa_system_sgpr_workgroup_id_y 0
		.amdhsa_system_sgpr_workgroup_id_z 0
		.amdhsa_system_sgpr_workgroup_info 0
		.amdhsa_system_vgpr_workitem_id 0
		.amdhsa_next_free_vgpr 1
		.amdhsa_next_free_sgpr 0
		.amdhsa_accum_offset 4
		.amdhsa_reserve_vcc 0
		.amdhsa_reserve_flat_scratch 0
		.amdhsa_float_round_mode_32 0
		.amdhsa_float_round_mode_16_64 0
		.amdhsa_float_denorm_mode_32 3
		.amdhsa_float_denorm_mode_16_64 3
		.amdhsa_dx10_clamp 1
		.amdhsa_ieee_mode 1
		.amdhsa_fp16_overflow 0
		.amdhsa_tg_split 0
		.amdhsa_exception_fp_ieee_invalid_op 0
		.amdhsa_exception_fp_denorm_src 0
		.amdhsa_exception_fp_ieee_div_zero 0
		.amdhsa_exception_fp_ieee_overflow 0
		.amdhsa_exception_fp_ieee_underflow 0
		.amdhsa_exception_fp_ieee_inexact 0
		.amdhsa_exception_int_div_zero 0
	.end_amdhsa_kernel
	.section	.text._ZN7rocprim17ROCPRIM_400000_NS6detail17trampoline_kernelINS0_14default_configENS1_25partition_config_selectorILNS1_17partition_subalgoE1EtNS0_10empty_typeEbEEZZNS1_14partition_implILS5_1ELb0ES3_jN6thrust23THRUST_200600_302600_NS6detail15normal_iteratorINSA_10device_ptrItEEEEPS6_NSA_18transform_iteratorI7is_evenItESF_NSA_11use_defaultESK_EENS0_5tupleIJNSA_16discard_iteratorISK_EESF_EEENSM_IJSG_SG_EEES6_PlJS6_EEE10hipError_tPvRmT3_T4_T5_T6_T7_T9_mT8_P12ihipStream_tbDpT10_ENKUlT_T0_E_clISt17integral_constantIbLb1EES1A_IbLb0EEEEDaS16_S17_EUlS16_E_NS1_11comp_targetILNS1_3genE8ELNS1_11target_archE1030ELNS1_3gpuE2ELNS1_3repE0EEENS1_30default_config_static_selectorELNS0_4arch9wavefront6targetE1EEEvT1_,"axG",@progbits,_ZN7rocprim17ROCPRIM_400000_NS6detail17trampoline_kernelINS0_14default_configENS1_25partition_config_selectorILNS1_17partition_subalgoE1EtNS0_10empty_typeEbEEZZNS1_14partition_implILS5_1ELb0ES3_jN6thrust23THRUST_200600_302600_NS6detail15normal_iteratorINSA_10device_ptrItEEEEPS6_NSA_18transform_iteratorI7is_evenItESF_NSA_11use_defaultESK_EENS0_5tupleIJNSA_16discard_iteratorISK_EESF_EEENSM_IJSG_SG_EEES6_PlJS6_EEE10hipError_tPvRmT3_T4_T5_T6_T7_T9_mT8_P12ihipStream_tbDpT10_ENKUlT_T0_E_clISt17integral_constantIbLb1EES1A_IbLb0EEEEDaS16_S17_EUlS16_E_NS1_11comp_targetILNS1_3genE8ELNS1_11target_archE1030ELNS1_3gpuE2ELNS1_3repE0EEENS1_30default_config_static_selectorELNS0_4arch9wavefront6targetE1EEEvT1_,comdat
.Lfunc_end3154:
	.size	_ZN7rocprim17ROCPRIM_400000_NS6detail17trampoline_kernelINS0_14default_configENS1_25partition_config_selectorILNS1_17partition_subalgoE1EtNS0_10empty_typeEbEEZZNS1_14partition_implILS5_1ELb0ES3_jN6thrust23THRUST_200600_302600_NS6detail15normal_iteratorINSA_10device_ptrItEEEEPS6_NSA_18transform_iteratorI7is_evenItESF_NSA_11use_defaultESK_EENS0_5tupleIJNSA_16discard_iteratorISK_EESF_EEENSM_IJSG_SG_EEES6_PlJS6_EEE10hipError_tPvRmT3_T4_T5_T6_T7_T9_mT8_P12ihipStream_tbDpT10_ENKUlT_T0_E_clISt17integral_constantIbLb1EES1A_IbLb0EEEEDaS16_S17_EUlS16_E_NS1_11comp_targetILNS1_3genE8ELNS1_11target_archE1030ELNS1_3gpuE2ELNS1_3repE0EEENS1_30default_config_static_selectorELNS0_4arch9wavefront6targetE1EEEvT1_, .Lfunc_end3154-_ZN7rocprim17ROCPRIM_400000_NS6detail17trampoline_kernelINS0_14default_configENS1_25partition_config_selectorILNS1_17partition_subalgoE1EtNS0_10empty_typeEbEEZZNS1_14partition_implILS5_1ELb0ES3_jN6thrust23THRUST_200600_302600_NS6detail15normal_iteratorINSA_10device_ptrItEEEEPS6_NSA_18transform_iteratorI7is_evenItESF_NSA_11use_defaultESK_EENS0_5tupleIJNSA_16discard_iteratorISK_EESF_EEENSM_IJSG_SG_EEES6_PlJS6_EEE10hipError_tPvRmT3_T4_T5_T6_T7_T9_mT8_P12ihipStream_tbDpT10_ENKUlT_T0_E_clISt17integral_constantIbLb1EES1A_IbLb0EEEEDaS16_S17_EUlS16_E_NS1_11comp_targetILNS1_3genE8ELNS1_11target_archE1030ELNS1_3gpuE2ELNS1_3repE0EEENS1_30default_config_static_selectorELNS0_4arch9wavefront6targetE1EEEvT1_
                                        ; -- End function
	.section	.AMDGPU.csdata,"",@progbits
; Kernel info:
; codeLenInByte = 0
; NumSgprs: 4
; NumVgprs: 0
; NumAgprs: 0
; TotalNumVgprs: 0
; ScratchSize: 0
; MemoryBound: 0
; FloatMode: 240
; IeeeMode: 1
; LDSByteSize: 0 bytes/workgroup (compile time only)
; SGPRBlocks: 0
; VGPRBlocks: 0
; NumSGPRsForWavesPerEU: 4
; NumVGPRsForWavesPerEU: 1
; AccumOffset: 4
; Occupancy: 8
; WaveLimiterHint : 0
; COMPUTE_PGM_RSRC2:SCRATCH_EN: 0
; COMPUTE_PGM_RSRC2:USER_SGPR: 6
; COMPUTE_PGM_RSRC2:TRAP_HANDLER: 0
; COMPUTE_PGM_RSRC2:TGID_X_EN: 1
; COMPUTE_PGM_RSRC2:TGID_Y_EN: 0
; COMPUTE_PGM_RSRC2:TGID_Z_EN: 0
; COMPUTE_PGM_RSRC2:TIDIG_COMP_CNT: 0
; COMPUTE_PGM_RSRC3_GFX90A:ACCUM_OFFSET: 0
; COMPUTE_PGM_RSRC3_GFX90A:TG_SPLIT: 0
	.section	.text._ZN7rocprim17ROCPRIM_400000_NS6detail17trampoline_kernelINS0_14default_configENS1_25partition_config_selectorILNS1_17partition_subalgoE1EtNS0_10empty_typeEbEEZZNS1_14partition_implILS5_1ELb0ES3_jN6thrust23THRUST_200600_302600_NS6detail15normal_iteratorINSA_10device_ptrItEEEEPS6_NSA_18transform_iteratorI7is_evenItESF_NSA_11use_defaultESK_EENS0_5tupleIJNSA_16discard_iteratorISK_EESF_EEENSM_IJSG_SG_EEES6_PlJS6_EEE10hipError_tPvRmT3_T4_T5_T6_T7_T9_mT8_P12ihipStream_tbDpT10_ENKUlT_T0_E_clISt17integral_constantIbLb0EES1A_IbLb1EEEEDaS16_S17_EUlS16_E_NS1_11comp_targetILNS1_3genE0ELNS1_11target_archE4294967295ELNS1_3gpuE0ELNS1_3repE0EEENS1_30default_config_static_selectorELNS0_4arch9wavefront6targetE1EEEvT1_,"axG",@progbits,_ZN7rocprim17ROCPRIM_400000_NS6detail17trampoline_kernelINS0_14default_configENS1_25partition_config_selectorILNS1_17partition_subalgoE1EtNS0_10empty_typeEbEEZZNS1_14partition_implILS5_1ELb0ES3_jN6thrust23THRUST_200600_302600_NS6detail15normal_iteratorINSA_10device_ptrItEEEEPS6_NSA_18transform_iteratorI7is_evenItESF_NSA_11use_defaultESK_EENS0_5tupleIJNSA_16discard_iteratorISK_EESF_EEENSM_IJSG_SG_EEES6_PlJS6_EEE10hipError_tPvRmT3_T4_T5_T6_T7_T9_mT8_P12ihipStream_tbDpT10_ENKUlT_T0_E_clISt17integral_constantIbLb0EES1A_IbLb1EEEEDaS16_S17_EUlS16_E_NS1_11comp_targetILNS1_3genE0ELNS1_11target_archE4294967295ELNS1_3gpuE0ELNS1_3repE0EEENS1_30default_config_static_selectorELNS0_4arch9wavefront6targetE1EEEvT1_,comdat
	.protected	_ZN7rocprim17ROCPRIM_400000_NS6detail17trampoline_kernelINS0_14default_configENS1_25partition_config_selectorILNS1_17partition_subalgoE1EtNS0_10empty_typeEbEEZZNS1_14partition_implILS5_1ELb0ES3_jN6thrust23THRUST_200600_302600_NS6detail15normal_iteratorINSA_10device_ptrItEEEEPS6_NSA_18transform_iteratorI7is_evenItESF_NSA_11use_defaultESK_EENS0_5tupleIJNSA_16discard_iteratorISK_EESF_EEENSM_IJSG_SG_EEES6_PlJS6_EEE10hipError_tPvRmT3_T4_T5_T6_T7_T9_mT8_P12ihipStream_tbDpT10_ENKUlT_T0_E_clISt17integral_constantIbLb0EES1A_IbLb1EEEEDaS16_S17_EUlS16_E_NS1_11comp_targetILNS1_3genE0ELNS1_11target_archE4294967295ELNS1_3gpuE0ELNS1_3repE0EEENS1_30default_config_static_selectorELNS0_4arch9wavefront6targetE1EEEvT1_ ; -- Begin function _ZN7rocprim17ROCPRIM_400000_NS6detail17trampoline_kernelINS0_14default_configENS1_25partition_config_selectorILNS1_17partition_subalgoE1EtNS0_10empty_typeEbEEZZNS1_14partition_implILS5_1ELb0ES3_jN6thrust23THRUST_200600_302600_NS6detail15normal_iteratorINSA_10device_ptrItEEEEPS6_NSA_18transform_iteratorI7is_evenItESF_NSA_11use_defaultESK_EENS0_5tupleIJNSA_16discard_iteratorISK_EESF_EEENSM_IJSG_SG_EEES6_PlJS6_EEE10hipError_tPvRmT3_T4_T5_T6_T7_T9_mT8_P12ihipStream_tbDpT10_ENKUlT_T0_E_clISt17integral_constantIbLb0EES1A_IbLb1EEEEDaS16_S17_EUlS16_E_NS1_11comp_targetILNS1_3genE0ELNS1_11target_archE4294967295ELNS1_3gpuE0ELNS1_3repE0EEENS1_30default_config_static_selectorELNS0_4arch9wavefront6targetE1EEEvT1_
	.globl	_ZN7rocprim17ROCPRIM_400000_NS6detail17trampoline_kernelINS0_14default_configENS1_25partition_config_selectorILNS1_17partition_subalgoE1EtNS0_10empty_typeEbEEZZNS1_14partition_implILS5_1ELb0ES3_jN6thrust23THRUST_200600_302600_NS6detail15normal_iteratorINSA_10device_ptrItEEEEPS6_NSA_18transform_iteratorI7is_evenItESF_NSA_11use_defaultESK_EENS0_5tupleIJNSA_16discard_iteratorISK_EESF_EEENSM_IJSG_SG_EEES6_PlJS6_EEE10hipError_tPvRmT3_T4_T5_T6_T7_T9_mT8_P12ihipStream_tbDpT10_ENKUlT_T0_E_clISt17integral_constantIbLb0EES1A_IbLb1EEEEDaS16_S17_EUlS16_E_NS1_11comp_targetILNS1_3genE0ELNS1_11target_archE4294967295ELNS1_3gpuE0ELNS1_3repE0EEENS1_30default_config_static_selectorELNS0_4arch9wavefront6targetE1EEEvT1_
	.p2align	8
	.type	_ZN7rocprim17ROCPRIM_400000_NS6detail17trampoline_kernelINS0_14default_configENS1_25partition_config_selectorILNS1_17partition_subalgoE1EtNS0_10empty_typeEbEEZZNS1_14partition_implILS5_1ELb0ES3_jN6thrust23THRUST_200600_302600_NS6detail15normal_iteratorINSA_10device_ptrItEEEEPS6_NSA_18transform_iteratorI7is_evenItESF_NSA_11use_defaultESK_EENS0_5tupleIJNSA_16discard_iteratorISK_EESF_EEENSM_IJSG_SG_EEES6_PlJS6_EEE10hipError_tPvRmT3_T4_T5_T6_T7_T9_mT8_P12ihipStream_tbDpT10_ENKUlT_T0_E_clISt17integral_constantIbLb0EES1A_IbLb1EEEEDaS16_S17_EUlS16_E_NS1_11comp_targetILNS1_3genE0ELNS1_11target_archE4294967295ELNS1_3gpuE0ELNS1_3repE0EEENS1_30default_config_static_selectorELNS0_4arch9wavefront6targetE1EEEvT1_,@function
_ZN7rocprim17ROCPRIM_400000_NS6detail17trampoline_kernelINS0_14default_configENS1_25partition_config_selectorILNS1_17partition_subalgoE1EtNS0_10empty_typeEbEEZZNS1_14partition_implILS5_1ELb0ES3_jN6thrust23THRUST_200600_302600_NS6detail15normal_iteratorINSA_10device_ptrItEEEEPS6_NSA_18transform_iteratorI7is_evenItESF_NSA_11use_defaultESK_EENS0_5tupleIJNSA_16discard_iteratorISK_EESF_EEENSM_IJSG_SG_EEES6_PlJS6_EEE10hipError_tPvRmT3_T4_T5_T6_T7_T9_mT8_P12ihipStream_tbDpT10_ENKUlT_T0_E_clISt17integral_constantIbLb0EES1A_IbLb1EEEEDaS16_S17_EUlS16_E_NS1_11comp_targetILNS1_3genE0ELNS1_11target_archE4294967295ELNS1_3gpuE0ELNS1_3repE0EEENS1_30default_config_static_selectorELNS0_4arch9wavefront6targetE1EEEvT1_: ; @_ZN7rocprim17ROCPRIM_400000_NS6detail17trampoline_kernelINS0_14default_configENS1_25partition_config_selectorILNS1_17partition_subalgoE1EtNS0_10empty_typeEbEEZZNS1_14partition_implILS5_1ELb0ES3_jN6thrust23THRUST_200600_302600_NS6detail15normal_iteratorINSA_10device_ptrItEEEEPS6_NSA_18transform_iteratorI7is_evenItESF_NSA_11use_defaultESK_EENS0_5tupleIJNSA_16discard_iteratorISK_EESF_EEENSM_IJSG_SG_EEES6_PlJS6_EEE10hipError_tPvRmT3_T4_T5_T6_T7_T9_mT8_P12ihipStream_tbDpT10_ENKUlT_T0_E_clISt17integral_constantIbLb0EES1A_IbLb1EEEEDaS16_S17_EUlS16_E_NS1_11comp_targetILNS1_3genE0ELNS1_11target_archE4294967295ELNS1_3gpuE0ELNS1_3repE0EEENS1_30default_config_static_selectorELNS0_4arch9wavefront6targetE1EEEvT1_
; %bb.0:
	.section	.rodata,"a",@progbits
	.p2align	6, 0x0
	.amdhsa_kernel _ZN7rocprim17ROCPRIM_400000_NS6detail17trampoline_kernelINS0_14default_configENS1_25partition_config_selectorILNS1_17partition_subalgoE1EtNS0_10empty_typeEbEEZZNS1_14partition_implILS5_1ELb0ES3_jN6thrust23THRUST_200600_302600_NS6detail15normal_iteratorINSA_10device_ptrItEEEEPS6_NSA_18transform_iteratorI7is_evenItESF_NSA_11use_defaultESK_EENS0_5tupleIJNSA_16discard_iteratorISK_EESF_EEENSM_IJSG_SG_EEES6_PlJS6_EEE10hipError_tPvRmT3_T4_T5_T6_T7_T9_mT8_P12ihipStream_tbDpT10_ENKUlT_T0_E_clISt17integral_constantIbLb0EES1A_IbLb1EEEEDaS16_S17_EUlS16_E_NS1_11comp_targetILNS1_3genE0ELNS1_11target_archE4294967295ELNS1_3gpuE0ELNS1_3repE0EEENS1_30default_config_static_selectorELNS0_4arch9wavefront6targetE1EEEvT1_
		.amdhsa_group_segment_fixed_size 0
		.amdhsa_private_segment_fixed_size 0
		.amdhsa_kernarg_size 152
		.amdhsa_user_sgpr_count 6
		.amdhsa_user_sgpr_private_segment_buffer 1
		.amdhsa_user_sgpr_dispatch_ptr 0
		.amdhsa_user_sgpr_queue_ptr 0
		.amdhsa_user_sgpr_kernarg_segment_ptr 1
		.amdhsa_user_sgpr_dispatch_id 0
		.amdhsa_user_sgpr_flat_scratch_init 0
		.amdhsa_user_sgpr_kernarg_preload_length 0
		.amdhsa_user_sgpr_kernarg_preload_offset 0
		.amdhsa_user_sgpr_private_segment_size 0
		.amdhsa_uses_dynamic_stack 0
		.amdhsa_system_sgpr_private_segment_wavefront_offset 0
		.amdhsa_system_sgpr_workgroup_id_x 1
		.amdhsa_system_sgpr_workgroup_id_y 0
		.amdhsa_system_sgpr_workgroup_id_z 0
		.amdhsa_system_sgpr_workgroup_info 0
		.amdhsa_system_vgpr_workitem_id 0
		.amdhsa_next_free_vgpr 1
		.amdhsa_next_free_sgpr 0
		.amdhsa_accum_offset 4
		.amdhsa_reserve_vcc 0
		.amdhsa_reserve_flat_scratch 0
		.amdhsa_float_round_mode_32 0
		.amdhsa_float_round_mode_16_64 0
		.amdhsa_float_denorm_mode_32 3
		.amdhsa_float_denorm_mode_16_64 3
		.amdhsa_dx10_clamp 1
		.amdhsa_ieee_mode 1
		.amdhsa_fp16_overflow 0
		.amdhsa_tg_split 0
		.amdhsa_exception_fp_ieee_invalid_op 0
		.amdhsa_exception_fp_denorm_src 0
		.amdhsa_exception_fp_ieee_div_zero 0
		.amdhsa_exception_fp_ieee_overflow 0
		.amdhsa_exception_fp_ieee_underflow 0
		.amdhsa_exception_fp_ieee_inexact 0
		.amdhsa_exception_int_div_zero 0
	.end_amdhsa_kernel
	.section	.text._ZN7rocprim17ROCPRIM_400000_NS6detail17trampoline_kernelINS0_14default_configENS1_25partition_config_selectorILNS1_17partition_subalgoE1EtNS0_10empty_typeEbEEZZNS1_14partition_implILS5_1ELb0ES3_jN6thrust23THRUST_200600_302600_NS6detail15normal_iteratorINSA_10device_ptrItEEEEPS6_NSA_18transform_iteratorI7is_evenItESF_NSA_11use_defaultESK_EENS0_5tupleIJNSA_16discard_iteratorISK_EESF_EEENSM_IJSG_SG_EEES6_PlJS6_EEE10hipError_tPvRmT3_T4_T5_T6_T7_T9_mT8_P12ihipStream_tbDpT10_ENKUlT_T0_E_clISt17integral_constantIbLb0EES1A_IbLb1EEEEDaS16_S17_EUlS16_E_NS1_11comp_targetILNS1_3genE0ELNS1_11target_archE4294967295ELNS1_3gpuE0ELNS1_3repE0EEENS1_30default_config_static_selectorELNS0_4arch9wavefront6targetE1EEEvT1_,"axG",@progbits,_ZN7rocprim17ROCPRIM_400000_NS6detail17trampoline_kernelINS0_14default_configENS1_25partition_config_selectorILNS1_17partition_subalgoE1EtNS0_10empty_typeEbEEZZNS1_14partition_implILS5_1ELb0ES3_jN6thrust23THRUST_200600_302600_NS6detail15normal_iteratorINSA_10device_ptrItEEEEPS6_NSA_18transform_iteratorI7is_evenItESF_NSA_11use_defaultESK_EENS0_5tupleIJNSA_16discard_iteratorISK_EESF_EEENSM_IJSG_SG_EEES6_PlJS6_EEE10hipError_tPvRmT3_T4_T5_T6_T7_T9_mT8_P12ihipStream_tbDpT10_ENKUlT_T0_E_clISt17integral_constantIbLb0EES1A_IbLb1EEEEDaS16_S17_EUlS16_E_NS1_11comp_targetILNS1_3genE0ELNS1_11target_archE4294967295ELNS1_3gpuE0ELNS1_3repE0EEENS1_30default_config_static_selectorELNS0_4arch9wavefront6targetE1EEEvT1_,comdat
.Lfunc_end3155:
	.size	_ZN7rocprim17ROCPRIM_400000_NS6detail17trampoline_kernelINS0_14default_configENS1_25partition_config_selectorILNS1_17partition_subalgoE1EtNS0_10empty_typeEbEEZZNS1_14partition_implILS5_1ELb0ES3_jN6thrust23THRUST_200600_302600_NS6detail15normal_iteratorINSA_10device_ptrItEEEEPS6_NSA_18transform_iteratorI7is_evenItESF_NSA_11use_defaultESK_EENS0_5tupleIJNSA_16discard_iteratorISK_EESF_EEENSM_IJSG_SG_EEES6_PlJS6_EEE10hipError_tPvRmT3_T4_T5_T6_T7_T9_mT8_P12ihipStream_tbDpT10_ENKUlT_T0_E_clISt17integral_constantIbLb0EES1A_IbLb1EEEEDaS16_S17_EUlS16_E_NS1_11comp_targetILNS1_3genE0ELNS1_11target_archE4294967295ELNS1_3gpuE0ELNS1_3repE0EEENS1_30default_config_static_selectorELNS0_4arch9wavefront6targetE1EEEvT1_, .Lfunc_end3155-_ZN7rocprim17ROCPRIM_400000_NS6detail17trampoline_kernelINS0_14default_configENS1_25partition_config_selectorILNS1_17partition_subalgoE1EtNS0_10empty_typeEbEEZZNS1_14partition_implILS5_1ELb0ES3_jN6thrust23THRUST_200600_302600_NS6detail15normal_iteratorINSA_10device_ptrItEEEEPS6_NSA_18transform_iteratorI7is_evenItESF_NSA_11use_defaultESK_EENS0_5tupleIJNSA_16discard_iteratorISK_EESF_EEENSM_IJSG_SG_EEES6_PlJS6_EEE10hipError_tPvRmT3_T4_T5_T6_T7_T9_mT8_P12ihipStream_tbDpT10_ENKUlT_T0_E_clISt17integral_constantIbLb0EES1A_IbLb1EEEEDaS16_S17_EUlS16_E_NS1_11comp_targetILNS1_3genE0ELNS1_11target_archE4294967295ELNS1_3gpuE0ELNS1_3repE0EEENS1_30default_config_static_selectorELNS0_4arch9wavefront6targetE1EEEvT1_
                                        ; -- End function
	.section	.AMDGPU.csdata,"",@progbits
; Kernel info:
; codeLenInByte = 0
; NumSgprs: 4
; NumVgprs: 0
; NumAgprs: 0
; TotalNumVgprs: 0
; ScratchSize: 0
; MemoryBound: 0
; FloatMode: 240
; IeeeMode: 1
; LDSByteSize: 0 bytes/workgroup (compile time only)
; SGPRBlocks: 0
; VGPRBlocks: 0
; NumSGPRsForWavesPerEU: 4
; NumVGPRsForWavesPerEU: 1
; AccumOffset: 4
; Occupancy: 8
; WaveLimiterHint : 0
; COMPUTE_PGM_RSRC2:SCRATCH_EN: 0
; COMPUTE_PGM_RSRC2:USER_SGPR: 6
; COMPUTE_PGM_RSRC2:TRAP_HANDLER: 0
; COMPUTE_PGM_RSRC2:TGID_X_EN: 1
; COMPUTE_PGM_RSRC2:TGID_Y_EN: 0
; COMPUTE_PGM_RSRC2:TGID_Z_EN: 0
; COMPUTE_PGM_RSRC2:TIDIG_COMP_CNT: 0
; COMPUTE_PGM_RSRC3_GFX90A:ACCUM_OFFSET: 0
; COMPUTE_PGM_RSRC3_GFX90A:TG_SPLIT: 0
	.section	.text._ZN7rocprim17ROCPRIM_400000_NS6detail17trampoline_kernelINS0_14default_configENS1_25partition_config_selectorILNS1_17partition_subalgoE1EtNS0_10empty_typeEbEEZZNS1_14partition_implILS5_1ELb0ES3_jN6thrust23THRUST_200600_302600_NS6detail15normal_iteratorINSA_10device_ptrItEEEEPS6_NSA_18transform_iteratorI7is_evenItESF_NSA_11use_defaultESK_EENS0_5tupleIJNSA_16discard_iteratorISK_EESF_EEENSM_IJSG_SG_EEES6_PlJS6_EEE10hipError_tPvRmT3_T4_T5_T6_T7_T9_mT8_P12ihipStream_tbDpT10_ENKUlT_T0_E_clISt17integral_constantIbLb0EES1A_IbLb1EEEEDaS16_S17_EUlS16_E_NS1_11comp_targetILNS1_3genE5ELNS1_11target_archE942ELNS1_3gpuE9ELNS1_3repE0EEENS1_30default_config_static_selectorELNS0_4arch9wavefront6targetE1EEEvT1_,"axG",@progbits,_ZN7rocprim17ROCPRIM_400000_NS6detail17trampoline_kernelINS0_14default_configENS1_25partition_config_selectorILNS1_17partition_subalgoE1EtNS0_10empty_typeEbEEZZNS1_14partition_implILS5_1ELb0ES3_jN6thrust23THRUST_200600_302600_NS6detail15normal_iteratorINSA_10device_ptrItEEEEPS6_NSA_18transform_iteratorI7is_evenItESF_NSA_11use_defaultESK_EENS0_5tupleIJNSA_16discard_iteratorISK_EESF_EEENSM_IJSG_SG_EEES6_PlJS6_EEE10hipError_tPvRmT3_T4_T5_T6_T7_T9_mT8_P12ihipStream_tbDpT10_ENKUlT_T0_E_clISt17integral_constantIbLb0EES1A_IbLb1EEEEDaS16_S17_EUlS16_E_NS1_11comp_targetILNS1_3genE5ELNS1_11target_archE942ELNS1_3gpuE9ELNS1_3repE0EEENS1_30default_config_static_selectorELNS0_4arch9wavefront6targetE1EEEvT1_,comdat
	.protected	_ZN7rocprim17ROCPRIM_400000_NS6detail17trampoline_kernelINS0_14default_configENS1_25partition_config_selectorILNS1_17partition_subalgoE1EtNS0_10empty_typeEbEEZZNS1_14partition_implILS5_1ELb0ES3_jN6thrust23THRUST_200600_302600_NS6detail15normal_iteratorINSA_10device_ptrItEEEEPS6_NSA_18transform_iteratorI7is_evenItESF_NSA_11use_defaultESK_EENS0_5tupleIJNSA_16discard_iteratorISK_EESF_EEENSM_IJSG_SG_EEES6_PlJS6_EEE10hipError_tPvRmT3_T4_T5_T6_T7_T9_mT8_P12ihipStream_tbDpT10_ENKUlT_T0_E_clISt17integral_constantIbLb0EES1A_IbLb1EEEEDaS16_S17_EUlS16_E_NS1_11comp_targetILNS1_3genE5ELNS1_11target_archE942ELNS1_3gpuE9ELNS1_3repE0EEENS1_30default_config_static_selectorELNS0_4arch9wavefront6targetE1EEEvT1_ ; -- Begin function _ZN7rocprim17ROCPRIM_400000_NS6detail17trampoline_kernelINS0_14default_configENS1_25partition_config_selectorILNS1_17partition_subalgoE1EtNS0_10empty_typeEbEEZZNS1_14partition_implILS5_1ELb0ES3_jN6thrust23THRUST_200600_302600_NS6detail15normal_iteratorINSA_10device_ptrItEEEEPS6_NSA_18transform_iteratorI7is_evenItESF_NSA_11use_defaultESK_EENS0_5tupleIJNSA_16discard_iteratorISK_EESF_EEENSM_IJSG_SG_EEES6_PlJS6_EEE10hipError_tPvRmT3_T4_T5_T6_T7_T9_mT8_P12ihipStream_tbDpT10_ENKUlT_T0_E_clISt17integral_constantIbLb0EES1A_IbLb1EEEEDaS16_S17_EUlS16_E_NS1_11comp_targetILNS1_3genE5ELNS1_11target_archE942ELNS1_3gpuE9ELNS1_3repE0EEENS1_30default_config_static_selectorELNS0_4arch9wavefront6targetE1EEEvT1_
	.globl	_ZN7rocprim17ROCPRIM_400000_NS6detail17trampoline_kernelINS0_14default_configENS1_25partition_config_selectorILNS1_17partition_subalgoE1EtNS0_10empty_typeEbEEZZNS1_14partition_implILS5_1ELb0ES3_jN6thrust23THRUST_200600_302600_NS6detail15normal_iteratorINSA_10device_ptrItEEEEPS6_NSA_18transform_iteratorI7is_evenItESF_NSA_11use_defaultESK_EENS0_5tupleIJNSA_16discard_iteratorISK_EESF_EEENSM_IJSG_SG_EEES6_PlJS6_EEE10hipError_tPvRmT3_T4_T5_T6_T7_T9_mT8_P12ihipStream_tbDpT10_ENKUlT_T0_E_clISt17integral_constantIbLb0EES1A_IbLb1EEEEDaS16_S17_EUlS16_E_NS1_11comp_targetILNS1_3genE5ELNS1_11target_archE942ELNS1_3gpuE9ELNS1_3repE0EEENS1_30default_config_static_selectorELNS0_4arch9wavefront6targetE1EEEvT1_
	.p2align	8
	.type	_ZN7rocprim17ROCPRIM_400000_NS6detail17trampoline_kernelINS0_14default_configENS1_25partition_config_selectorILNS1_17partition_subalgoE1EtNS0_10empty_typeEbEEZZNS1_14partition_implILS5_1ELb0ES3_jN6thrust23THRUST_200600_302600_NS6detail15normal_iteratorINSA_10device_ptrItEEEEPS6_NSA_18transform_iteratorI7is_evenItESF_NSA_11use_defaultESK_EENS0_5tupleIJNSA_16discard_iteratorISK_EESF_EEENSM_IJSG_SG_EEES6_PlJS6_EEE10hipError_tPvRmT3_T4_T5_T6_T7_T9_mT8_P12ihipStream_tbDpT10_ENKUlT_T0_E_clISt17integral_constantIbLb0EES1A_IbLb1EEEEDaS16_S17_EUlS16_E_NS1_11comp_targetILNS1_3genE5ELNS1_11target_archE942ELNS1_3gpuE9ELNS1_3repE0EEENS1_30default_config_static_selectorELNS0_4arch9wavefront6targetE1EEEvT1_,@function
_ZN7rocprim17ROCPRIM_400000_NS6detail17trampoline_kernelINS0_14default_configENS1_25partition_config_selectorILNS1_17partition_subalgoE1EtNS0_10empty_typeEbEEZZNS1_14partition_implILS5_1ELb0ES3_jN6thrust23THRUST_200600_302600_NS6detail15normal_iteratorINSA_10device_ptrItEEEEPS6_NSA_18transform_iteratorI7is_evenItESF_NSA_11use_defaultESK_EENS0_5tupleIJNSA_16discard_iteratorISK_EESF_EEENSM_IJSG_SG_EEES6_PlJS6_EEE10hipError_tPvRmT3_T4_T5_T6_T7_T9_mT8_P12ihipStream_tbDpT10_ENKUlT_T0_E_clISt17integral_constantIbLb0EES1A_IbLb1EEEEDaS16_S17_EUlS16_E_NS1_11comp_targetILNS1_3genE5ELNS1_11target_archE942ELNS1_3gpuE9ELNS1_3repE0EEENS1_30default_config_static_selectorELNS0_4arch9wavefront6targetE1EEEvT1_: ; @_ZN7rocprim17ROCPRIM_400000_NS6detail17trampoline_kernelINS0_14default_configENS1_25partition_config_selectorILNS1_17partition_subalgoE1EtNS0_10empty_typeEbEEZZNS1_14partition_implILS5_1ELb0ES3_jN6thrust23THRUST_200600_302600_NS6detail15normal_iteratorINSA_10device_ptrItEEEEPS6_NSA_18transform_iteratorI7is_evenItESF_NSA_11use_defaultESK_EENS0_5tupleIJNSA_16discard_iteratorISK_EESF_EEENSM_IJSG_SG_EEES6_PlJS6_EEE10hipError_tPvRmT3_T4_T5_T6_T7_T9_mT8_P12ihipStream_tbDpT10_ENKUlT_T0_E_clISt17integral_constantIbLb0EES1A_IbLb1EEEEDaS16_S17_EUlS16_E_NS1_11comp_targetILNS1_3genE5ELNS1_11target_archE942ELNS1_3gpuE9ELNS1_3repE0EEENS1_30default_config_static_selectorELNS0_4arch9wavefront6targetE1EEEvT1_
; %bb.0:
	.section	.rodata,"a",@progbits
	.p2align	6, 0x0
	.amdhsa_kernel _ZN7rocprim17ROCPRIM_400000_NS6detail17trampoline_kernelINS0_14default_configENS1_25partition_config_selectorILNS1_17partition_subalgoE1EtNS0_10empty_typeEbEEZZNS1_14partition_implILS5_1ELb0ES3_jN6thrust23THRUST_200600_302600_NS6detail15normal_iteratorINSA_10device_ptrItEEEEPS6_NSA_18transform_iteratorI7is_evenItESF_NSA_11use_defaultESK_EENS0_5tupleIJNSA_16discard_iteratorISK_EESF_EEENSM_IJSG_SG_EEES6_PlJS6_EEE10hipError_tPvRmT3_T4_T5_T6_T7_T9_mT8_P12ihipStream_tbDpT10_ENKUlT_T0_E_clISt17integral_constantIbLb0EES1A_IbLb1EEEEDaS16_S17_EUlS16_E_NS1_11comp_targetILNS1_3genE5ELNS1_11target_archE942ELNS1_3gpuE9ELNS1_3repE0EEENS1_30default_config_static_selectorELNS0_4arch9wavefront6targetE1EEEvT1_
		.amdhsa_group_segment_fixed_size 0
		.amdhsa_private_segment_fixed_size 0
		.amdhsa_kernarg_size 152
		.amdhsa_user_sgpr_count 6
		.amdhsa_user_sgpr_private_segment_buffer 1
		.amdhsa_user_sgpr_dispatch_ptr 0
		.amdhsa_user_sgpr_queue_ptr 0
		.amdhsa_user_sgpr_kernarg_segment_ptr 1
		.amdhsa_user_sgpr_dispatch_id 0
		.amdhsa_user_sgpr_flat_scratch_init 0
		.amdhsa_user_sgpr_kernarg_preload_length 0
		.amdhsa_user_sgpr_kernarg_preload_offset 0
		.amdhsa_user_sgpr_private_segment_size 0
		.amdhsa_uses_dynamic_stack 0
		.amdhsa_system_sgpr_private_segment_wavefront_offset 0
		.amdhsa_system_sgpr_workgroup_id_x 1
		.amdhsa_system_sgpr_workgroup_id_y 0
		.amdhsa_system_sgpr_workgroup_id_z 0
		.amdhsa_system_sgpr_workgroup_info 0
		.amdhsa_system_vgpr_workitem_id 0
		.amdhsa_next_free_vgpr 1
		.amdhsa_next_free_sgpr 0
		.amdhsa_accum_offset 4
		.amdhsa_reserve_vcc 0
		.amdhsa_reserve_flat_scratch 0
		.amdhsa_float_round_mode_32 0
		.amdhsa_float_round_mode_16_64 0
		.amdhsa_float_denorm_mode_32 3
		.amdhsa_float_denorm_mode_16_64 3
		.amdhsa_dx10_clamp 1
		.amdhsa_ieee_mode 1
		.amdhsa_fp16_overflow 0
		.amdhsa_tg_split 0
		.amdhsa_exception_fp_ieee_invalid_op 0
		.amdhsa_exception_fp_denorm_src 0
		.amdhsa_exception_fp_ieee_div_zero 0
		.amdhsa_exception_fp_ieee_overflow 0
		.amdhsa_exception_fp_ieee_underflow 0
		.amdhsa_exception_fp_ieee_inexact 0
		.amdhsa_exception_int_div_zero 0
	.end_amdhsa_kernel
	.section	.text._ZN7rocprim17ROCPRIM_400000_NS6detail17trampoline_kernelINS0_14default_configENS1_25partition_config_selectorILNS1_17partition_subalgoE1EtNS0_10empty_typeEbEEZZNS1_14partition_implILS5_1ELb0ES3_jN6thrust23THRUST_200600_302600_NS6detail15normal_iteratorINSA_10device_ptrItEEEEPS6_NSA_18transform_iteratorI7is_evenItESF_NSA_11use_defaultESK_EENS0_5tupleIJNSA_16discard_iteratorISK_EESF_EEENSM_IJSG_SG_EEES6_PlJS6_EEE10hipError_tPvRmT3_T4_T5_T6_T7_T9_mT8_P12ihipStream_tbDpT10_ENKUlT_T0_E_clISt17integral_constantIbLb0EES1A_IbLb1EEEEDaS16_S17_EUlS16_E_NS1_11comp_targetILNS1_3genE5ELNS1_11target_archE942ELNS1_3gpuE9ELNS1_3repE0EEENS1_30default_config_static_selectorELNS0_4arch9wavefront6targetE1EEEvT1_,"axG",@progbits,_ZN7rocprim17ROCPRIM_400000_NS6detail17trampoline_kernelINS0_14default_configENS1_25partition_config_selectorILNS1_17partition_subalgoE1EtNS0_10empty_typeEbEEZZNS1_14partition_implILS5_1ELb0ES3_jN6thrust23THRUST_200600_302600_NS6detail15normal_iteratorINSA_10device_ptrItEEEEPS6_NSA_18transform_iteratorI7is_evenItESF_NSA_11use_defaultESK_EENS0_5tupleIJNSA_16discard_iteratorISK_EESF_EEENSM_IJSG_SG_EEES6_PlJS6_EEE10hipError_tPvRmT3_T4_T5_T6_T7_T9_mT8_P12ihipStream_tbDpT10_ENKUlT_T0_E_clISt17integral_constantIbLb0EES1A_IbLb1EEEEDaS16_S17_EUlS16_E_NS1_11comp_targetILNS1_3genE5ELNS1_11target_archE942ELNS1_3gpuE9ELNS1_3repE0EEENS1_30default_config_static_selectorELNS0_4arch9wavefront6targetE1EEEvT1_,comdat
.Lfunc_end3156:
	.size	_ZN7rocprim17ROCPRIM_400000_NS6detail17trampoline_kernelINS0_14default_configENS1_25partition_config_selectorILNS1_17partition_subalgoE1EtNS0_10empty_typeEbEEZZNS1_14partition_implILS5_1ELb0ES3_jN6thrust23THRUST_200600_302600_NS6detail15normal_iteratorINSA_10device_ptrItEEEEPS6_NSA_18transform_iteratorI7is_evenItESF_NSA_11use_defaultESK_EENS0_5tupleIJNSA_16discard_iteratorISK_EESF_EEENSM_IJSG_SG_EEES6_PlJS6_EEE10hipError_tPvRmT3_T4_T5_T6_T7_T9_mT8_P12ihipStream_tbDpT10_ENKUlT_T0_E_clISt17integral_constantIbLb0EES1A_IbLb1EEEEDaS16_S17_EUlS16_E_NS1_11comp_targetILNS1_3genE5ELNS1_11target_archE942ELNS1_3gpuE9ELNS1_3repE0EEENS1_30default_config_static_selectorELNS0_4arch9wavefront6targetE1EEEvT1_, .Lfunc_end3156-_ZN7rocprim17ROCPRIM_400000_NS6detail17trampoline_kernelINS0_14default_configENS1_25partition_config_selectorILNS1_17partition_subalgoE1EtNS0_10empty_typeEbEEZZNS1_14partition_implILS5_1ELb0ES3_jN6thrust23THRUST_200600_302600_NS6detail15normal_iteratorINSA_10device_ptrItEEEEPS6_NSA_18transform_iteratorI7is_evenItESF_NSA_11use_defaultESK_EENS0_5tupleIJNSA_16discard_iteratorISK_EESF_EEENSM_IJSG_SG_EEES6_PlJS6_EEE10hipError_tPvRmT3_T4_T5_T6_T7_T9_mT8_P12ihipStream_tbDpT10_ENKUlT_T0_E_clISt17integral_constantIbLb0EES1A_IbLb1EEEEDaS16_S17_EUlS16_E_NS1_11comp_targetILNS1_3genE5ELNS1_11target_archE942ELNS1_3gpuE9ELNS1_3repE0EEENS1_30default_config_static_selectorELNS0_4arch9wavefront6targetE1EEEvT1_
                                        ; -- End function
	.section	.AMDGPU.csdata,"",@progbits
; Kernel info:
; codeLenInByte = 0
; NumSgprs: 4
; NumVgprs: 0
; NumAgprs: 0
; TotalNumVgprs: 0
; ScratchSize: 0
; MemoryBound: 0
; FloatMode: 240
; IeeeMode: 1
; LDSByteSize: 0 bytes/workgroup (compile time only)
; SGPRBlocks: 0
; VGPRBlocks: 0
; NumSGPRsForWavesPerEU: 4
; NumVGPRsForWavesPerEU: 1
; AccumOffset: 4
; Occupancy: 8
; WaveLimiterHint : 0
; COMPUTE_PGM_RSRC2:SCRATCH_EN: 0
; COMPUTE_PGM_RSRC2:USER_SGPR: 6
; COMPUTE_PGM_RSRC2:TRAP_HANDLER: 0
; COMPUTE_PGM_RSRC2:TGID_X_EN: 1
; COMPUTE_PGM_RSRC2:TGID_Y_EN: 0
; COMPUTE_PGM_RSRC2:TGID_Z_EN: 0
; COMPUTE_PGM_RSRC2:TIDIG_COMP_CNT: 0
; COMPUTE_PGM_RSRC3_GFX90A:ACCUM_OFFSET: 0
; COMPUTE_PGM_RSRC3_GFX90A:TG_SPLIT: 0
	.section	.text._ZN7rocprim17ROCPRIM_400000_NS6detail17trampoline_kernelINS0_14default_configENS1_25partition_config_selectorILNS1_17partition_subalgoE1EtNS0_10empty_typeEbEEZZNS1_14partition_implILS5_1ELb0ES3_jN6thrust23THRUST_200600_302600_NS6detail15normal_iteratorINSA_10device_ptrItEEEEPS6_NSA_18transform_iteratorI7is_evenItESF_NSA_11use_defaultESK_EENS0_5tupleIJNSA_16discard_iteratorISK_EESF_EEENSM_IJSG_SG_EEES6_PlJS6_EEE10hipError_tPvRmT3_T4_T5_T6_T7_T9_mT8_P12ihipStream_tbDpT10_ENKUlT_T0_E_clISt17integral_constantIbLb0EES1A_IbLb1EEEEDaS16_S17_EUlS16_E_NS1_11comp_targetILNS1_3genE4ELNS1_11target_archE910ELNS1_3gpuE8ELNS1_3repE0EEENS1_30default_config_static_selectorELNS0_4arch9wavefront6targetE1EEEvT1_,"axG",@progbits,_ZN7rocprim17ROCPRIM_400000_NS6detail17trampoline_kernelINS0_14default_configENS1_25partition_config_selectorILNS1_17partition_subalgoE1EtNS0_10empty_typeEbEEZZNS1_14partition_implILS5_1ELb0ES3_jN6thrust23THRUST_200600_302600_NS6detail15normal_iteratorINSA_10device_ptrItEEEEPS6_NSA_18transform_iteratorI7is_evenItESF_NSA_11use_defaultESK_EENS0_5tupleIJNSA_16discard_iteratorISK_EESF_EEENSM_IJSG_SG_EEES6_PlJS6_EEE10hipError_tPvRmT3_T4_T5_T6_T7_T9_mT8_P12ihipStream_tbDpT10_ENKUlT_T0_E_clISt17integral_constantIbLb0EES1A_IbLb1EEEEDaS16_S17_EUlS16_E_NS1_11comp_targetILNS1_3genE4ELNS1_11target_archE910ELNS1_3gpuE8ELNS1_3repE0EEENS1_30default_config_static_selectorELNS0_4arch9wavefront6targetE1EEEvT1_,comdat
	.protected	_ZN7rocprim17ROCPRIM_400000_NS6detail17trampoline_kernelINS0_14default_configENS1_25partition_config_selectorILNS1_17partition_subalgoE1EtNS0_10empty_typeEbEEZZNS1_14partition_implILS5_1ELb0ES3_jN6thrust23THRUST_200600_302600_NS6detail15normal_iteratorINSA_10device_ptrItEEEEPS6_NSA_18transform_iteratorI7is_evenItESF_NSA_11use_defaultESK_EENS0_5tupleIJNSA_16discard_iteratorISK_EESF_EEENSM_IJSG_SG_EEES6_PlJS6_EEE10hipError_tPvRmT3_T4_T5_T6_T7_T9_mT8_P12ihipStream_tbDpT10_ENKUlT_T0_E_clISt17integral_constantIbLb0EES1A_IbLb1EEEEDaS16_S17_EUlS16_E_NS1_11comp_targetILNS1_3genE4ELNS1_11target_archE910ELNS1_3gpuE8ELNS1_3repE0EEENS1_30default_config_static_selectorELNS0_4arch9wavefront6targetE1EEEvT1_ ; -- Begin function _ZN7rocprim17ROCPRIM_400000_NS6detail17trampoline_kernelINS0_14default_configENS1_25partition_config_selectorILNS1_17partition_subalgoE1EtNS0_10empty_typeEbEEZZNS1_14partition_implILS5_1ELb0ES3_jN6thrust23THRUST_200600_302600_NS6detail15normal_iteratorINSA_10device_ptrItEEEEPS6_NSA_18transform_iteratorI7is_evenItESF_NSA_11use_defaultESK_EENS0_5tupleIJNSA_16discard_iteratorISK_EESF_EEENSM_IJSG_SG_EEES6_PlJS6_EEE10hipError_tPvRmT3_T4_T5_T6_T7_T9_mT8_P12ihipStream_tbDpT10_ENKUlT_T0_E_clISt17integral_constantIbLb0EES1A_IbLb1EEEEDaS16_S17_EUlS16_E_NS1_11comp_targetILNS1_3genE4ELNS1_11target_archE910ELNS1_3gpuE8ELNS1_3repE0EEENS1_30default_config_static_selectorELNS0_4arch9wavefront6targetE1EEEvT1_
	.globl	_ZN7rocprim17ROCPRIM_400000_NS6detail17trampoline_kernelINS0_14default_configENS1_25partition_config_selectorILNS1_17partition_subalgoE1EtNS0_10empty_typeEbEEZZNS1_14partition_implILS5_1ELb0ES3_jN6thrust23THRUST_200600_302600_NS6detail15normal_iteratorINSA_10device_ptrItEEEEPS6_NSA_18transform_iteratorI7is_evenItESF_NSA_11use_defaultESK_EENS0_5tupleIJNSA_16discard_iteratorISK_EESF_EEENSM_IJSG_SG_EEES6_PlJS6_EEE10hipError_tPvRmT3_T4_T5_T6_T7_T9_mT8_P12ihipStream_tbDpT10_ENKUlT_T0_E_clISt17integral_constantIbLb0EES1A_IbLb1EEEEDaS16_S17_EUlS16_E_NS1_11comp_targetILNS1_3genE4ELNS1_11target_archE910ELNS1_3gpuE8ELNS1_3repE0EEENS1_30default_config_static_selectorELNS0_4arch9wavefront6targetE1EEEvT1_
	.p2align	8
	.type	_ZN7rocprim17ROCPRIM_400000_NS6detail17trampoline_kernelINS0_14default_configENS1_25partition_config_selectorILNS1_17partition_subalgoE1EtNS0_10empty_typeEbEEZZNS1_14partition_implILS5_1ELb0ES3_jN6thrust23THRUST_200600_302600_NS6detail15normal_iteratorINSA_10device_ptrItEEEEPS6_NSA_18transform_iteratorI7is_evenItESF_NSA_11use_defaultESK_EENS0_5tupleIJNSA_16discard_iteratorISK_EESF_EEENSM_IJSG_SG_EEES6_PlJS6_EEE10hipError_tPvRmT3_T4_T5_T6_T7_T9_mT8_P12ihipStream_tbDpT10_ENKUlT_T0_E_clISt17integral_constantIbLb0EES1A_IbLb1EEEEDaS16_S17_EUlS16_E_NS1_11comp_targetILNS1_3genE4ELNS1_11target_archE910ELNS1_3gpuE8ELNS1_3repE0EEENS1_30default_config_static_selectorELNS0_4arch9wavefront6targetE1EEEvT1_,@function
_ZN7rocprim17ROCPRIM_400000_NS6detail17trampoline_kernelINS0_14default_configENS1_25partition_config_selectorILNS1_17partition_subalgoE1EtNS0_10empty_typeEbEEZZNS1_14partition_implILS5_1ELb0ES3_jN6thrust23THRUST_200600_302600_NS6detail15normal_iteratorINSA_10device_ptrItEEEEPS6_NSA_18transform_iteratorI7is_evenItESF_NSA_11use_defaultESK_EENS0_5tupleIJNSA_16discard_iteratorISK_EESF_EEENSM_IJSG_SG_EEES6_PlJS6_EEE10hipError_tPvRmT3_T4_T5_T6_T7_T9_mT8_P12ihipStream_tbDpT10_ENKUlT_T0_E_clISt17integral_constantIbLb0EES1A_IbLb1EEEEDaS16_S17_EUlS16_E_NS1_11comp_targetILNS1_3genE4ELNS1_11target_archE910ELNS1_3gpuE8ELNS1_3repE0EEENS1_30default_config_static_selectorELNS0_4arch9wavefront6targetE1EEEvT1_: ; @_ZN7rocprim17ROCPRIM_400000_NS6detail17trampoline_kernelINS0_14default_configENS1_25partition_config_selectorILNS1_17partition_subalgoE1EtNS0_10empty_typeEbEEZZNS1_14partition_implILS5_1ELb0ES3_jN6thrust23THRUST_200600_302600_NS6detail15normal_iteratorINSA_10device_ptrItEEEEPS6_NSA_18transform_iteratorI7is_evenItESF_NSA_11use_defaultESK_EENS0_5tupleIJNSA_16discard_iteratorISK_EESF_EEENSM_IJSG_SG_EEES6_PlJS6_EEE10hipError_tPvRmT3_T4_T5_T6_T7_T9_mT8_P12ihipStream_tbDpT10_ENKUlT_T0_E_clISt17integral_constantIbLb0EES1A_IbLb1EEEEDaS16_S17_EUlS16_E_NS1_11comp_targetILNS1_3genE4ELNS1_11target_archE910ELNS1_3gpuE8ELNS1_3repE0EEENS1_30default_config_static_selectorELNS0_4arch9wavefront6targetE1EEEvT1_
; %bb.0:
	s_load_dwordx2 s[6:7], s[4:5], 0x20
	s_load_dwordx2 s[24:25], s[4:5], 0x40
	s_load_dwordx2 s[2:3], s[4:5], 0x68
	s_load_dwordx4 s[20:23], s[4:5], 0x58
	s_load_dwordx2 s[28:29], s[4:5], 0x78
	v_cmp_eq_u32_e64 s[0:1], 0, v0
	s_and_saveexec_b64 s[8:9], s[0:1]
	s_cbranch_execz .LBB3157_4
; %bb.1:
	s_mov_b64 s[12:13], exec
	v_mbcnt_lo_u32_b32 v1, s12, 0
	v_mbcnt_hi_u32_b32 v1, s13, v1
	v_cmp_eq_u32_e32 vcc, 0, v1
                                        ; implicit-def: $vgpr2
	s_and_saveexec_b64 s[10:11], vcc
	s_cbranch_execz .LBB3157_3
; %bb.2:
	s_load_dwordx2 s[14:15], s[4:5], 0x88
	s_bcnt1_i32_b64 s12, s[12:13]
	v_mov_b32_e32 v2, 0
	v_mov_b32_e32 v3, s12
	s_waitcnt lgkmcnt(0)
	global_atomic_add v2, v2, v3, s[14:15] glc
.LBB3157_3:
	s_or_b64 exec, exec, s[10:11]
	s_waitcnt vmcnt(0)
	v_readfirstlane_b32 s10, v2
	v_add_u32_e32 v1, s10, v1
	v_mov_b32_e32 v2, 0
	ds_write_b32 v2, v1
.LBB3157_4:
	s_or_b64 exec, exec, s[8:9]
	v_mov_b32_e32 v3, 0
	s_load_dwordx4 s[16:19], s[4:5], 0x8
	s_load_dword s8, s[4:5], 0x80
	s_waitcnt lgkmcnt(0)
	s_barrier
	ds_read_b32 v1, v3
	s_waitcnt lgkmcnt(0)
	s_barrier
	global_load_dwordx2 v[10:11], v3, s[22:23]
	v_mov_b32_e32 v5, s3
	s_lshl_b64 s[4:5], s[18:19], 1
	s_movk_i32 s3, 0x1400
	s_add_u32 s9, s16, s4
	v_mul_lo_u32 v2, v1, s3
	s_mul_i32 s3, s8, 0x1400
	s_addc_u32 s10, s17, s5
	s_add_i32 s11, s8, -1
	s_add_i32 s8, s3, s18
	s_sub_i32 s33, s2, s8
	s_addk_i32 s33, 0x1400
	v_mov_b32_e32 v4, s2
	s_add_u32 s2, s18, s3
	v_readfirstlane_b32 s38, v1
	s_addc_u32 s3, s19, 0
	s_cmp_eq_u32 s38, s11
	s_cselect_b64 s[22:23], -1, 0
	s_cmp_lg_u32 s38, s11
	v_cmp_lt_u64_e32 vcc, s[2:3], v[4:5]
	s_cselect_b64 s[2:3], -1, 0
	v_lshlrev_b64 v[12:13], 1, v[2:3]
	s_or_b64 s[26:27], vcc, s[2:3]
	v_mov_b32_e32 v2, s10
	v_add_co_u32_e32 v1, vcc, s9, v12
	v_addc_co_u32_e32 v2, vcc, v2, v13, vcc
	s_mov_b64 s[2:3], -1
	s_and_b64 vcc, exec, s[26:27]
	v_lshlrev_b32_e32 v30, 1, v0
	s_cbranch_vccz .LBB3157_6
; %bb.5:
	v_add_co_u32_e32 v4, vcc, v1, v30
	v_addc_co_u32_e32 v5, vcc, 0, v2, vcc
	v_add_co_u32_e32 v6, vcc, 0x1000, v4
	v_addc_co_u32_e32 v7, vcc, 0, v5, vcc
	flat_load_ushort v3, v[4:5]
	flat_load_ushort v8, v[4:5] offset:512
	flat_load_ushort v9, v[4:5] offset:1024
	;; [unrolled: 1-line block ×7, first 2 shown]
	v_add_co_u32_e32 v4, vcc, 0x2000, v4
	v_addc_co_u32_e32 v5, vcc, 0, v5, vcc
	flat_load_ushort v19, v[6:7]
	flat_load_ushort v20, v[6:7] offset:512
	flat_load_ushort v21, v[6:7] offset:1024
	;; [unrolled: 1-line block ×7, first 2 shown]
	s_nop 0
	flat_load_ushort v6, v[4:5]
	flat_load_ushort v7, v[4:5] offset:512
	flat_load_ushort v27, v[4:5] offset:1024
	;; [unrolled: 1-line block ×3, first 2 shown]
	s_mov_b64 s[2:3], 0
	s_waitcnt vmcnt(0) lgkmcnt(0)
	ds_write_b16 v30, v3
	ds_write_b16 v30, v8 offset:512
	ds_write_b16 v30, v9 offset:1024
	;; [unrolled: 1-line block ×19, first 2 shown]
	s_waitcnt lgkmcnt(0)
	s_barrier
.LBB3157_6:
	s_andn2_b64 vcc, exec, s[2:3]
	v_cmp_gt_u32_e64 s[2:3], s33, v0
	s_cbranch_vccnz .LBB3157_48
; %bb.7:
                                        ; implicit-def: $vgpr3
	s_and_saveexec_b64 s[8:9], s[2:3]
	s_cbranch_execz .LBB3157_9
; %bb.8:
	v_add_co_u32_e32 v4, vcc, v1, v30
	v_addc_co_u32_e32 v5, vcc, 0, v2, vcc
	flat_load_ushort v3, v[4:5]
.LBB3157_9:
	s_or_b64 exec, exec, s[8:9]
	v_or_b32_e32 v4, 0x100, v0
	v_cmp_gt_u32_e32 vcc, s33, v4
                                        ; implicit-def: $vgpr4
	s_and_saveexec_b64 s[2:3], vcc
	s_cbranch_execz .LBB3157_11
; %bb.10:
	v_add_co_u32_e32 v4, vcc, v1, v30
	v_addc_co_u32_e32 v5, vcc, 0, v2, vcc
	flat_load_ushort v4, v[4:5] offset:512
.LBB3157_11:
	s_or_b64 exec, exec, s[2:3]
	v_or_b32_e32 v5, 0x200, v0
	v_cmp_gt_u32_e32 vcc, s33, v5
                                        ; implicit-def: $vgpr5
	s_and_saveexec_b64 s[2:3], vcc
	s_cbranch_execz .LBB3157_13
; %bb.12:
	v_add_co_u32_e32 v6, vcc, v1, v30
	v_addc_co_u32_e32 v7, vcc, 0, v2, vcc
	flat_load_ushort v5, v[6:7] offset:1024
.LBB3157_13:
	s_or_b64 exec, exec, s[2:3]
	v_or_b32_e32 v6, 0x300, v0
	v_cmp_gt_u32_e32 vcc, s33, v6
                                        ; implicit-def: $vgpr6
	s_and_saveexec_b64 s[2:3], vcc
	s_cbranch_execz .LBB3157_15
; %bb.14:
	v_add_co_u32_e32 v6, vcc, v1, v30
	v_addc_co_u32_e32 v7, vcc, 0, v2, vcc
	flat_load_ushort v6, v[6:7] offset:1536
.LBB3157_15:
	s_or_b64 exec, exec, s[2:3]
	v_or_b32_e32 v7, 0x400, v0
	v_cmp_gt_u32_e32 vcc, s33, v7
                                        ; implicit-def: $vgpr7
	s_and_saveexec_b64 s[2:3], vcc
	s_cbranch_execz .LBB3157_17
; %bb.16:
	v_add_co_u32_e32 v8, vcc, v1, v30
	v_addc_co_u32_e32 v9, vcc, 0, v2, vcc
	flat_load_ushort v7, v[8:9] offset:2048
.LBB3157_17:
	s_or_b64 exec, exec, s[2:3]
	v_or_b32_e32 v8, 0x500, v0
	v_cmp_gt_u32_e32 vcc, s33, v8
                                        ; implicit-def: $vgpr8
	s_and_saveexec_b64 s[2:3], vcc
	s_cbranch_execz .LBB3157_19
; %bb.18:
	v_add_co_u32_e32 v8, vcc, v1, v30
	v_addc_co_u32_e32 v9, vcc, 0, v2, vcc
	flat_load_ushort v8, v[8:9] offset:2560
.LBB3157_19:
	s_or_b64 exec, exec, s[2:3]
	v_or_b32_e32 v9, 0x600, v0
	v_cmp_gt_u32_e32 vcc, s33, v9
                                        ; implicit-def: $vgpr9
	s_and_saveexec_b64 s[2:3], vcc
	s_cbranch_execz .LBB3157_21
; %bb.20:
	v_add_co_u32_e32 v14, vcc, v1, v30
	v_addc_co_u32_e32 v15, vcc, 0, v2, vcc
	flat_load_ushort v9, v[14:15] offset:3072
.LBB3157_21:
	s_or_b64 exec, exec, s[2:3]
	v_or_b32_e32 v14, 0x700, v0
	v_cmp_gt_u32_e32 vcc, s33, v14
                                        ; implicit-def: $vgpr14
	s_and_saveexec_b64 s[2:3], vcc
	s_cbranch_execz .LBB3157_23
; %bb.22:
	v_add_co_u32_e32 v14, vcc, v1, v30
	v_addc_co_u32_e32 v15, vcc, 0, v2, vcc
	flat_load_ushort v14, v[14:15] offset:3584
.LBB3157_23:
	s_or_b64 exec, exec, s[2:3]
	v_or_b32_e32 v16, 0x800, v0
	v_cmp_gt_u32_e32 vcc, s33, v16
                                        ; implicit-def: $vgpr15
	s_and_saveexec_b64 s[2:3], vcc
	s_cbranch_execz .LBB3157_25
; %bb.24:
	v_lshlrev_b32_e32 v15, 1, v16
	v_add_co_u32_e32 v16, vcc, v1, v15
	v_addc_co_u32_e32 v17, vcc, 0, v2, vcc
	flat_load_ushort v15, v[16:17]
.LBB3157_25:
	s_or_b64 exec, exec, s[2:3]
	v_or_b32_e32 v17, 0x900, v0
	v_cmp_gt_u32_e32 vcc, s33, v17
                                        ; implicit-def: $vgpr16
	s_and_saveexec_b64 s[2:3], vcc
	s_cbranch_execz .LBB3157_27
; %bb.26:
	v_lshlrev_b32_e32 v16, 1, v17
	v_add_co_u32_e32 v16, vcc, v1, v16
	v_addc_co_u32_e32 v17, vcc, 0, v2, vcc
	flat_load_ushort v16, v[16:17]
.LBB3157_27:
	s_or_b64 exec, exec, s[2:3]
	v_or_b32_e32 v18, 0xa00, v0
	v_cmp_gt_u32_e32 vcc, s33, v18
                                        ; implicit-def: $vgpr17
	s_and_saveexec_b64 s[2:3], vcc
	s_cbranch_execz .LBB3157_29
; %bb.28:
	v_lshlrev_b32_e32 v17, 1, v18
	v_add_co_u32_e32 v18, vcc, v1, v17
	v_addc_co_u32_e32 v19, vcc, 0, v2, vcc
	flat_load_ushort v17, v[18:19]
.LBB3157_29:
	s_or_b64 exec, exec, s[2:3]
	v_or_b32_e32 v19, 0xb00, v0
	v_cmp_gt_u32_e32 vcc, s33, v19
                                        ; implicit-def: $vgpr18
	s_and_saveexec_b64 s[2:3], vcc
	s_cbranch_execz .LBB3157_31
; %bb.30:
	v_lshlrev_b32_e32 v18, 1, v19
	v_add_co_u32_e32 v18, vcc, v1, v18
	v_addc_co_u32_e32 v19, vcc, 0, v2, vcc
	flat_load_ushort v18, v[18:19]
.LBB3157_31:
	s_or_b64 exec, exec, s[2:3]
	v_or_b32_e32 v20, 0xc00, v0
	v_cmp_gt_u32_e32 vcc, s33, v20
                                        ; implicit-def: $vgpr19
	s_and_saveexec_b64 s[2:3], vcc
	s_cbranch_execz .LBB3157_33
; %bb.32:
	v_lshlrev_b32_e32 v19, 1, v20
	v_add_co_u32_e32 v20, vcc, v1, v19
	v_addc_co_u32_e32 v21, vcc, 0, v2, vcc
	flat_load_ushort v19, v[20:21]
.LBB3157_33:
	s_or_b64 exec, exec, s[2:3]
	v_or_b32_e32 v21, 0xd00, v0
	v_cmp_gt_u32_e32 vcc, s33, v21
                                        ; implicit-def: $vgpr20
	s_and_saveexec_b64 s[2:3], vcc
	s_cbranch_execz .LBB3157_35
; %bb.34:
	v_lshlrev_b32_e32 v20, 1, v21
	v_add_co_u32_e32 v20, vcc, v1, v20
	v_addc_co_u32_e32 v21, vcc, 0, v2, vcc
	flat_load_ushort v20, v[20:21]
.LBB3157_35:
	s_or_b64 exec, exec, s[2:3]
	v_or_b32_e32 v22, 0xe00, v0
	v_cmp_gt_u32_e32 vcc, s33, v22
                                        ; implicit-def: $vgpr21
	s_and_saveexec_b64 s[2:3], vcc
	s_cbranch_execz .LBB3157_37
; %bb.36:
	v_lshlrev_b32_e32 v21, 1, v22
	v_add_co_u32_e32 v22, vcc, v1, v21
	v_addc_co_u32_e32 v23, vcc, 0, v2, vcc
	flat_load_ushort v21, v[22:23]
.LBB3157_37:
	s_or_b64 exec, exec, s[2:3]
	v_or_b32_e32 v23, 0xf00, v0
	v_cmp_gt_u32_e32 vcc, s33, v23
                                        ; implicit-def: $vgpr22
	s_and_saveexec_b64 s[2:3], vcc
	s_cbranch_execz .LBB3157_39
; %bb.38:
	v_lshlrev_b32_e32 v22, 1, v23
	v_add_co_u32_e32 v22, vcc, v1, v22
	v_addc_co_u32_e32 v23, vcc, 0, v2, vcc
	flat_load_ushort v22, v[22:23]
.LBB3157_39:
	s_or_b64 exec, exec, s[2:3]
	v_or_b32_e32 v24, 0x1000, v0
	v_cmp_gt_u32_e32 vcc, s33, v24
                                        ; implicit-def: $vgpr23
	s_and_saveexec_b64 s[2:3], vcc
	s_cbranch_execz .LBB3157_41
; %bb.40:
	v_lshlrev_b32_e32 v23, 1, v24
	v_add_co_u32_e32 v24, vcc, v1, v23
	v_addc_co_u32_e32 v25, vcc, 0, v2, vcc
	flat_load_ushort v23, v[24:25]
.LBB3157_41:
	s_or_b64 exec, exec, s[2:3]
	v_or_b32_e32 v25, 0x1100, v0
	v_cmp_gt_u32_e32 vcc, s33, v25
                                        ; implicit-def: $vgpr24
	s_and_saveexec_b64 s[2:3], vcc
	s_cbranch_execz .LBB3157_43
; %bb.42:
	v_lshlrev_b32_e32 v24, 1, v25
	v_add_co_u32_e32 v24, vcc, v1, v24
	v_addc_co_u32_e32 v25, vcc, 0, v2, vcc
	flat_load_ushort v24, v[24:25]
.LBB3157_43:
	s_or_b64 exec, exec, s[2:3]
	v_or_b32_e32 v26, 0x1200, v0
	v_cmp_gt_u32_e32 vcc, s33, v26
                                        ; implicit-def: $vgpr25
	s_and_saveexec_b64 s[2:3], vcc
	s_cbranch_execz .LBB3157_45
; %bb.44:
	v_lshlrev_b32_e32 v25, 1, v26
	v_add_co_u32_e32 v26, vcc, v1, v25
	v_addc_co_u32_e32 v27, vcc, 0, v2, vcc
	flat_load_ushort v25, v[26:27]
.LBB3157_45:
	s_or_b64 exec, exec, s[2:3]
	v_or_b32_e32 v27, 0x1300, v0
	v_cmp_gt_u32_e32 vcc, s33, v27
                                        ; implicit-def: $vgpr26
	s_and_saveexec_b64 s[2:3], vcc
	s_cbranch_execz .LBB3157_47
; %bb.46:
	v_lshlrev_b32_e32 v26, 1, v27
	v_add_co_u32_e32 v26, vcc, v1, v26
	v_addc_co_u32_e32 v27, vcc, 0, v2, vcc
	flat_load_ushort v26, v[26:27]
.LBB3157_47:
	s_or_b64 exec, exec, s[2:3]
	s_waitcnt vmcnt(0) lgkmcnt(0)
	ds_write_b16 v30, v3
	ds_write_b16 v30, v4 offset:512
	ds_write_b16 v30, v5 offset:1024
	;; [unrolled: 1-line block ×19, first 2 shown]
	s_waitcnt lgkmcnt(0)
	s_barrier
.LBB3157_48:
	v_mul_u32_u24_e32 v31, 20, v0
	v_lshlrev_b32_e32 v1, 1, v31
	ds_read_b64 v[14:15], v1 offset:32
	ds_read2_b64 v[2:5], v1 offset0:2 offset1:3
	ds_read2_b64 v[6:9], v1 offset1:1
	s_add_u32 s2, s6, s4
	s_addc_u32 s3, s7, s5
	v_mov_b32_e32 v1, s3
	v_add_co_u32_e32 v16, vcc, s2, v12
	v_addc_co_u32_e32 v1, vcc, v1, v13, vcc
	s_mov_b64 s[2:3], -1
	s_and_b64 vcc, exec, s[26:27]
	s_waitcnt lgkmcnt(0)
	s_barrier
	s_cbranch_vccz .LBB3157_50
; %bb.49:
	v_add_co_u32_e32 v17, vcc, v16, v30
	v_readfirstlane_b32 s2, v16
	v_readfirstlane_b32 s3, v1
	v_addc_co_u32_e32 v21, vcc, 0, v1, vcc
	s_nop 3
	global_load_ubyte v22, v30, s[2:3]
	global_load_ubyte v23, v30, s[2:3] offset:512
	global_load_ubyte v24, v30, s[2:3] offset:1024
	;; [unrolled: 1-line block ×7, first 2 shown]
	s_movk_i32 s2, 0x1000
	v_add_co_u32_e32 v18, vcc, s2, v17
	v_addc_co_u32_e32 v19, vcc, 0, v21, vcc
	s_movk_i32 s2, 0x2000
	v_add_co_u32_e32 v20, vcc, s2, v17
	v_addc_co_u32_e32 v21, vcc, 0, v21, vcc
	global_load_ubyte v17, v[20:21], off offset:-4096
	global_load_ubyte v32, v[18:19], off offset:512
	global_load_ubyte v33, v[18:19], off offset:1024
	;; [unrolled: 1-line block ×7, first 2 shown]
	global_load_ubyte v39, v[20:21], off
	global_load_ubyte v40, v[20:21], off offset:512
	global_load_ubyte v41, v[20:21], off offset:1024
	;; [unrolled: 1-line block ×3, first 2 shown]
	s_mov_b64 s[2:3], 0
	s_waitcnt vmcnt(19)
	v_xor_b32_e32 v18, -1, v22
	s_waitcnt vmcnt(18)
	v_xor_b32_e32 v19, -1, v23
	;; [unrolled: 2-line block ×8, first 2 shown]
	v_and_b32_e32 v18, 1, v18
	s_waitcnt vmcnt(11)
	v_xor_b32_e32 v17, -1, v17
	s_waitcnt vmcnt(10)
	v_xor_b32_e32 v26, -1, v32
	;; [unrolled: 2-line block ×12, first 2 shown]
	v_and_b32_e32 v19, 1, v19
	v_and_b32_e32 v20, 1, v20
	;; [unrolled: 1-line block ×19, first 2 shown]
	ds_write_b8 v0, v18
	ds_write_b8 v0, v19 offset:256
	ds_write_b8 v0, v20 offset:512
	;; [unrolled: 1-line block ×19, first 2 shown]
	s_waitcnt lgkmcnt(0)
	s_barrier
.LBB3157_50:
	s_andn2_b64 vcc, exec, s[2:3]
	s_cbranch_vccnz .LBB3157_92
; %bb.51:
	v_cmp_gt_u32_e32 vcc, s33, v0
	v_mov_b32_e32 v17, 0
	v_mov_b32_e32 v18, 0
	s_and_saveexec_b64 s[2:3], vcc
	s_cbranch_execz .LBB3157_53
; %bb.52:
	v_readfirstlane_b32 s4, v16
	v_readfirstlane_b32 s5, v1
	s_nop 4
	global_load_ubyte v18, v30, s[4:5]
	s_waitcnt vmcnt(0)
	v_xor_b32_e32 v18, -1, v18
	v_and_b32_e32 v18, 1, v18
.LBB3157_53:
	s_or_b64 exec, exec, s[2:3]
	v_or_b32_e32 v19, 0x100, v0
	v_cmp_gt_u32_e32 vcc, s33, v19
	s_and_saveexec_b64 s[2:3], vcc
	s_cbranch_execz .LBB3157_55
; %bb.54:
	v_readfirstlane_b32 s4, v16
	v_readfirstlane_b32 s5, v1
	s_nop 4
	global_load_ubyte v17, v30, s[4:5] offset:512
	s_waitcnt vmcnt(0)
	v_xor_b32_e32 v17, -1, v17
	v_and_b32_e32 v17, 1, v17
.LBB3157_55:
	s_or_b64 exec, exec, s[2:3]
	v_or_b32_e32 v19, 0x200, v0
	v_cmp_gt_u32_e32 vcc, s33, v19
	v_mov_b32_e32 v19, 0
	v_mov_b32_e32 v20, 0
	s_and_saveexec_b64 s[2:3], vcc
	s_cbranch_execz .LBB3157_57
; %bb.56:
	v_readfirstlane_b32 s4, v16
	v_readfirstlane_b32 s5, v1
	s_nop 4
	global_load_ubyte v20, v30, s[4:5] offset:1024
	s_waitcnt vmcnt(0)
	v_xor_b32_e32 v20, -1, v20
	v_and_b32_e32 v20, 1, v20
.LBB3157_57:
	s_or_b64 exec, exec, s[2:3]
	v_or_b32_e32 v21, 0x300, v0
	v_cmp_gt_u32_e32 vcc, s33, v21
	s_and_saveexec_b64 s[2:3], vcc
	s_cbranch_execz .LBB3157_59
; %bb.58:
	v_readfirstlane_b32 s4, v16
	v_readfirstlane_b32 s5, v1
	s_nop 4
	global_load_ubyte v19, v30, s[4:5] offset:1536
	s_waitcnt vmcnt(0)
	v_xor_b32_e32 v19, -1, v19
	v_and_b32_e32 v19, 1, v19
.LBB3157_59:
	s_or_b64 exec, exec, s[2:3]
	v_or_b32_e32 v21, 0x400, v0
	v_cmp_gt_u32_e32 vcc, s33, v21
	v_mov_b32_e32 v21, 0
	v_mov_b32_e32 v22, 0
	s_and_saveexec_b64 s[2:3], vcc
	s_cbranch_execz .LBB3157_61
; %bb.60:
	v_readfirstlane_b32 s4, v16
	v_readfirstlane_b32 s5, v1
	s_nop 4
	global_load_ubyte v22, v30, s[4:5] offset:2048
	s_waitcnt vmcnt(0)
	v_xor_b32_e32 v22, -1, v22
	v_and_b32_e32 v22, 1, v22
.LBB3157_61:
	;; [unrolled: 30-line block ×3, first 2 shown]
	s_or_b64 exec, exec, s[2:3]
	v_or_b32_e32 v25, 0x700, v0
	v_cmp_gt_u32_e32 vcc, s33, v25
	s_and_saveexec_b64 s[2:3], vcc
	s_cbranch_execz .LBB3157_67
; %bb.66:
	v_readfirstlane_b32 s4, v16
	v_readfirstlane_b32 s5, v1
	s_nop 4
	global_load_ubyte v23, v30, s[4:5] offset:3584
	s_waitcnt vmcnt(0)
	v_xor_b32_e32 v23, -1, v23
	v_and_b32_e32 v23, 1, v23
.LBB3157_67:
	s_or_b64 exec, exec, s[2:3]
	v_or_b32_e32 v27, 0x800, v0
	v_cmp_gt_u32_e32 vcc, s33, v27
	v_mov_b32_e32 v25, 0
	v_mov_b32_e32 v26, 0
	s_and_saveexec_b64 s[2:3], vcc
	s_cbranch_execz .LBB3157_69
; %bb.68:
	v_lshlrev_b32_e32 v26, 1, v27
	v_readfirstlane_b32 s4, v16
	v_readfirstlane_b32 s5, v1
	s_nop 4
	global_load_ubyte v26, v26, s[4:5]
	s_waitcnt vmcnt(0)
	v_xor_b32_e32 v26, -1, v26
	v_and_b32_e32 v26, 1, v26
.LBB3157_69:
	s_or_b64 exec, exec, s[2:3]
	v_or_b32_e32 v27, 0x900, v0
	v_cmp_gt_u32_e32 vcc, s33, v27
	s_and_saveexec_b64 s[2:3], vcc
	s_cbranch_execz .LBB3157_71
; %bb.70:
	v_lshlrev_b32_e32 v25, 1, v27
	v_readfirstlane_b32 s4, v16
	v_readfirstlane_b32 s5, v1
	s_nop 4
	global_load_ubyte v25, v25, s[4:5]
	s_waitcnt vmcnt(0)
	v_xor_b32_e32 v25, -1, v25
	v_and_b32_e32 v25, 1, v25
.LBB3157_71:
	s_or_b64 exec, exec, s[2:3]
	v_or_b32_e32 v29, 0xa00, v0
	v_cmp_gt_u32_e32 vcc, s33, v29
	v_mov_b32_e32 v27, 0
	v_mov_b32_e32 v28, 0
	s_and_saveexec_b64 s[2:3], vcc
	s_cbranch_execz .LBB3157_73
; %bb.72:
	v_lshlrev_b32_e32 v28, 1, v29
	v_readfirstlane_b32 s4, v16
	v_readfirstlane_b32 s5, v1
	s_nop 4
	global_load_ubyte v28, v28, s[4:5]
	s_waitcnt vmcnt(0)
	v_xor_b32_e32 v28, -1, v28
	v_and_b32_e32 v28, 1, v28
.LBB3157_73:
	s_or_b64 exec, exec, s[2:3]
	v_or_b32_e32 v29, 0xb00, v0
	v_cmp_gt_u32_e32 vcc, s33, v29
	s_and_saveexec_b64 s[2:3], vcc
	s_cbranch_execz .LBB3157_75
; %bb.74:
	v_lshlrev_b32_e32 v27, 1, v29
	v_readfirstlane_b32 s4, v16
	v_readfirstlane_b32 s5, v1
	s_nop 4
	global_load_ubyte v27, v27, s[4:5]
	s_waitcnt vmcnt(0)
	v_xor_b32_e32 v27, -1, v27
	v_and_b32_e32 v27, 1, v27
.LBB3157_75:
	s_or_b64 exec, exec, s[2:3]
	v_or_b32_e32 v33, 0xc00, v0
	v_cmp_gt_u32_e32 vcc, s33, v33
	v_mov_b32_e32 v29, 0
	v_mov_b32_e32 v32, 0
	s_and_saveexec_b64 s[2:3], vcc
	s_cbranch_execz .LBB3157_77
; %bb.76:
	v_lshlrev_b32_e32 v32, 1, v33
	v_readfirstlane_b32 s4, v16
	v_readfirstlane_b32 s5, v1
	s_nop 4
	global_load_ubyte v32, v32, s[4:5]
	s_waitcnt vmcnt(0)
	v_xor_b32_e32 v32, -1, v32
	v_and_b32_e32 v32, 1, v32
.LBB3157_77:
	s_or_b64 exec, exec, s[2:3]
	v_or_b32_e32 v33, 0xd00, v0
	v_cmp_gt_u32_e32 vcc, s33, v33
	s_and_saveexec_b64 s[2:3], vcc
	s_cbranch_execz .LBB3157_79
; %bb.78:
	v_lshlrev_b32_e32 v29, 1, v33
	v_readfirstlane_b32 s4, v16
	v_readfirstlane_b32 s5, v1
	s_nop 4
	global_load_ubyte v29, v29, s[4:5]
	s_waitcnt vmcnt(0)
	v_xor_b32_e32 v29, -1, v29
	v_and_b32_e32 v29, 1, v29
.LBB3157_79:
	s_or_b64 exec, exec, s[2:3]
	v_or_b32_e32 v35, 0xe00, v0
	v_cmp_gt_u32_e32 vcc, s33, v35
	v_mov_b32_e32 v33, 0
	v_mov_b32_e32 v34, 0
	s_and_saveexec_b64 s[2:3], vcc
	s_cbranch_execz .LBB3157_81
; %bb.80:
	v_lshlrev_b32_e32 v34, 1, v35
	v_readfirstlane_b32 s4, v16
	v_readfirstlane_b32 s5, v1
	s_nop 4
	global_load_ubyte v34, v34, s[4:5]
	s_waitcnt vmcnt(0)
	v_xor_b32_e32 v34, -1, v34
	v_and_b32_e32 v34, 1, v34
.LBB3157_81:
	s_or_b64 exec, exec, s[2:3]
	v_or_b32_e32 v35, 0xf00, v0
	v_cmp_gt_u32_e32 vcc, s33, v35
	s_and_saveexec_b64 s[2:3], vcc
	s_cbranch_execz .LBB3157_83
; %bb.82:
	v_lshlrev_b32_e32 v33, 1, v35
	v_readfirstlane_b32 s4, v16
	v_readfirstlane_b32 s5, v1
	s_nop 4
	global_load_ubyte v33, v33, s[4:5]
	s_waitcnt vmcnt(0)
	v_xor_b32_e32 v33, -1, v33
	v_and_b32_e32 v33, 1, v33
.LBB3157_83:
	s_or_b64 exec, exec, s[2:3]
	v_or_b32_e32 v37, 0x1000, v0
	v_cmp_gt_u32_e32 vcc, s33, v37
	v_mov_b32_e32 v35, 0
	v_mov_b32_e32 v36, 0
	s_and_saveexec_b64 s[2:3], vcc
	s_cbranch_execz .LBB3157_85
; %bb.84:
	v_lshlrev_b32_e32 v36, 1, v37
	v_readfirstlane_b32 s4, v16
	v_readfirstlane_b32 s5, v1
	s_nop 4
	global_load_ubyte v36, v36, s[4:5]
	s_waitcnt vmcnt(0)
	v_xor_b32_e32 v36, -1, v36
	v_and_b32_e32 v36, 1, v36
.LBB3157_85:
	s_or_b64 exec, exec, s[2:3]
	v_or_b32_e32 v37, 0x1100, v0
	v_cmp_gt_u32_e32 vcc, s33, v37
	s_and_saveexec_b64 s[2:3], vcc
	s_cbranch_execz .LBB3157_87
; %bb.86:
	v_lshlrev_b32_e32 v35, 1, v37
	v_readfirstlane_b32 s4, v16
	v_readfirstlane_b32 s5, v1
	s_nop 4
	global_load_ubyte v35, v35, s[4:5]
	s_waitcnt vmcnt(0)
	v_xor_b32_e32 v35, -1, v35
	v_and_b32_e32 v35, 1, v35
.LBB3157_87:
	s_or_b64 exec, exec, s[2:3]
	v_or_b32_e32 v39, 0x1200, v0
	v_cmp_gt_u32_e32 vcc, s33, v39
	v_mov_b32_e32 v37, 0
	v_mov_b32_e32 v38, 0
	s_and_saveexec_b64 s[2:3], vcc
	s_cbranch_execz .LBB3157_89
; %bb.88:
	v_lshlrev_b32_e32 v38, 1, v39
	v_readfirstlane_b32 s4, v16
	v_readfirstlane_b32 s5, v1
	s_nop 4
	global_load_ubyte v38, v38, s[4:5]
	s_waitcnt vmcnt(0)
	v_xor_b32_e32 v38, -1, v38
	v_and_b32_e32 v38, 1, v38
.LBB3157_89:
	s_or_b64 exec, exec, s[2:3]
	v_or_b32_e32 v39, 0x1300, v0
	v_cmp_gt_u32_e32 vcc, s33, v39
	s_and_saveexec_b64 s[2:3], vcc
	s_cbranch_execz .LBB3157_91
; %bb.90:
	v_lshlrev_b32_e32 v37, 1, v39
	v_readfirstlane_b32 s4, v16
	v_readfirstlane_b32 s5, v1
	s_nop 4
	global_load_ubyte v1, v37, s[4:5]
	s_waitcnt vmcnt(0)
	v_xor_b32_e32 v1, -1, v1
	v_and_b32_e32 v37, 1, v1
.LBB3157_91:
	s_or_b64 exec, exec, s[2:3]
	ds_write_b8 v0, v18
	ds_write_b8 v0, v17 offset:256
	ds_write_b8 v0, v20 offset:512
	;; [unrolled: 1-line block ×19, first 2 shown]
	s_waitcnt lgkmcnt(0)
	s_barrier
.LBB3157_92:
	ds_read2_b32 v[20:21], v31 offset1:1
	ds_read2_b32 v[18:19], v31 offset0:2 offset1:3
	ds_read_b32 v32, v31 offset:16
	s_cmp_lg_u32 s38, 0
	v_lshrrev_b32_e32 v51, 6, v0
	s_waitcnt lgkmcnt(2)
	v_lshrrev_b32_e32 v37, 24, v20
	v_bfe_u32 v49, v20, 16, 8
	v_add_u32_sdwa v16, v20, v20 dst_sel:DWORD dst_unused:UNUSED_PAD src0_sel:BYTE_1 src1_sel:BYTE_0
	v_and_b32_e32 v46, 0xff, v21
	v_bfe_u32 v47, v21, 8, 8
	v_add3_u32 v16, v16, v49, v37
	v_lshrrev_b32_e32 v36, 24, v21
	v_bfe_u32 v48, v21, 16, 8
	v_add3_u32 v16, v16, v46, v47
	s_waitcnt lgkmcnt(1)
	v_and_b32_e32 v43, 0xff, v18
	v_bfe_u32 v44, v18, 8, 8
	v_add3_u32 v16, v16, v48, v36
	v_lshrrev_b32_e32 v35, 24, v18
	v_bfe_u32 v45, v18, 16, 8
	v_add3_u32 v16, v16, v43, v44
	v_and_b32_e32 v40, 0xff, v19
	v_bfe_u32 v41, v19, 8, 8
	v_add3_u32 v16, v16, v45, v35
	v_lshrrev_b32_e32 v34, 24, v19
	v_bfe_u32 v42, v19, 16, 8
	v_add3_u32 v16, v16, v40, v41
	s_waitcnt lgkmcnt(0)
	v_and_b32_e32 v38, 0xff, v32
	v_bfe_u32 v39, v32, 8, 8
	v_add3_u32 v16, v16, v42, v34
	v_lshrrev_b32_e32 v1, 24, v32
	v_bfe_u32 v33, v32, 16, 8
	v_add3_u32 v16, v16, v38, v39
	v_add3_u32 v52, v16, v33, v1
	v_mbcnt_lo_u32_b32 v16, -1, 0
	v_mbcnt_hi_u32_b32 v50, -1, v16
	v_and_b32_e32 v16, 15, v50
	v_cmp_eq_u32_e64 s[14:15], 0, v16
	v_cmp_lt_u32_e64 s[12:13], 1, v16
	v_cmp_lt_u32_e64 s[10:11], 3, v16
	;; [unrolled: 1-line block ×3, first 2 shown]
	v_and_b32_e32 v16, 16, v50
	v_cmp_eq_u32_e64 s[6:7], 0, v16
	v_or_b32_e32 v16, 63, v0
	v_cmp_lt_u32_e64 s[2:3], 31, v50
	v_cmp_eq_u32_e64 s[4:5], v16, v0
	s_barrier
	s_cbranch_scc0 .LBB3157_119
; %bb.93:
	v_mov_b32_dpp v16, v52 row_shr:1 row_mask:0xf bank_mask:0xf
	v_cndmask_b32_e64 v16, v16, 0, s[14:15]
	v_add_u32_e32 v16, v16, v52
	s_nop 1
	v_mov_b32_dpp v17, v16 row_shr:2 row_mask:0xf bank_mask:0xf
	v_cndmask_b32_e64 v17, 0, v17, s[12:13]
	v_add_u32_e32 v16, v16, v17
	s_nop 1
	;; [unrolled: 4-line block ×4, first 2 shown]
	v_mov_b32_dpp v17, v16 row_bcast:15 row_mask:0xf bank_mask:0xf
	v_cndmask_b32_e64 v17, v17, 0, s[6:7]
	v_add_u32_e32 v16, v16, v17
	s_nop 1
	v_mov_b32_dpp v17, v16 row_bcast:31 row_mask:0xf bank_mask:0xf
	v_cndmask_b32_e64 v17, 0, v17, s[2:3]
	v_add_u32_e32 v16, v16, v17
	s_and_saveexec_b64 s[16:17], s[4:5]
	s_cbranch_execz .LBB3157_95
; %bb.94:
	v_lshlrev_b32_e32 v17, 2, v51
	ds_write_b32 v17, v16
.LBB3157_95:
	s_or_b64 exec, exec, s[16:17]
	v_cmp_gt_u32_e32 vcc, 4, v0
	s_waitcnt lgkmcnt(0)
	s_barrier
	s_and_saveexec_b64 s[16:17], vcc
	s_cbranch_execz .LBB3157_97
; %bb.96:
	v_lshlrev_b32_e32 v17, 2, v0
	ds_read_b32 v22, v17
	v_and_b32_e32 v23, 3, v50
	v_cmp_ne_u32_e32 vcc, 0, v23
	s_waitcnt lgkmcnt(0)
	v_mov_b32_dpp v24, v22 row_shr:1 row_mask:0xf bank_mask:0xf
	v_cndmask_b32_e32 v24, 0, v24, vcc
	v_add_u32_e32 v22, v24, v22
	v_cmp_lt_u32_e32 vcc, 1, v23
	s_nop 0
	v_mov_b32_dpp v24, v22 row_shr:2 row_mask:0xf bank_mask:0xf
	v_cndmask_b32_e32 v23, 0, v24, vcc
	v_add_u32_e32 v22, v22, v23
	ds_write_b32 v17, v22
.LBB3157_97:
	s_or_b64 exec, exec, s[16:17]
	v_cmp_gt_u32_e32 vcc, 64, v0
	v_cmp_lt_u32_e64 s[16:17], 63, v0
	s_waitcnt lgkmcnt(0)
	s_barrier
	s_waitcnt lgkmcnt(0)
                                        ; implicit-def: $vgpr53
	s_and_saveexec_b64 s[30:31], s[16:17]
	s_cbranch_execz .LBB3157_99
; %bb.98:
	v_lshl_add_u32 v17, v51, 2, -4
	ds_read_b32 v53, v17
	s_waitcnt lgkmcnt(0)
	v_add_u32_e32 v16, v53, v16
.LBB3157_99:
	s_or_b64 exec, exec, s[30:31]
	v_add_u32_e32 v17, -1, v50
	v_and_b32_e32 v22, 64, v50
	v_cmp_lt_i32_e64 s[16:17], v17, v22
	v_cndmask_b32_e64 v17, v17, v50, s[16:17]
	v_lshlrev_b32_e32 v17, 2, v17
	ds_bpermute_b32 v54, v17, v16
	v_cmp_eq_u32_e64 s[16:17], 0, v50
	s_and_saveexec_b64 s[30:31], vcc
	s_cbranch_execz .LBB3157_118
; %bb.100:
	v_mov_b32_e32 v27, 0
	ds_read_b32 v16, v27 offset:12
	s_and_saveexec_b64 s[34:35], s[16:17]
	s_cbranch_execz .LBB3157_102
; %bb.101:
	s_add_i32 s36, s38, 64
	s_mov_b32 s37, 0
	s_lshl_b64 s[36:37], s[36:37], 3
	s_add_u32 s36, s28, s36
	v_mov_b32_e32 v17, 1
	s_addc_u32 s37, s29, s37
	s_waitcnt lgkmcnt(0)
	global_store_dwordx2 v27, v[16:17], s[36:37]
.LBB3157_102:
	s_or_b64 exec, exec, s[34:35]
	v_xad_u32 v22, v50, -1, s38
	v_add_u32_e32 v26, 64, v22
	v_lshlrev_b64 v[24:25], 3, v[26:27]
	v_mov_b32_e32 v17, s29
	v_add_co_u32_e32 v28, vcc, s28, v24
	v_addc_co_u32_e32 v29, vcc, v17, v25, vcc
	global_load_dwordx2 v[24:25], v[28:29], off glc
	s_waitcnt vmcnt(0)
	v_cmp_eq_u16_sdwa s[36:37], v25, v27 src0_sel:BYTE_0 src1_sel:DWORD
	s_and_saveexec_b64 s[34:35], s[36:37]
	s_cbranch_execz .LBB3157_106
; %bb.103:
	s_mov_b64 s[36:37], 0
	v_mov_b32_e32 v17, 0
.LBB3157_104:                           ; =>This Inner Loop Header: Depth=1
	global_load_dwordx2 v[24:25], v[28:29], off glc
	s_waitcnt vmcnt(0)
	v_cmp_ne_u16_sdwa s[40:41], v25, v17 src0_sel:BYTE_0 src1_sel:DWORD
	s_or_b64 s[36:37], s[40:41], s[36:37]
	s_andn2_b64 exec, exec, s[36:37]
	s_cbranch_execnz .LBB3157_104
; %bb.105:
	s_or_b64 exec, exec, s[36:37]
.LBB3157_106:
	s_or_b64 exec, exec, s[34:35]
	v_and_b32_e32 v56, 63, v50
	v_mov_b32_e32 v55, 2
	v_cmp_ne_u32_e32 vcc, 63, v56
	v_cmp_eq_u16_sdwa s[34:35], v25, v55 src0_sel:BYTE_0 src1_sel:DWORD
	v_lshlrev_b64 v[26:27], v50, -1
	v_addc_co_u32_e32 v28, vcc, 0, v50, vcc
	v_and_b32_e32 v17, s35, v27
	v_lshlrev_b32_e32 v57, 2, v28
	v_or_b32_e32 v17, 0x80000000, v17
	ds_bpermute_b32 v28, v57, v24
	v_and_b32_e32 v23, s34, v26
	v_ffbl_b32_e32 v17, v17
	v_add_u32_e32 v17, 32, v17
	v_ffbl_b32_e32 v23, v23
	v_min_u32_e32 v17, v23, v17
	v_cmp_lt_u32_e32 vcc, v56, v17
	s_waitcnt lgkmcnt(0)
	v_cndmask_b32_e32 v23, 0, v28, vcc
	v_cmp_gt_u32_e32 vcc, 62, v56
	v_add_u32_e32 v23, v23, v24
	v_cndmask_b32_e64 v24, 0, 1, vcc
	v_lshlrev_b32_e32 v24, 1, v24
	v_add_lshl_u32 v58, v24, v50, 2
	ds_bpermute_b32 v24, v58, v23
	v_add_u32_e32 v59, 2, v56
	v_cmp_le_u32_e32 vcc, v59, v17
	v_add_u32_e32 v61, 4, v56
	v_add_u32_e32 v63, 8, v56
	s_waitcnt lgkmcnt(0)
	v_cndmask_b32_e32 v24, 0, v24, vcc
	v_cmp_gt_u32_e32 vcc, 60, v56
	v_add_u32_e32 v23, v23, v24
	v_cndmask_b32_e64 v24, 0, 1, vcc
	v_lshlrev_b32_e32 v24, 2, v24
	v_add_lshl_u32 v60, v24, v50, 2
	ds_bpermute_b32 v24, v60, v23
	v_cmp_le_u32_e32 vcc, v61, v17
	v_add_u32_e32 v65, 16, v56
	v_add_u32_e32 v67, 32, v56
	s_waitcnt lgkmcnt(0)
	v_cndmask_b32_e32 v24, 0, v24, vcc
	v_cmp_gt_u32_e32 vcc, 56, v56
	v_add_u32_e32 v23, v23, v24
	v_cndmask_b32_e64 v24, 0, 1, vcc
	v_lshlrev_b32_e32 v24, 3, v24
	v_add_lshl_u32 v62, v24, v50, 2
	ds_bpermute_b32 v24, v62, v23
	v_cmp_le_u32_e32 vcc, v63, v17
	s_waitcnt lgkmcnt(0)
	v_cndmask_b32_e32 v24, 0, v24, vcc
	v_cmp_gt_u32_e32 vcc, 48, v56
	v_add_u32_e32 v23, v23, v24
	v_cndmask_b32_e64 v24, 0, 1, vcc
	v_lshlrev_b32_e32 v24, 4, v24
	v_add_lshl_u32 v64, v24, v50, 2
	ds_bpermute_b32 v24, v64, v23
	v_cmp_le_u32_e32 vcc, v65, v17
	;; [unrolled: 9-line block ×3, first 2 shown]
	s_waitcnt lgkmcnt(0)
	v_cndmask_b32_e32 v17, 0, v24, vcc
	v_add_u32_e32 v24, v23, v17
	v_mov_b32_e32 v23, 0
	s_branch .LBB3157_108
.LBB3157_107:                           ;   in Loop: Header=BB3157_108 Depth=1
	s_or_b64 exec, exec, s[34:35]
	v_cmp_eq_u16_sdwa s[34:35], v25, v55 src0_sel:BYTE_0 src1_sel:DWORD
	v_and_b32_e32 v28, s35, v27
	v_or_b32_e32 v28, 0x80000000, v28
	ds_bpermute_b32 v68, v57, v24
	v_and_b32_e32 v29, s34, v26
	v_ffbl_b32_e32 v28, v28
	v_add_u32_e32 v28, 32, v28
	v_ffbl_b32_e32 v29, v29
	v_min_u32_e32 v28, v29, v28
	v_cmp_lt_u32_e32 vcc, v56, v28
	s_waitcnt lgkmcnt(0)
	v_cndmask_b32_e32 v29, 0, v68, vcc
	v_add_u32_e32 v24, v29, v24
	ds_bpermute_b32 v29, v58, v24
	v_cmp_le_u32_e32 vcc, v59, v28
	v_subrev_u32_e32 v22, 64, v22
	s_waitcnt lgkmcnt(0)
	v_cndmask_b32_e32 v29, 0, v29, vcc
	v_add_u32_e32 v24, v24, v29
	ds_bpermute_b32 v29, v60, v24
	v_cmp_le_u32_e32 vcc, v61, v28
	s_waitcnt lgkmcnt(0)
	v_cndmask_b32_e32 v29, 0, v29, vcc
	v_add_u32_e32 v24, v24, v29
	ds_bpermute_b32 v29, v62, v24
	v_cmp_le_u32_e32 vcc, v63, v28
	;; [unrolled: 5-line block ×4, first 2 shown]
	s_waitcnt lgkmcnt(0)
	v_cndmask_b32_e32 v28, 0, v29, vcc
	v_add3_u32 v24, v28, v17, v24
.LBB3157_108:                           ; =>This Loop Header: Depth=1
                                        ;     Child Loop BB3157_111 Depth 2
	v_cmp_ne_u16_sdwa s[34:35], v25, v55 src0_sel:BYTE_0 src1_sel:DWORD
	v_cndmask_b32_e64 v17, 0, 1, s[34:35]
	;;#ASMSTART
	;;#ASMEND
	v_cmp_ne_u32_e32 vcc, 0, v17
	s_cmp_lg_u64 vcc, exec
	v_mov_b32_e32 v17, v24
	s_cbranch_scc1 .LBB3157_113
; %bb.109:                              ;   in Loop: Header=BB3157_108 Depth=1
	v_lshlrev_b64 v[24:25], 3, v[22:23]
	v_mov_b32_e32 v29, s29
	v_add_co_u32_e32 v28, vcc, s28, v24
	v_addc_co_u32_e32 v29, vcc, v29, v25, vcc
	global_load_dwordx2 v[24:25], v[28:29], off glc
	s_waitcnt vmcnt(0)
	v_cmp_eq_u16_sdwa s[36:37], v25, v23 src0_sel:BYTE_0 src1_sel:DWORD
	s_and_saveexec_b64 s[34:35], s[36:37]
	s_cbranch_execz .LBB3157_107
; %bb.110:                              ;   in Loop: Header=BB3157_108 Depth=1
	s_mov_b64 s[36:37], 0
.LBB3157_111:                           ;   Parent Loop BB3157_108 Depth=1
                                        ; =>  This Inner Loop Header: Depth=2
	global_load_dwordx2 v[24:25], v[28:29], off glc
	s_waitcnt vmcnt(0)
	v_cmp_ne_u16_sdwa s[40:41], v25, v23 src0_sel:BYTE_0 src1_sel:DWORD
	s_or_b64 s[36:37], s[40:41], s[36:37]
	s_andn2_b64 exec, exec, s[36:37]
	s_cbranch_execnz .LBB3157_111
; %bb.112:                              ;   in Loop: Header=BB3157_108 Depth=1
	s_or_b64 exec, exec, s[36:37]
	s_branch .LBB3157_107
.LBB3157_113:                           ;   in Loop: Header=BB3157_108 Depth=1
                                        ; implicit-def: $vgpr24
                                        ; implicit-def: $vgpr25
	s_cbranch_execz .LBB3157_108
; %bb.114:
	s_and_saveexec_b64 s[34:35], s[16:17]
	s_cbranch_execz .LBB3157_116
; %bb.115:
	s_add_i32 s36, s38, 64
	s_mov_b32 s37, 0
	s_lshl_b64 s[36:37], s[36:37], 3
	s_add_u32 s36, s28, s36
	v_add_u32_e32 v22, v17, v16
	v_mov_b32_e32 v23, 2
	s_addc_u32 s37, s29, s37
	v_mov_b32_e32 v24, 0
	global_store_dwordx2 v24, v[22:23], s[36:37]
	ds_write_b64 v24, v[16:17] offset:10240
.LBB3157_116:
	s_or_b64 exec, exec, s[34:35]
	s_and_b64 exec, exec, s[0:1]
	s_cbranch_execz .LBB3157_118
; %bb.117:
	v_mov_b32_e32 v16, 0
	ds_write_b32 v16, v17 offset:12
.LBB3157_118:
	s_or_b64 exec, exec, s[30:31]
	v_mov_b32_e32 v16, 0
	s_waitcnt lgkmcnt(0)
	s_barrier
	ds_read_b32 v22, v16 offset:12
	s_waitcnt lgkmcnt(0)
	s_barrier
	ds_read_b64 v[16:17], v16 offset:10240
	v_cndmask_b32_e64 v23, v54, v53, s[16:17]
	v_cndmask_b32_e64 v23, v23, 0, s[0:1]
	v_add_u32_e32 v26, v22, v23
	s_branch .LBB3157_129
.LBB3157_119:
                                        ; implicit-def: $vgpr17
                                        ; implicit-def: $vgpr26
	s_cbranch_execz .LBB3157_129
; %bb.120:
	s_waitcnt lgkmcnt(0)
	v_mov_b32_dpp v16, v52 row_shr:1 row_mask:0xf bank_mask:0xf
	v_cndmask_b32_e64 v16, v16, 0, s[14:15]
	v_add_u32_e32 v16, v16, v52
	s_nop 1
	v_mov_b32_dpp v17, v16 row_shr:2 row_mask:0xf bank_mask:0xf
	v_cndmask_b32_e64 v17, 0, v17, s[12:13]
	v_add_u32_e32 v16, v16, v17
	s_nop 1
	;; [unrolled: 4-line block ×4, first 2 shown]
	v_mov_b32_dpp v17, v16 row_bcast:15 row_mask:0xf bank_mask:0xf
	v_cndmask_b32_e64 v17, v17, 0, s[6:7]
	v_add_u32_e32 v16, v16, v17
	s_nop 1
	v_mov_b32_dpp v17, v16 row_bcast:31 row_mask:0xf bank_mask:0xf
	v_cndmask_b32_e64 v17, 0, v17, s[2:3]
	v_add_u32_e32 v16, v16, v17
	s_and_saveexec_b64 s[2:3], s[4:5]
	s_cbranch_execz .LBB3157_122
; %bb.121:
	v_lshlrev_b32_e32 v17, 2, v51
	ds_write_b32 v17, v16
.LBB3157_122:
	s_or_b64 exec, exec, s[2:3]
	v_cmp_gt_u32_e32 vcc, 4, v0
	s_waitcnt lgkmcnt(0)
	s_barrier
	s_and_saveexec_b64 s[2:3], vcc
	s_cbranch_execz .LBB3157_124
; %bb.123:
	v_lshlrev_b32_e32 v17, 2, v0
	ds_read_b32 v22, v17
	v_and_b32_e32 v23, 3, v50
	v_cmp_ne_u32_e32 vcc, 0, v23
	s_waitcnt lgkmcnt(0)
	v_mov_b32_dpp v24, v22 row_shr:1 row_mask:0xf bank_mask:0xf
	v_cndmask_b32_e32 v24, 0, v24, vcc
	v_add_u32_e32 v22, v24, v22
	v_cmp_lt_u32_e32 vcc, 1, v23
	s_nop 0
	v_mov_b32_dpp v24, v22 row_shr:2 row_mask:0xf bank_mask:0xf
	v_cndmask_b32_e32 v23, 0, v24, vcc
	v_add_u32_e32 v22, v22, v23
	ds_write_b32 v17, v22
.LBB3157_124:
	s_or_b64 exec, exec, s[2:3]
	v_cmp_lt_u32_e32 vcc, 63, v0
	v_mov_b32_e32 v17, 0
	v_mov_b32_e32 v22, 0
	s_waitcnt lgkmcnt(0)
	s_barrier
	s_and_saveexec_b64 s[2:3], vcc
	s_cbranch_execz .LBB3157_126
; %bb.125:
	v_lshl_add_u32 v22, v51, 2, -4
	ds_read_b32 v22, v22
.LBB3157_126:
	s_or_b64 exec, exec, s[2:3]
	v_add_u32_e32 v23, -1, v50
	v_and_b32_e32 v24, 64, v50
	v_cmp_lt_i32_e32 vcc, v23, v24
	v_cndmask_b32_e32 v23, v23, v50, vcc
	s_waitcnt lgkmcnt(0)
	v_add_u32_e32 v16, v22, v16
	v_lshlrev_b32_e32 v23, 2, v23
	ds_bpermute_b32 v23, v23, v16
	ds_read_b32 v16, v17 offset:12
	s_and_saveexec_b64 s[2:3], s[0:1]
	s_cbranch_execz .LBB3157_128
; %bb.127:
	v_mov_b32_e32 v24, 0
	v_mov_b32_e32 v17, 2
	s_waitcnt lgkmcnt(0)
	global_store_dwordx2 v24, v[16:17], s[28:29] offset:512
.LBB3157_128:
	s_or_b64 exec, exec, s[2:3]
	v_cmp_eq_u32_e32 vcc, 0, v50
	s_waitcnt lgkmcnt(1)
	v_cndmask_b32_e32 v22, v23, v22, vcc
	v_mov_b32_e32 v17, 0
	v_cndmask_b32_e64 v26, v22, 0, s[0:1]
	s_waitcnt lgkmcnt(0)
	s_barrier
.LBB3157_129:
	v_add_u32_sdwa v28, v26, v20 dst_sel:DWORD dst_unused:UNUSED_PAD src0_sel:DWORD src1_sel:BYTE_0
	s_waitcnt lgkmcnt(0)
	v_add_u32_e32 v31, v16, v31
	v_sub_u32_e32 v26, v26, v17
	v_and_b32_e32 v55, 1, v20
	v_sub_u32_e32 v54, v31, v26
	v_cmp_eq_u32_e32 vcc, 1, v55
	v_cndmask_b32_e32 v26, v54, v26, vcc
	v_lshlrev_b32_e32 v26, 1, v26
	v_lshrrev_b32_e32 v27, 8, v20
	ds_write_b16 v26, v6
	v_sub_u32_e32 v26, v28, v17
	v_add_u32_sdwa v29, v28, v20 dst_sel:DWORD dst_unused:UNUSED_PAD src0_sel:DWORD src1_sel:BYTE_1
	v_sub_u32_e32 v28, v31, v26
	v_and_b32_e32 v27, 1, v27
	v_add_u32_e32 v28, 1, v28
	v_cmp_eq_u32_e32 vcc, 1, v27
	v_cndmask_b32_e32 v26, v28, v26, vcc
	v_lshlrev_b32_e32 v26, 1, v26
	ds_write_b16_d16_hi v26, v6
	v_sub_u32_e32 v6, v29, v17
	v_mov_b32_e32 v27, 1
	v_sub_u32_e32 v26, v31, v6
	v_and_b32_sdwa v20, v27, v20 dst_sel:DWORD dst_unused:UNUSED_PAD src0_sel:DWORD src1_sel:WORD_1
	v_add_u32_e32 v26, 2, v26
	v_cmp_eq_u32_e32 vcc, 1, v20
	v_cndmask_b32_e32 v6, v26, v6, vcc
	v_add_u32_e32 v49, v29, v49
	v_lshlrev_b32_e32 v6, 1, v6
	ds_write_b16 v6, v7
	v_sub_u32_e32 v6, v49, v17
	v_sub_u32_e32 v20, v31, v6
	v_and_b32_e32 v26, 1, v37
	v_add_u32_e32 v20, 3, v20
	v_cmp_eq_u32_e32 vcc, 1, v26
	v_cndmask_b32_e32 v6, v20, v6, vcc
	v_add_u32_e32 v50, v49, v37
	v_lshlrev_b32_e32 v6, 1, v6
	ds_write_b16_d16_hi v6, v7
	v_sub_u32_e32 v6, v50, v17
	v_sub_u32_e32 v7, v31, v6
	v_and_b32_e32 v20, 1, v21
	v_add_u32_e32 v7, 4, v7
	v_cmp_eq_u32_e32 vcc, 1, v20
	v_cndmask_b32_e32 v6, v7, v6, vcc
	v_add_u32_e32 v46, v50, v46
	v_lshlrev_b32_e32 v6, 1, v6
	v_lshrrev_b32_e32 v25, 8, v21
	ds_write_b16 v6, v8
	v_sub_u32_e32 v6, v46, v17
	v_sub_u32_e32 v7, v31, v6
	v_and_b32_e32 v20, 1, v25
	v_add_u32_e32 v7, 5, v7
	v_cmp_eq_u32_e32 vcc, 1, v20
	v_cndmask_b32_e32 v6, v7, v6, vcc
	v_add_u32_e32 v47, v46, v47
	v_lshlrev_b32_e32 v6, 1, v6
	ds_write_b16_d16_hi v6, v8
	v_sub_u32_e32 v6, v47, v17
	v_sub_u32_e32 v7, v31, v6
	v_and_b32_sdwa v8, v27, v21 dst_sel:DWORD dst_unused:UNUSED_PAD src0_sel:DWORD src1_sel:WORD_1
	v_add_u32_e32 v7, 6, v7
	v_cmp_eq_u32_e32 vcc, 1, v8
	v_cndmask_b32_e32 v6, v7, v6, vcc
	v_add_u32_e32 v48, v47, v48
	v_lshlrev_b32_e32 v6, 1, v6
	ds_write_b16 v6, v9
	v_sub_u32_e32 v6, v48, v17
	v_sub_u32_e32 v7, v31, v6
	v_and_b32_e32 v8, 1, v36
	v_add_u32_e32 v7, 7, v7
	v_cmp_eq_u32_e32 vcc, 1, v8
	v_cndmask_b32_e32 v6, v7, v6, vcc
	v_add_u32_e32 v51, v48, v36
	v_lshlrev_b32_e32 v6, 1, v6
	ds_write_b16_d16_hi v6, v9
	v_sub_u32_e32 v6, v51, v17
	v_sub_u32_e32 v7, v31, v6
	v_and_b32_e32 v8, 1, v18
	v_add_u32_e32 v7, 8, v7
	v_cmp_eq_u32_e32 vcc, 1, v8
	v_cndmask_b32_e32 v6, v7, v6, vcc
	v_add_u32_e32 v43, v51, v43
	v_lshlrev_b32_e32 v6, 1, v6
	v_lshrrev_b32_e32 v24, 8, v18
	ds_write_b16 v6, v2
	v_sub_u32_e32 v6, v43, v17
	v_sub_u32_e32 v7, v31, v6
	v_and_b32_e32 v8, 1, v24
	v_add_u32_e32 v7, 9, v7
	v_cmp_eq_u32_e32 vcc, 1, v8
	v_cndmask_b32_e32 v6, v7, v6, vcc
	v_add_u32_e32 v44, v43, v44
	v_lshlrev_b32_e32 v6, 1, v6
	ds_write_b16_d16_hi v6, v2
	v_sub_u32_e32 v2, v44, v17
	;; [unrolled: 37-line block ×4, first 2 shown]
	v_sub_u32_e32 v3, v31, v2
	v_and_b32_sdwa v4, v27, v32 dst_sel:DWORD dst_unused:UNUSED_PAD src0_sel:DWORD src1_sel:WORD_1
	v_add_u32_e32 v3, 18, v3
	v_cmp_eq_u32_e32 vcc, 1, v4
	v_cndmask_b32_e32 v2, v3, v2, vcc
	v_lshlrev_b32_e32 v2, 1, v2
	ds_write_b16 v2, v15
	v_sub_u32_e32 v2, v33, v17
	v_add_u32_e32 v2, v39, v2
	v_sub_u32_e32 v3, v31, v2
	v_and_b32_e32 v1, 1, v1
	v_add_u32_e32 v3, 19, v3
	v_cmp_eq_u32_e32 vcc, 1, v1
	v_cndmask_b32_e32 v1, v3, v2, vcc
	v_lshlrev_b32_e32 v1, 1, v1
	ds_write_b16_d16_hi v1, v15
	s_waitcnt vmcnt(0)
	v_add_co_u32_e32 v1, vcc, v10, v16
	s_waitcnt lgkmcnt(0)
	s_barrier
	ds_read_u16 v50, v30
	ds_read_u16 v49, v30 offset:512
	ds_read_u16 v47, v30 offset:1024
	;; [unrolled: 1-line block ×15, first 2 shown]
	v_addc_co_u32_e32 v3, vcc, 0, v11, vcc
	v_add_co_u32_e32 v2, vcc, v1, v17
	v_addc_co_u32_e32 v3, vcc, 0, v3, vcc
	v_mov_b32_e32 v1, s19
	v_sub_co_u32_e32 v10, vcc, s18, v2
	ds_read_u16 v18, v30 offset:8192
	ds_read_u16 v14, v30 offset:8704
	;; [unrolled: 1-line block ×4, first 2 shown]
	v_subb_co_u32_e32 v11, vcc, v1, v3, vcc
	v_lshlrev_b64 v[10:11], 1, v[10:11]
	v_mov_b32_e32 v1, s25
	v_add_co_u32_e32 v4, vcc, s24, v10
	v_addc_co_u32_e32 v1, vcc, v1, v11, vcc
	v_add_co_u32_e32 v4, vcc, v4, v12
	v_addc_co_u32_e32 v1, vcc, v1, v13, vcc
	v_or_b32_e32 v48, 0x100, v0
	v_or_b32_e32 v46, 0x200, v0
	;; [unrolled: 1-line block ×19, first 2 shown]
	s_andn2_b64 vcc, exec, s[26:27]
	v_cmp_ge_u32_e64 s[2:3], v0, v16
	s_cbranch_vccnz .LBB3157_151
; %bb.130:
	s_and_saveexec_b64 s[4:5], s[2:3]
	s_cbranch_execnz .LBB3157_196
; %bb.131:
	s_or_b64 exec, exec, s[4:5]
	v_cmp_ge_u32_e32 vcc, v48, v16
	s_and_saveexec_b64 s[2:3], vcc
	s_cbranch_execnz .LBB3157_197
.LBB3157_132:
	s_or_b64 exec, exec, s[2:3]
	v_cmp_ge_u32_e32 vcc, v46, v16
	s_and_saveexec_b64 s[2:3], vcc
	s_cbranch_execnz .LBB3157_198
.LBB3157_133:
	s_or_b64 exec, exec, s[2:3]
	v_cmp_ge_u32_e32 vcc, v44, v16
	s_and_saveexec_b64 s[2:3], vcc
	s_cbranch_execnz .LBB3157_199
.LBB3157_134:
	s_or_b64 exec, exec, s[2:3]
	v_cmp_ge_u32_e32 vcc, v43, v16
	s_and_saveexec_b64 s[2:3], vcc
	s_cbranch_execnz .LBB3157_200
.LBB3157_135:
	s_or_b64 exec, exec, s[2:3]
	v_cmp_ge_u32_e32 vcc, v41, v16
	s_and_saveexec_b64 s[2:3], vcc
	s_cbranch_execnz .LBB3157_201
.LBB3157_136:
	s_or_b64 exec, exec, s[2:3]
	v_cmp_ge_u32_e32 vcc, v39, v16
	s_and_saveexec_b64 s[2:3], vcc
	s_cbranch_execnz .LBB3157_202
.LBB3157_137:
	s_or_b64 exec, exec, s[2:3]
	v_cmp_ge_u32_e32 vcc, v37, v16
	s_and_saveexec_b64 s[2:3], vcc
	s_cbranch_execnz .LBB3157_203
.LBB3157_138:
	s_or_b64 exec, exec, s[2:3]
	v_cmp_ge_u32_e32 vcc, v34, v16
	s_and_saveexec_b64 s[2:3], vcc
	s_cbranch_execnz .LBB3157_204
.LBB3157_139:
	s_or_b64 exec, exec, s[2:3]
	v_cmp_ge_u32_e32 vcc, v32, v16
	s_and_saveexec_b64 s[2:3], vcc
	s_cbranch_execnz .LBB3157_205
.LBB3157_140:
	s_or_b64 exec, exec, s[2:3]
	v_cmp_ge_u32_e32 vcc, v29, v16
	s_and_saveexec_b64 s[2:3], vcc
	s_cbranch_execnz .LBB3157_206
.LBB3157_141:
	s_or_b64 exec, exec, s[2:3]
	v_cmp_ge_u32_e32 vcc, v27, v16
	s_and_saveexec_b64 s[2:3], vcc
	s_cbranch_execnz .LBB3157_207
.LBB3157_142:
	s_or_b64 exec, exec, s[2:3]
	v_cmp_ge_u32_e32 vcc, v25, v16
	s_and_saveexec_b64 s[2:3], vcc
	s_cbranch_execnz .LBB3157_208
.LBB3157_143:
	s_or_b64 exec, exec, s[2:3]
	v_cmp_ge_u32_e32 vcc, v23, v16
	s_and_saveexec_b64 s[2:3], vcc
	s_cbranch_execnz .LBB3157_209
.LBB3157_144:
	s_or_b64 exec, exec, s[2:3]
	v_cmp_ge_u32_e32 vcc, v21, v16
	s_and_saveexec_b64 s[2:3], vcc
	s_cbranch_execnz .LBB3157_210
.LBB3157_145:
	s_or_b64 exec, exec, s[2:3]
	v_cmp_ge_u32_e32 vcc, v19, v16
	s_and_saveexec_b64 s[2:3], vcc
	s_cbranch_execnz .LBB3157_211
.LBB3157_146:
	s_or_b64 exec, exec, s[2:3]
	v_cmp_ge_u32_e32 vcc, v15, v16
	s_and_saveexec_b64 s[2:3], vcc
	s_cbranch_execnz .LBB3157_212
.LBB3157_147:
	s_or_b64 exec, exec, s[2:3]
	v_cmp_ge_u32_e32 vcc, v9, v16
	s_and_saveexec_b64 s[2:3], vcc
	s_cbranch_execnz .LBB3157_213
.LBB3157_148:
	s_or_b64 exec, exec, s[2:3]
	v_cmp_ge_u32_e32 vcc, v8, v16
	s_and_saveexec_b64 s[2:3], vcc
	s_cbranch_execz .LBB3157_150
.LBB3157_149:
	v_lshlrev_b32_e32 v10, 1, v8
	v_readfirstlane_b32 s4, v4
	v_readfirstlane_b32 s5, v1
	s_waitcnt lgkmcnt(1)
	s_nop 3
	global_store_short v10, v7, s[4:5]
.LBB3157_150:
	s_or_b64 exec, exec, s[2:3]
	v_cmp_ge_u32_e64 s[2:3], v6, v16
	s_branch .LBB3157_191
.LBB3157_151:
	s_mov_b64 s[2:3], 0
	s_cbranch_execz .LBB3157_191
; %bb.152:
	v_cmp_gt_u32_e32 vcc, s33, v0
	v_cmp_ge_u32_e64 s[2:3], v0, v16
	s_and_b64 s[4:5], vcc, s[2:3]
	s_and_saveexec_b64 s[2:3], s[4:5]
	s_cbranch_execz .LBB3157_154
; %bb.153:
	v_readfirstlane_b32 s4, v4
	v_readfirstlane_b32 s5, v1
	s_waitcnt lgkmcnt(14)
	s_nop 3
	global_store_short v30, v50, s[4:5]
.LBB3157_154:
	s_or_b64 exec, exec, s[2:3]
	v_cmp_gt_u32_e32 vcc, s33, v48
	v_cmp_ge_u32_e64 s[2:3], v48, v16
	s_and_b64 s[4:5], vcc, s[2:3]
	s_and_saveexec_b64 s[2:3], s[4:5]
	s_cbranch_execz .LBB3157_156
; %bb.155:
	v_readfirstlane_b32 s4, v4
	v_readfirstlane_b32 s5, v1
	s_waitcnt lgkmcnt(14)
	s_nop 3
	global_store_short v30, v49, s[4:5] offset:512
.LBB3157_156:
	s_or_b64 exec, exec, s[2:3]
	v_cmp_gt_u32_e32 vcc, s33, v46
	v_cmp_ge_u32_e64 s[2:3], v46, v16
	s_and_b64 s[4:5], vcc, s[2:3]
	s_and_saveexec_b64 s[2:3], s[4:5]
	s_cbranch_execz .LBB3157_158
; %bb.157:
	v_readfirstlane_b32 s4, v4
	v_readfirstlane_b32 s5, v1
	s_waitcnt lgkmcnt(14)
	s_nop 3
	global_store_short v30, v47, s[4:5] offset:1024
.LBB3157_158:
	;; [unrolled: 13-line block ×7, first 2 shown]
	s_or_b64 exec, exec, s[2:3]
	v_cmp_gt_u32_e32 vcc, s33, v34
	v_cmp_ge_u32_e64 s[2:3], v34, v16
	s_and_b64 s[4:5], vcc, s[2:3]
	s_and_saveexec_b64 s[2:3], s[4:5]
	s_cbranch_execz .LBB3157_170
; %bb.169:
	v_lshlrev_b32_e32 v0, 1, v34
	v_readfirstlane_b32 s4, v4
	v_readfirstlane_b32 s5, v1
	s_waitcnt lgkmcnt(11)
	s_nop 3
	global_store_short v0, v35, s[4:5]
.LBB3157_170:
	s_or_b64 exec, exec, s[2:3]
	v_cmp_gt_u32_e32 vcc, s33, v32
	v_cmp_ge_u32_e64 s[2:3], v32, v16
	s_and_b64 s[4:5], vcc, s[2:3]
	s_and_saveexec_b64 s[2:3], s[4:5]
	s_cbranch_execz .LBB3157_172
; %bb.171:
	v_lshlrev_b32_e32 v0, 1, v32
	v_readfirstlane_b32 s4, v4
	v_readfirstlane_b32 s5, v1
	s_waitcnt lgkmcnt(10)
	s_nop 3
	global_store_short v0, v33, s[4:5]
.LBB3157_172:
	;; [unrolled: 14-line block ×11, first 2 shown]
	s_or_b64 exec, exec, s[2:3]
	v_cmp_gt_u32_e32 vcc, s33, v6
	v_cmp_ge_u32_e64 s[2:3], v6, v16
	s_and_b64 s[2:3], vcc, s[2:3]
.LBB3157_191:
	s_and_saveexec_b64 s[4:5], s[2:3]
	s_cbranch_execnz .LBB3157_194
; %bb.192:
	s_or_b64 exec, exec, s[4:5]
	s_and_b64 s[0:1], s[0:1], s[22:23]
	s_and_saveexec_b64 s[2:3], s[0:1]
	s_cbranch_execnz .LBB3157_195
.LBB3157_193:
	s_endpgm
.LBB3157_194:
	v_lshlrev_b32_e32 v0, 1, v6
	v_readfirstlane_b32 s2, v4
	v_readfirstlane_b32 s3, v1
	s_waitcnt lgkmcnt(0)
	s_nop 3
	global_store_short v0, v5, s[2:3]
	s_or_b64 exec, exec, s[4:5]
	s_and_b64 s[0:1], s[0:1], s[22:23]
	s_and_saveexec_b64 s[2:3], s[0:1]
	s_cbranch_execz .LBB3157_193
.LBB3157_195:
	v_mov_b32_e32 v0, 0
	global_store_dwordx2 v0, v[2:3], s[20:21]
	s_endpgm
.LBB3157_196:
	v_readfirstlane_b32 s2, v4
	v_readfirstlane_b32 s3, v1
	s_waitcnt lgkmcnt(14)
	s_nop 3
	global_store_short v30, v50, s[2:3]
	s_or_b64 exec, exec, s[4:5]
	v_cmp_ge_u32_e32 vcc, v48, v16
	s_and_saveexec_b64 s[2:3], vcc
	s_cbranch_execz .LBB3157_132
.LBB3157_197:
	v_readfirstlane_b32 s4, v4
	v_readfirstlane_b32 s5, v1
	s_waitcnt lgkmcnt(14)
	s_nop 3
	global_store_short v30, v49, s[4:5] offset:512
	s_or_b64 exec, exec, s[2:3]
	v_cmp_ge_u32_e32 vcc, v46, v16
	s_and_saveexec_b64 s[2:3], vcc
	s_cbranch_execz .LBB3157_133
.LBB3157_198:
	v_readfirstlane_b32 s4, v4
	v_readfirstlane_b32 s5, v1
	s_waitcnt lgkmcnt(14)
	s_nop 3
	global_store_short v30, v47, s[4:5] offset:1024
	s_or_b64 exec, exec, s[2:3]
	v_cmp_ge_u32_e32 vcc, v44, v16
	s_and_saveexec_b64 s[2:3], vcc
	s_cbranch_execz .LBB3157_134
.LBB3157_199:
	v_readfirstlane_b32 s4, v4
	v_readfirstlane_b32 s5, v1
	s_waitcnt lgkmcnt(14)
	s_nop 3
	global_store_short v30, v45, s[4:5] offset:1536
	s_or_b64 exec, exec, s[2:3]
	v_cmp_ge_u32_e32 vcc, v43, v16
	s_and_saveexec_b64 s[2:3], vcc
	s_cbranch_execz .LBB3157_135
.LBB3157_200:
	v_readfirstlane_b32 s4, v4
	v_readfirstlane_b32 s5, v1
	s_waitcnt lgkmcnt(14)
	s_nop 3
	global_store_short v30, v42, s[4:5] offset:2048
	s_or_b64 exec, exec, s[2:3]
	v_cmp_ge_u32_e32 vcc, v41, v16
	s_and_saveexec_b64 s[2:3], vcc
	s_cbranch_execz .LBB3157_136
.LBB3157_201:
	v_readfirstlane_b32 s4, v4
	v_readfirstlane_b32 s5, v1
	s_waitcnt lgkmcnt(14)
	s_nop 3
	global_store_short v30, v40, s[4:5] offset:2560
	s_or_b64 exec, exec, s[2:3]
	v_cmp_ge_u32_e32 vcc, v39, v16
	s_and_saveexec_b64 s[2:3], vcc
	s_cbranch_execz .LBB3157_137
.LBB3157_202:
	v_readfirstlane_b32 s4, v4
	v_readfirstlane_b32 s5, v1
	s_waitcnt lgkmcnt(13)
	s_nop 3
	global_store_short v30, v38, s[4:5] offset:3072
	s_or_b64 exec, exec, s[2:3]
	v_cmp_ge_u32_e32 vcc, v37, v16
	s_and_saveexec_b64 s[2:3], vcc
	s_cbranch_execz .LBB3157_138
.LBB3157_203:
	v_readfirstlane_b32 s4, v4
	v_readfirstlane_b32 s5, v1
	s_waitcnt lgkmcnt(12)
	s_nop 3
	global_store_short v30, v36, s[4:5] offset:3584
	s_or_b64 exec, exec, s[2:3]
	v_cmp_ge_u32_e32 vcc, v34, v16
	s_and_saveexec_b64 s[2:3], vcc
	s_cbranch_execz .LBB3157_139
.LBB3157_204:
	v_lshlrev_b32_e32 v10, 1, v34
	v_readfirstlane_b32 s4, v4
	v_readfirstlane_b32 s5, v1
	s_waitcnt lgkmcnt(11)
	s_nop 3
	global_store_short v10, v35, s[4:5]
	s_or_b64 exec, exec, s[2:3]
	v_cmp_ge_u32_e32 vcc, v32, v16
	s_and_saveexec_b64 s[2:3], vcc
	s_cbranch_execz .LBB3157_140
.LBB3157_205:
	v_lshlrev_b32_e32 v10, 1, v32
	v_readfirstlane_b32 s4, v4
	v_readfirstlane_b32 s5, v1
	s_waitcnt lgkmcnt(10)
	s_nop 3
	global_store_short v10, v33, s[4:5]
	s_or_b64 exec, exec, s[2:3]
	v_cmp_ge_u32_e32 vcc, v29, v16
	s_and_saveexec_b64 s[2:3], vcc
	s_cbranch_execz .LBB3157_141
.LBB3157_206:
	v_lshlrev_b32_e32 v10, 1, v29
	v_readfirstlane_b32 s4, v4
	v_readfirstlane_b32 s5, v1
	s_waitcnt lgkmcnt(9)
	s_nop 3
	global_store_short v10, v31, s[4:5]
	s_or_b64 exec, exec, s[2:3]
	v_cmp_ge_u32_e32 vcc, v27, v16
	s_and_saveexec_b64 s[2:3], vcc
	s_cbranch_execz .LBB3157_142
.LBB3157_207:
	v_lshlrev_b32_e32 v10, 1, v27
	v_readfirstlane_b32 s4, v4
	v_readfirstlane_b32 s5, v1
	s_waitcnt lgkmcnt(8)
	s_nop 3
	global_store_short v10, v28, s[4:5]
	s_or_b64 exec, exec, s[2:3]
	v_cmp_ge_u32_e32 vcc, v25, v16
	s_and_saveexec_b64 s[2:3], vcc
	s_cbranch_execz .LBB3157_143
.LBB3157_208:
	v_lshlrev_b32_e32 v10, 1, v25
	v_readfirstlane_b32 s4, v4
	v_readfirstlane_b32 s5, v1
	s_waitcnt lgkmcnt(7)
	s_nop 3
	global_store_short v10, v26, s[4:5]
	s_or_b64 exec, exec, s[2:3]
	v_cmp_ge_u32_e32 vcc, v23, v16
	s_and_saveexec_b64 s[2:3], vcc
	s_cbranch_execz .LBB3157_144
.LBB3157_209:
	v_lshlrev_b32_e32 v10, 1, v23
	v_readfirstlane_b32 s4, v4
	v_readfirstlane_b32 s5, v1
	s_waitcnt lgkmcnt(6)
	s_nop 3
	global_store_short v10, v24, s[4:5]
	s_or_b64 exec, exec, s[2:3]
	v_cmp_ge_u32_e32 vcc, v21, v16
	s_and_saveexec_b64 s[2:3], vcc
	s_cbranch_execz .LBB3157_145
.LBB3157_210:
	v_lshlrev_b32_e32 v10, 1, v21
	v_readfirstlane_b32 s4, v4
	v_readfirstlane_b32 s5, v1
	s_waitcnt lgkmcnt(5)
	s_nop 3
	global_store_short v10, v22, s[4:5]
	s_or_b64 exec, exec, s[2:3]
	v_cmp_ge_u32_e32 vcc, v19, v16
	s_and_saveexec_b64 s[2:3], vcc
	s_cbranch_execz .LBB3157_146
.LBB3157_211:
	v_lshlrev_b32_e32 v10, 1, v19
	v_readfirstlane_b32 s4, v4
	v_readfirstlane_b32 s5, v1
	s_waitcnt lgkmcnt(4)
	s_nop 3
	global_store_short v10, v20, s[4:5]
	s_or_b64 exec, exec, s[2:3]
	v_cmp_ge_u32_e32 vcc, v15, v16
	s_and_saveexec_b64 s[2:3], vcc
	s_cbranch_execz .LBB3157_147
.LBB3157_212:
	v_lshlrev_b32_e32 v10, 1, v15
	v_readfirstlane_b32 s4, v4
	v_readfirstlane_b32 s5, v1
	s_waitcnt lgkmcnt(3)
	s_nop 3
	global_store_short v10, v18, s[4:5]
	s_or_b64 exec, exec, s[2:3]
	v_cmp_ge_u32_e32 vcc, v9, v16
	s_and_saveexec_b64 s[2:3], vcc
	s_cbranch_execz .LBB3157_148
.LBB3157_213:
	v_lshlrev_b32_e32 v10, 1, v9
	v_readfirstlane_b32 s4, v4
	v_readfirstlane_b32 s5, v1
	s_waitcnt lgkmcnt(2)
	s_nop 3
	global_store_short v10, v14, s[4:5]
	s_or_b64 exec, exec, s[2:3]
	v_cmp_ge_u32_e32 vcc, v8, v16
	s_and_saveexec_b64 s[2:3], vcc
	s_cbranch_execnz .LBB3157_149
	s_branch .LBB3157_150
	.section	.rodata,"a",@progbits
	.p2align	6, 0x0
	.amdhsa_kernel _ZN7rocprim17ROCPRIM_400000_NS6detail17trampoline_kernelINS0_14default_configENS1_25partition_config_selectorILNS1_17partition_subalgoE1EtNS0_10empty_typeEbEEZZNS1_14partition_implILS5_1ELb0ES3_jN6thrust23THRUST_200600_302600_NS6detail15normal_iteratorINSA_10device_ptrItEEEEPS6_NSA_18transform_iteratorI7is_evenItESF_NSA_11use_defaultESK_EENS0_5tupleIJNSA_16discard_iteratorISK_EESF_EEENSM_IJSG_SG_EEES6_PlJS6_EEE10hipError_tPvRmT3_T4_T5_T6_T7_T9_mT8_P12ihipStream_tbDpT10_ENKUlT_T0_E_clISt17integral_constantIbLb0EES1A_IbLb1EEEEDaS16_S17_EUlS16_E_NS1_11comp_targetILNS1_3genE4ELNS1_11target_archE910ELNS1_3gpuE8ELNS1_3repE0EEENS1_30default_config_static_selectorELNS0_4arch9wavefront6targetE1EEEvT1_
		.amdhsa_group_segment_fixed_size 10248
		.amdhsa_private_segment_fixed_size 0
		.amdhsa_kernarg_size 152
		.amdhsa_user_sgpr_count 6
		.amdhsa_user_sgpr_private_segment_buffer 1
		.amdhsa_user_sgpr_dispatch_ptr 0
		.amdhsa_user_sgpr_queue_ptr 0
		.amdhsa_user_sgpr_kernarg_segment_ptr 1
		.amdhsa_user_sgpr_dispatch_id 0
		.amdhsa_user_sgpr_flat_scratch_init 0
		.amdhsa_user_sgpr_kernarg_preload_length 0
		.amdhsa_user_sgpr_kernarg_preload_offset 0
		.amdhsa_user_sgpr_private_segment_size 0
		.amdhsa_uses_dynamic_stack 0
		.amdhsa_system_sgpr_private_segment_wavefront_offset 0
		.amdhsa_system_sgpr_workgroup_id_x 1
		.amdhsa_system_sgpr_workgroup_id_y 0
		.amdhsa_system_sgpr_workgroup_id_z 0
		.amdhsa_system_sgpr_workgroup_info 0
		.amdhsa_system_vgpr_workitem_id 0
		.amdhsa_next_free_vgpr 69
		.amdhsa_next_free_sgpr 42
		.amdhsa_accum_offset 72
		.amdhsa_reserve_vcc 1
		.amdhsa_reserve_flat_scratch 0
		.amdhsa_float_round_mode_32 0
		.amdhsa_float_round_mode_16_64 0
		.amdhsa_float_denorm_mode_32 3
		.amdhsa_float_denorm_mode_16_64 3
		.amdhsa_dx10_clamp 1
		.amdhsa_ieee_mode 1
		.amdhsa_fp16_overflow 0
		.amdhsa_tg_split 0
		.amdhsa_exception_fp_ieee_invalid_op 0
		.amdhsa_exception_fp_denorm_src 0
		.amdhsa_exception_fp_ieee_div_zero 0
		.amdhsa_exception_fp_ieee_overflow 0
		.amdhsa_exception_fp_ieee_underflow 0
		.amdhsa_exception_fp_ieee_inexact 0
		.amdhsa_exception_int_div_zero 0
	.end_amdhsa_kernel
	.section	.text._ZN7rocprim17ROCPRIM_400000_NS6detail17trampoline_kernelINS0_14default_configENS1_25partition_config_selectorILNS1_17partition_subalgoE1EtNS0_10empty_typeEbEEZZNS1_14partition_implILS5_1ELb0ES3_jN6thrust23THRUST_200600_302600_NS6detail15normal_iteratorINSA_10device_ptrItEEEEPS6_NSA_18transform_iteratorI7is_evenItESF_NSA_11use_defaultESK_EENS0_5tupleIJNSA_16discard_iteratorISK_EESF_EEENSM_IJSG_SG_EEES6_PlJS6_EEE10hipError_tPvRmT3_T4_T5_T6_T7_T9_mT8_P12ihipStream_tbDpT10_ENKUlT_T0_E_clISt17integral_constantIbLb0EES1A_IbLb1EEEEDaS16_S17_EUlS16_E_NS1_11comp_targetILNS1_3genE4ELNS1_11target_archE910ELNS1_3gpuE8ELNS1_3repE0EEENS1_30default_config_static_selectorELNS0_4arch9wavefront6targetE1EEEvT1_,"axG",@progbits,_ZN7rocprim17ROCPRIM_400000_NS6detail17trampoline_kernelINS0_14default_configENS1_25partition_config_selectorILNS1_17partition_subalgoE1EtNS0_10empty_typeEbEEZZNS1_14partition_implILS5_1ELb0ES3_jN6thrust23THRUST_200600_302600_NS6detail15normal_iteratorINSA_10device_ptrItEEEEPS6_NSA_18transform_iteratorI7is_evenItESF_NSA_11use_defaultESK_EENS0_5tupleIJNSA_16discard_iteratorISK_EESF_EEENSM_IJSG_SG_EEES6_PlJS6_EEE10hipError_tPvRmT3_T4_T5_T6_T7_T9_mT8_P12ihipStream_tbDpT10_ENKUlT_T0_E_clISt17integral_constantIbLb0EES1A_IbLb1EEEEDaS16_S17_EUlS16_E_NS1_11comp_targetILNS1_3genE4ELNS1_11target_archE910ELNS1_3gpuE8ELNS1_3repE0EEENS1_30default_config_static_selectorELNS0_4arch9wavefront6targetE1EEEvT1_,comdat
.Lfunc_end3157:
	.size	_ZN7rocprim17ROCPRIM_400000_NS6detail17trampoline_kernelINS0_14default_configENS1_25partition_config_selectorILNS1_17partition_subalgoE1EtNS0_10empty_typeEbEEZZNS1_14partition_implILS5_1ELb0ES3_jN6thrust23THRUST_200600_302600_NS6detail15normal_iteratorINSA_10device_ptrItEEEEPS6_NSA_18transform_iteratorI7is_evenItESF_NSA_11use_defaultESK_EENS0_5tupleIJNSA_16discard_iteratorISK_EESF_EEENSM_IJSG_SG_EEES6_PlJS6_EEE10hipError_tPvRmT3_T4_T5_T6_T7_T9_mT8_P12ihipStream_tbDpT10_ENKUlT_T0_E_clISt17integral_constantIbLb0EES1A_IbLb1EEEEDaS16_S17_EUlS16_E_NS1_11comp_targetILNS1_3genE4ELNS1_11target_archE910ELNS1_3gpuE8ELNS1_3repE0EEENS1_30default_config_static_selectorELNS0_4arch9wavefront6targetE1EEEvT1_, .Lfunc_end3157-_ZN7rocprim17ROCPRIM_400000_NS6detail17trampoline_kernelINS0_14default_configENS1_25partition_config_selectorILNS1_17partition_subalgoE1EtNS0_10empty_typeEbEEZZNS1_14partition_implILS5_1ELb0ES3_jN6thrust23THRUST_200600_302600_NS6detail15normal_iteratorINSA_10device_ptrItEEEEPS6_NSA_18transform_iteratorI7is_evenItESF_NSA_11use_defaultESK_EENS0_5tupleIJNSA_16discard_iteratorISK_EESF_EEENSM_IJSG_SG_EEES6_PlJS6_EEE10hipError_tPvRmT3_T4_T5_T6_T7_T9_mT8_P12ihipStream_tbDpT10_ENKUlT_T0_E_clISt17integral_constantIbLb0EES1A_IbLb1EEEEDaS16_S17_EUlS16_E_NS1_11comp_targetILNS1_3genE4ELNS1_11target_archE910ELNS1_3gpuE8ELNS1_3repE0EEENS1_30default_config_static_selectorELNS0_4arch9wavefront6targetE1EEEvT1_
                                        ; -- End function
	.section	.AMDGPU.csdata,"",@progbits
; Kernel info:
; codeLenInByte = 9460
; NumSgprs: 46
; NumVgprs: 69
; NumAgprs: 0
; TotalNumVgprs: 69
; ScratchSize: 0
; MemoryBound: 0
; FloatMode: 240
; IeeeMode: 1
; LDSByteSize: 10248 bytes/workgroup (compile time only)
; SGPRBlocks: 5
; VGPRBlocks: 8
; NumSGPRsForWavesPerEU: 46
; NumVGPRsForWavesPerEU: 69
; AccumOffset: 72
; Occupancy: 6
; WaveLimiterHint : 1
; COMPUTE_PGM_RSRC2:SCRATCH_EN: 0
; COMPUTE_PGM_RSRC2:USER_SGPR: 6
; COMPUTE_PGM_RSRC2:TRAP_HANDLER: 0
; COMPUTE_PGM_RSRC2:TGID_X_EN: 1
; COMPUTE_PGM_RSRC2:TGID_Y_EN: 0
; COMPUTE_PGM_RSRC2:TGID_Z_EN: 0
; COMPUTE_PGM_RSRC2:TIDIG_COMP_CNT: 0
; COMPUTE_PGM_RSRC3_GFX90A:ACCUM_OFFSET: 17
; COMPUTE_PGM_RSRC3_GFX90A:TG_SPLIT: 0
	.section	.text._ZN7rocprim17ROCPRIM_400000_NS6detail17trampoline_kernelINS0_14default_configENS1_25partition_config_selectorILNS1_17partition_subalgoE1EtNS0_10empty_typeEbEEZZNS1_14partition_implILS5_1ELb0ES3_jN6thrust23THRUST_200600_302600_NS6detail15normal_iteratorINSA_10device_ptrItEEEEPS6_NSA_18transform_iteratorI7is_evenItESF_NSA_11use_defaultESK_EENS0_5tupleIJNSA_16discard_iteratorISK_EESF_EEENSM_IJSG_SG_EEES6_PlJS6_EEE10hipError_tPvRmT3_T4_T5_T6_T7_T9_mT8_P12ihipStream_tbDpT10_ENKUlT_T0_E_clISt17integral_constantIbLb0EES1A_IbLb1EEEEDaS16_S17_EUlS16_E_NS1_11comp_targetILNS1_3genE3ELNS1_11target_archE908ELNS1_3gpuE7ELNS1_3repE0EEENS1_30default_config_static_selectorELNS0_4arch9wavefront6targetE1EEEvT1_,"axG",@progbits,_ZN7rocprim17ROCPRIM_400000_NS6detail17trampoline_kernelINS0_14default_configENS1_25partition_config_selectorILNS1_17partition_subalgoE1EtNS0_10empty_typeEbEEZZNS1_14partition_implILS5_1ELb0ES3_jN6thrust23THRUST_200600_302600_NS6detail15normal_iteratorINSA_10device_ptrItEEEEPS6_NSA_18transform_iteratorI7is_evenItESF_NSA_11use_defaultESK_EENS0_5tupleIJNSA_16discard_iteratorISK_EESF_EEENSM_IJSG_SG_EEES6_PlJS6_EEE10hipError_tPvRmT3_T4_T5_T6_T7_T9_mT8_P12ihipStream_tbDpT10_ENKUlT_T0_E_clISt17integral_constantIbLb0EES1A_IbLb1EEEEDaS16_S17_EUlS16_E_NS1_11comp_targetILNS1_3genE3ELNS1_11target_archE908ELNS1_3gpuE7ELNS1_3repE0EEENS1_30default_config_static_selectorELNS0_4arch9wavefront6targetE1EEEvT1_,comdat
	.protected	_ZN7rocprim17ROCPRIM_400000_NS6detail17trampoline_kernelINS0_14default_configENS1_25partition_config_selectorILNS1_17partition_subalgoE1EtNS0_10empty_typeEbEEZZNS1_14partition_implILS5_1ELb0ES3_jN6thrust23THRUST_200600_302600_NS6detail15normal_iteratorINSA_10device_ptrItEEEEPS6_NSA_18transform_iteratorI7is_evenItESF_NSA_11use_defaultESK_EENS0_5tupleIJNSA_16discard_iteratorISK_EESF_EEENSM_IJSG_SG_EEES6_PlJS6_EEE10hipError_tPvRmT3_T4_T5_T6_T7_T9_mT8_P12ihipStream_tbDpT10_ENKUlT_T0_E_clISt17integral_constantIbLb0EES1A_IbLb1EEEEDaS16_S17_EUlS16_E_NS1_11comp_targetILNS1_3genE3ELNS1_11target_archE908ELNS1_3gpuE7ELNS1_3repE0EEENS1_30default_config_static_selectorELNS0_4arch9wavefront6targetE1EEEvT1_ ; -- Begin function _ZN7rocprim17ROCPRIM_400000_NS6detail17trampoline_kernelINS0_14default_configENS1_25partition_config_selectorILNS1_17partition_subalgoE1EtNS0_10empty_typeEbEEZZNS1_14partition_implILS5_1ELb0ES3_jN6thrust23THRUST_200600_302600_NS6detail15normal_iteratorINSA_10device_ptrItEEEEPS6_NSA_18transform_iteratorI7is_evenItESF_NSA_11use_defaultESK_EENS0_5tupleIJNSA_16discard_iteratorISK_EESF_EEENSM_IJSG_SG_EEES6_PlJS6_EEE10hipError_tPvRmT3_T4_T5_T6_T7_T9_mT8_P12ihipStream_tbDpT10_ENKUlT_T0_E_clISt17integral_constantIbLb0EES1A_IbLb1EEEEDaS16_S17_EUlS16_E_NS1_11comp_targetILNS1_3genE3ELNS1_11target_archE908ELNS1_3gpuE7ELNS1_3repE0EEENS1_30default_config_static_selectorELNS0_4arch9wavefront6targetE1EEEvT1_
	.globl	_ZN7rocprim17ROCPRIM_400000_NS6detail17trampoline_kernelINS0_14default_configENS1_25partition_config_selectorILNS1_17partition_subalgoE1EtNS0_10empty_typeEbEEZZNS1_14partition_implILS5_1ELb0ES3_jN6thrust23THRUST_200600_302600_NS6detail15normal_iteratorINSA_10device_ptrItEEEEPS6_NSA_18transform_iteratorI7is_evenItESF_NSA_11use_defaultESK_EENS0_5tupleIJNSA_16discard_iteratorISK_EESF_EEENSM_IJSG_SG_EEES6_PlJS6_EEE10hipError_tPvRmT3_T4_T5_T6_T7_T9_mT8_P12ihipStream_tbDpT10_ENKUlT_T0_E_clISt17integral_constantIbLb0EES1A_IbLb1EEEEDaS16_S17_EUlS16_E_NS1_11comp_targetILNS1_3genE3ELNS1_11target_archE908ELNS1_3gpuE7ELNS1_3repE0EEENS1_30default_config_static_selectorELNS0_4arch9wavefront6targetE1EEEvT1_
	.p2align	8
	.type	_ZN7rocprim17ROCPRIM_400000_NS6detail17trampoline_kernelINS0_14default_configENS1_25partition_config_selectorILNS1_17partition_subalgoE1EtNS0_10empty_typeEbEEZZNS1_14partition_implILS5_1ELb0ES3_jN6thrust23THRUST_200600_302600_NS6detail15normal_iteratorINSA_10device_ptrItEEEEPS6_NSA_18transform_iteratorI7is_evenItESF_NSA_11use_defaultESK_EENS0_5tupleIJNSA_16discard_iteratorISK_EESF_EEENSM_IJSG_SG_EEES6_PlJS6_EEE10hipError_tPvRmT3_T4_T5_T6_T7_T9_mT8_P12ihipStream_tbDpT10_ENKUlT_T0_E_clISt17integral_constantIbLb0EES1A_IbLb1EEEEDaS16_S17_EUlS16_E_NS1_11comp_targetILNS1_3genE3ELNS1_11target_archE908ELNS1_3gpuE7ELNS1_3repE0EEENS1_30default_config_static_selectorELNS0_4arch9wavefront6targetE1EEEvT1_,@function
_ZN7rocprim17ROCPRIM_400000_NS6detail17trampoline_kernelINS0_14default_configENS1_25partition_config_selectorILNS1_17partition_subalgoE1EtNS0_10empty_typeEbEEZZNS1_14partition_implILS5_1ELb0ES3_jN6thrust23THRUST_200600_302600_NS6detail15normal_iteratorINSA_10device_ptrItEEEEPS6_NSA_18transform_iteratorI7is_evenItESF_NSA_11use_defaultESK_EENS0_5tupleIJNSA_16discard_iteratorISK_EESF_EEENSM_IJSG_SG_EEES6_PlJS6_EEE10hipError_tPvRmT3_T4_T5_T6_T7_T9_mT8_P12ihipStream_tbDpT10_ENKUlT_T0_E_clISt17integral_constantIbLb0EES1A_IbLb1EEEEDaS16_S17_EUlS16_E_NS1_11comp_targetILNS1_3genE3ELNS1_11target_archE908ELNS1_3gpuE7ELNS1_3repE0EEENS1_30default_config_static_selectorELNS0_4arch9wavefront6targetE1EEEvT1_: ; @_ZN7rocprim17ROCPRIM_400000_NS6detail17trampoline_kernelINS0_14default_configENS1_25partition_config_selectorILNS1_17partition_subalgoE1EtNS0_10empty_typeEbEEZZNS1_14partition_implILS5_1ELb0ES3_jN6thrust23THRUST_200600_302600_NS6detail15normal_iteratorINSA_10device_ptrItEEEEPS6_NSA_18transform_iteratorI7is_evenItESF_NSA_11use_defaultESK_EENS0_5tupleIJNSA_16discard_iteratorISK_EESF_EEENSM_IJSG_SG_EEES6_PlJS6_EEE10hipError_tPvRmT3_T4_T5_T6_T7_T9_mT8_P12ihipStream_tbDpT10_ENKUlT_T0_E_clISt17integral_constantIbLb0EES1A_IbLb1EEEEDaS16_S17_EUlS16_E_NS1_11comp_targetILNS1_3genE3ELNS1_11target_archE908ELNS1_3gpuE7ELNS1_3repE0EEENS1_30default_config_static_selectorELNS0_4arch9wavefront6targetE1EEEvT1_
; %bb.0:
	.section	.rodata,"a",@progbits
	.p2align	6, 0x0
	.amdhsa_kernel _ZN7rocprim17ROCPRIM_400000_NS6detail17trampoline_kernelINS0_14default_configENS1_25partition_config_selectorILNS1_17partition_subalgoE1EtNS0_10empty_typeEbEEZZNS1_14partition_implILS5_1ELb0ES3_jN6thrust23THRUST_200600_302600_NS6detail15normal_iteratorINSA_10device_ptrItEEEEPS6_NSA_18transform_iteratorI7is_evenItESF_NSA_11use_defaultESK_EENS0_5tupleIJNSA_16discard_iteratorISK_EESF_EEENSM_IJSG_SG_EEES6_PlJS6_EEE10hipError_tPvRmT3_T4_T5_T6_T7_T9_mT8_P12ihipStream_tbDpT10_ENKUlT_T0_E_clISt17integral_constantIbLb0EES1A_IbLb1EEEEDaS16_S17_EUlS16_E_NS1_11comp_targetILNS1_3genE3ELNS1_11target_archE908ELNS1_3gpuE7ELNS1_3repE0EEENS1_30default_config_static_selectorELNS0_4arch9wavefront6targetE1EEEvT1_
		.amdhsa_group_segment_fixed_size 0
		.amdhsa_private_segment_fixed_size 0
		.amdhsa_kernarg_size 152
		.amdhsa_user_sgpr_count 6
		.amdhsa_user_sgpr_private_segment_buffer 1
		.amdhsa_user_sgpr_dispatch_ptr 0
		.amdhsa_user_sgpr_queue_ptr 0
		.amdhsa_user_sgpr_kernarg_segment_ptr 1
		.amdhsa_user_sgpr_dispatch_id 0
		.amdhsa_user_sgpr_flat_scratch_init 0
		.amdhsa_user_sgpr_kernarg_preload_length 0
		.amdhsa_user_sgpr_kernarg_preload_offset 0
		.amdhsa_user_sgpr_private_segment_size 0
		.amdhsa_uses_dynamic_stack 0
		.amdhsa_system_sgpr_private_segment_wavefront_offset 0
		.amdhsa_system_sgpr_workgroup_id_x 1
		.amdhsa_system_sgpr_workgroup_id_y 0
		.amdhsa_system_sgpr_workgroup_id_z 0
		.amdhsa_system_sgpr_workgroup_info 0
		.amdhsa_system_vgpr_workitem_id 0
		.amdhsa_next_free_vgpr 1
		.amdhsa_next_free_sgpr 0
		.amdhsa_accum_offset 4
		.amdhsa_reserve_vcc 0
		.amdhsa_reserve_flat_scratch 0
		.amdhsa_float_round_mode_32 0
		.amdhsa_float_round_mode_16_64 0
		.amdhsa_float_denorm_mode_32 3
		.amdhsa_float_denorm_mode_16_64 3
		.amdhsa_dx10_clamp 1
		.amdhsa_ieee_mode 1
		.amdhsa_fp16_overflow 0
		.amdhsa_tg_split 0
		.amdhsa_exception_fp_ieee_invalid_op 0
		.amdhsa_exception_fp_denorm_src 0
		.amdhsa_exception_fp_ieee_div_zero 0
		.amdhsa_exception_fp_ieee_overflow 0
		.amdhsa_exception_fp_ieee_underflow 0
		.amdhsa_exception_fp_ieee_inexact 0
		.amdhsa_exception_int_div_zero 0
	.end_amdhsa_kernel
	.section	.text._ZN7rocprim17ROCPRIM_400000_NS6detail17trampoline_kernelINS0_14default_configENS1_25partition_config_selectorILNS1_17partition_subalgoE1EtNS0_10empty_typeEbEEZZNS1_14partition_implILS5_1ELb0ES3_jN6thrust23THRUST_200600_302600_NS6detail15normal_iteratorINSA_10device_ptrItEEEEPS6_NSA_18transform_iteratorI7is_evenItESF_NSA_11use_defaultESK_EENS0_5tupleIJNSA_16discard_iteratorISK_EESF_EEENSM_IJSG_SG_EEES6_PlJS6_EEE10hipError_tPvRmT3_T4_T5_T6_T7_T9_mT8_P12ihipStream_tbDpT10_ENKUlT_T0_E_clISt17integral_constantIbLb0EES1A_IbLb1EEEEDaS16_S17_EUlS16_E_NS1_11comp_targetILNS1_3genE3ELNS1_11target_archE908ELNS1_3gpuE7ELNS1_3repE0EEENS1_30default_config_static_selectorELNS0_4arch9wavefront6targetE1EEEvT1_,"axG",@progbits,_ZN7rocprim17ROCPRIM_400000_NS6detail17trampoline_kernelINS0_14default_configENS1_25partition_config_selectorILNS1_17partition_subalgoE1EtNS0_10empty_typeEbEEZZNS1_14partition_implILS5_1ELb0ES3_jN6thrust23THRUST_200600_302600_NS6detail15normal_iteratorINSA_10device_ptrItEEEEPS6_NSA_18transform_iteratorI7is_evenItESF_NSA_11use_defaultESK_EENS0_5tupleIJNSA_16discard_iteratorISK_EESF_EEENSM_IJSG_SG_EEES6_PlJS6_EEE10hipError_tPvRmT3_T4_T5_T6_T7_T9_mT8_P12ihipStream_tbDpT10_ENKUlT_T0_E_clISt17integral_constantIbLb0EES1A_IbLb1EEEEDaS16_S17_EUlS16_E_NS1_11comp_targetILNS1_3genE3ELNS1_11target_archE908ELNS1_3gpuE7ELNS1_3repE0EEENS1_30default_config_static_selectorELNS0_4arch9wavefront6targetE1EEEvT1_,comdat
.Lfunc_end3158:
	.size	_ZN7rocprim17ROCPRIM_400000_NS6detail17trampoline_kernelINS0_14default_configENS1_25partition_config_selectorILNS1_17partition_subalgoE1EtNS0_10empty_typeEbEEZZNS1_14partition_implILS5_1ELb0ES3_jN6thrust23THRUST_200600_302600_NS6detail15normal_iteratorINSA_10device_ptrItEEEEPS6_NSA_18transform_iteratorI7is_evenItESF_NSA_11use_defaultESK_EENS0_5tupleIJNSA_16discard_iteratorISK_EESF_EEENSM_IJSG_SG_EEES6_PlJS6_EEE10hipError_tPvRmT3_T4_T5_T6_T7_T9_mT8_P12ihipStream_tbDpT10_ENKUlT_T0_E_clISt17integral_constantIbLb0EES1A_IbLb1EEEEDaS16_S17_EUlS16_E_NS1_11comp_targetILNS1_3genE3ELNS1_11target_archE908ELNS1_3gpuE7ELNS1_3repE0EEENS1_30default_config_static_selectorELNS0_4arch9wavefront6targetE1EEEvT1_, .Lfunc_end3158-_ZN7rocprim17ROCPRIM_400000_NS6detail17trampoline_kernelINS0_14default_configENS1_25partition_config_selectorILNS1_17partition_subalgoE1EtNS0_10empty_typeEbEEZZNS1_14partition_implILS5_1ELb0ES3_jN6thrust23THRUST_200600_302600_NS6detail15normal_iteratorINSA_10device_ptrItEEEEPS6_NSA_18transform_iteratorI7is_evenItESF_NSA_11use_defaultESK_EENS0_5tupleIJNSA_16discard_iteratorISK_EESF_EEENSM_IJSG_SG_EEES6_PlJS6_EEE10hipError_tPvRmT3_T4_T5_T6_T7_T9_mT8_P12ihipStream_tbDpT10_ENKUlT_T0_E_clISt17integral_constantIbLb0EES1A_IbLb1EEEEDaS16_S17_EUlS16_E_NS1_11comp_targetILNS1_3genE3ELNS1_11target_archE908ELNS1_3gpuE7ELNS1_3repE0EEENS1_30default_config_static_selectorELNS0_4arch9wavefront6targetE1EEEvT1_
                                        ; -- End function
	.section	.AMDGPU.csdata,"",@progbits
; Kernel info:
; codeLenInByte = 0
; NumSgprs: 4
; NumVgprs: 0
; NumAgprs: 0
; TotalNumVgprs: 0
; ScratchSize: 0
; MemoryBound: 0
; FloatMode: 240
; IeeeMode: 1
; LDSByteSize: 0 bytes/workgroup (compile time only)
; SGPRBlocks: 0
; VGPRBlocks: 0
; NumSGPRsForWavesPerEU: 4
; NumVGPRsForWavesPerEU: 1
; AccumOffset: 4
; Occupancy: 8
; WaveLimiterHint : 0
; COMPUTE_PGM_RSRC2:SCRATCH_EN: 0
; COMPUTE_PGM_RSRC2:USER_SGPR: 6
; COMPUTE_PGM_RSRC2:TRAP_HANDLER: 0
; COMPUTE_PGM_RSRC2:TGID_X_EN: 1
; COMPUTE_PGM_RSRC2:TGID_Y_EN: 0
; COMPUTE_PGM_RSRC2:TGID_Z_EN: 0
; COMPUTE_PGM_RSRC2:TIDIG_COMP_CNT: 0
; COMPUTE_PGM_RSRC3_GFX90A:ACCUM_OFFSET: 0
; COMPUTE_PGM_RSRC3_GFX90A:TG_SPLIT: 0
	.section	.text._ZN7rocprim17ROCPRIM_400000_NS6detail17trampoline_kernelINS0_14default_configENS1_25partition_config_selectorILNS1_17partition_subalgoE1EtNS0_10empty_typeEbEEZZNS1_14partition_implILS5_1ELb0ES3_jN6thrust23THRUST_200600_302600_NS6detail15normal_iteratorINSA_10device_ptrItEEEEPS6_NSA_18transform_iteratorI7is_evenItESF_NSA_11use_defaultESK_EENS0_5tupleIJNSA_16discard_iteratorISK_EESF_EEENSM_IJSG_SG_EEES6_PlJS6_EEE10hipError_tPvRmT3_T4_T5_T6_T7_T9_mT8_P12ihipStream_tbDpT10_ENKUlT_T0_E_clISt17integral_constantIbLb0EES1A_IbLb1EEEEDaS16_S17_EUlS16_E_NS1_11comp_targetILNS1_3genE2ELNS1_11target_archE906ELNS1_3gpuE6ELNS1_3repE0EEENS1_30default_config_static_selectorELNS0_4arch9wavefront6targetE1EEEvT1_,"axG",@progbits,_ZN7rocprim17ROCPRIM_400000_NS6detail17trampoline_kernelINS0_14default_configENS1_25partition_config_selectorILNS1_17partition_subalgoE1EtNS0_10empty_typeEbEEZZNS1_14partition_implILS5_1ELb0ES3_jN6thrust23THRUST_200600_302600_NS6detail15normal_iteratorINSA_10device_ptrItEEEEPS6_NSA_18transform_iteratorI7is_evenItESF_NSA_11use_defaultESK_EENS0_5tupleIJNSA_16discard_iteratorISK_EESF_EEENSM_IJSG_SG_EEES6_PlJS6_EEE10hipError_tPvRmT3_T4_T5_T6_T7_T9_mT8_P12ihipStream_tbDpT10_ENKUlT_T0_E_clISt17integral_constantIbLb0EES1A_IbLb1EEEEDaS16_S17_EUlS16_E_NS1_11comp_targetILNS1_3genE2ELNS1_11target_archE906ELNS1_3gpuE6ELNS1_3repE0EEENS1_30default_config_static_selectorELNS0_4arch9wavefront6targetE1EEEvT1_,comdat
	.protected	_ZN7rocprim17ROCPRIM_400000_NS6detail17trampoline_kernelINS0_14default_configENS1_25partition_config_selectorILNS1_17partition_subalgoE1EtNS0_10empty_typeEbEEZZNS1_14partition_implILS5_1ELb0ES3_jN6thrust23THRUST_200600_302600_NS6detail15normal_iteratorINSA_10device_ptrItEEEEPS6_NSA_18transform_iteratorI7is_evenItESF_NSA_11use_defaultESK_EENS0_5tupleIJNSA_16discard_iteratorISK_EESF_EEENSM_IJSG_SG_EEES6_PlJS6_EEE10hipError_tPvRmT3_T4_T5_T6_T7_T9_mT8_P12ihipStream_tbDpT10_ENKUlT_T0_E_clISt17integral_constantIbLb0EES1A_IbLb1EEEEDaS16_S17_EUlS16_E_NS1_11comp_targetILNS1_3genE2ELNS1_11target_archE906ELNS1_3gpuE6ELNS1_3repE0EEENS1_30default_config_static_selectorELNS0_4arch9wavefront6targetE1EEEvT1_ ; -- Begin function _ZN7rocprim17ROCPRIM_400000_NS6detail17trampoline_kernelINS0_14default_configENS1_25partition_config_selectorILNS1_17partition_subalgoE1EtNS0_10empty_typeEbEEZZNS1_14partition_implILS5_1ELb0ES3_jN6thrust23THRUST_200600_302600_NS6detail15normal_iteratorINSA_10device_ptrItEEEEPS6_NSA_18transform_iteratorI7is_evenItESF_NSA_11use_defaultESK_EENS0_5tupleIJNSA_16discard_iteratorISK_EESF_EEENSM_IJSG_SG_EEES6_PlJS6_EEE10hipError_tPvRmT3_T4_T5_T6_T7_T9_mT8_P12ihipStream_tbDpT10_ENKUlT_T0_E_clISt17integral_constantIbLb0EES1A_IbLb1EEEEDaS16_S17_EUlS16_E_NS1_11comp_targetILNS1_3genE2ELNS1_11target_archE906ELNS1_3gpuE6ELNS1_3repE0EEENS1_30default_config_static_selectorELNS0_4arch9wavefront6targetE1EEEvT1_
	.globl	_ZN7rocprim17ROCPRIM_400000_NS6detail17trampoline_kernelINS0_14default_configENS1_25partition_config_selectorILNS1_17partition_subalgoE1EtNS0_10empty_typeEbEEZZNS1_14partition_implILS5_1ELb0ES3_jN6thrust23THRUST_200600_302600_NS6detail15normal_iteratorINSA_10device_ptrItEEEEPS6_NSA_18transform_iteratorI7is_evenItESF_NSA_11use_defaultESK_EENS0_5tupleIJNSA_16discard_iteratorISK_EESF_EEENSM_IJSG_SG_EEES6_PlJS6_EEE10hipError_tPvRmT3_T4_T5_T6_T7_T9_mT8_P12ihipStream_tbDpT10_ENKUlT_T0_E_clISt17integral_constantIbLb0EES1A_IbLb1EEEEDaS16_S17_EUlS16_E_NS1_11comp_targetILNS1_3genE2ELNS1_11target_archE906ELNS1_3gpuE6ELNS1_3repE0EEENS1_30default_config_static_selectorELNS0_4arch9wavefront6targetE1EEEvT1_
	.p2align	8
	.type	_ZN7rocprim17ROCPRIM_400000_NS6detail17trampoline_kernelINS0_14default_configENS1_25partition_config_selectorILNS1_17partition_subalgoE1EtNS0_10empty_typeEbEEZZNS1_14partition_implILS5_1ELb0ES3_jN6thrust23THRUST_200600_302600_NS6detail15normal_iteratorINSA_10device_ptrItEEEEPS6_NSA_18transform_iteratorI7is_evenItESF_NSA_11use_defaultESK_EENS0_5tupleIJNSA_16discard_iteratorISK_EESF_EEENSM_IJSG_SG_EEES6_PlJS6_EEE10hipError_tPvRmT3_T4_T5_T6_T7_T9_mT8_P12ihipStream_tbDpT10_ENKUlT_T0_E_clISt17integral_constantIbLb0EES1A_IbLb1EEEEDaS16_S17_EUlS16_E_NS1_11comp_targetILNS1_3genE2ELNS1_11target_archE906ELNS1_3gpuE6ELNS1_3repE0EEENS1_30default_config_static_selectorELNS0_4arch9wavefront6targetE1EEEvT1_,@function
_ZN7rocprim17ROCPRIM_400000_NS6detail17trampoline_kernelINS0_14default_configENS1_25partition_config_selectorILNS1_17partition_subalgoE1EtNS0_10empty_typeEbEEZZNS1_14partition_implILS5_1ELb0ES3_jN6thrust23THRUST_200600_302600_NS6detail15normal_iteratorINSA_10device_ptrItEEEEPS6_NSA_18transform_iteratorI7is_evenItESF_NSA_11use_defaultESK_EENS0_5tupleIJNSA_16discard_iteratorISK_EESF_EEENSM_IJSG_SG_EEES6_PlJS6_EEE10hipError_tPvRmT3_T4_T5_T6_T7_T9_mT8_P12ihipStream_tbDpT10_ENKUlT_T0_E_clISt17integral_constantIbLb0EES1A_IbLb1EEEEDaS16_S17_EUlS16_E_NS1_11comp_targetILNS1_3genE2ELNS1_11target_archE906ELNS1_3gpuE6ELNS1_3repE0EEENS1_30default_config_static_selectorELNS0_4arch9wavefront6targetE1EEEvT1_: ; @_ZN7rocprim17ROCPRIM_400000_NS6detail17trampoline_kernelINS0_14default_configENS1_25partition_config_selectorILNS1_17partition_subalgoE1EtNS0_10empty_typeEbEEZZNS1_14partition_implILS5_1ELb0ES3_jN6thrust23THRUST_200600_302600_NS6detail15normal_iteratorINSA_10device_ptrItEEEEPS6_NSA_18transform_iteratorI7is_evenItESF_NSA_11use_defaultESK_EENS0_5tupleIJNSA_16discard_iteratorISK_EESF_EEENSM_IJSG_SG_EEES6_PlJS6_EEE10hipError_tPvRmT3_T4_T5_T6_T7_T9_mT8_P12ihipStream_tbDpT10_ENKUlT_T0_E_clISt17integral_constantIbLb0EES1A_IbLb1EEEEDaS16_S17_EUlS16_E_NS1_11comp_targetILNS1_3genE2ELNS1_11target_archE906ELNS1_3gpuE6ELNS1_3repE0EEENS1_30default_config_static_selectorELNS0_4arch9wavefront6targetE1EEEvT1_
; %bb.0:
	.section	.rodata,"a",@progbits
	.p2align	6, 0x0
	.amdhsa_kernel _ZN7rocprim17ROCPRIM_400000_NS6detail17trampoline_kernelINS0_14default_configENS1_25partition_config_selectorILNS1_17partition_subalgoE1EtNS0_10empty_typeEbEEZZNS1_14partition_implILS5_1ELb0ES3_jN6thrust23THRUST_200600_302600_NS6detail15normal_iteratorINSA_10device_ptrItEEEEPS6_NSA_18transform_iteratorI7is_evenItESF_NSA_11use_defaultESK_EENS0_5tupleIJNSA_16discard_iteratorISK_EESF_EEENSM_IJSG_SG_EEES6_PlJS6_EEE10hipError_tPvRmT3_T4_T5_T6_T7_T9_mT8_P12ihipStream_tbDpT10_ENKUlT_T0_E_clISt17integral_constantIbLb0EES1A_IbLb1EEEEDaS16_S17_EUlS16_E_NS1_11comp_targetILNS1_3genE2ELNS1_11target_archE906ELNS1_3gpuE6ELNS1_3repE0EEENS1_30default_config_static_selectorELNS0_4arch9wavefront6targetE1EEEvT1_
		.amdhsa_group_segment_fixed_size 0
		.amdhsa_private_segment_fixed_size 0
		.amdhsa_kernarg_size 152
		.amdhsa_user_sgpr_count 6
		.amdhsa_user_sgpr_private_segment_buffer 1
		.amdhsa_user_sgpr_dispatch_ptr 0
		.amdhsa_user_sgpr_queue_ptr 0
		.amdhsa_user_sgpr_kernarg_segment_ptr 1
		.amdhsa_user_sgpr_dispatch_id 0
		.amdhsa_user_sgpr_flat_scratch_init 0
		.amdhsa_user_sgpr_kernarg_preload_length 0
		.amdhsa_user_sgpr_kernarg_preload_offset 0
		.amdhsa_user_sgpr_private_segment_size 0
		.amdhsa_uses_dynamic_stack 0
		.amdhsa_system_sgpr_private_segment_wavefront_offset 0
		.amdhsa_system_sgpr_workgroup_id_x 1
		.amdhsa_system_sgpr_workgroup_id_y 0
		.amdhsa_system_sgpr_workgroup_id_z 0
		.amdhsa_system_sgpr_workgroup_info 0
		.amdhsa_system_vgpr_workitem_id 0
		.amdhsa_next_free_vgpr 1
		.amdhsa_next_free_sgpr 0
		.amdhsa_accum_offset 4
		.amdhsa_reserve_vcc 0
		.amdhsa_reserve_flat_scratch 0
		.amdhsa_float_round_mode_32 0
		.amdhsa_float_round_mode_16_64 0
		.amdhsa_float_denorm_mode_32 3
		.amdhsa_float_denorm_mode_16_64 3
		.amdhsa_dx10_clamp 1
		.amdhsa_ieee_mode 1
		.amdhsa_fp16_overflow 0
		.amdhsa_tg_split 0
		.amdhsa_exception_fp_ieee_invalid_op 0
		.amdhsa_exception_fp_denorm_src 0
		.amdhsa_exception_fp_ieee_div_zero 0
		.amdhsa_exception_fp_ieee_overflow 0
		.amdhsa_exception_fp_ieee_underflow 0
		.amdhsa_exception_fp_ieee_inexact 0
		.amdhsa_exception_int_div_zero 0
	.end_amdhsa_kernel
	.section	.text._ZN7rocprim17ROCPRIM_400000_NS6detail17trampoline_kernelINS0_14default_configENS1_25partition_config_selectorILNS1_17partition_subalgoE1EtNS0_10empty_typeEbEEZZNS1_14partition_implILS5_1ELb0ES3_jN6thrust23THRUST_200600_302600_NS6detail15normal_iteratorINSA_10device_ptrItEEEEPS6_NSA_18transform_iteratorI7is_evenItESF_NSA_11use_defaultESK_EENS0_5tupleIJNSA_16discard_iteratorISK_EESF_EEENSM_IJSG_SG_EEES6_PlJS6_EEE10hipError_tPvRmT3_T4_T5_T6_T7_T9_mT8_P12ihipStream_tbDpT10_ENKUlT_T0_E_clISt17integral_constantIbLb0EES1A_IbLb1EEEEDaS16_S17_EUlS16_E_NS1_11comp_targetILNS1_3genE2ELNS1_11target_archE906ELNS1_3gpuE6ELNS1_3repE0EEENS1_30default_config_static_selectorELNS0_4arch9wavefront6targetE1EEEvT1_,"axG",@progbits,_ZN7rocprim17ROCPRIM_400000_NS6detail17trampoline_kernelINS0_14default_configENS1_25partition_config_selectorILNS1_17partition_subalgoE1EtNS0_10empty_typeEbEEZZNS1_14partition_implILS5_1ELb0ES3_jN6thrust23THRUST_200600_302600_NS6detail15normal_iteratorINSA_10device_ptrItEEEEPS6_NSA_18transform_iteratorI7is_evenItESF_NSA_11use_defaultESK_EENS0_5tupleIJNSA_16discard_iteratorISK_EESF_EEENSM_IJSG_SG_EEES6_PlJS6_EEE10hipError_tPvRmT3_T4_T5_T6_T7_T9_mT8_P12ihipStream_tbDpT10_ENKUlT_T0_E_clISt17integral_constantIbLb0EES1A_IbLb1EEEEDaS16_S17_EUlS16_E_NS1_11comp_targetILNS1_3genE2ELNS1_11target_archE906ELNS1_3gpuE6ELNS1_3repE0EEENS1_30default_config_static_selectorELNS0_4arch9wavefront6targetE1EEEvT1_,comdat
.Lfunc_end3159:
	.size	_ZN7rocprim17ROCPRIM_400000_NS6detail17trampoline_kernelINS0_14default_configENS1_25partition_config_selectorILNS1_17partition_subalgoE1EtNS0_10empty_typeEbEEZZNS1_14partition_implILS5_1ELb0ES3_jN6thrust23THRUST_200600_302600_NS6detail15normal_iteratorINSA_10device_ptrItEEEEPS6_NSA_18transform_iteratorI7is_evenItESF_NSA_11use_defaultESK_EENS0_5tupleIJNSA_16discard_iteratorISK_EESF_EEENSM_IJSG_SG_EEES6_PlJS6_EEE10hipError_tPvRmT3_T4_T5_T6_T7_T9_mT8_P12ihipStream_tbDpT10_ENKUlT_T0_E_clISt17integral_constantIbLb0EES1A_IbLb1EEEEDaS16_S17_EUlS16_E_NS1_11comp_targetILNS1_3genE2ELNS1_11target_archE906ELNS1_3gpuE6ELNS1_3repE0EEENS1_30default_config_static_selectorELNS0_4arch9wavefront6targetE1EEEvT1_, .Lfunc_end3159-_ZN7rocprim17ROCPRIM_400000_NS6detail17trampoline_kernelINS0_14default_configENS1_25partition_config_selectorILNS1_17partition_subalgoE1EtNS0_10empty_typeEbEEZZNS1_14partition_implILS5_1ELb0ES3_jN6thrust23THRUST_200600_302600_NS6detail15normal_iteratorINSA_10device_ptrItEEEEPS6_NSA_18transform_iteratorI7is_evenItESF_NSA_11use_defaultESK_EENS0_5tupleIJNSA_16discard_iteratorISK_EESF_EEENSM_IJSG_SG_EEES6_PlJS6_EEE10hipError_tPvRmT3_T4_T5_T6_T7_T9_mT8_P12ihipStream_tbDpT10_ENKUlT_T0_E_clISt17integral_constantIbLb0EES1A_IbLb1EEEEDaS16_S17_EUlS16_E_NS1_11comp_targetILNS1_3genE2ELNS1_11target_archE906ELNS1_3gpuE6ELNS1_3repE0EEENS1_30default_config_static_selectorELNS0_4arch9wavefront6targetE1EEEvT1_
                                        ; -- End function
	.section	.AMDGPU.csdata,"",@progbits
; Kernel info:
; codeLenInByte = 0
; NumSgprs: 4
; NumVgprs: 0
; NumAgprs: 0
; TotalNumVgprs: 0
; ScratchSize: 0
; MemoryBound: 0
; FloatMode: 240
; IeeeMode: 1
; LDSByteSize: 0 bytes/workgroup (compile time only)
; SGPRBlocks: 0
; VGPRBlocks: 0
; NumSGPRsForWavesPerEU: 4
; NumVGPRsForWavesPerEU: 1
; AccumOffset: 4
; Occupancy: 8
; WaveLimiterHint : 0
; COMPUTE_PGM_RSRC2:SCRATCH_EN: 0
; COMPUTE_PGM_RSRC2:USER_SGPR: 6
; COMPUTE_PGM_RSRC2:TRAP_HANDLER: 0
; COMPUTE_PGM_RSRC2:TGID_X_EN: 1
; COMPUTE_PGM_RSRC2:TGID_Y_EN: 0
; COMPUTE_PGM_RSRC2:TGID_Z_EN: 0
; COMPUTE_PGM_RSRC2:TIDIG_COMP_CNT: 0
; COMPUTE_PGM_RSRC3_GFX90A:ACCUM_OFFSET: 0
; COMPUTE_PGM_RSRC3_GFX90A:TG_SPLIT: 0
	.section	.text._ZN7rocprim17ROCPRIM_400000_NS6detail17trampoline_kernelINS0_14default_configENS1_25partition_config_selectorILNS1_17partition_subalgoE1EtNS0_10empty_typeEbEEZZNS1_14partition_implILS5_1ELb0ES3_jN6thrust23THRUST_200600_302600_NS6detail15normal_iteratorINSA_10device_ptrItEEEEPS6_NSA_18transform_iteratorI7is_evenItESF_NSA_11use_defaultESK_EENS0_5tupleIJNSA_16discard_iteratorISK_EESF_EEENSM_IJSG_SG_EEES6_PlJS6_EEE10hipError_tPvRmT3_T4_T5_T6_T7_T9_mT8_P12ihipStream_tbDpT10_ENKUlT_T0_E_clISt17integral_constantIbLb0EES1A_IbLb1EEEEDaS16_S17_EUlS16_E_NS1_11comp_targetILNS1_3genE10ELNS1_11target_archE1200ELNS1_3gpuE4ELNS1_3repE0EEENS1_30default_config_static_selectorELNS0_4arch9wavefront6targetE1EEEvT1_,"axG",@progbits,_ZN7rocprim17ROCPRIM_400000_NS6detail17trampoline_kernelINS0_14default_configENS1_25partition_config_selectorILNS1_17partition_subalgoE1EtNS0_10empty_typeEbEEZZNS1_14partition_implILS5_1ELb0ES3_jN6thrust23THRUST_200600_302600_NS6detail15normal_iteratorINSA_10device_ptrItEEEEPS6_NSA_18transform_iteratorI7is_evenItESF_NSA_11use_defaultESK_EENS0_5tupleIJNSA_16discard_iteratorISK_EESF_EEENSM_IJSG_SG_EEES6_PlJS6_EEE10hipError_tPvRmT3_T4_T5_T6_T7_T9_mT8_P12ihipStream_tbDpT10_ENKUlT_T0_E_clISt17integral_constantIbLb0EES1A_IbLb1EEEEDaS16_S17_EUlS16_E_NS1_11comp_targetILNS1_3genE10ELNS1_11target_archE1200ELNS1_3gpuE4ELNS1_3repE0EEENS1_30default_config_static_selectorELNS0_4arch9wavefront6targetE1EEEvT1_,comdat
	.protected	_ZN7rocprim17ROCPRIM_400000_NS6detail17trampoline_kernelINS0_14default_configENS1_25partition_config_selectorILNS1_17partition_subalgoE1EtNS0_10empty_typeEbEEZZNS1_14partition_implILS5_1ELb0ES3_jN6thrust23THRUST_200600_302600_NS6detail15normal_iteratorINSA_10device_ptrItEEEEPS6_NSA_18transform_iteratorI7is_evenItESF_NSA_11use_defaultESK_EENS0_5tupleIJNSA_16discard_iteratorISK_EESF_EEENSM_IJSG_SG_EEES6_PlJS6_EEE10hipError_tPvRmT3_T4_T5_T6_T7_T9_mT8_P12ihipStream_tbDpT10_ENKUlT_T0_E_clISt17integral_constantIbLb0EES1A_IbLb1EEEEDaS16_S17_EUlS16_E_NS1_11comp_targetILNS1_3genE10ELNS1_11target_archE1200ELNS1_3gpuE4ELNS1_3repE0EEENS1_30default_config_static_selectorELNS0_4arch9wavefront6targetE1EEEvT1_ ; -- Begin function _ZN7rocprim17ROCPRIM_400000_NS6detail17trampoline_kernelINS0_14default_configENS1_25partition_config_selectorILNS1_17partition_subalgoE1EtNS0_10empty_typeEbEEZZNS1_14partition_implILS5_1ELb0ES3_jN6thrust23THRUST_200600_302600_NS6detail15normal_iteratorINSA_10device_ptrItEEEEPS6_NSA_18transform_iteratorI7is_evenItESF_NSA_11use_defaultESK_EENS0_5tupleIJNSA_16discard_iteratorISK_EESF_EEENSM_IJSG_SG_EEES6_PlJS6_EEE10hipError_tPvRmT3_T4_T5_T6_T7_T9_mT8_P12ihipStream_tbDpT10_ENKUlT_T0_E_clISt17integral_constantIbLb0EES1A_IbLb1EEEEDaS16_S17_EUlS16_E_NS1_11comp_targetILNS1_3genE10ELNS1_11target_archE1200ELNS1_3gpuE4ELNS1_3repE0EEENS1_30default_config_static_selectorELNS0_4arch9wavefront6targetE1EEEvT1_
	.globl	_ZN7rocprim17ROCPRIM_400000_NS6detail17trampoline_kernelINS0_14default_configENS1_25partition_config_selectorILNS1_17partition_subalgoE1EtNS0_10empty_typeEbEEZZNS1_14partition_implILS5_1ELb0ES3_jN6thrust23THRUST_200600_302600_NS6detail15normal_iteratorINSA_10device_ptrItEEEEPS6_NSA_18transform_iteratorI7is_evenItESF_NSA_11use_defaultESK_EENS0_5tupleIJNSA_16discard_iteratorISK_EESF_EEENSM_IJSG_SG_EEES6_PlJS6_EEE10hipError_tPvRmT3_T4_T5_T6_T7_T9_mT8_P12ihipStream_tbDpT10_ENKUlT_T0_E_clISt17integral_constantIbLb0EES1A_IbLb1EEEEDaS16_S17_EUlS16_E_NS1_11comp_targetILNS1_3genE10ELNS1_11target_archE1200ELNS1_3gpuE4ELNS1_3repE0EEENS1_30default_config_static_selectorELNS0_4arch9wavefront6targetE1EEEvT1_
	.p2align	8
	.type	_ZN7rocprim17ROCPRIM_400000_NS6detail17trampoline_kernelINS0_14default_configENS1_25partition_config_selectorILNS1_17partition_subalgoE1EtNS0_10empty_typeEbEEZZNS1_14partition_implILS5_1ELb0ES3_jN6thrust23THRUST_200600_302600_NS6detail15normal_iteratorINSA_10device_ptrItEEEEPS6_NSA_18transform_iteratorI7is_evenItESF_NSA_11use_defaultESK_EENS0_5tupleIJNSA_16discard_iteratorISK_EESF_EEENSM_IJSG_SG_EEES6_PlJS6_EEE10hipError_tPvRmT3_T4_T5_T6_T7_T9_mT8_P12ihipStream_tbDpT10_ENKUlT_T0_E_clISt17integral_constantIbLb0EES1A_IbLb1EEEEDaS16_S17_EUlS16_E_NS1_11comp_targetILNS1_3genE10ELNS1_11target_archE1200ELNS1_3gpuE4ELNS1_3repE0EEENS1_30default_config_static_selectorELNS0_4arch9wavefront6targetE1EEEvT1_,@function
_ZN7rocprim17ROCPRIM_400000_NS6detail17trampoline_kernelINS0_14default_configENS1_25partition_config_selectorILNS1_17partition_subalgoE1EtNS0_10empty_typeEbEEZZNS1_14partition_implILS5_1ELb0ES3_jN6thrust23THRUST_200600_302600_NS6detail15normal_iteratorINSA_10device_ptrItEEEEPS6_NSA_18transform_iteratorI7is_evenItESF_NSA_11use_defaultESK_EENS0_5tupleIJNSA_16discard_iteratorISK_EESF_EEENSM_IJSG_SG_EEES6_PlJS6_EEE10hipError_tPvRmT3_T4_T5_T6_T7_T9_mT8_P12ihipStream_tbDpT10_ENKUlT_T0_E_clISt17integral_constantIbLb0EES1A_IbLb1EEEEDaS16_S17_EUlS16_E_NS1_11comp_targetILNS1_3genE10ELNS1_11target_archE1200ELNS1_3gpuE4ELNS1_3repE0EEENS1_30default_config_static_selectorELNS0_4arch9wavefront6targetE1EEEvT1_: ; @_ZN7rocprim17ROCPRIM_400000_NS6detail17trampoline_kernelINS0_14default_configENS1_25partition_config_selectorILNS1_17partition_subalgoE1EtNS0_10empty_typeEbEEZZNS1_14partition_implILS5_1ELb0ES3_jN6thrust23THRUST_200600_302600_NS6detail15normal_iteratorINSA_10device_ptrItEEEEPS6_NSA_18transform_iteratorI7is_evenItESF_NSA_11use_defaultESK_EENS0_5tupleIJNSA_16discard_iteratorISK_EESF_EEENSM_IJSG_SG_EEES6_PlJS6_EEE10hipError_tPvRmT3_T4_T5_T6_T7_T9_mT8_P12ihipStream_tbDpT10_ENKUlT_T0_E_clISt17integral_constantIbLb0EES1A_IbLb1EEEEDaS16_S17_EUlS16_E_NS1_11comp_targetILNS1_3genE10ELNS1_11target_archE1200ELNS1_3gpuE4ELNS1_3repE0EEENS1_30default_config_static_selectorELNS0_4arch9wavefront6targetE1EEEvT1_
; %bb.0:
	.section	.rodata,"a",@progbits
	.p2align	6, 0x0
	.amdhsa_kernel _ZN7rocprim17ROCPRIM_400000_NS6detail17trampoline_kernelINS0_14default_configENS1_25partition_config_selectorILNS1_17partition_subalgoE1EtNS0_10empty_typeEbEEZZNS1_14partition_implILS5_1ELb0ES3_jN6thrust23THRUST_200600_302600_NS6detail15normal_iteratorINSA_10device_ptrItEEEEPS6_NSA_18transform_iteratorI7is_evenItESF_NSA_11use_defaultESK_EENS0_5tupleIJNSA_16discard_iteratorISK_EESF_EEENSM_IJSG_SG_EEES6_PlJS6_EEE10hipError_tPvRmT3_T4_T5_T6_T7_T9_mT8_P12ihipStream_tbDpT10_ENKUlT_T0_E_clISt17integral_constantIbLb0EES1A_IbLb1EEEEDaS16_S17_EUlS16_E_NS1_11comp_targetILNS1_3genE10ELNS1_11target_archE1200ELNS1_3gpuE4ELNS1_3repE0EEENS1_30default_config_static_selectorELNS0_4arch9wavefront6targetE1EEEvT1_
		.amdhsa_group_segment_fixed_size 0
		.amdhsa_private_segment_fixed_size 0
		.amdhsa_kernarg_size 152
		.amdhsa_user_sgpr_count 6
		.amdhsa_user_sgpr_private_segment_buffer 1
		.amdhsa_user_sgpr_dispatch_ptr 0
		.amdhsa_user_sgpr_queue_ptr 0
		.amdhsa_user_sgpr_kernarg_segment_ptr 1
		.amdhsa_user_sgpr_dispatch_id 0
		.amdhsa_user_sgpr_flat_scratch_init 0
		.amdhsa_user_sgpr_kernarg_preload_length 0
		.amdhsa_user_sgpr_kernarg_preload_offset 0
		.amdhsa_user_sgpr_private_segment_size 0
		.amdhsa_uses_dynamic_stack 0
		.amdhsa_system_sgpr_private_segment_wavefront_offset 0
		.amdhsa_system_sgpr_workgroup_id_x 1
		.amdhsa_system_sgpr_workgroup_id_y 0
		.amdhsa_system_sgpr_workgroup_id_z 0
		.amdhsa_system_sgpr_workgroup_info 0
		.amdhsa_system_vgpr_workitem_id 0
		.amdhsa_next_free_vgpr 1
		.amdhsa_next_free_sgpr 0
		.amdhsa_accum_offset 4
		.amdhsa_reserve_vcc 0
		.amdhsa_reserve_flat_scratch 0
		.amdhsa_float_round_mode_32 0
		.amdhsa_float_round_mode_16_64 0
		.amdhsa_float_denorm_mode_32 3
		.amdhsa_float_denorm_mode_16_64 3
		.amdhsa_dx10_clamp 1
		.amdhsa_ieee_mode 1
		.amdhsa_fp16_overflow 0
		.amdhsa_tg_split 0
		.amdhsa_exception_fp_ieee_invalid_op 0
		.amdhsa_exception_fp_denorm_src 0
		.amdhsa_exception_fp_ieee_div_zero 0
		.amdhsa_exception_fp_ieee_overflow 0
		.amdhsa_exception_fp_ieee_underflow 0
		.amdhsa_exception_fp_ieee_inexact 0
		.amdhsa_exception_int_div_zero 0
	.end_amdhsa_kernel
	.section	.text._ZN7rocprim17ROCPRIM_400000_NS6detail17trampoline_kernelINS0_14default_configENS1_25partition_config_selectorILNS1_17partition_subalgoE1EtNS0_10empty_typeEbEEZZNS1_14partition_implILS5_1ELb0ES3_jN6thrust23THRUST_200600_302600_NS6detail15normal_iteratorINSA_10device_ptrItEEEEPS6_NSA_18transform_iteratorI7is_evenItESF_NSA_11use_defaultESK_EENS0_5tupleIJNSA_16discard_iteratorISK_EESF_EEENSM_IJSG_SG_EEES6_PlJS6_EEE10hipError_tPvRmT3_T4_T5_T6_T7_T9_mT8_P12ihipStream_tbDpT10_ENKUlT_T0_E_clISt17integral_constantIbLb0EES1A_IbLb1EEEEDaS16_S17_EUlS16_E_NS1_11comp_targetILNS1_3genE10ELNS1_11target_archE1200ELNS1_3gpuE4ELNS1_3repE0EEENS1_30default_config_static_selectorELNS0_4arch9wavefront6targetE1EEEvT1_,"axG",@progbits,_ZN7rocprim17ROCPRIM_400000_NS6detail17trampoline_kernelINS0_14default_configENS1_25partition_config_selectorILNS1_17partition_subalgoE1EtNS0_10empty_typeEbEEZZNS1_14partition_implILS5_1ELb0ES3_jN6thrust23THRUST_200600_302600_NS6detail15normal_iteratorINSA_10device_ptrItEEEEPS6_NSA_18transform_iteratorI7is_evenItESF_NSA_11use_defaultESK_EENS0_5tupleIJNSA_16discard_iteratorISK_EESF_EEENSM_IJSG_SG_EEES6_PlJS6_EEE10hipError_tPvRmT3_T4_T5_T6_T7_T9_mT8_P12ihipStream_tbDpT10_ENKUlT_T0_E_clISt17integral_constantIbLb0EES1A_IbLb1EEEEDaS16_S17_EUlS16_E_NS1_11comp_targetILNS1_3genE10ELNS1_11target_archE1200ELNS1_3gpuE4ELNS1_3repE0EEENS1_30default_config_static_selectorELNS0_4arch9wavefront6targetE1EEEvT1_,comdat
.Lfunc_end3160:
	.size	_ZN7rocprim17ROCPRIM_400000_NS6detail17trampoline_kernelINS0_14default_configENS1_25partition_config_selectorILNS1_17partition_subalgoE1EtNS0_10empty_typeEbEEZZNS1_14partition_implILS5_1ELb0ES3_jN6thrust23THRUST_200600_302600_NS6detail15normal_iteratorINSA_10device_ptrItEEEEPS6_NSA_18transform_iteratorI7is_evenItESF_NSA_11use_defaultESK_EENS0_5tupleIJNSA_16discard_iteratorISK_EESF_EEENSM_IJSG_SG_EEES6_PlJS6_EEE10hipError_tPvRmT3_T4_T5_T6_T7_T9_mT8_P12ihipStream_tbDpT10_ENKUlT_T0_E_clISt17integral_constantIbLb0EES1A_IbLb1EEEEDaS16_S17_EUlS16_E_NS1_11comp_targetILNS1_3genE10ELNS1_11target_archE1200ELNS1_3gpuE4ELNS1_3repE0EEENS1_30default_config_static_selectorELNS0_4arch9wavefront6targetE1EEEvT1_, .Lfunc_end3160-_ZN7rocprim17ROCPRIM_400000_NS6detail17trampoline_kernelINS0_14default_configENS1_25partition_config_selectorILNS1_17partition_subalgoE1EtNS0_10empty_typeEbEEZZNS1_14partition_implILS5_1ELb0ES3_jN6thrust23THRUST_200600_302600_NS6detail15normal_iteratorINSA_10device_ptrItEEEEPS6_NSA_18transform_iteratorI7is_evenItESF_NSA_11use_defaultESK_EENS0_5tupleIJNSA_16discard_iteratorISK_EESF_EEENSM_IJSG_SG_EEES6_PlJS6_EEE10hipError_tPvRmT3_T4_T5_T6_T7_T9_mT8_P12ihipStream_tbDpT10_ENKUlT_T0_E_clISt17integral_constantIbLb0EES1A_IbLb1EEEEDaS16_S17_EUlS16_E_NS1_11comp_targetILNS1_3genE10ELNS1_11target_archE1200ELNS1_3gpuE4ELNS1_3repE0EEENS1_30default_config_static_selectorELNS0_4arch9wavefront6targetE1EEEvT1_
                                        ; -- End function
	.section	.AMDGPU.csdata,"",@progbits
; Kernel info:
; codeLenInByte = 0
; NumSgprs: 4
; NumVgprs: 0
; NumAgprs: 0
; TotalNumVgprs: 0
; ScratchSize: 0
; MemoryBound: 0
; FloatMode: 240
; IeeeMode: 1
; LDSByteSize: 0 bytes/workgroup (compile time only)
; SGPRBlocks: 0
; VGPRBlocks: 0
; NumSGPRsForWavesPerEU: 4
; NumVGPRsForWavesPerEU: 1
; AccumOffset: 4
; Occupancy: 8
; WaveLimiterHint : 0
; COMPUTE_PGM_RSRC2:SCRATCH_EN: 0
; COMPUTE_PGM_RSRC2:USER_SGPR: 6
; COMPUTE_PGM_RSRC2:TRAP_HANDLER: 0
; COMPUTE_PGM_RSRC2:TGID_X_EN: 1
; COMPUTE_PGM_RSRC2:TGID_Y_EN: 0
; COMPUTE_PGM_RSRC2:TGID_Z_EN: 0
; COMPUTE_PGM_RSRC2:TIDIG_COMP_CNT: 0
; COMPUTE_PGM_RSRC3_GFX90A:ACCUM_OFFSET: 0
; COMPUTE_PGM_RSRC3_GFX90A:TG_SPLIT: 0
	.section	.text._ZN7rocprim17ROCPRIM_400000_NS6detail17trampoline_kernelINS0_14default_configENS1_25partition_config_selectorILNS1_17partition_subalgoE1EtNS0_10empty_typeEbEEZZNS1_14partition_implILS5_1ELb0ES3_jN6thrust23THRUST_200600_302600_NS6detail15normal_iteratorINSA_10device_ptrItEEEEPS6_NSA_18transform_iteratorI7is_evenItESF_NSA_11use_defaultESK_EENS0_5tupleIJNSA_16discard_iteratorISK_EESF_EEENSM_IJSG_SG_EEES6_PlJS6_EEE10hipError_tPvRmT3_T4_T5_T6_T7_T9_mT8_P12ihipStream_tbDpT10_ENKUlT_T0_E_clISt17integral_constantIbLb0EES1A_IbLb1EEEEDaS16_S17_EUlS16_E_NS1_11comp_targetILNS1_3genE9ELNS1_11target_archE1100ELNS1_3gpuE3ELNS1_3repE0EEENS1_30default_config_static_selectorELNS0_4arch9wavefront6targetE1EEEvT1_,"axG",@progbits,_ZN7rocprim17ROCPRIM_400000_NS6detail17trampoline_kernelINS0_14default_configENS1_25partition_config_selectorILNS1_17partition_subalgoE1EtNS0_10empty_typeEbEEZZNS1_14partition_implILS5_1ELb0ES3_jN6thrust23THRUST_200600_302600_NS6detail15normal_iteratorINSA_10device_ptrItEEEEPS6_NSA_18transform_iteratorI7is_evenItESF_NSA_11use_defaultESK_EENS0_5tupleIJNSA_16discard_iteratorISK_EESF_EEENSM_IJSG_SG_EEES6_PlJS6_EEE10hipError_tPvRmT3_T4_T5_T6_T7_T9_mT8_P12ihipStream_tbDpT10_ENKUlT_T0_E_clISt17integral_constantIbLb0EES1A_IbLb1EEEEDaS16_S17_EUlS16_E_NS1_11comp_targetILNS1_3genE9ELNS1_11target_archE1100ELNS1_3gpuE3ELNS1_3repE0EEENS1_30default_config_static_selectorELNS0_4arch9wavefront6targetE1EEEvT1_,comdat
	.protected	_ZN7rocprim17ROCPRIM_400000_NS6detail17trampoline_kernelINS0_14default_configENS1_25partition_config_selectorILNS1_17partition_subalgoE1EtNS0_10empty_typeEbEEZZNS1_14partition_implILS5_1ELb0ES3_jN6thrust23THRUST_200600_302600_NS6detail15normal_iteratorINSA_10device_ptrItEEEEPS6_NSA_18transform_iteratorI7is_evenItESF_NSA_11use_defaultESK_EENS0_5tupleIJNSA_16discard_iteratorISK_EESF_EEENSM_IJSG_SG_EEES6_PlJS6_EEE10hipError_tPvRmT3_T4_T5_T6_T7_T9_mT8_P12ihipStream_tbDpT10_ENKUlT_T0_E_clISt17integral_constantIbLb0EES1A_IbLb1EEEEDaS16_S17_EUlS16_E_NS1_11comp_targetILNS1_3genE9ELNS1_11target_archE1100ELNS1_3gpuE3ELNS1_3repE0EEENS1_30default_config_static_selectorELNS0_4arch9wavefront6targetE1EEEvT1_ ; -- Begin function _ZN7rocprim17ROCPRIM_400000_NS6detail17trampoline_kernelINS0_14default_configENS1_25partition_config_selectorILNS1_17partition_subalgoE1EtNS0_10empty_typeEbEEZZNS1_14partition_implILS5_1ELb0ES3_jN6thrust23THRUST_200600_302600_NS6detail15normal_iteratorINSA_10device_ptrItEEEEPS6_NSA_18transform_iteratorI7is_evenItESF_NSA_11use_defaultESK_EENS0_5tupleIJNSA_16discard_iteratorISK_EESF_EEENSM_IJSG_SG_EEES6_PlJS6_EEE10hipError_tPvRmT3_T4_T5_T6_T7_T9_mT8_P12ihipStream_tbDpT10_ENKUlT_T0_E_clISt17integral_constantIbLb0EES1A_IbLb1EEEEDaS16_S17_EUlS16_E_NS1_11comp_targetILNS1_3genE9ELNS1_11target_archE1100ELNS1_3gpuE3ELNS1_3repE0EEENS1_30default_config_static_selectorELNS0_4arch9wavefront6targetE1EEEvT1_
	.globl	_ZN7rocprim17ROCPRIM_400000_NS6detail17trampoline_kernelINS0_14default_configENS1_25partition_config_selectorILNS1_17partition_subalgoE1EtNS0_10empty_typeEbEEZZNS1_14partition_implILS5_1ELb0ES3_jN6thrust23THRUST_200600_302600_NS6detail15normal_iteratorINSA_10device_ptrItEEEEPS6_NSA_18transform_iteratorI7is_evenItESF_NSA_11use_defaultESK_EENS0_5tupleIJNSA_16discard_iteratorISK_EESF_EEENSM_IJSG_SG_EEES6_PlJS6_EEE10hipError_tPvRmT3_T4_T5_T6_T7_T9_mT8_P12ihipStream_tbDpT10_ENKUlT_T0_E_clISt17integral_constantIbLb0EES1A_IbLb1EEEEDaS16_S17_EUlS16_E_NS1_11comp_targetILNS1_3genE9ELNS1_11target_archE1100ELNS1_3gpuE3ELNS1_3repE0EEENS1_30default_config_static_selectorELNS0_4arch9wavefront6targetE1EEEvT1_
	.p2align	8
	.type	_ZN7rocprim17ROCPRIM_400000_NS6detail17trampoline_kernelINS0_14default_configENS1_25partition_config_selectorILNS1_17partition_subalgoE1EtNS0_10empty_typeEbEEZZNS1_14partition_implILS5_1ELb0ES3_jN6thrust23THRUST_200600_302600_NS6detail15normal_iteratorINSA_10device_ptrItEEEEPS6_NSA_18transform_iteratorI7is_evenItESF_NSA_11use_defaultESK_EENS0_5tupleIJNSA_16discard_iteratorISK_EESF_EEENSM_IJSG_SG_EEES6_PlJS6_EEE10hipError_tPvRmT3_T4_T5_T6_T7_T9_mT8_P12ihipStream_tbDpT10_ENKUlT_T0_E_clISt17integral_constantIbLb0EES1A_IbLb1EEEEDaS16_S17_EUlS16_E_NS1_11comp_targetILNS1_3genE9ELNS1_11target_archE1100ELNS1_3gpuE3ELNS1_3repE0EEENS1_30default_config_static_selectorELNS0_4arch9wavefront6targetE1EEEvT1_,@function
_ZN7rocprim17ROCPRIM_400000_NS6detail17trampoline_kernelINS0_14default_configENS1_25partition_config_selectorILNS1_17partition_subalgoE1EtNS0_10empty_typeEbEEZZNS1_14partition_implILS5_1ELb0ES3_jN6thrust23THRUST_200600_302600_NS6detail15normal_iteratorINSA_10device_ptrItEEEEPS6_NSA_18transform_iteratorI7is_evenItESF_NSA_11use_defaultESK_EENS0_5tupleIJNSA_16discard_iteratorISK_EESF_EEENSM_IJSG_SG_EEES6_PlJS6_EEE10hipError_tPvRmT3_T4_T5_T6_T7_T9_mT8_P12ihipStream_tbDpT10_ENKUlT_T0_E_clISt17integral_constantIbLb0EES1A_IbLb1EEEEDaS16_S17_EUlS16_E_NS1_11comp_targetILNS1_3genE9ELNS1_11target_archE1100ELNS1_3gpuE3ELNS1_3repE0EEENS1_30default_config_static_selectorELNS0_4arch9wavefront6targetE1EEEvT1_: ; @_ZN7rocprim17ROCPRIM_400000_NS6detail17trampoline_kernelINS0_14default_configENS1_25partition_config_selectorILNS1_17partition_subalgoE1EtNS0_10empty_typeEbEEZZNS1_14partition_implILS5_1ELb0ES3_jN6thrust23THRUST_200600_302600_NS6detail15normal_iteratorINSA_10device_ptrItEEEEPS6_NSA_18transform_iteratorI7is_evenItESF_NSA_11use_defaultESK_EENS0_5tupleIJNSA_16discard_iteratorISK_EESF_EEENSM_IJSG_SG_EEES6_PlJS6_EEE10hipError_tPvRmT3_T4_T5_T6_T7_T9_mT8_P12ihipStream_tbDpT10_ENKUlT_T0_E_clISt17integral_constantIbLb0EES1A_IbLb1EEEEDaS16_S17_EUlS16_E_NS1_11comp_targetILNS1_3genE9ELNS1_11target_archE1100ELNS1_3gpuE3ELNS1_3repE0EEENS1_30default_config_static_selectorELNS0_4arch9wavefront6targetE1EEEvT1_
; %bb.0:
	.section	.rodata,"a",@progbits
	.p2align	6, 0x0
	.amdhsa_kernel _ZN7rocprim17ROCPRIM_400000_NS6detail17trampoline_kernelINS0_14default_configENS1_25partition_config_selectorILNS1_17partition_subalgoE1EtNS0_10empty_typeEbEEZZNS1_14partition_implILS5_1ELb0ES3_jN6thrust23THRUST_200600_302600_NS6detail15normal_iteratorINSA_10device_ptrItEEEEPS6_NSA_18transform_iteratorI7is_evenItESF_NSA_11use_defaultESK_EENS0_5tupleIJNSA_16discard_iteratorISK_EESF_EEENSM_IJSG_SG_EEES6_PlJS6_EEE10hipError_tPvRmT3_T4_T5_T6_T7_T9_mT8_P12ihipStream_tbDpT10_ENKUlT_T0_E_clISt17integral_constantIbLb0EES1A_IbLb1EEEEDaS16_S17_EUlS16_E_NS1_11comp_targetILNS1_3genE9ELNS1_11target_archE1100ELNS1_3gpuE3ELNS1_3repE0EEENS1_30default_config_static_selectorELNS0_4arch9wavefront6targetE1EEEvT1_
		.amdhsa_group_segment_fixed_size 0
		.amdhsa_private_segment_fixed_size 0
		.amdhsa_kernarg_size 152
		.amdhsa_user_sgpr_count 6
		.amdhsa_user_sgpr_private_segment_buffer 1
		.amdhsa_user_sgpr_dispatch_ptr 0
		.amdhsa_user_sgpr_queue_ptr 0
		.amdhsa_user_sgpr_kernarg_segment_ptr 1
		.amdhsa_user_sgpr_dispatch_id 0
		.amdhsa_user_sgpr_flat_scratch_init 0
		.amdhsa_user_sgpr_kernarg_preload_length 0
		.amdhsa_user_sgpr_kernarg_preload_offset 0
		.amdhsa_user_sgpr_private_segment_size 0
		.amdhsa_uses_dynamic_stack 0
		.amdhsa_system_sgpr_private_segment_wavefront_offset 0
		.amdhsa_system_sgpr_workgroup_id_x 1
		.amdhsa_system_sgpr_workgroup_id_y 0
		.amdhsa_system_sgpr_workgroup_id_z 0
		.amdhsa_system_sgpr_workgroup_info 0
		.amdhsa_system_vgpr_workitem_id 0
		.amdhsa_next_free_vgpr 1
		.amdhsa_next_free_sgpr 0
		.amdhsa_accum_offset 4
		.amdhsa_reserve_vcc 0
		.amdhsa_reserve_flat_scratch 0
		.amdhsa_float_round_mode_32 0
		.amdhsa_float_round_mode_16_64 0
		.amdhsa_float_denorm_mode_32 3
		.amdhsa_float_denorm_mode_16_64 3
		.amdhsa_dx10_clamp 1
		.amdhsa_ieee_mode 1
		.amdhsa_fp16_overflow 0
		.amdhsa_tg_split 0
		.amdhsa_exception_fp_ieee_invalid_op 0
		.amdhsa_exception_fp_denorm_src 0
		.amdhsa_exception_fp_ieee_div_zero 0
		.amdhsa_exception_fp_ieee_overflow 0
		.amdhsa_exception_fp_ieee_underflow 0
		.amdhsa_exception_fp_ieee_inexact 0
		.amdhsa_exception_int_div_zero 0
	.end_amdhsa_kernel
	.section	.text._ZN7rocprim17ROCPRIM_400000_NS6detail17trampoline_kernelINS0_14default_configENS1_25partition_config_selectorILNS1_17partition_subalgoE1EtNS0_10empty_typeEbEEZZNS1_14partition_implILS5_1ELb0ES3_jN6thrust23THRUST_200600_302600_NS6detail15normal_iteratorINSA_10device_ptrItEEEEPS6_NSA_18transform_iteratorI7is_evenItESF_NSA_11use_defaultESK_EENS0_5tupleIJNSA_16discard_iteratorISK_EESF_EEENSM_IJSG_SG_EEES6_PlJS6_EEE10hipError_tPvRmT3_T4_T5_T6_T7_T9_mT8_P12ihipStream_tbDpT10_ENKUlT_T0_E_clISt17integral_constantIbLb0EES1A_IbLb1EEEEDaS16_S17_EUlS16_E_NS1_11comp_targetILNS1_3genE9ELNS1_11target_archE1100ELNS1_3gpuE3ELNS1_3repE0EEENS1_30default_config_static_selectorELNS0_4arch9wavefront6targetE1EEEvT1_,"axG",@progbits,_ZN7rocprim17ROCPRIM_400000_NS6detail17trampoline_kernelINS0_14default_configENS1_25partition_config_selectorILNS1_17partition_subalgoE1EtNS0_10empty_typeEbEEZZNS1_14partition_implILS5_1ELb0ES3_jN6thrust23THRUST_200600_302600_NS6detail15normal_iteratorINSA_10device_ptrItEEEEPS6_NSA_18transform_iteratorI7is_evenItESF_NSA_11use_defaultESK_EENS0_5tupleIJNSA_16discard_iteratorISK_EESF_EEENSM_IJSG_SG_EEES6_PlJS6_EEE10hipError_tPvRmT3_T4_T5_T6_T7_T9_mT8_P12ihipStream_tbDpT10_ENKUlT_T0_E_clISt17integral_constantIbLb0EES1A_IbLb1EEEEDaS16_S17_EUlS16_E_NS1_11comp_targetILNS1_3genE9ELNS1_11target_archE1100ELNS1_3gpuE3ELNS1_3repE0EEENS1_30default_config_static_selectorELNS0_4arch9wavefront6targetE1EEEvT1_,comdat
.Lfunc_end3161:
	.size	_ZN7rocprim17ROCPRIM_400000_NS6detail17trampoline_kernelINS0_14default_configENS1_25partition_config_selectorILNS1_17partition_subalgoE1EtNS0_10empty_typeEbEEZZNS1_14partition_implILS5_1ELb0ES3_jN6thrust23THRUST_200600_302600_NS6detail15normal_iteratorINSA_10device_ptrItEEEEPS6_NSA_18transform_iteratorI7is_evenItESF_NSA_11use_defaultESK_EENS0_5tupleIJNSA_16discard_iteratorISK_EESF_EEENSM_IJSG_SG_EEES6_PlJS6_EEE10hipError_tPvRmT3_T4_T5_T6_T7_T9_mT8_P12ihipStream_tbDpT10_ENKUlT_T0_E_clISt17integral_constantIbLb0EES1A_IbLb1EEEEDaS16_S17_EUlS16_E_NS1_11comp_targetILNS1_3genE9ELNS1_11target_archE1100ELNS1_3gpuE3ELNS1_3repE0EEENS1_30default_config_static_selectorELNS0_4arch9wavefront6targetE1EEEvT1_, .Lfunc_end3161-_ZN7rocprim17ROCPRIM_400000_NS6detail17trampoline_kernelINS0_14default_configENS1_25partition_config_selectorILNS1_17partition_subalgoE1EtNS0_10empty_typeEbEEZZNS1_14partition_implILS5_1ELb0ES3_jN6thrust23THRUST_200600_302600_NS6detail15normal_iteratorINSA_10device_ptrItEEEEPS6_NSA_18transform_iteratorI7is_evenItESF_NSA_11use_defaultESK_EENS0_5tupleIJNSA_16discard_iteratorISK_EESF_EEENSM_IJSG_SG_EEES6_PlJS6_EEE10hipError_tPvRmT3_T4_T5_T6_T7_T9_mT8_P12ihipStream_tbDpT10_ENKUlT_T0_E_clISt17integral_constantIbLb0EES1A_IbLb1EEEEDaS16_S17_EUlS16_E_NS1_11comp_targetILNS1_3genE9ELNS1_11target_archE1100ELNS1_3gpuE3ELNS1_3repE0EEENS1_30default_config_static_selectorELNS0_4arch9wavefront6targetE1EEEvT1_
                                        ; -- End function
	.section	.AMDGPU.csdata,"",@progbits
; Kernel info:
; codeLenInByte = 0
; NumSgprs: 4
; NumVgprs: 0
; NumAgprs: 0
; TotalNumVgprs: 0
; ScratchSize: 0
; MemoryBound: 0
; FloatMode: 240
; IeeeMode: 1
; LDSByteSize: 0 bytes/workgroup (compile time only)
; SGPRBlocks: 0
; VGPRBlocks: 0
; NumSGPRsForWavesPerEU: 4
; NumVGPRsForWavesPerEU: 1
; AccumOffset: 4
; Occupancy: 8
; WaveLimiterHint : 0
; COMPUTE_PGM_RSRC2:SCRATCH_EN: 0
; COMPUTE_PGM_RSRC2:USER_SGPR: 6
; COMPUTE_PGM_RSRC2:TRAP_HANDLER: 0
; COMPUTE_PGM_RSRC2:TGID_X_EN: 1
; COMPUTE_PGM_RSRC2:TGID_Y_EN: 0
; COMPUTE_PGM_RSRC2:TGID_Z_EN: 0
; COMPUTE_PGM_RSRC2:TIDIG_COMP_CNT: 0
; COMPUTE_PGM_RSRC3_GFX90A:ACCUM_OFFSET: 0
; COMPUTE_PGM_RSRC3_GFX90A:TG_SPLIT: 0
	.section	.text._ZN7rocprim17ROCPRIM_400000_NS6detail17trampoline_kernelINS0_14default_configENS1_25partition_config_selectorILNS1_17partition_subalgoE1EtNS0_10empty_typeEbEEZZNS1_14partition_implILS5_1ELb0ES3_jN6thrust23THRUST_200600_302600_NS6detail15normal_iteratorINSA_10device_ptrItEEEEPS6_NSA_18transform_iteratorI7is_evenItESF_NSA_11use_defaultESK_EENS0_5tupleIJNSA_16discard_iteratorISK_EESF_EEENSM_IJSG_SG_EEES6_PlJS6_EEE10hipError_tPvRmT3_T4_T5_T6_T7_T9_mT8_P12ihipStream_tbDpT10_ENKUlT_T0_E_clISt17integral_constantIbLb0EES1A_IbLb1EEEEDaS16_S17_EUlS16_E_NS1_11comp_targetILNS1_3genE8ELNS1_11target_archE1030ELNS1_3gpuE2ELNS1_3repE0EEENS1_30default_config_static_selectorELNS0_4arch9wavefront6targetE1EEEvT1_,"axG",@progbits,_ZN7rocprim17ROCPRIM_400000_NS6detail17trampoline_kernelINS0_14default_configENS1_25partition_config_selectorILNS1_17partition_subalgoE1EtNS0_10empty_typeEbEEZZNS1_14partition_implILS5_1ELb0ES3_jN6thrust23THRUST_200600_302600_NS6detail15normal_iteratorINSA_10device_ptrItEEEEPS6_NSA_18transform_iteratorI7is_evenItESF_NSA_11use_defaultESK_EENS0_5tupleIJNSA_16discard_iteratorISK_EESF_EEENSM_IJSG_SG_EEES6_PlJS6_EEE10hipError_tPvRmT3_T4_T5_T6_T7_T9_mT8_P12ihipStream_tbDpT10_ENKUlT_T0_E_clISt17integral_constantIbLb0EES1A_IbLb1EEEEDaS16_S17_EUlS16_E_NS1_11comp_targetILNS1_3genE8ELNS1_11target_archE1030ELNS1_3gpuE2ELNS1_3repE0EEENS1_30default_config_static_selectorELNS0_4arch9wavefront6targetE1EEEvT1_,comdat
	.protected	_ZN7rocprim17ROCPRIM_400000_NS6detail17trampoline_kernelINS0_14default_configENS1_25partition_config_selectorILNS1_17partition_subalgoE1EtNS0_10empty_typeEbEEZZNS1_14partition_implILS5_1ELb0ES3_jN6thrust23THRUST_200600_302600_NS6detail15normal_iteratorINSA_10device_ptrItEEEEPS6_NSA_18transform_iteratorI7is_evenItESF_NSA_11use_defaultESK_EENS0_5tupleIJNSA_16discard_iteratorISK_EESF_EEENSM_IJSG_SG_EEES6_PlJS6_EEE10hipError_tPvRmT3_T4_T5_T6_T7_T9_mT8_P12ihipStream_tbDpT10_ENKUlT_T0_E_clISt17integral_constantIbLb0EES1A_IbLb1EEEEDaS16_S17_EUlS16_E_NS1_11comp_targetILNS1_3genE8ELNS1_11target_archE1030ELNS1_3gpuE2ELNS1_3repE0EEENS1_30default_config_static_selectorELNS0_4arch9wavefront6targetE1EEEvT1_ ; -- Begin function _ZN7rocprim17ROCPRIM_400000_NS6detail17trampoline_kernelINS0_14default_configENS1_25partition_config_selectorILNS1_17partition_subalgoE1EtNS0_10empty_typeEbEEZZNS1_14partition_implILS5_1ELb0ES3_jN6thrust23THRUST_200600_302600_NS6detail15normal_iteratorINSA_10device_ptrItEEEEPS6_NSA_18transform_iteratorI7is_evenItESF_NSA_11use_defaultESK_EENS0_5tupleIJNSA_16discard_iteratorISK_EESF_EEENSM_IJSG_SG_EEES6_PlJS6_EEE10hipError_tPvRmT3_T4_T5_T6_T7_T9_mT8_P12ihipStream_tbDpT10_ENKUlT_T0_E_clISt17integral_constantIbLb0EES1A_IbLb1EEEEDaS16_S17_EUlS16_E_NS1_11comp_targetILNS1_3genE8ELNS1_11target_archE1030ELNS1_3gpuE2ELNS1_3repE0EEENS1_30default_config_static_selectorELNS0_4arch9wavefront6targetE1EEEvT1_
	.globl	_ZN7rocprim17ROCPRIM_400000_NS6detail17trampoline_kernelINS0_14default_configENS1_25partition_config_selectorILNS1_17partition_subalgoE1EtNS0_10empty_typeEbEEZZNS1_14partition_implILS5_1ELb0ES3_jN6thrust23THRUST_200600_302600_NS6detail15normal_iteratorINSA_10device_ptrItEEEEPS6_NSA_18transform_iteratorI7is_evenItESF_NSA_11use_defaultESK_EENS0_5tupleIJNSA_16discard_iteratorISK_EESF_EEENSM_IJSG_SG_EEES6_PlJS6_EEE10hipError_tPvRmT3_T4_T5_T6_T7_T9_mT8_P12ihipStream_tbDpT10_ENKUlT_T0_E_clISt17integral_constantIbLb0EES1A_IbLb1EEEEDaS16_S17_EUlS16_E_NS1_11comp_targetILNS1_3genE8ELNS1_11target_archE1030ELNS1_3gpuE2ELNS1_3repE0EEENS1_30default_config_static_selectorELNS0_4arch9wavefront6targetE1EEEvT1_
	.p2align	8
	.type	_ZN7rocprim17ROCPRIM_400000_NS6detail17trampoline_kernelINS0_14default_configENS1_25partition_config_selectorILNS1_17partition_subalgoE1EtNS0_10empty_typeEbEEZZNS1_14partition_implILS5_1ELb0ES3_jN6thrust23THRUST_200600_302600_NS6detail15normal_iteratorINSA_10device_ptrItEEEEPS6_NSA_18transform_iteratorI7is_evenItESF_NSA_11use_defaultESK_EENS0_5tupleIJNSA_16discard_iteratorISK_EESF_EEENSM_IJSG_SG_EEES6_PlJS6_EEE10hipError_tPvRmT3_T4_T5_T6_T7_T9_mT8_P12ihipStream_tbDpT10_ENKUlT_T0_E_clISt17integral_constantIbLb0EES1A_IbLb1EEEEDaS16_S17_EUlS16_E_NS1_11comp_targetILNS1_3genE8ELNS1_11target_archE1030ELNS1_3gpuE2ELNS1_3repE0EEENS1_30default_config_static_selectorELNS0_4arch9wavefront6targetE1EEEvT1_,@function
_ZN7rocprim17ROCPRIM_400000_NS6detail17trampoline_kernelINS0_14default_configENS1_25partition_config_selectorILNS1_17partition_subalgoE1EtNS0_10empty_typeEbEEZZNS1_14partition_implILS5_1ELb0ES3_jN6thrust23THRUST_200600_302600_NS6detail15normal_iteratorINSA_10device_ptrItEEEEPS6_NSA_18transform_iteratorI7is_evenItESF_NSA_11use_defaultESK_EENS0_5tupleIJNSA_16discard_iteratorISK_EESF_EEENSM_IJSG_SG_EEES6_PlJS6_EEE10hipError_tPvRmT3_T4_T5_T6_T7_T9_mT8_P12ihipStream_tbDpT10_ENKUlT_T0_E_clISt17integral_constantIbLb0EES1A_IbLb1EEEEDaS16_S17_EUlS16_E_NS1_11comp_targetILNS1_3genE8ELNS1_11target_archE1030ELNS1_3gpuE2ELNS1_3repE0EEENS1_30default_config_static_selectorELNS0_4arch9wavefront6targetE1EEEvT1_: ; @_ZN7rocprim17ROCPRIM_400000_NS6detail17trampoline_kernelINS0_14default_configENS1_25partition_config_selectorILNS1_17partition_subalgoE1EtNS0_10empty_typeEbEEZZNS1_14partition_implILS5_1ELb0ES3_jN6thrust23THRUST_200600_302600_NS6detail15normal_iteratorINSA_10device_ptrItEEEEPS6_NSA_18transform_iteratorI7is_evenItESF_NSA_11use_defaultESK_EENS0_5tupleIJNSA_16discard_iteratorISK_EESF_EEENSM_IJSG_SG_EEES6_PlJS6_EEE10hipError_tPvRmT3_T4_T5_T6_T7_T9_mT8_P12ihipStream_tbDpT10_ENKUlT_T0_E_clISt17integral_constantIbLb0EES1A_IbLb1EEEEDaS16_S17_EUlS16_E_NS1_11comp_targetILNS1_3genE8ELNS1_11target_archE1030ELNS1_3gpuE2ELNS1_3repE0EEENS1_30default_config_static_selectorELNS0_4arch9wavefront6targetE1EEEvT1_
; %bb.0:
	.section	.rodata,"a",@progbits
	.p2align	6, 0x0
	.amdhsa_kernel _ZN7rocprim17ROCPRIM_400000_NS6detail17trampoline_kernelINS0_14default_configENS1_25partition_config_selectorILNS1_17partition_subalgoE1EtNS0_10empty_typeEbEEZZNS1_14partition_implILS5_1ELb0ES3_jN6thrust23THRUST_200600_302600_NS6detail15normal_iteratorINSA_10device_ptrItEEEEPS6_NSA_18transform_iteratorI7is_evenItESF_NSA_11use_defaultESK_EENS0_5tupleIJNSA_16discard_iteratorISK_EESF_EEENSM_IJSG_SG_EEES6_PlJS6_EEE10hipError_tPvRmT3_T4_T5_T6_T7_T9_mT8_P12ihipStream_tbDpT10_ENKUlT_T0_E_clISt17integral_constantIbLb0EES1A_IbLb1EEEEDaS16_S17_EUlS16_E_NS1_11comp_targetILNS1_3genE8ELNS1_11target_archE1030ELNS1_3gpuE2ELNS1_3repE0EEENS1_30default_config_static_selectorELNS0_4arch9wavefront6targetE1EEEvT1_
		.amdhsa_group_segment_fixed_size 0
		.amdhsa_private_segment_fixed_size 0
		.amdhsa_kernarg_size 152
		.amdhsa_user_sgpr_count 6
		.amdhsa_user_sgpr_private_segment_buffer 1
		.amdhsa_user_sgpr_dispatch_ptr 0
		.amdhsa_user_sgpr_queue_ptr 0
		.amdhsa_user_sgpr_kernarg_segment_ptr 1
		.amdhsa_user_sgpr_dispatch_id 0
		.amdhsa_user_sgpr_flat_scratch_init 0
		.amdhsa_user_sgpr_kernarg_preload_length 0
		.amdhsa_user_sgpr_kernarg_preload_offset 0
		.amdhsa_user_sgpr_private_segment_size 0
		.amdhsa_uses_dynamic_stack 0
		.amdhsa_system_sgpr_private_segment_wavefront_offset 0
		.amdhsa_system_sgpr_workgroup_id_x 1
		.amdhsa_system_sgpr_workgroup_id_y 0
		.amdhsa_system_sgpr_workgroup_id_z 0
		.amdhsa_system_sgpr_workgroup_info 0
		.amdhsa_system_vgpr_workitem_id 0
		.amdhsa_next_free_vgpr 1
		.amdhsa_next_free_sgpr 0
		.amdhsa_accum_offset 4
		.amdhsa_reserve_vcc 0
		.amdhsa_reserve_flat_scratch 0
		.amdhsa_float_round_mode_32 0
		.amdhsa_float_round_mode_16_64 0
		.amdhsa_float_denorm_mode_32 3
		.amdhsa_float_denorm_mode_16_64 3
		.amdhsa_dx10_clamp 1
		.amdhsa_ieee_mode 1
		.amdhsa_fp16_overflow 0
		.amdhsa_tg_split 0
		.amdhsa_exception_fp_ieee_invalid_op 0
		.amdhsa_exception_fp_denorm_src 0
		.amdhsa_exception_fp_ieee_div_zero 0
		.amdhsa_exception_fp_ieee_overflow 0
		.amdhsa_exception_fp_ieee_underflow 0
		.amdhsa_exception_fp_ieee_inexact 0
		.amdhsa_exception_int_div_zero 0
	.end_amdhsa_kernel
	.section	.text._ZN7rocprim17ROCPRIM_400000_NS6detail17trampoline_kernelINS0_14default_configENS1_25partition_config_selectorILNS1_17partition_subalgoE1EtNS0_10empty_typeEbEEZZNS1_14partition_implILS5_1ELb0ES3_jN6thrust23THRUST_200600_302600_NS6detail15normal_iteratorINSA_10device_ptrItEEEEPS6_NSA_18transform_iteratorI7is_evenItESF_NSA_11use_defaultESK_EENS0_5tupleIJNSA_16discard_iteratorISK_EESF_EEENSM_IJSG_SG_EEES6_PlJS6_EEE10hipError_tPvRmT3_T4_T5_T6_T7_T9_mT8_P12ihipStream_tbDpT10_ENKUlT_T0_E_clISt17integral_constantIbLb0EES1A_IbLb1EEEEDaS16_S17_EUlS16_E_NS1_11comp_targetILNS1_3genE8ELNS1_11target_archE1030ELNS1_3gpuE2ELNS1_3repE0EEENS1_30default_config_static_selectorELNS0_4arch9wavefront6targetE1EEEvT1_,"axG",@progbits,_ZN7rocprim17ROCPRIM_400000_NS6detail17trampoline_kernelINS0_14default_configENS1_25partition_config_selectorILNS1_17partition_subalgoE1EtNS0_10empty_typeEbEEZZNS1_14partition_implILS5_1ELb0ES3_jN6thrust23THRUST_200600_302600_NS6detail15normal_iteratorINSA_10device_ptrItEEEEPS6_NSA_18transform_iteratorI7is_evenItESF_NSA_11use_defaultESK_EENS0_5tupleIJNSA_16discard_iteratorISK_EESF_EEENSM_IJSG_SG_EEES6_PlJS6_EEE10hipError_tPvRmT3_T4_T5_T6_T7_T9_mT8_P12ihipStream_tbDpT10_ENKUlT_T0_E_clISt17integral_constantIbLb0EES1A_IbLb1EEEEDaS16_S17_EUlS16_E_NS1_11comp_targetILNS1_3genE8ELNS1_11target_archE1030ELNS1_3gpuE2ELNS1_3repE0EEENS1_30default_config_static_selectorELNS0_4arch9wavefront6targetE1EEEvT1_,comdat
.Lfunc_end3162:
	.size	_ZN7rocprim17ROCPRIM_400000_NS6detail17trampoline_kernelINS0_14default_configENS1_25partition_config_selectorILNS1_17partition_subalgoE1EtNS0_10empty_typeEbEEZZNS1_14partition_implILS5_1ELb0ES3_jN6thrust23THRUST_200600_302600_NS6detail15normal_iteratorINSA_10device_ptrItEEEEPS6_NSA_18transform_iteratorI7is_evenItESF_NSA_11use_defaultESK_EENS0_5tupleIJNSA_16discard_iteratorISK_EESF_EEENSM_IJSG_SG_EEES6_PlJS6_EEE10hipError_tPvRmT3_T4_T5_T6_T7_T9_mT8_P12ihipStream_tbDpT10_ENKUlT_T0_E_clISt17integral_constantIbLb0EES1A_IbLb1EEEEDaS16_S17_EUlS16_E_NS1_11comp_targetILNS1_3genE8ELNS1_11target_archE1030ELNS1_3gpuE2ELNS1_3repE0EEENS1_30default_config_static_selectorELNS0_4arch9wavefront6targetE1EEEvT1_, .Lfunc_end3162-_ZN7rocprim17ROCPRIM_400000_NS6detail17trampoline_kernelINS0_14default_configENS1_25partition_config_selectorILNS1_17partition_subalgoE1EtNS0_10empty_typeEbEEZZNS1_14partition_implILS5_1ELb0ES3_jN6thrust23THRUST_200600_302600_NS6detail15normal_iteratorINSA_10device_ptrItEEEEPS6_NSA_18transform_iteratorI7is_evenItESF_NSA_11use_defaultESK_EENS0_5tupleIJNSA_16discard_iteratorISK_EESF_EEENSM_IJSG_SG_EEES6_PlJS6_EEE10hipError_tPvRmT3_T4_T5_T6_T7_T9_mT8_P12ihipStream_tbDpT10_ENKUlT_T0_E_clISt17integral_constantIbLb0EES1A_IbLb1EEEEDaS16_S17_EUlS16_E_NS1_11comp_targetILNS1_3genE8ELNS1_11target_archE1030ELNS1_3gpuE2ELNS1_3repE0EEENS1_30default_config_static_selectorELNS0_4arch9wavefront6targetE1EEEvT1_
                                        ; -- End function
	.section	.AMDGPU.csdata,"",@progbits
; Kernel info:
; codeLenInByte = 0
; NumSgprs: 4
; NumVgprs: 0
; NumAgprs: 0
; TotalNumVgprs: 0
; ScratchSize: 0
; MemoryBound: 0
; FloatMode: 240
; IeeeMode: 1
; LDSByteSize: 0 bytes/workgroup (compile time only)
; SGPRBlocks: 0
; VGPRBlocks: 0
; NumSGPRsForWavesPerEU: 4
; NumVGPRsForWavesPerEU: 1
; AccumOffset: 4
; Occupancy: 8
; WaveLimiterHint : 0
; COMPUTE_PGM_RSRC2:SCRATCH_EN: 0
; COMPUTE_PGM_RSRC2:USER_SGPR: 6
; COMPUTE_PGM_RSRC2:TRAP_HANDLER: 0
; COMPUTE_PGM_RSRC2:TGID_X_EN: 1
; COMPUTE_PGM_RSRC2:TGID_Y_EN: 0
; COMPUTE_PGM_RSRC2:TGID_Z_EN: 0
; COMPUTE_PGM_RSRC2:TIDIG_COMP_CNT: 0
; COMPUTE_PGM_RSRC3_GFX90A:ACCUM_OFFSET: 0
; COMPUTE_PGM_RSRC3_GFX90A:TG_SPLIT: 0
	.section	.text._ZN7rocprim17ROCPRIM_400000_NS6detail17trampoline_kernelINS0_14default_configENS1_25partition_config_selectorILNS1_17partition_subalgoE1ExNS0_10empty_typeEbEEZZNS1_14partition_implILS5_1ELb0ES3_jN6thrust23THRUST_200600_302600_NS6detail15normal_iteratorINSA_10device_ptrIxEEEEPS6_NSA_18transform_iteratorI7is_evenIxESF_NSA_11use_defaultESK_EENS0_5tupleIJNSA_16discard_iteratorISK_EESO_EEENSM_IJSG_SG_EEES6_PlJS6_EEE10hipError_tPvRmT3_T4_T5_T6_T7_T9_mT8_P12ihipStream_tbDpT10_ENKUlT_T0_E_clISt17integral_constantIbLb0EES1B_EEDaS16_S17_EUlS16_E_NS1_11comp_targetILNS1_3genE0ELNS1_11target_archE4294967295ELNS1_3gpuE0ELNS1_3repE0EEENS1_30default_config_static_selectorELNS0_4arch9wavefront6targetE1EEEvT1_,"axG",@progbits,_ZN7rocprim17ROCPRIM_400000_NS6detail17trampoline_kernelINS0_14default_configENS1_25partition_config_selectorILNS1_17partition_subalgoE1ExNS0_10empty_typeEbEEZZNS1_14partition_implILS5_1ELb0ES3_jN6thrust23THRUST_200600_302600_NS6detail15normal_iteratorINSA_10device_ptrIxEEEEPS6_NSA_18transform_iteratorI7is_evenIxESF_NSA_11use_defaultESK_EENS0_5tupleIJNSA_16discard_iteratorISK_EESO_EEENSM_IJSG_SG_EEES6_PlJS6_EEE10hipError_tPvRmT3_T4_T5_T6_T7_T9_mT8_P12ihipStream_tbDpT10_ENKUlT_T0_E_clISt17integral_constantIbLb0EES1B_EEDaS16_S17_EUlS16_E_NS1_11comp_targetILNS1_3genE0ELNS1_11target_archE4294967295ELNS1_3gpuE0ELNS1_3repE0EEENS1_30default_config_static_selectorELNS0_4arch9wavefront6targetE1EEEvT1_,comdat
	.protected	_ZN7rocprim17ROCPRIM_400000_NS6detail17trampoline_kernelINS0_14default_configENS1_25partition_config_selectorILNS1_17partition_subalgoE1ExNS0_10empty_typeEbEEZZNS1_14partition_implILS5_1ELb0ES3_jN6thrust23THRUST_200600_302600_NS6detail15normal_iteratorINSA_10device_ptrIxEEEEPS6_NSA_18transform_iteratorI7is_evenIxESF_NSA_11use_defaultESK_EENS0_5tupleIJNSA_16discard_iteratorISK_EESO_EEENSM_IJSG_SG_EEES6_PlJS6_EEE10hipError_tPvRmT3_T4_T5_T6_T7_T9_mT8_P12ihipStream_tbDpT10_ENKUlT_T0_E_clISt17integral_constantIbLb0EES1B_EEDaS16_S17_EUlS16_E_NS1_11comp_targetILNS1_3genE0ELNS1_11target_archE4294967295ELNS1_3gpuE0ELNS1_3repE0EEENS1_30default_config_static_selectorELNS0_4arch9wavefront6targetE1EEEvT1_ ; -- Begin function _ZN7rocprim17ROCPRIM_400000_NS6detail17trampoline_kernelINS0_14default_configENS1_25partition_config_selectorILNS1_17partition_subalgoE1ExNS0_10empty_typeEbEEZZNS1_14partition_implILS5_1ELb0ES3_jN6thrust23THRUST_200600_302600_NS6detail15normal_iteratorINSA_10device_ptrIxEEEEPS6_NSA_18transform_iteratorI7is_evenIxESF_NSA_11use_defaultESK_EENS0_5tupleIJNSA_16discard_iteratorISK_EESO_EEENSM_IJSG_SG_EEES6_PlJS6_EEE10hipError_tPvRmT3_T4_T5_T6_T7_T9_mT8_P12ihipStream_tbDpT10_ENKUlT_T0_E_clISt17integral_constantIbLb0EES1B_EEDaS16_S17_EUlS16_E_NS1_11comp_targetILNS1_3genE0ELNS1_11target_archE4294967295ELNS1_3gpuE0ELNS1_3repE0EEENS1_30default_config_static_selectorELNS0_4arch9wavefront6targetE1EEEvT1_
	.globl	_ZN7rocprim17ROCPRIM_400000_NS6detail17trampoline_kernelINS0_14default_configENS1_25partition_config_selectorILNS1_17partition_subalgoE1ExNS0_10empty_typeEbEEZZNS1_14partition_implILS5_1ELb0ES3_jN6thrust23THRUST_200600_302600_NS6detail15normal_iteratorINSA_10device_ptrIxEEEEPS6_NSA_18transform_iteratorI7is_evenIxESF_NSA_11use_defaultESK_EENS0_5tupleIJNSA_16discard_iteratorISK_EESO_EEENSM_IJSG_SG_EEES6_PlJS6_EEE10hipError_tPvRmT3_T4_T5_T6_T7_T9_mT8_P12ihipStream_tbDpT10_ENKUlT_T0_E_clISt17integral_constantIbLb0EES1B_EEDaS16_S17_EUlS16_E_NS1_11comp_targetILNS1_3genE0ELNS1_11target_archE4294967295ELNS1_3gpuE0ELNS1_3repE0EEENS1_30default_config_static_selectorELNS0_4arch9wavefront6targetE1EEEvT1_
	.p2align	8
	.type	_ZN7rocprim17ROCPRIM_400000_NS6detail17trampoline_kernelINS0_14default_configENS1_25partition_config_selectorILNS1_17partition_subalgoE1ExNS0_10empty_typeEbEEZZNS1_14partition_implILS5_1ELb0ES3_jN6thrust23THRUST_200600_302600_NS6detail15normal_iteratorINSA_10device_ptrIxEEEEPS6_NSA_18transform_iteratorI7is_evenIxESF_NSA_11use_defaultESK_EENS0_5tupleIJNSA_16discard_iteratorISK_EESO_EEENSM_IJSG_SG_EEES6_PlJS6_EEE10hipError_tPvRmT3_T4_T5_T6_T7_T9_mT8_P12ihipStream_tbDpT10_ENKUlT_T0_E_clISt17integral_constantIbLb0EES1B_EEDaS16_S17_EUlS16_E_NS1_11comp_targetILNS1_3genE0ELNS1_11target_archE4294967295ELNS1_3gpuE0ELNS1_3repE0EEENS1_30default_config_static_selectorELNS0_4arch9wavefront6targetE1EEEvT1_,@function
_ZN7rocprim17ROCPRIM_400000_NS6detail17trampoline_kernelINS0_14default_configENS1_25partition_config_selectorILNS1_17partition_subalgoE1ExNS0_10empty_typeEbEEZZNS1_14partition_implILS5_1ELb0ES3_jN6thrust23THRUST_200600_302600_NS6detail15normal_iteratorINSA_10device_ptrIxEEEEPS6_NSA_18transform_iteratorI7is_evenIxESF_NSA_11use_defaultESK_EENS0_5tupleIJNSA_16discard_iteratorISK_EESO_EEENSM_IJSG_SG_EEES6_PlJS6_EEE10hipError_tPvRmT3_T4_T5_T6_T7_T9_mT8_P12ihipStream_tbDpT10_ENKUlT_T0_E_clISt17integral_constantIbLb0EES1B_EEDaS16_S17_EUlS16_E_NS1_11comp_targetILNS1_3genE0ELNS1_11target_archE4294967295ELNS1_3gpuE0ELNS1_3repE0EEENS1_30default_config_static_selectorELNS0_4arch9wavefront6targetE1EEEvT1_: ; @_ZN7rocprim17ROCPRIM_400000_NS6detail17trampoline_kernelINS0_14default_configENS1_25partition_config_selectorILNS1_17partition_subalgoE1ExNS0_10empty_typeEbEEZZNS1_14partition_implILS5_1ELb0ES3_jN6thrust23THRUST_200600_302600_NS6detail15normal_iteratorINSA_10device_ptrIxEEEEPS6_NSA_18transform_iteratorI7is_evenIxESF_NSA_11use_defaultESK_EENS0_5tupleIJNSA_16discard_iteratorISK_EESO_EEENSM_IJSG_SG_EEES6_PlJS6_EEE10hipError_tPvRmT3_T4_T5_T6_T7_T9_mT8_P12ihipStream_tbDpT10_ENKUlT_T0_E_clISt17integral_constantIbLb0EES1B_EEDaS16_S17_EUlS16_E_NS1_11comp_targetILNS1_3genE0ELNS1_11target_archE4294967295ELNS1_3gpuE0ELNS1_3repE0EEENS1_30default_config_static_selectorELNS0_4arch9wavefront6targetE1EEEvT1_
; %bb.0:
	.section	.rodata,"a",@progbits
	.p2align	6, 0x0
	.amdhsa_kernel _ZN7rocprim17ROCPRIM_400000_NS6detail17trampoline_kernelINS0_14default_configENS1_25partition_config_selectorILNS1_17partition_subalgoE1ExNS0_10empty_typeEbEEZZNS1_14partition_implILS5_1ELb0ES3_jN6thrust23THRUST_200600_302600_NS6detail15normal_iteratorINSA_10device_ptrIxEEEEPS6_NSA_18transform_iteratorI7is_evenIxESF_NSA_11use_defaultESK_EENS0_5tupleIJNSA_16discard_iteratorISK_EESO_EEENSM_IJSG_SG_EEES6_PlJS6_EEE10hipError_tPvRmT3_T4_T5_T6_T7_T9_mT8_P12ihipStream_tbDpT10_ENKUlT_T0_E_clISt17integral_constantIbLb0EES1B_EEDaS16_S17_EUlS16_E_NS1_11comp_targetILNS1_3genE0ELNS1_11target_archE4294967295ELNS1_3gpuE0ELNS1_3repE0EEENS1_30default_config_static_selectorELNS0_4arch9wavefront6targetE1EEEvT1_
		.amdhsa_group_segment_fixed_size 0
		.amdhsa_private_segment_fixed_size 0
		.amdhsa_kernarg_size 144
		.amdhsa_user_sgpr_count 6
		.amdhsa_user_sgpr_private_segment_buffer 1
		.amdhsa_user_sgpr_dispatch_ptr 0
		.amdhsa_user_sgpr_queue_ptr 0
		.amdhsa_user_sgpr_kernarg_segment_ptr 1
		.amdhsa_user_sgpr_dispatch_id 0
		.amdhsa_user_sgpr_flat_scratch_init 0
		.amdhsa_user_sgpr_kernarg_preload_length 0
		.amdhsa_user_sgpr_kernarg_preload_offset 0
		.amdhsa_user_sgpr_private_segment_size 0
		.amdhsa_uses_dynamic_stack 0
		.amdhsa_system_sgpr_private_segment_wavefront_offset 0
		.amdhsa_system_sgpr_workgroup_id_x 1
		.amdhsa_system_sgpr_workgroup_id_y 0
		.amdhsa_system_sgpr_workgroup_id_z 0
		.amdhsa_system_sgpr_workgroup_info 0
		.amdhsa_system_vgpr_workitem_id 0
		.amdhsa_next_free_vgpr 1
		.amdhsa_next_free_sgpr 0
		.amdhsa_accum_offset 4
		.amdhsa_reserve_vcc 0
		.amdhsa_reserve_flat_scratch 0
		.amdhsa_float_round_mode_32 0
		.amdhsa_float_round_mode_16_64 0
		.amdhsa_float_denorm_mode_32 3
		.amdhsa_float_denorm_mode_16_64 3
		.amdhsa_dx10_clamp 1
		.amdhsa_ieee_mode 1
		.amdhsa_fp16_overflow 0
		.amdhsa_tg_split 0
		.amdhsa_exception_fp_ieee_invalid_op 0
		.amdhsa_exception_fp_denorm_src 0
		.amdhsa_exception_fp_ieee_div_zero 0
		.amdhsa_exception_fp_ieee_overflow 0
		.amdhsa_exception_fp_ieee_underflow 0
		.amdhsa_exception_fp_ieee_inexact 0
		.amdhsa_exception_int_div_zero 0
	.end_amdhsa_kernel
	.section	.text._ZN7rocprim17ROCPRIM_400000_NS6detail17trampoline_kernelINS0_14default_configENS1_25partition_config_selectorILNS1_17partition_subalgoE1ExNS0_10empty_typeEbEEZZNS1_14partition_implILS5_1ELb0ES3_jN6thrust23THRUST_200600_302600_NS6detail15normal_iteratorINSA_10device_ptrIxEEEEPS6_NSA_18transform_iteratorI7is_evenIxESF_NSA_11use_defaultESK_EENS0_5tupleIJNSA_16discard_iteratorISK_EESO_EEENSM_IJSG_SG_EEES6_PlJS6_EEE10hipError_tPvRmT3_T4_T5_T6_T7_T9_mT8_P12ihipStream_tbDpT10_ENKUlT_T0_E_clISt17integral_constantIbLb0EES1B_EEDaS16_S17_EUlS16_E_NS1_11comp_targetILNS1_3genE0ELNS1_11target_archE4294967295ELNS1_3gpuE0ELNS1_3repE0EEENS1_30default_config_static_selectorELNS0_4arch9wavefront6targetE1EEEvT1_,"axG",@progbits,_ZN7rocprim17ROCPRIM_400000_NS6detail17trampoline_kernelINS0_14default_configENS1_25partition_config_selectorILNS1_17partition_subalgoE1ExNS0_10empty_typeEbEEZZNS1_14partition_implILS5_1ELb0ES3_jN6thrust23THRUST_200600_302600_NS6detail15normal_iteratorINSA_10device_ptrIxEEEEPS6_NSA_18transform_iteratorI7is_evenIxESF_NSA_11use_defaultESK_EENS0_5tupleIJNSA_16discard_iteratorISK_EESO_EEENSM_IJSG_SG_EEES6_PlJS6_EEE10hipError_tPvRmT3_T4_T5_T6_T7_T9_mT8_P12ihipStream_tbDpT10_ENKUlT_T0_E_clISt17integral_constantIbLb0EES1B_EEDaS16_S17_EUlS16_E_NS1_11comp_targetILNS1_3genE0ELNS1_11target_archE4294967295ELNS1_3gpuE0ELNS1_3repE0EEENS1_30default_config_static_selectorELNS0_4arch9wavefront6targetE1EEEvT1_,comdat
.Lfunc_end3163:
	.size	_ZN7rocprim17ROCPRIM_400000_NS6detail17trampoline_kernelINS0_14default_configENS1_25partition_config_selectorILNS1_17partition_subalgoE1ExNS0_10empty_typeEbEEZZNS1_14partition_implILS5_1ELb0ES3_jN6thrust23THRUST_200600_302600_NS6detail15normal_iteratorINSA_10device_ptrIxEEEEPS6_NSA_18transform_iteratorI7is_evenIxESF_NSA_11use_defaultESK_EENS0_5tupleIJNSA_16discard_iteratorISK_EESO_EEENSM_IJSG_SG_EEES6_PlJS6_EEE10hipError_tPvRmT3_T4_T5_T6_T7_T9_mT8_P12ihipStream_tbDpT10_ENKUlT_T0_E_clISt17integral_constantIbLb0EES1B_EEDaS16_S17_EUlS16_E_NS1_11comp_targetILNS1_3genE0ELNS1_11target_archE4294967295ELNS1_3gpuE0ELNS1_3repE0EEENS1_30default_config_static_selectorELNS0_4arch9wavefront6targetE1EEEvT1_, .Lfunc_end3163-_ZN7rocprim17ROCPRIM_400000_NS6detail17trampoline_kernelINS0_14default_configENS1_25partition_config_selectorILNS1_17partition_subalgoE1ExNS0_10empty_typeEbEEZZNS1_14partition_implILS5_1ELb0ES3_jN6thrust23THRUST_200600_302600_NS6detail15normal_iteratorINSA_10device_ptrIxEEEEPS6_NSA_18transform_iteratorI7is_evenIxESF_NSA_11use_defaultESK_EENS0_5tupleIJNSA_16discard_iteratorISK_EESO_EEENSM_IJSG_SG_EEES6_PlJS6_EEE10hipError_tPvRmT3_T4_T5_T6_T7_T9_mT8_P12ihipStream_tbDpT10_ENKUlT_T0_E_clISt17integral_constantIbLb0EES1B_EEDaS16_S17_EUlS16_E_NS1_11comp_targetILNS1_3genE0ELNS1_11target_archE4294967295ELNS1_3gpuE0ELNS1_3repE0EEENS1_30default_config_static_selectorELNS0_4arch9wavefront6targetE1EEEvT1_
                                        ; -- End function
	.section	.AMDGPU.csdata,"",@progbits
; Kernel info:
; codeLenInByte = 0
; NumSgprs: 4
; NumVgprs: 0
; NumAgprs: 0
; TotalNumVgprs: 0
; ScratchSize: 0
; MemoryBound: 0
; FloatMode: 240
; IeeeMode: 1
; LDSByteSize: 0 bytes/workgroup (compile time only)
; SGPRBlocks: 0
; VGPRBlocks: 0
; NumSGPRsForWavesPerEU: 4
; NumVGPRsForWavesPerEU: 1
; AccumOffset: 4
; Occupancy: 8
; WaveLimiterHint : 0
; COMPUTE_PGM_RSRC2:SCRATCH_EN: 0
; COMPUTE_PGM_RSRC2:USER_SGPR: 6
; COMPUTE_PGM_RSRC2:TRAP_HANDLER: 0
; COMPUTE_PGM_RSRC2:TGID_X_EN: 1
; COMPUTE_PGM_RSRC2:TGID_Y_EN: 0
; COMPUTE_PGM_RSRC2:TGID_Z_EN: 0
; COMPUTE_PGM_RSRC2:TIDIG_COMP_CNT: 0
; COMPUTE_PGM_RSRC3_GFX90A:ACCUM_OFFSET: 0
; COMPUTE_PGM_RSRC3_GFX90A:TG_SPLIT: 0
	.section	.text._ZN7rocprim17ROCPRIM_400000_NS6detail17trampoline_kernelINS0_14default_configENS1_25partition_config_selectorILNS1_17partition_subalgoE1ExNS0_10empty_typeEbEEZZNS1_14partition_implILS5_1ELb0ES3_jN6thrust23THRUST_200600_302600_NS6detail15normal_iteratorINSA_10device_ptrIxEEEEPS6_NSA_18transform_iteratorI7is_evenIxESF_NSA_11use_defaultESK_EENS0_5tupleIJNSA_16discard_iteratorISK_EESO_EEENSM_IJSG_SG_EEES6_PlJS6_EEE10hipError_tPvRmT3_T4_T5_T6_T7_T9_mT8_P12ihipStream_tbDpT10_ENKUlT_T0_E_clISt17integral_constantIbLb0EES1B_EEDaS16_S17_EUlS16_E_NS1_11comp_targetILNS1_3genE5ELNS1_11target_archE942ELNS1_3gpuE9ELNS1_3repE0EEENS1_30default_config_static_selectorELNS0_4arch9wavefront6targetE1EEEvT1_,"axG",@progbits,_ZN7rocprim17ROCPRIM_400000_NS6detail17trampoline_kernelINS0_14default_configENS1_25partition_config_selectorILNS1_17partition_subalgoE1ExNS0_10empty_typeEbEEZZNS1_14partition_implILS5_1ELb0ES3_jN6thrust23THRUST_200600_302600_NS6detail15normal_iteratorINSA_10device_ptrIxEEEEPS6_NSA_18transform_iteratorI7is_evenIxESF_NSA_11use_defaultESK_EENS0_5tupleIJNSA_16discard_iteratorISK_EESO_EEENSM_IJSG_SG_EEES6_PlJS6_EEE10hipError_tPvRmT3_T4_T5_T6_T7_T9_mT8_P12ihipStream_tbDpT10_ENKUlT_T0_E_clISt17integral_constantIbLb0EES1B_EEDaS16_S17_EUlS16_E_NS1_11comp_targetILNS1_3genE5ELNS1_11target_archE942ELNS1_3gpuE9ELNS1_3repE0EEENS1_30default_config_static_selectorELNS0_4arch9wavefront6targetE1EEEvT1_,comdat
	.protected	_ZN7rocprim17ROCPRIM_400000_NS6detail17trampoline_kernelINS0_14default_configENS1_25partition_config_selectorILNS1_17partition_subalgoE1ExNS0_10empty_typeEbEEZZNS1_14partition_implILS5_1ELb0ES3_jN6thrust23THRUST_200600_302600_NS6detail15normal_iteratorINSA_10device_ptrIxEEEEPS6_NSA_18transform_iteratorI7is_evenIxESF_NSA_11use_defaultESK_EENS0_5tupleIJNSA_16discard_iteratorISK_EESO_EEENSM_IJSG_SG_EEES6_PlJS6_EEE10hipError_tPvRmT3_T4_T5_T6_T7_T9_mT8_P12ihipStream_tbDpT10_ENKUlT_T0_E_clISt17integral_constantIbLb0EES1B_EEDaS16_S17_EUlS16_E_NS1_11comp_targetILNS1_3genE5ELNS1_11target_archE942ELNS1_3gpuE9ELNS1_3repE0EEENS1_30default_config_static_selectorELNS0_4arch9wavefront6targetE1EEEvT1_ ; -- Begin function _ZN7rocprim17ROCPRIM_400000_NS6detail17trampoline_kernelINS0_14default_configENS1_25partition_config_selectorILNS1_17partition_subalgoE1ExNS0_10empty_typeEbEEZZNS1_14partition_implILS5_1ELb0ES3_jN6thrust23THRUST_200600_302600_NS6detail15normal_iteratorINSA_10device_ptrIxEEEEPS6_NSA_18transform_iteratorI7is_evenIxESF_NSA_11use_defaultESK_EENS0_5tupleIJNSA_16discard_iteratorISK_EESO_EEENSM_IJSG_SG_EEES6_PlJS6_EEE10hipError_tPvRmT3_T4_T5_T6_T7_T9_mT8_P12ihipStream_tbDpT10_ENKUlT_T0_E_clISt17integral_constantIbLb0EES1B_EEDaS16_S17_EUlS16_E_NS1_11comp_targetILNS1_3genE5ELNS1_11target_archE942ELNS1_3gpuE9ELNS1_3repE0EEENS1_30default_config_static_selectorELNS0_4arch9wavefront6targetE1EEEvT1_
	.globl	_ZN7rocprim17ROCPRIM_400000_NS6detail17trampoline_kernelINS0_14default_configENS1_25partition_config_selectorILNS1_17partition_subalgoE1ExNS0_10empty_typeEbEEZZNS1_14partition_implILS5_1ELb0ES3_jN6thrust23THRUST_200600_302600_NS6detail15normal_iteratorINSA_10device_ptrIxEEEEPS6_NSA_18transform_iteratorI7is_evenIxESF_NSA_11use_defaultESK_EENS0_5tupleIJNSA_16discard_iteratorISK_EESO_EEENSM_IJSG_SG_EEES6_PlJS6_EEE10hipError_tPvRmT3_T4_T5_T6_T7_T9_mT8_P12ihipStream_tbDpT10_ENKUlT_T0_E_clISt17integral_constantIbLb0EES1B_EEDaS16_S17_EUlS16_E_NS1_11comp_targetILNS1_3genE5ELNS1_11target_archE942ELNS1_3gpuE9ELNS1_3repE0EEENS1_30default_config_static_selectorELNS0_4arch9wavefront6targetE1EEEvT1_
	.p2align	8
	.type	_ZN7rocprim17ROCPRIM_400000_NS6detail17trampoline_kernelINS0_14default_configENS1_25partition_config_selectorILNS1_17partition_subalgoE1ExNS0_10empty_typeEbEEZZNS1_14partition_implILS5_1ELb0ES3_jN6thrust23THRUST_200600_302600_NS6detail15normal_iteratorINSA_10device_ptrIxEEEEPS6_NSA_18transform_iteratorI7is_evenIxESF_NSA_11use_defaultESK_EENS0_5tupleIJNSA_16discard_iteratorISK_EESO_EEENSM_IJSG_SG_EEES6_PlJS6_EEE10hipError_tPvRmT3_T4_T5_T6_T7_T9_mT8_P12ihipStream_tbDpT10_ENKUlT_T0_E_clISt17integral_constantIbLb0EES1B_EEDaS16_S17_EUlS16_E_NS1_11comp_targetILNS1_3genE5ELNS1_11target_archE942ELNS1_3gpuE9ELNS1_3repE0EEENS1_30default_config_static_selectorELNS0_4arch9wavefront6targetE1EEEvT1_,@function
_ZN7rocprim17ROCPRIM_400000_NS6detail17trampoline_kernelINS0_14default_configENS1_25partition_config_selectorILNS1_17partition_subalgoE1ExNS0_10empty_typeEbEEZZNS1_14partition_implILS5_1ELb0ES3_jN6thrust23THRUST_200600_302600_NS6detail15normal_iteratorINSA_10device_ptrIxEEEEPS6_NSA_18transform_iteratorI7is_evenIxESF_NSA_11use_defaultESK_EENS0_5tupleIJNSA_16discard_iteratorISK_EESO_EEENSM_IJSG_SG_EEES6_PlJS6_EEE10hipError_tPvRmT3_T4_T5_T6_T7_T9_mT8_P12ihipStream_tbDpT10_ENKUlT_T0_E_clISt17integral_constantIbLb0EES1B_EEDaS16_S17_EUlS16_E_NS1_11comp_targetILNS1_3genE5ELNS1_11target_archE942ELNS1_3gpuE9ELNS1_3repE0EEENS1_30default_config_static_selectorELNS0_4arch9wavefront6targetE1EEEvT1_: ; @_ZN7rocprim17ROCPRIM_400000_NS6detail17trampoline_kernelINS0_14default_configENS1_25partition_config_selectorILNS1_17partition_subalgoE1ExNS0_10empty_typeEbEEZZNS1_14partition_implILS5_1ELb0ES3_jN6thrust23THRUST_200600_302600_NS6detail15normal_iteratorINSA_10device_ptrIxEEEEPS6_NSA_18transform_iteratorI7is_evenIxESF_NSA_11use_defaultESK_EENS0_5tupleIJNSA_16discard_iteratorISK_EESO_EEENSM_IJSG_SG_EEES6_PlJS6_EEE10hipError_tPvRmT3_T4_T5_T6_T7_T9_mT8_P12ihipStream_tbDpT10_ENKUlT_T0_E_clISt17integral_constantIbLb0EES1B_EEDaS16_S17_EUlS16_E_NS1_11comp_targetILNS1_3genE5ELNS1_11target_archE942ELNS1_3gpuE9ELNS1_3repE0EEENS1_30default_config_static_selectorELNS0_4arch9wavefront6targetE1EEEvT1_
; %bb.0:
	.section	.rodata,"a",@progbits
	.p2align	6, 0x0
	.amdhsa_kernel _ZN7rocprim17ROCPRIM_400000_NS6detail17trampoline_kernelINS0_14default_configENS1_25partition_config_selectorILNS1_17partition_subalgoE1ExNS0_10empty_typeEbEEZZNS1_14partition_implILS5_1ELb0ES3_jN6thrust23THRUST_200600_302600_NS6detail15normal_iteratorINSA_10device_ptrIxEEEEPS6_NSA_18transform_iteratorI7is_evenIxESF_NSA_11use_defaultESK_EENS0_5tupleIJNSA_16discard_iteratorISK_EESO_EEENSM_IJSG_SG_EEES6_PlJS6_EEE10hipError_tPvRmT3_T4_T5_T6_T7_T9_mT8_P12ihipStream_tbDpT10_ENKUlT_T0_E_clISt17integral_constantIbLb0EES1B_EEDaS16_S17_EUlS16_E_NS1_11comp_targetILNS1_3genE5ELNS1_11target_archE942ELNS1_3gpuE9ELNS1_3repE0EEENS1_30default_config_static_selectorELNS0_4arch9wavefront6targetE1EEEvT1_
		.amdhsa_group_segment_fixed_size 0
		.amdhsa_private_segment_fixed_size 0
		.amdhsa_kernarg_size 144
		.amdhsa_user_sgpr_count 6
		.amdhsa_user_sgpr_private_segment_buffer 1
		.amdhsa_user_sgpr_dispatch_ptr 0
		.amdhsa_user_sgpr_queue_ptr 0
		.amdhsa_user_sgpr_kernarg_segment_ptr 1
		.amdhsa_user_sgpr_dispatch_id 0
		.amdhsa_user_sgpr_flat_scratch_init 0
		.amdhsa_user_sgpr_kernarg_preload_length 0
		.amdhsa_user_sgpr_kernarg_preload_offset 0
		.amdhsa_user_sgpr_private_segment_size 0
		.amdhsa_uses_dynamic_stack 0
		.amdhsa_system_sgpr_private_segment_wavefront_offset 0
		.amdhsa_system_sgpr_workgroup_id_x 1
		.amdhsa_system_sgpr_workgroup_id_y 0
		.amdhsa_system_sgpr_workgroup_id_z 0
		.amdhsa_system_sgpr_workgroup_info 0
		.amdhsa_system_vgpr_workitem_id 0
		.amdhsa_next_free_vgpr 1
		.amdhsa_next_free_sgpr 0
		.amdhsa_accum_offset 4
		.amdhsa_reserve_vcc 0
		.amdhsa_reserve_flat_scratch 0
		.amdhsa_float_round_mode_32 0
		.amdhsa_float_round_mode_16_64 0
		.amdhsa_float_denorm_mode_32 3
		.amdhsa_float_denorm_mode_16_64 3
		.amdhsa_dx10_clamp 1
		.amdhsa_ieee_mode 1
		.amdhsa_fp16_overflow 0
		.amdhsa_tg_split 0
		.amdhsa_exception_fp_ieee_invalid_op 0
		.amdhsa_exception_fp_denorm_src 0
		.amdhsa_exception_fp_ieee_div_zero 0
		.amdhsa_exception_fp_ieee_overflow 0
		.amdhsa_exception_fp_ieee_underflow 0
		.amdhsa_exception_fp_ieee_inexact 0
		.amdhsa_exception_int_div_zero 0
	.end_amdhsa_kernel
	.section	.text._ZN7rocprim17ROCPRIM_400000_NS6detail17trampoline_kernelINS0_14default_configENS1_25partition_config_selectorILNS1_17partition_subalgoE1ExNS0_10empty_typeEbEEZZNS1_14partition_implILS5_1ELb0ES3_jN6thrust23THRUST_200600_302600_NS6detail15normal_iteratorINSA_10device_ptrIxEEEEPS6_NSA_18transform_iteratorI7is_evenIxESF_NSA_11use_defaultESK_EENS0_5tupleIJNSA_16discard_iteratorISK_EESO_EEENSM_IJSG_SG_EEES6_PlJS6_EEE10hipError_tPvRmT3_T4_T5_T6_T7_T9_mT8_P12ihipStream_tbDpT10_ENKUlT_T0_E_clISt17integral_constantIbLb0EES1B_EEDaS16_S17_EUlS16_E_NS1_11comp_targetILNS1_3genE5ELNS1_11target_archE942ELNS1_3gpuE9ELNS1_3repE0EEENS1_30default_config_static_selectorELNS0_4arch9wavefront6targetE1EEEvT1_,"axG",@progbits,_ZN7rocprim17ROCPRIM_400000_NS6detail17trampoline_kernelINS0_14default_configENS1_25partition_config_selectorILNS1_17partition_subalgoE1ExNS0_10empty_typeEbEEZZNS1_14partition_implILS5_1ELb0ES3_jN6thrust23THRUST_200600_302600_NS6detail15normal_iteratorINSA_10device_ptrIxEEEEPS6_NSA_18transform_iteratorI7is_evenIxESF_NSA_11use_defaultESK_EENS0_5tupleIJNSA_16discard_iteratorISK_EESO_EEENSM_IJSG_SG_EEES6_PlJS6_EEE10hipError_tPvRmT3_T4_T5_T6_T7_T9_mT8_P12ihipStream_tbDpT10_ENKUlT_T0_E_clISt17integral_constantIbLb0EES1B_EEDaS16_S17_EUlS16_E_NS1_11comp_targetILNS1_3genE5ELNS1_11target_archE942ELNS1_3gpuE9ELNS1_3repE0EEENS1_30default_config_static_selectorELNS0_4arch9wavefront6targetE1EEEvT1_,comdat
.Lfunc_end3164:
	.size	_ZN7rocprim17ROCPRIM_400000_NS6detail17trampoline_kernelINS0_14default_configENS1_25partition_config_selectorILNS1_17partition_subalgoE1ExNS0_10empty_typeEbEEZZNS1_14partition_implILS5_1ELb0ES3_jN6thrust23THRUST_200600_302600_NS6detail15normal_iteratorINSA_10device_ptrIxEEEEPS6_NSA_18transform_iteratorI7is_evenIxESF_NSA_11use_defaultESK_EENS0_5tupleIJNSA_16discard_iteratorISK_EESO_EEENSM_IJSG_SG_EEES6_PlJS6_EEE10hipError_tPvRmT3_T4_T5_T6_T7_T9_mT8_P12ihipStream_tbDpT10_ENKUlT_T0_E_clISt17integral_constantIbLb0EES1B_EEDaS16_S17_EUlS16_E_NS1_11comp_targetILNS1_3genE5ELNS1_11target_archE942ELNS1_3gpuE9ELNS1_3repE0EEENS1_30default_config_static_selectorELNS0_4arch9wavefront6targetE1EEEvT1_, .Lfunc_end3164-_ZN7rocprim17ROCPRIM_400000_NS6detail17trampoline_kernelINS0_14default_configENS1_25partition_config_selectorILNS1_17partition_subalgoE1ExNS0_10empty_typeEbEEZZNS1_14partition_implILS5_1ELb0ES3_jN6thrust23THRUST_200600_302600_NS6detail15normal_iteratorINSA_10device_ptrIxEEEEPS6_NSA_18transform_iteratorI7is_evenIxESF_NSA_11use_defaultESK_EENS0_5tupleIJNSA_16discard_iteratorISK_EESO_EEENSM_IJSG_SG_EEES6_PlJS6_EEE10hipError_tPvRmT3_T4_T5_T6_T7_T9_mT8_P12ihipStream_tbDpT10_ENKUlT_T0_E_clISt17integral_constantIbLb0EES1B_EEDaS16_S17_EUlS16_E_NS1_11comp_targetILNS1_3genE5ELNS1_11target_archE942ELNS1_3gpuE9ELNS1_3repE0EEENS1_30default_config_static_selectorELNS0_4arch9wavefront6targetE1EEEvT1_
                                        ; -- End function
	.section	.AMDGPU.csdata,"",@progbits
; Kernel info:
; codeLenInByte = 0
; NumSgprs: 4
; NumVgprs: 0
; NumAgprs: 0
; TotalNumVgprs: 0
; ScratchSize: 0
; MemoryBound: 0
; FloatMode: 240
; IeeeMode: 1
; LDSByteSize: 0 bytes/workgroup (compile time only)
; SGPRBlocks: 0
; VGPRBlocks: 0
; NumSGPRsForWavesPerEU: 4
; NumVGPRsForWavesPerEU: 1
; AccumOffset: 4
; Occupancy: 8
; WaveLimiterHint : 0
; COMPUTE_PGM_RSRC2:SCRATCH_EN: 0
; COMPUTE_PGM_RSRC2:USER_SGPR: 6
; COMPUTE_PGM_RSRC2:TRAP_HANDLER: 0
; COMPUTE_PGM_RSRC2:TGID_X_EN: 1
; COMPUTE_PGM_RSRC2:TGID_Y_EN: 0
; COMPUTE_PGM_RSRC2:TGID_Z_EN: 0
; COMPUTE_PGM_RSRC2:TIDIG_COMP_CNT: 0
; COMPUTE_PGM_RSRC3_GFX90A:ACCUM_OFFSET: 0
; COMPUTE_PGM_RSRC3_GFX90A:TG_SPLIT: 0
	.section	.text._ZN7rocprim17ROCPRIM_400000_NS6detail17trampoline_kernelINS0_14default_configENS1_25partition_config_selectorILNS1_17partition_subalgoE1ExNS0_10empty_typeEbEEZZNS1_14partition_implILS5_1ELb0ES3_jN6thrust23THRUST_200600_302600_NS6detail15normal_iteratorINSA_10device_ptrIxEEEEPS6_NSA_18transform_iteratorI7is_evenIxESF_NSA_11use_defaultESK_EENS0_5tupleIJNSA_16discard_iteratorISK_EESO_EEENSM_IJSG_SG_EEES6_PlJS6_EEE10hipError_tPvRmT3_T4_T5_T6_T7_T9_mT8_P12ihipStream_tbDpT10_ENKUlT_T0_E_clISt17integral_constantIbLb0EES1B_EEDaS16_S17_EUlS16_E_NS1_11comp_targetILNS1_3genE4ELNS1_11target_archE910ELNS1_3gpuE8ELNS1_3repE0EEENS1_30default_config_static_selectorELNS0_4arch9wavefront6targetE1EEEvT1_,"axG",@progbits,_ZN7rocprim17ROCPRIM_400000_NS6detail17trampoline_kernelINS0_14default_configENS1_25partition_config_selectorILNS1_17partition_subalgoE1ExNS0_10empty_typeEbEEZZNS1_14partition_implILS5_1ELb0ES3_jN6thrust23THRUST_200600_302600_NS6detail15normal_iteratorINSA_10device_ptrIxEEEEPS6_NSA_18transform_iteratorI7is_evenIxESF_NSA_11use_defaultESK_EENS0_5tupleIJNSA_16discard_iteratorISK_EESO_EEENSM_IJSG_SG_EEES6_PlJS6_EEE10hipError_tPvRmT3_T4_T5_T6_T7_T9_mT8_P12ihipStream_tbDpT10_ENKUlT_T0_E_clISt17integral_constantIbLb0EES1B_EEDaS16_S17_EUlS16_E_NS1_11comp_targetILNS1_3genE4ELNS1_11target_archE910ELNS1_3gpuE8ELNS1_3repE0EEENS1_30default_config_static_selectorELNS0_4arch9wavefront6targetE1EEEvT1_,comdat
	.protected	_ZN7rocprim17ROCPRIM_400000_NS6detail17trampoline_kernelINS0_14default_configENS1_25partition_config_selectorILNS1_17partition_subalgoE1ExNS0_10empty_typeEbEEZZNS1_14partition_implILS5_1ELb0ES3_jN6thrust23THRUST_200600_302600_NS6detail15normal_iteratorINSA_10device_ptrIxEEEEPS6_NSA_18transform_iteratorI7is_evenIxESF_NSA_11use_defaultESK_EENS0_5tupleIJNSA_16discard_iteratorISK_EESO_EEENSM_IJSG_SG_EEES6_PlJS6_EEE10hipError_tPvRmT3_T4_T5_T6_T7_T9_mT8_P12ihipStream_tbDpT10_ENKUlT_T0_E_clISt17integral_constantIbLb0EES1B_EEDaS16_S17_EUlS16_E_NS1_11comp_targetILNS1_3genE4ELNS1_11target_archE910ELNS1_3gpuE8ELNS1_3repE0EEENS1_30default_config_static_selectorELNS0_4arch9wavefront6targetE1EEEvT1_ ; -- Begin function _ZN7rocprim17ROCPRIM_400000_NS6detail17trampoline_kernelINS0_14default_configENS1_25partition_config_selectorILNS1_17partition_subalgoE1ExNS0_10empty_typeEbEEZZNS1_14partition_implILS5_1ELb0ES3_jN6thrust23THRUST_200600_302600_NS6detail15normal_iteratorINSA_10device_ptrIxEEEEPS6_NSA_18transform_iteratorI7is_evenIxESF_NSA_11use_defaultESK_EENS0_5tupleIJNSA_16discard_iteratorISK_EESO_EEENSM_IJSG_SG_EEES6_PlJS6_EEE10hipError_tPvRmT3_T4_T5_T6_T7_T9_mT8_P12ihipStream_tbDpT10_ENKUlT_T0_E_clISt17integral_constantIbLb0EES1B_EEDaS16_S17_EUlS16_E_NS1_11comp_targetILNS1_3genE4ELNS1_11target_archE910ELNS1_3gpuE8ELNS1_3repE0EEENS1_30default_config_static_selectorELNS0_4arch9wavefront6targetE1EEEvT1_
	.globl	_ZN7rocprim17ROCPRIM_400000_NS6detail17trampoline_kernelINS0_14default_configENS1_25partition_config_selectorILNS1_17partition_subalgoE1ExNS0_10empty_typeEbEEZZNS1_14partition_implILS5_1ELb0ES3_jN6thrust23THRUST_200600_302600_NS6detail15normal_iteratorINSA_10device_ptrIxEEEEPS6_NSA_18transform_iteratorI7is_evenIxESF_NSA_11use_defaultESK_EENS0_5tupleIJNSA_16discard_iteratorISK_EESO_EEENSM_IJSG_SG_EEES6_PlJS6_EEE10hipError_tPvRmT3_T4_T5_T6_T7_T9_mT8_P12ihipStream_tbDpT10_ENKUlT_T0_E_clISt17integral_constantIbLb0EES1B_EEDaS16_S17_EUlS16_E_NS1_11comp_targetILNS1_3genE4ELNS1_11target_archE910ELNS1_3gpuE8ELNS1_3repE0EEENS1_30default_config_static_selectorELNS0_4arch9wavefront6targetE1EEEvT1_
	.p2align	8
	.type	_ZN7rocprim17ROCPRIM_400000_NS6detail17trampoline_kernelINS0_14default_configENS1_25partition_config_selectorILNS1_17partition_subalgoE1ExNS0_10empty_typeEbEEZZNS1_14partition_implILS5_1ELb0ES3_jN6thrust23THRUST_200600_302600_NS6detail15normal_iteratorINSA_10device_ptrIxEEEEPS6_NSA_18transform_iteratorI7is_evenIxESF_NSA_11use_defaultESK_EENS0_5tupleIJNSA_16discard_iteratorISK_EESO_EEENSM_IJSG_SG_EEES6_PlJS6_EEE10hipError_tPvRmT3_T4_T5_T6_T7_T9_mT8_P12ihipStream_tbDpT10_ENKUlT_T0_E_clISt17integral_constantIbLb0EES1B_EEDaS16_S17_EUlS16_E_NS1_11comp_targetILNS1_3genE4ELNS1_11target_archE910ELNS1_3gpuE8ELNS1_3repE0EEENS1_30default_config_static_selectorELNS0_4arch9wavefront6targetE1EEEvT1_,@function
_ZN7rocprim17ROCPRIM_400000_NS6detail17trampoline_kernelINS0_14default_configENS1_25partition_config_selectorILNS1_17partition_subalgoE1ExNS0_10empty_typeEbEEZZNS1_14partition_implILS5_1ELb0ES3_jN6thrust23THRUST_200600_302600_NS6detail15normal_iteratorINSA_10device_ptrIxEEEEPS6_NSA_18transform_iteratorI7is_evenIxESF_NSA_11use_defaultESK_EENS0_5tupleIJNSA_16discard_iteratorISK_EESO_EEENSM_IJSG_SG_EEES6_PlJS6_EEE10hipError_tPvRmT3_T4_T5_T6_T7_T9_mT8_P12ihipStream_tbDpT10_ENKUlT_T0_E_clISt17integral_constantIbLb0EES1B_EEDaS16_S17_EUlS16_E_NS1_11comp_targetILNS1_3genE4ELNS1_11target_archE910ELNS1_3gpuE8ELNS1_3repE0EEENS1_30default_config_static_selectorELNS0_4arch9wavefront6targetE1EEEvT1_: ; @_ZN7rocprim17ROCPRIM_400000_NS6detail17trampoline_kernelINS0_14default_configENS1_25partition_config_selectorILNS1_17partition_subalgoE1ExNS0_10empty_typeEbEEZZNS1_14partition_implILS5_1ELb0ES3_jN6thrust23THRUST_200600_302600_NS6detail15normal_iteratorINSA_10device_ptrIxEEEEPS6_NSA_18transform_iteratorI7is_evenIxESF_NSA_11use_defaultESK_EENS0_5tupleIJNSA_16discard_iteratorISK_EESO_EEENSM_IJSG_SG_EEES6_PlJS6_EEE10hipError_tPvRmT3_T4_T5_T6_T7_T9_mT8_P12ihipStream_tbDpT10_ENKUlT_T0_E_clISt17integral_constantIbLb0EES1B_EEDaS16_S17_EUlS16_E_NS1_11comp_targetILNS1_3genE4ELNS1_11target_archE910ELNS1_3gpuE8ELNS1_3repE0EEENS1_30default_config_static_selectorELNS0_4arch9wavefront6targetE1EEEvT1_
; %bb.0:
	s_load_dwordx2 s[0:1], s[4:5], 0x70
	s_load_dwordx4 s[12:15], s[4:5], 0x8
	s_load_dwordx2 s[2:3], s[4:5], 0x20
	s_load_dwordx4 s[20:23], s[4:5], 0x60
	v_lshlrev_b32_e32 v10, 3, v0
	s_waitcnt lgkmcnt(0)
	v_mov_b32_e32 v3, s1
	s_load_dword s1, s[4:5], 0x88
	s_lshl_b64 s[8:9], s[14:15], 3
	s_add_u32 s16, s12, s8
	s_addc_u32 s17, s13, s9
	v_mov_b32_e32 v2, s0
	s_waitcnt lgkmcnt(0)
	s_add_i32 s10, s1, -1
	s_mulk_i32 s1, 0x300
	s_add_i32 s7, s1, s14
	s_sub_i32 s7, s0, s7
	s_addk_i32 s7, 0x300
	s_add_u32 s0, s14, s1
	s_addc_u32 s1, s15, 0
	s_cmp_eq_u32 s6, s10
	s_load_dwordx2 s[18:19], s[22:23], 0x0
	s_cselect_b64 s[22:23], -1, 0
	s_cmp_lg_u32 s6, s10
	s_mul_i32 s12, s6, 0x300
	s_mov_b32 s13, 0
	v_cmp_lt_u64_e32 vcc, s[0:1], v[2:3]
	s_cselect_b64 s[0:1], -1, 0
	s_or_b64 s[10:11], s[0:1], vcc
	s_lshl_b64 s[12:13], s[12:13], 3
	s_add_u32 s16, s16, s12
	s_addc_u32 s17, s17, s13
	s_mov_b64 s[0:1], -1
	s_and_b64 vcc, exec, s[10:11]
	v_lshrrev_b32_e32 v1, 2, v0
	s_cbranch_vccz .LBB3165_2
; %bb.1:
	v_mov_b32_e32 v3, s17
	v_add_co_u32_e32 v2, vcc, s16, v10
	v_addc_co_u32_e32 v3, vcc, 0, v3, vcc
	v_add_co_u32_e32 v4, vcc, 0x1000, v2
	v_addc_co_u32_e32 v5, vcc, 0, v3, vcc
	flat_load_dwordx2 v[6:7], v[2:3]
	flat_load_dwordx2 v[8:9], v[2:3] offset:1536
	flat_load_dwordx2 v[12:13], v[2:3] offset:3072
	;; [unrolled: 1-line block ×3, first 2 shown]
	v_add_u32_e32 v3, 0xc0, v0
	v_add_u32_e32 v4, 0x180, v0
	;; [unrolled: 1-line block ×3, first 2 shown]
	v_and_b32_e32 v2, 56, v1
	v_lshrrev_b32_e32 v3, 2, v3
	v_lshrrev_b32_e32 v4, 2, v4
	;; [unrolled: 1-line block ×3, first 2 shown]
	v_add_u32_e32 v2, v2, v10
	v_and_b32_e32 v3, 0x78, v3
	v_and_b32_e32 v4, 0xf8, v4
	;; [unrolled: 1-line block ×3, first 2 shown]
	v_add_u32_e32 v3, v3, v10
	v_add_u32_e32 v4, v4, v10
	v_add_u32_e32 v5, v5, v10
	s_mov_b64 s[0:1], 0
	s_waitcnt vmcnt(0) lgkmcnt(0)
	ds_write_b64 v2, v[6:7]
	ds_write_b64 v3, v[8:9] offset:1536
	ds_write_b64 v4, v[12:13] offset:3072
	ds_write_b64 v5, v[14:15] offset:4608
	s_waitcnt lgkmcnt(0)
	s_barrier
.LBB3165_2:
	s_andn2_b64 vcc, exec, s[0:1]
	v_cmp_gt_u32_e64 s[0:1], s7, v0
	s_cbranch_vccnz .LBB3165_12
; %bb.3:
                                        ; implicit-def: $vgpr2_vgpr3_vgpr4_vgpr5_vgpr6_vgpr7_vgpr8_vgpr9
	s_and_saveexec_b64 s[14:15], s[0:1]
	s_cbranch_execz .LBB3165_5
; %bb.4:
	v_mov_b32_e32 v3, s17
	v_add_co_u32_e32 v2, vcc, s16, v10
	v_addc_co_u32_e32 v3, vcc, 0, v3, vcc
	flat_load_dwordx2 v[2:3], v[2:3]
.LBB3165_5:
	s_or_b64 exec, exec, s[14:15]
	v_add_u32_e32 v11, 0xc0, v0
	v_cmp_gt_u32_e32 vcc, s7, v11
	s_and_saveexec_b64 s[0:1], vcc
	s_cbranch_execz .LBB3165_7
; %bb.6:
	v_mov_b32_e32 v5, s17
	v_add_co_u32_e32 v4, vcc, s16, v10
	v_addc_co_u32_e32 v5, vcc, 0, v5, vcc
	flat_load_dwordx2 v[4:5], v[4:5] offset:1536
.LBB3165_7:
	s_or_b64 exec, exec, s[0:1]
	v_add_u32_e32 v12, 0x180, v0
	v_cmp_gt_u32_e32 vcc, s7, v12
	s_and_saveexec_b64 s[0:1], vcc
	s_cbranch_execz .LBB3165_9
; %bb.8:
	v_mov_b32_e32 v7, s17
	v_add_co_u32_e32 v6, vcc, s16, v10
	v_addc_co_u32_e32 v7, vcc, 0, v7, vcc
	flat_load_dwordx2 v[6:7], v[6:7] offset:3072
.LBB3165_9:
	s_or_b64 exec, exec, s[0:1]
	v_add_u32_e32 v13, 0x240, v0
	v_cmp_gt_u32_e32 vcc, s7, v13
	s_and_saveexec_b64 s[0:1], vcc
	s_cbranch_execz .LBB3165_11
; %bb.10:
	v_lshlrev_b32_e32 v8, 3, v13
	v_mov_b32_e32 v9, s17
	v_add_co_u32_e32 v8, vcc, s16, v8
	v_addc_co_u32_e32 v9, vcc, 0, v9, vcc
	flat_load_dwordx2 v[8:9], v[8:9]
.LBB3165_11:
	s_or_b64 exec, exec, s[0:1]
	v_and_b32_e32 v1, 56, v1
	v_add_u32_e32 v1, v1, v10
	s_waitcnt vmcnt(0) lgkmcnt(0)
	ds_write_b64 v1, v[2:3]
	v_lshrrev_b32_e32 v1, 2, v11
	v_and_b32_e32 v1, 0x78, v1
	v_add_u32_e32 v1, v1, v10
	ds_write_b64 v1, v[4:5] offset:1536
	v_lshrrev_b32_e32 v1, 2, v12
	v_and_b32_e32 v1, 0xf8, v1
	v_add_u32_e32 v1, v1, v10
	ds_write_b64 v1, v[6:7] offset:3072
	;; [unrolled: 4-line block ×3, first 2 shown]
	s_waitcnt lgkmcnt(0)
	s_barrier
.LBB3165_12:
	v_lshlrev_b32_e32 v1, 2, v0
	v_lshrrev_b32_e32 v11, 3, v0
	v_add_lshl_u32 v2, v11, v1, 3
	s_waitcnt lgkmcnt(0)
	ds_read2_b64 v[6:9], v2 offset1:1
	ds_read2_b64 v[2:5], v2 offset0:2 offset1:3
	s_add_u32 s0, s2, s8
	s_addc_u32 s1, s3, s9
	s_add_u32 s0, s0, s12
	s_addc_u32 s1, s1, s13
	s_mov_b64 s[2:3], -1
	s_and_b64 vcc, exec, s[10:11]
	v_lshrrev_b32_e32 v12, 5, v0
	s_waitcnt lgkmcnt(0)
	s_barrier
	s_cbranch_vccz .LBB3165_14
; %bb.13:
	global_load_dwordx2 v[14:15], v10, s[0:1]
	global_load_dwordx2 v[16:17], v10, s[0:1] offset:1536
	global_load_dwordx2 v[18:19], v10, s[0:1] offset:3072
	v_mov_b32_e32 v13, s1
	s_waitcnt vmcnt(2)
	v_add_co_u32_e32 v15, vcc, s0, v10
	v_addc_co_u32_e32 v13, vcc, 0, v13, vcc
	v_add_co_u32_e32 v20, vcc, 0x1000, v15
	v_addc_co_u32_e32 v21, vcc, 0, v13, vcc
	global_load_dwordx2 v[20:21], v[20:21], off offset:512
	v_add_u32_e32 v15, 0xc0, v0
	s_waitcnt vmcnt(2)
	v_add_u32_e32 v17, 0x180, v0
	v_and_b32_e32 v13, 4, v12
	s_waitcnt vmcnt(1)
	v_add_u32_e32 v19, 0x240, v0
	v_lshrrev_b32_e32 v15, 5, v15
	v_lshrrev_b32_e32 v17, 5, v17
	v_add_u32_e32 v13, v13, v0
	v_lshrrev_b32_e32 v19, 5, v19
	v_and_b32_e32 v15, 12, v15
	v_and_b32_e32 v17, 28, v17
	;; [unrolled: 1-line block ×3, first 2 shown]
	v_add_u32_e32 v15, v15, v0
	v_add_u32_e32 v17, v17, v0
	;; [unrolled: 1-line block ×3, first 2 shown]
	s_mov_b64 s[2:3], 0
	v_xor_b32_e32 v14, -1, v14
	v_xor_b32_e32 v16, -1, v16
	;; [unrolled: 1-line block ×3, first 2 shown]
	v_and_b32_e32 v14, 1, v14
	v_and_b32_e32 v16, 1, v16
	;; [unrolled: 1-line block ×3, first 2 shown]
	ds_write_b8 v13, v14
	ds_write_b8 v15, v16 offset:192
	ds_write_b8 v17, v18 offset:384
	s_waitcnt vmcnt(0)
	v_xor_b32_e32 v13, -1, v20
	v_and_b32_e32 v13, 1, v13
	ds_write_b8 v19, v13 offset:576
	s_waitcnt lgkmcnt(0)
	s_barrier
.LBB3165_14:
	s_load_dwordx2 s[24:25], s[4:5], 0x80
	s_andn2_b64 vcc, exec, s[2:3]
	s_cbranch_vccnz .LBB3165_24
; %bb.15:
	v_cmp_gt_u32_e32 vcc, s7, v0
	v_mov_b32_e32 v13, 0
	v_mov_b32_e32 v14, 0
	s_and_saveexec_b64 s[2:3], vcc
	s_cbranch_execz .LBB3165_17
; %bb.16:
	global_load_dwordx2 v[14:15], v10, s[0:1]
	s_waitcnt vmcnt(0)
	v_xor_b32_e32 v14, -1, v14
	v_and_b32_e32 v14, 1, v14
.LBB3165_17:
	s_or_b64 exec, exec, s[2:3]
	v_add_u32_e32 v15, 0xc0, v0
	v_cmp_gt_u32_e32 vcc, s7, v15
	s_and_saveexec_b64 s[2:3], vcc
	s_cbranch_execz .LBB3165_19
; %bb.18:
	global_load_dwordx2 v[16:17], v10, s[0:1] offset:1536
	s_waitcnt vmcnt(0)
	v_xor_b32_e32 v13, -1, v16
	v_and_b32_e32 v13, 1, v13
.LBB3165_19:
	s_or_b64 exec, exec, s[2:3]
	v_add_u32_e32 v17, 0x180, v0
	v_cmp_gt_u32_e32 vcc, s7, v17
	v_mov_b32_e32 v16, 0
	v_mov_b32_e32 v18, 0
	s_and_saveexec_b64 s[2:3], vcc
	s_cbranch_execz .LBB3165_21
; %bb.20:
	global_load_dwordx2 v[18:19], v10, s[0:1] offset:3072
	s_waitcnt vmcnt(0)
	v_xor_b32_e32 v10, -1, v18
	v_and_b32_e32 v18, 1, v10
.LBB3165_21:
	s_or_b64 exec, exec, s[2:3]
	v_add_u32_e32 v10, 0x240, v0
	v_cmp_gt_u32_e32 vcc, s7, v10
	s_and_saveexec_b64 s[2:3], vcc
	s_cbranch_execz .LBB3165_23
; %bb.22:
	v_lshlrev_b32_e32 v16, 3, v10
	global_load_dwordx2 v[20:21], v16, s[0:1]
	s_waitcnt vmcnt(0)
	v_xor_b32_e32 v16, -1, v20
	v_and_b32_e32 v16, 1, v16
.LBB3165_23:
	s_or_b64 exec, exec, s[2:3]
	v_and_b32_e32 v12, 4, v12
	v_add_u32_e32 v12, v12, v0
	ds_write_b8 v12, v14
	v_lshrrev_b32_e32 v12, 5, v15
	v_and_b32_e32 v12, 12, v12
	v_add_u32_e32 v12, v12, v0
	ds_write_b8 v12, v13 offset:192
	v_lshrrev_b32_e32 v12, 5, v17
	v_lshrrev_b32_e32 v10, 5, v10
	v_and_b32_e32 v12, 28, v12
	v_and_b32_e32 v10, 28, v10
	v_add_u32_e32 v12, v12, v0
	v_add_u32_e32 v10, v10, v0
	ds_write_b8 v12, v18 offset:384
	ds_write_b8 v10, v16 offset:576
	s_waitcnt lgkmcnt(0)
	s_barrier
.LBB3165_24:
	v_and_b32_e32 v10, 28, v11
	v_add_u32_e32 v10, v10, v1
	s_waitcnt lgkmcnt(0)
	ds_read_b32 v21, v10
	s_cmp_lg_u32 s6, 0
	v_lshrrev_b32_e32 v24, 6, v0
	s_waitcnt lgkmcnt(0)
	s_barrier
	v_lshrrev_b32_e32 v20, 24, v21
	v_bfe_u32 v22, v21, 16, 8
	v_add_u32_sdwa v10, v21, v21 dst_sel:DWORD dst_unused:UNUSED_PAD src0_sel:BYTE_1 src1_sel:BYTE_0
	v_add3_u32 v25, v10, v22, v20
	v_mbcnt_lo_u32_b32 v10, -1, 0
	v_mbcnt_hi_u32_b32 v23, -1, v10
	v_and_b32_e32 v10, 15, v23
	v_cmp_eq_u32_e64 s[12:13], 0, v10
	v_cmp_lt_u32_e64 s[10:11], 1, v10
	v_cmp_lt_u32_e64 s[8:9], 3, v10
	;; [unrolled: 1-line block ×3, first 2 shown]
	v_and_b32_e32 v10, 16, v23
	v_cmp_eq_u32_e64 s[2:3], 0, v10
	v_and_b32_e32 v10, 0xc0, v0
	v_min_u32_e32 v10, 0x80, v10
	v_or_b32_e32 v10, 63, v10
	v_cmp_lt_u32_e64 s[0:1], 31, v23
	v_cmp_eq_u32_e64 s[4:5], v10, v0
	s_cbranch_scc0 .LBB3165_51
; %bb.25:
	v_mov_b32_dpp v10, v25 row_shr:1 row_mask:0xf bank_mask:0xf
	v_cndmask_b32_e64 v10, v10, 0, s[12:13]
	v_add_u32_e32 v10, v10, v25
	s_nop 1
	v_mov_b32_dpp v11, v10 row_shr:2 row_mask:0xf bank_mask:0xf
	v_cndmask_b32_e64 v11, 0, v11, s[10:11]
	v_add_u32_e32 v10, v10, v11
	s_nop 1
	;; [unrolled: 4-line block ×4, first 2 shown]
	v_mov_b32_dpp v11, v10 row_bcast:15 row_mask:0xf bank_mask:0xf
	v_cndmask_b32_e64 v11, v11, 0, s[2:3]
	v_add_u32_e32 v10, v10, v11
	s_nop 1
	v_mov_b32_dpp v11, v10 row_bcast:31 row_mask:0xf bank_mask:0xf
	v_cndmask_b32_e64 v11, 0, v11, s[0:1]
	v_add_u32_e32 v10, v10, v11
	s_and_saveexec_b64 s[14:15], s[4:5]
	s_cbranch_execz .LBB3165_27
; %bb.26:
	v_lshlrev_b32_e32 v11, 2, v24
	ds_write_b32 v11, v10
.LBB3165_27:
	s_or_b64 exec, exec, s[14:15]
	v_cmp_gt_u32_e32 vcc, 3, v0
	s_waitcnt lgkmcnt(0)
	s_barrier
	s_and_saveexec_b64 s[14:15], vcc
	s_cbranch_execz .LBB3165_29
; %bb.28:
	ds_read_b32 v11, v1
	v_and_b32_e32 v12, 3, v23
	v_cmp_ne_u32_e32 vcc, 0, v12
	s_waitcnt lgkmcnt(0)
	v_mov_b32_dpp v13, v11 row_shr:1 row_mask:0xf bank_mask:0xf
	v_cndmask_b32_e32 v13, 0, v13, vcc
	v_add_u32_e32 v11, v13, v11
	v_cmp_lt_u32_e32 vcc, 1, v12
	s_nop 0
	v_mov_b32_dpp v13, v11 row_shr:2 row_mask:0xf bank_mask:0xf
	v_cndmask_b32_e32 v12, 0, v13, vcc
	v_add_u32_e32 v11, v11, v12
	ds_write_b32 v1, v11
.LBB3165_29:
	s_or_b64 exec, exec, s[14:15]
	v_cmp_gt_u32_e32 vcc, 64, v0
	v_cmp_lt_u32_e64 s[14:15], 63, v0
	s_waitcnt lgkmcnt(0)
	s_barrier
	s_waitcnt lgkmcnt(0)
                                        ; implicit-def: $vgpr26
	s_and_saveexec_b64 s[26:27], s[14:15]
	s_cbranch_execz .LBB3165_31
; %bb.30:
	v_lshl_add_u32 v11, v24, 2, -4
	ds_read_b32 v26, v11
	s_waitcnt lgkmcnt(0)
	v_add_u32_e32 v10, v26, v10
.LBB3165_31:
	s_or_b64 exec, exec, s[26:27]
	v_add_u32_e32 v11, -1, v23
	v_and_b32_e32 v12, 64, v23
	v_cmp_lt_i32_e64 s[14:15], v11, v12
	v_cndmask_b32_e64 v11, v11, v23, s[14:15]
	v_lshlrev_b32_e32 v11, 2, v11
	ds_bpermute_b32 v27, v11, v10
	v_cmp_eq_u32_e64 s[14:15], 0, v23
	s_and_saveexec_b64 s[26:27], vcc
	s_cbranch_execz .LBB3165_50
; %bb.32:
	v_mov_b32_e32 v17, 0
	ds_read_b32 v10, v17 offset:8
	s_and_saveexec_b64 s[28:29], s[14:15]
	s_cbranch_execz .LBB3165_34
; %bb.33:
	s_add_i32 s30, s6, 64
	s_mov_b32 s31, 0
	s_lshl_b64 s[30:31], s[30:31], 3
	s_add_u32 s30, s24, s30
	v_mov_b32_e32 v11, 1
	s_addc_u32 s31, s25, s31
	s_waitcnt lgkmcnt(0)
	global_store_dwordx2 v17, v[10:11], s[30:31]
.LBB3165_34:
	s_or_b64 exec, exec, s[28:29]
	v_xad_u32 v12, v23, -1, s6
	v_add_u32_e32 v16, 64, v12
	v_lshlrev_b64 v[14:15], 3, v[16:17]
	v_mov_b32_e32 v11, s25
	v_add_co_u32_e32 v18, vcc, s24, v14
	v_addc_co_u32_e32 v19, vcc, v11, v15, vcc
	global_load_dwordx2 v[14:15], v[18:19], off glc
	s_waitcnt vmcnt(0)
	v_cmp_eq_u16_sdwa s[30:31], v15, v17 src0_sel:BYTE_0 src1_sel:DWORD
	s_and_saveexec_b64 s[28:29], s[30:31]
	s_cbranch_execz .LBB3165_38
; %bb.35:
	s_mov_b64 s[30:31], 0
	v_mov_b32_e32 v11, 0
.LBB3165_36:                            ; =>This Inner Loop Header: Depth=1
	global_load_dwordx2 v[14:15], v[18:19], off glc
	s_waitcnt vmcnt(0)
	v_cmp_ne_u16_sdwa s[34:35], v15, v11 src0_sel:BYTE_0 src1_sel:DWORD
	s_or_b64 s[30:31], s[34:35], s[30:31]
	s_andn2_b64 exec, exec, s[30:31]
	s_cbranch_execnz .LBB3165_36
; %bb.37:
	s_or_b64 exec, exec, s[30:31]
.LBB3165_38:
	s_or_b64 exec, exec, s[28:29]
	v_and_b32_e32 v29, 63, v23
	v_mov_b32_e32 v28, 2
	v_cmp_ne_u32_e32 vcc, 63, v29
	v_cmp_eq_u16_sdwa s[28:29], v15, v28 src0_sel:BYTE_0 src1_sel:DWORD
	v_lshlrev_b64 v[16:17], v23, -1
	v_addc_co_u32_e32 v18, vcc, 0, v23, vcc
	v_and_b32_e32 v11, s29, v17
	v_lshlrev_b32_e32 v30, 2, v18
	v_or_b32_e32 v11, 0x80000000, v11
	ds_bpermute_b32 v18, v30, v14
	v_and_b32_e32 v13, s28, v16
	v_ffbl_b32_e32 v11, v11
	v_add_u32_e32 v11, 32, v11
	v_ffbl_b32_e32 v13, v13
	v_min_u32_e32 v11, v13, v11
	v_cmp_lt_u32_e32 vcc, v29, v11
	s_waitcnt lgkmcnt(0)
	v_cndmask_b32_e32 v13, 0, v18, vcc
	v_cmp_gt_u32_e32 vcc, 62, v29
	v_add_u32_e32 v13, v13, v14
	v_cndmask_b32_e64 v14, 0, 1, vcc
	v_lshlrev_b32_e32 v14, 1, v14
	v_add_lshl_u32 v31, v14, v23, 2
	ds_bpermute_b32 v14, v31, v13
	v_add_u32_e32 v32, 2, v29
	v_cmp_le_u32_e32 vcc, v32, v11
	v_add_u32_e32 v34, 4, v29
	v_add_u32_e32 v36, 8, v29
	s_waitcnt lgkmcnt(0)
	v_cndmask_b32_e32 v14, 0, v14, vcc
	v_cmp_gt_u32_e32 vcc, 60, v29
	v_add_u32_e32 v13, v13, v14
	v_cndmask_b32_e64 v14, 0, 1, vcc
	v_lshlrev_b32_e32 v14, 2, v14
	v_add_lshl_u32 v33, v14, v23, 2
	ds_bpermute_b32 v14, v33, v13
	v_cmp_le_u32_e32 vcc, v34, v11
	v_add_u32_e32 v38, 16, v29
	v_add_u32_e32 v40, 32, v29
	s_waitcnt lgkmcnt(0)
	v_cndmask_b32_e32 v14, 0, v14, vcc
	v_cmp_gt_u32_e32 vcc, 56, v29
	v_add_u32_e32 v13, v13, v14
	v_cndmask_b32_e64 v14, 0, 1, vcc
	v_lshlrev_b32_e32 v14, 3, v14
	v_add_lshl_u32 v35, v14, v23, 2
	ds_bpermute_b32 v14, v35, v13
	v_cmp_le_u32_e32 vcc, v36, v11
	s_waitcnt lgkmcnt(0)
	v_cndmask_b32_e32 v14, 0, v14, vcc
	v_cmp_gt_u32_e32 vcc, 48, v29
	v_add_u32_e32 v13, v13, v14
	v_cndmask_b32_e64 v14, 0, 1, vcc
	v_lshlrev_b32_e32 v14, 4, v14
	v_add_lshl_u32 v37, v14, v23, 2
	ds_bpermute_b32 v14, v37, v13
	v_cmp_le_u32_e32 vcc, v38, v11
	;; [unrolled: 9-line block ×3, first 2 shown]
	s_waitcnt lgkmcnt(0)
	v_cndmask_b32_e32 v11, 0, v14, vcc
	v_add_u32_e32 v14, v13, v11
	v_mov_b32_e32 v13, 0
	s_branch .LBB3165_40
.LBB3165_39:                            ;   in Loop: Header=BB3165_40 Depth=1
	s_or_b64 exec, exec, s[28:29]
	v_cmp_eq_u16_sdwa s[28:29], v15, v28 src0_sel:BYTE_0 src1_sel:DWORD
	v_and_b32_e32 v18, s29, v17
	v_or_b32_e32 v18, 0x80000000, v18
	ds_bpermute_b32 v41, v30, v14
	v_and_b32_e32 v19, s28, v16
	v_ffbl_b32_e32 v18, v18
	v_add_u32_e32 v18, 32, v18
	v_ffbl_b32_e32 v19, v19
	v_min_u32_e32 v18, v19, v18
	v_cmp_lt_u32_e32 vcc, v29, v18
	s_waitcnt lgkmcnt(0)
	v_cndmask_b32_e32 v19, 0, v41, vcc
	v_add_u32_e32 v14, v19, v14
	ds_bpermute_b32 v19, v31, v14
	v_cmp_le_u32_e32 vcc, v32, v18
	v_subrev_u32_e32 v12, 64, v12
	s_waitcnt lgkmcnt(0)
	v_cndmask_b32_e32 v19, 0, v19, vcc
	v_add_u32_e32 v14, v14, v19
	ds_bpermute_b32 v19, v33, v14
	v_cmp_le_u32_e32 vcc, v34, v18
	s_waitcnt lgkmcnt(0)
	v_cndmask_b32_e32 v19, 0, v19, vcc
	v_add_u32_e32 v14, v14, v19
	ds_bpermute_b32 v19, v35, v14
	v_cmp_le_u32_e32 vcc, v36, v18
	;; [unrolled: 5-line block ×4, first 2 shown]
	s_waitcnt lgkmcnt(0)
	v_cndmask_b32_e32 v18, 0, v19, vcc
	v_add3_u32 v14, v18, v11, v14
.LBB3165_40:                            ; =>This Loop Header: Depth=1
                                        ;     Child Loop BB3165_43 Depth 2
	v_cmp_ne_u16_sdwa s[28:29], v15, v28 src0_sel:BYTE_0 src1_sel:DWORD
	v_cndmask_b32_e64 v11, 0, 1, s[28:29]
	;;#ASMSTART
	;;#ASMEND
	v_cmp_ne_u32_e32 vcc, 0, v11
	s_cmp_lg_u64 vcc, exec
	v_mov_b32_e32 v11, v14
	s_cbranch_scc1 .LBB3165_45
; %bb.41:                               ;   in Loop: Header=BB3165_40 Depth=1
	v_lshlrev_b64 v[14:15], 3, v[12:13]
	v_mov_b32_e32 v19, s25
	v_add_co_u32_e32 v18, vcc, s24, v14
	v_addc_co_u32_e32 v19, vcc, v19, v15, vcc
	global_load_dwordx2 v[14:15], v[18:19], off glc
	s_waitcnt vmcnt(0)
	v_cmp_eq_u16_sdwa s[30:31], v15, v13 src0_sel:BYTE_0 src1_sel:DWORD
	s_and_saveexec_b64 s[28:29], s[30:31]
	s_cbranch_execz .LBB3165_39
; %bb.42:                               ;   in Loop: Header=BB3165_40 Depth=1
	s_mov_b64 s[30:31], 0
.LBB3165_43:                            ;   Parent Loop BB3165_40 Depth=1
                                        ; =>  This Inner Loop Header: Depth=2
	global_load_dwordx2 v[14:15], v[18:19], off glc
	s_waitcnt vmcnt(0)
	v_cmp_ne_u16_sdwa s[34:35], v15, v13 src0_sel:BYTE_0 src1_sel:DWORD
	s_or_b64 s[30:31], s[34:35], s[30:31]
	s_andn2_b64 exec, exec, s[30:31]
	s_cbranch_execnz .LBB3165_43
; %bb.44:                               ;   in Loop: Header=BB3165_40 Depth=1
	s_or_b64 exec, exec, s[30:31]
	s_branch .LBB3165_39
.LBB3165_45:                            ;   in Loop: Header=BB3165_40 Depth=1
                                        ; implicit-def: $vgpr14
                                        ; implicit-def: $vgpr15
	s_cbranch_execz .LBB3165_40
; %bb.46:
	s_and_saveexec_b64 s[28:29], s[14:15]
	s_cbranch_execz .LBB3165_48
; %bb.47:
	s_add_i32 s6, s6, 64
	s_mov_b32 s7, 0
	s_lshl_b64 s[6:7], s[6:7], 3
	s_add_u32 s6, s24, s6
	v_add_u32_e32 v12, v11, v10
	v_mov_b32_e32 v13, 2
	s_addc_u32 s7, s25, s7
	v_mov_b32_e32 v14, 0
	global_store_dwordx2 v14, v[12:13], s[6:7]
	ds_write_b64 v14, v[10:11] offset:6336
.LBB3165_48:
	s_or_b64 exec, exec, s[28:29]
	v_cmp_eq_u32_e32 vcc, 0, v0
	s_and_b64 exec, exec, vcc
	s_cbranch_execz .LBB3165_50
; %bb.49:
	v_mov_b32_e32 v10, 0
	ds_write_b32 v10, v11 offset:8
.LBB3165_50:
	s_or_b64 exec, exec, s[26:27]
	v_mov_b32_e32 v10, 0
	s_waitcnt lgkmcnt(0)
	s_barrier
	ds_read_b32 v11, v10 offset:8
	v_cndmask_b32_e64 v12, v27, v26, s[14:15]
	v_cmp_ne_u32_e32 vcc, 0, v0
	v_cndmask_b32_e32 v12, 0, v12, vcc
	s_waitcnt lgkmcnt(0)
	v_add_u32_e32 v14, v11, v12
	s_barrier
	ds_read_b64 v[10:11], v10 offset:6336
	v_add_u32_sdwa v15, v14, v21 dst_sel:DWORD dst_unused:UNUSED_PAD src0_sel:DWORD src1_sel:BYTE_0
	v_add_u32_sdwa v13, v15, v21 dst_sel:DWORD dst_unused:UNUSED_PAD src0_sel:DWORD src1_sel:BYTE_1
	v_add_u32_e32 v12, v13, v22
	s_branch .LBB3165_61
.LBB3165_51:
                                        ; implicit-def: $vgpr11
                                        ; implicit-def: $vgpr12
                                        ; implicit-def: $vgpr13
                                        ; implicit-def: $vgpr15
                                        ; implicit-def: $vgpr14
	s_cbranch_execz .LBB3165_61
; %bb.52:
	s_waitcnt lgkmcnt(0)
	v_mov_b32_dpp v10, v25 row_shr:1 row_mask:0xf bank_mask:0xf
	v_cndmask_b32_e64 v10, v10, 0, s[12:13]
	v_add_u32_e32 v10, v10, v25
	s_nop 1
	v_mov_b32_dpp v11, v10 row_shr:2 row_mask:0xf bank_mask:0xf
	v_cndmask_b32_e64 v11, 0, v11, s[10:11]
	v_add_u32_e32 v10, v10, v11
	s_nop 1
	v_mov_b32_dpp v11, v10 row_shr:4 row_mask:0xf bank_mask:0xf
	v_cndmask_b32_e64 v11, 0, v11, s[8:9]
	v_add_u32_e32 v10, v10, v11
	s_nop 1
	v_mov_b32_dpp v11, v10 row_shr:8 row_mask:0xf bank_mask:0xf
	v_cndmask_b32_e64 v11, 0, v11, s[16:17]
	v_add_u32_e32 v10, v10, v11
	s_nop 1
	v_mov_b32_dpp v11, v10 row_bcast:15 row_mask:0xf bank_mask:0xf
	v_cndmask_b32_e64 v11, v11, 0, s[2:3]
	v_add_u32_e32 v10, v10, v11
	s_nop 1
	v_mov_b32_dpp v11, v10 row_bcast:31 row_mask:0xf bank_mask:0xf
	v_cndmask_b32_e64 v11, 0, v11, s[0:1]
	v_add_u32_e32 v10, v10, v11
	s_and_saveexec_b64 s[0:1], s[4:5]
	s_cbranch_execz .LBB3165_54
; %bb.53:
	v_lshlrev_b32_e32 v11, 2, v24
	ds_write_b32 v11, v10
.LBB3165_54:
	s_or_b64 exec, exec, s[0:1]
	v_cmp_gt_u32_e32 vcc, 3, v0
	s_waitcnt lgkmcnt(0)
	s_barrier
	s_and_saveexec_b64 s[0:1], vcc
	s_cbranch_execz .LBB3165_56
; %bb.55:
	ds_read_b32 v11, v1
	v_and_b32_e32 v12, 3, v23
	v_cmp_ne_u32_e32 vcc, 0, v12
	s_waitcnt lgkmcnt(0)
	v_mov_b32_dpp v13, v11 row_shr:1 row_mask:0xf bank_mask:0xf
	v_cndmask_b32_e32 v13, 0, v13, vcc
	v_add_u32_e32 v11, v13, v11
	v_cmp_lt_u32_e32 vcc, 1, v12
	s_nop 0
	v_mov_b32_dpp v13, v11 row_shr:2 row_mask:0xf bank_mask:0xf
	v_cndmask_b32_e32 v12, 0, v13, vcc
	v_add_u32_e32 v11, v11, v12
	ds_write_b32 v1, v11
.LBB3165_56:
	s_or_b64 exec, exec, s[0:1]
	v_cmp_lt_u32_e32 vcc, 63, v0
	v_mov_b32_e32 v11, 0
	v_mov_b32_e32 v12, 0
	s_waitcnt lgkmcnt(0)
	s_barrier
	s_and_saveexec_b64 s[0:1], vcc
	s_cbranch_execz .LBB3165_58
; %bb.57:
	v_lshl_add_u32 v12, v24, 2, -4
	ds_read_b32 v12, v12
.LBB3165_58:
	s_or_b64 exec, exec, s[0:1]
	v_add_u32_e32 v13, -1, v23
	v_and_b32_e32 v14, 64, v23
	v_cmp_lt_i32_e32 vcc, v13, v14
	v_cndmask_b32_e32 v13, v13, v23, vcc
	s_waitcnt lgkmcnt(0)
	v_add_u32_e32 v10, v12, v10
	v_lshlrev_b32_e32 v13, 2, v13
	ds_bpermute_b32 v13, v13, v10
	ds_read_b32 v10, v11 offset:8
	v_cmp_eq_u32_e32 vcc, 0, v0
	s_and_saveexec_b64 s[0:1], vcc
	s_cbranch_execz .LBB3165_60
; %bb.59:
	v_mov_b32_e32 v14, 0
	v_mov_b32_e32 v11, 2
	s_waitcnt lgkmcnt(0)
	global_store_dwordx2 v14, v[10:11], s[24:25] offset:512
.LBB3165_60:
	s_or_b64 exec, exec, s[0:1]
	v_cmp_eq_u32_e64 s[0:1], 0, v23
	s_waitcnt lgkmcnt(1)
	v_cndmask_b32_e64 v12, v13, v12, s[0:1]
	v_cndmask_b32_e64 v14, v12, 0, vcc
	v_add_u32_sdwa v15, v14, v21 dst_sel:DWORD dst_unused:UNUSED_PAD src0_sel:DWORD src1_sel:BYTE_0
	v_add_u32_sdwa v13, v15, v21 dst_sel:DWORD dst_unused:UNUSED_PAD src0_sel:DWORD src1_sel:BYTE_1
	v_mov_b32_e32 v11, 0
	v_add_u32_e32 v12, v13, v22
	s_waitcnt lgkmcnt(0)
	s_barrier
.LBB3165_61:
	s_waitcnt lgkmcnt(0)
	v_add_u32_e32 v1, v10, v1
	v_sub_u32_e32 v14, v14, v11
	v_and_b32_e32 v18, 1, v21
	v_sub_u32_e32 v17, v1, v14
	v_cmp_eq_u32_e32 vcc, 1, v18
	v_cndmask_b32_e32 v14, v17, v14, vcc
	v_lshlrev_b32_e32 v14, 3, v14
	v_lshrrev_b32_e32 v16, 8, v21
	ds_write_b64 v14, v[6:7]
	v_sub_u32_e32 v6, v15, v11
	v_sub_u32_e32 v7, v1, v6
	v_and_b32_e32 v14, 1, v16
	v_add_u32_e32 v7, 1, v7
	v_cmp_eq_u32_e32 vcc, 1, v14
	v_cndmask_b32_e32 v6, v7, v6, vcc
	v_lshlrev_b32_e32 v6, 3, v6
	ds_write_b64 v6, v[8:9]
	v_sub_u32_e32 v6, v13, v11
	v_mov_b32_e32 v8, 1
	v_sub_u32_e32 v7, v1, v6
	v_and_b32_sdwa v8, v8, v21 dst_sel:DWORD dst_unused:UNUSED_PAD src0_sel:DWORD src1_sel:WORD_1
	v_add_u32_e32 v7, 2, v7
	v_cmp_eq_u32_e32 vcc, 1, v8
	v_cndmask_b32_e32 v6, v7, v6, vcc
	v_lshlrev_b32_e32 v6, 3, v6
	ds_write_b64 v6, v[2:3]
	v_sub_u32_e32 v2, v12, v11
	v_sub_u32_e32 v1, v1, v2
	v_and_b32_e32 v3, 1, v20
	v_add_u32_e32 v1, 3, v1
	v_cmp_eq_u32_e32 vcc, 1, v3
	v_cndmask_b32_e32 v1, v1, v2, vcc
	v_cmp_eq_u32_e32 vcc, 0, v0
	v_lshlrev_b32_e32 v1, 3, v1
	s_and_b64 s[0:1], vcc, s[22:23]
	ds_write_b64 v1, v[4:5]
	s_waitcnt lgkmcnt(0)
	s_barrier
	s_and_saveexec_b64 s[2:3], s[0:1]
	s_cbranch_execz .LBB3165_63
; %bb.62:
	v_mov_b32_e32 v0, s19
	v_add_co_u32_e32 v1, vcc, s18, v10
	v_addc_co_u32_e32 v3, vcc, 0, v0, vcc
	v_add_co_u32_e32 v0, vcc, v1, v11
	v_mov_b32_e32 v2, 0
	v_addc_co_u32_e32 v1, vcc, 0, v3, vcc
	global_store_dwordx2 v2, v[0:1], s[20:21]
.LBB3165_63:
	s_endpgm
	.section	.rodata,"a",@progbits
	.p2align	6, 0x0
	.amdhsa_kernel _ZN7rocprim17ROCPRIM_400000_NS6detail17trampoline_kernelINS0_14default_configENS1_25partition_config_selectorILNS1_17partition_subalgoE1ExNS0_10empty_typeEbEEZZNS1_14partition_implILS5_1ELb0ES3_jN6thrust23THRUST_200600_302600_NS6detail15normal_iteratorINSA_10device_ptrIxEEEEPS6_NSA_18transform_iteratorI7is_evenIxESF_NSA_11use_defaultESK_EENS0_5tupleIJNSA_16discard_iteratorISK_EESO_EEENSM_IJSG_SG_EEES6_PlJS6_EEE10hipError_tPvRmT3_T4_T5_T6_T7_T9_mT8_P12ihipStream_tbDpT10_ENKUlT_T0_E_clISt17integral_constantIbLb0EES1B_EEDaS16_S17_EUlS16_E_NS1_11comp_targetILNS1_3genE4ELNS1_11target_archE910ELNS1_3gpuE8ELNS1_3repE0EEENS1_30default_config_static_selectorELNS0_4arch9wavefront6targetE1EEEvT1_
		.amdhsa_group_segment_fixed_size 6344
		.amdhsa_private_segment_fixed_size 0
		.amdhsa_kernarg_size 144
		.amdhsa_user_sgpr_count 6
		.amdhsa_user_sgpr_private_segment_buffer 1
		.amdhsa_user_sgpr_dispatch_ptr 0
		.amdhsa_user_sgpr_queue_ptr 0
		.amdhsa_user_sgpr_kernarg_segment_ptr 1
		.amdhsa_user_sgpr_dispatch_id 0
		.amdhsa_user_sgpr_flat_scratch_init 0
		.amdhsa_user_sgpr_kernarg_preload_length 0
		.amdhsa_user_sgpr_kernarg_preload_offset 0
		.amdhsa_user_sgpr_private_segment_size 0
		.amdhsa_uses_dynamic_stack 0
		.amdhsa_system_sgpr_private_segment_wavefront_offset 0
		.amdhsa_system_sgpr_workgroup_id_x 1
		.amdhsa_system_sgpr_workgroup_id_y 0
		.amdhsa_system_sgpr_workgroup_id_z 0
		.amdhsa_system_sgpr_workgroup_info 0
		.amdhsa_system_vgpr_workitem_id 0
		.amdhsa_next_free_vgpr 42
		.amdhsa_next_free_sgpr 36
		.amdhsa_accum_offset 44
		.amdhsa_reserve_vcc 1
		.amdhsa_reserve_flat_scratch 0
		.amdhsa_float_round_mode_32 0
		.amdhsa_float_round_mode_16_64 0
		.amdhsa_float_denorm_mode_32 3
		.amdhsa_float_denorm_mode_16_64 3
		.amdhsa_dx10_clamp 1
		.amdhsa_ieee_mode 1
		.amdhsa_fp16_overflow 0
		.amdhsa_tg_split 0
		.amdhsa_exception_fp_ieee_invalid_op 0
		.amdhsa_exception_fp_denorm_src 0
		.amdhsa_exception_fp_ieee_div_zero 0
		.amdhsa_exception_fp_ieee_overflow 0
		.amdhsa_exception_fp_ieee_underflow 0
		.amdhsa_exception_fp_ieee_inexact 0
		.amdhsa_exception_int_div_zero 0
	.end_amdhsa_kernel
	.section	.text._ZN7rocprim17ROCPRIM_400000_NS6detail17trampoline_kernelINS0_14default_configENS1_25partition_config_selectorILNS1_17partition_subalgoE1ExNS0_10empty_typeEbEEZZNS1_14partition_implILS5_1ELb0ES3_jN6thrust23THRUST_200600_302600_NS6detail15normal_iteratorINSA_10device_ptrIxEEEEPS6_NSA_18transform_iteratorI7is_evenIxESF_NSA_11use_defaultESK_EENS0_5tupleIJNSA_16discard_iteratorISK_EESO_EEENSM_IJSG_SG_EEES6_PlJS6_EEE10hipError_tPvRmT3_T4_T5_T6_T7_T9_mT8_P12ihipStream_tbDpT10_ENKUlT_T0_E_clISt17integral_constantIbLb0EES1B_EEDaS16_S17_EUlS16_E_NS1_11comp_targetILNS1_3genE4ELNS1_11target_archE910ELNS1_3gpuE8ELNS1_3repE0EEENS1_30default_config_static_selectorELNS0_4arch9wavefront6targetE1EEEvT1_,"axG",@progbits,_ZN7rocprim17ROCPRIM_400000_NS6detail17trampoline_kernelINS0_14default_configENS1_25partition_config_selectorILNS1_17partition_subalgoE1ExNS0_10empty_typeEbEEZZNS1_14partition_implILS5_1ELb0ES3_jN6thrust23THRUST_200600_302600_NS6detail15normal_iteratorINSA_10device_ptrIxEEEEPS6_NSA_18transform_iteratorI7is_evenIxESF_NSA_11use_defaultESK_EENS0_5tupleIJNSA_16discard_iteratorISK_EESO_EEENSM_IJSG_SG_EEES6_PlJS6_EEE10hipError_tPvRmT3_T4_T5_T6_T7_T9_mT8_P12ihipStream_tbDpT10_ENKUlT_T0_E_clISt17integral_constantIbLb0EES1B_EEDaS16_S17_EUlS16_E_NS1_11comp_targetILNS1_3genE4ELNS1_11target_archE910ELNS1_3gpuE8ELNS1_3repE0EEENS1_30default_config_static_selectorELNS0_4arch9wavefront6targetE1EEEvT1_,comdat
.Lfunc_end3165:
	.size	_ZN7rocprim17ROCPRIM_400000_NS6detail17trampoline_kernelINS0_14default_configENS1_25partition_config_selectorILNS1_17partition_subalgoE1ExNS0_10empty_typeEbEEZZNS1_14partition_implILS5_1ELb0ES3_jN6thrust23THRUST_200600_302600_NS6detail15normal_iteratorINSA_10device_ptrIxEEEEPS6_NSA_18transform_iteratorI7is_evenIxESF_NSA_11use_defaultESK_EENS0_5tupleIJNSA_16discard_iteratorISK_EESO_EEENSM_IJSG_SG_EEES6_PlJS6_EEE10hipError_tPvRmT3_T4_T5_T6_T7_T9_mT8_P12ihipStream_tbDpT10_ENKUlT_T0_E_clISt17integral_constantIbLb0EES1B_EEDaS16_S17_EUlS16_E_NS1_11comp_targetILNS1_3genE4ELNS1_11target_archE910ELNS1_3gpuE8ELNS1_3repE0EEENS1_30default_config_static_selectorELNS0_4arch9wavefront6targetE1EEEvT1_, .Lfunc_end3165-_ZN7rocprim17ROCPRIM_400000_NS6detail17trampoline_kernelINS0_14default_configENS1_25partition_config_selectorILNS1_17partition_subalgoE1ExNS0_10empty_typeEbEEZZNS1_14partition_implILS5_1ELb0ES3_jN6thrust23THRUST_200600_302600_NS6detail15normal_iteratorINSA_10device_ptrIxEEEEPS6_NSA_18transform_iteratorI7is_evenIxESF_NSA_11use_defaultESK_EENS0_5tupleIJNSA_16discard_iteratorISK_EESO_EEENSM_IJSG_SG_EEES6_PlJS6_EEE10hipError_tPvRmT3_T4_T5_T6_T7_T9_mT8_P12ihipStream_tbDpT10_ENKUlT_T0_E_clISt17integral_constantIbLb0EES1B_EEDaS16_S17_EUlS16_E_NS1_11comp_targetILNS1_3genE4ELNS1_11target_archE910ELNS1_3gpuE8ELNS1_3repE0EEENS1_30default_config_static_selectorELNS0_4arch9wavefront6targetE1EEEvT1_
                                        ; -- End function
	.section	.AMDGPU.csdata,"",@progbits
; Kernel info:
; codeLenInByte = 3448
; NumSgprs: 40
; NumVgprs: 42
; NumAgprs: 0
; TotalNumVgprs: 42
; ScratchSize: 0
; MemoryBound: 0
; FloatMode: 240
; IeeeMode: 1
; LDSByteSize: 6344 bytes/workgroup (compile time only)
; SGPRBlocks: 4
; VGPRBlocks: 5
; NumSGPRsForWavesPerEU: 40
; NumVGPRsForWavesPerEU: 42
; AccumOffset: 44
; Occupancy: 8
; WaveLimiterHint : 1
; COMPUTE_PGM_RSRC2:SCRATCH_EN: 0
; COMPUTE_PGM_RSRC2:USER_SGPR: 6
; COMPUTE_PGM_RSRC2:TRAP_HANDLER: 0
; COMPUTE_PGM_RSRC2:TGID_X_EN: 1
; COMPUTE_PGM_RSRC2:TGID_Y_EN: 0
; COMPUTE_PGM_RSRC2:TGID_Z_EN: 0
; COMPUTE_PGM_RSRC2:TIDIG_COMP_CNT: 0
; COMPUTE_PGM_RSRC3_GFX90A:ACCUM_OFFSET: 10
; COMPUTE_PGM_RSRC3_GFX90A:TG_SPLIT: 0
	.section	.text._ZN7rocprim17ROCPRIM_400000_NS6detail17trampoline_kernelINS0_14default_configENS1_25partition_config_selectorILNS1_17partition_subalgoE1ExNS0_10empty_typeEbEEZZNS1_14partition_implILS5_1ELb0ES3_jN6thrust23THRUST_200600_302600_NS6detail15normal_iteratorINSA_10device_ptrIxEEEEPS6_NSA_18transform_iteratorI7is_evenIxESF_NSA_11use_defaultESK_EENS0_5tupleIJNSA_16discard_iteratorISK_EESO_EEENSM_IJSG_SG_EEES6_PlJS6_EEE10hipError_tPvRmT3_T4_T5_T6_T7_T9_mT8_P12ihipStream_tbDpT10_ENKUlT_T0_E_clISt17integral_constantIbLb0EES1B_EEDaS16_S17_EUlS16_E_NS1_11comp_targetILNS1_3genE3ELNS1_11target_archE908ELNS1_3gpuE7ELNS1_3repE0EEENS1_30default_config_static_selectorELNS0_4arch9wavefront6targetE1EEEvT1_,"axG",@progbits,_ZN7rocprim17ROCPRIM_400000_NS6detail17trampoline_kernelINS0_14default_configENS1_25partition_config_selectorILNS1_17partition_subalgoE1ExNS0_10empty_typeEbEEZZNS1_14partition_implILS5_1ELb0ES3_jN6thrust23THRUST_200600_302600_NS6detail15normal_iteratorINSA_10device_ptrIxEEEEPS6_NSA_18transform_iteratorI7is_evenIxESF_NSA_11use_defaultESK_EENS0_5tupleIJNSA_16discard_iteratorISK_EESO_EEENSM_IJSG_SG_EEES6_PlJS6_EEE10hipError_tPvRmT3_T4_T5_T6_T7_T9_mT8_P12ihipStream_tbDpT10_ENKUlT_T0_E_clISt17integral_constantIbLb0EES1B_EEDaS16_S17_EUlS16_E_NS1_11comp_targetILNS1_3genE3ELNS1_11target_archE908ELNS1_3gpuE7ELNS1_3repE0EEENS1_30default_config_static_selectorELNS0_4arch9wavefront6targetE1EEEvT1_,comdat
	.protected	_ZN7rocprim17ROCPRIM_400000_NS6detail17trampoline_kernelINS0_14default_configENS1_25partition_config_selectorILNS1_17partition_subalgoE1ExNS0_10empty_typeEbEEZZNS1_14partition_implILS5_1ELb0ES3_jN6thrust23THRUST_200600_302600_NS6detail15normal_iteratorINSA_10device_ptrIxEEEEPS6_NSA_18transform_iteratorI7is_evenIxESF_NSA_11use_defaultESK_EENS0_5tupleIJNSA_16discard_iteratorISK_EESO_EEENSM_IJSG_SG_EEES6_PlJS6_EEE10hipError_tPvRmT3_T4_T5_T6_T7_T9_mT8_P12ihipStream_tbDpT10_ENKUlT_T0_E_clISt17integral_constantIbLb0EES1B_EEDaS16_S17_EUlS16_E_NS1_11comp_targetILNS1_3genE3ELNS1_11target_archE908ELNS1_3gpuE7ELNS1_3repE0EEENS1_30default_config_static_selectorELNS0_4arch9wavefront6targetE1EEEvT1_ ; -- Begin function _ZN7rocprim17ROCPRIM_400000_NS6detail17trampoline_kernelINS0_14default_configENS1_25partition_config_selectorILNS1_17partition_subalgoE1ExNS0_10empty_typeEbEEZZNS1_14partition_implILS5_1ELb0ES3_jN6thrust23THRUST_200600_302600_NS6detail15normal_iteratorINSA_10device_ptrIxEEEEPS6_NSA_18transform_iteratorI7is_evenIxESF_NSA_11use_defaultESK_EENS0_5tupleIJNSA_16discard_iteratorISK_EESO_EEENSM_IJSG_SG_EEES6_PlJS6_EEE10hipError_tPvRmT3_T4_T5_T6_T7_T9_mT8_P12ihipStream_tbDpT10_ENKUlT_T0_E_clISt17integral_constantIbLb0EES1B_EEDaS16_S17_EUlS16_E_NS1_11comp_targetILNS1_3genE3ELNS1_11target_archE908ELNS1_3gpuE7ELNS1_3repE0EEENS1_30default_config_static_selectorELNS0_4arch9wavefront6targetE1EEEvT1_
	.globl	_ZN7rocprim17ROCPRIM_400000_NS6detail17trampoline_kernelINS0_14default_configENS1_25partition_config_selectorILNS1_17partition_subalgoE1ExNS0_10empty_typeEbEEZZNS1_14partition_implILS5_1ELb0ES3_jN6thrust23THRUST_200600_302600_NS6detail15normal_iteratorINSA_10device_ptrIxEEEEPS6_NSA_18transform_iteratorI7is_evenIxESF_NSA_11use_defaultESK_EENS0_5tupleIJNSA_16discard_iteratorISK_EESO_EEENSM_IJSG_SG_EEES6_PlJS6_EEE10hipError_tPvRmT3_T4_T5_T6_T7_T9_mT8_P12ihipStream_tbDpT10_ENKUlT_T0_E_clISt17integral_constantIbLb0EES1B_EEDaS16_S17_EUlS16_E_NS1_11comp_targetILNS1_3genE3ELNS1_11target_archE908ELNS1_3gpuE7ELNS1_3repE0EEENS1_30default_config_static_selectorELNS0_4arch9wavefront6targetE1EEEvT1_
	.p2align	8
	.type	_ZN7rocprim17ROCPRIM_400000_NS6detail17trampoline_kernelINS0_14default_configENS1_25partition_config_selectorILNS1_17partition_subalgoE1ExNS0_10empty_typeEbEEZZNS1_14partition_implILS5_1ELb0ES3_jN6thrust23THRUST_200600_302600_NS6detail15normal_iteratorINSA_10device_ptrIxEEEEPS6_NSA_18transform_iteratorI7is_evenIxESF_NSA_11use_defaultESK_EENS0_5tupleIJNSA_16discard_iteratorISK_EESO_EEENSM_IJSG_SG_EEES6_PlJS6_EEE10hipError_tPvRmT3_T4_T5_T6_T7_T9_mT8_P12ihipStream_tbDpT10_ENKUlT_T0_E_clISt17integral_constantIbLb0EES1B_EEDaS16_S17_EUlS16_E_NS1_11comp_targetILNS1_3genE3ELNS1_11target_archE908ELNS1_3gpuE7ELNS1_3repE0EEENS1_30default_config_static_selectorELNS0_4arch9wavefront6targetE1EEEvT1_,@function
_ZN7rocprim17ROCPRIM_400000_NS6detail17trampoline_kernelINS0_14default_configENS1_25partition_config_selectorILNS1_17partition_subalgoE1ExNS0_10empty_typeEbEEZZNS1_14partition_implILS5_1ELb0ES3_jN6thrust23THRUST_200600_302600_NS6detail15normal_iteratorINSA_10device_ptrIxEEEEPS6_NSA_18transform_iteratorI7is_evenIxESF_NSA_11use_defaultESK_EENS0_5tupleIJNSA_16discard_iteratorISK_EESO_EEENSM_IJSG_SG_EEES6_PlJS6_EEE10hipError_tPvRmT3_T4_T5_T6_T7_T9_mT8_P12ihipStream_tbDpT10_ENKUlT_T0_E_clISt17integral_constantIbLb0EES1B_EEDaS16_S17_EUlS16_E_NS1_11comp_targetILNS1_3genE3ELNS1_11target_archE908ELNS1_3gpuE7ELNS1_3repE0EEENS1_30default_config_static_selectorELNS0_4arch9wavefront6targetE1EEEvT1_: ; @_ZN7rocprim17ROCPRIM_400000_NS6detail17trampoline_kernelINS0_14default_configENS1_25partition_config_selectorILNS1_17partition_subalgoE1ExNS0_10empty_typeEbEEZZNS1_14partition_implILS5_1ELb0ES3_jN6thrust23THRUST_200600_302600_NS6detail15normal_iteratorINSA_10device_ptrIxEEEEPS6_NSA_18transform_iteratorI7is_evenIxESF_NSA_11use_defaultESK_EENS0_5tupleIJNSA_16discard_iteratorISK_EESO_EEENSM_IJSG_SG_EEES6_PlJS6_EEE10hipError_tPvRmT3_T4_T5_T6_T7_T9_mT8_P12ihipStream_tbDpT10_ENKUlT_T0_E_clISt17integral_constantIbLb0EES1B_EEDaS16_S17_EUlS16_E_NS1_11comp_targetILNS1_3genE3ELNS1_11target_archE908ELNS1_3gpuE7ELNS1_3repE0EEENS1_30default_config_static_selectorELNS0_4arch9wavefront6targetE1EEEvT1_
; %bb.0:
	.section	.rodata,"a",@progbits
	.p2align	6, 0x0
	.amdhsa_kernel _ZN7rocprim17ROCPRIM_400000_NS6detail17trampoline_kernelINS0_14default_configENS1_25partition_config_selectorILNS1_17partition_subalgoE1ExNS0_10empty_typeEbEEZZNS1_14partition_implILS5_1ELb0ES3_jN6thrust23THRUST_200600_302600_NS6detail15normal_iteratorINSA_10device_ptrIxEEEEPS6_NSA_18transform_iteratorI7is_evenIxESF_NSA_11use_defaultESK_EENS0_5tupleIJNSA_16discard_iteratorISK_EESO_EEENSM_IJSG_SG_EEES6_PlJS6_EEE10hipError_tPvRmT3_T4_T5_T6_T7_T9_mT8_P12ihipStream_tbDpT10_ENKUlT_T0_E_clISt17integral_constantIbLb0EES1B_EEDaS16_S17_EUlS16_E_NS1_11comp_targetILNS1_3genE3ELNS1_11target_archE908ELNS1_3gpuE7ELNS1_3repE0EEENS1_30default_config_static_selectorELNS0_4arch9wavefront6targetE1EEEvT1_
		.amdhsa_group_segment_fixed_size 0
		.amdhsa_private_segment_fixed_size 0
		.amdhsa_kernarg_size 144
		.amdhsa_user_sgpr_count 6
		.amdhsa_user_sgpr_private_segment_buffer 1
		.amdhsa_user_sgpr_dispatch_ptr 0
		.amdhsa_user_sgpr_queue_ptr 0
		.amdhsa_user_sgpr_kernarg_segment_ptr 1
		.amdhsa_user_sgpr_dispatch_id 0
		.amdhsa_user_sgpr_flat_scratch_init 0
		.amdhsa_user_sgpr_kernarg_preload_length 0
		.amdhsa_user_sgpr_kernarg_preload_offset 0
		.amdhsa_user_sgpr_private_segment_size 0
		.amdhsa_uses_dynamic_stack 0
		.amdhsa_system_sgpr_private_segment_wavefront_offset 0
		.amdhsa_system_sgpr_workgroup_id_x 1
		.amdhsa_system_sgpr_workgroup_id_y 0
		.amdhsa_system_sgpr_workgroup_id_z 0
		.amdhsa_system_sgpr_workgroup_info 0
		.amdhsa_system_vgpr_workitem_id 0
		.amdhsa_next_free_vgpr 1
		.amdhsa_next_free_sgpr 0
		.amdhsa_accum_offset 4
		.amdhsa_reserve_vcc 0
		.amdhsa_reserve_flat_scratch 0
		.amdhsa_float_round_mode_32 0
		.amdhsa_float_round_mode_16_64 0
		.amdhsa_float_denorm_mode_32 3
		.amdhsa_float_denorm_mode_16_64 3
		.amdhsa_dx10_clamp 1
		.amdhsa_ieee_mode 1
		.amdhsa_fp16_overflow 0
		.amdhsa_tg_split 0
		.amdhsa_exception_fp_ieee_invalid_op 0
		.amdhsa_exception_fp_denorm_src 0
		.amdhsa_exception_fp_ieee_div_zero 0
		.amdhsa_exception_fp_ieee_overflow 0
		.amdhsa_exception_fp_ieee_underflow 0
		.amdhsa_exception_fp_ieee_inexact 0
		.amdhsa_exception_int_div_zero 0
	.end_amdhsa_kernel
	.section	.text._ZN7rocprim17ROCPRIM_400000_NS6detail17trampoline_kernelINS0_14default_configENS1_25partition_config_selectorILNS1_17partition_subalgoE1ExNS0_10empty_typeEbEEZZNS1_14partition_implILS5_1ELb0ES3_jN6thrust23THRUST_200600_302600_NS6detail15normal_iteratorINSA_10device_ptrIxEEEEPS6_NSA_18transform_iteratorI7is_evenIxESF_NSA_11use_defaultESK_EENS0_5tupleIJNSA_16discard_iteratorISK_EESO_EEENSM_IJSG_SG_EEES6_PlJS6_EEE10hipError_tPvRmT3_T4_T5_T6_T7_T9_mT8_P12ihipStream_tbDpT10_ENKUlT_T0_E_clISt17integral_constantIbLb0EES1B_EEDaS16_S17_EUlS16_E_NS1_11comp_targetILNS1_3genE3ELNS1_11target_archE908ELNS1_3gpuE7ELNS1_3repE0EEENS1_30default_config_static_selectorELNS0_4arch9wavefront6targetE1EEEvT1_,"axG",@progbits,_ZN7rocprim17ROCPRIM_400000_NS6detail17trampoline_kernelINS0_14default_configENS1_25partition_config_selectorILNS1_17partition_subalgoE1ExNS0_10empty_typeEbEEZZNS1_14partition_implILS5_1ELb0ES3_jN6thrust23THRUST_200600_302600_NS6detail15normal_iteratorINSA_10device_ptrIxEEEEPS6_NSA_18transform_iteratorI7is_evenIxESF_NSA_11use_defaultESK_EENS0_5tupleIJNSA_16discard_iteratorISK_EESO_EEENSM_IJSG_SG_EEES6_PlJS6_EEE10hipError_tPvRmT3_T4_T5_T6_T7_T9_mT8_P12ihipStream_tbDpT10_ENKUlT_T0_E_clISt17integral_constantIbLb0EES1B_EEDaS16_S17_EUlS16_E_NS1_11comp_targetILNS1_3genE3ELNS1_11target_archE908ELNS1_3gpuE7ELNS1_3repE0EEENS1_30default_config_static_selectorELNS0_4arch9wavefront6targetE1EEEvT1_,comdat
.Lfunc_end3166:
	.size	_ZN7rocprim17ROCPRIM_400000_NS6detail17trampoline_kernelINS0_14default_configENS1_25partition_config_selectorILNS1_17partition_subalgoE1ExNS0_10empty_typeEbEEZZNS1_14partition_implILS5_1ELb0ES3_jN6thrust23THRUST_200600_302600_NS6detail15normal_iteratorINSA_10device_ptrIxEEEEPS6_NSA_18transform_iteratorI7is_evenIxESF_NSA_11use_defaultESK_EENS0_5tupleIJNSA_16discard_iteratorISK_EESO_EEENSM_IJSG_SG_EEES6_PlJS6_EEE10hipError_tPvRmT3_T4_T5_T6_T7_T9_mT8_P12ihipStream_tbDpT10_ENKUlT_T0_E_clISt17integral_constantIbLb0EES1B_EEDaS16_S17_EUlS16_E_NS1_11comp_targetILNS1_3genE3ELNS1_11target_archE908ELNS1_3gpuE7ELNS1_3repE0EEENS1_30default_config_static_selectorELNS0_4arch9wavefront6targetE1EEEvT1_, .Lfunc_end3166-_ZN7rocprim17ROCPRIM_400000_NS6detail17trampoline_kernelINS0_14default_configENS1_25partition_config_selectorILNS1_17partition_subalgoE1ExNS0_10empty_typeEbEEZZNS1_14partition_implILS5_1ELb0ES3_jN6thrust23THRUST_200600_302600_NS6detail15normal_iteratorINSA_10device_ptrIxEEEEPS6_NSA_18transform_iteratorI7is_evenIxESF_NSA_11use_defaultESK_EENS0_5tupleIJNSA_16discard_iteratorISK_EESO_EEENSM_IJSG_SG_EEES6_PlJS6_EEE10hipError_tPvRmT3_T4_T5_T6_T7_T9_mT8_P12ihipStream_tbDpT10_ENKUlT_T0_E_clISt17integral_constantIbLb0EES1B_EEDaS16_S17_EUlS16_E_NS1_11comp_targetILNS1_3genE3ELNS1_11target_archE908ELNS1_3gpuE7ELNS1_3repE0EEENS1_30default_config_static_selectorELNS0_4arch9wavefront6targetE1EEEvT1_
                                        ; -- End function
	.section	.AMDGPU.csdata,"",@progbits
; Kernel info:
; codeLenInByte = 0
; NumSgprs: 4
; NumVgprs: 0
; NumAgprs: 0
; TotalNumVgprs: 0
; ScratchSize: 0
; MemoryBound: 0
; FloatMode: 240
; IeeeMode: 1
; LDSByteSize: 0 bytes/workgroup (compile time only)
; SGPRBlocks: 0
; VGPRBlocks: 0
; NumSGPRsForWavesPerEU: 4
; NumVGPRsForWavesPerEU: 1
; AccumOffset: 4
; Occupancy: 8
; WaveLimiterHint : 0
; COMPUTE_PGM_RSRC2:SCRATCH_EN: 0
; COMPUTE_PGM_RSRC2:USER_SGPR: 6
; COMPUTE_PGM_RSRC2:TRAP_HANDLER: 0
; COMPUTE_PGM_RSRC2:TGID_X_EN: 1
; COMPUTE_PGM_RSRC2:TGID_Y_EN: 0
; COMPUTE_PGM_RSRC2:TGID_Z_EN: 0
; COMPUTE_PGM_RSRC2:TIDIG_COMP_CNT: 0
; COMPUTE_PGM_RSRC3_GFX90A:ACCUM_OFFSET: 0
; COMPUTE_PGM_RSRC3_GFX90A:TG_SPLIT: 0
	.section	.text._ZN7rocprim17ROCPRIM_400000_NS6detail17trampoline_kernelINS0_14default_configENS1_25partition_config_selectorILNS1_17partition_subalgoE1ExNS0_10empty_typeEbEEZZNS1_14partition_implILS5_1ELb0ES3_jN6thrust23THRUST_200600_302600_NS6detail15normal_iteratorINSA_10device_ptrIxEEEEPS6_NSA_18transform_iteratorI7is_evenIxESF_NSA_11use_defaultESK_EENS0_5tupleIJNSA_16discard_iteratorISK_EESO_EEENSM_IJSG_SG_EEES6_PlJS6_EEE10hipError_tPvRmT3_T4_T5_T6_T7_T9_mT8_P12ihipStream_tbDpT10_ENKUlT_T0_E_clISt17integral_constantIbLb0EES1B_EEDaS16_S17_EUlS16_E_NS1_11comp_targetILNS1_3genE2ELNS1_11target_archE906ELNS1_3gpuE6ELNS1_3repE0EEENS1_30default_config_static_selectorELNS0_4arch9wavefront6targetE1EEEvT1_,"axG",@progbits,_ZN7rocprim17ROCPRIM_400000_NS6detail17trampoline_kernelINS0_14default_configENS1_25partition_config_selectorILNS1_17partition_subalgoE1ExNS0_10empty_typeEbEEZZNS1_14partition_implILS5_1ELb0ES3_jN6thrust23THRUST_200600_302600_NS6detail15normal_iteratorINSA_10device_ptrIxEEEEPS6_NSA_18transform_iteratorI7is_evenIxESF_NSA_11use_defaultESK_EENS0_5tupleIJNSA_16discard_iteratorISK_EESO_EEENSM_IJSG_SG_EEES6_PlJS6_EEE10hipError_tPvRmT3_T4_T5_T6_T7_T9_mT8_P12ihipStream_tbDpT10_ENKUlT_T0_E_clISt17integral_constantIbLb0EES1B_EEDaS16_S17_EUlS16_E_NS1_11comp_targetILNS1_3genE2ELNS1_11target_archE906ELNS1_3gpuE6ELNS1_3repE0EEENS1_30default_config_static_selectorELNS0_4arch9wavefront6targetE1EEEvT1_,comdat
	.protected	_ZN7rocprim17ROCPRIM_400000_NS6detail17trampoline_kernelINS0_14default_configENS1_25partition_config_selectorILNS1_17partition_subalgoE1ExNS0_10empty_typeEbEEZZNS1_14partition_implILS5_1ELb0ES3_jN6thrust23THRUST_200600_302600_NS6detail15normal_iteratorINSA_10device_ptrIxEEEEPS6_NSA_18transform_iteratorI7is_evenIxESF_NSA_11use_defaultESK_EENS0_5tupleIJNSA_16discard_iteratorISK_EESO_EEENSM_IJSG_SG_EEES6_PlJS6_EEE10hipError_tPvRmT3_T4_T5_T6_T7_T9_mT8_P12ihipStream_tbDpT10_ENKUlT_T0_E_clISt17integral_constantIbLb0EES1B_EEDaS16_S17_EUlS16_E_NS1_11comp_targetILNS1_3genE2ELNS1_11target_archE906ELNS1_3gpuE6ELNS1_3repE0EEENS1_30default_config_static_selectorELNS0_4arch9wavefront6targetE1EEEvT1_ ; -- Begin function _ZN7rocprim17ROCPRIM_400000_NS6detail17trampoline_kernelINS0_14default_configENS1_25partition_config_selectorILNS1_17partition_subalgoE1ExNS0_10empty_typeEbEEZZNS1_14partition_implILS5_1ELb0ES3_jN6thrust23THRUST_200600_302600_NS6detail15normal_iteratorINSA_10device_ptrIxEEEEPS6_NSA_18transform_iteratorI7is_evenIxESF_NSA_11use_defaultESK_EENS0_5tupleIJNSA_16discard_iteratorISK_EESO_EEENSM_IJSG_SG_EEES6_PlJS6_EEE10hipError_tPvRmT3_T4_T5_T6_T7_T9_mT8_P12ihipStream_tbDpT10_ENKUlT_T0_E_clISt17integral_constantIbLb0EES1B_EEDaS16_S17_EUlS16_E_NS1_11comp_targetILNS1_3genE2ELNS1_11target_archE906ELNS1_3gpuE6ELNS1_3repE0EEENS1_30default_config_static_selectorELNS0_4arch9wavefront6targetE1EEEvT1_
	.globl	_ZN7rocprim17ROCPRIM_400000_NS6detail17trampoline_kernelINS0_14default_configENS1_25partition_config_selectorILNS1_17partition_subalgoE1ExNS0_10empty_typeEbEEZZNS1_14partition_implILS5_1ELb0ES3_jN6thrust23THRUST_200600_302600_NS6detail15normal_iteratorINSA_10device_ptrIxEEEEPS6_NSA_18transform_iteratorI7is_evenIxESF_NSA_11use_defaultESK_EENS0_5tupleIJNSA_16discard_iteratorISK_EESO_EEENSM_IJSG_SG_EEES6_PlJS6_EEE10hipError_tPvRmT3_T4_T5_T6_T7_T9_mT8_P12ihipStream_tbDpT10_ENKUlT_T0_E_clISt17integral_constantIbLb0EES1B_EEDaS16_S17_EUlS16_E_NS1_11comp_targetILNS1_3genE2ELNS1_11target_archE906ELNS1_3gpuE6ELNS1_3repE0EEENS1_30default_config_static_selectorELNS0_4arch9wavefront6targetE1EEEvT1_
	.p2align	8
	.type	_ZN7rocprim17ROCPRIM_400000_NS6detail17trampoline_kernelINS0_14default_configENS1_25partition_config_selectorILNS1_17partition_subalgoE1ExNS0_10empty_typeEbEEZZNS1_14partition_implILS5_1ELb0ES3_jN6thrust23THRUST_200600_302600_NS6detail15normal_iteratorINSA_10device_ptrIxEEEEPS6_NSA_18transform_iteratorI7is_evenIxESF_NSA_11use_defaultESK_EENS0_5tupleIJNSA_16discard_iteratorISK_EESO_EEENSM_IJSG_SG_EEES6_PlJS6_EEE10hipError_tPvRmT3_T4_T5_T6_T7_T9_mT8_P12ihipStream_tbDpT10_ENKUlT_T0_E_clISt17integral_constantIbLb0EES1B_EEDaS16_S17_EUlS16_E_NS1_11comp_targetILNS1_3genE2ELNS1_11target_archE906ELNS1_3gpuE6ELNS1_3repE0EEENS1_30default_config_static_selectorELNS0_4arch9wavefront6targetE1EEEvT1_,@function
_ZN7rocprim17ROCPRIM_400000_NS6detail17trampoline_kernelINS0_14default_configENS1_25partition_config_selectorILNS1_17partition_subalgoE1ExNS0_10empty_typeEbEEZZNS1_14partition_implILS5_1ELb0ES3_jN6thrust23THRUST_200600_302600_NS6detail15normal_iteratorINSA_10device_ptrIxEEEEPS6_NSA_18transform_iteratorI7is_evenIxESF_NSA_11use_defaultESK_EENS0_5tupleIJNSA_16discard_iteratorISK_EESO_EEENSM_IJSG_SG_EEES6_PlJS6_EEE10hipError_tPvRmT3_T4_T5_T6_T7_T9_mT8_P12ihipStream_tbDpT10_ENKUlT_T0_E_clISt17integral_constantIbLb0EES1B_EEDaS16_S17_EUlS16_E_NS1_11comp_targetILNS1_3genE2ELNS1_11target_archE906ELNS1_3gpuE6ELNS1_3repE0EEENS1_30default_config_static_selectorELNS0_4arch9wavefront6targetE1EEEvT1_: ; @_ZN7rocprim17ROCPRIM_400000_NS6detail17trampoline_kernelINS0_14default_configENS1_25partition_config_selectorILNS1_17partition_subalgoE1ExNS0_10empty_typeEbEEZZNS1_14partition_implILS5_1ELb0ES3_jN6thrust23THRUST_200600_302600_NS6detail15normal_iteratorINSA_10device_ptrIxEEEEPS6_NSA_18transform_iteratorI7is_evenIxESF_NSA_11use_defaultESK_EENS0_5tupleIJNSA_16discard_iteratorISK_EESO_EEENSM_IJSG_SG_EEES6_PlJS6_EEE10hipError_tPvRmT3_T4_T5_T6_T7_T9_mT8_P12ihipStream_tbDpT10_ENKUlT_T0_E_clISt17integral_constantIbLb0EES1B_EEDaS16_S17_EUlS16_E_NS1_11comp_targetILNS1_3genE2ELNS1_11target_archE906ELNS1_3gpuE6ELNS1_3repE0EEENS1_30default_config_static_selectorELNS0_4arch9wavefront6targetE1EEEvT1_
; %bb.0:
	.section	.rodata,"a",@progbits
	.p2align	6, 0x0
	.amdhsa_kernel _ZN7rocprim17ROCPRIM_400000_NS6detail17trampoline_kernelINS0_14default_configENS1_25partition_config_selectorILNS1_17partition_subalgoE1ExNS0_10empty_typeEbEEZZNS1_14partition_implILS5_1ELb0ES3_jN6thrust23THRUST_200600_302600_NS6detail15normal_iteratorINSA_10device_ptrIxEEEEPS6_NSA_18transform_iteratorI7is_evenIxESF_NSA_11use_defaultESK_EENS0_5tupleIJNSA_16discard_iteratorISK_EESO_EEENSM_IJSG_SG_EEES6_PlJS6_EEE10hipError_tPvRmT3_T4_T5_T6_T7_T9_mT8_P12ihipStream_tbDpT10_ENKUlT_T0_E_clISt17integral_constantIbLb0EES1B_EEDaS16_S17_EUlS16_E_NS1_11comp_targetILNS1_3genE2ELNS1_11target_archE906ELNS1_3gpuE6ELNS1_3repE0EEENS1_30default_config_static_selectorELNS0_4arch9wavefront6targetE1EEEvT1_
		.amdhsa_group_segment_fixed_size 0
		.amdhsa_private_segment_fixed_size 0
		.amdhsa_kernarg_size 144
		.amdhsa_user_sgpr_count 6
		.amdhsa_user_sgpr_private_segment_buffer 1
		.amdhsa_user_sgpr_dispatch_ptr 0
		.amdhsa_user_sgpr_queue_ptr 0
		.amdhsa_user_sgpr_kernarg_segment_ptr 1
		.amdhsa_user_sgpr_dispatch_id 0
		.amdhsa_user_sgpr_flat_scratch_init 0
		.amdhsa_user_sgpr_kernarg_preload_length 0
		.amdhsa_user_sgpr_kernarg_preload_offset 0
		.amdhsa_user_sgpr_private_segment_size 0
		.amdhsa_uses_dynamic_stack 0
		.amdhsa_system_sgpr_private_segment_wavefront_offset 0
		.amdhsa_system_sgpr_workgroup_id_x 1
		.amdhsa_system_sgpr_workgroup_id_y 0
		.amdhsa_system_sgpr_workgroup_id_z 0
		.amdhsa_system_sgpr_workgroup_info 0
		.amdhsa_system_vgpr_workitem_id 0
		.amdhsa_next_free_vgpr 1
		.amdhsa_next_free_sgpr 0
		.amdhsa_accum_offset 4
		.amdhsa_reserve_vcc 0
		.amdhsa_reserve_flat_scratch 0
		.amdhsa_float_round_mode_32 0
		.amdhsa_float_round_mode_16_64 0
		.amdhsa_float_denorm_mode_32 3
		.amdhsa_float_denorm_mode_16_64 3
		.amdhsa_dx10_clamp 1
		.amdhsa_ieee_mode 1
		.amdhsa_fp16_overflow 0
		.amdhsa_tg_split 0
		.amdhsa_exception_fp_ieee_invalid_op 0
		.amdhsa_exception_fp_denorm_src 0
		.amdhsa_exception_fp_ieee_div_zero 0
		.amdhsa_exception_fp_ieee_overflow 0
		.amdhsa_exception_fp_ieee_underflow 0
		.amdhsa_exception_fp_ieee_inexact 0
		.amdhsa_exception_int_div_zero 0
	.end_amdhsa_kernel
	.section	.text._ZN7rocprim17ROCPRIM_400000_NS6detail17trampoline_kernelINS0_14default_configENS1_25partition_config_selectorILNS1_17partition_subalgoE1ExNS0_10empty_typeEbEEZZNS1_14partition_implILS5_1ELb0ES3_jN6thrust23THRUST_200600_302600_NS6detail15normal_iteratorINSA_10device_ptrIxEEEEPS6_NSA_18transform_iteratorI7is_evenIxESF_NSA_11use_defaultESK_EENS0_5tupleIJNSA_16discard_iteratorISK_EESO_EEENSM_IJSG_SG_EEES6_PlJS6_EEE10hipError_tPvRmT3_T4_T5_T6_T7_T9_mT8_P12ihipStream_tbDpT10_ENKUlT_T0_E_clISt17integral_constantIbLb0EES1B_EEDaS16_S17_EUlS16_E_NS1_11comp_targetILNS1_3genE2ELNS1_11target_archE906ELNS1_3gpuE6ELNS1_3repE0EEENS1_30default_config_static_selectorELNS0_4arch9wavefront6targetE1EEEvT1_,"axG",@progbits,_ZN7rocprim17ROCPRIM_400000_NS6detail17trampoline_kernelINS0_14default_configENS1_25partition_config_selectorILNS1_17partition_subalgoE1ExNS0_10empty_typeEbEEZZNS1_14partition_implILS5_1ELb0ES3_jN6thrust23THRUST_200600_302600_NS6detail15normal_iteratorINSA_10device_ptrIxEEEEPS6_NSA_18transform_iteratorI7is_evenIxESF_NSA_11use_defaultESK_EENS0_5tupleIJNSA_16discard_iteratorISK_EESO_EEENSM_IJSG_SG_EEES6_PlJS6_EEE10hipError_tPvRmT3_T4_T5_T6_T7_T9_mT8_P12ihipStream_tbDpT10_ENKUlT_T0_E_clISt17integral_constantIbLb0EES1B_EEDaS16_S17_EUlS16_E_NS1_11comp_targetILNS1_3genE2ELNS1_11target_archE906ELNS1_3gpuE6ELNS1_3repE0EEENS1_30default_config_static_selectorELNS0_4arch9wavefront6targetE1EEEvT1_,comdat
.Lfunc_end3167:
	.size	_ZN7rocprim17ROCPRIM_400000_NS6detail17trampoline_kernelINS0_14default_configENS1_25partition_config_selectorILNS1_17partition_subalgoE1ExNS0_10empty_typeEbEEZZNS1_14partition_implILS5_1ELb0ES3_jN6thrust23THRUST_200600_302600_NS6detail15normal_iteratorINSA_10device_ptrIxEEEEPS6_NSA_18transform_iteratorI7is_evenIxESF_NSA_11use_defaultESK_EENS0_5tupleIJNSA_16discard_iteratorISK_EESO_EEENSM_IJSG_SG_EEES6_PlJS6_EEE10hipError_tPvRmT3_T4_T5_T6_T7_T9_mT8_P12ihipStream_tbDpT10_ENKUlT_T0_E_clISt17integral_constantIbLb0EES1B_EEDaS16_S17_EUlS16_E_NS1_11comp_targetILNS1_3genE2ELNS1_11target_archE906ELNS1_3gpuE6ELNS1_3repE0EEENS1_30default_config_static_selectorELNS0_4arch9wavefront6targetE1EEEvT1_, .Lfunc_end3167-_ZN7rocprim17ROCPRIM_400000_NS6detail17trampoline_kernelINS0_14default_configENS1_25partition_config_selectorILNS1_17partition_subalgoE1ExNS0_10empty_typeEbEEZZNS1_14partition_implILS5_1ELb0ES3_jN6thrust23THRUST_200600_302600_NS6detail15normal_iteratorINSA_10device_ptrIxEEEEPS6_NSA_18transform_iteratorI7is_evenIxESF_NSA_11use_defaultESK_EENS0_5tupleIJNSA_16discard_iteratorISK_EESO_EEENSM_IJSG_SG_EEES6_PlJS6_EEE10hipError_tPvRmT3_T4_T5_T6_T7_T9_mT8_P12ihipStream_tbDpT10_ENKUlT_T0_E_clISt17integral_constantIbLb0EES1B_EEDaS16_S17_EUlS16_E_NS1_11comp_targetILNS1_3genE2ELNS1_11target_archE906ELNS1_3gpuE6ELNS1_3repE0EEENS1_30default_config_static_selectorELNS0_4arch9wavefront6targetE1EEEvT1_
                                        ; -- End function
	.section	.AMDGPU.csdata,"",@progbits
; Kernel info:
; codeLenInByte = 0
; NumSgprs: 4
; NumVgprs: 0
; NumAgprs: 0
; TotalNumVgprs: 0
; ScratchSize: 0
; MemoryBound: 0
; FloatMode: 240
; IeeeMode: 1
; LDSByteSize: 0 bytes/workgroup (compile time only)
; SGPRBlocks: 0
; VGPRBlocks: 0
; NumSGPRsForWavesPerEU: 4
; NumVGPRsForWavesPerEU: 1
; AccumOffset: 4
; Occupancy: 8
; WaveLimiterHint : 0
; COMPUTE_PGM_RSRC2:SCRATCH_EN: 0
; COMPUTE_PGM_RSRC2:USER_SGPR: 6
; COMPUTE_PGM_RSRC2:TRAP_HANDLER: 0
; COMPUTE_PGM_RSRC2:TGID_X_EN: 1
; COMPUTE_PGM_RSRC2:TGID_Y_EN: 0
; COMPUTE_PGM_RSRC2:TGID_Z_EN: 0
; COMPUTE_PGM_RSRC2:TIDIG_COMP_CNT: 0
; COMPUTE_PGM_RSRC3_GFX90A:ACCUM_OFFSET: 0
; COMPUTE_PGM_RSRC3_GFX90A:TG_SPLIT: 0
	.section	.text._ZN7rocprim17ROCPRIM_400000_NS6detail17trampoline_kernelINS0_14default_configENS1_25partition_config_selectorILNS1_17partition_subalgoE1ExNS0_10empty_typeEbEEZZNS1_14partition_implILS5_1ELb0ES3_jN6thrust23THRUST_200600_302600_NS6detail15normal_iteratorINSA_10device_ptrIxEEEEPS6_NSA_18transform_iteratorI7is_evenIxESF_NSA_11use_defaultESK_EENS0_5tupleIJNSA_16discard_iteratorISK_EESO_EEENSM_IJSG_SG_EEES6_PlJS6_EEE10hipError_tPvRmT3_T4_T5_T6_T7_T9_mT8_P12ihipStream_tbDpT10_ENKUlT_T0_E_clISt17integral_constantIbLb0EES1B_EEDaS16_S17_EUlS16_E_NS1_11comp_targetILNS1_3genE10ELNS1_11target_archE1200ELNS1_3gpuE4ELNS1_3repE0EEENS1_30default_config_static_selectorELNS0_4arch9wavefront6targetE1EEEvT1_,"axG",@progbits,_ZN7rocprim17ROCPRIM_400000_NS6detail17trampoline_kernelINS0_14default_configENS1_25partition_config_selectorILNS1_17partition_subalgoE1ExNS0_10empty_typeEbEEZZNS1_14partition_implILS5_1ELb0ES3_jN6thrust23THRUST_200600_302600_NS6detail15normal_iteratorINSA_10device_ptrIxEEEEPS6_NSA_18transform_iteratorI7is_evenIxESF_NSA_11use_defaultESK_EENS0_5tupleIJNSA_16discard_iteratorISK_EESO_EEENSM_IJSG_SG_EEES6_PlJS6_EEE10hipError_tPvRmT3_T4_T5_T6_T7_T9_mT8_P12ihipStream_tbDpT10_ENKUlT_T0_E_clISt17integral_constantIbLb0EES1B_EEDaS16_S17_EUlS16_E_NS1_11comp_targetILNS1_3genE10ELNS1_11target_archE1200ELNS1_3gpuE4ELNS1_3repE0EEENS1_30default_config_static_selectorELNS0_4arch9wavefront6targetE1EEEvT1_,comdat
	.protected	_ZN7rocprim17ROCPRIM_400000_NS6detail17trampoline_kernelINS0_14default_configENS1_25partition_config_selectorILNS1_17partition_subalgoE1ExNS0_10empty_typeEbEEZZNS1_14partition_implILS5_1ELb0ES3_jN6thrust23THRUST_200600_302600_NS6detail15normal_iteratorINSA_10device_ptrIxEEEEPS6_NSA_18transform_iteratorI7is_evenIxESF_NSA_11use_defaultESK_EENS0_5tupleIJNSA_16discard_iteratorISK_EESO_EEENSM_IJSG_SG_EEES6_PlJS6_EEE10hipError_tPvRmT3_T4_T5_T6_T7_T9_mT8_P12ihipStream_tbDpT10_ENKUlT_T0_E_clISt17integral_constantIbLb0EES1B_EEDaS16_S17_EUlS16_E_NS1_11comp_targetILNS1_3genE10ELNS1_11target_archE1200ELNS1_3gpuE4ELNS1_3repE0EEENS1_30default_config_static_selectorELNS0_4arch9wavefront6targetE1EEEvT1_ ; -- Begin function _ZN7rocprim17ROCPRIM_400000_NS6detail17trampoline_kernelINS0_14default_configENS1_25partition_config_selectorILNS1_17partition_subalgoE1ExNS0_10empty_typeEbEEZZNS1_14partition_implILS5_1ELb0ES3_jN6thrust23THRUST_200600_302600_NS6detail15normal_iteratorINSA_10device_ptrIxEEEEPS6_NSA_18transform_iteratorI7is_evenIxESF_NSA_11use_defaultESK_EENS0_5tupleIJNSA_16discard_iteratorISK_EESO_EEENSM_IJSG_SG_EEES6_PlJS6_EEE10hipError_tPvRmT3_T4_T5_T6_T7_T9_mT8_P12ihipStream_tbDpT10_ENKUlT_T0_E_clISt17integral_constantIbLb0EES1B_EEDaS16_S17_EUlS16_E_NS1_11comp_targetILNS1_3genE10ELNS1_11target_archE1200ELNS1_3gpuE4ELNS1_3repE0EEENS1_30default_config_static_selectorELNS0_4arch9wavefront6targetE1EEEvT1_
	.globl	_ZN7rocprim17ROCPRIM_400000_NS6detail17trampoline_kernelINS0_14default_configENS1_25partition_config_selectorILNS1_17partition_subalgoE1ExNS0_10empty_typeEbEEZZNS1_14partition_implILS5_1ELb0ES3_jN6thrust23THRUST_200600_302600_NS6detail15normal_iteratorINSA_10device_ptrIxEEEEPS6_NSA_18transform_iteratorI7is_evenIxESF_NSA_11use_defaultESK_EENS0_5tupleIJNSA_16discard_iteratorISK_EESO_EEENSM_IJSG_SG_EEES6_PlJS6_EEE10hipError_tPvRmT3_T4_T5_T6_T7_T9_mT8_P12ihipStream_tbDpT10_ENKUlT_T0_E_clISt17integral_constantIbLb0EES1B_EEDaS16_S17_EUlS16_E_NS1_11comp_targetILNS1_3genE10ELNS1_11target_archE1200ELNS1_3gpuE4ELNS1_3repE0EEENS1_30default_config_static_selectorELNS0_4arch9wavefront6targetE1EEEvT1_
	.p2align	8
	.type	_ZN7rocprim17ROCPRIM_400000_NS6detail17trampoline_kernelINS0_14default_configENS1_25partition_config_selectorILNS1_17partition_subalgoE1ExNS0_10empty_typeEbEEZZNS1_14partition_implILS5_1ELb0ES3_jN6thrust23THRUST_200600_302600_NS6detail15normal_iteratorINSA_10device_ptrIxEEEEPS6_NSA_18transform_iteratorI7is_evenIxESF_NSA_11use_defaultESK_EENS0_5tupleIJNSA_16discard_iteratorISK_EESO_EEENSM_IJSG_SG_EEES6_PlJS6_EEE10hipError_tPvRmT3_T4_T5_T6_T7_T9_mT8_P12ihipStream_tbDpT10_ENKUlT_T0_E_clISt17integral_constantIbLb0EES1B_EEDaS16_S17_EUlS16_E_NS1_11comp_targetILNS1_3genE10ELNS1_11target_archE1200ELNS1_3gpuE4ELNS1_3repE0EEENS1_30default_config_static_selectorELNS0_4arch9wavefront6targetE1EEEvT1_,@function
_ZN7rocprim17ROCPRIM_400000_NS6detail17trampoline_kernelINS0_14default_configENS1_25partition_config_selectorILNS1_17partition_subalgoE1ExNS0_10empty_typeEbEEZZNS1_14partition_implILS5_1ELb0ES3_jN6thrust23THRUST_200600_302600_NS6detail15normal_iteratorINSA_10device_ptrIxEEEEPS6_NSA_18transform_iteratorI7is_evenIxESF_NSA_11use_defaultESK_EENS0_5tupleIJNSA_16discard_iteratorISK_EESO_EEENSM_IJSG_SG_EEES6_PlJS6_EEE10hipError_tPvRmT3_T4_T5_T6_T7_T9_mT8_P12ihipStream_tbDpT10_ENKUlT_T0_E_clISt17integral_constantIbLb0EES1B_EEDaS16_S17_EUlS16_E_NS1_11comp_targetILNS1_3genE10ELNS1_11target_archE1200ELNS1_3gpuE4ELNS1_3repE0EEENS1_30default_config_static_selectorELNS0_4arch9wavefront6targetE1EEEvT1_: ; @_ZN7rocprim17ROCPRIM_400000_NS6detail17trampoline_kernelINS0_14default_configENS1_25partition_config_selectorILNS1_17partition_subalgoE1ExNS0_10empty_typeEbEEZZNS1_14partition_implILS5_1ELb0ES3_jN6thrust23THRUST_200600_302600_NS6detail15normal_iteratorINSA_10device_ptrIxEEEEPS6_NSA_18transform_iteratorI7is_evenIxESF_NSA_11use_defaultESK_EENS0_5tupleIJNSA_16discard_iteratorISK_EESO_EEENSM_IJSG_SG_EEES6_PlJS6_EEE10hipError_tPvRmT3_T4_T5_T6_T7_T9_mT8_P12ihipStream_tbDpT10_ENKUlT_T0_E_clISt17integral_constantIbLb0EES1B_EEDaS16_S17_EUlS16_E_NS1_11comp_targetILNS1_3genE10ELNS1_11target_archE1200ELNS1_3gpuE4ELNS1_3repE0EEENS1_30default_config_static_selectorELNS0_4arch9wavefront6targetE1EEEvT1_
; %bb.0:
	.section	.rodata,"a",@progbits
	.p2align	6, 0x0
	.amdhsa_kernel _ZN7rocprim17ROCPRIM_400000_NS6detail17trampoline_kernelINS0_14default_configENS1_25partition_config_selectorILNS1_17partition_subalgoE1ExNS0_10empty_typeEbEEZZNS1_14partition_implILS5_1ELb0ES3_jN6thrust23THRUST_200600_302600_NS6detail15normal_iteratorINSA_10device_ptrIxEEEEPS6_NSA_18transform_iteratorI7is_evenIxESF_NSA_11use_defaultESK_EENS0_5tupleIJNSA_16discard_iteratorISK_EESO_EEENSM_IJSG_SG_EEES6_PlJS6_EEE10hipError_tPvRmT3_T4_T5_T6_T7_T9_mT8_P12ihipStream_tbDpT10_ENKUlT_T0_E_clISt17integral_constantIbLb0EES1B_EEDaS16_S17_EUlS16_E_NS1_11comp_targetILNS1_3genE10ELNS1_11target_archE1200ELNS1_3gpuE4ELNS1_3repE0EEENS1_30default_config_static_selectorELNS0_4arch9wavefront6targetE1EEEvT1_
		.amdhsa_group_segment_fixed_size 0
		.amdhsa_private_segment_fixed_size 0
		.amdhsa_kernarg_size 144
		.amdhsa_user_sgpr_count 6
		.amdhsa_user_sgpr_private_segment_buffer 1
		.amdhsa_user_sgpr_dispatch_ptr 0
		.amdhsa_user_sgpr_queue_ptr 0
		.amdhsa_user_sgpr_kernarg_segment_ptr 1
		.amdhsa_user_sgpr_dispatch_id 0
		.amdhsa_user_sgpr_flat_scratch_init 0
		.amdhsa_user_sgpr_kernarg_preload_length 0
		.amdhsa_user_sgpr_kernarg_preload_offset 0
		.amdhsa_user_sgpr_private_segment_size 0
		.amdhsa_uses_dynamic_stack 0
		.amdhsa_system_sgpr_private_segment_wavefront_offset 0
		.amdhsa_system_sgpr_workgroup_id_x 1
		.amdhsa_system_sgpr_workgroup_id_y 0
		.amdhsa_system_sgpr_workgroup_id_z 0
		.amdhsa_system_sgpr_workgroup_info 0
		.amdhsa_system_vgpr_workitem_id 0
		.amdhsa_next_free_vgpr 1
		.amdhsa_next_free_sgpr 0
		.amdhsa_accum_offset 4
		.amdhsa_reserve_vcc 0
		.amdhsa_reserve_flat_scratch 0
		.amdhsa_float_round_mode_32 0
		.amdhsa_float_round_mode_16_64 0
		.amdhsa_float_denorm_mode_32 3
		.amdhsa_float_denorm_mode_16_64 3
		.amdhsa_dx10_clamp 1
		.amdhsa_ieee_mode 1
		.amdhsa_fp16_overflow 0
		.amdhsa_tg_split 0
		.amdhsa_exception_fp_ieee_invalid_op 0
		.amdhsa_exception_fp_denorm_src 0
		.amdhsa_exception_fp_ieee_div_zero 0
		.amdhsa_exception_fp_ieee_overflow 0
		.amdhsa_exception_fp_ieee_underflow 0
		.amdhsa_exception_fp_ieee_inexact 0
		.amdhsa_exception_int_div_zero 0
	.end_amdhsa_kernel
	.section	.text._ZN7rocprim17ROCPRIM_400000_NS6detail17trampoline_kernelINS0_14default_configENS1_25partition_config_selectorILNS1_17partition_subalgoE1ExNS0_10empty_typeEbEEZZNS1_14partition_implILS5_1ELb0ES3_jN6thrust23THRUST_200600_302600_NS6detail15normal_iteratorINSA_10device_ptrIxEEEEPS6_NSA_18transform_iteratorI7is_evenIxESF_NSA_11use_defaultESK_EENS0_5tupleIJNSA_16discard_iteratorISK_EESO_EEENSM_IJSG_SG_EEES6_PlJS6_EEE10hipError_tPvRmT3_T4_T5_T6_T7_T9_mT8_P12ihipStream_tbDpT10_ENKUlT_T0_E_clISt17integral_constantIbLb0EES1B_EEDaS16_S17_EUlS16_E_NS1_11comp_targetILNS1_3genE10ELNS1_11target_archE1200ELNS1_3gpuE4ELNS1_3repE0EEENS1_30default_config_static_selectorELNS0_4arch9wavefront6targetE1EEEvT1_,"axG",@progbits,_ZN7rocprim17ROCPRIM_400000_NS6detail17trampoline_kernelINS0_14default_configENS1_25partition_config_selectorILNS1_17partition_subalgoE1ExNS0_10empty_typeEbEEZZNS1_14partition_implILS5_1ELb0ES3_jN6thrust23THRUST_200600_302600_NS6detail15normal_iteratorINSA_10device_ptrIxEEEEPS6_NSA_18transform_iteratorI7is_evenIxESF_NSA_11use_defaultESK_EENS0_5tupleIJNSA_16discard_iteratorISK_EESO_EEENSM_IJSG_SG_EEES6_PlJS6_EEE10hipError_tPvRmT3_T4_T5_T6_T7_T9_mT8_P12ihipStream_tbDpT10_ENKUlT_T0_E_clISt17integral_constantIbLb0EES1B_EEDaS16_S17_EUlS16_E_NS1_11comp_targetILNS1_3genE10ELNS1_11target_archE1200ELNS1_3gpuE4ELNS1_3repE0EEENS1_30default_config_static_selectorELNS0_4arch9wavefront6targetE1EEEvT1_,comdat
.Lfunc_end3168:
	.size	_ZN7rocprim17ROCPRIM_400000_NS6detail17trampoline_kernelINS0_14default_configENS1_25partition_config_selectorILNS1_17partition_subalgoE1ExNS0_10empty_typeEbEEZZNS1_14partition_implILS5_1ELb0ES3_jN6thrust23THRUST_200600_302600_NS6detail15normal_iteratorINSA_10device_ptrIxEEEEPS6_NSA_18transform_iteratorI7is_evenIxESF_NSA_11use_defaultESK_EENS0_5tupleIJNSA_16discard_iteratorISK_EESO_EEENSM_IJSG_SG_EEES6_PlJS6_EEE10hipError_tPvRmT3_T4_T5_T6_T7_T9_mT8_P12ihipStream_tbDpT10_ENKUlT_T0_E_clISt17integral_constantIbLb0EES1B_EEDaS16_S17_EUlS16_E_NS1_11comp_targetILNS1_3genE10ELNS1_11target_archE1200ELNS1_3gpuE4ELNS1_3repE0EEENS1_30default_config_static_selectorELNS0_4arch9wavefront6targetE1EEEvT1_, .Lfunc_end3168-_ZN7rocprim17ROCPRIM_400000_NS6detail17trampoline_kernelINS0_14default_configENS1_25partition_config_selectorILNS1_17partition_subalgoE1ExNS0_10empty_typeEbEEZZNS1_14partition_implILS5_1ELb0ES3_jN6thrust23THRUST_200600_302600_NS6detail15normal_iteratorINSA_10device_ptrIxEEEEPS6_NSA_18transform_iteratorI7is_evenIxESF_NSA_11use_defaultESK_EENS0_5tupleIJNSA_16discard_iteratorISK_EESO_EEENSM_IJSG_SG_EEES6_PlJS6_EEE10hipError_tPvRmT3_T4_T5_T6_T7_T9_mT8_P12ihipStream_tbDpT10_ENKUlT_T0_E_clISt17integral_constantIbLb0EES1B_EEDaS16_S17_EUlS16_E_NS1_11comp_targetILNS1_3genE10ELNS1_11target_archE1200ELNS1_3gpuE4ELNS1_3repE0EEENS1_30default_config_static_selectorELNS0_4arch9wavefront6targetE1EEEvT1_
                                        ; -- End function
	.section	.AMDGPU.csdata,"",@progbits
; Kernel info:
; codeLenInByte = 0
; NumSgprs: 4
; NumVgprs: 0
; NumAgprs: 0
; TotalNumVgprs: 0
; ScratchSize: 0
; MemoryBound: 0
; FloatMode: 240
; IeeeMode: 1
; LDSByteSize: 0 bytes/workgroup (compile time only)
; SGPRBlocks: 0
; VGPRBlocks: 0
; NumSGPRsForWavesPerEU: 4
; NumVGPRsForWavesPerEU: 1
; AccumOffset: 4
; Occupancy: 8
; WaveLimiterHint : 0
; COMPUTE_PGM_RSRC2:SCRATCH_EN: 0
; COMPUTE_PGM_RSRC2:USER_SGPR: 6
; COMPUTE_PGM_RSRC2:TRAP_HANDLER: 0
; COMPUTE_PGM_RSRC2:TGID_X_EN: 1
; COMPUTE_PGM_RSRC2:TGID_Y_EN: 0
; COMPUTE_PGM_RSRC2:TGID_Z_EN: 0
; COMPUTE_PGM_RSRC2:TIDIG_COMP_CNT: 0
; COMPUTE_PGM_RSRC3_GFX90A:ACCUM_OFFSET: 0
; COMPUTE_PGM_RSRC3_GFX90A:TG_SPLIT: 0
	.section	.text._ZN7rocprim17ROCPRIM_400000_NS6detail17trampoline_kernelINS0_14default_configENS1_25partition_config_selectorILNS1_17partition_subalgoE1ExNS0_10empty_typeEbEEZZNS1_14partition_implILS5_1ELb0ES3_jN6thrust23THRUST_200600_302600_NS6detail15normal_iteratorINSA_10device_ptrIxEEEEPS6_NSA_18transform_iteratorI7is_evenIxESF_NSA_11use_defaultESK_EENS0_5tupleIJNSA_16discard_iteratorISK_EESO_EEENSM_IJSG_SG_EEES6_PlJS6_EEE10hipError_tPvRmT3_T4_T5_T6_T7_T9_mT8_P12ihipStream_tbDpT10_ENKUlT_T0_E_clISt17integral_constantIbLb0EES1B_EEDaS16_S17_EUlS16_E_NS1_11comp_targetILNS1_3genE9ELNS1_11target_archE1100ELNS1_3gpuE3ELNS1_3repE0EEENS1_30default_config_static_selectorELNS0_4arch9wavefront6targetE1EEEvT1_,"axG",@progbits,_ZN7rocprim17ROCPRIM_400000_NS6detail17trampoline_kernelINS0_14default_configENS1_25partition_config_selectorILNS1_17partition_subalgoE1ExNS0_10empty_typeEbEEZZNS1_14partition_implILS5_1ELb0ES3_jN6thrust23THRUST_200600_302600_NS6detail15normal_iteratorINSA_10device_ptrIxEEEEPS6_NSA_18transform_iteratorI7is_evenIxESF_NSA_11use_defaultESK_EENS0_5tupleIJNSA_16discard_iteratorISK_EESO_EEENSM_IJSG_SG_EEES6_PlJS6_EEE10hipError_tPvRmT3_T4_T5_T6_T7_T9_mT8_P12ihipStream_tbDpT10_ENKUlT_T0_E_clISt17integral_constantIbLb0EES1B_EEDaS16_S17_EUlS16_E_NS1_11comp_targetILNS1_3genE9ELNS1_11target_archE1100ELNS1_3gpuE3ELNS1_3repE0EEENS1_30default_config_static_selectorELNS0_4arch9wavefront6targetE1EEEvT1_,comdat
	.protected	_ZN7rocprim17ROCPRIM_400000_NS6detail17trampoline_kernelINS0_14default_configENS1_25partition_config_selectorILNS1_17partition_subalgoE1ExNS0_10empty_typeEbEEZZNS1_14partition_implILS5_1ELb0ES3_jN6thrust23THRUST_200600_302600_NS6detail15normal_iteratorINSA_10device_ptrIxEEEEPS6_NSA_18transform_iteratorI7is_evenIxESF_NSA_11use_defaultESK_EENS0_5tupleIJNSA_16discard_iteratorISK_EESO_EEENSM_IJSG_SG_EEES6_PlJS6_EEE10hipError_tPvRmT3_T4_T5_T6_T7_T9_mT8_P12ihipStream_tbDpT10_ENKUlT_T0_E_clISt17integral_constantIbLb0EES1B_EEDaS16_S17_EUlS16_E_NS1_11comp_targetILNS1_3genE9ELNS1_11target_archE1100ELNS1_3gpuE3ELNS1_3repE0EEENS1_30default_config_static_selectorELNS0_4arch9wavefront6targetE1EEEvT1_ ; -- Begin function _ZN7rocprim17ROCPRIM_400000_NS6detail17trampoline_kernelINS0_14default_configENS1_25partition_config_selectorILNS1_17partition_subalgoE1ExNS0_10empty_typeEbEEZZNS1_14partition_implILS5_1ELb0ES3_jN6thrust23THRUST_200600_302600_NS6detail15normal_iteratorINSA_10device_ptrIxEEEEPS6_NSA_18transform_iteratorI7is_evenIxESF_NSA_11use_defaultESK_EENS0_5tupleIJNSA_16discard_iteratorISK_EESO_EEENSM_IJSG_SG_EEES6_PlJS6_EEE10hipError_tPvRmT3_T4_T5_T6_T7_T9_mT8_P12ihipStream_tbDpT10_ENKUlT_T0_E_clISt17integral_constantIbLb0EES1B_EEDaS16_S17_EUlS16_E_NS1_11comp_targetILNS1_3genE9ELNS1_11target_archE1100ELNS1_3gpuE3ELNS1_3repE0EEENS1_30default_config_static_selectorELNS0_4arch9wavefront6targetE1EEEvT1_
	.globl	_ZN7rocprim17ROCPRIM_400000_NS6detail17trampoline_kernelINS0_14default_configENS1_25partition_config_selectorILNS1_17partition_subalgoE1ExNS0_10empty_typeEbEEZZNS1_14partition_implILS5_1ELb0ES3_jN6thrust23THRUST_200600_302600_NS6detail15normal_iteratorINSA_10device_ptrIxEEEEPS6_NSA_18transform_iteratorI7is_evenIxESF_NSA_11use_defaultESK_EENS0_5tupleIJNSA_16discard_iteratorISK_EESO_EEENSM_IJSG_SG_EEES6_PlJS6_EEE10hipError_tPvRmT3_T4_T5_T6_T7_T9_mT8_P12ihipStream_tbDpT10_ENKUlT_T0_E_clISt17integral_constantIbLb0EES1B_EEDaS16_S17_EUlS16_E_NS1_11comp_targetILNS1_3genE9ELNS1_11target_archE1100ELNS1_3gpuE3ELNS1_3repE0EEENS1_30default_config_static_selectorELNS0_4arch9wavefront6targetE1EEEvT1_
	.p2align	8
	.type	_ZN7rocprim17ROCPRIM_400000_NS6detail17trampoline_kernelINS0_14default_configENS1_25partition_config_selectorILNS1_17partition_subalgoE1ExNS0_10empty_typeEbEEZZNS1_14partition_implILS5_1ELb0ES3_jN6thrust23THRUST_200600_302600_NS6detail15normal_iteratorINSA_10device_ptrIxEEEEPS6_NSA_18transform_iteratorI7is_evenIxESF_NSA_11use_defaultESK_EENS0_5tupleIJNSA_16discard_iteratorISK_EESO_EEENSM_IJSG_SG_EEES6_PlJS6_EEE10hipError_tPvRmT3_T4_T5_T6_T7_T9_mT8_P12ihipStream_tbDpT10_ENKUlT_T0_E_clISt17integral_constantIbLb0EES1B_EEDaS16_S17_EUlS16_E_NS1_11comp_targetILNS1_3genE9ELNS1_11target_archE1100ELNS1_3gpuE3ELNS1_3repE0EEENS1_30default_config_static_selectorELNS0_4arch9wavefront6targetE1EEEvT1_,@function
_ZN7rocprim17ROCPRIM_400000_NS6detail17trampoline_kernelINS0_14default_configENS1_25partition_config_selectorILNS1_17partition_subalgoE1ExNS0_10empty_typeEbEEZZNS1_14partition_implILS5_1ELb0ES3_jN6thrust23THRUST_200600_302600_NS6detail15normal_iteratorINSA_10device_ptrIxEEEEPS6_NSA_18transform_iteratorI7is_evenIxESF_NSA_11use_defaultESK_EENS0_5tupleIJNSA_16discard_iteratorISK_EESO_EEENSM_IJSG_SG_EEES6_PlJS6_EEE10hipError_tPvRmT3_T4_T5_T6_T7_T9_mT8_P12ihipStream_tbDpT10_ENKUlT_T0_E_clISt17integral_constantIbLb0EES1B_EEDaS16_S17_EUlS16_E_NS1_11comp_targetILNS1_3genE9ELNS1_11target_archE1100ELNS1_3gpuE3ELNS1_3repE0EEENS1_30default_config_static_selectorELNS0_4arch9wavefront6targetE1EEEvT1_: ; @_ZN7rocprim17ROCPRIM_400000_NS6detail17trampoline_kernelINS0_14default_configENS1_25partition_config_selectorILNS1_17partition_subalgoE1ExNS0_10empty_typeEbEEZZNS1_14partition_implILS5_1ELb0ES3_jN6thrust23THRUST_200600_302600_NS6detail15normal_iteratorINSA_10device_ptrIxEEEEPS6_NSA_18transform_iteratorI7is_evenIxESF_NSA_11use_defaultESK_EENS0_5tupleIJNSA_16discard_iteratorISK_EESO_EEENSM_IJSG_SG_EEES6_PlJS6_EEE10hipError_tPvRmT3_T4_T5_T6_T7_T9_mT8_P12ihipStream_tbDpT10_ENKUlT_T0_E_clISt17integral_constantIbLb0EES1B_EEDaS16_S17_EUlS16_E_NS1_11comp_targetILNS1_3genE9ELNS1_11target_archE1100ELNS1_3gpuE3ELNS1_3repE0EEENS1_30default_config_static_selectorELNS0_4arch9wavefront6targetE1EEEvT1_
; %bb.0:
	.section	.rodata,"a",@progbits
	.p2align	6, 0x0
	.amdhsa_kernel _ZN7rocprim17ROCPRIM_400000_NS6detail17trampoline_kernelINS0_14default_configENS1_25partition_config_selectorILNS1_17partition_subalgoE1ExNS0_10empty_typeEbEEZZNS1_14partition_implILS5_1ELb0ES3_jN6thrust23THRUST_200600_302600_NS6detail15normal_iteratorINSA_10device_ptrIxEEEEPS6_NSA_18transform_iteratorI7is_evenIxESF_NSA_11use_defaultESK_EENS0_5tupleIJNSA_16discard_iteratorISK_EESO_EEENSM_IJSG_SG_EEES6_PlJS6_EEE10hipError_tPvRmT3_T4_T5_T6_T7_T9_mT8_P12ihipStream_tbDpT10_ENKUlT_T0_E_clISt17integral_constantIbLb0EES1B_EEDaS16_S17_EUlS16_E_NS1_11comp_targetILNS1_3genE9ELNS1_11target_archE1100ELNS1_3gpuE3ELNS1_3repE0EEENS1_30default_config_static_selectorELNS0_4arch9wavefront6targetE1EEEvT1_
		.amdhsa_group_segment_fixed_size 0
		.amdhsa_private_segment_fixed_size 0
		.amdhsa_kernarg_size 144
		.amdhsa_user_sgpr_count 6
		.amdhsa_user_sgpr_private_segment_buffer 1
		.amdhsa_user_sgpr_dispatch_ptr 0
		.amdhsa_user_sgpr_queue_ptr 0
		.amdhsa_user_sgpr_kernarg_segment_ptr 1
		.amdhsa_user_sgpr_dispatch_id 0
		.amdhsa_user_sgpr_flat_scratch_init 0
		.amdhsa_user_sgpr_kernarg_preload_length 0
		.amdhsa_user_sgpr_kernarg_preload_offset 0
		.amdhsa_user_sgpr_private_segment_size 0
		.amdhsa_uses_dynamic_stack 0
		.amdhsa_system_sgpr_private_segment_wavefront_offset 0
		.amdhsa_system_sgpr_workgroup_id_x 1
		.amdhsa_system_sgpr_workgroup_id_y 0
		.amdhsa_system_sgpr_workgroup_id_z 0
		.amdhsa_system_sgpr_workgroup_info 0
		.amdhsa_system_vgpr_workitem_id 0
		.amdhsa_next_free_vgpr 1
		.amdhsa_next_free_sgpr 0
		.amdhsa_accum_offset 4
		.amdhsa_reserve_vcc 0
		.amdhsa_reserve_flat_scratch 0
		.amdhsa_float_round_mode_32 0
		.amdhsa_float_round_mode_16_64 0
		.amdhsa_float_denorm_mode_32 3
		.amdhsa_float_denorm_mode_16_64 3
		.amdhsa_dx10_clamp 1
		.amdhsa_ieee_mode 1
		.amdhsa_fp16_overflow 0
		.amdhsa_tg_split 0
		.amdhsa_exception_fp_ieee_invalid_op 0
		.amdhsa_exception_fp_denorm_src 0
		.amdhsa_exception_fp_ieee_div_zero 0
		.amdhsa_exception_fp_ieee_overflow 0
		.amdhsa_exception_fp_ieee_underflow 0
		.amdhsa_exception_fp_ieee_inexact 0
		.amdhsa_exception_int_div_zero 0
	.end_amdhsa_kernel
	.section	.text._ZN7rocprim17ROCPRIM_400000_NS6detail17trampoline_kernelINS0_14default_configENS1_25partition_config_selectorILNS1_17partition_subalgoE1ExNS0_10empty_typeEbEEZZNS1_14partition_implILS5_1ELb0ES3_jN6thrust23THRUST_200600_302600_NS6detail15normal_iteratorINSA_10device_ptrIxEEEEPS6_NSA_18transform_iteratorI7is_evenIxESF_NSA_11use_defaultESK_EENS0_5tupleIJNSA_16discard_iteratorISK_EESO_EEENSM_IJSG_SG_EEES6_PlJS6_EEE10hipError_tPvRmT3_T4_T5_T6_T7_T9_mT8_P12ihipStream_tbDpT10_ENKUlT_T0_E_clISt17integral_constantIbLb0EES1B_EEDaS16_S17_EUlS16_E_NS1_11comp_targetILNS1_3genE9ELNS1_11target_archE1100ELNS1_3gpuE3ELNS1_3repE0EEENS1_30default_config_static_selectorELNS0_4arch9wavefront6targetE1EEEvT1_,"axG",@progbits,_ZN7rocprim17ROCPRIM_400000_NS6detail17trampoline_kernelINS0_14default_configENS1_25partition_config_selectorILNS1_17partition_subalgoE1ExNS0_10empty_typeEbEEZZNS1_14partition_implILS5_1ELb0ES3_jN6thrust23THRUST_200600_302600_NS6detail15normal_iteratorINSA_10device_ptrIxEEEEPS6_NSA_18transform_iteratorI7is_evenIxESF_NSA_11use_defaultESK_EENS0_5tupleIJNSA_16discard_iteratorISK_EESO_EEENSM_IJSG_SG_EEES6_PlJS6_EEE10hipError_tPvRmT3_T4_T5_T6_T7_T9_mT8_P12ihipStream_tbDpT10_ENKUlT_T0_E_clISt17integral_constantIbLb0EES1B_EEDaS16_S17_EUlS16_E_NS1_11comp_targetILNS1_3genE9ELNS1_11target_archE1100ELNS1_3gpuE3ELNS1_3repE0EEENS1_30default_config_static_selectorELNS0_4arch9wavefront6targetE1EEEvT1_,comdat
.Lfunc_end3169:
	.size	_ZN7rocprim17ROCPRIM_400000_NS6detail17trampoline_kernelINS0_14default_configENS1_25partition_config_selectorILNS1_17partition_subalgoE1ExNS0_10empty_typeEbEEZZNS1_14partition_implILS5_1ELb0ES3_jN6thrust23THRUST_200600_302600_NS6detail15normal_iteratorINSA_10device_ptrIxEEEEPS6_NSA_18transform_iteratorI7is_evenIxESF_NSA_11use_defaultESK_EENS0_5tupleIJNSA_16discard_iteratorISK_EESO_EEENSM_IJSG_SG_EEES6_PlJS6_EEE10hipError_tPvRmT3_T4_T5_T6_T7_T9_mT8_P12ihipStream_tbDpT10_ENKUlT_T0_E_clISt17integral_constantIbLb0EES1B_EEDaS16_S17_EUlS16_E_NS1_11comp_targetILNS1_3genE9ELNS1_11target_archE1100ELNS1_3gpuE3ELNS1_3repE0EEENS1_30default_config_static_selectorELNS0_4arch9wavefront6targetE1EEEvT1_, .Lfunc_end3169-_ZN7rocprim17ROCPRIM_400000_NS6detail17trampoline_kernelINS0_14default_configENS1_25partition_config_selectorILNS1_17partition_subalgoE1ExNS0_10empty_typeEbEEZZNS1_14partition_implILS5_1ELb0ES3_jN6thrust23THRUST_200600_302600_NS6detail15normal_iteratorINSA_10device_ptrIxEEEEPS6_NSA_18transform_iteratorI7is_evenIxESF_NSA_11use_defaultESK_EENS0_5tupleIJNSA_16discard_iteratorISK_EESO_EEENSM_IJSG_SG_EEES6_PlJS6_EEE10hipError_tPvRmT3_T4_T5_T6_T7_T9_mT8_P12ihipStream_tbDpT10_ENKUlT_T0_E_clISt17integral_constantIbLb0EES1B_EEDaS16_S17_EUlS16_E_NS1_11comp_targetILNS1_3genE9ELNS1_11target_archE1100ELNS1_3gpuE3ELNS1_3repE0EEENS1_30default_config_static_selectorELNS0_4arch9wavefront6targetE1EEEvT1_
                                        ; -- End function
	.section	.AMDGPU.csdata,"",@progbits
; Kernel info:
; codeLenInByte = 0
; NumSgprs: 4
; NumVgprs: 0
; NumAgprs: 0
; TotalNumVgprs: 0
; ScratchSize: 0
; MemoryBound: 0
; FloatMode: 240
; IeeeMode: 1
; LDSByteSize: 0 bytes/workgroup (compile time only)
; SGPRBlocks: 0
; VGPRBlocks: 0
; NumSGPRsForWavesPerEU: 4
; NumVGPRsForWavesPerEU: 1
; AccumOffset: 4
; Occupancy: 8
; WaveLimiterHint : 0
; COMPUTE_PGM_RSRC2:SCRATCH_EN: 0
; COMPUTE_PGM_RSRC2:USER_SGPR: 6
; COMPUTE_PGM_RSRC2:TRAP_HANDLER: 0
; COMPUTE_PGM_RSRC2:TGID_X_EN: 1
; COMPUTE_PGM_RSRC2:TGID_Y_EN: 0
; COMPUTE_PGM_RSRC2:TGID_Z_EN: 0
; COMPUTE_PGM_RSRC2:TIDIG_COMP_CNT: 0
; COMPUTE_PGM_RSRC3_GFX90A:ACCUM_OFFSET: 0
; COMPUTE_PGM_RSRC3_GFX90A:TG_SPLIT: 0
	.section	.text._ZN7rocprim17ROCPRIM_400000_NS6detail17trampoline_kernelINS0_14default_configENS1_25partition_config_selectorILNS1_17partition_subalgoE1ExNS0_10empty_typeEbEEZZNS1_14partition_implILS5_1ELb0ES3_jN6thrust23THRUST_200600_302600_NS6detail15normal_iteratorINSA_10device_ptrIxEEEEPS6_NSA_18transform_iteratorI7is_evenIxESF_NSA_11use_defaultESK_EENS0_5tupleIJNSA_16discard_iteratorISK_EESO_EEENSM_IJSG_SG_EEES6_PlJS6_EEE10hipError_tPvRmT3_T4_T5_T6_T7_T9_mT8_P12ihipStream_tbDpT10_ENKUlT_T0_E_clISt17integral_constantIbLb0EES1B_EEDaS16_S17_EUlS16_E_NS1_11comp_targetILNS1_3genE8ELNS1_11target_archE1030ELNS1_3gpuE2ELNS1_3repE0EEENS1_30default_config_static_selectorELNS0_4arch9wavefront6targetE1EEEvT1_,"axG",@progbits,_ZN7rocprim17ROCPRIM_400000_NS6detail17trampoline_kernelINS0_14default_configENS1_25partition_config_selectorILNS1_17partition_subalgoE1ExNS0_10empty_typeEbEEZZNS1_14partition_implILS5_1ELb0ES3_jN6thrust23THRUST_200600_302600_NS6detail15normal_iteratorINSA_10device_ptrIxEEEEPS6_NSA_18transform_iteratorI7is_evenIxESF_NSA_11use_defaultESK_EENS0_5tupleIJNSA_16discard_iteratorISK_EESO_EEENSM_IJSG_SG_EEES6_PlJS6_EEE10hipError_tPvRmT3_T4_T5_T6_T7_T9_mT8_P12ihipStream_tbDpT10_ENKUlT_T0_E_clISt17integral_constantIbLb0EES1B_EEDaS16_S17_EUlS16_E_NS1_11comp_targetILNS1_3genE8ELNS1_11target_archE1030ELNS1_3gpuE2ELNS1_3repE0EEENS1_30default_config_static_selectorELNS0_4arch9wavefront6targetE1EEEvT1_,comdat
	.protected	_ZN7rocprim17ROCPRIM_400000_NS6detail17trampoline_kernelINS0_14default_configENS1_25partition_config_selectorILNS1_17partition_subalgoE1ExNS0_10empty_typeEbEEZZNS1_14partition_implILS5_1ELb0ES3_jN6thrust23THRUST_200600_302600_NS6detail15normal_iteratorINSA_10device_ptrIxEEEEPS6_NSA_18transform_iteratorI7is_evenIxESF_NSA_11use_defaultESK_EENS0_5tupleIJNSA_16discard_iteratorISK_EESO_EEENSM_IJSG_SG_EEES6_PlJS6_EEE10hipError_tPvRmT3_T4_T5_T6_T7_T9_mT8_P12ihipStream_tbDpT10_ENKUlT_T0_E_clISt17integral_constantIbLb0EES1B_EEDaS16_S17_EUlS16_E_NS1_11comp_targetILNS1_3genE8ELNS1_11target_archE1030ELNS1_3gpuE2ELNS1_3repE0EEENS1_30default_config_static_selectorELNS0_4arch9wavefront6targetE1EEEvT1_ ; -- Begin function _ZN7rocprim17ROCPRIM_400000_NS6detail17trampoline_kernelINS0_14default_configENS1_25partition_config_selectorILNS1_17partition_subalgoE1ExNS0_10empty_typeEbEEZZNS1_14partition_implILS5_1ELb0ES3_jN6thrust23THRUST_200600_302600_NS6detail15normal_iteratorINSA_10device_ptrIxEEEEPS6_NSA_18transform_iteratorI7is_evenIxESF_NSA_11use_defaultESK_EENS0_5tupleIJNSA_16discard_iteratorISK_EESO_EEENSM_IJSG_SG_EEES6_PlJS6_EEE10hipError_tPvRmT3_T4_T5_T6_T7_T9_mT8_P12ihipStream_tbDpT10_ENKUlT_T0_E_clISt17integral_constantIbLb0EES1B_EEDaS16_S17_EUlS16_E_NS1_11comp_targetILNS1_3genE8ELNS1_11target_archE1030ELNS1_3gpuE2ELNS1_3repE0EEENS1_30default_config_static_selectorELNS0_4arch9wavefront6targetE1EEEvT1_
	.globl	_ZN7rocprim17ROCPRIM_400000_NS6detail17trampoline_kernelINS0_14default_configENS1_25partition_config_selectorILNS1_17partition_subalgoE1ExNS0_10empty_typeEbEEZZNS1_14partition_implILS5_1ELb0ES3_jN6thrust23THRUST_200600_302600_NS6detail15normal_iteratorINSA_10device_ptrIxEEEEPS6_NSA_18transform_iteratorI7is_evenIxESF_NSA_11use_defaultESK_EENS0_5tupleIJNSA_16discard_iteratorISK_EESO_EEENSM_IJSG_SG_EEES6_PlJS6_EEE10hipError_tPvRmT3_T4_T5_T6_T7_T9_mT8_P12ihipStream_tbDpT10_ENKUlT_T0_E_clISt17integral_constantIbLb0EES1B_EEDaS16_S17_EUlS16_E_NS1_11comp_targetILNS1_3genE8ELNS1_11target_archE1030ELNS1_3gpuE2ELNS1_3repE0EEENS1_30default_config_static_selectorELNS0_4arch9wavefront6targetE1EEEvT1_
	.p2align	8
	.type	_ZN7rocprim17ROCPRIM_400000_NS6detail17trampoline_kernelINS0_14default_configENS1_25partition_config_selectorILNS1_17partition_subalgoE1ExNS0_10empty_typeEbEEZZNS1_14partition_implILS5_1ELb0ES3_jN6thrust23THRUST_200600_302600_NS6detail15normal_iteratorINSA_10device_ptrIxEEEEPS6_NSA_18transform_iteratorI7is_evenIxESF_NSA_11use_defaultESK_EENS0_5tupleIJNSA_16discard_iteratorISK_EESO_EEENSM_IJSG_SG_EEES6_PlJS6_EEE10hipError_tPvRmT3_T4_T5_T6_T7_T9_mT8_P12ihipStream_tbDpT10_ENKUlT_T0_E_clISt17integral_constantIbLb0EES1B_EEDaS16_S17_EUlS16_E_NS1_11comp_targetILNS1_3genE8ELNS1_11target_archE1030ELNS1_3gpuE2ELNS1_3repE0EEENS1_30default_config_static_selectorELNS0_4arch9wavefront6targetE1EEEvT1_,@function
_ZN7rocprim17ROCPRIM_400000_NS6detail17trampoline_kernelINS0_14default_configENS1_25partition_config_selectorILNS1_17partition_subalgoE1ExNS0_10empty_typeEbEEZZNS1_14partition_implILS5_1ELb0ES3_jN6thrust23THRUST_200600_302600_NS6detail15normal_iteratorINSA_10device_ptrIxEEEEPS6_NSA_18transform_iteratorI7is_evenIxESF_NSA_11use_defaultESK_EENS0_5tupleIJNSA_16discard_iteratorISK_EESO_EEENSM_IJSG_SG_EEES6_PlJS6_EEE10hipError_tPvRmT3_T4_T5_T6_T7_T9_mT8_P12ihipStream_tbDpT10_ENKUlT_T0_E_clISt17integral_constantIbLb0EES1B_EEDaS16_S17_EUlS16_E_NS1_11comp_targetILNS1_3genE8ELNS1_11target_archE1030ELNS1_3gpuE2ELNS1_3repE0EEENS1_30default_config_static_selectorELNS0_4arch9wavefront6targetE1EEEvT1_: ; @_ZN7rocprim17ROCPRIM_400000_NS6detail17trampoline_kernelINS0_14default_configENS1_25partition_config_selectorILNS1_17partition_subalgoE1ExNS0_10empty_typeEbEEZZNS1_14partition_implILS5_1ELb0ES3_jN6thrust23THRUST_200600_302600_NS6detail15normal_iteratorINSA_10device_ptrIxEEEEPS6_NSA_18transform_iteratorI7is_evenIxESF_NSA_11use_defaultESK_EENS0_5tupleIJNSA_16discard_iteratorISK_EESO_EEENSM_IJSG_SG_EEES6_PlJS6_EEE10hipError_tPvRmT3_T4_T5_T6_T7_T9_mT8_P12ihipStream_tbDpT10_ENKUlT_T0_E_clISt17integral_constantIbLb0EES1B_EEDaS16_S17_EUlS16_E_NS1_11comp_targetILNS1_3genE8ELNS1_11target_archE1030ELNS1_3gpuE2ELNS1_3repE0EEENS1_30default_config_static_selectorELNS0_4arch9wavefront6targetE1EEEvT1_
; %bb.0:
	.section	.rodata,"a",@progbits
	.p2align	6, 0x0
	.amdhsa_kernel _ZN7rocprim17ROCPRIM_400000_NS6detail17trampoline_kernelINS0_14default_configENS1_25partition_config_selectorILNS1_17partition_subalgoE1ExNS0_10empty_typeEbEEZZNS1_14partition_implILS5_1ELb0ES3_jN6thrust23THRUST_200600_302600_NS6detail15normal_iteratorINSA_10device_ptrIxEEEEPS6_NSA_18transform_iteratorI7is_evenIxESF_NSA_11use_defaultESK_EENS0_5tupleIJNSA_16discard_iteratorISK_EESO_EEENSM_IJSG_SG_EEES6_PlJS6_EEE10hipError_tPvRmT3_T4_T5_T6_T7_T9_mT8_P12ihipStream_tbDpT10_ENKUlT_T0_E_clISt17integral_constantIbLb0EES1B_EEDaS16_S17_EUlS16_E_NS1_11comp_targetILNS1_3genE8ELNS1_11target_archE1030ELNS1_3gpuE2ELNS1_3repE0EEENS1_30default_config_static_selectorELNS0_4arch9wavefront6targetE1EEEvT1_
		.amdhsa_group_segment_fixed_size 0
		.amdhsa_private_segment_fixed_size 0
		.amdhsa_kernarg_size 144
		.amdhsa_user_sgpr_count 6
		.amdhsa_user_sgpr_private_segment_buffer 1
		.amdhsa_user_sgpr_dispatch_ptr 0
		.amdhsa_user_sgpr_queue_ptr 0
		.amdhsa_user_sgpr_kernarg_segment_ptr 1
		.amdhsa_user_sgpr_dispatch_id 0
		.amdhsa_user_sgpr_flat_scratch_init 0
		.amdhsa_user_sgpr_kernarg_preload_length 0
		.amdhsa_user_sgpr_kernarg_preload_offset 0
		.amdhsa_user_sgpr_private_segment_size 0
		.amdhsa_uses_dynamic_stack 0
		.amdhsa_system_sgpr_private_segment_wavefront_offset 0
		.amdhsa_system_sgpr_workgroup_id_x 1
		.amdhsa_system_sgpr_workgroup_id_y 0
		.amdhsa_system_sgpr_workgroup_id_z 0
		.amdhsa_system_sgpr_workgroup_info 0
		.amdhsa_system_vgpr_workitem_id 0
		.amdhsa_next_free_vgpr 1
		.amdhsa_next_free_sgpr 0
		.amdhsa_accum_offset 4
		.amdhsa_reserve_vcc 0
		.amdhsa_reserve_flat_scratch 0
		.amdhsa_float_round_mode_32 0
		.amdhsa_float_round_mode_16_64 0
		.amdhsa_float_denorm_mode_32 3
		.amdhsa_float_denorm_mode_16_64 3
		.amdhsa_dx10_clamp 1
		.amdhsa_ieee_mode 1
		.amdhsa_fp16_overflow 0
		.amdhsa_tg_split 0
		.amdhsa_exception_fp_ieee_invalid_op 0
		.amdhsa_exception_fp_denorm_src 0
		.amdhsa_exception_fp_ieee_div_zero 0
		.amdhsa_exception_fp_ieee_overflow 0
		.amdhsa_exception_fp_ieee_underflow 0
		.amdhsa_exception_fp_ieee_inexact 0
		.amdhsa_exception_int_div_zero 0
	.end_amdhsa_kernel
	.section	.text._ZN7rocprim17ROCPRIM_400000_NS6detail17trampoline_kernelINS0_14default_configENS1_25partition_config_selectorILNS1_17partition_subalgoE1ExNS0_10empty_typeEbEEZZNS1_14partition_implILS5_1ELb0ES3_jN6thrust23THRUST_200600_302600_NS6detail15normal_iteratorINSA_10device_ptrIxEEEEPS6_NSA_18transform_iteratorI7is_evenIxESF_NSA_11use_defaultESK_EENS0_5tupleIJNSA_16discard_iteratorISK_EESO_EEENSM_IJSG_SG_EEES6_PlJS6_EEE10hipError_tPvRmT3_T4_T5_T6_T7_T9_mT8_P12ihipStream_tbDpT10_ENKUlT_T0_E_clISt17integral_constantIbLb0EES1B_EEDaS16_S17_EUlS16_E_NS1_11comp_targetILNS1_3genE8ELNS1_11target_archE1030ELNS1_3gpuE2ELNS1_3repE0EEENS1_30default_config_static_selectorELNS0_4arch9wavefront6targetE1EEEvT1_,"axG",@progbits,_ZN7rocprim17ROCPRIM_400000_NS6detail17trampoline_kernelINS0_14default_configENS1_25partition_config_selectorILNS1_17partition_subalgoE1ExNS0_10empty_typeEbEEZZNS1_14partition_implILS5_1ELb0ES3_jN6thrust23THRUST_200600_302600_NS6detail15normal_iteratorINSA_10device_ptrIxEEEEPS6_NSA_18transform_iteratorI7is_evenIxESF_NSA_11use_defaultESK_EENS0_5tupleIJNSA_16discard_iteratorISK_EESO_EEENSM_IJSG_SG_EEES6_PlJS6_EEE10hipError_tPvRmT3_T4_T5_T6_T7_T9_mT8_P12ihipStream_tbDpT10_ENKUlT_T0_E_clISt17integral_constantIbLb0EES1B_EEDaS16_S17_EUlS16_E_NS1_11comp_targetILNS1_3genE8ELNS1_11target_archE1030ELNS1_3gpuE2ELNS1_3repE0EEENS1_30default_config_static_selectorELNS0_4arch9wavefront6targetE1EEEvT1_,comdat
.Lfunc_end3170:
	.size	_ZN7rocprim17ROCPRIM_400000_NS6detail17trampoline_kernelINS0_14default_configENS1_25partition_config_selectorILNS1_17partition_subalgoE1ExNS0_10empty_typeEbEEZZNS1_14partition_implILS5_1ELb0ES3_jN6thrust23THRUST_200600_302600_NS6detail15normal_iteratorINSA_10device_ptrIxEEEEPS6_NSA_18transform_iteratorI7is_evenIxESF_NSA_11use_defaultESK_EENS0_5tupleIJNSA_16discard_iteratorISK_EESO_EEENSM_IJSG_SG_EEES6_PlJS6_EEE10hipError_tPvRmT3_T4_T5_T6_T7_T9_mT8_P12ihipStream_tbDpT10_ENKUlT_T0_E_clISt17integral_constantIbLb0EES1B_EEDaS16_S17_EUlS16_E_NS1_11comp_targetILNS1_3genE8ELNS1_11target_archE1030ELNS1_3gpuE2ELNS1_3repE0EEENS1_30default_config_static_selectorELNS0_4arch9wavefront6targetE1EEEvT1_, .Lfunc_end3170-_ZN7rocprim17ROCPRIM_400000_NS6detail17trampoline_kernelINS0_14default_configENS1_25partition_config_selectorILNS1_17partition_subalgoE1ExNS0_10empty_typeEbEEZZNS1_14partition_implILS5_1ELb0ES3_jN6thrust23THRUST_200600_302600_NS6detail15normal_iteratorINSA_10device_ptrIxEEEEPS6_NSA_18transform_iteratorI7is_evenIxESF_NSA_11use_defaultESK_EENS0_5tupleIJNSA_16discard_iteratorISK_EESO_EEENSM_IJSG_SG_EEES6_PlJS6_EEE10hipError_tPvRmT3_T4_T5_T6_T7_T9_mT8_P12ihipStream_tbDpT10_ENKUlT_T0_E_clISt17integral_constantIbLb0EES1B_EEDaS16_S17_EUlS16_E_NS1_11comp_targetILNS1_3genE8ELNS1_11target_archE1030ELNS1_3gpuE2ELNS1_3repE0EEENS1_30default_config_static_selectorELNS0_4arch9wavefront6targetE1EEEvT1_
                                        ; -- End function
	.section	.AMDGPU.csdata,"",@progbits
; Kernel info:
; codeLenInByte = 0
; NumSgprs: 4
; NumVgprs: 0
; NumAgprs: 0
; TotalNumVgprs: 0
; ScratchSize: 0
; MemoryBound: 0
; FloatMode: 240
; IeeeMode: 1
; LDSByteSize: 0 bytes/workgroup (compile time only)
; SGPRBlocks: 0
; VGPRBlocks: 0
; NumSGPRsForWavesPerEU: 4
; NumVGPRsForWavesPerEU: 1
; AccumOffset: 4
; Occupancy: 8
; WaveLimiterHint : 0
; COMPUTE_PGM_RSRC2:SCRATCH_EN: 0
; COMPUTE_PGM_RSRC2:USER_SGPR: 6
; COMPUTE_PGM_RSRC2:TRAP_HANDLER: 0
; COMPUTE_PGM_RSRC2:TGID_X_EN: 1
; COMPUTE_PGM_RSRC2:TGID_Y_EN: 0
; COMPUTE_PGM_RSRC2:TGID_Z_EN: 0
; COMPUTE_PGM_RSRC2:TIDIG_COMP_CNT: 0
; COMPUTE_PGM_RSRC3_GFX90A:ACCUM_OFFSET: 0
; COMPUTE_PGM_RSRC3_GFX90A:TG_SPLIT: 0
	.section	.text._ZN7rocprim17ROCPRIM_400000_NS6detail17trampoline_kernelINS0_14default_configENS1_25partition_config_selectorILNS1_17partition_subalgoE1ExNS0_10empty_typeEbEEZZNS1_14partition_implILS5_1ELb0ES3_jN6thrust23THRUST_200600_302600_NS6detail15normal_iteratorINSA_10device_ptrIxEEEEPS6_NSA_18transform_iteratorI7is_evenIxESF_NSA_11use_defaultESK_EENS0_5tupleIJNSA_16discard_iteratorISK_EESO_EEENSM_IJSG_SG_EEES6_PlJS6_EEE10hipError_tPvRmT3_T4_T5_T6_T7_T9_mT8_P12ihipStream_tbDpT10_ENKUlT_T0_E_clISt17integral_constantIbLb1EES1B_EEDaS16_S17_EUlS16_E_NS1_11comp_targetILNS1_3genE0ELNS1_11target_archE4294967295ELNS1_3gpuE0ELNS1_3repE0EEENS1_30default_config_static_selectorELNS0_4arch9wavefront6targetE1EEEvT1_,"axG",@progbits,_ZN7rocprim17ROCPRIM_400000_NS6detail17trampoline_kernelINS0_14default_configENS1_25partition_config_selectorILNS1_17partition_subalgoE1ExNS0_10empty_typeEbEEZZNS1_14partition_implILS5_1ELb0ES3_jN6thrust23THRUST_200600_302600_NS6detail15normal_iteratorINSA_10device_ptrIxEEEEPS6_NSA_18transform_iteratorI7is_evenIxESF_NSA_11use_defaultESK_EENS0_5tupleIJNSA_16discard_iteratorISK_EESO_EEENSM_IJSG_SG_EEES6_PlJS6_EEE10hipError_tPvRmT3_T4_T5_T6_T7_T9_mT8_P12ihipStream_tbDpT10_ENKUlT_T0_E_clISt17integral_constantIbLb1EES1B_EEDaS16_S17_EUlS16_E_NS1_11comp_targetILNS1_3genE0ELNS1_11target_archE4294967295ELNS1_3gpuE0ELNS1_3repE0EEENS1_30default_config_static_selectorELNS0_4arch9wavefront6targetE1EEEvT1_,comdat
	.protected	_ZN7rocprim17ROCPRIM_400000_NS6detail17trampoline_kernelINS0_14default_configENS1_25partition_config_selectorILNS1_17partition_subalgoE1ExNS0_10empty_typeEbEEZZNS1_14partition_implILS5_1ELb0ES3_jN6thrust23THRUST_200600_302600_NS6detail15normal_iteratorINSA_10device_ptrIxEEEEPS6_NSA_18transform_iteratorI7is_evenIxESF_NSA_11use_defaultESK_EENS0_5tupleIJNSA_16discard_iteratorISK_EESO_EEENSM_IJSG_SG_EEES6_PlJS6_EEE10hipError_tPvRmT3_T4_T5_T6_T7_T9_mT8_P12ihipStream_tbDpT10_ENKUlT_T0_E_clISt17integral_constantIbLb1EES1B_EEDaS16_S17_EUlS16_E_NS1_11comp_targetILNS1_3genE0ELNS1_11target_archE4294967295ELNS1_3gpuE0ELNS1_3repE0EEENS1_30default_config_static_selectorELNS0_4arch9wavefront6targetE1EEEvT1_ ; -- Begin function _ZN7rocprim17ROCPRIM_400000_NS6detail17trampoline_kernelINS0_14default_configENS1_25partition_config_selectorILNS1_17partition_subalgoE1ExNS0_10empty_typeEbEEZZNS1_14partition_implILS5_1ELb0ES3_jN6thrust23THRUST_200600_302600_NS6detail15normal_iteratorINSA_10device_ptrIxEEEEPS6_NSA_18transform_iteratorI7is_evenIxESF_NSA_11use_defaultESK_EENS0_5tupleIJNSA_16discard_iteratorISK_EESO_EEENSM_IJSG_SG_EEES6_PlJS6_EEE10hipError_tPvRmT3_T4_T5_T6_T7_T9_mT8_P12ihipStream_tbDpT10_ENKUlT_T0_E_clISt17integral_constantIbLb1EES1B_EEDaS16_S17_EUlS16_E_NS1_11comp_targetILNS1_3genE0ELNS1_11target_archE4294967295ELNS1_3gpuE0ELNS1_3repE0EEENS1_30default_config_static_selectorELNS0_4arch9wavefront6targetE1EEEvT1_
	.globl	_ZN7rocprim17ROCPRIM_400000_NS6detail17trampoline_kernelINS0_14default_configENS1_25partition_config_selectorILNS1_17partition_subalgoE1ExNS0_10empty_typeEbEEZZNS1_14partition_implILS5_1ELb0ES3_jN6thrust23THRUST_200600_302600_NS6detail15normal_iteratorINSA_10device_ptrIxEEEEPS6_NSA_18transform_iteratorI7is_evenIxESF_NSA_11use_defaultESK_EENS0_5tupleIJNSA_16discard_iteratorISK_EESO_EEENSM_IJSG_SG_EEES6_PlJS6_EEE10hipError_tPvRmT3_T4_T5_T6_T7_T9_mT8_P12ihipStream_tbDpT10_ENKUlT_T0_E_clISt17integral_constantIbLb1EES1B_EEDaS16_S17_EUlS16_E_NS1_11comp_targetILNS1_3genE0ELNS1_11target_archE4294967295ELNS1_3gpuE0ELNS1_3repE0EEENS1_30default_config_static_selectorELNS0_4arch9wavefront6targetE1EEEvT1_
	.p2align	8
	.type	_ZN7rocprim17ROCPRIM_400000_NS6detail17trampoline_kernelINS0_14default_configENS1_25partition_config_selectorILNS1_17partition_subalgoE1ExNS0_10empty_typeEbEEZZNS1_14partition_implILS5_1ELb0ES3_jN6thrust23THRUST_200600_302600_NS6detail15normal_iteratorINSA_10device_ptrIxEEEEPS6_NSA_18transform_iteratorI7is_evenIxESF_NSA_11use_defaultESK_EENS0_5tupleIJNSA_16discard_iteratorISK_EESO_EEENSM_IJSG_SG_EEES6_PlJS6_EEE10hipError_tPvRmT3_T4_T5_T6_T7_T9_mT8_P12ihipStream_tbDpT10_ENKUlT_T0_E_clISt17integral_constantIbLb1EES1B_EEDaS16_S17_EUlS16_E_NS1_11comp_targetILNS1_3genE0ELNS1_11target_archE4294967295ELNS1_3gpuE0ELNS1_3repE0EEENS1_30default_config_static_selectorELNS0_4arch9wavefront6targetE1EEEvT1_,@function
_ZN7rocprim17ROCPRIM_400000_NS6detail17trampoline_kernelINS0_14default_configENS1_25partition_config_selectorILNS1_17partition_subalgoE1ExNS0_10empty_typeEbEEZZNS1_14partition_implILS5_1ELb0ES3_jN6thrust23THRUST_200600_302600_NS6detail15normal_iteratorINSA_10device_ptrIxEEEEPS6_NSA_18transform_iteratorI7is_evenIxESF_NSA_11use_defaultESK_EENS0_5tupleIJNSA_16discard_iteratorISK_EESO_EEENSM_IJSG_SG_EEES6_PlJS6_EEE10hipError_tPvRmT3_T4_T5_T6_T7_T9_mT8_P12ihipStream_tbDpT10_ENKUlT_T0_E_clISt17integral_constantIbLb1EES1B_EEDaS16_S17_EUlS16_E_NS1_11comp_targetILNS1_3genE0ELNS1_11target_archE4294967295ELNS1_3gpuE0ELNS1_3repE0EEENS1_30default_config_static_selectorELNS0_4arch9wavefront6targetE1EEEvT1_: ; @_ZN7rocprim17ROCPRIM_400000_NS6detail17trampoline_kernelINS0_14default_configENS1_25partition_config_selectorILNS1_17partition_subalgoE1ExNS0_10empty_typeEbEEZZNS1_14partition_implILS5_1ELb0ES3_jN6thrust23THRUST_200600_302600_NS6detail15normal_iteratorINSA_10device_ptrIxEEEEPS6_NSA_18transform_iteratorI7is_evenIxESF_NSA_11use_defaultESK_EENS0_5tupleIJNSA_16discard_iteratorISK_EESO_EEENSM_IJSG_SG_EEES6_PlJS6_EEE10hipError_tPvRmT3_T4_T5_T6_T7_T9_mT8_P12ihipStream_tbDpT10_ENKUlT_T0_E_clISt17integral_constantIbLb1EES1B_EEDaS16_S17_EUlS16_E_NS1_11comp_targetILNS1_3genE0ELNS1_11target_archE4294967295ELNS1_3gpuE0ELNS1_3repE0EEENS1_30default_config_static_selectorELNS0_4arch9wavefront6targetE1EEEvT1_
; %bb.0:
	.section	.rodata,"a",@progbits
	.p2align	6, 0x0
	.amdhsa_kernel _ZN7rocprim17ROCPRIM_400000_NS6detail17trampoline_kernelINS0_14default_configENS1_25partition_config_selectorILNS1_17partition_subalgoE1ExNS0_10empty_typeEbEEZZNS1_14partition_implILS5_1ELb0ES3_jN6thrust23THRUST_200600_302600_NS6detail15normal_iteratorINSA_10device_ptrIxEEEEPS6_NSA_18transform_iteratorI7is_evenIxESF_NSA_11use_defaultESK_EENS0_5tupleIJNSA_16discard_iteratorISK_EESO_EEENSM_IJSG_SG_EEES6_PlJS6_EEE10hipError_tPvRmT3_T4_T5_T6_T7_T9_mT8_P12ihipStream_tbDpT10_ENKUlT_T0_E_clISt17integral_constantIbLb1EES1B_EEDaS16_S17_EUlS16_E_NS1_11comp_targetILNS1_3genE0ELNS1_11target_archE4294967295ELNS1_3gpuE0ELNS1_3repE0EEENS1_30default_config_static_selectorELNS0_4arch9wavefront6targetE1EEEvT1_
		.amdhsa_group_segment_fixed_size 0
		.amdhsa_private_segment_fixed_size 0
		.amdhsa_kernarg_size 160
		.amdhsa_user_sgpr_count 6
		.amdhsa_user_sgpr_private_segment_buffer 1
		.amdhsa_user_sgpr_dispatch_ptr 0
		.amdhsa_user_sgpr_queue_ptr 0
		.amdhsa_user_sgpr_kernarg_segment_ptr 1
		.amdhsa_user_sgpr_dispatch_id 0
		.amdhsa_user_sgpr_flat_scratch_init 0
		.amdhsa_user_sgpr_kernarg_preload_length 0
		.amdhsa_user_sgpr_kernarg_preload_offset 0
		.amdhsa_user_sgpr_private_segment_size 0
		.amdhsa_uses_dynamic_stack 0
		.amdhsa_system_sgpr_private_segment_wavefront_offset 0
		.amdhsa_system_sgpr_workgroup_id_x 1
		.amdhsa_system_sgpr_workgroup_id_y 0
		.amdhsa_system_sgpr_workgroup_id_z 0
		.amdhsa_system_sgpr_workgroup_info 0
		.amdhsa_system_vgpr_workitem_id 0
		.amdhsa_next_free_vgpr 1
		.amdhsa_next_free_sgpr 0
		.amdhsa_accum_offset 4
		.amdhsa_reserve_vcc 0
		.amdhsa_reserve_flat_scratch 0
		.amdhsa_float_round_mode_32 0
		.amdhsa_float_round_mode_16_64 0
		.amdhsa_float_denorm_mode_32 3
		.amdhsa_float_denorm_mode_16_64 3
		.amdhsa_dx10_clamp 1
		.amdhsa_ieee_mode 1
		.amdhsa_fp16_overflow 0
		.amdhsa_tg_split 0
		.amdhsa_exception_fp_ieee_invalid_op 0
		.amdhsa_exception_fp_denorm_src 0
		.amdhsa_exception_fp_ieee_div_zero 0
		.amdhsa_exception_fp_ieee_overflow 0
		.amdhsa_exception_fp_ieee_underflow 0
		.amdhsa_exception_fp_ieee_inexact 0
		.amdhsa_exception_int_div_zero 0
	.end_amdhsa_kernel
	.section	.text._ZN7rocprim17ROCPRIM_400000_NS6detail17trampoline_kernelINS0_14default_configENS1_25partition_config_selectorILNS1_17partition_subalgoE1ExNS0_10empty_typeEbEEZZNS1_14partition_implILS5_1ELb0ES3_jN6thrust23THRUST_200600_302600_NS6detail15normal_iteratorINSA_10device_ptrIxEEEEPS6_NSA_18transform_iteratorI7is_evenIxESF_NSA_11use_defaultESK_EENS0_5tupleIJNSA_16discard_iteratorISK_EESO_EEENSM_IJSG_SG_EEES6_PlJS6_EEE10hipError_tPvRmT3_T4_T5_T6_T7_T9_mT8_P12ihipStream_tbDpT10_ENKUlT_T0_E_clISt17integral_constantIbLb1EES1B_EEDaS16_S17_EUlS16_E_NS1_11comp_targetILNS1_3genE0ELNS1_11target_archE4294967295ELNS1_3gpuE0ELNS1_3repE0EEENS1_30default_config_static_selectorELNS0_4arch9wavefront6targetE1EEEvT1_,"axG",@progbits,_ZN7rocprim17ROCPRIM_400000_NS6detail17trampoline_kernelINS0_14default_configENS1_25partition_config_selectorILNS1_17partition_subalgoE1ExNS0_10empty_typeEbEEZZNS1_14partition_implILS5_1ELb0ES3_jN6thrust23THRUST_200600_302600_NS6detail15normal_iteratorINSA_10device_ptrIxEEEEPS6_NSA_18transform_iteratorI7is_evenIxESF_NSA_11use_defaultESK_EENS0_5tupleIJNSA_16discard_iteratorISK_EESO_EEENSM_IJSG_SG_EEES6_PlJS6_EEE10hipError_tPvRmT3_T4_T5_T6_T7_T9_mT8_P12ihipStream_tbDpT10_ENKUlT_T0_E_clISt17integral_constantIbLb1EES1B_EEDaS16_S17_EUlS16_E_NS1_11comp_targetILNS1_3genE0ELNS1_11target_archE4294967295ELNS1_3gpuE0ELNS1_3repE0EEENS1_30default_config_static_selectorELNS0_4arch9wavefront6targetE1EEEvT1_,comdat
.Lfunc_end3171:
	.size	_ZN7rocprim17ROCPRIM_400000_NS6detail17trampoline_kernelINS0_14default_configENS1_25partition_config_selectorILNS1_17partition_subalgoE1ExNS0_10empty_typeEbEEZZNS1_14partition_implILS5_1ELb0ES3_jN6thrust23THRUST_200600_302600_NS6detail15normal_iteratorINSA_10device_ptrIxEEEEPS6_NSA_18transform_iteratorI7is_evenIxESF_NSA_11use_defaultESK_EENS0_5tupleIJNSA_16discard_iteratorISK_EESO_EEENSM_IJSG_SG_EEES6_PlJS6_EEE10hipError_tPvRmT3_T4_T5_T6_T7_T9_mT8_P12ihipStream_tbDpT10_ENKUlT_T0_E_clISt17integral_constantIbLb1EES1B_EEDaS16_S17_EUlS16_E_NS1_11comp_targetILNS1_3genE0ELNS1_11target_archE4294967295ELNS1_3gpuE0ELNS1_3repE0EEENS1_30default_config_static_selectorELNS0_4arch9wavefront6targetE1EEEvT1_, .Lfunc_end3171-_ZN7rocprim17ROCPRIM_400000_NS6detail17trampoline_kernelINS0_14default_configENS1_25partition_config_selectorILNS1_17partition_subalgoE1ExNS0_10empty_typeEbEEZZNS1_14partition_implILS5_1ELb0ES3_jN6thrust23THRUST_200600_302600_NS6detail15normal_iteratorINSA_10device_ptrIxEEEEPS6_NSA_18transform_iteratorI7is_evenIxESF_NSA_11use_defaultESK_EENS0_5tupleIJNSA_16discard_iteratorISK_EESO_EEENSM_IJSG_SG_EEES6_PlJS6_EEE10hipError_tPvRmT3_T4_T5_T6_T7_T9_mT8_P12ihipStream_tbDpT10_ENKUlT_T0_E_clISt17integral_constantIbLb1EES1B_EEDaS16_S17_EUlS16_E_NS1_11comp_targetILNS1_3genE0ELNS1_11target_archE4294967295ELNS1_3gpuE0ELNS1_3repE0EEENS1_30default_config_static_selectorELNS0_4arch9wavefront6targetE1EEEvT1_
                                        ; -- End function
	.section	.AMDGPU.csdata,"",@progbits
; Kernel info:
; codeLenInByte = 0
; NumSgprs: 4
; NumVgprs: 0
; NumAgprs: 0
; TotalNumVgprs: 0
; ScratchSize: 0
; MemoryBound: 0
; FloatMode: 240
; IeeeMode: 1
; LDSByteSize: 0 bytes/workgroup (compile time only)
; SGPRBlocks: 0
; VGPRBlocks: 0
; NumSGPRsForWavesPerEU: 4
; NumVGPRsForWavesPerEU: 1
; AccumOffset: 4
; Occupancy: 8
; WaveLimiterHint : 0
; COMPUTE_PGM_RSRC2:SCRATCH_EN: 0
; COMPUTE_PGM_RSRC2:USER_SGPR: 6
; COMPUTE_PGM_RSRC2:TRAP_HANDLER: 0
; COMPUTE_PGM_RSRC2:TGID_X_EN: 1
; COMPUTE_PGM_RSRC2:TGID_Y_EN: 0
; COMPUTE_PGM_RSRC2:TGID_Z_EN: 0
; COMPUTE_PGM_RSRC2:TIDIG_COMP_CNT: 0
; COMPUTE_PGM_RSRC3_GFX90A:ACCUM_OFFSET: 0
; COMPUTE_PGM_RSRC3_GFX90A:TG_SPLIT: 0
	.section	.text._ZN7rocprim17ROCPRIM_400000_NS6detail17trampoline_kernelINS0_14default_configENS1_25partition_config_selectorILNS1_17partition_subalgoE1ExNS0_10empty_typeEbEEZZNS1_14partition_implILS5_1ELb0ES3_jN6thrust23THRUST_200600_302600_NS6detail15normal_iteratorINSA_10device_ptrIxEEEEPS6_NSA_18transform_iteratorI7is_evenIxESF_NSA_11use_defaultESK_EENS0_5tupleIJNSA_16discard_iteratorISK_EESO_EEENSM_IJSG_SG_EEES6_PlJS6_EEE10hipError_tPvRmT3_T4_T5_T6_T7_T9_mT8_P12ihipStream_tbDpT10_ENKUlT_T0_E_clISt17integral_constantIbLb1EES1B_EEDaS16_S17_EUlS16_E_NS1_11comp_targetILNS1_3genE5ELNS1_11target_archE942ELNS1_3gpuE9ELNS1_3repE0EEENS1_30default_config_static_selectorELNS0_4arch9wavefront6targetE1EEEvT1_,"axG",@progbits,_ZN7rocprim17ROCPRIM_400000_NS6detail17trampoline_kernelINS0_14default_configENS1_25partition_config_selectorILNS1_17partition_subalgoE1ExNS0_10empty_typeEbEEZZNS1_14partition_implILS5_1ELb0ES3_jN6thrust23THRUST_200600_302600_NS6detail15normal_iteratorINSA_10device_ptrIxEEEEPS6_NSA_18transform_iteratorI7is_evenIxESF_NSA_11use_defaultESK_EENS0_5tupleIJNSA_16discard_iteratorISK_EESO_EEENSM_IJSG_SG_EEES6_PlJS6_EEE10hipError_tPvRmT3_T4_T5_T6_T7_T9_mT8_P12ihipStream_tbDpT10_ENKUlT_T0_E_clISt17integral_constantIbLb1EES1B_EEDaS16_S17_EUlS16_E_NS1_11comp_targetILNS1_3genE5ELNS1_11target_archE942ELNS1_3gpuE9ELNS1_3repE0EEENS1_30default_config_static_selectorELNS0_4arch9wavefront6targetE1EEEvT1_,comdat
	.protected	_ZN7rocprim17ROCPRIM_400000_NS6detail17trampoline_kernelINS0_14default_configENS1_25partition_config_selectorILNS1_17partition_subalgoE1ExNS0_10empty_typeEbEEZZNS1_14partition_implILS5_1ELb0ES3_jN6thrust23THRUST_200600_302600_NS6detail15normal_iteratorINSA_10device_ptrIxEEEEPS6_NSA_18transform_iteratorI7is_evenIxESF_NSA_11use_defaultESK_EENS0_5tupleIJNSA_16discard_iteratorISK_EESO_EEENSM_IJSG_SG_EEES6_PlJS6_EEE10hipError_tPvRmT3_T4_T5_T6_T7_T9_mT8_P12ihipStream_tbDpT10_ENKUlT_T0_E_clISt17integral_constantIbLb1EES1B_EEDaS16_S17_EUlS16_E_NS1_11comp_targetILNS1_3genE5ELNS1_11target_archE942ELNS1_3gpuE9ELNS1_3repE0EEENS1_30default_config_static_selectorELNS0_4arch9wavefront6targetE1EEEvT1_ ; -- Begin function _ZN7rocprim17ROCPRIM_400000_NS6detail17trampoline_kernelINS0_14default_configENS1_25partition_config_selectorILNS1_17partition_subalgoE1ExNS0_10empty_typeEbEEZZNS1_14partition_implILS5_1ELb0ES3_jN6thrust23THRUST_200600_302600_NS6detail15normal_iteratorINSA_10device_ptrIxEEEEPS6_NSA_18transform_iteratorI7is_evenIxESF_NSA_11use_defaultESK_EENS0_5tupleIJNSA_16discard_iteratorISK_EESO_EEENSM_IJSG_SG_EEES6_PlJS6_EEE10hipError_tPvRmT3_T4_T5_T6_T7_T9_mT8_P12ihipStream_tbDpT10_ENKUlT_T0_E_clISt17integral_constantIbLb1EES1B_EEDaS16_S17_EUlS16_E_NS1_11comp_targetILNS1_3genE5ELNS1_11target_archE942ELNS1_3gpuE9ELNS1_3repE0EEENS1_30default_config_static_selectorELNS0_4arch9wavefront6targetE1EEEvT1_
	.globl	_ZN7rocprim17ROCPRIM_400000_NS6detail17trampoline_kernelINS0_14default_configENS1_25partition_config_selectorILNS1_17partition_subalgoE1ExNS0_10empty_typeEbEEZZNS1_14partition_implILS5_1ELb0ES3_jN6thrust23THRUST_200600_302600_NS6detail15normal_iteratorINSA_10device_ptrIxEEEEPS6_NSA_18transform_iteratorI7is_evenIxESF_NSA_11use_defaultESK_EENS0_5tupleIJNSA_16discard_iteratorISK_EESO_EEENSM_IJSG_SG_EEES6_PlJS6_EEE10hipError_tPvRmT3_T4_T5_T6_T7_T9_mT8_P12ihipStream_tbDpT10_ENKUlT_T0_E_clISt17integral_constantIbLb1EES1B_EEDaS16_S17_EUlS16_E_NS1_11comp_targetILNS1_3genE5ELNS1_11target_archE942ELNS1_3gpuE9ELNS1_3repE0EEENS1_30default_config_static_selectorELNS0_4arch9wavefront6targetE1EEEvT1_
	.p2align	8
	.type	_ZN7rocprim17ROCPRIM_400000_NS6detail17trampoline_kernelINS0_14default_configENS1_25partition_config_selectorILNS1_17partition_subalgoE1ExNS0_10empty_typeEbEEZZNS1_14partition_implILS5_1ELb0ES3_jN6thrust23THRUST_200600_302600_NS6detail15normal_iteratorINSA_10device_ptrIxEEEEPS6_NSA_18transform_iteratorI7is_evenIxESF_NSA_11use_defaultESK_EENS0_5tupleIJNSA_16discard_iteratorISK_EESO_EEENSM_IJSG_SG_EEES6_PlJS6_EEE10hipError_tPvRmT3_T4_T5_T6_T7_T9_mT8_P12ihipStream_tbDpT10_ENKUlT_T0_E_clISt17integral_constantIbLb1EES1B_EEDaS16_S17_EUlS16_E_NS1_11comp_targetILNS1_3genE5ELNS1_11target_archE942ELNS1_3gpuE9ELNS1_3repE0EEENS1_30default_config_static_selectorELNS0_4arch9wavefront6targetE1EEEvT1_,@function
_ZN7rocprim17ROCPRIM_400000_NS6detail17trampoline_kernelINS0_14default_configENS1_25partition_config_selectorILNS1_17partition_subalgoE1ExNS0_10empty_typeEbEEZZNS1_14partition_implILS5_1ELb0ES3_jN6thrust23THRUST_200600_302600_NS6detail15normal_iteratorINSA_10device_ptrIxEEEEPS6_NSA_18transform_iteratorI7is_evenIxESF_NSA_11use_defaultESK_EENS0_5tupleIJNSA_16discard_iteratorISK_EESO_EEENSM_IJSG_SG_EEES6_PlJS6_EEE10hipError_tPvRmT3_T4_T5_T6_T7_T9_mT8_P12ihipStream_tbDpT10_ENKUlT_T0_E_clISt17integral_constantIbLb1EES1B_EEDaS16_S17_EUlS16_E_NS1_11comp_targetILNS1_3genE5ELNS1_11target_archE942ELNS1_3gpuE9ELNS1_3repE0EEENS1_30default_config_static_selectorELNS0_4arch9wavefront6targetE1EEEvT1_: ; @_ZN7rocprim17ROCPRIM_400000_NS6detail17trampoline_kernelINS0_14default_configENS1_25partition_config_selectorILNS1_17partition_subalgoE1ExNS0_10empty_typeEbEEZZNS1_14partition_implILS5_1ELb0ES3_jN6thrust23THRUST_200600_302600_NS6detail15normal_iteratorINSA_10device_ptrIxEEEEPS6_NSA_18transform_iteratorI7is_evenIxESF_NSA_11use_defaultESK_EENS0_5tupleIJNSA_16discard_iteratorISK_EESO_EEENSM_IJSG_SG_EEES6_PlJS6_EEE10hipError_tPvRmT3_T4_T5_T6_T7_T9_mT8_P12ihipStream_tbDpT10_ENKUlT_T0_E_clISt17integral_constantIbLb1EES1B_EEDaS16_S17_EUlS16_E_NS1_11comp_targetILNS1_3genE5ELNS1_11target_archE942ELNS1_3gpuE9ELNS1_3repE0EEENS1_30default_config_static_selectorELNS0_4arch9wavefront6targetE1EEEvT1_
; %bb.0:
	.section	.rodata,"a",@progbits
	.p2align	6, 0x0
	.amdhsa_kernel _ZN7rocprim17ROCPRIM_400000_NS6detail17trampoline_kernelINS0_14default_configENS1_25partition_config_selectorILNS1_17partition_subalgoE1ExNS0_10empty_typeEbEEZZNS1_14partition_implILS5_1ELb0ES3_jN6thrust23THRUST_200600_302600_NS6detail15normal_iteratorINSA_10device_ptrIxEEEEPS6_NSA_18transform_iteratorI7is_evenIxESF_NSA_11use_defaultESK_EENS0_5tupleIJNSA_16discard_iteratorISK_EESO_EEENSM_IJSG_SG_EEES6_PlJS6_EEE10hipError_tPvRmT3_T4_T5_T6_T7_T9_mT8_P12ihipStream_tbDpT10_ENKUlT_T0_E_clISt17integral_constantIbLb1EES1B_EEDaS16_S17_EUlS16_E_NS1_11comp_targetILNS1_3genE5ELNS1_11target_archE942ELNS1_3gpuE9ELNS1_3repE0EEENS1_30default_config_static_selectorELNS0_4arch9wavefront6targetE1EEEvT1_
		.amdhsa_group_segment_fixed_size 0
		.amdhsa_private_segment_fixed_size 0
		.amdhsa_kernarg_size 160
		.amdhsa_user_sgpr_count 6
		.amdhsa_user_sgpr_private_segment_buffer 1
		.amdhsa_user_sgpr_dispatch_ptr 0
		.amdhsa_user_sgpr_queue_ptr 0
		.amdhsa_user_sgpr_kernarg_segment_ptr 1
		.amdhsa_user_sgpr_dispatch_id 0
		.amdhsa_user_sgpr_flat_scratch_init 0
		.amdhsa_user_sgpr_kernarg_preload_length 0
		.amdhsa_user_sgpr_kernarg_preload_offset 0
		.amdhsa_user_sgpr_private_segment_size 0
		.amdhsa_uses_dynamic_stack 0
		.amdhsa_system_sgpr_private_segment_wavefront_offset 0
		.amdhsa_system_sgpr_workgroup_id_x 1
		.amdhsa_system_sgpr_workgroup_id_y 0
		.amdhsa_system_sgpr_workgroup_id_z 0
		.amdhsa_system_sgpr_workgroup_info 0
		.amdhsa_system_vgpr_workitem_id 0
		.amdhsa_next_free_vgpr 1
		.amdhsa_next_free_sgpr 0
		.amdhsa_accum_offset 4
		.amdhsa_reserve_vcc 0
		.amdhsa_reserve_flat_scratch 0
		.amdhsa_float_round_mode_32 0
		.amdhsa_float_round_mode_16_64 0
		.amdhsa_float_denorm_mode_32 3
		.amdhsa_float_denorm_mode_16_64 3
		.amdhsa_dx10_clamp 1
		.amdhsa_ieee_mode 1
		.amdhsa_fp16_overflow 0
		.amdhsa_tg_split 0
		.amdhsa_exception_fp_ieee_invalid_op 0
		.amdhsa_exception_fp_denorm_src 0
		.amdhsa_exception_fp_ieee_div_zero 0
		.amdhsa_exception_fp_ieee_overflow 0
		.amdhsa_exception_fp_ieee_underflow 0
		.amdhsa_exception_fp_ieee_inexact 0
		.amdhsa_exception_int_div_zero 0
	.end_amdhsa_kernel
	.section	.text._ZN7rocprim17ROCPRIM_400000_NS6detail17trampoline_kernelINS0_14default_configENS1_25partition_config_selectorILNS1_17partition_subalgoE1ExNS0_10empty_typeEbEEZZNS1_14partition_implILS5_1ELb0ES3_jN6thrust23THRUST_200600_302600_NS6detail15normal_iteratorINSA_10device_ptrIxEEEEPS6_NSA_18transform_iteratorI7is_evenIxESF_NSA_11use_defaultESK_EENS0_5tupleIJNSA_16discard_iteratorISK_EESO_EEENSM_IJSG_SG_EEES6_PlJS6_EEE10hipError_tPvRmT3_T4_T5_T6_T7_T9_mT8_P12ihipStream_tbDpT10_ENKUlT_T0_E_clISt17integral_constantIbLb1EES1B_EEDaS16_S17_EUlS16_E_NS1_11comp_targetILNS1_3genE5ELNS1_11target_archE942ELNS1_3gpuE9ELNS1_3repE0EEENS1_30default_config_static_selectorELNS0_4arch9wavefront6targetE1EEEvT1_,"axG",@progbits,_ZN7rocprim17ROCPRIM_400000_NS6detail17trampoline_kernelINS0_14default_configENS1_25partition_config_selectorILNS1_17partition_subalgoE1ExNS0_10empty_typeEbEEZZNS1_14partition_implILS5_1ELb0ES3_jN6thrust23THRUST_200600_302600_NS6detail15normal_iteratorINSA_10device_ptrIxEEEEPS6_NSA_18transform_iteratorI7is_evenIxESF_NSA_11use_defaultESK_EENS0_5tupleIJNSA_16discard_iteratorISK_EESO_EEENSM_IJSG_SG_EEES6_PlJS6_EEE10hipError_tPvRmT3_T4_T5_T6_T7_T9_mT8_P12ihipStream_tbDpT10_ENKUlT_T0_E_clISt17integral_constantIbLb1EES1B_EEDaS16_S17_EUlS16_E_NS1_11comp_targetILNS1_3genE5ELNS1_11target_archE942ELNS1_3gpuE9ELNS1_3repE0EEENS1_30default_config_static_selectorELNS0_4arch9wavefront6targetE1EEEvT1_,comdat
.Lfunc_end3172:
	.size	_ZN7rocprim17ROCPRIM_400000_NS6detail17trampoline_kernelINS0_14default_configENS1_25partition_config_selectorILNS1_17partition_subalgoE1ExNS0_10empty_typeEbEEZZNS1_14partition_implILS5_1ELb0ES3_jN6thrust23THRUST_200600_302600_NS6detail15normal_iteratorINSA_10device_ptrIxEEEEPS6_NSA_18transform_iteratorI7is_evenIxESF_NSA_11use_defaultESK_EENS0_5tupleIJNSA_16discard_iteratorISK_EESO_EEENSM_IJSG_SG_EEES6_PlJS6_EEE10hipError_tPvRmT3_T4_T5_T6_T7_T9_mT8_P12ihipStream_tbDpT10_ENKUlT_T0_E_clISt17integral_constantIbLb1EES1B_EEDaS16_S17_EUlS16_E_NS1_11comp_targetILNS1_3genE5ELNS1_11target_archE942ELNS1_3gpuE9ELNS1_3repE0EEENS1_30default_config_static_selectorELNS0_4arch9wavefront6targetE1EEEvT1_, .Lfunc_end3172-_ZN7rocprim17ROCPRIM_400000_NS6detail17trampoline_kernelINS0_14default_configENS1_25partition_config_selectorILNS1_17partition_subalgoE1ExNS0_10empty_typeEbEEZZNS1_14partition_implILS5_1ELb0ES3_jN6thrust23THRUST_200600_302600_NS6detail15normal_iteratorINSA_10device_ptrIxEEEEPS6_NSA_18transform_iteratorI7is_evenIxESF_NSA_11use_defaultESK_EENS0_5tupleIJNSA_16discard_iteratorISK_EESO_EEENSM_IJSG_SG_EEES6_PlJS6_EEE10hipError_tPvRmT3_T4_T5_T6_T7_T9_mT8_P12ihipStream_tbDpT10_ENKUlT_T0_E_clISt17integral_constantIbLb1EES1B_EEDaS16_S17_EUlS16_E_NS1_11comp_targetILNS1_3genE5ELNS1_11target_archE942ELNS1_3gpuE9ELNS1_3repE0EEENS1_30default_config_static_selectorELNS0_4arch9wavefront6targetE1EEEvT1_
                                        ; -- End function
	.section	.AMDGPU.csdata,"",@progbits
; Kernel info:
; codeLenInByte = 0
; NumSgprs: 4
; NumVgprs: 0
; NumAgprs: 0
; TotalNumVgprs: 0
; ScratchSize: 0
; MemoryBound: 0
; FloatMode: 240
; IeeeMode: 1
; LDSByteSize: 0 bytes/workgroup (compile time only)
; SGPRBlocks: 0
; VGPRBlocks: 0
; NumSGPRsForWavesPerEU: 4
; NumVGPRsForWavesPerEU: 1
; AccumOffset: 4
; Occupancy: 8
; WaveLimiterHint : 0
; COMPUTE_PGM_RSRC2:SCRATCH_EN: 0
; COMPUTE_PGM_RSRC2:USER_SGPR: 6
; COMPUTE_PGM_RSRC2:TRAP_HANDLER: 0
; COMPUTE_PGM_RSRC2:TGID_X_EN: 1
; COMPUTE_PGM_RSRC2:TGID_Y_EN: 0
; COMPUTE_PGM_RSRC2:TGID_Z_EN: 0
; COMPUTE_PGM_RSRC2:TIDIG_COMP_CNT: 0
; COMPUTE_PGM_RSRC3_GFX90A:ACCUM_OFFSET: 0
; COMPUTE_PGM_RSRC3_GFX90A:TG_SPLIT: 0
	.section	.text._ZN7rocprim17ROCPRIM_400000_NS6detail17trampoline_kernelINS0_14default_configENS1_25partition_config_selectorILNS1_17partition_subalgoE1ExNS0_10empty_typeEbEEZZNS1_14partition_implILS5_1ELb0ES3_jN6thrust23THRUST_200600_302600_NS6detail15normal_iteratorINSA_10device_ptrIxEEEEPS6_NSA_18transform_iteratorI7is_evenIxESF_NSA_11use_defaultESK_EENS0_5tupleIJNSA_16discard_iteratorISK_EESO_EEENSM_IJSG_SG_EEES6_PlJS6_EEE10hipError_tPvRmT3_T4_T5_T6_T7_T9_mT8_P12ihipStream_tbDpT10_ENKUlT_T0_E_clISt17integral_constantIbLb1EES1B_EEDaS16_S17_EUlS16_E_NS1_11comp_targetILNS1_3genE4ELNS1_11target_archE910ELNS1_3gpuE8ELNS1_3repE0EEENS1_30default_config_static_selectorELNS0_4arch9wavefront6targetE1EEEvT1_,"axG",@progbits,_ZN7rocprim17ROCPRIM_400000_NS6detail17trampoline_kernelINS0_14default_configENS1_25partition_config_selectorILNS1_17partition_subalgoE1ExNS0_10empty_typeEbEEZZNS1_14partition_implILS5_1ELb0ES3_jN6thrust23THRUST_200600_302600_NS6detail15normal_iteratorINSA_10device_ptrIxEEEEPS6_NSA_18transform_iteratorI7is_evenIxESF_NSA_11use_defaultESK_EENS0_5tupleIJNSA_16discard_iteratorISK_EESO_EEENSM_IJSG_SG_EEES6_PlJS6_EEE10hipError_tPvRmT3_T4_T5_T6_T7_T9_mT8_P12ihipStream_tbDpT10_ENKUlT_T0_E_clISt17integral_constantIbLb1EES1B_EEDaS16_S17_EUlS16_E_NS1_11comp_targetILNS1_3genE4ELNS1_11target_archE910ELNS1_3gpuE8ELNS1_3repE0EEENS1_30default_config_static_selectorELNS0_4arch9wavefront6targetE1EEEvT1_,comdat
	.protected	_ZN7rocprim17ROCPRIM_400000_NS6detail17trampoline_kernelINS0_14default_configENS1_25partition_config_selectorILNS1_17partition_subalgoE1ExNS0_10empty_typeEbEEZZNS1_14partition_implILS5_1ELb0ES3_jN6thrust23THRUST_200600_302600_NS6detail15normal_iteratorINSA_10device_ptrIxEEEEPS6_NSA_18transform_iteratorI7is_evenIxESF_NSA_11use_defaultESK_EENS0_5tupleIJNSA_16discard_iteratorISK_EESO_EEENSM_IJSG_SG_EEES6_PlJS6_EEE10hipError_tPvRmT3_T4_T5_T6_T7_T9_mT8_P12ihipStream_tbDpT10_ENKUlT_T0_E_clISt17integral_constantIbLb1EES1B_EEDaS16_S17_EUlS16_E_NS1_11comp_targetILNS1_3genE4ELNS1_11target_archE910ELNS1_3gpuE8ELNS1_3repE0EEENS1_30default_config_static_selectorELNS0_4arch9wavefront6targetE1EEEvT1_ ; -- Begin function _ZN7rocprim17ROCPRIM_400000_NS6detail17trampoline_kernelINS0_14default_configENS1_25partition_config_selectorILNS1_17partition_subalgoE1ExNS0_10empty_typeEbEEZZNS1_14partition_implILS5_1ELb0ES3_jN6thrust23THRUST_200600_302600_NS6detail15normal_iteratorINSA_10device_ptrIxEEEEPS6_NSA_18transform_iteratorI7is_evenIxESF_NSA_11use_defaultESK_EENS0_5tupleIJNSA_16discard_iteratorISK_EESO_EEENSM_IJSG_SG_EEES6_PlJS6_EEE10hipError_tPvRmT3_T4_T5_T6_T7_T9_mT8_P12ihipStream_tbDpT10_ENKUlT_T0_E_clISt17integral_constantIbLb1EES1B_EEDaS16_S17_EUlS16_E_NS1_11comp_targetILNS1_3genE4ELNS1_11target_archE910ELNS1_3gpuE8ELNS1_3repE0EEENS1_30default_config_static_selectorELNS0_4arch9wavefront6targetE1EEEvT1_
	.globl	_ZN7rocprim17ROCPRIM_400000_NS6detail17trampoline_kernelINS0_14default_configENS1_25partition_config_selectorILNS1_17partition_subalgoE1ExNS0_10empty_typeEbEEZZNS1_14partition_implILS5_1ELb0ES3_jN6thrust23THRUST_200600_302600_NS6detail15normal_iteratorINSA_10device_ptrIxEEEEPS6_NSA_18transform_iteratorI7is_evenIxESF_NSA_11use_defaultESK_EENS0_5tupleIJNSA_16discard_iteratorISK_EESO_EEENSM_IJSG_SG_EEES6_PlJS6_EEE10hipError_tPvRmT3_T4_T5_T6_T7_T9_mT8_P12ihipStream_tbDpT10_ENKUlT_T0_E_clISt17integral_constantIbLb1EES1B_EEDaS16_S17_EUlS16_E_NS1_11comp_targetILNS1_3genE4ELNS1_11target_archE910ELNS1_3gpuE8ELNS1_3repE0EEENS1_30default_config_static_selectorELNS0_4arch9wavefront6targetE1EEEvT1_
	.p2align	8
	.type	_ZN7rocprim17ROCPRIM_400000_NS6detail17trampoline_kernelINS0_14default_configENS1_25partition_config_selectorILNS1_17partition_subalgoE1ExNS0_10empty_typeEbEEZZNS1_14partition_implILS5_1ELb0ES3_jN6thrust23THRUST_200600_302600_NS6detail15normal_iteratorINSA_10device_ptrIxEEEEPS6_NSA_18transform_iteratorI7is_evenIxESF_NSA_11use_defaultESK_EENS0_5tupleIJNSA_16discard_iteratorISK_EESO_EEENSM_IJSG_SG_EEES6_PlJS6_EEE10hipError_tPvRmT3_T4_T5_T6_T7_T9_mT8_P12ihipStream_tbDpT10_ENKUlT_T0_E_clISt17integral_constantIbLb1EES1B_EEDaS16_S17_EUlS16_E_NS1_11comp_targetILNS1_3genE4ELNS1_11target_archE910ELNS1_3gpuE8ELNS1_3repE0EEENS1_30default_config_static_selectorELNS0_4arch9wavefront6targetE1EEEvT1_,@function
_ZN7rocprim17ROCPRIM_400000_NS6detail17trampoline_kernelINS0_14default_configENS1_25partition_config_selectorILNS1_17partition_subalgoE1ExNS0_10empty_typeEbEEZZNS1_14partition_implILS5_1ELb0ES3_jN6thrust23THRUST_200600_302600_NS6detail15normal_iteratorINSA_10device_ptrIxEEEEPS6_NSA_18transform_iteratorI7is_evenIxESF_NSA_11use_defaultESK_EENS0_5tupleIJNSA_16discard_iteratorISK_EESO_EEENSM_IJSG_SG_EEES6_PlJS6_EEE10hipError_tPvRmT3_T4_T5_T6_T7_T9_mT8_P12ihipStream_tbDpT10_ENKUlT_T0_E_clISt17integral_constantIbLb1EES1B_EEDaS16_S17_EUlS16_E_NS1_11comp_targetILNS1_3genE4ELNS1_11target_archE910ELNS1_3gpuE8ELNS1_3repE0EEENS1_30default_config_static_selectorELNS0_4arch9wavefront6targetE1EEEvT1_: ; @_ZN7rocprim17ROCPRIM_400000_NS6detail17trampoline_kernelINS0_14default_configENS1_25partition_config_selectorILNS1_17partition_subalgoE1ExNS0_10empty_typeEbEEZZNS1_14partition_implILS5_1ELb0ES3_jN6thrust23THRUST_200600_302600_NS6detail15normal_iteratorINSA_10device_ptrIxEEEEPS6_NSA_18transform_iteratorI7is_evenIxESF_NSA_11use_defaultESK_EENS0_5tupleIJNSA_16discard_iteratorISK_EESO_EEENSM_IJSG_SG_EEES6_PlJS6_EEE10hipError_tPvRmT3_T4_T5_T6_T7_T9_mT8_P12ihipStream_tbDpT10_ENKUlT_T0_E_clISt17integral_constantIbLb1EES1B_EEDaS16_S17_EUlS16_E_NS1_11comp_targetILNS1_3genE4ELNS1_11target_archE910ELNS1_3gpuE8ELNS1_3repE0EEENS1_30default_config_static_selectorELNS0_4arch9wavefront6targetE1EEEvT1_
; %bb.0:
	s_load_dwordx2 s[6:7], s[4:5], 0x20
	s_load_dwordx4 s[20:23], s[4:5], 0x60
	s_load_dwordx2 s[2:3], s[4:5], 0x70
	s_load_dwordx2 s[18:19], s[4:5], 0x80
	v_cmp_eq_u32_e64 s[0:1], 0, v0
	s_and_saveexec_b64 s[8:9], s[0:1]
	s_cbranch_execz .LBB3173_4
; %bb.1:
	s_mov_b64 s[12:13], exec
	v_mbcnt_lo_u32_b32 v1, s12, 0
	v_mbcnt_hi_u32_b32 v1, s13, v1
	v_cmp_eq_u32_e32 vcc, 0, v1
                                        ; implicit-def: $vgpr2
	s_and_saveexec_b64 s[10:11], vcc
	s_cbranch_execz .LBB3173_3
; %bb.2:
	s_load_dwordx2 s[14:15], s[4:5], 0x90
	s_bcnt1_i32_b64 s12, s[12:13]
	v_mov_b32_e32 v2, 0
	v_mov_b32_e32 v3, s12
	s_waitcnt lgkmcnt(0)
	global_atomic_add v2, v2, v3, s[14:15] glc
.LBB3173_3:
	s_or_b64 exec, exec, s[10:11]
	s_waitcnt vmcnt(0)
	v_readfirstlane_b32 s10, v2
	v_add_u32_e32 v1, s10, v1
	v_mov_b32_e32 v2, 0
	ds_write_b32 v2, v1
.LBB3173_4:
	s_or_b64 exec, exec, s[8:9]
	v_mov_b32_e32 v1, 0
	s_load_dwordx4 s[8:11], s[4:5], 0x8
	s_load_dword s12, s[4:5], 0x88
	s_waitcnt lgkmcnt(0)
	s_barrier
	ds_read_b32 v4, v1
	s_waitcnt lgkmcnt(0)
	s_barrier
	global_load_dwordx2 v[10:11], v1, s[22:23]
	s_lshl_b64 s[4:5], s[10:11], 3
	v_mov_b32_e32 v3, s3
	s_add_u32 s13, s8, s4
	s_mul_i32 s3, s12, 0x300
	s_addc_u32 s24, s9, s5
	s_add_i32 s9, s3, s10
	s_sub_i32 s14, s2, s9
	s_add_i32 s8, s12, -1
	s_addk_i32 s14, 0x300
	v_mov_b32_e32 v2, s2
	s_add_u32 s2, s10, s3
	v_readfirstlane_b32 s30, v4
	s_addc_u32 s3, s11, 0
	s_cmp_eq_u32 s30, s8
	s_cselect_b64 s[22:23], -1, 0
	s_cmp_lg_u32 s30, s8
	s_mul_i32 s16, s30, 0x300
	s_mov_b32 s17, 0
	v_cmp_lt_u64_e32 vcc, s[2:3], v[2:3]
	s_cselect_b64 s[2:3], -1, 0
	s_or_b64 s[8:9], vcc, s[2:3]
	s_lshl_b64 s[10:11], s[16:17], 3
	s_add_u32 s15, s13, s10
	s_addc_u32 s16, s24, s11
	s_mov_b64 s[2:3], -1
	s_and_b64 vcc, exec, s[8:9]
	v_lshrrev_b32_e32 v1, 2, v0
	s_cbranch_vccz .LBB3173_6
; %bb.5:
	v_lshlrev_b32_e32 v16, 3, v0
	v_mov_b32_e32 v3, s16
	v_add_co_u32_e32 v2, vcc, s15, v16
	v_addc_co_u32_e32 v3, vcc, 0, v3, vcc
	v_add_co_u32_e32 v4, vcc, 0x1000, v2
	v_addc_co_u32_e32 v5, vcc, 0, v3, vcc
	flat_load_dwordx2 v[6:7], v[2:3]
	flat_load_dwordx2 v[8:9], v[2:3] offset:1536
	flat_load_dwordx2 v[12:13], v[2:3] offset:3072
	;; [unrolled: 1-line block ×3, first 2 shown]
	v_add_u32_e32 v3, 0xc0, v0
	v_add_u32_e32 v4, 0x180, v0
	v_add_u32_e32 v5, 0x240, v0
	v_and_b32_e32 v2, 56, v1
	v_lshrrev_b32_e32 v3, 2, v3
	v_lshrrev_b32_e32 v4, 2, v4
	;; [unrolled: 1-line block ×3, first 2 shown]
	v_add_u32_e32 v2, v2, v16
	v_and_b32_e32 v3, 0x78, v3
	v_and_b32_e32 v4, 0xf8, v4
	;; [unrolled: 1-line block ×3, first 2 shown]
	v_add_u32_e32 v3, v3, v16
	v_add_u32_e32 v4, v4, v16
	;; [unrolled: 1-line block ×3, first 2 shown]
	s_mov_b64 s[2:3], 0
	s_waitcnt vmcnt(0) lgkmcnt(0)
	ds_write_b64 v2, v[6:7]
	ds_write_b64 v3, v[8:9] offset:1536
	ds_write_b64 v4, v[12:13] offset:3072
	;; [unrolled: 1-line block ×3, first 2 shown]
	s_waitcnt lgkmcnt(0)
	s_barrier
.LBB3173_6:
	s_andn2_b64 vcc, exec, s[2:3]
	v_cmp_gt_u32_e64 s[2:3], s14, v0
	s_cbranch_vccnz .LBB3173_16
; %bb.7:
                                        ; implicit-def: $vgpr2_vgpr3_vgpr4_vgpr5_vgpr6_vgpr7_vgpr8_vgpr9
	s_and_saveexec_b64 s[12:13], s[2:3]
	s_cbranch_execz .LBB3173_9
; %bb.8:
	v_lshlrev_b32_e32 v2, 3, v0
	v_mov_b32_e32 v3, s16
	v_add_co_u32_e32 v2, vcc, s15, v2
	v_addc_co_u32_e32 v3, vcc, 0, v3, vcc
	flat_load_dwordx2 v[2:3], v[2:3]
.LBB3173_9:
	s_or_b64 exec, exec, s[12:13]
	v_add_u32_e32 v12, 0xc0, v0
	v_cmp_gt_u32_e32 vcc, s14, v12
	s_and_saveexec_b64 s[2:3], vcc
	s_cbranch_execz .LBB3173_11
; %bb.10:
	v_lshlrev_b32_e32 v4, 3, v0
	v_mov_b32_e32 v5, s16
	v_add_co_u32_e32 v4, vcc, s15, v4
	v_addc_co_u32_e32 v5, vcc, 0, v5, vcc
	flat_load_dwordx2 v[4:5], v[4:5] offset:1536
.LBB3173_11:
	s_or_b64 exec, exec, s[2:3]
	v_add_u32_e32 v13, 0x180, v0
	v_cmp_gt_u32_e32 vcc, s14, v13
	s_and_saveexec_b64 s[2:3], vcc
	s_cbranch_execz .LBB3173_13
; %bb.12:
	v_lshlrev_b32_e32 v6, 3, v0
	v_mov_b32_e32 v7, s16
	v_add_co_u32_e32 v6, vcc, s15, v6
	v_addc_co_u32_e32 v7, vcc, 0, v7, vcc
	flat_load_dwordx2 v[6:7], v[6:7] offset:3072
.LBB3173_13:
	s_or_b64 exec, exec, s[2:3]
	v_add_u32_e32 v14, 0x240, v0
	v_cmp_gt_u32_e32 vcc, s14, v14
	s_and_saveexec_b64 s[2:3], vcc
	s_cbranch_execz .LBB3173_15
; %bb.14:
	v_lshlrev_b32_e32 v8, 3, v14
	v_mov_b32_e32 v9, s16
	v_add_co_u32_e32 v8, vcc, s15, v8
	v_addc_co_u32_e32 v9, vcc, 0, v9, vcc
	flat_load_dwordx2 v[8:9], v[8:9]
.LBB3173_15:
	s_or_b64 exec, exec, s[2:3]
	v_and_b32_e32 v1, 56, v1
	v_lshlrev_b32_e32 v15, 3, v0
	v_add_u32_e32 v1, v1, v15
	s_waitcnt vmcnt(0) lgkmcnt(0)
	ds_write_b64 v1, v[2:3]
	v_lshrrev_b32_e32 v1, 2, v12
	v_and_b32_e32 v1, 0x78, v1
	v_add_u32_e32 v1, v1, v15
	ds_write_b64 v1, v[4:5] offset:1536
	v_lshrrev_b32_e32 v1, 2, v13
	v_and_b32_e32 v1, 0xf8, v1
	v_add_u32_e32 v1, v1, v15
	ds_write_b64 v1, v[6:7] offset:3072
	;; [unrolled: 4-line block ×3, first 2 shown]
	s_waitcnt lgkmcnt(0)
	s_barrier
.LBB3173_16:
	v_lshlrev_b32_e32 v1, 2, v0
	v_lshrrev_b32_e32 v12, 3, v0
	v_add_lshl_u32 v2, v12, v1, 3
	ds_read2_b64 v[6:9], v2 offset1:1
	ds_read2_b64 v[2:5], v2 offset0:2 offset1:3
	s_add_u32 s2, s6, s4
	s_addc_u32 s3, s7, s5
	s_add_u32 s2, s2, s10
	s_addc_u32 s3, s3, s11
	s_mov_b64 s[4:5], -1
	s_and_b64 vcc, exec, s[8:9]
	v_lshrrev_b32_e32 v13, 5, v0
	s_waitcnt lgkmcnt(0)
	s_barrier
	s_cbranch_vccz .LBB3173_18
; %bb.17:
	v_lshlrev_b32_e32 v20, 3, v0
	global_load_dwordx2 v[14:15], v20, s[2:3]
	global_load_dwordx2 v[16:17], v20, s[2:3] offset:1536
	global_load_dwordx2 v[18:19], v20, s[2:3] offset:3072
	v_mov_b32_e32 v21, s3
	s_waitcnt vmcnt(2)
	v_add_co_u32_e32 v15, vcc, s2, v20
	s_waitcnt vmcnt(1)
	v_addc_co_u32_e32 v17, vcc, 0, v21, vcc
	v_add_co_u32_e32 v20, vcc, 0x1000, v15
	v_addc_co_u32_e32 v21, vcc, 0, v17, vcc
	global_load_dwordx2 v[20:21], v[20:21], off offset:512
	v_add_u32_e32 v17, 0xc0, v0
	s_waitcnt vmcnt(1)
	v_add_u32_e32 v19, 0x180, v0
	v_and_b32_e32 v15, 4, v13
	s_waitcnt vmcnt(0)
	v_add_u32_e32 v21, 0x240, v0
	v_lshrrev_b32_e32 v17, 5, v17
	v_lshrrev_b32_e32 v19, 5, v19
	v_add_u32_e32 v15, v15, v0
	v_lshrrev_b32_e32 v21, 5, v21
	v_and_b32_e32 v17, 12, v17
	v_and_b32_e32 v19, 28, v19
	;; [unrolled: 1-line block ×3, first 2 shown]
	v_add_u32_e32 v17, v17, v0
	v_add_u32_e32 v19, v19, v0
	;; [unrolled: 1-line block ×3, first 2 shown]
	s_mov_b64 s[4:5], 0
	v_xor_b32_e32 v14, -1, v14
	v_xor_b32_e32 v16, -1, v16
	;; [unrolled: 1-line block ×3, first 2 shown]
	v_and_b32_e32 v14, 1, v14
	v_and_b32_e32 v16, 1, v16
	v_and_b32_e32 v18, 1, v18
	ds_write_b8 v15, v14
	ds_write_b8 v17, v16 offset:192
	ds_write_b8 v19, v18 offset:384
	v_xor_b32_e32 v14, -1, v20
	v_and_b32_e32 v14, 1, v14
	ds_write_b8 v21, v14 offset:576
	s_waitcnt lgkmcnt(0)
	s_barrier
.LBB3173_18:
	s_andn2_b64 vcc, exec, s[4:5]
	s_cbranch_vccnz .LBB3173_28
; %bb.19:
	v_cmp_gt_u32_e32 vcc, s14, v0
	v_mov_b32_e32 v14, 0
	v_mov_b32_e32 v15, 0
	s_and_saveexec_b64 s[4:5], vcc
	s_cbranch_execz .LBB3173_21
; %bb.20:
	v_lshlrev_b32_e32 v15, 3, v0
	global_load_dwordx2 v[16:17], v15, s[2:3]
	s_waitcnt vmcnt(0)
	v_xor_b32_e32 v15, -1, v16
	v_and_b32_e32 v15, 1, v15
.LBB3173_21:
	s_or_b64 exec, exec, s[4:5]
	v_add_u32_e32 v16, 0xc0, v0
	v_cmp_gt_u32_e32 vcc, s14, v16
	s_and_saveexec_b64 s[4:5], vcc
	s_cbranch_execz .LBB3173_23
; %bb.22:
	v_lshlrev_b32_e32 v14, 3, v0
	global_load_dwordx2 v[18:19], v14, s[2:3] offset:1536
	s_waitcnt vmcnt(0)
	v_xor_b32_e32 v14, -1, v18
	v_and_b32_e32 v14, 1, v14
.LBB3173_23:
	s_or_b64 exec, exec, s[4:5]
	v_add_u32_e32 v18, 0x180, v0
	v_cmp_gt_u32_e32 vcc, s14, v18
	v_mov_b32_e32 v17, 0
	v_mov_b32_e32 v19, 0
	s_and_saveexec_b64 s[4:5], vcc
	s_cbranch_execz .LBB3173_25
; %bb.24:
	v_lshlrev_b32_e32 v19, 3, v0
	global_load_dwordx2 v[20:21], v19, s[2:3] offset:3072
	s_waitcnt vmcnt(0)
	v_xor_b32_e32 v19, -1, v20
	v_and_b32_e32 v19, 1, v19
.LBB3173_25:
	s_or_b64 exec, exec, s[4:5]
	v_add_u32_e32 v20, 0x240, v0
	v_cmp_gt_u32_e32 vcc, s14, v20
	s_and_saveexec_b64 s[4:5], vcc
	s_cbranch_execz .LBB3173_27
; %bb.26:
	v_lshlrev_b32_e32 v17, 3, v20
	global_load_dwordx2 v[22:23], v17, s[2:3]
	s_waitcnt vmcnt(0)
	v_xor_b32_e32 v17, -1, v22
	v_and_b32_e32 v17, 1, v17
.LBB3173_27:
	s_or_b64 exec, exec, s[4:5]
	v_and_b32_e32 v13, 4, v13
	v_add_u32_e32 v13, v13, v0
	ds_write_b8 v13, v15
	v_lshrrev_b32_e32 v13, 5, v16
	v_and_b32_e32 v13, 12, v13
	v_add_u32_e32 v13, v13, v0
	ds_write_b8 v13, v14 offset:192
	v_lshrrev_b32_e32 v13, 5, v18
	v_and_b32_e32 v13, 28, v13
	v_add_u32_e32 v13, v13, v0
	ds_write_b8 v13, v19 offset:384
	;; [unrolled: 4-line block ×3, first 2 shown]
	s_waitcnt lgkmcnt(0)
	s_barrier
.LBB3173_28:
	v_and_b32_e32 v12, 28, v12
	v_add_u32_e32 v12, v12, v1
	ds_read_b32 v23, v12
	s_cmp_lg_u32 s30, 0
	v_lshrrev_b32_e32 v26, 6, v0
	s_waitcnt lgkmcnt(0)
	s_barrier
	v_lshrrev_b32_e32 v22, 24, v23
	v_bfe_u32 v24, v23, 16, 8
	v_add_u32_sdwa v12, v23, v23 dst_sel:DWORD dst_unused:UNUSED_PAD src0_sel:BYTE_1 src1_sel:BYTE_0
	v_add3_u32 v27, v12, v24, v22
	v_mbcnt_lo_u32_b32 v12, -1, 0
	v_mbcnt_hi_u32_b32 v25, -1, v12
	v_and_b32_e32 v12, 15, v25
	v_cmp_eq_u32_e64 s[14:15], 0, v12
	v_cmp_lt_u32_e64 s[12:13], 1, v12
	v_cmp_lt_u32_e64 s[10:11], 3, v12
	;; [unrolled: 1-line block ×3, first 2 shown]
	v_and_b32_e32 v12, 16, v25
	v_cmp_eq_u32_e64 s[4:5], 0, v12
	v_and_b32_e32 v12, 0xc0, v0
	v_min_u32_e32 v12, 0x80, v12
	v_or_b32_e32 v12, 63, v12
	v_cmp_lt_u32_e64 s[2:3], 31, v25
	v_cmp_eq_u32_e64 s[6:7], v12, v0
	s_cbranch_scc0 .LBB3173_59
; %bb.29:
	v_mov_b32_dpp v12, v27 row_shr:1 row_mask:0xf bank_mask:0xf
	v_cndmask_b32_e64 v12, v12, 0, s[14:15]
	v_add_u32_e32 v12, v12, v27
	s_nop 1
	v_mov_b32_dpp v13, v12 row_shr:2 row_mask:0xf bank_mask:0xf
	v_cndmask_b32_e64 v13, 0, v13, s[12:13]
	v_add_u32_e32 v12, v12, v13
	s_nop 1
	;; [unrolled: 4-line block ×4, first 2 shown]
	v_mov_b32_dpp v13, v12 row_bcast:15 row_mask:0xf bank_mask:0xf
	v_cndmask_b32_e64 v13, v13, 0, s[4:5]
	v_add_u32_e32 v12, v12, v13
	s_nop 1
	v_mov_b32_dpp v13, v12 row_bcast:31 row_mask:0xf bank_mask:0xf
	v_cndmask_b32_e64 v13, 0, v13, s[2:3]
	v_add_u32_e32 v12, v12, v13
	s_and_saveexec_b64 s[16:17], s[6:7]
	s_cbranch_execz .LBB3173_31
; %bb.30:
	v_lshlrev_b32_e32 v13, 2, v26
	ds_write_b32 v13, v12
.LBB3173_31:
	s_or_b64 exec, exec, s[16:17]
	v_cmp_gt_u32_e32 vcc, 3, v0
	s_waitcnt lgkmcnt(0)
	s_barrier
	s_and_saveexec_b64 s[16:17], vcc
	s_cbranch_execz .LBB3173_33
; %bb.32:
	ds_read_b32 v13, v1
	v_and_b32_e32 v14, 3, v25
	v_cmp_ne_u32_e32 vcc, 0, v14
	s_waitcnt lgkmcnt(0)
	v_mov_b32_dpp v15, v13 row_shr:1 row_mask:0xf bank_mask:0xf
	v_cndmask_b32_e32 v15, 0, v15, vcc
	v_add_u32_e32 v13, v15, v13
	v_cmp_lt_u32_e32 vcc, 1, v14
	s_nop 0
	v_mov_b32_dpp v15, v13 row_shr:2 row_mask:0xf bank_mask:0xf
	v_cndmask_b32_e32 v14, 0, v15, vcc
	v_add_u32_e32 v13, v13, v14
	ds_write_b32 v1, v13
.LBB3173_33:
	s_or_b64 exec, exec, s[16:17]
	v_cmp_gt_u32_e32 vcc, 64, v0
	v_cmp_lt_u32_e64 s[16:17], 63, v0
	s_waitcnt lgkmcnt(0)
	s_barrier
	s_waitcnt lgkmcnt(0)
                                        ; implicit-def: $vgpr28
	s_and_saveexec_b64 s[24:25], s[16:17]
	s_cbranch_execz .LBB3173_35
; %bb.34:
	v_lshl_add_u32 v13, v26, 2, -4
	ds_read_b32 v28, v13
	s_waitcnt lgkmcnt(0)
	v_add_u32_e32 v12, v28, v12
.LBB3173_35:
	s_or_b64 exec, exec, s[24:25]
	v_add_u32_e32 v13, -1, v25
	v_and_b32_e32 v14, 64, v25
	v_cmp_lt_i32_e64 s[16:17], v13, v14
	v_cndmask_b32_e64 v13, v13, v25, s[16:17]
	v_lshlrev_b32_e32 v13, 2, v13
	ds_bpermute_b32 v29, v13, v12
	v_cmp_eq_u32_e64 s[16:17], 0, v25
	s_and_saveexec_b64 s[24:25], vcc
	s_cbranch_execz .LBB3173_58
; %bb.36:
	v_mov_b32_e32 v21, 0
	ds_read_b32 v12, v21 offset:8
	s_and_saveexec_b64 s[26:27], s[16:17]
	s_cbranch_execz .LBB3173_38
; %bb.37:
	s_add_i32 s28, s30, 64
	s_mov_b32 s29, 0
	s_lshl_b64 s[28:29], s[28:29], 3
	s_add_u32 s28, s18, s28
	v_mov_b32_e32 v13, 1
	s_addc_u32 s29, s19, s29
	s_waitcnt lgkmcnt(0)
	global_store_dwordx2 v21, v[12:13], s[28:29]
.LBB3173_38:
	s_or_b64 exec, exec, s[26:27]
	v_xad_u32 v14, v25, -1, s30
	v_add_u32_e32 v20, 64, v14
	v_lshlrev_b64 v[16:17], 3, v[20:21]
	v_mov_b32_e32 v13, s19
	v_add_co_u32_e32 v16, vcc, s18, v16
	v_addc_co_u32_e32 v17, vcc, v13, v17, vcc
	global_load_dwordx2 v[18:19], v[16:17], off glc
	s_waitcnt vmcnt(0)
	v_cmp_eq_u16_sdwa s[28:29], v19, v21 src0_sel:BYTE_0 src1_sel:DWORD
	s_and_saveexec_b64 s[26:27], s[28:29]
	s_cbranch_execz .LBB3173_44
; %bb.39:
	s_mov_b32 s31, 1
	s_mov_b64 s[28:29], 0
	v_mov_b32_e32 v13, 0
.LBB3173_40:                            ; =>This Loop Header: Depth=1
                                        ;     Child Loop BB3173_41 Depth 2
	s_max_u32 s33, s31, 1
.LBB3173_41:                            ;   Parent Loop BB3173_40 Depth=1
                                        ; =>  This Inner Loop Header: Depth=2
	s_add_i32 s33, s33, -1
	s_cmp_eq_u32 s33, 0
	s_sleep 1
	s_cbranch_scc0 .LBB3173_41
; %bb.42:                               ;   in Loop: Header=BB3173_40 Depth=1
	global_load_dwordx2 v[18:19], v[16:17], off glc
	s_cmp_lt_u32 s31, 32
	s_cselect_b64 s[34:35], -1, 0
	s_cmp_lg_u64 s[34:35], 0
	s_addc_u32 s31, s31, 0
	s_waitcnt vmcnt(0)
	v_cmp_ne_u16_sdwa s[34:35], v19, v13 src0_sel:BYTE_0 src1_sel:DWORD
	s_or_b64 s[28:29], s[34:35], s[28:29]
	s_andn2_b64 exec, exec, s[28:29]
	s_cbranch_execnz .LBB3173_40
; %bb.43:
	s_or_b64 exec, exec, s[28:29]
.LBB3173_44:
	s_or_b64 exec, exec, s[26:27]
	v_and_b32_e32 v31, 63, v25
	v_mov_b32_e32 v30, 2
	v_cmp_ne_u32_e32 vcc, 63, v31
	v_cmp_eq_u16_sdwa s[26:27], v19, v30 src0_sel:BYTE_0 src1_sel:DWORD
	v_lshlrev_b64 v[16:17], v25, -1
	v_addc_co_u32_e32 v20, vcc, 0, v25, vcc
	v_and_b32_e32 v13, s27, v17
	v_lshlrev_b32_e32 v32, 2, v20
	v_or_b32_e32 v13, 0x80000000, v13
	ds_bpermute_b32 v20, v32, v18
	v_and_b32_e32 v15, s26, v16
	v_ffbl_b32_e32 v13, v13
	v_add_u32_e32 v13, 32, v13
	v_ffbl_b32_e32 v15, v15
	v_min_u32_e32 v13, v15, v13
	v_cmp_lt_u32_e32 vcc, v31, v13
	s_waitcnt lgkmcnt(0)
	v_cndmask_b32_e32 v15, 0, v20, vcc
	v_cmp_gt_u32_e32 vcc, 62, v31
	v_add_u32_e32 v15, v15, v18
	v_cndmask_b32_e64 v18, 0, 1, vcc
	v_lshlrev_b32_e32 v18, 1, v18
	v_add_lshl_u32 v33, v18, v25, 2
	ds_bpermute_b32 v18, v33, v15
	v_add_u32_e32 v34, 2, v31
	v_cmp_le_u32_e32 vcc, v34, v13
	v_add_u32_e32 v36, 4, v31
	v_add_u32_e32 v38, 8, v31
	s_waitcnt lgkmcnt(0)
	v_cndmask_b32_e32 v18, 0, v18, vcc
	v_cmp_gt_u32_e32 vcc, 60, v31
	v_add_u32_e32 v15, v15, v18
	v_cndmask_b32_e64 v18, 0, 1, vcc
	v_lshlrev_b32_e32 v18, 2, v18
	v_add_lshl_u32 v35, v18, v25, 2
	ds_bpermute_b32 v18, v35, v15
	v_cmp_le_u32_e32 vcc, v36, v13
	v_add_u32_e32 v40, 16, v31
	v_add_u32_e32 v42, 32, v31
	s_waitcnt lgkmcnt(0)
	v_cndmask_b32_e32 v18, 0, v18, vcc
	v_cmp_gt_u32_e32 vcc, 56, v31
	v_add_u32_e32 v15, v15, v18
	v_cndmask_b32_e64 v18, 0, 1, vcc
	v_lshlrev_b32_e32 v18, 3, v18
	v_add_lshl_u32 v37, v18, v25, 2
	ds_bpermute_b32 v18, v37, v15
	v_cmp_le_u32_e32 vcc, v38, v13
	s_waitcnt lgkmcnt(0)
	v_cndmask_b32_e32 v18, 0, v18, vcc
	v_cmp_gt_u32_e32 vcc, 48, v31
	v_add_u32_e32 v15, v15, v18
	v_cndmask_b32_e64 v18, 0, 1, vcc
	v_lshlrev_b32_e32 v18, 4, v18
	v_add_lshl_u32 v39, v18, v25, 2
	ds_bpermute_b32 v18, v39, v15
	v_cmp_le_u32_e32 vcc, v40, v13
	;; [unrolled: 9-line block ×3, first 2 shown]
	s_waitcnt lgkmcnt(0)
	v_cndmask_b32_e32 v13, 0, v18, vcc
	v_add_u32_e32 v18, v15, v13
	v_mov_b32_e32 v15, 0
	s_branch .LBB3173_46
.LBB3173_45:                            ;   in Loop: Header=BB3173_46 Depth=1
	s_or_b64 exec, exec, s[26:27]
	v_cmp_eq_u16_sdwa s[26:27], v19, v30 src0_sel:BYTE_0 src1_sel:DWORD
	v_and_b32_e32 v20, s27, v17
	v_or_b32_e32 v20, 0x80000000, v20
	ds_bpermute_b32 v43, v32, v18
	v_and_b32_e32 v21, s26, v16
	v_ffbl_b32_e32 v20, v20
	v_add_u32_e32 v20, 32, v20
	v_ffbl_b32_e32 v21, v21
	v_min_u32_e32 v20, v21, v20
	v_cmp_lt_u32_e32 vcc, v31, v20
	s_waitcnt lgkmcnt(0)
	v_cndmask_b32_e32 v21, 0, v43, vcc
	v_add_u32_e32 v18, v21, v18
	ds_bpermute_b32 v21, v33, v18
	v_cmp_le_u32_e32 vcc, v34, v20
	v_subrev_u32_e32 v14, 64, v14
	s_waitcnt lgkmcnt(0)
	v_cndmask_b32_e32 v21, 0, v21, vcc
	v_add_u32_e32 v18, v18, v21
	ds_bpermute_b32 v21, v35, v18
	v_cmp_le_u32_e32 vcc, v36, v20
	s_waitcnt lgkmcnt(0)
	v_cndmask_b32_e32 v21, 0, v21, vcc
	v_add_u32_e32 v18, v18, v21
	ds_bpermute_b32 v21, v37, v18
	v_cmp_le_u32_e32 vcc, v38, v20
	;; [unrolled: 5-line block ×4, first 2 shown]
	s_waitcnt lgkmcnt(0)
	v_cndmask_b32_e32 v20, 0, v21, vcc
	v_add3_u32 v18, v20, v13, v18
.LBB3173_46:                            ; =>This Loop Header: Depth=1
                                        ;     Child Loop BB3173_49 Depth 2
                                        ;       Child Loop BB3173_50 Depth 3
	v_cmp_ne_u16_sdwa s[26:27], v19, v30 src0_sel:BYTE_0 src1_sel:DWORD
	v_cndmask_b32_e64 v13, 0, 1, s[26:27]
	;;#ASMSTART
	;;#ASMEND
	v_cmp_ne_u32_e32 vcc, 0, v13
	s_cmp_lg_u64 vcc, exec
	v_mov_b32_e32 v13, v18
	s_cbranch_scc1 .LBB3173_53
; %bb.47:                               ;   in Loop: Header=BB3173_46 Depth=1
	v_lshlrev_b64 v[18:19], 3, v[14:15]
	v_mov_b32_e32 v21, s19
	v_add_co_u32_e32 v20, vcc, s18, v18
	v_addc_co_u32_e32 v21, vcc, v21, v19, vcc
	global_load_dwordx2 v[18:19], v[20:21], off glc
	s_waitcnt vmcnt(0)
	v_cmp_eq_u16_sdwa s[28:29], v19, v15 src0_sel:BYTE_0 src1_sel:DWORD
	s_and_saveexec_b64 s[26:27], s[28:29]
	s_cbranch_execz .LBB3173_45
; %bb.48:                               ;   in Loop: Header=BB3173_46 Depth=1
	s_mov_b32 s31, 1
	s_mov_b64 s[28:29], 0
.LBB3173_49:                            ;   Parent Loop BB3173_46 Depth=1
                                        ; =>  This Loop Header: Depth=2
                                        ;       Child Loop BB3173_50 Depth 3
	s_max_u32 s33, s31, 1
.LBB3173_50:                            ;   Parent Loop BB3173_46 Depth=1
                                        ;     Parent Loop BB3173_49 Depth=2
                                        ; =>    This Inner Loop Header: Depth=3
	s_add_i32 s33, s33, -1
	s_cmp_eq_u32 s33, 0
	s_sleep 1
	s_cbranch_scc0 .LBB3173_50
; %bb.51:                               ;   in Loop: Header=BB3173_49 Depth=2
	global_load_dwordx2 v[18:19], v[20:21], off glc
	s_cmp_lt_u32 s31, 32
	s_cselect_b64 s[34:35], -1, 0
	s_cmp_lg_u64 s[34:35], 0
	s_addc_u32 s31, s31, 0
	s_waitcnt vmcnt(0)
	v_cmp_ne_u16_sdwa s[34:35], v19, v15 src0_sel:BYTE_0 src1_sel:DWORD
	s_or_b64 s[28:29], s[34:35], s[28:29]
	s_andn2_b64 exec, exec, s[28:29]
	s_cbranch_execnz .LBB3173_49
; %bb.52:                               ;   in Loop: Header=BB3173_46 Depth=1
	s_or_b64 exec, exec, s[28:29]
	s_branch .LBB3173_45
.LBB3173_53:                            ;   in Loop: Header=BB3173_46 Depth=1
                                        ; implicit-def: $vgpr18
                                        ; implicit-def: $vgpr19
	s_cbranch_execz .LBB3173_46
; %bb.54:
	s_and_saveexec_b64 s[26:27], s[16:17]
	s_cbranch_execz .LBB3173_56
; %bb.55:
	s_add_i32 s28, s30, 64
	s_mov_b32 s29, 0
	s_lshl_b64 s[28:29], s[28:29], 3
	s_add_u32 s28, s18, s28
	v_add_u32_e32 v14, v13, v12
	v_mov_b32_e32 v15, 2
	s_addc_u32 s29, s19, s29
	v_mov_b32_e32 v16, 0
	global_store_dwordx2 v16, v[14:15], s[28:29]
	ds_write_b64 v16, v[12:13] offset:6336
.LBB3173_56:
	s_or_b64 exec, exec, s[26:27]
	s_and_b64 exec, exec, s[0:1]
	s_cbranch_execz .LBB3173_58
; %bb.57:
	v_mov_b32_e32 v12, 0
	ds_write_b32 v12, v13 offset:8
.LBB3173_58:
	s_or_b64 exec, exec, s[24:25]
	v_mov_b32_e32 v12, 0
	s_waitcnt lgkmcnt(0)
	s_barrier
	ds_read_b32 v13, v12 offset:8
	v_cndmask_b32_e64 v14, v29, v28, s[16:17]
	v_cndmask_b32_e64 v14, v14, 0, s[0:1]
	s_waitcnt lgkmcnt(0)
	s_barrier
	v_add_u32_e32 v16, v13, v14
	ds_read_b64 v[12:13], v12 offset:6336
	v_add_u32_sdwa v17, v16, v23 dst_sel:DWORD dst_unused:UNUSED_PAD src0_sel:DWORD src1_sel:BYTE_0
	v_add_u32_sdwa v15, v17, v23 dst_sel:DWORD dst_unused:UNUSED_PAD src0_sel:DWORD src1_sel:BYTE_1
	v_add_u32_e32 v14, v15, v24
	s_branch .LBB3173_69
.LBB3173_59:
                                        ; implicit-def: $vgpr13
                                        ; implicit-def: $vgpr14
                                        ; implicit-def: $vgpr15
                                        ; implicit-def: $vgpr17
                                        ; implicit-def: $vgpr16
	s_cbranch_execz .LBB3173_69
; %bb.60:
	s_waitcnt lgkmcnt(0)
	v_mov_b32_dpp v12, v27 row_shr:1 row_mask:0xf bank_mask:0xf
	v_cndmask_b32_e64 v12, v12, 0, s[14:15]
	v_add_u32_e32 v12, v12, v27
	s_nop 1
	v_mov_b32_dpp v13, v12 row_shr:2 row_mask:0xf bank_mask:0xf
	v_cndmask_b32_e64 v13, 0, v13, s[12:13]
	v_add_u32_e32 v12, v12, v13
	s_nop 1
	;; [unrolled: 4-line block ×4, first 2 shown]
	v_mov_b32_dpp v13, v12 row_bcast:15 row_mask:0xf bank_mask:0xf
	v_cndmask_b32_e64 v13, v13, 0, s[4:5]
	v_add_u32_e32 v12, v12, v13
	s_nop 1
	v_mov_b32_dpp v13, v12 row_bcast:31 row_mask:0xf bank_mask:0xf
	v_cndmask_b32_e64 v13, 0, v13, s[2:3]
	v_add_u32_e32 v12, v12, v13
	s_and_saveexec_b64 s[2:3], s[6:7]
	s_cbranch_execz .LBB3173_62
; %bb.61:
	v_lshlrev_b32_e32 v13, 2, v26
	ds_write_b32 v13, v12
.LBB3173_62:
	s_or_b64 exec, exec, s[2:3]
	v_cmp_gt_u32_e32 vcc, 3, v0
	s_waitcnt lgkmcnt(0)
	s_barrier
	s_and_saveexec_b64 s[2:3], vcc
	s_cbranch_execz .LBB3173_64
; %bb.63:
	ds_read_b32 v13, v1
	v_and_b32_e32 v14, 3, v25
	v_cmp_ne_u32_e32 vcc, 0, v14
	s_waitcnt lgkmcnt(0)
	v_mov_b32_dpp v15, v13 row_shr:1 row_mask:0xf bank_mask:0xf
	v_cndmask_b32_e32 v15, 0, v15, vcc
	v_add_u32_e32 v13, v15, v13
	v_cmp_lt_u32_e32 vcc, 1, v14
	s_nop 0
	v_mov_b32_dpp v15, v13 row_shr:2 row_mask:0xf bank_mask:0xf
	v_cndmask_b32_e32 v14, 0, v15, vcc
	v_add_u32_e32 v13, v13, v14
	ds_write_b32 v1, v13
.LBB3173_64:
	s_or_b64 exec, exec, s[2:3]
	v_cmp_lt_u32_e32 vcc, 63, v0
	v_mov_b32_e32 v13, 0
	v_mov_b32_e32 v0, 0
	s_waitcnt lgkmcnt(0)
	s_barrier
	s_and_saveexec_b64 s[2:3], vcc
	s_cbranch_execz .LBB3173_66
; %bb.65:
	v_lshl_add_u32 v0, v26, 2, -4
	ds_read_b32 v0, v0
.LBB3173_66:
	s_or_b64 exec, exec, s[2:3]
	v_add_u32_e32 v14, -1, v25
	v_and_b32_e32 v15, 64, v25
	v_cmp_lt_i32_e32 vcc, v14, v15
	v_cndmask_b32_e32 v14, v14, v25, vcc
	s_waitcnt lgkmcnt(0)
	v_add_u32_e32 v12, v0, v12
	v_lshlrev_b32_e32 v14, 2, v14
	ds_bpermute_b32 v14, v14, v12
	ds_read_b32 v12, v13 offset:8
	s_and_saveexec_b64 s[2:3], s[0:1]
	s_cbranch_execz .LBB3173_68
; %bb.67:
	v_mov_b32_e32 v15, 0
	v_mov_b32_e32 v13, 2
	s_waitcnt lgkmcnt(0)
	global_store_dwordx2 v15, v[12:13], s[18:19] offset:512
.LBB3173_68:
	s_or_b64 exec, exec, s[2:3]
	v_cmp_eq_u32_e32 vcc, 0, v25
	s_waitcnt lgkmcnt(1)
	v_cndmask_b32_e32 v0, v14, v0, vcc
	v_cndmask_b32_e64 v16, v0, 0, s[0:1]
	v_add_u32_sdwa v17, v16, v23 dst_sel:DWORD dst_unused:UNUSED_PAD src0_sel:DWORD src1_sel:BYTE_0
	v_add_u32_sdwa v15, v17, v23 dst_sel:DWORD dst_unused:UNUSED_PAD src0_sel:DWORD src1_sel:BYTE_1
	v_mov_b32_e32 v13, 0
	v_add_u32_e32 v14, v15, v24
	s_waitcnt lgkmcnt(0)
	s_barrier
.LBB3173_69:
	s_waitcnt lgkmcnt(0)
	v_add_u32_e32 v1, v12, v1
	v_sub_u32_e32 v16, v16, v13
	v_and_b32_e32 v19, 1, v23
	v_sub_u32_e32 v18, v1, v16
	v_cmp_eq_u32_e32 vcc, 1, v19
	v_cndmask_b32_e32 v16, v18, v16, vcc
	v_lshlrev_b32_e32 v16, 3, v16
	v_lshrrev_b32_e32 v0, 8, v23
	ds_write_b64 v16, v[6:7]
	v_sub_u32_e32 v6, v17, v13
	v_sub_u32_e32 v7, v1, v6
	v_and_b32_e32 v0, 1, v0
	v_add_u32_e32 v7, 1, v7
	v_cmp_eq_u32_e32 vcc, 1, v0
	v_cndmask_b32_e32 v0, v7, v6, vcc
	v_lshlrev_b32_e32 v0, 3, v0
	ds_write_b64 v0, v[8:9]
	v_sub_u32_e32 v0, v15, v13
	v_mov_b32_e32 v7, 1
	v_sub_u32_e32 v6, v1, v0
	v_and_b32_sdwa v7, v7, v23 dst_sel:DWORD dst_unused:UNUSED_PAD src0_sel:DWORD src1_sel:WORD_1
	v_add_u32_e32 v6, 2, v6
	v_cmp_eq_u32_e32 vcc, 1, v7
	v_cndmask_b32_e32 v0, v6, v0, vcc
	v_lshlrev_b32_e32 v0, 3, v0
	ds_write_b64 v0, v[2:3]
	v_sub_u32_e32 v0, v14, v13
	v_sub_u32_e32 v1, v1, v0
	v_and_b32_e32 v2, 1, v22
	v_add_u32_e32 v1, 3, v1
	v_cmp_eq_u32_e32 vcc, 1, v2
	v_cndmask_b32_e32 v0, v1, v0, vcc
	v_lshlrev_b32_e32 v0, 3, v0
	s_and_b64 s[0:1], s[0:1], s[22:23]
	ds_write_b64 v0, v[4:5]
	s_waitcnt lgkmcnt(0)
	s_barrier
	s_and_saveexec_b64 s[2:3], s[0:1]
	s_cbranch_execz .LBB3173_71
; %bb.70:
	s_waitcnt vmcnt(0)
	v_add_co_u32_e32 v0, vcc, v10, v12
	v_addc_co_u32_e32 v1, vcc, 0, v11, vcc
	v_add_co_u32_e32 v0, vcc, v0, v13
	v_mov_b32_e32 v2, 0
	v_addc_co_u32_e32 v1, vcc, 0, v1, vcc
	global_store_dwordx2 v2, v[0:1], s[20:21]
.LBB3173_71:
	s_endpgm
	.section	.rodata,"a",@progbits
	.p2align	6, 0x0
	.amdhsa_kernel _ZN7rocprim17ROCPRIM_400000_NS6detail17trampoline_kernelINS0_14default_configENS1_25partition_config_selectorILNS1_17partition_subalgoE1ExNS0_10empty_typeEbEEZZNS1_14partition_implILS5_1ELb0ES3_jN6thrust23THRUST_200600_302600_NS6detail15normal_iteratorINSA_10device_ptrIxEEEEPS6_NSA_18transform_iteratorI7is_evenIxESF_NSA_11use_defaultESK_EENS0_5tupleIJNSA_16discard_iteratorISK_EESO_EEENSM_IJSG_SG_EEES6_PlJS6_EEE10hipError_tPvRmT3_T4_T5_T6_T7_T9_mT8_P12ihipStream_tbDpT10_ENKUlT_T0_E_clISt17integral_constantIbLb1EES1B_EEDaS16_S17_EUlS16_E_NS1_11comp_targetILNS1_3genE4ELNS1_11target_archE910ELNS1_3gpuE8ELNS1_3repE0EEENS1_30default_config_static_selectorELNS0_4arch9wavefront6targetE1EEEvT1_
		.amdhsa_group_segment_fixed_size 6344
		.amdhsa_private_segment_fixed_size 0
		.amdhsa_kernarg_size 160
		.amdhsa_user_sgpr_count 6
		.amdhsa_user_sgpr_private_segment_buffer 1
		.amdhsa_user_sgpr_dispatch_ptr 0
		.amdhsa_user_sgpr_queue_ptr 0
		.amdhsa_user_sgpr_kernarg_segment_ptr 1
		.amdhsa_user_sgpr_dispatch_id 0
		.amdhsa_user_sgpr_flat_scratch_init 0
		.amdhsa_user_sgpr_kernarg_preload_length 0
		.amdhsa_user_sgpr_kernarg_preload_offset 0
		.amdhsa_user_sgpr_private_segment_size 0
		.amdhsa_uses_dynamic_stack 0
		.amdhsa_system_sgpr_private_segment_wavefront_offset 0
		.amdhsa_system_sgpr_workgroup_id_x 1
		.amdhsa_system_sgpr_workgroup_id_y 0
		.amdhsa_system_sgpr_workgroup_id_z 0
		.amdhsa_system_sgpr_workgroup_info 0
		.amdhsa_system_vgpr_workitem_id 0
		.amdhsa_next_free_vgpr 44
		.amdhsa_next_free_sgpr 36
		.amdhsa_accum_offset 44
		.amdhsa_reserve_vcc 1
		.amdhsa_reserve_flat_scratch 0
		.amdhsa_float_round_mode_32 0
		.amdhsa_float_round_mode_16_64 0
		.amdhsa_float_denorm_mode_32 3
		.amdhsa_float_denorm_mode_16_64 3
		.amdhsa_dx10_clamp 1
		.amdhsa_ieee_mode 1
		.amdhsa_fp16_overflow 0
		.amdhsa_tg_split 0
		.amdhsa_exception_fp_ieee_invalid_op 0
		.amdhsa_exception_fp_denorm_src 0
		.amdhsa_exception_fp_ieee_div_zero 0
		.amdhsa_exception_fp_ieee_overflow 0
		.amdhsa_exception_fp_ieee_underflow 0
		.amdhsa_exception_fp_ieee_inexact 0
		.amdhsa_exception_int_div_zero 0
	.end_amdhsa_kernel
	.section	.text._ZN7rocprim17ROCPRIM_400000_NS6detail17trampoline_kernelINS0_14default_configENS1_25partition_config_selectorILNS1_17partition_subalgoE1ExNS0_10empty_typeEbEEZZNS1_14partition_implILS5_1ELb0ES3_jN6thrust23THRUST_200600_302600_NS6detail15normal_iteratorINSA_10device_ptrIxEEEEPS6_NSA_18transform_iteratorI7is_evenIxESF_NSA_11use_defaultESK_EENS0_5tupleIJNSA_16discard_iteratorISK_EESO_EEENSM_IJSG_SG_EEES6_PlJS6_EEE10hipError_tPvRmT3_T4_T5_T6_T7_T9_mT8_P12ihipStream_tbDpT10_ENKUlT_T0_E_clISt17integral_constantIbLb1EES1B_EEDaS16_S17_EUlS16_E_NS1_11comp_targetILNS1_3genE4ELNS1_11target_archE910ELNS1_3gpuE8ELNS1_3repE0EEENS1_30default_config_static_selectorELNS0_4arch9wavefront6targetE1EEEvT1_,"axG",@progbits,_ZN7rocprim17ROCPRIM_400000_NS6detail17trampoline_kernelINS0_14default_configENS1_25partition_config_selectorILNS1_17partition_subalgoE1ExNS0_10empty_typeEbEEZZNS1_14partition_implILS5_1ELb0ES3_jN6thrust23THRUST_200600_302600_NS6detail15normal_iteratorINSA_10device_ptrIxEEEEPS6_NSA_18transform_iteratorI7is_evenIxESF_NSA_11use_defaultESK_EENS0_5tupleIJNSA_16discard_iteratorISK_EESO_EEENSM_IJSG_SG_EEES6_PlJS6_EEE10hipError_tPvRmT3_T4_T5_T6_T7_T9_mT8_P12ihipStream_tbDpT10_ENKUlT_T0_E_clISt17integral_constantIbLb1EES1B_EEDaS16_S17_EUlS16_E_NS1_11comp_targetILNS1_3genE4ELNS1_11target_archE910ELNS1_3gpuE8ELNS1_3repE0EEENS1_30default_config_static_selectorELNS0_4arch9wavefront6targetE1EEEvT1_,comdat
.Lfunc_end3173:
	.size	_ZN7rocprim17ROCPRIM_400000_NS6detail17trampoline_kernelINS0_14default_configENS1_25partition_config_selectorILNS1_17partition_subalgoE1ExNS0_10empty_typeEbEEZZNS1_14partition_implILS5_1ELb0ES3_jN6thrust23THRUST_200600_302600_NS6detail15normal_iteratorINSA_10device_ptrIxEEEEPS6_NSA_18transform_iteratorI7is_evenIxESF_NSA_11use_defaultESK_EENS0_5tupleIJNSA_16discard_iteratorISK_EESO_EEENSM_IJSG_SG_EEES6_PlJS6_EEE10hipError_tPvRmT3_T4_T5_T6_T7_T9_mT8_P12ihipStream_tbDpT10_ENKUlT_T0_E_clISt17integral_constantIbLb1EES1B_EEDaS16_S17_EUlS16_E_NS1_11comp_targetILNS1_3genE4ELNS1_11target_archE910ELNS1_3gpuE8ELNS1_3repE0EEENS1_30default_config_static_selectorELNS0_4arch9wavefront6targetE1EEEvT1_, .Lfunc_end3173-_ZN7rocprim17ROCPRIM_400000_NS6detail17trampoline_kernelINS0_14default_configENS1_25partition_config_selectorILNS1_17partition_subalgoE1ExNS0_10empty_typeEbEEZZNS1_14partition_implILS5_1ELb0ES3_jN6thrust23THRUST_200600_302600_NS6detail15normal_iteratorINSA_10device_ptrIxEEEEPS6_NSA_18transform_iteratorI7is_evenIxESF_NSA_11use_defaultESK_EENS0_5tupleIJNSA_16discard_iteratorISK_EESO_EEENSM_IJSG_SG_EEES6_PlJS6_EEE10hipError_tPvRmT3_T4_T5_T6_T7_T9_mT8_P12ihipStream_tbDpT10_ENKUlT_T0_E_clISt17integral_constantIbLb1EES1B_EEDaS16_S17_EUlS16_E_NS1_11comp_targetILNS1_3genE4ELNS1_11target_archE910ELNS1_3gpuE8ELNS1_3repE0EEENS1_30default_config_static_selectorELNS0_4arch9wavefront6targetE1EEEvT1_
                                        ; -- End function
	.section	.AMDGPU.csdata,"",@progbits
; Kernel info:
; codeLenInByte = 3672
; NumSgprs: 40
; NumVgprs: 44
; NumAgprs: 0
; TotalNumVgprs: 44
; ScratchSize: 0
; MemoryBound: 0
; FloatMode: 240
; IeeeMode: 1
; LDSByteSize: 6344 bytes/workgroup (compile time only)
; SGPRBlocks: 4
; VGPRBlocks: 5
; NumSGPRsForWavesPerEU: 40
; NumVGPRsForWavesPerEU: 44
; AccumOffset: 44
; Occupancy: 8
; WaveLimiterHint : 1
; COMPUTE_PGM_RSRC2:SCRATCH_EN: 0
; COMPUTE_PGM_RSRC2:USER_SGPR: 6
; COMPUTE_PGM_RSRC2:TRAP_HANDLER: 0
; COMPUTE_PGM_RSRC2:TGID_X_EN: 1
; COMPUTE_PGM_RSRC2:TGID_Y_EN: 0
; COMPUTE_PGM_RSRC2:TGID_Z_EN: 0
; COMPUTE_PGM_RSRC2:TIDIG_COMP_CNT: 0
; COMPUTE_PGM_RSRC3_GFX90A:ACCUM_OFFSET: 10
; COMPUTE_PGM_RSRC3_GFX90A:TG_SPLIT: 0
	.section	.text._ZN7rocprim17ROCPRIM_400000_NS6detail17trampoline_kernelINS0_14default_configENS1_25partition_config_selectorILNS1_17partition_subalgoE1ExNS0_10empty_typeEbEEZZNS1_14partition_implILS5_1ELb0ES3_jN6thrust23THRUST_200600_302600_NS6detail15normal_iteratorINSA_10device_ptrIxEEEEPS6_NSA_18transform_iteratorI7is_evenIxESF_NSA_11use_defaultESK_EENS0_5tupleIJNSA_16discard_iteratorISK_EESO_EEENSM_IJSG_SG_EEES6_PlJS6_EEE10hipError_tPvRmT3_T4_T5_T6_T7_T9_mT8_P12ihipStream_tbDpT10_ENKUlT_T0_E_clISt17integral_constantIbLb1EES1B_EEDaS16_S17_EUlS16_E_NS1_11comp_targetILNS1_3genE3ELNS1_11target_archE908ELNS1_3gpuE7ELNS1_3repE0EEENS1_30default_config_static_selectorELNS0_4arch9wavefront6targetE1EEEvT1_,"axG",@progbits,_ZN7rocprim17ROCPRIM_400000_NS6detail17trampoline_kernelINS0_14default_configENS1_25partition_config_selectorILNS1_17partition_subalgoE1ExNS0_10empty_typeEbEEZZNS1_14partition_implILS5_1ELb0ES3_jN6thrust23THRUST_200600_302600_NS6detail15normal_iteratorINSA_10device_ptrIxEEEEPS6_NSA_18transform_iteratorI7is_evenIxESF_NSA_11use_defaultESK_EENS0_5tupleIJNSA_16discard_iteratorISK_EESO_EEENSM_IJSG_SG_EEES6_PlJS6_EEE10hipError_tPvRmT3_T4_T5_T6_T7_T9_mT8_P12ihipStream_tbDpT10_ENKUlT_T0_E_clISt17integral_constantIbLb1EES1B_EEDaS16_S17_EUlS16_E_NS1_11comp_targetILNS1_3genE3ELNS1_11target_archE908ELNS1_3gpuE7ELNS1_3repE0EEENS1_30default_config_static_selectorELNS0_4arch9wavefront6targetE1EEEvT1_,comdat
	.protected	_ZN7rocprim17ROCPRIM_400000_NS6detail17trampoline_kernelINS0_14default_configENS1_25partition_config_selectorILNS1_17partition_subalgoE1ExNS0_10empty_typeEbEEZZNS1_14partition_implILS5_1ELb0ES3_jN6thrust23THRUST_200600_302600_NS6detail15normal_iteratorINSA_10device_ptrIxEEEEPS6_NSA_18transform_iteratorI7is_evenIxESF_NSA_11use_defaultESK_EENS0_5tupleIJNSA_16discard_iteratorISK_EESO_EEENSM_IJSG_SG_EEES6_PlJS6_EEE10hipError_tPvRmT3_T4_T5_T6_T7_T9_mT8_P12ihipStream_tbDpT10_ENKUlT_T0_E_clISt17integral_constantIbLb1EES1B_EEDaS16_S17_EUlS16_E_NS1_11comp_targetILNS1_3genE3ELNS1_11target_archE908ELNS1_3gpuE7ELNS1_3repE0EEENS1_30default_config_static_selectorELNS0_4arch9wavefront6targetE1EEEvT1_ ; -- Begin function _ZN7rocprim17ROCPRIM_400000_NS6detail17trampoline_kernelINS0_14default_configENS1_25partition_config_selectorILNS1_17partition_subalgoE1ExNS0_10empty_typeEbEEZZNS1_14partition_implILS5_1ELb0ES3_jN6thrust23THRUST_200600_302600_NS6detail15normal_iteratorINSA_10device_ptrIxEEEEPS6_NSA_18transform_iteratorI7is_evenIxESF_NSA_11use_defaultESK_EENS0_5tupleIJNSA_16discard_iteratorISK_EESO_EEENSM_IJSG_SG_EEES6_PlJS6_EEE10hipError_tPvRmT3_T4_T5_T6_T7_T9_mT8_P12ihipStream_tbDpT10_ENKUlT_T0_E_clISt17integral_constantIbLb1EES1B_EEDaS16_S17_EUlS16_E_NS1_11comp_targetILNS1_3genE3ELNS1_11target_archE908ELNS1_3gpuE7ELNS1_3repE0EEENS1_30default_config_static_selectorELNS0_4arch9wavefront6targetE1EEEvT1_
	.globl	_ZN7rocprim17ROCPRIM_400000_NS6detail17trampoline_kernelINS0_14default_configENS1_25partition_config_selectorILNS1_17partition_subalgoE1ExNS0_10empty_typeEbEEZZNS1_14partition_implILS5_1ELb0ES3_jN6thrust23THRUST_200600_302600_NS6detail15normal_iteratorINSA_10device_ptrIxEEEEPS6_NSA_18transform_iteratorI7is_evenIxESF_NSA_11use_defaultESK_EENS0_5tupleIJNSA_16discard_iteratorISK_EESO_EEENSM_IJSG_SG_EEES6_PlJS6_EEE10hipError_tPvRmT3_T4_T5_T6_T7_T9_mT8_P12ihipStream_tbDpT10_ENKUlT_T0_E_clISt17integral_constantIbLb1EES1B_EEDaS16_S17_EUlS16_E_NS1_11comp_targetILNS1_3genE3ELNS1_11target_archE908ELNS1_3gpuE7ELNS1_3repE0EEENS1_30default_config_static_selectorELNS0_4arch9wavefront6targetE1EEEvT1_
	.p2align	8
	.type	_ZN7rocprim17ROCPRIM_400000_NS6detail17trampoline_kernelINS0_14default_configENS1_25partition_config_selectorILNS1_17partition_subalgoE1ExNS0_10empty_typeEbEEZZNS1_14partition_implILS5_1ELb0ES3_jN6thrust23THRUST_200600_302600_NS6detail15normal_iteratorINSA_10device_ptrIxEEEEPS6_NSA_18transform_iteratorI7is_evenIxESF_NSA_11use_defaultESK_EENS0_5tupleIJNSA_16discard_iteratorISK_EESO_EEENSM_IJSG_SG_EEES6_PlJS6_EEE10hipError_tPvRmT3_T4_T5_T6_T7_T9_mT8_P12ihipStream_tbDpT10_ENKUlT_T0_E_clISt17integral_constantIbLb1EES1B_EEDaS16_S17_EUlS16_E_NS1_11comp_targetILNS1_3genE3ELNS1_11target_archE908ELNS1_3gpuE7ELNS1_3repE0EEENS1_30default_config_static_selectorELNS0_4arch9wavefront6targetE1EEEvT1_,@function
_ZN7rocprim17ROCPRIM_400000_NS6detail17trampoline_kernelINS0_14default_configENS1_25partition_config_selectorILNS1_17partition_subalgoE1ExNS0_10empty_typeEbEEZZNS1_14partition_implILS5_1ELb0ES3_jN6thrust23THRUST_200600_302600_NS6detail15normal_iteratorINSA_10device_ptrIxEEEEPS6_NSA_18transform_iteratorI7is_evenIxESF_NSA_11use_defaultESK_EENS0_5tupleIJNSA_16discard_iteratorISK_EESO_EEENSM_IJSG_SG_EEES6_PlJS6_EEE10hipError_tPvRmT3_T4_T5_T6_T7_T9_mT8_P12ihipStream_tbDpT10_ENKUlT_T0_E_clISt17integral_constantIbLb1EES1B_EEDaS16_S17_EUlS16_E_NS1_11comp_targetILNS1_3genE3ELNS1_11target_archE908ELNS1_3gpuE7ELNS1_3repE0EEENS1_30default_config_static_selectorELNS0_4arch9wavefront6targetE1EEEvT1_: ; @_ZN7rocprim17ROCPRIM_400000_NS6detail17trampoline_kernelINS0_14default_configENS1_25partition_config_selectorILNS1_17partition_subalgoE1ExNS0_10empty_typeEbEEZZNS1_14partition_implILS5_1ELb0ES3_jN6thrust23THRUST_200600_302600_NS6detail15normal_iteratorINSA_10device_ptrIxEEEEPS6_NSA_18transform_iteratorI7is_evenIxESF_NSA_11use_defaultESK_EENS0_5tupleIJNSA_16discard_iteratorISK_EESO_EEENSM_IJSG_SG_EEES6_PlJS6_EEE10hipError_tPvRmT3_T4_T5_T6_T7_T9_mT8_P12ihipStream_tbDpT10_ENKUlT_T0_E_clISt17integral_constantIbLb1EES1B_EEDaS16_S17_EUlS16_E_NS1_11comp_targetILNS1_3genE3ELNS1_11target_archE908ELNS1_3gpuE7ELNS1_3repE0EEENS1_30default_config_static_selectorELNS0_4arch9wavefront6targetE1EEEvT1_
; %bb.0:
	.section	.rodata,"a",@progbits
	.p2align	6, 0x0
	.amdhsa_kernel _ZN7rocprim17ROCPRIM_400000_NS6detail17trampoline_kernelINS0_14default_configENS1_25partition_config_selectorILNS1_17partition_subalgoE1ExNS0_10empty_typeEbEEZZNS1_14partition_implILS5_1ELb0ES3_jN6thrust23THRUST_200600_302600_NS6detail15normal_iteratorINSA_10device_ptrIxEEEEPS6_NSA_18transform_iteratorI7is_evenIxESF_NSA_11use_defaultESK_EENS0_5tupleIJNSA_16discard_iteratorISK_EESO_EEENSM_IJSG_SG_EEES6_PlJS6_EEE10hipError_tPvRmT3_T4_T5_T6_T7_T9_mT8_P12ihipStream_tbDpT10_ENKUlT_T0_E_clISt17integral_constantIbLb1EES1B_EEDaS16_S17_EUlS16_E_NS1_11comp_targetILNS1_3genE3ELNS1_11target_archE908ELNS1_3gpuE7ELNS1_3repE0EEENS1_30default_config_static_selectorELNS0_4arch9wavefront6targetE1EEEvT1_
		.amdhsa_group_segment_fixed_size 0
		.amdhsa_private_segment_fixed_size 0
		.amdhsa_kernarg_size 160
		.amdhsa_user_sgpr_count 6
		.amdhsa_user_sgpr_private_segment_buffer 1
		.amdhsa_user_sgpr_dispatch_ptr 0
		.amdhsa_user_sgpr_queue_ptr 0
		.amdhsa_user_sgpr_kernarg_segment_ptr 1
		.amdhsa_user_sgpr_dispatch_id 0
		.amdhsa_user_sgpr_flat_scratch_init 0
		.amdhsa_user_sgpr_kernarg_preload_length 0
		.amdhsa_user_sgpr_kernarg_preload_offset 0
		.amdhsa_user_sgpr_private_segment_size 0
		.amdhsa_uses_dynamic_stack 0
		.amdhsa_system_sgpr_private_segment_wavefront_offset 0
		.amdhsa_system_sgpr_workgroup_id_x 1
		.amdhsa_system_sgpr_workgroup_id_y 0
		.amdhsa_system_sgpr_workgroup_id_z 0
		.amdhsa_system_sgpr_workgroup_info 0
		.amdhsa_system_vgpr_workitem_id 0
		.amdhsa_next_free_vgpr 1
		.amdhsa_next_free_sgpr 0
		.amdhsa_accum_offset 4
		.amdhsa_reserve_vcc 0
		.amdhsa_reserve_flat_scratch 0
		.amdhsa_float_round_mode_32 0
		.amdhsa_float_round_mode_16_64 0
		.amdhsa_float_denorm_mode_32 3
		.amdhsa_float_denorm_mode_16_64 3
		.amdhsa_dx10_clamp 1
		.amdhsa_ieee_mode 1
		.amdhsa_fp16_overflow 0
		.amdhsa_tg_split 0
		.amdhsa_exception_fp_ieee_invalid_op 0
		.amdhsa_exception_fp_denorm_src 0
		.amdhsa_exception_fp_ieee_div_zero 0
		.amdhsa_exception_fp_ieee_overflow 0
		.amdhsa_exception_fp_ieee_underflow 0
		.amdhsa_exception_fp_ieee_inexact 0
		.amdhsa_exception_int_div_zero 0
	.end_amdhsa_kernel
	.section	.text._ZN7rocprim17ROCPRIM_400000_NS6detail17trampoline_kernelINS0_14default_configENS1_25partition_config_selectorILNS1_17partition_subalgoE1ExNS0_10empty_typeEbEEZZNS1_14partition_implILS5_1ELb0ES3_jN6thrust23THRUST_200600_302600_NS6detail15normal_iteratorINSA_10device_ptrIxEEEEPS6_NSA_18transform_iteratorI7is_evenIxESF_NSA_11use_defaultESK_EENS0_5tupleIJNSA_16discard_iteratorISK_EESO_EEENSM_IJSG_SG_EEES6_PlJS6_EEE10hipError_tPvRmT3_T4_T5_T6_T7_T9_mT8_P12ihipStream_tbDpT10_ENKUlT_T0_E_clISt17integral_constantIbLb1EES1B_EEDaS16_S17_EUlS16_E_NS1_11comp_targetILNS1_3genE3ELNS1_11target_archE908ELNS1_3gpuE7ELNS1_3repE0EEENS1_30default_config_static_selectorELNS0_4arch9wavefront6targetE1EEEvT1_,"axG",@progbits,_ZN7rocprim17ROCPRIM_400000_NS6detail17trampoline_kernelINS0_14default_configENS1_25partition_config_selectorILNS1_17partition_subalgoE1ExNS0_10empty_typeEbEEZZNS1_14partition_implILS5_1ELb0ES3_jN6thrust23THRUST_200600_302600_NS6detail15normal_iteratorINSA_10device_ptrIxEEEEPS6_NSA_18transform_iteratorI7is_evenIxESF_NSA_11use_defaultESK_EENS0_5tupleIJNSA_16discard_iteratorISK_EESO_EEENSM_IJSG_SG_EEES6_PlJS6_EEE10hipError_tPvRmT3_T4_T5_T6_T7_T9_mT8_P12ihipStream_tbDpT10_ENKUlT_T0_E_clISt17integral_constantIbLb1EES1B_EEDaS16_S17_EUlS16_E_NS1_11comp_targetILNS1_3genE3ELNS1_11target_archE908ELNS1_3gpuE7ELNS1_3repE0EEENS1_30default_config_static_selectorELNS0_4arch9wavefront6targetE1EEEvT1_,comdat
.Lfunc_end3174:
	.size	_ZN7rocprim17ROCPRIM_400000_NS6detail17trampoline_kernelINS0_14default_configENS1_25partition_config_selectorILNS1_17partition_subalgoE1ExNS0_10empty_typeEbEEZZNS1_14partition_implILS5_1ELb0ES3_jN6thrust23THRUST_200600_302600_NS6detail15normal_iteratorINSA_10device_ptrIxEEEEPS6_NSA_18transform_iteratorI7is_evenIxESF_NSA_11use_defaultESK_EENS0_5tupleIJNSA_16discard_iteratorISK_EESO_EEENSM_IJSG_SG_EEES6_PlJS6_EEE10hipError_tPvRmT3_T4_T5_T6_T7_T9_mT8_P12ihipStream_tbDpT10_ENKUlT_T0_E_clISt17integral_constantIbLb1EES1B_EEDaS16_S17_EUlS16_E_NS1_11comp_targetILNS1_3genE3ELNS1_11target_archE908ELNS1_3gpuE7ELNS1_3repE0EEENS1_30default_config_static_selectorELNS0_4arch9wavefront6targetE1EEEvT1_, .Lfunc_end3174-_ZN7rocprim17ROCPRIM_400000_NS6detail17trampoline_kernelINS0_14default_configENS1_25partition_config_selectorILNS1_17partition_subalgoE1ExNS0_10empty_typeEbEEZZNS1_14partition_implILS5_1ELb0ES3_jN6thrust23THRUST_200600_302600_NS6detail15normal_iteratorINSA_10device_ptrIxEEEEPS6_NSA_18transform_iteratorI7is_evenIxESF_NSA_11use_defaultESK_EENS0_5tupleIJNSA_16discard_iteratorISK_EESO_EEENSM_IJSG_SG_EEES6_PlJS6_EEE10hipError_tPvRmT3_T4_T5_T6_T7_T9_mT8_P12ihipStream_tbDpT10_ENKUlT_T0_E_clISt17integral_constantIbLb1EES1B_EEDaS16_S17_EUlS16_E_NS1_11comp_targetILNS1_3genE3ELNS1_11target_archE908ELNS1_3gpuE7ELNS1_3repE0EEENS1_30default_config_static_selectorELNS0_4arch9wavefront6targetE1EEEvT1_
                                        ; -- End function
	.section	.AMDGPU.csdata,"",@progbits
; Kernel info:
; codeLenInByte = 0
; NumSgprs: 4
; NumVgprs: 0
; NumAgprs: 0
; TotalNumVgprs: 0
; ScratchSize: 0
; MemoryBound: 0
; FloatMode: 240
; IeeeMode: 1
; LDSByteSize: 0 bytes/workgroup (compile time only)
; SGPRBlocks: 0
; VGPRBlocks: 0
; NumSGPRsForWavesPerEU: 4
; NumVGPRsForWavesPerEU: 1
; AccumOffset: 4
; Occupancy: 8
; WaveLimiterHint : 0
; COMPUTE_PGM_RSRC2:SCRATCH_EN: 0
; COMPUTE_PGM_RSRC2:USER_SGPR: 6
; COMPUTE_PGM_RSRC2:TRAP_HANDLER: 0
; COMPUTE_PGM_RSRC2:TGID_X_EN: 1
; COMPUTE_PGM_RSRC2:TGID_Y_EN: 0
; COMPUTE_PGM_RSRC2:TGID_Z_EN: 0
; COMPUTE_PGM_RSRC2:TIDIG_COMP_CNT: 0
; COMPUTE_PGM_RSRC3_GFX90A:ACCUM_OFFSET: 0
; COMPUTE_PGM_RSRC3_GFX90A:TG_SPLIT: 0
	.section	.text._ZN7rocprim17ROCPRIM_400000_NS6detail17trampoline_kernelINS0_14default_configENS1_25partition_config_selectorILNS1_17partition_subalgoE1ExNS0_10empty_typeEbEEZZNS1_14partition_implILS5_1ELb0ES3_jN6thrust23THRUST_200600_302600_NS6detail15normal_iteratorINSA_10device_ptrIxEEEEPS6_NSA_18transform_iteratorI7is_evenIxESF_NSA_11use_defaultESK_EENS0_5tupleIJNSA_16discard_iteratorISK_EESO_EEENSM_IJSG_SG_EEES6_PlJS6_EEE10hipError_tPvRmT3_T4_T5_T6_T7_T9_mT8_P12ihipStream_tbDpT10_ENKUlT_T0_E_clISt17integral_constantIbLb1EES1B_EEDaS16_S17_EUlS16_E_NS1_11comp_targetILNS1_3genE2ELNS1_11target_archE906ELNS1_3gpuE6ELNS1_3repE0EEENS1_30default_config_static_selectorELNS0_4arch9wavefront6targetE1EEEvT1_,"axG",@progbits,_ZN7rocprim17ROCPRIM_400000_NS6detail17trampoline_kernelINS0_14default_configENS1_25partition_config_selectorILNS1_17partition_subalgoE1ExNS0_10empty_typeEbEEZZNS1_14partition_implILS5_1ELb0ES3_jN6thrust23THRUST_200600_302600_NS6detail15normal_iteratorINSA_10device_ptrIxEEEEPS6_NSA_18transform_iteratorI7is_evenIxESF_NSA_11use_defaultESK_EENS0_5tupleIJNSA_16discard_iteratorISK_EESO_EEENSM_IJSG_SG_EEES6_PlJS6_EEE10hipError_tPvRmT3_T4_T5_T6_T7_T9_mT8_P12ihipStream_tbDpT10_ENKUlT_T0_E_clISt17integral_constantIbLb1EES1B_EEDaS16_S17_EUlS16_E_NS1_11comp_targetILNS1_3genE2ELNS1_11target_archE906ELNS1_3gpuE6ELNS1_3repE0EEENS1_30default_config_static_selectorELNS0_4arch9wavefront6targetE1EEEvT1_,comdat
	.protected	_ZN7rocprim17ROCPRIM_400000_NS6detail17trampoline_kernelINS0_14default_configENS1_25partition_config_selectorILNS1_17partition_subalgoE1ExNS0_10empty_typeEbEEZZNS1_14partition_implILS5_1ELb0ES3_jN6thrust23THRUST_200600_302600_NS6detail15normal_iteratorINSA_10device_ptrIxEEEEPS6_NSA_18transform_iteratorI7is_evenIxESF_NSA_11use_defaultESK_EENS0_5tupleIJNSA_16discard_iteratorISK_EESO_EEENSM_IJSG_SG_EEES6_PlJS6_EEE10hipError_tPvRmT3_T4_T5_T6_T7_T9_mT8_P12ihipStream_tbDpT10_ENKUlT_T0_E_clISt17integral_constantIbLb1EES1B_EEDaS16_S17_EUlS16_E_NS1_11comp_targetILNS1_3genE2ELNS1_11target_archE906ELNS1_3gpuE6ELNS1_3repE0EEENS1_30default_config_static_selectorELNS0_4arch9wavefront6targetE1EEEvT1_ ; -- Begin function _ZN7rocprim17ROCPRIM_400000_NS6detail17trampoline_kernelINS0_14default_configENS1_25partition_config_selectorILNS1_17partition_subalgoE1ExNS0_10empty_typeEbEEZZNS1_14partition_implILS5_1ELb0ES3_jN6thrust23THRUST_200600_302600_NS6detail15normal_iteratorINSA_10device_ptrIxEEEEPS6_NSA_18transform_iteratorI7is_evenIxESF_NSA_11use_defaultESK_EENS0_5tupleIJNSA_16discard_iteratorISK_EESO_EEENSM_IJSG_SG_EEES6_PlJS6_EEE10hipError_tPvRmT3_T4_T5_T6_T7_T9_mT8_P12ihipStream_tbDpT10_ENKUlT_T0_E_clISt17integral_constantIbLb1EES1B_EEDaS16_S17_EUlS16_E_NS1_11comp_targetILNS1_3genE2ELNS1_11target_archE906ELNS1_3gpuE6ELNS1_3repE0EEENS1_30default_config_static_selectorELNS0_4arch9wavefront6targetE1EEEvT1_
	.globl	_ZN7rocprim17ROCPRIM_400000_NS6detail17trampoline_kernelINS0_14default_configENS1_25partition_config_selectorILNS1_17partition_subalgoE1ExNS0_10empty_typeEbEEZZNS1_14partition_implILS5_1ELb0ES3_jN6thrust23THRUST_200600_302600_NS6detail15normal_iteratorINSA_10device_ptrIxEEEEPS6_NSA_18transform_iteratorI7is_evenIxESF_NSA_11use_defaultESK_EENS0_5tupleIJNSA_16discard_iteratorISK_EESO_EEENSM_IJSG_SG_EEES6_PlJS6_EEE10hipError_tPvRmT3_T4_T5_T6_T7_T9_mT8_P12ihipStream_tbDpT10_ENKUlT_T0_E_clISt17integral_constantIbLb1EES1B_EEDaS16_S17_EUlS16_E_NS1_11comp_targetILNS1_3genE2ELNS1_11target_archE906ELNS1_3gpuE6ELNS1_3repE0EEENS1_30default_config_static_selectorELNS0_4arch9wavefront6targetE1EEEvT1_
	.p2align	8
	.type	_ZN7rocprim17ROCPRIM_400000_NS6detail17trampoline_kernelINS0_14default_configENS1_25partition_config_selectorILNS1_17partition_subalgoE1ExNS0_10empty_typeEbEEZZNS1_14partition_implILS5_1ELb0ES3_jN6thrust23THRUST_200600_302600_NS6detail15normal_iteratorINSA_10device_ptrIxEEEEPS6_NSA_18transform_iteratorI7is_evenIxESF_NSA_11use_defaultESK_EENS0_5tupleIJNSA_16discard_iteratorISK_EESO_EEENSM_IJSG_SG_EEES6_PlJS6_EEE10hipError_tPvRmT3_T4_T5_T6_T7_T9_mT8_P12ihipStream_tbDpT10_ENKUlT_T0_E_clISt17integral_constantIbLb1EES1B_EEDaS16_S17_EUlS16_E_NS1_11comp_targetILNS1_3genE2ELNS1_11target_archE906ELNS1_3gpuE6ELNS1_3repE0EEENS1_30default_config_static_selectorELNS0_4arch9wavefront6targetE1EEEvT1_,@function
_ZN7rocprim17ROCPRIM_400000_NS6detail17trampoline_kernelINS0_14default_configENS1_25partition_config_selectorILNS1_17partition_subalgoE1ExNS0_10empty_typeEbEEZZNS1_14partition_implILS5_1ELb0ES3_jN6thrust23THRUST_200600_302600_NS6detail15normal_iteratorINSA_10device_ptrIxEEEEPS6_NSA_18transform_iteratorI7is_evenIxESF_NSA_11use_defaultESK_EENS0_5tupleIJNSA_16discard_iteratorISK_EESO_EEENSM_IJSG_SG_EEES6_PlJS6_EEE10hipError_tPvRmT3_T4_T5_T6_T7_T9_mT8_P12ihipStream_tbDpT10_ENKUlT_T0_E_clISt17integral_constantIbLb1EES1B_EEDaS16_S17_EUlS16_E_NS1_11comp_targetILNS1_3genE2ELNS1_11target_archE906ELNS1_3gpuE6ELNS1_3repE0EEENS1_30default_config_static_selectorELNS0_4arch9wavefront6targetE1EEEvT1_: ; @_ZN7rocprim17ROCPRIM_400000_NS6detail17trampoline_kernelINS0_14default_configENS1_25partition_config_selectorILNS1_17partition_subalgoE1ExNS0_10empty_typeEbEEZZNS1_14partition_implILS5_1ELb0ES3_jN6thrust23THRUST_200600_302600_NS6detail15normal_iteratorINSA_10device_ptrIxEEEEPS6_NSA_18transform_iteratorI7is_evenIxESF_NSA_11use_defaultESK_EENS0_5tupleIJNSA_16discard_iteratorISK_EESO_EEENSM_IJSG_SG_EEES6_PlJS6_EEE10hipError_tPvRmT3_T4_T5_T6_T7_T9_mT8_P12ihipStream_tbDpT10_ENKUlT_T0_E_clISt17integral_constantIbLb1EES1B_EEDaS16_S17_EUlS16_E_NS1_11comp_targetILNS1_3genE2ELNS1_11target_archE906ELNS1_3gpuE6ELNS1_3repE0EEENS1_30default_config_static_selectorELNS0_4arch9wavefront6targetE1EEEvT1_
; %bb.0:
	.section	.rodata,"a",@progbits
	.p2align	6, 0x0
	.amdhsa_kernel _ZN7rocprim17ROCPRIM_400000_NS6detail17trampoline_kernelINS0_14default_configENS1_25partition_config_selectorILNS1_17partition_subalgoE1ExNS0_10empty_typeEbEEZZNS1_14partition_implILS5_1ELb0ES3_jN6thrust23THRUST_200600_302600_NS6detail15normal_iteratorINSA_10device_ptrIxEEEEPS6_NSA_18transform_iteratorI7is_evenIxESF_NSA_11use_defaultESK_EENS0_5tupleIJNSA_16discard_iteratorISK_EESO_EEENSM_IJSG_SG_EEES6_PlJS6_EEE10hipError_tPvRmT3_T4_T5_T6_T7_T9_mT8_P12ihipStream_tbDpT10_ENKUlT_T0_E_clISt17integral_constantIbLb1EES1B_EEDaS16_S17_EUlS16_E_NS1_11comp_targetILNS1_3genE2ELNS1_11target_archE906ELNS1_3gpuE6ELNS1_3repE0EEENS1_30default_config_static_selectorELNS0_4arch9wavefront6targetE1EEEvT1_
		.amdhsa_group_segment_fixed_size 0
		.amdhsa_private_segment_fixed_size 0
		.amdhsa_kernarg_size 160
		.amdhsa_user_sgpr_count 6
		.amdhsa_user_sgpr_private_segment_buffer 1
		.amdhsa_user_sgpr_dispatch_ptr 0
		.amdhsa_user_sgpr_queue_ptr 0
		.amdhsa_user_sgpr_kernarg_segment_ptr 1
		.amdhsa_user_sgpr_dispatch_id 0
		.amdhsa_user_sgpr_flat_scratch_init 0
		.amdhsa_user_sgpr_kernarg_preload_length 0
		.amdhsa_user_sgpr_kernarg_preload_offset 0
		.amdhsa_user_sgpr_private_segment_size 0
		.amdhsa_uses_dynamic_stack 0
		.amdhsa_system_sgpr_private_segment_wavefront_offset 0
		.amdhsa_system_sgpr_workgroup_id_x 1
		.amdhsa_system_sgpr_workgroup_id_y 0
		.amdhsa_system_sgpr_workgroup_id_z 0
		.amdhsa_system_sgpr_workgroup_info 0
		.amdhsa_system_vgpr_workitem_id 0
		.amdhsa_next_free_vgpr 1
		.amdhsa_next_free_sgpr 0
		.amdhsa_accum_offset 4
		.amdhsa_reserve_vcc 0
		.amdhsa_reserve_flat_scratch 0
		.amdhsa_float_round_mode_32 0
		.amdhsa_float_round_mode_16_64 0
		.amdhsa_float_denorm_mode_32 3
		.amdhsa_float_denorm_mode_16_64 3
		.amdhsa_dx10_clamp 1
		.amdhsa_ieee_mode 1
		.amdhsa_fp16_overflow 0
		.amdhsa_tg_split 0
		.amdhsa_exception_fp_ieee_invalid_op 0
		.amdhsa_exception_fp_denorm_src 0
		.amdhsa_exception_fp_ieee_div_zero 0
		.amdhsa_exception_fp_ieee_overflow 0
		.amdhsa_exception_fp_ieee_underflow 0
		.amdhsa_exception_fp_ieee_inexact 0
		.amdhsa_exception_int_div_zero 0
	.end_amdhsa_kernel
	.section	.text._ZN7rocprim17ROCPRIM_400000_NS6detail17trampoline_kernelINS0_14default_configENS1_25partition_config_selectorILNS1_17partition_subalgoE1ExNS0_10empty_typeEbEEZZNS1_14partition_implILS5_1ELb0ES3_jN6thrust23THRUST_200600_302600_NS6detail15normal_iteratorINSA_10device_ptrIxEEEEPS6_NSA_18transform_iteratorI7is_evenIxESF_NSA_11use_defaultESK_EENS0_5tupleIJNSA_16discard_iteratorISK_EESO_EEENSM_IJSG_SG_EEES6_PlJS6_EEE10hipError_tPvRmT3_T4_T5_T6_T7_T9_mT8_P12ihipStream_tbDpT10_ENKUlT_T0_E_clISt17integral_constantIbLb1EES1B_EEDaS16_S17_EUlS16_E_NS1_11comp_targetILNS1_3genE2ELNS1_11target_archE906ELNS1_3gpuE6ELNS1_3repE0EEENS1_30default_config_static_selectorELNS0_4arch9wavefront6targetE1EEEvT1_,"axG",@progbits,_ZN7rocprim17ROCPRIM_400000_NS6detail17trampoline_kernelINS0_14default_configENS1_25partition_config_selectorILNS1_17partition_subalgoE1ExNS0_10empty_typeEbEEZZNS1_14partition_implILS5_1ELb0ES3_jN6thrust23THRUST_200600_302600_NS6detail15normal_iteratorINSA_10device_ptrIxEEEEPS6_NSA_18transform_iteratorI7is_evenIxESF_NSA_11use_defaultESK_EENS0_5tupleIJNSA_16discard_iteratorISK_EESO_EEENSM_IJSG_SG_EEES6_PlJS6_EEE10hipError_tPvRmT3_T4_T5_T6_T7_T9_mT8_P12ihipStream_tbDpT10_ENKUlT_T0_E_clISt17integral_constantIbLb1EES1B_EEDaS16_S17_EUlS16_E_NS1_11comp_targetILNS1_3genE2ELNS1_11target_archE906ELNS1_3gpuE6ELNS1_3repE0EEENS1_30default_config_static_selectorELNS0_4arch9wavefront6targetE1EEEvT1_,comdat
.Lfunc_end3175:
	.size	_ZN7rocprim17ROCPRIM_400000_NS6detail17trampoline_kernelINS0_14default_configENS1_25partition_config_selectorILNS1_17partition_subalgoE1ExNS0_10empty_typeEbEEZZNS1_14partition_implILS5_1ELb0ES3_jN6thrust23THRUST_200600_302600_NS6detail15normal_iteratorINSA_10device_ptrIxEEEEPS6_NSA_18transform_iteratorI7is_evenIxESF_NSA_11use_defaultESK_EENS0_5tupleIJNSA_16discard_iteratorISK_EESO_EEENSM_IJSG_SG_EEES6_PlJS6_EEE10hipError_tPvRmT3_T4_T5_T6_T7_T9_mT8_P12ihipStream_tbDpT10_ENKUlT_T0_E_clISt17integral_constantIbLb1EES1B_EEDaS16_S17_EUlS16_E_NS1_11comp_targetILNS1_3genE2ELNS1_11target_archE906ELNS1_3gpuE6ELNS1_3repE0EEENS1_30default_config_static_selectorELNS0_4arch9wavefront6targetE1EEEvT1_, .Lfunc_end3175-_ZN7rocprim17ROCPRIM_400000_NS6detail17trampoline_kernelINS0_14default_configENS1_25partition_config_selectorILNS1_17partition_subalgoE1ExNS0_10empty_typeEbEEZZNS1_14partition_implILS5_1ELb0ES3_jN6thrust23THRUST_200600_302600_NS6detail15normal_iteratorINSA_10device_ptrIxEEEEPS6_NSA_18transform_iteratorI7is_evenIxESF_NSA_11use_defaultESK_EENS0_5tupleIJNSA_16discard_iteratorISK_EESO_EEENSM_IJSG_SG_EEES6_PlJS6_EEE10hipError_tPvRmT3_T4_T5_T6_T7_T9_mT8_P12ihipStream_tbDpT10_ENKUlT_T0_E_clISt17integral_constantIbLb1EES1B_EEDaS16_S17_EUlS16_E_NS1_11comp_targetILNS1_3genE2ELNS1_11target_archE906ELNS1_3gpuE6ELNS1_3repE0EEENS1_30default_config_static_selectorELNS0_4arch9wavefront6targetE1EEEvT1_
                                        ; -- End function
	.section	.AMDGPU.csdata,"",@progbits
; Kernel info:
; codeLenInByte = 0
; NumSgprs: 4
; NumVgprs: 0
; NumAgprs: 0
; TotalNumVgprs: 0
; ScratchSize: 0
; MemoryBound: 0
; FloatMode: 240
; IeeeMode: 1
; LDSByteSize: 0 bytes/workgroup (compile time only)
; SGPRBlocks: 0
; VGPRBlocks: 0
; NumSGPRsForWavesPerEU: 4
; NumVGPRsForWavesPerEU: 1
; AccumOffset: 4
; Occupancy: 8
; WaveLimiterHint : 0
; COMPUTE_PGM_RSRC2:SCRATCH_EN: 0
; COMPUTE_PGM_RSRC2:USER_SGPR: 6
; COMPUTE_PGM_RSRC2:TRAP_HANDLER: 0
; COMPUTE_PGM_RSRC2:TGID_X_EN: 1
; COMPUTE_PGM_RSRC2:TGID_Y_EN: 0
; COMPUTE_PGM_RSRC2:TGID_Z_EN: 0
; COMPUTE_PGM_RSRC2:TIDIG_COMP_CNT: 0
; COMPUTE_PGM_RSRC3_GFX90A:ACCUM_OFFSET: 0
; COMPUTE_PGM_RSRC3_GFX90A:TG_SPLIT: 0
	.section	.text._ZN7rocprim17ROCPRIM_400000_NS6detail17trampoline_kernelINS0_14default_configENS1_25partition_config_selectorILNS1_17partition_subalgoE1ExNS0_10empty_typeEbEEZZNS1_14partition_implILS5_1ELb0ES3_jN6thrust23THRUST_200600_302600_NS6detail15normal_iteratorINSA_10device_ptrIxEEEEPS6_NSA_18transform_iteratorI7is_evenIxESF_NSA_11use_defaultESK_EENS0_5tupleIJNSA_16discard_iteratorISK_EESO_EEENSM_IJSG_SG_EEES6_PlJS6_EEE10hipError_tPvRmT3_T4_T5_T6_T7_T9_mT8_P12ihipStream_tbDpT10_ENKUlT_T0_E_clISt17integral_constantIbLb1EES1B_EEDaS16_S17_EUlS16_E_NS1_11comp_targetILNS1_3genE10ELNS1_11target_archE1200ELNS1_3gpuE4ELNS1_3repE0EEENS1_30default_config_static_selectorELNS0_4arch9wavefront6targetE1EEEvT1_,"axG",@progbits,_ZN7rocprim17ROCPRIM_400000_NS6detail17trampoline_kernelINS0_14default_configENS1_25partition_config_selectorILNS1_17partition_subalgoE1ExNS0_10empty_typeEbEEZZNS1_14partition_implILS5_1ELb0ES3_jN6thrust23THRUST_200600_302600_NS6detail15normal_iteratorINSA_10device_ptrIxEEEEPS6_NSA_18transform_iteratorI7is_evenIxESF_NSA_11use_defaultESK_EENS0_5tupleIJNSA_16discard_iteratorISK_EESO_EEENSM_IJSG_SG_EEES6_PlJS6_EEE10hipError_tPvRmT3_T4_T5_T6_T7_T9_mT8_P12ihipStream_tbDpT10_ENKUlT_T0_E_clISt17integral_constantIbLb1EES1B_EEDaS16_S17_EUlS16_E_NS1_11comp_targetILNS1_3genE10ELNS1_11target_archE1200ELNS1_3gpuE4ELNS1_3repE0EEENS1_30default_config_static_selectorELNS0_4arch9wavefront6targetE1EEEvT1_,comdat
	.protected	_ZN7rocprim17ROCPRIM_400000_NS6detail17trampoline_kernelINS0_14default_configENS1_25partition_config_selectorILNS1_17partition_subalgoE1ExNS0_10empty_typeEbEEZZNS1_14partition_implILS5_1ELb0ES3_jN6thrust23THRUST_200600_302600_NS6detail15normal_iteratorINSA_10device_ptrIxEEEEPS6_NSA_18transform_iteratorI7is_evenIxESF_NSA_11use_defaultESK_EENS0_5tupleIJNSA_16discard_iteratorISK_EESO_EEENSM_IJSG_SG_EEES6_PlJS6_EEE10hipError_tPvRmT3_T4_T5_T6_T7_T9_mT8_P12ihipStream_tbDpT10_ENKUlT_T0_E_clISt17integral_constantIbLb1EES1B_EEDaS16_S17_EUlS16_E_NS1_11comp_targetILNS1_3genE10ELNS1_11target_archE1200ELNS1_3gpuE4ELNS1_3repE0EEENS1_30default_config_static_selectorELNS0_4arch9wavefront6targetE1EEEvT1_ ; -- Begin function _ZN7rocprim17ROCPRIM_400000_NS6detail17trampoline_kernelINS0_14default_configENS1_25partition_config_selectorILNS1_17partition_subalgoE1ExNS0_10empty_typeEbEEZZNS1_14partition_implILS5_1ELb0ES3_jN6thrust23THRUST_200600_302600_NS6detail15normal_iteratorINSA_10device_ptrIxEEEEPS6_NSA_18transform_iteratorI7is_evenIxESF_NSA_11use_defaultESK_EENS0_5tupleIJNSA_16discard_iteratorISK_EESO_EEENSM_IJSG_SG_EEES6_PlJS6_EEE10hipError_tPvRmT3_T4_T5_T6_T7_T9_mT8_P12ihipStream_tbDpT10_ENKUlT_T0_E_clISt17integral_constantIbLb1EES1B_EEDaS16_S17_EUlS16_E_NS1_11comp_targetILNS1_3genE10ELNS1_11target_archE1200ELNS1_3gpuE4ELNS1_3repE0EEENS1_30default_config_static_selectorELNS0_4arch9wavefront6targetE1EEEvT1_
	.globl	_ZN7rocprim17ROCPRIM_400000_NS6detail17trampoline_kernelINS0_14default_configENS1_25partition_config_selectorILNS1_17partition_subalgoE1ExNS0_10empty_typeEbEEZZNS1_14partition_implILS5_1ELb0ES3_jN6thrust23THRUST_200600_302600_NS6detail15normal_iteratorINSA_10device_ptrIxEEEEPS6_NSA_18transform_iteratorI7is_evenIxESF_NSA_11use_defaultESK_EENS0_5tupleIJNSA_16discard_iteratorISK_EESO_EEENSM_IJSG_SG_EEES6_PlJS6_EEE10hipError_tPvRmT3_T4_T5_T6_T7_T9_mT8_P12ihipStream_tbDpT10_ENKUlT_T0_E_clISt17integral_constantIbLb1EES1B_EEDaS16_S17_EUlS16_E_NS1_11comp_targetILNS1_3genE10ELNS1_11target_archE1200ELNS1_3gpuE4ELNS1_3repE0EEENS1_30default_config_static_selectorELNS0_4arch9wavefront6targetE1EEEvT1_
	.p2align	8
	.type	_ZN7rocprim17ROCPRIM_400000_NS6detail17trampoline_kernelINS0_14default_configENS1_25partition_config_selectorILNS1_17partition_subalgoE1ExNS0_10empty_typeEbEEZZNS1_14partition_implILS5_1ELb0ES3_jN6thrust23THRUST_200600_302600_NS6detail15normal_iteratorINSA_10device_ptrIxEEEEPS6_NSA_18transform_iteratorI7is_evenIxESF_NSA_11use_defaultESK_EENS0_5tupleIJNSA_16discard_iteratorISK_EESO_EEENSM_IJSG_SG_EEES6_PlJS6_EEE10hipError_tPvRmT3_T4_T5_T6_T7_T9_mT8_P12ihipStream_tbDpT10_ENKUlT_T0_E_clISt17integral_constantIbLb1EES1B_EEDaS16_S17_EUlS16_E_NS1_11comp_targetILNS1_3genE10ELNS1_11target_archE1200ELNS1_3gpuE4ELNS1_3repE0EEENS1_30default_config_static_selectorELNS0_4arch9wavefront6targetE1EEEvT1_,@function
_ZN7rocprim17ROCPRIM_400000_NS6detail17trampoline_kernelINS0_14default_configENS1_25partition_config_selectorILNS1_17partition_subalgoE1ExNS0_10empty_typeEbEEZZNS1_14partition_implILS5_1ELb0ES3_jN6thrust23THRUST_200600_302600_NS6detail15normal_iteratorINSA_10device_ptrIxEEEEPS6_NSA_18transform_iteratorI7is_evenIxESF_NSA_11use_defaultESK_EENS0_5tupleIJNSA_16discard_iteratorISK_EESO_EEENSM_IJSG_SG_EEES6_PlJS6_EEE10hipError_tPvRmT3_T4_T5_T6_T7_T9_mT8_P12ihipStream_tbDpT10_ENKUlT_T0_E_clISt17integral_constantIbLb1EES1B_EEDaS16_S17_EUlS16_E_NS1_11comp_targetILNS1_3genE10ELNS1_11target_archE1200ELNS1_3gpuE4ELNS1_3repE0EEENS1_30default_config_static_selectorELNS0_4arch9wavefront6targetE1EEEvT1_: ; @_ZN7rocprim17ROCPRIM_400000_NS6detail17trampoline_kernelINS0_14default_configENS1_25partition_config_selectorILNS1_17partition_subalgoE1ExNS0_10empty_typeEbEEZZNS1_14partition_implILS5_1ELb0ES3_jN6thrust23THRUST_200600_302600_NS6detail15normal_iteratorINSA_10device_ptrIxEEEEPS6_NSA_18transform_iteratorI7is_evenIxESF_NSA_11use_defaultESK_EENS0_5tupleIJNSA_16discard_iteratorISK_EESO_EEENSM_IJSG_SG_EEES6_PlJS6_EEE10hipError_tPvRmT3_T4_T5_T6_T7_T9_mT8_P12ihipStream_tbDpT10_ENKUlT_T0_E_clISt17integral_constantIbLb1EES1B_EEDaS16_S17_EUlS16_E_NS1_11comp_targetILNS1_3genE10ELNS1_11target_archE1200ELNS1_3gpuE4ELNS1_3repE0EEENS1_30default_config_static_selectorELNS0_4arch9wavefront6targetE1EEEvT1_
; %bb.0:
	.section	.rodata,"a",@progbits
	.p2align	6, 0x0
	.amdhsa_kernel _ZN7rocprim17ROCPRIM_400000_NS6detail17trampoline_kernelINS0_14default_configENS1_25partition_config_selectorILNS1_17partition_subalgoE1ExNS0_10empty_typeEbEEZZNS1_14partition_implILS5_1ELb0ES3_jN6thrust23THRUST_200600_302600_NS6detail15normal_iteratorINSA_10device_ptrIxEEEEPS6_NSA_18transform_iteratorI7is_evenIxESF_NSA_11use_defaultESK_EENS0_5tupleIJNSA_16discard_iteratorISK_EESO_EEENSM_IJSG_SG_EEES6_PlJS6_EEE10hipError_tPvRmT3_T4_T5_T6_T7_T9_mT8_P12ihipStream_tbDpT10_ENKUlT_T0_E_clISt17integral_constantIbLb1EES1B_EEDaS16_S17_EUlS16_E_NS1_11comp_targetILNS1_3genE10ELNS1_11target_archE1200ELNS1_3gpuE4ELNS1_3repE0EEENS1_30default_config_static_selectorELNS0_4arch9wavefront6targetE1EEEvT1_
		.amdhsa_group_segment_fixed_size 0
		.amdhsa_private_segment_fixed_size 0
		.amdhsa_kernarg_size 160
		.amdhsa_user_sgpr_count 6
		.amdhsa_user_sgpr_private_segment_buffer 1
		.amdhsa_user_sgpr_dispatch_ptr 0
		.amdhsa_user_sgpr_queue_ptr 0
		.amdhsa_user_sgpr_kernarg_segment_ptr 1
		.amdhsa_user_sgpr_dispatch_id 0
		.amdhsa_user_sgpr_flat_scratch_init 0
		.amdhsa_user_sgpr_kernarg_preload_length 0
		.amdhsa_user_sgpr_kernarg_preload_offset 0
		.amdhsa_user_sgpr_private_segment_size 0
		.amdhsa_uses_dynamic_stack 0
		.amdhsa_system_sgpr_private_segment_wavefront_offset 0
		.amdhsa_system_sgpr_workgroup_id_x 1
		.amdhsa_system_sgpr_workgroup_id_y 0
		.amdhsa_system_sgpr_workgroup_id_z 0
		.amdhsa_system_sgpr_workgroup_info 0
		.amdhsa_system_vgpr_workitem_id 0
		.amdhsa_next_free_vgpr 1
		.amdhsa_next_free_sgpr 0
		.amdhsa_accum_offset 4
		.amdhsa_reserve_vcc 0
		.amdhsa_reserve_flat_scratch 0
		.amdhsa_float_round_mode_32 0
		.amdhsa_float_round_mode_16_64 0
		.amdhsa_float_denorm_mode_32 3
		.amdhsa_float_denorm_mode_16_64 3
		.amdhsa_dx10_clamp 1
		.amdhsa_ieee_mode 1
		.amdhsa_fp16_overflow 0
		.amdhsa_tg_split 0
		.amdhsa_exception_fp_ieee_invalid_op 0
		.amdhsa_exception_fp_denorm_src 0
		.amdhsa_exception_fp_ieee_div_zero 0
		.amdhsa_exception_fp_ieee_overflow 0
		.amdhsa_exception_fp_ieee_underflow 0
		.amdhsa_exception_fp_ieee_inexact 0
		.amdhsa_exception_int_div_zero 0
	.end_amdhsa_kernel
	.section	.text._ZN7rocprim17ROCPRIM_400000_NS6detail17trampoline_kernelINS0_14default_configENS1_25partition_config_selectorILNS1_17partition_subalgoE1ExNS0_10empty_typeEbEEZZNS1_14partition_implILS5_1ELb0ES3_jN6thrust23THRUST_200600_302600_NS6detail15normal_iteratorINSA_10device_ptrIxEEEEPS6_NSA_18transform_iteratorI7is_evenIxESF_NSA_11use_defaultESK_EENS0_5tupleIJNSA_16discard_iteratorISK_EESO_EEENSM_IJSG_SG_EEES6_PlJS6_EEE10hipError_tPvRmT3_T4_T5_T6_T7_T9_mT8_P12ihipStream_tbDpT10_ENKUlT_T0_E_clISt17integral_constantIbLb1EES1B_EEDaS16_S17_EUlS16_E_NS1_11comp_targetILNS1_3genE10ELNS1_11target_archE1200ELNS1_3gpuE4ELNS1_3repE0EEENS1_30default_config_static_selectorELNS0_4arch9wavefront6targetE1EEEvT1_,"axG",@progbits,_ZN7rocprim17ROCPRIM_400000_NS6detail17trampoline_kernelINS0_14default_configENS1_25partition_config_selectorILNS1_17partition_subalgoE1ExNS0_10empty_typeEbEEZZNS1_14partition_implILS5_1ELb0ES3_jN6thrust23THRUST_200600_302600_NS6detail15normal_iteratorINSA_10device_ptrIxEEEEPS6_NSA_18transform_iteratorI7is_evenIxESF_NSA_11use_defaultESK_EENS0_5tupleIJNSA_16discard_iteratorISK_EESO_EEENSM_IJSG_SG_EEES6_PlJS6_EEE10hipError_tPvRmT3_T4_T5_T6_T7_T9_mT8_P12ihipStream_tbDpT10_ENKUlT_T0_E_clISt17integral_constantIbLb1EES1B_EEDaS16_S17_EUlS16_E_NS1_11comp_targetILNS1_3genE10ELNS1_11target_archE1200ELNS1_3gpuE4ELNS1_3repE0EEENS1_30default_config_static_selectorELNS0_4arch9wavefront6targetE1EEEvT1_,comdat
.Lfunc_end3176:
	.size	_ZN7rocprim17ROCPRIM_400000_NS6detail17trampoline_kernelINS0_14default_configENS1_25partition_config_selectorILNS1_17partition_subalgoE1ExNS0_10empty_typeEbEEZZNS1_14partition_implILS5_1ELb0ES3_jN6thrust23THRUST_200600_302600_NS6detail15normal_iteratorINSA_10device_ptrIxEEEEPS6_NSA_18transform_iteratorI7is_evenIxESF_NSA_11use_defaultESK_EENS0_5tupleIJNSA_16discard_iteratorISK_EESO_EEENSM_IJSG_SG_EEES6_PlJS6_EEE10hipError_tPvRmT3_T4_T5_T6_T7_T9_mT8_P12ihipStream_tbDpT10_ENKUlT_T0_E_clISt17integral_constantIbLb1EES1B_EEDaS16_S17_EUlS16_E_NS1_11comp_targetILNS1_3genE10ELNS1_11target_archE1200ELNS1_3gpuE4ELNS1_3repE0EEENS1_30default_config_static_selectorELNS0_4arch9wavefront6targetE1EEEvT1_, .Lfunc_end3176-_ZN7rocprim17ROCPRIM_400000_NS6detail17trampoline_kernelINS0_14default_configENS1_25partition_config_selectorILNS1_17partition_subalgoE1ExNS0_10empty_typeEbEEZZNS1_14partition_implILS5_1ELb0ES3_jN6thrust23THRUST_200600_302600_NS6detail15normal_iteratorINSA_10device_ptrIxEEEEPS6_NSA_18transform_iteratorI7is_evenIxESF_NSA_11use_defaultESK_EENS0_5tupleIJNSA_16discard_iteratorISK_EESO_EEENSM_IJSG_SG_EEES6_PlJS6_EEE10hipError_tPvRmT3_T4_T5_T6_T7_T9_mT8_P12ihipStream_tbDpT10_ENKUlT_T0_E_clISt17integral_constantIbLb1EES1B_EEDaS16_S17_EUlS16_E_NS1_11comp_targetILNS1_3genE10ELNS1_11target_archE1200ELNS1_3gpuE4ELNS1_3repE0EEENS1_30default_config_static_selectorELNS0_4arch9wavefront6targetE1EEEvT1_
                                        ; -- End function
	.section	.AMDGPU.csdata,"",@progbits
; Kernel info:
; codeLenInByte = 0
; NumSgprs: 4
; NumVgprs: 0
; NumAgprs: 0
; TotalNumVgprs: 0
; ScratchSize: 0
; MemoryBound: 0
; FloatMode: 240
; IeeeMode: 1
; LDSByteSize: 0 bytes/workgroup (compile time only)
; SGPRBlocks: 0
; VGPRBlocks: 0
; NumSGPRsForWavesPerEU: 4
; NumVGPRsForWavesPerEU: 1
; AccumOffset: 4
; Occupancy: 8
; WaveLimiterHint : 0
; COMPUTE_PGM_RSRC2:SCRATCH_EN: 0
; COMPUTE_PGM_RSRC2:USER_SGPR: 6
; COMPUTE_PGM_RSRC2:TRAP_HANDLER: 0
; COMPUTE_PGM_RSRC2:TGID_X_EN: 1
; COMPUTE_PGM_RSRC2:TGID_Y_EN: 0
; COMPUTE_PGM_RSRC2:TGID_Z_EN: 0
; COMPUTE_PGM_RSRC2:TIDIG_COMP_CNT: 0
; COMPUTE_PGM_RSRC3_GFX90A:ACCUM_OFFSET: 0
; COMPUTE_PGM_RSRC3_GFX90A:TG_SPLIT: 0
	.section	.text._ZN7rocprim17ROCPRIM_400000_NS6detail17trampoline_kernelINS0_14default_configENS1_25partition_config_selectorILNS1_17partition_subalgoE1ExNS0_10empty_typeEbEEZZNS1_14partition_implILS5_1ELb0ES3_jN6thrust23THRUST_200600_302600_NS6detail15normal_iteratorINSA_10device_ptrIxEEEEPS6_NSA_18transform_iteratorI7is_evenIxESF_NSA_11use_defaultESK_EENS0_5tupleIJNSA_16discard_iteratorISK_EESO_EEENSM_IJSG_SG_EEES6_PlJS6_EEE10hipError_tPvRmT3_T4_T5_T6_T7_T9_mT8_P12ihipStream_tbDpT10_ENKUlT_T0_E_clISt17integral_constantIbLb1EES1B_EEDaS16_S17_EUlS16_E_NS1_11comp_targetILNS1_3genE9ELNS1_11target_archE1100ELNS1_3gpuE3ELNS1_3repE0EEENS1_30default_config_static_selectorELNS0_4arch9wavefront6targetE1EEEvT1_,"axG",@progbits,_ZN7rocprim17ROCPRIM_400000_NS6detail17trampoline_kernelINS0_14default_configENS1_25partition_config_selectorILNS1_17partition_subalgoE1ExNS0_10empty_typeEbEEZZNS1_14partition_implILS5_1ELb0ES3_jN6thrust23THRUST_200600_302600_NS6detail15normal_iteratorINSA_10device_ptrIxEEEEPS6_NSA_18transform_iteratorI7is_evenIxESF_NSA_11use_defaultESK_EENS0_5tupleIJNSA_16discard_iteratorISK_EESO_EEENSM_IJSG_SG_EEES6_PlJS6_EEE10hipError_tPvRmT3_T4_T5_T6_T7_T9_mT8_P12ihipStream_tbDpT10_ENKUlT_T0_E_clISt17integral_constantIbLb1EES1B_EEDaS16_S17_EUlS16_E_NS1_11comp_targetILNS1_3genE9ELNS1_11target_archE1100ELNS1_3gpuE3ELNS1_3repE0EEENS1_30default_config_static_selectorELNS0_4arch9wavefront6targetE1EEEvT1_,comdat
	.protected	_ZN7rocprim17ROCPRIM_400000_NS6detail17trampoline_kernelINS0_14default_configENS1_25partition_config_selectorILNS1_17partition_subalgoE1ExNS0_10empty_typeEbEEZZNS1_14partition_implILS5_1ELb0ES3_jN6thrust23THRUST_200600_302600_NS6detail15normal_iteratorINSA_10device_ptrIxEEEEPS6_NSA_18transform_iteratorI7is_evenIxESF_NSA_11use_defaultESK_EENS0_5tupleIJNSA_16discard_iteratorISK_EESO_EEENSM_IJSG_SG_EEES6_PlJS6_EEE10hipError_tPvRmT3_T4_T5_T6_T7_T9_mT8_P12ihipStream_tbDpT10_ENKUlT_T0_E_clISt17integral_constantIbLb1EES1B_EEDaS16_S17_EUlS16_E_NS1_11comp_targetILNS1_3genE9ELNS1_11target_archE1100ELNS1_3gpuE3ELNS1_3repE0EEENS1_30default_config_static_selectorELNS0_4arch9wavefront6targetE1EEEvT1_ ; -- Begin function _ZN7rocprim17ROCPRIM_400000_NS6detail17trampoline_kernelINS0_14default_configENS1_25partition_config_selectorILNS1_17partition_subalgoE1ExNS0_10empty_typeEbEEZZNS1_14partition_implILS5_1ELb0ES3_jN6thrust23THRUST_200600_302600_NS6detail15normal_iteratorINSA_10device_ptrIxEEEEPS6_NSA_18transform_iteratorI7is_evenIxESF_NSA_11use_defaultESK_EENS0_5tupleIJNSA_16discard_iteratorISK_EESO_EEENSM_IJSG_SG_EEES6_PlJS6_EEE10hipError_tPvRmT3_T4_T5_T6_T7_T9_mT8_P12ihipStream_tbDpT10_ENKUlT_T0_E_clISt17integral_constantIbLb1EES1B_EEDaS16_S17_EUlS16_E_NS1_11comp_targetILNS1_3genE9ELNS1_11target_archE1100ELNS1_3gpuE3ELNS1_3repE0EEENS1_30default_config_static_selectorELNS0_4arch9wavefront6targetE1EEEvT1_
	.globl	_ZN7rocprim17ROCPRIM_400000_NS6detail17trampoline_kernelINS0_14default_configENS1_25partition_config_selectorILNS1_17partition_subalgoE1ExNS0_10empty_typeEbEEZZNS1_14partition_implILS5_1ELb0ES3_jN6thrust23THRUST_200600_302600_NS6detail15normal_iteratorINSA_10device_ptrIxEEEEPS6_NSA_18transform_iteratorI7is_evenIxESF_NSA_11use_defaultESK_EENS0_5tupleIJNSA_16discard_iteratorISK_EESO_EEENSM_IJSG_SG_EEES6_PlJS6_EEE10hipError_tPvRmT3_T4_T5_T6_T7_T9_mT8_P12ihipStream_tbDpT10_ENKUlT_T0_E_clISt17integral_constantIbLb1EES1B_EEDaS16_S17_EUlS16_E_NS1_11comp_targetILNS1_3genE9ELNS1_11target_archE1100ELNS1_3gpuE3ELNS1_3repE0EEENS1_30default_config_static_selectorELNS0_4arch9wavefront6targetE1EEEvT1_
	.p2align	8
	.type	_ZN7rocprim17ROCPRIM_400000_NS6detail17trampoline_kernelINS0_14default_configENS1_25partition_config_selectorILNS1_17partition_subalgoE1ExNS0_10empty_typeEbEEZZNS1_14partition_implILS5_1ELb0ES3_jN6thrust23THRUST_200600_302600_NS6detail15normal_iteratorINSA_10device_ptrIxEEEEPS6_NSA_18transform_iteratorI7is_evenIxESF_NSA_11use_defaultESK_EENS0_5tupleIJNSA_16discard_iteratorISK_EESO_EEENSM_IJSG_SG_EEES6_PlJS6_EEE10hipError_tPvRmT3_T4_T5_T6_T7_T9_mT8_P12ihipStream_tbDpT10_ENKUlT_T0_E_clISt17integral_constantIbLb1EES1B_EEDaS16_S17_EUlS16_E_NS1_11comp_targetILNS1_3genE9ELNS1_11target_archE1100ELNS1_3gpuE3ELNS1_3repE0EEENS1_30default_config_static_selectorELNS0_4arch9wavefront6targetE1EEEvT1_,@function
_ZN7rocprim17ROCPRIM_400000_NS6detail17trampoline_kernelINS0_14default_configENS1_25partition_config_selectorILNS1_17partition_subalgoE1ExNS0_10empty_typeEbEEZZNS1_14partition_implILS5_1ELb0ES3_jN6thrust23THRUST_200600_302600_NS6detail15normal_iteratorINSA_10device_ptrIxEEEEPS6_NSA_18transform_iteratorI7is_evenIxESF_NSA_11use_defaultESK_EENS0_5tupleIJNSA_16discard_iteratorISK_EESO_EEENSM_IJSG_SG_EEES6_PlJS6_EEE10hipError_tPvRmT3_T4_T5_T6_T7_T9_mT8_P12ihipStream_tbDpT10_ENKUlT_T0_E_clISt17integral_constantIbLb1EES1B_EEDaS16_S17_EUlS16_E_NS1_11comp_targetILNS1_3genE9ELNS1_11target_archE1100ELNS1_3gpuE3ELNS1_3repE0EEENS1_30default_config_static_selectorELNS0_4arch9wavefront6targetE1EEEvT1_: ; @_ZN7rocprim17ROCPRIM_400000_NS6detail17trampoline_kernelINS0_14default_configENS1_25partition_config_selectorILNS1_17partition_subalgoE1ExNS0_10empty_typeEbEEZZNS1_14partition_implILS5_1ELb0ES3_jN6thrust23THRUST_200600_302600_NS6detail15normal_iteratorINSA_10device_ptrIxEEEEPS6_NSA_18transform_iteratorI7is_evenIxESF_NSA_11use_defaultESK_EENS0_5tupleIJNSA_16discard_iteratorISK_EESO_EEENSM_IJSG_SG_EEES6_PlJS6_EEE10hipError_tPvRmT3_T4_T5_T6_T7_T9_mT8_P12ihipStream_tbDpT10_ENKUlT_T0_E_clISt17integral_constantIbLb1EES1B_EEDaS16_S17_EUlS16_E_NS1_11comp_targetILNS1_3genE9ELNS1_11target_archE1100ELNS1_3gpuE3ELNS1_3repE0EEENS1_30default_config_static_selectorELNS0_4arch9wavefront6targetE1EEEvT1_
; %bb.0:
	.section	.rodata,"a",@progbits
	.p2align	6, 0x0
	.amdhsa_kernel _ZN7rocprim17ROCPRIM_400000_NS6detail17trampoline_kernelINS0_14default_configENS1_25partition_config_selectorILNS1_17partition_subalgoE1ExNS0_10empty_typeEbEEZZNS1_14partition_implILS5_1ELb0ES3_jN6thrust23THRUST_200600_302600_NS6detail15normal_iteratorINSA_10device_ptrIxEEEEPS6_NSA_18transform_iteratorI7is_evenIxESF_NSA_11use_defaultESK_EENS0_5tupleIJNSA_16discard_iteratorISK_EESO_EEENSM_IJSG_SG_EEES6_PlJS6_EEE10hipError_tPvRmT3_T4_T5_T6_T7_T9_mT8_P12ihipStream_tbDpT10_ENKUlT_T0_E_clISt17integral_constantIbLb1EES1B_EEDaS16_S17_EUlS16_E_NS1_11comp_targetILNS1_3genE9ELNS1_11target_archE1100ELNS1_3gpuE3ELNS1_3repE0EEENS1_30default_config_static_selectorELNS0_4arch9wavefront6targetE1EEEvT1_
		.amdhsa_group_segment_fixed_size 0
		.amdhsa_private_segment_fixed_size 0
		.amdhsa_kernarg_size 160
		.amdhsa_user_sgpr_count 6
		.amdhsa_user_sgpr_private_segment_buffer 1
		.amdhsa_user_sgpr_dispatch_ptr 0
		.amdhsa_user_sgpr_queue_ptr 0
		.amdhsa_user_sgpr_kernarg_segment_ptr 1
		.amdhsa_user_sgpr_dispatch_id 0
		.amdhsa_user_sgpr_flat_scratch_init 0
		.amdhsa_user_sgpr_kernarg_preload_length 0
		.amdhsa_user_sgpr_kernarg_preload_offset 0
		.amdhsa_user_sgpr_private_segment_size 0
		.amdhsa_uses_dynamic_stack 0
		.amdhsa_system_sgpr_private_segment_wavefront_offset 0
		.amdhsa_system_sgpr_workgroup_id_x 1
		.amdhsa_system_sgpr_workgroup_id_y 0
		.amdhsa_system_sgpr_workgroup_id_z 0
		.amdhsa_system_sgpr_workgroup_info 0
		.amdhsa_system_vgpr_workitem_id 0
		.amdhsa_next_free_vgpr 1
		.amdhsa_next_free_sgpr 0
		.amdhsa_accum_offset 4
		.amdhsa_reserve_vcc 0
		.amdhsa_reserve_flat_scratch 0
		.amdhsa_float_round_mode_32 0
		.amdhsa_float_round_mode_16_64 0
		.amdhsa_float_denorm_mode_32 3
		.amdhsa_float_denorm_mode_16_64 3
		.amdhsa_dx10_clamp 1
		.amdhsa_ieee_mode 1
		.amdhsa_fp16_overflow 0
		.amdhsa_tg_split 0
		.amdhsa_exception_fp_ieee_invalid_op 0
		.amdhsa_exception_fp_denorm_src 0
		.amdhsa_exception_fp_ieee_div_zero 0
		.amdhsa_exception_fp_ieee_overflow 0
		.amdhsa_exception_fp_ieee_underflow 0
		.amdhsa_exception_fp_ieee_inexact 0
		.amdhsa_exception_int_div_zero 0
	.end_amdhsa_kernel
	.section	.text._ZN7rocprim17ROCPRIM_400000_NS6detail17trampoline_kernelINS0_14default_configENS1_25partition_config_selectorILNS1_17partition_subalgoE1ExNS0_10empty_typeEbEEZZNS1_14partition_implILS5_1ELb0ES3_jN6thrust23THRUST_200600_302600_NS6detail15normal_iteratorINSA_10device_ptrIxEEEEPS6_NSA_18transform_iteratorI7is_evenIxESF_NSA_11use_defaultESK_EENS0_5tupleIJNSA_16discard_iteratorISK_EESO_EEENSM_IJSG_SG_EEES6_PlJS6_EEE10hipError_tPvRmT3_T4_T5_T6_T7_T9_mT8_P12ihipStream_tbDpT10_ENKUlT_T0_E_clISt17integral_constantIbLb1EES1B_EEDaS16_S17_EUlS16_E_NS1_11comp_targetILNS1_3genE9ELNS1_11target_archE1100ELNS1_3gpuE3ELNS1_3repE0EEENS1_30default_config_static_selectorELNS0_4arch9wavefront6targetE1EEEvT1_,"axG",@progbits,_ZN7rocprim17ROCPRIM_400000_NS6detail17trampoline_kernelINS0_14default_configENS1_25partition_config_selectorILNS1_17partition_subalgoE1ExNS0_10empty_typeEbEEZZNS1_14partition_implILS5_1ELb0ES3_jN6thrust23THRUST_200600_302600_NS6detail15normal_iteratorINSA_10device_ptrIxEEEEPS6_NSA_18transform_iteratorI7is_evenIxESF_NSA_11use_defaultESK_EENS0_5tupleIJNSA_16discard_iteratorISK_EESO_EEENSM_IJSG_SG_EEES6_PlJS6_EEE10hipError_tPvRmT3_T4_T5_T6_T7_T9_mT8_P12ihipStream_tbDpT10_ENKUlT_T0_E_clISt17integral_constantIbLb1EES1B_EEDaS16_S17_EUlS16_E_NS1_11comp_targetILNS1_3genE9ELNS1_11target_archE1100ELNS1_3gpuE3ELNS1_3repE0EEENS1_30default_config_static_selectorELNS0_4arch9wavefront6targetE1EEEvT1_,comdat
.Lfunc_end3177:
	.size	_ZN7rocprim17ROCPRIM_400000_NS6detail17trampoline_kernelINS0_14default_configENS1_25partition_config_selectorILNS1_17partition_subalgoE1ExNS0_10empty_typeEbEEZZNS1_14partition_implILS5_1ELb0ES3_jN6thrust23THRUST_200600_302600_NS6detail15normal_iteratorINSA_10device_ptrIxEEEEPS6_NSA_18transform_iteratorI7is_evenIxESF_NSA_11use_defaultESK_EENS0_5tupleIJNSA_16discard_iteratorISK_EESO_EEENSM_IJSG_SG_EEES6_PlJS6_EEE10hipError_tPvRmT3_T4_T5_T6_T7_T9_mT8_P12ihipStream_tbDpT10_ENKUlT_T0_E_clISt17integral_constantIbLb1EES1B_EEDaS16_S17_EUlS16_E_NS1_11comp_targetILNS1_3genE9ELNS1_11target_archE1100ELNS1_3gpuE3ELNS1_3repE0EEENS1_30default_config_static_selectorELNS0_4arch9wavefront6targetE1EEEvT1_, .Lfunc_end3177-_ZN7rocprim17ROCPRIM_400000_NS6detail17trampoline_kernelINS0_14default_configENS1_25partition_config_selectorILNS1_17partition_subalgoE1ExNS0_10empty_typeEbEEZZNS1_14partition_implILS5_1ELb0ES3_jN6thrust23THRUST_200600_302600_NS6detail15normal_iteratorINSA_10device_ptrIxEEEEPS6_NSA_18transform_iteratorI7is_evenIxESF_NSA_11use_defaultESK_EENS0_5tupleIJNSA_16discard_iteratorISK_EESO_EEENSM_IJSG_SG_EEES6_PlJS6_EEE10hipError_tPvRmT3_T4_T5_T6_T7_T9_mT8_P12ihipStream_tbDpT10_ENKUlT_T0_E_clISt17integral_constantIbLb1EES1B_EEDaS16_S17_EUlS16_E_NS1_11comp_targetILNS1_3genE9ELNS1_11target_archE1100ELNS1_3gpuE3ELNS1_3repE0EEENS1_30default_config_static_selectorELNS0_4arch9wavefront6targetE1EEEvT1_
                                        ; -- End function
	.section	.AMDGPU.csdata,"",@progbits
; Kernel info:
; codeLenInByte = 0
; NumSgprs: 4
; NumVgprs: 0
; NumAgprs: 0
; TotalNumVgprs: 0
; ScratchSize: 0
; MemoryBound: 0
; FloatMode: 240
; IeeeMode: 1
; LDSByteSize: 0 bytes/workgroup (compile time only)
; SGPRBlocks: 0
; VGPRBlocks: 0
; NumSGPRsForWavesPerEU: 4
; NumVGPRsForWavesPerEU: 1
; AccumOffset: 4
; Occupancy: 8
; WaveLimiterHint : 0
; COMPUTE_PGM_RSRC2:SCRATCH_EN: 0
; COMPUTE_PGM_RSRC2:USER_SGPR: 6
; COMPUTE_PGM_RSRC2:TRAP_HANDLER: 0
; COMPUTE_PGM_RSRC2:TGID_X_EN: 1
; COMPUTE_PGM_RSRC2:TGID_Y_EN: 0
; COMPUTE_PGM_RSRC2:TGID_Z_EN: 0
; COMPUTE_PGM_RSRC2:TIDIG_COMP_CNT: 0
; COMPUTE_PGM_RSRC3_GFX90A:ACCUM_OFFSET: 0
; COMPUTE_PGM_RSRC3_GFX90A:TG_SPLIT: 0
	.section	.text._ZN7rocprim17ROCPRIM_400000_NS6detail17trampoline_kernelINS0_14default_configENS1_25partition_config_selectorILNS1_17partition_subalgoE1ExNS0_10empty_typeEbEEZZNS1_14partition_implILS5_1ELb0ES3_jN6thrust23THRUST_200600_302600_NS6detail15normal_iteratorINSA_10device_ptrIxEEEEPS6_NSA_18transform_iteratorI7is_evenIxESF_NSA_11use_defaultESK_EENS0_5tupleIJNSA_16discard_iteratorISK_EESO_EEENSM_IJSG_SG_EEES6_PlJS6_EEE10hipError_tPvRmT3_T4_T5_T6_T7_T9_mT8_P12ihipStream_tbDpT10_ENKUlT_T0_E_clISt17integral_constantIbLb1EES1B_EEDaS16_S17_EUlS16_E_NS1_11comp_targetILNS1_3genE8ELNS1_11target_archE1030ELNS1_3gpuE2ELNS1_3repE0EEENS1_30default_config_static_selectorELNS0_4arch9wavefront6targetE1EEEvT1_,"axG",@progbits,_ZN7rocprim17ROCPRIM_400000_NS6detail17trampoline_kernelINS0_14default_configENS1_25partition_config_selectorILNS1_17partition_subalgoE1ExNS0_10empty_typeEbEEZZNS1_14partition_implILS5_1ELb0ES3_jN6thrust23THRUST_200600_302600_NS6detail15normal_iteratorINSA_10device_ptrIxEEEEPS6_NSA_18transform_iteratorI7is_evenIxESF_NSA_11use_defaultESK_EENS0_5tupleIJNSA_16discard_iteratorISK_EESO_EEENSM_IJSG_SG_EEES6_PlJS6_EEE10hipError_tPvRmT3_T4_T5_T6_T7_T9_mT8_P12ihipStream_tbDpT10_ENKUlT_T0_E_clISt17integral_constantIbLb1EES1B_EEDaS16_S17_EUlS16_E_NS1_11comp_targetILNS1_3genE8ELNS1_11target_archE1030ELNS1_3gpuE2ELNS1_3repE0EEENS1_30default_config_static_selectorELNS0_4arch9wavefront6targetE1EEEvT1_,comdat
	.protected	_ZN7rocprim17ROCPRIM_400000_NS6detail17trampoline_kernelINS0_14default_configENS1_25partition_config_selectorILNS1_17partition_subalgoE1ExNS0_10empty_typeEbEEZZNS1_14partition_implILS5_1ELb0ES3_jN6thrust23THRUST_200600_302600_NS6detail15normal_iteratorINSA_10device_ptrIxEEEEPS6_NSA_18transform_iteratorI7is_evenIxESF_NSA_11use_defaultESK_EENS0_5tupleIJNSA_16discard_iteratorISK_EESO_EEENSM_IJSG_SG_EEES6_PlJS6_EEE10hipError_tPvRmT3_T4_T5_T6_T7_T9_mT8_P12ihipStream_tbDpT10_ENKUlT_T0_E_clISt17integral_constantIbLb1EES1B_EEDaS16_S17_EUlS16_E_NS1_11comp_targetILNS1_3genE8ELNS1_11target_archE1030ELNS1_3gpuE2ELNS1_3repE0EEENS1_30default_config_static_selectorELNS0_4arch9wavefront6targetE1EEEvT1_ ; -- Begin function _ZN7rocprim17ROCPRIM_400000_NS6detail17trampoline_kernelINS0_14default_configENS1_25partition_config_selectorILNS1_17partition_subalgoE1ExNS0_10empty_typeEbEEZZNS1_14partition_implILS5_1ELb0ES3_jN6thrust23THRUST_200600_302600_NS6detail15normal_iteratorINSA_10device_ptrIxEEEEPS6_NSA_18transform_iteratorI7is_evenIxESF_NSA_11use_defaultESK_EENS0_5tupleIJNSA_16discard_iteratorISK_EESO_EEENSM_IJSG_SG_EEES6_PlJS6_EEE10hipError_tPvRmT3_T4_T5_T6_T7_T9_mT8_P12ihipStream_tbDpT10_ENKUlT_T0_E_clISt17integral_constantIbLb1EES1B_EEDaS16_S17_EUlS16_E_NS1_11comp_targetILNS1_3genE8ELNS1_11target_archE1030ELNS1_3gpuE2ELNS1_3repE0EEENS1_30default_config_static_selectorELNS0_4arch9wavefront6targetE1EEEvT1_
	.globl	_ZN7rocprim17ROCPRIM_400000_NS6detail17trampoline_kernelINS0_14default_configENS1_25partition_config_selectorILNS1_17partition_subalgoE1ExNS0_10empty_typeEbEEZZNS1_14partition_implILS5_1ELb0ES3_jN6thrust23THRUST_200600_302600_NS6detail15normal_iteratorINSA_10device_ptrIxEEEEPS6_NSA_18transform_iteratorI7is_evenIxESF_NSA_11use_defaultESK_EENS0_5tupleIJNSA_16discard_iteratorISK_EESO_EEENSM_IJSG_SG_EEES6_PlJS6_EEE10hipError_tPvRmT3_T4_T5_T6_T7_T9_mT8_P12ihipStream_tbDpT10_ENKUlT_T0_E_clISt17integral_constantIbLb1EES1B_EEDaS16_S17_EUlS16_E_NS1_11comp_targetILNS1_3genE8ELNS1_11target_archE1030ELNS1_3gpuE2ELNS1_3repE0EEENS1_30default_config_static_selectorELNS0_4arch9wavefront6targetE1EEEvT1_
	.p2align	8
	.type	_ZN7rocprim17ROCPRIM_400000_NS6detail17trampoline_kernelINS0_14default_configENS1_25partition_config_selectorILNS1_17partition_subalgoE1ExNS0_10empty_typeEbEEZZNS1_14partition_implILS5_1ELb0ES3_jN6thrust23THRUST_200600_302600_NS6detail15normal_iteratorINSA_10device_ptrIxEEEEPS6_NSA_18transform_iteratorI7is_evenIxESF_NSA_11use_defaultESK_EENS0_5tupleIJNSA_16discard_iteratorISK_EESO_EEENSM_IJSG_SG_EEES6_PlJS6_EEE10hipError_tPvRmT3_T4_T5_T6_T7_T9_mT8_P12ihipStream_tbDpT10_ENKUlT_T0_E_clISt17integral_constantIbLb1EES1B_EEDaS16_S17_EUlS16_E_NS1_11comp_targetILNS1_3genE8ELNS1_11target_archE1030ELNS1_3gpuE2ELNS1_3repE0EEENS1_30default_config_static_selectorELNS0_4arch9wavefront6targetE1EEEvT1_,@function
_ZN7rocprim17ROCPRIM_400000_NS6detail17trampoline_kernelINS0_14default_configENS1_25partition_config_selectorILNS1_17partition_subalgoE1ExNS0_10empty_typeEbEEZZNS1_14partition_implILS5_1ELb0ES3_jN6thrust23THRUST_200600_302600_NS6detail15normal_iteratorINSA_10device_ptrIxEEEEPS6_NSA_18transform_iteratorI7is_evenIxESF_NSA_11use_defaultESK_EENS0_5tupleIJNSA_16discard_iteratorISK_EESO_EEENSM_IJSG_SG_EEES6_PlJS6_EEE10hipError_tPvRmT3_T4_T5_T6_T7_T9_mT8_P12ihipStream_tbDpT10_ENKUlT_T0_E_clISt17integral_constantIbLb1EES1B_EEDaS16_S17_EUlS16_E_NS1_11comp_targetILNS1_3genE8ELNS1_11target_archE1030ELNS1_3gpuE2ELNS1_3repE0EEENS1_30default_config_static_selectorELNS0_4arch9wavefront6targetE1EEEvT1_: ; @_ZN7rocprim17ROCPRIM_400000_NS6detail17trampoline_kernelINS0_14default_configENS1_25partition_config_selectorILNS1_17partition_subalgoE1ExNS0_10empty_typeEbEEZZNS1_14partition_implILS5_1ELb0ES3_jN6thrust23THRUST_200600_302600_NS6detail15normal_iteratorINSA_10device_ptrIxEEEEPS6_NSA_18transform_iteratorI7is_evenIxESF_NSA_11use_defaultESK_EENS0_5tupleIJNSA_16discard_iteratorISK_EESO_EEENSM_IJSG_SG_EEES6_PlJS6_EEE10hipError_tPvRmT3_T4_T5_T6_T7_T9_mT8_P12ihipStream_tbDpT10_ENKUlT_T0_E_clISt17integral_constantIbLb1EES1B_EEDaS16_S17_EUlS16_E_NS1_11comp_targetILNS1_3genE8ELNS1_11target_archE1030ELNS1_3gpuE2ELNS1_3repE0EEENS1_30default_config_static_selectorELNS0_4arch9wavefront6targetE1EEEvT1_
; %bb.0:
	.section	.rodata,"a",@progbits
	.p2align	6, 0x0
	.amdhsa_kernel _ZN7rocprim17ROCPRIM_400000_NS6detail17trampoline_kernelINS0_14default_configENS1_25partition_config_selectorILNS1_17partition_subalgoE1ExNS0_10empty_typeEbEEZZNS1_14partition_implILS5_1ELb0ES3_jN6thrust23THRUST_200600_302600_NS6detail15normal_iteratorINSA_10device_ptrIxEEEEPS6_NSA_18transform_iteratorI7is_evenIxESF_NSA_11use_defaultESK_EENS0_5tupleIJNSA_16discard_iteratorISK_EESO_EEENSM_IJSG_SG_EEES6_PlJS6_EEE10hipError_tPvRmT3_T4_T5_T6_T7_T9_mT8_P12ihipStream_tbDpT10_ENKUlT_T0_E_clISt17integral_constantIbLb1EES1B_EEDaS16_S17_EUlS16_E_NS1_11comp_targetILNS1_3genE8ELNS1_11target_archE1030ELNS1_3gpuE2ELNS1_3repE0EEENS1_30default_config_static_selectorELNS0_4arch9wavefront6targetE1EEEvT1_
		.amdhsa_group_segment_fixed_size 0
		.amdhsa_private_segment_fixed_size 0
		.amdhsa_kernarg_size 160
		.amdhsa_user_sgpr_count 6
		.amdhsa_user_sgpr_private_segment_buffer 1
		.amdhsa_user_sgpr_dispatch_ptr 0
		.amdhsa_user_sgpr_queue_ptr 0
		.amdhsa_user_sgpr_kernarg_segment_ptr 1
		.amdhsa_user_sgpr_dispatch_id 0
		.amdhsa_user_sgpr_flat_scratch_init 0
		.amdhsa_user_sgpr_kernarg_preload_length 0
		.amdhsa_user_sgpr_kernarg_preload_offset 0
		.amdhsa_user_sgpr_private_segment_size 0
		.amdhsa_uses_dynamic_stack 0
		.amdhsa_system_sgpr_private_segment_wavefront_offset 0
		.amdhsa_system_sgpr_workgroup_id_x 1
		.amdhsa_system_sgpr_workgroup_id_y 0
		.amdhsa_system_sgpr_workgroup_id_z 0
		.amdhsa_system_sgpr_workgroup_info 0
		.amdhsa_system_vgpr_workitem_id 0
		.amdhsa_next_free_vgpr 1
		.amdhsa_next_free_sgpr 0
		.amdhsa_accum_offset 4
		.amdhsa_reserve_vcc 0
		.amdhsa_reserve_flat_scratch 0
		.amdhsa_float_round_mode_32 0
		.amdhsa_float_round_mode_16_64 0
		.amdhsa_float_denorm_mode_32 3
		.amdhsa_float_denorm_mode_16_64 3
		.amdhsa_dx10_clamp 1
		.amdhsa_ieee_mode 1
		.amdhsa_fp16_overflow 0
		.amdhsa_tg_split 0
		.amdhsa_exception_fp_ieee_invalid_op 0
		.amdhsa_exception_fp_denorm_src 0
		.amdhsa_exception_fp_ieee_div_zero 0
		.amdhsa_exception_fp_ieee_overflow 0
		.amdhsa_exception_fp_ieee_underflow 0
		.amdhsa_exception_fp_ieee_inexact 0
		.amdhsa_exception_int_div_zero 0
	.end_amdhsa_kernel
	.section	.text._ZN7rocprim17ROCPRIM_400000_NS6detail17trampoline_kernelINS0_14default_configENS1_25partition_config_selectorILNS1_17partition_subalgoE1ExNS0_10empty_typeEbEEZZNS1_14partition_implILS5_1ELb0ES3_jN6thrust23THRUST_200600_302600_NS6detail15normal_iteratorINSA_10device_ptrIxEEEEPS6_NSA_18transform_iteratorI7is_evenIxESF_NSA_11use_defaultESK_EENS0_5tupleIJNSA_16discard_iteratorISK_EESO_EEENSM_IJSG_SG_EEES6_PlJS6_EEE10hipError_tPvRmT3_T4_T5_T6_T7_T9_mT8_P12ihipStream_tbDpT10_ENKUlT_T0_E_clISt17integral_constantIbLb1EES1B_EEDaS16_S17_EUlS16_E_NS1_11comp_targetILNS1_3genE8ELNS1_11target_archE1030ELNS1_3gpuE2ELNS1_3repE0EEENS1_30default_config_static_selectorELNS0_4arch9wavefront6targetE1EEEvT1_,"axG",@progbits,_ZN7rocprim17ROCPRIM_400000_NS6detail17trampoline_kernelINS0_14default_configENS1_25partition_config_selectorILNS1_17partition_subalgoE1ExNS0_10empty_typeEbEEZZNS1_14partition_implILS5_1ELb0ES3_jN6thrust23THRUST_200600_302600_NS6detail15normal_iteratorINSA_10device_ptrIxEEEEPS6_NSA_18transform_iteratorI7is_evenIxESF_NSA_11use_defaultESK_EENS0_5tupleIJNSA_16discard_iteratorISK_EESO_EEENSM_IJSG_SG_EEES6_PlJS6_EEE10hipError_tPvRmT3_T4_T5_T6_T7_T9_mT8_P12ihipStream_tbDpT10_ENKUlT_T0_E_clISt17integral_constantIbLb1EES1B_EEDaS16_S17_EUlS16_E_NS1_11comp_targetILNS1_3genE8ELNS1_11target_archE1030ELNS1_3gpuE2ELNS1_3repE0EEENS1_30default_config_static_selectorELNS0_4arch9wavefront6targetE1EEEvT1_,comdat
.Lfunc_end3178:
	.size	_ZN7rocprim17ROCPRIM_400000_NS6detail17trampoline_kernelINS0_14default_configENS1_25partition_config_selectorILNS1_17partition_subalgoE1ExNS0_10empty_typeEbEEZZNS1_14partition_implILS5_1ELb0ES3_jN6thrust23THRUST_200600_302600_NS6detail15normal_iteratorINSA_10device_ptrIxEEEEPS6_NSA_18transform_iteratorI7is_evenIxESF_NSA_11use_defaultESK_EENS0_5tupleIJNSA_16discard_iteratorISK_EESO_EEENSM_IJSG_SG_EEES6_PlJS6_EEE10hipError_tPvRmT3_T4_T5_T6_T7_T9_mT8_P12ihipStream_tbDpT10_ENKUlT_T0_E_clISt17integral_constantIbLb1EES1B_EEDaS16_S17_EUlS16_E_NS1_11comp_targetILNS1_3genE8ELNS1_11target_archE1030ELNS1_3gpuE2ELNS1_3repE0EEENS1_30default_config_static_selectorELNS0_4arch9wavefront6targetE1EEEvT1_, .Lfunc_end3178-_ZN7rocprim17ROCPRIM_400000_NS6detail17trampoline_kernelINS0_14default_configENS1_25partition_config_selectorILNS1_17partition_subalgoE1ExNS0_10empty_typeEbEEZZNS1_14partition_implILS5_1ELb0ES3_jN6thrust23THRUST_200600_302600_NS6detail15normal_iteratorINSA_10device_ptrIxEEEEPS6_NSA_18transform_iteratorI7is_evenIxESF_NSA_11use_defaultESK_EENS0_5tupleIJNSA_16discard_iteratorISK_EESO_EEENSM_IJSG_SG_EEES6_PlJS6_EEE10hipError_tPvRmT3_T4_T5_T6_T7_T9_mT8_P12ihipStream_tbDpT10_ENKUlT_T0_E_clISt17integral_constantIbLb1EES1B_EEDaS16_S17_EUlS16_E_NS1_11comp_targetILNS1_3genE8ELNS1_11target_archE1030ELNS1_3gpuE2ELNS1_3repE0EEENS1_30default_config_static_selectorELNS0_4arch9wavefront6targetE1EEEvT1_
                                        ; -- End function
	.section	.AMDGPU.csdata,"",@progbits
; Kernel info:
; codeLenInByte = 0
; NumSgprs: 4
; NumVgprs: 0
; NumAgprs: 0
; TotalNumVgprs: 0
; ScratchSize: 0
; MemoryBound: 0
; FloatMode: 240
; IeeeMode: 1
; LDSByteSize: 0 bytes/workgroup (compile time only)
; SGPRBlocks: 0
; VGPRBlocks: 0
; NumSGPRsForWavesPerEU: 4
; NumVGPRsForWavesPerEU: 1
; AccumOffset: 4
; Occupancy: 8
; WaveLimiterHint : 0
; COMPUTE_PGM_RSRC2:SCRATCH_EN: 0
; COMPUTE_PGM_RSRC2:USER_SGPR: 6
; COMPUTE_PGM_RSRC2:TRAP_HANDLER: 0
; COMPUTE_PGM_RSRC2:TGID_X_EN: 1
; COMPUTE_PGM_RSRC2:TGID_Y_EN: 0
; COMPUTE_PGM_RSRC2:TGID_Z_EN: 0
; COMPUTE_PGM_RSRC2:TIDIG_COMP_CNT: 0
; COMPUTE_PGM_RSRC3_GFX90A:ACCUM_OFFSET: 0
; COMPUTE_PGM_RSRC3_GFX90A:TG_SPLIT: 0
	.section	.text._ZN7rocprim17ROCPRIM_400000_NS6detail17trampoline_kernelINS0_14default_configENS1_25partition_config_selectorILNS1_17partition_subalgoE1ExNS0_10empty_typeEbEEZZNS1_14partition_implILS5_1ELb0ES3_jN6thrust23THRUST_200600_302600_NS6detail15normal_iteratorINSA_10device_ptrIxEEEEPS6_NSA_18transform_iteratorI7is_evenIxESF_NSA_11use_defaultESK_EENS0_5tupleIJNSA_16discard_iteratorISK_EESO_EEENSM_IJSG_SG_EEES6_PlJS6_EEE10hipError_tPvRmT3_T4_T5_T6_T7_T9_mT8_P12ihipStream_tbDpT10_ENKUlT_T0_E_clISt17integral_constantIbLb1EES1A_IbLb0EEEEDaS16_S17_EUlS16_E_NS1_11comp_targetILNS1_3genE0ELNS1_11target_archE4294967295ELNS1_3gpuE0ELNS1_3repE0EEENS1_30default_config_static_selectorELNS0_4arch9wavefront6targetE1EEEvT1_,"axG",@progbits,_ZN7rocprim17ROCPRIM_400000_NS6detail17trampoline_kernelINS0_14default_configENS1_25partition_config_selectorILNS1_17partition_subalgoE1ExNS0_10empty_typeEbEEZZNS1_14partition_implILS5_1ELb0ES3_jN6thrust23THRUST_200600_302600_NS6detail15normal_iteratorINSA_10device_ptrIxEEEEPS6_NSA_18transform_iteratorI7is_evenIxESF_NSA_11use_defaultESK_EENS0_5tupleIJNSA_16discard_iteratorISK_EESO_EEENSM_IJSG_SG_EEES6_PlJS6_EEE10hipError_tPvRmT3_T4_T5_T6_T7_T9_mT8_P12ihipStream_tbDpT10_ENKUlT_T0_E_clISt17integral_constantIbLb1EES1A_IbLb0EEEEDaS16_S17_EUlS16_E_NS1_11comp_targetILNS1_3genE0ELNS1_11target_archE4294967295ELNS1_3gpuE0ELNS1_3repE0EEENS1_30default_config_static_selectorELNS0_4arch9wavefront6targetE1EEEvT1_,comdat
	.protected	_ZN7rocprim17ROCPRIM_400000_NS6detail17trampoline_kernelINS0_14default_configENS1_25partition_config_selectorILNS1_17partition_subalgoE1ExNS0_10empty_typeEbEEZZNS1_14partition_implILS5_1ELb0ES3_jN6thrust23THRUST_200600_302600_NS6detail15normal_iteratorINSA_10device_ptrIxEEEEPS6_NSA_18transform_iteratorI7is_evenIxESF_NSA_11use_defaultESK_EENS0_5tupleIJNSA_16discard_iteratorISK_EESO_EEENSM_IJSG_SG_EEES6_PlJS6_EEE10hipError_tPvRmT3_T4_T5_T6_T7_T9_mT8_P12ihipStream_tbDpT10_ENKUlT_T0_E_clISt17integral_constantIbLb1EES1A_IbLb0EEEEDaS16_S17_EUlS16_E_NS1_11comp_targetILNS1_3genE0ELNS1_11target_archE4294967295ELNS1_3gpuE0ELNS1_3repE0EEENS1_30default_config_static_selectorELNS0_4arch9wavefront6targetE1EEEvT1_ ; -- Begin function _ZN7rocprim17ROCPRIM_400000_NS6detail17trampoline_kernelINS0_14default_configENS1_25partition_config_selectorILNS1_17partition_subalgoE1ExNS0_10empty_typeEbEEZZNS1_14partition_implILS5_1ELb0ES3_jN6thrust23THRUST_200600_302600_NS6detail15normal_iteratorINSA_10device_ptrIxEEEEPS6_NSA_18transform_iteratorI7is_evenIxESF_NSA_11use_defaultESK_EENS0_5tupleIJNSA_16discard_iteratorISK_EESO_EEENSM_IJSG_SG_EEES6_PlJS6_EEE10hipError_tPvRmT3_T4_T5_T6_T7_T9_mT8_P12ihipStream_tbDpT10_ENKUlT_T0_E_clISt17integral_constantIbLb1EES1A_IbLb0EEEEDaS16_S17_EUlS16_E_NS1_11comp_targetILNS1_3genE0ELNS1_11target_archE4294967295ELNS1_3gpuE0ELNS1_3repE0EEENS1_30default_config_static_selectorELNS0_4arch9wavefront6targetE1EEEvT1_
	.globl	_ZN7rocprim17ROCPRIM_400000_NS6detail17trampoline_kernelINS0_14default_configENS1_25partition_config_selectorILNS1_17partition_subalgoE1ExNS0_10empty_typeEbEEZZNS1_14partition_implILS5_1ELb0ES3_jN6thrust23THRUST_200600_302600_NS6detail15normal_iteratorINSA_10device_ptrIxEEEEPS6_NSA_18transform_iteratorI7is_evenIxESF_NSA_11use_defaultESK_EENS0_5tupleIJNSA_16discard_iteratorISK_EESO_EEENSM_IJSG_SG_EEES6_PlJS6_EEE10hipError_tPvRmT3_T4_T5_T6_T7_T9_mT8_P12ihipStream_tbDpT10_ENKUlT_T0_E_clISt17integral_constantIbLb1EES1A_IbLb0EEEEDaS16_S17_EUlS16_E_NS1_11comp_targetILNS1_3genE0ELNS1_11target_archE4294967295ELNS1_3gpuE0ELNS1_3repE0EEENS1_30default_config_static_selectorELNS0_4arch9wavefront6targetE1EEEvT1_
	.p2align	8
	.type	_ZN7rocprim17ROCPRIM_400000_NS6detail17trampoline_kernelINS0_14default_configENS1_25partition_config_selectorILNS1_17partition_subalgoE1ExNS0_10empty_typeEbEEZZNS1_14partition_implILS5_1ELb0ES3_jN6thrust23THRUST_200600_302600_NS6detail15normal_iteratorINSA_10device_ptrIxEEEEPS6_NSA_18transform_iteratorI7is_evenIxESF_NSA_11use_defaultESK_EENS0_5tupleIJNSA_16discard_iteratorISK_EESO_EEENSM_IJSG_SG_EEES6_PlJS6_EEE10hipError_tPvRmT3_T4_T5_T6_T7_T9_mT8_P12ihipStream_tbDpT10_ENKUlT_T0_E_clISt17integral_constantIbLb1EES1A_IbLb0EEEEDaS16_S17_EUlS16_E_NS1_11comp_targetILNS1_3genE0ELNS1_11target_archE4294967295ELNS1_3gpuE0ELNS1_3repE0EEENS1_30default_config_static_selectorELNS0_4arch9wavefront6targetE1EEEvT1_,@function
_ZN7rocprim17ROCPRIM_400000_NS6detail17trampoline_kernelINS0_14default_configENS1_25partition_config_selectorILNS1_17partition_subalgoE1ExNS0_10empty_typeEbEEZZNS1_14partition_implILS5_1ELb0ES3_jN6thrust23THRUST_200600_302600_NS6detail15normal_iteratorINSA_10device_ptrIxEEEEPS6_NSA_18transform_iteratorI7is_evenIxESF_NSA_11use_defaultESK_EENS0_5tupleIJNSA_16discard_iteratorISK_EESO_EEENSM_IJSG_SG_EEES6_PlJS6_EEE10hipError_tPvRmT3_T4_T5_T6_T7_T9_mT8_P12ihipStream_tbDpT10_ENKUlT_T0_E_clISt17integral_constantIbLb1EES1A_IbLb0EEEEDaS16_S17_EUlS16_E_NS1_11comp_targetILNS1_3genE0ELNS1_11target_archE4294967295ELNS1_3gpuE0ELNS1_3repE0EEENS1_30default_config_static_selectorELNS0_4arch9wavefront6targetE1EEEvT1_: ; @_ZN7rocprim17ROCPRIM_400000_NS6detail17trampoline_kernelINS0_14default_configENS1_25partition_config_selectorILNS1_17partition_subalgoE1ExNS0_10empty_typeEbEEZZNS1_14partition_implILS5_1ELb0ES3_jN6thrust23THRUST_200600_302600_NS6detail15normal_iteratorINSA_10device_ptrIxEEEEPS6_NSA_18transform_iteratorI7is_evenIxESF_NSA_11use_defaultESK_EENS0_5tupleIJNSA_16discard_iteratorISK_EESO_EEENSM_IJSG_SG_EEES6_PlJS6_EEE10hipError_tPvRmT3_T4_T5_T6_T7_T9_mT8_P12ihipStream_tbDpT10_ENKUlT_T0_E_clISt17integral_constantIbLb1EES1A_IbLb0EEEEDaS16_S17_EUlS16_E_NS1_11comp_targetILNS1_3genE0ELNS1_11target_archE4294967295ELNS1_3gpuE0ELNS1_3repE0EEENS1_30default_config_static_selectorELNS0_4arch9wavefront6targetE1EEEvT1_
; %bb.0:
	.section	.rodata,"a",@progbits
	.p2align	6, 0x0
	.amdhsa_kernel _ZN7rocprim17ROCPRIM_400000_NS6detail17trampoline_kernelINS0_14default_configENS1_25partition_config_selectorILNS1_17partition_subalgoE1ExNS0_10empty_typeEbEEZZNS1_14partition_implILS5_1ELb0ES3_jN6thrust23THRUST_200600_302600_NS6detail15normal_iteratorINSA_10device_ptrIxEEEEPS6_NSA_18transform_iteratorI7is_evenIxESF_NSA_11use_defaultESK_EENS0_5tupleIJNSA_16discard_iteratorISK_EESO_EEENSM_IJSG_SG_EEES6_PlJS6_EEE10hipError_tPvRmT3_T4_T5_T6_T7_T9_mT8_P12ihipStream_tbDpT10_ENKUlT_T0_E_clISt17integral_constantIbLb1EES1A_IbLb0EEEEDaS16_S17_EUlS16_E_NS1_11comp_targetILNS1_3genE0ELNS1_11target_archE4294967295ELNS1_3gpuE0ELNS1_3repE0EEENS1_30default_config_static_selectorELNS0_4arch9wavefront6targetE1EEEvT1_
		.amdhsa_group_segment_fixed_size 0
		.amdhsa_private_segment_fixed_size 0
		.amdhsa_kernarg_size 144
		.amdhsa_user_sgpr_count 6
		.amdhsa_user_sgpr_private_segment_buffer 1
		.amdhsa_user_sgpr_dispatch_ptr 0
		.amdhsa_user_sgpr_queue_ptr 0
		.amdhsa_user_sgpr_kernarg_segment_ptr 1
		.amdhsa_user_sgpr_dispatch_id 0
		.amdhsa_user_sgpr_flat_scratch_init 0
		.amdhsa_user_sgpr_kernarg_preload_length 0
		.amdhsa_user_sgpr_kernarg_preload_offset 0
		.amdhsa_user_sgpr_private_segment_size 0
		.amdhsa_uses_dynamic_stack 0
		.amdhsa_system_sgpr_private_segment_wavefront_offset 0
		.amdhsa_system_sgpr_workgroup_id_x 1
		.amdhsa_system_sgpr_workgroup_id_y 0
		.amdhsa_system_sgpr_workgroup_id_z 0
		.amdhsa_system_sgpr_workgroup_info 0
		.amdhsa_system_vgpr_workitem_id 0
		.amdhsa_next_free_vgpr 1
		.amdhsa_next_free_sgpr 0
		.amdhsa_accum_offset 4
		.amdhsa_reserve_vcc 0
		.amdhsa_reserve_flat_scratch 0
		.amdhsa_float_round_mode_32 0
		.amdhsa_float_round_mode_16_64 0
		.amdhsa_float_denorm_mode_32 3
		.amdhsa_float_denorm_mode_16_64 3
		.amdhsa_dx10_clamp 1
		.amdhsa_ieee_mode 1
		.amdhsa_fp16_overflow 0
		.amdhsa_tg_split 0
		.amdhsa_exception_fp_ieee_invalid_op 0
		.amdhsa_exception_fp_denorm_src 0
		.amdhsa_exception_fp_ieee_div_zero 0
		.amdhsa_exception_fp_ieee_overflow 0
		.amdhsa_exception_fp_ieee_underflow 0
		.amdhsa_exception_fp_ieee_inexact 0
		.amdhsa_exception_int_div_zero 0
	.end_amdhsa_kernel
	.section	.text._ZN7rocprim17ROCPRIM_400000_NS6detail17trampoline_kernelINS0_14default_configENS1_25partition_config_selectorILNS1_17partition_subalgoE1ExNS0_10empty_typeEbEEZZNS1_14partition_implILS5_1ELb0ES3_jN6thrust23THRUST_200600_302600_NS6detail15normal_iteratorINSA_10device_ptrIxEEEEPS6_NSA_18transform_iteratorI7is_evenIxESF_NSA_11use_defaultESK_EENS0_5tupleIJNSA_16discard_iteratorISK_EESO_EEENSM_IJSG_SG_EEES6_PlJS6_EEE10hipError_tPvRmT3_T4_T5_T6_T7_T9_mT8_P12ihipStream_tbDpT10_ENKUlT_T0_E_clISt17integral_constantIbLb1EES1A_IbLb0EEEEDaS16_S17_EUlS16_E_NS1_11comp_targetILNS1_3genE0ELNS1_11target_archE4294967295ELNS1_3gpuE0ELNS1_3repE0EEENS1_30default_config_static_selectorELNS0_4arch9wavefront6targetE1EEEvT1_,"axG",@progbits,_ZN7rocprim17ROCPRIM_400000_NS6detail17trampoline_kernelINS0_14default_configENS1_25partition_config_selectorILNS1_17partition_subalgoE1ExNS0_10empty_typeEbEEZZNS1_14partition_implILS5_1ELb0ES3_jN6thrust23THRUST_200600_302600_NS6detail15normal_iteratorINSA_10device_ptrIxEEEEPS6_NSA_18transform_iteratorI7is_evenIxESF_NSA_11use_defaultESK_EENS0_5tupleIJNSA_16discard_iteratorISK_EESO_EEENSM_IJSG_SG_EEES6_PlJS6_EEE10hipError_tPvRmT3_T4_T5_T6_T7_T9_mT8_P12ihipStream_tbDpT10_ENKUlT_T0_E_clISt17integral_constantIbLb1EES1A_IbLb0EEEEDaS16_S17_EUlS16_E_NS1_11comp_targetILNS1_3genE0ELNS1_11target_archE4294967295ELNS1_3gpuE0ELNS1_3repE0EEENS1_30default_config_static_selectorELNS0_4arch9wavefront6targetE1EEEvT1_,comdat
.Lfunc_end3179:
	.size	_ZN7rocprim17ROCPRIM_400000_NS6detail17trampoline_kernelINS0_14default_configENS1_25partition_config_selectorILNS1_17partition_subalgoE1ExNS0_10empty_typeEbEEZZNS1_14partition_implILS5_1ELb0ES3_jN6thrust23THRUST_200600_302600_NS6detail15normal_iteratorINSA_10device_ptrIxEEEEPS6_NSA_18transform_iteratorI7is_evenIxESF_NSA_11use_defaultESK_EENS0_5tupleIJNSA_16discard_iteratorISK_EESO_EEENSM_IJSG_SG_EEES6_PlJS6_EEE10hipError_tPvRmT3_T4_T5_T6_T7_T9_mT8_P12ihipStream_tbDpT10_ENKUlT_T0_E_clISt17integral_constantIbLb1EES1A_IbLb0EEEEDaS16_S17_EUlS16_E_NS1_11comp_targetILNS1_3genE0ELNS1_11target_archE4294967295ELNS1_3gpuE0ELNS1_3repE0EEENS1_30default_config_static_selectorELNS0_4arch9wavefront6targetE1EEEvT1_, .Lfunc_end3179-_ZN7rocprim17ROCPRIM_400000_NS6detail17trampoline_kernelINS0_14default_configENS1_25partition_config_selectorILNS1_17partition_subalgoE1ExNS0_10empty_typeEbEEZZNS1_14partition_implILS5_1ELb0ES3_jN6thrust23THRUST_200600_302600_NS6detail15normal_iteratorINSA_10device_ptrIxEEEEPS6_NSA_18transform_iteratorI7is_evenIxESF_NSA_11use_defaultESK_EENS0_5tupleIJNSA_16discard_iteratorISK_EESO_EEENSM_IJSG_SG_EEES6_PlJS6_EEE10hipError_tPvRmT3_T4_T5_T6_T7_T9_mT8_P12ihipStream_tbDpT10_ENKUlT_T0_E_clISt17integral_constantIbLb1EES1A_IbLb0EEEEDaS16_S17_EUlS16_E_NS1_11comp_targetILNS1_3genE0ELNS1_11target_archE4294967295ELNS1_3gpuE0ELNS1_3repE0EEENS1_30default_config_static_selectorELNS0_4arch9wavefront6targetE1EEEvT1_
                                        ; -- End function
	.section	.AMDGPU.csdata,"",@progbits
; Kernel info:
; codeLenInByte = 0
; NumSgprs: 4
; NumVgprs: 0
; NumAgprs: 0
; TotalNumVgprs: 0
; ScratchSize: 0
; MemoryBound: 0
; FloatMode: 240
; IeeeMode: 1
; LDSByteSize: 0 bytes/workgroup (compile time only)
; SGPRBlocks: 0
; VGPRBlocks: 0
; NumSGPRsForWavesPerEU: 4
; NumVGPRsForWavesPerEU: 1
; AccumOffset: 4
; Occupancy: 8
; WaveLimiterHint : 0
; COMPUTE_PGM_RSRC2:SCRATCH_EN: 0
; COMPUTE_PGM_RSRC2:USER_SGPR: 6
; COMPUTE_PGM_RSRC2:TRAP_HANDLER: 0
; COMPUTE_PGM_RSRC2:TGID_X_EN: 1
; COMPUTE_PGM_RSRC2:TGID_Y_EN: 0
; COMPUTE_PGM_RSRC2:TGID_Z_EN: 0
; COMPUTE_PGM_RSRC2:TIDIG_COMP_CNT: 0
; COMPUTE_PGM_RSRC3_GFX90A:ACCUM_OFFSET: 0
; COMPUTE_PGM_RSRC3_GFX90A:TG_SPLIT: 0
	.section	.text._ZN7rocprim17ROCPRIM_400000_NS6detail17trampoline_kernelINS0_14default_configENS1_25partition_config_selectorILNS1_17partition_subalgoE1ExNS0_10empty_typeEbEEZZNS1_14partition_implILS5_1ELb0ES3_jN6thrust23THRUST_200600_302600_NS6detail15normal_iteratorINSA_10device_ptrIxEEEEPS6_NSA_18transform_iteratorI7is_evenIxESF_NSA_11use_defaultESK_EENS0_5tupleIJNSA_16discard_iteratorISK_EESO_EEENSM_IJSG_SG_EEES6_PlJS6_EEE10hipError_tPvRmT3_T4_T5_T6_T7_T9_mT8_P12ihipStream_tbDpT10_ENKUlT_T0_E_clISt17integral_constantIbLb1EES1A_IbLb0EEEEDaS16_S17_EUlS16_E_NS1_11comp_targetILNS1_3genE5ELNS1_11target_archE942ELNS1_3gpuE9ELNS1_3repE0EEENS1_30default_config_static_selectorELNS0_4arch9wavefront6targetE1EEEvT1_,"axG",@progbits,_ZN7rocprim17ROCPRIM_400000_NS6detail17trampoline_kernelINS0_14default_configENS1_25partition_config_selectorILNS1_17partition_subalgoE1ExNS0_10empty_typeEbEEZZNS1_14partition_implILS5_1ELb0ES3_jN6thrust23THRUST_200600_302600_NS6detail15normal_iteratorINSA_10device_ptrIxEEEEPS6_NSA_18transform_iteratorI7is_evenIxESF_NSA_11use_defaultESK_EENS0_5tupleIJNSA_16discard_iteratorISK_EESO_EEENSM_IJSG_SG_EEES6_PlJS6_EEE10hipError_tPvRmT3_T4_T5_T6_T7_T9_mT8_P12ihipStream_tbDpT10_ENKUlT_T0_E_clISt17integral_constantIbLb1EES1A_IbLb0EEEEDaS16_S17_EUlS16_E_NS1_11comp_targetILNS1_3genE5ELNS1_11target_archE942ELNS1_3gpuE9ELNS1_3repE0EEENS1_30default_config_static_selectorELNS0_4arch9wavefront6targetE1EEEvT1_,comdat
	.protected	_ZN7rocprim17ROCPRIM_400000_NS6detail17trampoline_kernelINS0_14default_configENS1_25partition_config_selectorILNS1_17partition_subalgoE1ExNS0_10empty_typeEbEEZZNS1_14partition_implILS5_1ELb0ES3_jN6thrust23THRUST_200600_302600_NS6detail15normal_iteratorINSA_10device_ptrIxEEEEPS6_NSA_18transform_iteratorI7is_evenIxESF_NSA_11use_defaultESK_EENS0_5tupleIJNSA_16discard_iteratorISK_EESO_EEENSM_IJSG_SG_EEES6_PlJS6_EEE10hipError_tPvRmT3_T4_T5_T6_T7_T9_mT8_P12ihipStream_tbDpT10_ENKUlT_T0_E_clISt17integral_constantIbLb1EES1A_IbLb0EEEEDaS16_S17_EUlS16_E_NS1_11comp_targetILNS1_3genE5ELNS1_11target_archE942ELNS1_3gpuE9ELNS1_3repE0EEENS1_30default_config_static_selectorELNS0_4arch9wavefront6targetE1EEEvT1_ ; -- Begin function _ZN7rocprim17ROCPRIM_400000_NS6detail17trampoline_kernelINS0_14default_configENS1_25partition_config_selectorILNS1_17partition_subalgoE1ExNS0_10empty_typeEbEEZZNS1_14partition_implILS5_1ELb0ES3_jN6thrust23THRUST_200600_302600_NS6detail15normal_iteratorINSA_10device_ptrIxEEEEPS6_NSA_18transform_iteratorI7is_evenIxESF_NSA_11use_defaultESK_EENS0_5tupleIJNSA_16discard_iteratorISK_EESO_EEENSM_IJSG_SG_EEES6_PlJS6_EEE10hipError_tPvRmT3_T4_T5_T6_T7_T9_mT8_P12ihipStream_tbDpT10_ENKUlT_T0_E_clISt17integral_constantIbLb1EES1A_IbLb0EEEEDaS16_S17_EUlS16_E_NS1_11comp_targetILNS1_3genE5ELNS1_11target_archE942ELNS1_3gpuE9ELNS1_3repE0EEENS1_30default_config_static_selectorELNS0_4arch9wavefront6targetE1EEEvT1_
	.globl	_ZN7rocprim17ROCPRIM_400000_NS6detail17trampoline_kernelINS0_14default_configENS1_25partition_config_selectorILNS1_17partition_subalgoE1ExNS0_10empty_typeEbEEZZNS1_14partition_implILS5_1ELb0ES3_jN6thrust23THRUST_200600_302600_NS6detail15normal_iteratorINSA_10device_ptrIxEEEEPS6_NSA_18transform_iteratorI7is_evenIxESF_NSA_11use_defaultESK_EENS0_5tupleIJNSA_16discard_iteratorISK_EESO_EEENSM_IJSG_SG_EEES6_PlJS6_EEE10hipError_tPvRmT3_T4_T5_T6_T7_T9_mT8_P12ihipStream_tbDpT10_ENKUlT_T0_E_clISt17integral_constantIbLb1EES1A_IbLb0EEEEDaS16_S17_EUlS16_E_NS1_11comp_targetILNS1_3genE5ELNS1_11target_archE942ELNS1_3gpuE9ELNS1_3repE0EEENS1_30default_config_static_selectorELNS0_4arch9wavefront6targetE1EEEvT1_
	.p2align	8
	.type	_ZN7rocprim17ROCPRIM_400000_NS6detail17trampoline_kernelINS0_14default_configENS1_25partition_config_selectorILNS1_17partition_subalgoE1ExNS0_10empty_typeEbEEZZNS1_14partition_implILS5_1ELb0ES3_jN6thrust23THRUST_200600_302600_NS6detail15normal_iteratorINSA_10device_ptrIxEEEEPS6_NSA_18transform_iteratorI7is_evenIxESF_NSA_11use_defaultESK_EENS0_5tupleIJNSA_16discard_iteratorISK_EESO_EEENSM_IJSG_SG_EEES6_PlJS6_EEE10hipError_tPvRmT3_T4_T5_T6_T7_T9_mT8_P12ihipStream_tbDpT10_ENKUlT_T0_E_clISt17integral_constantIbLb1EES1A_IbLb0EEEEDaS16_S17_EUlS16_E_NS1_11comp_targetILNS1_3genE5ELNS1_11target_archE942ELNS1_3gpuE9ELNS1_3repE0EEENS1_30default_config_static_selectorELNS0_4arch9wavefront6targetE1EEEvT1_,@function
_ZN7rocprim17ROCPRIM_400000_NS6detail17trampoline_kernelINS0_14default_configENS1_25partition_config_selectorILNS1_17partition_subalgoE1ExNS0_10empty_typeEbEEZZNS1_14partition_implILS5_1ELb0ES3_jN6thrust23THRUST_200600_302600_NS6detail15normal_iteratorINSA_10device_ptrIxEEEEPS6_NSA_18transform_iteratorI7is_evenIxESF_NSA_11use_defaultESK_EENS0_5tupleIJNSA_16discard_iteratorISK_EESO_EEENSM_IJSG_SG_EEES6_PlJS6_EEE10hipError_tPvRmT3_T4_T5_T6_T7_T9_mT8_P12ihipStream_tbDpT10_ENKUlT_T0_E_clISt17integral_constantIbLb1EES1A_IbLb0EEEEDaS16_S17_EUlS16_E_NS1_11comp_targetILNS1_3genE5ELNS1_11target_archE942ELNS1_3gpuE9ELNS1_3repE0EEENS1_30default_config_static_selectorELNS0_4arch9wavefront6targetE1EEEvT1_: ; @_ZN7rocprim17ROCPRIM_400000_NS6detail17trampoline_kernelINS0_14default_configENS1_25partition_config_selectorILNS1_17partition_subalgoE1ExNS0_10empty_typeEbEEZZNS1_14partition_implILS5_1ELb0ES3_jN6thrust23THRUST_200600_302600_NS6detail15normal_iteratorINSA_10device_ptrIxEEEEPS6_NSA_18transform_iteratorI7is_evenIxESF_NSA_11use_defaultESK_EENS0_5tupleIJNSA_16discard_iteratorISK_EESO_EEENSM_IJSG_SG_EEES6_PlJS6_EEE10hipError_tPvRmT3_T4_T5_T6_T7_T9_mT8_P12ihipStream_tbDpT10_ENKUlT_T0_E_clISt17integral_constantIbLb1EES1A_IbLb0EEEEDaS16_S17_EUlS16_E_NS1_11comp_targetILNS1_3genE5ELNS1_11target_archE942ELNS1_3gpuE9ELNS1_3repE0EEENS1_30default_config_static_selectorELNS0_4arch9wavefront6targetE1EEEvT1_
; %bb.0:
	.section	.rodata,"a",@progbits
	.p2align	6, 0x0
	.amdhsa_kernel _ZN7rocprim17ROCPRIM_400000_NS6detail17trampoline_kernelINS0_14default_configENS1_25partition_config_selectorILNS1_17partition_subalgoE1ExNS0_10empty_typeEbEEZZNS1_14partition_implILS5_1ELb0ES3_jN6thrust23THRUST_200600_302600_NS6detail15normal_iteratorINSA_10device_ptrIxEEEEPS6_NSA_18transform_iteratorI7is_evenIxESF_NSA_11use_defaultESK_EENS0_5tupleIJNSA_16discard_iteratorISK_EESO_EEENSM_IJSG_SG_EEES6_PlJS6_EEE10hipError_tPvRmT3_T4_T5_T6_T7_T9_mT8_P12ihipStream_tbDpT10_ENKUlT_T0_E_clISt17integral_constantIbLb1EES1A_IbLb0EEEEDaS16_S17_EUlS16_E_NS1_11comp_targetILNS1_3genE5ELNS1_11target_archE942ELNS1_3gpuE9ELNS1_3repE0EEENS1_30default_config_static_selectorELNS0_4arch9wavefront6targetE1EEEvT1_
		.amdhsa_group_segment_fixed_size 0
		.amdhsa_private_segment_fixed_size 0
		.amdhsa_kernarg_size 144
		.amdhsa_user_sgpr_count 6
		.amdhsa_user_sgpr_private_segment_buffer 1
		.amdhsa_user_sgpr_dispatch_ptr 0
		.amdhsa_user_sgpr_queue_ptr 0
		.amdhsa_user_sgpr_kernarg_segment_ptr 1
		.amdhsa_user_sgpr_dispatch_id 0
		.amdhsa_user_sgpr_flat_scratch_init 0
		.amdhsa_user_sgpr_kernarg_preload_length 0
		.amdhsa_user_sgpr_kernarg_preload_offset 0
		.amdhsa_user_sgpr_private_segment_size 0
		.amdhsa_uses_dynamic_stack 0
		.amdhsa_system_sgpr_private_segment_wavefront_offset 0
		.amdhsa_system_sgpr_workgroup_id_x 1
		.amdhsa_system_sgpr_workgroup_id_y 0
		.amdhsa_system_sgpr_workgroup_id_z 0
		.amdhsa_system_sgpr_workgroup_info 0
		.amdhsa_system_vgpr_workitem_id 0
		.amdhsa_next_free_vgpr 1
		.amdhsa_next_free_sgpr 0
		.amdhsa_accum_offset 4
		.amdhsa_reserve_vcc 0
		.amdhsa_reserve_flat_scratch 0
		.amdhsa_float_round_mode_32 0
		.amdhsa_float_round_mode_16_64 0
		.amdhsa_float_denorm_mode_32 3
		.amdhsa_float_denorm_mode_16_64 3
		.amdhsa_dx10_clamp 1
		.amdhsa_ieee_mode 1
		.amdhsa_fp16_overflow 0
		.amdhsa_tg_split 0
		.amdhsa_exception_fp_ieee_invalid_op 0
		.amdhsa_exception_fp_denorm_src 0
		.amdhsa_exception_fp_ieee_div_zero 0
		.amdhsa_exception_fp_ieee_overflow 0
		.amdhsa_exception_fp_ieee_underflow 0
		.amdhsa_exception_fp_ieee_inexact 0
		.amdhsa_exception_int_div_zero 0
	.end_amdhsa_kernel
	.section	.text._ZN7rocprim17ROCPRIM_400000_NS6detail17trampoline_kernelINS0_14default_configENS1_25partition_config_selectorILNS1_17partition_subalgoE1ExNS0_10empty_typeEbEEZZNS1_14partition_implILS5_1ELb0ES3_jN6thrust23THRUST_200600_302600_NS6detail15normal_iteratorINSA_10device_ptrIxEEEEPS6_NSA_18transform_iteratorI7is_evenIxESF_NSA_11use_defaultESK_EENS0_5tupleIJNSA_16discard_iteratorISK_EESO_EEENSM_IJSG_SG_EEES6_PlJS6_EEE10hipError_tPvRmT3_T4_T5_T6_T7_T9_mT8_P12ihipStream_tbDpT10_ENKUlT_T0_E_clISt17integral_constantIbLb1EES1A_IbLb0EEEEDaS16_S17_EUlS16_E_NS1_11comp_targetILNS1_3genE5ELNS1_11target_archE942ELNS1_3gpuE9ELNS1_3repE0EEENS1_30default_config_static_selectorELNS0_4arch9wavefront6targetE1EEEvT1_,"axG",@progbits,_ZN7rocprim17ROCPRIM_400000_NS6detail17trampoline_kernelINS0_14default_configENS1_25partition_config_selectorILNS1_17partition_subalgoE1ExNS0_10empty_typeEbEEZZNS1_14partition_implILS5_1ELb0ES3_jN6thrust23THRUST_200600_302600_NS6detail15normal_iteratorINSA_10device_ptrIxEEEEPS6_NSA_18transform_iteratorI7is_evenIxESF_NSA_11use_defaultESK_EENS0_5tupleIJNSA_16discard_iteratorISK_EESO_EEENSM_IJSG_SG_EEES6_PlJS6_EEE10hipError_tPvRmT3_T4_T5_T6_T7_T9_mT8_P12ihipStream_tbDpT10_ENKUlT_T0_E_clISt17integral_constantIbLb1EES1A_IbLb0EEEEDaS16_S17_EUlS16_E_NS1_11comp_targetILNS1_3genE5ELNS1_11target_archE942ELNS1_3gpuE9ELNS1_3repE0EEENS1_30default_config_static_selectorELNS0_4arch9wavefront6targetE1EEEvT1_,comdat
.Lfunc_end3180:
	.size	_ZN7rocprim17ROCPRIM_400000_NS6detail17trampoline_kernelINS0_14default_configENS1_25partition_config_selectorILNS1_17partition_subalgoE1ExNS0_10empty_typeEbEEZZNS1_14partition_implILS5_1ELb0ES3_jN6thrust23THRUST_200600_302600_NS6detail15normal_iteratorINSA_10device_ptrIxEEEEPS6_NSA_18transform_iteratorI7is_evenIxESF_NSA_11use_defaultESK_EENS0_5tupleIJNSA_16discard_iteratorISK_EESO_EEENSM_IJSG_SG_EEES6_PlJS6_EEE10hipError_tPvRmT3_T4_T5_T6_T7_T9_mT8_P12ihipStream_tbDpT10_ENKUlT_T0_E_clISt17integral_constantIbLb1EES1A_IbLb0EEEEDaS16_S17_EUlS16_E_NS1_11comp_targetILNS1_3genE5ELNS1_11target_archE942ELNS1_3gpuE9ELNS1_3repE0EEENS1_30default_config_static_selectorELNS0_4arch9wavefront6targetE1EEEvT1_, .Lfunc_end3180-_ZN7rocprim17ROCPRIM_400000_NS6detail17trampoline_kernelINS0_14default_configENS1_25partition_config_selectorILNS1_17partition_subalgoE1ExNS0_10empty_typeEbEEZZNS1_14partition_implILS5_1ELb0ES3_jN6thrust23THRUST_200600_302600_NS6detail15normal_iteratorINSA_10device_ptrIxEEEEPS6_NSA_18transform_iteratorI7is_evenIxESF_NSA_11use_defaultESK_EENS0_5tupleIJNSA_16discard_iteratorISK_EESO_EEENSM_IJSG_SG_EEES6_PlJS6_EEE10hipError_tPvRmT3_T4_T5_T6_T7_T9_mT8_P12ihipStream_tbDpT10_ENKUlT_T0_E_clISt17integral_constantIbLb1EES1A_IbLb0EEEEDaS16_S17_EUlS16_E_NS1_11comp_targetILNS1_3genE5ELNS1_11target_archE942ELNS1_3gpuE9ELNS1_3repE0EEENS1_30default_config_static_selectorELNS0_4arch9wavefront6targetE1EEEvT1_
                                        ; -- End function
	.section	.AMDGPU.csdata,"",@progbits
; Kernel info:
; codeLenInByte = 0
; NumSgprs: 4
; NumVgprs: 0
; NumAgprs: 0
; TotalNumVgprs: 0
; ScratchSize: 0
; MemoryBound: 0
; FloatMode: 240
; IeeeMode: 1
; LDSByteSize: 0 bytes/workgroup (compile time only)
; SGPRBlocks: 0
; VGPRBlocks: 0
; NumSGPRsForWavesPerEU: 4
; NumVGPRsForWavesPerEU: 1
; AccumOffset: 4
; Occupancy: 8
; WaveLimiterHint : 0
; COMPUTE_PGM_RSRC2:SCRATCH_EN: 0
; COMPUTE_PGM_RSRC2:USER_SGPR: 6
; COMPUTE_PGM_RSRC2:TRAP_HANDLER: 0
; COMPUTE_PGM_RSRC2:TGID_X_EN: 1
; COMPUTE_PGM_RSRC2:TGID_Y_EN: 0
; COMPUTE_PGM_RSRC2:TGID_Z_EN: 0
; COMPUTE_PGM_RSRC2:TIDIG_COMP_CNT: 0
; COMPUTE_PGM_RSRC3_GFX90A:ACCUM_OFFSET: 0
; COMPUTE_PGM_RSRC3_GFX90A:TG_SPLIT: 0
	.section	.text._ZN7rocprim17ROCPRIM_400000_NS6detail17trampoline_kernelINS0_14default_configENS1_25partition_config_selectorILNS1_17partition_subalgoE1ExNS0_10empty_typeEbEEZZNS1_14partition_implILS5_1ELb0ES3_jN6thrust23THRUST_200600_302600_NS6detail15normal_iteratorINSA_10device_ptrIxEEEEPS6_NSA_18transform_iteratorI7is_evenIxESF_NSA_11use_defaultESK_EENS0_5tupleIJNSA_16discard_iteratorISK_EESO_EEENSM_IJSG_SG_EEES6_PlJS6_EEE10hipError_tPvRmT3_T4_T5_T6_T7_T9_mT8_P12ihipStream_tbDpT10_ENKUlT_T0_E_clISt17integral_constantIbLb1EES1A_IbLb0EEEEDaS16_S17_EUlS16_E_NS1_11comp_targetILNS1_3genE4ELNS1_11target_archE910ELNS1_3gpuE8ELNS1_3repE0EEENS1_30default_config_static_selectorELNS0_4arch9wavefront6targetE1EEEvT1_,"axG",@progbits,_ZN7rocprim17ROCPRIM_400000_NS6detail17trampoline_kernelINS0_14default_configENS1_25partition_config_selectorILNS1_17partition_subalgoE1ExNS0_10empty_typeEbEEZZNS1_14partition_implILS5_1ELb0ES3_jN6thrust23THRUST_200600_302600_NS6detail15normal_iteratorINSA_10device_ptrIxEEEEPS6_NSA_18transform_iteratorI7is_evenIxESF_NSA_11use_defaultESK_EENS0_5tupleIJNSA_16discard_iteratorISK_EESO_EEENSM_IJSG_SG_EEES6_PlJS6_EEE10hipError_tPvRmT3_T4_T5_T6_T7_T9_mT8_P12ihipStream_tbDpT10_ENKUlT_T0_E_clISt17integral_constantIbLb1EES1A_IbLb0EEEEDaS16_S17_EUlS16_E_NS1_11comp_targetILNS1_3genE4ELNS1_11target_archE910ELNS1_3gpuE8ELNS1_3repE0EEENS1_30default_config_static_selectorELNS0_4arch9wavefront6targetE1EEEvT1_,comdat
	.protected	_ZN7rocprim17ROCPRIM_400000_NS6detail17trampoline_kernelINS0_14default_configENS1_25partition_config_selectorILNS1_17partition_subalgoE1ExNS0_10empty_typeEbEEZZNS1_14partition_implILS5_1ELb0ES3_jN6thrust23THRUST_200600_302600_NS6detail15normal_iteratorINSA_10device_ptrIxEEEEPS6_NSA_18transform_iteratorI7is_evenIxESF_NSA_11use_defaultESK_EENS0_5tupleIJNSA_16discard_iteratorISK_EESO_EEENSM_IJSG_SG_EEES6_PlJS6_EEE10hipError_tPvRmT3_T4_T5_T6_T7_T9_mT8_P12ihipStream_tbDpT10_ENKUlT_T0_E_clISt17integral_constantIbLb1EES1A_IbLb0EEEEDaS16_S17_EUlS16_E_NS1_11comp_targetILNS1_3genE4ELNS1_11target_archE910ELNS1_3gpuE8ELNS1_3repE0EEENS1_30default_config_static_selectorELNS0_4arch9wavefront6targetE1EEEvT1_ ; -- Begin function _ZN7rocprim17ROCPRIM_400000_NS6detail17trampoline_kernelINS0_14default_configENS1_25partition_config_selectorILNS1_17partition_subalgoE1ExNS0_10empty_typeEbEEZZNS1_14partition_implILS5_1ELb0ES3_jN6thrust23THRUST_200600_302600_NS6detail15normal_iteratorINSA_10device_ptrIxEEEEPS6_NSA_18transform_iteratorI7is_evenIxESF_NSA_11use_defaultESK_EENS0_5tupleIJNSA_16discard_iteratorISK_EESO_EEENSM_IJSG_SG_EEES6_PlJS6_EEE10hipError_tPvRmT3_T4_T5_T6_T7_T9_mT8_P12ihipStream_tbDpT10_ENKUlT_T0_E_clISt17integral_constantIbLb1EES1A_IbLb0EEEEDaS16_S17_EUlS16_E_NS1_11comp_targetILNS1_3genE4ELNS1_11target_archE910ELNS1_3gpuE8ELNS1_3repE0EEENS1_30default_config_static_selectorELNS0_4arch9wavefront6targetE1EEEvT1_
	.globl	_ZN7rocprim17ROCPRIM_400000_NS6detail17trampoline_kernelINS0_14default_configENS1_25partition_config_selectorILNS1_17partition_subalgoE1ExNS0_10empty_typeEbEEZZNS1_14partition_implILS5_1ELb0ES3_jN6thrust23THRUST_200600_302600_NS6detail15normal_iteratorINSA_10device_ptrIxEEEEPS6_NSA_18transform_iteratorI7is_evenIxESF_NSA_11use_defaultESK_EENS0_5tupleIJNSA_16discard_iteratorISK_EESO_EEENSM_IJSG_SG_EEES6_PlJS6_EEE10hipError_tPvRmT3_T4_T5_T6_T7_T9_mT8_P12ihipStream_tbDpT10_ENKUlT_T0_E_clISt17integral_constantIbLb1EES1A_IbLb0EEEEDaS16_S17_EUlS16_E_NS1_11comp_targetILNS1_3genE4ELNS1_11target_archE910ELNS1_3gpuE8ELNS1_3repE0EEENS1_30default_config_static_selectorELNS0_4arch9wavefront6targetE1EEEvT1_
	.p2align	8
	.type	_ZN7rocprim17ROCPRIM_400000_NS6detail17trampoline_kernelINS0_14default_configENS1_25partition_config_selectorILNS1_17partition_subalgoE1ExNS0_10empty_typeEbEEZZNS1_14partition_implILS5_1ELb0ES3_jN6thrust23THRUST_200600_302600_NS6detail15normal_iteratorINSA_10device_ptrIxEEEEPS6_NSA_18transform_iteratorI7is_evenIxESF_NSA_11use_defaultESK_EENS0_5tupleIJNSA_16discard_iteratorISK_EESO_EEENSM_IJSG_SG_EEES6_PlJS6_EEE10hipError_tPvRmT3_T4_T5_T6_T7_T9_mT8_P12ihipStream_tbDpT10_ENKUlT_T0_E_clISt17integral_constantIbLb1EES1A_IbLb0EEEEDaS16_S17_EUlS16_E_NS1_11comp_targetILNS1_3genE4ELNS1_11target_archE910ELNS1_3gpuE8ELNS1_3repE0EEENS1_30default_config_static_selectorELNS0_4arch9wavefront6targetE1EEEvT1_,@function
_ZN7rocprim17ROCPRIM_400000_NS6detail17trampoline_kernelINS0_14default_configENS1_25partition_config_selectorILNS1_17partition_subalgoE1ExNS0_10empty_typeEbEEZZNS1_14partition_implILS5_1ELb0ES3_jN6thrust23THRUST_200600_302600_NS6detail15normal_iteratorINSA_10device_ptrIxEEEEPS6_NSA_18transform_iteratorI7is_evenIxESF_NSA_11use_defaultESK_EENS0_5tupleIJNSA_16discard_iteratorISK_EESO_EEENSM_IJSG_SG_EEES6_PlJS6_EEE10hipError_tPvRmT3_T4_T5_T6_T7_T9_mT8_P12ihipStream_tbDpT10_ENKUlT_T0_E_clISt17integral_constantIbLb1EES1A_IbLb0EEEEDaS16_S17_EUlS16_E_NS1_11comp_targetILNS1_3genE4ELNS1_11target_archE910ELNS1_3gpuE8ELNS1_3repE0EEENS1_30default_config_static_selectorELNS0_4arch9wavefront6targetE1EEEvT1_: ; @_ZN7rocprim17ROCPRIM_400000_NS6detail17trampoline_kernelINS0_14default_configENS1_25partition_config_selectorILNS1_17partition_subalgoE1ExNS0_10empty_typeEbEEZZNS1_14partition_implILS5_1ELb0ES3_jN6thrust23THRUST_200600_302600_NS6detail15normal_iteratorINSA_10device_ptrIxEEEEPS6_NSA_18transform_iteratorI7is_evenIxESF_NSA_11use_defaultESK_EENS0_5tupleIJNSA_16discard_iteratorISK_EESO_EEENSM_IJSG_SG_EEES6_PlJS6_EEE10hipError_tPvRmT3_T4_T5_T6_T7_T9_mT8_P12ihipStream_tbDpT10_ENKUlT_T0_E_clISt17integral_constantIbLb1EES1A_IbLb0EEEEDaS16_S17_EUlS16_E_NS1_11comp_targetILNS1_3genE4ELNS1_11target_archE910ELNS1_3gpuE8ELNS1_3repE0EEENS1_30default_config_static_selectorELNS0_4arch9wavefront6targetE1EEEvT1_
; %bb.0:
	s_load_dwordx2 s[0:1], s[4:5], 0x70
	s_load_dwordx4 s[12:15], s[4:5], 0x8
	s_load_dwordx2 s[2:3], s[4:5], 0x20
	s_load_dwordx4 s[20:23], s[4:5], 0x60
	v_lshrrev_b32_e32 v1, 2, v0
	s_waitcnt lgkmcnt(0)
	v_mov_b32_e32 v3, s1
	s_load_dword s1, s[4:5], 0x88
	s_lshl_b64 s[8:9], s[14:15], 3
	s_add_u32 s16, s12, s8
	s_addc_u32 s17, s13, s9
	v_mov_b32_e32 v2, s0
	s_waitcnt lgkmcnt(0)
	s_add_i32 s10, s1, -1
	s_mulk_i32 s1, 0x300
	s_add_i32 s7, s1, s14
	s_sub_i32 s7, s0, s7
	s_addk_i32 s7, 0x300
	s_add_u32 s0, s14, s1
	s_addc_u32 s1, s15, 0
	s_cmp_eq_u32 s6, s10
	s_load_dwordx2 s[18:19], s[22:23], 0x0
	s_cselect_b64 s[22:23], -1, 0
	s_cmp_lg_u32 s6, s10
	s_mul_i32 s12, s6, 0x300
	s_mov_b32 s13, 0
	v_cmp_lt_u64_e32 vcc, s[0:1], v[2:3]
	s_cselect_b64 s[0:1], -1, 0
	s_or_b64 s[10:11], s[0:1], vcc
	s_lshl_b64 s[12:13], s[12:13], 3
	s_add_u32 s16, s16, s12
	s_addc_u32 s17, s17, s13
	s_mov_b64 s[0:1], -1
	s_and_b64 vcc, exec, s[10:11]
	s_cbranch_vccz .LBB3181_2
; %bb.1:
	v_lshlrev_b32_e32 v14, 3, v0
	v_mov_b32_e32 v3, s17
	v_add_co_u32_e32 v2, vcc, s16, v14
	v_addc_co_u32_e32 v3, vcc, 0, v3, vcc
	v_add_co_u32_e32 v4, vcc, 0x1000, v2
	v_addc_co_u32_e32 v5, vcc, 0, v3, vcc
	flat_load_dwordx2 v[6:7], v[2:3]
	flat_load_dwordx2 v[8:9], v[2:3] offset:1536
	flat_load_dwordx2 v[10:11], v[2:3] offset:3072
	;; [unrolled: 1-line block ×3, first 2 shown]
	v_add_u32_e32 v3, 0xc0, v0
	v_add_u32_e32 v4, 0x180, v0
	;; [unrolled: 1-line block ×3, first 2 shown]
	v_and_b32_e32 v2, 56, v1
	v_lshrrev_b32_e32 v3, 2, v3
	v_lshrrev_b32_e32 v4, 2, v4
	;; [unrolled: 1-line block ×3, first 2 shown]
	v_add_u32_e32 v2, v2, v14
	v_and_b32_e32 v3, 0x78, v3
	v_and_b32_e32 v4, 0xf8, v4
	;; [unrolled: 1-line block ×3, first 2 shown]
	v_add_u32_e32 v3, v3, v14
	v_add_u32_e32 v4, v4, v14
	;; [unrolled: 1-line block ×3, first 2 shown]
	s_mov_b64 s[0:1], 0
	s_waitcnt vmcnt(0) lgkmcnt(0)
	ds_write_b64 v2, v[6:7]
	ds_write_b64 v3, v[8:9] offset:1536
	ds_write_b64 v4, v[10:11] offset:3072
	;; [unrolled: 1-line block ×3, first 2 shown]
	s_waitcnt lgkmcnt(0)
	s_barrier
.LBB3181_2:
	s_andn2_b64 vcc, exec, s[0:1]
	v_cmp_gt_u32_e64 s[0:1], s7, v0
	s_cbranch_vccnz .LBB3181_12
; %bb.3:
                                        ; implicit-def: $vgpr2_vgpr3_vgpr4_vgpr5_vgpr6_vgpr7_vgpr8_vgpr9
	s_and_saveexec_b64 s[14:15], s[0:1]
	s_cbranch_execz .LBB3181_5
; %bb.4:
	v_lshlrev_b32_e32 v2, 3, v0
	v_mov_b32_e32 v3, s17
	v_add_co_u32_e32 v2, vcc, s16, v2
	v_addc_co_u32_e32 v3, vcc, 0, v3, vcc
	flat_load_dwordx2 v[2:3], v[2:3]
.LBB3181_5:
	s_or_b64 exec, exec, s[14:15]
	v_add_u32_e32 v10, 0xc0, v0
	v_cmp_gt_u32_e32 vcc, s7, v10
	s_and_saveexec_b64 s[0:1], vcc
	s_cbranch_execz .LBB3181_7
; %bb.6:
	v_lshlrev_b32_e32 v4, 3, v0
	v_mov_b32_e32 v5, s17
	v_add_co_u32_e32 v4, vcc, s16, v4
	v_addc_co_u32_e32 v5, vcc, 0, v5, vcc
	flat_load_dwordx2 v[4:5], v[4:5] offset:1536
.LBB3181_7:
	s_or_b64 exec, exec, s[0:1]
	v_add_u32_e32 v11, 0x180, v0
	v_cmp_gt_u32_e32 vcc, s7, v11
	s_and_saveexec_b64 s[0:1], vcc
	s_cbranch_execz .LBB3181_9
; %bb.8:
	v_lshlrev_b32_e32 v6, 3, v0
	v_mov_b32_e32 v7, s17
	v_add_co_u32_e32 v6, vcc, s16, v6
	v_addc_co_u32_e32 v7, vcc, 0, v7, vcc
	flat_load_dwordx2 v[6:7], v[6:7] offset:3072
.LBB3181_9:
	s_or_b64 exec, exec, s[0:1]
	v_add_u32_e32 v12, 0x240, v0
	v_cmp_gt_u32_e32 vcc, s7, v12
	s_and_saveexec_b64 s[0:1], vcc
	s_cbranch_execz .LBB3181_11
; %bb.10:
	v_lshlrev_b32_e32 v8, 3, v12
	v_mov_b32_e32 v9, s17
	v_add_co_u32_e32 v8, vcc, s16, v8
	v_addc_co_u32_e32 v9, vcc, 0, v9, vcc
	flat_load_dwordx2 v[8:9], v[8:9]
.LBB3181_11:
	s_or_b64 exec, exec, s[0:1]
	v_and_b32_e32 v1, 56, v1
	v_lshlrev_b32_e32 v13, 3, v0
	v_add_u32_e32 v1, v1, v13
	s_waitcnt vmcnt(0) lgkmcnt(0)
	ds_write_b64 v1, v[2:3]
	v_lshrrev_b32_e32 v1, 2, v10
	v_and_b32_e32 v1, 0x78, v1
	v_add_u32_e32 v1, v1, v13
	ds_write_b64 v1, v[4:5] offset:1536
	v_lshrrev_b32_e32 v1, 2, v11
	v_and_b32_e32 v1, 0xf8, v1
	v_add_u32_e32 v1, v1, v13
	ds_write_b64 v1, v[6:7] offset:3072
	;; [unrolled: 4-line block ×3, first 2 shown]
	s_waitcnt lgkmcnt(0)
	s_barrier
.LBB3181_12:
	v_lshlrev_b32_e32 v1, 2, v0
	v_lshrrev_b32_e32 v10, 3, v0
	v_add_lshl_u32 v2, v10, v1, 3
	s_waitcnt lgkmcnt(0)
	ds_read2_b64 v[6:9], v2 offset1:1
	ds_read2_b64 v[2:5], v2 offset0:2 offset1:3
	s_add_u32 s0, s2, s8
	s_addc_u32 s1, s3, s9
	s_add_u32 s0, s0, s12
	s_addc_u32 s1, s1, s13
	s_mov_b64 s[2:3], -1
	s_and_b64 vcc, exec, s[10:11]
	v_lshrrev_b32_e32 v11, 5, v0
	s_waitcnt lgkmcnt(0)
	s_barrier
	s_cbranch_vccz .LBB3181_14
; %bb.13:
	v_lshlrev_b32_e32 v18, 3, v0
	global_load_dwordx2 v[12:13], v18, s[0:1]
	global_load_dwordx2 v[14:15], v18, s[0:1] offset:1536
	global_load_dwordx2 v[16:17], v18, s[0:1] offset:3072
	v_mov_b32_e32 v19, s1
	s_waitcnt vmcnt(2)
	v_add_co_u32_e32 v13, vcc, s0, v18
	s_waitcnt vmcnt(1)
	v_addc_co_u32_e32 v15, vcc, 0, v19, vcc
	v_add_co_u32_e32 v18, vcc, 0x1000, v13
	v_addc_co_u32_e32 v19, vcc, 0, v15, vcc
	global_load_dwordx2 v[18:19], v[18:19], off offset:512
	v_add_u32_e32 v15, 0xc0, v0
	s_waitcnt vmcnt(1)
	v_add_u32_e32 v17, 0x180, v0
	v_and_b32_e32 v13, 4, v11
	s_waitcnt vmcnt(0)
	v_add_u32_e32 v19, 0x240, v0
	v_lshrrev_b32_e32 v15, 5, v15
	v_lshrrev_b32_e32 v17, 5, v17
	v_add_u32_e32 v13, v13, v0
	v_lshrrev_b32_e32 v19, 5, v19
	v_and_b32_e32 v15, 12, v15
	v_and_b32_e32 v17, 28, v17
	;; [unrolled: 1-line block ×3, first 2 shown]
	v_add_u32_e32 v15, v15, v0
	v_add_u32_e32 v17, v17, v0
	;; [unrolled: 1-line block ×3, first 2 shown]
	s_mov_b64 s[2:3], 0
	v_xor_b32_e32 v12, -1, v12
	v_xor_b32_e32 v14, -1, v14
	;; [unrolled: 1-line block ×3, first 2 shown]
	v_and_b32_e32 v12, 1, v12
	v_and_b32_e32 v14, 1, v14
	;; [unrolled: 1-line block ×3, first 2 shown]
	ds_write_b8 v13, v12
	ds_write_b8 v15, v14 offset:192
	ds_write_b8 v17, v16 offset:384
	v_xor_b32_e32 v12, -1, v18
	v_and_b32_e32 v12, 1, v12
	ds_write_b8 v19, v12 offset:576
	s_waitcnt lgkmcnt(0)
	s_barrier
.LBB3181_14:
	s_load_dwordx2 s[24:25], s[4:5], 0x80
	s_andn2_b64 vcc, exec, s[2:3]
	s_cbranch_vccnz .LBB3181_24
; %bb.15:
	v_cmp_gt_u32_e32 vcc, s7, v0
	v_mov_b32_e32 v12, 0
	v_mov_b32_e32 v13, 0
	s_and_saveexec_b64 s[2:3], vcc
	s_cbranch_execz .LBB3181_17
; %bb.16:
	v_lshlrev_b32_e32 v13, 3, v0
	global_load_dwordx2 v[14:15], v13, s[0:1]
	s_waitcnt vmcnt(0)
	v_xor_b32_e32 v13, -1, v14
	v_and_b32_e32 v13, 1, v13
.LBB3181_17:
	s_or_b64 exec, exec, s[2:3]
	v_add_u32_e32 v14, 0xc0, v0
	v_cmp_gt_u32_e32 vcc, s7, v14
	s_and_saveexec_b64 s[2:3], vcc
	s_cbranch_execz .LBB3181_19
; %bb.18:
	v_lshlrev_b32_e32 v12, 3, v0
	global_load_dwordx2 v[16:17], v12, s[0:1] offset:1536
	s_waitcnt vmcnt(0)
	v_xor_b32_e32 v12, -1, v16
	v_and_b32_e32 v12, 1, v12
.LBB3181_19:
	s_or_b64 exec, exec, s[2:3]
	v_add_u32_e32 v16, 0x180, v0
	v_cmp_gt_u32_e32 vcc, s7, v16
	v_mov_b32_e32 v15, 0
	v_mov_b32_e32 v17, 0
	s_and_saveexec_b64 s[2:3], vcc
	s_cbranch_execz .LBB3181_21
; %bb.20:
	v_lshlrev_b32_e32 v17, 3, v0
	global_load_dwordx2 v[18:19], v17, s[0:1] offset:3072
	s_waitcnt vmcnt(0)
	v_xor_b32_e32 v17, -1, v18
	v_and_b32_e32 v17, 1, v17
.LBB3181_21:
	s_or_b64 exec, exec, s[2:3]
	v_add_u32_e32 v18, 0x240, v0
	v_cmp_gt_u32_e32 vcc, s7, v18
	s_and_saveexec_b64 s[2:3], vcc
	s_cbranch_execz .LBB3181_23
; %bb.22:
	v_lshlrev_b32_e32 v15, 3, v18
	global_load_dwordx2 v[20:21], v15, s[0:1]
	s_waitcnt vmcnt(0)
	v_xor_b32_e32 v15, -1, v20
	v_and_b32_e32 v15, 1, v15
.LBB3181_23:
	s_or_b64 exec, exec, s[2:3]
	v_and_b32_e32 v11, 4, v11
	v_add_u32_e32 v11, v11, v0
	ds_write_b8 v11, v13
	v_lshrrev_b32_e32 v11, 5, v14
	v_and_b32_e32 v11, 12, v11
	v_add_u32_e32 v11, v11, v0
	ds_write_b8 v11, v12 offset:192
	v_lshrrev_b32_e32 v11, 5, v16
	v_and_b32_e32 v11, 28, v11
	v_add_u32_e32 v11, v11, v0
	ds_write_b8 v11, v17 offset:384
	;; [unrolled: 4-line block ×3, first 2 shown]
	s_waitcnt lgkmcnt(0)
	s_barrier
.LBB3181_24:
	v_and_b32_e32 v10, 28, v10
	v_add_u32_e32 v10, v10, v1
	s_waitcnt lgkmcnt(0)
	ds_read_b32 v21, v10
	s_cmp_lg_u32 s6, 0
	v_lshrrev_b32_e32 v24, 6, v0
	s_waitcnt lgkmcnt(0)
	s_barrier
	v_lshrrev_b32_e32 v20, 24, v21
	v_bfe_u32 v22, v21, 16, 8
	v_add_u32_sdwa v10, v21, v21 dst_sel:DWORD dst_unused:UNUSED_PAD src0_sel:BYTE_1 src1_sel:BYTE_0
	v_add3_u32 v25, v10, v22, v20
	v_mbcnt_lo_u32_b32 v10, -1, 0
	v_mbcnt_hi_u32_b32 v23, -1, v10
	v_and_b32_e32 v10, 15, v23
	v_cmp_eq_u32_e64 s[12:13], 0, v10
	v_cmp_lt_u32_e64 s[10:11], 1, v10
	v_cmp_lt_u32_e64 s[8:9], 3, v10
	;; [unrolled: 1-line block ×3, first 2 shown]
	v_and_b32_e32 v10, 16, v23
	v_cmp_eq_u32_e64 s[2:3], 0, v10
	v_and_b32_e32 v10, 0xc0, v0
	v_min_u32_e32 v10, 0x80, v10
	v_or_b32_e32 v10, 63, v10
	v_cmp_lt_u32_e64 s[0:1], 31, v23
	v_cmp_eq_u32_e64 s[4:5], v10, v0
	s_cbranch_scc0 .LBB3181_55
; %bb.25:
	v_mov_b32_dpp v10, v25 row_shr:1 row_mask:0xf bank_mask:0xf
	v_cndmask_b32_e64 v10, v10, 0, s[12:13]
	v_add_u32_e32 v10, v10, v25
	s_nop 1
	v_mov_b32_dpp v11, v10 row_shr:2 row_mask:0xf bank_mask:0xf
	v_cndmask_b32_e64 v11, 0, v11, s[10:11]
	v_add_u32_e32 v10, v10, v11
	s_nop 1
	;; [unrolled: 4-line block ×4, first 2 shown]
	v_mov_b32_dpp v11, v10 row_bcast:15 row_mask:0xf bank_mask:0xf
	v_cndmask_b32_e64 v11, v11, 0, s[2:3]
	v_add_u32_e32 v10, v10, v11
	s_nop 1
	v_mov_b32_dpp v11, v10 row_bcast:31 row_mask:0xf bank_mask:0xf
	v_cndmask_b32_e64 v11, 0, v11, s[0:1]
	v_add_u32_e32 v10, v10, v11
	s_and_saveexec_b64 s[14:15], s[4:5]
	s_cbranch_execz .LBB3181_27
; %bb.26:
	v_lshlrev_b32_e32 v11, 2, v24
	ds_write_b32 v11, v10
.LBB3181_27:
	s_or_b64 exec, exec, s[14:15]
	v_cmp_gt_u32_e32 vcc, 3, v0
	s_waitcnt lgkmcnt(0)
	s_barrier
	s_and_saveexec_b64 s[14:15], vcc
	s_cbranch_execz .LBB3181_29
; %bb.28:
	ds_read_b32 v11, v1
	v_and_b32_e32 v12, 3, v23
	v_cmp_ne_u32_e32 vcc, 0, v12
	s_waitcnt lgkmcnt(0)
	v_mov_b32_dpp v13, v11 row_shr:1 row_mask:0xf bank_mask:0xf
	v_cndmask_b32_e32 v13, 0, v13, vcc
	v_add_u32_e32 v11, v13, v11
	v_cmp_lt_u32_e32 vcc, 1, v12
	s_nop 0
	v_mov_b32_dpp v13, v11 row_shr:2 row_mask:0xf bank_mask:0xf
	v_cndmask_b32_e32 v12, 0, v13, vcc
	v_add_u32_e32 v11, v11, v12
	ds_write_b32 v1, v11
.LBB3181_29:
	s_or_b64 exec, exec, s[14:15]
	v_cmp_gt_u32_e32 vcc, 64, v0
	v_cmp_lt_u32_e64 s[14:15], 63, v0
	s_waitcnt lgkmcnt(0)
	s_barrier
	s_waitcnt lgkmcnt(0)
                                        ; implicit-def: $vgpr26
	s_and_saveexec_b64 s[26:27], s[14:15]
	s_cbranch_execz .LBB3181_31
; %bb.30:
	v_lshl_add_u32 v11, v24, 2, -4
	ds_read_b32 v26, v11
	s_waitcnt lgkmcnt(0)
	v_add_u32_e32 v10, v26, v10
.LBB3181_31:
	s_or_b64 exec, exec, s[26:27]
	v_add_u32_e32 v11, -1, v23
	v_and_b32_e32 v12, 64, v23
	v_cmp_lt_i32_e64 s[14:15], v11, v12
	v_cndmask_b32_e64 v11, v11, v23, s[14:15]
	v_lshlrev_b32_e32 v11, 2, v11
	ds_bpermute_b32 v27, v11, v10
	v_cmp_eq_u32_e64 s[14:15], 0, v23
	s_and_saveexec_b64 s[26:27], vcc
	s_cbranch_execz .LBB3181_54
; %bb.32:
	v_mov_b32_e32 v19, 0
	ds_read_b32 v10, v19 offset:8
	s_and_saveexec_b64 s[28:29], s[14:15]
	s_cbranch_execz .LBB3181_34
; %bb.33:
	s_add_i32 s30, s6, 64
	s_mov_b32 s31, 0
	s_lshl_b64 s[30:31], s[30:31], 3
	s_add_u32 s30, s24, s30
	v_mov_b32_e32 v11, 1
	s_addc_u32 s31, s25, s31
	s_waitcnt lgkmcnt(0)
	global_store_dwordx2 v19, v[10:11], s[30:31]
.LBB3181_34:
	s_or_b64 exec, exec, s[28:29]
	v_xad_u32 v12, v23, -1, s6
	v_add_u32_e32 v18, 64, v12
	v_lshlrev_b64 v[14:15], 3, v[18:19]
	v_mov_b32_e32 v11, s25
	v_add_co_u32_e32 v14, vcc, s24, v14
	v_addc_co_u32_e32 v15, vcc, v11, v15, vcc
	global_load_dwordx2 v[16:17], v[14:15], off glc
	s_waitcnt vmcnt(0)
	v_cmp_eq_u16_sdwa s[30:31], v17, v19 src0_sel:BYTE_0 src1_sel:DWORD
	s_and_saveexec_b64 s[28:29], s[30:31]
	s_cbranch_execz .LBB3181_40
; %bb.35:
	s_mov_b32 s7, 1
	s_mov_b64 s[30:31], 0
	v_mov_b32_e32 v11, 0
.LBB3181_36:                            ; =>This Loop Header: Depth=1
                                        ;     Child Loop BB3181_37 Depth 2
	s_max_u32 s33, s7, 1
.LBB3181_37:                            ;   Parent Loop BB3181_36 Depth=1
                                        ; =>  This Inner Loop Header: Depth=2
	s_add_i32 s33, s33, -1
	s_cmp_eq_u32 s33, 0
	s_sleep 1
	s_cbranch_scc0 .LBB3181_37
; %bb.38:                               ;   in Loop: Header=BB3181_36 Depth=1
	global_load_dwordx2 v[16:17], v[14:15], off glc
	s_cmp_lt_u32 s7, 32
	s_cselect_b64 s[34:35], -1, 0
	s_cmp_lg_u64 s[34:35], 0
	s_addc_u32 s7, s7, 0
	s_waitcnt vmcnt(0)
	v_cmp_ne_u16_sdwa s[34:35], v17, v11 src0_sel:BYTE_0 src1_sel:DWORD
	s_or_b64 s[30:31], s[34:35], s[30:31]
	s_andn2_b64 exec, exec, s[30:31]
	s_cbranch_execnz .LBB3181_36
; %bb.39:
	s_or_b64 exec, exec, s[30:31]
.LBB3181_40:
	s_or_b64 exec, exec, s[28:29]
	v_and_b32_e32 v29, 63, v23
	v_mov_b32_e32 v28, 2
	v_cmp_ne_u32_e32 vcc, 63, v29
	v_cmp_eq_u16_sdwa s[28:29], v17, v28 src0_sel:BYTE_0 src1_sel:DWORD
	v_lshlrev_b64 v[14:15], v23, -1
	v_addc_co_u32_e32 v18, vcc, 0, v23, vcc
	v_and_b32_e32 v11, s29, v15
	v_lshlrev_b32_e32 v30, 2, v18
	v_or_b32_e32 v11, 0x80000000, v11
	ds_bpermute_b32 v18, v30, v16
	v_and_b32_e32 v13, s28, v14
	v_ffbl_b32_e32 v11, v11
	v_add_u32_e32 v11, 32, v11
	v_ffbl_b32_e32 v13, v13
	v_min_u32_e32 v11, v13, v11
	v_cmp_lt_u32_e32 vcc, v29, v11
	s_waitcnt lgkmcnt(0)
	v_cndmask_b32_e32 v13, 0, v18, vcc
	v_cmp_gt_u32_e32 vcc, 62, v29
	v_add_u32_e32 v13, v13, v16
	v_cndmask_b32_e64 v16, 0, 1, vcc
	v_lshlrev_b32_e32 v16, 1, v16
	v_add_lshl_u32 v31, v16, v23, 2
	ds_bpermute_b32 v16, v31, v13
	v_add_u32_e32 v32, 2, v29
	v_cmp_le_u32_e32 vcc, v32, v11
	v_add_u32_e32 v34, 4, v29
	v_add_u32_e32 v36, 8, v29
	s_waitcnt lgkmcnt(0)
	v_cndmask_b32_e32 v16, 0, v16, vcc
	v_cmp_gt_u32_e32 vcc, 60, v29
	v_add_u32_e32 v13, v13, v16
	v_cndmask_b32_e64 v16, 0, 1, vcc
	v_lshlrev_b32_e32 v16, 2, v16
	v_add_lshl_u32 v33, v16, v23, 2
	ds_bpermute_b32 v16, v33, v13
	v_cmp_le_u32_e32 vcc, v34, v11
	v_add_u32_e32 v38, 16, v29
	v_add_u32_e32 v40, 32, v29
	s_waitcnt lgkmcnt(0)
	v_cndmask_b32_e32 v16, 0, v16, vcc
	v_cmp_gt_u32_e32 vcc, 56, v29
	v_add_u32_e32 v13, v13, v16
	v_cndmask_b32_e64 v16, 0, 1, vcc
	v_lshlrev_b32_e32 v16, 3, v16
	v_add_lshl_u32 v35, v16, v23, 2
	ds_bpermute_b32 v16, v35, v13
	v_cmp_le_u32_e32 vcc, v36, v11
	s_waitcnt lgkmcnt(0)
	v_cndmask_b32_e32 v16, 0, v16, vcc
	v_cmp_gt_u32_e32 vcc, 48, v29
	v_add_u32_e32 v13, v13, v16
	v_cndmask_b32_e64 v16, 0, 1, vcc
	v_lshlrev_b32_e32 v16, 4, v16
	v_add_lshl_u32 v37, v16, v23, 2
	ds_bpermute_b32 v16, v37, v13
	v_cmp_le_u32_e32 vcc, v38, v11
	;; [unrolled: 9-line block ×3, first 2 shown]
	s_waitcnt lgkmcnt(0)
	v_cndmask_b32_e32 v11, 0, v16, vcc
	v_add_u32_e32 v16, v13, v11
	v_mov_b32_e32 v13, 0
	s_branch .LBB3181_42
.LBB3181_41:                            ;   in Loop: Header=BB3181_42 Depth=1
	s_or_b64 exec, exec, s[28:29]
	v_cmp_eq_u16_sdwa s[28:29], v17, v28 src0_sel:BYTE_0 src1_sel:DWORD
	v_and_b32_e32 v18, s29, v15
	v_or_b32_e32 v18, 0x80000000, v18
	ds_bpermute_b32 v41, v30, v16
	v_and_b32_e32 v19, s28, v14
	v_ffbl_b32_e32 v18, v18
	v_add_u32_e32 v18, 32, v18
	v_ffbl_b32_e32 v19, v19
	v_min_u32_e32 v18, v19, v18
	v_cmp_lt_u32_e32 vcc, v29, v18
	s_waitcnt lgkmcnt(0)
	v_cndmask_b32_e32 v19, 0, v41, vcc
	v_add_u32_e32 v16, v19, v16
	ds_bpermute_b32 v19, v31, v16
	v_cmp_le_u32_e32 vcc, v32, v18
	v_subrev_u32_e32 v12, 64, v12
	s_waitcnt lgkmcnt(0)
	v_cndmask_b32_e32 v19, 0, v19, vcc
	v_add_u32_e32 v16, v16, v19
	ds_bpermute_b32 v19, v33, v16
	v_cmp_le_u32_e32 vcc, v34, v18
	s_waitcnt lgkmcnt(0)
	v_cndmask_b32_e32 v19, 0, v19, vcc
	v_add_u32_e32 v16, v16, v19
	ds_bpermute_b32 v19, v35, v16
	v_cmp_le_u32_e32 vcc, v36, v18
	;; [unrolled: 5-line block ×4, first 2 shown]
	s_waitcnt lgkmcnt(0)
	v_cndmask_b32_e32 v18, 0, v19, vcc
	v_add3_u32 v16, v18, v11, v16
.LBB3181_42:                            ; =>This Loop Header: Depth=1
                                        ;     Child Loop BB3181_45 Depth 2
                                        ;       Child Loop BB3181_46 Depth 3
	v_cmp_ne_u16_sdwa s[28:29], v17, v28 src0_sel:BYTE_0 src1_sel:DWORD
	v_cndmask_b32_e64 v11, 0, 1, s[28:29]
	;;#ASMSTART
	;;#ASMEND
	v_cmp_ne_u32_e32 vcc, 0, v11
	s_cmp_lg_u64 vcc, exec
	v_mov_b32_e32 v11, v16
	s_cbranch_scc1 .LBB3181_49
; %bb.43:                               ;   in Loop: Header=BB3181_42 Depth=1
	v_lshlrev_b64 v[16:17], 3, v[12:13]
	v_mov_b32_e32 v19, s25
	v_add_co_u32_e32 v18, vcc, s24, v16
	v_addc_co_u32_e32 v19, vcc, v19, v17, vcc
	global_load_dwordx2 v[16:17], v[18:19], off glc
	s_waitcnt vmcnt(0)
	v_cmp_eq_u16_sdwa s[30:31], v17, v13 src0_sel:BYTE_0 src1_sel:DWORD
	s_and_saveexec_b64 s[28:29], s[30:31]
	s_cbranch_execz .LBB3181_41
; %bb.44:                               ;   in Loop: Header=BB3181_42 Depth=1
	s_mov_b32 s7, 1
	s_mov_b64 s[30:31], 0
.LBB3181_45:                            ;   Parent Loop BB3181_42 Depth=1
                                        ; =>  This Loop Header: Depth=2
                                        ;       Child Loop BB3181_46 Depth 3
	s_max_u32 s33, s7, 1
.LBB3181_46:                            ;   Parent Loop BB3181_42 Depth=1
                                        ;     Parent Loop BB3181_45 Depth=2
                                        ; =>    This Inner Loop Header: Depth=3
	s_add_i32 s33, s33, -1
	s_cmp_eq_u32 s33, 0
	s_sleep 1
	s_cbranch_scc0 .LBB3181_46
; %bb.47:                               ;   in Loop: Header=BB3181_45 Depth=2
	global_load_dwordx2 v[16:17], v[18:19], off glc
	s_cmp_lt_u32 s7, 32
	s_cselect_b64 s[34:35], -1, 0
	s_cmp_lg_u64 s[34:35], 0
	s_addc_u32 s7, s7, 0
	s_waitcnt vmcnt(0)
	v_cmp_ne_u16_sdwa s[34:35], v17, v13 src0_sel:BYTE_0 src1_sel:DWORD
	s_or_b64 s[30:31], s[34:35], s[30:31]
	s_andn2_b64 exec, exec, s[30:31]
	s_cbranch_execnz .LBB3181_45
; %bb.48:                               ;   in Loop: Header=BB3181_42 Depth=1
	s_or_b64 exec, exec, s[30:31]
	s_branch .LBB3181_41
.LBB3181_49:                            ;   in Loop: Header=BB3181_42 Depth=1
                                        ; implicit-def: $vgpr16
                                        ; implicit-def: $vgpr17
	s_cbranch_execz .LBB3181_42
; %bb.50:
	s_and_saveexec_b64 s[28:29], s[14:15]
	s_cbranch_execz .LBB3181_52
; %bb.51:
	s_add_i32 s6, s6, 64
	s_mov_b32 s7, 0
	s_lshl_b64 s[6:7], s[6:7], 3
	s_add_u32 s6, s24, s6
	v_add_u32_e32 v12, v11, v10
	v_mov_b32_e32 v13, 2
	s_addc_u32 s7, s25, s7
	v_mov_b32_e32 v14, 0
	global_store_dwordx2 v14, v[12:13], s[6:7]
	ds_write_b64 v14, v[10:11] offset:6336
.LBB3181_52:
	s_or_b64 exec, exec, s[28:29]
	v_cmp_eq_u32_e32 vcc, 0, v0
	s_and_b64 exec, exec, vcc
	s_cbranch_execz .LBB3181_54
; %bb.53:
	v_mov_b32_e32 v10, 0
	ds_write_b32 v10, v11 offset:8
.LBB3181_54:
	s_or_b64 exec, exec, s[26:27]
	v_mov_b32_e32 v10, 0
	s_waitcnt lgkmcnt(0)
	s_barrier
	ds_read_b32 v11, v10 offset:8
	v_cndmask_b32_e64 v12, v27, v26, s[14:15]
	v_cmp_ne_u32_e32 vcc, 0, v0
	v_cndmask_b32_e32 v12, 0, v12, vcc
	s_waitcnt lgkmcnt(0)
	v_add_u32_e32 v14, v11, v12
	s_barrier
	ds_read_b64 v[10:11], v10 offset:6336
	v_add_u32_sdwa v15, v14, v21 dst_sel:DWORD dst_unused:UNUSED_PAD src0_sel:DWORD src1_sel:BYTE_0
	v_add_u32_sdwa v13, v15, v21 dst_sel:DWORD dst_unused:UNUSED_PAD src0_sel:DWORD src1_sel:BYTE_1
	v_add_u32_e32 v12, v13, v22
	s_branch .LBB3181_65
.LBB3181_55:
                                        ; implicit-def: $vgpr11
                                        ; implicit-def: $vgpr12
                                        ; implicit-def: $vgpr13
                                        ; implicit-def: $vgpr15
                                        ; implicit-def: $vgpr14
	s_cbranch_execz .LBB3181_65
; %bb.56:
	s_waitcnt lgkmcnt(0)
	v_mov_b32_dpp v10, v25 row_shr:1 row_mask:0xf bank_mask:0xf
	v_cndmask_b32_e64 v10, v10, 0, s[12:13]
	v_add_u32_e32 v10, v10, v25
	s_nop 1
	v_mov_b32_dpp v11, v10 row_shr:2 row_mask:0xf bank_mask:0xf
	v_cndmask_b32_e64 v11, 0, v11, s[10:11]
	v_add_u32_e32 v10, v10, v11
	s_nop 1
	;; [unrolled: 4-line block ×4, first 2 shown]
	v_mov_b32_dpp v11, v10 row_bcast:15 row_mask:0xf bank_mask:0xf
	v_cndmask_b32_e64 v11, v11, 0, s[2:3]
	v_add_u32_e32 v10, v10, v11
	s_nop 1
	v_mov_b32_dpp v11, v10 row_bcast:31 row_mask:0xf bank_mask:0xf
	v_cndmask_b32_e64 v11, 0, v11, s[0:1]
	v_add_u32_e32 v10, v10, v11
	s_and_saveexec_b64 s[0:1], s[4:5]
	s_cbranch_execz .LBB3181_58
; %bb.57:
	v_lshlrev_b32_e32 v11, 2, v24
	ds_write_b32 v11, v10
.LBB3181_58:
	s_or_b64 exec, exec, s[0:1]
	v_cmp_gt_u32_e32 vcc, 3, v0
	s_waitcnt lgkmcnt(0)
	s_barrier
	s_and_saveexec_b64 s[0:1], vcc
	s_cbranch_execz .LBB3181_60
; %bb.59:
	ds_read_b32 v11, v1
	v_and_b32_e32 v12, 3, v23
	v_cmp_ne_u32_e32 vcc, 0, v12
	s_waitcnt lgkmcnt(0)
	v_mov_b32_dpp v13, v11 row_shr:1 row_mask:0xf bank_mask:0xf
	v_cndmask_b32_e32 v13, 0, v13, vcc
	v_add_u32_e32 v11, v13, v11
	v_cmp_lt_u32_e32 vcc, 1, v12
	s_nop 0
	v_mov_b32_dpp v13, v11 row_shr:2 row_mask:0xf bank_mask:0xf
	v_cndmask_b32_e32 v12, 0, v13, vcc
	v_add_u32_e32 v11, v11, v12
	ds_write_b32 v1, v11
.LBB3181_60:
	s_or_b64 exec, exec, s[0:1]
	v_cmp_lt_u32_e32 vcc, 63, v0
	v_mov_b32_e32 v11, 0
	v_mov_b32_e32 v12, 0
	s_waitcnt lgkmcnt(0)
	s_barrier
	s_and_saveexec_b64 s[0:1], vcc
	s_cbranch_execz .LBB3181_62
; %bb.61:
	v_lshl_add_u32 v12, v24, 2, -4
	ds_read_b32 v12, v12
.LBB3181_62:
	s_or_b64 exec, exec, s[0:1]
	v_add_u32_e32 v13, -1, v23
	v_and_b32_e32 v14, 64, v23
	v_cmp_lt_i32_e32 vcc, v13, v14
	v_cndmask_b32_e32 v13, v13, v23, vcc
	s_waitcnt lgkmcnt(0)
	v_add_u32_e32 v10, v12, v10
	v_lshlrev_b32_e32 v13, 2, v13
	ds_bpermute_b32 v13, v13, v10
	ds_read_b32 v10, v11 offset:8
	v_cmp_eq_u32_e32 vcc, 0, v0
	s_and_saveexec_b64 s[0:1], vcc
	s_cbranch_execz .LBB3181_64
; %bb.63:
	v_mov_b32_e32 v14, 0
	v_mov_b32_e32 v11, 2
	s_waitcnt lgkmcnt(0)
	global_store_dwordx2 v14, v[10:11], s[24:25] offset:512
.LBB3181_64:
	s_or_b64 exec, exec, s[0:1]
	v_cmp_eq_u32_e64 s[0:1], 0, v23
	s_waitcnt lgkmcnt(1)
	v_cndmask_b32_e64 v12, v13, v12, s[0:1]
	v_cndmask_b32_e64 v14, v12, 0, vcc
	v_add_u32_sdwa v15, v14, v21 dst_sel:DWORD dst_unused:UNUSED_PAD src0_sel:DWORD src1_sel:BYTE_0
	v_add_u32_sdwa v13, v15, v21 dst_sel:DWORD dst_unused:UNUSED_PAD src0_sel:DWORD src1_sel:BYTE_1
	v_mov_b32_e32 v11, 0
	v_add_u32_e32 v12, v13, v22
	s_waitcnt lgkmcnt(0)
	s_barrier
.LBB3181_65:
	s_waitcnt lgkmcnt(0)
	v_add_u32_e32 v1, v10, v1
	v_sub_u32_e32 v14, v14, v11
	v_and_b32_e32 v18, 1, v21
	v_sub_u32_e32 v17, v1, v14
	v_cmp_eq_u32_e32 vcc, 1, v18
	v_cndmask_b32_e32 v14, v17, v14, vcc
	v_lshlrev_b32_e32 v14, 3, v14
	v_lshrrev_b32_e32 v16, 8, v21
	ds_write_b64 v14, v[6:7]
	v_sub_u32_e32 v6, v15, v11
	v_sub_u32_e32 v7, v1, v6
	v_and_b32_e32 v14, 1, v16
	v_add_u32_e32 v7, 1, v7
	v_cmp_eq_u32_e32 vcc, 1, v14
	v_cndmask_b32_e32 v6, v7, v6, vcc
	v_lshlrev_b32_e32 v6, 3, v6
	ds_write_b64 v6, v[8:9]
	v_sub_u32_e32 v6, v13, v11
	v_mov_b32_e32 v8, 1
	v_sub_u32_e32 v7, v1, v6
	v_and_b32_sdwa v8, v8, v21 dst_sel:DWORD dst_unused:UNUSED_PAD src0_sel:DWORD src1_sel:WORD_1
	v_add_u32_e32 v7, 2, v7
	v_cmp_eq_u32_e32 vcc, 1, v8
	v_cndmask_b32_e32 v6, v7, v6, vcc
	v_lshlrev_b32_e32 v6, 3, v6
	ds_write_b64 v6, v[2:3]
	v_sub_u32_e32 v2, v12, v11
	v_sub_u32_e32 v1, v1, v2
	v_and_b32_e32 v3, 1, v20
	v_add_u32_e32 v1, 3, v1
	v_cmp_eq_u32_e32 vcc, 1, v3
	v_cndmask_b32_e32 v1, v1, v2, vcc
	v_cmp_eq_u32_e32 vcc, 0, v0
	v_lshlrev_b32_e32 v1, 3, v1
	s_and_b64 s[0:1], vcc, s[22:23]
	ds_write_b64 v1, v[4:5]
	s_waitcnt lgkmcnt(0)
	s_barrier
	s_and_saveexec_b64 s[2:3], s[0:1]
	s_cbranch_execz .LBB3181_67
; %bb.66:
	v_mov_b32_e32 v0, s19
	v_add_co_u32_e32 v1, vcc, s18, v10
	v_addc_co_u32_e32 v3, vcc, 0, v0, vcc
	v_add_co_u32_e32 v0, vcc, v1, v11
	v_mov_b32_e32 v2, 0
	v_addc_co_u32_e32 v1, vcc, 0, v3, vcc
	global_store_dwordx2 v2, v[0:1], s[20:21]
.LBB3181_67:
	s_endpgm
	.section	.rodata,"a",@progbits
	.p2align	6, 0x0
	.amdhsa_kernel _ZN7rocprim17ROCPRIM_400000_NS6detail17trampoline_kernelINS0_14default_configENS1_25partition_config_selectorILNS1_17partition_subalgoE1ExNS0_10empty_typeEbEEZZNS1_14partition_implILS5_1ELb0ES3_jN6thrust23THRUST_200600_302600_NS6detail15normal_iteratorINSA_10device_ptrIxEEEEPS6_NSA_18transform_iteratorI7is_evenIxESF_NSA_11use_defaultESK_EENS0_5tupleIJNSA_16discard_iteratorISK_EESO_EEENSM_IJSG_SG_EEES6_PlJS6_EEE10hipError_tPvRmT3_T4_T5_T6_T7_T9_mT8_P12ihipStream_tbDpT10_ENKUlT_T0_E_clISt17integral_constantIbLb1EES1A_IbLb0EEEEDaS16_S17_EUlS16_E_NS1_11comp_targetILNS1_3genE4ELNS1_11target_archE910ELNS1_3gpuE8ELNS1_3repE0EEENS1_30default_config_static_selectorELNS0_4arch9wavefront6targetE1EEEvT1_
		.amdhsa_group_segment_fixed_size 6344
		.amdhsa_private_segment_fixed_size 0
		.amdhsa_kernarg_size 144
		.amdhsa_user_sgpr_count 6
		.amdhsa_user_sgpr_private_segment_buffer 1
		.amdhsa_user_sgpr_dispatch_ptr 0
		.amdhsa_user_sgpr_queue_ptr 0
		.amdhsa_user_sgpr_kernarg_segment_ptr 1
		.amdhsa_user_sgpr_dispatch_id 0
		.amdhsa_user_sgpr_flat_scratch_init 0
		.amdhsa_user_sgpr_kernarg_preload_length 0
		.amdhsa_user_sgpr_kernarg_preload_offset 0
		.amdhsa_user_sgpr_private_segment_size 0
		.amdhsa_uses_dynamic_stack 0
		.amdhsa_system_sgpr_private_segment_wavefront_offset 0
		.amdhsa_system_sgpr_workgroup_id_x 1
		.amdhsa_system_sgpr_workgroup_id_y 0
		.amdhsa_system_sgpr_workgroup_id_z 0
		.amdhsa_system_sgpr_workgroup_info 0
		.amdhsa_system_vgpr_workitem_id 0
		.amdhsa_next_free_vgpr 42
		.amdhsa_next_free_sgpr 36
		.amdhsa_accum_offset 44
		.amdhsa_reserve_vcc 1
		.amdhsa_reserve_flat_scratch 0
		.amdhsa_float_round_mode_32 0
		.amdhsa_float_round_mode_16_64 0
		.amdhsa_float_denorm_mode_32 3
		.amdhsa_float_denorm_mode_16_64 3
		.amdhsa_dx10_clamp 1
		.amdhsa_ieee_mode 1
		.amdhsa_fp16_overflow 0
		.amdhsa_tg_split 0
		.amdhsa_exception_fp_ieee_invalid_op 0
		.amdhsa_exception_fp_denorm_src 0
		.amdhsa_exception_fp_ieee_div_zero 0
		.amdhsa_exception_fp_ieee_overflow 0
		.amdhsa_exception_fp_ieee_underflow 0
		.amdhsa_exception_fp_ieee_inexact 0
		.amdhsa_exception_int_div_zero 0
	.end_amdhsa_kernel
	.section	.text._ZN7rocprim17ROCPRIM_400000_NS6detail17trampoline_kernelINS0_14default_configENS1_25partition_config_selectorILNS1_17partition_subalgoE1ExNS0_10empty_typeEbEEZZNS1_14partition_implILS5_1ELb0ES3_jN6thrust23THRUST_200600_302600_NS6detail15normal_iteratorINSA_10device_ptrIxEEEEPS6_NSA_18transform_iteratorI7is_evenIxESF_NSA_11use_defaultESK_EENS0_5tupleIJNSA_16discard_iteratorISK_EESO_EEENSM_IJSG_SG_EEES6_PlJS6_EEE10hipError_tPvRmT3_T4_T5_T6_T7_T9_mT8_P12ihipStream_tbDpT10_ENKUlT_T0_E_clISt17integral_constantIbLb1EES1A_IbLb0EEEEDaS16_S17_EUlS16_E_NS1_11comp_targetILNS1_3genE4ELNS1_11target_archE910ELNS1_3gpuE8ELNS1_3repE0EEENS1_30default_config_static_selectorELNS0_4arch9wavefront6targetE1EEEvT1_,"axG",@progbits,_ZN7rocprim17ROCPRIM_400000_NS6detail17trampoline_kernelINS0_14default_configENS1_25partition_config_selectorILNS1_17partition_subalgoE1ExNS0_10empty_typeEbEEZZNS1_14partition_implILS5_1ELb0ES3_jN6thrust23THRUST_200600_302600_NS6detail15normal_iteratorINSA_10device_ptrIxEEEEPS6_NSA_18transform_iteratorI7is_evenIxESF_NSA_11use_defaultESK_EENS0_5tupleIJNSA_16discard_iteratorISK_EESO_EEENSM_IJSG_SG_EEES6_PlJS6_EEE10hipError_tPvRmT3_T4_T5_T6_T7_T9_mT8_P12ihipStream_tbDpT10_ENKUlT_T0_E_clISt17integral_constantIbLb1EES1A_IbLb0EEEEDaS16_S17_EUlS16_E_NS1_11comp_targetILNS1_3genE4ELNS1_11target_archE910ELNS1_3gpuE8ELNS1_3repE0EEENS1_30default_config_static_selectorELNS0_4arch9wavefront6targetE1EEEvT1_,comdat
.Lfunc_end3181:
	.size	_ZN7rocprim17ROCPRIM_400000_NS6detail17trampoline_kernelINS0_14default_configENS1_25partition_config_selectorILNS1_17partition_subalgoE1ExNS0_10empty_typeEbEEZZNS1_14partition_implILS5_1ELb0ES3_jN6thrust23THRUST_200600_302600_NS6detail15normal_iteratorINSA_10device_ptrIxEEEEPS6_NSA_18transform_iteratorI7is_evenIxESF_NSA_11use_defaultESK_EENS0_5tupleIJNSA_16discard_iteratorISK_EESO_EEENSM_IJSG_SG_EEES6_PlJS6_EEE10hipError_tPvRmT3_T4_T5_T6_T7_T9_mT8_P12ihipStream_tbDpT10_ENKUlT_T0_E_clISt17integral_constantIbLb1EES1A_IbLb0EEEEDaS16_S17_EUlS16_E_NS1_11comp_targetILNS1_3genE4ELNS1_11target_archE910ELNS1_3gpuE8ELNS1_3repE0EEENS1_30default_config_static_selectorELNS0_4arch9wavefront6targetE1EEEvT1_, .Lfunc_end3181-_ZN7rocprim17ROCPRIM_400000_NS6detail17trampoline_kernelINS0_14default_configENS1_25partition_config_selectorILNS1_17partition_subalgoE1ExNS0_10empty_typeEbEEZZNS1_14partition_implILS5_1ELb0ES3_jN6thrust23THRUST_200600_302600_NS6detail15normal_iteratorINSA_10device_ptrIxEEEEPS6_NSA_18transform_iteratorI7is_evenIxESF_NSA_11use_defaultESK_EENS0_5tupleIJNSA_16discard_iteratorISK_EESO_EEENSM_IJSG_SG_EEES6_PlJS6_EEE10hipError_tPvRmT3_T4_T5_T6_T7_T9_mT8_P12ihipStream_tbDpT10_ENKUlT_T0_E_clISt17integral_constantIbLb1EES1A_IbLb0EEEEDaS16_S17_EUlS16_E_NS1_11comp_targetILNS1_3genE4ELNS1_11target_archE910ELNS1_3gpuE8ELNS1_3repE0EEENS1_30default_config_static_selectorELNS0_4arch9wavefront6targetE1EEEvT1_
                                        ; -- End function
	.section	.AMDGPU.csdata,"",@progbits
; Kernel info:
; codeLenInByte = 3560
; NumSgprs: 40
; NumVgprs: 42
; NumAgprs: 0
; TotalNumVgprs: 42
; ScratchSize: 0
; MemoryBound: 0
; FloatMode: 240
; IeeeMode: 1
; LDSByteSize: 6344 bytes/workgroup (compile time only)
; SGPRBlocks: 4
; VGPRBlocks: 5
; NumSGPRsForWavesPerEU: 40
; NumVGPRsForWavesPerEU: 42
; AccumOffset: 44
; Occupancy: 8
; WaveLimiterHint : 1
; COMPUTE_PGM_RSRC2:SCRATCH_EN: 0
; COMPUTE_PGM_RSRC2:USER_SGPR: 6
; COMPUTE_PGM_RSRC2:TRAP_HANDLER: 0
; COMPUTE_PGM_RSRC2:TGID_X_EN: 1
; COMPUTE_PGM_RSRC2:TGID_Y_EN: 0
; COMPUTE_PGM_RSRC2:TGID_Z_EN: 0
; COMPUTE_PGM_RSRC2:TIDIG_COMP_CNT: 0
; COMPUTE_PGM_RSRC3_GFX90A:ACCUM_OFFSET: 10
; COMPUTE_PGM_RSRC3_GFX90A:TG_SPLIT: 0
	.section	.text._ZN7rocprim17ROCPRIM_400000_NS6detail17trampoline_kernelINS0_14default_configENS1_25partition_config_selectorILNS1_17partition_subalgoE1ExNS0_10empty_typeEbEEZZNS1_14partition_implILS5_1ELb0ES3_jN6thrust23THRUST_200600_302600_NS6detail15normal_iteratorINSA_10device_ptrIxEEEEPS6_NSA_18transform_iteratorI7is_evenIxESF_NSA_11use_defaultESK_EENS0_5tupleIJNSA_16discard_iteratorISK_EESO_EEENSM_IJSG_SG_EEES6_PlJS6_EEE10hipError_tPvRmT3_T4_T5_T6_T7_T9_mT8_P12ihipStream_tbDpT10_ENKUlT_T0_E_clISt17integral_constantIbLb1EES1A_IbLb0EEEEDaS16_S17_EUlS16_E_NS1_11comp_targetILNS1_3genE3ELNS1_11target_archE908ELNS1_3gpuE7ELNS1_3repE0EEENS1_30default_config_static_selectorELNS0_4arch9wavefront6targetE1EEEvT1_,"axG",@progbits,_ZN7rocprim17ROCPRIM_400000_NS6detail17trampoline_kernelINS0_14default_configENS1_25partition_config_selectorILNS1_17partition_subalgoE1ExNS0_10empty_typeEbEEZZNS1_14partition_implILS5_1ELb0ES3_jN6thrust23THRUST_200600_302600_NS6detail15normal_iteratorINSA_10device_ptrIxEEEEPS6_NSA_18transform_iteratorI7is_evenIxESF_NSA_11use_defaultESK_EENS0_5tupleIJNSA_16discard_iteratorISK_EESO_EEENSM_IJSG_SG_EEES6_PlJS6_EEE10hipError_tPvRmT3_T4_T5_T6_T7_T9_mT8_P12ihipStream_tbDpT10_ENKUlT_T0_E_clISt17integral_constantIbLb1EES1A_IbLb0EEEEDaS16_S17_EUlS16_E_NS1_11comp_targetILNS1_3genE3ELNS1_11target_archE908ELNS1_3gpuE7ELNS1_3repE0EEENS1_30default_config_static_selectorELNS0_4arch9wavefront6targetE1EEEvT1_,comdat
	.protected	_ZN7rocprim17ROCPRIM_400000_NS6detail17trampoline_kernelINS0_14default_configENS1_25partition_config_selectorILNS1_17partition_subalgoE1ExNS0_10empty_typeEbEEZZNS1_14partition_implILS5_1ELb0ES3_jN6thrust23THRUST_200600_302600_NS6detail15normal_iteratorINSA_10device_ptrIxEEEEPS6_NSA_18transform_iteratorI7is_evenIxESF_NSA_11use_defaultESK_EENS0_5tupleIJNSA_16discard_iteratorISK_EESO_EEENSM_IJSG_SG_EEES6_PlJS6_EEE10hipError_tPvRmT3_T4_T5_T6_T7_T9_mT8_P12ihipStream_tbDpT10_ENKUlT_T0_E_clISt17integral_constantIbLb1EES1A_IbLb0EEEEDaS16_S17_EUlS16_E_NS1_11comp_targetILNS1_3genE3ELNS1_11target_archE908ELNS1_3gpuE7ELNS1_3repE0EEENS1_30default_config_static_selectorELNS0_4arch9wavefront6targetE1EEEvT1_ ; -- Begin function _ZN7rocprim17ROCPRIM_400000_NS6detail17trampoline_kernelINS0_14default_configENS1_25partition_config_selectorILNS1_17partition_subalgoE1ExNS0_10empty_typeEbEEZZNS1_14partition_implILS5_1ELb0ES3_jN6thrust23THRUST_200600_302600_NS6detail15normal_iteratorINSA_10device_ptrIxEEEEPS6_NSA_18transform_iteratorI7is_evenIxESF_NSA_11use_defaultESK_EENS0_5tupleIJNSA_16discard_iteratorISK_EESO_EEENSM_IJSG_SG_EEES6_PlJS6_EEE10hipError_tPvRmT3_T4_T5_T6_T7_T9_mT8_P12ihipStream_tbDpT10_ENKUlT_T0_E_clISt17integral_constantIbLb1EES1A_IbLb0EEEEDaS16_S17_EUlS16_E_NS1_11comp_targetILNS1_3genE3ELNS1_11target_archE908ELNS1_3gpuE7ELNS1_3repE0EEENS1_30default_config_static_selectorELNS0_4arch9wavefront6targetE1EEEvT1_
	.globl	_ZN7rocprim17ROCPRIM_400000_NS6detail17trampoline_kernelINS0_14default_configENS1_25partition_config_selectorILNS1_17partition_subalgoE1ExNS0_10empty_typeEbEEZZNS1_14partition_implILS5_1ELb0ES3_jN6thrust23THRUST_200600_302600_NS6detail15normal_iteratorINSA_10device_ptrIxEEEEPS6_NSA_18transform_iteratorI7is_evenIxESF_NSA_11use_defaultESK_EENS0_5tupleIJNSA_16discard_iteratorISK_EESO_EEENSM_IJSG_SG_EEES6_PlJS6_EEE10hipError_tPvRmT3_T4_T5_T6_T7_T9_mT8_P12ihipStream_tbDpT10_ENKUlT_T0_E_clISt17integral_constantIbLb1EES1A_IbLb0EEEEDaS16_S17_EUlS16_E_NS1_11comp_targetILNS1_3genE3ELNS1_11target_archE908ELNS1_3gpuE7ELNS1_3repE0EEENS1_30default_config_static_selectorELNS0_4arch9wavefront6targetE1EEEvT1_
	.p2align	8
	.type	_ZN7rocprim17ROCPRIM_400000_NS6detail17trampoline_kernelINS0_14default_configENS1_25partition_config_selectorILNS1_17partition_subalgoE1ExNS0_10empty_typeEbEEZZNS1_14partition_implILS5_1ELb0ES3_jN6thrust23THRUST_200600_302600_NS6detail15normal_iteratorINSA_10device_ptrIxEEEEPS6_NSA_18transform_iteratorI7is_evenIxESF_NSA_11use_defaultESK_EENS0_5tupleIJNSA_16discard_iteratorISK_EESO_EEENSM_IJSG_SG_EEES6_PlJS6_EEE10hipError_tPvRmT3_T4_T5_T6_T7_T9_mT8_P12ihipStream_tbDpT10_ENKUlT_T0_E_clISt17integral_constantIbLb1EES1A_IbLb0EEEEDaS16_S17_EUlS16_E_NS1_11comp_targetILNS1_3genE3ELNS1_11target_archE908ELNS1_3gpuE7ELNS1_3repE0EEENS1_30default_config_static_selectorELNS0_4arch9wavefront6targetE1EEEvT1_,@function
_ZN7rocprim17ROCPRIM_400000_NS6detail17trampoline_kernelINS0_14default_configENS1_25partition_config_selectorILNS1_17partition_subalgoE1ExNS0_10empty_typeEbEEZZNS1_14partition_implILS5_1ELb0ES3_jN6thrust23THRUST_200600_302600_NS6detail15normal_iteratorINSA_10device_ptrIxEEEEPS6_NSA_18transform_iteratorI7is_evenIxESF_NSA_11use_defaultESK_EENS0_5tupleIJNSA_16discard_iteratorISK_EESO_EEENSM_IJSG_SG_EEES6_PlJS6_EEE10hipError_tPvRmT3_T4_T5_T6_T7_T9_mT8_P12ihipStream_tbDpT10_ENKUlT_T0_E_clISt17integral_constantIbLb1EES1A_IbLb0EEEEDaS16_S17_EUlS16_E_NS1_11comp_targetILNS1_3genE3ELNS1_11target_archE908ELNS1_3gpuE7ELNS1_3repE0EEENS1_30default_config_static_selectorELNS0_4arch9wavefront6targetE1EEEvT1_: ; @_ZN7rocprim17ROCPRIM_400000_NS6detail17trampoline_kernelINS0_14default_configENS1_25partition_config_selectorILNS1_17partition_subalgoE1ExNS0_10empty_typeEbEEZZNS1_14partition_implILS5_1ELb0ES3_jN6thrust23THRUST_200600_302600_NS6detail15normal_iteratorINSA_10device_ptrIxEEEEPS6_NSA_18transform_iteratorI7is_evenIxESF_NSA_11use_defaultESK_EENS0_5tupleIJNSA_16discard_iteratorISK_EESO_EEENSM_IJSG_SG_EEES6_PlJS6_EEE10hipError_tPvRmT3_T4_T5_T6_T7_T9_mT8_P12ihipStream_tbDpT10_ENKUlT_T0_E_clISt17integral_constantIbLb1EES1A_IbLb0EEEEDaS16_S17_EUlS16_E_NS1_11comp_targetILNS1_3genE3ELNS1_11target_archE908ELNS1_3gpuE7ELNS1_3repE0EEENS1_30default_config_static_selectorELNS0_4arch9wavefront6targetE1EEEvT1_
; %bb.0:
	.section	.rodata,"a",@progbits
	.p2align	6, 0x0
	.amdhsa_kernel _ZN7rocprim17ROCPRIM_400000_NS6detail17trampoline_kernelINS0_14default_configENS1_25partition_config_selectorILNS1_17partition_subalgoE1ExNS0_10empty_typeEbEEZZNS1_14partition_implILS5_1ELb0ES3_jN6thrust23THRUST_200600_302600_NS6detail15normal_iteratorINSA_10device_ptrIxEEEEPS6_NSA_18transform_iteratorI7is_evenIxESF_NSA_11use_defaultESK_EENS0_5tupleIJNSA_16discard_iteratorISK_EESO_EEENSM_IJSG_SG_EEES6_PlJS6_EEE10hipError_tPvRmT3_T4_T5_T6_T7_T9_mT8_P12ihipStream_tbDpT10_ENKUlT_T0_E_clISt17integral_constantIbLb1EES1A_IbLb0EEEEDaS16_S17_EUlS16_E_NS1_11comp_targetILNS1_3genE3ELNS1_11target_archE908ELNS1_3gpuE7ELNS1_3repE0EEENS1_30default_config_static_selectorELNS0_4arch9wavefront6targetE1EEEvT1_
		.amdhsa_group_segment_fixed_size 0
		.amdhsa_private_segment_fixed_size 0
		.amdhsa_kernarg_size 144
		.amdhsa_user_sgpr_count 6
		.amdhsa_user_sgpr_private_segment_buffer 1
		.amdhsa_user_sgpr_dispatch_ptr 0
		.amdhsa_user_sgpr_queue_ptr 0
		.amdhsa_user_sgpr_kernarg_segment_ptr 1
		.amdhsa_user_sgpr_dispatch_id 0
		.amdhsa_user_sgpr_flat_scratch_init 0
		.amdhsa_user_sgpr_kernarg_preload_length 0
		.amdhsa_user_sgpr_kernarg_preload_offset 0
		.amdhsa_user_sgpr_private_segment_size 0
		.amdhsa_uses_dynamic_stack 0
		.amdhsa_system_sgpr_private_segment_wavefront_offset 0
		.amdhsa_system_sgpr_workgroup_id_x 1
		.amdhsa_system_sgpr_workgroup_id_y 0
		.amdhsa_system_sgpr_workgroup_id_z 0
		.amdhsa_system_sgpr_workgroup_info 0
		.amdhsa_system_vgpr_workitem_id 0
		.amdhsa_next_free_vgpr 1
		.amdhsa_next_free_sgpr 0
		.amdhsa_accum_offset 4
		.amdhsa_reserve_vcc 0
		.amdhsa_reserve_flat_scratch 0
		.amdhsa_float_round_mode_32 0
		.amdhsa_float_round_mode_16_64 0
		.amdhsa_float_denorm_mode_32 3
		.amdhsa_float_denorm_mode_16_64 3
		.amdhsa_dx10_clamp 1
		.amdhsa_ieee_mode 1
		.amdhsa_fp16_overflow 0
		.amdhsa_tg_split 0
		.amdhsa_exception_fp_ieee_invalid_op 0
		.amdhsa_exception_fp_denorm_src 0
		.amdhsa_exception_fp_ieee_div_zero 0
		.amdhsa_exception_fp_ieee_overflow 0
		.amdhsa_exception_fp_ieee_underflow 0
		.amdhsa_exception_fp_ieee_inexact 0
		.amdhsa_exception_int_div_zero 0
	.end_amdhsa_kernel
	.section	.text._ZN7rocprim17ROCPRIM_400000_NS6detail17trampoline_kernelINS0_14default_configENS1_25partition_config_selectorILNS1_17partition_subalgoE1ExNS0_10empty_typeEbEEZZNS1_14partition_implILS5_1ELb0ES3_jN6thrust23THRUST_200600_302600_NS6detail15normal_iteratorINSA_10device_ptrIxEEEEPS6_NSA_18transform_iteratorI7is_evenIxESF_NSA_11use_defaultESK_EENS0_5tupleIJNSA_16discard_iteratorISK_EESO_EEENSM_IJSG_SG_EEES6_PlJS6_EEE10hipError_tPvRmT3_T4_T5_T6_T7_T9_mT8_P12ihipStream_tbDpT10_ENKUlT_T0_E_clISt17integral_constantIbLb1EES1A_IbLb0EEEEDaS16_S17_EUlS16_E_NS1_11comp_targetILNS1_3genE3ELNS1_11target_archE908ELNS1_3gpuE7ELNS1_3repE0EEENS1_30default_config_static_selectorELNS0_4arch9wavefront6targetE1EEEvT1_,"axG",@progbits,_ZN7rocprim17ROCPRIM_400000_NS6detail17trampoline_kernelINS0_14default_configENS1_25partition_config_selectorILNS1_17partition_subalgoE1ExNS0_10empty_typeEbEEZZNS1_14partition_implILS5_1ELb0ES3_jN6thrust23THRUST_200600_302600_NS6detail15normal_iteratorINSA_10device_ptrIxEEEEPS6_NSA_18transform_iteratorI7is_evenIxESF_NSA_11use_defaultESK_EENS0_5tupleIJNSA_16discard_iteratorISK_EESO_EEENSM_IJSG_SG_EEES6_PlJS6_EEE10hipError_tPvRmT3_T4_T5_T6_T7_T9_mT8_P12ihipStream_tbDpT10_ENKUlT_T0_E_clISt17integral_constantIbLb1EES1A_IbLb0EEEEDaS16_S17_EUlS16_E_NS1_11comp_targetILNS1_3genE3ELNS1_11target_archE908ELNS1_3gpuE7ELNS1_3repE0EEENS1_30default_config_static_selectorELNS0_4arch9wavefront6targetE1EEEvT1_,comdat
.Lfunc_end3182:
	.size	_ZN7rocprim17ROCPRIM_400000_NS6detail17trampoline_kernelINS0_14default_configENS1_25partition_config_selectorILNS1_17partition_subalgoE1ExNS0_10empty_typeEbEEZZNS1_14partition_implILS5_1ELb0ES3_jN6thrust23THRUST_200600_302600_NS6detail15normal_iteratorINSA_10device_ptrIxEEEEPS6_NSA_18transform_iteratorI7is_evenIxESF_NSA_11use_defaultESK_EENS0_5tupleIJNSA_16discard_iteratorISK_EESO_EEENSM_IJSG_SG_EEES6_PlJS6_EEE10hipError_tPvRmT3_T4_T5_T6_T7_T9_mT8_P12ihipStream_tbDpT10_ENKUlT_T0_E_clISt17integral_constantIbLb1EES1A_IbLb0EEEEDaS16_S17_EUlS16_E_NS1_11comp_targetILNS1_3genE3ELNS1_11target_archE908ELNS1_3gpuE7ELNS1_3repE0EEENS1_30default_config_static_selectorELNS0_4arch9wavefront6targetE1EEEvT1_, .Lfunc_end3182-_ZN7rocprim17ROCPRIM_400000_NS6detail17trampoline_kernelINS0_14default_configENS1_25partition_config_selectorILNS1_17partition_subalgoE1ExNS0_10empty_typeEbEEZZNS1_14partition_implILS5_1ELb0ES3_jN6thrust23THRUST_200600_302600_NS6detail15normal_iteratorINSA_10device_ptrIxEEEEPS6_NSA_18transform_iteratorI7is_evenIxESF_NSA_11use_defaultESK_EENS0_5tupleIJNSA_16discard_iteratorISK_EESO_EEENSM_IJSG_SG_EEES6_PlJS6_EEE10hipError_tPvRmT3_T4_T5_T6_T7_T9_mT8_P12ihipStream_tbDpT10_ENKUlT_T0_E_clISt17integral_constantIbLb1EES1A_IbLb0EEEEDaS16_S17_EUlS16_E_NS1_11comp_targetILNS1_3genE3ELNS1_11target_archE908ELNS1_3gpuE7ELNS1_3repE0EEENS1_30default_config_static_selectorELNS0_4arch9wavefront6targetE1EEEvT1_
                                        ; -- End function
	.section	.AMDGPU.csdata,"",@progbits
; Kernel info:
; codeLenInByte = 0
; NumSgprs: 4
; NumVgprs: 0
; NumAgprs: 0
; TotalNumVgprs: 0
; ScratchSize: 0
; MemoryBound: 0
; FloatMode: 240
; IeeeMode: 1
; LDSByteSize: 0 bytes/workgroup (compile time only)
; SGPRBlocks: 0
; VGPRBlocks: 0
; NumSGPRsForWavesPerEU: 4
; NumVGPRsForWavesPerEU: 1
; AccumOffset: 4
; Occupancy: 8
; WaveLimiterHint : 0
; COMPUTE_PGM_RSRC2:SCRATCH_EN: 0
; COMPUTE_PGM_RSRC2:USER_SGPR: 6
; COMPUTE_PGM_RSRC2:TRAP_HANDLER: 0
; COMPUTE_PGM_RSRC2:TGID_X_EN: 1
; COMPUTE_PGM_RSRC2:TGID_Y_EN: 0
; COMPUTE_PGM_RSRC2:TGID_Z_EN: 0
; COMPUTE_PGM_RSRC2:TIDIG_COMP_CNT: 0
; COMPUTE_PGM_RSRC3_GFX90A:ACCUM_OFFSET: 0
; COMPUTE_PGM_RSRC3_GFX90A:TG_SPLIT: 0
	.section	.text._ZN7rocprim17ROCPRIM_400000_NS6detail17trampoline_kernelINS0_14default_configENS1_25partition_config_selectorILNS1_17partition_subalgoE1ExNS0_10empty_typeEbEEZZNS1_14partition_implILS5_1ELb0ES3_jN6thrust23THRUST_200600_302600_NS6detail15normal_iteratorINSA_10device_ptrIxEEEEPS6_NSA_18transform_iteratorI7is_evenIxESF_NSA_11use_defaultESK_EENS0_5tupleIJNSA_16discard_iteratorISK_EESO_EEENSM_IJSG_SG_EEES6_PlJS6_EEE10hipError_tPvRmT3_T4_T5_T6_T7_T9_mT8_P12ihipStream_tbDpT10_ENKUlT_T0_E_clISt17integral_constantIbLb1EES1A_IbLb0EEEEDaS16_S17_EUlS16_E_NS1_11comp_targetILNS1_3genE2ELNS1_11target_archE906ELNS1_3gpuE6ELNS1_3repE0EEENS1_30default_config_static_selectorELNS0_4arch9wavefront6targetE1EEEvT1_,"axG",@progbits,_ZN7rocprim17ROCPRIM_400000_NS6detail17trampoline_kernelINS0_14default_configENS1_25partition_config_selectorILNS1_17partition_subalgoE1ExNS0_10empty_typeEbEEZZNS1_14partition_implILS5_1ELb0ES3_jN6thrust23THRUST_200600_302600_NS6detail15normal_iteratorINSA_10device_ptrIxEEEEPS6_NSA_18transform_iteratorI7is_evenIxESF_NSA_11use_defaultESK_EENS0_5tupleIJNSA_16discard_iteratorISK_EESO_EEENSM_IJSG_SG_EEES6_PlJS6_EEE10hipError_tPvRmT3_T4_T5_T6_T7_T9_mT8_P12ihipStream_tbDpT10_ENKUlT_T0_E_clISt17integral_constantIbLb1EES1A_IbLb0EEEEDaS16_S17_EUlS16_E_NS1_11comp_targetILNS1_3genE2ELNS1_11target_archE906ELNS1_3gpuE6ELNS1_3repE0EEENS1_30default_config_static_selectorELNS0_4arch9wavefront6targetE1EEEvT1_,comdat
	.protected	_ZN7rocprim17ROCPRIM_400000_NS6detail17trampoline_kernelINS0_14default_configENS1_25partition_config_selectorILNS1_17partition_subalgoE1ExNS0_10empty_typeEbEEZZNS1_14partition_implILS5_1ELb0ES3_jN6thrust23THRUST_200600_302600_NS6detail15normal_iteratorINSA_10device_ptrIxEEEEPS6_NSA_18transform_iteratorI7is_evenIxESF_NSA_11use_defaultESK_EENS0_5tupleIJNSA_16discard_iteratorISK_EESO_EEENSM_IJSG_SG_EEES6_PlJS6_EEE10hipError_tPvRmT3_T4_T5_T6_T7_T9_mT8_P12ihipStream_tbDpT10_ENKUlT_T0_E_clISt17integral_constantIbLb1EES1A_IbLb0EEEEDaS16_S17_EUlS16_E_NS1_11comp_targetILNS1_3genE2ELNS1_11target_archE906ELNS1_3gpuE6ELNS1_3repE0EEENS1_30default_config_static_selectorELNS0_4arch9wavefront6targetE1EEEvT1_ ; -- Begin function _ZN7rocprim17ROCPRIM_400000_NS6detail17trampoline_kernelINS0_14default_configENS1_25partition_config_selectorILNS1_17partition_subalgoE1ExNS0_10empty_typeEbEEZZNS1_14partition_implILS5_1ELb0ES3_jN6thrust23THRUST_200600_302600_NS6detail15normal_iteratorINSA_10device_ptrIxEEEEPS6_NSA_18transform_iteratorI7is_evenIxESF_NSA_11use_defaultESK_EENS0_5tupleIJNSA_16discard_iteratorISK_EESO_EEENSM_IJSG_SG_EEES6_PlJS6_EEE10hipError_tPvRmT3_T4_T5_T6_T7_T9_mT8_P12ihipStream_tbDpT10_ENKUlT_T0_E_clISt17integral_constantIbLb1EES1A_IbLb0EEEEDaS16_S17_EUlS16_E_NS1_11comp_targetILNS1_3genE2ELNS1_11target_archE906ELNS1_3gpuE6ELNS1_3repE0EEENS1_30default_config_static_selectorELNS0_4arch9wavefront6targetE1EEEvT1_
	.globl	_ZN7rocprim17ROCPRIM_400000_NS6detail17trampoline_kernelINS0_14default_configENS1_25partition_config_selectorILNS1_17partition_subalgoE1ExNS0_10empty_typeEbEEZZNS1_14partition_implILS5_1ELb0ES3_jN6thrust23THRUST_200600_302600_NS6detail15normal_iteratorINSA_10device_ptrIxEEEEPS6_NSA_18transform_iteratorI7is_evenIxESF_NSA_11use_defaultESK_EENS0_5tupleIJNSA_16discard_iteratorISK_EESO_EEENSM_IJSG_SG_EEES6_PlJS6_EEE10hipError_tPvRmT3_T4_T5_T6_T7_T9_mT8_P12ihipStream_tbDpT10_ENKUlT_T0_E_clISt17integral_constantIbLb1EES1A_IbLb0EEEEDaS16_S17_EUlS16_E_NS1_11comp_targetILNS1_3genE2ELNS1_11target_archE906ELNS1_3gpuE6ELNS1_3repE0EEENS1_30default_config_static_selectorELNS0_4arch9wavefront6targetE1EEEvT1_
	.p2align	8
	.type	_ZN7rocprim17ROCPRIM_400000_NS6detail17trampoline_kernelINS0_14default_configENS1_25partition_config_selectorILNS1_17partition_subalgoE1ExNS0_10empty_typeEbEEZZNS1_14partition_implILS5_1ELb0ES3_jN6thrust23THRUST_200600_302600_NS6detail15normal_iteratorINSA_10device_ptrIxEEEEPS6_NSA_18transform_iteratorI7is_evenIxESF_NSA_11use_defaultESK_EENS0_5tupleIJNSA_16discard_iteratorISK_EESO_EEENSM_IJSG_SG_EEES6_PlJS6_EEE10hipError_tPvRmT3_T4_T5_T6_T7_T9_mT8_P12ihipStream_tbDpT10_ENKUlT_T0_E_clISt17integral_constantIbLb1EES1A_IbLb0EEEEDaS16_S17_EUlS16_E_NS1_11comp_targetILNS1_3genE2ELNS1_11target_archE906ELNS1_3gpuE6ELNS1_3repE0EEENS1_30default_config_static_selectorELNS0_4arch9wavefront6targetE1EEEvT1_,@function
_ZN7rocprim17ROCPRIM_400000_NS6detail17trampoline_kernelINS0_14default_configENS1_25partition_config_selectorILNS1_17partition_subalgoE1ExNS0_10empty_typeEbEEZZNS1_14partition_implILS5_1ELb0ES3_jN6thrust23THRUST_200600_302600_NS6detail15normal_iteratorINSA_10device_ptrIxEEEEPS6_NSA_18transform_iteratorI7is_evenIxESF_NSA_11use_defaultESK_EENS0_5tupleIJNSA_16discard_iteratorISK_EESO_EEENSM_IJSG_SG_EEES6_PlJS6_EEE10hipError_tPvRmT3_T4_T5_T6_T7_T9_mT8_P12ihipStream_tbDpT10_ENKUlT_T0_E_clISt17integral_constantIbLb1EES1A_IbLb0EEEEDaS16_S17_EUlS16_E_NS1_11comp_targetILNS1_3genE2ELNS1_11target_archE906ELNS1_3gpuE6ELNS1_3repE0EEENS1_30default_config_static_selectorELNS0_4arch9wavefront6targetE1EEEvT1_: ; @_ZN7rocprim17ROCPRIM_400000_NS6detail17trampoline_kernelINS0_14default_configENS1_25partition_config_selectorILNS1_17partition_subalgoE1ExNS0_10empty_typeEbEEZZNS1_14partition_implILS5_1ELb0ES3_jN6thrust23THRUST_200600_302600_NS6detail15normal_iteratorINSA_10device_ptrIxEEEEPS6_NSA_18transform_iteratorI7is_evenIxESF_NSA_11use_defaultESK_EENS0_5tupleIJNSA_16discard_iteratorISK_EESO_EEENSM_IJSG_SG_EEES6_PlJS6_EEE10hipError_tPvRmT3_T4_T5_T6_T7_T9_mT8_P12ihipStream_tbDpT10_ENKUlT_T0_E_clISt17integral_constantIbLb1EES1A_IbLb0EEEEDaS16_S17_EUlS16_E_NS1_11comp_targetILNS1_3genE2ELNS1_11target_archE906ELNS1_3gpuE6ELNS1_3repE0EEENS1_30default_config_static_selectorELNS0_4arch9wavefront6targetE1EEEvT1_
; %bb.0:
	.section	.rodata,"a",@progbits
	.p2align	6, 0x0
	.amdhsa_kernel _ZN7rocprim17ROCPRIM_400000_NS6detail17trampoline_kernelINS0_14default_configENS1_25partition_config_selectorILNS1_17partition_subalgoE1ExNS0_10empty_typeEbEEZZNS1_14partition_implILS5_1ELb0ES3_jN6thrust23THRUST_200600_302600_NS6detail15normal_iteratorINSA_10device_ptrIxEEEEPS6_NSA_18transform_iteratorI7is_evenIxESF_NSA_11use_defaultESK_EENS0_5tupleIJNSA_16discard_iteratorISK_EESO_EEENSM_IJSG_SG_EEES6_PlJS6_EEE10hipError_tPvRmT3_T4_T5_T6_T7_T9_mT8_P12ihipStream_tbDpT10_ENKUlT_T0_E_clISt17integral_constantIbLb1EES1A_IbLb0EEEEDaS16_S17_EUlS16_E_NS1_11comp_targetILNS1_3genE2ELNS1_11target_archE906ELNS1_3gpuE6ELNS1_3repE0EEENS1_30default_config_static_selectorELNS0_4arch9wavefront6targetE1EEEvT1_
		.amdhsa_group_segment_fixed_size 0
		.amdhsa_private_segment_fixed_size 0
		.amdhsa_kernarg_size 144
		.amdhsa_user_sgpr_count 6
		.amdhsa_user_sgpr_private_segment_buffer 1
		.amdhsa_user_sgpr_dispatch_ptr 0
		.amdhsa_user_sgpr_queue_ptr 0
		.amdhsa_user_sgpr_kernarg_segment_ptr 1
		.amdhsa_user_sgpr_dispatch_id 0
		.amdhsa_user_sgpr_flat_scratch_init 0
		.amdhsa_user_sgpr_kernarg_preload_length 0
		.amdhsa_user_sgpr_kernarg_preload_offset 0
		.amdhsa_user_sgpr_private_segment_size 0
		.amdhsa_uses_dynamic_stack 0
		.amdhsa_system_sgpr_private_segment_wavefront_offset 0
		.amdhsa_system_sgpr_workgroup_id_x 1
		.amdhsa_system_sgpr_workgroup_id_y 0
		.amdhsa_system_sgpr_workgroup_id_z 0
		.amdhsa_system_sgpr_workgroup_info 0
		.amdhsa_system_vgpr_workitem_id 0
		.amdhsa_next_free_vgpr 1
		.amdhsa_next_free_sgpr 0
		.amdhsa_accum_offset 4
		.amdhsa_reserve_vcc 0
		.amdhsa_reserve_flat_scratch 0
		.amdhsa_float_round_mode_32 0
		.amdhsa_float_round_mode_16_64 0
		.amdhsa_float_denorm_mode_32 3
		.amdhsa_float_denorm_mode_16_64 3
		.amdhsa_dx10_clamp 1
		.amdhsa_ieee_mode 1
		.amdhsa_fp16_overflow 0
		.amdhsa_tg_split 0
		.amdhsa_exception_fp_ieee_invalid_op 0
		.amdhsa_exception_fp_denorm_src 0
		.amdhsa_exception_fp_ieee_div_zero 0
		.amdhsa_exception_fp_ieee_overflow 0
		.amdhsa_exception_fp_ieee_underflow 0
		.amdhsa_exception_fp_ieee_inexact 0
		.amdhsa_exception_int_div_zero 0
	.end_amdhsa_kernel
	.section	.text._ZN7rocprim17ROCPRIM_400000_NS6detail17trampoline_kernelINS0_14default_configENS1_25partition_config_selectorILNS1_17partition_subalgoE1ExNS0_10empty_typeEbEEZZNS1_14partition_implILS5_1ELb0ES3_jN6thrust23THRUST_200600_302600_NS6detail15normal_iteratorINSA_10device_ptrIxEEEEPS6_NSA_18transform_iteratorI7is_evenIxESF_NSA_11use_defaultESK_EENS0_5tupleIJNSA_16discard_iteratorISK_EESO_EEENSM_IJSG_SG_EEES6_PlJS6_EEE10hipError_tPvRmT3_T4_T5_T6_T7_T9_mT8_P12ihipStream_tbDpT10_ENKUlT_T0_E_clISt17integral_constantIbLb1EES1A_IbLb0EEEEDaS16_S17_EUlS16_E_NS1_11comp_targetILNS1_3genE2ELNS1_11target_archE906ELNS1_3gpuE6ELNS1_3repE0EEENS1_30default_config_static_selectorELNS0_4arch9wavefront6targetE1EEEvT1_,"axG",@progbits,_ZN7rocprim17ROCPRIM_400000_NS6detail17trampoline_kernelINS0_14default_configENS1_25partition_config_selectorILNS1_17partition_subalgoE1ExNS0_10empty_typeEbEEZZNS1_14partition_implILS5_1ELb0ES3_jN6thrust23THRUST_200600_302600_NS6detail15normal_iteratorINSA_10device_ptrIxEEEEPS6_NSA_18transform_iteratorI7is_evenIxESF_NSA_11use_defaultESK_EENS0_5tupleIJNSA_16discard_iteratorISK_EESO_EEENSM_IJSG_SG_EEES6_PlJS6_EEE10hipError_tPvRmT3_T4_T5_T6_T7_T9_mT8_P12ihipStream_tbDpT10_ENKUlT_T0_E_clISt17integral_constantIbLb1EES1A_IbLb0EEEEDaS16_S17_EUlS16_E_NS1_11comp_targetILNS1_3genE2ELNS1_11target_archE906ELNS1_3gpuE6ELNS1_3repE0EEENS1_30default_config_static_selectorELNS0_4arch9wavefront6targetE1EEEvT1_,comdat
.Lfunc_end3183:
	.size	_ZN7rocprim17ROCPRIM_400000_NS6detail17trampoline_kernelINS0_14default_configENS1_25partition_config_selectorILNS1_17partition_subalgoE1ExNS0_10empty_typeEbEEZZNS1_14partition_implILS5_1ELb0ES3_jN6thrust23THRUST_200600_302600_NS6detail15normal_iteratorINSA_10device_ptrIxEEEEPS6_NSA_18transform_iteratorI7is_evenIxESF_NSA_11use_defaultESK_EENS0_5tupleIJNSA_16discard_iteratorISK_EESO_EEENSM_IJSG_SG_EEES6_PlJS6_EEE10hipError_tPvRmT3_T4_T5_T6_T7_T9_mT8_P12ihipStream_tbDpT10_ENKUlT_T0_E_clISt17integral_constantIbLb1EES1A_IbLb0EEEEDaS16_S17_EUlS16_E_NS1_11comp_targetILNS1_3genE2ELNS1_11target_archE906ELNS1_3gpuE6ELNS1_3repE0EEENS1_30default_config_static_selectorELNS0_4arch9wavefront6targetE1EEEvT1_, .Lfunc_end3183-_ZN7rocprim17ROCPRIM_400000_NS6detail17trampoline_kernelINS0_14default_configENS1_25partition_config_selectorILNS1_17partition_subalgoE1ExNS0_10empty_typeEbEEZZNS1_14partition_implILS5_1ELb0ES3_jN6thrust23THRUST_200600_302600_NS6detail15normal_iteratorINSA_10device_ptrIxEEEEPS6_NSA_18transform_iteratorI7is_evenIxESF_NSA_11use_defaultESK_EENS0_5tupleIJNSA_16discard_iteratorISK_EESO_EEENSM_IJSG_SG_EEES6_PlJS6_EEE10hipError_tPvRmT3_T4_T5_T6_T7_T9_mT8_P12ihipStream_tbDpT10_ENKUlT_T0_E_clISt17integral_constantIbLb1EES1A_IbLb0EEEEDaS16_S17_EUlS16_E_NS1_11comp_targetILNS1_3genE2ELNS1_11target_archE906ELNS1_3gpuE6ELNS1_3repE0EEENS1_30default_config_static_selectorELNS0_4arch9wavefront6targetE1EEEvT1_
                                        ; -- End function
	.section	.AMDGPU.csdata,"",@progbits
; Kernel info:
; codeLenInByte = 0
; NumSgprs: 4
; NumVgprs: 0
; NumAgprs: 0
; TotalNumVgprs: 0
; ScratchSize: 0
; MemoryBound: 0
; FloatMode: 240
; IeeeMode: 1
; LDSByteSize: 0 bytes/workgroup (compile time only)
; SGPRBlocks: 0
; VGPRBlocks: 0
; NumSGPRsForWavesPerEU: 4
; NumVGPRsForWavesPerEU: 1
; AccumOffset: 4
; Occupancy: 8
; WaveLimiterHint : 0
; COMPUTE_PGM_RSRC2:SCRATCH_EN: 0
; COMPUTE_PGM_RSRC2:USER_SGPR: 6
; COMPUTE_PGM_RSRC2:TRAP_HANDLER: 0
; COMPUTE_PGM_RSRC2:TGID_X_EN: 1
; COMPUTE_PGM_RSRC2:TGID_Y_EN: 0
; COMPUTE_PGM_RSRC2:TGID_Z_EN: 0
; COMPUTE_PGM_RSRC2:TIDIG_COMP_CNT: 0
; COMPUTE_PGM_RSRC3_GFX90A:ACCUM_OFFSET: 0
; COMPUTE_PGM_RSRC3_GFX90A:TG_SPLIT: 0
	.section	.text._ZN7rocprim17ROCPRIM_400000_NS6detail17trampoline_kernelINS0_14default_configENS1_25partition_config_selectorILNS1_17partition_subalgoE1ExNS0_10empty_typeEbEEZZNS1_14partition_implILS5_1ELb0ES3_jN6thrust23THRUST_200600_302600_NS6detail15normal_iteratorINSA_10device_ptrIxEEEEPS6_NSA_18transform_iteratorI7is_evenIxESF_NSA_11use_defaultESK_EENS0_5tupleIJNSA_16discard_iteratorISK_EESO_EEENSM_IJSG_SG_EEES6_PlJS6_EEE10hipError_tPvRmT3_T4_T5_T6_T7_T9_mT8_P12ihipStream_tbDpT10_ENKUlT_T0_E_clISt17integral_constantIbLb1EES1A_IbLb0EEEEDaS16_S17_EUlS16_E_NS1_11comp_targetILNS1_3genE10ELNS1_11target_archE1200ELNS1_3gpuE4ELNS1_3repE0EEENS1_30default_config_static_selectorELNS0_4arch9wavefront6targetE1EEEvT1_,"axG",@progbits,_ZN7rocprim17ROCPRIM_400000_NS6detail17trampoline_kernelINS0_14default_configENS1_25partition_config_selectorILNS1_17partition_subalgoE1ExNS0_10empty_typeEbEEZZNS1_14partition_implILS5_1ELb0ES3_jN6thrust23THRUST_200600_302600_NS6detail15normal_iteratorINSA_10device_ptrIxEEEEPS6_NSA_18transform_iteratorI7is_evenIxESF_NSA_11use_defaultESK_EENS0_5tupleIJNSA_16discard_iteratorISK_EESO_EEENSM_IJSG_SG_EEES6_PlJS6_EEE10hipError_tPvRmT3_T4_T5_T6_T7_T9_mT8_P12ihipStream_tbDpT10_ENKUlT_T0_E_clISt17integral_constantIbLb1EES1A_IbLb0EEEEDaS16_S17_EUlS16_E_NS1_11comp_targetILNS1_3genE10ELNS1_11target_archE1200ELNS1_3gpuE4ELNS1_3repE0EEENS1_30default_config_static_selectorELNS0_4arch9wavefront6targetE1EEEvT1_,comdat
	.protected	_ZN7rocprim17ROCPRIM_400000_NS6detail17trampoline_kernelINS0_14default_configENS1_25partition_config_selectorILNS1_17partition_subalgoE1ExNS0_10empty_typeEbEEZZNS1_14partition_implILS5_1ELb0ES3_jN6thrust23THRUST_200600_302600_NS6detail15normal_iteratorINSA_10device_ptrIxEEEEPS6_NSA_18transform_iteratorI7is_evenIxESF_NSA_11use_defaultESK_EENS0_5tupleIJNSA_16discard_iteratorISK_EESO_EEENSM_IJSG_SG_EEES6_PlJS6_EEE10hipError_tPvRmT3_T4_T5_T6_T7_T9_mT8_P12ihipStream_tbDpT10_ENKUlT_T0_E_clISt17integral_constantIbLb1EES1A_IbLb0EEEEDaS16_S17_EUlS16_E_NS1_11comp_targetILNS1_3genE10ELNS1_11target_archE1200ELNS1_3gpuE4ELNS1_3repE0EEENS1_30default_config_static_selectorELNS0_4arch9wavefront6targetE1EEEvT1_ ; -- Begin function _ZN7rocprim17ROCPRIM_400000_NS6detail17trampoline_kernelINS0_14default_configENS1_25partition_config_selectorILNS1_17partition_subalgoE1ExNS0_10empty_typeEbEEZZNS1_14partition_implILS5_1ELb0ES3_jN6thrust23THRUST_200600_302600_NS6detail15normal_iteratorINSA_10device_ptrIxEEEEPS6_NSA_18transform_iteratorI7is_evenIxESF_NSA_11use_defaultESK_EENS0_5tupleIJNSA_16discard_iteratorISK_EESO_EEENSM_IJSG_SG_EEES6_PlJS6_EEE10hipError_tPvRmT3_T4_T5_T6_T7_T9_mT8_P12ihipStream_tbDpT10_ENKUlT_T0_E_clISt17integral_constantIbLb1EES1A_IbLb0EEEEDaS16_S17_EUlS16_E_NS1_11comp_targetILNS1_3genE10ELNS1_11target_archE1200ELNS1_3gpuE4ELNS1_3repE0EEENS1_30default_config_static_selectorELNS0_4arch9wavefront6targetE1EEEvT1_
	.globl	_ZN7rocprim17ROCPRIM_400000_NS6detail17trampoline_kernelINS0_14default_configENS1_25partition_config_selectorILNS1_17partition_subalgoE1ExNS0_10empty_typeEbEEZZNS1_14partition_implILS5_1ELb0ES3_jN6thrust23THRUST_200600_302600_NS6detail15normal_iteratorINSA_10device_ptrIxEEEEPS6_NSA_18transform_iteratorI7is_evenIxESF_NSA_11use_defaultESK_EENS0_5tupleIJNSA_16discard_iteratorISK_EESO_EEENSM_IJSG_SG_EEES6_PlJS6_EEE10hipError_tPvRmT3_T4_T5_T6_T7_T9_mT8_P12ihipStream_tbDpT10_ENKUlT_T0_E_clISt17integral_constantIbLb1EES1A_IbLb0EEEEDaS16_S17_EUlS16_E_NS1_11comp_targetILNS1_3genE10ELNS1_11target_archE1200ELNS1_3gpuE4ELNS1_3repE0EEENS1_30default_config_static_selectorELNS0_4arch9wavefront6targetE1EEEvT1_
	.p2align	8
	.type	_ZN7rocprim17ROCPRIM_400000_NS6detail17trampoline_kernelINS0_14default_configENS1_25partition_config_selectorILNS1_17partition_subalgoE1ExNS0_10empty_typeEbEEZZNS1_14partition_implILS5_1ELb0ES3_jN6thrust23THRUST_200600_302600_NS6detail15normal_iteratorINSA_10device_ptrIxEEEEPS6_NSA_18transform_iteratorI7is_evenIxESF_NSA_11use_defaultESK_EENS0_5tupleIJNSA_16discard_iteratorISK_EESO_EEENSM_IJSG_SG_EEES6_PlJS6_EEE10hipError_tPvRmT3_T4_T5_T6_T7_T9_mT8_P12ihipStream_tbDpT10_ENKUlT_T0_E_clISt17integral_constantIbLb1EES1A_IbLb0EEEEDaS16_S17_EUlS16_E_NS1_11comp_targetILNS1_3genE10ELNS1_11target_archE1200ELNS1_3gpuE4ELNS1_3repE0EEENS1_30default_config_static_selectorELNS0_4arch9wavefront6targetE1EEEvT1_,@function
_ZN7rocprim17ROCPRIM_400000_NS6detail17trampoline_kernelINS0_14default_configENS1_25partition_config_selectorILNS1_17partition_subalgoE1ExNS0_10empty_typeEbEEZZNS1_14partition_implILS5_1ELb0ES3_jN6thrust23THRUST_200600_302600_NS6detail15normal_iteratorINSA_10device_ptrIxEEEEPS6_NSA_18transform_iteratorI7is_evenIxESF_NSA_11use_defaultESK_EENS0_5tupleIJNSA_16discard_iteratorISK_EESO_EEENSM_IJSG_SG_EEES6_PlJS6_EEE10hipError_tPvRmT3_T4_T5_T6_T7_T9_mT8_P12ihipStream_tbDpT10_ENKUlT_T0_E_clISt17integral_constantIbLb1EES1A_IbLb0EEEEDaS16_S17_EUlS16_E_NS1_11comp_targetILNS1_3genE10ELNS1_11target_archE1200ELNS1_3gpuE4ELNS1_3repE0EEENS1_30default_config_static_selectorELNS0_4arch9wavefront6targetE1EEEvT1_: ; @_ZN7rocprim17ROCPRIM_400000_NS6detail17trampoline_kernelINS0_14default_configENS1_25partition_config_selectorILNS1_17partition_subalgoE1ExNS0_10empty_typeEbEEZZNS1_14partition_implILS5_1ELb0ES3_jN6thrust23THRUST_200600_302600_NS6detail15normal_iteratorINSA_10device_ptrIxEEEEPS6_NSA_18transform_iteratorI7is_evenIxESF_NSA_11use_defaultESK_EENS0_5tupleIJNSA_16discard_iteratorISK_EESO_EEENSM_IJSG_SG_EEES6_PlJS6_EEE10hipError_tPvRmT3_T4_T5_T6_T7_T9_mT8_P12ihipStream_tbDpT10_ENKUlT_T0_E_clISt17integral_constantIbLb1EES1A_IbLb0EEEEDaS16_S17_EUlS16_E_NS1_11comp_targetILNS1_3genE10ELNS1_11target_archE1200ELNS1_3gpuE4ELNS1_3repE0EEENS1_30default_config_static_selectorELNS0_4arch9wavefront6targetE1EEEvT1_
; %bb.0:
	.section	.rodata,"a",@progbits
	.p2align	6, 0x0
	.amdhsa_kernel _ZN7rocprim17ROCPRIM_400000_NS6detail17trampoline_kernelINS0_14default_configENS1_25partition_config_selectorILNS1_17partition_subalgoE1ExNS0_10empty_typeEbEEZZNS1_14partition_implILS5_1ELb0ES3_jN6thrust23THRUST_200600_302600_NS6detail15normal_iteratorINSA_10device_ptrIxEEEEPS6_NSA_18transform_iteratorI7is_evenIxESF_NSA_11use_defaultESK_EENS0_5tupleIJNSA_16discard_iteratorISK_EESO_EEENSM_IJSG_SG_EEES6_PlJS6_EEE10hipError_tPvRmT3_T4_T5_T6_T7_T9_mT8_P12ihipStream_tbDpT10_ENKUlT_T0_E_clISt17integral_constantIbLb1EES1A_IbLb0EEEEDaS16_S17_EUlS16_E_NS1_11comp_targetILNS1_3genE10ELNS1_11target_archE1200ELNS1_3gpuE4ELNS1_3repE0EEENS1_30default_config_static_selectorELNS0_4arch9wavefront6targetE1EEEvT1_
		.amdhsa_group_segment_fixed_size 0
		.amdhsa_private_segment_fixed_size 0
		.amdhsa_kernarg_size 144
		.amdhsa_user_sgpr_count 6
		.amdhsa_user_sgpr_private_segment_buffer 1
		.amdhsa_user_sgpr_dispatch_ptr 0
		.amdhsa_user_sgpr_queue_ptr 0
		.amdhsa_user_sgpr_kernarg_segment_ptr 1
		.amdhsa_user_sgpr_dispatch_id 0
		.amdhsa_user_sgpr_flat_scratch_init 0
		.amdhsa_user_sgpr_kernarg_preload_length 0
		.amdhsa_user_sgpr_kernarg_preload_offset 0
		.amdhsa_user_sgpr_private_segment_size 0
		.amdhsa_uses_dynamic_stack 0
		.amdhsa_system_sgpr_private_segment_wavefront_offset 0
		.amdhsa_system_sgpr_workgroup_id_x 1
		.amdhsa_system_sgpr_workgroup_id_y 0
		.amdhsa_system_sgpr_workgroup_id_z 0
		.amdhsa_system_sgpr_workgroup_info 0
		.amdhsa_system_vgpr_workitem_id 0
		.amdhsa_next_free_vgpr 1
		.amdhsa_next_free_sgpr 0
		.amdhsa_accum_offset 4
		.amdhsa_reserve_vcc 0
		.amdhsa_reserve_flat_scratch 0
		.amdhsa_float_round_mode_32 0
		.amdhsa_float_round_mode_16_64 0
		.amdhsa_float_denorm_mode_32 3
		.amdhsa_float_denorm_mode_16_64 3
		.amdhsa_dx10_clamp 1
		.amdhsa_ieee_mode 1
		.amdhsa_fp16_overflow 0
		.amdhsa_tg_split 0
		.amdhsa_exception_fp_ieee_invalid_op 0
		.amdhsa_exception_fp_denorm_src 0
		.amdhsa_exception_fp_ieee_div_zero 0
		.amdhsa_exception_fp_ieee_overflow 0
		.amdhsa_exception_fp_ieee_underflow 0
		.amdhsa_exception_fp_ieee_inexact 0
		.amdhsa_exception_int_div_zero 0
	.end_amdhsa_kernel
	.section	.text._ZN7rocprim17ROCPRIM_400000_NS6detail17trampoline_kernelINS0_14default_configENS1_25partition_config_selectorILNS1_17partition_subalgoE1ExNS0_10empty_typeEbEEZZNS1_14partition_implILS5_1ELb0ES3_jN6thrust23THRUST_200600_302600_NS6detail15normal_iteratorINSA_10device_ptrIxEEEEPS6_NSA_18transform_iteratorI7is_evenIxESF_NSA_11use_defaultESK_EENS0_5tupleIJNSA_16discard_iteratorISK_EESO_EEENSM_IJSG_SG_EEES6_PlJS6_EEE10hipError_tPvRmT3_T4_T5_T6_T7_T9_mT8_P12ihipStream_tbDpT10_ENKUlT_T0_E_clISt17integral_constantIbLb1EES1A_IbLb0EEEEDaS16_S17_EUlS16_E_NS1_11comp_targetILNS1_3genE10ELNS1_11target_archE1200ELNS1_3gpuE4ELNS1_3repE0EEENS1_30default_config_static_selectorELNS0_4arch9wavefront6targetE1EEEvT1_,"axG",@progbits,_ZN7rocprim17ROCPRIM_400000_NS6detail17trampoline_kernelINS0_14default_configENS1_25partition_config_selectorILNS1_17partition_subalgoE1ExNS0_10empty_typeEbEEZZNS1_14partition_implILS5_1ELb0ES3_jN6thrust23THRUST_200600_302600_NS6detail15normal_iteratorINSA_10device_ptrIxEEEEPS6_NSA_18transform_iteratorI7is_evenIxESF_NSA_11use_defaultESK_EENS0_5tupleIJNSA_16discard_iteratorISK_EESO_EEENSM_IJSG_SG_EEES6_PlJS6_EEE10hipError_tPvRmT3_T4_T5_T6_T7_T9_mT8_P12ihipStream_tbDpT10_ENKUlT_T0_E_clISt17integral_constantIbLb1EES1A_IbLb0EEEEDaS16_S17_EUlS16_E_NS1_11comp_targetILNS1_3genE10ELNS1_11target_archE1200ELNS1_3gpuE4ELNS1_3repE0EEENS1_30default_config_static_selectorELNS0_4arch9wavefront6targetE1EEEvT1_,comdat
.Lfunc_end3184:
	.size	_ZN7rocprim17ROCPRIM_400000_NS6detail17trampoline_kernelINS0_14default_configENS1_25partition_config_selectorILNS1_17partition_subalgoE1ExNS0_10empty_typeEbEEZZNS1_14partition_implILS5_1ELb0ES3_jN6thrust23THRUST_200600_302600_NS6detail15normal_iteratorINSA_10device_ptrIxEEEEPS6_NSA_18transform_iteratorI7is_evenIxESF_NSA_11use_defaultESK_EENS0_5tupleIJNSA_16discard_iteratorISK_EESO_EEENSM_IJSG_SG_EEES6_PlJS6_EEE10hipError_tPvRmT3_T4_T5_T6_T7_T9_mT8_P12ihipStream_tbDpT10_ENKUlT_T0_E_clISt17integral_constantIbLb1EES1A_IbLb0EEEEDaS16_S17_EUlS16_E_NS1_11comp_targetILNS1_3genE10ELNS1_11target_archE1200ELNS1_3gpuE4ELNS1_3repE0EEENS1_30default_config_static_selectorELNS0_4arch9wavefront6targetE1EEEvT1_, .Lfunc_end3184-_ZN7rocprim17ROCPRIM_400000_NS6detail17trampoline_kernelINS0_14default_configENS1_25partition_config_selectorILNS1_17partition_subalgoE1ExNS0_10empty_typeEbEEZZNS1_14partition_implILS5_1ELb0ES3_jN6thrust23THRUST_200600_302600_NS6detail15normal_iteratorINSA_10device_ptrIxEEEEPS6_NSA_18transform_iteratorI7is_evenIxESF_NSA_11use_defaultESK_EENS0_5tupleIJNSA_16discard_iteratorISK_EESO_EEENSM_IJSG_SG_EEES6_PlJS6_EEE10hipError_tPvRmT3_T4_T5_T6_T7_T9_mT8_P12ihipStream_tbDpT10_ENKUlT_T0_E_clISt17integral_constantIbLb1EES1A_IbLb0EEEEDaS16_S17_EUlS16_E_NS1_11comp_targetILNS1_3genE10ELNS1_11target_archE1200ELNS1_3gpuE4ELNS1_3repE0EEENS1_30default_config_static_selectorELNS0_4arch9wavefront6targetE1EEEvT1_
                                        ; -- End function
	.section	.AMDGPU.csdata,"",@progbits
; Kernel info:
; codeLenInByte = 0
; NumSgprs: 4
; NumVgprs: 0
; NumAgprs: 0
; TotalNumVgprs: 0
; ScratchSize: 0
; MemoryBound: 0
; FloatMode: 240
; IeeeMode: 1
; LDSByteSize: 0 bytes/workgroup (compile time only)
; SGPRBlocks: 0
; VGPRBlocks: 0
; NumSGPRsForWavesPerEU: 4
; NumVGPRsForWavesPerEU: 1
; AccumOffset: 4
; Occupancy: 8
; WaveLimiterHint : 0
; COMPUTE_PGM_RSRC2:SCRATCH_EN: 0
; COMPUTE_PGM_RSRC2:USER_SGPR: 6
; COMPUTE_PGM_RSRC2:TRAP_HANDLER: 0
; COMPUTE_PGM_RSRC2:TGID_X_EN: 1
; COMPUTE_PGM_RSRC2:TGID_Y_EN: 0
; COMPUTE_PGM_RSRC2:TGID_Z_EN: 0
; COMPUTE_PGM_RSRC2:TIDIG_COMP_CNT: 0
; COMPUTE_PGM_RSRC3_GFX90A:ACCUM_OFFSET: 0
; COMPUTE_PGM_RSRC3_GFX90A:TG_SPLIT: 0
	.section	.text._ZN7rocprim17ROCPRIM_400000_NS6detail17trampoline_kernelINS0_14default_configENS1_25partition_config_selectorILNS1_17partition_subalgoE1ExNS0_10empty_typeEbEEZZNS1_14partition_implILS5_1ELb0ES3_jN6thrust23THRUST_200600_302600_NS6detail15normal_iteratorINSA_10device_ptrIxEEEEPS6_NSA_18transform_iteratorI7is_evenIxESF_NSA_11use_defaultESK_EENS0_5tupleIJNSA_16discard_iteratorISK_EESO_EEENSM_IJSG_SG_EEES6_PlJS6_EEE10hipError_tPvRmT3_T4_T5_T6_T7_T9_mT8_P12ihipStream_tbDpT10_ENKUlT_T0_E_clISt17integral_constantIbLb1EES1A_IbLb0EEEEDaS16_S17_EUlS16_E_NS1_11comp_targetILNS1_3genE9ELNS1_11target_archE1100ELNS1_3gpuE3ELNS1_3repE0EEENS1_30default_config_static_selectorELNS0_4arch9wavefront6targetE1EEEvT1_,"axG",@progbits,_ZN7rocprim17ROCPRIM_400000_NS6detail17trampoline_kernelINS0_14default_configENS1_25partition_config_selectorILNS1_17partition_subalgoE1ExNS0_10empty_typeEbEEZZNS1_14partition_implILS5_1ELb0ES3_jN6thrust23THRUST_200600_302600_NS6detail15normal_iteratorINSA_10device_ptrIxEEEEPS6_NSA_18transform_iteratorI7is_evenIxESF_NSA_11use_defaultESK_EENS0_5tupleIJNSA_16discard_iteratorISK_EESO_EEENSM_IJSG_SG_EEES6_PlJS6_EEE10hipError_tPvRmT3_T4_T5_T6_T7_T9_mT8_P12ihipStream_tbDpT10_ENKUlT_T0_E_clISt17integral_constantIbLb1EES1A_IbLb0EEEEDaS16_S17_EUlS16_E_NS1_11comp_targetILNS1_3genE9ELNS1_11target_archE1100ELNS1_3gpuE3ELNS1_3repE0EEENS1_30default_config_static_selectorELNS0_4arch9wavefront6targetE1EEEvT1_,comdat
	.protected	_ZN7rocprim17ROCPRIM_400000_NS6detail17trampoline_kernelINS0_14default_configENS1_25partition_config_selectorILNS1_17partition_subalgoE1ExNS0_10empty_typeEbEEZZNS1_14partition_implILS5_1ELb0ES3_jN6thrust23THRUST_200600_302600_NS6detail15normal_iteratorINSA_10device_ptrIxEEEEPS6_NSA_18transform_iteratorI7is_evenIxESF_NSA_11use_defaultESK_EENS0_5tupleIJNSA_16discard_iteratorISK_EESO_EEENSM_IJSG_SG_EEES6_PlJS6_EEE10hipError_tPvRmT3_T4_T5_T6_T7_T9_mT8_P12ihipStream_tbDpT10_ENKUlT_T0_E_clISt17integral_constantIbLb1EES1A_IbLb0EEEEDaS16_S17_EUlS16_E_NS1_11comp_targetILNS1_3genE9ELNS1_11target_archE1100ELNS1_3gpuE3ELNS1_3repE0EEENS1_30default_config_static_selectorELNS0_4arch9wavefront6targetE1EEEvT1_ ; -- Begin function _ZN7rocprim17ROCPRIM_400000_NS6detail17trampoline_kernelINS0_14default_configENS1_25partition_config_selectorILNS1_17partition_subalgoE1ExNS0_10empty_typeEbEEZZNS1_14partition_implILS5_1ELb0ES3_jN6thrust23THRUST_200600_302600_NS6detail15normal_iteratorINSA_10device_ptrIxEEEEPS6_NSA_18transform_iteratorI7is_evenIxESF_NSA_11use_defaultESK_EENS0_5tupleIJNSA_16discard_iteratorISK_EESO_EEENSM_IJSG_SG_EEES6_PlJS6_EEE10hipError_tPvRmT3_T4_T5_T6_T7_T9_mT8_P12ihipStream_tbDpT10_ENKUlT_T0_E_clISt17integral_constantIbLb1EES1A_IbLb0EEEEDaS16_S17_EUlS16_E_NS1_11comp_targetILNS1_3genE9ELNS1_11target_archE1100ELNS1_3gpuE3ELNS1_3repE0EEENS1_30default_config_static_selectorELNS0_4arch9wavefront6targetE1EEEvT1_
	.globl	_ZN7rocprim17ROCPRIM_400000_NS6detail17trampoline_kernelINS0_14default_configENS1_25partition_config_selectorILNS1_17partition_subalgoE1ExNS0_10empty_typeEbEEZZNS1_14partition_implILS5_1ELb0ES3_jN6thrust23THRUST_200600_302600_NS6detail15normal_iteratorINSA_10device_ptrIxEEEEPS6_NSA_18transform_iteratorI7is_evenIxESF_NSA_11use_defaultESK_EENS0_5tupleIJNSA_16discard_iteratorISK_EESO_EEENSM_IJSG_SG_EEES6_PlJS6_EEE10hipError_tPvRmT3_T4_T5_T6_T7_T9_mT8_P12ihipStream_tbDpT10_ENKUlT_T0_E_clISt17integral_constantIbLb1EES1A_IbLb0EEEEDaS16_S17_EUlS16_E_NS1_11comp_targetILNS1_3genE9ELNS1_11target_archE1100ELNS1_3gpuE3ELNS1_3repE0EEENS1_30default_config_static_selectorELNS0_4arch9wavefront6targetE1EEEvT1_
	.p2align	8
	.type	_ZN7rocprim17ROCPRIM_400000_NS6detail17trampoline_kernelINS0_14default_configENS1_25partition_config_selectorILNS1_17partition_subalgoE1ExNS0_10empty_typeEbEEZZNS1_14partition_implILS5_1ELb0ES3_jN6thrust23THRUST_200600_302600_NS6detail15normal_iteratorINSA_10device_ptrIxEEEEPS6_NSA_18transform_iteratorI7is_evenIxESF_NSA_11use_defaultESK_EENS0_5tupleIJNSA_16discard_iteratorISK_EESO_EEENSM_IJSG_SG_EEES6_PlJS6_EEE10hipError_tPvRmT3_T4_T5_T6_T7_T9_mT8_P12ihipStream_tbDpT10_ENKUlT_T0_E_clISt17integral_constantIbLb1EES1A_IbLb0EEEEDaS16_S17_EUlS16_E_NS1_11comp_targetILNS1_3genE9ELNS1_11target_archE1100ELNS1_3gpuE3ELNS1_3repE0EEENS1_30default_config_static_selectorELNS0_4arch9wavefront6targetE1EEEvT1_,@function
_ZN7rocprim17ROCPRIM_400000_NS6detail17trampoline_kernelINS0_14default_configENS1_25partition_config_selectorILNS1_17partition_subalgoE1ExNS0_10empty_typeEbEEZZNS1_14partition_implILS5_1ELb0ES3_jN6thrust23THRUST_200600_302600_NS6detail15normal_iteratorINSA_10device_ptrIxEEEEPS6_NSA_18transform_iteratorI7is_evenIxESF_NSA_11use_defaultESK_EENS0_5tupleIJNSA_16discard_iteratorISK_EESO_EEENSM_IJSG_SG_EEES6_PlJS6_EEE10hipError_tPvRmT3_T4_T5_T6_T7_T9_mT8_P12ihipStream_tbDpT10_ENKUlT_T0_E_clISt17integral_constantIbLb1EES1A_IbLb0EEEEDaS16_S17_EUlS16_E_NS1_11comp_targetILNS1_3genE9ELNS1_11target_archE1100ELNS1_3gpuE3ELNS1_3repE0EEENS1_30default_config_static_selectorELNS0_4arch9wavefront6targetE1EEEvT1_: ; @_ZN7rocprim17ROCPRIM_400000_NS6detail17trampoline_kernelINS0_14default_configENS1_25partition_config_selectorILNS1_17partition_subalgoE1ExNS0_10empty_typeEbEEZZNS1_14partition_implILS5_1ELb0ES3_jN6thrust23THRUST_200600_302600_NS6detail15normal_iteratorINSA_10device_ptrIxEEEEPS6_NSA_18transform_iteratorI7is_evenIxESF_NSA_11use_defaultESK_EENS0_5tupleIJNSA_16discard_iteratorISK_EESO_EEENSM_IJSG_SG_EEES6_PlJS6_EEE10hipError_tPvRmT3_T4_T5_T6_T7_T9_mT8_P12ihipStream_tbDpT10_ENKUlT_T0_E_clISt17integral_constantIbLb1EES1A_IbLb0EEEEDaS16_S17_EUlS16_E_NS1_11comp_targetILNS1_3genE9ELNS1_11target_archE1100ELNS1_3gpuE3ELNS1_3repE0EEENS1_30default_config_static_selectorELNS0_4arch9wavefront6targetE1EEEvT1_
; %bb.0:
	.section	.rodata,"a",@progbits
	.p2align	6, 0x0
	.amdhsa_kernel _ZN7rocprim17ROCPRIM_400000_NS6detail17trampoline_kernelINS0_14default_configENS1_25partition_config_selectorILNS1_17partition_subalgoE1ExNS0_10empty_typeEbEEZZNS1_14partition_implILS5_1ELb0ES3_jN6thrust23THRUST_200600_302600_NS6detail15normal_iteratorINSA_10device_ptrIxEEEEPS6_NSA_18transform_iteratorI7is_evenIxESF_NSA_11use_defaultESK_EENS0_5tupleIJNSA_16discard_iteratorISK_EESO_EEENSM_IJSG_SG_EEES6_PlJS6_EEE10hipError_tPvRmT3_T4_T5_T6_T7_T9_mT8_P12ihipStream_tbDpT10_ENKUlT_T0_E_clISt17integral_constantIbLb1EES1A_IbLb0EEEEDaS16_S17_EUlS16_E_NS1_11comp_targetILNS1_3genE9ELNS1_11target_archE1100ELNS1_3gpuE3ELNS1_3repE0EEENS1_30default_config_static_selectorELNS0_4arch9wavefront6targetE1EEEvT1_
		.amdhsa_group_segment_fixed_size 0
		.amdhsa_private_segment_fixed_size 0
		.amdhsa_kernarg_size 144
		.amdhsa_user_sgpr_count 6
		.amdhsa_user_sgpr_private_segment_buffer 1
		.amdhsa_user_sgpr_dispatch_ptr 0
		.amdhsa_user_sgpr_queue_ptr 0
		.amdhsa_user_sgpr_kernarg_segment_ptr 1
		.amdhsa_user_sgpr_dispatch_id 0
		.amdhsa_user_sgpr_flat_scratch_init 0
		.amdhsa_user_sgpr_kernarg_preload_length 0
		.amdhsa_user_sgpr_kernarg_preload_offset 0
		.amdhsa_user_sgpr_private_segment_size 0
		.amdhsa_uses_dynamic_stack 0
		.amdhsa_system_sgpr_private_segment_wavefront_offset 0
		.amdhsa_system_sgpr_workgroup_id_x 1
		.amdhsa_system_sgpr_workgroup_id_y 0
		.amdhsa_system_sgpr_workgroup_id_z 0
		.amdhsa_system_sgpr_workgroup_info 0
		.amdhsa_system_vgpr_workitem_id 0
		.amdhsa_next_free_vgpr 1
		.amdhsa_next_free_sgpr 0
		.amdhsa_accum_offset 4
		.amdhsa_reserve_vcc 0
		.amdhsa_reserve_flat_scratch 0
		.amdhsa_float_round_mode_32 0
		.amdhsa_float_round_mode_16_64 0
		.amdhsa_float_denorm_mode_32 3
		.amdhsa_float_denorm_mode_16_64 3
		.amdhsa_dx10_clamp 1
		.amdhsa_ieee_mode 1
		.amdhsa_fp16_overflow 0
		.amdhsa_tg_split 0
		.amdhsa_exception_fp_ieee_invalid_op 0
		.amdhsa_exception_fp_denorm_src 0
		.amdhsa_exception_fp_ieee_div_zero 0
		.amdhsa_exception_fp_ieee_overflow 0
		.amdhsa_exception_fp_ieee_underflow 0
		.amdhsa_exception_fp_ieee_inexact 0
		.amdhsa_exception_int_div_zero 0
	.end_amdhsa_kernel
	.section	.text._ZN7rocprim17ROCPRIM_400000_NS6detail17trampoline_kernelINS0_14default_configENS1_25partition_config_selectorILNS1_17partition_subalgoE1ExNS0_10empty_typeEbEEZZNS1_14partition_implILS5_1ELb0ES3_jN6thrust23THRUST_200600_302600_NS6detail15normal_iteratorINSA_10device_ptrIxEEEEPS6_NSA_18transform_iteratorI7is_evenIxESF_NSA_11use_defaultESK_EENS0_5tupleIJNSA_16discard_iteratorISK_EESO_EEENSM_IJSG_SG_EEES6_PlJS6_EEE10hipError_tPvRmT3_T4_T5_T6_T7_T9_mT8_P12ihipStream_tbDpT10_ENKUlT_T0_E_clISt17integral_constantIbLb1EES1A_IbLb0EEEEDaS16_S17_EUlS16_E_NS1_11comp_targetILNS1_3genE9ELNS1_11target_archE1100ELNS1_3gpuE3ELNS1_3repE0EEENS1_30default_config_static_selectorELNS0_4arch9wavefront6targetE1EEEvT1_,"axG",@progbits,_ZN7rocprim17ROCPRIM_400000_NS6detail17trampoline_kernelINS0_14default_configENS1_25partition_config_selectorILNS1_17partition_subalgoE1ExNS0_10empty_typeEbEEZZNS1_14partition_implILS5_1ELb0ES3_jN6thrust23THRUST_200600_302600_NS6detail15normal_iteratorINSA_10device_ptrIxEEEEPS6_NSA_18transform_iteratorI7is_evenIxESF_NSA_11use_defaultESK_EENS0_5tupleIJNSA_16discard_iteratorISK_EESO_EEENSM_IJSG_SG_EEES6_PlJS6_EEE10hipError_tPvRmT3_T4_T5_T6_T7_T9_mT8_P12ihipStream_tbDpT10_ENKUlT_T0_E_clISt17integral_constantIbLb1EES1A_IbLb0EEEEDaS16_S17_EUlS16_E_NS1_11comp_targetILNS1_3genE9ELNS1_11target_archE1100ELNS1_3gpuE3ELNS1_3repE0EEENS1_30default_config_static_selectorELNS0_4arch9wavefront6targetE1EEEvT1_,comdat
.Lfunc_end3185:
	.size	_ZN7rocprim17ROCPRIM_400000_NS6detail17trampoline_kernelINS0_14default_configENS1_25partition_config_selectorILNS1_17partition_subalgoE1ExNS0_10empty_typeEbEEZZNS1_14partition_implILS5_1ELb0ES3_jN6thrust23THRUST_200600_302600_NS6detail15normal_iteratorINSA_10device_ptrIxEEEEPS6_NSA_18transform_iteratorI7is_evenIxESF_NSA_11use_defaultESK_EENS0_5tupleIJNSA_16discard_iteratorISK_EESO_EEENSM_IJSG_SG_EEES6_PlJS6_EEE10hipError_tPvRmT3_T4_T5_T6_T7_T9_mT8_P12ihipStream_tbDpT10_ENKUlT_T0_E_clISt17integral_constantIbLb1EES1A_IbLb0EEEEDaS16_S17_EUlS16_E_NS1_11comp_targetILNS1_3genE9ELNS1_11target_archE1100ELNS1_3gpuE3ELNS1_3repE0EEENS1_30default_config_static_selectorELNS0_4arch9wavefront6targetE1EEEvT1_, .Lfunc_end3185-_ZN7rocprim17ROCPRIM_400000_NS6detail17trampoline_kernelINS0_14default_configENS1_25partition_config_selectorILNS1_17partition_subalgoE1ExNS0_10empty_typeEbEEZZNS1_14partition_implILS5_1ELb0ES3_jN6thrust23THRUST_200600_302600_NS6detail15normal_iteratorINSA_10device_ptrIxEEEEPS6_NSA_18transform_iteratorI7is_evenIxESF_NSA_11use_defaultESK_EENS0_5tupleIJNSA_16discard_iteratorISK_EESO_EEENSM_IJSG_SG_EEES6_PlJS6_EEE10hipError_tPvRmT3_T4_T5_T6_T7_T9_mT8_P12ihipStream_tbDpT10_ENKUlT_T0_E_clISt17integral_constantIbLb1EES1A_IbLb0EEEEDaS16_S17_EUlS16_E_NS1_11comp_targetILNS1_3genE9ELNS1_11target_archE1100ELNS1_3gpuE3ELNS1_3repE0EEENS1_30default_config_static_selectorELNS0_4arch9wavefront6targetE1EEEvT1_
                                        ; -- End function
	.section	.AMDGPU.csdata,"",@progbits
; Kernel info:
; codeLenInByte = 0
; NumSgprs: 4
; NumVgprs: 0
; NumAgprs: 0
; TotalNumVgprs: 0
; ScratchSize: 0
; MemoryBound: 0
; FloatMode: 240
; IeeeMode: 1
; LDSByteSize: 0 bytes/workgroup (compile time only)
; SGPRBlocks: 0
; VGPRBlocks: 0
; NumSGPRsForWavesPerEU: 4
; NumVGPRsForWavesPerEU: 1
; AccumOffset: 4
; Occupancy: 8
; WaveLimiterHint : 0
; COMPUTE_PGM_RSRC2:SCRATCH_EN: 0
; COMPUTE_PGM_RSRC2:USER_SGPR: 6
; COMPUTE_PGM_RSRC2:TRAP_HANDLER: 0
; COMPUTE_PGM_RSRC2:TGID_X_EN: 1
; COMPUTE_PGM_RSRC2:TGID_Y_EN: 0
; COMPUTE_PGM_RSRC2:TGID_Z_EN: 0
; COMPUTE_PGM_RSRC2:TIDIG_COMP_CNT: 0
; COMPUTE_PGM_RSRC3_GFX90A:ACCUM_OFFSET: 0
; COMPUTE_PGM_RSRC3_GFX90A:TG_SPLIT: 0
	.section	.text._ZN7rocprim17ROCPRIM_400000_NS6detail17trampoline_kernelINS0_14default_configENS1_25partition_config_selectorILNS1_17partition_subalgoE1ExNS0_10empty_typeEbEEZZNS1_14partition_implILS5_1ELb0ES3_jN6thrust23THRUST_200600_302600_NS6detail15normal_iteratorINSA_10device_ptrIxEEEEPS6_NSA_18transform_iteratorI7is_evenIxESF_NSA_11use_defaultESK_EENS0_5tupleIJNSA_16discard_iteratorISK_EESO_EEENSM_IJSG_SG_EEES6_PlJS6_EEE10hipError_tPvRmT3_T4_T5_T6_T7_T9_mT8_P12ihipStream_tbDpT10_ENKUlT_T0_E_clISt17integral_constantIbLb1EES1A_IbLb0EEEEDaS16_S17_EUlS16_E_NS1_11comp_targetILNS1_3genE8ELNS1_11target_archE1030ELNS1_3gpuE2ELNS1_3repE0EEENS1_30default_config_static_selectorELNS0_4arch9wavefront6targetE1EEEvT1_,"axG",@progbits,_ZN7rocprim17ROCPRIM_400000_NS6detail17trampoline_kernelINS0_14default_configENS1_25partition_config_selectorILNS1_17partition_subalgoE1ExNS0_10empty_typeEbEEZZNS1_14partition_implILS5_1ELb0ES3_jN6thrust23THRUST_200600_302600_NS6detail15normal_iteratorINSA_10device_ptrIxEEEEPS6_NSA_18transform_iteratorI7is_evenIxESF_NSA_11use_defaultESK_EENS0_5tupleIJNSA_16discard_iteratorISK_EESO_EEENSM_IJSG_SG_EEES6_PlJS6_EEE10hipError_tPvRmT3_T4_T5_T6_T7_T9_mT8_P12ihipStream_tbDpT10_ENKUlT_T0_E_clISt17integral_constantIbLb1EES1A_IbLb0EEEEDaS16_S17_EUlS16_E_NS1_11comp_targetILNS1_3genE8ELNS1_11target_archE1030ELNS1_3gpuE2ELNS1_3repE0EEENS1_30default_config_static_selectorELNS0_4arch9wavefront6targetE1EEEvT1_,comdat
	.protected	_ZN7rocprim17ROCPRIM_400000_NS6detail17trampoline_kernelINS0_14default_configENS1_25partition_config_selectorILNS1_17partition_subalgoE1ExNS0_10empty_typeEbEEZZNS1_14partition_implILS5_1ELb0ES3_jN6thrust23THRUST_200600_302600_NS6detail15normal_iteratorINSA_10device_ptrIxEEEEPS6_NSA_18transform_iteratorI7is_evenIxESF_NSA_11use_defaultESK_EENS0_5tupleIJNSA_16discard_iteratorISK_EESO_EEENSM_IJSG_SG_EEES6_PlJS6_EEE10hipError_tPvRmT3_T4_T5_T6_T7_T9_mT8_P12ihipStream_tbDpT10_ENKUlT_T0_E_clISt17integral_constantIbLb1EES1A_IbLb0EEEEDaS16_S17_EUlS16_E_NS1_11comp_targetILNS1_3genE8ELNS1_11target_archE1030ELNS1_3gpuE2ELNS1_3repE0EEENS1_30default_config_static_selectorELNS0_4arch9wavefront6targetE1EEEvT1_ ; -- Begin function _ZN7rocprim17ROCPRIM_400000_NS6detail17trampoline_kernelINS0_14default_configENS1_25partition_config_selectorILNS1_17partition_subalgoE1ExNS0_10empty_typeEbEEZZNS1_14partition_implILS5_1ELb0ES3_jN6thrust23THRUST_200600_302600_NS6detail15normal_iteratorINSA_10device_ptrIxEEEEPS6_NSA_18transform_iteratorI7is_evenIxESF_NSA_11use_defaultESK_EENS0_5tupleIJNSA_16discard_iteratorISK_EESO_EEENSM_IJSG_SG_EEES6_PlJS6_EEE10hipError_tPvRmT3_T4_T5_T6_T7_T9_mT8_P12ihipStream_tbDpT10_ENKUlT_T0_E_clISt17integral_constantIbLb1EES1A_IbLb0EEEEDaS16_S17_EUlS16_E_NS1_11comp_targetILNS1_3genE8ELNS1_11target_archE1030ELNS1_3gpuE2ELNS1_3repE0EEENS1_30default_config_static_selectorELNS0_4arch9wavefront6targetE1EEEvT1_
	.globl	_ZN7rocprim17ROCPRIM_400000_NS6detail17trampoline_kernelINS0_14default_configENS1_25partition_config_selectorILNS1_17partition_subalgoE1ExNS0_10empty_typeEbEEZZNS1_14partition_implILS5_1ELb0ES3_jN6thrust23THRUST_200600_302600_NS6detail15normal_iteratorINSA_10device_ptrIxEEEEPS6_NSA_18transform_iteratorI7is_evenIxESF_NSA_11use_defaultESK_EENS0_5tupleIJNSA_16discard_iteratorISK_EESO_EEENSM_IJSG_SG_EEES6_PlJS6_EEE10hipError_tPvRmT3_T4_T5_T6_T7_T9_mT8_P12ihipStream_tbDpT10_ENKUlT_T0_E_clISt17integral_constantIbLb1EES1A_IbLb0EEEEDaS16_S17_EUlS16_E_NS1_11comp_targetILNS1_3genE8ELNS1_11target_archE1030ELNS1_3gpuE2ELNS1_3repE0EEENS1_30default_config_static_selectorELNS0_4arch9wavefront6targetE1EEEvT1_
	.p2align	8
	.type	_ZN7rocprim17ROCPRIM_400000_NS6detail17trampoline_kernelINS0_14default_configENS1_25partition_config_selectorILNS1_17partition_subalgoE1ExNS0_10empty_typeEbEEZZNS1_14partition_implILS5_1ELb0ES3_jN6thrust23THRUST_200600_302600_NS6detail15normal_iteratorINSA_10device_ptrIxEEEEPS6_NSA_18transform_iteratorI7is_evenIxESF_NSA_11use_defaultESK_EENS0_5tupleIJNSA_16discard_iteratorISK_EESO_EEENSM_IJSG_SG_EEES6_PlJS6_EEE10hipError_tPvRmT3_T4_T5_T6_T7_T9_mT8_P12ihipStream_tbDpT10_ENKUlT_T0_E_clISt17integral_constantIbLb1EES1A_IbLb0EEEEDaS16_S17_EUlS16_E_NS1_11comp_targetILNS1_3genE8ELNS1_11target_archE1030ELNS1_3gpuE2ELNS1_3repE0EEENS1_30default_config_static_selectorELNS0_4arch9wavefront6targetE1EEEvT1_,@function
_ZN7rocprim17ROCPRIM_400000_NS6detail17trampoline_kernelINS0_14default_configENS1_25partition_config_selectorILNS1_17partition_subalgoE1ExNS0_10empty_typeEbEEZZNS1_14partition_implILS5_1ELb0ES3_jN6thrust23THRUST_200600_302600_NS6detail15normal_iteratorINSA_10device_ptrIxEEEEPS6_NSA_18transform_iteratorI7is_evenIxESF_NSA_11use_defaultESK_EENS0_5tupleIJNSA_16discard_iteratorISK_EESO_EEENSM_IJSG_SG_EEES6_PlJS6_EEE10hipError_tPvRmT3_T4_T5_T6_T7_T9_mT8_P12ihipStream_tbDpT10_ENKUlT_T0_E_clISt17integral_constantIbLb1EES1A_IbLb0EEEEDaS16_S17_EUlS16_E_NS1_11comp_targetILNS1_3genE8ELNS1_11target_archE1030ELNS1_3gpuE2ELNS1_3repE0EEENS1_30default_config_static_selectorELNS0_4arch9wavefront6targetE1EEEvT1_: ; @_ZN7rocprim17ROCPRIM_400000_NS6detail17trampoline_kernelINS0_14default_configENS1_25partition_config_selectorILNS1_17partition_subalgoE1ExNS0_10empty_typeEbEEZZNS1_14partition_implILS5_1ELb0ES3_jN6thrust23THRUST_200600_302600_NS6detail15normal_iteratorINSA_10device_ptrIxEEEEPS6_NSA_18transform_iteratorI7is_evenIxESF_NSA_11use_defaultESK_EENS0_5tupleIJNSA_16discard_iteratorISK_EESO_EEENSM_IJSG_SG_EEES6_PlJS6_EEE10hipError_tPvRmT3_T4_T5_T6_T7_T9_mT8_P12ihipStream_tbDpT10_ENKUlT_T0_E_clISt17integral_constantIbLb1EES1A_IbLb0EEEEDaS16_S17_EUlS16_E_NS1_11comp_targetILNS1_3genE8ELNS1_11target_archE1030ELNS1_3gpuE2ELNS1_3repE0EEENS1_30default_config_static_selectorELNS0_4arch9wavefront6targetE1EEEvT1_
; %bb.0:
	.section	.rodata,"a",@progbits
	.p2align	6, 0x0
	.amdhsa_kernel _ZN7rocprim17ROCPRIM_400000_NS6detail17trampoline_kernelINS0_14default_configENS1_25partition_config_selectorILNS1_17partition_subalgoE1ExNS0_10empty_typeEbEEZZNS1_14partition_implILS5_1ELb0ES3_jN6thrust23THRUST_200600_302600_NS6detail15normal_iteratorINSA_10device_ptrIxEEEEPS6_NSA_18transform_iteratorI7is_evenIxESF_NSA_11use_defaultESK_EENS0_5tupleIJNSA_16discard_iteratorISK_EESO_EEENSM_IJSG_SG_EEES6_PlJS6_EEE10hipError_tPvRmT3_T4_T5_T6_T7_T9_mT8_P12ihipStream_tbDpT10_ENKUlT_T0_E_clISt17integral_constantIbLb1EES1A_IbLb0EEEEDaS16_S17_EUlS16_E_NS1_11comp_targetILNS1_3genE8ELNS1_11target_archE1030ELNS1_3gpuE2ELNS1_3repE0EEENS1_30default_config_static_selectorELNS0_4arch9wavefront6targetE1EEEvT1_
		.amdhsa_group_segment_fixed_size 0
		.amdhsa_private_segment_fixed_size 0
		.amdhsa_kernarg_size 144
		.amdhsa_user_sgpr_count 6
		.amdhsa_user_sgpr_private_segment_buffer 1
		.amdhsa_user_sgpr_dispatch_ptr 0
		.amdhsa_user_sgpr_queue_ptr 0
		.amdhsa_user_sgpr_kernarg_segment_ptr 1
		.amdhsa_user_sgpr_dispatch_id 0
		.amdhsa_user_sgpr_flat_scratch_init 0
		.amdhsa_user_sgpr_kernarg_preload_length 0
		.amdhsa_user_sgpr_kernarg_preload_offset 0
		.amdhsa_user_sgpr_private_segment_size 0
		.amdhsa_uses_dynamic_stack 0
		.amdhsa_system_sgpr_private_segment_wavefront_offset 0
		.amdhsa_system_sgpr_workgroup_id_x 1
		.amdhsa_system_sgpr_workgroup_id_y 0
		.amdhsa_system_sgpr_workgroup_id_z 0
		.amdhsa_system_sgpr_workgroup_info 0
		.amdhsa_system_vgpr_workitem_id 0
		.amdhsa_next_free_vgpr 1
		.amdhsa_next_free_sgpr 0
		.amdhsa_accum_offset 4
		.amdhsa_reserve_vcc 0
		.amdhsa_reserve_flat_scratch 0
		.amdhsa_float_round_mode_32 0
		.amdhsa_float_round_mode_16_64 0
		.amdhsa_float_denorm_mode_32 3
		.amdhsa_float_denorm_mode_16_64 3
		.amdhsa_dx10_clamp 1
		.amdhsa_ieee_mode 1
		.amdhsa_fp16_overflow 0
		.amdhsa_tg_split 0
		.amdhsa_exception_fp_ieee_invalid_op 0
		.amdhsa_exception_fp_denorm_src 0
		.amdhsa_exception_fp_ieee_div_zero 0
		.amdhsa_exception_fp_ieee_overflow 0
		.amdhsa_exception_fp_ieee_underflow 0
		.amdhsa_exception_fp_ieee_inexact 0
		.amdhsa_exception_int_div_zero 0
	.end_amdhsa_kernel
	.section	.text._ZN7rocprim17ROCPRIM_400000_NS6detail17trampoline_kernelINS0_14default_configENS1_25partition_config_selectorILNS1_17partition_subalgoE1ExNS0_10empty_typeEbEEZZNS1_14partition_implILS5_1ELb0ES3_jN6thrust23THRUST_200600_302600_NS6detail15normal_iteratorINSA_10device_ptrIxEEEEPS6_NSA_18transform_iteratorI7is_evenIxESF_NSA_11use_defaultESK_EENS0_5tupleIJNSA_16discard_iteratorISK_EESO_EEENSM_IJSG_SG_EEES6_PlJS6_EEE10hipError_tPvRmT3_T4_T5_T6_T7_T9_mT8_P12ihipStream_tbDpT10_ENKUlT_T0_E_clISt17integral_constantIbLb1EES1A_IbLb0EEEEDaS16_S17_EUlS16_E_NS1_11comp_targetILNS1_3genE8ELNS1_11target_archE1030ELNS1_3gpuE2ELNS1_3repE0EEENS1_30default_config_static_selectorELNS0_4arch9wavefront6targetE1EEEvT1_,"axG",@progbits,_ZN7rocprim17ROCPRIM_400000_NS6detail17trampoline_kernelINS0_14default_configENS1_25partition_config_selectorILNS1_17partition_subalgoE1ExNS0_10empty_typeEbEEZZNS1_14partition_implILS5_1ELb0ES3_jN6thrust23THRUST_200600_302600_NS6detail15normal_iteratorINSA_10device_ptrIxEEEEPS6_NSA_18transform_iteratorI7is_evenIxESF_NSA_11use_defaultESK_EENS0_5tupleIJNSA_16discard_iteratorISK_EESO_EEENSM_IJSG_SG_EEES6_PlJS6_EEE10hipError_tPvRmT3_T4_T5_T6_T7_T9_mT8_P12ihipStream_tbDpT10_ENKUlT_T0_E_clISt17integral_constantIbLb1EES1A_IbLb0EEEEDaS16_S17_EUlS16_E_NS1_11comp_targetILNS1_3genE8ELNS1_11target_archE1030ELNS1_3gpuE2ELNS1_3repE0EEENS1_30default_config_static_selectorELNS0_4arch9wavefront6targetE1EEEvT1_,comdat
.Lfunc_end3186:
	.size	_ZN7rocprim17ROCPRIM_400000_NS6detail17trampoline_kernelINS0_14default_configENS1_25partition_config_selectorILNS1_17partition_subalgoE1ExNS0_10empty_typeEbEEZZNS1_14partition_implILS5_1ELb0ES3_jN6thrust23THRUST_200600_302600_NS6detail15normal_iteratorINSA_10device_ptrIxEEEEPS6_NSA_18transform_iteratorI7is_evenIxESF_NSA_11use_defaultESK_EENS0_5tupleIJNSA_16discard_iteratorISK_EESO_EEENSM_IJSG_SG_EEES6_PlJS6_EEE10hipError_tPvRmT3_T4_T5_T6_T7_T9_mT8_P12ihipStream_tbDpT10_ENKUlT_T0_E_clISt17integral_constantIbLb1EES1A_IbLb0EEEEDaS16_S17_EUlS16_E_NS1_11comp_targetILNS1_3genE8ELNS1_11target_archE1030ELNS1_3gpuE2ELNS1_3repE0EEENS1_30default_config_static_selectorELNS0_4arch9wavefront6targetE1EEEvT1_, .Lfunc_end3186-_ZN7rocprim17ROCPRIM_400000_NS6detail17trampoline_kernelINS0_14default_configENS1_25partition_config_selectorILNS1_17partition_subalgoE1ExNS0_10empty_typeEbEEZZNS1_14partition_implILS5_1ELb0ES3_jN6thrust23THRUST_200600_302600_NS6detail15normal_iteratorINSA_10device_ptrIxEEEEPS6_NSA_18transform_iteratorI7is_evenIxESF_NSA_11use_defaultESK_EENS0_5tupleIJNSA_16discard_iteratorISK_EESO_EEENSM_IJSG_SG_EEES6_PlJS6_EEE10hipError_tPvRmT3_T4_T5_T6_T7_T9_mT8_P12ihipStream_tbDpT10_ENKUlT_T0_E_clISt17integral_constantIbLb1EES1A_IbLb0EEEEDaS16_S17_EUlS16_E_NS1_11comp_targetILNS1_3genE8ELNS1_11target_archE1030ELNS1_3gpuE2ELNS1_3repE0EEENS1_30default_config_static_selectorELNS0_4arch9wavefront6targetE1EEEvT1_
                                        ; -- End function
	.section	.AMDGPU.csdata,"",@progbits
; Kernel info:
; codeLenInByte = 0
; NumSgprs: 4
; NumVgprs: 0
; NumAgprs: 0
; TotalNumVgprs: 0
; ScratchSize: 0
; MemoryBound: 0
; FloatMode: 240
; IeeeMode: 1
; LDSByteSize: 0 bytes/workgroup (compile time only)
; SGPRBlocks: 0
; VGPRBlocks: 0
; NumSGPRsForWavesPerEU: 4
; NumVGPRsForWavesPerEU: 1
; AccumOffset: 4
; Occupancy: 8
; WaveLimiterHint : 0
; COMPUTE_PGM_RSRC2:SCRATCH_EN: 0
; COMPUTE_PGM_RSRC2:USER_SGPR: 6
; COMPUTE_PGM_RSRC2:TRAP_HANDLER: 0
; COMPUTE_PGM_RSRC2:TGID_X_EN: 1
; COMPUTE_PGM_RSRC2:TGID_Y_EN: 0
; COMPUTE_PGM_RSRC2:TGID_Z_EN: 0
; COMPUTE_PGM_RSRC2:TIDIG_COMP_CNT: 0
; COMPUTE_PGM_RSRC3_GFX90A:ACCUM_OFFSET: 0
; COMPUTE_PGM_RSRC3_GFX90A:TG_SPLIT: 0
	.section	.text._ZN7rocprim17ROCPRIM_400000_NS6detail17trampoline_kernelINS0_14default_configENS1_25partition_config_selectorILNS1_17partition_subalgoE1ExNS0_10empty_typeEbEEZZNS1_14partition_implILS5_1ELb0ES3_jN6thrust23THRUST_200600_302600_NS6detail15normal_iteratorINSA_10device_ptrIxEEEEPS6_NSA_18transform_iteratorI7is_evenIxESF_NSA_11use_defaultESK_EENS0_5tupleIJNSA_16discard_iteratorISK_EESO_EEENSM_IJSG_SG_EEES6_PlJS6_EEE10hipError_tPvRmT3_T4_T5_T6_T7_T9_mT8_P12ihipStream_tbDpT10_ENKUlT_T0_E_clISt17integral_constantIbLb0EES1A_IbLb1EEEEDaS16_S17_EUlS16_E_NS1_11comp_targetILNS1_3genE0ELNS1_11target_archE4294967295ELNS1_3gpuE0ELNS1_3repE0EEENS1_30default_config_static_selectorELNS0_4arch9wavefront6targetE1EEEvT1_,"axG",@progbits,_ZN7rocprim17ROCPRIM_400000_NS6detail17trampoline_kernelINS0_14default_configENS1_25partition_config_selectorILNS1_17partition_subalgoE1ExNS0_10empty_typeEbEEZZNS1_14partition_implILS5_1ELb0ES3_jN6thrust23THRUST_200600_302600_NS6detail15normal_iteratorINSA_10device_ptrIxEEEEPS6_NSA_18transform_iteratorI7is_evenIxESF_NSA_11use_defaultESK_EENS0_5tupleIJNSA_16discard_iteratorISK_EESO_EEENSM_IJSG_SG_EEES6_PlJS6_EEE10hipError_tPvRmT3_T4_T5_T6_T7_T9_mT8_P12ihipStream_tbDpT10_ENKUlT_T0_E_clISt17integral_constantIbLb0EES1A_IbLb1EEEEDaS16_S17_EUlS16_E_NS1_11comp_targetILNS1_3genE0ELNS1_11target_archE4294967295ELNS1_3gpuE0ELNS1_3repE0EEENS1_30default_config_static_selectorELNS0_4arch9wavefront6targetE1EEEvT1_,comdat
	.protected	_ZN7rocprim17ROCPRIM_400000_NS6detail17trampoline_kernelINS0_14default_configENS1_25partition_config_selectorILNS1_17partition_subalgoE1ExNS0_10empty_typeEbEEZZNS1_14partition_implILS5_1ELb0ES3_jN6thrust23THRUST_200600_302600_NS6detail15normal_iteratorINSA_10device_ptrIxEEEEPS6_NSA_18transform_iteratorI7is_evenIxESF_NSA_11use_defaultESK_EENS0_5tupleIJNSA_16discard_iteratorISK_EESO_EEENSM_IJSG_SG_EEES6_PlJS6_EEE10hipError_tPvRmT3_T4_T5_T6_T7_T9_mT8_P12ihipStream_tbDpT10_ENKUlT_T0_E_clISt17integral_constantIbLb0EES1A_IbLb1EEEEDaS16_S17_EUlS16_E_NS1_11comp_targetILNS1_3genE0ELNS1_11target_archE4294967295ELNS1_3gpuE0ELNS1_3repE0EEENS1_30default_config_static_selectorELNS0_4arch9wavefront6targetE1EEEvT1_ ; -- Begin function _ZN7rocprim17ROCPRIM_400000_NS6detail17trampoline_kernelINS0_14default_configENS1_25partition_config_selectorILNS1_17partition_subalgoE1ExNS0_10empty_typeEbEEZZNS1_14partition_implILS5_1ELb0ES3_jN6thrust23THRUST_200600_302600_NS6detail15normal_iteratorINSA_10device_ptrIxEEEEPS6_NSA_18transform_iteratorI7is_evenIxESF_NSA_11use_defaultESK_EENS0_5tupleIJNSA_16discard_iteratorISK_EESO_EEENSM_IJSG_SG_EEES6_PlJS6_EEE10hipError_tPvRmT3_T4_T5_T6_T7_T9_mT8_P12ihipStream_tbDpT10_ENKUlT_T0_E_clISt17integral_constantIbLb0EES1A_IbLb1EEEEDaS16_S17_EUlS16_E_NS1_11comp_targetILNS1_3genE0ELNS1_11target_archE4294967295ELNS1_3gpuE0ELNS1_3repE0EEENS1_30default_config_static_selectorELNS0_4arch9wavefront6targetE1EEEvT1_
	.globl	_ZN7rocprim17ROCPRIM_400000_NS6detail17trampoline_kernelINS0_14default_configENS1_25partition_config_selectorILNS1_17partition_subalgoE1ExNS0_10empty_typeEbEEZZNS1_14partition_implILS5_1ELb0ES3_jN6thrust23THRUST_200600_302600_NS6detail15normal_iteratorINSA_10device_ptrIxEEEEPS6_NSA_18transform_iteratorI7is_evenIxESF_NSA_11use_defaultESK_EENS0_5tupleIJNSA_16discard_iteratorISK_EESO_EEENSM_IJSG_SG_EEES6_PlJS6_EEE10hipError_tPvRmT3_T4_T5_T6_T7_T9_mT8_P12ihipStream_tbDpT10_ENKUlT_T0_E_clISt17integral_constantIbLb0EES1A_IbLb1EEEEDaS16_S17_EUlS16_E_NS1_11comp_targetILNS1_3genE0ELNS1_11target_archE4294967295ELNS1_3gpuE0ELNS1_3repE0EEENS1_30default_config_static_selectorELNS0_4arch9wavefront6targetE1EEEvT1_
	.p2align	8
	.type	_ZN7rocprim17ROCPRIM_400000_NS6detail17trampoline_kernelINS0_14default_configENS1_25partition_config_selectorILNS1_17partition_subalgoE1ExNS0_10empty_typeEbEEZZNS1_14partition_implILS5_1ELb0ES3_jN6thrust23THRUST_200600_302600_NS6detail15normal_iteratorINSA_10device_ptrIxEEEEPS6_NSA_18transform_iteratorI7is_evenIxESF_NSA_11use_defaultESK_EENS0_5tupleIJNSA_16discard_iteratorISK_EESO_EEENSM_IJSG_SG_EEES6_PlJS6_EEE10hipError_tPvRmT3_T4_T5_T6_T7_T9_mT8_P12ihipStream_tbDpT10_ENKUlT_T0_E_clISt17integral_constantIbLb0EES1A_IbLb1EEEEDaS16_S17_EUlS16_E_NS1_11comp_targetILNS1_3genE0ELNS1_11target_archE4294967295ELNS1_3gpuE0ELNS1_3repE0EEENS1_30default_config_static_selectorELNS0_4arch9wavefront6targetE1EEEvT1_,@function
_ZN7rocprim17ROCPRIM_400000_NS6detail17trampoline_kernelINS0_14default_configENS1_25partition_config_selectorILNS1_17partition_subalgoE1ExNS0_10empty_typeEbEEZZNS1_14partition_implILS5_1ELb0ES3_jN6thrust23THRUST_200600_302600_NS6detail15normal_iteratorINSA_10device_ptrIxEEEEPS6_NSA_18transform_iteratorI7is_evenIxESF_NSA_11use_defaultESK_EENS0_5tupleIJNSA_16discard_iteratorISK_EESO_EEENSM_IJSG_SG_EEES6_PlJS6_EEE10hipError_tPvRmT3_T4_T5_T6_T7_T9_mT8_P12ihipStream_tbDpT10_ENKUlT_T0_E_clISt17integral_constantIbLb0EES1A_IbLb1EEEEDaS16_S17_EUlS16_E_NS1_11comp_targetILNS1_3genE0ELNS1_11target_archE4294967295ELNS1_3gpuE0ELNS1_3repE0EEENS1_30default_config_static_selectorELNS0_4arch9wavefront6targetE1EEEvT1_: ; @_ZN7rocprim17ROCPRIM_400000_NS6detail17trampoline_kernelINS0_14default_configENS1_25partition_config_selectorILNS1_17partition_subalgoE1ExNS0_10empty_typeEbEEZZNS1_14partition_implILS5_1ELb0ES3_jN6thrust23THRUST_200600_302600_NS6detail15normal_iteratorINSA_10device_ptrIxEEEEPS6_NSA_18transform_iteratorI7is_evenIxESF_NSA_11use_defaultESK_EENS0_5tupleIJNSA_16discard_iteratorISK_EESO_EEENSM_IJSG_SG_EEES6_PlJS6_EEE10hipError_tPvRmT3_T4_T5_T6_T7_T9_mT8_P12ihipStream_tbDpT10_ENKUlT_T0_E_clISt17integral_constantIbLb0EES1A_IbLb1EEEEDaS16_S17_EUlS16_E_NS1_11comp_targetILNS1_3genE0ELNS1_11target_archE4294967295ELNS1_3gpuE0ELNS1_3repE0EEENS1_30default_config_static_selectorELNS0_4arch9wavefront6targetE1EEEvT1_
; %bb.0:
	.section	.rodata,"a",@progbits
	.p2align	6, 0x0
	.amdhsa_kernel _ZN7rocprim17ROCPRIM_400000_NS6detail17trampoline_kernelINS0_14default_configENS1_25partition_config_selectorILNS1_17partition_subalgoE1ExNS0_10empty_typeEbEEZZNS1_14partition_implILS5_1ELb0ES3_jN6thrust23THRUST_200600_302600_NS6detail15normal_iteratorINSA_10device_ptrIxEEEEPS6_NSA_18transform_iteratorI7is_evenIxESF_NSA_11use_defaultESK_EENS0_5tupleIJNSA_16discard_iteratorISK_EESO_EEENSM_IJSG_SG_EEES6_PlJS6_EEE10hipError_tPvRmT3_T4_T5_T6_T7_T9_mT8_P12ihipStream_tbDpT10_ENKUlT_T0_E_clISt17integral_constantIbLb0EES1A_IbLb1EEEEDaS16_S17_EUlS16_E_NS1_11comp_targetILNS1_3genE0ELNS1_11target_archE4294967295ELNS1_3gpuE0ELNS1_3repE0EEENS1_30default_config_static_selectorELNS0_4arch9wavefront6targetE1EEEvT1_
		.amdhsa_group_segment_fixed_size 0
		.amdhsa_private_segment_fixed_size 0
		.amdhsa_kernarg_size 160
		.amdhsa_user_sgpr_count 6
		.amdhsa_user_sgpr_private_segment_buffer 1
		.amdhsa_user_sgpr_dispatch_ptr 0
		.amdhsa_user_sgpr_queue_ptr 0
		.amdhsa_user_sgpr_kernarg_segment_ptr 1
		.amdhsa_user_sgpr_dispatch_id 0
		.amdhsa_user_sgpr_flat_scratch_init 0
		.amdhsa_user_sgpr_kernarg_preload_length 0
		.amdhsa_user_sgpr_kernarg_preload_offset 0
		.amdhsa_user_sgpr_private_segment_size 0
		.amdhsa_uses_dynamic_stack 0
		.amdhsa_system_sgpr_private_segment_wavefront_offset 0
		.amdhsa_system_sgpr_workgroup_id_x 1
		.amdhsa_system_sgpr_workgroup_id_y 0
		.amdhsa_system_sgpr_workgroup_id_z 0
		.amdhsa_system_sgpr_workgroup_info 0
		.amdhsa_system_vgpr_workitem_id 0
		.amdhsa_next_free_vgpr 1
		.amdhsa_next_free_sgpr 0
		.amdhsa_accum_offset 4
		.amdhsa_reserve_vcc 0
		.amdhsa_reserve_flat_scratch 0
		.amdhsa_float_round_mode_32 0
		.amdhsa_float_round_mode_16_64 0
		.amdhsa_float_denorm_mode_32 3
		.amdhsa_float_denorm_mode_16_64 3
		.amdhsa_dx10_clamp 1
		.amdhsa_ieee_mode 1
		.amdhsa_fp16_overflow 0
		.amdhsa_tg_split 0
		.amdhsa_exception_fp_ieee_invalid_op 0
		.amdhsa_exception_fp_denorm_src 0
		.amdhsa_exception_fp_ieee_div_zero 0
		.amdhsa_exception_fp_ieee_overflow 0
		.amdhsa_exception_fp_ieee_underflow 0
		.amdhsa_exception_fp_ieee_inexact 0
		.amdhsa_exception_int_div_zero 0
	.end_amdhsa_kernel
	.section	.text._ZN7rocprim17ROCPRIM_400000_NS6detail17trampoline_kernelINS0_14default_configENS1_25partition_config_selectorILNS1_17partition_subalgoE1ExNS0_10empty_typeEbEEZZNS1_14partition_implILS5_1ELb0ES3_jN6thrust23THRUST_200600_302600_NS6detail15normal_iteratorINSA_10device_ptrIxEEEEPS6_NSA_18transform_iteratorI7is_evenIxESF_NSA_11use_defaultESK_EENS0_5tupleIJNSA_16discard_iteratorISK_EESO_EEENSM_IJSG_SG_EEES6_PlJS6_EEE10hipError_tPvRmT3_T4_T5_T6_T7_T9_mT8_P12ihipStream_tbDpT10_ENKUlT_T0_E_clISt17integral_constantIbLb0EES1A_IbLb1EEEEDaS16_S17_EUlS16_E_NS1_11comp_targetILNS1_3genE0ELNS1_11target_archE4294967295ELNS1_3gpuE0ELNS1_3repE0EEENS1_30default_config_static_selectorELNS0_4arch9wavefront6targetE1EEEvT1_,"axG",@progbits,_ZN7rocprim17ROCPRIM_400000_NS6detail17trampoline_kernelINS0_14default_configENS1_25partition_config_selectorILNS1_17partition_subalgoE1ExNS0_10empty_typeEbEEZZNS1_14partition_implILS5_1ELb0ES3_jN6thrust23THRUST_200600_302600_NS6detail15normal_iteratorINSA_10device_ptrIxEEEEPS6_NSA_18transform_iteratorI7is_evenIxESF_NSA_11use_defaultESK_EENS0_5tupleIJNSA_16discard_iteratorISK_EESO_EEENSM_IJSG_SG_EEES6_PlJS6_EEE10hipError_tPvRmT3_T4_T5_T6_T7_T9_mT8_P12ihipStream_tbDpT10_ENKUlT_T0_E_clISt17integral_constantIbLb0EES1A_IbLb1EEEEDaS16_S17_EUlS16_E_NS1_11comp_targetILNS1_3genE0ELNS1_11target_archE4294967295ELNS1_3gpuE0ELNS1_3repE0EEENS1_30default_config_static_selectorELNS0_4arch9wavefront6targetE1EEEvT1_,comdat
.Lfunc_end3187:
	.size	_ZN7rocprim17ROCPRIM_400000_NS6detail17trampoline_kernelINS0_14default_configENS1_25partition_config_selectorILNS1_17partition_subalgoE1ExNS0_10empty_typeEbEEZZNS1_14partition_implILS5_1ELb0ES3_jN6thrust23THRUST_200600_302600_NS6detail15normal_iteratorINSA_10device_ptrIxEEEEPS6_NSA_18transform_iteratorI7is_evenIxESF_NSA_11use_defaultESK_EENS0_5tupleIJNSA_16discard_iteratorISK_EESO_EEENSM_IJSG_SG_EEES6_PlJS6_EEE10hipError_tPvRmT3_T4_T5_T6_T7_T9_mT8_P12ihipStream_tbDpT10_ENKUlT_T0_E_clISt17integral_constantIbLb0EES1A_IbLb1EEEEDaS16_S17_EUlS16_E_NS1_11comp_targetILNS1_3genE0ELNS1_11target_archE4294967295ELNS1_3gpuE0ELNS1_3repE0EEENS1_30default_config_static_selectorELNS0_4arch9wavefront6targetE1EEEvT1_, .Lfunc_end3187-_ZN7rocprim17ROCPRIM_400000_NS6detail17trampoline_kernelINS0_14default_configENS1_25partition_config_selectorILNS1_17partition_subalgoE1ExNS0_10empty_typeEbEEZZNS1_14partition_implILS5_1ELb0ES3_jN6thrust23THRUST_200600_302600_NS6detail15normal_iteratorINSA_10device_ptrIxEEEEPS6_NSA_18transform_iteratorI7is_evenIxESF_NSA_11use_defaultESK_EENS0_5tupleIJNSA_16discard_iteratorISK_EESO_EEENSM_IJSG_SG_EEES6_PlJS6_EEE10hipError_tPvRmT3_T4_T5_T6_T7_T9_mT8_P12ihipStream_tbDpT10_ENKUlT_T0_E_clISt17integral_constantIbLb0EES1A_IbLb1EEEEDaS16_S17_EUlS16_E_NS1_11comp_targetILNS1_3genE0ELNS1_11target_archE4294967295ELNS1_3gpuE0ELNS1_3repE0EEENS1_30default_config_static_selectorELNS0_4arch9wavefront6targetE1EEEvT1_
                                        ; -- End function
	.section	.AMDGPU.csdata,"",@progbits
; Kernel info:
; codeLenInByte = 0
; NumSgprs: 4
; NumVgprs: 0
; NumAgprs: 0
; TotalNumVgprs: 0
; ScratchSize: 0
; MemoryBound: 0
; FloatMode: 240
; IeeeMode: 1
; LDSByteSize: 0 bytes/workgroup (compile time only)
; SGPRBlocks: 0
; VGPRBlocks: 0
; NumSGPRsForWavesPerEU: 4
; NumVGPRsForWavesPerEU: 1
; AccumOffset: 4
; Occupancy: 8
; WaveLimiterHint : 0
; COMPUTE_PGM_RSRC2:SCRATCH_EN: 0
; COMPUTE_PGM_RSRC2:USER_SGPR: 6
; COMPUTE_PGM_RSRC2:TRAP_HANDLER: 0
; COMPUTE_PGM_RSRC2:TGID_X_EN: 1
; COMPUTE_PGM_RSRC2:TGID_Y_EN: 0
; COMPUTE_PGM_RSRC2:TGID_Z_EN: 0
; COMPUTE_PGM_RSRC2:TIDIG_COMP_CNT: 0
; COMPUTE_PGM_RSRC3_GFX90A:ACCUM_OFFSET: 0
; COMPUTE_PGM_RSRC3_GFX90A:TG_SPLIT: 0
	.section	.text._ZN7rocprim17ROCPRIM_400000_NS6detail17trampoline_kernelINS0_14default_configENS1_25partition_config_selectorILNS1_17partition_subalgoE1ExNS0_10empty_typeEbEEZZNS1_14partition_implILS5_1ELb0ES3_jN6thrust23THRUST_200600_302600_NS6detail15normal_iteratorINSA_10device_ptrIxEEEEPS6_NSA_18transform_iteratorI7is_evenIxESF_NSA_11use_defaultESK_EENS0_5tupleIJNSA_16discard_iteratorISK_EESO_EEENSM_IJSG_SG_EEES6_PlJS6_EEE10hipError_tPvRmT3_T4_T5_T6_T7_T9_mT8_P12ihipStream_tbDpT10_ENKUlT_T0_E_clISt17integral_constantIbLb0EES1A_IbLb1EEEEDaS16_S17_EUlS16_E_NS1_11comp_targetILNS1_3genE5ELNS1_11target_archE942ELNS1_3gpuE9ELNS1_3repE0EEENS1_30default_config_static_selectorELNS0_4arch9wavefront6targetE1EEEvT1_,"axG",@progbits,_ZN7rocprim17ROCPRIM_400000_NS6detail17trampoline_kernelINS0_14default_configENS1_25partition_config_selectorILNS1_17partition_subalgoE1ExNS0_10empty_typeEbEEZZNS1_14partition_implILS5_1ELb0ES3_jN6thrust23THRUST_200600_302600_NS6detail15normal_iteratorINSA_10device_ptrIxEEEEPS6_NSA_18transform_iteratorI7is_evenIxESF_NSA_11use_defaultESK_EENS0_5tupleIJNSA_16discard_iteratorISK_EESO_EEENSM_IJSG_SG_EEES6_PlJS6_EEE10hipError_tPvRmT3_T4_T5_T6_T7_T9_mT8_P12ihipStream_tbDpT10_ENKUlT_T0_E_clISt17integral_constantIbLb0EES1A_IbLb1EEEEDaS16_S17_EUlS16_E_NS1_11comp_targetILNS1_3genE5ELNS1_11target_archE942ELNS1_3gpuE9ELNS1_3repE0EEENS1_30default_config_static_selectorELNS0_4arch9wavefront6targetE1EEEvT1_,comdat
	.protected	_ZN7rocprim17ROCPRIM_400000_NS6detail17trampoline_kernelINS0_14default_configENS1_25partition_config_selectorILNS1_17partition_subalgoE1ExNS0_10empty_typeEbEEZZNS1_14partition_implILS5_1ELb0ES3_jN6thrust23THRUST_200600_302600_NS6detail15normal_iteratorINSA_10device_ptrIxEEEEPS6_NSA_18transform_iteratorI7is_evenIxESF_NSA_11use_defaultESK_EENS0_5tupleIJNSA_16discard_iteratorISK_EESO_EEENSM_IJSG_SG_EEES6_PlJS6_EEE10hipError_tPvRmT3_T4_T5_T6_T7_T9_mT8_P12ihipStream_tbDpT10_ENKUlT_T0_E_clISt17integral_constantIbLb0EES1A_IbLb1EEEEDaS16_S17_EUlS16_E_NS1_11comp_targetILNS1_3genE5ELNS1_11target_archE942ELNS1_3gpuE9ELNS1_3repE0EEENS1_30default_config_static_selectorELNS0_4arch9wavefront6targetE1EEEvT1_ ; -- Begin function _ZN7rocprim17ROCPRIM_400000_NS6detail17trampoline_kernelINS0_14default_configENS1_25partition_config_selectorILNS1_17partition_subalgoE1ExNS0_10empty_typeEbEEZZNS1_14partition_implILS5_1ELb0ES3_jN6thrust23THRUST_200600_302600_NS6detail15normal_iteratorINSA_10device_ptrIxEEEEPS6_NSA_18transform_iteratorI7is_evenIxESF_NSA_11use_defaultESK_EENS0_5tupleIJNSA_16discard_iteratorISK_EESO_EEENSM_IJSG_SG_EEES6_PlJS6_EEE10hipError_tPvRmT3_T4_T5_T6_T7_T9_mT8_P12ihipStream_tbDpT10_ENKUlT_T0_E_clISt17integral_constantIbLb0EES1A_IbLb1EEEEDaS16_S17_EUlS16_E_NS1_11comp_targetILNS1_3genE5ELNS1_11target_archE942ELNS1_3gpuE9ELNS1_3repE0EEENS1_30default_config_static_selectorELNS0_4arch9wavefront6targetE1EEEvT1_
	.globl	_ZN7rocprim17ROCPRIM_400000_NS6detail17trampoline_kernelINS0_14default_configENS1_25partition_config_selectorILNS1_17partition_subalgoE1ExNS0_10empty_typeEbEEZZNS1_14partition_implILS5_1ELb0ES3_jN6thrust23THRUST_200600_302600_NS6detail15normal_iteratorINSA_10device_ptrIxEEEEPS6_NSA_18transform_iteratorI7is_evenIxESF_NSA_11use_defaultESK_EENS0_5tupleIJNSA_16discard_iteratorISK_EESO_EEENSM_IJSG_SG_EEES6_PlJS6_EEE10hipError_tPvRmT3_T4_T5_T6_T7_T9_mT8_P12ihipStream_tbDpT10_ENKUlT_T0_E_clISt17integral_constantIbLb0EES1A_IbLb1EEEEDaS16_S17_EUlS16_E_NS1_11comp_targetILNS1_3genE5ELNS1_11target_archE942ELNS1_3gpuE9ELNS1_3repE0EEENS1_30default_config_static_selectorELNS0_4arch9wavefront6targetE1EEEvT1_
	.p2align	8
	.type	_ZN7rocprim17ROCPRIM_400000_NS6detail17trampoline_kernelINS0_14default_configENS1_25partition_config_selectorILNS1_17partition_subalgoE1ExNS0_10empty_typeEbEEZZNS1_14partition_implILS5_1ELb0ES3_jN6thrust23THRUST_200600_302600_NS6detail15normal_iteratorINSA_10device_ptrIxEEEEPS6_NSA_18transform_iteratorI7is_evenIxESF_NSA_11use_defaultESK_EENS0_5tupleIJNSA_16discard_iteratorISK_EESO_EEENSM_IJSG_SG_EEES6_PlJS6_EEE10hipError_tPvRmT3_T4_T5_T6_T7_T9_mT8_P12ihipStream_tbDpT10_ENKUlT_T0_E_clISt17integral_constantIbLb0EES1A_IbLb1EEEEDaS16_S17_EUlS16_E_NS1_11comp_targetILNS1_3genE5ELNS1_11target_archE942ELNS1_3gpuE9ELNS1_3repE0EEENS1_30default_config_static_selectorELNS0_4arch9wavefront6targetE1EEEvT1_,@function
_ZN7rocprim17ROCPRIM_400000_NS6detail17trampoline_kernelINS0_14default_configENS1_25partition_config_selectorILNS1_17partition_subalgoE1ExNS0_10empty_typeEbEEZZNS1_14partition_implILS5_1ELb0ES3_jN6thrust23THRUST_200600_302600_NS6detail15normal_iteratorINSA_10device_ptrIxEEEEPS6_NSA_18transform_iteratorI7is_evenIxESF_NSA_11use_defaultESK_EENS0_5tupleIJNSA_16discard_iteratorISK_EESO_EEENSM_IJSG_SG_EEES6_PlJS6_EEE10hipError_tPvRmT3_T4_T5_T6_T7_T9_mT8_P12ihipStream_tbDpT10_ENKUlT_T0_E_clISt17integral_constantIbLb0EES1A_IbLb1EEEEDaS16_S17_EUlS16_E_NS1_11comp_targetILNS1_3genE5ELNS1_11target_archE942ELNS1_3gpuE9ELNS1_3repE0EEENS1_30default_config_static_selectorELNS0_4arch9wavefront6targetE1EEEvT1_: ; @_ZN7rocprim17ROCPRIM_400000_NS6detail17trampoline_kernelINS0_14default_configENS1_25partition_config_selectorILNS1_17partition_subalgoE1ExNS0_10empty_typeEbEEZZNS1_14partition_implILS5_1ELb0ES3_jN6thrust23THRUST_200600_302600_NS6detail15normal_iteratorINSA_10device_ptrIxEEEEPS6_NSA_18transform_iteratorI7is_evenIxESF_NSA_11use_defaultESK_EENS0_5tupleIJNSA_16discard_iteratorISK_EESO_EEENSM_IJSG_SG_EEES6_PlJS6_EEE10hipError_tPvRmT3_T4_T5_T6_T7_T9_mT8_P12ihipStream_tbDpT10_ENKUlT_T0_E_clISt17integral_constantIbLb0EES1A_IbLb1EEEEDaS16_S17_EUlS16_E_NS1_11comp_targetILNS1_3genE5ELNS1_11target_archE942ELNS1_3gpuE9ELNS1_3repE0EEENS1_30default_config_static_selectorELNS0_4arch9wavefront6targetE1EEEvT1_
; %bb.0:
	.section	.rodata,"a",@progbits
	.p2align	6, 0x0
	.amdhsa_kernel _ZN7rocprim17ROCPRIM_400000_NS6detail17trampoline_kernelINS0_14default_configENS1_25partition_config_selectorILNS1_17partition_subalgoE1ExNS0_10empty_typeEbEEZZNS1_14partition_implILS5_1ELb0ES3_jN6thrust23THRUST_200600_302600_NS6detail15normal_iteratorINSA_10device_ptrIxEEEEPS6_NSA_18transform_iteratorI7is_evenIxESF_NSA_11use_defaultESK_EENS0_5tupleIJNSA_16discard_iteratorISK_EESO_EEENSM_IJSG_SG_EEES6_PlJS6_EEE10hipError_tPvRmT3_T4_T5_T6_T7_T9_mT8_P12ihipStream_tbDpT10_ENKUlT_T0_E_clISt17integral_constantIbLb0EES1A_IbLb1EEEEDaS16_S17_EUlS16_E_NS1_11comp_targetILNS1_3genE5ELNS1_11target_archE942ELNS1_3gpuE9ELNS1_3repE0EEENS1_30default_config_static_selectorELNS0_4arch9wavefront6targetE1EEEvT1_
		.amdhsa_group_segment_fixed_size 0
		.amdhsa_private_segment_fixed_size 0
		.amdhsa_kernarg_size 160
		.amdhsa_user_sgpr_count 6
		.amdhsa_user_sgpr_private_segment_buffer 1
		.amdhsa_user_sgpr_dispatch_ptr 0
		.amdhsa_user_sgpr_queue_ptr 0
		.amdhsa_user_sgpr_kernarg_segment_ptr 1
		.amdhsa_user_sgpr_dispatch_id 0
		.amdhsa_user_sgpr_flat_scratch_init 0
		.amdhsa_user_sgpr_kernarg_preload_length 0
		.amdhsa_user_sgpr_kernarg_preload_offset 0
		.amdhsa_user_sgpr_private_segment_size 0
		.amdhsa_uses_dynamic_stack 0
		.amdhsa_system_sgpr_private_segment_wavefront_offset 0
		.amdhsa_system_sgpr_workgroup_id_x 1
		.amdhsa_system_sgpr_workgroup_id_y 0
		.amdhsa_system_sgpr_workgroup_id_z 0
		.amdhsa_system_sgpr_workgroup_info 0
		.amdhsa_system_vgpr_workitem_id 0
		.amdhsa_next_free_vgpr 1
		.amdhsa_next_free_sgpr 0
		.amdhsa_accum_offset 4
		.amdhsa_reserve_vcc 0
		.amdhsa_reserve_flat_scratch 0
		.amdhsa_float_round_mode_32 0
		.amdhsa_float_round_mode_16_64 0
		.amdhsa_float_denorm_mode_32 3
		.amdhsa_float_denorm_mode_16_64 3
		.amdhsa_dx10_clamp 1
		.amdhsa_ieee_mode 1
		.amdhsa_fp16_overflow 0
		.amdhsa_tg_split 0
		.amdhsa_exception_fp_ieee_invalid_op 0
		.amdhsa_exception_fp_denorm_src 0
		.amdhsa_exception_fp_ieee_div_zero 0
		.amdhsa_exception_fp_ieee_overflow 0
		.amdhsa_exception_fp_ieee_underflow 0
		.amdhsa_exception_fp_ieee_inexact 0
		.amdhsa_exception_int_div_zero 0
	.end_amdhsa_kernel
	.section	.text._ZN7rocprim17ROCPRIM_400000_NS6detail17trampoline_kernelINS0_14default_configENS1_25partition_config_selectorILNS1_17partition_subalgoE1ExNS0_10empty_typeEbEEZZNS1_14partition_implILS5_1ELb0ES3_jN6thrust23THRUST_200600_302600_NS6detail15normal_iteratorINSA_10device_ptrIxEEEEPS6_NSA_18transform_iteratorI7is_evenIxESF_NSA_11use_defaultESK_EENS0_5tupleIJNSA_16discard_iteratorISK_EESO_EEENSM_IJSG_SG_EEES6_PlJS6_EEE10hipError_tPvRmT3_T4_T5_T6_T7_T9_mT8_P12ihipStream_tbDpT10_ENKUlT_T0_E_clISt17integral_constantIbLb0EES1A_IbLb1EEEEDaS16_S17_EUlS16_E_NS1_11comp_targetILNS1_3genE5ELNS1_11target_archE942ELNS1_3gpuE9ELNS1_3repE0EEENS1_30default_config_static_selectorELNS0_4arch9wavefront6targetE1EEEvT1_,"axG",@progbits,_ZN7rocprim17ROCPRIM_400000_NS6detail17trampoline_kernelINS0_14default_configENS1_25partition_config_selectorILNS1_17partition_subalgoE1ExNS0_10empty_typeEbEEZZNS1_14partition_implILS5_1ELb0ES3_jN6thrust23THRUST_200600_302600_NS6detail15normal_iteratorINSA_10device_ptrIxEEEEPS6_NSA_18transform_iteratorI7is_evenIxESF_NSA_11use_defaultESK_EENS0_5tupleIJNSA_16discard_iteratorISK_EESO_EEENSM_IJSG_SG_EEES6_PlJS6_EEE10hipError_tPvRmT3_T4_T5_T6_T7_T9_mT8_P12ihipStream_tbDpT10_ENKUlT_T0_E_clISt17integral_constantIbLb0EES1A_IbLb1EEEEDaS16_S17_EUlS16_E_NS1_11comp_targetILNS1_3genE5ELNS1_11target_archE942ELNS1_3gpuE9ELNS1_3repE0EEENS1_30default_config_static_selectorELNS0_4arch9wavefront6targetE1EEEvT1_,comdat
.Lfunc_end3188:
	.size	_ZN7rocprim17ROCPRIM_400000_NS6detail17trampoline_kernelINS0_14default_configENS1_25partition_config_selectorILNS1_17partition_subalgoE1ExNS0_10empty_typeEbEEZZNS1_14partition_implILS5_1ELb0ES3_jN6thrust23THRUST_200600_302600_NS6detail15normal_iteratorINSA_10device_ptrIxEEEEPS6_NSA_18transform_iteratorI7is_evenIxESF_NSA_11use_defaultESK_EENS0_5tupleIJNSA_16discard_iteratorISK_EESO_EEENSM_IJSG_SG_EEES6_PlJS6_EEE10hipError_tPvRmT3_T4_T5_T6_T7_T9_mT8_P12ihipStream_tbDpT10_ENKUlT_T0_E_clISt17integral_constantIbLb0EES1A_IbLb1EEEEDaS16_S17_EUlS16_E_NS1_11comp_targetILNS1_3genE5ELNS1_11target_archE942ELNS1_3gpuE9ELNS1_3repE0EEENS1_30default_config_static_selectorELNS0_4arch9wavefront6targetE1EEEvT1_, .Lfunc_end3188-_ZN7rocprim17ROCPRIM_400000_NS6detail17trampoline_kernelINS0_14default_configENS1_25partition_config_selectorILNS1_17partition_subalgoE1ExNS0_10empty_typeEbEEZZNS1_14partition_implILS5_1ELb0ES3_jN6thrust23THRUST_200600_302600_NS6detail15normal_iteratorINSA_10device_ptrIxEEEEPS6_NSA_18transform_iteratorI7is_evenIxESF_NSA_11use_defaultESK_EENS0_5tupleIJNSA_16discard_iteratorISK_EESO_EEENSM_IJSG_SG_EEES6_PlJS6_EEE10hipError_tPvRmT3_T4_T5_T6_T7_T9_mT8_P12ihipStream_tbDpT10_ENKUlT_T0_E_clISt17integral_constantIbLb0EES1A_IbLb1EEEEDaS16_S17_EUlS16_E_NS1_11comp_targetILNS1_3genE5ELNS1_11target_archE942ELNS1_3gpuE9ELNS1_3repE0EEENS1_30default_config_static_selectorELNS0_4arch9wavefront6targetE1EEEvT1_
                                        ; -- End function
	.section	.AMDGPU.csdata,"",@progbits
; Kernel info:
; codeLenInByte = 0
; NumSgprs: 4
; NumVgprs: 0
; NumAgprs: 0
; TotalNumVgprs: 0
; ScratchSize: 0
; MemoryBound: 0
; FloatMode: 240
; IeeeMode: 1
; LDSByteSize: 0 bytes/workgroup (compile time only)
; SGPRBlocks: 0
; VGPRBlocks: 0
; NumSGPRsForWavesPerEU: 4
; NumVGPRsForWavesPerEU: 1
; AccumOffset: 4
; Occupancy: 8
; WaveLimiterHint : 0
; COMPUTE_PGM_RSRC2:SCRATCH_EN: 0
; COMPUTE_PGM_RSRC2:USER_SGPR: 6
; COMPUTE_PGM_RSRC2:TRAP_HANDLER: 0
; COMPUTE_PGM_RSRC2:TGID_X_EN: 1
; COMPUTE_PGM_RSRC2:TGID_Y_EN: 0
; COMPUTE_PGM_RSRC2:TGID_Z_EN: 0
; COMPUTE_PGM_RSRC2:TIDIG_COMP_CNT: 0
; COMPUTE_PGM_RSRC3_GFX90A:ACCUM_OFFSET: 0
; COMPUTE_PGM_RSRC3_GFX90A:TG_SPLIT: 0
	.section	.text._ZN7rocprim17ROCPRIM_400000_NS6detail17trampoline_kernelINS0_14default_configENS1_25partition_config_selectorILNS1_17partition_subalgoE1ExNS0_10empty_typeEbEEZZNS1_14partition_implILS5_1ELb0ES3_jN6thrust23THRUST_200600_302600_NS6detail15normal_iteratorINSA_10device_ptrIxEEEEPS6_NSA_18transform_iteratorI7is_evenIxESF_NSA_11use_defaultESK_EENS0_5tupleIJNSA_16discard_iteratorISK_EESO_EEENSM_IJSG_SG_EEES6_PlJS6_EEE10hipError_tPvRmT3_T4_T5_T6_T7_T9_mT8_P12ihipStream_tbDpT10_ENKUlT_T0_E_clISt17integral_constantIbLb0EES1A_IbLb1EEEEDaS16_S17_EUlS16_E_NS1_11comp_targetILNS1_3genE4ELNS1_11target_archE910ELNS1_3gpuE8ELNS1_3repE0EEENS1_30default_config_static_selectorELNS0_4arch9wavefront6targetE1EEEvT1_,"axG",@progbits,_ZN7rocprim17ROCPRIM_400000_NS6detail17trampoline_kernelINS0_14default_configENS1_25partition_config_selectorILNS1_17partition_subalgoE1ExNS0_10empty_typeEbEEZZNS1_14partition_implILS5_1ELb0ES3_jN6thrust23THRUST_200600_302600_NS6detail15normal_iteratorINSA_10device_ptrIxEEEEPS6_NSA_18transform_iteratorI7is_evenIxESF_NSA_11use_defaultESK_EENS0_5tupleIJNSA_16discard_iteratorISK_EESO_EEENSM_IJSG_SG_EEES6_PlJS6_EEE10hipError_tPvRmT3_T4_T5_T6_T7_T9_mT8_P12ihipStream_tbDpT10_ENKUlT_T0_E_clISt17integral_constantIbLb0EES1A_IbLb1EEEEDaS16_S17_EUlS16_E_NS1_11comp_targetILNS1_3genE4ELNS1_11target_archE910ELNS1_3gpuE8ELNS1_3repE0EEENS1_30default_config_static_selectorELNS0_4arch9wavefront6targetE1EEEvT1_,comdat
	.protected	_ZN7rocprim17ROCPRIM_400000_NS6detail17trampoline_kernelINS0_14default_configENS1_25partition_config_selectorILNS1_17partition_subalgoE1ExNS0_10empty_typeEbEEZZNS1_14partition_implILS5_1ELb0ES3_jN6thrust23THRUST_200600_302600_NS6detail15normal_iteratorINSA_10device_ptrIxEEEEPS6_NSA_18transform_iteratorI7is_evenIxESF_NSA_11use_defaultESK_EENS0_5tupleIJNSA_16discard_iteratorISK_EESO_EEENSM_IJSG_SG_EEES6_PlJS6_EEE10hipError_tPvRmT3_T4_T5_T6_T7_T9_mT8_P12ihipStream_tbDpT10_ENKUlT_T0_E_clISt17integral_constantIbLb0EES1A_IbLb1EEEEDaS16_S17_EUlS16_E_NS1_11comp_targetILNS1_3genE4ELNS1_11target_archE910ELNS1_3gpuE8ELNS1_3repE0EEENS1_30default_config_static_selectorELNS0_4arch9wavefront6targetE1EEEvT1_ ; -- Begin function _ZN7rocprim17ROCPRIM_400000_NS6detail17trampoline_kernelINS0_14default_configENS1_25partition_config_selectorILNS1_17partition_subalgoE1ExNS0_10empty_typeEbEEZZNS1_14partition_implILS5_1ELb0ES3_jN6thrust23THRUST_200600_302600_NS6detail15normal_iteratorINSA_10device_ptrIxEEEEPS6_NSA_18transform_iteratorI7is_evenIxESF_NSA_11use_defaultESK_EENS0_5tupleIJNSA_16discard_iteratorISK_EESO_EEENSM_IJSG_SG_EEES6_PlJS6_EEE10hipError_tPvRmT3_T4_T5_T6_T7_T9_mT8_P12ihipStream_tbDpT10_ENKUlT_T0_E_clISt17integral_constantIbLb0EES1A_IbLb1EEEEDaS16_S17_EUlS16_E_NS1_11comp_targetILNS1_3genE4ELNS1_11target_archE910ELNS1_3gpuE8ELNS1_3repE0EEENS1_30default_config_static_selectorELNS0_4arch9wavefront6targetE1EEEvT1_
	.globl	_ZN7rocprim17ROCPRIM_400000_NS6detail17trampoline_kernelINS0_14default_configENS1_25partition_config_selectorILNS1_17partition_subalgoE1ExNS0_10empty_typeEbEEZZNS1_14partition_implILS5_1ELb0ES3_jN6thrust23THRUST_200600_302600_NS6detail15normal_iteratorINSA_10device_ptrIxEEEEPS6_NSA_18transform_iteratorI7is_evenIxESF_NSA_11use_defaultESK_EENS0_5tupleIJNSA_16discard_iteratorISK_EESO_EEENSM_IJSG_SG_EEES6_PlJS6_EEE10hipError_tPvRmT3_T4_T5_T6_T7_T9_mT8_P12ihipStream_tbDpT10_ENKUlT_T0_E_clISt17integral_constantIbLb0EES1A_IbLb1EEEEDaS16_S17_EUlS16_E_NS1_11comp_targetILNS1_3genE4ELNS1_11target_archE910ELNS1_3gpuE8ELNS1_3repE0EEENS1_30default_config_static_selectorELNS0_4arch9wavefront6targetE1EEEvT1_
	.p2align	8
	.type	_ZN7rocprim17ROCPRIM_400000_NS6detail17trampoline_kernelINS0_14default_configENS1_25partition_config_selectorILNS1_17partition_subalgoE1ExNS0_10empty_typeEbEEZZNS1_14partition_implILS5_1ELb0ES3_jN6thrust23THRUST_200600_302600_NS6detail15normal_iteratorINSA_10device_ptrIxEEEEPS6_NSA_18transform_iteratorI7is_evenIxESF_NSA_11use_defaultESK_EENS0_5tupleIJNSA_16discard_iteratorISK_EESO_EEENSM_IJSG_SG_EEES6_PlJS6_EEE10hipError_tPvRmT3_T4_T5_T6_T7_T9_mT8_P12ihipStream_tbDpT10_ENKUlT_T0_E_clISt17integral_constantIbLb0EES1A_IbLb1EEEEDaS16_S17_EUlS16_E_NS1_11comp_targetILNS1_3genE4ELNS1_11target_archE910ELNS1_3gpuE8ELNS1_3repE0EEENS1_30default_config_static_selectorELNS0_4arch9wavefront6targetE1EEEvT1_,@function
_ZN7rocprim17ROCPRIM_400000_NS6detail17trampoline_kernelINS0_14default_configENS1_25partition_config_selectorILNS1_17partition_subalgoE1ExNS0_10empty_typeEbEEZZNS1_14partition_implILS5_1ELb0ES3_jN6thrust23THRUST_200600_302600_NS6detail15normal_iteratorINSA_10device_ptrIxEEEEPS6_NSA_18transform_iteratorI7is_evenIxESF_NSA_11use_defaultESK_EENS0_5tupleIJNSA_16discard_iteratorISK_EESO_EEENSM_IJSG_SG_EEES6_PlJS6_EEE10hipError_tPvRmT3_T4_T5_T6_T7_T9_mT8_P12ihipStream_tbDpT10_ENKUlT_T0_E_clISt17integral_constantIbLb0EES1A_IbLb1EEEEDaS16_S17_EUlS16_E_NS1_11comp_targetILNS1_3genE4ELNS1_11target_archE910ELNS1_3gpuE8ELNS1_3repE0EEENS1_30default_config_static_selectorELNS0_4arch9wavefront6targetE1EEEvT1_: ; @_ZN7rocprim17ROCPRIM_400000_NS6detail17trampoline_kernelINS0_14default_configENS1_25partition_config_selectorILNS1_17partition_subalgoE1ExNS0_10empty_typeEbEEZZNS1_14partition_implILS5_1ELb0ES3_jN6thrust23THRUST_200600_302600_NS6detail15normal_iteratorINSA_10device_ptrIxEEEEPS6_NSA_18transform_iteratorI7is_evenIxESF_NSA_11use_defaultESK_EENS0_5tupleIJNSA_16discard_iteratorISK_EESO_EEENSM_IJSG_SG_EEES6_PlJS6_EEE10hipError_tPvRmT3_T4_T5_T6_T7_T9_mT8_P12ihipStream_tbDpT10_ENKUlT_T0_E_clISt17integral_constantIbLb0EES1A_IbLb1EEEEDaS16_S17_EUlS16_E_NS1_11comp_targetILNS1_3genE4ELNS1_11target_archE910ELNS1_3gpuE8ELNS1_3repE0EEENS1_30default_config_static_selectorELNS0_4arch9wavefront6targetE1EEEvT1_
; %bb.0:
	s_load_dwordx2 s[6:7], s[4:5], 0x20
	s_load_dwordx4 s[20:23], s[4:5], 0x60
	s_load_dwordx2 s[2:3], s[4:5], 0x70
	s_load_dwordx2 s[18:19], s[4:5], 0x80
	v_cmp_eq_u32_e64 s[0:1], 0, v0
	s_and_saveexec_b64 s[8:9], s[0:1]
	s_cbranch_execz .LBB3189_4
; %bb.1:
	s_mov_b64 s[12:13], exec
	v_mbcnt_lo_u32_b32 v1, s12, 0
	v_mbcnt_hi_u32_b32 v1, s13, v1
	v_cmp_eq_u32_e32 vcc, 0, v1
                                        ; implicit-def: $vgpr2
	s_and_saveexec_b64 s[10:11], vcc
	s_cbranch_execz .LBB3189_3
; %bb.2:
	s_load_dwordx2 s[14:15], s[4:5], 0x90
	s_bcnt1_i32_b64 s12, s[12:13]
	v_mov_b32_e32 v2, 0
	v_mov_b32_e32 v3, s12
	s_waitcnt lgkmcnt(0)
	global_atomic_add v2, v2, v3, s[14:15] glc
.LBB3189_3:
	s_or_b64 exec, exec, s[10:11]
	s_waitcnt vmcnt(0)
	v_readfirstlane_b32 s10, v2
	v_add_u32_e32 v1, s10, v1
	v_mov_b32_e32 v2, 0
	ds_write_b32 v2, v1
.LBB3189_4:
	s_or_b64 exec, exec, s[8:9]
	v_mov_b32_e32 v1, 0
	s_load_dwordx4 s[8:11], s[4:5], 0x8
	s_load_dword s12, s[4:5], 0x88
	s_waitcnt lgkmcnt(0)
	s_barrier
	ds_read_b32 v4, v1
	s_waitcnt lgkmcnt(0)
	s_barrier
	global_load_dwordx2 v[10:11], v1, s[22:23]
	s_lshl_b64 s[4:5], s[10:11], 3
	v_mov_b32_e32 v3, s3
	s_add_u32 s13, s8, s4
	s_mul_i32 s3, s12, 0x300
	s_addc_u32 s24, s9, s5
	s_add_i32 s9, s3, s10
	s_sub_i32 s14, s2, s9
	s_add_i32 s8, s12, -1
	s_addk_i32 s14, 0x300
	v_mov_b32_e32 v2, s2
	s_add_u32 s2, s10, s3
	v_readfirstlane_b32 s30, v4
	s_addc_u32 s3, s11, 0
	s_cmp_eq_u32 s30, s8
	s_cselect_b64 s[22:23], -1, 0
	s_cmp_lg_u32 s30, s8
	s_mul_i32 s16, s30, 0x300
	s_mov_b32 s17, 0
	v_cmp_lt_u64_e32 vcc, s[2:3], v[2:3]
	s_cselect_b64 s[2:3], -1, 0
	s_or_b64 s[8:9], vcc, s[2:3]
	s_lshl_b64 s[10:11], s[16:17], 3
	s_add_u32 s15, s13, s10
	s_addc_u32 s16, s24, s11
	s_mov_b64 s[2:3], -1
	s_and_b64 vcc, exec, s[8:9]
	v_lshlrev_b32_e32 v12, 3, v0
	v_lshrrev_b32_e32 v1, 2, v0
	s_cbranch_vccz .LBB3189_6
; %bb.5:
	v_mov_b32_e32 v3, s16
	v_add_co_u32_e32 v2, vcc, s15, v12
	v_addc_co_u32_e32 v3, vcc, 0, v3, vcc
	v_add_co_u32_e32 v4, vcc, 0x1000, v2
	v_addc_co_u32_e32 v5, vcc, 0, v3, vcc
	flat_load_dwordx2 v[6:7], v[2:3]
	flat_load_dwordx2 v[8:9], v[2:3] offset:1536
	flat_load_dwordx2 v[14:15], v[2:3] offset:3072
	;; [unrolled: 1-line block ×3, first 2 shown]
	v_add_u32_e32 v3, 0xc0, v0
	v_add_u32_e32 v4, 0x180, v0
	v_add_u32_e32 v5, 0x240, v0
	v_and_b32_e32 v2, 56, v1
	v_lshrrev_b32_e32 v3, 2, v3
	v_lshrrev_b32_e32 v4, 2, v4
	;; [unrolled: 1-line block ×3, first 2 shown]
	v_add_u32_e32 v2, v2, v12
	v_and_b32_e32 v3, 0x78, v3
	v_and_b32_e32 v4, 0xf8, v4
	;; [unrolled: 1-line block ×3, first 2 shown]
	v_add_u32_e32 v3, v3, v12
	v_add_u32_e32 v4, v4, v12
	;; [unrolled: 1-line block ×3, first 2 shown]
	s_mov_b64 s[2:3], 0
	s_waitcnt vmcnt(0) lgkmcnt(0)
	ds_write_b64 v2, v[6:7]
	ds_write_b64 v3, v[8:9] offset:1536
	ds_write_b64 v4, v[14:15] offset:3072
	;; [unrolled: 1-line block ×3, first 2 shown]
	s_waitcnt lgkmcnt(0)
	s_barrier
.LBB3189_6:
	s_andn2_b64 vcc, exec, s[2:3]
	v_cmp_gt_u32_e64 s[2:3], s14, v0
	s_cbranch_vccnz .LBB3189_16
; %bb.7:
                                        ; implicit-def: $vgpr2_vgpr3_vgpr4_vgpr5_vgpr6_vgpr7_vgpr8_vgpr9
	s_and_saveexec_b64 s[12:13], s[2:3]
	s_cbranch_execz .LBB3189_9
; %bb.8:
	v_mov_b32_e32 v3, s16
	v_add_co_u32_e32 v2, vcc, s15, v12
	v_addc_co_u32_e32 v3, vcc, 0, v3, vcc
	flat_load_dwordx2 v[2:3], v[2:3]
.LBB3189_9:
	s_or_b64 exec, exec, s[12:13]
	v_add_u32_e32 v13, 0xc0, v0
	v_cmp_gt_u32_e32 vcc, s14, v13
	s_and_saveexec_b64 s[2:3], vcc
	s_cbranch_execz .LBB3189_11
; %bb.10:
	v_mov_b32_e32 v5, s16
	v_add_co_u32_e32 v4, vcc, s15, v12
	v_addc_co_u32_e32 v5, vcc, 0, v5, vcc
	flat_load_dwordx2 v[4:5], v[4:5] offset:1536
.LBB3189_11:
	s_or_b64 exec, exec, s[2:3]
	v_add_u32_e32 v14, 0x180, v0
	v_cmp_gt_u32_e32 vcc, s14, v14
	s_and_saveexec_b64 s[2:3], vcc
	s_cbranch_execz .LBB3189_13
; %bb.12:
	v_mov_b32_e32 v7, s16
	v_add_co_u32_e32 v6, vcc, s15, v12
	v_addc_co_u32_e32 v7, vcc, 0, v7, vcc
	flat_load_dwordx2 v[6:7], v[6:7] offset:3072
.LBB3189_13:
	s_or_b64 exec, exec, s[2:3]
	v_add_u32_e32 v15, 0x240, v0
	v_cmp_gt_u32_e32 vcc, s14, v15
	s_and_saveexec_b64 s[2:3], vcc
	s_cbranch_execz .LBB3189_15
; %bb.14:
	v_lshlrev_b32_e32 v8, 3, v15
	v_mov_b32_e32 v9, s16
	v_add_co_u32_e32 v8, vcc, s15, v8
	v_addc_co_u32_e32 v9, vcc, 0, v9, vcc
	flat_load_dwordx2 v[8:9], v[8:9]
.LBB3189_15:
	s_or_b64 exec, exec, s[2:3]
	v_and_b32_e32 v1, 56, v1
	v_add_u32_e32 v1, v1, v12
	s_waitcnt vmcnt(0) lgkmcnt(0)
	ds_write_b64 v1, v[2:3]
	v_lshrrev_b32_e32 v1, 2, v13
	v_and_b32_e32 v1, 0x78, v1
	v_add_u32_e32 v1, v1, v12
	ds_write_b64 v1, v[4:5] offset:1536
	v_lshrrev_b32_e32 v1, 2, v14
	v_and_b32_e32 v1, 0xf8, v1
	v_add_u32_e32 v1, v1, v12
	ds_write_b64 v1, v[6:7] offset:3072
	;; [unrolled: 4-line block ×3, first 2 shown]
	s_waitcnt lgkmcnt(0)
	s_barrier
.LBB3189_16:
	v_lshlrev_b32_e32 v1, 2, v0
	v_lshrrev_b32_e32 v13, 3, v0
	v_add_lshl_u32 v2, v13, v1, 3
	ds_read2_b64 v[6:9], v2 offset1:1
	ds_read2_b64 v[2:5], v2 offset0:2 offset1:3
	s_add_u32 s2, s6, s4
	s_addc_u32 s3, s7, s5
	s_add_u32 s2, s2, s10
	s_addc_u32 s3, s3, s11
	s_mov_b64 s[4:5], -1
	s_and_b64 vcc, exec, s[8:9]
	v_lshrrev_b32_e32 v14, 5, v0
	s_waitcnt lgkmcnt(0)
	s_barrier
	s_cbranch_vccz .LBB3189_18
; %bb.17:
	global_load_dwordx2 v[16:17], v12, s[2:3]
	global_load_dwordx2 v[18:19], v12, s[2:3] offset:1536
	global_load_dwordx2 v[20:21], v12, s[2:3] offset:3072
	v_mov_b32_e32 v15, s3
	s_waitcnt vmcnt(2)
	v_add_co_u32_e32 v17, vcc, s2, v12
	v_addc_co_u32_e32 v15, vcc, 0, v15, vcc
	v_add_co_u32_e32 v22, vcc, 0x1000, v17
	v_addc_co_u32_e32 v23, vcc, 0, v15, vcc
	global_load_dwordx2 v[22:23], v[22:23], off offset:512
	v_add_u32_e32 v17, 0xc0, v0
	s_waitcnt vmcnt(2)
	v_add_u32_e32 v19, 0x180, v0
	v_and_b32_e32 v15, 4, v14
	s_waitcnt vmcnt(1)
	v_add_u32_e32 v21, 0x240, v0
	v_lshrrev_b32_e32 v17, 5, v17
	v_lshrrev_b32_e32 v19, 5, v19
	v_add_u32_e32 v15, v15, v0
	v_lshrrev_b32_e32 v21, 5, v21
	v_and_b32_e32 v17, 12, v17
	v_and_b32_e32 v19, 28, v19
	;; [unrolled: 1-line block ×3, first 2 shown]
	v_add_u32_e32 v17, v17, v0
	v_add_u32_e32 v19, v19, v0
	;; [unrolled: 1-line block ×3, first 2 shown]
	s_mov_b64 s[4:5], 0
	v_xor_b32_e32 v16, -1, v16
	v_xor_b32_e32 v18, -1, v18
	;; [unrolled: 1-line block ×3, first 2 shown]
	v_and_b32_e32 v16, 1, v16
	v_and_b32_e32 v18, 1, v18
	;; [unrolled: 1-line block ×3, first 2 shown]
	ds_write_b8 v15, v16
	ds_write_b8 v17, v18 offset:192
	ds_write_b8 v19, v20 offset:384
	s_waitcnt vmcnt(0)
	v_xor_b32_e32 v15, -1, v22
	v_and_b32_e32 v15, 1, v15
	ds_write_b8 v21, v15 offset:576
	s_waitcnt lgkmcnt(0)
	s_barrier
.LBB3189_18:
	s_andn2_b64 vcc, exec, s[4:5]
	s_cbranch_vccnz .LBB3189_28
; %bb.19:
	v_cmp_gt_u32_e32 vcc, s14, v0
	v_mov_b32_e32 v15, 0
	v_mov_b32_e32 v16, 0
	s_and_saveexec_b64 s[4:5], vcc
	s_cbranch_execz .LBB3189_21
; %bb.20:
	global_load_dwordx2 v[16:17], v12, s[2:3]
	s_waitcnt vmcnt(0)
	v_xor_b32_e32 v16, -1, v16
	v_and_b32_e32 v16, 1, v16
.LBB3189_21:
	s_or_b64 exec, exec, s[4:5]
	v_add_u32_e32 v17, 0xc0, v0
	v_cmp_gt_u32_e32 vcc, s14, v17
	s_and_saveexec_b64 s[4:5], vcc
	s_cbranch_execz .LBB3189_23
; %bb.22:
	global_load_dwordx2 v[18:19], v12, s[2:3] offset:1536
	s_waitcnt vmcnt(0)
	v_xor_b32_e32 v15, -1, v18
	v_and_b32_e32 v15, 1, v15
.LBB3189_23:
	s_or_b64 exec, exec, s[4:5]
	v_add_u32_e32 v19, 0x180, v0
	v_cmp_gt_u32_e32 vcc, s14, v19
	v_mov_b32_e32 v18, 0
	v_mov_b32_e32 v20, 0
	s_and_saveexec_b64 s[4:5], vcc
	s_cbranch_execz .LBB3189_25
; %bb.24:
	global_load_dwordx2 v[20:21], v12, s[2:3] offset:3072
	s_waitcnt vmcnt(0)
	v_xor_b32_e32 v12, -1, v20
	v_and_b32_e32 v20, 1, v12
.LBB3189_25:
	s_or_b64 exec, exec, s[4:5]
	v_add_u32_e32 v12, 0x240, v0
	v_cmp_gt_u32_e32 vcc, s14, v12
	s_and_saveexec_b64 s[4:5], vcc
	s_cbranch_execz .LBB3189_27
; %bb.26:
	v_lshlrev_b32_e32 v18, 3, v12
	global_load_dwordx2 v[22:23], v18, s[2:3]
	s_waitcnt vmcnt(0)
	v_xor_b32_e32 v18, -1, v22
	v_and_b32_e32 v18, 1, v18
.LBB3189_27:
	s_or_b64 exec, exec, s[4:5]
	v_and_b32_e32 v14, 4, v14
	v_add_u32_e32 v14, v14, v0
	ds_write_b8 v14, v16
	v_lshrrev_b32_e32 v14, 5, v17
	v_and_b32_e32 v14, 12, v14
	v_add_u32_e32 v14, v14, v0
	ds_write_b8 v14, v15 offset:192
	v_lshrrev_b32_e32 v14, 5, v19
	v_lshrrev_b32_e32 v12, 5, v12
	v_and_b32_e32 v14, 28, v14
	v_and_b32_e32 v12, 28, v12
	v_add_u32_e32 v14, v14, v0
	v_add_u32_e32 v12, v12, v0
	ds_write_b8 v14, v20 offset:384
	ds_write_b8 v12, v18 offset:576
	s_waitcnt lgkmcnt(0)
	s_barrier
.LBB3189_28:
	v_and_b32_e32 v12, 28, v13
	v_add_u32_e32 v12, v12, v1
	ds_read_b32 v23, v12
	s_cmp_lg_u32 s30, 0
	v_lshrrev_b32_e32 v26, 6, v0
	s_waitcnt lgkmcnt(0)
	s_barrier
	v_lshrrev_b32_e32 v22, 24, v23
	v_bfe_u32 v24, v23, 16, 8
	v_add_u32_sdwa v12, v23, v23 dst_sel:DWORD dst_unused:UNUSED_PAD src0_sel:BYTE_1 src1_sel:BYTE_0
	v_add3_u32 v27, v12, v24, v22
	v_mbcnt_lo_u32_b32 v12, -1, 0
	v_mbcnt_hi_u32_b32 v25, -1, v12
	v_and_b32_e32 v12, 15, v25
	v_cmp_eq_u32_e64 s[14:15], 0, v12
	v_cmp_lt_u32_e64 s[12:13], 1, v12
	v_cmp_lt_u32_e64 s[10:11], 3, v12
	;; [unrolled: 1-line block ×3, first 2 shown]
	v_and_b32_e32 v12, 16, v25
	v_cmp_eq_u32_e64 s[4:5], 0, v12
	v_and_b32_e32 v12, 0xc0, v0
	v_min_u32_e32 v12, 0x80, v12
	v_or_b32_e32 v12, 63, v12
	v_cmp_lt_u32_e64 s[2:3], 31, v25
	v_cmp_eq_u32_e64 s[6:7], v12, v0
	s_cbranch_scc0 .LBB3189_55
; %bb.29:
	v_mov_b32_dpp v12, v27 row_shr:1 row_mask:0xf bank_mask:0xf
	v_cndmask_b32_e64 v12, v12, 0, s[14:15]
	v_add_u32_e32 v12, v12, v27
	s_nop 1
	v_mov_b32_dpp v13, v12 row_shr:2 row_mask:0xf bank_mask:0xf
	v_cndmask_b32_e64 v13, 0, v13, s[12:13]
	v_add_u32_e32 v12, v12, v13
	s_nop 1
	;; [unrolled: 4-line block ×4, first 2 shown]
	v_mov_b32_dpp v13, v12 row_bcast:15 row_mask:0xf bank_mask:0xf
	v_cndmask_b32_e64 v13, v13, 0, s[4:5]
	v_add_u32_e32 v12, v12, v13
	s_nop 1
	v_mov_b32_dpp v13, v12 row_bcast:31 row_mask:0xf bank_mask:0xf
	v_cndmask_b32_e64 v13, 0, v13, s[2:3]
	v_add_u32_e32 v12, v12, v13
	s_and_saveexec_b64 s[16:17], s[6:7]
	s_cbranch_execz .LBB3189_31
; %bb.30:
	v_lshlrev_b32_e32 v13, 2, v26
	ds_write_b32 v13, v12
.LBB3189_31:
	s_or_b64 exec, exec, s[16:17]
	v_cmp_gt_u32_e32 vcc, 3, v0
	s_waitcnt lgkmcnt(0)
	s_barrier
	s_and_saveexec_b64 s[16:17], vcc
	s_cbranch_execz .LBB3189_33
; %bb.32:
	ds_read_b32 v13, v1
	v_and_b32_e32 v14, 3, v25
	v_cmp_ne_u32_e32 vcc, 0, v14
	s_waitcnt lgkmcnt(0)
	v_mov_b32_dpp v15, v13 row_shr:1 row_mask:0xf bank_mask:0xf
	v_cndmask_b32_e32 v15, 0, v15, vcc
	v_add_u32_e32 v13, v15, v13
	v_cmp_lt_u32_e32 vcc, 1, v14
	s_nop 0
	v_mov_b32_dpp v15, v13 row_shr:2 row_mask:0xf bank_mask:0xf
	v_cndmask_b32_e32 v14, 0, v15, vcc
	v_add_u32_e32 v13, v13, v14
	ds_write_b32 v1, v13
.LBB3189_33:
	s_or_b64 exec, exec, s[16:17]
	v_cmp_gt_u32_e32 vcc, 64, v0
	v_cmp_lt_u32_e64 s[16:17], 63, v0
	s_waitcnt lgkmcnt(0)
	s_barrier
	s_waitcnt lgkmcnt(0)
                                        ; implicit-def: $vgpr28
	s_and_saveexec_b64 s[24:25], s[16:17]
	s_cbranch_execz .LBB3189_35
; %bb.34:
	v_lshl_add_u32 v13, v26, 2, -4
	ds_read_b32 v28, v13
	s_waitcnt lgkmcnt(0)
	v_add_u32_e32 v12, v28, v12
.LBB3189_35:
	s_or_b64 exec, exec, s[24:25]
	v_add_u32_e32 v13, -1, v25
	v_and_b32_e32 v14, 64, v25
	v_cmp_lt_i32_e64 s[16:17], v13, v14
	v_cndmask_b32_e64 v13, v13, v25, s[16:17]
	v_lshlrev_b32_e32 v13, 2, v13
	ds_bpermute_b32 v29, v13, v12
	v_cmp_eq_u32_e64 s[16:17], 0, v25
	s_and_saveexec_b64 s[24:25], vcc
	s_cbranch_execz .LBB3189_54
; %bb.36:
	v_mov_b32_e32 v19, 0
	ds_read_b32 v12, v19 offset:8
	s_and_saveexec_b64 s[26:27], s[16:17]
	s_cbranch_execz .LBB3189_38
; %bb.37:
	s_add_i32 s28, s30, 64
	s_mov_b32 s29, 0
	s_lshl_b64 s[28:29], s[28:29], 3
	s_add_u32 s28, s18, s28
	v_mov_b32_e32 v13, 1
	s_addc_u32 s29, s19, s29
	s_waitcnt lgkmcnt(0)
	global_store_dwordx2 v19, v[12:13], s[28:29]
.LBB3189_38:
	s_or_b64 exec, exec, s[26:27]
	v_xad_u32 v14, v25, -1, s30
	v_add_u32_e32 v18, 64, v14
	v_lshlrev_b64 v[16:17], 3, v[18:19]
	v_mov_b32_e32 v13, s19
	v_add_co_u32_e32 v20, vcc, s18, v16
	v_addc_co_u32_e32 v21, vcc, v13, v17, vcc
	global_load_dwordx2 v[16:17], v[20:21], off glc
	s_waitcnt vmcnt(0)
	v_cmp_eq_u16_sdwa s[28:29], v17, v19 src0_sel:BYTE_0 src1_sel:DWORD
	s_and_saveexec_b64 s[26:27], s[28:29]
	s_cbranch_execz .LBB3189_42
; %bb.39:
	s_mov_b64 s[28:29], 0
	v_mov_b32_e32 v13, 0
.LBB3189_40:                            ; =>This Inner Loop Header: Depth=1
	global_load_dwordx2 v[16:17], v[20:21], off glc
	s_waitcnt vmcnt(0)
	v_cmp_ne_u16_sdwa s[34:35], v17, v13 src0_sel:BYTE_0 src1_sel:DWORD
	s_or_b64 s[28:29], s[34:35], s[28:29]
	s_andn2_b64 exec, exec, s[28:29]
	s_cbranch_execnz .LBB3189_40
; %bb.41:
	s_or_b64 exec, exec, s[28:29]
.LBB3189_42:
	s_or_b64 exec, exec, s[26:27]
	v_and_b32_e32 v31, 63, v25
	v_mov_b32_e32 v30, 2
	v_cmp_ne_u32_e32 vcc, 63, v31
	v_cmp_eq_u16_sdwa s[26:27], v17, v30 src0_sel:BYTE_0 src1_sel:DWORD
	v_lshlrev_b64 v[18:19], v25, -1
	v_addc_co_u32_e32 v20, vcc, 0, v25, vcc
	v_and_b32_e32 v13, s27, v19
	v_lshlrev_b32_e32 v32, 2, v20
	v_or_b32_e32 v13, 0x80000000, v13
	ds_bpermute_b32 v20, v32, v16
	v_and_b32_e32 v15, s26, v18
	v_ffbl_b32_e32 v13, v13
	v_add_u32_e32 v13, 32, v13
	v_ffbl_b32_e32 v15, v15
	v_min_u32_e32 v13, v15, v13
	v_cmp_lt_u32_e32 vcc, v31, v13
	s_waitcnt lgkmcnt(0)
	v_cndmask_b32_e32 v15, 0, v20, vcc
	v_cmp_gt_u32_e32 vcc, 62, v31
	v_add_u32_e32 v15, v15, v16
	v_cndmask_b32_e64 v16, 0, 1, vcc
	v_lshlrev_b32_e32 v16, 1, v16
	v_add_lshl_u32 v33, v16, v25, 2
	ds_bpermute_b32 v16, v33, v15
	v_add_u32_e32 v34, 2, v31
	v_cmp_le_u32_e32 vcc, v34, v13
	v_add_u32_e32 v36, 4, v31
	v_add_u32_e32 v38, 8, v31
	s_waitcnt lgkmcnt(0)
	v_cndmask_b32_e32 v16, 0, v16, vcc
	v_cmp_gt_u32_e32 vcc, 60, v31
	v_add_u32_e32 v15, v15, v16
	v_cndmask_b32_e64 v16, 0, 1, vcc
	v_lshlrev_b32_e32 v16, 2, v16
	v_add_lshl_u32 v35, v16, v25, 2
	ds_bpermute_b32 v16, v35, v15
	v_cmp_le_u32_e32 vcc, v36, v13
	v_add_u32_e32 v40, 16, v31
	v_add_u32_e32 v42, 32, v31
	s_waitcnt lgkmcnt(0)
	v_cndmask_b32_e32 v16, 0, v16, vcc
	v_cmp_gt_u32_e32 vcc, 56, v31
	v_add_u32_e32 v15, v15, v16
	v_cndmask_b32_e64 v16, 0, 1, vcc
	v_lshlrev_b32_e32 v16, 3, v16
	v_add_lshl_u32 v37, v16, v25, 2
	ds_bpermute_b32 v16, v37, v15
	v_cmp_le_u32_e32 vcc, v38, v13
	s_waitcnt lgkmcnt(0)
	v_cndmask_b32_e32 v16, 0, v16, vcc
	v_cmp_gt_u32_e32 vcc, 48, v31
	v_add_u32_e32 v15, v15, v16
	v_cndmask_b32_e64 v16, 0, 1, vcc
	v_lshlrev_b32_e32 v16, 4, v16
	v_add_lshl_u32 v39, v16, v25, 2
	ds_bpermute_b32 v16, v39, v15
	v_cmp_le_u32_e32 vcc, v40, v13
	;; [unrolled: 9-line block ×3, first 2 shown]
	s_waitcnt lgkmcnt(0)
	v_cndmask_b32_e32 v13, 0, v16, vcc
	v_add_u32_e32 v16, v15, v13
	v_mov_b32_e32 v15, 0
	s_branch .LBB3189_44
.LBB3189_43:                            ;   in Loop: Header=BB3189_44 Depth=1
	s_or_b64 exec, exec, s[26:27]
	v_cmp_eq_u16_sdwa s[26:27], v17, v30 src0_sel:BYTE_0 src1_sel:DWORD
	v_and_b32_e32 v20, s27, v19
	v_or_b32_e32 v20, 0x80000000, v20
	ds_bpermute_b32 v43, v32, v16
	v_and_b32_e32 v21, s26, v18
	v_ffbl_b32_e32 v20, v20
	v_add_u32_e32 v20, 32, v20
	v_ffbl_b32_e32 v21, v21
	v_min_u32_e32 v20, v21, v20
	v_cmp_lt_u32_e32 vcc, v31, v20
	s_waitcnt lgkmcnt(0)
	v_cndmask_b32_e32 v21, 0, v43, vcc
	v_add_u32_e32 v16, v21, v16
	ds_bpermute_b32 v21, v33, v16
	v_cmp_le_u32_e32 vcc, v34, v20
	v_subrev_u32_e32 v14, 64, v14
	s_waitcnt lgkmcnt(0)
	v_cndmask_b32_e32 v21, 0, v21, vcc
	v_add_u32_e32 v16, v16, v21
	ds_bpermute_b32 v21, v35, v16
	v_cmp_le_u32_e32 vcc, v36, v20
	s_waitcnt lgkmcnt(0)
	v_cndmask_b32_e32 v21, 0, v21, vcc
	v_add_u32_e32 v16, v16, v21
	ds_bpermute_b32 v21, v37, v16
	v_cmp_le_u32_e32 vcc, v38, v20
	;; [unrolled: 5-line block ×4, first 2 shown]
	s_waitcnt lgkmcnt(0)
	v_cndmask_b32_e32 v20, 0, v21, vcc
	v_add3_u32 v16, v20, v13, v16
.LBB3189_44:                            ; =>This Loop Header: Depth=1
                                        ;     Child Loop BB3189_47 Depth 2
	v_cmp_ne_u16_sdwa s[26:27], v17, v30 src0_sel:BYTE_0 src1_sel:DWORD
	v_cndmask_b32_e64 v13, 0, 1, s[26:27]
	;;#ASMSTART
	;;#ASMEND
	v_cmp_ne_u32_e32 vcc, 0, v13
	s_cmp_lg_u64 vcc, exec
	v_mov_b32_e32 v13, v16
	s_cbranch_scc1 .LBB3189_49
; %bb.45:                               ;   in Loop: Header=BB3189_44 Depth=1
	v_lshlrev_b64 v[16:17], 3, v[14:15]
	v_mov_b32_e32 v21, s19
	v_add_co_u32_e32 v20, vcc, s18, v16
	v_addc_co_u32_e32 v21, vcc, v21, v17, vcc
	global_load_dwordx2 v[16:17], v[20:21], off glc
	s_waitcnt vmcnt(0)
	v_cmp_eq_u16_sdwa s[28:29], v17, v15 src0_sel:BYTE_0 src1_sel:DWORD
	s_and_saveexec_b64 s[26:27], s[28:29]
	s_cbranch_execz .LBB3189_43
; %bb.46:                               ;   in Loop: Header=BB3189_44 Depth=1
	s_mov_b64 s[28:29], 0
.LBB3189_47:                            ;   Parent Loop BB3189_44 Depth=1
                                        ; =>  This Inner Loop Header: Depth=2
	global_load_dwordx2 v[16:17], v[20:21], off glc
	s_waitcnt vmcnt(0)
	v_cmp_ne_u16_sdwa s[34:35], v17, v15 src0_sel:BYTE_0 src1_sel:DWORD
	s_or_b64 s[28:29], s[34:35], s[28:29]
	s_andn2_b64 exec, exec, s[28:29]
	s_cbranch_execnz .LBB3189_47
; %bb.48:                               ;   in Loop: Header=BB3189_44 Depth=1
	s_or_b64 exec, exec, s[28:29]
	s_branch .LBB3189_43
.LBB3189_49:                            ;   in Loop: Header=BB3189_44 Depth=1
                                        ; implicit-def: $vgpr16
                                        ; implicit-def: $vgpr17
	s_cbranch_execz .LBB3189_44
; %bb.50:
	s_and_saveexec_b64 s[26:27], s[16:17]
	s_cbranch_execz .LBB3189_52
; %bb.51:
	s_add_i32 s28, s30, 64
	s_mov_b32 s29, 0
	s_lshl_b64 s[28:29], s[28:29], 3
	s_add_u32 s28, s18, s28
	v_add_u32_e32 v14, v13, v12
	v_mov_b32_e32 v15, 2
	s_addc_u32 s29, s19, s29
	v_mov_b32_e32 v16, 0
	global_store_dwordx2 v16, v[14:15], s[28:29]
	ds_write_b64 v16, v[12:13] offset:6336
.LBB3189_52:
	s_or_b64 exec, exec, s[26:27]
	s_and_b64 exec, exec, s[0:1]
	s_cbranch_execz .LBB3189_54
; %bb.53:
	v_mov_b32_e32 v12, 0
	ds_write_b32 v12, v13 offset:8
.LBB3189_54:
	s_or_b64 exec, exec, s[24:25]
	v_mov_b32_e32 v12, 0
	s_waitcnt lgkmcnt(0)
	s_barrier
	ds_read_b32 v13, v12 offset:8
	v_cndmask_b32_e64 v14, v29, v28, s[16:17]
	v_cndmask_b32_e64 v14, v14, 0, s[0:1]
	s_waitcnt lgkmcnt(0)
	s_barrier
	v_add_u32_e32 v16, v13, v14
	ds_read_b64 v[12:13], v12 offset:6336
	v_add_u32_sdwa v17, v16, v23 dst_sel:DWORD dst_unused:UNUSED_PAD src0_sel:DWORD src1_sel:BYTE_0
	v_add_u32_sdwa v15, v17, v23 dst_sel:DWORD dst_unused:UNUSED_PAD src0_sel:DWORD src1_sel:BYTE_1
	v_add_u32_e32 v14, v15, v24
	s_branch .LBB3189_65
.LBB3189_55:
                                        ; implicit-def: $vgpr13
                                        ; implicit-def: $vgpr14
                                        ; implicit-def: $vgpr15
                                        ; implicit-def: $vgpr17
                                        ; implicit-def: $vgpr16
	s_cbranch_execz .LBB3189_65
; %bb.56:
	s_waitcnt lgkmcnt(0)
	v_mov_b32_dpp v12, v27 row_shr:1 row_mask:0xf bank_mask:0xf
	v_cndmask_b32_e64 v12, v12, 0, s[14:15]
	v_add_u32_e32 v12, v12, v27
	s_nop 1
	v_mov_b32_dpp v13, v12 row_shr:2 row_mask:0xf bank_mask:0xf
	v_cndmask_b32_e64 v13, 0, v13, s[12:13]
	v_add_u32_e32 v12, v12, v13
	s_nop 1
	;; [unrolled: 4-line block ×4, first 2 shown]
	v_mov_b32_dpp v13, v12 row_bcast:15 row_mask:0xf bank_mask:0xf
	v_cndmask_b32_e64 v13, v13, 0, s[4:5]
	v_add_u32_e32 v12, v12, v13
	s_nop 1
	v_mov_b32_dpp v13, v12 row_bcast:31 row_mask:0xf bank_mask:0xf
	v_cndmask_b32_e64 v13, 0, v13, s[2:3]
	v_add_u32_e32 v12, v12, v13
	s_and_saveexec_b64 s[2:3], s[6:7]
	s_cbranch_execz .LBB3189_58
; %bb.57:
	v_lshlrev_b32_e32 v13, 2, v26
	ds_write_b32 v13, v12
.LBB3189_58:
	s_or_b64 exec, exec, s[2:3]
	v_cmp_gt_u32_e32 vcc, 3, v0
	s_waitcnt lgkmcnt(0)
	s_barrier
	s_and_saveexec_b64 s[2:3], vcc
	s_cbranch_execz .LBB3189_60
; %bb.59:
	ds_read_b32 v13, v1
	v_and_b32_e32 v14, 3, v25
	v_cmp_ne_u32_e32 vcc, 0, v14
	s_waitcnt lgkmcnt(0)
	v_mov_b32_dpp v15, v13 row_shr:1 row_mask:0xf bank_mask:0xf
	v_cndmask_b32_e32 v15, 0, v15, vcc
	v_add_u32_e32 v13, v15, v13
	v_cmp_lt_u32_e32 vcc, 1, v14
	s_nop 0
	v_mov_b32_dpp v15, v13 row_shr:2 row_mask:0xf bank_mask:0xf
	v_cndmask_b32_e32 v14, 0, v15, vcc
	v_add_u32_e32 v13, v13, v14
	ds_write_b32 v1, v13
.LBB3189_60:
	s_or_b64 exec, exec, s[2:3]
	v_cmp_lt_u32_e32 vcc, 63, v0
	v_mov_b32_e32 v13, 0
	v_mov_b32_e32 v0, 0
	s_waitcnt lgkmcnt(0)
	s_barrier
	s_and_saveexec_b64 s[2:3], vcc
	s_cbranch_execz .LBB3189_62
; %bb.61:
	v_lshl_add_u32 v0, v26, 2, -4
	ds_read_b32 v0, v0
.LBB3189_62:
	s_or_b64 exec, exec, s[2:3]
	v_add_u32_e32 v14, -1, v25
	v_and_b32_e32 v15, 64, v25
	v_cmp_lt_i32_e32 vcc, v14, v15
	v_cndmask_b32_e32 v14, v14, v25, vcc
	s_waitcnt lgkmcnt(0)
	v_add_u32_e32 v12, v0, v12
	v_lshlrev_b32_e32 v14, 2, v14
	ds_bpermute_b32 v14, v14, v12
	ds_read_b32 v12, v13 offset:8
	s_and_saveexec_b64 s[2:3], s[0:1]
	s_cbranch_execz .LBB3189_64
; %bb.63:
	v_mov_b32_e32 v15, 0
	v_mov_b32_e32 v13, 2
	s_waitcnt lgkmcnt(0)
	global_store_dwordx2 v15, v[12:13], s[18:19] offset:512
.LBB3189_64:
	s_or_b64 exec, exec, s[2:3]
	v_cmp_eq_u32_e32 vcc, 0, v25
	s_waitcnt lgkmcnt(1)
	v_cndmask_b32_e32 v0, v14, v0, vcc
	v_cndmask_b32_e64 v16, v0, 0, s[0:1]
	v_add_u32_sdwa v17, v16, v23 dst_sel:DWORD dst_unused:UNUSED_PAD src0_sel:DWORD src1_sel:BYTE_0
	v_add_u32_sdwa v15, v17, v23 dst_sel:DWORD dst_unused:UNUSED_PAD src0_sel:DWORD src1_sel:BYTE_1
	v_mov_b32_e32 v13, 0
	v_add_u32_e32 v14, v15, v24
	s_waitcnt lgkmcnt(0)
	s_barrier
.LBB3189_65:
	s_waitcnt lgkmcnt(0)
	v_add_u32_e32 v1, v12, v1
	v_sub_u32_e32 v16, v16, v13
	v_and_b32_e32 v19, 1, v23
	v_sub_u32_e32 v18, v1, v16
	v_cmp_eq_u32_e32 vcc, 1, v19
	v_cndmask_b32_e32 v16, v18, v16, vcc
	v_lshlrev_b32_e32 v16, 3, v16
	v_lshrrev_b32_e32 v0, 8, v23
	ds_write_b64 v16, v[6:7]
	v_sub_u32_e32 v6, v17, v13
	v_sub_u32_e32 v7, v1, v6
	v_and_b32_e32 v0, 1, v0
	v_add_u32_e32 v7, 1, v7
	v_cmp_eq_u32_e32 vcc, 1, v0
	v_cndmask_b32_e32 v0, v7, v6, vcc
	v_lshlrev_b32_e32 v0, 3, v0
	ds_write_b64 v0, v[8:9]
	v_sub_u32_e32 v0, v15, v13
	v_mov_b32_e32 v7, 1
	v_sub_u32_e32 v6, v1, v0
	v_and_b32_sdwa v7, v7, v23 dst_sel:DWORD dst_unused:UNUSED_PAD src0_sel:DWORD src1_sel:WORD_1
	v_add_u32_e32 v6, 2, v6
	v_cmp_eq_u32_e32 vcc, 1, v7
	v_cndmask_b32_e32 v0, v6, v0, vcc
	v_lshlrev_b32_e32 v0, 3, v0
	ds_write_b64 v0, v[2:3]
	v_sub_u32_e32 v0, v14, v13
	v_sub_u32_e32 v1, v1, v0
	v_and_b32_e32 v2, 1, v22
	v_add_u32_e32 v1, 3, v1
	v_cmp_eq_u32_e32 vcc, 1, v2
	v_cndmask_b32_e32 v0, v1, v0, vcc
	v_lshlrev_b32_e32 v0, 3, v0
	s_and_b64 s[0:1], s[0:1], s[22:23]
	ds_write_b64 v0, v[4:5]
	s_waitcnt lgkmcnt(0)
	s_barrier
	s_and_saveexec_b64 s[2:3], s[0:1]
	s_cbranch_execz .LBB3189_67
; %bb.66:
	s_waitcnt vmcnt(0)
	v_add_co_u32_e32 v0, vcc, v10, v12
	v_addc_co_u32_e32 v1, vcc, 0, v11, vcc
	v_add_co_u32_e32 v0, vcc, v0, v13
	v_mov_b32_e32 v2, 0
	v_addc_co_u32_e32 v1, vcc, 0, v1, vcc
	global_store_dwordx2 v2, v[0:1], s[20:21]
.LBB3189_67:
	s_endpgm
	.section	.rodata,"a",@progbits
	.p2align	6, 0x0
	.amdhsa_kernel _ZN7rocprim17ROCPRIM_400000_NS6detail17trampoline_kernelINS0_14default_configENS1_25partition_config_selectorILNS1_17partition_subalgoE1ExNS0_10empty_typeEbEEZZNS1_14partition_implILS5_1ELb0ES3_jN6thrust23THRUST_200600_302600_NS6detail15normal_iteratorINSA_10device_ptrIxEEEEPS6_NSA_18transform_iteratorI7is_evenIxESF_NSA_11use_defaultESK_EENS0_5tupleIJNSA_16discard_iteratorISK_EESO_EEENSM_IJSG_SG_EEES6_PlJS6_EEE10hipError_tPvRmT3_T4_T5_T6_T7_T9_mT8_P12ihipStream_tbDpT10_ENKUlT_T0_E_clISt17integral_constantIbLb0EES1A_IbLb1EEEEDaS16_S17_EUlS16_E_NS1_11comp_targetILNS1_3genE4ELNS1_11target_archE910ELNS1_3gpuE8ELNS1_3repE0EEENS1_30default_config_static_selectorELNS0_4arch9wavefront6targetE1EEEvT1_
		.amdhsa_group_segment_fixed_size 6344
		.amdhsa_private_segment_fixed_size 0
		.amdhsa_kernarg_size 160
		.amdhsa_user_sgpr_count 6
		.amdhsa_user_sgpr_private_segment_buffer 1
		.amdhsa_user_sgpr_dispatch_ptr 0
		.amdhsa_user_sgpr_queue_ptr 0
		.amdhsa_user_sgpr_kernarg_segment_ptr 1
		.amdhsa_user_sgpr_dispatch_id 0
		.amdhsa_user_sgpr_flat_scratch_init 0
		.amdhsa_user_sgpr_kernarg_preload_length 0
		.amdhsa_user_sgpr_kernarg_preload_offset 0
		.amdhsa_user_sgpr_private_segment_size 0
		.amdhsa_uses_dynamic_stack 0
		.amdhsa_system_sgpr_private_segment_wavefront_offset 0
		.amdhsa_system_sgpr_workgroup_id_x 1
		.amdhsa_system_sgpr_workgroup_id_y 0
		.amdhsa_system_sgpr_workgroup_id_z 0
		.amdhsa_system_sgpr_workgroup_info 0
		.amdhsa_system_vgpr_workitem_id 0
		.amdhsa_next_free_vgpr 44
		.amdhsa_next_free_sgpr 36
		.amdhsa_accum_offset 44
		.amdhsa_reserve_vcc 1
		.amdhsa_reserve_flat_scratch 0
		.amdhsa_float_round_mode_32 0
		.amdhsa_float_round_mode_16_64 0
		.amdhsa_float_denorm_mode_32 3
		.amdhsa_float_denorm_mode_16_64 3
		.amdhsa_dx10_clamp 1
		.amdhsa_ieee_mode 1
		.amdhsa_fp16_overflow 0
		.amdhsa_tg_split 0
		.amdhsa_exception_fp_ieee_invalid_op 0
		.amdhsa_exception_fp_denorm_src 0
		.amdhsa_exception_fp_ieee_div_zero 0
		.amdhsa_exception_fp_ieee_overflow 0
		.amdhsa_exception_fp_ieee_underflow 0
		.amdhsa_exception_fp_ieee_inexact 0
		.amdhsa_exception_int_div_zero 0
	.end_amdhsa_kernel
	.section	.text._ZN7rocprim17ROCPRIM_400000_NS6detail17trampoline_kernelINS0_14default_configENS1_25partition_config_selectorILNS1_17partition_subalgoE1ExNS0_10empty_typeEbEEZZNS1_14partition_implILS5_1ELb0ES3_jN6thrust23THRUST_200600_302600_NS6detail15normal_iteratorINSA_10device_ptrIxEEEEPS6_NSA_18transform_iteratorI7is_evenIxESF_NSA_11use_defaultESK_EENS0_5tupleIJNSA_16discard_iteratorISK_EESO_EEENSM_IJSG_SG_EEES6_PlJS6_EEE10hipError_tPvRmT3_T4_T5_T6_T7_T9_mT8_P12ihipStream_tbDpT10_ENKUlT_T0_E_clISt17integral_constantIbLb0EES1A_IbLb1EEEEDaS16_S17_EUlS16_E_NS1_11comp_targetILNS1_3genE4ELNS1_11target_archE910ELNS1_3gpuE8ELNS1_3repE0EEENS1_30default_config_static_selectorELNS0_4arch9wavefront6targetE1EEEvT1_,"axG",@progbits,_ZN7rocprim17ROCPRIM_400000_NS6detail17trampoline_kernelINS0_14default_configENS1_25partition_config_selectorILNS1_17partition_subalgoE1ExNS0_10empty_typeEbEEZZNS1_14partition_implILS5_1ELb0ES3_jN6thrust23THRUST_200600_302600_NS6detail15normal_iteratorINSA_10device_ptrIxEEEEPS6_NSA_18transform_iteratorI7is_evenIxESF_NSA_11use_defaultESK_EENS0_5tupleIJNSA_16discard_iteratorISK_EESO_EEENSM_IJSG_SG_EEES6_PlJS6_EEE10hipError_tPvRmT3_T4_T5_T6_T7_T9_mT8_P12ihipStream_tbDpT10_ENKUlT_T0_E_clISt17integral_constantIbLb0EES1A_IbLb1EEEEDaS16_S17_EUlS16_E_NS1_11comp_targetILNS1_3genE4ELNS1_11target_archE910ELNS1_3gpuE8ELNS1_3repE0EEENS1_30default_config_static_selectorELNS0_4arch9wavefront6targetE1EEEvT1_,comdat
.Lfunc_end3189:
	.size	_ZN7rocprim17ROCPRIM_400000_NS6detail17trampoline_kernelINS0_14default_configENS1_25partition_config_selectorILNS1_17partition_subalgoE1ExNS0_10empty_typeEbEEZZNS1_14partition_implILS5_1ELb0ES3_jN6thrust23THRUST_200600_302600_NS6detail15normal_iteratorINSA_10device_ptrIxEEEEPS6_NSA_18transform_iteratorI7is_evenIxESF_NSA_11use_defaultESK_EENS0_5tupleIJNSA_16discard_iteratorISK_EESO_EEENSM_IJSG_SG_EEES6_PlJS6_EEE10hipError_tPvRmT3_T4_T5_T6_T7_T9_mT8_P12ihipStream_tbDpT10_ENKUlT_T0_E_clISt17integral_constantIbLb0EES1A_IbLb1EEEEDaS16_S17_EUlS16_E_NS1_11comp_targetILNS1_3genE4ELNS1_11target_archE910ELNS1_3gpuE8ELNS1_3repE0EEENS1_30default_config_static_selectorELNS0_4arch9wavefront6targetE1EEEvT1_, .Lfunc_end3189-_ZN7rocprim17ROCPRIM_400000_NS6detail17trampoline_kernelINS0_14default_configENS1_25partition_config_selectorILNS1_17partition_subalgoE1ExNS0_10empty_typeEbEEZZNS1_14partition_implILS5_1ELb0ES3_jN6thrust23THRUST_200600_302600_NS6detail15normal_iteratorINSA_10device_ptrIxEEEEPS6_NSA_18transform_iteratorI7is_evenIxESF_NSA_11use_defaultESK_EENS0_5tupleIJNSA_16discard_iteratorISK_EESO_EEENSM_IJSG_SG_EEES6_PlJS6_EEE10hipError_tPvRmT3_T4_T5_T6_T7_T9_mT8_P12ihipStream_tbDpT10_ENKUlT_T0_E_clISt17integral_constantIbLb0EES1A_IbLb1EEEEDaS16_S17_EUlS16_E_NS1_11comp_targetILNS1_3genE4ELNS1_11target_archE910ELNS1_3gpuE8ELNS1_3repE0EEENS1_30default_config_static_selectorELNS0_4arch9wavefront6targetE1EEEvT1_
                                        ; -- End function
	.section	.AMDGPU.csdata,"",@progbits
; Kernel info:
; codeLenInByte = 3560
; NumSgprs: 40
; NumVgprs: 44
; NumAgprs: 0
; TotalNumVgprs: 44
; ScratchSize: 0
; MemoryBound: 0
; FloatMode: 240
; IeeeMode: 1
; LDSByteSize: 6344 bytes/workgroup (compile time only)
; SGPRBlocks: 4
; VGPRBlocks: 5
; NumSGPRsForWavesPerEU: 40
; NumVGPRsForWavesPerEU: 44
; AccumOffset: 44
; Occupancy: 8
; WaveLimiterHint : 1
; COMPUTE_PGM_RSRC2:SCRATCH_EN: 0
; COMPUTE_PGM_RSRC2:USER_SGPR: 6
; COMPUTE_PGM_RSRC2:TRAP_HANDLER: 0
; COMPUTE_PGM_RSRC2:TGID_X_EN: 1
; COMPUTE_PGM_RSRC2:TGID_Y_EN: 0
; COMPUTE_PGM_RSRC2:TGID_Z_EN: 0
; COMPUTE_PGM_RSRC2:TIDIG_COMP_CNT: 0
; COMPUTE_PGM_RSRC3_GFX90A:ACCUM_OFFSET: 10
; COMPUTE_PGM_RSRC3_GFX90A:TG_SPLIT: 0
	.section	.text._ZN7rocprim17ROCPRIM_400000_NS6detail17trampoline_kernelINS0_14default_configENS1_25partition_config_selectorILNS1_17partition_subalgoE1ExNS0_10empty_typeEbEEZZNS1_14partition_implILS5_1ELb0ES3_jN6thrust23THRUST_200600_302600_NS6detail15normal_iteratorINSA_10device_ptrIxEEEEPS6_NSA_18transform_iteratorI7is_evenIxESF_NSA_11use_defaultESK_EENS0_5tupleIJNSA_16discard_iteratorISK_EESO_EEENSM_IJSG_SG_EEES6_PlJS6_EEE10hipError_tPvRmT3_T4_T5_T6_T7_T9_mT8_P12ihipStream_tbDpT10_ENKUlT_T0_E_clISt17integral_constantIbLb0EES1A_IbLb1EEEEDaS16_S17_EUlS16_E_NS1_11comp_targetILNS1_3genE3ELNS1_11target_archE908ELNS1_3gpuE7ELNS1_3repE0EEENS1_30default_config_static_selectorELNS0_4arch9wavefront6targetE1EEEvT1_,"axG",@progbits,_ZN7rocprim17ROCPRIM_400000_NS6detail17trampoline_kernelINS0_14default_configENS1_25partition_config_selectorILNS1_17partition_subalgoE1ExNS0_10empty_typeEbEEZZNS1_14partition_implILS5_1ELb0ES3_jN6thrust23THRUST_200600_302600_NS6detail15normal_iteratorINSA_10device_ptrIxEEEEPS6_NSA_18transform_iteratorI7is_evenIxESF_NSA_11use_defaultESK_EENS0_5tupleIJNSA_16discard_iteratorISK_EESO_EEENSM_IJSG_SG_EEES6_PlJS6_EEE10hipError_tPvRmT3_T4_T5_T6_T7_T9_mT8_P12ihipStream_tbDpT10_ENKUlT_T0_E_clISt17integral_constantIbLb0EES1A_IbLb1EEEEDaS16_S17_EUlS16_E_NS1_11comp_targetILNS1_3genE3ELNS1_11target_archE908ELNS1_3gpuE7ELNS1_3repE0EEENS1_30default_config_static_selectorELNS0_4arch9wavefront6targetE1EEEvT1_,comdat
	.protected	_ZN7rocprim17ROCPRIM_400000_NS6detail17trampoline_kernelINS0_14default_configENS1_25partition_config_selectorILNS1_17partition_subalgoE1ExNS0_10empty_typeEbEEZZNS1_14partition_implILS5_1ELb0ES3_jN6thrust23THRUST_200600_302600_NS6detail15normal_iteratorINSA_10device_ptrIxEEEEPS6_NSA_18transform_iteratorI7is_evenIxESF_NSA_11use_defaultESK_EENS0_5tupleIJNSA_16discard_iteratorISK_EESO_EEENSM_IJSG_SG_EEES6_PlJS6_EEE10hipError_tPvRmT3_T4_T5_T6_T7_T9_mT8_P12ihipStream_tbDpT10_ENKUlT_T0_E_clISt17integral_constantIbLb0EES1A_IbLb1EEEEDaS16_S17_EUlS16_E_NS1_11comp_targetILNS1_3genE3ELNS1_11target_archE908ELNS1_3gpuE7ELNS1_3repE0EEENS1_30default_config_static_selectorELNS0_4arch9wavefront6targetE1EEEvT1_ ; -- Begin function _ZN7rocprim17ROCPRIM_400000_NS6detail17trampoline_kernelINS0_14default_configENS1_25partition_config_selectorILNS1_17partition_subalgoE1ExNS0_10empty_typeEbEEZZNS1_14partition_implILS5_1ELb0ES3_jN6thrust23THRUST_200600_302600_NS6detail15normal_iteratorINSA_10device_ptrIxEEEEPS6_NSA_18transform_iteratorI7is_evenIxESF_NSA_11use_defaultESK_EENS0_5tupleIJNSA_16discard_iteratorISK_EESO_EEENSM_IJSG_SG_EEES6_PlJS6_EEE10hipError_tPvRmT3_T4_T5_T6_T7_T9_mT8_P12ihipStream_tbDpT10_ENKUlT_T0_E_clISt17integral_constantIbLb0EES1A_IbLb1EEEEDaS16_S17_EUlS16_E_NS1_11comp_targetILNS1_3genE3ELNS1_11target_archE908ELNS1_3gpuE7ELNS1_3repE0EEENS1_30default_config_static_selectorELNS0_4arch9wavefront6targetE1EEEvT1_
	.globl	_ZN7rocprim17ROCPRIM_400000_NS6detail17trampoline_kernelINS0_14default_configENS1_25partition_config_selectorILNS1_17partition_subalgoE1ExNS0_10empty_typeEbEEZZNS1_14partition_implILS5_1ELb0ES3_jN6thrust23THRUST_200600_302600_NS6detail15normal_iteratorINSA_10device_ptrIxEEEEPS6_NSA_18transform_iteratorI7is_evenIxESF_NSA_11use_defaultESK_EENS0_5tupleIJNSA_16discard_iteratorISK_EESO_EEENSM_IJSG_SG_EEES6_PlJS6_EEE10hipError_tPvRmT3_T4_T5_T6_T7_T9_mT8_P12ihipStream_tbDpT10_ENKUlT_T0_E_clISt17integral_constantIbLb0EES1A_IbLb1EEEEDaS16_S17_EUlS16_E_NS1_11comp_targetILNS1_3genE3ELNS1_11target_archE908ELNS1_3gpuE7ELNS1_3repE0EEENS1_30default_config_static_selectorELNS0_4arch9wavefront6targetE1EEEvT1_
	.p2align	8
	.type	_ZN7rocprim17ROCPRIM_400000_NS6detail17trampoline_kernelINS0_14default_configENS1_25partition_config_selectorILNS1_17partition_subalgoE1ExNS0_10empty_typeEbEEZZNS1_14partition_implILS5_1ELb0ES3_jN6thrust23THRUST_200600_302600_NS6detail15normal_iteratorINSA_10device_ptrIxEEEEPS6_NSA_18transform_iteratorI7is_evenIxESF_NSA_11use_defaultESK_EENS0_5tupleIJNSA_16discard_iteratorISK_EESO_EEENSM_IJSG_SG_EEES6_PlJS6_EEE10hipError_tPvRmT3_T4_T5_T6_T7_T9_mT8_P12ihipStream_tbDpT10_ENKUlT_T0_E_clISt17integral_constantIbLb0EES1A_IbLb1EEEEDaS16_S17_EUlS16_E_NS1_11comp_targetILNS1_3genE3ELNS1_11target_archE908ELNS1_3gpuE7ELNS1_3repE0EEENS1_30default_config_static_selectorELNS0_4arch9wavefront6targetE1EEEvT1_,@function
_ZN7rocprim17ROCPRIM_400000_NS6detail17trampoline_kernelINS0_14default_configENS1_25partition_config_selectorILNS1_17partition_subalgoE1ExNS0_10empty_typeEbEEZZNS1_14partition_implILS5_1ELb0ES3_jN6thrust23THRUST_200600_302600_NS6detail15normal_iteratorINSA_10device_ptrIxEEEEPS6_NSA_18transform_iteratorI7is_evenIxESF_NSA_11use_defaultESK_EENS0_5tupleIJNSA_16discard_iteratorISK_EESO_EEENSM_IJSG_SG_EEES6_PlJS6_EEE10hipError_tPvRmT3_T4_T5_T6_T7_T9_mT8_P12ihipStream_tbDpT10_ENKUlT_T0_E_clISt17integral_constantIbLb0EES1A_IbLb1EEEEDaS16_S17_EUlS16_E_NS1_11comp_targetILNS1_3genE3ELNS1_11target_archE908ELNS1_3gpuE7ELNS1_3repE0EEENS1_30default_config_static_selectorELNS0_4arch9wavefront6targetE1EEEvT1_: ; @_ZN7rocprim17ROCPRIM_400000_NS6detail17trampoline_kernelINS0_14default_configENS1_25partition_config_selectorILNS1_17partition_subalgoE1ExNS0_10empty_typeEbEEZZNS1_14partition_implILS5_1ELb0ES3_jN6thrust23THRUST_200600_302600_NS6detail15normal_iteratorINSA_10device_ptrIxEEEEPS6_NSA_18transform_iteratorI7is_evenIxESF_NSA_11use_defaultESK_EENS0_5tupleIJNSA_16discard_iteratorISK_EESO_EEENSM_IJSG_SG_EEES6_PlJS6_EEE10hipError_tPvRmT3_T4_T5_T6_T7_T9_mT8_P12ihipStream_tbDpT10_ENKUlT_T0_E_clISt17integral_constantIbLb0EES1A_IbLb1EEEEDaS16_S17_EUlS16_E_NS1_11comp_targetILNS1_3genE3ELNS1_11target_archE908ELNS1_3gpuE7ELNS1_3repE0EEENS1_30default_config_static_selectorELNS0_4arch9wavefront6targetE1EEEvT1_
; %bb.0:
	.section	.rodata,"a",@progbits
	.p2align	6, 0x0
	.amdhsa_kernel _ZN7rocprim17ROCPRIM_400000_NS6detail17trampoline_kernelINS0_14default_configENS1_25partition_config_selectorILNS1_17partition_subalgoE1ExNS0_10empty_typeEbEEZZNS1_14partition_implILS5_1ELb0ES3_jN6thrust23THRUST_200600_302600_NS6detail15normal_iteratorINSA_10device_ptrIxEEEEPS6_NSA_18transform_iteratorI7is_evenIxESF_NSA_11use_defaultESK_EENS0_5tupleIJNSA_16discard_iteratorISK_EESO_EEENSM_IJSG_SG_EEES6_PlJS6_EEE10hipError_tPvRmT3_T4_T5_T6_T7_T9_mT8_P12ihipStream_tbDpT10_ENKUlT_T0_E_clISt17integral_constantIbLb0EES1A_IbLb1EEEEDaS16_S17_EUlS16_E_NS1_11comp_targetILNS1_3genE3ELNS1_11target_archE908ELNS1_3gpuE7ELNS1_3repE0EEENS1_30default_config_static_selectorELNS0_4arch9wavefront6targetE1EEEvT1_
		.amdhsa_group_segment_fixed_size 0
		.amdhsa_private_segment_fixed_size 0
		.amdhsa_kernarg_size 160
		.amdhsa_user_sgpr_count 6
		.amdhsa_user_sgpr_private_segment_buffer 1
		.amdhsa_user_sgpr_dispatch_ptr 0
		.amdhsa_user_sgpr_queue_ptr 0
		.amdhsa_user_sgpr_kernarg_segment_ptr 1
		.amdhsa_user_sgpr_dispatch_id 0
		.amdhsa_user_sgpr_flat_scratch_init 0
		.amdhsa_user_sgpr_kernarg_preload_length 0
		.amdhsa_user_sgpr_kernarg_preload_offset 0
		.amdhsa_user_sgpr_private_segment_size 0
		.amdhsa_uses_dynamic_stack 0
		.amdhsa_system_sgpr_private_segment_wavefront_offset 0
		.amdhsa_system_sgpr_workgroup_id_x 1
		.amdhsa_system_sgpr_workgroup_id_y 0
		.amdhsa_system_sgpr_workgroup_id_z 0
		.amdhsa_system_sgpr_workgroup_info 0
		.amdhsa_system_vgpr_workitem_id 0
		.amdhsa_next_free_vgpr 1
		.amdhsa_next_free_sgpr 0
		.amdhsa_accum_offset 4
		.amdhsa_reserve_vcc 0
		.amdhsa_reserve_flat_scratch 0
		.amdhsa_float_round_mode_32 0
		.amdhsa_float_round_mode_16_64 0
		.amdhsa_float_denorm_mode_32 3
		.amdhsa_float_denorm_mode_16_64 3
		.amdhsa_dx10_clamp 1
		.amdhsa_ieee_mode 1
		.amdhsa_fp16_overflow 0
		.amdhsa_tg_split 0
		.amdhsa_exception_fp_ieee_invalid_op 0
		.amdhsa_exception_fp_denorm_src 0
		.amdhsa_exception_fp_ieee_div_zero 0
		.amdhsa_exception_fp_ieee_overflow 0
		.amdhsa_exception_fp_ieee_underflow 0
		.amdhsa_exception_fp_ieee_inexact 0
		.amdhsa_exception_int_div_zero 0
	.end_amdhsa_kernel
	.section	.text._ZN7rocprim17ROCPRIM_400000_NS6detail17trampoline_kernelINS0_14default_configENS1_25partition_config_selectorILNS1_17partition_subalgoE1ExNS0_10empty_typeEbEEZZNS1_14partition_implILS5_1ELb0ES3_jN6thrust23THRUST_200600_302600_NS6detail15normal_iteratorINSA_10device_ptrIxEEEEPS6_NSA_18transform_iteratorI7is_evenIxESF_NSA_11use_defaultESK_EENS0_5tupleIJNSA_16discard_iteratorISK_EESO_EEENSM_IJSG_SG_EEES6_PlJS6_EEE10hipError_tPvRmT3_T4_T5_T6_T7_T9_mT8_P12ihipStream_tbDpT10_ENKUlT_T0_E_clISt17integral_constantIbLb0EES1A_IbLb1EEEEDaS16_S17_EUlS16_E_NS1_11comp_targetILNS1_3genE3ELNS1_11target_archE908ELNS1_3gpuE7ELNS1_3repE0EEENS1_30default_config_static_selectorELNS0_4arch9wavefront6targetE1EEEvT1_,"axG",@progbits,_ZN7rocprim17ROCPRIM_400000_NS6detail17trampoline_kernelINS0_14default_configENS1_25partition_config_selectorILNS1_17partition_subalgoE1ExNS0_10empty_typeEbEEZZNS1_14partition_implILS5_1ELb0ES3_jN6thrust23THRUST_200600_302600_NS6detail15normal_iteratorINSA_10device_ptrIxEEEEPS6_NSA_18transform_iteratorI7is_evenIxESF_NSA_11use_defaultESK_EENS0_5tupleIJNSA_16discard_iteratorISK_EESO_EEENSM_IJSG_SG_EEES6_PlJS6_EEE10hipError_tPvRmT3_T4_T5_T6_T7_T9_mT8_P12ihipStream_tbDpT10_ENKUlT_T0_E_clISt17integral_constantIbLb0EES1A_IbLb1EEEEDaS16_S17_EUlS16_E_NS1_11comp_targetILNS1_3genE3ELNS1_11target_archE908ELNS1_3gpuE7ELNS1_3repE0EEENS1_30default_config_static_selectorELNS0_4arch9wavefront6targetE1EEEvT1_,comdat
.Lfunc_end3190:
	.size	_ZN7rocprim17ROCPRIM_400000_NS6detail17trampoline_kernelINS0_14default_configENS1_25partition_config_selectorILNS1_17partition_subalgoE1ExNS0_10empty_typeEbEEZZNS1_14partition_implILS5_1ELb0ES3_jN6thrust23THRUST_200600_302600_NS6detail15normal_iteratorINSA_10device_ptrIxEEEEPS6_NSA_18transform_iteratorI7is_evenIxESF_NSA_11use_defaultESK_EENS0_5tupleIJNSA_16discard_iteratorISK_EESO_EEENSM_IJSG_SG_EEES6_PlJS6_EEE10hipError_tPvRmT3_T4_T5_T6_T7_T9_mT8_P12ihipStream_tbDpT10_ENKUlT_T0_E_clISt17integral_constantIbLb0EES1A_IbLb1EEEEDaS16_S17_EUlS16_E_NS1_11comp_targetILNS1_3genE3ELNS1_11target_archE908ELNS1_3gpuE7ELNS1_3repE0EEENS1_30default_config_static_selectorELNS0_4arch9wavefront6targetE1EEEvT1_, .Lfunc_end3190-_ZN7rocprim17ROCPRIM_400000_NS6detail17trampoline_kernelINS0_14default_configENS1_25partition_config_selectorILNS1_17partition_subalgoE1ExNS0_10empty_typeEbEEZZNS1_14partition_implILS5_1ELb0ES3_jN6thrust23THRUST_200600_302600_NS6detail15normal_iteratorINSA_10device_ptrIxEEEEPS6_NSA_18transform_iteratorI7is_evenIxESF_NSA_11use_defaultESK_EENS0_5tupleIJNSA_16discard_iteratorISK_EESO_EEENSM_IJSG_SG_EEES6_PlJS6_EEE10hipError_tPvRmT3_T4_T5_T6_T7_T9_mT8_P12ihipStream_tbDpT10_ENKUlT_T0_E_clISt17integral_constantIbLb0EES1A_IbLb1EEEEDaS16_S17_EUlS16_E_NS1_11comp_targetILNS1_3genE3ELNS1_11target_archE908ELNS1_3gpuE7ELNS1_3repE0EEENS1_30default_config_static_selectorELNS0_4arch9wavefront6targetE1EEEvT1_
                                        ; -- End function
	.section	.AMDGPU.csdata,"",@progbits
; Kernel info:
; codeLenInByte = 0
; NumSgprs: 4
; NumVgprs: 0
; NumAgprs: 0
; TotalNumVgprs: 0
; ScratchSize: 0
; MemoryBound: 0
; FloatMode: 240
; IeeeMode: 1
; LDSByteSize: 0 bytes/workgroup (compile time only)
; SGPRBlocks: 0
; VGPRBlocks: 0
; NumSGPRsForWavesPerEU: 4
; NumVGPRsForWavesPerEU: 1
; AccumOffset: 4
; Occupancy: 8
; WaveLimiterHint : 0
; COMPUTE_PGM_RSRC2:SCRATCH_EN: 0
; COMPUTE_PGM_RSRC2:USER_SGPR: 6
; COMPUTE_PGM_RSRC2:TRAP_HANDLER: 0
; COMPUTE_PGM_RSRC2:TGID_X_EN: 1
; COMPUTE_PGM_RSRC2:TGID_Y_EN: 0
; COMPUTE_PGM_RSRC2:TGID_Z_EN: 0
; COMPUTE_PGM_RSRC2:TIDIG_COMP_CNT: 0
; COMPUTE_PGM_RSRC3_GFX90A:ACCUM_OFFSET: 0
; COMPUTE_PGM_RSRC3_GFX90A:TG_SPLIT: 0
	.section	.text._ZN7rocprim17ROCPRIM_400000_NS6detail17trampoline_kernelINS0_14default_configENS1_25partition_config_selectorILNS1_17partition_subalgoE1ExNS0_10empty_typeEbEEZZNS1_14partition_implILS5_1ELb0ES3_jN6thrust23THRUST_200600_302600_NS6detail15normal_iteratorINSA_10device_ptrIxEEEEPS6_NSA_18transform_iteratorI7is_evenIxESF_NSA_11use_defaultESK_EENS0_5tupleIJNSA_16discard_iteratorISK_EESO_EEENSM_IJSG_SG_EEES6_PlJS6_EEE10hipError_tPvRmT3_T4_T5_T6_T7_T9_mT8_P12ihipStream_tbDpT10_ENKUlT_T0_E_clISt17integral_constantIbLb0EES1A_IbLb1EEEEDaS16_S17_EUlS16_E_NS1_11comp_targetILNS1_3genE2ELNS1_11target_archE906ELNS1_3gpuE6ELNS1_3repE0EEENS1_30default_config_static_selectorELNS0_4arch9wavefront6targetE1EEEvT1_,"axG",@progbits,_ZN7rocprim17ROCPRIM_400000_NS6detail17trampoline_kernelINS0_14default_configENS1_25partition_config_selectorILNS1_17partition_subalgoE1ExNS0_10empty_typeEbEEZZNS1_14partition_implILS5_1ELb0ES3_jN6thrust23THRUST_200600_302600_NS6detail15normal_iteratorINSA_10device_ptrIxEEEEPS6_NSA_18transform_iteratorI7is_evenIxESF_NSA_11use_defaultESK_EENS0_5tupleIJNSA_16discard_iteratorISK_EESO_EEENSM_IJSG_SG_EEES6_PlJS6_EEE10hipError_tPvRmT3_T4_T5_T6_T7_T9_mT8_P12ihipStream_tbDpT10_ENKUlT_T0_E_clISt17integral_constantIbLb0EES1A_IbLb1EEEEDaS16_S17_EUlS16_E_NS1_11comp_targetILNS1_3genE2ELNS1_11target_archE906ELNS1_3gpuE6ELNS1_3repE0EEENS1_30default_config_static_selectorELNS0_4arch9wavefront6targetE1EEEvT1_,comdat
	.protected	_ZN7rocprim17ROCPRIM_400000_NS6detail17trampoline_kernelINS0_14default_configENS1_25partition_config_selectorILNS1_17partition_subalgoE1ExNS0_10empty_typeEbEEZZNS1_14partition_implILS5_1ELb0ES3_jN6thrust23THRUST_200600_302600_NS6detail15normal_iteratorINSA_10device_ptrIxEEEEPS6_NSA_18transform_iteratorI7is_evenIxESF_NSA_11use_defaultESK_EENS0_5tupleIJNSA_16discard_iteratorISK_EESO_EEENSM_IJSG_SG_EEES6_PlJS6_EEE10hipError_tPvRmT3_T4_T5_T6_T7_T9_mT8_P12ihipStream_tbDpT10_ENKUlT_T0_E_clISt17integral_constantIbLb0EES1A_IbLb1EEEEDaS16_S17_EUlS16_E_NS1_11comp_targetILNS1_3genE2ELNS1_11target_archE906ELNS1_3gpuE6ELNS1_3repE0EEENS1_30default_config_static_selectorELNS0_4arch9wavefront6targetE1EEEvT1_ ; -- Begin function _ZN7rocprim17ROCPRIM_400000_NS6detail17trampoline_kernelINS0_14default_configENS1_25partition_config_selectorILNS1_17partition_subalgoE1ExNS0_10empty_typeEbEEZZNS1_14partition_implILS5_1ELb0ES3_jN6thrust23THRUST_200600_302600_NS6detail15normal_iteratorINSA_10device_ptrIxEEEEPS6_NSA_18transform_iteratorI7is_evenIxESF_NSA_11use_defaultESK_EENS0_5tupleIJNSA_16discard_iteratorISK_EESO_EEENSM_IJSG_SG_EEES6_PlJS6_EEE10hipError_tPvRmT3_T4_T5_T6_T7_T9_mT8_P12ihipStream_tbDpT10_ENKUlT_T0_E_clISt17integral_constantIbLb0EES1A_IbLb1EEEEDaS16_S17_EUlS16_E_NS1_11comp_targetILNS1_3genE2ELNS1_11target_archE906ELNS1_3gpuE6ELNS1_3repE0EEENS1_30default_config_static_selectorELNS0_4arch9wavefront6targetE1EEEvT1_
	.globl	_ZN7rocprim17ROCPRIM_400000_NS6detail17trampoline_kernelINS0_14default_configENS1_25partition_config_selectorILNS1_17partition_subalgoE1ExNS0_10empty_typeEbEEZZNS1_14partition_implILS5_1ELb0ES3_jN6thrust23THRUST_200600_302600_NS6detail15normal_iteratorINSA_10device_ptrIxEEEEPS6_NSA_18transform_iteratorI7is_evenIxESF_NSA_11use_defaultESK_EENS0_5tupleIJNSA_16discard_iteratorISK_EESO_EEENSM_IJSG_SG_EEES6_PlJS6_EEE10hipError_tPvRmT3_T4_T5_T6_T7_T9_mT8_P12ihipStream_tbDpT10_ENKUlT_T0_E_clISt17integral_constantIbLb0EES1A_IbLb1EEEEDaS16_S17_EUlS16_E_NS1_11comp_targetILNS1_3genE2ELNS1_11target_archE906ELNS1_3gpuE6ELNS1_3repE0EEENS1_30default_config_static_selectorELNS0_4arch9wavefront6targetE1EEEvT1_
	.p2align	8
	.type	_ZN7rocprim17ROCPRIM_400000_NS6detail17trampoline_kernelINS0_14default_configENS1_25partition_config_selectorILNS1_17partition_subalgoE1ExNS0_10empty_typeEbEEZZNS1_14partition_implILS5_1ELb0ES3_jN6thrust23THRUST_200600_302600_NS6detail15normal_iteratorINSA_10device_ptrIxEEEEPS6_NSA_18transform_iteratorI7is_evenIxESF_NSA_11use_defaultESK_EENS0_5tupleIJNSA_16discard_iteratorISK_EESO_EEENSM_IJSG_SG_EEES6_PlJS6_EEE10hipError_tPvRmT3_T4_T5_T6_T7_T9_mT8_P12ihipStream_tbDpT10_ENKUlT_T0_E_clISt17integral_constantIbLb0EES1A_IbLb1EEEEDaS16_S17_EUlS16_E_NS1_11comp_targetILNS1_3genE2ELNS1_11target_archE906ELNS1_3gpuE6ELNS1_3repE0EEENS1_30default_config_static_selectorELNS0_4arch9wavefront6targetE1EEEvT1_,@function
_ZN7rocprim17ROCPRIM_400000_NS6detail17trampoline_kernelINS0_14default_configENS1_25partition_config_selectorILNS1_17partition_subalgoE1ExNS0_10empty_typeEbEEZZNS1_14partition_implILS5_1ELb0ES3_jN6thrust23THRUST_200600_302600_NS6detail15normal_iteratorINSA_10device_ptrIxEEEEPS6_NSA_18transform_iteratorI7is_evenIxESF_NSA_11use_defaultESK_EENS0_5tupleIJNSA_16discard_iteratorISK_EESO_EEENSM_IJSG_SG_EEES6_PlJS6_EEE10hipError_tPvRmT3_T4_T5_T6_T7_T9_mT8_P12ihipStream_tbDpT10_ENKUlT_T0_E_clISt17integral_constantIbLb0EES1A_IbLb1EEEEDaS16_S17_EUlS16_E_NS1_11comp_targetILNS1_3genE2ELNS1_11target_archE906ELNS1_3gpuE6ELNS1_3repE0EEENS1_30default_config_static_selectorELNS0_4arch9wavefront6targetE1EEEvT1_: ; @_ZN7rocprim17ROCPRIM_400000_NS6detail17trampoline_kernelINS0_14default_configENS1_25partition_config_selectorILNS1_17partition_subalgoE1ExNS0_10empty_typeEbEEZZNS1_14partition_implILS5_1ELb0ES3_jN6thrust23THRUST_200600_302600_NS6detail15normal_iteratorINSA_10device_ptrIxEEEEPS6_NSA_18transform_iteratorI7is_evenIxESF_NSA_11use_defaultESK_EENS0_5tupleIJNSA_16discard_iteratorISK_EESO_EEENSM_IJSG_SG_EEES6_PlJS6_EEE10hipError_tPvRmT3_T4_T5_T6_T7_T9_mT8_P12ihipStream_tbDpT10_ENKUlT_T0_E_clISt17integral_constantIbLb0EES1A_IbLb1EEEEDaS16_S17_EUlS16_E_NS1_11comp_targetILNS1_3genE2ELNS1_11target_archE906ELNS1_3gpuE6ELNS1_3repE0EEENS1_30default_config_static_selectorELNS0_4arch9wavefront6targetE1EEEvT1_
; %bb.0:
	.section	.rodata,"a",@progbits
	.p2align	6, 0x0
	.amdhsa_kernel _ZN7rocprim17ROCPRIM_400000_NS6detail17trampoline_kernelINS0_14default_configENS1_25partition_config_selectorILNS1_17partition_subalgoE1ExNS0_10empty_typeEbEEZZNS1_14partition_implILS5_1ELb0ES3_jN6thrust23THRUST_200600_302600_NS6detail15normal_iteratorINSA_10device_ptrIxEEEEPS6_NSA_18transform_iteratorI7is_evenIxESF_NSA_11use_defaultESK_EENS0_5tupleIJNSA_16discard_iteratorISK_EESO_EEENSM_IJSG_SG_EEES6_PlJS6_EEE10hipError_tPvRmT3_T4_T5_T6_T7_T9_mT8_P12ihipStream_tbDpT10_ENKUlT_T0_E_clISt17integral_constantIbLb0EES1A_IbLb1EEEEDaS16_S17_EUlS16_E_NS1_11comp_targetILNS1_3genE2ELNS1_11target_archE906ELNS1_3gpuE6ELNS1_3repE0EEENS1_30default_config_static_selectorELNS0_4arch9wavefront6targetE1EEEvT1_
		.amdhsa_group_segment_fixed_size 0
		.amdhsa_private_segment_fixed_size 0
		.amdhsa_kernarg_size 160
		.amdhsa_user_sgpr_count 6
		.amdhsa_user_sgpr_private_segment_buffer 1
		.amdhsa_user_sgpr_dispatch_ptr 0
		.amdhsa_user_sgpr_queue_ptr 0
		.amdhsa_user_sgpr_kernarg_segment_ptr 1
		.amdhsa_user_sgpr_dispatch_id 0
		.amdhsa_user_sgpr_flat_scratch_init 0
		.amdhsa_user_sgpr_kernarg_preload_length 0
		.amdhsa_user_sgpr_kernarg_preload_offset 0
		.amdhsa_user_sgpr_private_segment_size 0
		.amdhsa_uses_dynamic_stack 0
		.amdhsa_system_sgpr_private_segment_wavefront_offset 0
		.amdhsa_system_sgpr_workgroup_id_x 1
		.amdhsa_system_sgpr_workgroup_id_y 0
		.amdhsa_system_sgpr_workgroup_id_z 0
		.amdhsa_system_sgpr_workgroup_info 0
		.amdhsa_system_vgpr_workitem_id 0
		.amdhsa_next_free_vgpr 1
		.amdhsa_next_free_sgpr 0
		.amdhsa_accum_offset 4
		.amdhsa_reserve_vcc 0
		.amdhsa_reserve_flat_scratch 0
		.amdhsa_float_round_mode_32 0
		.amdhsa_float_round_mode_16_64 0
		.amdhsa_float_denorm_mode_32 3
		.amdhsa_float_denorm_mode_16_64 3
		.amdhsa_dx10_clamp 1
		.amdhsa_ieee_mode 1
		.amdhsa_fp16_overflow 0
		.amdhsa_tg_split 0
		.amdhsa_exception_fp_ieee_invalid_op 0
		.amdhsa_exception_fp_denorm_src 0
		.amdhsa_exception_fp_ieee_div_zero 0
		.amdhsa_exception_fp_ieee_overflow 0
		.amdhsa_exception_fp_ieee_underflow 0
		.amdhsa_exception_fp_ieee_inexact 0
		.amdhsa_exception_int_div_zero 0
	.end_amdhsa_kernel
	.section	.text._ZN7rocprim17ROCPRIM_400000_NS6detail17trampoline_kernelINS0_14default_configENS1_25partition_config_selectorILNS1_17partition_subalgoE1ExNS0_10empty_typeEbEEZZNS1_14partition_implILS5_1ELb0ES3_jN6thrust23THRUST_200600_302600_NS6detail15normal_iteratorINSA_10device_ptrIxEEEEPS6_NSA_18transform_iteratorI7is_evenIxESF_NSA_11use_defaultESK_EENS0_5tupleIJNSA_16discard_iteratorISK_EESO_EEENSM_IJSG_SG_EEES6_PlJS6_EEE10hipError_tPvRmT3_T4_T5_T6_T7_T9_mT8_P12ihipStream_tbDpT10_ENKUlT_T0_E_clISt17integral_constantIbLb0EES1A_IbLb1EEEEDaS16_S17_EUlS16_E_NS1_11comp_targetILNS1_3genE2ELNS1_11target_archE906ELNS1_3gpuE6ELNS1_3repE0EEENS1_30default_config_static_selectorELNS0_4arch9wavefront6targetE1EEEvT1_,"axG",@progbits,_ZN7rocprim17ROCPRIM_400000_NS6detail17trampoline_kernelINS0_14default_configENS1_25partition_config_selectorILNS1_17partition_subalgoE1ExNS0_10empty_typeEbEEZZNS1_14partition_implILS5_1ELb0ES3_jN6thrust23THRUST_200600_302600_NS6detail15normal_iteratorINSA_10device_ptrIxEEEEPS6_NSA_18transform_iteratorI7is_evenIxESF_NSA_11use_defaultESK_EENS0_5tupleIJNSA_16discard_iteratorISK_EESO_EEENSM_IJSG_SG_EEES6_PlJS6_EEE10hipError_tPvRmT3_T4_T5_T6_T7_T9_mT8_P12ihipStream_tbDpT10_ENKUlT_T0_E_clISt17integral_constantIbLb0EES1A_IbLb1EEEEDaS16_S17_EUlS16_E_NS1_11comp_targetILNS1_3genE2ELNS1_11target_archE906ELNS1_3gpuE6ELNS1_3repE0EEENS1_30default_config_static_selectorELNS0_4arch9wavefront6targetE1EEEvT1_,comdat
.Lfunc_end3191:
	.size	_ZN7rocprim17ROCPRIM_400000_NS6detail17trampoline_kernelINS0_14default_configENS1_25partition_config_selectorILNS1_17partition_subalgoE1ExNS0_10empty_typeEbEEZZNS1_14partition_implILS5_1ELb0ES3_jN6thrust23THRUST_200600_302600_NS6detail15normal_iteratorINSA_10device_ptrIxEEEEPS6_NSA_18transform_iteratorI7is_evenIxESF_NSA_11use_defaultESK_EENS0_5tupleIJNSA_16discard_iteratorISK_EESO_EEENSM_IJSG_SG_EEES6_PlJS6_EEE10hipError_tPvRmT3_T4_T5_T6_T7_T9_mT8_P12ihipStream_tbDpT10_ENKUlT_T0_E_clISt17integral_constantIbLb0EES1A_IbLb1EEEEDaS16_S17_EUlS16_E_NS1_11comp_targetILNS1_3genE2ELNS1_11target_archE906ELNS1_3gpuE6ELNS1_3repE0EEENS1_30default_config_static_selectorELNS0_4arch9wavefront6targetE1EEEvT1_, .Lfunc_end3191-_ZN7rocprim17ROCPRIM_400000_NS6detail17trampoline_kernelINS0_14default_configENS1_25partition_config_selectorILNS1_17partition_subalgoE1ExNS0_10empty_typeEbEEZZNS1_14partition_implILS5_1ELb0ES3_jN6thrust23THRUST_200600_302600_NS6detail15normal_iteratorINSA_10device_ptrIxEEEEPS6_NSA_18transform_iteratorI7is_evenIxESF_NSA_11use_defaultESK_EENS0_5tupleIJNSA_16discard_iteratorISK_EESO_EEENSM_IJSG_SG_EEES6_PlJS6_EEE10hipError_tPvRmT3_T4_T5_T6_T7_T9_mT8_P12ihipStream_tbDpT10_ENKUlT_T0_E_clISt17integral_constantIbLb0EES1A_IbLb1EEEEDaS16_S17_EUlS16_E_NS1_11comp_targetILNS1_3genE2ELNS1_11target_archE906ELNS1_3gpuE6ELNS1_3repE0EEENS1_30default_config_static_selectorELNS0_4arch9wavefront6targetE1EEEvT1_
                                        ; -- End function
	.section	.AMDGPU.csdata,"",@progbits
; Kernel info:
; codeLenInByte = 0
; NumSgprs: 4
; NumVgprs: 0
; NumAgprs: 0
; TotalNumVgprs: 0
; ScratchSize: 0
; MemoryBound: 0
; FloatMode: 240
; IeeeMode: 1
; LDSByteSize: 0 bytes/workgroup (compile time only)
; SGPRBlocks: 0
; VGPRBlocks: 0
; NumSGPRsForWavesPerEU: 4
; NumVGPRsForWavesPerEU: 1
; AccumOffset: 4
; Occupancy: 8
; WaveLimiterHint : 0
; COMPUTE_PGM_RSRC2:SCRATCH_EN: 0
; COMPUTE_PGM_RSRC2:USER_SGPR: 6
; COMPUTE_PGM_RSRC2:TRAP_HANDLER: 0
; COMPUTE_PGM_RSRC2:TGID_X_EN: 1
; COMPUTE_PGM_RSRC2:TGID_Y_EN: 0
; COMPUTE_PGM_RSRC2:TGID_Z_EN: 0
; COMPUTE_PGM_RSRC2:TIDIG_COMP_CNT: 0
; COMPUTE_PGM_RSRC3_GFX90A:ACCUM_OFFSET: 0
; COMPUTE_PGM_RSRC3_GFX90A:TG_SPLIT: 0
	.section	.text._ZN7rocprim17ROCPRIM_400000_NS6detail17trampoline_kernelINS0_14default_configENS1_25partition_config_selectorILNS1_17partition_subalgoE1ExNS0_10empty_typeEbEEZZNS1_14partition_implILS5_1ELb0ES3_jN6thrust23THRUST_200600_302600_NS6detail15normal_iteratorINSA_10device_ptrIxEEEEPS6_NSA_18transform_iteratorI7is_evenIxESF_NSA_11use_defaultESK_EENS0_5tupleIJNSA_16discard_iteratorISK_EESO_EEENSM_IJSG_SG_EEES6_PlJS6_EEE10hipError_tPvRmT3_T4_T5_T6_T7_T9_mT8_P12ihipStream_tbDpT10_ENKUlT_T0_E_clISt17integral_constantIbLb0EES1A_IbLb1EEEEDaS16_S17_EUlS16_E_NS1_11comp_targetILNS1_3genE10ELNS1_11target_archE1200ELNS1_3gpuE4ELNS1_3repE0EEENS1_30default_config_static_selectorELNS0_4arch9wavefront6targetE1EEEvT1_,"axG",@progbits,_ZN7rocprim17ROCPRIM_400000_NS6detail17trampoline_kernelINS0_14default_configENS1_25partition_config_selectorILNS1_17partition_subalgoE1ExNS0_10empty_typeEbEEZZNS1_14partition_implILS5_1ELb0ES3_jN6thrust23THRUST_200600_302600_NS6detail15normal_iteratorINSA_10device_ptrIxEEEEPS6_NSA_18transform_iteratorI7is_evenIxESF_NSA_11use_defaultESK_EENS0_5tupleIJNSA_16discard_iteratorISK_EESO_EEENSM_IJSG_SG_EEES6_PlJS6_EEE10hipError_tPvRmT3_T4_T5_T6_T7_T9_mT8_P12ihipStream_tbDpT10_ENKUlT_T0_E_clISt17integral_constantIbLb0EES1A_IbLb1EEEEDaS16_S17_EUlS16_E_NS1_11comp_targetILNS1_3genE10ELNS1_11target_archE1200ELNS1_3gpuE4ELNS1_3repE0EEENS1_30default_config_static_selectorELNS0_4arch9wavefront6targetE1EEEvT1_,comdat
	.protected	_ZN7rocprim17ROCPRIM_400000_NS6detail17trampoline_kernelINS0_14default_configENS1_25partition_config_selectorILNS1_17partition_subalgoE1ExNS0_10empty_typeEbEEZZNS1_14partition_implILS5_1ELb0ES3_jN6thrust23THRUST_200600_302600_NS6detail15normal_iteratorINSA_10device_ptrIxEEEEPS6_NSA_18transform_iteratorI7is_evenIxESF_NSA_11use_defaultESK_EENS0_5tupleIJNSA_16discard_iteratorISK_EESO_EEENSM_IJSG_SG_EEES6_PlJS6_EEE10hipError_tPvRmT3_T4_T5_T6_T7_T9_mT8_P12ihipStream_tbDpT10_ENKUlT_T0_E_clISt17integral_constantIbLb0EES1A_IbLb1EEEEDaS16_S17_EUlS16_E_NS1_11comp_targetILNS1_3genE10ELNS1_11target_archE1200ELNS1_3gpuE4ELNS1_3repE0EEENS1_30default_config_static_selectorELNS0_4arch9wavefront6targetE1EEEvT1_ ; -- Begin function _ZN7rocprim17ROCPRIM_400000_NS6detail17trampoline_kernelINS0_14default_configENS1_25partition_config_selectorILNS1_17partition_subalgoE1ExNS0_10empty_typeEbEEZZNS1_14partition_implILS5_1ELb0ES3_jN6thrust23THRUST_200600_302600_NS6detail15normal_iteratorINSA_10device_ptrIxEEEEPS6_NSA_18transform_iteratorI7is_evenIxESF_NSA_11use_defaultESK_EENS0_5tupleIJNSA_16discard_iteratorISK_EESO_EEENSM_IJSG_SG_EEES6_PlJS6_EEE10hipError_tPvRmT3_T4_T5_T6_T7_T9_mT8_P12ihipStream_tbDpT10_ENKUlT_T0_E_clISt17integral_constantIbLb0EES1A_IbLb1EEEEDaS16_S17_EUlS16_E_NS1_11comp_targetILNS1_3genE10ELNS1_11target_archE1200ELNS1_3gpuE4ELNS1_3repE0EEENS1_30default_config_static_selectorELNS0_4arch9wavefront6targetE1EEEvT1_
	.globl	_ZN7rocprim17ROCPRIM_400000_NS6detail17trampoline_kernelINS0_14default_configENS1_25partition_config_selectorILNS1_17partition_subalgoE1ExNS0_10empty_typeEbEEZZNS1_14partition_implILS5_1ELb0ES3_jN6thrust23THRUST_200600_302600_NS6detail15normal_iteratorINSA_10device_ptrIxEEEEPS6_NSA_18transform_iteratorI7is_evenIxESF_NSA_11use_defaultESK_EENS0_5tupleIJNSA_16discard_iteratorISK_EESO_EEENSM_IJSG_SG_EEES6_PlJS6_EEE10hipError_tPvRmT3_T4_T5_T6_T7_T9_mT8_P12ihipStream_tbDpT10_ENKUlT_T0_E_clISt17integral_constantIbLb0EES1A_IbLb1EEEEDaS16_S17_EUlS16_E_NS1_11comp_targetILNS1_3genE10ELNS1_11target_archE1200ELNS1_3gpuE4ELNS1_3repE0EEENS1_30default_config_static_selectorELNS0_4arch9wavefront6targetE1EEEvT1_
	.p2align	8
	.type	_ZN7rocprim17ROCPRIM_400000_NS6detail17trampoline_kernelINS0_14default_configENS1_25partition_config_selectorILNS1_17partition_subalgoE1ExNS0_10empty_typeEbEEZZNS1_14partition_implILS5_1ELb0ES3_jN6thrust23THRUST_200600_302600_NS6detail15normal_iteratorINSA_10device_ptrIxEEEEPS6_NSA_18transform_iteratorI7is_evenIxESF_NSA_11use_defaultESK_EENS0_5tupleIJNSA_16discard_iteratorISK_EESO_EEENSM_IJSG_SG_EEES6_PlJS6_EEE10hipError_tPvRmT3_T4_T5_T6_T7_T9_mT8_P12ihipStream_tbDpT10_ENKUlT_T0_E_clISt17integral_constantIbLb0EES1A_IbLb1EEEEDaS16_S17_EUlS16_E_NS1_11comp_targetILNS1_3genE10ELNS1_11target_archE1200ELNS1_3gpuE4ELNS1_3repE0EEENS1_30default_config_static_selectorELNS0_4arch9wavefront6targetE1EEEvT1_,@function
_ZN7rocprim17ROCPRIM_400000_NS6detail17trampoline_kernelINS0_14default_configENS1_25partition_config_selectorILNS1_17partition_subalgoE1ExNS0_10empty_typeEbEEZZNS1_14partition_implILS5_1ELb0ES3_jN6thrust23THRUST_200600_302600_NS6detail15normal_iteratorINSA_10device_ptrIxEEEEPS6_NSA_18transform_iteratorI7is_evenIxESF_NSA_11use_defaultESK_EENS0_5tupleIJNSA_16discard_iteratorISK_EESO_EEENSM_IJSG_SG_EEES6_PlJS6_EEE10hipError_tPvRmT3_T4_T5_T6_T7_T9_mT8_P12ihipStream_tbDpT10_ENKUlT_T0_E_clISt17integral_constantIbLb0EES1A_IbLb1EEEEDaS16_S17_EUlS16_E_NS1_11comp_targetILNS1_3genE10ELNS1_11target_archE1200ELNS1_3gpuE4ELNS1_3repE0EEENS1_30default_config_static_selectorELNS0_4arch9wavefront6targetE1EEEvT1_: ; @_ZN7rocprim17ROCPRIM_400000_NS6detail17trampoline_kernelINS0_14default_configENS1_25partition_config_selectorILNS1_17partition_subalgoE1ExNS0_10empty_typeEbEEZZNS1_14partition_implILS5_1ELb0ES3_jN6thrust23THRUST_200600_302600_NS6detail15normal_iteratorINSA_10device_ptrIxEEEEPS6_NSA_18transform_iteratorI7is_evenIxESF_NSA_11use_defaultESK_EENS0_5tupleIJNSA_16discard_iteratorISK_EESO_EEENSM_IJSG_SG_EEES6_PlJS6_EEE10hipError_tPvRmT3_T4_T5_T6_T7_T9_mT8_P12ihipStream_tbDpT10_ENKUlT_T0_E_clISt17integral_constantIbLb0EES1A_IbLb1EEEEDaS16_S17_EUlS16_E_NS1_11comp_targetILNS1_3genE10ELNS1_11target_archE1200ELNS1_3gpuE4ELNS1_3repE0EEENS1_30default_config_static_selectorELNS0_4arch9wavefront6targetE1EEEvT1_
; %bb.0:
	.section	.rodata,"a",@progbits
	.p2align	6, 0x0
	.amdhsa_kernel _ZN7rocprim17ROCPRIM_400000_NS6detail17trampoline_kernelINS0_14default_configENS1_25partition_config_selectorILNS1_17partition_subalgoE1ExNS0_10empty_typeEbEEZZNS1_14partition_implILS5_1ELb0ES3_jN6thrust23THRUST_200600_302600_NS6detail15normal_iteratorINSA_10device_ptrIxEEEEPS6_NSA_18transform_iteratorI7is_evenIxESF_NSA_11use_defaultESK_EENS0_5tupleIJNSA_16discard_iteratorISK_EESO_EEENSM_IJSG_SG_EEES6_PlJS6_EEE10hipError_tPvRmT3_T4_T5_T6_T7_T9_mT8_P12ihipStream_tbDpT10_ENKUlT_T0_E_clISt17integral_constantIbLb0EES1A_IbLb1EEEEDaS16_S17_EUlS16_E_NS1_11comp_targetILNS1_3genE10ELNS1_11target_archE1200ELNS1_3gpuE4ELNS1_3repE0EEENS1_30default_config_static_selectorELNS0_4arch9wavefront6targetE1EEEvT1_
		.amdhsa_group_segment_fixed_size 0
		.amdhsa_private_segment_fixed_size 0
		.amdhsa_kernarg_size 160
		.amdhsa_user_sgpr_count 6
		.amdhsa_user_sgpr_private_segment_buffer 1
		.amdhsa_user_sgpr_dispatch_ptr 0
		.amdhsa_user_sgpr_queue_ptr 0
		.amdhsa_user_sgpr_kernarg_segment_ptr 1
		.amdhsa_user_sgpr_dispatch_id 0
		.amdhsa_user_sgpr_flat_scratch_init 0
		.amdhsa_user_sgpr_kernarg_preload_length 0
		.amdhsa_user_sgpr_kernarg_preload_offset 0
		.amdhsa_user_sgpr_private_segment_size 0
		.amdhsa_uses_dynamic_stack 0
		.amdhsa_system_sgpr_private_segment_wavefront_offset 0
		.amdhsa_system_sgpr_workgroup_id_x 1
		.amdhsa_system_sgpr_workgroup_id_y 0
		.amdhsa_system_sgpr_workgroup_id_z 0
		.amdhsa_system_sgpr_workgroup_info 0
		.amdhsa_system_vgpr_workitem_id 0
		.amdhsa_next_free_vgpr 1
		.amdhsa_next_free_sgpr 0
		.amdhsa_accum_offset 4
		.amdhsa_reserve_vcc 0
		.amdhsa_reserve_flat_scratch 0
		.amdhsa_float_round_mode_32 0
		.amdhsa_float_round_mode_16_64 0
		.amdhsa_float_denorm_mode_32 3
		.amdhsa_float_denorm_mode_16_64 3
		.amdhsa_dx10_clamp 1
		.amdhsa_ieee_mode 1
		.amdhsa_fp16_overflow 0
		.amdhsa_tg_split 0
		.amdhsa_exception_fp_ieee_invalid_op 0
		.amdhsa_exception_fp_denorm_src 0
		.amdhsa_exception_fp_ieee_div_zero 0
		.amdhsa_exception_fp_ieee_overflow 0
		.amdhsa_exception_fp_ieee_underflow 0
		.amdhsa_exception_fp_ieee_inexact 0
		.amdhsa_exception_int_div_zero 0
	.end_amdhsa_kernel
	.section	.text._ZN7rocprim17ROCPRIM_400000_NS6detail17trampoline_kernelINS0_14default_configENS1_25partition_config_selectorILNS1_17partition_subalgoE1ExNS0_10empty_typeEbEEZZNS1_14partition_implILS5_1ELb0ES3_jN6thrust23THRUST_200600_302600_NS6detail15normal_iteratorINSA_10device_ptrIxEEEEPS6_NSA_18transform_iteratorI7is_evenIxESF_NSA_11use_defaultESK_EENS0_5tupleIJNSA_16discard_iteratorISK_EESO_EEENSM_IJSG_SG_EEES6_PlJS6_EEE10hipError_tPvRmT3_T4_T5_T6_T7_T9_mT8_P12ihipStream_tbDpT10_ENKUlT_T0_E_clISt17integral_constantIbLb0EES1A_IbLb1EEEEDaS16_S17_EUlS16_E_NS1_11comp_targetILNS1_3genE10ELNS1_11target_archE1200ELNS1_3gpuE4ELNS1_3repE0EEENS1_30default_config_static_selectorELNS0_4arch9wavefront6targetE1EEEvT1_,"axG",@progbits,_ZN7rocprim17ROCPRIM_400000_NS6detail17trampoline_kernelINS0_14default_configENS1_25partition_config_selectorILNS1_17partition_subalgoE1ExNS0_10empty_typeEbEEZZNS1_14partition_implILS5_1ELb0ES3_jN6thrust23THRUST_200600_302600_NS6detail15normal_iteratorINSA_10device_ptrIxEEEEPS6_NSA_18transform_iteratorI7is_evenIxESF_NSA_11use_defaultESK_EENS0_5tupleIJNSA_16discard_iteratorISK_EESO_EEENSM_IJSG_SG_EEES6_PlJS6_EEE10hipError_tPvRmT3_T4_T5_T6_T7_T9_mT8_P12ihipStream_tbDpT10_ENKUlT_T0_E_clISt17integral_constantIbLb0EES1A_IbLb1EEEEDaS16_S17_EUlS16_E_NS1_11comp_targetILNS1_3genE10ELNS1_11target_archE1200ELNS1_3gpuE4ELNS1_3repE0EEENS1_30default_config_static_selectorELNS0_4arch9wavefront6targetE1EEEvT1_,comdat
.Lfunc_end3192:
	.size	_ZN7rocprim17ROCPRIM_400000_NS6detail17trampoline_kernelINS0_14default_configENS1_25partition_config_selectorILNS1_17partition_subalgoE1ExNS0_10empty_typeEbEEZZNS1_14partition_implILS5_1ELb0ES3_jN6thrust23THRUST_200600_302600_NS6detail15normal_iteratorINSA_10device_ptrIxEEEEPS6_NSA_18transform_iteratorI7is_evenIxESF_NSA_11use_defaultESK_EENS0_5tupleIJNSA_16discard_iteratorISK_EESO_EEENSM_IJSG_SG_EEES6_PlJS6_EEE10hipError_tPvRmT3_T4_T5_T6_T7_T9_mT8_P12ihipStream_tbDpT10_ENKUlT_T0_E_clISt17integral_constantIbLb0EES1A_IbLb1EEEEDaS16_S17_EUlS16_E_NS1_11comp_targetILNS1_3genE10ELNS1_11target_archE1200ELNS1_3gpuE4ELNS1_3repE0EEENS1_30default_config_static_selectorELNS0_4arch9wavefront6targetE1EEEvT1_, .Lfunc_end3192-_ZN7rocprim17ROCPRIM_400000_NS6detail17trampoline_kernelINS0_14default_configENS1_25partition_config_selectorILNS1_17partition_subalgoE1ExNS0_10empty_typeEbEEZZNS1_14partition_implILS5_1ELb0ES3_jN6thrust23THRUST_200600_302600_NS6detail15normal_iteratorINSA_10device_ptrIxEEEEPS6_NSA_18transform_iteratorI7is_evenIxESF_NSA_11use_defaultESK_EENS0_5tupleIJNSA_16discard_iteratorISK_EESO_EEENSM_IJSG_SG_EEES6_PlJS6_EEE10hipError_tPvRmT3_T4_T5_T6_T7_T9_mT8_P12ihipStream_tbDpT10_ENKUlT_T0_E_clISt17integral_constantIbLb0EES1A_IbLb1EEEEDaS16_S17_EUlS16_E_NS1_11comp_targetILNS1_3genE10ELNS1_11target_archE1200ELNS1_3gpuE4ELNS1_3repE0EEENS1_30default_config_static_selectorELNS0_4arch9wavefront6targetE1EEEvT1_
                                        ; -- End function
	.section	.AMDGPU.csdata,"",@progbits
; Kernel info:
; codeLenInByte = 0
; NumSgprs: 4
; NumVgprs: 0
; NumAgprs: 0
; TotalNumVgprs: 0
; ScratchSize: 0
; MemoryBound: 0
; FloatMode: 240
; IeeeMode: 1
; LDSByteSize: 0 bytes/workgroup (compile time only)
; SGPRBlocks: 0
; VGPRBlocks: 0
; NumSGPRsForWavesPerEU: 4
; NumVGPRsForWavesPerEU: 1
; AccumOffset: 4
; Occupancy: 8
; WaveLimiterHint : 0
; COMPUTE_PGM_RSRC2:SCRATCH_EN: 0
; COMPUTE_PGM_RSRC2:USER_SGPR: 6
; COMPUTE_PGM_RSRC2:TRAP_HANDLER: 0
; COMPUTE_PGM_RSRC2:TGID_X_EN: 1
; COMPUTE_PGM_RSRC2:TGID_Y_EN: 0
; COMPUTE_PGM_RSRC2:TGID_Z_EN: 0
; COMPUTE_PGM_RSRC2:TIDIG_COMP_CNT: 0
; COMPUTE_PGM_RSRC3_GFX90A:ACCUM_OFFSET: 0
; COMPUTE_PGM_RSRC3_GFX90A:TG_SPLIT: 0
	.section	.text._ZN7rocprim17ROCPRIM_400000_NS6detail17trampoline_kernelINS0_14default_configENS1_25partition_config_selectorILNS1_17partition_subalgoE1ExNS0_10empty_typeEbEEZZNS1_14partition_implILS5_1ELb0ES3_jN6thrust23THRUST_200600_302600_NS6detail15normal_iteratorINSA_10device_ptrIxEEEEPS6_NSA_18transform_iteratorI7is_evenIxESF_NSA_11use_defaultESK_EENS0_5tupleIJNSA_16discard_iteratorISK_EESO_EEENSM_IJSG_SG_EEES6_PlJS6_EEE10hipError_tPvRmT3_T4_T5_T6_T7_T9_mT8_P12ihipStream_tbDpT10_ENKUlT_T0_E_clISt17integral_constantIbLb0EES1A_IbLb1EEEEDaS16_S17_EUlS16_E_NS1_11comp_targetILNS1_3genE9ELNS1_11target_archE1100ELNS1_3gpuE3ELNS1_3repE0EEENS1_30default_config_static_selectorELNS0_4arch9wavefront6targetE1EEEvT1_,"axG",@progbits,_ZN7rocprim17ROCPRIM_400000_NS6detail17trampoline_kernelINS0_14default_configENS1_25partition_config_selectorILNS1_17partition_subalgoE1ExNS0_10empty_typeEbEEZZNS1_14partition_implILS5_1ELb0ES3_jN6thrust23THRUST_200600_302600_NS6detail15normal_iteratorINSA_10device_ptrIxEEEEPS6_NSA_18transform_iteratorI7is_evenIxESF_NSA_11use_defaultESK_EENS0_5tupleIJNSA_16discard_iteratorISK_EESO_EEENSM_IJSG_SG_EEES6_PlJS6_EEE10hipError_tPvRmT3_T4_T5_T6_T7_T9_mT8_P12ihipStream_tbDpT10_ENKUlT_T0_E_clISt17integral_constantIbLb0EES1A_IbLb1EEEEDaS16_S17_EUlS16_E_NS1_11comp_targetILNS1_3genE9ELNS1_11target_archE1100ELNS1_3gpuE3ELNS1_3repE0EEENS1_30default_config_static_selectorELNS0_4arch9wavefront6targetE1EEEvT1_,comdat
	.protected	_ZN7rocprim17ROCPRIM_400000_NS6detail17trampoline_kernelINS0_14default_configENS1_25partition_config_selectorILNS1_17partition_subalgoE1ExNS0_10empty_typeEbEEZZNS1_14partition_implILS5_1ELb0ES3_jN6thrust23THRUST_200600_302600_NS6detail15normal_iteratorINSA_10device_ptrIxEEEEPS6_NSA_18transform_iteratorI7is_evenIxESF_NSA_11use_defaultESK_EENS0_5tupleIJNSA_16discard_iteratorISK_EESO_EEENSM_IJSG_SG_EEES6_PlJS6_EEE10hipError_tPvRmT3_T4_T5_T6_T7_T9_mT8_P12ihipStream_tbDpT10_ENKUlT_T0_E_clISt17integral_constantIbLb0EES1A_IbLb1EEEEDaS16_S17_EUlS16_E_NS1_11comp_targetILNS1_3genE9ELNS1_11target_archE1100ELNS1_3gpuE3ELNS1_3repE0EEENS1_30default_config_static_selectorELNS0_4arch9wavefront6targetE1EEEvT1_ ; -- Begin function _ZN7rocprim17ROCPRIM_400000_NS6detail17trampoline_kernelINS0_14default_configENS1_25partition_config_selectorILNS1_17partition_subalgoE1ExNS0_10empty_typeEbEEZZNS1_14partition_implILS5_1ELb0ES3_jN6thrust23THRUST_200600_302600_NS6detail15normal_iteratorINSA_10device_ptrIxEEEEPS6_NSA_18transform_iteratorI7is_evenIxESF_NSA_11use_defaultESK_EENS0_5tupleIJNSA_16discard_iteratorISK_EESO_EEENSM_IJSG_SG_EEES6_PlJS6_EEE10hipError_tPvRmT3_T4_T5_T6_T7_T9_mT8_P12ihipStream_tbDpT10_ENKUlT_T0_E_clISt17integral_constantIbLb0EES1A_IbLb1EEEEDaS16_S17_EUlS16_E_NS1_11comp_targetILNS1_3genE9ELNS1_11target_archE1100ELNS1_3gpuE3ELNS1_3repE0EEENS1_30default_config_static_selectorELNS0_4arch9wavefront6targetE1EEEvT1_
	.globl	_ZN7rocprim17ROCPRIM_400000_NS6detail17trampoline_kernelINS0_14default_configENS1_25partition_config_selectorILNS1_17partition_subalgoE1ExNS0_10empty_typeEbEEZZNS1_14partition_implILS5_1ELb0ES3_jN6thrust23THRUST_200600_302600_NS6detail15normal_iteratorINSA_10device_ptrIxEEEEPS6_NSA_18transform_iteratorI7is_evenIxESF_NSA_11use_defaultESK_EENS0_5tupleIJNSA_16discard_iteratorISK_EESO_EEENSM_IJSG_SG_EEES6_PlJS6_EEE10hipError_tPvRmT3_T4_T5_T6_T7_T9_mT8_P12ihipStream_tbDpT10_ENKUlT_T0_E_clISt17integral_constantIbLb0EES1A_IbLb1EEEEDaS16_S17_EUlS16_E_NS1_11comp_targetILNS1_3genE9ELNS1_11target_archE1100ELNS1_3gpuE3ELNS1_3repE0EEENS1_30default_config_static_selectorELNS0_4arch9wavefront6targetE1EEEvT1_
	.p2align	8
	.type	_ZN7rocprim17ROCPRIM_400000_NS6detail17trampoline_kernelINS0_14default_configENS1_25partition_config_selectorILNS1_17partition_subalgoE1ExNS0_10empty_typeEbEEZZNS1_14partition_implILS5_1ELb0ES3_jN6thrust23THRUST_200600_302600_NS6detail15normal_iteratorINSA_10device_ptrIxEEEEPS6_NSA_18transform_iteratorI7is_evenIxESF_NSA_11use_defaultESK_EENS0_5tupleIJNSA_16discard_iteratorISK_EESO_EEENSM_IJSG_SG_EEES6_PlJS6_EEE10hipError_tPvRmT3_T4_T5_T6_T7_T9_mT8_P12ihipStream_tbDpT10_ENKUlT_T0_E_clISt17integral_constantIbLb0EES1A_IbLb1EEEEDaS16_S17_EUlS16_E_NS1_11comp_targetILNS1_3genE9ELNS1_11target_archE1100ELNS1_3gpuE3ELNS1_3repE0EEENS1_30default_config_static_selectorELNS0_4arch9wavefront6targetE1EEEvT1_,@function
_ZN7rocprim17ROCPRIM_400000_NS6detail17trampoline_kernelINS0_14default_configENS1_25partition_config_selectorILNS1_17partition_subalgoE1ExNS0_10empty_typeEbEEZZNS1_14partition_implILS5_1ELb0ES3_jN6thrust23THRUST_200600_302600_NS6detail15normal_iteratorINSA_10device_ptrIxEEEEPS6_NSA_18transform_iteratorI7is_evenIxESF_NSA_11use_defaultESK_EENS0_5tupleIJNSA_16discard_iteratorISK_EESO_EEENSM_IJSG_SG_EEES6_PlJS6_EEE10hipError_tPvRmT3_T4_T5_T6_T7_T9_mT8_P12ihipStream_tbDpT10_ENKUlT_T0_E_clISt17integral_constantIbLb0EES1A_IbLb1EEEEDaS16_S17_EUlS16_E_NS1_11comp_targetILNS1_3genE9ELNS1_11target_archE1100ELNS1_3gpuE3ELNS1_3repE0EEENS1_30default_config_static_selectorELNS0_4arch9wavefront6targetE1EEEvT1_: ; @_ZN7rocprim17ROCPRIM_400000_NS6detail17trampoline_kernelINS0_14default_configENS1_25partition_config_selectorILNS1_17partition_subalgoE1ExNS0_10empty_typeEbEEZZNS1_14partition_implILS5_1ELb0ES3_jN6thrust23THRUST_200600_302600_NS6detail15normal_iteratorINSA_10device_ptrIxEEEEPS6_NSA_18transform_iteratorI7is_evenIxESF_NSA_11use_defaultESK_EENS0_5tupleIJNSA_16discard_iteratorISK_EESO_EEENSM_IJSG_SG_EEES6_PlJS6_EEE10hipError_tPvRmT3_T4_T5_T6_T7_T9_mT8_P12ihipStream_tbDpT10_ENKUlT_T0_E_clISt17integral_constantIbLb0EES1A_IbLb1EEEEDaS16_S17_EUlS16_E_NS1_11comp_targetILNS1_3genE9ELNS1_11target_archE1100ELNS1_3gpuE3ELNS1_3repE0EEENS1_30default_config_static_selectorELNS0_4arch9wavefront6targetE1EEEvT1_
; %bb.0:
	.section	.rodata,"a",@progbits
	.p2align	6, 0x0
	.amdhsa_kernel _ZN7rocprim17ROCPRIM_400000_NS6detail17trampoline_kernelINS0_14default_configENS1_25partition_config_selectorILNS1_17partition_subalgoE1ExNS0_10empty_typeEbEEZZNS1_14partition_implILS5_1ELb0ES3_jN6thrust23THRUST_200600_302600_NS6detail15normal_iteratorINSA_10device_ptrIxEEEEPS6_NSA_18transform_iteratorI7is_evenIxESF_NSA_11use_defaultESK_EENS0_5tupleIJNSA_16discard_iteratorISK_EESO_EEENSM_IJSG_SG_EEES6_PlJS6_EEE10hipError_tPvRmT3_T4_T5_T6_T7_T9_mT8_P12ihipStream_tbDpT10_ENKUlT_T0_E_clISt17integral_constantIbLb0EES1A_IbLb1EEEEDaS16_S17_EUlS16_E_NS1_11comp_targetILNS1_3genE9ELNS1_11target_archE1100ELNS1_3gpuE3ELNS1_3repE0EEENS1_30default_config_static_selectorELNS0_4arch9wavefront6targetE1EEEvT1_
		.amdhsa_group_segment_fixed_size 0
		.amdhsa_private_segment_fixed_size 0
		.amdhsa_kernarg_size 160
		.amdhsa_user_sgpr_count 6
		.amdhsa_user_sgpr_private_segment_buffer 1
		.amdhsa_user_sgpr_dispatch_ptr 0
		.amdhsa_user_sgpr_queue_ptr 0
		.amdhsa_user_sgpr_kernarg_segment_ptr 1
		.amdhsa_user_sgpr_dispatch_id 0
		.amdhsa_user_sgpr_flat_scratch_init 0
		.amdhsa_user_sgpr_kernarg_preload_length 0
		.amdhsa_user_sgpr_kernarg_preload_offset 0
		.amdhsa_user_sgpr_private_segment_size 0
		.amdhsa_uses_dynamic_stack 0
		.amdhsa_system_sgpr_private_segment_wavefront_offset 0
		.amdhsa_system_sgpr_workgroup_id_x 1
		.amdhsa_system_sgpr_workgroup_id_y 0
		.amdhsa_system_sgpr_workgroup_id_z 0
		.amdhsa_system_sgpr_workgroup_info 0
		.amdhsa_system_vgpr_workitem_id 0
		.amdhsa_next_free_vgpr 1
		.amdhsa_next_free_sgpr 0
		.amdhsa_accum_offset 4
		.amdhsa_reserve_vcc 0
		.amdhsa_reserve_flat_scratch 0
		.amdhsa_float_round_mode_32 0
		.amdhsa_float_round_mode_16_64 0
		.amdhsa_float_denorm_mode_32 3
		.amdhsa_float_denorm_mode_16_64 3
		.amdhsa_dx10_clamp 1
		.amdhsa_ieee_mode 1
		.amdhsa_fp16_overflow 0
		.amdhsa_tg_split 0
		.amdhsa_exception_fp_ieee_invalid_op 0
		.amdhsa_exception_fp_denorm_src 0
		.amdhsa_exception_fp_ieee_div_zero 0
		.amdhsa_exception_fp_ieee_overflow 0
		.amdhsa_exception_fp_ieee_underflow 0
		.amdhsa_exception_fp_ieee_inexact 0
		.amdhsa_exception_int_div_zero 0
	.end_amdhsa_kernel
	.section	.text._ZN7rocprim17ROCPRIM_400000_NS6detail17trampoline_kernelINS0_14default_configENS1_25partition_config_selectorILNS1_17partition_subalgoE1ExNS0_10empty_typeEbEEZZNS1_14partition_implILS5_1ELb0ES3_jN6thrust23THRUST_200600_302600_NS6detail15normal_iteratorINSA_10device_ptrIxEEEEPS6_NSA_18transform_iteratorI7is_evenIxESF_NSA_11use_defaultESK_EENS0_5tupleIJNSA_16discard_iteratorISK_EESO_EEENSM_IJSG_SG_EEES6_PlJS6_EEE10hipError_tPvRmT3_T4_T5_T6_T7_T9_mT8_P12ihipStream_tbDpT10_ENKUlT_T0_E_clISt17integral_constantIbLb0EES1A_IbLb1EEEEDaS16_S17_EUlS16_E_NS1_11comp_targetILNS1_3genE9ELNS1_11target_archE1100ELNS1_3gpuE3ELNS1_3repE0EEENS1_30default_config_static_selectorELNS0_4arch9wavefront6targetE1EEEvT1_,"axG",@progbits,_ZN7rocprim17ROCPRIM_400000_NS6detail17trampoline_kernelINS0_14default_configENS1_25partition_config_selectorILNS1_17partition_subalgoE1ExNS0_10empty_typeEbEEZZNS1_14partition_implILS5_1ELb0ES3_jN6thrust23THRUST_200600_302600_NS6detail15normal_iteratorINSA_10device_ptrIxEEEEPS6_NSA_18transform_iteratorI7is_evenIxESF_NSA_11use_defaultESK_EENS0_5tupleIJNSA_16discard_iteratorISK_EESO_EEENSM_IJSG_SG_EEES6_PlJS6_EEE10hipError_tPvRmT3_T4_T5_T6_T7_T9_mT8_P12ihipStream_tbDpT10_ENKUlT_T0_E_clISt17integral_constantIbLb0EES1A_IbLb1EEEEDaS16_S17_EUlS16_E_NS1_11comp_targetILNS1_3genE9ELNS1_11target_archE1100ELNS1_3gpuE3ELNS1_3repE0EEENS1_30default_config_static_selectorELNS0_4arch9wavefront6targetE1EEEvT1_,comdat
.Lfunc_end3193:
	.size	_ZN7rocprim17ROCPRIM_400000_NS6detail17trampoline_kernelINS0_14default_configENS1_25partition_config_selectorILNS1_17partition_subalgoE1ExNS0_10empty_typeEbEEZZNS1_14partition_implILS5_1ELb0ES3_jN6thrust23THRUST_200600_302600_NS6detail15normal_iteratorINSA_10device_ptrIxEEEEPS6_NSA_18transform_iteratorI7is_evenIxESF_NSA_11use_defaultESK_EENS0_5tupleIJNSA_16discard_iteratorISK_EESO_EEENSM_IJSG_SG_EEES6_PlJS6_EEE10hipError_tPvRmT3_T4_T5_T6_T7_T9_mT8_P12ihipStream_tbDpT10_ENKUlT_T0_E_clISt17integral_constantIbLb0EES1A_IbLb1EEEEDaS16_S17_EUlS16_E_NS1_11comp_targetILNS1_3genE9ELNS1_11target_archE1100ELNS1_3gpuE3ELNS1_3repE0EEENS1_30default_config_static_selectorELNS0_4arch9wavefront6targetE1EEEvT1_, .Lfunc_end3193-_ZN7rocprim17ROCPRIM_400000_NS6detail17trampoline_kernelINS0_14default_configENS1_25partition_config_selectorILNS1_17partition_subalgoE1ExNS0_10empty_typeEbEEZZNS1_14partition_implILS5_1ELb0ES3_jN6thrust23THRUST_200600_302600_NS6detail15normal_iteratorINSA_10device_ptrIxEEEEPS6_NSA_18transform_iteratorI7is_evenIxESF_NSA_11use_defaultESK_EENS0_5tupleIJNSA_16discard_iteratorISK_EESO_EEENSM_IJSG_SG_EEES6_PlJS6_EEE10hipError_tPvRmT3_T4_T5_T6_T7_T9_mT8_P12ihipStream_tbDpT10_ENKUlT_T0_E_clISt17integral_constantIbLb0EES1A_IbLb1EEEEDaS16_S17_EUlS16_E_NS1_11comp_targetILNS1_3genE9ELNS1_11target_archE1100ELNS1_3gpuE3ELNS1_3repE0EEENS1_30default_config_static_selectorELNS0_4arch9wavefront6targetE1EEEvT1_
                                        ; -- End function
	.section	.AMDGPU.csdata,"",@progbits
; Kernel info:
; codeLenInByte = 0
; NumSgprs: 4
; NumVgprs: 0
; NumAgprs: 0
; TotalNumVgprs: 0
; ScratchSize: 0
; MemoryBound: 0
; FloatMode: 240
; IeeeMode: 1
; LDSByteSize: 0 bytes/workgroup (compile time only)
; SGPRBlocks: 0
; VGPRBlocks: 0
; NumSGPRsForWavesPerEU: 4
; NumVGPRsForWavesPerEU: 1
; AccumOffset: 4
; Occupancy: 8
; WaveLimiterHint : 0
; COMPUTE_PGM_RSRC2:SCRATCH_EN: 0
; COMPUTE_PGM_RSRC2:USER_SGPR: 6
; COMPUTE_PGM_RSRC2:TRAP_HANDLER: 0
; COMPUTE_PGM_RSRC2:TGID_X_EN: 1
; COMPUTE_PGM_RSRC2:TGID_Y_EN: 0
; COMPUTE_PGM_RSRC2:TGID_Z_EN: 0
; COMPUTE_PGM_RSRC2:TIDIG_COMP_CNT: 0
; COMPUTE_PGM_RSRC3_GFX90A:ACCUM_OFFSET: 0
; COMPUTE_PGM_RSRC3_GFX90A:TG_SPLIT: 0
	.section	.text._ZN7rocprim17ROCPRIM_400000_NS6detail17trampoline_kernelINS0_14default_configENS1_25partition_config_selectorILNS1_17partition_subalgoE1ExNS0_10empty_typeEbEEZZNS1_14partition_implILS5_1ELb0ES3_jN6thrust23THRUST_200600_302600_NS6detail15normal_iteratorINSA_10device_ptrIxEEEEPS6_NSA_18transform_iteratorI7is_evenIxESF_NSA_11use_defaultESK_EENS0_5tupleIJNSA_16discard_iteratorISK_EESO_EEENSM_IJSG_SG_EEES6_PlJS6_EEE10hipError_tPvRmT3_T4_T5_T6_T7_T9_mT8_P12ihipStream_tbDpT10_ENKUlT_T0_E_clISt17integral_constantIbLb0EES1A_IbLb1EEEEDaS16_S17_EUlS16_E_NS1_11comp_targetILNS1_3genE8ELNS1_11target_archE1030ELNS1_3gpuE2ELNS1_3repE0EEENS1_30default_config_static_selectorELNS0_4arch9wavefront6targetE1EEEvT1_,"axG",@progbits,_ZN7rocprim17ROCPRIM_400000_NS6detail17trampoline_kernelINS0_14default_configENS1_25partition_config_selectorILNS1_17partition_subalgoE1ExNS0_10empty_typeEbEEZZNS1_14partition_implILS5_1ELb0ES3_jN6thrust23THRUST_200600_302600_NS6detail15normal_iteratorINSA_10device_ptrIxEEEEPS6_NSA_18transform_iteratorI7is_evenIxESF_NSA_11use_defaultESK_EENS0_5tupleIJNSA_16discard_iteratorISK_EESO_EEENSM_IJSG_SG_EEES6_PlJS6_EEE10hipError_tPvRmT3_T4_T5_T6_T7_T9_mT8_P12ihipStream_tbDpT10_ENKUlT_T0_E_clISt17integral_constantIbLb0EES1A_IbLb1EEEEDaS16_S17_EUlS16_E_NS1_11comp_targetILNS1_3genE8ELNS1_11target_archE1030ELNS1_3gpuE2ELNS1_3repE0EEENS1_30default_config_static_selectorELNS0_4arch9wavefront6targetE1EEEvT1_,comdat
	.protected	_ZN7rocprim17ROCPRIM_400000_NS6detail17trampoline_kernelINS0_14default_configENS1_25partition_config_selectorILNS1_17partition_subalgoE1ExNS0_10empty_typeEbEEZZNS1_14partition_implILS5_1ELb0ES3_jN6thrust23THRUST_200600_302600_NS6detail15normal_iteratorINSA_10device_ptrIxEEEEPS6_NSA_18transform_iteratorI7is_evenIxESF_NSA_11use_defaultESK_EENS0_5tupleIJNSA_16discard_iteratorISK_EESO_EEENSM_IJSG_SG_EEES6_PlJS6_EEE10hipError_tPvRmT3_T4_T5_T6_T7_T9_mT8_P12ihipStream_tbDpT10_ENKUlT_T0_E_clISt17integral_constantIbLb0EES1A_IbLb1EEEEDaS16_S17_EUlS16_E_NS1_11comp_targetILNS1_3genE8ELNS1_11target_archE1030ELNS1_3gpuE2ELNS1_3repE0EEENS1_30default_config_static_selectorELNS0_4arch9wavefront6targetE1EEEvT1_ ; -- Begin function _ZN7rocprim17ROCPRIM_400000_NS6detail17trampoline_kernelINS0_14default_configENS1_25partition_config_selectorILNS1_17partition_subalgoE1ExNS0_10empty_typeEbEEZZNS1_14partition_implILS5_1ELb0ES3_jN6thrust23THRUST_200600_302600_NS6detail15normal_iteratorINSA_10device_ptrIxEEEEPS6_NSA_18transform_iteratorI7is_evenIxESF_NSA_11use_defaultESK_EENS0_5tupleIJNSA_16discard_iteratorISK_EESO_EEENSM_IJSG_SG_EEES6_PlJS6_EEE10hipError_tPvRmT3_T4_T5_T6_T7_T9_mT8_P12ihipStream_tbDpT10_ENKUlT_T0_E_clISt17integral_constantIbLb0EES1A_IbLb1EEEEDaS16_S17_EUlS16_E_NS1_11comp_targetILNS1_3genE8ELNS1_11target_archE1030ELNS1_3gpuE2ELNS1_3repE0EEENS1_30default_config_static_selectorELNS0_4arch9wavefront6targetE1EEEvT1_
	.globl	_ZN7rocprim17ROCPRIM_400000_NS6detail17trampoline_kernelINS0_14default_configENS1_25partition_config_selectorILNS1_17partition_subalgoE1ExNS0_10empty_typeEbEEZZNS1_14partition_implILS5_1ELb0ES3_jN6thrust23THRUST_200600_302600_NS6detail15normal_iteratorINSA_10device_ptrIxEEEEPS6_NSA_18transform_iteratorI7is_evenIxESF_NSA_11use_defaultESK_EENS0_5tupleIJNSA_16discard_iteratorISK_EESO_EEENSM_IJSG_SG_EEES6_PlJS6_EEE10hipError_tPvRmT3_T4_T5_T6_T7_T9_mT8_P12ihipStream_tbDpT10_ENKUlT_T0_E_clISt17integral_constantIbLb0EES1A_IbLb1EEEEDaS16_S17_EUlS16_E_NS1_11comp_targetILNS1_3genE8ELNS1_11target_archE1030ELNS1_3gpuE2ELNS1_3repE0EEENS1_30default_config_static_selectorELNS0_4arch9wavefront6targetE1EEEvT1_
	.p2align	8
	.type	_ZN7rocprim17ROCPRIM_400000_NS6detail17trampoline_kernelINS0_14default_configENS1_25partition_config_selectorILNS1_17partition_subalgoE1ExNS0_10empty_typeEbEEZZNS1_14partition_implILS5_1ELb0ES3_jN6thrust23THRUST_200600_302600_NS6detail15normal_iteratorINSA_10device_ptrIxEEEEPS6_NSA_18transform_iteratorI7is_evenIxESF_NSA_11use_defaultESK_EENS0_5tupleIJNSA_16discard_iteratorISK_EESO_EEENSM_IJSG_SG_EEES6_PlJS6_EEE10hipError_tPvRmT3_T4_T5_T6_T7_T9_mT8_P12ihipStream_tbDpT10_ENKUlT_T0_E_clISt17integral_constantIbLb0EES1A_IbLb1EEEEDaS16_S17_EUlS16_E_NS1_11comp_targetILNS1_3genE8ELNS1_11target_archE1030ELNS1_3gpuE2ELNS1_3repE0EEENS1_30default_config_static_selectorELNS0_4arch9wavefront6targetE1EEEvT1_,@function
_ZN7rocprim17ROCPRIM_400000_NS6detail17trampoline_kernelINS0_14default_configENS1_25partition_config_selectorILNS1_17partition_subalgoE1ExNS0_10empty_typeEbEEZZNS1_14partition_implILS5_1ELb0ES3_jN6thrust23THRUST_200600_302600_NS6detail15normal_iteratorINSA_10device_ptrIxEEEEPS6_NSA_18transform_iteratorI7is_evenIxESF_NSA_11use_defaultESK_EENS0_5tupleIJNSA_16discard_iteratorISK_EESO_EEENSM_IJSG_SG_EEES6_PlJS6_EEE10hipError_tPvRmT3_T4_T5_T6_T7_T9_mT8_P12ihipStream_tbDpT10_ENKUlT_T0_E_clISt17integral_constantIbLb0EES1A_IbLb1EEEEDaS16_S17_EUlS16_E_NS1_11comp_targetILNS1_3genE8ELNS1_11target_archE1030ELNS1_3gpuE2ELNS1_3repE0EEENS1_30default_config_static_selectorELNS0_4arch9wavefront6targetE1EEEvT1_: ; @_ZN7rocprim17ROCPRIM_400000_NS6detail17trampoline_kernelINS0_14default_configENS1_25partition_config_selectorILNS1_17partition_subalgoE1ExNS0_10empty_typeEbEEZZNS1_14partition_implILS5_1ELb0ES3_jN6thrust23THRUST_200600_302600_NS6detail15normal_iteratorINSA_10device_ptrIxEEEEPS6_NSA_18transform_iteratorI7is_evenIxESF_NSA_11use_defaultESK_EENS0_5tupleIJNSA_16discard_iteratorISK_EESO_EEENSM_IJSG_SG_EEES6_PlJS6_EEE10hipError_tPvRmT3_T4_T5_T6_T7_T9_mT8_P12ihipStream_tbDpT10_ENKUlT_T0_E_clISt17integral_constantIbLb0EES1A_IbLb1EEEEDaS16_S17_EUlS16_E_NS1_11comp_targetILNS1_3genE8ELNS1_11target_archE1030ELNS1_3gpuE2ELNS1_3repE0EEENS1_30default_config_static_selectorELNS0_4arch9wavefront6targetE1EEEvT1_
; %bb.0:
	.section	.rodata,"a",@progbits
	.p2align	6, 0x0
	.amdhsa_kernel _ZN7rocprim17ROCPRIM_400000_NS6detail17trampoline_kernelINS0_14default_configENS1_25partition_config_selectorILNS1_17partition_subalgoE1ExNS0_10empty_typeEbEEZZNS1_14partition_implILS5_1ELb0ES3_jN6thrust23THRUST_200600_302600_NS6detail15normal_iteratorINSA_10device_ptrIxEEEEPS6_NSA_18transform_iteratorI7is_evenIxESF_NSA_11use_defaultESK_EENS0_5tupleIJNSA_16discard_iteratorISK_EESO_EEENSM_IJSG_SG_EEES6_PlJS6_EEE10hipError_tPvRmT3_T4_T5_T6_T7_T9_mT8_P12ihipStream_tbDpT10_ENKUlT_T0_E_clISt17integral_constantIbLb0EES1A_IbLb1EEEEDaS16_S17_EUlS16_E_NS1_11comp_targetILNS1_3genE8ELNS1_11target_archE1030ELNS1_3gpuE2ELNS1_3repE0EEENS1_30default_config_static_selectorELNS0_4arch9wavefront6targetE1EEEvT1_
		.amdhsa_group_segment_fixed_size 0
		.amdhsa_private_segment_fixed_size 0
		.amdhsa_kernarg_size 160
		.amdhsa_user_sgpr_count 6
		.amdhsa_user_sgpr_private_segment_buffer 1
		.amdhsa_user_sgpr_dispatch_ptr 0
		.amdhsa_user_sgpr_queue_ptr 0
		.amdhsa_user_sgpr_kernarg_segment_ptr 1
		.amdhsa_user_sgpr_dispatch_id 0
		.amdhsa_user_sgpr_flat_scratch_init 0
		.amdhsa_user_sgpr_kernarg_preload_length 0
		.amdhsa_user_sgpr_kernarg_preload_offset 0
		.amdhsa_user_sgpr_private_segment_size 0
		.amdhsa_uses_dynamic_stack 0
		.amdhsa_system_sgpr_private_segment_wavefront_offset 0
		.amdhsa_system_sgpr_workgroup_id_x 1
		.amdhsa_system_sgpr_workgroup_id_y 0
		.amdhsa_system_sgpr_workgroup_id_z 0
		.amdhsa_system_sgpr_workgroup_info 0
		.amdhsa_system_vgpr_workitem_id 0
		.amdhsa_next_free_vgpr 1
		.amdhsa_next_free_sgpr 0
		.amdhsa_accum_offset 4
		.amdhsa_reserve_vcc 0
		.amdhsa_reserve_flat_scratch 0
		.amdhsa_float_round_mode_32 0
		.amdhsa_float_round_mode_16_64 0
		.amdhsa_float_denorm_mode_32 3
		.amdhsa_float_denorm_mode_16_64 3
		.amdhsa_dx10_clamp 1
		.amdhsa_ieee_mode 1
		.amdhsa_fp16_overflow 0
		.amdhsa_tg_split 0
		.amdhsa_exception_fp_ieee_invalid_op 0
		.amdhsa_exception_fp_denorm_src 0
		.amdhsa_exception_fp_ieee_div_zero 0
		.amdhsa_exception_fp_ieee_overflow 0
		.amdhsa_exception_fp_ieee_underflow 0
		.amdhsa_exception_fp_ieee_inexact 0
		.amdhsa_exception_int_div_zero 0
	.end_amdhsa_kernel
	.section	.text._ZN7rocprim17ROCPRIM_400000_NS6detail17trampoline_kernelINS0_14default_configENS1_25partition_config_selectorILNS1_17partition_subalgoE1ExNS0_10empty_typeEbEEZZNS1_14partition_implILS5_1ELb0ES3_jN6thrust23THRUST_200600_302600_NS6detail15normal_iteratorINSA_10device_ptrIxEEEEPS6_NSA_18transform_iteratorI7is_evenIxESF_NSA_11use_defaultESK_EENS0_5tupleIJNSA_16discard_iteratorISK_EESO_EEENSM_IJSG_SG_EEES6_PlJS6_EEE10hipError_tPvRmT3_T4_T5_T6_T7_T9_mT8_P12ihipStream_tbDpT10_ENKUlT_T0_E_clISt17integral_constantIbLb0EES1A_IbLb1EEEEDaS16_S17_EUlS16_E_NS1_11comp_targetILNS1_3genE8ELNS1_11target_archE1030ELNS1_3gpuE2ELNS1_3repE0EEENS1_30default_config_static_selectorELNS0_4arch9wavefront6targetE1EEEvT1_,"axG",@progbits,_ZN7rocprim17ROCPRIM_400000_NS6detail17trampoline_kernelINS0_14default_configENS1_25partition_config_selectorILNS1_17partition_subalgoE1ExNS0_10empty_typeEbEEZZNS1_14partition_implILS5_1ELb0ES3_jN6thrust23THRUST_200600_302600_NS6detail15normal_iteratorINSA_10device_ptrIxEEEEPS6_NSA_18transform_iteratorI7is_evenIxESF_NSA_11use_defaultESK_EENS0_5tupleIJNSA_16discard_iteratorISK_EESO_EEENSM_IJSG_SG_EEES6_PlJS6_EEE10hipError_tPvRmT3_T4_T5_T6_T7_T9_mT8_P12ihipStream_tbDpT10_ENKUlT_T0_E_clISt17integral_constantIbLb0EES1A_IbLb1EEEEDaS16_S17_EUlS16_E_NS1_11comp_targetILNS1_3genE8ELNS1_11target_archE1030ELNS1_3gpuE2ELNS1_3repE0EEENS1_30default_config_static_selectorELNS0_4arch9wavefront6targetE1EEEvT1_,comdat
.Lfunc_end3194:
	.size	_ZN7rocprim17ROCPRIM_400000_NS6detail17trampoline_kernelINS0_14default_configENS1_25partition_config_selectorILNS1_17partition_subalgoE1ExNS0_10empty_typeEbEEZZNS1_14partition_implILS5_1ELb0ES3_jN6thrust23THRUST_200600_302600_NS6detail15normal_iteratorINSA_10device_ptrIxEEEEPS6_NSA_18transform_iteratorI7is_evenIxESF_NSA_11use_defaultESK_EENS0_5tupleIJNSA_16discard_iteratorISK_EESO_EEENSM_IJSG_SG_EEES6_PlJS6_EEE10hipError_tPvRmT3_T4_T5_T6_T7_T9_mT8_P12ihipStream_tbDpT10_ENKUlT_T0_E_clISt17integral_constantIbLb0EES1A_IbLb1EEEEDaS16_S17_EUlS16_E_NS1_11comp_targetILNS1_3genE8ELNS1_11target_archE1030ELNS1_3gpuE2ELNS1_3repE0EEENS1_30default_config_static_selectorELNS0_4arch9wavefront6targetE1EEEvT1_, .Lfunc_end3194-_ZN7rocprim17ROCPRIM_400000_NS6detail17trampoline_kernelINS0_14default_configENS1_25partition_config_selectorILNS1_17partition_subalgoE1ExNS0_10empty_typeEbEEZZNS1_14partition_implILS5_1ELb0ES3_jN6thrust23THRUST_200600_302600_NS6detail15normal_iteratorINSA_10device_ptrIxEEEEPS6_NSA_18transform_iteratorI7is_evenIxESF_NSA_11use_defaultESK_EENS0_5tupleIJNSA_16discard_iteratorISK_EESO_EEENSM_IJSG_SG_EEES6_PlJS6_EEE10hipError_tPvRmT3_T4_T5_T6_T7_T9_mT8_P12ihipStream_tbDpT10_ENKUlT_T0_E_clISt17integral_constantIbLb0EES1A_IbLb1EEEEDaS16_S17_EUlS16_E_NS1_11comp_targetILNS1_3genE8ELNS1_11target_archE1030ELNS1_3gpuE2ELNS1_3repE0EEENS1_30default_config_static_selectorELNS0_4arch9wavefront6targetE1EEEvT1_
                                        ; -- End function
	.section	.AMDGPU.csdata,"",@progbits
; Kernel info:
; codeLenInByte = 0
; NumSgprs: 4
; NumVgprs: 0
; NumAgprs: 0
; TotalNumVgprs: 0
; ScratchSize: 0
; MemoryBound: 0
; FloatMode: 240
; IeeeMode: 1
; LDSByteSize: 0 bytes/workgroup (compile time only)
; SGPRBlocks: 0
; VGPRBlocks: 0
; NumSGPRsForWavesPerEU: 4
; NumVGPRsForWavesPerEU: 1
; AccumOffset: 4
; Occupancy: 8
; WaveLimiterHint : 0
; COMPUTE_PGM_RSRC2:SCRATCH_EN: 0
; COMPUTE_PGM_RSRC2:USER_SGPR: 6
; COMPUTE_PGM_RSRC2:TRAP_HANDLER: 0
; COMPUTE_PGM_RSRC2:TGID_X_EN: 1
; COMPUTE_PGM_RSRC2:TGID_Y_EN: 0
; COMPUTE_PGM_RSRC2:TGID_Z_EN: 0
; COMPUTE_PGM_RSRC2:TIDIG_COMP_CNT: 0
; COMPUTE_PGM_RSRC3_GFX90A:ACCUM_OFFSET: 0
; COMPUTE_PGM_RSRC3_GFX90A:TG_SPLIT: 0
	.section	.text._ZN7rocprim17ROCPRIM_400000_NS6detail17trampoline_kernelINS0_14default_configENS1_25partition_config_selectorILNS1_17partition_subalgoE1ExNS0_10empty_typeEbEEZZNS1_14partition_implILS5_1ELb0ES3_jN6thrust23THRUST_200600_302600_NS6detail15normal_iteratorINSA_10device_ptrIxEEEEPS6_NSA_18transform_iteratorI7is_evenIxESF_NSA_11use_defaultESK_EENS0_5tupleIJSF_NSA_16discard_iteratorISK_EEEEENSM_IJSG_SG_EEES6_PlJS6_EEE10hipError_tPvRmT3_T4_T5_T6_T7_T9_mT8_P12ihipStream_tbDpT10_ENKUlT_T0_E_clISt17integral_constantIbLb0EES1B_EEDaS16_S17_EUlS16_E_NS1_11comp_targetILNS1_3genE0ELNS1_11target_archE4294967295ELNS1_3gpuE0ELNS1_3repE0EEENS1_30default_config_static_selectorELNS0_4arch9wavefront6targetE1EEEvT1_,"axG",@progbits,_ZN7rocprim17ROCPRIM_400000_NS6detail17trampoline_kernelINS0_14default_configENS1_25partition_config_selectorILNS1_17partition_subalgoE1ExNS0_10empty_typeEbEEZZNS1_14partition_implILS5_1ELb0ES3_jN6thrust23THRUST_200600_302600_NS6detail15normal_iteratorINSA_10device_ptrIxEEEEPS6_NSA_18transform_iteratorI7is_evenIxESF_NSA_11use_defaultESK_EENS0_5tupleIJSF_NSA_16discard_iteratorISK_EEEEENSM_IJSG_SG_EEES6_PlJS6_EEE10hipError_tPvRmT3_T4_T5_T6_T7_T9_mT8_P12ihipStream_tbDpT10_ENKUlT_T0_E_clISt17integral_constantIbLb0EES1B_EEDaS16_S17_EUlS16_E_NS1_11comp_targetILNS1_3genE0ELNS1_11target_archE4294967295ELNS1_3gpuE0ELNS1_3repE0EEENS1_30default_config_static_selectorELNS0_4arch9wavefront6targetE1EEEvT1_,comdat
	.protected	_ZN7rocprim17ROCPRIM_400000_NS6detail17trampoline_kernelINS0_14default_configENS1_25partition_config_selectorILNS1_17partition_subalgoE1ExNS0_10empty_typeEbEEZZNS1_14partition_implILS5_1ELb0ES3_jN6thrust23THRUST_200600_302600_NS6detail15normal_iteratorINSA_10device_ptrIxEEEEPS6_NSA_18transform_iteratorI7is_evenIxESF_NSA_11use_defaultESK_EENS0_5tupleIJSF_NSA_16discard_iteratorISK_EEEEENSM_IJSG_SG_EEES6_PlJS6_EEE10hipError_tPvRmT3_T4_T5_T6_T7_T9_mT8_P12ihipStream_tbDpT10_ENKUlT_T0_E_clISt17integral_constantIbLb0EES1B_EEDaS16_S17_EUlS16_E_NS1_11comp_targetILNS1_3genE0ELNS1_11target_archE4294967295ELNS1_3gpuE0ELNS1_3repE0EEENS1_30default_config_static_selectorELNS0_4arch9wavefront6targetE1EEEvT1_ ; -- Begin function _ZN7rocprim17ROCPRIM_400000_NS6detail17trampoline_kernelINS0_14default_configENS1_25partition_config_selectorILNS1_17partition_subalgoE1ExNS0_10empty_typeEbEEZZNS1_14partition_implILS5_1ELb0ES3_jN6thrust23THRUST_200600_302600_NS6detail15normal_iteratorINSA_10device_ptrIxEEEEPS6_NSA_18transform_iteratorI7is_evenIxESF_NSA_11use_defaultESK_EENS0_5tupleIJSF_NSA_16discard_iteratorISK_EEEEENSM_IJSG_SG_EEES6_PlJS6_EEE10hipError_tPvRmT3_T4_T5_T6_T7_T9_mT8_P12ihipStream_tbDpT10_ENKUlT_T0_E_clISt17integral_constantIbLb0EES1B_EEDaS16_S17_EUlS16_E_NS1_11comp_targetILNS1_3genE0ELNS1_11target_archE4294967295ELNS1_3gpuE0ELNS1_3repE0EEENS1_30default_config_static_selectorELNS0_4arch9wavefront6targetE1EEEvT1_
	.globl	_ZN7rocprim17ROCPRIM_400000_NS6detail17trampoline_kernelINS0_14default_configENS1_25partition_config_selectorILNS1_17partition_subalgoE1ExNS0_10empty_typeEbEEZZNS1_14partition_implILS5_1ELb0ES3_jN6thrust23THRUST_200600_302600_NS6detail15normal_iteratorINSA_10device_ptrIxEEEEPS6_NSA_18transform_iteratorI7is_evenIxESF_NSA_11use_defaultESK_EENS0_5tupleIJSF_NSA_16discard_iteratorISK_EEEEENSM_IJSG_SG_EEES6_PlJS6_EEE10hipError_tPvRmT3_T4_T5_T6_T7_T9_mT8_P12ihipStream_tbDpT10_ENKUlT_T0_E_clISt17integral_constantIbLb0EES1B_EEDaS16_S17_EUlS16_E_NS1_11comp_targetILNS1_3genE0ELNS1_11target_archE4294967295ELNS1_3gpuE0ELNS1_3repE0EEENS1_30default_config_static_selectorELNS0_4arch9wavefront6targetE1EEEvT1_
	.p2align	8
	.type	_ZN7rocprim17ROCPRIM_400000_NS6detail17trampoline_kernelINS0_14default_configENS1_25partition_config_selectorILNS1_17partition_subalgoE1ExNS0_10empty_typeEbEEZZNS1_14partition_implILS5_1ELb0ES3_jN6thrust23THRUST_200600_302600_NS6detail15normal_iteratorINSA_10device_ptrIxEEEEPS6_NSA_18transform_iteratorI7is_evenIxESF_NSA_11use_defaultESK_EENS0_5tupleIJSF_NSA_16discard_iteratorISK_EEEEENSM_IJSG_SG_EEES6_PlJS6_EEE10hipError_tPvRmT3_T4_T5_T6_T7_T9_mT8_P12ihipStream_tbDpT10_ENKUlT_T0_E_clISt17integral_constantIbLb0EES1B_EEDaS16_S17_EUlS16_E_NS1_11comp_targetILNS1_3genE0ELNS1_11target_archE4294967295ELNS1_3gpuE0ELNS1_3repE0EEENS1_30default_config_static_selectorELNS0_4arch9wavefront6targetE1EEEvT1_,@function
_ZN7rocprim17ROCPRIM_400000_NS6detail17trampoline_kernelINS0_14default_configENS1_25partition_config_selectorILNS1_17partition_subalgoE1ExNS0_10empty_typeEbEEZZNS1_14partition_implILS5_1ELb0ES3_jN6thrust23THRUST_200600_302600_NS6detail15normal_iteratorINSA_10device_ptrIxEEEEPS6_NSA_18transform_iteratorI7is_evenIxESF_NSA_11use_defaultESK_EENS0_5tupleIJSF_NSA_16discard_iteratorISK_EEEEENSM_IJSG_SG_EEES6_PlJS6_EEE10hipError_tPvRmT3_T4_T5_T6_T7_T9_mT8_P12ihipStream_tbDpT10_ENKUlT_T0_E_clISt17integral_constantIbLb0EES1B_EEDaS16_S17_EUlS16_E_NS1_11comp_targetILNS1_3genE0ELNS1_11target_archE4294967295ELNS1_3gpuE0ELNS1_3repE0EEENS1_30default_config_static_selectorELNS0_4arch9wavefront6targetE1EEEvT1_: ; @_ZN7rocprim17ROCPRIM_400000_NS6detail17trampoline_kernelINS0_14default_configENS1_25partition_config_selectorILNS1_17partition_subalgoE1ExNS0_10empty_typeEbEEZZNS1_14partition_implILS5_1ELb0ES3_jN6thrust23THRUST_200600_302600_NS6detail15normal_iteratorINSA_10device_ptrIxEEEEPS6_NSA_18transform_iteratorI7is_evenIxESF_NSA_11use_defaultESK_EENS0_5tupleIJSF_NSA_16discard_iteratorISK_EEEEENSM_IJSG_SG_EEES6_PlJS6_EEE10hipError_tPvRmT3_T4_T5_T6_T7_T9_mT8_P12ihipStream_tbDpT10_ENKUlT_T0_E_clISt17integral_constantIbLb0EES1B_EEDaS16_S17_EUlS16_E_NS1_11comp_targetILNS1_3genE0ELNS1_11target_archE4294967295ELNS1_3gpuE0ELNS1_3repE0EEENS1_30default_config_static_selectorELNS0_4arch9wavefront6targetE1EEEvT1_
; %bb.0:
	.section	.rodata,"a",@progbits
	.p2align	6, 0x0
	.amdhsa_kernel _ZN7rocprim17ROCPRIM_400000_NS6detail17trampoline_kernelINS0_14default_configENS1_25partition_config_selectorILNS1_17partition_subalgoE1ExNS0_10empty_typeEbEEZZNS1_14partition_implILS5_1ELb0ES3_jN6thrust23THRUST_200600_302600_NS6detail15normal_iteratorINSA_10device_ptrIxEEEEPS6_NSA_18transform_iteratorI7is_evenIxESF_NSA_11use_defaultESK_EENS0_5tupleIJSF_NSA_16discard_iteratorISK_EEEEENSM_IJSG_SG_EEES6_PlJS6_EEE10hipError_tPvRmT3_T4_T5_T6_T7_T9_mT8_P12ihipStream_tbDpT10_ENKUlT_T0_E_clISt17integral_constantIbLb0EES1B_EEDaS16_S17_EUlS16_E_NS1_11comp_targetILNS1_3genE0ELNS1_11target_archE4294967295ELNS1_3gpuE0ELNS1_3repE0EEENS1_30default_config_static_selectorELNS0_4arch9wavefront6targetE1EEEvT1_
		.amdhsa_group_segment_fixed_size 0
		.amdhsa_private_segment_fixed_size 0
		.amdhsa_kernarg_size 136
		.amdhsa_user_sgpr_count 6
		.amdhsa_user_sgpr_private_segment_buffer 1
		.amdhsa_user_sgpr_dispatch_ptr 0
		.amdhsa_user_sgpr_queue_ptr 0
		.amdhsa_user_sgpr_kernarg_segment_ptr 1
		.amdhsa_user_sgpr_dispatch_id 0
		.amdhsa_user_sgpr_flat_scratch_init 0
		.amdhsa_user_sgpr_kernarg_preload_length 0
		.amdhsa_user_sgpr_kernarg_preload_offset 0
		.amdhsa_user_sgpr_private_segment_size 0
		.amdhsa_uses_dynamic_stack 0
		.amdhsa_system_sgpr_private_segment_wavefront_offset 0
		.amdhsa_system_sgpr_workgroup_id_x 1
		.amdhsa_system_sgpr_workgroup_id_y 0
		.amdhsa_system_sgpr_workgroup_id_z 0
		.amdhsa_system_sgpr_workgroup_info 0
		.amdhsa_system_vgpr_workitem_id 0
		.amdhsa_next_free_vgpr 1
		.amdhsa_next_free_sgpr 0
		.amdhsa_accum_offset 4
		.amdhsa_reserve_vcc 0
		.amdhsa_reserve_flat_scratch 0
		.amdhsa_float_round_mode_32 0
		.amdhsa_float_round_mode_16_64 0
		.amdhsa_float_denorm_mode_32 3
		.amdhsa_float_denorm_mode_16_64 3
		.amdhsa_dx10_clamp 1
		.amdhsa_ieee_mode 1
		.amdhsa_fp16_overflow 0
		.amdhsa_tg_split 0
		.amdhsa_exception_fp_ieee_invalid_op 0
		.amdhsa_exception_fp_denorm_src 0
		.amdhsa_exception_fp_ieee_div_zero 0
		.amdhsa_exception_fp_ieee_overflow 0
		.amdhsa_exception_fp_ieee_underflow 0
		.amdhsa_exception_fp_ieee_inexact 0
		.amdhsa_exception_int_div_zero 0
	.end_amdhsa_kernel
	.section	.text._ZN7rocprim17ROCPRIM_400000_NS6detail17trampoline_kernelINS0_14default_configENS1_25partition_config_selectorILNS1_17partition_subalgoE1ExNS0_10empty_typeEbEEZZNS1_14partition_implILS5_1ELb0ES3_jN6thrust23THRUST_200600_302600_NS6detail15normal_iteratorINSA_10device_ptrIxEEEEPS6_NSA_18transform_iteratorI7is_evenIxESF_NSA_11use_defaultESK_EENS0_5tupleIJSF_NSA_16discard_iteratorISK_EEEEENSM_IJSG_SG_EEES6_PlJS6_EEE10hipError_tPvRmT3_T4_T5_T6_T7_T9_mT8_P12ihipStream_tbDpT10_ENKUlT_T0_E_clISt17integral_constantIbLb0EES1B_EEDaS16_S17_EUlS16_E_NS1_11comp_targetILNS1_3genE0ELNS1_11target_archE4294967295ELNS1_3gpuE0ELNS1_3repE0EEENS1_30default_config_static_selectorELNS0_4arch9wavefront6targetE1EEEvT1_,"axG",@progbits,_ZN7rocprim17ROCPRIM_400000_NS6detail17trampoline_kernelINS0_14default_configENS1_25partition_config_selectorILNS1_17partition_subalgoE1ExNS0_10empty_typeEbEEZZNS1_14partition_implILS5_1ELb0ES3_jN6thrust23THRUST_200600_302600_NS6detail15normal_iteratorINSA_10device_ptrIxEEEEPS6_NSA_18transform_iteratorI7is_evenIxESF_NSA_11use_defaultESK_EENS0_5tupleIJSF_NSA_16discard_iteratorISK_EEEEENSM_IJSG_SG_EEES6_PlJS6_EEE10hipError_tPvRmT3_T4_T5_T6_T7_T9_mT8_P12ihipStream_tbDpT10_ENKUlT_T0_E_clISt17integral_constantIbLb0EES1B_EEDaS16_S17_EUlS16_E_NS1_11comp_targetILNS1_3genE0ELNS1_11target_archE4294967295ELNS1_3gpuE0ELNS1_3repE0EEENS1_30default_config_static_selectorELNS0_4arch9wavefront6targetE1EEEvT1_,comdat
.Lfunc_end3195:
	.size	_ZN7rocprim17ROCPRIM_400000_NS6detail17trampoline_kernelINS0_14default_configENS1_25partition_config_selectorILNS1_17partition_subalgoE1ExNS0_10empty_typeEbEEZZNS1_14partition_implILS5_1ELb0ES3_jN6thrust23THRUST_200600_302600_NS6detail15normal_iteratorINSA_10device_ptrIxEEEEPS6_NSA_18transform_iteratorI7is_evenIxESF_NSA_11use_defaultESK_EENS0_5tupleIJSF_NSA_16discard_iteratorISK_EEEEENSM_IJSG_SG_EEES6_PlJS6_EEE10hipError_tPvRmT3_T4_T5_T6_T7_T9_mT8_P12ihipStream_tbDpT10_ENKUlT_T0_E_clISt17integral_constantIbLb0EES1B_EEDaS16_S17_EUlS16_E_NS1_11comp_targetILNS1_3genE0ELNS1_11target_archE4294967295ELNS1_3gpuE0ELNS1_3repE0EEENS1_30default_config_static_selectorELNS0_4arch9wavefront6targetE1EEEvT1_, .Lfunc_end3195-_ZN7rocprim17ROCPRIM_400000_NS6detail17trampoline_kernelINS0_14default_configENS1_25partition_config_selectorILNS1_17partition_subalgoE1ExNS0_10empty_typeEbEEZZNS1_14partition_implILS5_1ELb0ES3_jN6thrust23THRUST_200600_302600_NS6detail15normal_iteratorINSA_10device_ptrIxEEEEPS6_NSA_18transform_iteratorI7is_evenIxESF_NSA_11use_defaultESK_EENS0_5tupleIJSF_NSA_16discard_iteratorISK_EEEEENSM_IJSG_SG_EEES6_PlJS6_EEE10hipError_tPvRmT3_T4_T5_T6_T7_T9_mT8_P12ihipStream_tbDpT10_ENKUlT_T0_E_clISt17integral_constantIbLb0EES1B_EEDaS16_S17_EUlS16_E_NS1_11comp_targetILNS1_3genE0ELNS1_11target_archE4294967295ELNS1_3gpuE0ELNS1_3repE0EEENS1_30default_config_static_selectorELNS0_4arch9wavefront6targetE1EEEvT1_
                                        ; -- End function
	.section	.AMDGPU.csdata,"",@progbits
; Kernel info:
; codeLenInByte = 0
; NumSgprs: 4
; NumVgprs: 0
; NumAgprs: 0
; TotalNumVgprs: 0
; ScratchSize: 0
; MemoryBound: 0
; FloatMode: 240
; IeeeMode: 1
; LDSByteSize: 0 bytes/workgroup (compile time only)
; SGPRBlocks: 0
; VGPRBlocks: 0
; NumSGPRsForWavesPerEU: 4
; NumVGPRsForWavesPerEU: 1
; AccumOffset: 4
; Occupancy: 8
; WaveLimiterHint : 0
; COMPUTE_PGM_RSRC2:SCRATCH_EN: 0
; COMPUTE_PGM_RSRC2:USER_SGPR: 6
; COMPUTE_PGM_RSRC2:TRAP_HANDLER: 0
; COMPUTE_PGM_RSRC2:TGID_X_EN: 1
; COMPUTE_PGM_RSRC2:TGID_Y_EN: 0
; COMPUTE_PGM_RSRC2:TGID_Z_EN: 0
; COMPUTE_PGM_RSRC2:TIDIG_COMP_CNT: 0
; COMPUTE_PGM_RSRC3_GFX90A:ACCUM_OFFSET: 0
; COMPUTE_PGM_RSRC3_GFX90A:TG_SPLIT: 0
	.section	.text._ZN7rocprim17ROCPRIM_400000_NS6detail17trampoline_kernelINS0_14default_configENS1_25partition_config_selectorILNS1_17partition_subalgoE1ExNS0_10empty_typeEbEEZZNS1_14partition_implILS5_1ELb0ES3_jN6thrust23THRUST_200600_302600_NS6detail15normal_iteratorINSA_10device_ptrIxEEEEPS6_NSA_18transform_iteratorI7is_evenIxESF_NSA_11use_defaultESK_EENS0_5tupleIJSF_NSA_16discard_iteratorISK_EEEEENSM_IJSG_SG_EEES6_PlJS6_EEE10hipError_tPvRmT3_T4_T5_T6_T7_T9_mT8_P12ihipStream_tbDpT10_ENKUlT_T0_E_clISt17integral_constantIbLb0EES1B_EEDaS16_S17_EUlS16_E_NS1_11comp_targetILNS1_3genE5ELNS1_11target_archE942ELNS1_3gpuE9ELNS1_3repE0EEENS1_30default_config_static_selectorELNS0_4arch9wavefront6targetE1EEEvT1_,"axG",@progbits,_ZN7rocprim17ROCPRIM_400000_NS6detail17trampoline_kernelINS0_14default_configENS1_25partition_config_selectorILNS1_17partition_subalgoE1ExNS0_10empty_typeEbEEZZNS1_14partition_implILS5_1ELb0ES3_jN6thrust23THRUST_200600_302600_NS6detail15normal_iteratorINSA_10device_ptrIxEEEEPS6_NSA_18transform_iteratorI7is_evenIxESF_NSA_11use_defaultESK_EENS0_5tupleIJSF_NSA_16discard_iteratorISK_EEEEENSM_IJSG_SG_EEES6_PlJS6_EEE10hipError_tPvRmT3_T4_T5_T6_T7_T9_mT8_P12ihipStream_tbDpT10_ENKUlT_T0_E_clISt17integral_constantIbLb0EES1B_EEDaS16_S17_EUlS16_E_NS1_11comp_targetILNS1_3genE5ELNS1_11target_archE942ELNS1_3gpuE9ELNS1_3repE0EEENS1_30default_config_static_selectorELNS0_4arch9wavefront6targetE1EEEvT1_,comdat
	.protected	_ZN7rocprim17ROCPRIM_400000_NS6detail17trampoline_kernelINS0_14default_configENS1_25partition_config_selectorILNS1_17partition_subalgoE1ExNS0_10empty_typeEbEEZZNS1_14partition_implILS5_1ELb0ES3_jN6thrust23THRUST_200600_302600_NS6detail15normal_iteratorINSA_10device_ptrIxEEEEPS6_NSA_18transform_iteratorI7is_evenIxESF_NSA_11use_defaultESK_EENS0_5tupleIJSF_NSA_16discard_iteratorISK_EEEEENSM_IJSG_SG_EEES6_PlJS6_EEE10hipError_tPvRmT3_T4_T5_T6_T7_T9_mT8_P12ihipStream_tbDpT10_ENKUlT_T0_E_clISt17integral_constantIbLb0EES1B_EEDaS16_S17_EUlS16_E_NS1_11comp_targetILNS1_3genE5ELNS1_11target_archE942ELNS1_3gpuE9ELNS1_3repE0EEENS1_30default_config_static_selectorELNS0_4arch9wavefront6targetE1EEEvT1_ ; -- Begin function _ZN7rocprim17ROCPRIM_400000_NS6detail17trampoline_kernelINS0_14default_configENS1_25partition_config_selectorILNS1_17partition_subalgoE1ExNS0_10empty_typeEbEEZZNS1_14partition_implILS5_1ELb0ES3_jN6thrust23THRUST_200600_302600_NS6detail15normal_iteratorINSA_10device_ptrIxEEEEPS6_NSA_18transform_iteratorI7is_evenIxESF_NSA_11use_defaultESK_EENS0_5tupleIJSF_NSA_16discard_iteratorISK_EEEEENSM_IJSG_SG_EEES6_PlJS6_EEE10hipError_tPvRmT3_T4_T5_T6_T7_T9_mT8_P12ihipStream_tbDpT10_ENKUlT_T0_E_clISt17integral_constantIbLb0EES1B_EEDaS16_S17_EUlS16_E_NS1_11comp_targetILNS1_3genE5ELNS1_11target_archE942ELNS1_3gpuE9ELNS1_3repE0EEENS1_30default_config_static_selectorELNS0_4arch9wavefront6targetE1EEEvT1_
	.globl	_ZN7rocprim17ROCPRIM_400000_NS6detail17trampoline_kernelINS0_14default_configENS1_25partition_config_selectorILNS1_17partition_subalgoE1ExNS0_10empty_typeEbEEZZNS1_14partition_implILS5_1ELb0ES3_jN6thrust23THRUST_200600_302600_NS6detail15normal_iteratorINSA_10device_ptrIxEEEEPS6_NSA_18transform_iteratorI7is_evenIxESF_NSA_11use_defaultESK_EENS0_5tupleIJSF_NSA_16discard_iteratorISK_EEEEENSM_IJSG_SG_EEES6_PlJS6_EEE10hipError_tPvRmT3_T4_T5_T6_T7_T9_mT8_P12ihipStream_tbDpT10_ENKUlT_T0_E_clISt17integral_constantIbLb0EES1B_EEDaS16_S17_EUlS16_E_NS1_11comp_targetILNS1_3genE5ELNS1_11target_archE942ELNS1_3gpuE9ELNS1_3repE0EEENS1_30default_config_static_selectorELNS0_4arch9wavefront6targetE1EEEvT1_
	.p2align	8
	.type	_ZN7rocprim17ROCPRIM_400000_NS6detail17trampoline_kernelINS0_14default_configENS1_25partition_config_selectorILNS1_17partition_subalgoE1ExNS0_10empty_typeEbEEZZNS1_14partition_implILS5_1ELb0ES3_jN6thrust23THRUST_200600_302600_NS6detail15normal_iteratorINSA_10device_ptrIxEEEEPS6_NSA_18transform_iteratorI7is_evenIxESF_NSA_11use_defaultESK_EENS0_5tupleIJSF_NSA_16discard_iteratorISK_EEEEENSM_IJSG_SG_EEES6_PlJS6_EEE10hipError_tPvRmT3_T4_T5_T6_T7_T9_mT8_P12ihipStream_tbDpT10_ENKUlT_T0_E_clISt17integral_constantIbLb0EES1B_EEDaS16_S17_EUlS16_E_NS1_11comp_targetILNS1_3genE5ELNS1_11target_archE942ELNS1_3gpuE9ELNS1_3repE0EEENS1_30default_config_static_selectorELNS0_4arch9wavefront6targetE1EEEvT1_,@function
_ZN7rocprim17ROCPRIM_400000_NS6detail17trampoline_kernelINS0_14default_configENS1_25partition_config_selectorILNS1_17partition_subalgoE1ExNS0_10empty_typeEbEEZZNS1_14partition_implILS5_1ELb0ES3_jN6thrust23THRUST_200600_302600_NS6detail15normal_iteratorINSA_10device_ptrIxEEEEPS6_NSA_18transform_iteratorI7is_evenIxESF_NSA_11use_defaultESK_EENS0_5tupleIJSF_NSA_16discard_iteratorISK_EEEEENSM_IJSG_SG_EEES6_PlJS6_EEE10hipError_tPvRmT3_T4_T5_T6_T7_T9_mT8_P12ihipStream_tbDpT10_ENKUlT_T0_E_clISt17integral_constantIbLb0EES1B_EEDaS16_S17_EUlS16_E_NS1_11comp_targetILNS1_3genE5ELNS1_11target_archE942ELNS1_3gpuE9ELNS1_3repE0EEENS1_30default_config_static_selectorELNS0_4arch9wavefront6targetE1EEEvT1_: ; @_ZN7rocprim17ROCPRIM_400000_NS6detail17trampoline_kernelINS0_14default_configENS1_25partition_config_selectorILNS1_17partition_subalgoE1ExNS0_10empty_typeEbEEZZNS1_14partition_implILS5_1ELb0ES3_jN6thrust23THRUST_200600_302600_NS6detail15normal_iteratorINSA_10device_ptrIxEEEEPS6_NSA_18transform_iteratorI7is_evenIxESF_NSA_11use_defaultESK_EENS0_5tupleIJSF_NSA_16discard_iteratorISK_EEEEENSM_IJSG_SG_EEES6_PlJS6_EEE10hipError_tPvRmT3_T4_T5_T6_T7_T9_mT8_P12ihipStream_tbDpT10_ENKUlT_T0_E_clISt17integral_constantIbLb0EES1B_EEDaS16_S17_EUlS16_E_NS1_11comp_targetILNS1_3genE5ELNS1_11target_archE942ELNS1_3gpuE9ELNS1_3repE0EEENS1_30default_config_static_selectorELNS0_4arch9wavefront6targetE1EEEvT1_
; %bb.0:
	.section	.rodata,"a",@progbits
	.p2align	6, 0x0
	.amdhsa_kernel _ZN7rocprim17ROCPRIM_400000_NS6detail17trampoline_kernelINS0_14default_configENS1_25partition_config_selectorILNS1_17partition_subalgoE1ExNS0_10empty_typeEbEEZZNS1_14partition_implILS5_1ELb0ES3_jN6thrust23THRUST_200600_302600_NS6detail15normal_iteratorINSA_10device_ptrIxEEEEPS6_NSA_18transform_iteratorI7is_evenIxESF_NSA_11use_defaultESK_EENS0_5tupleIJSF_NSA_16discard_iteratorISK_EEEEENSM_IJSG_SG_EEES6_PlJS6_EEE10hipError_tPvRmT3_T4_T5_T6_T7_T9_mT8_P12ihipStream_tbDpT10_ENKUlT_T0_E_clISt17integral_constantIbLb0EES1B_EEDaS16_S17_EUlS16_E_NS1_11comp_targetILNS1_3genE5ELNS1_11target_archE942ELNS1_3gpuE9ELNS1_3repE0EEENS1_30default_config_static_selectorELNS0_4arch9wavefront6targetE1EEEvT1_
		.amdhsa_group_segment_fixed_size 0
		.amdhsa_private_segment_fixed_size 0
		.amdhsa_kernarg_size 136
		.amdhsa_user_sgpr_count 6
		.amdhsa_user_sgpr_private_segment_buffer 1
		.amdhsa_user_sgpr_dispatch_ptr 0
		.amdhsa_user_sgpr_queue_ptr 0
		.amdhsa_user_sgpr_kernarg_segment_ptr 1
		.amdhsa_user_sgpr_dispatch_id 0
		.amdhsa_user_sgpr_flat_scratch_init 0
		.amdhsa_user_sgpr_kernarg_preload_length 0
		.amdhsa_user_sgpr_kernarg_preload_offset 0
		.amdhsa_user_sgpr_private_segment_size 0
		.amdhsa_uses_dynamic_stack 0
		.amdhsa_system_sgpr_private_segment_wavefront_offset 0
		.amdhsa_system_sgpr_workgroup_id_x 1
		.amdhsa_system_sgpr_workgroup_id_y 0
		.amdhsa_system_sgpr_workgroup_id_z 0
		.amdhsa_system_sgpr_workgroup_info 0
		.amdhsa_system_vgpr_workitem_id 0
		.amdhsa_next_free_vgpr 1
		.amdhsa_next_free_sgpr 0
		.amdhsa_accum_offset 4
		.amdhsa_reserve_vcc 0
		.amdhsa_reserve_flat_scratch 0
		.amdhsa_float_round_mode_32 0
		.amdhsa_float_round_mode_16_64 0
		.amdhsa_float_denorm_mode_32 3
		.amdhsa_float_denorm_mode_16_64 3
		.amdhsa_dx10_clamp 1
		.amdhsa_ieee_mode 1
		.amdhsa_fp16_overflow 0
		.amdhsa_tg_split 0
		.amdhsa_exception_fp_ieee_invalid_op 0
		.amdhsa_exception_fp_denorm_src 0
		.amdhsa_exception_fp_ieee_div_zero 0
		.amdhsa_exception_fp_ieee_overflow 0
		.amdhsa_exception_fp_ieee_underflow 0
		.amdhsa_exception_fp_ieee_inexact 0
		.amdhsa_exception_int_div_zero 0
	.end_amdhsa_kernel
	.section	.text._ZN7rocprim17ROCPRIM_400000_NS6detail17trampoline_kernelINS0_14default_configENS1_25partition_config_selectorILNS1_17partition_subalgoE1ExNS0_10empty_typeEbEEZZNS1_14partition_implILS5_1ELb0ES3_jN6thrust23THRUST_200600_302600_NS6detail15normal_iteratorINSA_10device_ptrIxEEEEPS6_NSA_18transform_iteratorI7is_evenIxESF_NSA_11use_defaultESK_EENS0_5tupleIJSF_NSA_16discard_iteratorISK_EEEEENSM_IJSG_SG_EEES6_PlJS6_EEE10hipError_tPvRmT3_T4_T5_T6_T7_T9_mT8_P12ihipStream_tbDpT10_ENKUlT_T0_E_clISt17integral_constantIbLb0EES1B_EEDaS16_S17_EUlS16_E_NS1_11comp_targetILNS1_3genE5ELNS1_11target_archE942ELNS1_3gpuE9ELNS1_3repE0EEENS1_30default_config_static_selectorELNS0_4arch9wavefront6targetE1EEEvT1_,"axG",@progbits,_ZN7rocprim17ROCPRIM_400000_NS6detail17trampoline_kernelINS0_14default_configENS1_25partition_config_selectorILNS1_17partition_subalgoE1ExNS0_10empty_typeEbEEZZNS1_14partition_implILS5_1ELb0ES3_jN6thrust23THRUST_200600_302600_NS6detail15normal_iteratorINSA_10device_ptrIxEEEEPS6_NSA_18transform_iteratorI7is_evenIxESF_NSA_11use_defaultESK_EENS0_5tupleIJSF_NSA_16discard_iteratorISK_EEEEENSM_IJSG_SG_EEES6_PlJS6_EEE10hipError_tPvRmT3_T4_T5_T6_T7_T9_mT8_P12ihipStream_tbDpT10_ENKUlT_T0_E_clISt17integral_constantIbLb0EES1B_EEDaS16_S17_EUlS16_E_NS1_11comp_targetILNS1_3genE5ELNS1_11target_archE942ELNS1_3gpuE9ELNS1_3repE0EEENS1_30default_config_static_selectorELNS0_4arch9wavefront6targetE1EEEvT1_,comdat
.Lfunc_end3196:
	.size	_ZN7rocprim17ROCPRIM_400000_NS6detail17trampoline_kernelINS0_14default_configENS1_25partition_config_selectorILNS1_17partition_subalgoE1ExNS0_10empty_typeEbEEZZNS1_14partition_implILS5_1ELb0ES3_jN6thrust23THRUST_200600_302600_NS6detail15normal_iteratorINSA_10device_ptrIxEEEEPS6_NSA_18transform_iteratorI7is_evenIxESF_NSA_11use_defaultESK_EENS0_5tupleIJSF_NSA_16discard_iteratorISK_EEEEENSM_IJSG_SG_EEES6_PlJS6_EEE10hipError_tPvRmT3_T4_T5_T6_T7_T9_mT8_P12ihipStream_tbDpT10_ENKUlT_T0_E_clISt17integral_constantIbLb0EES1B_EEDaS16_S17_EUlS16_E_NS1_11comp_targetILNS1_3genE5ELNS1_11target_archE942ELNS1_3gpuE9ELNS1_3repE0EEENS1_30default_config_static_selectorELNS0_4arch9wavefront6targetE1EEEvT1_, .Lfunc_end3196-_ZN7rocprim17ROCPRIM_400000_NS6detail17trampoline_kernelINS0_14default_configENS1_25partition_config_selectorILNS1_17partition_subalgoE1ExNS0_10empty_typeEbEEZZNS1_14partition_implILS5_1ELb0ES3_jN6thrust23THRUST_200600_302600_NS6detail15normal_iteratorINSA_10device_ptrIxEEEEPS6_NSA_18transform_iteratorI7is_evenIxESF_NSA_11use_defaultESK_EENS0_5tupleIJSF_NSA_16discard_iteratorISK_EEEEENSM_IJSG_SG_EEES6_PlJS6_EEE10hipError_tPvRmT3_T4_T5_T6_T7_T9_mT8_P12ihipStream_tbDpT10_ENKUlT_T0_E_clISt17integral_constantIbLb0EES1B_EEDaS16_S17_EUlS16_E_NS1_11comp_targetILNS1_3genE5ELNS1_11target_archE942ELNS1_3gpuE9ELNS1_3repE0EEENS1_30default_config_static_selectorELNS0_4arch9wavefront6targetE1EEEvT1_
                                        ; -- End function
	.section	.AMDGPU.csdata,"",@progbits
; Kernel info:
; codeLenInByte = 0
; NumSgprs: 4
; NumVgprs: 0
; NumAgprs: 0
; TotalNumVgprs: 0
; ScratchSize: 0
; MemoryBound: 0
; FloatMode: 240
; IeeeMode: 1
; LDSByteSize: 0 bytes/workgroup (compile time only)
; SGPRBlocks: 0
; VGPRBlocks: 0
; NumSGPRsForWavesPerEU: 4
; NumVGPRsForWavesPerEU: 1
; AccumOffset: 4
; Occupancy: 8
; WaveLimiterHint : 0
; COMPUTE_PGM_RSRC2:SCRATCH_EN: 0
; COMPUTE_PGM_RSRC2:USER_SGPR: 6
; COMPUTE_PGM_RSRC2:TRAP_HANDLER: 0
; COMPUTE_PGM_RSRC2:TGID_X_EN: 1
; COMPUTE_PGM_RSRC2:TGID_Y_EN: 0
; COMPUTE_PGM_RSRC2:TGID_Z_EN: 0
; COMPUTE_PGM_RSRC2:TIDIG_COMP_CNT: 0
; COMPUTE_PGM_RSRC3_GFX90A:ACCUM_OFFSET: 0
; COMPUTE_PGM_RSRC3_GFX90A:TG_SPLIT: 0
	.section	.text._ZN7rocprim17ROCPRIM_400000_NS6detail17trampoline_kernelINS0_14default_configENS1_25partition_config_selectorILNS1_17partition_subalgoE1ExNS0_10empty_typeEbEEZZNS1_14partition_implILS5_1ELb0ES3_jN6thrust23THRUST_200600_302600_NS6detail15normal_iteratorINSA_10device_ptrIxEEEEPS6_NSA_18transform_iteratorI7is_evenIxESF_NSA_11use_defaultESK_EENS0_5tupleIJSF_NSA_16discard_iteratorISK_EEEEENSM_IJSG_SG_EEES6_PlJS6_EEE10hipError_tPvRmT3_T4_T5_T6_T7_T9_mT8_P12ihipStream_tbDpT10_ENKUlT_T0_E_clISt17integral_constantIbLb0EES1B_EEDaS16_S17_EUlS16_E_NS1_11comp_targetILNS1_3genE4ELNS1_11target_archE910ELNS1_3gpuE8ELNS1_3repE0EEENS1_30default_config_static_selectorELNS0_4arch9wavefront6targetE1EEEvT1_,"axG",@progbits,_ZN7rocprim17ROCPRIM_400000_NS6detail17trampoline_kernelINS0_14default_configENS1_25partition_config_selectorILNS1_17partition_subalgoE1ExNS0_10empty_typeEbEEZZNS1_14partition_implILS5_1ELb0ES3_jN6thrust23THRUST_200600_302600_NS6detail15normal_iteratorINSA_10device_ptrIxEEEEPS6_NSA_18transform_iteratorI7is_evenIxESF_NSA_11use_defaultESK_EENS0_5tupleIJSF_NSA_16discard_iteratorISK_EEEEENSM_IJSG_SG_EEES6_PlJS6_EEE10hipError_tPvRmT3_T4_T5_T6_T7_T9_mT8_P12ihipStream_tbDpT10_ENKUlT_T0_E_clISt17integral_constantIbLb0EES1B_EEDaS16_S17_EUlS16_E_NS1_11comp_targetILNS1_3genE4ELNS1_11target_archE910ELNS1_3gpuE8ELNS1_3repE0EEENS1_30default_config_static_selectorELNS0_4arch9wavefront6targetE1EEEvT1_,comdat
	.protected	_ZN7rocprim17ROCPRIM_400000_NS6detail17trampoline_kernelINS0_14default_configENS1_25partition_config_selectorILNS1_17partition_subalgoE1ExNS0_10empty_typeEbEEZZNS1_14partition_implILS5_1ELb0ES3_jN6thrust23THRUST_200600_302600_NS6detail15normal_iteratorINSA_10device_ptrIxEEEEPS6_NSA_18transform_iteratorI7is_evenIxESF_NSA_11use_defaultESK_EENS0_5tupleIJSF_NSA_16discard_iteratorISK_EEEEENSM_IJSG_SG_EEES6_PlJS6_EEE10hipError_tPvRmT3_T4_T5_T6_T7_T9_mT8_P12ihipStream_tbDpT10_ENKUlT_T0_E_clISt17integral_constantIbLb0EES1B_EEDaS16_S17_EUlS16_E_NS1_11comp_targetILNS1_3genE4ELNS1_11target_archE910ELNS1_3gpuE8ELNS1_3repE0EEENS1_30default_config_static_selectorELNS0_4arch9wavefront6targetE1EEEvT1_ ; -- Begin function _ZN7rocprim17ROCPRIM_400000_NS6detail17trampoline_kernelINS0_14default_configENS1_25partition_config_selectorILNS1_17partition_subalgoE1ExNS0_10empty_typeEbEEZZNS1_14partition_implILS5_1ELb0ES3_jN6thrust23THRUST_200600_302600_NS6detail15normal_iteratorINSA_10device_ptrIxEEEEPS6_NSA_18transform_iteratorI7is_evenIxESF_NSA_11use_defaultESK_EENS0_5tupleIJSF_NSA_16discard_iteratorISK_EEEEENSM_IJSG_SG_EEES6_PlJS6_EEE10hipError_tPvRmT3_T4_T5_T6_T7_T9_mT8_P12ihipStream_tbDpT10_ENKUlT_T0_E_clISt17integral_constantIbLb0EES1B_EEDaS16_S17_EUlS16_E_NS1_11comp_targetILNS1_3genE4ELNS1_11target_archE910ELNS1_3gpuE8ELNS1_3repE0EEENS1_30default_config_static_selectorELNS0_4arch9wavefront6targetE1EEEvT1_
	.globl	_ZN7rocprim17ROCPRIM_400000_NS6detail17trampoline_kernelINS0_14default_configENS1_25partition_config_selectorILNS1_17partition_subalgoE1ExNS0_10empty_typeEbEEZZNS1_14partition_implILS5_1ELb0ES3_jN6thrust23THRUST_200600_302600_NS6detail15normal_iteratorINSA_10device_ptrIxEEEEPS6_NSA_18transform_iteratorI7is_evenIxESF_NSA_11use_defaultESK_EENS0_5tupleIJSF_NSA_16discard_iteratorISK_EEEEENSM_IJSG_SG_EEES6_PlJS6_EEE10hipError_tPvRmT3_T4_T5_T6_T7_T9_mT8_P12ihipStream_tbDpT10_ENKUlT_T0_E_clISt17integral_constantIbLb0EES1B_EEDaS16_S17_EUlS16_E_NS1_11comp_targetILNS1_3genE4ELNS1_11target_archE910ELNS1_3gpuE8ELNS1_3repE0EEENS1_30default_config_static_selectorELNS0_4arch9wavefront6targetE1EEEvT1_
	.p2align	8
	.type	_ZN7rocprim17ROCPRIM_400000_NS6detail17trampoline_kernelINS0_14default_configENS1_25partition_config_selectorILNS1_17partition_subalgoE1ExNS0_10empty_typeEbEEZZNS1_14partition_implILS5_1ELb0ES3_jN6thrust23THRUST_200600_302600_NS6detail15normal_iteratorINSA_10device_ptrIxEEEEPS6_NSA_18transform_iteratorI7is_evenIxESF_NSA_11use_defaultESK_EENS0_5tupleIJSF_NSA_16discard_iteratorISK_EEEEENSM_IJSG_SG_EEES6_PlJS6_EEE10hipError_tPvRmT3_T4_T5_T6_T7_T9_mT8_P12ihipStream_tbDpT10_ENKUlT_T0_E_clISt17integral_constantIbLb0EES1B_EEDaS16_S17_EUlS16_E_NS1_11comp_targetILNS1_3genE4ELNS1_11target_archE910ELNS1_3gpuE8ELNS1_3repE0EEENS1_30default_config_static_selectorELNS0_4arch9wavefront6targetE1EEEvT1_,@function
_ZN7rocprim17ROCPRIM_400000_NS6detail17trampoline_kernelINS0_14default_configENS1_25partition_config_selectorILNS1_17partition_subalgoE1ExNS0_10empty_typeEbEEZZNS1_14partition_implILS5_1ELb0ES3_jN6thrust23THRUST_200600_302600_NS6detail15normal_iteratorINSA_10device_ptrIxEEEEPS6_NSA_18transform_iteratorI7is_evenIxESF_NSA_11use_defaultESK_EENS0_5tupleIJSF_NSA_16discard_iteratorISK_EEEEENSM_IJSG_SG_EEES6_PlJS6_EEE10hipError_tPvRmT3_T4_T5_T6_T7_T9_mT8_P12ihipStream_tbDpT10_ENKUlT_T0_E_clISt17integral_constantIbLb0EES1B_EEDaS16_S17_EUlS16_E_NS1_11comp_targetILNS1_3genE4ELNS1_11target_archE910ELNS1_3gpuE8ELNS1_3repE0EEENS1_30default_config_static_selectorELNS0_4arch9wavefront6targetE1EEEvT1_: ; @_ZN7rocprim17ROCPRIM_400000_NS6detail17trampoline_kernelINS0_14default_configENS1_25partition_config_selectorILNS1_17partition_subalgoE1ExNS0_10empty_typeEbEEZZNS1_14partition_implILS5_1ELb0ES3_jN6thrust23THRUST_200600_302600_NS6detail15normal_iteratorINSA_10device_ptrIxEEEEPS6_NSA_18transform_iteratorI7is_evenIxESF_NSA_11use_defaultESK_EENS0_5tupleIJSF_NSA_16discard_iteratorISK_EEEEENSM_IJSG_SG_EEES6_PlJS6_EEE10hipError_tPvRmT3_T4_T5_T6_T7_T9_mT8_P12ihipStream_tbDpT10_ENKUlT_T0_E_clISt17integral_constantIbLb0EES1B_EEDaS16_S17_EUlS16_E_NS1_11comp_targetILNS1_3genE4ELNS1_11target_archE910ELNS1_3gpuE8ELNS1_3repE0EEENS1_30default_config_static_selectorELNS0_4arch9wavefront6targetE1EEEvT1_
; %bb.0:
	s_load_dwordx2 s[0:1], s[4:5], 0x68
	s_load_dwordx4 s[12:15], s[4:5], 0x8
	s_load_dwordx2 s[2:3], s[4:5], 0x20
	s_load_dwordx4 s[20:23], s[4:5], 0x58
	s_mul_i32 s10, s6, 0x300
	s_waitcnt lgkmcnt(0)
	v_mov_b32_e32 v3, s1
	s_load_dword s1, s[4:5], 0x80
	s_lshl_b64 s[8:9], s[14:15], 3
	s_add_u32 s7, s12, s8
	s_addc_u32 s12, s13, s9
	v_mov_b32_e32 v2, s0
	s_waitcnt lgkmcnt(0)
	s_add_i32 s13, s1, -1
	s_mulk_i32 s1, 0x300
	s_add_i32 s11, s1, s14
	s_sub_i32 s33, s0, s11
	s_addk_i32 s33, 0x300
	s_add_u32 s0, s14, s1
	s_addc_u32 s1, s15, 0
	s_cmp_eq_u32 s6, s13
	s_load_dwordx2 s[22:23], s[22:23], 0x0
	s_cselect_b64 s[24:25], -1, 0
	s_cmp_lg_u32 s6, s13
	s_mov_b32 s11, 0
	v_cmp_lt_u64_e32 vcc, s[0:1], v[2:3]
	s_cselect_b64 s[0:1], -1, 0
	s_or_b64 s[26:27], s[0:1], vcc
	s_lshl_b64 s[10:11], s[10:11], 3
	s_add_u32 s7, s7, s10
	s_addc_u32 s14, s12, s11
	s_mov_b64 s[0:1], -1
	s_and_b64 vcc, exec, s[26:27]
	v_lshlrev_b32_e32 v1, 3, v0
	v_lshrrev_b32_e32 v10, 2, v0
	s_cbranch_vccz .LBB3197_2
; %bb.1:
	v_mov_b32_e32 v3, s14
	v_add_co_u32_e32 v2, vcc, s7, v1
	v_addc_co_u32_e32 v3, vcc, 0, v3, vcc
	v_add_co_u32_e32 v4, vcc, 0x1000, v2
	v_addc_co_u32_e32 v5, vcc, 0, v3, vcc
	flat_load_dwordx2 v[6:7], v[2:3]
	flat_load_dwordx2 v[8:9], v[2:3] offset:1536
	flat_load_dwordx2 v[12:13], v[2:3] offset:3072
	flat_load_dwordx2 v[14:15], v[4:5] offset:512
	v_add_u32_e32 v3, 0xc0, v0
	v_add_u32_e32 v4, 0x180, v0
	;; [unrolled: 1-line block ×3, first 2 shown]
	v_and_b32_e32 v2, 56, v10
	v_lshrrev_b32_e32 v3, 2, v3
	v_lshrrev_b32_e32 v4, 2, v4
	;; [unrolled: 1-line block ×3, first 2 shown]
	v_add_u32_e32 v2, v2, v1
	v_and_b32_e32 v3, 0x78, v3
	v_and_b32_e32 v4, 0xf8, v4
	;; [unrolled: 1-line block ×3, first 2 shown]
	v_add_u32_e32 v3, v3, v1
	v_add_u32_e32 v4, v4, v1
	;; [unrolled: 1-line block ×3, first 2 shown]
	s_mov_b64 s[0:1], 0
	s_waitcnt vmcnt(0) lgkmcnt(0)
	ds_write_b64 v2, v[6:7]
	ds_write_b64 v3, v[8:9] offset:1536
	ds_write_b64 v4, v[12:13] offset:3072
	;; [unrolled: 1-line block ×3, first 2 shown]
	s_waitcnt lgkmcnt(0)
	s_barrier
.LBB3197_2:
	s_andn2_b64 vcc, exec, s[0:1]
	v_cmp_gt_u32_e64 s[0:1], s33, v0
	s_cbranch_vccnz .LBB3197_12
; %bb.3:
                                        ; implicit-def: $vgpr2_vgpr3_vgpr4_vgpr5_vgpr6_vgpr7_vgpr8_vgpr9
	s_and_saveexec_b64 s[12:13], s[0:1]
	s_cbranch_execz .LBB3197_5
; %bb.4:
	v_mov_b32_e32 v3, s14
	v_add_co_u32_e32 v2, vcc, s7, v1
	v_addc_co_u32_e32 v3, vcc, 0, v3, vcc
	flat_load_dwordx2 v[2:3], v[2:3]
.LBB3197_5:
	s_or_b64 exec, exec, s[12:13]
	v_add_u32_e32 v11, 0xc0, v0
	v_cmp_gt_u32_e32 vcc, s33, v11
	s_and_saveexec_b64 s[0:1], vcc
	s_cbranch_execz .LBB3197_7
; %bb.6:
	v_mov_b32_e32 v5, s14
	v_add_co_u32_e32 v4, vcc, s7, v1
	v_addc_co_u32_e32 v5, vcc, 0, v5, vcc
	flat_load_dwordx2 v[4:5], v[4:5] offset:1536
.LBB3197_7:
	s_or_b64 exec, exec, s[0:1]
	v_add_u32_e32 v12, 0x180, v0
	v_cmp_gt_u32_e32 vcc, s33, v12
	s_and_saveexec_b64 s[0:1], vcc
	s_cbranch_execz .LBB3197_9
; %bb.8:
	v_mov_b32_e32 v7, s14
	v_add_co_u32_e32 v6, vcc, s7, v1
	v_addc_co_u32_e32 v7, vcc, 0, v7, vcc
	flat_load_dwordx2 v[6:7], v[6:7] offset:3072
.LBB3197_9:
	s_or_b64 exec, exec, s[0:1]
	v_add_u32_e32 v13, 0x240, v0
	v_cmp_gt_u32_e32 vcc, s33, v13
	s_and_saveexec_b64 s[0:1], vcc
	s_cbranch_execz .LBB3197_11
; %bb.10:
	v_lshlrev_b32_e32 v8, 3, v13
	v_mov_b32_e32 v9, s14
	v_add_co_u32_e32 v8, vcc, s7, v8
	v_addc_co_u32_e32 v9, vcc, 0, v9, vcc
	flat_load_dwordx2 v[8:9], v[8:9]
.LBB3197_11:
	s_or_b64 exec, exec, s[0:1]
	v_and_b32_e32 v10, 56, v10
	v_add_u32_e32 v10, v10, v1
	s_waitcnt vmcnt(0) lgkmcnt(0)
	ds_write_b64 v10, v[2:3]
	v_lshrrev_b32_e32 v2, 2, v11
	v_and_b32_e32 v2, 0x78, v2
	v_add_u32_e32 v2, v2, v1
	ds_write_b64 v2, v[4:5] offset:1536
	v_lshrrev_b32_e32 v2, 2, v12
	v_and_b32_e32 v2, 0xf8, v2
	v_add_u32_e32 v2, v2, v1
	ds_write_b64 v2, v[6:7] offset:3072
	;; [unrolled: 4-line block ×3, first 2 shown]
	s_waitcnt lgkmcnt(0)
	s_barrier
.LBB3197_12:
	v_lshlrev_b32_e32 v20, 2, v0
	v_lshrrev_b32_e32 v10, 3, v0
	v_add_lshl_u32 v2, v10, v20, 3
	s_waitcnt lgkmcnt(0)
	ds_read2_b64 v[6:9], v2 offset1:1
	ds_read2_b64 v[2:5], v2 offset0:2 offset1:3
	s_add_u32 s0, s2, s8
	s_addc_u32 s1, s3, s9
	s_add_u32 s0, s0, s10
	s_addc_u32 s1, s1, s11
	s_mov_b64 s[2:3], -1
	s_and_b64 vcc, exec, s[26:27]
	v_lshrrev_b32_e32 v11, 5, v0
	s_waitcnt lgkmcnt(0)
	s_barrier
	s_cbranch_vccz .LBB3197_14
; %bb.13:
	global_load_dwordx2 v[12:13], v1, s[0:1]
	global_load_dwordx2 v[14:15], v1, s[0:1] offset:1536
	global_load_dwordx2 v[16:17], v1, s[0:1] offset:3072
	v_mov_b32_e32 v18, s1
	s_waitcnt vmcnt(2)
	v_add_co_u32_e32 v13, vcc, s0, v1
	s_waitcnt vmcnt(1)
	v_addc_co_u32_e32 v15, vcc, 0, v18, vcc
	v_add_co_u32_e32 v18, vcc, 0x1000, v13
	v_addc_co_u32_e32 v19, vcc, 0, v15, vcc
	global_load_dwordx2 v[18:19], v[18:19], off offset:512
	v_add_u32_e32 v15, 0xc0, v0
	s_waitcnt vmcnt(1)
	v_add_u32_e32 v17, 0x180, v0
	v_and_b32_e32 v13, 4, v11
	s_waitcnt vmcnt(0)
	v_add_u32_e32 v19, 0x240, v0
	v_lshrrev_b32_e32 v15, 5, v15
	v_lshrrev_b32_e32 v17, 5, v17
	v_add_u32_e32 v13, v13, v0
	v_lshrrev_b32_e32 v19, 5, v19
	v_and_b32_e32 v15, 12, v15
	v_and_b32_e32 v17, 28, v17
	;; [unrolled: 1-line block ×3, first 2 shown]
	v_add_u32_e32 v15, v15, v0
	v_add_u32_e32 v17, v17, v0
	;; [unrolled: 1-line block ×3, first 2 shown]
	s_mov_b64 s[2:3], 0
	v_xor_b32_e32 v12, -1, v12
	v_xor_b32_e32 v14, -1, v14
	;; [unrolled: 1-line block ×3, first 2 shown]
	v_and_b32_e32 v12, 1, v12
	v_and_b32_e32 v14, 1, v14
	v_and_b32_e32 v16, 1, v16
	ds_write_b8 v13, v12
	ds_write_b8 v15, v14 offset:192
	ds_write_b8 v17, v16 offset:384
	v_xor_b32_e32 v12, -1, v18
	v_and_b32_e32 v12, 1, v12
	ds_write_b8 v19, v12 offset:576
	s_waitcnt lgkmcnt(0)
	s_barrier
.LBB3197_14:
	s_load_dwordx2 s[28:29], s[4:5], 0x78
	s_andn2_b64 vcc, exec, s[2:3]
	s_cbranch_vccnz .LBB3197_24
; %bb.15:
	v_cmp_gt_u32_e32 vcc, s33, v0
	v_mov_b32_e32 v12, 0
	v_mov_b32_e32 v13, 0
	s_and_saveexec_b64 s[2:3], vcc
	s_cbranch_execz .LBB3197_17
; %bb.16:
	global_load_dwordx2 v[14:15], v1, s[0:1]
	s_waitcnt vmcnt(0)
	v_xor_b32_e32 v13, -1, v14
	v_and_b32_e32 v13, 1, v13
.LBB3197_17:
	s_or_b64 exec, exec, s[2:3]
	v_add_u32_e32 v14, 0xc0, v0
	v_cmp_gt_u32_e32 vcc, s33, v14
	s_and_saveexec_b64 s[2:3], vcc
	s_cbranch_execz .LBB3197_19
; %bb.18:
	global_load_dwordx2 v[16:17], v1, s[0:1] offset:1536
	s_waitcnt vmcnt(0)
	v_xor_b32_e32 v12, -1, v16
	v_and_b32_e32 v12, 1, v12
.LBB3197_19:
	s_or_b64 exec, exec, s[2:3]
	v_add_u32_e32 v16, 0x180, v0
	v_cmp_gt_u32_e32 vcc, s33, v16
	v_mov_b32_e32 v15, 0
	v_mov_b32_e32 v17, 0
	s_and_saveexec_b64 s[2:3], vcc
	s_cbranch_execz .LBB3197_21
; %bb.20:
	global_load_dwordx2 v[18:19], v1, s[0:1] offset:3072
	s_waitcnt vmcnt(0)
	v_xor_b32_e32 v17, -1, v18
	v_and_b32_e32 v17, 1, v17
.LBB3197_21:
	s_or_b64 exec, exec, s[2:3]
	v_add_u32_e32 v18, 0x240, v0
	v_cmp_gt_u32_e32 vcc, s33, v18
	s_and_saveexec_b64 s[2:3], vcc
	s_cbranch_execz .LBB3197_23
; %bb.22:
	v_lshlrev_b32_e32 v15, 3, v18
	global_load_dwordx2 v[22:23], v15, s[0:1]
	s_waitcnt vmcnt(0)
	v_xor_b32_e32 v15, -1, v22
	v_and_b32_e32 v15, 1, v15
.LBB3197_23:
	s_or_b64 exec, exec, s[2:3]
	v_and_b32_e32 v11, 4, v11
	v_add_u32_e32 v11, v11, v0
	ds_write_b8 v11, v13
	v_lshrrev_b32_e32 v11, 5, v14
	v_and_b32_e32 v11, 12, v11
	v_add_u32_e32 v11, v11, v0
	ds_write_b8 v11, v12 offset:192
	v_lshrrev_b32_e32 v11, 5, v16
	v_and_b32_e32 v11, 28, v11
	v_add_u32_e32 v11, v11, v0
	ds_write_b8 v11, v17 offset:384
	v_lshrrev_b32_e32 v11, 5, v18
	v_and_b32_e32 v11, 28, v11
	v_add_u32_e32 v11, v11, v0
	ds_write_b8 v11, v15 offset:576
	s_waitcnt lgkmcnt(0)
	s_barrier
.LBB3197_24:
	v_and_b32_e32 v10, 28, v10
	v_add_u32_e32 v10, v10, v20
	s_waitcnt lgkmcnt(0)
	ds_read_b32 v22, v10
	s_cmp_lg_u32 s6, 0
	v_lshrrev_b32_e32 v25, 6, v0
	s_waitcnt lgkmcnt(0)
	s_barrier
	v_lshrrev_b32_e32 v21, 24, v22
	v_bfe_u32 v23, v22, 16, 8
	v_add_u32_sdwa v10, v22, v22 dst_sel:DWORD dst_unused:UNUSED_PAD src0_sel:BYTE_1 src1_sel:BYTE_0
	v_add3_u32 v26, v10, v23, v21
	v_mbcnt_lo_u32_b32 v10, -1, 0
	v_mbcnt_hi_u32_b32 v24, -1, v10
	v_and_b32_e32 v10, 15, v24
	v_cmp_eq_u32_e64 s[14:15], 0, v10
	v_cmp_lt_u32_e64 s[12:13], 1, v10
	v_cmp_lt_u32_e64 s[10:11], 3, v10
	;; [unrolled: 1-line block ×3, first 2 shown]
	v_and_b32_e32 v10, 16, v24
	v_cmp_eq_u32_e64 s[2:3], 0, v10
	v_and_b32_e32 v10, 0xc0, v0
	v_min_u32_e32 v10, 0x80, v10
	v_or_b32_e32 v10, 63, v10
	v_cmp_lt_u32_e64 s[0:1], 31, v24
	v_cmp_eq_u32_e64 s[18:19], v10, v0
	s_cbranch_scc0 .LBB3197_51
; %bb.25:
	v_mov_b32_dpp v10, v26 row_shr:1 row_mask:0xf bank_mask:0xf
	v_cndmask_b32_e64 v10, v10, 0, s[14:15]
	v_add_u32_e32 v10, v10, v26
	s_nop 1
	v_mov_b32_dpp v11, v10 row_shr:2 row_mask:0xf bank_mask:0xf
	v_cndmask_b32_e64 v11, 0, v11, s[12:13]
	v_add_u32_e32 v10, v10, v11
	s_nop 1
	;; [unrolled: 4-line block ×4, first 2 shown]
	v_mov_b32_dpp v11, v10 row_bcast:15 row_mask:0xf bank_mask:0xf
	v_cndmask_b32_e64 v11, v11, 0, s[2:3]
	v_add_u32_e32 v10, v10, v11
	s_nop 1
	v_mov_b32_dpp v11, v10 row_bcast:31 row_mask:0xf bank_mask:0xf
	v_cndmask_b32_e64 v11, 0, v11, s[0:1]
	v_add_u32_e32 v10, v10, v11
	s_and_saveexec_b64 s[16:17], s[18:19]
	s_cbranch_execz .LBB3197_27
; %bb.26:
	v_lshlrev_b32_e32 v11, 2, v25
	ds_write_b32 v11, v10
.LBB3197_27:
	s_or_b64 exec, exec, s[16:17]
	v_cmp_gt_u32_e32 vcc, 3, v0
	s_waitcnt lgkmcnt(0)
	s_barrier
	s_and_saveexec_b64 s[16:17], vcc
	s_cbranch_execz .LBB3197_29
; %bb.28:
	ds_read_b32 v11, v20
	v_and_b32_e32 v12, 3, v24
	v_cmp_ne_u32_e32 vcc, 0, v12
	s_waitcnt lgkmcnt(0)
	v_mov_b32_dpp v13, v11 row_shr:1 row_mask:0xf bank_mask:0xf
	v_cndmask_b32_e32 v13, 0, v13, vcc
	v_add_u32_e32 v11, v13, v11
	v_cmp_lt_u32_e32 vcc, 1, v12
	s_nop 0
	v_mov_b32_dpp v13, v11 row_shr:2 row_mask:0xf bank_mask:0xf
	v_cndmask_b32_e32 v12, 0, v13, vcc
	v_add_u32_e32 v11, v11, v12
	ds_write_b32 v20, v11
.LBB3197_29:
	s_or_b64 exec, exec, s[16:17]
	v_cmp_gt_u32_e32 vcc, 64, v0
	v_cmp_lt_u32_e64 s[16:17], 63, v0
	s_waitcnt lgkmcnt(0)
	s_barrier
	s_waitcnt lgkmcnt(0)
                                        ; implicit-def: $vgpr27
	s_and_saveexec_b64 s[30:31], s[16:17]
	s_cbranch_execz .LBB3197_31
; %bb.30:
	v_lshl_add_u32 v11, v25, 2, -4
	ds_read_b32 v27, v11
	s_waitcnt lgkmcnt(0)
	v_add_u32_e32 v10, v27, v10
.LBB3197_31:
	s_or_b64 exec, exec, s[30:31]
	v_add_u32_e32 v11, -1, v24
	v_and_b32_e32 v12, 64, v24
	v_cmp_lt_i32_e64 s[16:17], v11, v12
	v_cndmask_b32_e64 v11, v11, v24, s[16:17]
	v_lshlrev_b32_e32 v11, 2, v11
	ds_bpermute_b32 v28, v11, v10
	v_cmp_eq_u32_e64 s[16:17], 0, v24
	s_and_saveexec_b64 s[30:31], vcc
	s_cbranch_execz .LBB3197_50
; %bb.32:
	v_mov_b32_e32 v17, 0
	ds_read_b32 v10, v17 offset:8
	s_and_saveexec_b64 s[34:35], s[16:17]
	s_cbranch_execz .LBB3197_34
; %bb.33:
	s_add_i32 s36, s6, 64
	s_mov_b32 s37, 0
	s_lshl_b64 s[36:37], s[36:37], 3
	s_add_u32 s36, s28, s36
	v_mov_b32_e32 v11, 1
	s_addc_u32 s37, s29, s37
	s_waitcnt lgkmcnt(0)
	global_store_dwordx2 v17, v[10:11], s[36:37]
.LBB3197_34:
	s_or_b64 exec, exec, s[34:35]
	v_xad_u32 v12, v24, -1, s6
	v_add_u32_e32 v16, 64, v12
	v_lshlrev_b64 v[14:15], 3, v[16:17]
	v_mov_b32_e32 v11, s29
	v_add_co_u32_e32 v18, vcc, s28, v14
	v_addc_co_u32_e32 v19, vcc, v11, v15, vcc
	global_load_dwordx2 v[14:15], v[18:19], off glc
	s_waitcnt vmcnt(0)
	v_cmp_eq_u16_sdwa s[36:37], v15, v17 src0_sel:BYTE_0 src1_sel:DWORD
	s_and_saveexec_b64 s[34:35], s[36:37]
	s_cbranch_execz .LBB3197_38
; %bb.35:
	s_mov_b64 s[36:37], 0
	v_mov_b32_e32 v11, 0
.LBB3197_36:                            ; =>This Inner Loop Header: Depth=1
	global_load_dwordx2 v[14:15], v[18:19], off glc
	s_waitcnt vmcnt(0)
	v_cmp_ne_u16_sdwa s[38:39], v15, v11 src0_sel:BYTE_0 src1_sel:DWORD
	s_or_b64 s[36:37], s[38:39], s[36:37]
	s_andn2_b64 exec, exec, s[36:37]
	s_cbranch_execnz .LBB3197_36
; %bb.37:
	s_or_b64 exec, exec, s[36:37]
.LBB3197_38:
	s_or_b64 exec, exec, s[34:35]
	v_and_b32_e32 v30, 63, v24
	v_mov_b32_e32 v29, 2
	v_cmp_ne_u32_e32 vcc, 63, v30
	v_cmp_eq_u16_sdwa s[34:35], v15, v29 src0_sel:BYTE_0 src1_sel:DWORD
	v_lshlrev_b64 v[16:17], v24, -1
	v_addc_co_u32_e32 v18, vcc, 0, v24, vcc
	v_and_b32_e32 v11, s35, v17
	v_lshlrev_b32_e32 v31, 2, v18
	v_or_b32_e32 v11, 0x80000000, v11
	ds_bpermute_b32 v18, v31, v14
	v_and_b32_e32 v13, s34, v16
	v_ffbl_b32_e32 v11, v11
	v_add_u32_e32 v11, 32, v11
	v_ffbl_b32_e32 v13, v13
	v_min_u32_e32 v11, v13, v11
	v_cmp_lt_u32_e32 vcc, v30, v11
	s_waitcnt lgkmcnt(0)
	v_cndmask_b32_e32 v13, 0, v18, vcc
	v_cmp_gt_u32_e32 vcc, 62, v30
	v_add_u32_e32 v13, v13, v14
	v_cndmask_b32_e64 v14, 0, 1, vcc
	v_lshlrev_b32_e32 v14, 1, v14
	v_add_lshl_u32 v32, v14, v24, 2
	ds_bpermute_b32 v14, v32, v13
	v_add_u32_e32 v33, 2, v30
	v_cmp_le_u32_e32 vcc, v33, v11
	v_add_u32_e32 v35, 4, v30
	v_add_u32_e32 v37, 8, v30
	s_waitcnt lgkmcnt(0)
	v_cndmask_b32_e32 v14, 0, v14, vcc
	v_cmp_gt_u32_e32 vcc, 60, v30
	v_add_u32_e32 v13, v13, v14
	v_cndmask_b32_e64 v14, 0, 1, vcc
	v_lshlrev_b32_e32 v14, 2, v14
	v_add_lshl_u32 v34, v14, v24, 2
	ds_bpermute_b32 v14, v34, v13
	v_cmp_le_u32_e32 vcc, v35, v11
	v_add_u32_e32 v39, 16, v30
	v_add_u32_e32 v41, 32, v30
	s_waitcnt lgkmcnt(0)
	v_cndmask_b32_e32 v14, 0, v14, vcc
	v_cmp_gt_u32_e32 vcc, 56, v30
	v_add_u32_e32 v13, v13, v14
	v_cndmask_b32_e64 v14, 0, 1, vcc
	v_lshlrev_b32_e32 v14, 3, v14
	v_add_lshl_u32 v36, v14, v24, 2
	ds_bpermute_b32 v14, v36, v13
	v_cmp_le_u32_e32 vcc, v37, v11
	s_waitcnt lgkmcnt(0)
	v_cndmask_b32_e32 v14, 0, v14, vcc
	v_cmp_gt_u32_e32 vcc, 48, v30
	v_add_u32_e32 v13, v13, v14
	v_cndmask_b32_e64 v14, 0, 1, vcc
	v_lshlrev_b32_e32 v14, 4, v14
	v_add_lshl_u32 v38, v14, v24, 2
	ds_bpermute_b32 v14, v38, v13
	v_cmp_le_u32_e32 vcc, v39, v11
	;; [unrolled: 9-line block ×3, first 2 shown]
	s_waitcnt lgkmcnt(0)
	v_cndmask_b32_e32 v11, 0, v14, vcc
	v_add_u32_e32 v14, v13, v11
	v_mov_b32_e32 v13, 0
	s_branch .LBB3197_40
.LBB3197_39:                            ;   in Loop: Header=BB3197_40 Depth=1
	s_or_b64 exec, exec, s[34:35]
	v_cmp_eq_u16_sdwa s[34:35], v15, v29 src0_sel:BYTE_0 src1_sel:DWORD
	v_and_b32_e32 v18, s35, v17
	v_or_b32_e32 v18, 0x80000000, v18
	ds_bpermute_b32 v42, v31, v14
	v_and_b32_e32 v19, s34, v16
	v_ffbl_b32_e32 v18, v18
	v_add_u32_e32 v18, 32, v18
	v_ffbl_b32_e32 v19, v19
	v_min_u32_e32 v18, v19, v18
	v_cmp_lt_u32_e32 vcc, v30, v18
	s_waitcnt lgkmcnt(0)
	v_cndmask_b32_e32 v19, 0, v42, vcc
	v_add_u32_e32 v14, v19, v14
	ds_bpermute_b32 v19, v32, v14
	v_cmp_le_u32_e32 vcc, v33, v18
	v_subrev_u32_e32 v12, 64, v12
	s_waitcnt lgkmcnt(0)
	v_cndmask_b32_e32 v19, 0, v19, vcc
	v_add_u32_e32 v14, v14, v19
	ds_bpermute_b32 v19, v34, v14
	v_cmp_le_u32_e32 vcc, v35, v18
	s_waitcnt lgkmcnt(0)
	v_cndmask_b32_e32 v19, 0, v19, vcc
	v_add_u32_e32 v14, v14, v19
	ds_bpermute_b32 v19, v36, v14
	v_cmp_le_u32_e32 vcc, v37, v18
	;; [unrolled: 5-line block ×4, first 2 shown]
	s_waitcnt lgkmcnt(0)
	v_cndmask_b32_e32 v18, 0, v19, vcc
	v_add3_u32 v14, v18, v11, v14
.LBB3197_40:                            ; =>This Loop Header: Depth=1
                                        ;     Child Loop BB3197_43 Depth 2
	v_cmp_ne_u16_sdwa s[34:35], v15, v29 src0_sel:BYTE_0 src1_sel:DWORD
	v_cndmask_b32_e64 v11, 0, 1, s[34:35]
	;;#ASMSTART
	;;#ASMEND
	v_cmp_ne_u32_e32 vcc, 0, v11
	s_cmp_lg_u64 vcc, exec
	v_mov_b32_e32 v11, v14
	s_cbranch_scc1 .LBB3197_45
; %bb.41:                               ;   in Loop: Header=BB3197_40 Depth=1
	v_lshlrev_b64 v[14:15], 3, v[12:13]
	v_mov_b32_e32 v19, s29
	v_add_co_u32_e32 v18, vcc, s28, v14
	v_addc_co_u32_e32 v19, vcc, v19, v15, vcc
	global_load_dwordx2 v[14:15], v[18:19], off glc
	s_waitcnt vmcnt(0)
	v_cmp_eq_u16_sdwa s[36:37], v15, v13 src0_sel:BYTE_0 src1_sel:DWORD
	s_and_saveexec_b64 s[34:35], s[36:37]
	s_cbranch_execz .LBB3197_39
; %bb.42:                               ;   in Loop: Header=BB3197_40 Depth=1
	s_mov_b64 s[36:37], 0
.LBB3197_43:                            ;   Parent Loop BB3197_40 Depth=1
                                        ; =>  This Inner Loop Header: Depth=2
	global_load_dwordx2 v[14:15], v[18:19], off glc
	s_waitcnt vmcnt(0)
	v_cmp_ne_u16_sdwa s[38:39], v15, v13 src0_sel:BYTE_0 src1_sel:DWORD
	s_or_b64 s[36:37], s[38:39], s[36:37]
	s_andn2_b64 exec, exec, s[36:37]
	s_cbranch_execnz .LBB3197_43
; %bb.44:                               ;   in Loop: Header=BB3197_40 Depth=1
	s_or_b64 exec, exec, s[36:37]
	s_branch .LBB3197_39
.LBB3197_45:                            ;   in Loop: Header=BB3197_40 Depth=1
                                        ; implicit-def: $vgpr14
                                        ; implicit-def: $vgpr15
	s_cbranch_execz .LBB3197_40
; %bb.46:
	s_and_saveexec_b64 s[34:35], s[16:17]
	s_cbranch_execz .LBB3197_48
; %bb.47:
	s_add_i32 s6, s6, 64
	s_mov_b32 s7, 0
	s_lshl_b64 s[6:7], s[6:7], 3
	s_add_u32 s6, s28, s6
	v_add_u32_e32 v12, v11, v10
	v_mov_b32_e32 v13, 2
	s_addc_u32 s7, s29, s7
	v_mov_b32_e32 v14, 0
	global_store_dwordx2 v14, v[12:13], s[6:7]
	ds_write_b64 v14, v[10:11] offset:6336
.LBB3197_48:
	s_or_b64 exec, exec, s[34:35]
	v_cmp_eq_u32_e32 vcc, 0, v0
	s_and_b64 exec, exec, vcc
	s_cbranch_execz .LBB3197_50
; %bb.49:
	v_mov_b32_e32 v10, 0
	ds_write_b32 v10, v11 offset:8
.LBB3197_50:
	s_or_b64 exec, exec, s[30:31]
	v_mov_b32_e32 v10, 0
	s_waitcnt lgkmcnt(0)
	s_barrier
	ds_read_b32 v11, v10 offset:8
	v_cndmask_b32_e64 v12, v28, v27, s[16:17]
	v_cmp_ne_u32_e32 vcc, 0, v0
	v_cndmask_b32_e32 v12, 0, v12, vcc
	s_waitcnt lgkmcnt(0)
	v_add_u32_e32 v15, v11, v12
	s_barrier
	ds_read_b64 v[10:11], v10 offset:6336
	v_add_u32_sdwa v16, v15, v22 dst_sel:DWORD dst_unused:UNUSED_PAD src0_sel:DWORD src1_sel:BYTE_0
	v_add_u32_sdwa v14, v16, v22 dst_sel:DWORD dst_unused:UNUSED_PAD src0_sel:DWORD src1_sel:BYTE_1
	v_add_u32_e32 v13, v14, v23
	s_waitcnt lgkmcnt(0)
	v_mov_b32_e32 v12, v11
	s_load_dwordx2 s[4:5], s[4:5], 0x30
	s_branch .LBB3197_61
.LBB3197_51:
                                        ; implicit-def: $vgpr12
                                        ; implicit-def: $vgpr10
                                        ; implicit-def: $vgpr13
                                        ; implicit-def: $vgpr14
                                        ; implicit-def: $vgpr16
                                        ; implicit-def: $vgpr15
	s_load_dwordx2 s[4:5], s[4:5], 0x30
	s_cbranch_execz .LBB3197_61
; %bb.52:
	v_mov_b32_dpp v10, v26 row_shr:1 row_mask:0xf bank_mask:0xf
	v_cndmask_b32_e64 v10, v10, 0, s[14:15]
	v_add_u32_e32 v10, v10, v26
	s_nop 1
	v_mov_b32_dpp v11, v10 row_shr:2 row_mask:0xf bank_mask:0xf
	v_cndmask_b32_e64 v11, 0, v11, s[12:13]
	v_add_u32_e32 v10, v10, v11
	s_nop 1
	;; [unrolled: 4-line block ×4, first 2 shown]
	v_mov_b32_dpp v11, v10 row_bcast:15 row_mask:0xf bank_mask:0xf
	v_cndmask_b32_e64 v11, v11, 0, s[2:3]
	v_add_u32_e32 v10, v10, v11
	s_nop 1
	v_mov_b32_dpp v11, v10 row_bcast:31 row_mask:0xf bank_mask:0xf
	v_cndmask_b32_e64 v11, 0, v11, s[0:1]
	v_add_u32_e32 v10, v10, v11
	s_and_saveexec_b64 s[0:1], s[18:19]
	s_cbranch_execz .LBB3197_54
; %bb.53:
	v_lshlrev_b32_e32 v11, 2, v25
	ds_write_b32 v11, v10
.LBB3197_54:
	s_or_b64 exec, exec, s[0:1]
	v_cmp_gt_u32_e32 vcc, 3, v0
	s_waitcnt lgkmcnt(0)
	s_barrier
	s_and_saveexec_b64 s[0:1], vcc
	s_cbranch_execz .LBB3197_56
; %bb.55:
	ds_read_b32 v11, v20
	v_and_b32_e32 v12, 3, v24
	v_cmp_ne_u32_e32 vcc, 0, v12
	s_waitcnt lgkmcnt(0)
	v_mov_b32_dpp v13, v11 row_shr:1 row_mask:0xf bank_mask:0xf
	v_cndmask_b32_e32 v13, 0, v13, vcc
	v_add_u32_e32 v11, v13, v11
	v_cmp_lt_u32_e32 vcc, 1, v12
	s_nop 0
	v_mov_b32_dpp v13, v11 row_shr:2 row_mask:0xf bank_mask:0xf
	v_cndmask_b32_e32 v12, 0, v13, vcc
	v_add_u32_e32 v11, v11, v12
	ds_write_b32 v20, v11
.LBB3197_56:
	s_or_b64 exec, exec, s[0:1]
	v_cmp_lt_u32_e32 vcc, 63, v0
	v_mov_b32_e32 v11, 0
	v_mov_b32_e32 v12, 0
	s_waitcnt lgkmcnt(0)
	s_barrier
	s_and_saveexec_b64 s[0:1], vcc
	s_cbranch_execz .LBB3197_58
; %bb.57:
	v_lshl_add_u32 v12, v25, 2, -4
	ds_read_b32 v12, v12
.LBB3197_58:
	s_or_b64 exec, exec, s[0:1]
	v_add_u32_e32 v13, -1, v24
	v_and_b32_e32 v14, 64, v24
	v_cmp_lt_i32_e32 vcc, v13, v14
	v_cndmask_b32_e32 v13, v13, v24, vcc
	s_waitcnt lgkmcnt(0)
	v_add_u32_e32 v10, v12, v10
	v_lshlrev_b32_e32 v13, 2, v13
	ds_bpermute_b32 v13, v13, v10
	ds_read_b32 v10, v11 offset:8
	v_cmp_eq_u32_e32 vcc, 0, v0
	s_and_saveexec_b64 s[0:1], vcc
	s_cbranch_execz .LBB3197_60
; %bb.59:
	v_mov_b32_e32 v14, 0
	v_mov_b32_e32 v11, 2
	s_waitcnt lgkmcnt(0)
	global_store_dwordx2 v14, v[10:11], s[28:29] offset:512
.LBB3197_60:
	s_or_b64 exec, exec, s[0:1]
	v_cmp_eq_u32_e64 s[0:1], 0, v24
	s_waitcnt lgkmcnt(1)
	v_cndmask_b32_e64 v11, v13, v12, s[0:1]
	v_cndmask_b32_e64 v15, v11, 0, vcc
	v_add_u32_sdwa v16, v15, v22 dst_sel:DWORD dst_unused:UNUSED_PAD src0_sel:DWORD src1_sel:BYTE_0
	v_add_u32_sdwa v14, v16, v22 dst_sel:DWORD dst_unused:UNUSED_PAD src0_sel:DWORD src1_sel:BYTE_1
	v_mov_b32_e32 v12, 0
	v_add_u32_e32 v13, v14, v23
	s_waitcnt lgkmcnt(0)
	s_barrier
.LBB3197_61:
	v_add_u32_e32 v17, v10, v20
	v_sub_u32_e32 v15, v15, v12
	v_and_b32_e32 v19, 1, v22
	v_sub_u32_e32 v18, v17, v15
	v_cmp_eq_u32_e32 vcc, 1, v19
	v_cndmask_b32_e32 v15, v18, v15, vcc
	v_lshlrev_b32_e32 v15, 3, v15
	v_lshrrev_b32_e32 v11, 8, v22
	ds_write_b64 v15, v[6:7]
	v_sub_u32_e32 v6, v16, v12
	v_sub_u32_e32 v7, v17, v6
	v_and_b32_e32 v11, 1, v11
	v_add_u32_e32 v7, 1, v7
	v_cmp_eq_u32_e32 vcc, 1, v11
	v_cndmask_b32_e32 v6, v7, v6, vcc
	v_lshlrev_b32_e32 v6, 3, v6
	ds_write_b64 v6, v[8:9]
	v_sub_u32_e32 v6, v14, v12
	v_mov_b32_e32 v8, 1
	v_sub_u32_e32 v7, v17, v6
	v_and_b32_sdwa v8, v8, v22 dst_sel:DWORD dst_unused:UNUSED_PAD src0_sel:DWORD src1_sel:WORD_1
	v_add_u32_e32 v7, 2, v7
	v_cmp_eq_u32_e32 vcc, 1, v8
	v_cndmask_b32_e32 v6, v7, v6, vcc
	v_lshlrev_b32_e32 v6, 3, v6
	ds_write_b64 v6, v[2:3]
	v_sub_u32_e32 v2, v13, v12
	v_sub_u32_e32 v3, v17, v2
	v_and_b32_e32 v6, 1, v21
	v_add_u32_e32 v3, 3, v3
	v_cmp_eq_u32_e32 vcc, 1, v6
	v_cndmask_b32_e32 v2, v3, v2, vcc
	v_lshlrev_b32_e32 v2, 3, v2
	ds_write_b64 v2, v[4:5]
	s_waitcnt lgkmcnt(0)
	s_barrier
	ds_read2st64_b64 v[6:9], v1 offset1:3
	ds_read2st64_b64 v[2:5], v1 offset0:6 offset1:9
	v_add_u32_e32 v17, 0xc0, v0
	v_add_u32_e32 v16, 0x180, v0
	s_andn2_b64 vcc, exec, s[26:27]
	v_add_u32_e32 v11, 0x240, v0
	s_cbranch_vccnz .LBB3197_67
; %bb.62:
	s_lshl_b64 s[0:1], s[22:23], 3
	v_mov_b32_e32 v13, 0
	s_add_u32 s0, s4, s0
	s_addc_u32 s1, s5, s1
	v_lshlrev_b64 v[14:15], 3, v[12:13]
	v_mov_b32_e32 v13, s1
	v_add_co_u32_e32 v14, vcc, s0, v14
	v_addc_co_u32_e32 v15, vcc, v13, v15, vcc
	v_cmp_lt_u32_e32 vcc, v0, v10
	s_and_saveexec_b64 s[0:1], vcc
	s_cbranch_execnz .LBB3197_78
; %bb.63:
	s_or_b64 exec, exec, s[0:1]
	v_cmp_lt_u32_e32 vcc, v17, v10
	s_and_saveexec_b64 s[0:1], vcc
	s_cbranch_execnz .LBB3197_79
.LBB3197_64:
	s_or_b64 exec, exec, s[0:1]
	v_cmp_lt_u32_e32 vcc, v16, v10
	s_and_saveexec_b64 s[0:1], vcc
	s_cbranch_execz .LBB3197_66
.LBB3197_65:
	v_readfirstlane_b32 s2, v14
	v_readfirstlane_b32 s3, v15
	s_waitcnt lgkmcnt(0)
	s_nop 3
	global_store_dwordx2 v1, v[2:3], s[2:3] offset:3072
.LBB3197_66:
	s_or_b64 exec, exec, s[0:1]
	v_cmp_lt_u32_e64 s[0:1], v11, v10
	s_branch .LBB3197_73
.LBB3197_67:
	s_mov_b64 s[0:1], 0
                                        ; implicit-def: $vgpr14_vgpr15
	s_cbranch_execz .LBB3197_73
; %bb.68:
	s_lshl_b64 s[0:1], s[22:23], 3
	v_mov_b32_e32 v13, 0
	s_add_u32 s0, s4, s0
	s_addc_u32 s1, s5, s1
	v_lshlrev_b64 v[14:15], 3, v[12:13]
	v_mov_b32_e32 v13, s1
	v_add_co_u32_e32 v14, vcc, s0, v14
	v_min_u32_e32 v18, s33, v10
	v_addc_co_u32_e32 v15, vcc, v13, v15, vcc
	v_cmp_gt_u32_e32 vcc, v18, v0
	s_and_saveexec_b64 s[0:1], vcc
	s_cbranch_execnz .LBB3197_80
; %bb.69:
	s_or_b64 exec, exec, s[0:1]
	v_cmp_lt_u32_e32 vcc, v17, v18
	s_and_saveexec_b64 s[0:1], vcc
	s_cbranch_execnz .LBB3197_81
.LBB3197_70:
	s_or_b64 exec, exec, s[0:1]
	v_cmp_lt_u32_e32 vcc, v16, v18
	s_and_saveexec_b64 s[0:1], vcc
	s_cbranch_execz .LBB3197_72
.LBB3197_71:
	v_readfirstlane_b32 s2, v14
	v_readfirstlane_b32 s3, v15
	s_waitcnt lgkmcnt(0)
	s_nop 3
	global_store_dwordx2 v1, v[2:3], s[2:3] offset:3072
.LBB3197_72:
	s_or_b64 exec, exec, s[0:1]
	v_cmp_lt_u32_e64 s[0:1], v11, v18
.LBB3197_73:
	s_and_saveexec_b64 s[2:3], s[0:1]
	s_cbranch_execz .LBB3197_75
; %bb.74:
	v_lshlrev_b32_e32 v1, 3, v11
	v_readfirstlane_b32 s0, v14
	v_readfirstlane_b32 s1, v15
	s_waitcnt lgkmcnt(0)
	s_nop 3
	global_store_dwordx2 v1, v[4:5], s[0:1]
.LBB3197_75:
	s_or_b64 exec, exec, s[2:3]
	v_cmp_eq_u32_e32 vcc, 0, v0
	s_and_b64 s[0:1], vcc, s[24:25]
	s_and_saveexec_b64 s[2:3], s[0:1]
	s_cbranch_execz .LBB3197_77
; %bb.76:
	v_mov_b32_e32 v0, s23
	v_add_co_u32_e32 v1, vcc, s22, v10
	s_waitcnt lgkmcnt(0)
	v_addc_co_u32_e32 v3, vcc, 0, v0, vcc
	v_add_co_u32_e32 v0, vcc, v1, v12
	v_mov_b32_e32 v2, 0
	v_addc_co_u32_e32 v1, vcc, 0, v3, vcc
	global_store_dwordx2 v2, v[0:1], s[20:21]
.LBB3197_77:
	s_endpgm
.LBB3197_78:
	v_readfirstlane_b32 s2, v14
	v_readfirstlane_b32 s3, v15
	s_waitcnt lgkmcnt(1)
	s_nop 3
	global_store_dwordx2 v1, v[6:7], s[2:3]
	s_or_b64 exec, exec, s[0:1]
	v_cmp_lt_u32_e32 vcc, v17, v10
	s_and_saveexec_b64 s[0:1], vcc
	s_cbranch_execz .LBB3197_64
.LBB3197_79:
	v_readfirstlane_b32 s2, v14
	v_readfirstlane_b32 s3, v15
	s_waitcnt lgkmcnt(1)
	s_nop 3
	global_store_dwordx2 v1, v[8:9], s[2:3] offset:1536
	s_or_b64 exec, exec, s[0:1]
	v_cmp_lt_u32_e32 vcc, v16, v10
	s_and_saveexec_b64 s[0:1], vcc
	s_cbranch_execnz .LBB3197_65
	s_branch .LBB3197_66
.LBB3197_80:
	v_readfirstlane_b32 s2, v14
	v_readfirstlane_b32 s3, v15
	s_waitcnt lgkmcnt(1)
	s_nop 3
	global_store_dwordx2 v1, v[6:7], s[2:3]
	s_or_b64 exec, exec, s[0:1]
	v_cmp_lt_u32_e32 vcc, v17, v18
	s_and_saveexec_b64 s[0:1], vcc
	s_cbranch_execz .LBB3197_70
.LBB3197_81:
	v_readfirstlane_b32 s2, v14
	v_readfirstlane_b32 s3, v15
	s_waitcnt lgkmcnt(1)
	s_nop 3
	global_store_dwordx2 v1, v[8:9], s[2:3] offset:1536
	s_or_b64 exec, exec, s[0:1]
	v_cmp_lt_u32_e32 vcc, v16, v18
	s_and_saveexec_b64 s[0:1], vcc
	s_cbranch_execnz .LBB3197_71
	s_branch .LBB3197_72
	.section	.rodata,"a",@progbits
	.p2align	6, 0x0
	.amdhsa_kernel _ZN7rocprim17ROCPRIM_400000_NS6detail17trampoline_kernelINS0_14default_configENS1_25partition_config_selectorILNS1_17partition_subalgoE1ExNS0_10empty_typeEbEEZZNS1_14partition_implILS5_1ELb0ES3_jN6thrust23THRUST_200600_302600_NS6detail15normal_iteratorINSA_10device_ptrIxEEEEPS6_NSA_18transform_iteratorI7is_evenIxESF_NSA_11use_defaultESK_EENS0_5tupleIJSF_NSA_16discard_iteratorISK_EEEEENSM_IJSG_SG_EEES6_PlJS6_EEE10hipError_tPvRmT3_T4_T5_T6_T7_T9_mT8_P12ihipStream_tbDpT10_ENKUlT_T0_E_clISt17integral_constantIbLb0EES1B_EEDaS16_S17_EUlS16_E_NS1_11comp_targetILNS1_3genE4ELNS1_11target_archE910ELNS1_3gpuE8ELNS1_3repE0EEENS1_30default_config_static_selectorELNS0_4arch9wavefront6targetE1EEEvT1_
		.amdhsa_group_segment_fixed_size 6344
		.amdhsa_private_segment_fixed_size 0
		.amdhsa_kernarg_size 136
		.amdhsa_user_sgpr_count 6
		.amdhsa_user_sgpr_private_segment_buffer 1
		.amdhsa_user_sgpr_dispatch_ptr 0
		.amdhsa_user_sgpr_queue_ptr 0
		.amdhsa_user_sgpr_kernarg_segment_ptr 1
		.amdhsa_user_sgpr_dispatch_id 0
		.amdhsa_user_sgpr_flat_scratch_init 0
		.amdhsa_user_sgpr_kernarg_preload_length 0
		.amdhsa_user_sgpr_kernarg_preload_offset 0
		.amdhsa_user_sgpr_private_segment_size 0
		.amdhsa_uses_dynamic_stack 0
		.amdhsa_system_sgpr_private_segment_wavefront_offset 0
		.amdhsa_system_sgpr_workgroup_id_x 1
		.amdhsa_system_sgpr_workgroup_id_y 0
		.amdhsa_system_sgpr_workgroup_id_z 0
		.amdhsa_system_sgpr_workgroup_info 0
		.amdhsa_system_vgpr_workitem_id 0
		.amdhsa_next_free_vgpr 43
		.amdhsa_next_free_sgpr 40
		.amdhsa_accum_offset 44
		.amdhsa_reserve_vcc 1
		.amdhsa_reserve_flat_scratch 0
		.amdhsa_float_round_mode_32 0
		.amdhsa_float_round_mode_16_64 0
		.amdhsa_float_denorm_mode_32 3
		.amdhsa_float_denorm_mode_16_64 3
		.amdhsa_dx10_clamp 1
		.amdhsa_ieee_mode 1
		.amdhsa_fp16_overflow 0
		.amdhsa_tg_split 0
		.amdhsa_exception_fp_ieee_invalid_op 0
		.amdhsa_exception_fp_denorm_src 0
		.amdhsa_exception_fp_ieee_div_zero 0
		.amdhsa_exception_fp_ieee_overflow 0
		.amdhsa_exception_fp_ieee_underflow 0
		.amdhsa_exception_fp_ieee_inexact 0
		.amdhsa_exception_int_div_zero 0
	.end_amdhsa_kernel
	.section	.text._ZN7rocprim17ROCPRIM_400000_NS6detail17trampoline_kernelINS0_14default_configENS1_25partition_config_selectorILNS1_17partition_subalgoE1ExNS0_10empty_typeEbEEZZNS1_14partition_implILS5_1ELb0ES3_jN6thrust23THRUST_200600_302600_NS6detail15normal_iteratorINSA_10device_ptrIxEEEEPS6_NSA_18transform_iteratorI7is_evenIxESF_NSA_11use_defaultESK_EENS0_5tupleIJSF_NSA_16discard_iteratorISK_EEEEENSM_IJSG_SG_EEES6_PlJS6_EEE10hipError_tPvRmT3_T4_T5_T6_T7_T9_mT8_P12ihipStream_tbDpT10_ENKUlT_T0_E_clISt17integral_constantIbLb0EES1B_EEDaS16_S17_EUlS16_E_NS1_11comp_targetILNS1_3genE4ELNS1_11target_archE910ELNS1_3gpuE8ELNS1_3repE0EEENS1_30default_config_static_selectorELNS0_4arch9wavefront6targetE1EEEvT1_,"axG",@progbits,_ZN7rocprim17ROCPRIM_400000_NS6detail17trampoline_kernelINS0_14default_configENS1_25partition_config_selectorILNS1_17partition_subalgoE1ExNS0_10empty_typeEbEEZZNS1_14partition_implILS5_1ELb0ES3_jN6thrust23THRUST_200600_302600_NS6detail15normal_iteratorINSA_10device_ptrIxEEEEPS6_NSA_18transform_iteratorI7is_evenIxESF_NSA_11use_defaultESK_EENS0_5tupleIJSF_NSA_16discard_iteratorISK_EEEEENSM_IJSG_SG_EEES6_PlJS6_EEE10hipError_tPvRmT3_T4_T5_T6_T7_T9_mT8_P12ihipStream_tbDpT10_ENKUlT_T0_E_clISt17integral_constantIbLb0EES1B_EEDaS16_S17_EUlS16_E_NS1_11comp_targetILNS1_3genE4ELNS1_11target_archE910ELNS1_3gpuE8ELNS1_3repE0EEENS1_30default_config_static_selectorELNS0_4arch9wavefront6targetE1EEEvT1_,comdat
.Lfunc_end3197:
	.size	_ZN7rocprim17ROCPRIM_400000_NS6detail17trampoline_kernelINS0_14default_configENS1_25partition_config_selectorILNS1_17partition_subalgoE1ExNS0_10empty_typeEbEEZZNS1_14partition_implILS5_1ELb0ES3_jN6thrust23THRUST_200600_302600_NS6detail15normal_iteratorINSA_10device_ptrIxEEEEPS6_NSA_18transform_iteratorI7is_evenIxESF_NSA_11use_defaultESK_EENS0_5tupleIJSF_NSA_16discard_iteratorISK_EEEEENSM_IJSG_SG_EEES6_PlJS6_EEE10hipError_tPvRmT3_T4_T5_T6_T7_T9_mT8_P12ihipStream_tbDpT10_ENKUlT_T0_E_clISt17integral_constantIbLb0EES1B_EEDaS16_S17_EUlS16_E_NS1_11comp_targetILNS1_3genE4ELNS1_11target_archE910ELNS1_3gpuE8ELNS1_3repE0EEENS1_30default_config_static_selectorELNS0_4arch9wavefront6targetE1EEEvT1_, .Lfunc_end3197-_ZN7rocprim17ROCPRIM_400000_NS6detail17trampoline_kernelINS0_14default_configENS1_25partition_config_selectorILNS1_17partition_subalgoE1ExNS0_10empty_typeEbEEZZNS1_14partition_implILS5_1ELb0ES3_jN6thrust23THRUST_200600_302600_NS6detail15normal_iteratorINSA_10device_ptrIxEEEEPS6_NSA_18transform_iteratorI7is_evenIxESF_NSA_11use_defaultESK_EENS0_5tupleIJSF_NSA_16discard_iteratorISK_EEEEENSM_IJSG_SG_EEES6_PlJS6_EEE10hipError_tPvRmT3_T4_T5_T6_T7_T9_mT8_P12ihipStream_tbDpT10_ENKUlT_T0_E_clISt17integral_constantIbLb0EES1B_EEDaS16_S17_EUlS16_E_NS1_11comp_targetILNS1_3genE4ELNS1_11target_archE910ELNS1_3gpuE8ELNS1_3repE0EEENS1_30default_config_static_selectorELNS0_4arch9wavefront6targetE1EEEvT1_
                                        ; -- End function
	.section	.AMDGPU.csdata,"",@progbits
; Kernel info:
; codeLenInByte = 3972
; NumSgprs: 44
; NumVgprs: 43
; NumAgprs: 0
; TotalNumVgprs: 43
; ScratchSize: 0
; MemoryBound: 0
; FloatMode: 240
; IeeeMode: 1
; LDSByteSize: 6344 bytes/workgroup (compile time only)
; SGPRBlocks: 5
; VGPRBlocks: 5
; NumSGPRsForWavesPerEU: 44
; NumVGPRsForWavesPerEU: 43
; AccumOffset: 44
; Occupancy: 8
; WaveLimiterHint : 1
; COMPUTE_PGM_RSRC2:SCRATCH_EN: 0
; COMPUTE_PGM_RSRC2:USER_SGPR: 6
; COMPUTE_PGM_RSRC2:TRAP_HANDLER: 0
; COMPUTE_PGM_RSRC2:TGID_X_EN: 1
; COMPUTE_PGM_RSRC2:TGID_Y_EN: 0
; COMPUTE_PGM_RSRC2:TGID_Z_EN: 0
; COMPUTE_PGM_RSRC2:TIDIG_COMP_CNT: 0
; COMPUTE_PGM_RSRC3_GFX90A:ACCUM_OFFSET: 10
; COMPUTE_PGM_RSRC3_GFX90A:TG_SPLIT: 0
	.section	.text._ZN7rocprim17ROCPRIM_400000_NS6detail17trampoline_kernelINS0_14default_configENS1_25partition_config_selectorILNS1_17partition_subalgoE1ExNS0_10empty_typeEbEEZZNS1_14partition_implILS5_1ELb0ES3_jN6thrust23THRUST_200600_302600_NS6detail15normal_iteratorINSA_10device_ptrIxEEEEPS6_NSA_18transform_iteratorI7is_evenIxESF_NSA_11use_defaultESK_EENS0_5tupleIJSF_NSA_16discard_iteratorISK_EEEEENSM_IJSG_SG_EEES6_PlJS6_EEE10hipError_tPvRmT3_T4_T5_T6_T7_T9_mT8_P12ihipStream_tbDpT10_ENKUlT_T0_E_clISt17integral_constantIbLb0EES1B_EEDaS16_S17_EUlS16_E_NS1_11comp_targetILNS1_3genE3ELNS1_11target_archE908ELNS1_3gpuE7ELNS1_3repE0EEENS1_30default_config_static_selectorELNS0_4arch9wavefront6targetE1EEEvT1_,"axG",@progbits,_ZN7rocprim17ROCPRIM_400000_NS6detail17trampoline_kernelINS0_14default_configENS1_25partition_config_selectorILNS1_17partition_subalgoE1ExNS0_10empty_typeEbEEZZNS1_14partition_implILS5_1ELb0ES3_jN6thrust23THRUST_200600_302600_NS6detail15normal_iteratorINSA_10device_ptrIxEEEEPS6_NSA_18transform_iteratorI7is_evenIxESF_NSA_11use_defaultESK_EENS0_5tupleIJSF_NSA_16discard_iteratorISK_EEEEENSM_IJSG_SG_EEES6_PlJS6_EEE10hipError_tPvRmT3_T4_T5_T6_T7_T9_mT8_P12ihipStream_tbDpT10_ENKUlT_T0_E_clISt17integral_constantIbLb0EES1B_EEDaS16_S17_EUlS16_E_NS1_11comp_targetILNS1_3genE3ELNS1_11target_archE908ELNS1_3gpuE7ELNS1_3repE0EEENS1_30default_config_static_selectorELNS0_4arch9wavefront6targetE1EEEvT1_,comdat
	.protected	_ZN7rocprim17ROCPRIM_400000_NS6detail17trampoline_kernelINS0_14default_configENS1_25partition_config_selectorILNS1_17partition_subalgoE1ExNS0_10empty_typeEbEEZZNS1_14partition_implILS5_1ELb0ES3_jN6thrust23THRUST_200600_302600_NS6detail15normal_iteratorINSA_10device_ptrIxEEEEPS6_NSA_18transform_iteratorI7is_evenIxESF_NSA_11use_defaultESK_EENS0_5tupleIJSF_NSA_16discard_iteratorISK_EEEEENSM_IJSG_SG_EEES6_PlJS6_EEE10hipError_tPvRmT3_T4_T5_T6_T7_T9_mT8_P12ihipStream_tbDpT10_ENKUlT_T0_E_clISt17integral_constantIbLb0EES1B_EEDaS16_S17_EUlS16_E_NS1_11comp_targetILNS1_3genE3ELNS1_11target_archE908ELNS1_3gpuE7ELNS1_3repE0EEENS1_30default_config_static_selectorELNS0_4arch9wavefront6targetE1EEEvT1_ ; -- Begin function _ZN7rocprim17ROCPRIM_400000_NS6detail17trampoline_kernelINS0_14default_configENS1_25partition_config_selectorILNS1_17partition_subalgoE1ExNS0_10empty_typeEbEEZZNS1_14partition_implILS5_1ELb0ES3_jN6thrust23THRUST_200600_302600_NS6detail15normal_iteratorINSA_10device_ptrIxEEEEPS6_NSA_18transform_iteratorI7is_evenIxESF_NSA_11use_defaultESK_EENS0_5tupleIJSF_NSA_16discard_iteratorISK_EEEEENSM_IJSG_SG_EEES6_PlJS6_EEE10hipError_tPvRmT3_T4_T5_T6_T7_T9_mT8_P12ihipStream_tbDpT10_ENKUlT_T0_E_clISt17integral_constantIbLb0EES1B_EEDaS16_S17_EUlS16_E_NS1_11comp_targetILNS1_3genE3ELNS1_11target_archE908ELNS1_3gpuE7ELNS1_3repE0EEENS1_30default_config_static_selectorELNS0_4arch9wavefront6targetE1EEEvT1_
	.globl	_ZN7rocprim17ROCPRIM_400000_NS6detail17trampoline_kernelINS0_14default_configENS1_25partition_config_selectorILNS1_17partition_subalgoE1ExNS0_10empty_typeEbEEZZNS1_14partition_implILS5_1ELb0ES3_jN6thrust23THRUST_200600_302600_NS6detail15normal_iteratorINSA_10device_ptrIxEEEEPS6_NSA_18transform_iteratorI7is_evenIxESF_NSA_11use_defaultESK_EENS0_5tupleIJSF_NSA_16discard_iteratorISK_EEEEENSM_IJSG_SG_EEES6_PlJS6_EEE10hipError_tPvRmT3_T4_T5_T6_T7_T9_mT8_P12ihipStream_tbDpT10_ENKUlT_T0_E_clISt17integral_constantIbLb0EES1B_EEDaS16_S17_EUlS16_E_NS1_11comp_targetILNS1_3genE3ELNS1_11target_archE908ELNS1_3gpuE7ELNS1_3repE0EEENS1_30default_config_static_selectorELNS0_4arch9wavefront6targetE1EEEvT1_
	.p2align	8
	.type	_ZN7rocprim17ROCPRIM_400000_NS6detail17trampoline_kernelINS0_14default_configENS1_25partition_config_selectorILNS1_17partition_subalgoE1ExNS0_10empty_typeEbEEZZNS1_14partition_implILS5_1ELb0ES3_jN6thrust23THRUST_200600_302600_NS6detail15normal_iteratorINSA_10device_ptrIxEEEEPS6_NSA_18transform_iteratorI7is_evenIxESF_NSA_11use_defaultESK_EENS0_5tupleIJSF_NSA_16discard_iteratorISK_EEEEENSM_IJSG_SG_EEES6_PlJS6_EEE10hipError_tPvRmT3_T4_T5_T6_T7_T9_mT8_P12ihipStream_tbDpT10_ENKUlT_T0_E_clISt17integral_constantIbLb0EES1B_EEDaS16_S17_EUlS16_E_NS1_11comp_targetILNS1_3genE3ELNS1_11target_archE908ELNS1_3gpuE7ELNS1_3repE0EEENS1_30default_config_static_selectorELNS0_4arch9wavefront6targetE1EEEvT1_,@function
_ZN7rocprim17ROCPRIM_400000_NS6detail17trampoline_kernelINS0_14default_configENS1_25partition_config_selectorILNS1_17partition_subalgoE1ExNS0_10empty_typeEbEEZZNS1_14partition_implILS5_1ELb0ES3_jN6thrust23THRUST_200600_302600_NS6detail15normal_iteratorINSA_10device_ptrIxEEEEPS6_NSA_18transform_iteratorI7is_evenIxESF_NSA_11use_defaultESK_EENS0_5tupleIJSF_NSA_16discard_iteratorISK_EEEEENSM_IJSG_SG_EEES6_PlJS6_EEE10hipError_tPvRmT3_T4_T5_T6_T7_T9_mT8_P12ihipStream_tbDpT10_ENKUlT_T0_E_clISt17integral_constantIbLb0EES1B_EEDaS16_S17_EUlS16_E_NS1_11comp_targetILNS1_3genE3ELNS1_11target_archE908ELNS1_3gpuE7ELNS1_3repE0EEENS1_30default_config_static_selectorELNS0_4arch9wavefront6targetE1EEEvT1_: ; @_ZN7rocprim17ROCPRIM_400000_NS6detail17trampoline_kernelINS0_14default_configENS1_25partition_config_selectorILNS1_17partition_subalgoE1ExNS0_10empty_typeEbEEZZNS1_14partition_implILS5_1ELb0ES3_jN6thrust23THRUST_200600_302600_NS6detail15normal_iteratorINSA_10device_ptrIxEEEEPS6_NSA_18transform_iteratorI7is_evenIxESF_NSA_11use_defaultESK_EENS0_5tupleIJSF_NSA_16discard_iteratorISK_EEEEENSM_IJSG_SG_EEES6_PlJS6_EEE10hipError_tPvRmT3_T4_T5_T6_T7_T9_mT8_P12ihipStream_tbDpT10_ENKUlT_T0_E_clISt17integral_constantIbLb0EES1B_EEDaS16_S17_EUlS16_E_NS1_11comp_targetILNS1_3genE3ELNS1_11target_archE908ELNS1_3gpuE7ELNS1_3repE0EEENS1_30default_config_static_selectorELNS0_4arch9wavefront6targetE1EEEvT1_
; %bb.0:
	.section	.rodata,"a",@progbits
	.p2align	6, 0x0
	.amdhsa_kernel _ZN7rocprim17ROCPRIM_400000_NS6detail17trampoline_kernelINS0_14default_configENS1_25partition_config_selectorILNS1_17partition_subalgoE1ExNS0_10empty_typeEbEEZZNS1_14partition_implILS5_1ELb0ES3_jN6thrust23THRUST_200600_302600_NS6detail15normal_iteratorINSA_10device_ptrIxEEEEPS6_NSA_18transform_iteratorI7is_evenIxESF_NSA_11use_defaultESK_EENS0_5tupleIJSF_NSA_16discard_iteratorISK_EEEEENSM_IJSG_SG_EEES6_PlJS6_EEE10hipError_tPvRmT3_T4_T5_T6_T7_T9_mT8_P12ihipStream_tbDpT10_ENKUlT_T0_E_clISt17integral_constantIbLb0EES1B_EEDaS16_S17_EUlS16_E_NS1_11comp_targetILNS1_3genE3ELNS1_11target_archE908ELNS1_3gpuE7ELNS1_3repE0EEENS1_30default_config_static_selectorELNS0_4arch9wavefront6targetE1EEEvT1_
		.amdhsa_group_segment_fixed_size 0
		.amdhsa_private_segment_fixed_size 0
		.amdhsa_kernarg_size 136
		.amdhsa_user_sgpr_count 6
		.amdhsa_user_sgpr_private_segment_buffer 1
		.amdhsa_user_sgpr_dispatch_ptr 0
		.amdhsa_user_sgpr_queue_ptr 0
		.amdhsa_user_sgpr_kernarg_segment_ptr 1
		.amdhsa_user_sgpr_dispatch_id 0
		.amdhsa_user_sgpr_flat_scratch_init 0
		.amdhsa_user_sgpr_kernarg_preload_length 0
		.amdhsa_user_sgpr_kernarg_preload_offset 0
		.amdhsa_user_sgpr_private_segment_size 0
		.amdhsa_uses_dynamic_stack 0
		.amdhsa_system_sgpr_private_segment_wavefront_offset 0
		.amdhsa_system_sgpr_workgroup_id_x 1
		.amdhsa_system_sgpr_workgroup_id_y 0
		.amdhsa_system_sgpr_workgroup_id_z 0
		.amdhsa_system_sgpr_workgroup_info 0
		.amdhsa_system_vgpr_workitem_id 0
		.amdhsa_next_free_vgpr 1
		.amdhsa_next_free_sgpr 0
		.amdhsa_accum_offset 4
		.amdhsa_reserve_vcc 0
		.amdhsa_reserve_flat_scratch 0
		.amdhsa_float_round_mode_32 0
		.amdhsa_float_round_mode_16_64 0
		.amdhsa_float_denorm_mode_32 3
		.amdhsa_float_denorm_mode_16_64 3
		.amdhsa_dx10_clamp 1
		.amdhsa_ieee_mode 1
		.amdhsa_fp16_overflow 0
		.amdhsa_tg_split 0
		.amdhsa_exception_fp_ieee_invalid_op 0
		.amdhsa_exception_fp_denorm_src 0
		.amdhsa_exception_fp_ieee_div_zero 0
		.amdhsa_exception_fp_ieee_overflow 0
		.amdhsa_exception_fp_ieee_underflow 0
		.amdhsa_exception_fp_ieee_inexact 0
		.amdhsa_exception_int_div_zero 0
	.end_amdhsa_kernel
	.section	.text._ZN7rocprim17ROCPRIM_400000_NS6detail17trampoline_kernelINS0_14default_configENS1_25partition_config_selectorILNS1_17partition_subalgoE1ExNS0_10empty_typeEbEEZZNS1_14partition_implILS5_1ELb0ES3_jN6thrust23THRUST_200600_302600_NS6detail15normal_iteratorINSA_10device_ptrIxEEEEPS6_NSA_18transform_iteratorI7is_evenIxESF_NSA_11use_defaultESK_EENS0_5tupleIJSF_NSA_16discard_iteratorISK_EEEEENSM_IJSG_SG_EEES6_PlJS6_EEE10hipError_tPvRmT3_T4_T5_T6_T7_T9_mT8_P12ihipStream_tbDpT10_ENKUlT_T0_E_clISt17integral_constantIbLb0EES1B_EEDaS16_S17_EUlS16_E_NS1_11comp_targetILNS1_3genE3ELNS1_11target_archE908ELNS1_3gpuE7ELNS1_3repE0EEENS1_30default_config_static_selectorELNS0_4arch9wavefront6targetE1EEEvT1_,"axG",@progbits,_ZN7rocprim17ROCPRIM_400000_NS6detail17trampoline_kernelINS0_14default_configENS1_25partition_config_selectorILNS1_17partition_subalgoE1ExNS0_10empty_typeEbEEZZNS1_14partition_implILS5_1ELb0ES3_jN6thrust23THRUST_200600_302600_NS6detail15normal_iteratorINSA_10device_ptrIxEEEEPS6_NSA_18transform_iteratorI7is_evenIxESF_NSA_11use_defaultESK_EENS0_5tupleIJSF_NSA_16discard_iteratorISK_EEEEENSM_IJSG_SG_EEES6_PlJS6_EEE10hipError_tPvRmT3_T4_T5_T6_T7_T9_mT8_P12ihipStream_tbDpT10_ENKUlT_T0_E_clISt17integral_constantIbLb0EES1B_EEDaS16_S17_EUlS16_E_NS1_11comp_targetILNS1_3genE3ELNS1_11target_archE908ELNS1_3gpuE7ELNS1_3repE0EEENS1_30default_config_static_selectorELNS0_4arch9wavefront6targetE1EEEvT1_,comdat
.Lfunc_end3198:
	.size	_ZN7rocprim17ROCPRIM_400000_NS6detail17trampoline_kernelINS0_14default_configENS1_25partition_config_selectorILNS1_17partition_subalgoE1ExNS0_10empty_typeEbEEZZNS1_14partition_implILS5_1ELb0ES3_jN6thrust23THRUST_200600_302600_NS6detail15normal_iteratorINSA_10device_ptrIxEEEEPS6_NSA_18transform_iteratorI7is_evenIxESF_NSA_11use_defaultESK_EENS0_5tupleIJSF_NSA_16discard_iteratorISK_EEEEENSM_IJSG_SG_EEES6_PlJS6_EEE10hipError_tPvRmT3_T4_T5_T6_T7_T9_mT8_P12ihipStream_tbDpT10_ENKUlT_T0_E_clISt17integral_constantIbLb0EES1B_EEDaS16_S17_EUlS16_E_NS1_11comp_targetILNS1_3genE3ELNS1_11target_archE908ELNS1_3gpuE7ELNS1_3repE0EEENS1_30default_config_static_selectorELNS0_4arch9wavefront6targetE1EEEvT1_, .Lfunc_end3198-_ZN7rocprim17ROCPRIM_400000_NS6detail17trampoline_kernelINS0_14default_configENS1_25partition_config_selectorILNS1_17partition_subalgoE1ExNS0_10empty_typeEbEEZZNS1_14partition_implILS5_1ELb0ES3_jN6thrust23THRUST_200600_302600_NS6detail15normal_iteratorINSA_10device_ptrIxEEEEPS6_NSA_18transform_iteratorI7is_evenIxESF_NSA_11use_defaultESK_EENS0_5tupleIJSF_NSA_16discard_iteratorISK_EEEEENSM_IJSG_SG_EEES6_PlJS6_EEE10hipError_tPvRmT3_T4_T5_T6_T7_T9_mT8_P12ihipStream_tbDpT10_ENKUlT_T0_E_clISt17integral_constantIbLb0EES1B_EEDaS16_S17_EUlS16_E_NS1_11comp_targetILNS1_3genE3ELNS1_11target_archE908ELNS1_3gpuE7ELNS1_3repE0EEENS1_30default_config_static_selectorELNS0_4arch9wavefront6targetE1EEEvT1_
                                        ; -- End function
	.section	.AMDGPU.csdata,"",@progbits
; Kernel info:
; codeLenInByte = 0
; NumSgprs: 4
; NumVgprs: 0
; NumAgprs: 0
; TotalNumVgprs: 0
; ScratchSize: 0
; MemoryBound: 0
; FloatMode: 240
; IeeeMode: 1
; LDSByteSize: 0 bytes/workgroup (compile time only)
; SGPRBlocks: 0
; VGPRBlocks: 0
; NumSGPRsForWavesPerEU: 4
; NumVGPRsForWavesPerEU: 1
; AccumOffset: 4
; Occupancy: 8
; WaveLimiterHint : 0
; COMPUTE_PGM_RSRC2:SCRATCH_EN: 0
; COMPUTE_PGM_RSRC2:USER_SGPR: 6
; COMPUTE_PGM_RSRC2:TRAP_HANDLER: 0
; COMPUTE_PGM_RSRC2:TGID_X_EN: 1
; COMPUTE_PGM_RSRC2:TGID_Y_EN: 0
; COMPUTE_PGM_RSRC2:TGID_Z_EN: 0
; COMPUTE_PGM_RSRC2:TIDIG_COMP_CNT: 0
; COMPUTE_PGM_RSRC3_GFX90A:ACCUM_OFFSET: 0
; COMPUTE_PGM_RSRC3_GFX90A:TG_SPLIT: 0
	.section	.text._ZN7rocprim17ROCPRIM_400000_NS6detail17trampoline_kernelINS0_14default_configENS1_25partition_config_selectorILNS1_17partition_subalgoE1ExNS0_10empty_typeEbEEZZNS1_14partition_implILS5_1ELb0ES3_jN6thrust23THRUST_200600_302600_NS6detail15normal_iteratorINSA_10device_ptrIxEEEEPS6_NSA_18transform_iteratorI7is_evenIxESF_NSA_11use_defaultESK_EENS0_5tupleIJSF_NSA_16discard_iteratorISK_EEEEENSM_IJSG_SG_EEES6_PlJS6_EEE10hipError_tPvRmT3_T4_T5_T6_T7_T9_mT8_P12ihipStream_tbDpT10_ENKUlT_T0_E_clISt17integral_constantIbLb0EES1B_EEDaS16_S17_EUlS16_E_NS1_11comp_targetILNS1_3genE2ELNS1_11target_archE906ELNS1_3gpuE6ELNS1_3repE0EEENS1_30default_config_static_selectorELNS0_4arch9wavefront6targetE1EEEvT1_,"axG",@progbits,_ZN7rocprim17ROCPRIM_400000_NS6detail17trampoline_kernelINS0_14default_configENS1_25partition_config_selectorILNS1_17partition_subalgoE1ExNS0_10empty_typeEbEEZZNS1_14partition_implILS5_1ELb0ES3_jN6thrust23THRUST_200600_302600_NS6detail15normal_iteratorINSA_10device_ptrIxEEEEPS6_NSA_18transform_iteratorI7is_evenIxESF_NSA_11use_defaultESK_EENS0_5tupleIJSF_NSA_16discard_iteratorISK_EEEEENSM_IJSG_SG_EEES6_PlJS6_EEE10hipError_tPvRmT3_T4_T5_T6_T7_T9_mT8_P12ihipStream_tbDpT10_ENKUlT_T0_E_clISt17integral_constantIbLb0EES1B_EEDaS16_S17_EUlS16_E_NS1_11comp_targetILNS1_3genE2ELNS1_11target_archE906ELNS1_3gpuE6ELNS1_3repE0EEENS1_30default_config_static_selectorELNS0_4arch9wavefront6targetE1EEEvT1_,comdat
	.protected	_ZN7rocprim17ROCPRIM_400000_NS6detail17trampoline_kernelINS0_14default_configENS1_25partition_config_selectorILNS1_17partition_subalgoE1ExNS0_10empty_typeEbEEZZNS1_14partition_implILS5_1ELb0ES3_jN6thrust23THRUST_200600_302600_NS6detail15normal_iteratorINSA_10device_ptrIxEEEEPS6_NSA_18transform_iteratorI7is_evenIxESF_NSA_11use_defaultESK_EENS0_5tupleIJSF_NSA_16discard_iteratorISK_EEEEENSM_IJSG_SG_EEES6_PlJS6_EEE10hipError_tPvRmT3_T4_T5_T6_T7_T9_mT8_P12ihipStream_tbDpT10_ENKUlT_T0_E_clISt17integral_constantIbLb0EES1B_EEDaS16_S17_EUlS16_E_NS1_11comp_targetILNS1_3genE2ELNS1_11target_archE906ELNS1_3gpuE6ELNS1_3repE0EEENS1_30default_config_static_selectorELNS0_4arch9wavefront6targetE1EEEvT1_ ; -- Begin function _ZN7rocprim17ROCPRIM_400000_NS6detail17trampoline_kernelINS0_14default_configENS1_25partition_config_selectorILNS1_17partition_subalgoE1ExNS0_10empty_typeEbEEZZNS1_14partition_implILS5_1ELb0ES3_jN6thrust23THRUST_200600_302600_NS6detail15normal_iteratorINSA_10device_ptrIxEEEEPS6_NSA_18transform_iteratorI7is_evenIxESF_NSA_11use_defaultESK_EENS0_5tupleIJSF_NSA_16discard_iteratorISK_EEEEENSM_IJSG_SG_EEES6_PlJS6_EEE10hipError_tPvRmT3_T4_T5_T6_T7_T9_mT8_P12ihipStream_tbDpT10_ENKUlT_T0_E_clISt17integral_constantIbLb0EES1B_EEDaS16_S17_EUlS16_E_NS1_11comp_targetILNS1_3genE2ELNS1_11target_archE906ELNS1_3gpuE6ELNS1_3repE0EEENS1_30default_config_static_selectorELNS0_4arch9wavefront6targetE1EEEvT1_
	.globl	_ZN7rocprim17ROCPRIM_400000_NS6detail17trampoline_kernelINS0_14default_configENS1_25partition_config_selectorILNS1_17partition_subalgoE1ExNS0_10empty_typeEbEEZZNS1_14partition_implILS5_1ELb0ES3_jN6thrust23THRUST_200600_302600_NS6detail15normal_iteratorINSA_10device_ptrIxEEEEPS6_NSA_18transform_iteratorI7is_evenIxESF_NSA_11use_defaultESK_EENS0_5tupleIJSF_NSA_16discard_iteratorISK_EEEEENSM_IJSG_SG_EEES6_PlJS6_EEE10hipError_tPvRmT3_T4_T5_T6_T7_T9_mT8_P12ihipStream_tbDpT10_ENKUlT_T0_E_clISt17integral_constantIbLb0EES1B_EEDaS16_S17_EUlS16_E_NS1_11comp_targetILNS1_3genE2ELNS1_11target_archE906ELNS1_3gpuE6ELNS1_3repE0EEENS1_30default_config_static_selectorELNS0_4arch9wavefront6targetE1EEEvT1_
	.p2align	8
	.type	_ZN7rocprim17ROCPRIM_400000_NS6detail17trampoline_kernelINS0_14default_configENS1_25partition_config_selectorILNS1_17partition_subalgoE1ExNS0_10empty_typeEbEEZZNS1_14partition_implILS5_1ELb0ES3_jN6thrust23THRUST_200600_302600_NS6detail15normal_iteratorINSA_10device_ptrIxEEEEPS6_NSA_18transform_iteratorI7is_evenIxESF_NSA_11use_defaultESK_EENS0_5tupleIJSF_NSA_16discard_iteratorISK_EEEEENSM_IJSG_SG_EEES6_PlJS6_EEE10hipError_tPvRmT3_T4_T5_T6_T7_T9_mT8_P12ihipStream_tbDpT10_ENKUlT_T0_E_clISt17integral_constantIbLb0EES1B_EEDaS16_S17_EUlS16_E_NS1_11comp_targetILNS1_3genE2ELNS1_11target_archE906ELNS1_3gpuE6ELNS1_3repE0EEENS1_30default_config_static_selectorELNS0_4arch9wavefront6targetE1EEEvT1_,@function
_ZN7rocprim17ROCPRIM_400000_NS6detail17trampoline_kernelINS0_14default_configENS1_25partition_config_selectorILNS1_17partition_subalgoE1ExNS0_10empty_typeEbEEZZNS1_14partition_implILS5_1ELb0ES3_jN6thrust23THRUST_200600_302600_NS6detail15normal_iteratorINSA_10device_ptrIxEEEEPS6_NSA_18transform_iteratorI7is_evenIxESF_NSA_11use_defaultESK_EENS0_5tupleIJSF_NSA_16discard_iteratorISK_EEEEENSM_IJSG_SG_EEES6_PlJS6_EEE10hipError_tPvRmT3_T4_T5_T6_T7_T9_mT8_P12ihipStream_tbDpT10_ENKUlT_T0_E_clISt17integral_constantIbLb0EES1B_EEDaS16_S17_EUlS16_E_NS1_11comp_targetILNS1_3genE2ELNS1_11target_archE906ELNS1_3gpuE6ELNS1_3repE0EEENS1_30default_config_static_selectorELNS0_4arch9wavefront6targetE1EEEvT1_: ; @_ZN7rocprim17ROCPRIM_400000_NS6detail17trampoline_kernelINS0_14default_configENS1_25partition_config_selectorILNS1_17partition_subalgoE1ExNS0_10empty_typeEbEEZZNS1_14partition_implILS5_1ELb0ES3_jN6thrust23THRUST_200600_302600_NS6detail15normal_iteratorINSA_10device_ptrIxEEEEPS6_NSA_18transform_iteratorI7is_evenIxESF_NSA_11use_defaultESK_EENS0_5tupleIJSF_NSA_16discard_iteratorISK_EEEEENSM_IJSG_SG_EEES6_PlJS6_EEE10hipError_tPvRmT3_T4_T5_T6_T7_T9_mT8_P12ihipStream_tbDpT10_ENKUlT_T0_E_clISt17integral_constantIbLb0EES1B_EEDaS16_S17_EUlS16_E_NS1_11comp_targetILNS1_3genE2ELNS1_11target_archE906ELNS1_3gpuE6ELNS1_3repE0EEENS1_30default_config_static_selectorELNS0_4arch9wavefront6targetE1EEEvT1_
; %bb.0:
	.section	.rodata,"a",@progbits
	.p2align	6, 0x0
	.amdhsa_kernel _ZN7rocprim17ROCPRIM_400000_NS6detail17trampoline_kernelINS0_14default_configENS1_25partition_config_selectorILNS1_17partition_subalgoE1ExNS0_10empty_typeEbEEZZNS1_14partition_implILS5_1ELb0ES3_jN6thrust23THRUST_200600_302600_NS6detail15normal_iteratorINSA_10device_ptrIxEEEEPS6_NSA_18transform_iteratorI7is_evenIxESF_NSA_11use_defaultESK_EENS0_5tupleIJSF_NSA_16discard_iteratorISK_EEEEENSM_IJSG_SG_EEES6_PlJS6_EEE10hipError_tPvRmT3_T4_T5_T6_T7_T9_mT8_P12ihipStream_tbDpT10_ENKUlT_T0_E_clISt17integral_constantIbLb0EES1B_EEDaS16_S17_EUlS16_E_NS1_11comp_targetILNS1_3genE2ELNS1_11target_archE906ELNS1_3gpuE6ELNS1_3repE0EEENS1_30default_config_static_selectorELNS0_4arch9wavefront6targetE1EEEvT1_
		.amdhsa_group_segment_fixed_size 0
		.amdhsa_private_segment_fixed_size 0
		.amdhsa_kernarg_size 136
		.amdhsa_user_sgpr_count 6
		.amdhsa_user_sgpr_private_segment_buffer 1
		.amdhsa_user_sgpr_dispatch_ptr 0
		.amdhsa_user_sgpr_queue_ptr 0
		.amdhsa_user_sgpr_kernarg_segment_ptr 1
		.amdhsa_user_sgpr_dispatch_id 0
		.amdhsa_user_sgpr_flat_scratch_init 0
		.amdhsa_user_sgpr_kernarg_preload_length 0
		.amdhsa_user_sgpr_kernarg_preload_offset 0
		.amdhsa_user_sgpr_private_segment_size 0
		.amdhsa_uses_dynamic_stack 0
		.amdhsa_system_sgpr_private_segment_wavefront_offset 0
		.amdhsa_system_sgpr_workgroup_id_x 1
		.amdhsa_system_sgpr_workgroup_id_y 0
		.amdhsa_system_sgpr_workgroup_id_z 0
		.amdhsa_system_sgpr_workgroup_info 0
		.amdhsa_system_vgpr_workitem_id 0
		.amdhsa_next_free_vgpr 1
		.amdhsa_next_free_sgpr 0
		.amdhsa_accum_offset 4
		.amdhsa_reserve_vcc 0
		.amdhsa_reserve_flat_scratch 0
		.amdhsa_float_round_mode_32 0
		.amdhsa_float_round_mode_16_64 0
		.amdhsa_float_denorm_mode_32 3
		.amdhsa_float_denorm_mode_16_64 3
		.amdhsa_dx10_clamp 1
		.amdhsa_ieee_mode 1
		.amdhsa_fp16_overflow 0
		.amdhsa_tg_split 0
		.amdhsa_exception_fp_ieee_invalid_op 0
		.amdhsa_exception_fp_denorm_src 0
		.amdhsa_exception_fp_ieee_div_zero 0
		.amdhsa_exception_fp_ieee_overflow 0
		.amdhsa_exception_fp_ieee_underflow 0
		.amdhsa_exception_fp_ieee_inexact 0
		.amdhsa_exception_int_div_zero 0
	.end_amdhsa_kernel
	.section	.text._ZN7rocprim17ROCPRIM_400000_NS6detail17trampoline_kernelINS0_14default_configENS1_25partition_config_selectorILNS1_17partition_subalgoE1ExNS0_10empty_typeEbEEZZNS1_14partition_implILS5_1ELb0ES3_jN6thrust23THRUST_200600_302600_NS6detail15normal_iteratorINSA_10device_ptrIxEEEEPS6_NSA_18transform_iteratorI7is_evenIxESF_NSA_11use_defaultESK_EENS0_5tupleIJSF_NSA_16discard_iteratorISK_EEEEENSM_IJSG_SG_EEES6_PlJS6_EEE10hipError_tPvRmT3_T4_T5_T6_T7_T9_mT8_P12ihipStream_tbDpT10_ENKUlT_T0_E_clISt17integral_constantIbLb0EES1B_EEDaS16_S17_EUlS16_E_NS1_11comp_targetILNS1_3genE2ELNS1_11target_archE906ELNS1_3gpuE6ELNS1_3repE0EEENS1_30default_config_static_selectorELNS0_4arch9wavefront6targetE1EEEvT1_,"axG",@progbits,_ZN7rocprim17ROCPRIM_400000_NS6detail17trampoline_kernelINS0_14default_configENS1_25partition_config_selectorILNS1_17partition_subalgoE1ExNS0_10empty_typeEbEEZZNS1_14partition_implILS5_1ELb0ES3_jN6thrust23THRUST_200600_302600_NS6detail15normal_iteratorINSA_10device_ptrIxEEEEPS6_NSA_18transform_iteratorI7is_evenIxESF_NSA_11use_defaultESK_EENS0_5tupleIJSF_NSA_16discard_iteratorISK_EEEEENSM_IJSG_SG_EEES6_PlJS6_EEE10hipError_tPvRmT3_T4_T5_T6_T7_T9_mT8_P12ihipStream_tbDpT10_ENKUlT_T0_E_clISt17integral_constantIbLb0EES1B_EEDaS16_S17_EUlS16_E_NS1_11comp_targetILNS1_3genE2ELNS1_11target_archE906ELNS1_3gpuE6ELNS1_3repE0EEENS1_30default_config_static_selectorELNS0_4arch9wavefront6targetE1EEEvT1_,comdat
.Lfunc_end3199:
	.size	_ZN7rocprim17ROCPRIM_400000_NS6detail17trampoline_kernelINS0_14default_configENS1_25partition_config_selectorILNS1_17partition_subalgoE1ExNS0_10empty_typeEbEEZZNS1_14partition_implILS5_1ELb0ES3_jN6thrust23THRUST_200600_302600_NS6detail15normal_iteratorINSA_10device_ptrIxEEEEPS6_NSA_18transform_iteratorI7is_evenIxESF_NSA_11use_defaultESK_EENS0_5tupleIJSF_NSA_16discard_iteratorISK_EEEEENSM_IJSG_SG_EEES6_PlJS6_EEE10hipError_tPvRmT3_T4_T5_T6_T7_T9_mT8_P12ihipStream_tbDpT10_ENKUlT_T0_E_clISt17integral_constantIbLb0EES1B_EEDaS16_S17_EUlS16_E_NS1_11comp_targetILNS1_3genE2ELNS1_11target_archE906ELNS1_3gpuE6ELNS1_3repE0EEENS1_30default_config_static_selectorELNS0_4arch9wavefront6targetE1EEEvT1_, .Lfunc_end3199-_ZN7rocprim17ROCPRIM_400000_NS6detail17trampoline_kernelINS0_14default_configENS1_25partition_config_selectorILNS1_17partition_subalgoE1ExNS0_10empty_typeEbEEZZNS1_14partition_implILS5_1ELb0ES3_jN6thrust23THRUST_200600_302600_NS6detail15normal_iteratorINSA_10device_ptrIxEEEEPS6_NSA_18transform_iteratorI7is_evenIxESF_NSA_11use_defaultESK_EENS0_5tupleIJSF_NSA_16discard_iteratorISK_EEEEENSM_IJSG_SG_EEES6_PlJS6_EEE10hipError_tPvRmT3_T4_T5_T6_T7_T9_mT8_P12ihipStream_tbDpT10_ENKUlT_T0_E_clISt17integral_constantIbLb0EES1B_EEDaS16_S17_EUlS16_E_NS1_11comp_targetILNS1_3genE2ELNS1_11target_archE906ELNS1_3gpuE6ELNS1_3repE0EEENS1_30default_config_static_selectorELNS0_4arch9wavefront6targetE1EEEvT1_
                                        ; -- End function
	.section	.AMDGPU.csdata,"",@progbits
; Kernel info:
; codeLenInByte = 0
; NumSgprs: 4
; NumVgprs: 0
; NumAgprs: 0
; TotalNumVgprs: 0
; ScratchSize: 0
; MemoryBound: 0
; FloatMode: 240
; IeeeMode: 1
; LDSByteSize: 0 bytes/workgroup (compile time only)
; SGPRBlocks: 0
; VGPRBlocks: 0
; NumSGPRsForWavesPerEU: 4
; NumVGPRsForWavesPerEU: 1
; AccumOffset: 4
; Occupancy: 8
; WaveLimiterHint : 0
; COMPUTE_PGM_RSRC2:SCRATCH_EN: 0
; COMPUTE_PGM_RSRC2:USER_SGPR: 6
; COMPUTE_PGM_RSRC2:TRAP_HANDLER: 0
; COMPUTE_PGM_RSRC2:TGID_X_EN: 1
; COMPUTE_PGM_RSRC2:TGID_Y_EN: 0
; COMPUTE_PGM_RSRC2:TGID_Z_EN: 0
; COMPUTE_PGM_RSRC2:TIDIG_COMP_CNT: 0
; COMPUTE_PGM_RSRC3_GFX90A:ACCUM_OFFSET: 0
; COMPUTE_PGM_RSRC3_GFX90A:TG_SPLIT: 0
	.section	.text._ZN7rocprim17ROCPRIM_400000_NS6detail17trampoline_kernelINS0_14default_configENS1_25partition_config_selectorILNS1_17partition_subalgoE1ExNS0_10empty_typeEbEEZZNS1_14partition_implILS5_1ELb0ES3_jN6thrust23THRUST_200600_302600_NS6detail15normal_iteratorINSA_10device_ptrIxEEEEPS6_NSA_18transform_iteratorI7is_evenIxESF_NSA_11use_defaultESK_EENS0_5tupleIJSF_NSA_16discard_iteratorISK_EEEEENSM_IJSG_SG_EEES6_PlJS6_EEE10hipError_tPvRmT3_T4_T5_T6_T7_T9_mT8_P12ihipStream_tbDpT10_ENKUlT_T0_E_clISt17integral_constantIbLb0EES1B_EEDaS16_S17_EUlS16_E_NS1_11comp_targetILNS1_3genE10ELNS1_11target_archE1200ELNS1_3gpuE4ELNS1_3repE0EEENS1_30default_config_static_selectorELNS0_4arch9wavefront6targetE1EEEvT1_,"axG",@progbits,_ZN7rocprim17ROCPRIM_400000_NS6detail17trampoline_kernelINS0_14default_configENS1_25partition_config_selectorILNS1_17partition_subalgoE1ExNS0_10empty_typeEbEEZZNS1_14partition_implILS5_1ELb0ES3_jN6thrust23THRUST_200600_302600_NS6detail15normal_iteratorINSA_10device_ptrIxEEEEPS6_NSA_18transform_iteratorI7is_evenIxESF_NSA_11use_defaultESK_EENS0_5tupleIJSF_NSA_16discard_iteratorISK_EEEEENSM_IJSG_SG_EEES6_PlJS6_EEE10hipError_tPvRmT3_T4_T5_T6_T7_T9_mT8_P12ihipStream_tbDpT10_ENKUlT_T0_E_clISt17integral_constantIbLb0EES1B_EEDaS16_S17_EUlS16_E_NS1_11comp_targetILNS1_3genE10ELNS1_11target_archE1200ELNS1_3gpuE4ELNS1_3repE0EEENS1_30default_config_static_selectorELNS0_4arch9wavefront6targetE1EEEvT1_,comdat
	.protected	_ZN7rocprim17ROCPRIM_400000_NS6detail17trampoline_kernelINS0_14default_configENS1_25partition_config_selectorILNS1_17partition_subalgoE1ExNS0_10empty_typeEbEEZZNS1_14partition_implILS5_1ELb0ES3_jN6thrust23THRUST_200600_302600_NS6detail15normal_iteratorINSA_10device_ptrIxEEEEPS6_NSA_18transform_iteratorI7is_evenIxESF_NSA_11use_defaultESK_EENS0_5tupleIJSF_NSA_16discard_iteratorISK_EEEEENSM_IJSG_SG_EEES6_PlJS6_EEE10hipError_tPvRmT3_T4_T5_T6_T7_T9_mT8_P12ihipStream_tbDpT10_ENKUlT_T0_E_clISt17integral_constantIbLb0EES1B_EEDaS16_S17_EUlS16_E_NS1_11comp_targetILNS1_3genE10ELNS1_11target_archE1200ELNS1_3gpuE4ELNS1_3repE0EEENS1_30default_config_static_selectorELNS0_4arch9wavefront6targetE1EEEvT1_ ; -- Begin function _ZN7rocprim17ROCPRIM_400000_NS6detail17trampoline_kernelINS0_14default_configENS1_25partition_config_selectorILNS1_17partition_subalgoE1ExNS0_10empty_typeEbEEZZNS1_14partition_implILS5_1ELb0ES3_jN6thrust23THRUST_200600_302600_NS6detail15normal_iteratorINSA_10device_ptrIxEEEEPS6_NSA_18transform_iteratorI7is_evenIxESF_NSA_11use_defaultESK_EENS0_5tupleIJSF_NSA_16discard_iteratorISK_EEEEENSM_IJSG_SG_EEES6_PlJS6_EEE10hipError_tPvRmT3_T4_T5_T6_T7_T9_mT8_P12ihipStream_tbDpT10_ENKUlT_T0_E_clISt17integral_constantIbLb0EES1B_EEDaS16_S17_EUlS16_E_NS1_11comp_targetILNS1_3genE10ELNS1_11target_archE1200ELNS1_3gpuE4ELNS1_3repE0EEENS1_30default_config_static_selectorELNS0_4arch9wavefront6targetE1EEEvT1_
	.globl	_ZN7rocprim17ROCPRIM_400000_NS6detail17trampoline_kernelINS0_14default_configENS1_25partition_config_selectorILNS1_17partition_subalgoE1ExNS0_10empty_typeEbEEZZNS1_14partition_implILS5_1ELb0ES3_jN6thrust23THRUST_200600_302600_NS6detail15normal_iteratorINSA_10device_ptrIxEEEEPS6_NSA_18transform_iteratorI7is_evenIxESF_NSA_11use_defaultESK_EENS0_5tupleIJSF_NSA_16discard_iteratorISK_EEEEENSM_IJSG_SG_EEES6_PlJS6_EEE10hipError_tPvRmT3_T4_T5_T6_T7_T9_mT8_P12ihipStream_tbDpT10_ENKUlT_T0_E_clISt17integral_constantIbLb0EES1B_EEDaS16_S17_EUlS16_E_NS1_11comp_targetILNS1_3genE10ELNS1_11target_archE1200ELNS1_3gpuE4ELNS1_3repE0EEENS1_30default_config_static_selectorELNS0_4arch9wavefront6targetE1EEEvT1_
	.p2align	8
	.type	_ZN7rocprim17ROCPRIM_400000_NS6detail17trampoline_kernelINS0_14default_configENS1_25partition_config_selectorILNS1_17partition_subalgoE1ExNS0_10empty_typeEbEEZZNS1_14partition_implILS5_1ELb0ES3_jN6thrust23THRUST_200600_302600_NS6detail15normal_iteratorINSA_10device_ptrIxEEEEPS6_NSA_18transform_iteratorI7is_evenIxESF_NSA_11use_defaultESK_EENS0_5tupleIJSF_NSA_16discard_iteratorISK_EEEEENSM_IJSG_SG_EEES6_PlJS6_EEE10hipError_tPvRmT3_T4_T5_T6_T7_T9_mT8_P12ihipStream_tbDpT10_ENKUlT_T0_E_clISt17integral_constantIbLb0EES1B_EEDaS16_S17_EUlS16_E_NS1_11comp_targetILNS1_3genE10ELNS1_11target_archE1200ELNS1_3gpuE4ELNS1_3repE0EEENS1_30default_config_static_selectorELNS0_4arch9wavefront6targetE1EEEvT1_,@function
_ZN7rocprim17ROCPRIM_400000_NS6detail17trampoline_kernelINS0_14default_configENS1_25partition_config_selectorILNS1_17partition_subalgoE1ExNS0_10empty_typeEbEEZZNS1_14partition_implILS5_1ELb0ES3_jN6thrust23THRUST_200600_302600_NS6detail15normal_iteratorINSA_10device_ptrIxEEEEPS6_NSA_18transform_iteratorI7is_evenIxESF_NSA_11use_defaultESK_EENS0_5tupleIJSF_NSA_16discard_iteratorISK_EEEEENSM_IJSG_SG_EEES6_PlJS6_EEE10hipError_tPvRmT3_T4_T5_T6_T7_T9_mT8_P12ihipStream_tbDpT10_ENKUlT_T0_E_clISt17integral_constantIbLb0EES1B_EEDaS16_S17_EUlS16_E_NS1_11comp_targetILNS1_3genE10ELNS1_11target_archE1200ELNS1_3gpuE4ELNS1_3repE0EEENS1_30default_config_static_selectorELNS0_4arch9wavefront6targetE1EEEvT1_: ; @_ZN7rocprim17ROCPRIM_400000_NS6detail17trampoline_kernelINS0_14default_configENS1_25partition_config_selectorILNS1_17partition_subalgoE1ExNS0_10empty_typeEbEEZZNS1_14partition_implILS5_1ELb0ES3_jN6thrust23THRUST_200600_302600_NS6detail15normal_iteratorINSA_10device_ptrIxEEEEPS6_NSA_18transform_iteratorI7is_evenIxESF_NSA_11use_defaultESK_EENS0_5tupleIJSF_NSA_16discard_iteratorISK_EEEEENSM_IJSG_SG_EEES6_PlJS6_EEE10hipError_tPvRmT3_T4_T5_T6_T7_T9_mT8_P12ihipStream_tbDpT10_ENKUlT_T0_E_clISt17integral_constantIbLb0EES1B_EEDaS16_S17_EUlS16_E_NS1_11comp_targetILNS1_3genE10ELNS1_11target_archE1200ELNS1_3gpuE4ELNS1_3repE0EEENS1_30default_config_static_selectorELNS0_4arch9wavefront6targetE1EEEvT1_
; %bb.0:
	.section	.rodata,"a",@progbits
	.p2align	6, 0x0
	.amdhsa_kernel _ZN7rocprim17ROCPRIM_400000_NS6detail17trampoline_kernelINS0_14default_configENS1_25partition_config_selectorILNS1_17partition_subalgoE1ExNS0_10empty_typeEbEEZZNS1_14partition_implILS5_1ELb0ES3_jN6thrust23THRUST_200600_302600_NS6detail15normal_iteratorINSA_10device_ptrIxEEEEPS6_NSA_18transform_iteratorI7is_evenIxESF_NSA_11use_defaultESK_EENS0_5tupleIJSF_NSA_16discard_iteratorISK_EEEEENSM_IJSG_SG_EEES6_PlJS6_EEE10hipError_tPvRmT3_T4_T5_T6_T7_T9_mT8_P12ihipStream_tbDpT10_ENKUlT_T0_E_clISt17integral_constantIbLb0EES1B_EEDaS16_S17_EUlS16_E_NS1_11comp_targetILNS1_3genE10ELNS1_11target_archE1200ELNS1_3gpuE4ELNS1_3repE0EEENS1_30default_config_static_selectorELNS0_4arch9wavefront6targetE1EEEvT1_
		.amdhsa_group_segment_fixed_size 0
		.amdhsa_private_segment_fixed_size 0
		.amdhsa_kernarg_size 136
		.amdhsa_user_sgpr_count 6
		.amdhsa_user_sgpr_private_segment_buffer 1
		.amdhsa_user_sgpr_dispatch_ptr 0
		.amdhsa_user_sgpr_queue_ptr 0
		.amdhsa_user_sgpr_kernarg_segment_ptr 1
		.amdhsa_user_sgpr_dispatch_id 0
		.amdhsa_user_sgpr_flat_scratch_init 0
		.amdhsa_user_sgpr_kernarg_preload_length 0
		.amdhsa_user_sgpr_kernarg_preload_offset 0
		.amdhsa_user_sgpr_private_segment_size 0
		.amdhsa_uses_dynamic_stack 0
		.amdhsa_system_sgpr_private_segment_wavefront_offset 0
		.amdhsa_system_sgpr_workgroup_id_x 1
		.amdhsa_system_sgpr_workgroup_id_y 0
		.amdhsa_system_sgpr_workgroup_id_z 0
		.amdhsa_system_sgpr_workgroup_info 0
		.amdhsa_system_vgpr_workitem_id 0
		.amdhsa_next_free_vgpr 1
		.amdhsa_next_free_sgpr 0
		.amdhsa_accum_offset 4
		.amdhsa_reserve_vcc 0
		.amdhsa_reserve_flat_scratch 0
		.amdhsa_float_round_mode_32 0
		.amdhsa_float_round_mode_16_64 0
		.amdhsa_float_denorm_mode_32 3
		.amdhsa_float_denorm_mode_16_64 3
		.amdhsa_dx10_clamp 1
		.amdhsa_ieee_mode 1
		.amdhsa_fp16_overflow 0
		.amdhsa_tg_split 0
		.amdhsa_exception_fp_ieee_invalid_op 0
		.amdhsa_exception_fp_denorm_src 0
		.amdhsa_exception_fp_ieee_div_zero 0
		.amdhsa_exception_fp_ieee_overflow 0
		.amdhsa_exception_fp_ieee_underflow 0
		.amdhsa_exception_fp_ieee_inexact 0
		.amdhsa_exception_int_div_zero 0
	.end_amdhsa_kernel
	.section	.text._ZN7rocprim17ROCPRIM_400000_NS6detail17trampoline_kernelINS0_14default_configENS1_25partition_config_selectorILNS1_17partition_subalgoE1ExNS0_10empty_typeEbEEZZNS1_14partition_implILS5_1ELb0ES3_jN6thrust23THRUST_200600_302600_NS6detail15normal_iteratorINSA_10device_ptrIxEEEEPS6_NSA_18transform_iteratorI7is_evenIxESF_NSA_11use_defaultESK_EENS0_5tupleIJSF_NSA_16discard_iteratorISK_EEEEENSM_IJSG_SG_EEES6_PlJS6_EEE10hipError_tPvRmT3_T4_T5_T6_T7_T9_mT8_P12ihipStream_tbDpT10_ENKUlT_T0_E_clISt17integral_constantIbLb0EES1B_EEDaS16_S17_EUlS16_E_NS1_11comp_targetILNS1_3genE10ELNS1_11target_archE1200ELNS1_3gpuE4ELNS1_3repE0EEENS1_30default_config_static_selectorELNS0_4arch9wavefront6targetE1EEEvT1_,"axG",@progbits,_ZN7rocprim17ROCPRIM_400000_NS6detail17trampoline_kernelINS0_14default_configENS1_25partition_config_selectorILNS1_17partition_subalgoE1ExNS0_10empty_typeEbEEZZNS1_14partition_implILS5_1ELb0ES3_jN6thrust23THRUST_200600_302600_NS6detail15normal_iteratorINSA_10device_ptrIxEEEEPS6_NSA_18transform_iteratorI7is_evenIxESF_NSA_11use_defaultESK_EENS0_5tupleIJSF_NSA_16discard_iteratorISK_EEEEENSM_IJSG_SG_EEES6_PlJS6_EEE10hipError_tPvRmT3_T4_T5_T6_T7_T9_mT8_P12ihipStream_tbDpT10_ENKUlT_T0_E_clISt17integral_constantIbLb0EES1B_EEDaS16_S17_EUlS16_E_NS1_11comp_targetILNS1_3genE10ELNS1_11target_archE1200ELNS1_3gpuE4ELNS1_3repE0EEENS1_30default_config_static_selectorELNS0_4arch9wavefront6targetE1EEEvT1_,comdat
.Lfunc_end3200:
	.size	_ZN7rocprim17ROCPRIM_400000_NS6detail17trampoline_kernelINS0_14default_configENS1_25partition_config_selectorILNS1_17partition_subalgoE1ExNS0_10empty_typeEbEEZZNS1_14partition_implILS5_1ELb0ES3_jN6thrust23THRUST_200600_302600_NS6detail15normal_iteratorINSA_10device_ptrIxEEEEPS6_NSA_18transform_iteratorI7is_evenIxESF_NSA_11use_defaultESK_EENS0_5tupleIJSF_NSA_16discard_iteratorISK_EEEEENSM_IJSG_SG_EEES6_PlJS6_EEE10hipError_tPvRmT3_T4_T5_T6_T7_T9_mT8_P12ihipStream_tbDpT10_ENKUlT_T0_E_clISt17integral_constantIbLb0EES1B_EEDaS16_S17_EUlS16_E_NS1_11comp_targetILNS1_3genE10ELNS1_11target_archE1200ELNS1_3gpuE4ELNS1_3repE0EEENS1_30default_config_static_selectorELNS0_4arch9wavefront6targetE1EEEvT1_, .Lfunc_end3200-_ZN7rocprim17ROCPRIM_400000_NS6detail17trampoline_kernelINS0_14default_configENS1_25partition_config_selectorILNS1_17partition_subalgoE1ExNS0_10empty_typeEbEEZZNS1_14partition_implILS5_1ELb0ES3_jN6thrust23THRUST_200600_302600_NS6detail15normal_iteratorINSA_10device_ptrIxEEEEPS6_NSA_18transform_iteratorI7is_evenIxESF_NSA_11use_defaultESK_EENS0_5tupleIJSF_NSA_16discard_iteratorISK_EEEEENSM_IJSG_SG_EEES6_PlJS6_EEE10hipError_tPvRmT3_T4_T5_T6_T7_T9_mT8_P12ihipStream_tbDpT10_ENKUlT_T0_E_clISt17integral_constantIbLb0EES1B_EEDaS16_S17_EUlS16_E_NS1_11comp_targetILNS1_3genE10ELNS1_11target_archE1200ELNS1_3gpuE4ELNS1_3repE0EEENS1_30default_config_static_selectorELNS0_4arch9wavefront6targetE1EEEvT1_
                                        ; -- End function
	.section	.AMDGPU.csdata,"",@progbits
; Kernel info:
; codeLenInByte = 0
; NumSgprs: 4
; NumVgprs: 0
; NumAgprs: 0
; TotalNumVgprs: 0
; ScratchSize: 0
; MemoryBound: 0
; FloatMode: 240
; IeeeMode: 1
; LDSByteSize: 0 bytes/workgroup (compile time only)
; SGPRBlocks: 0
; VGPRBlocks: 0
; NumSGPRsForWavesPerEU: 4
; NumVGPRsForWavesPerEU: 1
; AccumOffset: 4
; Occupancy: 8
; WaveLimiterHint : 0
; COMPUTE_PGM_RSRC2:SCRATCH_EN: 0
; COMPUTE_PGM_RSRC2:USER_SGPR: 6
; COMPUTE_PGM_RSRC2:TRAP_HANDLER: 0
; COMPUTE_PGM_RSRC2:TGID_X_EN: 1
; COMPUTE_PGM_RSRC2:TGID_Y_EN: 0
; COMPUTE_PGM_RSRC2:TGID_Z_EN: 0
; COMPUTE_PGM_RSRC2:TIDIG_COMP_CNT: 0
; COMPUTE_PGM_RSRC3_GFX90A:ACCUM_OFFSET: 0
; COMPUTE_PGM_RSRC3_GFX90A:TG_SPLIT: 0
	.section	.text._ZN7rocprim17ROCPRIM_400000_NS6detail17trampoline_kernelINS0_14default_configENS1_25partition_config_selectorILNS1_17partition_subalgoE1ExNS0_10empty_typeEbEEZZNS1_14partition_implILS5_1ELb0ES3_jN6thrust23THRUST_200600_302600_NS6detail15normal_iteratorINSA_10device_ptrIxEEEEPS6_NSA_18transform_iteratorI7is_evenIxESF_NSA_11use_defaultESK_EENS0_5tupleIJSF_NSA_16discard_iteratorISK_EEEEENSM_IJSG_SG_EEES6_PlJS6_EEE10hipError_tPvRmT3_T4_T5_T6_T7_T9_mT8_P12ihipStream_tbDpT10_ENKUlT_T0_E_clISt17integral_constantIbLb0EES1B_EEDaS16_S17_EUlS16_E_NS1_11comp_targetILNS1_3genE9ELNS1_11target_archE1100ELNS1_3gpuE3ELNS1_3repE0EEENS1_30default_config_static_selectorELNS0_4arch9wavefront6targetE1EEEvT1_,"axG",@progbits,_ZN7rocprim17ROCPRIM_400000_NS6detail17trampoline_kernelINS0_14default_configENS1_25partition_config_selectorILNS1_17partition_subalgoE1ExNS0_10empty_typeEbEEZZNS1_14partition_implILS5_1ELb0ES3_jN6thrust23THRUST_200600_302600_NS6detail15normal_iteratorINSA_10device_ptrIxEEEEPS6_NSA_18transform_iteratorI7is_evenIxESF_NSA_11use_defaultESK_EENS0_5tupleIJSF_NSA_16discard_iteratorISK_EEEEENSM_IJSG_SG_EEES6_PlJS6_EEE10hipError_tPvRmT3_T4_T5_T6_T7_T9_mT8_P12ihipStream_tbDpT10_ENKUlT_T0_E_clISt17integral_constantIbLb0EES1B_EEDaS16_S17_EUlS16_E_NS1_11comp_targetILNS1_3genE9ELNS1_11target_archE1100ELNS1_3gpuE3ELNS1_3repE0EEENS1_30default_config_static_selectorELNS0_4arch9wavefront6targetE1EEEvT1_,comdat
	.protected	_ZN7rocprim17ROCPRIM_400000_NS6detail17trampoline_kernelINS0_14default_configENS1_25partition_config_selectorILNS1_17partition_subalgoE1ExNS0_10empty_typeEbEEZZNS1_14partition_implILS5_1ELb0ES3_jN6thrust23THRUST_200600_302600_NS6detail15normal_iteratorINSA_10device_ptrIxEEEEPS6_NSA_18transform_iteratorI7is_evenIxESF_NSA_11use_defaultESK_EENS0_5tupleIJSF_NSA_16discard_iteratorISK_EEEEENSM_IJSG_SG_EEES6_PlJS6_EEE10hipError_tPvRmT3_T4_T5_T6_T7_T9_mT8_P12ihipStream_tbDpT10_ENKUlT_T0_E_clISt17integral_constantIbLb0EES1B_EEDaS16_S17_EUlS16_E_NS1_11comp_targetILNS1_3genE9ELNS1_11target_archE1100ELNS1_3gpuE3ELNS1_3repE0EEENS1_30default_config_static_selectorELNS0_4arch9wavefront6targetE1EEEvT1_ ; -- Begin function _ZN7rocprim17ROCPRIM_400000_NS6detail17trampoline_kernelINS0_14default_configENS1_25partition_config_selectorILNS1_17partition_subalgoE1ExNS0_10empty_typeEbEEZZNS1_14partition_implILS5_1ELb0ES3_jN6thrust23THRUST_200600_302600_NS6detail15normal_iteratorINSA_10device_ptrIxEEEEPS6_NSA_18transform_iteratorI7is_evenIxESF_NSA_11use_defaultESK_EENS0_5tupleIJSF_NSA_16discard_iteratorISK_EEEEENSM_IJSG_SG_EEES6_PlJS6_EEE10hipError_tPvRmT3_T4_T5_T6_T7_T9_mT8_P12ihipStream_tbDpT10_ENKUlT_T0_E_clISt17integral_constantIbLb0EES1B_EEDaS16_S17_EUlS16_E_NS1_11comp_targetILNS1_3genE9ELNS1_11target_archE1100ELNS1_3gpuE3ELNS1_3repE0EEENS1_30default_config_static_selectorELNS0_4arch9wavefront6targetE1EEEvT1_
	.globl	_ZN7rocprim17ROCPRIM_400000_NS6detail17trampoline_kernelINS0_14default_configENS1_25partition_config_selectorILNS1_17partition_subalgoE1ExNS0_10empty_typeEbEEZZNS1_14partition_implILS5_1ELb0ES3_jN6thrust23THRUST_200600_302600_NS6detail15normal_iteratorINSA_10device_ptrIxEEEEPS6_NSA_18transform_iteratorI7is_evenIxESF_NSA_11use_defaultESK_EENS0_5tupleIJSF_NSA_16discard_iteratorISK_EEEEENSM_IJSG_SG_EEES6_PlJS6_EEE10hipError_tPvRmT3_T4_T5_T6_T7_T9_mT8_P12ihipStream_tbDpT10_ENKUlT_T0_E_clISt17integral_constantIbLb0EES1B_EEDaS16_S17_EUlS16_E_NS1_11comp_targetILNS1_3genE9ELNS1_11target_archE1100ELNS1_3gpuE3ELNS1_3repE0EEENS1_30default_config_static_selectorELNS0_4arch9wavefront6targetE1EEEvT1_
	.p2align	8
	.type	_ZN7rocprim17ROCPRIM_400000_NS6detail17trampoline_kernelINS0_14default_configENS1_25partition_config_selectorILNS1_17partition_subalgoE1ExNS0_10empty_typeEbEEZZNS1_14partition_implILS5_1ELb0ES3_jN6thrust23THRUST_200600_302600_NS6detail15normal_iteratorINSA_10device_ptrIxEEEEPS6_NSA_18transform_iteratorI7is_evenIxESF_NSA_11use_defaultESK_EENS0_5tupleIJSF_NSA_16discard_iteratorISK_EEEEENSM_IJSG_SG_EEES6_PlJS6_EEE10hipError_tPvRmT3_T4_T5_T6_T7_T9_mT8_P12ihipStream_tbDpT10_ENKUlT_T0_E_clISt17integral_constantIbLb0EES1B_EEDaS16_S17_EUlS16_E_NS1_11comp_targetILNS1_3genE9ELNS1_11target_archE1100ELNS1_3gpuE3ELNS1_3repE0EEENS1_30default_config_static_selectorELNS0_4arch9wavefront6targetE1EEEvT1_,@function
_ZN7rocprim17ROCPRIM_400000_NS6detail17trampoline_kernelINS0_14default_configENS1_25partition_config_selectorILNS1_17partition_subalgoE1ExNS0_10empty_typeEbEEZZNS1_14partition_implILS5_1ELb0ES3_jN6thrust23THRUST_200600_302600_NS6detail15normal_iteratorINSA_10device_ptrIxEEEEPS6_NSA_18transform_iteratorI7is_evenIxESF_NSA_11use_defaultESK_EENS0_5tupleIJSF_NSA_16discard_iteratorISK_EEEEENSM_IJSG_SG_EEES6_PlJS6_EEE10hipError_tPvRmT3_T4_T5_T6_T7_T9_mT8_P12ihipStream_tbDpT10_ENKUlT_T0_E_clISt17integral_constantIbLb0EES1B_EEDaS16_S17_EUlS16_E_NS1_11comp_targetILNS1_3genE9ELNS1_11target_archE1100ELNS1_3gpuE3ELNS1_3repE0EEENS1_30default_config_static_selectorELNS0_4arch9wavefront6targetE1EEEvT1_: ; @_ZN7rocprim17ROCPRIM_400000_NS6detail17trampoline_kernelINS0_14default_configENS1_25partition_config_selectorILNS1_17partition_subalgoE1ExNS0_10empty_typeEbEEZZNS1_14partition_implILS5_1ELb0ES3_jN6thrust23THRUST_200600_302600_NS6detail15normal_iteratorINSA_10device_ptrIxEEEEPS6_NSA_18transform_iteratorI7is_evenIxESF_NSA_11use_defaultESK_EENS0_5tupleIJSF_NSA_16discard_iteratorISK_EEEEENSM_IJSG_SG_EEES6_PlJS6_EEE10hipError_tPvRmT3_T4_T5_T6_T7_T9_mT8_P12ihipStream_tbDpT10_ENKUlT_T0_E_clISt17integral_constantIbLb0EES1B_EEDaS16_S17_EUlS16_E_NS1_11comp_targetILNS1_3genE9ELNS1_11target_archE1100ELNS1_3gpuE3ELNS1_3repE0EEENS1_30default_config_static_selectorELNS0_4arch9wavefront6targetE1EEEvT1_
; %bb.0:
	.section	.rodata,"a",@progbits
	.p2align	6, 0x0
	.amdhsa_kernel _ZN7rocprim17ROCPRIM_400000_NS6detail17trampoline_kernelINS0_14default_configENS1_25partition_config_selectorILNS1_17partition_subalgoE1ExNS0_10empty_typeEbEEZZNS1_14partition_implILS5_1ELb0ES3_jN6thrust23THRUST_200600_302600_NS6detail15normal_iteratorINSA_10device_ptrIxEEEEPS6_NSA_18transform_iteratorI7is_evenIxESF_NSA_11use_defaultESK_EENS0_5tupleIJSF_NSA_16discard_iteratorISK_EEEEENSM_IJSG_SG_EEES6_PlJS6_EEE10hipError_tPvRmT3_T4_T5_T6_T7_T9_mT8_P12ihipStream_tbDpT10_ENKUlT_T0_E_clISt17integral_constantIbLb0EES1B_EEDaS16_S17_EUlS16_E_NS1_11comp_targetILNS1_3genE9ELNS1_11target_archE1100ELNS1_3gpuE3ELNS1_3repE0EEENS1_30default_config_static_selectorELNS0_4arch9wavefront6targetE1EEEvT1_
		.amdhsa_group_segment_fixed_size 0
		.amdhsa_private_segment_fixed_size 0
		.amdhsa_kernarg_size 136
		.amdhsa_user_sgpr_count 6
		.amdhsa_user_sgpr_private_segment_buffer 1
		.amdhsa_user_sgpr_dispatch_ptr 0
		.amdhsa_user_sgpr_queue_ptr 0
		.amdhsa_user_sgpr_kernarg_segment_ptr 1
		.amdhsa_user_sgpr_dispatch_id 0
		.amdhsa_user_sgpr_flat_scratch_init 0
		.amdhsa_user_sgpr_kernarg_preload_length 0
		.amdhsa_user_sgpr_kernarg_preload_offset 0
		.amdhsa_user_sgpr_private_segment_size 0
		.amdhsa_uses_dynamic_stack 0
		.amdhsa_system_sgpr_private_segment_wavefront_offset 0
		.amdhsa_system_sgpr_workgroup_id_x 1
		.amdhsa_system_sgpr_workgroup_id_y 0
		.amdhsa_system_sgpr_workgroup_id_z 0
		.amdhsa_system_sgpr_workgroup_info 0
		.amdhsa_system_vgpr_workitem_id 0
		.amdhsa_next_free_vgpr 1
		.amdhsa_next_free_sgpr 0
		.amdhsa_accum_offset 4
		.amdhsa_reserve_vcc 0
		.amdhsa_reserve_flat_scratch 0
		.amdhsa_float_round_mode_32 0
		.amdhsa_float_round_mode_16_64 0
		.amdhsa_float_denorm_mode_32 3
		.amdhsa_float_denorm_mode_16_64 3
		.amdhsa_dx10_clamp 1
		.amdhsa_ieee_mode 1
		.amdhsa_fp16_overflow 0
		.amdhsa_tg_split 0
		.amdhsa_exception_fp_ieee_invalid_op 0
		.amdhsa_exception_fp_denorm_src 0
		.amdhsa_exception_fp_ieee_div_zero 0
		.amdhsa_exception_fp_ieee_overflow 0
		.amdhsa_exception_fp_ieee_underflow 0
		.amdhsa_exception_fp_ieee_inexact 0
		.amdhsa_exception_int_div_zero 0
	.end_amdhsa_kernel
	.section	.text._ZN7rocprim17ROCPRIM_400000_NS6detail17trampoline_kernelINS0_14default_configENS1_25partition_config_selectorILNS1_17partition_subalgoE1ExNS0_10empty_typeEbEEZZNS1_14partition_implILS5_1ELb0ES3_jN6thrust23THRUST_200600_302600_NS6detail15normal_iteratorINSA_10device_ptrIxEEEEPS6_NSA_18transform_iteratorI7is_evenIxESF_NSA_11use_defaultESK_EENS0_5tupleIJSF_NSA_16discard_iteratorISK_EEEEENSM_IJSG_SG_EEES6_PlJS6_EEE10hipError_tPvRmT3_T4_T5_T6_T7_T9_mT8_P12ihipStream_tbDpT10_ENKUlT_T0_E_clISt17integral_constantIbLb0EES1B_EEDaS16_S17_EUlS16_E_NS1_11comp_targetILNS1_3genE9ELNS1_11target_archE1100ELNS1_3gpuE3ELNS1_3repE0EEENS1_30default_config_static_selectorELNS0_4arch9wavefront6targetE1EEEvT1_,"axG",@progbits,_ZN7rocprim17ROCPRIM_400000_NS6detail17trampoline_kernelINS0_14default_configENS1_25partition_config_selectorILNS1_17partition_subalgoE1ExNS0_10empty_typeEbEEZZNS1_14partition_implILS5_1ELb0ES3_jN6thrust23THRUST_200600_302600_NS6detail15normal_iteratorINSA_10device_ptrIxEEEEPS6_NSA_18transform_iteratorI7is_evenIxESF_NSA_11use_defaultESK_EENS0_5tupleIJSF_NSA_16discard_iteratorISK_EEEEENSM_IJSG_SG_EEES6_PlJS6_EEE10hipError_tPvRmT3_T4_T5_T6_T7_T9_mT8_P12ihipStream_tbDpT10_ENKUlT_T0_E_clISt17integral_constantIbLb0EES1B_EEDaS16_S17_EUlS16_E_NS1_11comp_targetILNS1_3genE9ELNS1_11target_archE1100ELNS1_3gpuE3ELNS1_3repE0EEENS1_30default_config_static_selectorELNS0_4arch9wavefront6targetE1EEEvT1_,comdat
.Lfunc_end3201:
	.size	_ZN7rocprim17ROCPRIM_400000_NS6detail17trampoline_kernelINS0_14default_configENS1_25partition_config_selectorILNS1_17partition_subalgoE1ExNS0_10empty_typeEbEEZZNS1_14partition_implILS5_1ELb0ES3_jN6thrust23THRUST_200600_302600_NS6detail15normal_iteratorINSA_10device_ptrIxEEEEPS6_NSA_18transform_iteratorI7is_evenIxESF_NSA_11use_defaultESK_EENS0_5tupleIJSF_NSA_16discard_iteratorISK_EEEEENSM_IJSG_SG_EEES6_PlJS6_EEE10hipError_tPvRmT3_T4_T5_T6_T7_T9_mT8_P12ihipStream_tbDpT10_ENKUlT_T0_E_clISt17integral_constantIbLb0EES1B_EEDaS16_S17_EUlS16_E_NS1_11comp_targetILNS1_3genE9ELNS1_11target_archE1100ELNS1_3gpuE3ELNS1_3repE0EEENS1_30default_config_static_selectorELNS0_4arch9wavefront6targetE1EEEvT1_, .Lfunc_end3201-_ZN7rocprim17ROCPRIM_400000_NS6detail17trampoline_kernelINS0_14default_configENS1_25partition_config_selectorILNS1_17partition_subalgoE1ExNS0_10empty_typeEbEEZZNS1_14partition_implILS5_1ELb0ES3_jN6thrust23THRUST_200600_302600_NS6detail15normal_iteratorINSA_10device_ptrIxEEEEPS6_NSA_18transform_iteratorI7is_evenIxESF_NSA_11use_defaultESK_EENS0_5tupleIJSF_NSA_16discard_iteratorISK_EEEEENSM_IJSG_SG_EEES6_PlJS6_EEE10hipError_tPvRmT3_T4_T5_T6_T7_T9_mT8_P12ihipStream_tbDpT10_ENKUlT_T0_E_clISt17integral_constantIbLb0EES1B_EEDaS16_S17_EUlS16_E_NS1_11comp_targetILNS1_3genE9ELNS1_11target_archE1100ELNS1_3gpuE3ELNS1_3repE0EEENS1_30default_config_static_selectorELNS0_4arch9wavefront6targetE1EEEvT1_
                                        ; -- End function
	.section	.AMDGPU.csdata,"",@progbits
; Kernel info:
; codeLenInByte = 0
; NumSgprs: 4
; NumVgprs: 0
; NumAgprs: 0
; TotalNumVgprs: 0
; ScratchSize: 0
; MemoryBound: 0
; FloatMode: 240
; IeeeMode: 1
; LDSByteSize: 0 bytes/workgroup (compile time only)
; SGPRBlocks: 0
; VGPRBlocks: 0
; NumSGPRsForWavesPerEU: 4
; NumVGPRsForWavesPerEU: 1
; AccumOffset: 4
; Occupancy: 8
; WaveLimiterHint : 0
; COMPUTE_PGM_RSRC2:SCRATCH_EN: 0
; COMPUTE_PGM_RSRC2:USER_SGPR: 6
; COMPUTE_PGM_RSRC2:TRAP_HANDLER: 0
; COMPUTE_PGM_RSRC2:TGID_X_EN: 1
; COMPUTE_PGM_RSRC2:TGID_Y_EN: 0
; COMPUTE_PGM_RSRC2:TGID_Z_EN: 0
; COMPUTE_PGM_RSRC2:TIDIG_COMP_CNT: 0
; COMPUTE_PGM_RSRC3_GFX90A:ACCUM_OFFSET: 0
; COMPUTE_PGM_RSRC3_GFX90A:TG_SPLIT: 0
	.section	.text._ZN7rocprim17ROCPRIM_400000_NS6detail17trampoline_kernelINS0_14default_configENS1_25partition_config_selectorILNS1_17partition_subalgoE1ExNS0_10empty_typeEbEEZZNS1_14partition_implILS5_1ELb0ES3_jN6thrust23THRUST_200600_302600_NS6detail15normal_iteratorINSA_10device_ptrIxEEEEPS6_NSA_18transform_iteratorI7is_evenIxESF_NSA_11use_defaultESK_EENS0_5tupleIJSF_NSA_16discard_iteratorISK_EEEEENSM_IJSG_SG_EEES6_PlJS6_EEE10hipError_tPvRmT3_T4_T5_T6_T7_T9_mT8_P12ihipStream_tbDpT10_ENKUlT_T0_E_clISt17integral_constantIbLb0EES1B_EEDaS16_S17_EUlS16_E_NS1_11comp_targetILNS1_3genE8ELNS1_11target_archE1030ELNS1_3gpuE2ELNS1_3repE0EEENS1_30default_config_static_selectorELNS0_4arch9wavefront6targetE1EEEvT1_,"axG",@progbits,_ZN7rocprim17ROCPRIM_400000_NS6detail17trampoline_kernelINS0_14default_configENS1_25partition_config_selectorILNS1_17partition_subalgoE1ExNS0_10empty_typeEbEEZZNS1_14partition_implILS5_1ELb0ES3_jN6thrust23THRUST_200600_302600_NS6detail15normal_iteratorINSA_10device_ptrIxEEEEPS6_NSA_18transform_iteratorI7is_evenIxESF_NSA_11use_defaultESK_EENS0_5tupleIJSF_NSA_16discard_iteratorISK_EEEEENSM_IJSG_SG_EEES6_PlJS6_EEE10hipError_tPvRmT3_T4_T5_T6_T7_T9_mT8_P12ihipStream_tbDpT10_ENKUlT_T0_E_clISt17integral_constantIbLb0EES1B_EEDaS16_S17_EUlS16_E_NS1_11comp_targetILNS1_3genE8ELNS1_11target_archE1030ELNS1_3gpuE2ELNS1_3repE0EEENS1_30default_config_static_selectorELNS0_4arch9wavefront6targetE1EEEvT1_,comdat
	.protected	_ZN7rocprim17ROCPRIM_400000_NS6detail17trampoline_kernelINS0_14default_configENS1_25partition_config_selectorILNS1_17partition_subalgoE1ExNS0_10empty_typeEbEEZZNS1_14partition_implILS5_1ELb0ES3_jN6thrust23THRUST_200600_302600_NS6detail15normal_iteratorINSA_10device_ptrIxEEEEPS6_NSA_18transform_iteratorI7is_evenIxESF_NSA_11use_defaultESK_EENS0_5tupleIJSF_NSA_16discard_iteratorISK_EEEEENSM_IJSG_SG_EEES6_PlJS6_EEE10hipError_tPvRmT3_T4_T5_T6_T7_T9_mT8_P12ihipStream_tbDpT10_ENKUlT_T0_E_clISt17integral_constantIbLb0EES1B_EEDaS16_S17_EUlS16_E_NS1_11comp_targetILNS1_3genE8ELNS1_11target_archE1030ELNS1_3gpuE2ELNS1_3repE0EEENS1_30default_config_static_selectorELNS0_4arch9wavefront6targetE1EEEvT1_ ; -- Begin function _ZN7rocprim17ROCPRIM_400000_NS6detail17trampoline_kernelINS0_14default_configENS1_25partition_config_selectorILNS1_17partition_subalgoE1ExNS0_10empty_typeEbEEZZNS1_14partition_implILS5_1ELb0ES3_jN6thrust23THRUST_200600_302600_NS6detail15normal_iteratorINSA_10device_ptrIxEEEEPS6_NSA_18transform_iteratorI7is_evenIxESF_NSA_11use_defaultESK_EENS0_5tupleIJSF_NSA_16discard_iteratorISK_EEEEENSM_IJSG_SG_EEES6_PlJS6_EEE10hipError_tPvRmT3_T4_T5_T6_T7_T9_mT8_P12ihipStream_tbDpT10_ENKUlT_T0_E_clISt17integral_constantIbLb0EES1B_EEDaS16_S17_EUlS16_E_NS1_11comp_targetILNS1_3genE8ELNS1_11target_archE1030ELNS1_3gpuE2ELNS1_3repE0EEENS1_30default_config_static_selectorELNS0_4arch9wavefront6targetE1EEEvT1_
	.globl	_ZN7rocprim17ROCPRIM_400000_NS6detail17trampoline_kernelINS0_14default_configENS1_25partition_config_selectorILNS1_17partition_subalgoE1ExNS0_10empty_typeEbEEZZNS1_14partition_implILS5_1ELb0ES3_jN6thrust23THRUST_200600_302600_NS6detail15normal_iteratorINSA_10device_ptrIxEEEEPS6_NSA_18transform_iteratorI7is_evenIxESF_NSA_11use_defaultESK_EENS0_5tupleIJSF_NSA_16discard_iteratorISK_EEEEENSM_IJSG_SG_EEES6_PlJS6_EEE10hipError_tPvRmT3_T4_T5_T6_T7_T9_mT8_P12ihipStream_tbDpT10_ENKUlT_T0_E_clISt17integral_constantIbLb0EES1B_EEDaS16_S17_EUlS16_E_NS1_11comp_targetILNS1_3genE8ELNS1_11target_archE1030ELNS1_3gpuE2ELNS1_3repE0EEENS1_30default_config_static_selectorELNS0_4arch9wavefront6targetE1EEEvT1_
	.p2align	8
	.type	_ZN7rocprim17ROCPRIM_400000_NS6detail17trampoline_kernelINS0_14default_configENS1_25partition_config_selectorILNS1_17partition_subalgoE1ExNS0_10empty_typeEbEEZZNS1_14partition_implILS5_1ELb0ES3_jN6thrust23THRUST_200600_302600_NS6detail15normal_iteratorINSA_10device_ptrIxEEEEPS6_NSA_18transform_iteratorI7is_evenIxESF_NSA_11use_defaultESK_EENS0_5tupleIJSF_NSA_16discard_iteratorISK_EEEEENSM_IJSG_SG_EEES6_PlJS6_EEE10hipError_tPvRmT3_T4_T5_T6_T7_T9_mT8_P12ihipStream_tbDpT10_ENKUlT_T0_E_clISt17integral_constantIbLb0EES1B_EEDaS16_S17_EUlS16_E_NS1_11comp_targetILNS1_3genE8ELNS1_11target_archE1030ELNS1_3gpuE2ELNS1_3repE0EEENS1_30default_config_static_selectorELNS0_4arch9wavefront6targetE1EEEvT1_,@function
_ZN7rocprim17ROCPRIM_400000_NS6detail17trampoline_kernelINS0_14default_configENS1_25partition_config_selectorILNS1_17partition_subalgoE1ExNS0_10empty_typeEbEEZZNS1_14partition_implILS5_1ELb0ES3_jN6thrust23THRUST_200600_302600_NS6detail15normal_iteratorINSA_10device_ptrIxEEEEPS6_NSA_18transform_iteratorI7is_evenIxESF_NSA_11use_defaultESK_EENS0_5tupleIJSF_NSA_16discard_iteratorISK_EEEEENSM_IJSG_SG_EEES6_PlJS6_EEE10hipError_tPvRmT3_T4_T5_T6_T7_T9_mT8_P12ihipStream_tbDpT10_ENKUlT_T0_E_clISt17integral_constantIbLb0EES1B_EEDaS16_S17_EUlS16_E_NS1_11comp_targetILNS1_3genE8ELNS1_11target_archE1030ELNS1_3gpuE2ELNS1_3repE0EEENS1_30default_config_static_selectorELNS0_4arch9wavefront6targetE1EEEvT1_: ; @_ZN7rocprim17ROCPRIM_400000_NS6detail17trampoline_kernelINS0_14default_configENS1_25partition_config_selectorILNS1_17partition_subalgoE1ExNS0_10empty_typeEbEEZZNS1_14partition_implILS5_1ELb0ES3_jN6thrust23THRUST_200600_302600_NS6detail15normal_iteratorINSA_10device_ptrIxEEEEPS6_NSA_18transform_iteratorI7is_evenIxESF_NSA_11use_defaultESK_EENS0_5tupleIJSF_NSA_16discard_iteratorISK_EEEEENSM_IJSG_SG_EEES6_PlJS6_EEE10hipError_tPvRmT3_T4_T5_T6_T7_T9_mT8_P12ihipStream_tbDpT10_ENKUlT_T0_E_clISt17integral_constantIbLb0EES1B_EEDaS16_S17_EUlS16_E_NS1_11comp_targetILNS1_3genE8ELNS1_11target_archE1030ELNS1_3gpuE2ELNS1_3repE0EEENS1_30default_config_static_selectorELNS0_4arch9wavefront6targetE1EEEvT1_
; %bb.0:
	.section	.rodata,"a",@progbits
	.p2align	6, 0x0
	.amdhsa_kernel _ZN7rocprim17ROCPRIM_400000_NS6detail17trampoline_kernelINS0_14default_configENS1_25partition_config_selectorILNS1_17partition_subalgoE1ExNS0_10empty_typeEbEEZZNS1_14partition_implILS5_1ELb0ES3_jN6thrust23THRUST_200600_302600_NS6detail15normal_iteratorINSA_10device_ptrIxEEEEPS6_NSA_18transform_iteratorI7is_evenIxESF_NSA_11use_defaultESK_EENS0_5tupleIJSF_NSA_16discard_iteratorISK_EEEEENSM_IJSG_SG_EEES6_PlJS6_EEE10hipError_tPvRmT3_T4_T5_T6_T7_T9_mT8_P12ihipStream_tbDpT10_ENKUlT_T0_E_clISt17integral_constantIbLb0EES1B_EEDaS16_S17_EUlS16_E_NS1_11comp_targetILNS1_3genE8ELNS1_11target_archE1030ELNS1_3gpuE2ELNS1_3repE0EEENS1_30default_config_static_selectorELNS0_4arch9wavefront6targetE1EEEvT1_
		.amdhsa_group_segment_fixed_size 0
		.amdhsa_private_segment_fixed_size 0
		.amdhsa_kernarg_size 136
		.amdhsa_user_sgpr_count 6
		.amdhsa_user_sgpr_private_segment_buffer 1
		.amdhsa_user_sgpr_dispatch_ptr 0
		.amdhsa_user_sgpr_queue_ptr 0
		.amdhsa_user_sgpr_kernarg_segment_ptr 1
		.amdhsa_user_sgpr_dispatch_id 0
		.amdhsa_user_sgpr_flat_scratch_init 0
		.amdhsa_user_sgpr_kernarg_preload_length 0
		.amdhsa_user_sgpr_kernarg_preload_offset 0
		.amdhsa_user_sgpr_private_segment_size 0
		.amdhsa_uses_dynamic_stack 0
		.amdhsa_system_sgpr_private_segment_wavefront_offset 0
		.amdhsa_system_sgpr_workgroup_id_x 1
		.amdhsa_system_sgpr_workgroup_id_y 0
		.amdhsa_system_sgpr_workgroup_id_z 0
		.amdhsa_system_sgpr_workgroup_info 0
		.amdhsa_system_vgpr_workitem_id 0
		.amdhsa_next_free_vgpr 1
		.amdhsa_next_free_sgpr 0
		.amdhsa_accum_offset 4
		.amdhsa_reserve_vcc 0
		.amdhsa_reserve_flat_scratch 0
		.amdhsa_float_round_mode_32 0
		.amdhsa_float_round_mode_16_64 0
		.amdhsa_float_denorm_mode_32 3
		.amdhsa_float_denorm_mode_16_64 3
		.amdhsa_dx10_clamp 1
		.amdhsa_ieee_mode 1
		.amdhsa_fp16_overflow 0
		.amdhsa_tg_split 0
		.amdhsa_exception_fp_ieee_invalid_op 0
		.amdhsa_exception_fp_denorm_src 0
		.amdhsa_exception_fp_ieee_div_zero 0
		.amdhsa_exception_fp_ieee_overflow 0
		.amdhsa_exception_fp_ieee_underflow 0
		.amdhsa_exception_fp_ieee_inexact 0
		.amdhsa_exception_int_div_zero 0
	.end_amdhsa_kernel
	.section	.text._ZN7rocprim17ROCPRIM_400000_NS6detail17trampoline_kernelINS0_14default_configENS1_25partition_config_selectorILNS1_17partition_subalgoE1ExNS0_10empty_typeEbEEZZNS1_14partition_implILS5_1ELb0ES3_jN6thrust23THRUST_200600_302600_NS6detail15normal_iteratorINSA_10device_ptrIxEEEEPS6_NSA_18transform_iteratorI7is_evenIxESF_NSA_11use_defaultESK_EENS0_5tupleIJSF_NSA_16discard_iteratorISK_EEEEENSM_IJSG_SG_EEES6_PlJS6_EEE10hipError_tPvRmT3_T4_T5_T6_T7_T9_mT8_P12ihipStream_tbDpT10_ENKUlT_T0_E_clISt17integral_constantIbLb0EES1B_EEDaS16_S17_EUlS16_E_NS1_11comp_targetILNS1_3genE8ELNS1_11target_archE1030ELNS1_3gpuE2ELNS1_3repE0EEENS1_30default_config_static_selectorELNS0_4arch9wavefront6targetE1EEEvT1_,"axG",@progbits,_ZN7rocprim17ROCPRIM_400000_NS6detail17trampoline_kernelINS0_14default_configENS1_25partition_config_selectorILNS1_17partition_subalgoE1ExNS0_10empty_typeEbEEZZNS1_14partition_implILS5_1ELb0ES3_jN6thrust23THRUST_200600_302600_NS6detail15normal_iteratorINSA_10device_ptrIxEEEEPS6_NSA_18transform_iteratorI7is_evenIxESF_NSA_11use_defaultESK_EENS0_5tupleIJSF_NSA_16discard_iteratorISK_EEEEENSM_IJSG_SG_EEES6_PlJS6_EEE10hipError_tPvRmT3_T4_T5_T6_T7_T9_mT8_P12ihipStream_tbDpT10_ENKUlT_T0_E_clISt17integral_constantIbLb0EES1B_EEDaS16_S17_EUlS16_E_NS1_11comp_targetILNS1_3genE8ELNS1_11target_archE1030ELNS1_3gpuE2ELNS1_3repE0EEENS1_30default_config_static_selectorELNS0_4arch9wavefront6targetE1EEEvT1_,comdat
.Lfunc_end3202:
	.size	_ZN7rocprim17ROCPRIM_400000_NS6detail17trampoline_kernelINS0_14default_configENS1_25partition_config_selectorILNS1_17partition_subalgoE1ExNS0_10empty_typeEbEEZZNS1_14partition_implILS5_1ELb0ES3_jN6thrust23THRUST_200600_302600_NS6detail15normal_iteratorINSA_10device_ptrIxEEEEPS6_NSA_18transform_iteratorI7is_evenIxESF_NSA_11use_defaultESK_EENS0_5tupleIJSF_NSA_16discard_iteratorISK_EEEEENSM_IJSG_SG_EEES6_PlJS6_EEE10hipError_tPvRmT3_T4_T5_T6_T7_T9_mT8_P12ihipStream_tbDpT10_ENKUlT_T0_E_clISt17integral_constantIbLb0EES1B_EEDaS16_S17_EUlS16_E_NS1_11comp_targetILNS1_3genE8ELNS1_11target_archE1030ELNS1_3gpuE2ELNS1_3repE0EEENS1_30default_config_static_selectorELNS0_4arch9wavefront6targetE1EEEvT1_, .Lfunc_end3202-_ZN7rocprim17ROCPRIM_400000_NS6detail17trampoline_kernelINS0_14default_configENS1_25partition_config_selectorILNS1_17partition_subalgoE1ExNS0_10empty_typeEbEEZZNS1_14partition_implILS5_1ELb0ES3_jN6thrust23THRUST_200600_302600_NS6detail15normal_iteratorINSA_10device_ptrIxEEEEPS6_NSA_18transform_iteratorI7is_evenIxESF_NSA_11use_defaultESK_EENS0_5tupleIJSF_NSA_16discard_iteratorISK_EEEEENSM_IJSG_SG_EEES6_PlJS6_EEE10hipError_tPvRmT3_T4_T5_T6_T7_T9_mT8_P12ihipStream_tbDpT10_ENKUlT_T0_E_clISt17integral_constantIbLb0EES1B_EEDaS16_S17_EUlS16_E_NS1_11comp_targetILNS1_3genE8ELNS1_11target_archE1030ELNS1_3gpuE2ELNS1_3repE0EEENS1_30default_config_static_selectorELNS0_4arch9wavefront6targetE1EEEvT1_
                                        ; -- End function
	.section	.AMDGPU.csdata,"",@progbits
; Kernel info:
; codeLenInByte = 0
; NumSgprs: 4
; NumVgprs: 0
; NumAgprs: 0
; TotalNumVgprs: 0
; ScratchSize: 0
; MemoryBound: 0
; FloatMode: 240
; IeeeMode: 1
; LDSByteSize: 0 bytes/workgroup (compile time only)
; SGPRBlocks: 0
; VGPRBlocks: 0
; NumSGPRsForWavesPerEU: 4
; NumVGPRsForWavesPerEU: 1
; AccumOffset: 4
; Occupancy: 8
; WaveLimiterHint : 0
; COMPUTE_PGM_RSRC2:SCRATCH_EN: 0
; COMPUTE_PGM_RSRC2:USER_SGPR: 6
; COMPUTE_PGM_RSRC2:TRAP_HANDLER: 0
; COMPUTE_PGM_RSRC2:TGID_X_EN: 1
; COMPUTE_PGM_RSRC2:TGID_Y_EN: 0
; COMPUTE_PGM_RSRC2:TGID_Z_EN: 0
; COMPUTE_PGM_RSRC2:TIDIG_COMP_CNT: 0
; COMPUTE_PGM_RSRC3_GFX90A:ACCUM_OFFSET: 0
; COMPUTE_PGM_RSRC3_GFX90A:TG_SPLIT: 0
	.section	.text._ZN7rocprim17ROCPRIM_400000_NS6detail17trampoline_kernelINS0_14default_configENS1_25partition_config_selectorILNS1_17partition_subalgoE1ExNS0_10empty_typeEbEEZZNS1_14partition_implILS5_1ELb0ES3_jN6thrust23THRUST_200600_302600_NS6detail15normal_iteratorINSA_10device_ptrIxEEEEPS6_NSA_18transform_iteratorI7is_evenIxESF_NSA_11use_defaultESK_EENS0_5tupleIJSF_NSA_16discard_iteratorISK_EEEEENSM_IJSG_SG_EEES6_PlJS6_EEE10hipError_tPvRmT3_T4_T5_T6_T7_T9_mT8_P12ihipStream_tbDpT10_ENKUlT_T0_E_clISt17integral_constantIbLb1EES1B_EEDaS16_S17_EUlS16_E_NS1_11comp_targetILNS1_3genE0ELNS1_11target_archE4294967295ELNS1_3gpuE0ELNS1_3repE0EEENS1_30default_config_static_selectorELNS0_4arch9wavefront6targetE1EEEvT1_,"axG",@progbits,_ZN7rocprim17ROCPRIM_400000_NS6detail17trampoline_kernelINS0_14default_configENS1_25partition_config_selectorILNS1_17partition_subalgoE1ExNS0_10empty_typeEbEEZZNS1_14partition_implILS5_1ELb0ES3_jN6thrust23THRUST_200600_302600_NS6detail15normal_iteratorINSA_10device_ptrIxEEEEPS6_NSA_18transform_iteratorI7is_evenIxESF_NSA_11use_defaultESK_EENS0_5tupleIJSF_NSA_16discard_iteratorISK_EEEEENSM_IJSG_SG_EEES6_PlJS6_EEE10hipError_tPvRmT3_T4_T5_T6_T7_T9_mT8_P12ihipStream_tbDpT10_ENKUlT_T0_E_clISt17integral_constantIbLb1EES1B_EEDaS16_S17_EUlS16_E_NS1_11comp_targetILNS1_3genE0ELNS1_11target_archE4294967295ELNS1_3gpuE0ELNS1_3repE0EEENS1_30default_config_static_selectorELNS0_4arch9wavefront6targetE1EEEvT1_,comdat
	.protected	_ZN7rocprim17ROCPRIM_400000_NS6detail17trampoline_kernelINS0_14default_configENS1_25partition_config_selectorILNS1_17partition_subalgoE1ExNS0_10empty_typeEbEEZZNS1_14partition_implILS5_1ELb0ES3_jN6thrust23THRUST_200600_302600_NS6detail15normal_iteratorINSA_10device_ptrIxEEEEPS6_NSA_18transform_iteratorI7is_evenIxESF_NSA_11use_defaultESK_EENS0_5tupleIJSF_NSA_16discard_iteratorISK_EEEEENSM_IJSG_SG_EEES6_PlJS6_EEE10hipError_tPvRmT3_T4_T5_T6_T7_T9_mT8_P12ihipStream_tbDpT10_ENKUlT_T0_E_clISt17integral_constantIbLb1EES1B_EEDaS16_S17_EUlS16_E_NS1_11comp_targetILNS1_3genE0ELNS1_11target_archE4294967295ELNS1_3gpuE0ELNS1_3repE0EEENS1_30default_config_static_selectorELNS0_4arch9wavefront6targetE1EEEvT1_ ; -- Begin function _ZN7rocprim17ROCPRIM_400000_NS6detail17trampoline_kernelINS0_14default_configENS1_25partition_config_selectorILNS1_17partition_subalgoE1ExNS0_10empty_typeEbEEZZNS1_14partition_implILS5_1ELb0ES3_jN6thrust23THRUST_200600_302600_NS6detail15normal_iteratorINSA_10device_ptrIxEEEEPS6_NSA_18transform_iteratorI7is_evenIxESF_NSA_11use_defaultESK_EENS0_5tupleIJSF_NSA_16discard_iteratorISK_EEEEENSM_IJSG_SG_EEES6_PlJS6_EEE10hipError_tPvRmT3_T4_T5_T6_T7_T9_mT8_P12ihipStream_tbDpT10_ENKUlT_T0_E_clISt17integral_constantIbLb1EES1B_EEDaS16_S17_EUlS16_E_NS1_11comp_targetILNS1_3genE0ELNS1_11target_archE4294967295ELNS1_3gpuE0ELNS1_3repE0EEENS1_30default_config_static_selectorELNS0_4arch9wavefront6targetE1EEEvT1_
	.globl	_ZN7rocprim17ROCPRIM_400000_NS6detail17trampoline_kernelINS0_14default_configENS1_25partition_config_selectorILNS1_17partition_subalgoE1ExNS0_10empty_typeEbEEZZNS1_14partition_implILS5_1ELb0ES3_jN6thrust23THRUST_200600_302600_NS6detail15normal_iteratorINSA_10device_ptrIxEEEEPS6_NSA_18transform_iteratorI7is_evenIxESF_NSA_11use_defaultESK_EENS0_5tupleIJSF_NSA_16discard_iteratorISK_EEEEENSM_IJSG_SG_EEES6_PlJS6_EEE10hipError_tPvRmT3_T4_T5_T6_T7_T9_mT8_P12ihipStream_tbDpT10_ENKUlT_T0_E_clISt17integral_constantIbLb1EES1B_EEDaS16_S17_EUlS16_E_NS1_11comp_targetILNS1_3genE0ELNS1_11target_archE4294967295ELNS1_3gpuE0ELNS1_3repE0EEENS1_30default_config_static_selectorELNS0_4arch9wavefront6targetE1EEEvT1_
	.p2align	8
	.type	_ZN7rocprim17ROCPRIM_400000_NS6detail17trampoline_kernelINS0_14default_configENS1_25partition_config_selectorILNS1_17partition_subalgoE1ExNS0_10empty_typeEbEEZZNS1_14partition_implILS5_1ELb0ES3_jN6thrust23THRUST_200600_302600_NS6detail15normal_iteratorINSA_10device_ptrIxEEEEPS6_NSA_18transform_iteratorI7is_evenIxESF_NSA_11use_defaultESK_EENS0_5tupleIJSF_NSA_16discard_iteratorISK_EEEEENSM_IJSG_SG_EEES6_PlJS6_EEE10hipError_tPvRmT3_T4_T5_T6_T7_T9_mT8_P12ihipStream_tbDpT10_ENKUlT_T0_E_clISt17integral_constantIbLb1EES1B_EEDaS16_S17_EUlS16_E_NS1_11comp_targetILNS1_3genE0ELNS1_11target_archE4294967295ELNS1_3gpuE0ELNS1_3repE0EEENS1_30default_config_static_selectorELNS0_4arch9wavefront6targetE1EEEvT1_,@function
_ZN7rocprim17ROCPRIM_400000_NS6detail17trampoline_kernelINS0_14default_configENS1_25partition_config_selectorILNS1_17partition_subalgoE1ExNS0_10empty_typeEbEEZZNS1_14partition_implILS5_1ELb0ES3_jN6thrust23THRUST_200600_302600_NS6detail15normal_iteratorINSA_10device_ptrIxEEEEPS6_NSA_18transform_iteratorI7is_evenIxESF_NSA_11use_defaultESK_EENS0_5tupleIJSF_NSA_16discard_iteratorISK_EEEEENSM_IJSG_SG_EEES6_PlJS6_EEE10hipError_tPvRmT3_T4_T5_T6_T7_T9_mT8_P12ihipStream_tbDpT10_ENKUlT_T0_E_clISt17integral_constantIbLb1EES1B_EEDaS16_S17_EUlS16_E_NS1_11comp_targetILNS1_3genE0ELNS1_11target_archE4294967295ELNS1_3gpuE0ELNS1_3repE0EEENS1_30default_config_static_selectorELNS0_4arch9wavefront6targetE1EEEvT1_: ; @_ZN7rocprim17ROCPRIM_400000_NS6detail17trampoline_kernelINS0_14default_configENS1_25partition_config_selectorILNS1_17partition_subalgoE1ExNS0_10empty_typeEbEEZZNS1_14partition_implILS5_1ELb0ES3_jN6thrust23THRUST_200600_302600_NS6detail15normal_iteratorINSA_10device_ptrIxEEEEPS6_NSA_18transform_iteratorI7is_evenIxESF_NSA_11use_defaultESK_EENS0_5tupleIJSF_NSA_16discard_iteratorISK_EEEEENSM_IJSG_SG_EEES6_PlJS6_EEE10hipError_tPvRmT3_T4_T5_T6_T7_T9_mT8_P12ihipStream_tbDpT10_ENKUlT_T0_E_clISt17integral_constantIbLb1EES1B_EEDaS16_S17_EUlS16_E_NS1_11comp_targetILNS1_3genE0ELNS1_11target_archE4294967295ELNS1_3gpuE0ELNS1_3repE0EEENS1_30default_config_static_selectorELNS0_4arch9wavefront6targetE1EEEvT1_
; %bb.0:
	.section	.rodata,"a",@progbits
	.p2align	6, 0x0
	.amdhsa_kernel _ZN7rocprim17ROCPRIM_400000_NS6detail17trampoline_kernelINS0_14default_configENS1_25partition_config_selectorILNS1_17partition_subalgoE1ExNS0_10empty_typeEbEEZZNS1_14partition_implILS5_1ELb0ES3_jN6thrust23THRUST_200600_302600_NS6detail15normal_iteratorINSA_10device_ptrIxEEEEPS6_NSA_18transform_iteratorI7is_evenIxESF_NSA_11use_defaultESK_EENS0_5tupleIJSF_NSA_16discard_iteratorISK_EEEEENSM_IJSG_SG_EEES6_PlJS6_EEE10hipError_tPvRmT3_T4_T5_T6_T7_T9_mT8_P12ihipStream_tbDpT10_ENKUlT_T0_E_clISt17integral_constantIbLb1EES1B_EEDaS16_S17_EUlS16_E_NS1_11comp_targetILNS1_3genE0ELNS1_11target_archE4294967295ELNS1_3gpuE0ELNS1_3repE0EEENS1_30default_config_static_selectorELNS0_4arch9wavefront6targetE1EEEvT1_
		.amdhsa_group_segment_fixed_size 0
		.amdhsa_private_segment_fixed_size 0
		.amdhsa_kernarg_size 152
		.amdhsa_user_sgpr_count 6
		.amdhsa_user_sgpr_private_segment_buffer 1
		.amdhsa_user_sgpr_dispatch_ptr 0
		.amdhsa_user_sgpr_queue_ptr 0
		.amdhsa_user_sgpr_kernarg_segment_ptr 1
		.amdhsa_user_sgpr_dispatch_id 0
		.amdhsa_user_sgpr_flat_scratch_init 0
		.amdhsa_user_sgpr_kernarg_preload_length 0
		.amdhsa_user_sgpr_kernarg_preload_offset 0
		.amdhsa_user_sgpr_private_segment_size 0
		.amdhsa_uses_dynamic_stack 0
		.amdhsa_system_sgpr_private_segment_wavefront_offset 0
		.amdhsa_system_sgpr_workgroup_id_x 1
		.amdhsa_system_sgpr_workgroup_id_y 0
		.amdhsa_system_sgpr_workgroup_id_z 0
		.amdhsa_system_sgpr_workgroup_info 0
		.amdhsa_system_vgpr_workitem_id 0
		.amdhsa_next_free_vgpr 1
		.amdhsa_next_free_sgpr 0
		.amdhsa_accum_offset 4
		.amdhsa_reserve_vcc 0
		.amdhsa_reserve_flat_scratch 0
		.amdhsa_float_round_mode_32 0
		.amdhsa_float_round_mode_16_64 0
		.amdhsa_float_denorm_mode_32 3
		.amdhsa_float_denorm_mode_16_64 3
		.amdhsa_dx10_clamp 1
		.amdhsa_ieee_mode 1
		.amdhsa_fp16_overflow 0
		.amdhsa_tg_split 0
		.amdhsa_exception_fp_ieee_invalid_op 0
		.amdhsa_exception_fp_denorm_src 0
		.amdhsa_exception_fp_ieee_div_zero 0
		.amdhsa_exception_fp_ieee_overflow 0
		.amdhsa_exception_fp_ieee_underflow 0
		.amdhsa_exception_fp_ieee_inexact 0
		.amdhsa_exception_int_div_zero 0
	.end_amdhsa_kernel
	.section	.text._ZN7rocprim17ROCPRIM_400000_NS6detail17trampoline_kernelINS0_14default_configENS1_25partition_config_selectorILNS1_17partition_subalgoE1ExNS0_10empty_typeEbEEZZNS1_14partition_implILS5_1ELb0ES3_jN6thrust23THRUST_200600_302600_NS6detail15normal_iteratorINSA_10device_ptrIxEEEEPS6_NSA_18transform_iteratorI7is_evenIxESF_NSA_11use_defaultESK_EENS0_5tupleIJSF_NSA_16discard_iteratorISK_EEEEENSM_IJSG_SG_EEES6_PlJS6_EEE10hipError_tPvRmT3_T4_T5_T6_T7_T9_mT8_P12ihipStream_tbDpT10_ENKUlT_T0_E_clISt17integral_constantIbLb1EES1B_EEDaS16_S17_EUlS16_E_NS1_11comp_targetILNS1_3genE0ELNS1_11target_archE4294967295ELNS1_3gpuE0ELNS1_3repE0EEENS1_30default_config_static_selectorELNS0_4arch9wavefront6targetE1EEEvT1_,"axG",@progbits,_ZN7rocprim17ROCPRIM_400000_NS6detail17trampoline_kernelINS0_14default_configENS1_25partition_config_selectorILNS1_17partition_subalgoE1ExNS0_10empty_typeEbEEZZNS1_14partition_implILS5_1ELb0ES3_jN6thrust23THRUST_200600_302600_NS6detail15normal_iteratorINSA_10device_ptrIxEEEEPS6_NSA_18transform_iteratorI7is_evenIxESF_NSA_11use_defaultESK_EENS0_5tupleIJSF_NSA_16discard_iteratorISK_EEEEENSM_IJSG_SG_EEES6_PlJS6_EEE10hipError_tPvRmT3_T4_T5_T6_T7_T9_mT8_P12ihipStream_tbDpT10_ENKUlT_T0_E_clISt17integral_constantIbLb1EES1B_EEDaS16_S17_EUlS16_E_NS1_11comp_targetILNS1_3genE0ELNS1_11target_archE4294967295ELNS1_3gpuE0ELNS1_3repE0EEENS1_30default_config_static_selectorELNS0_4arch9wavefront6targetE1EEEvT1_,comdat
.Lfunc_end3203:
	.size	_ZN7rocprim17ROCPRIM_400000_NS6detail17trampoline_kernelINS0_14default_configENS1_25partition_config_selectorILNS1_17partition_subalgoE1ExNS0_10empty_typeEbEEZZNS1_14partition_implILS5_1ELb0ES3_jN6thrust23THRUST_200600_302600_NS6detail15normal_iteratorINSA_10device_ptrIxEEEEPS6_NSA_18transform_iteratorI7is_evenIxESF_NSA_11use_defaultESK_EENS0_5tupleIJSF_NSA_16discard_iteratorISK_EEEEENSM_IJSG_SG_EEES6_PlJS6_EEE10hipError_tPvRmT3_T4_T5_T6_T7_T9_mT8_P12ihipStream_tbDpT10_ENKUlT_T0_E_clISt17integral_constantIbLb1EES1B_EEDaS16_S17_EUlS16_E_NS1_11comp_targetILNS1_3genE0ELNS1_11target_archE4294967295ELNS1_3gpuE0ELNS1_3repE0EEENS1_30default_config_static_selectorELNS0_4arch9wavefront6targetE1EEEvT1_, .Lfunc_end3203-_ZN7rocprim17ROCPRIM_400000_NS6detail17trampoline_kernelINS0_14default_configENS1_25partition_config_selectorILNS1_17partition_subalgoE1ExNS0_10empty_typeEbEEZZNS1_14partition_implILS5_1ELb0ES3_jN6thrust23THRUST_200600_302600_NS6detail15normal_iteratorINSA_10device_ptrIxEEEEPS6_NSA_18transform_iteratorI7is_evenIxESF_NSA_11use_defaultESK_EENS0_5tupleIJSF_NSA_16discard_iteratorISK_EEEEENSM_IJSG_SG_EEES6_PlJS6_EEE10hipError_tPvRmT3_T4_T5_T6_T7_T9_mT8_P12ihipStream_tbDpT10_ENKUlT_T0_E_clISt17integral_constantIbLb1EES1B_EEDaS16_S17_EUlS16_E_NS1_11comp_targetILNS1_3genE0ELNS1_11target_archE4294967295ELNS1_3gpuE0ELNS1_3repE0EEENS1_30default_config_static_selectorELNS0_4arch9wavefront6targetE1EEEvT1_
                                        ; -- End function
	.section	.AMDGPU.csdata,"",@progbits
; Kernel info:
; codeLenInByte = 0
; NumSgprs: 4
; NumVgprs: 0
; NumAgprs: 0
; TotalNumVgprs: 0
; ScratchSize: 0
; MemoryBound: 0
; FloatMode: 240
; IeeeMode: 1
; LDSByteSize: 0 bytes/workgroup (compile time only)
; SGPRBlocks: 0
; VGPRBlocks: 0
; NumSGPRsForWavesPerEU: 4
; NumVGPRsForWavesPerEU: 1
; AccumOffset: 4
; Occupancy: 8
; WaveLimiterHint : 0
; COMPUTE_PGM_RSRC2:SCRATCH_EN: 0
; COMPUTE_PGM_RSRC2:USER_SGPR: 6
; COMPUTE_PGM_RSRC2:TRAP_HANDLER: 0
; COMPUTE_PGM_RSRC2:TGID_X_EN: 1
; COMPUTE_PGM_RSRC2:TGID_Y_EN: 0
; COMPUTE_PGM_RSRC2:TGID_Z_EN: 0
; COMPUTE_PGM_RSRC2:TIDIG_COMP_CNT: 0
; COMPUTE_PGM_RSRC3_GFX90A:ACCUM_OFFSET: 0
; COMPUTE_PGM_RSRC3_GFX90A:TG_SPLIT: 0
	.section	.text._ZN7rocprim17ROCPRIM_400000_NS6detail17trampoline_kernelINS0_14default_configENS1_25partition_config_selectorILNS1_17partition_subalgoE1ExNS0_10empty_typeEbEEZZNS1_14partition_implILS5_1ELb0ES3_jN6thrust23THRUST_200600_302600_NS6detail15normal_iteratorINSA_10device_ptrIxEEEEPS6_NSA_18transform_iteratorI7is_evenIxESF_NSA_11use_defaultESK_EENS0_5tupleIJSF_NSA_16discard_iteratorISK_EEEEENSM_IJSG_SG_EEES6_PlJS6_EEE10hipError_tPvRmT3_T4_T5_T6_T7_T9_mT8_P12ihipStream_tbDpT10_ENKUlT_T0_E_clISt17integral_constantIbLb1EES1B_EEDaS16_S17_EUlS16_E_NS1_11comp_targetILNS1_3genE5ELNS1_11target_archE942ELNS1_3gpuE9ELNS1_3repE0EEENS1_30default_config_static_selectorELNS0_4arch9wavefront6targetE1EEEvT1_,"axG",@progbits,_ZN7rocprim17ROCPRIM_400000_NS6detail17trampoline_kernelINS0_14default_configENS1_25partition_config_selectorILNS1_17partition_subalgoE1ExNS0_10empty_typeEbEEZZNS1_14partition_implILS5_1ELb0ES3_jN6thrust23THRUST_200600_302600_NS6detail15normal_iteratorINSA_10device_ptrIxEEEEPS6_NSA_18transform_iteratorI7is_evenIxESF_NSA_11use_defaultESK_EENS0_5tupleIJSF_NSA_16discard_iteratorISK_EEEEENSM_IJSG_SG_EEES6_PlJS6_EEE10hipError_tPvRmT3_T4_T5_T6_T7_T9_mT8_P12ihipStream_tbDpT10_ENKUlT_T0_E_clISt17integral_constantIbLb1EES1B_EEDaS16_S17_EUlS16_E_NS1_11comp_targetILNS1_3genE5ELNS1_11target_archE942ELNS1_3gpuE9ELNS1_3repE0EEENS1_30default_config_static_selectorELNS0_4arch9wavefront6targetE1EEEvT1_,comdat
	.protected	_ZN7rocprim17ROCPRIM_400000_NS6detail17trampoline_kernelINS0_14default_configENS1_25partition_config_selectorILNS1_17partition_subalgoE1ExNS0_10empty_typeEbEEZZNS1_14partition_implILS5_1ELb0ES3_jN6thrust23THRUST_200600_302600_NS6detail15normal_iteratorINSA_10device_ptrIxEEEEPS6_NSA_18transform_iteratorI7is_evenIxESF_NSA_11use_defaultESK_EENS0_5tupleIJSF_NSA_16discard_iteratorISK_EEEEENSM_IJSG_SG_EEES6_PlJS6_EEE10hipError_tPvRmT3_T4_T5_T6_T7_T9_mT8_P12ihipStream_tbDpT10_ENKUlT_T0_E_clISt17integral_constantIbLb1EES1B_EEDaS16_S17_EUlS16_E_NS1_11comp_targetILNS1_3genE5ELNS1_11target_archE942ELNS1_3gpuE9ELNS1_3repE0EEENS1_30default_config_static_selectorELNS0_4arch9wavefront6targetE1EEEvT1_ ; -- Begin function _ZN7rocprim17ROCPRIM_400000_NS6detail17trampoline_kernelINS0_14default_configENS1_25partition_config_selectorILNS1_17partition_subalgoE1ExNS0_10empty_typeEbEEZZNS1_14partition_implILS5_1ELb0ES3_jN6thrust23THRUST_200600_302600_NS6detail15normal_iteratorINSA_10device_ptrIxEEEEPS6_NSA_18transform_iteratorI7is_evenIxESF_NSA_11use_defaultESK_EENS0_5tupleIJSF_NSA_16discard_iteratorISK_EEEEENSM_IJSG_SG_EEES6_PlJS6_EEE10hipError_tPvRmT3_T4_T5_T6_T7_T9_mT8_P12ihipStream_tbDpT10_ENKUlT_T0_E_clISt17integral_constantIbLb1EES1B_EEDaS16_S17_EUlS16_E_NS1_11comp_targetILNS1_3genE5ELNS1_11target_archE942ELNS1_3gpuE9ELNS1_3repE0EEENS1_30default_config_static_selectorELNS0_4arch9wavefront6targetE1EEEvT1_
	.globl	_ZN7rocprim17ROCPRIM_400000_NS6detail17trampoline_kernelINS0_14default_configENS1_25partition_config_selectorILNS1_17partition_subalgoE1ExNS0_10empty_typeEbEEZZNS1_14partition_implILS5_1ELb0ES3_jN6thrust23THRUST_200600_302600_NS6detail15normal_iteratorINSA_10device_ptrIxEEEEPS6_NSA_18transform_iteratorI7is_evenIxESF_NSA_11use_defaultESK_EENS0_5tupleIJSF_NSA_16discard_iteratorISK_EEEEENSM_IJSG_SG_EEES6_PlJS6_EEE10hipError_tPvRmT3_T4_T5_T6_T7_T9_mT8_P12ihipStream_tbDpT10_ENKUlT_T0_E_clISt17integral_constantIbLb1EES1B_EEDaS16_S17_EUlS16_E_NS1_11comp_targetILNS1_3genE5ELNS1_11target_archE942ELNS1_3gpuE9ELNS1_3repE0EEENS1_30default_config_static_selectorELNS0_4arch9wavefront6targetE1EEEvT1_
	.p2align	8
	.type	_ZN7rocprim17ROCPRIM_400000_NS6detail17trampoline_kernelINS0_14default_configENS1_25partition_config_selectorILNS1_17partition_subalgoE1ExNS0_10empty_typeEbEEZZNS1_14partition_implILS5_1ELb0ES3_jN6thrust23THRUST_200600_302600_NS6detail15normal_iteratorINSA_10device_ptrIxEEEEPS6_NSA_18transform_iteratorI7is_evenIxESF_NSA_11use_defaultESK_EENS0_5tupleIJSF_NSA_16discard_iteratorISK_EEEEENSM_IJSG_SG_EEES6_PlJS6_EEE10hipError_tPvRmT3_T4_T5_T6_T7_T9_mT8_P12ihipStream_tbDpT10_ENKUlT_T0_E_clISt17integral_constantIbLb1EES1B_EEDaS16_S17_EUlS16_E_NS1_11comp_targetILNS1_3genE5ELNS1_11target_archE942ELNS1_3gpuE9ELNS1_3repE0EEENS1_30default_config_static_selectorELNS0_4arch9wavefront6targetE1EEEvT1_,@function
_ZN7rocprim17ROCPRIM_400000_NS6detail17trampoline_kernelINS0_14default_configENS1_25partition_config_selectorILNS1_17partition_subalgoE1ExNS0_10empty_typeEbEEZZNS1_14partition_implILS5_1ELb0ES3_jN6thrust23THRUST_200600_302600_NS6detail15normal_iteratorINSA_10device_ptrIxEEEEPS6_NSA_18transform_iteratorI7is_evenIxESF_NSA_11use_defaultESK_EENS0_5tupleIJSF_NSA_16discard_iteratorISK_EEEEENSM_IJSG_SG_EEES6_PlJS6_EEE10hipError_tPvRmT3_T4_T5_T6_T7_T9_mT8_P12ihipStream_tbDpT10_ENKUlT_T0_E_clISt17integral_constantIbLb1EES1B_EEDaS16_S17_EUlS16_E_NS1_11comp_targetILNS1_3genE5ELNS1_11target_archE942ELNS1_3gpuE9ELNS1_3repE0EEENS1_30default_config_static_selectorELNS0_4arch9wavefront6targetE1EEEvT1_: ; @_ZN7rocprim17ROCPRIM_400000_NS6detail17trampoline_kernelINS0_14default_configENS1_25partition_config_selectorILNS1_17partition_subalgoE1ExNS0_10empty_typeEbEEZZNS1_14partition_implILS5_1ELb0ES3_jN6thrust23THRUST_200600_302600_NS6detail15normal_iteratorINSA_10device_ptrIxEEEEPS6_NSA_18transform_iteratorI7is_evenIxESF_NSA_11use_defaultESK_EENS0_5tupleIJSF_NSA_16discard_iteratorISK_EEEEENSM_IJSG_SG_EEES6_PlJS6_EEE10hipError_tPvRmT3_T4_T5_T6_T7_T9_mT8_P12ihipStream_tbDpT10_ENKUlT_T0_E_clISt17integral_constantIbLb1EES1B_EEDaS16_S17_EUlS16_E_NS1_11comp_targetILNS1_3genE5ELNS1_11target_archE942ELNS1_3gpuE9ELNS1_3repE0EEENS1_30default_config_static_selectorELNS0_4arch9wavefront6targetE1EEEvT1_
; %bb.0:
	.section	.rodata,"a",@progbits
	.p2align	6, 0x0
	.amdhsa_kernel _ZN7rocprim17ROCPRIM_400000_NS6detail17trampoline_kernelINS0_14default_configENS1_25partition_config_selectorILNS1_17partition_subalgoE1ExNS0_10empty_typeEbEEZZNS1_14partition_implILS5_1ELb0ES3_jN6thrust23THRUST_200600_302600_NS6detail15normal_iteratorINSA_10device_ptrIxEEEEPS6_NSA_18transform_iteratorI7is_evenIxESF_NSA_11use_defaultESK_EENS0_5tupleIJSF_NSA_16discard_iteratorISK_EEEEENSM_IJSG_SG_EEES6_PlJS6_EEE10hipError_tPvRmT3_T4_T5_T6_T7_T9_mT8_P12ihipStream_tbDpT10_ENKUlT_T0_E_clISt17integral_constantIbLb1EES1B_EEDaS16_S17_EUlS16_E_NS1_11comp_targetILNS1_3genE5ELNS1_11target_archE942ELNS1_3gpuE9ELNS1_3repE0EEENS1_30default_config_static_selectorELNS0_4arch9wavefront6targetE1EEEvT1_
		.amdhsa_group_segment_fixed_size 0
		.amdhsa_private_segment_fixed_size 0
		.amdhsa_kernarg_size 152
		.amdhsa_user_sgpr_count 6
		.amdhsa_user_sgpr_private_segment_buffer 1
		.amdhsa_user_sgpr_dispatch_ptr 0
		.amdhsa_user_sgpr_queue_ptr 0
		.amdhsa_user_sgpr_kernarg_segment_ptr 1
		.amdhsa_user_sgpr_dispatch_id 0
		.amdhsa_user_sgpr_flat_scratch_init 0
		.amdhsa_user_sgpr_kernarg_preload_length 0
		.amdhsa_user_sgpr_kernarg_preload_offset 0
		.amdhsa_user_sgpr_private_segment_size 0
		.amdhsa_uses_dynamic_stack 0
		.amdhsa_system_sgpr_private_segment_wavefront_offset 0
		.amdhsa_system_sgpr_workgroup_id_x 1
		.amdhsa_system_sgpr_workgroup_id_y 0
		.amdhsa_system_sgpr_workgroup_id_z 0
		.amdhsa_system_sgpr_workgroup_info 0
		.amdhsa_system_vgpr_workitem_id 0
		.amdhsa_next_free_vgpr 1
		.amdhsa_next_free_sgpr 0
		.amdhsa_accum_offset 4
		.amdhsa_reserve_vcc 0
		.amdhsa_reserve_flat_scratch 0
		.amdhsa_float_round_mode_32 0
		.amdhsa_float_round_mode_16_64 0
		.amdhsa_float_denorm_mode_32 3
		.amdhsa_float_denorm_mode_16_64 3
		.amdhsa_dx10_clamp 1
		.amdhsa_ieee_mode 1
		.amdhsa_fp16_overflow 0
		.amdhsa_tg_split 0
		.amdhsa_exception_fp_ieee_invalid_op 0
		.amdhsa_exception_fp_denorm_src 0
		.amdhsa_exception_fp_ieee_div_zero 0
		.amdhsa_exception_fp_ieee_overflow 0
		.amdhsa_exception_fp_ieee_underflow 0
		.amdhsa_exception_fp_ieee_inexact 0
		.amdhsa_exception_int_div_zero 0
	.end_amdhsa_kernel
	.section	.text._ZN7rocprim17ROCPRIM_400000_NS6detail17trampoline_kernelINS0_14default_configENS1_25partition_config_selectorILNS1_17partition_subalgoE1ExNS0_10empty_typeEbEEZZNS1_14partition_implILS5_1ELb0ES3_jN6thrust23THRUST_200600_302600_NS6detail15normal_iteratorINSA_10device_ptrIxEEEEPS6_NSA_18transform_iteratorI7is_evenIxESF_NSA_11use_defaultESK_EENS0_5tupleIJSF_NSA_16discard_iteratorISK_EEEEENSM_IJSG_SG_EEES6_PlJS6_EEE10hipError_tPvRmT3_T4_T5_T6_T7_T9_mT8_P12ihipStream_tbDpT10_ENKUlT_T0_E_clISt17integral_constantIbLb1EES1B_EEDaS16_S17_EUlS16_E_NS1_11comp_targetILNS1_3genE5ELNS1_11target_archE942ELNS1_3gpuE9ELNS1_3repE0EEENS1_30default_config_static_selectorELNS0_4arch9wavefront6targetE1EEEvT1_,"axG",@progbits,_ZN7rocprim17ROCPRIM_400000_NS6detail17trampoline_kernelINS0_14default_configENS1_25partition_config_selectorILNS1_17partition_subalgoE1ExNS0_10empty_typeEbEEZZNS1_14partition_implILS5_1ELb0ES3_jN6thrust23THRUST_200600_302600_NS6detail15normal_iteratorINSA_10device_ptrIxEEEEPS6_NSA_18transform_iteratorI7is_evenIxESF_NSA_11use_defaultESK_EENS0_5tupleIJSF_NSA_16discard_iteratorISK_EEEEENSM_IJSG_SG_EEES6_PlJS6_EEE10hipError_tPvRmT3_T4_T5_T6_T7_T9_mT8_P12ihipStream_tbDpT10_ENKUlT_T0_E_clISt17integral_constantIbLb1EES1B_EEDaS16_S17_EUlS16_E_NS1_11comp_targetILNS1_3genE5ELNS1_11target_archE942ELNS1_3gpuE9ELNS1_3repE0EEENS1_30default_config_static_selectorELNS0_4arch9wavefront6targetE1EEEvT1_,comdat
.Lfunc_end3204:
	.size	_ZN7rocprim17ROCPRIM_400000_NS6detail17trampoline_kernelINS0_14default_configENS1_25partition_config_selectorILNS1_17partition_subalgoE1ExNS0_10empty_typeEbEEZZNS1_14partition_implILS5_1ELb0ES3_jN6thrust23THRUST_200600_302600_NS6detail15normal_iteratorINSA_10device_ptrIxEEEEPS6_NSA_18transform_iteratorI7is_evenIxESF_NSA_11use_defaultESK_EENS0_5tupleIJSF_NSA_16discard_iteratorISK_EEEEENSM_IJSG_SG_EEES6_PlJS6_EEE10hipError_tPvRmT3_T4_T5_T6_T7_T9_mT8_P12ihipStream_tbDpT10_ENKUlT_T0_E_clISt17integral_constantIbLb1EES1B_EEDaS16_S17_EUlS16_E_NS1_11comp_targetILNS1_3genE5ELNS1_11target_archE942ELNS1_3gpuE9ELNS1_3repE0EEENS1_30default_config_static_selectorELNS0_4arch9wavefront6targetE1EEEvT1_, .Lfunc_end3204-_ZN7rocprim17ROCPRIM_400000_NS6detail17trampoline_kernelINS0_14default_configENS1_25partition_config_selectorILNS1_17partition_subalgoE1ExNS0_10empty_typeEbEEZZNS1_14partition_implILS5_1ELb0ES3_jN6thrust23THRUST_200600_302600_NS6detail15normal_iteratorINSA_10device_ptrIxEEEEPS6_NSA_18transform_iteratorI7is_evenIxESF_NSA_11use_defaultESK_EENS0_5tupleIJSF_NSA_16discard_iteratorISK_EEEEENSM_IJSG_SG_EEES6_PlJS6_EEE10hipError_tPvRmT3_T4_T5_T6_T7_T9_mT8_P12ihipStream_tbDpT10_ENKUlT_T0_E_clISt17integral_constantIbLb1EES1B_EEDaS16_S17_EUlS16_E_NS1_11comp_targetILNS1_3genE5ELNS1_11target_archE942ELNS1_3gpuE9ELNS1_3repE0EEENS1_30default_config_static_selectorELNS0_4arch9wavefront6targetE1EEEvT1_
                                        ; -- End function
	.section	.AMDGPU.csdata,"",@progbits
; Kernel info:
; codeLenInByte = 0
; NumSgprs: 4
; NumVgprs: 0
; NumAgprs: 0
; TotalNumVgprs: 0
; ScratchSize: 0
; MemoryBound: 0
; FloatMode: 240
; IeeeMode: 1
; LDSByteSize: 0 bytes/workgroup (compile time only)
; SGPRBlocks: 0
; VGPRBlocks: 0
; NumSGPRsForWavesPerEU: 4
; NumVGPRsForWavesPerEU: 1
; AccumOffset: 4
; Occupancy: 8
; WaveLimiterHint : 0
; COMPUTE_PGM_RSRC2:SCRATCH_EN: 0
; COMPUTE_PGM_RSRC2:USER_SGPR: 6
; COMPUTE_PGM_RSRC2:TRAP_HANDLER: 0
; COMPUTE_PGM_RSRC2:TGID_X_EN: 1
; COMPUTE_PGM_RSRC2:TGID_Y_EN: 0
; COMPUTE_PGM_RSRC2:TGID_Z_EN: 0
; COMPUTE_PGM_RSRC2:TIDIG_COMP_CNT: 0
; COMPUTE_PGM_RSRC3_GFX90A:ACCUM_OFFSET: 0
; COMPUTE_PGM_RSRC3_GFX90A:TG_SPLIT: 0
	.section	.text._ZN7rocprim17ROCPRIM_400000_NS6detail17trampoline_kernelINS0_14default_configENS1_25partition_config_selectorILNS1_17partition_subalgoE1ExNS0_10empty_typeEbEEZZNS1_14partition_implILS5_1ELb0ES3_jN6thrust23THRUST_200600_302600_NS6detail15normal_iteratorINSA_10device_ptrIxEEEEPS6_NSA_18transform_iteratorI7is_evenIxESF_NSA_11use_defaultESK_EENS0_5tupleIJSF_NSA_16discard_iteratorISK_EEEEENSM_IJSG_SG_EEES6_PlJS6_EEE10hipError_tPvRmT3_T4_T5_T6_T7_T9_mT8_P12ihipStream_tbDpT10_ENKUlT_T0_E_clISt17integral_constantIbLb1EES1B_EEDaS16_S17_EUlS16_E_NS1_11comp_targetILNS1_3genE4ELNS1_11target_archE910ELNS1_3gpuE8ELNS1_3repE0EEENS1_30default_config_static_selectorELNS0_4arch9wavefront6targetE1EEEvT1_,"axG",@progbits,_ZN7rocprim17ROCPRIM_400000_NS6detail17trampoline_kernelINS0_14default_configENS1_25partition_config_selectorILNS1_17partition_subalgoE1ExNS0_10empty_typeEbEEZZNS1_14partition_implILS5_1ELb0ES3_jN6thrust23THRUST_200600_302600_NS6detail15normal_iteratorINSA_10device_ptrIxEEEEPS6_NSA_18transform_iteratorI7is_evenIxESF_NSA_11use_defaultESK_EENS0_5tupleIJSF_NSA_16discard_iteratorISK_EEEEENSM_IJSG_SG_EEES6_PlJS6_EEE10hipError_tPvRmT3_T4_T5_T6_T7_T9_mT8_P12ihipStream_tbDpT10_ENKUlT_T0_E_clISt17integral_constantIbLb1EES1B_EEDaS16_S17_EUlS16_E_NS1_11comp_targetILNS1_3genE4ELNS1_11target_archE910ELNS1_3gpuE8ELNS1_3repE0EEENS1_30default_config_static_selectorELNS0_4arch9wavefront6targetE1EEEvT1_,comdat
	.protected	_ZN7rocprim17ROCPRIM_400000_NS6detail17trampoline_kernelINS0_14default_configENS1_25partition_config_selectorILNS1_17partition_subalgoE1ExNS0_10empty_typeEbEEZZNS1_14partition_implILS5_1ELb0ES3_jN6thrust23THRUST_200600_302600_NS6detail15normal_iteratorINSA_10device_ptrIxEEEEPS6_NSA_18transform_iteratorI7is_evenIxESF_NSA_11use_defaultESK_EENS0_5tupleIJSF_NSA_16discard_iteratorISK_EEEEENSM_IJSG_SG_EEES6_PlJS6_EEE10hipError_tPvRmT3_T4_T5_T6_T7_T9_mT8_P12ihipStream_tbDpT10_ENKUlT_T0_E_clISt17integral_constantIbLb1EES1B_EEDaS16_S17_EUlS16_E_NS1_11comp_targetILNS1_3genE4ELNS1_11target_archE910ELNS1_3gpuE8ELNS1_3repE0EEENS1_30default_config_static_selectorELNS0_4arch9wavefront6targetE1EEEvT1_ ; -- Begin function _ZN7rocprim17ROCPRIM_400000_NS6detail17trampoline_kernelINS0_14default_configENS1_25partition_config_selectorILNS1_17partition_subalgoE1ExNS0_10empty_typeEbEEZZNS1_14partition_implILS5_1ELb0ES3_jN6thrust23THRUST_200600_302600_NS6detail15normal_iteratorINSA_10device_ptrIxEEEEPS6_NSA_18transform_iteratorI7is_evenIxESF_NSA_11use_defaultESK_EENS0_5tupleIJSF_NSA_16discard_iteratorISK_EEEEENSM_IJSG_SG_EEES6_PlJS6_EEE10hipError_tPvRmT3_T4_T5_T6_T7_T9_mT8_P12ihipStream_tbDpT10_ENKUlT_T0_E_clISt17integral_constantIbLb1EES1B_EEDaS16_S17_EUlS16_E_NS1_11comp_targetILNS1_3genE4ELNS1_11target_archE910ELNS1_3gpuE8ELNS1_3repE0EEENS1_30default_config_static_selectorELNS0_4arch9wavefront6targetE1EEEvT1_
	.globl	_ZN7rocprim17ROCPRIM_400000_NS6detail17trampoline_kernelINS0_14default_configENS1_25partition_config_selectorILNS1_17partition_subalgoE1ExNS0_10empty_typeEbEEZZNS1_14partition_implILS5_1ELb0ES3_jN6thrust23THRUST_200600_302600_NS6detail15normal_iteratorINSA_10device_ptrIxEEEEPS6_NSA_18transform_iteratorI7is_evenIxESF_NSA_11use_defaultESK_EENS0_5tupleIJSF_NSA_16discard_iteratorISK_EEEEENSM_IJSG_SG_EEES6_PlJS6_EEE10hipError_tPvRmT3_T4_T5_T6_T7_T9_mT8_P12ihipStream_tbDpT10_ENKUlT_T0_E_clISt17integral_constantIbLb1EES1B_EEDaS16_S17_EUlS16_E_NS1_11comp_targetILNS1_3genE4ELNS1_11target_archE910ELNS1_3gpuE8ELNS1_3repE0EEENS1_30default_config_static_selectorELNS0_4arch9wavefront6targetE1EEEvT1_
	.p2align	8
	.type	_ZN7rocprim17ROCPRIM_400000_NS6detail17trampoline_kernelINS0_14default_configENS1_25partition_config_selectorILNS1_17partition_subalgoE1ExNS0_10empty_typeEbEEZZNS1_14partition_implILS5_1ELb0ES3_jN6thrust23THRUST_200600_302600_NS6detail15normal_iteratorINSA_10device_ptrIxEEEEPS6_NSA_18transform_iteratorI7is_evenIxESF_NSA_11use_defaultESK_EENS0_5tupleIJSF_NSA_16discard_iteratorISK_EEEEENSM_IJSG_SG_EEES6_PlJS6_EEE10hipError_tPvRmT3_T4_T5_T6_T7_T9_mT8_P12ihipStream_tbDpT10_ENKUlT_T0_E_clISt17integral_constantIbLb1EES1B_EEDaS16_S17_EUlS16_E_NS1_11comp_targetILNS1_3genE4ELNS1_11target_archE910ELNS1_3gpuE8ELNS1_3repE0EEENS1_30default_config_static_selectorELNS0_4arch9wavefront6targetE1EEEvT1_,@function
_ZN7rocprim17ROCPRIM_400000_NS6detail17trampoline_kernelINS0_14default_configENS1_25partition_config_selectorILNS1_17partition_subalgoE1ExNS0_10empty_typeEbEEZZNS1_14partition_implILS5_1ELb0ES3_jN6thrust23THRUST_200600_302600_NS6detail15normal_iteratorINSA_10device_ptrIxEEEEPS6_NSA_18transform_iteratorI7is_evenIxESF_NSA_11use_defaultESK_EENS0_5tupleIJSF_NSA_16discard_iteratorISK_EEEEENSM_IJSG_SG_EEES6_PlJS6_EEE10hipError_tPvRmT3_T4_T5_T6_T7_T9_mT8_P12ihipStream_tbDpT10_ENKUlT_T0_E_clISt17integral_constantIbLb1EES1B_EEDaS16_S17_EUlS16_E_NS1_11comp_targetILNS1_3genE4ELNS1_11target_archE910ELNS1_3gpuE8ELNS1_3repE0EEENS1_30default_config_static_selectorELNS0_4arch9wavefront6targetE1EEEvT1_: ; @_ZN7rocprim17ROCPRIM_400000_NS6detail17trampoline_kernelINS0_14default_configENS1_25partition_config_selectorILNS1_17partition_subalgoE1ExNS0_10empty_typeEbEEZZNS1_14partition_implILS5_1ELb0ES3_jN6thrust23THRUST_200600_302600_NS6detail15normal_iteratorINSA_10device_ptrIxEEEEPS6_NSA_18transform_iteratorI7is_evenIxESF_NSA_11use_defaultESK_EENS0_5tupleIJSF_NSA_16discard_iteratorISK_EEEEENSM_IJSG_SG_EEES6_PlJS6_EEE10hipError_tPvRmT3_T4_T5_T6_T7_T9_mT8_P12ihipStream_tbDpT10_ENKUlT_T0_E_clISt17integral_constantIbLb1EES1B_EEDaS16_S17_EUlS16_E_NS1_11comp_targetILNS1_3genE4ELNS1_11target_archE910ELNS1_3gpuE8ELNS1_3repE0EEENS1_30default_config_static_selectorELNS0_4arch9wavefront6targetE1EEEvT1_
; %bb.0:
	s_load_dwordx2 s[6:7], s[4:5], 0x20
	s_load_dwordx2 s[18:19], s[4:5], 0x30
	;; [unrolled: 1-line block ×3, first 2 shown]
	s_load_dwordx4 s[20:23], s[4:5], 0x58
	s_load_dwordx2 s[24:25], s[4:5], 0x78
	v_cmp_eq_u32_e64 s[0:1], 0, v0
	s_and_saveexec_b64 s[8:9], s[0:1]
	s_cbranch_execz .LBB3205_4
; %bb.1:
	s_mov_b64 s[12:13], exec
	v_mbcnt_lo_u32_b32 v1, s12, 0
	v_mbcnt_hi_u32_b32 v1, s13, v1
	v_cmp_eq_u32_e32 vcc, 0, v1
                                        ; implicit-def: $vgpr2
	s_and_saveexec_b64 s[10:11], vcc
	s_cbranch_execz .LBB3205_3
; %bb.2:
	s_load_dwordx2 s[14:15], s[4:5], 0x88
	s_bcnt1_i32_b64 s12, s[12:13]
	v_mov_b32_e32 v2, 0
	v_mov_b32_e32 v3, s12
	s_waitcnt lgkmcnt(0)
	global_atomic_add v2, v2, v3, s[14:15] glc
.LBB3205_3:
	s_or_b64 exec, exec, s[10:11]
	s_waitcnt vmcnt(0)
	v_readfirstlane_b32 s10, v2
	v_add_u32_e32 v1, s10, v1
	v_mov_b32_e32 v2, 0
	ds_write_b32 v2, v1
.LBB3205_4:
	s_or_b64 exec, exec, s[8:9]
	v_mov_b32_e32 v1, 0
	s_load_dwordx4 s[8:11], s[4:5], 0x8
	s_load_dword s12, s[4:5], 0x80
	s_waitcnt lgkmcnt(0)
	s_barrier
	ds_read_b32 v4, v1
	s_waitcnt lgkmcnt(0)
	s_barrier
	global_load_dwordx2 v[10:11], v1, s[22:23]
	s_lshl_b64 s[4:5], s[10:11], 3
	v_mov_b32_e32 v3, s3
	s_add_u32 s13, s8, s4
	s_mul_i32 s3, s12, 0x300
	s_addc_u32 s14, s9, s5
	s_add_i32 s9, s3, s10
	s_sub_i32 s33, s2, s9
	s_add_i32 s15, s12, -1
	s_addk_i32 s33, 0x300
	v_mov_b32_e32 v2, s2
	s_add_u32 s2, s10, s3
	v_readfirstlane_b32 s36, v4
	s_addc_u32 s3, s11, 0
	s_cmp_eq_u32 s36, s15
	s_cselect_b64 s[22:23], -1, 0
	s_cmp_lg_u32 s36, s15
	s_mul_i32 s8, s36, 0x300
	s_mov_b32 s9, 0
	v_cmp_lt_u64_e32 vcc, s[2:3], v[2:3]
	s_cselect_b64 s[2:3], -1, 0
	s_or_b64 s[26:27], vcc, s[2:3]
	s_lshl_b64 s[8:9], s[8:9], 3
	s_add_u32 s12, s13, s8
	s_addc_u32 s13, s14, s9
	s_mov_b64 s[2:3], -1
	s_and_b64 vcc, exec, s[26:27]
	v_lshlrev_b32_e32 v1, 3, v0
	v_lshrrev_b32_e32 v12, 2, v0
	s_cbranch_vccz .LBB3205_6
; %bb.5:
	v_mov_b32_e32 v3, s13
	v_add_co_u32_e32 v2, vcc, s12, v1
	v_addc_co_u32_e32 v3, vcc, 0, v3, vcc
	v_add_co_u32_e32 v4, vcc, 0x1000, v2
	v_addc_co_u32_e32 v5, vcc, 0, v3, vcc
	flat_load_dwordx2 v[6:7], v[2:3]
	flat_load_dwordx2 v[8:9], v[2:3] offset:1536
	flat_load_dwordx2 v[14:15], v[2:3] offset:3072
	;; [unrolled: 1-line block ×3, first 2 shown]
	v_add_u32_e32 v3, 0xc0, v0
	v_add_u32_e32 v4, 0x180, v0
	;; [unrolled: 1-line block ×3, first 2 shown]
	v_and_b32_e32 v2, 56, v12
	v_lshrrev_b32_e32 v3, 2, v3
	v_lshrrev_b32_e32 v4, 2, v4
	;; [unrolled: 1-line block ×3, first 2 shown]
	v_add_u32_e32 v2, v2, v1
	v_and_b32_e32 v3, 0x78, v3
	v_and_b32_e32 v4, 0xf8, v4
	;; [unrolled: 1-line block ×3, first 2 shown]
	v_add_u32_e32 v3, v3, v1
	v_add_u32_e32 v4, v4, v1
	;; [unrolled: 1-line block ×3, first 2 shown]
	s_mov_b64 s[2:3], 0
	s_waitcnt vmcnt(0) lgkmcnt(0)
	ds_write_b64 v2, v[6:7]
	ds_write_b64 v3, v[8:9] offset:1536
	ds_write_b64 v4, v[14:15] offset:3072
	;; [unrolled: 1-line block ×3, first 2 shown]
	s_waitcnt lgkmcnt(0)
	s_barrier
.LBB3205_6:
	s_andn2_b64 vcc, exec, s[2:3]
	v_cmp_gt_u32_e64 s[2:3], s33, v0
	s_cbranch_vccnz .LBB3205_16
; %bb.7:
                                        ; implicit-def: $vgpr2_vgpr3_vgpr4_vgpr5_vgpr6_vgpr7_vgpr8_vgpr9
	s_and_saveexec_b64 s[10:11], s[2:3]
	s_cbranch_execz .LBB3205_9
; %bb.8:
	v_mov_b32_e32 v3, s13
	v_add_co_u32_e32 v2, vcc, s12, v1
	v_addc_co_u32_e32 v3, vcc, 0, v3, vcc
	flat_load_dwordx2 v[2:3], v[2:3]
.LBB3205_9:
	s_or_b64 exec, exec, s[10:11]
	v_add_u32_e32 v13, 0xc0, v0
	v_cmp_gt_u32_e32 vcc, s33, v13
	s_and_saveexec_b64 s[2:3], vcc
	s_cbranch_execz .LBB3205_11
; %bb.10:
	v_mov_b32_e32 v5, s13
	v_add_co_u32_e32 v4, vcc, s12, v1
	v_addc_co_u32_e32 v5, vcc, 0, v5, vcc
	flat_load_dwordx2 v[4:5], v[4:5] offset:1536
.LBB3205_11:
	s_or_b64 exec, exec, s[2:3]
	v_add_u32_e32 v14, 0x180, v0
	v_cmp_gt_u32_e32 vcc, s33, v14
	s_and_saveexec_b64 s[2:3], vcc
	s_cbranch_execz .LBB3205_13
; %bb.12:
	v_mov_b32_e32 v7, s13
	v_add_co_u32_e32 v6, vcc, s12, v1
	v_addc_co_u32_e32 v7, vcc, 0, v7, vcc
	flat_load_dwordx2 v[6:7], v[6:7] offset:3072
.LBB3205_13:
	s_or_b64 exec, exec, s[2:3]
	v_add_u32_e32 v15, 0x240, v0
	v_cmp_gt_u32_e32 vcc, s33, v15
	s_and_saveexec_b64 s[2:3], vcc
	s_cbranch_execz .LBB3205_15
; %bb.14:
	v_lshlrev_b32_e32 v8, 3, v15
	v_mov_b32_e32 v9, s13
	v_add_co_u32_e32 v8, vcc, s12, v8
	v_addc_co_u32_e32 v9, vcc, 0, v9, vcc
	flat_load_dwordx2 v[8:9], v[8:9]
.LBB3205_15:
	s_or_b64 exec, exec, s[2:3]
	v_and_b32_e32 v12, 56, v12
	v_add_u32_e32 v12, v12, v1
	s_waitcnt vmcnt(0) lgkmcnt(0)
	ds_write_b64 v12, v[2:3]
	v_lshrrev_b32_e32 v2, 2, v13
	v_and_b32_e32 v2, 0x78, v2
	v_add_u32_e32 v2, v2, v1
	ds_write_b64 v2, v[4:5] offset:1536
	v_lshrrev_b32_e32 v2, 2, v14
	v_and_b32_e32 v2, 0xf8, v2
	v_add_u32_e32 v2, v2, v1
	ds_write_b64 v2, v[6:7] offset:3072
	;; [unrolled: 4-line block ×3, first 2 shown]
	s_waitcnt lgkmcnt(0)
	s_barrier
.LBB3205_16:
	v_lshlrev_b32_e32 v22, 2, v0
	v_lshrrev_b32_e32 v12, 3, v0
	v_add_lshl_u32 v2, v12, v22, 3
	ds_read2_b64 v[6:9], v2 offset1:1
	ds_read2_b64 v[2:5], v2 offset0:2 offset1:3
	s_add_u32 s2, s6, s4
	s_addc_u32 s3, s7, s5
	s_add_u32 s2, s2, s8
	s_addc_u32 s3, s3, s9
	s_mov_b64 s[4:5], -1
	s_and_b64 vcc, exec, s[26:27]
	v_lshrrev_b32_e32 v13, 5, v0
	s_waitcnt lgkmcnt(0)
	s_barrier
	s_cbranch_vccz .LBB3205_18
; %bb.17:
	global_load_dwordx2 v[14:15], v1, s[2:3]
	global_load_dwordx2 v[16:17], v1, s[2:3] offset:1536
	global_load_dwordx2 v[18:19], v1, s[2:3] offset:3072
	v_mov_b32_e32 v20, s3
	s_waitcnt vmcnt(2)
	v_add_co_u32_e32 v15, vcc, s2, v1
	s_waitcnt vmcnt(1)
	v_addc_co_u32_e32 v17, vcc, 0, v20, vcc
	v_add_co_u32_e32 v20, vcc, 0x1000, v15
	v_addc_co_u32_e32 v21, vcc, 0, v17, vcc
	global_load_dwordx2 v[20:21], v[20:21], off offset:512
	v_add_u32_e32 v17, 0xc0, v0
	s_waitcnt vmcnt(1)
	v_add_u32_e32 v19, 0x180, v0
	v_and_b32_e32 v15, 4, v13
	s_waitcnt vmcnt(0)
	v_add_u32_e32 v21, 0x240, v0
	v_lshrrev_b32_e32 v17, 5, v17
	v_lshrrev_b32_e32 v19, 5, v19
	v_add_u32_e32 v15, v15, v0
	v_lshrrev_b32_e32 v21, 5, v21
	v_and_b32_e32 v17, 12, v17
	v_and_b32_e32 v19, 28, v19
	;; [unrolled: 1-line block ×3, first 2 shown]
	v_add_u32_e32 v17, v17, v0
	v_add_u32_e32 v19, v19, v0
	;; [unrolled: 1-line block ×3, first 2 shown]
	s_mov_b64 s[4:5], 0
	v_xor_b32_e32 v14, -1, v14
	v_xor_b32_e32 v16, -1, v16
	;; [unrolled: 1-line block ×3, first 2 shown]
	v_and_b32_e32 v14, 1, v14
	v_and_b32_e32 v16, 1, v16
	;; [unrolled: 1-line block ×3, first 2 shown]
	ds_write_b8 v15, v14
	ds_write_b8 v17, v16 offset:192
	ds_write_b8 v19, v18 offset:384
	v_xor_b32_e32 v14, -1, v20
	v_and_b32_e32 v14, 1, v14
	ds_write_b8 v21, v14 offset:576
	s_waitcnt lgkmcnt(0)
	s_barrier
.LBB3205_18:
	s_andn2_b64 vcc, exec, s[4:5]
	s_cbranch_vccnz .LBB3205_28
; %bb.19:
	v_cmp_gt_u32_e32 vcc, s33, v0
	v_mov_b32_e32 v14, 0
	v_mov_b32_e32 v15, 0
	s_and_saveexec_b64 s[4:5], vcc
	s_cbranch_execz .LBB3205_21
; %bb.20:
	global_load_dwordx2 v[16:17], v1, s[2:3]
	s_waitcnt vmcnt(0)
	v_xor_b32_e32 v15, -1, v16
	v_and_b32_e32 v15, 1, v15
.LBB3205_21:
	s_or_b64 exec, exec, s[4:5]
	v_add_u32_e32 v16, 0xc0, v0
	v_cmp_gt_u32_e32 vcc, s33, v16
	s_and_saveexec_b64 s[4:5], vcc
	s_cbranch_execz .LBB3205_23
; %bb.22:
	global_load_dwordx2 v[18:19], v1, s[2:3] offset:1536
	s_waitcnt vmcnt(0)
	v_xor_b32_e32 v14, -1, v18
	v_and_b32_e32 v14, 1, v14
.LBB3205_23:
	s_or_b64 exec, exec, s[4:5]
	v_add_u32_e32 v18, 0x180, v0
	v_cmp_gt_u32_e32 vcc, s33, v18
	v_mov_b32_e32 v17, 0
	v_mov_b32_e32 v19, 0
	s_and_saveexec_b64 s[4:5], vcc
	s_cbranch_execz .LBB3205_25
; %bb.24:
	global_load_dwordx2 v[20:21], v1, s[2:3] offset:3072
	s_waitcnt vmcnt(0)
	v_xor_b32_e32 v19, -1, v20
	v_and_b32_e32 v19, 1, v19
.LBB3205_25:
	s_or_b64 exec, exec, s[4:5]
	v_add_u32_e32 v20, 0x240, v0
	v_cmp_gt_u32_e32 vcc, s33, v20
	s_and_saveexec_b64 s[4:5], vcc
	s_cbranch_execz .LBB3205_27
; %bb.26:
	v_lshlrev_b32_e32 v17, 3, v20
	global_load_dwordx2 v[24:25], v17, s[2:3]
	s_waitcnt vmcnt(0)
	v_xor_b32_e32 v17, -1, v24
	v_and_b32_e32 v17, 1, v17
.LBB3205_27:
	s_or_b64 exec, exec, s[4:5]
	v_and_b32_e32 v13, 4, v13
	v_add_u32_e32 v13, v13, v0
	ds_write_b8 v13, v15
	v_lshrrev_b32_e32 v13, 5, v16
	v_and_b32_e32 v13, 12, v13
	v_add_u32_e32 v13, v13, v0
	ds_write_b8 v13, v14 offset:192
	v_lshrrev_b32_e32 v13, 5, v18
	v_and_b32_e32 v13, 28, v13
	v_add_u32_e32 v13, v13, v0
	ds_write_b8 v13, v19 offset:384
	v_lshrrev_b32_e32 v13, 5, v20
	v_and_b32_e32 v13, 28, v13
	v_add_u32_e32 v13, v13, v0
	ds_write_b8 v13, v17 offset:576
	s_waitcnt lgkmcnt(0)
	s_barrier
.LBB3205_28:
	v_and_b32_e32 v12, 28, v12
	v_add_u32_e32 v12, v12, v22
	ds_read_b32 v24, v12
	s_cmp_lg_u32 s36, 0
	v_lshrrev_b32_e32 v27, 6, v0
	s_waitcnt lgkmcnt(0)
	s_barrier
	v_lshrrev_b32_e32 v23, 24, v24
	v_bfe_u32 v25, v24, 16, 8
	v_add_u32_sdwa v12, v24, v24 dst_sel:DWORD dst_unused:UNUSED_PAD src0_sel:BYTE_1 src1_sel:BYTE_0
	v_add3_u32 v28, v12, v25, v23
	v_mbcnt_lo_u32_b32 v12, -1, 0
	v_mbcnt_hi_u32_b32 v26, -1, v12
	v_and_b32_e32 v12, 15, v26
	v_cmp_eq_u32_e64 s[14:15], 0, v12
	v_cmp_lt_u32_e64 s[12:13], 1, v12
	v_cmp_lt_u32_e64 s[10:11], 3, v12
	;; [unrolled: 1-line block ×3, first 2 shown]
	v_and_b32_e32 v12, 16, v26
	v_cmp_eq_u32_e64 s[4:5], 0, v12
	v_and_b32_e32 v12, 0xc0, v0
	v_min_u32_e32 v12, 0x80, v12
	v_or_b32_e32 v12, 63, v12
	v_cmp_lt_u32_e64 s[2:3], 31, v26
	v_cmp_eq_u32_e64 s[6:7], v12, v0
	s_cbranch_scc0 .LBB3205_59
; %bb.29:
	v_mov_b32_dpp v12, v28 row_shr:1 row_mask:0xf bank_mask:0xf
	v_cndmask_b32_e64 v12, v12, 0, s[14:15]
	v_add_u32_e32 v12, v12, v28
	s_nop 1
	v_mov_b32_dpp v13, v12 row_shr:2 row_mask:0xf bank_mask:0xf
	v_cndmask_b32_e64 v13, 0, v13, s[12:13]
	v_add_u32_e32 v12, v12, v13
	s_nop 1
	;; [unrolled: 4-line block ×4, first 2 shown]
	v_mov_b32_dpp v13, v12 row_bcast:15 row_mask:0xf bank_mask:0xf
	v_cndmask_b32_e64 v13, v13, 0, s[4:5]
	v_add_u32_e32 v12, v12, v13
	s_nop 1
	v_mov_b32_dpp v13, v12 row_bcast:31 row_mask:0xf bank_mask:0xf
	v_cndmask_b32_e64 v13, 0, v13, s[2:3]
	v_add_u32_e32 v12, v12, v13
	s_and_saveexec_b64 s[16:17], s[6:7]
	s_cbranch_execz .LBB3205_31
; %bb.30:
	v_lshlrev_b32_e32 v13, 2, v27
	ds_write_b32 v13, v12
.LBB3205_31:
	s_or_b64 exec, exec, s[16:17]
	v_cmp_gt_u32_e32 vcc, 3, v0
	s_waitcnt lgkmcnt(0)
	s_barrier
	s_and_saveexec_b64 s[16:17], vcc
	s_cbranch_execz .LBB3205_33
; %bb.32:
	ds_read_b32 v13, v22
	v_and_b32_e32 v14, 3, v26
	v_cmp_ne_u32_e32 vcc, 0, v14
	s_waitcnt lgkmcnt(0)
	v_mov_b32_dpp v15, v13 row_shr:1 row_mask:0xf bank_mask:0xf
	v_cndmask_b32_e32 v15, 0, v15, vcc
	v_add_u32_e32 v13, v15, v13
	v_cmp_lt_u32_e32 vcc, 1, v14
	s_nop 0
	v_mov_b32_dpp v15, v13 row_shr:2 row_mask:0xf bank_mask:0xf
	v_cndmask_b32_e32 v14, 0, v15, vcc
	v_add_u32_e32 v13, v13, v14
	ds_write_b32 v22, v13
.LBB3205_33:
	s_or_b64 exec, exec, s[16:17]
	v_cmp_gt_u32_e32 vcc, 64, v0
	v_cmp_lt_u32_e64 s[16:17], 63, v0
	s_waitcnt lgkmcnt(0)
	s_barrier
	s_waitcnt lgkmcnt(0)
                                        ; implicit-def: $vgpr29
	s_and_saveexec_b64 s[28:29], s[16:17]
	s_cbranch_execz .LBB3205_35
; %bb.34:
	v_lshl_add_u32 v13, v27, 2, -4
	ds_read_b32 v29, v13
	s_waitcnt lgkmcnt(0)
	v_add_u32_e32 v12, v29, v12
.LBB3205_35:
	s_or_b64 exec, exec, s[28:29]
	v_add_u32_e32 v13, -1, v26
	v_and_b32_e32 v14, 64, v26
	v_cmp_lt_i32_e64 s[16:17], v13, v14
	v_cndmask_b32_e64 v13, v13, v26, s[16:17]
	v_lshlrev_b32_e32 v13, 2, v13
	ds_bpermute_b32 v30, v13, v12
	v_cmp_eq_u32_e64 s[16:17], 0, v26
	s_and_saveexec_b64 s[28:29], vcc
	s_cbranch_execz .LBB3205_58
; %bb.36:
	v_mov_b32_e32 v21, 0
	ds_read_b32 v12, v21 offset:8
	s_and_saveexec_b64 s[30:31], s[16:17]
	s_cbranch_execz .LBB3205_38
; %bb.37:
	s_add_i32 s34, s36, 64
	s_mov_b32 s35, 0
	s_lshl_b64 s[34:35], s[34:35], 3
	s_add_u32 s34, s24, s34
	v_mov_b32_e32 v13, 1
	s_addc_u32 s35, s25, s35
	s_waitcnt lgkmcnt(0)
	global_store_dwordx2 v21, v[12:13], s[34:35]
.LBB3205_38:
	s_or_b64 exec, exec, s[30:31]
	v_xad_u32 v14, v26, -1, s36
	v_add_u32_e32 v20, 64, v14
	v_lshlrev_b64 v[16:17], 3, v[20:21]
	v_mov_b32_e32 v13, s25
	v_add_co_u32_e32 v16, vcc, s24, v16
	v_addc_co_u32_e32 v17, vcc, v13, v17, vcc
	global_load_dwordx2 v[18:19], v[16:17], off glc
	s_waitcnt vmcnt(0)
	v_cmp_eq_u16_sdwa s[34:35], v19, v21 src0_sel:BYTE_0 src1_sel:DWORD
	s_and_saveexec_b64 s[30:31], s[34:35]
	s_cbranch_execz .LBB3205_44
; %bb.39:
	s_mov_b32 s37, 1
	s_mov_b64 s[34:35], 0
	v_mov_b32_e32 v13, 0
.LBB3205_40:                            ; =>This Loop Header: Depth=1
                                        ;     Child Loop BB3205_41 Depth 2
	s_max_u32 s38, s37, 1
.LBB3205_41:                            ;   Parent Loop BB3205_40 Depth=1
                                        ; =>  This Inner Loop Header: Depth=2
	s_add_i32 s38, s38, -1
	s_cmp_eq_u32 s38, 0
	s_sleep 1
	s_cbranch_scc0 .LBB3205_41
; %bb.42:                               ;   in Loop: Header=BB3205_40 Depth=1
	global_load_dwordx2 v[18:19], v[16:17], off glc
	s_cmp_lt_u32 s37, 32
	s_cselect_b64 s[38:39], -1, 0
	s_cmp_lg_u64 s[38:39], 0
	s_addc_u32 s37, s37, 0
	s_waitcnt vmcnt(0)
	v_cmp_ne_u16_sdwa s[38:39], v19, v13 src0_sel:BYTE_0 src1_sel:DWORD
	s_or_b64 s[34:35], s[38:39], s[34:35]
	s_andn2_b64 exec, exec, s[34:35]
	s_cbranch_execnz .LBB3205_40
; %bb.43:
	s_or_b64 exec, exec, s[34:35]
.LBB3205_44:
	s_or_b64 exec, exec, s[30:31]
	v_and_b32_e32 v32, 63, v26
	v_mov_b32_e32 v31, 2
	v_cmp_ne_u32_e32 vcc, 63, v32
	v_cmp_eq_u16_sdwa s[30:31], v19, v31 src0_sel:BYTE_0 src1_sel:DWORD
	v_lshlrev_b64 v[16:17], v26, -1
	v_addc_co_u32_e32 v20, vcc, 0, v26, vcc
	v_and_b32_e32 v13, s31, v17
	v_lshlrev_b32_e32 v33, 2, v20
	v_or_b32_e32 v13, 0x80000000, v13
	ds_bpermute_b32 v20, v33, v18
	v_and_b32_e32 v15, s30, v16
	v_ffbl_b32_e32 v13, v13
	v_add_u32_e32 v13, 32, v13
	v_ffbl_b32_e32 v15, v15
	v_min_u32_e32 v13, v15, v13
	v_cmp_lt_u32_e32 vcc, v32, v13
	s_waitcnt lgkmcnt(0)
	v_cndmask_b32_e32 v15, 0, v20, vcc
	v_cmp_gt_u32_e32 vcc, 62, v32
	v_add_u32_e32 v15, v15, v18
	v_cndmask_b32_e64 v18, 0, 1, vcc
	v_lshlrev_b32_e32 v18, 1, v18
	v_add_lshl_u32 v34, v18, v26, 2
	ds_bpermute_b32 v18, v34, v15
	v_add_u32_e32 v35, 2, v32
	v_cmp_le_u32_e32 vcc, v35, v13
	v_add_u32_e32 v37, 4, v32
	v_add_u32_e32 v39, 8, v32
	s_waitcnt lgkmcnt(0)
	v_cndmask_b32_e32 v18, 0, v18, vcc
	v_cmp_gt_u32_e32 vcc, 60, v32
	v_add_u32_e32 v15, v15, v18
	v_cndmask_b32_e64 v18, 0, 1, vcc
	v_lshlrev_b32_e32 v18, 2, v18
	v_add_lshl_u32 v36, v18, v26, 2
	ds_bpermute_b32 v18, v36, v15
	v_cmp_le_u32_e32 vcc, v37, v13
	v_add_u32_e32 v41, 16, v32
	v_add_u32_e32 v43, 32, v32
	s_waitcnt lgkmcnt(0)
	v_cndmask_b32_e32 v18, 0, v18, vcc
	v_cmp_gt_u32_e32 vcc, 56, v32
	v_add_u32_e32 v15, v15, v18
	v_cndmask_b32_e64 v18, 0, 1, vcc
	v_lshlrev_b32_e32 v18, 3, v18
	v_add_lshl_u32 v38, v18, v26, 2
	ds_bpermute_b32 v18, v38, v15
	v_cmp_le_u32_e32 vcc, v39, v13
	s_waitcnt lgkmcnt(0)
	v_cndmask_b32_e32 v18, 0, v18, vcc
	v_cmp_gt_u32_e32 vcc, 48, v32
	v_add_u32_e32 v15, v15, v18
	v_cndmask_b32_e64 v18, 0, 1, vcc
	v_lshlrev_b32_e32 v18, 4, v18
	v_add_lshl_u32 v40, v18, v26, 2
	ds_bpermute_b32 v18, v40, v15
	v_cmp_le_u32_e32 vcc, v41, v13
	;; [unrolled: 9-line block ×3, first 2 shown]
	s_waitcnt lgkmcnt(0)
	v_cndmask_b32_e32 v13, 0, v18, vcc
	v_add_u32_e32 v18, v15, v13
	v_mov_b32_e32 v15, 0
	s_branch .LBB3205_46
.LBB3205_45:                            ;   in Loop: Header=BB3205_46 Depth=1
	s_or_b64 exec, exec, s[30:31]
	v_cmp_eq_u16_sdwa s[30:31], v19, v31 src0_sel:BYTE_0 src1_sel:DWORD
	v_and_b32_e32 v20, s31, v17
	v_or_b32_e32 v20, 0x80000000, v20
	ds_bpermute_b32 v44, v33, v18
	v_and_b32_e32 v21, s30, v16
	v_ffbl_b32_e32 v20, v20
	v_add_u32_e32 v20, 32, v20
	v_ffbl_b32_e32 v21, v21
	v_min_u32_e32 v20, v21, v20
	v_cmp_lt_u32_e32 vcc, v32, v20
	s_waitcnt lgkmcnt(0)
	v_cndmask_b32_e32 v21, 0, v44, vcc
	v_add_u32_e32 v18, v21, v18
	ds_bpermute_b32 v21, v34, v18
	v_cmp_le_u32_e32 vcc, v35, v20
	v_subrev_u32_e32 v14, 64, v14
	s_waitcnt lgkmcnt(0)
	v_cndmask_b32_e32 v21, 0, v21, vcc
	v_add_u32_e32 v18, v18, v21
	ds_bpermute_b32 v21, v36, v18
	v_cmp_le_u32_e32 vcc, v37, v20
	s_waitcnt lgkmcnt(0)
	v_cndmask_b32_e32 v21, 0, v21, vcc
	v_add_u32_e32 v18, v18, v21
	ds_bpermute_b32 v21, v38, v18
	v_cmp_le_u32_e32 vcc, v39, v20
	;; [unrolled: 5-line block ×4, first 2 shown]
	s_waitcnt lgkmcnt(0)
	v_cndmask_b32_e32 v20, 0, v21, vcc
	v_add3_u32 v18, v20, v13, v18
.LBB3205_46:                            ; =>This Loop Header: Depth=1
                                        ;     Child Loop BB3205_49 Depth 2
                                        ;       Child Loop BB3205_50 Depth 3
	v_cmp_ne_u16_sdwa s[30:31], v19, v31 src0_sel:BYTE_0 src1_sel:DWORD
	v_cndmask_b32_e64 v13, 0, 1, s[30:31]
	;;#ASMSTART
	;;#ASMEND
	v_cmp_ne_u32_e32 vcc, 0, v13
	s_cmp_lg_u64 vcc, exec
	v_mov_b32_e32 v13, v18
	s_cbranch_scc1 .LBB3205_53
; %bb.47:                               ;   in Loop: Header=BB3205_46 Depth=1
	v_lshlrev_b64 v[18:19], 3, v[14:15]
	v_mov_b32_e32 v21, s25
	v_add_co_u32_e32 v20, vcc, s24, v18
	v_addc_co_u32_e32 v21, vcc, v21, v19, vcc
	global_load_dwordx2 v[18:19], v[20:21], off glc
	s_waitcnt vmcnt(0)
	v_cmp_eq_u16_sdwa s[34:35], v19, v15 src0_sel:BYTE_0 src1_sel:DWORD
	s_and_saveexec_b64 s[30:31], s[34:35]
	s_cbranch_execz .LBB3205_45
; %bb.48:                               ;   in Loop: Header=BB3205_46 Depth=1
	s_mov_b32 s37, 1
	s_mov_b64 s[34:35], 0
.LBB3205_49:                            ;   Parent Loop BB3205_46 Depth=1
                                        ; =>  This Loop Header: Depth=2
                                        ;       Child Loop BB3205_50 Depth 3
	s_max_u32 s38, s37, 1
.LBB3205_50:                            ;   Parent Loop BB3205_46 Depth=1
                                        ;     Parent Loop BB3205_49 Depth=2
                                        ; =>    This Inner Loop Header: Depth=3
	s_add_i32 s38, s38, -1
	s_cmp_eq_u32 s38, 0
	s_sleep 1
	s_cbranch_scc0 .LBB3205_50
; %bb.51:                               ;   in Loop: Header=BB3205_49 Depth=2
	global_load_dwordx2 v[18:19], v[20:21], off glc
	s_cmp_lt_u32 s37, 32
	s_cselect_b64 s[38:39], -1, 0
	s_cmp_lg_u64 s[38:39], 0
	s_addc_u32 s37, s37, 0
	s_waitcnt vmcnt(0)
	v_cmp_ne_u16_sdwa s[38:39], v19, v15 src0_sel:BYTE_0 src1_sel:DWORD
	s_or_b64 s[34:35], s[38:39], s[34:35]
	s_andn2_b64 exec, exec, s[34:35]
	s_cbranch_execnz .LBB3205_49
; %bb.52:                               ;   in Loop: Header=BB3205_46 Depth=1
	s_or_b64 exec, exec, s[34:35]
	s_branch .LBB3205_45
.LBB3205_53:                            ;   in Loop: Header=BB3205_46 Depth=1
                                        ; implicit-def: $vgpr18
                                        ; implicit-def: $vgpr19
	s_cbranch_execz .LBB3205_46
; %bb.54:
	s_and_saveexec_b64 s[30:31], s[16:17]
	s_cbranch_execz .LBB3205_56
; %bb.55:
	s_add_i32 s34, s36, 64
	s_mov_b32 s35, 0
	s_lshl_b64 s[34:35], s[34:35], 3
	s_add_u32 s34, s24, s34
	v_add_u32_e32 v14, v13, v12
	v_mov_b32_e32 v15, 2
	s_addc_u32 s35, s25, s35
	v_mov_b32_e32 v16, 0
	global_store_dwordx2 v16, v[14:15], s[34:35]
	ds_write_b64 v16, v[12:13] offset:6336
.LBB3205_56:
	s_or_b64 exec, exec, s[30:31]
	s_and_b64 exec, exec, s[0:1]
	s_cbranch_execz .LBB3205_58
; %bb.57:
	v_mov_b32_e32 v12, 0
	ds_write_b32 v12, v13 offset:8
.LBB3205_58:
	s_or_b64 exec, exec, s[28:29]
	v_mov_b32_e32 v12, 0
	s_waitcnt lgkmcnt(0)
	s_barrier
	ds_read_b32 v13, v12 offset:8
	v_cndmask_b32_e64 v14, v30, v29, s[16:17]
	v_cndmask_b32_e64 v14, v14, 0, s[0:1]
	s_waitcnt lgkmcnt(0)
	s_barrier
	v_add_u32_e32 v17, v13, v14
	ds_read_b64 v[12:13], v12 offset:6336
	v_add_u32_sdwa v18, v17, v24 dst_sel:DWORD dst_unused:UNUSED_PAD src0_sel:DWORD src1_sel:BYTE_0
	v_add_u32_sdwa v16, v18, v24 dst_sel:DWORD dst_unused:UNUSED_PAD src0_sel:DWORD src1_sel:BYTE_1
	v_add_u32_e32 v15, v16, v25
	s_waitcnt lgkmcnt(0)
	v_mov_b32_e32 v14, v13
	s_branch .LBB3205_69
.LBB3205_59:
                                        ; implicit-def: $vgpr14
                                        ; implicit-def: $vgpr12
                                        ; implicit-def: $vgpr15
                                        ; implicit-def: $vgpr16
                                        ; implicit-def: $vgpr18
                                        ; implicit-def: $vgpr17
	s_cbranch_execz .LBB3205_69
; %bb.60:
	s_nop 0
	v_mov_b32_dpp v12, v28 row_shr:1 row_mask:0xf bank_mask:0xf
	v_cndmask_b32_e64 v12, v12, 0, s[14:15]
	v_add_u32_e32 v12, v12, v28
	s_nop 1
	v_mov_b32_dpp v13, v12 row_shr:2 row_mask:0xf bank_mask:0xf
	v_cndmask_b32_e64 v13, 0, v13, s[12:13]
	v_add_u32_e32 v12, v12, v13
	;; [unrolled: 4-line block ×4, first 2 shown]
	s_nop 1
	v_mov_b32_dpp v13, v12 row_bcast:15 row_mask:0xf bank_mask:0xf
	v_cndmask_b32_e64 v13, v13, 0, s[4:5]
	v_add_u32_e32 v12, v12, v13
	s_nop 1
	v_mov_b32_dpp v13, v12 row_bcast:31 row_mask:0xf bank_mask:0xf
	v_cndmask_b32_e64 v13, 0, v13, s[2:3]
	v_add_u32_e32 v12, v12, v13
	s_and_saveexec_b64 s[2:3], s[6:7]
	s_cbranch_execz .LBB3205_62
; %bb.61:
	v_lshlrev_b32_e32 v13, 2, v27
	ds_write_b32 v13, v12
.LBB3205_62:
	s_or_b64 exec, exec, s[2:3]
	v_cmp_gt_u32_e32 vcc, 3, v0
	s_waitcnt lgkmcnt(0)
	s_barrier
	s_and_saveexec_b64 s[2:3], vcc
	s_cbranch_execz .LBB3205_64
; %bb.63:
	ds_read_b32 v13, v22
	v_and_b32_e32 v14, 3, v26
	v_cmp_ne_u32_e32 vcc, 0, v14
	s_waitcnt lgkmcnt(0)
	v_mov_b32_dpp v15, v13 row_shr:1 row_mask:0xf bank_mask:0xf
	v_cndmask_b32_e32 v15, 0, v15, vcc
	v_add_u32_e32 v13, v15, v13
	v_cmp_lt_u32_e32 vcc, 1, v14
	s_nop 0
	v_mov_b32_dpp v15, v13 row_shr:2 row_mask:0xf bank_mask:0xf
	v_cndmask_b32_e32 v14, 0, v15, vcc
	v_add_u32_e32 v13, v13, v14
	ds_write_b32 v22, v13
.LBB3205_64:
	s_or_b64 exec, exec, s[2:3]
	v_cmp_lt_u32_e32 vcc, 63, v0
	v_mov_b32_e32 v13, 0
	v_mov_b32_e32 v14, 0
	s_waitcnt lgkmcnt(0)
	s_barrier
	s_and_saveexec_b64 s[2:3], vcc
	s_cbranch_execz .LBB3205_66
; %bb.65:
	v_lshl_add_u32 v14, v27, 2, -4
	ds_read_b32 v14, v14
.LBB3205_66:
	s_or_b64 exec, exec, s[2:3]
	v_add_u32_e32 v15, -1, v26
	v_and_b32_e32 v16, 64, v26
	v_cmp_lt_i32_e32 vcc, v15, v16
	v_cndmask_b32_e32 v15, v15, v26, vcc
	s_waitcnt lgkmcnt(0)
	v_add_u32_e32 v12, v14, v12
	v_lshlrev_b32_e32 v15, 2, v15
	ds_bpermute_b32 v15, v15, v12
	ds_read_b32 v12, v13 offset:8
	s_and_saveexec_b64 s[2:3], s[0:1]
	s_cbranch_execz .LBB3205_68
; %bb.67:
	v_mov_b32_e32 v16, 0
	v_mov_b32_e32 v13, 2
	s_waitcnt lgkmcnt(0)
	global_store_dwordx2 v16, v[12:13], s[24:25] offset:512
.LBB3205_68:
	s_or_b64 exec, exec, s[2:3]
	v_cmp_eq_u32_e32 vcc, 0, v26
	s_waitcnt lgkmcnt(1)
	v_cndmask_b32_e32 v13, v15, v14, vcc
	v_cndmask_b32_e64 v17, v13, 0, s[0:1]
	v_add_u32_sdwa v18, v17, v24 dst_sel:DWORD dst_unused:UNUSED_PAD src0_sel:DWORD src1_sel:BYTE_0
	v_add_u32_sdwa v16, v18, v24 dst_sel:DWORD dst_unused:UNUSED_PAD src0_sel:DWORD src1_sel:BYTE_1
	v_mov_b32_e32 v14, 0
	v_add_u32_e32 v15, v16, v25
	s_waitcnt lgkmcnt(0)
	s_barrier
.LBB3205_69:
	v_add_u32_e32 v19, v12, v22
	v_sub_u32_e32 v17, v17, v14
	v_and_b32_e32 v21, 1, v24
	v_sub_u32_e32 v20, v19, v17
	v_cmp_eq_u32_e32 vcc, 1, v21
	v_cndmask_b32_e32 v17, v20, v17, vcc
	v_lshlrev_b32_e32 v17, 3, v17
	v_lshrrev_b32_e32 v13, 8, v24
	ds_write_b64 v17, v[6:7]
	v_sub_u32_e32 v6, v18, v14
	v_sub_u32_e32 v7, v19, v6
	v_and_b32_e32 v13, 1, v13
	v_add_u32_e32 v7, 1, v7
	v_cmp_eq_u32_e32 vcc, 1, v13
	v_cndmask_b32_e32 v6, v7, v6, vcc
	v_lshlrev_b32_e32 v6, 3, v6
	ds_write_b64 v6, v[8:9]
	v_sub_u32_e32 v6, v16, v14
	v_mov_b32_e32 v8, 1
	v_sub_u32_e32 v7, v19, v6
	v_and_b32_sdwa v8, v8, v24 dst_sel:DWORD dst_unused:UNUSED_PAD src0_sel:DWORD src1_sel:WORD_1
	v_add_u32_e32 v7, 2, v7
	v_cmp_eq_u32_e32 vcc, 1, v8
	v_cndmask_b32_e32 v6, v7, v6, vcc
	v_lshlrev_b32_e32 v6, 3, v6
	ds_write_b64 v6, v[2:3]
	v_sub_u32_e32 v2, v15, v14
	v_sub_u32_e32 v3, v19, v2
	v_and_b32_e32 v6, 1, v23
	v_add_u32_e32 v3, 3, v3
	v_cmp_eq_u32_e32 vcc, 1, v6
	v_cndmask_b32_e32 v2, v3, v2, vcc
	v_lshlrev_b32_e32 v2, 3, v2
	ds_write_b64 v2, v[4:5]
	s_waitcnt lgkmcnt(0)
	s_barrier
	ds_read2st64_b64 v[6:9], v1 offset1:3
	ds_read2st64_b64 v[2:5], v1 offset0:6 offset1:9
	v_add_u32_e32 v21, 0xc0, v0
	v_add_u32_e32 v20, 0x180, v0
	;; [unrolled: 1-line block ×3, first 2 shown]
	s_andn2_b64 vcc, exec, s[26:27]
	s_waitcnt vmcnt(0)
	v_lshlrev_b64 v[18:19], 3, v[10:11]
	s_cbranch_vccnz .LBB3205_75
; %bb.70:
	v_mov_b32_e32 v15, 0
	v_mov_b32_e32 v16, s19
	v_add_co_u32_e32 v22, vcc, s18, v18
	v_addc_co_u32_e32 v23, vcc, v16, v19, vcc
	v_lshlrev_b64 v[16:17], 3, v[14:15]
	v_add_co_u32_e32 v16, vcc, v22, v16
	v_addc_co_u32_e32 v17, vcc, v23, v17, vcc
	v_cmp_lt_u32_e32 vcc, v0, v12
	s_and_saveexec_b64 s[2:3], vcc
	s_cbranch_execnz .LBB3205_86
; %bb.71:
	s_or_b64 exec, exec, s[2:3]
	v_cmp_lt_u32_e32 vcc, v21, v12
	s_and_saveexec_b64 s[2:3], vcc
	s_cbranch_execnz .LBB3205_87
.LBB3205_72:
	s_or_b64 exec, exec, s[2:3]
	v_cmp_lt_u32_e32 vcc, v20, v12
	s_and_saveexec_b64 s[2:3], vcc
	s_cbranch_execz .LBB3205_74
.LBB3205_73:
	v_readfirstlane_b32 s4, v16
	v_readfirstlane_b32 s5, v17
	s_waitcnt lgkmcnt(0)
	s_nop 3
	global_store_dwordx2 v1, v[2:3], s[4:5] offset:3072
.LBB3205_74:
	s_or_b64 exec, exec, s[2:3]
	v_cmp_lt_u32_e64 s[2:3], v13, v12
	s_branch .LBB3205_81
.LBB3205_75:
	s_mov_b64 s[2:3], 0
                                        ; implicit-def: $vgpr16_vgpr17
	s_cbranch_execz .LBB3205_81
; %bb.76:
	v_mov_b32_e32 v15, 0
	v_mov_b32_e32 v16, s19
	v_add_co_u32_e32 v18, vcc, s18, v18
	v_addc_co_u32_e32 v19, vcc, v16, v19, vcc
	v_lshlrev_b64 v[16:17], 3, v[14:15]
	v_add_co_u32_e32 v16, vcc, v18, v16
	v_min_u32_e32 v22, s33, v12
	v_addc_co_u32_e32 v17, vcc, v19, v17, vcc
	v_cmp_gt_u32_e32 vcc, v22, v0
	s_and_saveexec_b64 s[2:3], vcc
	s_cbranch_execnz .LBB3205_88
; %bb.77:
	s_or_b64 exec, exec, s[2:3]
	v_cmp_lt_u32_e32 vcc, v21, v22
	s_and_saveexec_b64 s[2:3], vcc
	s_cbranch_execnz .LBB3205_89
.LBB3205_78:
	s_or_b64 exec, exec, s[2:3]
	v_cmp_lt_u32_e32 vcc, v20, v22
	s_and_saveexec_b64 s[2:3], vcc
	s_cbranch_execz .LBB3205_80
.LBB3205_79:
	v_readfirstlane_b32 s4, v16
	v_readfirstlane_b32 s5, v17
	s_waitcnt lgkmcnt(0)
	s_nop 3
	global_store_dwordx2 v1, v[2:3], s[4:5] offset:3072
.LBB3205_80:
	s_or_b64 exec, exec, s[2:3]
	v_cmp_lt_u32_e64 s[2:3], v13, v22
.LBB3205_81:
	s_and_saveexec_b64 s[4:5], s[2:3]
	s_cbranch_execnz .LBB3205_84
; %bb.82:
	s_or_b64 exec, exec, s[4:5]
	s_and_b64 s[0:1], s[0:1], s[22:23]
	s_and_saveexec_b64 s[2:3], s[0:1]
	s_cbranch_execnz .LBB3205_85
.LBB3205_83:
	s_endpgm
.LBB3205_84:
	v_lshlrev_b32_e32 v0, 3, v13
	v_readfirstlane_b32 s2, v16
	v_readfirstlane_b32 s3, v17
	s_waitcnt lgkmcnt(0)
	s_nop 3
	global_store_dwordx2 v0, v[4:5], s[2:3]
	s_or_b64 exec, exec, s[4:5]
	s_and_b64 s[0:1], s[0:1], s[22:23]
	s_and_saveexec_b64 s[2:3], s[0:1]
	s_cbranch_execz .LBB3205_83
.LBB3205_85:
	v_add_co_u32_e32 v0, vcc, v10, v12
	v_addc_co_u32_e32 v1, vcc, 0, v11, vcc
	v_add_co_u32_e32 v0, vcc, v0, v14
	s_waitcnt lgkmcnt(0)
	v_mov_b32_e32 v2, 0
	v_addc_co_u32_e32 v1, vcc, 0, v1, vcc
	global_store_dwordx2 v2, v[0:1], s[20:21]
	s_endpgm
.LBB3205_86:
	v_readfirstlane_b32 s4, v16
	v_readfirstlane_b32 s5, v17
	s_waitcnt lgkmcnt(1)
	s_nop 3
	global_store_dwordx2 v1, v[6:7], s[4:5]
	s_or_b64 exec, exec, s[2:3]
	v_cmp_lt_u32_e32 vcc, v21, v12
	s_and_saveexec_b64 s[2:3], vcc
	s_cbranch_execz .LBB3205_72
.LBB3205_87:
	v_readfirstlane_b32 s4, v16
	v_readfirstlane_b32 s5, v17
	s_waitcnt lgkmcnt(1)
	s_nop 3
	global_store_dwordx2 v1, v[8:9], s[4:5] offset:1536
	s_or_b64 exec, exec, s[2:3]
	v_cmp_lt_u32_e32 vcc, v20, v12
	s_and_saveexec_b64 s[2:3], vcc
	s_cbranch_execnz .LBB3205_73
	s_branch .LBB3205_74
.LBB3205_88:
	v_readfirstlane_b32 s4, v16
	v_readfirstlane_b32 s5, v17
	s_waitcnt lgkmcnt(1)
	s_nop 3
	global_store_dwordx2 v1, v[6:7], s[4:5]
	s_or_b64 exec, exec, s[2:3]
	v_cmp_lt_u32_e32 vcc, v21, v22
	s_and_saveexec_b64 s[2:3], vcc
	s_cbranch_execz .LBB3205_78
.LBB3205_89:
	v_readfirstlane_b32 s4, v16
	v_readfirstlane_b32 s5, v17
	s_waitcnt lgkmcnt(1)
	s_nop 3
	global_store_dwordx2 v1, v[8:9], s[4:5] offset:1536
	s_or_b64 exec, exec, s[2:3]
	v_cmp_lt_u32_e32 vcc, v20, v22
	s_and_saveexec_b64 s[2:3], vcc
	s_cbranch_execnz .LBB3205_79
	s_branch .LBB3205_80
	.section	.rodata,"a",@progbits
	.p2align	6, 0x0
	.amdhsa_kernel _ZN7rocprim17ROCPRIM_400000_NS6detail17trampoline_kernelINS0_14default_configENS1_25partition_config_selectorILNS1_17partition_subalgoE1ExNS0_10empty_typeEbEEZZNS1_14partition_implILS5_1ELb0ES3_jN6thrust23THRUST_200600_302600_NS6detail15normal_iteratorINSA_10device_ptrIxEEEEPS6_NSA_18transform_iteratorI7is_evenIxESF_NSA_11use_defaultESK_EENS0_5tupleIJSF_NSA_16discard_iteratorISK_EEEEENSM_IJSG_SG_EEES6_PlJS6_EEE10hipError_tPvRmT3_T4_T5_T6_T7_T9_mT8_P12ihipStream_tbDpT10_ENKUlT_T0_E_clISt17integral_constantIbLb1EES1B_EEDaS16_S17_EUlS16_E_NS1_11comp_targetILNS1_3genE4ELNS1_11target_archE910ELNS1_3gpuE8ELNS1_3repE0EEENS1_30default_config_static_selectorELNS0_4arch9wavefront6targetE1EEEvT1_
		.amdhsa_group_segment_fixed_size 6344
		.amdhsa_private_segment_fixed_size 0
		.amdhsa_kernarg_size 152
		.amdhsa_user_sgpr_count 6
		.amdhsa_user_sgpr_private_segment_buffer 1
		.amdhsa_user_sgpr_dispatch_ptr 0
		.amdhsa_user_sgpr_queue_ptr 0
		.amdhsa_user_sgpr_kernarg_segment_ptr 1
		.amdhsa_user_sgpr_dispatch_id 0
		.amdhsa_user_sgpr_flat_scratch_init 0
		.amdhsa_user_sgpr_kernarg_preload_length 0
		.amdhsa_user_sgpr_kernarg_preload_offset 0
		.amdhsa_user_sgpr_private_segment_size 0
		.amdhsa_uses_dynamic_stack 0
		.amdhsa_system_sgpr_private_segment_wavefront_offset 0
		.amdhsa_system_sgpr_workgroup_id_x 1
		.amdhsa_system_sgpr_workgroup_id_y 0
		.amdhsa_system_sgpr_workgroup_id_z 0
		.amdhsa_system_sgpr_workgroup_info 0
		.amdhsa_system_vgpr_workitem_id 0
		.amdhsa_next_free_vgpr 45
		.amdhsa_next_free_sgpr 40
		.amdhsa_accum_offset 48
		.amdhsa_reserve_vcc 1
		.amdhsa_reserve_flat_scratch 0
		.amdhsa_float_round_mode_32 0
		.amdhsa_float_round_mode_16_64 0
		.amdhsa_float_denorm_mode_32 3
		.amdhsa_float_denorm_mode_16_64 3
		.amdhsa_dx10_clamp 1
		.amdhsa_ieee_mode 1
		.amdhsa_fp16_overflow 0
		.amdhsa_tg_split 0
		.amdhsa_exception_fp_ieee_invalid_op 0
		.amdhsa_exception_fp_denorm_src 0
		.amdhsa_exception_fp_ieee_div_zero 0
		.amdhsa_exception_fp_ieee_overflow 0
		.amdhsa_exception_fp_ieee_underflow 0
		.amdhsa_exception_fp_ieee_inexact 0
		.amdhsa_exception_int_div_zero 0
	.end_amdhsa_kernel
	.section	.text._ZN7rocprim17ROCPRIM_400000_NS6detail17trampoline_kernelINS0_14default_configENS1_25partition_config_selectorILNS1_17partition_subalgoE1ExNS0_10empty_typeEbEEZZNS1_14partition_implILS5_1ELb0ES3_jN6thrust23THRUST_200600_302600_NS6detail15normal_iteratorINSA_10device_ptrIxEEEEPS6_NSA_18transform_iteratorI7is_evenIxESF_NSA_11use_defaultESK_EENS0_5tupleIJSF_NSA_16discard_iteratorISK_EEEEENSM_IJSG_SG_EEES6_PlJS6_EEE10hipError_tPvRmT3_T4_T5_T6_T7_T9_mT8_P12ihipStream_tbDpT10_ENKUlT_T0_E_clISt17integral_constantIbLb1EES1B_EEDaS16_S17_EUlS16_E_NS1_11comp_targetILNS1_3genE4ELNS1_11target_archE910ELNS1_3gpuE8ELNS1_3repE0EEENS1_30default_config_static_selectorELNS0_4arch9wavefront6targetE1EEEvT1_,"axG",@progbits,_ZN7rocprim17ROCPRIM_400000_NS6detail17trampoline_kernelINS0_14default_configENS1_25partition_config_selectorILNS1_17partition_subalgoE1ExNS0_10empty_typeEbEEZZNS1_14partition_implILS5_1ELb0ES3_jN6thrust23THRUST_200600_302600_NS6detail15normal_iteratorINSA_10device_ptrIxEEEEPS6_NSA_18transform_iteratorI7is_evenIxESF_NSA_11use_defaultESK_EENS0_5tupleIJSF_NSA_16discard_iteratorISK_EEEEENSM_IJSG_SG_EEES6_PlJS6_EEE10hipError_tPvRmT3_T4_T5_T6_T7_T9_mT8_P12ihipStream_tbDpT10_ENKUlT_T0_E_clISt17integral_constantIbLb1EES1B_EEDaS16_S17_EUlS16_E_NS1_11comp_targetILNS1_3genE4ELNS1_11target_archE910ELNS1_3gpuE8ELNS1_3repE0EEENS1_30default_config_static_selectorELNS0_4arch9wavefront6targetE1EEEvT1_,comdat
.Lfunc_end3205:
	.size	_ZN7rocprim17ROCPRIM_400000_NS6detail17trampoline_kernelINS0_14default_configENS1_25partition_config_selectorILNS1_17partition_subalgoE1ExNS0_10empty_typeEbEEZZNS1_14partition_implILS5_1ELb0ES3_jN6thrust23THRUST_200600_302600_NS6detail15normal_iteratorINSA_10device_ptrIxEEEEPS6_NSA_18transform_iteratorI7is_evenIxESF_NSA_11use_defaultESK_EENS0_5tupleIJSF_NSA_16discard_iteratorISK_EEEEENSM_IJSG_SG_EEES6_PlJS6_EEE10hipError_tPvRmT3_T4_T5_T6_T7_T9_mT8_P12ihipStream_tbDpT10_ENKUlT_T0_E_clISt17integral_constantIbLb1EES1B_EEDaS16_S17_EUlS16_E_NS1_11comp_targetILNS1_3genE4ELNS1_11target_archE910ELNS1_3gpuE8ELNS1_3repE0EEENS1_30default_config_static_selectorELNS0_4arch9wavefront6targetE1EEEvT1_, .Lfunc_end3205-_ZN7rocprim17ROCPRIM_400000_NS6detail17trampoline_kernelINS0_14default_configENS1_25partition_config_selectorILNS1_17partition_subalgoE1ExNS0_10empty_typeEbEEZZNS1_14partition_implILS5_1ELb0ES3_jN6thrust23THRUST_200600_302600_NS6detail15normal_iteratorINSA_10device_ptrIxEEEEPS6_NSA_18transform_iteratorI7is_evenIxESF_NSA_11use_defaultESK_EENS0_5tupleIJSF_NSA_16discard_iteratorISK_EEEEENSM_IJSG_SG_EEES6_PlJS6_EEE10hipError_tPvRmT3_T4_T5_T6_T7_T9_mT8_P12ihipStream_tbDpT10_ENKUlT_T0_E_clISt17integral_constantIbLb1EES1B_EEDaS16_S17_EUlS16_E_NS1_11comp_targetILNS1_3genE4ELNS1_11target_archE910ELNS1_3gpuE8ELNS1_3repE0EEENS1_30default_config_static_selectorELNS0_4arch9wavefront6targetE1EEEvT1_
                                        ; -- End function
	.section	.AMDGPU.csdata,"",@progbits
; Kernel info:
; codeLenInByte = 4180
; NumSgprs: 44
; NumVgprs: 45
; NumAgprs: 0
; TotalNumVgprs: 45
; ScratchSize: 0
; MemoryBound: 0
; FloatMode: 240
; IeeeMode: 1
; LDSByteSize: 6344 bytes/workgroup (compile time only)
; SGPRBlocks: 5
; VGPRBlocks: 5
; NumSGPRsForWavesPerEU: 44
; NumVGPRsForWavesPerEU: 45
; AccumOffset: 48
; Occupancy: 8
; WaveLimiterHint : 1
; COMPUTE_PGM_RSRC2:SCRATCH_EN: 0
; COMPUTE_PGM_RSRC2:USER_SGPR: 6
; COMPUTE_PGM_RSRC2:TRAP_HANDLER: 0
; COMPUTE_PGM_RSRC2:TGID_X_EN: 1
; COMPUTE_PGM_RSRC2:TGID_Y_EN: 0
; COMPUTE_PGM_RSRC2:TGID_Z_EN: 0
; COMPUTE_PGM_RSRC2:TIDIG_COMP_CNT: 0
; COMPUTE_PGM_RSRC3_GFX90A:ACCUM_OFFSET: 11
; COMPUTE_PGM_RSRC3_GFX90A:TG_SPLIT: 0
	.section	.text._ZN7rocprim17ROCPRIM_400000_NS6detail17trampoline_kernelINS0_14default_configENS1_25partition_config_selectorILNS1_17partition_subalgoE1ExNS0_10empty_typeEbEEZZNS1_14partition_implILS5_1ELb0ES3_jN6thrust23THRUST_200600_302600_NS6detail15normal_iteratorINSA_10device_ptrIxEEEEPS6_NSA_18transform_iteratorI7is_evenIxESF_NSA_11use_defaultESK_EENS0_5tupleIJSF_NSA_16discard_iteratorISK_EEEEENSM_IJSG_SG_EEES6_PlJS6_EEE10hipError_tPvRmT3_T4_T5_T6_T7_T9_mT8_P12ihipStream_tbDpT10_ENKUlT_T0_E_clISt17integral_constantIbLb1EES1B_EEDaS16_S17_EUlS16_E_NS1_11comp_targetILNS1_3genE3ELNS1_11target_archE908ELNS1_3gpuE7ELNS1_3repE0EEENS1_30default_config_static_selectorELNS0_4arch9wavefront6targetE1EEEvT1_,"axG",@progbits,_ZN7rocprim17ROCPRIM_400000_NS6detail17trampoline_kernelINS0_14default_configENS1_25partition_config_selectorILNS1_17partition_subalgoE1ExNS0_10empty_typeEbEEZZNS1_14partition_implILS5_1ELb0ES3_jN6thrust23THRUST_200600_302600_NS6detail15normal_iteratorINSA_10device_ptrIxEEEEPS6_NSA_18transform_iteratorI7is_evenIxESF_NSA_11use_defaultESK_EENS0_5tupleIJSF_NSA_16discard_iteratorISK_EEEEENSM_IJSG_SG_EEES6_PlJS6_EEE10hipError_tPvRmT3_T4_T5_T6_T7_T9_mT8_P12ihipStream_tbDpT10_ENKUlT_T0_E_clISt17integral_constantIbLb1EES1B_EEDaS16_S17_EUlS16_E_NS1_11comp_targetILNS1_3genE3ELNS1_11target_archE908ELNS1_3gpuE7ELNS1_3repE0EEENS1_30default_config_static_selectorELNS0_4arch9wavefront6targetE1EEEvT1_,comdat
	.protected	_ZN7rocprim17ROCPRIM_400000_NS6detail17trampoline_kernelINS0_14default_configENS1_25partition_config_selectorILNS1_17partition_subalgoE1ExNS0_10empty_typeEbEEZZNS1_14partition_implILS5_1ELb0ES3_jN6thrust23THRUST_200600_302600_NS6detail15normal_iteratorINSA_10device_ptrIxEEEEPS6_NSA_18transform_iteratorI7is_evenIxESF_NSA_11use_defaultESK_EENS0_5tupleIJSF_NSA_16discard_iteratorISK_EEEEENSM_IJSG_SG_EEES6_PlJS6_EEE10hipError_tPvRmT3_T4_T5_T6_T7_T9_mT8_P12ihipStream_tbDpT10_ENKUlT_T0_E_clISt17integral_constantIbLb1EES1B_EEDaS16_S17_EUlS16_E_NS1_11comp_targetILNS1_3genE3ELNS1_11target_archE908ELNS1_3gpuE7ELNS1_3repE0EEENS1_30default_config_static_selectorELNS0_4arch9wavefront6targetE1EEEvT1_ ; -- Begin function _ZN7rocprim17ROCPRIM_400000_NS6detail17trampoline_kernelINS0_14default_configENS1_25partition_config_selectorILNS1_17partition_subalgoE1ExNS0_10empty_typeEbEEZZNS1_14partition_implILS5_1ELb0ES3_jN6thrust23THRUST_200600_302600_NS6detail15normal_iteratorINSA_10device_ptrIxEEEEPS6_NSA_18transform_iteratorI7is_evenIxESF_NSA_11use_defaultESK_EENS0_5tupleIJSF_NSA_16discard_iteratorISK_EEEEENSM_IJSG_SG_EEES6_PlJS6_EEE10hipError_tPvRmT3_T4_T5_T6_T7_T9_mT8_P12ihipStream_tbDpT10_ENKUlT_T0_E_clISt17integral_constantIbLb1EES1B_EEDaS16_S17_EUlS16_E_NS1_11comp_targetILNS1_3genE3ELNS1_11target_archE908ELNS1_3gpuE7ELNS1_3repE0EEENS1_30default_config_static_selectorELNS0_4arch9wavefront6targetE1EEEvT1_
	.globl	_ZN7rocprim17ROCPRIM_400000_NS6detail17trampoline_kernelINS0_14default_configENS1_25partition_config_selectorILNS1_17partition_subalgoE1ExNS0_10empty_typeEbEEZZNS1_14partition_implILS5_1ELb0ES3_jN6thrust23THRUST_200600_302600_NS6detail15normal_iteratorINSA_10device_ptrIxEEEEPS6_NSA_18transform_iteratorI7is_evenIxESF_NSA_11use_defaultESK_EENS0_5tupleIJSF_NSA_16discard_iteratorISK_EEEEENSM_IJSG_SG_EEES6_PlJS6_EEE10hipError_tPvRmT3_T4_T5_T6_T7_T9_mT8_P12ihipStream_tbDpT10_ENKUlT_T0_E_clISt17integral_constantIbLb1EES1B_EEDaS16_S17_EUlS16_E_NS1_11comp_targetILNS1_3genE3ELNS1_11target_archE908ELNS1_3gpuE7ELNS1_3repE0EEENS1_30default_config_static_selectorELNS0_4arch9wavefront6targetE1EEEvT1_
	.p2align	8
	.type	_ZN7rocprim17ROCPRIM_400000_NS6detail17trampoline_kernelINS0_14default_configENS1_25partition_config_selectorILNS1_17partition_subalgoE1ExNS0_10empty_typeEbEEZZNS1_14partition_implILS5_1ELb0ES3_jN6thrust23THRUST_200600_302600_NS6detail15normal_iteratorINSA_10device_ptrIxEEEEPS6_NSA_18transform_iteratorI7is_evenIxESF_NSA_11use_defaultESK_EENS0_5tupleIJSF_NSA_16discard_iteratorISK_EEEEENSM_IJSG_SG_EEES6_PlJS6_EEE10hipError_tPvRmT3_T4_T5_T6_T7_T9_mT8_P12ihipStream_tbDpT10_ENKUlT_T0_E_clISt17integral_constantIbLb1EES1B_EEDaS16_S17_EUlS16_E_NS1_11comp_targetILNS1_3genE3ELNS1_11target_archE908ELNS1_3gpuE7ELNS1_3repE0EEENS1_30default_config_static_selectorELNS0_4arch9wavefront6targetE1EEEvT1_,@function
_ZN7rocprim17ROCPRIM_400000_NS6detail17trampoline_kernelINS0_14default_configENS1_25partition_config_selectorILNS1_17partition_subalgoE1ExNS0_10empty_typeEbEEZZNS1_14partition_implILS5_1ELb0ES3_jN6thrust23THRUST_200600_302600_NS6detail15normal_iteratorINSA_10device_ptrIxEEEEPS6_NSA_18transform_iteratorI7is_evenIxESF_NSA_11use_defaultESK_EENS0_5tupleIJSF_NSA_16discard_iteratorISK_EEEEENSM_IJSG_SG_EEES6_PlJS6_EEE10hipError_tPvRmT3_T4_T5_T6_T7_T9_mT8_P12ihipStream_tbDpT10_ENKUlT_T0_E_clISt17integral_constantIbLb1EES1B_EEDaS16_S17_EUlS16_E_NS1_11comp_targetILNS1_3genE3ELNS1_11target_archE908ELNS1_3gpuE7ELNS1_3repE0EEENS1_30default_config_static_selectorELNS0_4arch9wavefront6targetE1EEEvT1_: ; @_ZN7rocprim17ROCPRIM_400000_NS6detail17trampoline_kernelINS0_14default_configENS1_25partition_config_selectorILNS1_17partition_subalgoE1ExNS0_10empty_typeEbEEZZNS1_14partition_implILS5_1ELb0ES3_jN6thrust23THRUST_200600_302600_NS6detail15normal_iteratorINSA_10device_ptrIxEEEEPS6_NSA_18transform_iteratorI7is_evenIxESF_NSA_11use_defaultESK_EENS0_5tupleIJSF_NSA_16discard_iteratorISK_EEEEENSM_IJSG_SG_EEES6_PlJS6_EEE10hipError_tPvRmT3_T4_T5_T6_T7_T9_mT8_P12ihipStream_tbDpT10_ENKUlT_T0_E_clISt17integral_constantIbLb1EES1B_EEDaS16_S17_EUlS16_E_NS1_11comp_targetILNS1_3genE3ELNS1_11target_archE908ELNS1_3gpuE7ELNS1_3repE0EEENS1_30default_config_static_selectorELNS0_4arch9wavefront6targetE1EEEvT1_
; %bb.0:
	.section	.rodata,"a",@progbits
	.p2align	6, 0x0
	.amdhsa_kernel _ZN7rocprim17ROCPRIM_400000_NS6detail17trampoline_kernelINS0_14default_configENS1_25partition_config_selectorILNS1_17partition_subalgoE1ExNS0_10empty_typeEbEEZZNS1_14partition_implILS5_1ELb0ES3_jN6thrust23THRUST_200600_302600_NS6detail15normal_iteratorINSA_10device_ptrIxEEEEPS6_NSA_18transform_iteratorI7is_evenIxESF_NSA_11use_defaultESK_EENS0_5tupleIJSF_NSA_16discard_iteratorISK_EEEEENSM_IJSG_SG_EEES6_PlJS6_EEE10hipError_tPvRmT3_T4_T5_T6_T7_T9_mT8_P12ihipStream_tbDpT10_ENKUlT_T0_E_clISt17integral_constantIbLb1EES1B_EEDaS16_S17_EUlS16_E_NS1_11comp_targetILNS1_3genE3ELNS1_11target_archE908ELNS1_3gpuE7ELNS1_3repE0EEENS1_30default_config_static_selectorELNS0_4arch9wavefront6targetE1EEEvT1_
		.amdhsa_group_segment_fixed_size 0
		.amdhsa_private_segment_fixed_size 0
		.amdhsa_kernarg_size 152
		.amdhsa_user_sgpr_count 6
		.amdhsa_user_sgpr_private_segment_buffer 1
		.amdhsa_user_sgpr_dispatch_ptr 0
		.amdhsa_user_sgpr_queue_ptr 0
		.amdhsa_user_sgpr_kernarg_segment_ptr 1
		.amdhsa_user_sgpr_dispatch_id 0
		.amdhsa_user_sgpr_flat_scratch_init 0
		.amdhsa_user_sgpr_kernarg_preload_length 0
		.amdhsa_user_sgpr_kernarg_preload_offset 0
		.amdhsa_user_sgpr_private_segment_size 0
		.amdhsa_uses_dynamic_stack 0
		.amdhsa_system_sgpr_private_segment_wavefront_offset 0
		.amdhsa_system_sgpr_workgroup_id_x 1
		.amdhsa_system_sgpr_workgroup_id_y 0
		.amdhsa_system_sgpr_workgroup_id_z 0
		.amdhsa_system_sgpr_workgroup_info 0
		.amdhsa_system_vgpr_workitem_id 0
		.amdhsa_next_free_vgpr 1
		.amdhsa_next_free_sgpr 0
		.amdhsa_accum_offset 4
		.amdhsa_reserve_vcc 0
		.amdhsa_reserve_flat_scratch 0
		.amdhsa_float_round_mode_32 0
		.amdhsa_float_round_mode_16_64 0
		.amdhsa_float_denorm_mode_32 3
		.amdhsa_float_denorm_mode_16_64 3
		.amdhsa_dx10_clamp 1
		.amdhsa_ieee_mode 1
		.amdhsa_fp16_overflow 0
		.amdhsa_tg_split 0
		.amdhsa_exception_fp_ieee_invalid_op 0
		.amdhsa_exception_fp_denorm_src 0
		.amdhsa_exception_fp_ieee_div_zero 0
		.amdhsa_exception_fp_ieee_overflow 0
		.amdhsa_exception_fp_ieee_underflow 0
		.amdhsa_exception_fp_ieee_inexact 0
		.amdhsa_exception_int_div_zero 0
	.end_amdhsa_kernel
	.section	.text._ZN7rocprim17ROCPRIM_400000_NS6detail17trampoline_kernelINS0_14default_configENS1_25partition_config_selectorILNS1_17partition_subalgoE1ExNS0_10empty_typeEbEEZZNS1_14partition_implILS5_1ELb0ES3_jN6thrust23THRUST_200600_302600_NS6detail15normal_iteratorINSA_10device_ptrIxEEEEPS6_NSA_18transform_iteratorI7is_evenIxESF_NSA_11use_defaultESK_EENS0_5tupleIJSF_NSA_16discard_iteratorISK_EEEEENSM_IJSG_SG_EEES6_PlJS6_EEE10hipError_tPvRmT3_T4_T5_T6_T7_T9_mT8_P12ihipStream_tbDpT10_ENKUlT_T0_E_clISt17integral_constantIbLb1EES1B_EEDaS16_S17_EUlS16_E_NS1_11comp_targetILNS1_3genE3ELNS1_11target_archE908ELNS1_3gpuE7ELNS1_3repE0EEENS1_30default_config_static_selectorELNS0_4arch9wavefront6targetE1EEEvT1_,"axG",@progbits,_ZN7rocprim17ROCPRIM_400000_NS6detail17trampoline_kernelINS0_14default_configENS1_25partition_config_selectorILNS1_17partition_subalgoE1ExNS0_10empty_typeEbEEZZNS1_14partition_implILS5_1ELb0ES3_jN6thrust23THRUST_200600_302600_NS6detail15normal_iteratorINSA_10device_ptrIxEEEEPS6_NSA_18transform_iteratorI7is_evenIxESF_NSA_11use_defaultESK_EENS0_5tupleIJSF_NSA_16discard_iteratorISK_EEEEENSM_IJSG_SG_EEES6_PlJS6_EEE10hipError_tPvRmT3_T4_T5_T6_T7_T9_mT8_P12ihipStream_tbDpT10_ENKUlT_T0_E_clISt17integral_constantIbLb1EES1B_EEDaS16_S17_EUlS16_E_NS1_11comp_targetILNS1_3genE3ELNS1_11target_archE908ELNS1_3gpuE7ELNS1_3repE0EEENS1_30default_config_static_selectorELNS0_4arch9wavefront6targetE1EEEvT1_,comdat
.Lfunc_end3206:
	.size	_ZN7rocprim17ROCPRIM_400000_NS6detail17trampoline_kernelINS0_14default_configENS1_25partition_config_selectorILNS1_17partition_subalgoE1ExNS0_10empty_typeEbEEZZNS1_14partition_implILS5_1ELb0ES3_jN6thrust23THRUST_200600_302600_NS6detail15normal_iteratorINSA_10device_ptrIxEEEEPS6_NSA_18transform_iteratorI7is_evenIxESF_NSA_11use_defaultESK_EENS0_5tupleIJSF_NSA_16discard_iteratorISK_EEEEENSM_IJSG_SG_EEES6_PlJS6_EEE10hipError_tPvRmT3_T4_T5_T6_T7_T9_mT8_P12ihipStream_tbDpT10_ENKUlT_T0_E_clISt17integral_constantIbLb1EES1B_EEDaS16_S17_EUlS16_E_NS1_11comp_targetILNS1_3genE3ELNS1_11target_archE908ELNS1_3gpuE7ELNS1_3repE0EEENS1_30default_config_static_selectorELNS0_4arch9wavefront6targetE1EEEvT1_, .Lfunc_end3206-_ZN7rocprim17ROCPRIM_400000_NS6detail17trampoline_kernelINS0_14default_configENS1_25partition_config_selectorILNS1_17partition_subalgoE1ExNS0_10empty_typeEbEEZZNS1_14partition_implILS5_1ELb0ES3_jN6thrust23THRUST_200600_302600_NS6detail15normal_iteratorINSA_10device_ptrIxEEEEPS6_NSA_18transform_iteratorI7is_evenIxESF_NSA_11use_defaultESK_EENS0_5tupleIJSF_NSA_16discard_iteratorISK_EEEEENSM_IJSG_SG_EEES6_PlJS6_EEE10hipError_tPvRmT3_T4_T5_T6_T7_T9_mT8_P12ihipStream_tbDpT10_ENKUlT_T0_E_clISt17integral_constantIbLb1EES1B_EEDaS16_S17_EUlS16_E_NS1_11comp_targetILNS1_3genE3ELNS1_11target_archE908ELNS1_3gpuE7ELNS1_3repE0EEENS1_30default_config_static_selectorELNS0_4arch9wavefront6targetE1EEEvT1_
                                        ; -- End function
	.section	.AMDGPU.csdata,"",@progbits
; Kernel info:
; codeLenInByte = 0
; NumSgprs: 4
; NumVgprs: 0
; NumAgprs: 0
; TotalNumVgprs: 0
; ScratchSize: 0
; MemoryBound: 0
; FloatMode: 240
; IeeeMode: 1
; LDSByteSize: 0 bytes/workgroup (compile time only)
; SGPRBlocks: 0
; VGPRBlocks: 0
; NumSGPRsForWavesPerEU: 4
; NumVGPRsForWavesPerEU: 1
; AccumOffset: 4
; Occupancy: 8
; WaveLimiterHint : 0
; COMPUTE_PGM_RSRC2:SCRATCH_EN: 0
; COMPUTE_PGM_RSRC2:USER_SGPR: 6
; COMPUTE_PGM_RSRC2:TRAP_HANDLER: 0
; COMPUTE_PGM_RSRC2:TGID_X_EN: 1
; COMPUTE_PGM_RSRC2:TGID_Y_EN: 0
; COMPUTE_PGM_RSRC2:TGID_Z_EN: 0
; COMPUTE_PGM_RSRC2:TIDIG_COMP_CNT: 0
; COMPUTE_PGM_RSRC3_GFX90A:ACCUM_OFFSET: 0
; COMPUTE_PGM_RSRC3_GFX90A:TG_SPLIT: 0
	.section	.text._ZN7rocprim17ROCPRIM_400000_NS6detail17trampoline_kernelINS0_14default_configENS1_25partition_config_selectorILNS1_17partition_subalgoE1ExNS0_10empty_typeEbEEZZNS1_14partition_implILS5_1ELb0ES3_jN6thrust23THRUST_200600_302600_NS6detail15normal_iteratorINSA_10device_ptrIxEEEEPS6_NSA_18transform_iteratorI7is_evenIxESF_NSA_11use_defaultESK_EENS0_5tupleIJSF_NSA_16discard_iteratorISK_EEEEENSM_IJSG_SG_EEES6_PlJS6_EEE10hipError_tPvRmT3_T4_T5_T6_T7_T9_mT8_P12ihipStream_tbDpT10_ENKUlT_T0_E_clISt17integral_constantIbLb1EES1B_EEDaS16_S17_EUlS16_E_NS1_11comp_targetILNS1_3genE2ELNS1_11target_archE906ELNS1_3gpuE6ELNS1_3repE0EEENS1_30default_config_static_selectorELNS0_4arch9wavefront6targetE1EEEvT1_,"axG",@progbits,_ZN7rocprim17ROCPRIM_400000_NS6detail17trampoline_kernelINS0_14default_configENS1_25partition_config_selectorILNS1_17partition_subalgoE1ExNS0_10empty_typeEbEEZZNS1_14partition_implILS5_1ELb0ES3_jN6thrust23THRUST_200600_302600_NS6detail15normal_iteratorINSA_10device_ptrIxEEEEPS6_NSA_18transform_iteratorI7is_evenIxESF_NSA_11use_defaultESK_EENS0_5tupleIJSF_NSA_16discard_iteratorISK_EEEEENSM_IJSG_SG_EEES6_PlJS6_EEE10hipError_tPvRmT3_T4_T5_T6_T7_T9_mT8_P12ihipStream_tbDpT10_ENKUlT_T0_E_clISt17integral_constantIbLb1EES1B_EEDaS16_S17_EUlS16_E_NS1_11comp_targetILNS1_3genE2ELNS1_11target_archE906ELNS1_3gpuE6ELNS1_3repE0EEENS1_30default_config_static_selectorELNS0_4arch9wavefront6targetE1EEEvT1_,comdat
	.protected	_ZN7rocprim17ROCPRIM_400000_NS6detail17trampoline_kernelINS0_14default_configENS1_25partition_config_selectorILNS1_17partition_subalgoE1ExNS0_10empty_typeEbEEZZNS1_14partition_implILS5_1ELb0ES3_jN6thrust23THRUST_200600_302600_NS6detail15normal_iteratorINSA_10device_ptrIxEEEEPS6_NSA_18transform_iteratorI7is_evenIxESF_NSA_11use_defaultESK_EENS0_5tupleIJSF_NSA_16discard_iteratorISK_EEEEENSM_IJSG_SG_EEES6_PlJS6_EEE10hipError_tPvRmT3_T4_T5_T6_T7_T9_mT8_P12ihipStream_tbDpT10_ENKUlT_T0_E_clISt17integral_constantIbLb1EES1B_EEDaS16_S17_EUlS16_E_NS1_11comp_targetILNS1_3genE2ELNS1_11target_archE906ELNS1_3gpuE6ELNS1_3repE0EEENS1_30default_config_static_selectorELNS0_4arch9wavefront6targetE1EEEvT1_ ; -- Begin function _ZN7rocprim17ROCPRIM_400000_NS6detail17trampoline_kernelINS0_14default_configENS1_25partition_config_selectorILNS1_17partition_subalgoE1ExNS0_10empty_typeEbEEZZNS1_14partition_implILS5_1ELb0ES3_jN6thrust23THRUST_200600_302600_NS6detail15normal_iteratorINSA_10device_ptrIxEEEEPS6_NSA_18transform_iteratorI7is_evenIxESF_NSA_11use_defaultESK_EENS0_5tupleIJSF_NSA_16discard_iteratorISK_EEEEENSM_IJSG_SG_EEES6_PlJS6_EEE10hipError_tPvRmT3_T4_T5_T6_T7_T9_mT8_P12ihipStream_tbDpT10_ENKUlT_T0_E_clISt17integral_constantIbLb1EES1B_EEDaS16_S17_EUlS16_E_NS1_11comp_targetILNS1_3genE2ELNS1_11target_archE906ELNS1_3gpuE6ELNS1_3repE0EEENS1_30default_config_static_selectorELNS0_4arch9wavefront6targetE1EEEvT1_
	.globl	_ZN7rocprim17ROCPRIM_400000_NS6detail17trampoline_kernelINS0_14default_configENS1_25partition_config_selectorILNS1_17partition_subalgoE1ExNS0_10empty_typeEbEEZZNS1_14partition_implILS5_1ELb0ES3_jN6thrust23THRUST_200600_302600_NS6detail15normal_iteratorINSA_10device_ptrIxEEEEPS6_NSA_18transform_iteratorI7is_evenIxESF_NSA_11use_defaultESK_EENS0_5tupleIJSF_NSA_16discard_iteratorISK_EEEEENSM_IJSG_SG_EEES6_PlJS6_EEE10hipError_tPvRmT3_T4_T5_T6_T7_T9_mT8_P12ihipStream_tbDpT10_ENKUlT_T0_E_clISt17integral_constantIbLb1EES1B_EEDaS16_S17_EUlS16_E_NS1_11comp_targetILNS1_3genE2ELNS1_11target_archE906ELNS1_3gpuE6ELNS1_3repE0EEENS1_30default_config_static_selectorELNS0_4arch9wavefront6targetE1EEEvT1_
	.p2align	8
	.type	_ZN7rocprim17ROCPRIM_400000_NS6detail17trampoline_kernelINS0_14default_configENS1_25partition_config_selectorILNS1_17partition_subalgoE1ExNS0_10empty_typeEbEEZZNS1_14partition_implILS5_1ELb0ES3_jN6thrust23THRUST_200600_302600_NS6detail15normal_iteratorINSA_10device_ptrIxEEEEPS6_NSA_18transform_iteratorI7is_evenIxESF_NSA_11use_defaultESK_EENS0_5tupleIJSF_NSA_16discard_iteratorISK_EEEEENSM_IJSG_SG_EEES6_PlJS6_EEE10hipError_tPvRmT3_T4_T5_T6_T7_T9_mT8_P12ihipStream_tbDpT10_ENKUlT_T0_E_clISt17integral_constantIbLb1EES1B_EEDaS16_S17_EUlS16_E_NS1_11comp_targetILNS1_3genE2ELNS1_11target_archE906ELNS1_3gpuE6ELNS1_3repE0EEENS1_30default_config_static_selectorELNS0_4arch9wavefront6targetE1EEEvT1_,@function
_ZN7rocprim17ROCPRIM_400000_NS6detail17trampoline_kernelINS0_14default_configENS1_25partition_config_selectorILNS1_17partition_subalgoE1ExNS0_10empty_typeEbEEZZNS1_14partition_implILS5_1ELb0ES3_jN6thrust23THRUST_200600_302600_NS6detail15normal_iteratorINSA_10device_ptrIxEEEEPS6_NSA_18transform_iteratorI7is_evenIxESF_NSA_11use_defaultESK_EENS0_5tupleIJSF_NSA_16discard_iteratorISK_EEEEENSM_IJSG_SG_EEES6_PlJS6_EEE10hipError_tPvRmT3_T4_T5_T6_T7_T9_mT8_P12ihipStream_tbDpT10_ENKUlT_T0_E_clISt17integral_constantIbLb1EES1B_EEDaS16_S17_EUlS16_E_NS1_11comp_targetILNS1_3genE2ELNS1_11target_archE906ELNS1_3gpuE6ELNS1_3repE0EEENS1_30default_config_static_selectorELNS0_4arch9wavefront6targetE1EEEvT1_: ; @_ZN7rocprim17ROCPRIM_400000_NS6detail17trampoline_kernelINS0_14default_configENS1_25partition_config_selectorILNS1_17partition_subalgoE1ExNS0_10empty_typeEbEEZZNS1_14partition_implILS5_1ELb0ES3_jN6thrust23THRUST_200600_302600_NS6detail15normal_iteratorINSA_10device_ptrIxEEEEPS6_NSA_18transform_iteratorI7is_evenIxESF_NSA_11use_defaultESK_EENS0_5tupleIJSF_NSA_16discard_iteratorISK_EEEEENSM_IJSG_SG_EEES6_PlJS6_EEE10hipError_tPvRmT3_T4_T5_T6_T7_T9_mT8_P12ihipStream_tbDpT10_ENKUlT_T0_E_clISt17integral_constantIbLb1EES1B_EEDaS16_S17_EUlS16_E_NS1_11comp_targetILNS1_3genE2ELNS1_11target_archE906ELNS1_3gpuE6ELNS1_3repE0EEENS1_30default_config_static_selectorELNS0_4arch9wavefront6targetE1EEEvT1_
; %bb.0:
	.section	.rodata,"a",@progbits
	.p2align	6, 0x0
	.amdhsa_kernel _ZN7rocprim17ROCPRIM_400000_NS6detail17trampoline_kernelINS0_14default_configENS1_25partition_config_selectorILNS1_17partition_subalgoE1ExNS0_10empty_typeEbEEZZNS1_14partition_implILS5_1ELb0ES3_jN6thrust23THRUST_200600_302600_NS6detail15normal_iteratorINSA_10device_ptrIxEEEEPS6_NSA_18transform_iteratorI7is_evenIxESF_NSA_11use_defaultESK_EENS0_5tupleIJSF_NSA_16discard_iteratorISK_EEEEENSM_IJSG_SG_EEES6_PlJS6_EEE10hipError_tPvRmT3_T4_T5_T6_T7_T9_mT8_P12ihipStream_tbDpT10_ENKUlT_T0_E_clISt17integral_constantIbLb1EES1B_EEDaS16_S17_EUlS16_E_NS1_11comp_targetILNS1_3genE2ELNS1_11target_archE906ELNS1_3gpuE6ELNS1_3repE0EEENS1_30default_config_static_selectorELNS0_4arch9wavefront6targetE1EEEvT1_
		.amdhsa_group_segment_fixed_size 0
		.amdhsa_private_segment_fixed_size 0
		.amdhsa_kernarg_size 152
		.amdhsa_user_sgpr_count 6
		.amdhsa_user_sgpr_private_segment_buffer 1
		.amdhsa_user_sgpr_dispatch_ptr 0
		.amdhsa_user_sgpr_queue_ptr 0
		.amdhsa_user_sgpr_kernarg_segment_ptr 1
		.amdhsa_user_sgpr_dispatch_id 0
		.amdhsa_user_sgpr_flat_scratch_init 0
		.amdhsa_user_sgpr_kernarg_preload_length 0
		.amdhsa_user_sgpr_kernarg_preload_offset 0
		.amdhsa_user_sgpr_private_segment_size 0
		.amdhsa_uses_dynamic_stack 0
		.amdhsa_system_sgpr_private_segment_wavefront_offset 0
		.amdhsa_system_sgpr_workgroup_id_x 1
		.amdhsa_system_sgpr_workgroup_id_y 0
		.amdhsa_system_sgpr_workgroup_id_z 0
		.amdhsa_system_sgpr_workgroup_info 0
		.amdhsa_system_vgpr_workitem_id 0
		.amdhsa_next_free_vgpr 1
		.amdhsa_next_free_sgpr 0
		.amdhsa_accum_offset 4
		.amdhsa_reserve_vcc 0
		.amdhsa_reserve_flat_scratch 0
		.amdhsa_float_round_mode_32 0
		.amdhsa_float_round_mode_16_64 0
		.amdhsa_float_denorm_mode_32 3
		.amdhsa_float_denorm_mode_16_64 3
		.amdhsa_dx10_clamp 1
		.amdhsa_ieee_mode 1
		.amdhsa_fp16_overflow 0
		.amdhsa_tg_split 0
		.amdhsa_exception_fp_ieee_invalid_op 0
		.amdhsa_exception_fp_denorm_src 0
		.amdhsa_exception_fp_ieee_div_zero 0
		.amdhsa_exception_fp_ieee_overflow 0
		.amdhsa_exception_fp_ieee_underflow 0
		.amdhsa_exception_fp_ieee_inexact 0
		.amdhsa_exception_int_div_zero 0
	.end_amdhsa_kernel
	.section	.text._ZN7rocprim17ROCPRIM_400000_NS6detail17trampoline_kernelINS0_14default_configENS1_25partition_config_selectorILNS1_17partition_subalgoE1ExNS0_10empty_typeEbEEZZNS1_14partition_implILS5_1ELb0ES3_jN6thrust23THRUST_200600_302600_NS6detail15normal_iteratorINSA_10device_ptrIxEEEEPS6_NSA_18transform_iteratorI7is_evenIxESF_NSA_11use_defaultESK_EENS0_5tupleIJSF_NSA_16discard_iteratorISK_EEEEENSM_IJSG_SG_EEES6_PlJS6_EEE10hipError_tPvRmT3_T4_T5_T6_T7_T9_mT8_P12ihipStream_tbDpT10_ENKUlT_T0_E_clISt17integral_constantIbLb1EES1B_EEDaS16_S17_EUlS16_E_NS1_11comp_targetILNS1_3genE2ELNS1_11target_archE906ELNS1_3gpuE6ELNS1_3repE0EEENS1_30default_config_static_selectorELNS0_4arch9wavefront6targetE1EEEvT1_,"axG",@progbits,_ZN7rocprim17ROCPRIM_400000_NS6detail17trampoline_kernelINS0_14default_configENS1_25partition_config_selectorILNS1_17partition_subalgoE1ExNS0_10empty_typeEbEEZZNS1_14partition_implILS5_1ELb0ES3_jN6thrust23THRUST_200600_302600_NS6detail15normal_iteratorINSA_10device_ptrIxEEEEPS6_NSA_18transform_iteratorI7is_evenIxESF_NSA_11use_defaultESK_EENS0_5tupleIJSF_NSA_16discard_iteratorISK_EEEEENSM_IJSG_SG_EEES6_PlJS6_EEE10hipError_tPvRmT3_T4_T5_T6_T7_T9_mT8_P12ihipStream_tbDpT10_ENKUlT_T0_E_clISt17integral_constantIbLb1EES1B_EEDaS16_S17_EUlS16_E_NS1_11comp_targetILNS1_3genE2ELNS1_11target_archE906ELNS1_3gpuE6ELNS1_3repE0EEENS1_30default_config_static_selectorELNS0_4arch9wavefront6targetE1EEEvT1_,comdat
.Lfunc_end3207:
	.size	_ZN7rocprim17ROCPRIM_400000_NS6detail17trampoline_kernelINS0_14default_configENS1_25partition_config_selectorILNS1_17partition_subalgoE1ExNS0_10empty_typeEbEEZZNS1_14partition_implILS5_1ELb0ES3_jN6thrust23THRUST_200600_302600_NS6detail15normal_iteratorINSA_10device_ptrIxEEEEPS6_NSA_18transform_iteratorI7is_evenIxESF_NSA_11use_defaultESK_EENS0_5tupleIJSF_NSA_16discard_iteratorISK_EEEEENSM_IJSG_SG_EEES6_PlJS6_EEE10hipError_tPvRmT3_T4_T5_T6_T7_T9_mT8_P12ihipStream_tbDpT10_ENKUlT_T0_E_clISt17integral_constantIbLb1EES1B_EEDaS16_S17_EUlS16_E_NS1_11comp_targetILNS1_3genE2ELNS1_11target_archE906ELNS1_3gpuE6ELNS1_3repE0EEENS1_30default_config_static_selectorELNS0_4arch9wavefront6targetE1EEEvT1_, .Lfunc_end3207-_ZN7rocprim17ROCPRIM_400000_NS6detail17trampoline_kernelINS0_14default_configENS1_25partition_config_selectorILNS1_17partition_subalgoE1ExNS0_10empty_typeEbEEZZNS1_14partition_implILS5_1ELb0ES3_jN6thrust23THRUST_200600_302600_NS6detail15normal_iteratorINSA_10device_ptrIxEEEEPS6_NSA_18transform_iteratorI7is_evenIxESF_NSA_11use_defaultESK_EENS0_5tupleIJSF_NSA_16discard_iteratorISK_EEEEENSM_IJSG_SG_EEES6_PlJS6_EEE10hipError_tPvRmT3_T4_T5_T6_T7_T9_mT8_P12ihipStream_tbDpT10_ENKUlT_T0_E_clISt17integral_constantIbLb1EES1B_EEDaS16_S17_EUlS16_E_NS1_11comp_targetILNS1_3genE2ELNS1_11target_archE906ELNS1_3gpuE6ELNS1_3repE0EEENS1_30default_config_static_selectorELNS0_4arch9wavefront6targetE1EEEvT1_
                                        ; -- End function
	.section	.AMDGPU.csdata,"",@progbits
; Kernel info:
; codeLenInByte = 0
; NumSgprs: 4
; NumVgprs: 0
; NumAgprs: 0
; TotalNumVgprs: 0
; ScratchSize: 0
; MemoryBound: 0
; FloatMode: 240
; IeeeMode: 1
; LDSByteSize: 0 bytes/workgroup (compile time only)
; SGPRBlocks: 0
; VGPRBlocks: 0
; NumSGPRsForWavesPerEU: 4
; NumVGPRsForWavesPerEU: 1
; AccumOffset: 4
; Occupancy: 8
; WaveLimiterHint : 0
; COMPUTE_PGM_RSRC2:SCRATCH_EN: 0
; COMPUTE_PGM_RSRC2:USER_SGPR: 6
; COMPUTE_PGM_RSRC2:TRAP_HANDLER: 0
; COMPUTE_PGM_RSRC2:TGID_X_EN: 1
; COMPUTE_PGM_RSRC2:TGID_Y_EN: 0
; COMPUTE_PGM_RSRC2:TGID_Z_EN: 0
; COMPUTE_PGM_RSRC2:TIDIG_COMP_CNT: 0
; COMPUTE_PGM_RSRC3_GFX90A:ACCUM_OFFSET: 0
; COMPUTE_PGM_RSRC3_GFX90A:TG_SPLIT: 0
	.section	.text._ZN7rocprim17ROCPRIM_400000_NS6detail17trampoline_kernelINS0_14default_configENS1_25partition_config_selectorILNS1_17partition_subalgoE1ExNS0_10empty_typeEbEEZZNS1_14partition_implILS5_1ELb0ES3_jN6thrust23THRUST_200600_302600_NS6detail15normal_iteratorINSA_10device_ptrIxEEEEPS6_NSA_18transform_iteratorI7is_evenIxESF_NSA_11use_defaultESK_EENS0_5tupleIJSF_NSA_16discard_iteratorISK_EEEEENSM_IJSG_SG_EEES6_PlJS6_EEE10hipError_tPvRmT3_T4_T5_T6_T7_T9_mT8_P12ihipStream_tbDpT10_ENKUlT_T0_E_clISt17integral_constantIbLb1EES1B_EEDaS16_S17_EUlS16_E_NS1_11comp_targetILNS1_3genE10ELNS1_11target_archE1200ELNS1_3gpuE4ELNS1_3repE0EEENS1_30default_config_static_selectorELNS0_4arch9wavefront6targetE1EEEvT1_,"axG",@progbits,_ZN7rocprim17ROCPRIM_400000_NS6detail17trampoline_kernelINS0_14default_configENS1_25partition_config_selectorILNS1_17partition_subalgoE1ExNS0_10empty_typeEbEEZZNS1_14partition_implILS5_1ELb0ES3_jN6thrust23THRUST_200600_302600_NS6detail15normal_iteratorINSA_10device_ptrIxEEEEPS6_NSA_18transform_iteratorI7is_evenIxESF_NSA_11use_defaultESK_EENS0_5tupleIJSF_NSA_16discard_iteratorISK_EEEEENSM_IJSG_SG_EEES6_PlJS6_EEE10hipError_tPvRmT3_T4_T5_T6_T7_T9_mT8_P12ihipStream_tbDpT10_ENKUlT_T0_E_clISt17integral_constantIbLb1EES1B_EEDaS16_S17_EUlS16_E_NS1_11comp_targetILNS1_3genE10ELNS1_11target_archE1200ELNS1_3gpuE4ELNS1_3repE0EEENS1_30default_config_static_selectorELNS0_4arch9wavefront6targetE1EEEvT1_,comdat
	.protected	_ZN7rocprim17ROCPRIM_400000_NS6detail17trampoline_kernelINS0_14default_configENS1_25partition_config_selectorILNS1_17partition_subalgoE1ExNS0_10empty_typeEbEEZZNS1_14partition_implILS5_1ELb0ES3_jN6thrust23THRUST_200600_302600_NS6detail15normal_iteratorINSA_10device_ptrIxEEEEPS6_NSA_18transform_iteratorI7is_evenIxESF_NSA_11use_defaultESK_EENS0_5tupleIJSF_NSA_16discard_iteratorISK_EEEEENSM_IJSG_SG_EEES6_PlJS6_EEE10hipError_tPvRmT3_T4_T5_T6_T7_T9_mT8_P12ihipStream_tbDpT10_ENKUlT_T0_E_clISt17integral_constantIbLb1EES1B_EEDaS16_S17_EUlS16_E_NS1_11comp_targetILNS1_3genE10ELNS1_11target_archE1200ELNS1_3gpuE4ELNS1_3repE0EEENS1_30default_config_static_selectorELNS0_4arch9wavefront6targetE1EEEvT1_ ; -- Begin function _ZN7rocprim17ROCPRIM_400000_NS6detail17trampoline_kernelINS0_14default_configENS1_25partition_config_selectorILNS1_17partition_subalgoE1ExNS0_10empty_typeEbEEZZNS1_14partition_implILS5_1ELb0ES3_jN6thrust23THRUST_200600_302600_NS6detail15normal_iteratorINSA_10device_ptrIxEEEEPS6_NSA_18transform_iteratorI7is_evenIxESF_NSA_11use_defaultESK_EENS0_5tupleIJSF_NSA_16discard_iteratorISK_EEEEENSM_IJSG_SG_EEES6_PlJS6_EEE10hipError_tPvRmT3_T4_T5_T6_T7_T9_mT8_P12ihipStream_tbDpT10_ENKUlT_T0_E_clISt17integral_constantIbLb1EES1B_EEDaS16_S17_EUlS16_E_NS1_11comp_targetILNS1_3genE10ELNS1_11target_archE1200ELNS1_3gpuE4ELNS1_3repE0EEENS1_30default_config_static_selectorELNS0_4arch9wavefront6targetE1EEEvT1_
	.globl	_ZN7rocprim17ROCPRIM_400000_NS6detail17trampoline_kernelINS0_14default_configENS1_25partition_config_selectorILNS1_17partition_subalgoE1ExNS0_10empty_typeEbEEZZNS1_14partition_implILS5_1ELb0ES3_jN6thrust23THRUST_200600_302600_NS6detail15normal_iteratorINSA_10device_ptrIxEEEEPS6_NSA_18transform_iteratorI7is_evenIxESF_NSA_11use_defaultESK_EENS0_5tupleIJSF_NSA_16discard_iteratorISK_EEEEENSM_IJSG_SG_EEES6_PlJS6_EEE10hipError_tPvRmT3_T4_T5_T6_T7_T9_mT8_P12ihipStream_tbDpT10_ENKUlT_T0_E_clISt17integral_constantIbLb1EES1B_EEDaS16_S17_EUlS16_E_NS1_11comp_targetILNS1_3genE10ELNS1_11target_archE1200ELNS1_3gpuE4ELNS1_3repE0EEENS1_30default_config_static_selectorELNS0_4arch9wavefront6targetE1EEEvT1_
	.p2align	8
	.type	_ZN7rocprim17ROCPRIM_400000_NS6detail17trampoline_kernelINS0_14default_configENS1_25partition_config_selectorILNS1_17partition_subalgoE1ExNS0_10empty_typeEbEEZZNS1_14partition_implILS5_1ELb0ES3_jN6thrust23THRUST_200600_302600_NS6detail15normal_iteratorINSA_10device_ptrIxEEEEPS6_NSA_18transform_iteratorI7is_evenIxESF_NSA_11use_defaultESK_EENS0_5tupleIJSF_NSA_16discard_iteratorISK_EEEEENSM_IJSG_SG_EEES6_PlJS6_EEE10hipError_tPvRmT3_T4_T5_T6_T7_T9_mT8_P12ihipStream_tbDpT10_ENKUlT_T0_E_clISt17integral_constantIbLb1EES1B_EEDaS16_S17_EUlS16_E_NS1_11comp_targetILNS1_3genE10ELNS1_11target_archE1200ELNS1_3gpuE4ELNS1_3repE0EEENS1_30default_config_static_selectorELNS0_4arch9wavefront6targetE1EEEvT1_,@function
_ZN7rocprim17ROCPRIM_400000_NS6detail17trampoline_kernelINS0_14default_configENS1_25partition_config_selectorILNS1_17partition_subalgoE1ExNS0_10empty_typeEbEEZZNS1_14partition_implILS5_1ELb0ES3_jN6thrust23THRUST_200600_302600_NS6detail15normal_iteratorINSA_10device_ptrIxEEEEPS6_NSA_18transform_iteratorI7is_evenIxESF_NSA_11use_defaultESK_EENS0_5tupleIJSF_NSA_16discard_iteratorISK_EEEEENSM_IJSG_SG_EEES6_PlJS6_EEE10hipError_tPvRmT3_T4_T5_T6_T7_T9_mT8_P12ihipStream_tbDpT10_ENKUlT_T0_E_clISt17integral_constantIbLb1EES1B_EEDaS16_S17_EUlS16_E_NS1_11comp_targetILNS1_3genE10ELNS1_11target_archE1200ELNS1_3gpuE4ELNS1_3repE0EEENS1_30default_config_static_selectorELNS0_4arch9wavefront6targetE1EEEvT1_: ; @_ZN7rocprim17ROCPRIM_400000_NS6detail17trampoline_kernelINS0_14default_configENS1_25partition_config_selectorILNS1_17partition_subalgoE1ExNS0_10empty_typeEbEEZZNS1_14partition_implILS5_1ELb0ES3_jN6thrust23THRUST_200600_302600_NS6detail15normal_iteratorINSA_10device_ptrIxEEEEPS6_NSA_18transform_iteratorI7is_evenIxESF_NSA_11use_defaultESK_EENS0_5tupleIJSF_NSA_16discard_iteratorISK_EEEEENSM_IJSG_SG_EEES6_PlJS6_EEE10hipError_tPvRmT3_T4_T5_T6_T7_T9_mT8_P12ihipStream_tbDpT10_ENKUlT_T0_E_clISt17integral_constantIbLb1EES1B_EEDaS16_S17_EUlS16_E_NS1_11comp_targetILNS1_3genE10ELNS1_11target_archE1200ELNS1_3gpuE4ELNS1_3repE0EEENS1_30default_config_static_selectorELNS0_4arch9wavefront6targetE1EEEvT1_
; %bb.0:
	.section	.rodata,"a",@progbits
	.p2align	6, 0x0
	.amdhsa_kernel _ZN7rocprim17ROCPRIM_400000_NS6detail17trampoline_kernelINS0_14default_configENS1_25partition_config_selectorILNS1_17partition_subalgoE1ExNS0_10empty_typeEbEEZZNS1_14partition_implILS5_1ELb0ES3_jN6thrust23THRUST_200600_302600_NS6detail15normal_iteratorINSA_10device_ptrIxEEEEPS6_NSA_18transform_iteratorI7is_evenIxESF_NSA_11use_defaultESK_EENS0_5tupleIJSF_NSA_16discard_iteratorISK_EEEEENSM_IJSG_SG_EEES6_PlJS6_EEE10hipError_tPvRmT3_T4_T5_T6_T7_T9_mT8_P12ihipStream_tbDpT10_ENKUlT_T0_E_clISt17integral_constantIbLb1EES1B_EEDaS16_S17_EUlS16_E_NS1_11comp_targetILNS1_3genE10ELNS1_11target_archE1200ELNS1_3gpuE4ELNS1_3repE0EEENS1_30default_config_static_selectorELNS0_4arch9wavefront6targetE1EEEvT1_
		.amdhsa_group_segment_fixed_size 0
		.amdhsa_private_segment_fixed_size 0
		.amdhsa_kernarg_size 152
		.amdhsa_user_sgpr_count 6
		.amdhsa_user_sgpr_private_segment_buffer 1
		.amdhsa_user_sgpr_dispatch_ptr 0
		.amdhsa_user_sgpr_queue_ptr 0
		.amdhsa_user_sgpr_kernarg_segment_ptr 1
		.amdhsa_user_sgpr_dispatch_id 0
		.amdhsa_user_sgpr_flat_scratch_init 0
		.amdhsa_user_sgpr_kernarg_preload_length 0
		.amdhsa_user_sgpr_kernarg_preload_offset 0
		.amdhsa_user_sgpr_private_segment_size 0
		.amdhsa_uses_dynamic_stack 0
		.amdhsa_system_sgpr_private_segment_wavefront_offset 0
		.amdhsa_system_sgpr_workgroup_id_x 1
		.amdhsa_system_sgpr_workgroup_id_y 0
		.amdhsa_system_sgpr_workgroup_id_z 0
		.amdhsa_system_sgpr_workgroup_info 0
		.amdhsa_system_vgpr_workitem_id 0
		.amdhsa_next_free_vgpr 1
		.amdhsa_next_free_sgpr 0
		.amdhsa_accum_offset 4
		.amdhsa_reserve_vcc 0
		.amdhsa_reserve_flat_scratch 0
		.amdhsa_float_round_mode_32 0
		.amdhsa_float_round_mode_16_64 0
		.amdhsa_float_denorm_mode_32 3
		.amdhsa_float_denorm_mode_16_64 3
		.amdhsa_dx10_clamp 1
		.amdhsa_ieee_mode 1
		.amdhsa_fp16_overflow 0
		.amdhsa_tg_split 0
		.amdhsa_exception_fp_ieee_invalid_op 0
		.amdhsa_exception_fp_denorm_src 0
		.amdhsa_exception_fp_ieee_div_zero 0
		.amdhsa_exception_fp_ieee_overflow 0
		.amdhsa_exception_fp_ieee_underflow 0
		.amdhsa_exception_fp_ieee_inexact 0
		.amdhsa_exception_int_div_zero 0
	.end_amdhsa_kernel
	.section	.text._ZN7rocprim17ROCPRIM_400000_NS6detail17trampoline_kernelINS0_14default_configENS1_25partition_config_selectorILNS1_17partition_subalgoE1ExNS0_10empty_typeEbEEZZNS1_14partition_implILS5_1ELb0ES3_jN6thrust23THRUST_200600_302600_NS6detail15normal_iteratorINSA_10device_ptrIxEEEEPS6_NSA_18transform_iteratorI7is_evenIxESF_NSA_11use_defaultESK_EENS0_5tupleIJSF_NSA_16discard_iteratorISK_EEEEENSM_IJSG_SG_EEES6_PlJS6_EEE10hipError_tPvRmT3_T4_T5_T6_T7_T9_mT8_P12ihipStream_tbDpT10_ENKUlT_T0_E_clISt17integral_constantIbLb1EES1B_EEDaS16_S17_EUlS16_E_NS1_11comp_targetILNS1_3genE10ELNS1_11target_archE1200ELNS1_3gpuE4ELNS1_3repE0EEENS1_30default_config_static_selectorELNS0_4arch9wavefront6targetE1EEEvT1_,"axG",@progbits,_ZN7rocprim17ROCPRIM_400000_NS6detail17trampoline_kernelINS0_14default_configENS1_25partition_config_selectorILNS1_17partition_subalgoE1ExNS0_10empty_typeEbEEZZNS1_14partition_implILS5_1ELb0ES3_jN6thrust23THRUST_200600_302600_NS6detail15normal_iteratorINSA_10device_ptrIxEEEEPS6_NSA_18transform_iteratorI7is_evenIxESF_NSA_11use_defaultESK_EENS0_5tupleIJSF_NSA_16discard_iteratorISK_EEEEENSM_IJSG_SG_EEES6_PlJS6_EEE10hipError_tPvRmT3_T4_T5_T6_T7_T9_mT8_P12ihipStream_tbDpT10_ENKUlT_T0_E_clISt17integral_constantIbLb1EES1B_EEDaS16_S17_EUlS16_E_NS1_11comp_targetILNS1_3genE10ELNS1_11target_archE1200ELNS1_3gpuE4ELNS1_3repE0EEENS1_30default_config_static_selectorELNS0_4arch9wavefront6targetE1EEEvT1_,comdat
.Lfunc_end3208:
	.size	_ZN7rocprim17ROCPRIM_400000_NS6detail17trampoline_kernelINS0_14default_configENS1_25partition_config_selectorILNS1_17partition_subalgoE1ExNS0_10empty_typeEbEEZZNS1_14partition_implILS5_1ELb0ES3_jN6thrust23THRUST_200600_302600_NS6detail15normal_iteratorINSA_10device_ptrIxEEEEPS6_NSA_18transform_iteratorI7is_evenIxESF_NSA_11use_defaultESK_EENS0_5tupleIJSF_NSA_16discard_iteratorISK_EEEEENSM_IJSG_SG_EEES6_PlJS6_EEE10hipError_tPvRmT3_T4_T5_T6_T7_T9_mT8_P12ihipStream_tbDpT10_ENKUlT_T0_E_clISt17integral_constantIbLb1EES1B_EEDaS16_S17_EUlS16_E_NS1_11comp_targetILNS1_3genE10ELNS1_11target_archE1200ELNS1_3gpuE4ELNS1_3repE0EEENS1_30default_config_static_selectorELNS0_4arch9wavefront6targetE1EEEvT1_, .Lfunc_end3208-_ZN7rocprim17ROCPRIM_400000_NS6detail17trampoline_kernelINS0_14default_configENS1_25partition_config_selectorILNS1_17partition_subalgoE1ExNS0_10empty_typeEbEEZZNS1_14partition_implILS5_1ELb0ES3_jN6thrust23THRUST_200600_302600_NS6detail15normal_iteratorINSA_10device_ptrIxEEEEPS6_NSA_18transform_iteratorI7is_evenIxESF_NSA_11use_defaultESK_EENS0_5tupleIJSF_NSA_16discard_iteratorISK_EEEEENSM_IJSG_SG_EEES6_PlJS6_EEE10hipError_tPvRmT3_T4_T5_T6_T7_T9_mT8_P12ihipStream_tbDpT10_ENKUlT_T0_E_clISt17integral_constantIbLb1EES1B_EEDaS16_S17_EUlS16_E_NS1_11comp_targetILNS1_3genE10ELNS1_11target_archE1200ELNS1_3gpuE4ELNS1_3repE0EEENS1_30default_config_static_selectorELNS0_4arch9wavefront6targetE1EEEvT1_
                                        ; -- End function
	.section	.AMDGPU.csdata,"",@progbits
; Kernel info:
; codeLenInByte = 0
; NumSgprs: 4
; NumVgprs: 0
; NumAgprs: 0
; TotalNumVgprs: 0
; ScratchSize: 0
; MemoryBound: 0
; FloatMode: 240
; IeeeMode: 1
; LDSByteSize: 0 bytes/workgroup (compile time only)
; SGPRBlocks: 0
; VGPRBlocks: 0
; NumSGPRsForWavesPerEU: 4
; NumVGPRsForWavesPerEU: 1
; AccumOffset: 4
; Occupancy: 8
; WaveLimiterHint : 0
; COMPUTE_PGM_RSRC2:SCRATCH_EN: 0
; COMPUTE_PGM_RSRC2:USER_SGPR: 6
; COMPUTE_PGM_RSRC2:TRAP_HANDLER: 0
; COMPUTE_PGM_RSRC2:TGID_X_EN: 1
; COMPUTE_PGM_RSRC2:TGID_Y_EN: 0
; COMPUTE_PGM_RSRC2:TGID_Z_EN: 0
; COMPUTE_PGM_RSRC2:TIDIG_COMP_CNT: 0
; COMPUTE_PGM_RSRC3_GFX90A:ACCUM_OFFSET: 0
; COMPUTE_PGM_RSRC3_GFX90A:TG_SPLIT: 0
	.section	.text._ZN7rocprim17ROCPRIM_400000_NS6detail17trampoline_kernelINS0_14default_configENS1_25partition_config_selectorILNS1_17partition_subalgoE1ExNS0_10empty_typeEbEEZZNS1_14partition_implILS5_1ELb0ES3_jN6thrust23THRUST_200600_302600_NS6detail15normal_iteratorINSA_10device_ptrIxEEEEPS6_NSA_18transform_iteratorI7is_evenIxESF_NSA_11use_defaultESK_EENS0_5tupleIJSF_NSA_16discard_iteratorISK_EEEEENSM_IJSG_SG_EEES6_PlJS6_EEE10hipError_tPvRmT3_T4_T5_T6_T7_T9_mT8_P12ihipStream_tbDpT10_ENKUlT_T0_E_clISt17integral_constantIbLb1EES1B_EEDaS16_S17_EUlS16_E_NS1_11comp_targetILNS1_3genE9ELNS1_11target_archE1100ELNS1_3gpuE3ELNS1_3repE0EEENS1_30default_config_static_selectorELNS0_4arch9wavefront6targetE1EEEvT1_,"axG",@progbits,_ZN7rocprim17ROCPRIM_400000_NS6detail17trampoline_kernelINS0_14default_configENS1_25partition_config_selectorILNS1_17partition_subalgoE1ExNS0_10empty_typeEbEEZZNS1_14partition_implILS5_1ELb0ES3_jN6thrust23THRUST_200600_302600_NS6detail15normal_iteratorINSA_10device_ptrIxEEEEPS6_NSA_18transform_iteratorI7is_evenIxESF_NSA_11use_defaultESK_EENS0_5tupleIJSF_NSA_16discard_iteratorISK_EEEEENSM_IJSG_SG_EEES6_PlJS6_EEE10hipError_tPvRmT3_T4_T5_T6_T7_T9_mT8_P12ihipStream_tbDpT10_ENKUlT_T0_E_clISt17integral_constantIbLb1EES1B_EEDaS16_S17_EUlS16_E_NS1_11comp_targetILNS1_3genE9ELNS1_11target_archE1100ELNS1_3gpuE3ELNS1_3repE0EEENS1_30default_config_static_selectorELNS0_4arch9wavefront6targetE1EEEvT1_,comdat
	.protected	_ZN7rocprim17ROCPRIM_400000_NS6detail17trampoline_kernelINS0_14default_configENS1_25partition_config_selectorILNS1_17partition_subalgoE1ExNS0_10empty_typeEbEEZZNS1_14partition_implILS5_1ELb0ES3_jN6thrust23THRUST_200600_302600_NS6detail15normal_iteratorINSA_10device_ptrIxEEEEPS6_NSA_18transform_iteratorI7is_evenIxESF_NSA_11use_defaultESK_EENS0_5tupleIJSF_NSA_16discard_iteratorISK_EEEEENSM_IJSG_SG_EEES6_PlJS6_EEE10hipError_tPvRmT3_T4_T5_T6_T7_T9_mT8_P12ihipStream_tbDpT10_ENKUlT_T0_E_clISt17integral_constantIbLb1EES1B_EEDaS16_S17_EUlS16_E_NS1_11comp_targetILNS1_3genE9ELNS1_11target_archE1100ELNS1_3gpuE3ELNS1_3repE0EEENS1_30default_config_static_selectorELNS0_4arch9wavefront6targetE1EEEvT1_ ; -- Begin function _ZN7rocprim17ROCPRIM_400000_NS6detail17trampoline_kernelINS0_14default_configENS1_25partition_config_selectorILNS1_17partition_subalgoE1ExNS0_10empty_typeEbEEZZNS1_14partition_implILS5_1ELb0ES3_jN6thrust23THRUST_200600_302600_NS6detail15normal_iteratorINSA_10device_ptrIxEEEEPS6_NSA_18transform_iteratorI7is_evenIxESF_NSA_11use_defaultESK_EENS0_5tupleIJSF_NSA_16discard_iteratorISK_EEEEENSM_IJSG_SG_EEES6_PlJS6_EEE10hipError_tPvRmT3_T4_T5_T6_T7_T9_mT8_P12ihipStream_tbDpT10_ENKUlT_T0_E_clISt17integral_constantIbLb1EES1B_EEDaS16_S17_EUlS16_E_NS1_11comp_targetILNS1_3genE9ELNS1_11target_archE1100ELNS1_3gpuE3ELNS1_3repE0EEENS1_30default_config_static_selectorELNS0_4arch9wavefront6targetE1EEEvT1_
	.globl	_ZN7rocprim17ROCPRIM_400000_NS6detail17trampoline_kernelINS0_14default_configENS1_25partition_config_selectorILNS1_17partition_subalgoE1ExNS0_10empty_typeEbEEZZNS1_14partition_implILS5_1ELb0ES3_jN6thrust23THRUST_200600_302600_NS6detail15normal_iteratorINSA_10device_ptrIxEEEEPS6_NSA_18transform_iteratorI7is_evenIxESF_NSA_11use_defaultESK_EENS0_5tupleIJSF_NSA_16discard_iteratorISK_EEEEENSM_IJSG_SG_EEES6_PlJS6_EEE10hipError_tPvRmT3_T4_T5_T6_T7_T9_mT8_P12ihipStream_tbDpT10_ENKUlT_T0_E_clISt17integral_constantIbLb1EES1B_EEDaS16_S17_EUlS16_E_NS1_11comp_targetILNS1_3genE9ELNS1_11target_archE1100ELNS1_3gpuE3ELNS1_3repE0EEENS1_30default_config_static_selectorELNS0_4arch9wavefront6targetE1EEEvT1_
	.p2align	8
	.type	_ZN7rocprim17ROCPRIM_400000_NS6detail17trampoline_kernelINS0_14default_configENS1_25partition_config_selectorILNS1_17partition_subalgoE1ExNS0_10empty_typeEbEEZZNS1_14partition_implILS5_1ELb0ES3_jN6thrust23THRUST_200600_302600_NS6detail15normal_iteratorINSA_10device_ptrIxEEEEPS6_NSA_18transform_iteratorI7is_evenIxESF_NSA_11use_defaultESK_EENS0_5tupleIJSF_NSA_16discard_iteratorISK_EEEEENSM_IJSG_SG_EEES6_PlJS6_EEE10hipError_tPvRmT3_T4_T5_T6_T7_T9_mT8_P12ihipStream_tbDpT10_ENKUlT_T0_E_clISt17integral_constantIbLb1EES1B_EEDaS16_S17_EUlS16_E_NS1_11comp_targetILNS1_3genE9ELNS1_11target_archE1100ELNS1_3gpuE3ELNS1_3repE0EEENS1_30default_config_static_selectorELNS0_4arch9wavefront6targetE1EEEvT1_,@function
_ZN7rocprim17ROCPRIM_400000_NS6detail17trampoline_kernelINS0_14default_configENS1_25partition_config_selectorILNS1_17partition_subalgoE1ExNS0_10empty_typeEbEEZZNS1_14partition_implILS5_1ELb0ES3_jN6thrust23THRUST_200600_302600_NS6detail15normal_iteratorINSA_10device_ptrIxEEEEPS6_NSA_18transform_iteratorI7is_evenIxESF_NSA_11use_defaultESK_EENS0_5tupleIJSF_NSA_16discard_iteratorISK_EEEEENSM_IJSG_SG_EEES6_PlJS6_EEE10hipError_tPvRmT3_T4_T5_T6_T7_T9_mT8_P12ihipStream_tbDpT10_ENKUlT_T0_E_clISt17integral_constantIbLb1EES1B_EEDaS16_S17_EUlS16_E_NS1_11comp_targetILNS1_3genE9ELNS1_11target_archE1100ELNS1_3gpuE3ELNS1_3repE0EEENS1_30default_config_static_selectorELNS0_4arch9wavefront6targetE1EEEvT1_: ; @_ZN7rocprim17ROCPRIM_400000_NS6detail17trampoline_kernelINS0_14default_configENS1_25partition_config_selectorILNS1_17partition_subalgoE1ExNS0_10empty_typeEbEEZZNS1_14partition_implILS5_1ELb0ES3_jN6thrust23THRUST_200600_302600_NS6detail15normal_iteratorINSA_10device_ptrIxEEEEPS6_NSA_18transform_iteratorI7is_evenIxESF_NSA_11use_defaultESK_EENS0_5tupleIJSF_NSA_16discard_iteratorISK_EEEEENSM_IJSG_SG_EEES6_PlJS6_EEE10hipError_tPvRmT3_T4_T5_T6_T7_T9_mT8_P12ihipStream_tbDpT10_ENKUlT_T0_E_clISt17integral_constantIbLb1EES1B_EEDaS16_S17_EUlS16_E_NS1_11comp_targetILNS1_3genE9ELNS1_11target_archE1100ELNS1_3gpuE3ELNS1_3repE0EEENS1_30default_config_static_selectorELNS0_4arch9wavefront6targetE1EEEvT1_
; %bb.0:
	.section	.rodata,"a",@progbits
	.p2align	6, 0x0
	.amdhsa_kernel _ZN7rocprim17ROCPRIM_400000_NS6detail17trampoline_kernelINS0_14default_configENS1_25partition_config_selectorILNS1_17partition_subalgoE1ExNS0_10empty_typeEbEEZZNS1_14partition_implILS5_1ELb0ES3_jN6thrust23THRUST_200600_302600_NS6detail15normal_iteratorINSA_10device_ptrIxEEEEPS6_NSA_18transform_iteratorI7is_evenIxESF_NSA_11use_defaultESK_EENS0_5tupleIJSF_NSA_16discard_iteratorISK_EEEEENSM_IJSG_SG_EEES6_PlJS6_EEE10hipError_tPvRmT3_T4_T5_T6_T7_T9_mT8_P12ihipStream_tbDpT10_ENKUlT_T0_E_clISt17integral_constantIbLb1EES1B_EEDaS16_S17_EUlS16_E_NS1_11comp_targetILNS1_3genE9ELNS1_11target_archE1100ELNS1_3gpuE3ELNS1_3repE0EEENS1_30default_config_static_selectorELNS0_4arch9wavefront6targetE1EEEvT1_
		.amdhsa_group_segment_fixed_size 0
		.amdhsa_private_segment_fixed_size 0
		.amdhsa_kernarg_size 152
		.amdhsa_user_sgpr_count 6
		.amdhsa_user_sgpr_private_segment_buffer 1
		.amdhsa_user_sgpr_dispatch_ptr 0
		.amdhsa_user_sgpr_queue_ptr 0
		.amdhsa_user_sgpr_kernarg_segment_ptr 1
		.amdhsa_user_sgpr_dispatch_id 0
		.amdhsa_user_sgpr_flat_scratch_init 0
		.amdhsa_user_sgpr_kernarg_preload_length 0
		.amdhsa_user_sgpr_kernarg_preload_offset 0
		.amdhsa_user_sgpr_private_segment_size 0
		.amdhsa_uses_dynamic_stack 0
		.amdhsa_system_sgpr_private_segment_wavefront_offset 0
		.amdhsa_system_sgpr_workgroup_id_x 1
		.amdhsa_system_sgpr_workgroup_id_y 0
		.amdhsa_system_sgpr_workgroup_id_z 0
		.amdhsa_system_sgpr_workgroup_info 0
		.amdhsa_system_vgpr_workitem_id 0
		.amdhsa_next_free_vgpr 1
		.amdhsa_next_free_sgpr 0
		.amdhsa_accum_offset 4
		.amdhsa_reserve_vcc 0
		.amdhsa_reserve_flat_scratch 0
		.amdhsa_float_round_mode_32 0
		.amdhsa_float_round_mode_16_64 0
		.amdhsa_float_denorm_mode_32 3
		.amdhsa_float_denorm_mode_16_64 3
		.amdhsa_dx10_clamp 1
		.amdhsa_ieee_mode 1
		.amdhsa_fp16_overflow 0
		.amdhsa_tg_split 0
		.amdhsa_exception_fp_ieee_invalid_op 0
		.amdhsa_exception_fp_denorm_src 0
		.amdhsa_exception_fp_ieee_div_zero 0
		.amdhsa_exception_fp_ieee_overflow 0
		.amdhsa_exception_fp_ieee_underflow 0
		.amdhsa_exception_fp_ieee_inexact 0
		.amdhsa_exception_int_div_zero 0
	.end_amdhsa_kernel
	.section	.text._ZN7rocprim17ROCPRIM_400000_NS6detail17trampoline_kernelINS0_14default_configENS1_25partition_config_selectorILNS1_17partition_subalgoE1ExNS0_10empty_typeEbEEZZNS1_14partition_implILS5_1ELb0ES3_jN6thrust23THRUST_200600_302600_NS6detail15normal_iteratorINSA_10device_ptrIxEEEEPS6_NSA_18transform_iteratorI7is_evenIxESF_NSA_11use_defaultESK_EENS0_5tupleIJSF_NSA_16discard_iteratorISK_EEEEENSM_IJSG_SG_EEES6_PlJS6_EEE10hipError_tPvRmT3_T4_T5_T6_T7_T9_mT8_P12ihipStream_tbDpT10_ENKUlT_T0_E_clISt17integral_constantIbLb1EES1B_EEDaS16_S17_EUlS16_E_NS1_11comp_targetILNS1_3genE9ELNS1_11target_archE1100ELNS1_3gpuE3ELNS1_3repE0EEENS1_30default_config_static_selectorELNS0_4arch9wavefront6targetE1EEEvT1_,"axG",@progbits,_ZN7rocprim17ROCPRIM_400000_NS6detail17trampoline_kernelINS0_14default_configENS1_25partition_config_selectorILNS1_17partition_subalgoE1ExNS0_10empty_typeEbEEZZNS1_14partition_implILS5_1ELb0ES3_jN6thrust23THRUST_200600_302600_NS6detail15normal_iteratorINSA_10device_ptrIxEEEEPS6_NSA_18transform_iteratorI7is_evenIxESF_NSA_11use_defaultESK_EENS0_5tupleIJSF_NSA_16discard_iteratorISK_EEEEENSM_IJSG_SG_EEES6_PlJS6_EEE10hipError_tPvRmT3_T4_T5_T6_T7_T9_mT8_P12ihipStream_tbDpT10_ENKUlT_T0_E_clISt17integral_constantIbLb1EES1B_EEDaS16_S17_EUlS16_E_NS1_11comp_targetILNS1_3genE9ELNS1_11target_archE1100ELNS1_3gpuE3ELNS1_3repE0EEENS1_30default_config_static_selectorELNS0_4arch9wavefront6targetE1EEEvT1_,comdat
.Lfunc_end3209:
	.size	_ZN7rocprim17ROCPRIM_400000_NS6detail17trampoline_kernelINS0_14default_configENS1_25partition_config_selectorILNS1_17partition_subalgoE1ExNS0_10empty_typeEbEEZZNS1_14partition_implILS5_1ELb0ES3_jN6thrust23THRUST_200600_302600_NS6detail15normal_iteratorINSA_10device_ptrIxEEEEPS6_NSA_18transform_iteratorI7is_evenIxESF_NSA_11use_defaultESK_EENS0_5tupleIJSF_NSA_16discard_iteratorISK_EEEEENSM_IJSG_SG_EEES6_PlJS6_EEE10hipError_tPvRmT3_T4_T5_T6_T7_T9_mT8_P12ihipStream_tbDpT10_ENKUlT_T0_E_clISt17integral_constantIbLb1EES1B_EEDaS16_S17_EUlS16_E_NS1_11comp_targetILNS1_3genE9ELNS1_11target_archE1100ELNS1_3gpuE3ELNS1_3repE0EEENS1_30default_config_static_selectorELNS0_4arch9wavefront6targetE1EEEvT1_, .Lfunc_end3209-_ZN7rocprim17ROCPRIM_400000_NS6detail17trampoline_kernelINS0_14default_configENS1_25partition_config_selectorILNS1_17partition_subalgoE1ExNS0_10empty_typeEbEEZZNS1_14partition_implILS5_1ELb0ES3_jN6thrust23THRUST_200600_302600_NS6detail15normal_iteratorINSA_10device_ptrIxEEEEPS6_NSA_18transform_iteratorI7is_evenIxESF_NSA_11use_defaultESK_EENS0_5tupleIJSF_NSA_16discard_iteratorISK_EEEEENSM_IJSG_SG_EEES6_PlJS6_EEE10hipError_tPvRmT3_T4_T5_T6_T7_T9_mT8_P12ihipStream_tbDpT10_ENKUlT_T0_E_clISt17integral_constantIbLb1EES1B_EEDaS16_S17_EUlS16_E_NS1_11comp_targetILNS1_3genE9ELNS1_11target_archE1100ELNS1_3gpuE3ELNS1_3repE0EEENS1_30default_config_static_selectorELNS0_4arch9wavefront6targetE1EEEvT1_
                                        ; -- End function
	.section	.AMDGPU.csdata,"",@progbits
; Kernel info:
; codeLenInByte = 0
; NumSgprs: 4
; NumVgprs: 0
; NumAgprs: 0
; TotalNumVgprs: 0
; ScratchSize: 0
; MemoryBound: 0
; FloatMode: 240
; IeeeMode: 1
; LDSByteSize: 0 bytes/workgroup (compile time only)
; SGPRBlocks: 0
; VGPRBlocks: 0
; NumSGPRsForWavesPerEU: 4
; NumVGPRsForWavesPerEU: 1
; AccumOffset: 4
; Occupancy: 8
; WaveLimiterHint : 0
; COMPUTE_PGM_RSRC2:SCRATCH_EN: 0
; COMPUTE_PGM_RSRC2:USER_SGPR: 6
; COMPUTE_PGM_RSRC2:TRAP_HANDLER: 0
; COMPUTE_PGM_RSRC2:TGID_X_EN: 1
; COMPUTE_PGM_RSRC2:TGID_Y_EN: 0
; COMPUTE_PGM_RSRC2:TGID_Z_EN: 0
; COMPUTE_PGM_RSRC2:TIDIG_COMP_CNT: 0
; COMPUTE_PGM_RSRC3_GFX90A:ACCUM_OFFSET: 0
; COMPUTE_PGM_RSRC3_GFX90A:TG_SPLIT: 0
	.section	.text._ZN7rocprim17ROCPRIM_400000_NS6detail17trampoline_kernelINS0_14default_configENS1_25partition_config_selectorILNS1_17partition_subalgoE1ExNS0_10empty_typeEbEEZZNS1_14partition_implILS5_1ELb0ES3_jN6thrust23THRUST_200600_302600_NS6detail15normal_iteratorINSA_10device_ptrIxEEEEPS6_NSA_18transform_iteratorI7is_evenIxESF_NSA_11use_defaultESK_EENS0_5tupleIJSF_NSA_16discard_iteratorISK_EEEEENSM_IJSG_SG_EEES6_PlJS6_EEE10hipError_tPvRmT3_T4_T5_T6_T7_T9_mT8_P12ihipStream_tbDpT10_ENKUlT_T0_E_clISt17integral_constantIbLb1EES1B_EEDaS16_S17_EUlS16_E_NS1_11comp_targetILNS1_3genE8ELNS1_11target_archE1030ELNS1_3gpuE2ELNS1_3repE0EEENS1_30default_config_static_selectorELNS0_4arch9wavefront6targetE1EEEvT1_,"axG",@progbits,_ZN7rocprim17ROCPRIM_400000_NS6detail17trampoline_kernelINS0_14default_configENS1_25partition_config_selectorILNS1_17partition_subalgoE1ExNS0_10empty_typeEbEEZZNS1_14partition_implILS5_1ELb0ES3_jN6thrust23THRUST_200600_302600_NS6detail15normal_iteratorINSA_10device_ptrIxEEEEPS6_NSA_18transform_iteratorI7is_evenIxESF_NSA_11use_defaultESK_EENS0_5tupleIJSF_NSA_16discard_iteratorISK_EEEEENSM_IJSG_SG_EEES6_PlJS6_EEE10hipError_tPvRmT3_T4_T5_T6_T7_T9_mT8_P12ihipStream_tbDpT10_ENKUlT_T0_E_clISt17integral_constantIbLb1EES1B_EEDaS16_S17_EUlS16_E_NS1_11comp_targetILNS1_3genE8ELNS1_11target_archE1030ELNS1_3gpuE2ELNS1_3repE0EEENS1_30default_config_static_selectorELNS0_4arch9wavefront6targetE1EEEvT1_,comdat
	.protected	_ZN7rocprim17ROCPRIM_400000_NS6detail17trampoline_kernelINS0_14default_configENS1_25partition_config_selectorILNS1_17partition_subalgoE1ExNS0_10empty_typeEbEEZZNS1_14partition_implILS5_1ELb0ES3_jN6thrust23THRUST_200600_302600_NS6detail15normal_iteratorINSA_10device_ptrIxEEEEPS6_NSA_18transform_iteratorI7is_evenIxESF_NSA_11use_defaultESK_EENS0_5tupleIJSF_NSA_16discard_iteratorISK_EEEEENSM_IJSG_SG_EEES6_PlJS6_EEE10hipError_tPvRmT3_T4_T5_T6_T7_T9_mT8_P12ihipStream_tbDpT10_ENKUlT_T0_E_clISt17integral_constantIbLb1EES1B_EEDaS16_S17_EUlS16_E_NS1_11comp_targetILNS1_3genE8ELNS1_11target_archE1030ELNS1_3gpuE2ELNS1_3repE0EEENS1_30default_config_static_selectorELNS0_4arch9wavefront6targetE1EEEvT1_ ; -- Begin function _ZN7rocprim17ROCPRIM_400000_NS6detail17trampoline_kernelINS0_14default_configENS1_25partition_config_selectorILNS1_17partition_subalgoE1ExNS0_10empty_typeEbEEZZNS1_14partition_implILS5_1ELb0ES3_jN6thrust23THRUST_200600_302600_NS6detail15normal_iteratorINSA_10device_ptrIxEEEEPS6_NSA_18transform_iteratorI7is_evenIxESF_NSA_11use_defaultESK_EENS0_5tupleIJSF_NSA_16discard_iteratorISK_EEEEENSM_IJSG_SG_EEES6_PlJS6_EEE10hipError_tPvRmT3_T4_T5_T6_T7_T9_mT8_P12ihipStream_tbDpT10_ENKUlT_T0_E_clISt17integral_constantIbLb1EES1B_EEDaS16_S17_EUlS16_E_NS1_11comp_targetILNS1_3genE8ELNS1_11target_archE1030ELNS1_3gpuE2ELNS1_3repE0EEENS1_30default_config_static_selectorELNS0_4arch9wavefront6targetE1EEEvT1_
	.globl	_ZN7rocprim17ROCPRIM_400000_NS6detail17trampoline_kernelINS0_14default_configENS1_25partition_config_selectorILNS1_17partition_subalgoE1ExNS0_10empty_typeEbEEZZNS1_14partition_implILS5_1ELb0ES3_jN6thrust23THRUST_200600_302600_NS6detail15normal_iteratorINSA_10device_ptrIxEEEEPS6_NSA_18transform_iteratorI7is_evenIxESF_NSA_11use_defaultESK_EENS0_5tupleIJSF_NSA_16discard_iteratorISK_EEEEENSM_IJSG_SG_EEES6_PlJS6_EEE10hipError_tPvRmT3_T4_T5_T6_T7_T9_mT8_P12ihipStream_tbDpT10_ENKUlT_T0_E_clISt17integral_constantIbLb1EES1B_EEDaS16_S17_EUlS16_E_NS1_11comp_targetILNS1_3genE8ELNS1_11target_archE1030ELNS1_3gpuE2ELNS1_3repE0EEENS1_30default_config_static_selectorELNS0_4arch9wavefront6targetE1EEEvT1_
	.p2align	8
	.type	_ZN7rocprim17ROCPRIM_400000_NS6detail17trampoline_kernelINS0_14default_configENS1_25partition_config_selectorILNS1_17partition_subalgoE1ExNS0_10empty_typeEbEEZZNS1_14partition_implILS5_1ELb0ES3_jN6thrust23THRUST_200600_302600_NS6detail15normal_iteratorINSA_10device_ptrIxEEEEPS6_NSA_18transform_iteratorI7is_evenIxESF_NSA_11use_defaultESK_EENS0_5tupleIJSF_NSA_16discard_iteratorISK_EEEEENSM_IJSG_SG_EEES6_PlJS6_EEE10hipError_tPvRmT3_T4_T5_T6_T7_T9_mT8_P12ihipStream_tbDpT10_ENKUlT_T0_E_clISt17integral_constantIbLb1EES1B_EEDaS16_S17_EUlS16_E_NS1_11comp_targetILNS1_3genE8ELNS1_11target_archE1030ELNS1_3gpuE2ELNS1_3repE0EEENS1_30default_config_static_selectorELNS0_4arch9wavefront6targetE1EEEvT1_,@function
_ZN7rocprim17ROCPRIM_400000_NS6detail17trampoline_kernelINS0_14default_configENS1_25partition_config_selectorILNS1_17partition_subalgoE1ExNS0_10empty_typeEbEEZZNS1_14partition_implILS5_1ELb0ES3_jN6thrust23THRUST_200600_302600_NS6detail15normal_iteratorINSA_10device_ptrIxEEEEPS6_NSA_18transform_iteratorI7is_evenIxESF_NSA_11use_defaultESK_EENS0_5tupleIJSF_NSA_16discard_iteratorISK_EEEEENSM_IJSG_SG_EEES6_PlJS6_EEE10hipError_tPvRmT3_T4_T5_T6_T7_T9_mT8_P12ihipStream_tbDpT10_ENKUlT_T0_E_clISt17integral_constantIbLb1EES1B_EEDaS16_S17_EUlS16_E_NS1_11comp_targetILNS1_3genE8ELNS1_11target_archE1030ELNS1_3gpuE2ELNS1_3repE0EEENS1_30default_config_static_selectorELNS0_4arch9wavefront6targetE1EEEvT1_: ; @_ZN7rocprim17ROCPRIM_400000_NS6detail17trampoline_kernelINS0_14default_configENS1_25partition_config_selectorILNS1_17partition_subalgoE1ExNS0_10empty_typeEbEEZZNS1_14partition_implILS5_1ELb0ES3_jN6thrust23THRUST_200600_302600_NS6detail15normal_iteratorINSA_10device_ptrIxEEEEPS6_NSA_18transform_iteratorI7is_evenIxESF_NSA_11use_defaultESK_EENS0_5tupleIJSF_NSA_16discard_iteratorISK_EEEEENSM_IJSG_SG_EEES6_PlJS6_EEE10hipError_tPvRmT3_T4_T5_T6_T7_T9_mT8_P12ihipStream_tbDpT10_ENKUlT_T0_E_clISt17integral_constantIbLb1EES1B_EEDaS16_S17_EUlS16_E_NS1_11comp_targetILNS1_3genE8ELNS1_11target_archE1030ELNS1_3gpuE2ELNS1_3repE0EEENS1_30default_config_static_selectorELNS0_4arch9wavefront6targetE1EEEvT1_
; %bb.0:
	.section	.rodata,"a",@progbits
	.p2align	6, 0x0
	.amdhsa_kernel _ZN7rocprim17ROCPRIM_400000_NS6detail17trampoline_kernelINS0_14default_configENS1_25partition_config_selectorILNS1_17partition_subalgoE1ExNS0_10empty_typeEbEEZZNS1_14partition_implILS5_1ELb0ES3_jN6thrust23THRUST_200600_302600_NS6detail15normal_iteratorINSA_10device_ptrIxEEEEPS6_NSA_18transform_iteratorI7is_evenIxESF_NSA_11use_defaultESK_EENS0_5tupleIJSF_NSA_16discard_iteratorISK_EEEEENSM_IJSG_SG_EEES6_PlJS6_EEE10hipError_tPvRmT3_T4_T5_T6_T7_T9_mT8_P12ihipStream_tbDpT10_ENKUlT_T0_E_clISt17integral_constantIbLb1EES1B_EEDaS16_S17_EUlS16_E_NS1_11comp_targetILNS1_3genE8ELNS1_11target_archE1030ELNS1_3gpuE2ELNS1_3repE0EEENS1_30default_config_static_selectorELNS0_4arch9wavefront6targetE1EEEvT1_
		.amdhsa_group_segment_fixed_size 0
		.amdhsa_private_segment_fixed_size 0
		.amdhsa_kernarg_size 152
		.amdhsa_user_sgpr_count 6
		.amdhsa_user_sgpr_private_segment_buffer 1
		.amdhsa_user_sgpr_dispatch_ptr 0
		.amdhsa_user_sgpr_queue_ptr 0
		.amdhsa_user_sgpr_kernarg_segment_ptr 1
		.amdhsa_user_sgpr_dispatch_id 0
		.amdhsa_user_sgpr_flat_scratch_init 0
		.amdhsa_user_sgpr_kernarg_preload_length 0
		.amdhsa_user_sgpr_kernarg_preload_offset 0
		.amdhsa_user_sgpr_private_segment_size 0
		.amdhsa_uses_dynamic_stack 0
		.amdhsa_system_sgpr_private_segment_wavefront_offset 0
		.amdhsa_system_sgpr_workgroup_id_x 1
		.amdhsa_system_sgpr_workgroup_id_y 0
		.amdhsa_system_sgpr_workgroup_id_z 0
		.amdhsa_system_sgpr_workgroup_info 0
		.amdhsa_system_vgpr_workitem_id 0
		.amdhsa_next_free_vgpr 1
		.amdhsa_next_free_sgpr 0
		.amdhsa_accum_offset 4
		.amdhsa_reserve_vcc 0
		.amdhsa_reserve_flat_scratch 0
		.amdhsa_float_round_mode_32 0
		.amdhsa_float_round_mode_16_64 0
		.amdhsa_float_denorm_mode_32 3
		.amdhsa_float_denorm_mode_16_64 3
		.amdhsa_dx10_clamp 1
		.amdhsa_ieee_mode 1
		.amdhsa_fp16_overflow 0
		.amdhsa_tg_split 0
		.amdhsa_exception_fp_ieee_invalid_op 0
		.amdhsa_exception_fp_denorm_src 0
		.amdhsa_exception_fp_ieee_div_zero 0
		.amdhsa_exception_fp_ieee_overflow 0
		.amdhsa_exception_fp_ieee_underflow 0
		.amdhsa_exception_fp_ieee_inexact 0
		.amdhsa_exception_int_div_zero 0
	.end_amdhsa_kernel
	.section	.text._ZN7rocprim17ROCPRIM_400000_NS6detail17trampoline_kernelINS0_14default_configENS1_25partition_config_selectorILNS1_17partition_subalgoE1ExNS0_10empty_typeEbEEZZNS1_14partition_implILS5_1ELb0ES3_jN6thrust23THRUST_200600_302600_NS6detail15normal_iteratorINSA_10device_ptrIxEEEEPS6_NSA_18transform_iteratorI7is_evenIxESF_NSA_11use_defaultESK_EENS0_5tupleIJSF_NSA_16discard_iteratorISK_EEEEENSM_IJSG_SG_EEES6_PlJS6_EEE10hipError_tPvRmT3_T4_T5_T6_T7_T9_mT8_P12ihipStream_tbDpT10_ENKUlT_T0_E_clISt17integral_constantIbLb1EES1B_EEDaS16_S17_EUlS16_E_NS1_11comp_targetILNS1_3genE8ELNS1_11target_archE1030ELNS1_3gpuE2ELNS1_3repE0EEENS1_30default_config_static_selectorELNS0_4arch9wavefront6targetE1EEEvT1_,"axG",@progbits,_ZN7rocprim17ROCPRIM_400000_NS6detail17trampoline_kernelINS0_14default_configENS1_25partition_config_selectorILNS1_17partition_subalgoE1ExNS0_10empty_typeEbEEZZNS1_14partition_implILS5_1ELb0ES3_jN6thrust23THRUST_200600_302600_NS6detail15normal_iteratorINSA_10device_ptrIxEEEEPS6_NSA_18transform_iteratorI7is_evenIxESF_NSA_11use_defaultESK_EENS0_5tupleIJSF_NSA_16discard_iteratorISK_EEEEENSM_IJSG_SG_EEES6_PlJS6_EEE10hipError_tPvRmT3_T4_T5_T6_T7_T9_mT8_P12ihipStream_tbDpT10_ENKUlT_T0_E_clISt17integral_constantIbLb1EES1B_EEDaS16_S17_EUlS16_E_NS1_11comp_targetILNS1_3genE8ELNS1_11target_archE1030ELNS1_3gpuE2ELNS1_3repE0EEENS1_30default_config_static_selectorELNS0_4arch9wavefront6targetE1EEEvT1_,comdat
.Lfunc_end3210:
	.size	_ZN7rocprim17ROCPRIM_400000_NS6detail17trampoline_kernelINS0_14default_configENS1_25partition_config_selectorILNS1_17partition_subalgoE1ExNS0_10empty_typeEbEEZZNS1_14partition_implILS5_1ELb0ES3_jN6thrust23THRUST_200600_302600_NS6detail15normal_iteratorINSA_10device_ptrIxEEEEPS6_NSA_18transform_iteratorI7is_evenIxESF_NSA_11use_defaultESK_EENS0_5tupleIJSF_NSA_16discard_iteratorISK_EEEEENSM_IJSG_SG_EEES6_PlJS6_EEE10hipError_tPvRmT3_T4_T5_T6_T7_T9_mT8_P12ihipStream_tbDpT10_ENKUlT_T0_E_clISt17integral_constantIbLb1EES1B_EEDaS16_S17_EUlS16_E_NS1_11comp_targetILNS1_3genE8ELNS1_11target_archE1030ELNS1_3gpuE2ELNS1_3repE0EEENS1_30default_config_static_selectorELNS0_4arch9wavefront6targetE1EEEvT1_, .Lfunc_end3210-_ZN7rocprim17ROCPRIM_400000_NS6detail17trampoline_kernelINS0_14default_configENS1_25partition_config_selectorILNS1_17partition_subalgoE1ExNS0_10empty_typeEbEEZZNS1_14partition_implILS5_1ELb0ES3_jN6thrust23THRUST_200600_302600_NS6detail15normal_iteratorINSA_10device_ptrIxEEEEPS6_NSA_18transform_iteratorI7is_evenIxESF_NSA_11use_defaultESK_EENS0_5tupleIJSF_NSA_16discard_iteratorISK_EEEEENSM_IJSG_SG_EEES6_PlJS6_EEE10hipError_tPvRmT3_T4_T5_T6_T7_T9_mT8_P12ihipStream_tbDpT10_ENKUlT_T0_E_clISt17integral_constantIbLb1EES1B_EEDaS16_S17_EUlS16_E_NS1_11comp_targetILNS1_3genE8ELNS1_11target_archE1030ELNS1_3gpuE2ELNS1_3repE0EEENS1_30default_config_static_selectorELNS0_4arch9wavefront6targetE1EEEvT1_
                                        ; -- End function
	.section	.AMDGPU.csdata,"",@progbits
; Kernel info:
; codeLenInByte = 0
; NumSgprs: 4
; NumVgprs: 0
; NumAgprs: 0
; TotalNumVgprs: 0
; ScratchSize: 0
; MemoryBound: 0
; FloatMode: 240
; IeeeMode: 1
; LDSByteSize: 0 bytes/workgroup (compile time only)
; SGPRBlocks: 0
; VGPRBlocks: 0
; NumSGPRsForWavesPerEU: 4
; NumVGPRsForWavesPerEU: 1
; AccumOffset: 4
; Occupancy: 8
; WaveLimiterHint : 0
; COMPUTE_PGM_RSRC2:SCRATCH_EN: 0
; COMPUTE_PGM_RSRC2:USER_SGPR: 6
; COMPUTE_PGM_RSRC2:TRAP_HANDLER: 0
; COMPUTE_PGM_RSRC2:TGID_X_EN: 1
; COMPUTE_PGM_RSRC2:TGID_Y_EN: 0
; COMPUTE_PGM_RSRC2:TGID_Z_EN: 0
; COMPUTE_PGM_RSRC2:TIDIG_COMP_CNT: 0
; COMPUTE_PGM_RSRC3_GFX90A:ACCUM_OFFSET: 0
; COMPUTE_PGM_RSRC3_GFX90A:TG_SPLIT: 0
	.section	.text._ZN7rocprim17ROCPRIM_400000_NS6detail17trampoline_kernelINS0_14default_configENS1_25partition_config_selectorILNS1_17partition_subalgoE1ExNS0_10empty_typeEbEEZZNS1_14partition_implILS5_1ELb0ES3_jN6thrust23THRUST_200600_302600_NS6detail15normal_iteratorINSA_10device_ptrIxEEEEPS6_NSA_18transform_iteratorI7is_evenIxESF_NSA_11use_defaultESK_EENS0_5tupleIJSF_NSA_16discard_iteratorISK_EEEEENSM_IJSG_SG_EEES6_PlJS6_EEE10hipError_tPvRmT3_T4_T5_T6_T7_T9_mT8_P12ihipStream_tbDpT10_ENKUlT_T0_E_clISt17integral_constantIbLb1EES1A_IbLb0EEEEDaS16_S17_EUlS16_E_NS1_11comp_targetILNS1_3genE0ELNS1_11target_archE4294967295ELNS1_3gpuE0ELNS1_3repE0EEENS1_30default_config_static_selectorELNS0_4arch9wavefront6targetE1EEEvT1_,"axG",@progbits,_ZN7rocprim17ROCPRIM_400000_NS6detail17trampoline_kernelINS0_14default_configENS1_25partition_config_selectorILNS1_17partition_subalgoE1ExNS0_10empty_typeEbEEZZNS1_14partition_implILS5_1ELb0ES3_jN6thrust23THRUST_200600_302600_NS6detail15normal_iteratorINSA_10device_ptrIxEEEEPS6_NSA_18transform_iteratorI7is_evenIxESF_NSA_11use_defaultESK_EENS0_5tupleIJSF_NSA_16discard_iteratorISK_EEEEENSM_IJSG_SG_EEES6_PlJS6_EEE10hipError_tPvRmT3_T4_T5_T6_T7_T9_mT8_P12ihipStream_tbDpT10_ENKUlT_T0_E_clISt17integral_constantIbLb1EES1A_IbLb0EEEEDaS16_S17_EUlS16_E_NS1_11comp_targetILNS1_3genE0ELNS1_11target_archE4294967295ELNS1_3gpuE0ELNS1_3repE0EEENS1_30default_config_static_selectorELNS0_4arch9wavefront6targetE1EEEvT1_,comdat
	.protected	_ZN7rocprim17ROCPRIM_400000_NS6detail17trampoline_kernelINS0_14default_configENS1_25partition_config_selectorILNS1_17partition_subalgoE1ExNS0_10empty_typeEbEEZZNS1_14partition_implILS5_1ELb0ES3_jN6thrust23THRUST_200600_302600_NS6detail15normal_iteratorINSA_10device_ptrIxEEEEPS6_NSA_18transform_iteratorI7is_evenIxESF_NSA_11use_defaultESK_EENS0_5tupleIJSF_NSA_16discard_iteratorISK_EEEEENSM_IJSG_SG_EEES6_PlJS6_EEE10hipError_tPvRmT3_T4_T5_T6_T7_T9_mT8_P12ihipStream_tbDpT10_ENKUlT_T0_E_clISt17integral_constantIbLb1EES1A_IbLb0EEEEDaS16_S17_EUlS16_E_NS1_11comp_targetILNS1_3genE0ELNS1_11target_archE4294967295ELNS1_3gpuE0ELNS1_3repE0EEENS1_30default_config_static_selectorELNS0_4arch9wavefront6targetE1EEEvT1_ ; -- Begin function _ZN7rocprim17ROCPRIM_400000_NS6detail17trampoline_kernelINS0_14default_configENS1_25partition_config_selectorILNS1_17partition_subalgoE1ExNS0_10empty_typeEbEEZZNS1_14partition_implILS5_1ELb0ES3_jN6thrust23THRUST_200600_302600_NS6detail15normal_iteratorINSA_10device_ptrIxEEEEPS6_NSA_18transform_iteratorI7is_evenIxESF_NSA_11use_defaultESK_EENS0_5tupleIJSF_NSA_16discard_iteratorISK_EEEEENSM_IJSG_SG_EEES6_PlJS6_EEE10hipError_tPvRmT3_T4_T5_T6_T7_T9_mT8_P12ihipStream_tbDpT10_ENKUlT_T0_E_clISt17integral_constantIbLb1EES1A_IbLb0EEEEDaS16_S17_EUlS16_E_NS1_11comp_targetILNS1_3genE0ELNS1_11target_archE4294967295ELNS1_3gpuE0ELNS1_3repE0EEENS1_30default_config_static_selectorELNS0_4arch9wavefront6targetE1EEEvT1_
	.globl	_ZN7rocprim17ROCPRIM_400000_NS6detail17trampoline_kernelINS0_14default_configENS1_25partition_config_selectorILNS1_17partition_subalgoE1ExNS0_10empty_typeEbEEZZNS1_14partition_implILS5_1ELb0ES3_jN6thrust23THRUST_200600_302600_NS6detail15normal_iteratorINSA_10device_ptrIxEEEEPS6_NSA_18transform_iteratorI7is_evenIxESF_NSA_11use_defaultESK_EENS0_5tupleIJSF_NSA_16discard_iteratorISK_EEEEENSM_IJSG_SG_EEES6_PlJS6_EEE10hipError_tPvRmT3_T4_T5_T6_T7_T9_mT8_P12ihipStream_tbDpT10_ENKUlT_T0_E_clISt17integral_constantIbLb1EES1A_IbLb0EEEEDaS16_S17_EUlS16_E_NS1_11comp_targetILNS1_3genE0ELNS1_11target_archE4294967295ELNS1_3gpuE0ELNS1_3repE0EEENS1_30default_config_static_selectorELNS0_4arch9wavefront6targetE1EEEvT1_
	.p2align	8
	.type	_ZN7rocprim17ROCPRIM_400000_NS6detail17trampoline_kernelINS0_14default_configENS1_25partition_config_selectorILNS1_17partition_subalgoE1ExNS0_10empty_typeEbEEZZNS1_14partition_implILS5_1ELb0ES3_jN6thrust23THRUST_200600_302600_NS6detail15normal_iteratorINSA_10device_ptrIxEEEEPS6_NSA_18transform_iteratorI7is_evenIxESF_NSA_11use_defaultESK_EENS0_5tupleIJSF_NSA_16discard_iteratorISK_EEEEENSM_IJSG_SG_EEES6_PlJS6_EEE10hipError_tPvRmT3_T4_T5_T6_T7_T9_mT8_P12ihipStream_tbDpT10_ENKUlT_T0_E_clISt17integral_constantIbLb1EES1A_IbLb0EEEEDaS16_S17_EUlS16_E_NS1_11comp_targetILNS1_3genE0ELNS1_11target_archE4294967295ELNS1_3gpuE0ELNS1_3repE0EEENS1_30default_config_static_selectorELNS0_4arch9wavefront6targetE1EEEvT1_,@function
_ZN7rocprim17ROCPRIM_400000_NS6detail17trampoline_kernelINS0_14default_configENS1_25partition_config_selectorILNS1_17partition_subalgoE1ExNS0_10empty_typeEbEEZZNS1_14partition_implILS5_1ELb0ES3_jN6thrust23THRUST_200600_302600_NS6detail15normal_iteratorINSA_10device_ptrIxEEEEPS6_NSA_18transform_iteratorI7is_evenIxESF_NSA_11use_defaultESK_EENS0_5tupleIJSF_NSA_16discard_iteratorISK_EEEEENSM_IJSG_SG_EEES6_PlJS6_EEE10hipError_tPvRmT3_T4_T5_T6_T7_T9_mT8_P12ihipStream_tbDpT10_ENKUlT_T0_E_clISt17integral_constantIbLb1EES1A_IbLb0EEEEDaS16_S17_EUlS16_E_NS1_11comp_targetILNS1_3genE0ELNS1_11target_archE4294967295ELNS1_3gpuE0ELNS1_3repE0EEENS1_30default_config_static_selectorELNS0_4arch9wavefront6targetE1EEEvT1_: ; @_ZN7rocprim17ROCPRIM_400000_NS6detail17trampoline_kernelINS0_14default_configENS1_25partition_config_selectorILNS1_17partition_subalgoE1ExNS0_10empty_typeEbEEZZNS1_14partition_implILS5_1ELb0ES3_jN6thrust23THRUST_200600_302600_NS6detail15normal_iteratorINSA_10device_ptrIxEEEEPS6_NSA_18transform_iteratorI7is_evenIxESF_NSA_11use_defaultESK_EENS0_5tupleIJSF_NSA_16discard_iteratorISK_EEEEENSM_IJSG_SG_EEES6_PlJS6_EEE10hipError_tPvRmT3_T4_T5_T6_T7_T9_mT8_P12ihipStream_tbDpT10_ENKUlT_T0_E_clISt17integral_constantIbLb1EES1A_IbLb0EEEEDaS16_S17_EUlS16_E_NS1_11comp_targetILNS1_3genE0ELNS1_11target_archE4294967295ELNS1_3gpuE0ELNS1_3repE0EEENS1_30default_config_static_selectorELNS0_4arch9wavefront6targetE1EEEvT1_
; %bb.0:
	.section	.rodata,"a",@progbits
	.p2align	6, 0x0
	.amdhsa_kernel _ZN7rocprim17ROCPRIM_400000_NS6detail17trampoline_kernelINS0_14default_configENS1_25partition_config_selectorILNS1_17partition_subalgoE1ExNS0_10empty_typeEbEEZZNS1_14partition_implILS5_1ELb0ES3_jN6thrust23THRUST_200600_302600_NS6detail15normal_iteratorINSA_10device_ptrIxEEEEPS6_NSA_18transform_iteratorI7is_evenIxESF_NSA_11use_defaultESK_EENS0_5tupleIJSF_NSA_16discard_iteratorISK_EEEEENSM_IJSG_SG_EEES6_PlJS6_EEE10hipError_tPvRmT3_T4_T5_T6_T7_T9_mT8_P12ihipStream_tbDpT10_ENKUlT_T0_E_clISt17integral_constantIbLb1EES1A_IbLb0EEEEDaS16_S17_EUlS16_E_NS1_11comp_targetILNS1_3genE0ELNS1_11target_archE4294967295ELNS1_3gpuE0ELNS1_3repE0EEENS1_30default_config_static_selectorELNS0_4arch9wavefront6targetE1EEEvT1_
		.amdhsa_group_segment_fixed_size 0
		.amdhsa_private_segment_fixed_size 0
		.amdhsa_kernarg_size 136
		.amdhsa_user_sgpr_count 6
		.amdhsa_user_sgpr_private_segment_buffer 1
		.amdhsa_user_sgpr_dispatch_ptr 0
		.amdhsa_user_sgpr_queue_ptr 0
		.amdhsa_user_sgpr_kernarg_segment_ptr 1
		.amdhsa_user_sgpr_dispatch_id 0
		.amdhsa_user_sgpr_flat_scratch_init 0
		.amdhsa_user_sgpr_kernarg_preload_length 0
		.amdhsa_user_sgpr_kernarg_preload_offset 0
		.amdhsa_user_sgpr_private_segment_size 0
		.amdhsa_uses_dynamic_stack 0
		.amdhsa_system_sgpr_private_segment_wavefront_offset 0
		.amdhsa_system_sgpr_workgroup_id_x 1
		.amdhsa_system_sgpr_workgroup_id_y 0
		.amdhsa_system_sgpr_workgroup_id_z 0
		.amdhsa_system_sgpr_workgroup_info 0
		.amdhsa_system_vgpr_workitem_id 0
		.amdhsa_next_free_vgpr 1
		.amdhsa_next_free_sgpr 0
		.amdhsa_accum_offset 4
		.amdhsa_reserve_vcc 0
		.amdhsa_reserve_flat_scratch 0
		.amdhsa_float_round_mode_32 0
		.amdhsa_float_round_mode_16_64 0
		.amdhsa_float_denorm_mode_32 3
		.amdhsa_float_denorm_mode_16_64 3
		.amdhsa_dx10_clamp 1
		.amdhsa_ieee_mode 1
		.amdhsa_fp16_overflow 0
		.amdhsa_tg_split 0
		.amdhsa_exception_fp_ieee_invalid_op 0
		.amdhsa_exception_fp_denorm_src 0
		.amdhsa_exception_fp_ieee_div_zero 0
		.amdhsa_exception_fp_ieee_overflow 0
		.amdhsa_exception_fp_ieee_underflow 0
		.amdhsa_exception_fp_ieee_inexact 0
		.amdhsa_exception_int_div_zero 0
	.end_amdhsa_kernel
	.section	.text._ZN7rocprim17ROCPRIM_400000_NS6detail17trampoline_kernelINS0_14default_configENS1_25partition_config_selectorILNS1_17partition_subalgoE1ExNS0_10empty_typeEbEEZZNS1_14partition_implILS5_1ELb0ES3_jN6thrust23THRUST_200600_302600_NS6detail15normal_iteratorINSA_10device_ptrIxEEEEPS6_NSA_18transform_iteratorI7is_evenIxESF_NSA_11use_defaultESK_EENS0_5tupleIJSF_NSA_16discard_iteratorISK_EEEEENSM_IJSG_SG_EEES6_PlJS6_EEE10hipError_tPvRmT3_T4_T5_T6_T7_T9_mT8_P12ihipStream_tbDpT10_ENKUlT_T0_E_clISt17integral_constantIbLb1EES1A_IbLb0EEEEDaS16_S17_EUlS16_E_NS1_11comp_targetILNS1_3genE0ELNS1_11target_archE4294967295ELNS1_3gpuE0ELNS1_3repE0EEENS1_30default_config_static_selectorELNS0_4arch9wavefront6targetE1EEEvT1_,"axG",@progbits,_ZN7rocprim17ROCPRIM_400000_NS6detail17trampoline_kernelINS0_14default_configENS1_25partition_config_selectorILNS1_17partition_subalgoE1ExNS0_10empty_typeEbEEZZNS1_14partition_implILS5_1ELb0ES3_jN6thrust23THRUST_200600_302600_NS6detail15normal_iteratorINSA_10device_ptrIxEEEEPS6_NSA_18transform_iteratorI7is_evenIxESF_NSA_11use_defaultESK_EENS0_5tupleIJSF_NSA_16discard_iteratorISK_EEEEENSM_IJSG_SG_EEES6_PlJS6_EEE10hipError_tPvRmT3_T4_T5_T6_T7_T9_mT8_P12ihipStream_tbDpT10_ENKUlT_T0_E_clISt17integral_constantIbLb1EES1A_IbLb0EEEEDaS16_S17_EUlS16_E_NS1_11comp_targetILNS1_3genE0ELNS1_11target_archE4294967295ELNS1_3gpuE0ELNS1_3repE0EEENS1_30default_config_static_selectorELNS0_4arch9wavefront6targetE1EEEvT1_,comdat
.Lfunc_end3211:
	.size	_ZN7rocprim17ROCPRIM_400000_NS6detail17trampoline_kernelINS0_14default_configENS1_25partition_config_selectorILNS1_17partition_subalgoE1ExNS0_10empty_typeEbEEZZNS1_14partition_implILS5_1ELb0ES3_jN6thrust23THRUST_200600_302600_NS6detail15normal_iteratorINSA_10device_ptrIxEEEEPS6_NSA_18transform_iteratorI7is_evenIxESF_NSA_11use_defaultESK_EENS0_5tupleIJSF_NSA_16discard_iteratorISK_EEEEENSM_IJSG_SG_EEES6_PlJS6_EEE10hipError_tPvRmT3_T4_T5_T6_T7_T9_mT8_P12ihipStream_tbDpT10_ENKUlT_T0_E_clISt17integral_constantIbLb1EES1A_IbLb0EEEEDaS16_S17_EUlS16_E_NS1_11comp_targetILNS1_3genE0ELNS1_11target_archE4294967295ELNS1_3gpuE0ELNS1_3repE0EEENS1_30default_config_static_selectorELNS0_4arch9wavefront6targetE1EEEvT1_, .Lfunc_end3211-_ZN7rocprim17ROCPRIM_400000_NS6detail17trampoline_kernelINS0_14default_configENS1_25partition_config_selectorILNS1_17partition_subalgoE1ExNS0_10empty_typeEbEEZZNS1_14partition_implILS5_1ELb0ES3_jN6thrust23THRUST_200600_302600_NS6detail15normal_iteratorINSA_10device_ptrIxEEEEPS6_NSA_18transform_iteratorI7is_evenIxESF_NSA_11use_defaultESK_EENS0_5tupleIJSF_NSA_16discard_iteratorISK_EEEEENSM_IJSG_SG_EEES6_PlJS6_EEE10hipError_tPvRmT3_T4_T5_T6_T7_T9_mT8_P12ihipStream_tbDpT10_ENKUlT_T0_E_clISt17integral_constantIbLb1EES1A_IbLb0EEEEDaS16_S17_EUlS16_E_NS1_11comp_targetILNS1_3genE0ELNS1_11target_archE4294967295ELNS1_3gpuE0ELNS1_3repE0EEENS1_30default_config_static_selectorELNS0_4arch9wavefront6targetE1EEEvT1_
                                        ; -- End function
	.section	.AMDGPU.csdata,"",@progbits
; Kernel info:
; codeLenInByte = 0
; NumSgprs: 4
; NumVgprs: 0
; NumAgprs: 0
; TotalNumVgprs: 0
; ScratchSize: 0
; MemoryBound: 0
; FloatMode: 240
; IeeeMode: 1
; LDSByteSize: 0 bytes/workgroup (compile time only)
; SGPRBlocks: 0
; VGPRBlocks: 0
; NumSGPRsForWavesPerEU: 4
; NumVGPRsForWavesPerEU: 1
; AccumOffset: 4
; Occupancy: 8
; WaveLimiterHint : 0
; COMPUTE_PGM_RSRC2:SCRATCH_EN: 0
; COMPUTE_PGM_RSRC2:USER_SGPR: 6
; COMPUTE_PGM_RSRC2:TRAP_HANDLER: 0
; COMPUTE_PGM_RSRC2:TGID_X_EN: 1
; COMPUTE_PGM_RSRC2:TGID_Y_EN: 0
; COMPUTE_PGM_RSRC2:TGID_Z_EN: 0
; COMPUTE_PGM_RSRC2:TIDIG_COMP_CNT: 0
; COMPUTE_PGM_RSRC3_GFX90A:ACCUM_OFFSET: 0
; COMPUTE_PGM_RSRC3_GFX90A:TG_SPLIT: 0
	.section	.text._ZN7rocprim17ROCPRIM_400000_NS6detail17trampoline_kernelINS0_14default_configENS1_25partition_config_selectorILNS1_17partition_subalgoE1ExNS0_10empty_typeEbEEZZNS1_14partition_implILS5_1ELb0ES3_jN6thrust23THRUST_200600_302600_NS6detail15normal_iteratorINSA_10device_ptrIxEEEEPS6_NSA_18transform_iteratorI7is_evenIxESF_NSA_11use_defaultESK_EENS0_5tupleIJSF_NSA_16discard_iteratorISK_EEEEENSM_IJSG_SG_EEES6_PlJS6_EEE10hipError_tPvRmT3_T4_T5_T6_T7_T9_mT8_P12ihipStream_tbDpT10_ENKUlT_T0_E_clISt17integral_constantIbLb1EES1A_IbLb0EEEEDaS16_S17_EUlS16_E_NS1_11comp_targetILNS1_3genE5ELNS1_11target_archE942ELNS1_3gpuE9ELNS1_3repE0EEENS1_30default_config_static_selectorELNS0_4arch9wavefront6targetE1EEEvT1_,"axG",@progbits,_ZN7rocprim17ROCPRIM_400000_NS6detail17trampoline_kernelINS0_14default_configENS1_25partition_config_selectorILNS1_17partition_subalgoE1ExNS0_10empty_typeEbEEZZNS1_14partition_implILS5_1ELb0ES3_jN6thrust23THRUST_200600_302600_NS6detail15normal_iteratorINSA_10device_ptrIxEEEEPS6_NSA_18transform_iteratorI7is_evenIxESF_NSA_11use_defaultESK_EENS0_5tupleIJSF_NSA_16discard_iteratorISK_EEEEENSM_IJSG_SG_EEES6_PlJS6_EEE10hipError_tPvRmT3_T4_T5_T6_T7_T9_mT8_P12ihipStream_tbDpT10_ENKUlT_T0_E_clISt17integral_constantIbLb1EES1A_IbLb0EEEEDaS16_S17_EUlS16_E_NS1_11comp_targetILNS1_3genE5ELNS1_11target_archE942ELNS1_3gpuE9ELNS1_3repE0EEENS1_30default_config_static_selectorELNS0_4arch9wavefront6targetE1EEEvT1_,comdat
	.protected	_ZN7rocprim17ROCPRIM_400000_NS6detail17trampoline_kernelINS0_14default_configENS1_25partition_config_selectorILNS1_17partition_subalgoE1ExNS0_10empty_typeEbEEZZNS1_14partition_implILS5_1ELb0ES3_jN6thrust23THRUST_200600_302600_NS6detail15normal_iteratorINSA_10device_ptrIxEEEEPS6_NSA_18transform_iteratorI7is_evenIxESF_NSA_11use_defaultESK_EENS0_5tupleIJSF_NSA_16discard_iteratorISK_EEEEENSM_IJSG_SG_EEES6_PlJS6_EEE10hipError_tPvRmT3_T4_T5_T6_T7_T9_mT8_P12ihipStream_tbDpT10_ENKUlT_T0_E_clISt17integral_constantIbLb1EES1A_IbLb0EEEEDaS16_S17_EUlS16_E_NS1_11comp_targetILNS1_3genE5ELNS1_11target_archE942ELNS1_3gpuE9ELNS1_3repE0EEENS1_30default_config_static_selectorELNS0_4arch9wavefront6targetE1EEEvT1_ ; -- Begin function _ZN7rocprim17ROCPRIM_400000_NS6detail17trampoline_kernelINS0_14default_configENS1_25partition_config_selectorILNS1_17partition_subalgoE1ExNS0_10empty_typeEbEEZZNS1_14partition_implILS5_1ELb0ES3_jN6thrust23THRUST_200600_302600_NS6detail15normal_iteratorINSA_10device_ptrIxEEEEPS6_NSA_18transform_iteratorI7is_evenIxESF_NSA_11use_defaultESK_EENS0_5tupleIJSF_NSA_16discard_iteratorISK_EEEEENSM_IJSG_SG_EEES6_PlJS6_EEE10hipError_tPvRmT3_T4_T5_T6_T7_T9_mT8_P12ihipStream_tbDpT10_ENKUlT_T0_E_clISt17integral_constantIbLb1EES1A_IbLb0EEEEDaS16_S17_EUlS16_E_NS1_11comp_targetILNS1_3genE5ELNS1_11target_archE942ELNS1_3gpuE9ELNS1_3repE0EEENS1_30default_config_static_selectorELNS0_4arch9wavefront6targetE1EEEvT1_
	.globl	_ZN7rocprim17ROCPRIM_400000_NS6detail17trampoline_kernelINS0_14default_configENS1_25partition_config_selectorILNS1_17partition_subalgoE1ExNS0_10empty_typeEbEEZZNS1_14partition_implILS5_1ELb0ES3_jN6thrust23THRUST_200600_302600_NS6detail15normal_iteratorINSA_10device_ptrIxEEEEPS6_NSA_18transform_iteratorI7is_evenIxESF_NSA_11use_defaultESK_EENS0_5tupleIJSF_NSA_16discard_iteratorISK_EEEEENSM_IJSG_SG_EEES6_PlJS6_EEE10hipError_tPvRmT3_T4_T5_T6_T7_T9_mT8_P12ihipStream_tbDpT10_ENKUlT_T0_E_clISt17integral_constantIbLb1EES1A_IbLb0EEEEDaS16_S17_EUlS16_E_NS1_11comp_targetILNS1_3genE5ELNS1_11target_archE942ELNS1_3gpuE9ELNS1_3repE0EEENS1_30default_config_static_selectorELNS0_4arch9wavefront6targetE1EEEvT1_
	.p2align	8
	.type	_ZN7rocprim17ROCPRIM_400000_NS6detail17trampoline_kernelINS0_14default_configENS1_25partition_config_selectorILNS1_17partition_subalgoE1ExNS0_10empty_typeEbEEZZNS1_14partition_implILS5_1ELb0ES3_jN6thrust23THRUST_200600_302600_NS6detail15normal_iteratorINSA_10device_ptrIxEEEEPS6_NSA_18transform_iteratorI7is_evenIxESF_NSA_11use_defaultESK_EENS0_5tupleIJSF_NSA_16discard_iteratorISK_EEEEENSM_IJSG_SG_EEES6_PlJS6_EEE10hipError_tPvRmT3_T4_T5_T6_T7_T9_mT8_P12ihipStream_tbDpT10_ENKUlT_T0_E_clISt17integral_constantIbLb1EES1A_IbLb0EEEEDaS16_S17_EUlS16_E_NS1_11comp_targetILNS1_3genE5ELNS1_11target_archE942ELNS1_3gpuE9ELNS1_3repE0EEENS1_30default_config_static_selectorELNS0_4arch9wavefront6targetE1EEEvT1_,@function
_ZN7rocprim17ROCPRIM_400000_NS6detail17trampoline_kernelINS0_14default_configENS1_25partition_config_selectorILNS1_17partition_subalgoE1ExNS0_10empty_typeEbEEZZNS1_14partition_implILS5_1ELb0ES3_jN6thrust23THRUST_200600_302600_NS6detail15normal_iteratorINSA_10device_ptrIxEEEEPS6_NSA_18transform_iteratorI7is_evenIxESF_NSA_11use_defaultESK_EENS0_5tupleIJSF_NSA_16discard_iteratorISK_EEEEENSM_IJSG_SG_EEES6_PlJS6_EEE10hipError_tPvRmT3_T4_T5_T6_T7_T9_mT8_P12ihipStream_tbDpT10_ENKUlT_T0_E_clISt17integral_constantIbLb1EES1A_IbLb0EEEEDaS16_S17_EUlS16_E_NS1_11comp_targetILNS1_3genE5ELNS1_11target_archE942ELNS1_3gpuE9ELNS1_3repE0EEENS1_30default_config_static_selectorELNS0_4arch9wavefront6targetE1EEEvT1_: ; @_ZN7rocprim17ROCPRIM_400000_NS6detail17trampoline_kernelINS0_14default_configENS1_25partition_config_selectorILNS1_17partition_subalgoE1ExNS0_10empty_typeEbEEZZNS1_14partition_implILS5_1ELb0ES3_jN6thrust23THRUST_200600_302600_NS6detail15normal_iteratorINSA_10device_ptrIxEEEEPS6_NSA_18transform_iteratorI7is_evenIxESF_NSA_11use_defaultESK_EENS0_5tupleIJSF_NSA_16discard_iteratorISK_EEEEENSM_IJSG_SG_EEES6_PlJS6_EEE10hipError_tPvRmT3_T4_T5_T6_T7_T9_mT8_P12ihipStream_tbDpT10_ENKUlT_T0_E_clISt17integral_constantIbLb1EES1A_IbLb0EEEEDaS16_S17_EUlS16_E_NS1_11comp_targetILNS1_3genE5ELNS1_11target_archE942ELNS1_3gpuE9ELNS1_3repE0EEENS1_30default_config_static_selectorELNS0_4arch9wavefront6targetE1EEEvT1_
; %bb.0:
	.section	.rodata,"a",@progbits
	.p2align	6, 0x0
	.amdhsa_kernel _ZN7rocprim17ROCPRIM_400000_NS6detail17trampoline_kernelINS0_14default_configENS1_25partition_config_selectorILNS1_17partition_subalgoE1ExNS0_10empty_typeEbEEZZNS1_14partition_implILS5_1ELb0ES3_jN6thrust23THRUST_200600_302600_NS6detail15normal_iteratorINSA_10device_ptrIxEEEEPS6_NSA_18transform_iteratorI7is_evenIxESF_NSA_11use_defaultESK_EENS0_5tupleIJSF_NSA_16discard_iteratorISK_EEEEENSM_IJSG_SG_EEES6_PlJS6_EEE10hipError_tPvRmT3_T4_T5_T6_T7_T9_mT8_P12ihipStream_tbDpT10_ENKUlT_T0_E_clISt17integral_constantIbLb1EES1A_IbLb0EEEEDaS16_S17_EUlS16_E_NS1_11comp_targetILNS1_3genE5ELNS1_11target_archE942ELNS1_3gpuE9ELNS1_3repE0EEENS1_30default_config_static_selectorELNS0_4arch9wavefront6targetE1EEEvT1_
		.amdhsa_group_segment_fixed_size 0
		.amdhsa_private_segment_fixed_size 0
		.amdhsa_kernarg_size 136
		.amdhsa_user_sgpr_count 6
		.amdhsa_user_sgpr_private_segment_buffer 1
		.amdhsa_user_sgpr_dispatch_ptr 0
		.amdhsa_user_sgpr_queue_ptr 0
		.amdhsa_user_sgpr_kernarg_segment_ptr 1
		.amdhsa_user_sgpr_dispatch_id 0
		.amdhsa_user_sgpr_flat_scratch_init 0
		.amdhsa_user_sgpr_kernarg_preload_length 0
		.amdhsa_user_sgpr_kernarg_preload_offset 0
		.amdhsa_user_sgpr_private_segment_size 0
		.amdhsa_uses_dynamic_stack 0
		.amdhsa_system_sgpr_private_segment_wavefront_offset 0
		.amdhsa_system_sgpr_workgroup_id_x 1
		.amdhsa_system_sgpr_workgroup_id_y 0
		.amdhsa_system_sgpr_workgroup_id_z 0
		.amdhsa_system_sgpr_workgroup_info 0
		.amdhsa_system_vgpr_workitem_id 0
		.amdhsa_next_free_vgpr 1
		.amdhsa_next_free_sgpr 0
		.amdhsa_accum_offset 4
		.amdhsa_reserve_vcc 0
		.amdhsa_reserve_flat_scratch 0
		.amdhsa_float_round_mode_32 0
		.amdhsa_float_round_mode_16_64 0
		.amdhsa_float_denorm_mode_32 3
		.amdhsa_float_denorm_mode_16_64 3
		.amdhsa_dx10_clamp 1
		.amdhsa_ieee_mode 1
		.amdhsa_fp16_overflow 0
		.amdhsa_tg_split 0
		.amdhsa_exception_fp_ieee_invalid_op 0
		.amdhsa_exception_fp_denorm_src 0
		.amdhsa_exception_fp_ieee_div_zero 0
		.amdhsa_exception_fp_ieee_overflow 0
		.amdhsa_exception_fp_ieee_underflow 0
		.amdhsa_exception_fp_ieee_inexact 0
		.amdhsa_exception_int_div_zero 0
	.end_amdhsa_kernel
	.section	.text._ZN7rocprim17ROCPRIM_400000_NS6detail17trampoline_kernelINS0_14default_configENS1_25partition_config_selectorILNS1_17partition_subalgoE1ExNS0_10empty_typeEbEEZZNS1_14partition_implILS5_1ELb0ES3_jN6thrust23THRUST_200600_302600_NS6detail15normal_iteratorINSA_10device_ptrIxEEEEPS6_NSA_18transform_iteratorI7is_evenIxESF_NSA_11use_defaultESK_EENS0_5tupleIJSF_NSA_16discard_iteratorISK_EEEEENSM_IJSG_SG_EEES6_PlJS6_EEE10hipError_tPvRmT3_T4_T5_T6_T7_T9_mT8_P12ihipStream_tbDpT10_ENKUlT_T0_E_clISt17integral_constantIbLb1EES1A_IbLb0EEEEDaS16_S17_EUlS16_E_NS1_11comp_targetILNS1_3genE5ELNS1_11target_archE942ELNS1_3gpuE9ELNS1_3repE0EEENS1_30default_config_static_selectorELNS0_4arch9wavefront6targetE1EEEvT1_,"axG",@progbits,_ZN7rocprim17ROCPRIM_400000_NS6detail17trampoline_kernelINS0_14default_configENS1_25partition_config_selectorILNS1_17partition_subalgoE1ExNS0_10empty_typeEbEEZZNS1_14partition_implILS5_1ELb0ES3_jN6thrust23THRUST_200600_302600_NS6detail15normal_iteratorINSA_10device_ptrIxEEEEPS6_NSA_18transform_iteratorI7is_evenIxESF_NSA_11use_defaultESK_EENS0_5tupleIJSF_NSA_16discard_iteratorISK_EEEEENSM_IJSG_SG_EEES6_PlJS6_EEE10hipError_tPvRmT3_T4_T5_T6_T7_T9_mT8_P12ihipStream_tbDpT10_ENKUlT_T0_E_clISt17integral_constantIbLb1EES1A_IbLb0EEEEDaS16_S17_EUlS16_E_NS1_11comp_targetILNS1_3genE5ELNS1_11target_archE942ELNS1_3gpuE9ELNS1_3repE0EEENS1_30default_config_static_selectorELNS0_4arch9wavefront6targetE1EEEvT1_,comdat
.Lfunc_end3212:
	.size	_ZN7rocprim17ROCPRIM_400000_NS6detail17trampoline_kernelINS0_14default_configENS1_25partition_config_selectorILNS1_17partition_subalgoE1ExNS0_10empty_typeEbEEZZNS1_14partition_implILS5_1ELb0ES3_jN6thrust23THRUST_200600_302600_NS6detail15normal_iteratorINSA_10device_ptrIxEEEEPS6_NSA_18transform_iteratorI7is_evenIxESF_NSA_11use_defaultESK_EENS0_5tupleIJSF_NSA_16discard_iteratorISK_EEEEENSM_IJSG_SG_EEES6_PlJS6_EEE10hipError_tPvRmT3_T4_T5_T6_T7_T9_mT8_P12ihipStream_tbDpT10_ENKUlT_T0_E_clISt17integral_constantIbLb1EES1A_IbLb0EEEEDaS16_S17_EUlS16_E_NS1_11comp_targetILNS1_3genE5ELNS1_11target_archE942ELNS1_3gpuE9ELNS1_3repE0EEENS1_30default_config_static_selectorELNS0_4arch9wavefront6targetE1EEEvT1_, .Lfunc_end3212-_ZN7rocprim17ROCPRIM_400000_NS6detail17trampoline_kernelINS0_14default_configENS1_25partition_config_selectorILNS1_17partition_subalgoE1ExNS0_10empty_typeEbEEZZNS1_14partition_implILS5_1ELb0ES3_jN6thrust23THRUST_200600_302600_NS6detail15normal_iteratorINSA_10device_ptrIxEEEEPS6_NSA_18transform_iteratorI7is_evenIxESF_NSA_11use_defaultESK_EENS0_5tupleIJSF_NSA_16discard_iteratorISK_EEEEENSM_IJSG_SG_EEES6_PlJS6_EEE10hipError_tPvRmT3_T4_T5_T6_T7_T9_mT8_P12ihipStream_tbDpT10_ENKUlT_T0_E_clISt17integral_constantIbLb1EES1A_IbLb0EEEEDaS16_S17_EUlS16_E_NS1_11comp_targetILNS1_3genE5ELNS1_11target_archE942ELNS1_3gpuE9ELNS1_3repE0EEENS1_30default_config_static_selectorELNS0_4arch9wavefront6targetE1EEEvT1_
                                        ; -- End function
	.section	.AMDGPU.csdata,"",@progbits
; Kernel info:
; codeLenInByte = 0
; NumSgprs: 4
; NumVgprs: 0
; NumAgprs: 0
; TotalNumVgprs: 0
; ScratchSize: 0
; MemoryBound: 0
; FloatMode: 240
; IeeeMode: 1
; LDSByteSize: 0 bytes/workgroup (compile time only)
; SGPRBlocks: 0
; VGPRBlocks: 0
; NumSGPRsForWavesPerEU: 4
; NumVGPRsForWavesPerEU: 1
; AccumOffset: 4
; Occupancy: 8
; WaveLimiterHint : 0
; COMPUTE_PGM_RSRC2:SCRATCH_EN: 0
; COMPUTE_PGM_RSRC2:USER_SGPR: 6
; COMPUTE_PGM_RSRC2:TRAP_HANDLER: 0
; COMPUTE_PGM_RSRC2:TGID_X_EN: 1
; COMPUTE_PGM_RSRC2:TGID_Y_EN: 0
; COMPUTE_PGM_RSRC2:TGID_Z_EN: 0
; COMPUTE_PGM_RSRC2:TIDIG_COMP_CNT: 0
; COMPUTE_PGM_RSRC3_GFX90A:ACCUM_OFFSET: 0
; COMPUTE_PGM_RSRC3_GFX90A:TG_SPLIT: 0
	.section	.text._ZN7rocprim17ROCPRIM_400000_NS6detail17trampoline_kernelINS0_14default_configENS1_25partition_config_selectorILNS1_17partition_subalgoE1ExNS0_10empty_typeEbEEZZNS1_14partition_implILS5_1ELb0ES3_jN6thrust23THRUST_200600_302600_NS6detail15normal_iteratorINSA_10device_ptrIxEEEEPS6_NSA_18transform_iteratorI7is_evenIxESF_NSA_11use_defaultESK_EENS0_5tupleIJSF_NSA_16discard_iteratorISK_EEEEENSM_IJSG_SG_EEES6_PlJS6_EEE10hipError_tPvRmT3_T4_T5_T6_T7_T9_mT8_P12ihipStream_tbDpT10_ENKUlT_T0_E_clISt17integral_constantIbLb1EES1A_IbLb0EEEEDaS16_S17_EUlS16_E_NS1_11comp_targetILNS1_3genE4ELNS1_11target_archE910ELNS1_3gpuE8ELNS1_3repE0EEENS1_30default_config_static_selectorELNS0_4arch9wavefront6targetE1EEEvT1_,"axG",@progbits,_ZN7rocprim17ROCPRIM_400000_NS6detail17trampoline_kernelINS0_14default_configENS1_25partition_config_selectorILNS1_17partition_subalgoE1ExNS0_10empty_typeEbEEZZNS1_14partition_implILS5_1ELb0ES3_jN6thrust23THRUST_200600_302600_NS6detail15normal_iteratorINSA_10device_ptrIxEEEEPS6_NSA_18transform_iteratorI7is_evenIxESF_NSA_11use_defaultESK_EENS0_5tupleIJSF_NSA_16discard_iteratorISK_EEEEENSM_IJSG_SG_EEES6_PlJS6_EEE10hipError_tPvRmT3_T4_T5_T6_T7_T9_mT8_P12ihipStream_tbDpT10_ENKUlT_T0_E_clISt17integral_constantIbLb1EES1A_IbLb0EEEEDaS16_S17_EUlS16_E_NS1_11comp_targetILNS1_3genE4ELNS1_11target_archE910ELNS1_3gpuE8ELNS1_3repE0EEENS1_30default_config_static_selectorELNS0_4arch9wavefront6targetE1EEEvT1_,comdat
	.protected	_ZN7rocprim17ROCPRIM_400000_NS6detail17trampoline_kernelINS0_14default_configENS1_25partition_config_selectorILNS1_17partition_subalgoE1ExNS0_10empty_typeEbEEZZNS1_14partition_implILS5_1ELb0ES3_jN6thrust23THRUST_200600_302600_NS6detail15normal_iteratorINSA_10device_ptrIxEEEEPS6_NSA_18transform_iteratorI7is_evenIxESF_NSA_11use_defaultESK_EENS0_5tupleIJSF_NSA_16discard_iteratorISK_EEEEENSM_IJSG_SG_EEES6_PlJS6_EEE10hipError_tPvRmT3_T4_T5_T6_T7_T9_mT8_P12ihipStream_tbDpT10_ENKUlT_T0_E_clISt17integral_constantIbLb1EES1A_IbLb0EEEEDaS16_S17_EUlS16_E_NS1_11comp_targetILNS1_3genE4ELNS1_11target_archE910ELNS1_3gpuE8ELNS1_3repE0EEENS1_30default_config_static_selectorELNS0_4arch9wavefront6targetE1EEEvT1_ ; -- Begin function _ZN7rocprim17ROCPRIM_400000_NS6detail17trampoline_kernelINS0_14default_configENS1_25partition_config_selectorILNS1_17partition_subalgoE1ExNS0_10empty_typeEbEEZZNS1_14partition_implILS5_1ELb0ES3_jN6thrust23THRUST_200600_302600_NS6detail15normal_iteratorINSA_10device_ptrIxEEEEPS6_NSA_18transform_iteratorI7is_evenIxESF_NSA_11use_defaultESK_EENS0_5tupleIJSF_NSA_16discard_iteratorISK_EEEEENSM_IJSG_SG_EEES6_PlJS6_EEE10hipError_tPvRmT3_T4_T5_T6_T7_T9_mT8_P12ihipStream_tbDpT10_ENKUlT_T0_E_clISt17integral_constantIbLb1EES1A_IbLb0EEEEDaS16_S17_EUlS16_E_NS1_11comp_targetILNS1_3genE4ELNS1_11target_archE910ELNS1_3gpuE8ELNS1_3repE0EEENS1_30default_config_static_selectorELNS0_4arch9wavefront6targetE1EEEvT1_
	.globl	_ZN7rocprim17ROCPRIM_400000_NS6detail17trampoline_kernelINS0_14default_configENS1_25partition_config_selectorILNS1_17partition_subalgoE1ExNS0_10empty_typeEbEEZZNS1_14partition_implILS5_1ELb0ES3_jN6thrust23THRUST_200600_302600_NS6detail15normal_iteratorINSA_10device_ptrIxEEEEPS6_NSA_18transform_iteratorI7is_evenIxESF_NSA_11use_defaultESK_EENS0_5tupleIJSF_NSA_16discard_iteratorISK_EEEEENSM_IJSG_SG_EEES6_PlJS6_EEE10hipError_tPvRmT3_T4_T5_T6_T7_T9_mT8_P12ihipStream_tbDpT10_ENKUlT_T0_E_clISt17integral_constantIbLb1EES1A_IbLb0EEEEDaS16_S17_EUlS16_E_NS1_11comp_targetILNS1_3genE4ELNS1_11target_archE910ELNS1_3gpuE8ELNS1_3repE0EEENS1_30default_config_static_selectorELNS0_4arch9wavefront6targetE1EEEvT1_
	.p2align	8
	.type	_ZN7rocprim17ROCPRIM_400000_NS6detail17trampoline_kernelINS0_14default_configENS1_25partition_config_selectorILNS1_17partition_subalgoE1ExNS0_10empty_typeEbEEZZNS1_14partition_implILS5_1ELb0ES3_jN6thrust23THRUST_200600_302600_NS6detail15normal_iteratorINSA_10device_ptrIxEEEEPS6_NSA_18transform_iteratorI7is_evenIxESF_NSA_11use_defaultESK_EENS0_5tupleIJSF_NSA_16discard_iteratorISK_EEEEENSM_IJSG_SG_EEES6_PlJS6_EEE10hipError_tPvRmT3_T4_T5_T6_T7_T9_mT8_P12ihipStream_tbDpT10_ENKUlT_T0_E_clISt17integral_constantIbLb1EES1A_IbLb0EEEEDaS16_S17_EUlS16_E_NS1_11comp_targetILNS1_3genE4ELNS1_11target_archE910ELNS1_3gpuE8ELNS1_3repE0EEENS1_30default_config_static_selectorELNS0_4arch9wavefront6targetE1EEEvT1_,@function
_ZN7rocprim17ROCPRIM_400000_NS6detail17trampoline_kernelINS0_14default_configENS1_25partition_config_selectorILNS1_17partition_subalgoE1ExNS0_10empty_typeEbEEZZNS1_14partition_implILS5_1ELb0ES3_jN6thrust23THRUST_200600_302600_NS6detail15normal_iteratorINSA_10device_ptrIxEEEEPS6_NSA_18transform_iteratorI7is_evenIxESF_NSA_11use_defaultESK_EENS0_5tupleIJSF_NSA_16discard_iteratorISK_EEEEENSM_IJSG_SG_EEES6_PlJS6_EEE10hipError_tPvRmT3_T4_T5_T6_T7_T9_mT8_P12ihipStream_tbDpT10_ENKUlT_T0_E_clISt17integral_constantIbLb1EES1A_IbLb0EEEEDaS16_S17_EUlS16_E_NS1_11comp_targetILNS1_3genE4ELNS1_11target_archE910ELNS1_3gpuE8ELNS1_3repE0EEENS1_30default_config_static_selectorELNS0_4arch9wavefront6targetE1EEEvT1_: ; @_ZN7rocprim17ROCPRIM_400000_NS6detail17trampoline_kernelINS0_14default_configENS1_25partition_config_selectorILNS1_17partition_subalgoE1ExNS0_10empty_typeEbEEZZNS1_14partition_implILS5_1ELb0ES3_jN6thrust23THRUST_200600_302600_NS6detail15normal_iteratorINSA_10device_ptrIxEEEEPS6_NSA_18transform_iteratorI7is_evenIxESF_NSA_11use_defaultESK_EENS0_5tupleIJSF_NSA_16discard_iteratorISK_EEEEENSM_IJSG_SG_EEES6_PlJS6_EEE10hipError_tPvRmT3_T4_T5_T6_T7_T9_mT8_P12ihipStream_tbDpT10_ENKUlT_T0_E_clISt17integral_constantIbLb1EES1A_IbLb0EEEEDaS16_S17_EUlS16_E_NS1_11comp_targetILNS1_3genE4ELNS1_11target_archE910ELNS1_3gpuE8ELNS1_3repE0EEENS1_30default_config_static_selectorELNS0_4arch9wavefront6targetE1EEEvT1_
; %bb.0:
	s_load_dwordx2 s[0:1], s[4:5], 0x68
	s_load_dwordx4 s[12:15], s[4:5], 0x8
	s_load_dwordx2 s[2:3], s[4:5], 0x20
	s_load_dwordx4 s[20:23], s[4:5], 0x58
	s_mul_i32 s10, s6, 0x300
	s_waitcnt lgkmcnt(0)
	v_mov_b32_e32 v3, s1
	s_load_dword s1, s[4:5], 0x80
	s_lshl_b64 s[8:9], s[14:15], 3
	s_add_u32 s7, s12, s8
	s_addc_u32 s12, s13, s9
	v_mov_b32_e32 v2, s0
	s_waitcnt lgkmcnt(0)
	s_add_i32 s13, s1, -1
	s_mulk_i32 s1, 0x300
	s_add_i32 s11, s1, s14
	s_sub_i32 s33, s0, s11
	s_addk_i32 s33, 0x300
	s_add_u32 s0, s14, s1
	s_addc_u32 s1, s15, 0
	s_cmp_eq_u32 s6, s13
	s_load_dwordx2 s[22:23], s[22:23], 0x0
	s_cselect_b64 s[24:25], -1, 0
	s_cmp_lg_u32 s6, s13
	s_mov_b32 s11, 0
	v_cmp_lt_u64_e32 vcc, s[0:1], v[2:3]
	s_cselect_b64 s[0:1], -1, 0
	s_or_b64 s[26:27], s[0:1], vcc
	s_lshl_b64 s[10:11], s[10:11], 3
	s_add_u32 s7, s7, s10
	s_addc_u32 s14, s12, s11
	s_mov_b64 s[0:1], -1
	s_and_b64 vcc, exec, s[26:27]
	v_lshlrev_b32_e32 v1, 3, v0
	v_lshrrev_b32_e32 v10, 2, v0
	s_cbranch_vccz .LBB3213_2
; %bb.1:
	v_mov_b32_e32 v3, s14
	v_add_co_u32_e32 v2, vcc, s7, v1
	v_addc_co_u32_e32 v3, vcc, 0, v3, vcc
	v_add_co_u32_e32 v4, vcc, 0x1000, v2
	v_addc_co_u32_e32 v5, vcc, 0, v3, vcc
	flat_load_dwordx2 v[6:7], v[2:3]
	flat_load_dwordx2 v[8:9], v[2:3] offset:1536
	flat_load_dwordx2 v[12:13], v[2:3] offset:3072
	;; [unrolled: 1-line block ×3, first 2 shown]
	v_add_u32_e32 v3, 0xc0, v0
	v_add_u32_e32 v4, 0x180, v0
	;; [unrolled: 1-line block ×3, first 2 shown]
	v_and_b32_e32 v2, 56, v10
	v_lshrrev_b32_e32 v3, 2, v3
	v_lshrrev_b32_e32 v4, 2, v4
	v_lshrrev_b32_e32 v5, 2, v5
	v_add_u32_e32 v2, v2, v1
	v_and_b32_e32 v3, 0x78, v3
	v_and_b32_e32 v4, 0xf8, v4
	;; [unrolled: 1-line block ×3, first 2 shown]
	v_add_u32_e32 v3, v3, v1
	v_add_u32_e32 v4, v4, v1
	;; [unrolled: 1-line block ×3, first 2 shown]
	s_mov_b64 s[0:1], 0
	s_waitcnt vmcnt(0) lgkmcnt(0)
	ds_write_b64 v2, v[6:7]
	ds_write_b64 v3, v[8:9] offset:1536
	ds_write_b64 v4, v[12:13] offset:3072
	;; [unrolled: 1-line block ×3, first 2 shown]
	s_waitcnt lgkmcnt(0)
	s_barrier
.LBB3213_2:
	s_andn2_b64 vcc, exec, s[0:1]
	v_cmp_gt_u32_e64 s[0:1], s33, v0
	s_cbranch_vccnz .LBB3213_12
; %bb.3:
                                        ; implicit-def: $vgpr2_vgpr3_vgpr4_vgpr5_vgpr6_vgpr7_vgpr8_vgpr9
	s_and_saveexec_b64 s[12:13], s[0:1]
	s_cbranch_execz .LBB3213_5
; %bb.4:
	v_mov_b32_e32 v3, s14
	v_add_co_u32_e32 v2, vcc, s7, v1
	v_addc_co_u32_e32 v3, vcc, 0, v3, vcc
	flat_load_dwordx2 v[2:3], v[2:3]
.LBB3213_5:
	s_or_b64 exec, exec, s[12:13]
	v_add_u32_e32 v11, 0xc0, v0
	v_cmp_gt_u32_e32 vcc, s33, v11
	s_and_saveexec_b64 s[0:1], vcc
	s_cbranch_execz .LBB3213_7
; %bb.6:
	v_mov_b32_e32 v5, s14
	v_add_co_u32_e32 v4, vcc, s7, v1
	v_addc_co_u32_e32 v5, vcc, 0, v5, vcc
	flat_load_dwordx2 v[4:5], v[4:5] offset:1536
.LBB3213_7:
	s_or_b64 exec, exec, s[0:1]
	v_add_u32_e32 v12, 0x180, v0
	v_cmp_gt_u32_e32 vcc, s33, v12
	s_and_saveexec_b64 s[0:1], vcc
	s_cbranch_execz .LBB3213_9
; %bb.8:
	v_mov_b32_e32 v7, s14
	v_add_co_u32_e32 v6, vcc, s7, v1
	v_addc_co_u32_e32 v7, vcc, 0, v7, vcc
	flat_load_dwordx2 v[6:7], v[6:7] offset:3072
.LBB3213_9:
	s_or_b64 exec, exec, s[0:1]
	v_add_u32_e32 v13, 0x240, v0
	v_cmp_gt_u32_e32 vcc, s33, v13
	s_and_saveexec_b64 s[0:1], vcc
	s_cbranch_execz .LBB3213_11
; %bb.10:
	v_lshlrev_b32_e32 v8, 3, v13
	v_mov_b32_e32 v9, s14
	v_add_co_u32_e32 v8, vcc, s7, v8
	v_addc_co_u32_e32 v9, vcc, 0, v9, vcc
	flat_load_dwordx2 v[8:9], v[8:9]
.LBB3213_11:
	s_or_b64 exec, exec, s[0:1]
	v_and_b32_e32 v10, 56, v10
	v_add_u32_e32 v10, v10, v1
	s_waitcnt vmcnt(0) lgkmcnt(0)
	ds_write_b64 v10, v[2:3]
	v_lshrrev_b32_e32 v2, 2, v11
	v_and_b32_e32 v2, 0x78, v2
	v_add_u32_e32 v2, v2, v1
	ds_write_b64 v2, v[4:5] offset:1536
	v_lshrrev_b32_e32 v2, 2, v12
	v_and_b32_e32 v2, 0xf8, v2
	v_add_u32_e32 v2, v2, v1
	ds_write_b64 v2, v[6:7] offset:3072
	;; [unrolled: 4-line block ×3, first 2 shown]
	s_waitcnt lgkmcnt(0)
	s_barrier
.LBB3213_12:
	v_lshlrev_b32_e32 v20, 2, v0
	v_lshrrev_b32_e32 v10, 3, v0
	v_add_lshl_u32 v2, v10, v20, 3
	s_waitcnt lgkmcnt(0)
	ds_read2_b64 v[6:9], v2 offset1:1
	ds_read2_b64 v[2:5], v2 offset0:2 offset1:3
	s_add_u32 s0, s2, s8
	s_addc_u32 s1, s3, s9
	s_add_u32 s0, s0, s10
	s_addc_u32 s1, s1, s11
	s_mov_b64 s[2:3], -1
	s_and_b64 vcc, exec, s[26:27]
	v_lshrrev_b32_e32 v11, 5, v0
	s_waitcnt lgkmcnt(0)
	s_barrier
	s_cbranch_vccz .LBB3213_14
; %bb.13:
	global_load_dwordx2 v[12:13], v1, s[0:1]
	global_load_dwordx2 v[14:15], v1, s[0:1] offset:1536
	global_load_dwordx2 v[16:17], v1, s[0:1] offset:3072
	v_mov_b32_e32 v18, s1
	s_waitcnt vmcnt(2)
	v_add_co_u32_e32 v13, vcc, s0, v1
	s_waitcnt vmcnt(1)
	v_addc_co_u32_e32 v15, vcc, 0, v18, vcc
	v_add_co_u32_e32 v18, vcc, 0x1000, v13
	v_addc_co_u32_e32 v19, vcc, 0, v15, vcc
	global_load_dwordx2 v[18:19], v[18:19], off offset:512
	v_add_u32_e32 v15, 0xc0, v0
	s_waitcnt vmcnt(1)
	v_add_u32_e32 v17, 0x180, v0
	v_and_b32_e32 v13, 4, v11
	s_waitcnt vmcnt(0)
	v_add_u32_e32 v19, 0x240, v0
	v_lshrrev_b32_e32 v15, 5, v15
	v_lshrrev_b32_e32 v17, 5, v17
	v_add_u32_e32 v13, v13, v0
	v_lshrrev_b32_e32 v19, 5, v19
	v_and_b32_e32 v15, 12, v15
	v_and_b32_e32 v17, 28, v17
	;; [unrolled: 1-line block ×3, first 2 shown]
	v_add_u32_e32 v15, v15, v0
	v_add_u32_e32 v17, v17, v0
	;; [unrolled: 1-line block ×3, first 2 shown]
	s_mov_b64 s[2:3], 0
	v_xor_b32_e32 v12, -1, v12
	v_xor_b32_e32 v14, -1, v14
	v_xor_b32_e32 v16, -1, v16
	v_and_b32_e32 v12, 1, v12
	v_and_b32_e32 v14, 1, v14
	;; [unrolled: 1-line block ×3, first 2 shown]
	ds_write_b8 v13, v12
	ds_write_b8 v15, v14 offset:192
	ds_write_b8 v17, v16 offset:384
	v_xor_b32_e32 v12, -1, v18
	v_and_b32_e32 v12, 1, v12
	ds_write_b8 v19, v12 offset:576
	s_waitcnt lgkmcnt(0)
	s_barrier
.LBB3213_14:
	s_load_dwordx2 s[28:29], s[4:5], 0x78
	s_andn2_b64 vcc, exec, s[2:3]
	s_cbranch_vccnz .LBB3213_24
; %bb.15:
	v_cmp_gt_u32_e32 vcc, s33, v0
	v_mov_b32_e32 v12, 0
	v_mov_b32_e32 v13, 0
	s_and_saveexec_b64 s[2:3], vcc
	s_cbranch_execz .LBB3213_17
; %bb.16:
	global_load_dwordx2 v[14:15], v1, s[0:1]
	s_waitcnt vmcnt(0)
	v_xor_b32_e32 v13, -1, v14
	v_and_b32_e32 v13, 1, v13
.LBB3213_17:
	s_or_b64 exec, exec, s[2:3]
	v_add_u32_e32 v14, 0xc0, v0
	v_cmp_gt_u32_e32 vcc, s33, v14
	s_and_saveexec_b64 s[2:3], vcc
	s_cbranch_execz .LBB3213_19
; %bb.18:
	global_load_dwordx2 v[16:17], v1, s[0:1] offset:1536
	s_waitcnt vmcnt(0)
	v_xor_b32_e32 v12, -1, v16
	v_and_b32_e32 v12, 1, v12
.LBB3213_19:
	s_or_b64 exec, exec, s[2:3]
	v_add_u32_e32 v16, 0x180, v0
	v_cmp_gt_u32_e32 vcc, s33, v16
	v_mov_b32_e32 v15, 0
	v_mov_b32_e32 v17, 0
	s_and_saveexec_b64 s[2:3], vcc
	s_cbranch_execz .LBB3213_21
; %bb.20:
	global_load_dwordx2 v[18:19], v1, s[0:1] offset:3072
	s_waitcnt vmcnt(0)
	v_xor_b32_e32 v17, -1, v18
	v_and_b32_e32 v17, 1, v17
.LBB3213_21:
	s_or_b64 exec, exec, s[2:3]
	v_add_u32_e32 v18, 0x240, v0
	v_cmp_gt_u32_e32 vcc, s33, v18
	s_and_saveexec_b64 s[2:3], vcc
	s_cbranch_execz .LBB3213_23
; %bb.22:
	v_lshlrev_b32_e32 v15, 3, v18
	global_load_dwordx2 v[22:23], v15, s[0:1]
	s_waitcnt vmcnt(0)
	v_xor_b32_e32 v15, -1, v22
	v_and_b32_e32 v15, 1, v15
.LBB3213_23:
	s_or_b64 exec, exec, s[2:3]
	v_and_b32_e32 v11, 4, v11
	v_add_u32_e32 v11, v11, v0
	ds_write_b8 v11, v13
	v_lshrrev_b32_e32 v11, 5, v14
	v_and_b32_e32 v11, 12, v11
	v_add_u32_e32 v11, v11, v0
	ds_write_b8 v11, v12 offset:192
	v_lshrrev_b32_e32 v11, 5, v16
	v_and_b32_e32 v11, 28, v11
	v_add_u32_e32 v11, v11, v0
	ds_write_b8 v11, v17 offset:384
	;; [unrolled: 4-line block ×3, first 2 shown]
	s_waitcnt lgkmcnt(0)
	s_barrier
.LBB3213_24:
	v_and_b32_e32 v10, 28, v10
	v_add_u32_e32 v10, v10, v20
	s_waitcnt lgkmcnt(0)
	ds_read_b32 v22, v10
	s_cmp_lg_u32 s6, 0
	v_lshrrev_b32_e32 v25, 6, v0
	s_waitcnt lgkmcnt(0)
	s_barrier
	v_lshrrev_b32_e32 v21, 24, v22
	v_bfe_u32 v23, v22, 16, 8
	v_add_u32_sdwa v10, v22, v22 dst_sel:DWORD dst_unused:UNUSED_PAD src0_sel:BYTE_1 src1_sel:BYTE_0
	v_add3_u32 v26, v10, v23, v21
	v_mbcnt_lo_u32_b32 v10, -1, 0
	v_mbcnt_hi_u32_b32 v24, -1, v10
	v_and_b32_e32 v10, 15, v24
	v_cmp_eq_u32_e64 s[14:15], 0, v10
	v_cmp_lt_u32_e64 s[12:13], 1, v10
	v_cmp_lt_u32_e64 s[10:11], 3, v10
	;; [unrolled: 1-line block ×3, first 2 shown]
	v_and_b32_e32 v10, 16, v24
	v_cmp_eq_u32_e64 s[2:3], 0, v10
	v_and_b32_e32 v10, 0xc0, v0
	v_min_u32_e32 v10, 0x80, v10
	v_or_b32_e32 v10, 63, v10
	v_cmp_lt_u32_e64 s[0:1], 31, v24
	v_cmp_eq_u32_e64 s[18:19], v10, v0
	s_cbranch_scc0 .LBB3213_55
; %bb.25:
	v_mov_b32_dpp v10, v26 row_shr:1 row_mask:0xf bank_mask:0xf
	v_cndmask_b32_e64 v10, v10, 0, s[14:15]
	v_add_u32_e32 v10, v10, v26
	s_nop 1
	v_mov_b32_dpp v11, v10 row_shr:2 row_mask:0xf bank_mask:0xf
	v_cndmask_b32_e64 v11, 0, v11, s[12:13]
	v_add_u32_e32 v10, v10, v11
	s_nop 1
	;; [unrolled: 4-line block ×4, first 2 shown]
	v_mov_b32_dpp v11, v10 row_bcast:15 row_mask:0xf bank_mask:0xf
	v_cndmask_b32_e64 v11, v11, 0, s[2:3]
	v_add_u32_e32 v10, v10, v11
	s_nop 1
	v_mov_b32_dpp v11, v10 row_bcast:31 row_mask:0xf bank_mask:0xf
	v_cndmask_b32_e64 v11, 0, v11, s[0:1]
	v_add_u32_e32 v10, v10, v11
	s_and_saveexec_b64 s[16:17], s[18:19]
	s_cbranch_execz .LBB3213_27
; %bb.26:
	v_lshlrev_b32_e32 v11, 2, v25
	ds_write_b32 v11, v10
.LBB3213_27:
	s_or_b64 exec, exec, s[16:17]
	v_cmp_gt_u32_e32 vcc, 3, v0
	s_waitcnt lgkmcnt(0)
	s_barrier
	s_and_saveexec_b64 s[16:17], vcc
	s_cbranch_execz .LBB3213_29
; %bb.28:
	ds_read_b32 v11, v20
	v_and_b32_e32 v12, 3, v24
	v_cmp_ne_u32_e32 vcc, 0, v12
	s_waitcnt lgkmcnt(0)
	v_mov_b32_dpp v13, v11 row_shr:1 row_mask:0xf bank_mask:0xf
	v_cndmask_b32_e32 v13, 0, v13, vcc
	v_add_u32_e32 v11, v13, v11
	v_cmp_lt_u32_e32 vcc, 1, v12
	s_nop 0
	v_mov_b32_dpp v13, v11 row_shr:2 row_mask:0xf bank_mask:0xf
	v_cndmask_b32_e32 v12, 0, v13, vcc
	v_add_u32_e32 v11, v11, v12
	ds_write_b32 v20, v11
.LBB3213_29:
	s_or_b64 exec, exec, s[16:17]
	v_cmp_gt_u32_e32 vcc, 64, v0
	v_cmp_lt_u32_e64 s[16:17], 63, v0
	s_waitcnt lgkmcnt(0)
	s_barrier
	s_waitcnt lgkmcnt(0)
                                        ; implicit-def: $vgpr27
	s_and_saveexec_b64 s[30:31], s[16:17]
	s_cbranch_execz .LBB3213_31
; %bb.30:
	v_lshl_add_u32 v11, v25, 2, -4
	ds_read_b32 v27, v11
	s_waitcnt lgkmcnt(0)
	v_add_u32_e32 v10, v27, v10
.LBB3213_31:
	s_or_b64 exec, exec, s[30:31]
	v_add_u32_e32 v11, -1, v24
	v_and_b32_e32 v12, 64, v24
	v_cmp_lt_i32_e64 s[16:17], v11, v12
	v_cndmask_b32_e64 v11, v11, v24, s[16:17]
	v_lshlrev_b32_e32 v11, 2, v11
	ds_bpermute_b32 v28, v11, v10
	v_cmp_eq_u32_e64 s[16:17], 0, v24
	s_and_saveexec_b64 s[30:31], vcc
	s_cbranch_execz .LBB3213_54
; %bb.32:
	v_mov_b32_e32 v19, 0
	ds_read_b32 v10, v19 offset:8
	s_and_saveexec_b64 s[34:35], s[16:17]
	s_cbranch_execz .LBB3213_34
; %bb.33:
	s_add_i32 s36, s6, 64
	s_mov_b32 s37, 0
	s_lshl_b64 s[36:37], s[36:37], 3
	s_add_u32 s36, s28, s36
	v_mov_b32_e32 v11, 1
	s_addc_u32 s37, s29, s37
	s_waitcnt lgkmcnt(0)
	global_store_dwordx2 v19, v[10:11], s[36:37]
.LBB3213_34:
	s_or_b64 exec, exec, s[34:35]
	v_xad_u32 v12, v24, -1, s6
	v_add_u32_e32 v18, 64, v12
	v_lshlrev_b64 v[14:15], 3, v[18:19]
	v_mov_b32_e32 v11, s29
	v_add_co_u32_e32 v14, vcc, s28, v14
	v_addc_co_u32_e32 v15, vcc, v11, v15, vcc
	global_load_dwordx2 v[16:17], v[14:15], off glc
	s_waitcnt vmcnt(0)
	v_cmp_eq_u16_sdwa s[36:37], v17, v19 src0_sel:BYTE_0 src1_sel:DWORD
	s_and_saveexec_b64 s[34:35], s[36:37]
	s_cbranch_execz .LBB3213_40
; %bb.35:
	s_mov_b32 s7, 1
	s_mov_b64 s[36:37], 0
	v_mov_b32_e32 v11, 0
.LBB3213_36:                            ; =>This Loop Header: Depth=1
                                        ;     Child Loop BB3213_37 Depth 2
	s_max_u32 s38, s7, 1
.LBB3213_37:                            ;   Parent Loop BB3213_36 Depth=1
                                        ; =>  This Inner Loop Header: Depth=2
	s_add_i32 s38, s38, -1
	s_cmp_eq_u32 s38, 0
	s_sleep 1
	s_cbranch_scc0 .LBB3213_37
; %bb.38:                               ;   in Loop: Header=BB3213_36 Depth=1
	global_load_dwordx2 v[16:17], v[14:15], off glc
	s_cmp_lt_u32 s7, 32
	s_cselect_b64 s[38:39], -1, 0
	s_cmp_lg_u64 s[38:39], 0
	s_addc_u32 s7, s7, 0
	s_waitcnt vmcnt(0)
	v_cmp_ne_u16_sdwa s[38:39], v17, v11 src0_sel:BYTE_0 src1_sel:DWORD
	s_or_b64 s[36:37], s[38:39], s[36:37]
	s_andn2_b64 exec, exec, s[36:37]
	s_cbranch_execnz .LBB3213_36
; %bb.39:
	s_or_b64 exec, exec, s[36:37]
.LBB3213_40:
	s_or_b64 exec, exec, s[34:35]
	v_and_b32_e32 v30, 63, v24
	v_mov_b32_e32 v29, 2
	v_cmp_ne_u32_e32 vcc, 63, v30
	v_cmp_eq_u16_sdwa s[34:35], v17, v29 src0_sel:BYTE_0 src1_sel:DWORD
	v_lshlrev_b64 v[14:15], v24, -1
	v_addc_co_u32_e32 v18, vcc, 0, v24, vcc
	v_and_b32_e32 v11, s35, v15
	v_lshlrev_b32_e32 v31, 2, v18
	v_or_b32_e32 v11, 0x80000000, v11
	ds_bpermute_b32 v18, v31, v16
	v_and_b32_e32 v13, s34, v14
	v_ffbl_b32_e32 v11, v11
	v_add_u32_e32 v11, 32, v11
	v_ffbl_b32_e32 v13, v13
	v_min_u32_e32 v11, v13, v11
	v_cmp_lt_u32_e32 vcc, v30, v11
	s_waitcnt lgkmcnt(0)
	v_cndmask_b32_e32 v13, 0, v18, vcc
	v_cmp_gt_u32_e32 vcc, 62, v30
	v_add_u32_e32 v13, v13, v16
	v_cndmask_b32_e64 v16, 0, 1, vcc
	v_lshlrev_b32_e32 v16, 1, v16
	v_add_lshl_u32 v32, v16, v24, 2
	ds_bpermute_b32 v16, v32, v13
	v_add_u32_e32 v33, 2, v30
	v_cmp_le_u32_e32 vcc, v33, v11
	v_add_u32_e32 v35, 4, v30
	v_add_u32_e32 v37, 8, v30
	s_waitcnt lgkmcnt(0)
	v_cndmask_b32_e32 v16, 0, v16, vcc
	v_cmp_gt_u32_e32 vcc, 60, v30
	v_add_u32_e32 v13, v13, v16
	v_cndmask_b32_e64 v16, 0, 1, vcc
	v_lshlrev_b32_e32 v16, 2, v16
	v_add_lshl_u32 v34, v16, v24, 2
	ds_bpermute_b32 v16, v34, v13
	v_cmp_le_u32_e32 vcc, v35, v11
	v_add_u32_e32 v39, 16, v30
	v_add_u32_e32 v41, 32, v30
	s_waitcnt lgkmcnt(0)
	v_cndmask_b32_e32 v16, 0, v16, vcc
	v_cmp_gt_u32_e32 vcc, 56, v30
	v_add_u32_e32 v13, v13, v16
	v_cndmask_b32_e64 v16, 0, 1, vcc
	v_lshlrev_b32_e32 v16, 3, v16
	v_add_lshl_u32 v36, v16, v24, 2
	ds_bpermute_b32 v16, v36, v13
	v_cmp_le_u32_e32 vcc, v37, v11
	s_waitcnt lgkmcnt(0)
	v_cndmask_b32_e32 v16, 0, v16, vcc
	v_cmp_gt_u32_e32 vcc, 48, v30
	v_add_u32_e32 v13, v13, v16
	v_cndmask_b32_e64 v16, 0, 1, vcc
	v_lshlrev_b32_e32 v16, 4, v16
	v_add_lshl_u32 v38, v16, v24, 2
	ds_bpermute_b32 v16, v38, v13
	v_cmp_le_u32_e32 vcc, v39, v11
	;; [unrolled: 9-line block ×3, first 2 shown]
	s_waitcnt lgkmcnt(0)
	v_cndmask_b32_e32 v11, 0, v16, vcc
	v_add_u32_e32 v16, v13, v11
	v_mov_b32_e32 v13, 0
	s_branch .LBB3213_42
.LBB3213_41:                            ;   in Loop: Header=BB3213_42 Depth=1
	s_or_b64 exec, exec, s[34:35]
	v_cmp_eq_u16_sdwa s[34:35], v17, v29 src0_sel:BYTE_0 src1_sel:DWORD
	v_and_b32_e32 v18, s35, v15
	v_or_b32_e32 v18, 0x80000000, v18
	ds_bpermute_b32 v42, v31, v16
	v_and_b32_e32 v19, s34, v14
	v_ffbl_b32_e32 v18, v18
	v_add_u32_e32 v18, 32, v18
	v_ffbl_b32_e32 v19, v19
	v_min_u32_e32 v18, v19, v18
	v_cmp_lt_u32_e32 vcc, v30, v18
	s_waitcnt lgkmcnt(0)
	v_cndmask_b32_e32 v19, 0, v42, vcc
	v_add_u32_e32 v16, v19, v16
	ds_bpermute_b32 v19, v32, v16
	v_cmp_le_u32_e32 vcc, v33, v18
	v_subrev_u32_e32 v12, 64, v12
	s_waitcnt lgkmcnt(0)
	v_cndmask_b32_e32 v19, 0, v19, vcc
	v_add_u32_e32 v16, v16, v19
	ds_bpermute_b32 v19, v34, v16
	v_cmp_le_u32_e32 vcc, v35, v18
	s_waitcnt lgkmcnt(0)
	v_cndmask_b32_e32 v19, 0, v19, vcc
	v_add_u32_e32 v16, v16, v19
	ds_bpermute_b32 v19, v36, v16
	v_cmp_le_u32_e32 vcc, v37, v18
	;; [unrolled: 5-line block ×4, first 2 shown]
	s_waitcnt lgkmcnt(0)
	v_cndmask_b32_e32 v18, 0, v19, vcc
	v_add3_u32 v16, v18, v11, v16
.LBB3213_42:                            ; =>This Loop Header: Depth=1
                                        ;     Child Loop BB3213_45 Depth 2
                                        ;       Child Loop BB3213_46 Depth 3
	v_cmp_ne_u16_sdwa s[34:35], v17, v29 src0_sel:BYTE_0 src1_sel:DWORD
	v_cndmask_b32_e64 v11, 0, 1, s[34:35]
	;;#ASMSTART
	;;#ASMEND
	v_cmp_ne_u32_e32 vcc, 0, v11
	s_cmp_lg_u64 vcc, exec
	v_mov_b32_e32 v11, v16
	s_cbranch_scc1 .LBB3213_49
; %bb.43:                               ;   in Loop: Header=BB3213_42 Depth=1
	v_lshlrev_b64 v[16:17], 3, v[12:13]
	v_mov_b32_e32 v19, s29
	v_add_co_u32_e32 v18, vcc, s28, v16
	v_addc_co_u32_e32 v19, vcc, v19, v17, vcc
	global_load_dwordx2 v[16:17], v[18:19], off glc
	s_waitcnt vmcnt(0)
	v_cmp_eq_u16_sdwa s[36:37], v17, v13 src0_sel:BYTE_0 src1_sel:DWORD
	s_and_saveexec_b64 s[34:35], s[36:37]
	s_cbranch_execz .LBB3213_41
; %bb.44:                               ;   in Loop: Header=BB3213_42 Depth=1
	s_mov_b32 s7, 1
	s_mov_b64 s[36:37], 0
.LBB3213_45:                            ;   Parent Loop BB3213_42 Depth=1
                                        ; =>  This Loop Header: Depth=2
                                        ;       Child Loop BB3213_46 Depth 3
	s_max_u32 s38, s7, 1
.LBB3213_46:                            ;   Parent Loop BB3213_42 Depth=1
                                        ;     Parent Loop BB3213_45 Depth=2
                                        ; =>    This Inner Loop Header: Depth=3
	s_add_i32 s38, s38, -1
	s_cmp_eq_u32 s38, 0
	s_sleep 1
	s_cbranch_scc0 .LBB3213_46
; %bb.47:                               ;   in Loop: Header=BB3213_45 Depth=2
	global_load_dwordx2 v[16:17], v[18:19], off glc
	s_cmp_lt_u32 s7, 32
	s_cselect_b64 s[38:39], -1, 0
	s_cmp_lg_u64 s[38:39], 0
	s_addc_u32 s7, s7, 0
	s_waitcnt vmcnt(0)
	v_cmp_ne_u16_sdwa s[38:39], v17, v13 src0_sel:BYTE_0 src1_sel:DWORD
	s_or_b64 s[36:37], s[38:39], s[36:37]
	s_andn2_b64 exec, exec, s[36:37]
	s_cbranch_execnz .LBB3213_45
; %bb.48:                               ;   in Loop: Header=BB3213_42 Depth=1
	s_or_b64 exec, exec, s[36:37]
	s_branch .LBB3213_41
.LBB3213_49:                            ;   in Loop: Header=BB3213_42 Depth=1
                                        ; implicit-def: $vgpr16
                                        ; implicit-def: $vgpr17
	s_cbranch_execz .LBB3213_42
; %bb.50:
	s_and_saveexec_b64 s[34:35], s[16:17]
	s_cbranch_execz .LBB3213_52
; %bb.51:
	s_add_i32 s6, s6, 64
	s_mov_b32 s7, 0
	s_lshl_b64 s[6:7], s[6:7], 3
	s_add_u32 s6, s28, s6
	v_add_u32_e32 v12, v11, v10
	v_mov_b32_e32 v13, 2
	s_addc_u32 s7, s29, s7
	v_mov_b32_e32 v14, 0
	global_store_dwordx2 v14, v[12:13], s[6:7]
	ds_write_b64 v14, v[10:11] offset:6336
.LBB3213_52:
	s_or_b64 exec, exec, s[34:35]
	v_cmp_eq_u32_e32 vcc, 0, v0
	s_and_b64 exec, exec, vcc
	s_cbranch_execz .LBB3213_54
; %bb.53:
	v_mov_b32_e32 v10, 0
	ds_write_b32 v10, v11 offset:8
.LBB3213_54:
	s_or_b64 exec, exec, s[30:31]
	v_mov_b32_e32 v10, 0
	s_waitcnt lgkmcnt(0)
	s_barrier
	ds_read_b32 v11, v10 offset:8
	v_cndmask_b32_e64 v12, v28, v27, s[16:17]
	v_cmp_ne_u32_e32 vcc, 0, v0
	v_cndmask_b32_e32 v12, 0, v12, vcc
	s_waitcnt lgkmcnt(0)
	v_add_u32_e32 v15, v11, v12
	s_barrier
	ds_read_b64 v[10:11], v10 offset:6336
	v_add_u32_sdwa v16, v15, v22 dst_sel:DWORD dst_unused:UNUSED_PAD src0_sel:DWORD src1_sel:BYTE_0
	v_add_u32_sdwa v14, v16, v22 dst_sel:DWORD dst_unused:UNUSED_PAD src0_sel:DWORD src1_sel:BYTE_1
	v_add_u32_e32 v13, v14, v23
	s_waitcnt lgkmcnt(0)
	v_mov_b32_e32 v12, v11
	s_load_dwordx2 s[4:5], s[4:5], 0x30
	s_branch .LBB3213_65
.LBB3213_55:
                                        ; implicit-def: $vgpr12
                                        ; implicit-def: $vgpr10
                                        ; implicit-def: $vgpr13
                                        ; implicit-def: $vgpr14
                                        ; implicit-def: $vgpr16
                                        ; implicit-def: $vgpr15
	s_load_dwordx2 s[4:5], s[4:5], 0x30
	s_cbranch_execz .LBB3213_65
; %bb.56:
	v_mov_b32_dpp v10, v26 row_shr:1 row_mask:0xf bank_mask:0xf
	v_cndmask_b32_e64 v10, v10, 0, s[14:15]
	v_add_u32_e32 v10, v10, v26
	s_nop 1
	v_mov_b32_dpp v11, v10 row_shr:2 row_mask:0xf bank_mask:0xf
	v_cndmask_b32_e64 v11, 0, v11, s[12:13]
	v_add_u32_e32 v10, v10, v11
	s_nop 1
	;; [unrolled: 4-line block ×4, first 2 shown]
	v_mov_b32_dpp v11, v10 row_bcast:15 row_mask:0xf bank_mask:0xf
	v_cndmask_b32_e64 v11, v11, 0, s[2:3]
	v_add_u32_e32 v10, v10, v11
	s_nop 1
	v_mov_b32_dpp v11, v10 row_bcast:31 row_mask:0xf bank_mask:0xf
	v_cndmask_b32_e64 v11, 0, v11, s[0:1]
	v_add_u32_e32 v10, v10, v11
	s_and_saveexec_b64 s[0:1], s[18:19]
	s_cbranch_execz .LBB3213_58
; %bb.57:
	v_lshlrev_b32_e32 v11, 2, v25
	ds_write_b32 v11, v10
.LBB3213_58:
	s_or_b64 exec, exec, s[0:1]
	v_cmp_gt_u32_e32 vcc, 3, v0
	s_waitcnt lgkmcnt(0)
	s_barrier
	s_and_saveexec_b64 s[0:1], vcc
	s_cbranch_execz .LBB3213_60
; %bb.59:
	ds_read_b32 v11, v20
	v_and_b32_e32 v12, 3, v24
	v_cmp_ne_u32_e32 vcc, 0, v12
	s_waitcnt lgkmcnt(0)
	v_mov_b32_dpp v13, v11 row_shr:1 row_mask:0xf bank_mask:0xf
	v_cndmask_b32_e32 v13, 0, v13, vcc
	v_add_u32_e32 v11, v13, v11
	v_cmp_lt_u32_e32 vcc, 1, v12
	s_nop 0
	v_mov_b32_dpp v13, v11 row_shr:2 row_mask:0xf bank_mask:0xf
	v_cndmask_b32_e32 v12, 0, v13, vcc
	v_add_u32_e32 v11, v11, v12
	ds_write_b32 v20, v11
.LBB3213_60:
	s_or_b64 exec, exec, s[0:1]
	v_cmp_lt_u32_e32 vcc, 63, v0
	v_mov_b32_e32 v11, 0
	v_mov_b32_e32 v12, 0
	s_waitcnt lgkmcnt(0)
	s_barrier
	s_and_saveexec_b64 s[0:1], vcc
	s_cbranch_execz .LBB3213_62
; %bb.61:
	v_lshl_add_u32 v12, v25, 2, -4
	ds_read_b32 v12, v12
.LBB3213_62:
	s_or_b64 exec, exec, s[0:1]
	v_add_u32_e32 v13, -1, v24
	v_and_b32_e32 v14, 64, v24
	v_cmp_lt_i32_e32 vcc, v13, v14
	v_cndmask_b32_e32 v13, v13, v24, vcc
	s_waitcnt lgkmcnt(0)
	v_add_u32_e32 v10, v12, v10
	v_lshlrev_b32_e32 v13, 2, v13
	ds_bpermute_b32 v13, v13, v10
	ds_read_b32 v10, v11 offset:8
	v_cmp_eq_u32_e32 vcc, 0, v0
	s_and_saveexec_b64 s[0:1], vcc
	s_cbranch_execz .LBB3213_64
; %bb.63:
	v_mov_b32_e32 v14, 0
	v_mov_b32_e32 v11, 2
	s_waitcnt lgkmcnt(0)
	global_store_dwordx2 v14, v[10:11], s[28:29] offset:512
.LBB3213_64:
	s_or_b64 exec, exec, s[0:1]
	v_cmp_eq_u32_e64 s[0:1], 0, v24
	s_waitcnt lgkmcnt(1)
	v_cndmask_b32_e64 v11, v13, v12, s[0:1]
	v_cndmask_b32_e64 v15, v11, 0, vcc
	v_add_u32_sdwa v16, v15, v22 dst_sel:DWORD dst_unused:UNUSED_PAD src0_sel:DWORD src1_sel:BYTE_0
	v_add_u32_sdwa v14, v16, v22 dst_sel:DWORD dst_unused:UNUSED_PAD src0_sel:DWORD src1_sel:BYTE_1
	v_mov_b32_e32 v12, 0
	v_add_u32_e32 v13, v14, v23
	s_waitcnt lgkmcnt(0)
	s_barrier
.LBB3213_65:
	v_add_u32_e32 v17, v10, v20
	v_sub_u32_e32 v15, v15, v12
	v_and_b32_e32 v19, 1, v22
	v_sub_u32_e32 v18, v17, v15
	v_cmp_eq_u32_e32 vcc, 1, v19
	v_cndmask_b32_e32 v15, v18, v15, vcc
	v_lshlrev_b32_e32 v15, 3, v15
	v_lshrrev_b32_e32 v11, 8, v22
	ds_write_b64 v15, v[6:7]
	v_sub_u32_e32 v6, v16, v12
	v_sub_u32_e32 v7, v17, v6
	v_and_b32_e32 v11, 1, v11
	v_add_u32_e32 v7, 1, v7
	v_cmp_eq_u32_e32 vcc, 1, v11
	v_cndmask_b32_e32 v6, v7, v6, vcc
	v_lshlrev_b32_e32 v6, 3, v6
	ds_write_b64 v6, v[8:9]
	v_sub_u32_e32 v6, v14, v12
	v_mov_b32_e32 v8, 1
	v_sub_u32_e32 v7, v17, v6
	v_and_b32_sdwa v8, v8, v22 dst_sel:DWORD dst_unused:UNUSED_PAD src0_sel:DWORD src1_sel:WORD_1
	v_add_u32_e32 v7, 2, v7
	v_cmp_eq_u32_e32 vcc, 1, v8
	v_cndmask_b32_e32 v6, v7, v6, vcc
	v_lshlrev_b32_e32 v6, 3, v6
	ds_write_b64 v6, v[2:3]
	v_sub_u32_e32 v2, v13, v12
	v_sub_u32_e32 v3, v17, v2
	v_and_b32_e32 v6, 1, v21
	v_add_u32_e32 v3, 3, v3
	v_cmp_eq_u32_e32 vcc, 1, v6
	v_cndmask_b32_e32 v2, v3, v2, vcc
	v_lshlrev_b32_e32 v2, 3, v2
	ds_write_b64 v2, v[4:5]
	s_waitcnt lgkmcnt(0)
	s_barrier
	ds_read2st64_b64 v[6:9], v1 offset1:3
	ds_read2st64_b64 v[2:5], v1 offset0:6 offset1:9
	v_add_u32_e32 v17, 0xc0, v0
	v_add_u32_e32 v16, 0x180, v0
	s_andn2_b64 vcc, exec, s[26:27]
	v_add_u32_e32 v11, 0x240, v0
	s_cbranch_vccnz .LBB3213_71
; %bb.66:
	s_lshl_b64 s[0:1], s[22:23], 3
	v_mov_b32_e32 v13, 0
	s_add_u32 s0, s4, s0
	s_addc_u32 s1, s5, s1
	v_lshlrev_b64 v[14:15], 3, v[12:13]
	v_mov_b32_e32 v13, s1
	v_add_co_u32_e32 v14, vcc, s0, v14
	v_addc_co_u32_e32 v15, vcc, v13, v15, vcc
	v_cmp_lt_u32_e32 vcc, v0, v10
	s_and_saveexec_b64 s[0:1], vcc
	s_cbranch_execnz .LBB3213_82
; %bb.67:
	s_or_b64 exec, exec, s[0:1]
	v_cmp_lt_u32_e32 vcc, v17, v10
	s_and_saveexec_b64 s[0:1], vcc
	s_cbranch_execnz .LBB3213_83
.LBB3213_68:
	s_or_b64 exec, exec, s[0:1]
	v_cmp_lt_u32_e32 vcc, v16, v10
	s_and_saveexec_b64 s[0:1], vcc
	s_cbranch_execz .LBB3213_70
.LBB3213_69:
	v_readfirstlane_b32 s2, v14
	v_readfirstlane_b32 s3, v15
	s_waitcnt lgkmcnt(0)
	s_nop 3
	global_store_dwordx2 v1, v[2:3], s[2:3] offset:3072
.LBB3213_70:
	s_or_b64 exec, exec, s[0:1]
	v_cmp_lt_u32_e64 s[0:1], v11, v10
	s_branch .LBB3213_77
.LBB3213_71:
	s_mov_b64 s[0:1], 0
                                        ; implicit-def: $vgpr14_vgpr15
	s_cbranch_execz .LBB3213_77
; %bb.72:
	s_lshl_b64 s[0:1], s[22:23], 3
	v_mov_b32_e32 v13, 0
	s_add_u32 s0, s4, s0
	s_addc_u32 s1, s5, s1
	v_lshlrev_b64 v[14:15], 3, v[12:13]
	v_mov_b32_e32 v13, s1
	v_add_co_u32_e32 v14, vcc, s0, v14
	v_min_u32_e32 v18, s33, v10
	v_addc_co_u32_e32 v15, vcc, v13, v15, vcc
	v_cmp_gt_u32_e32 vcc, v18, v0
	s_and_saveexec_b64 s[0:1], vcc
	s_cbranch_execnz .LBB3213_84
; %bb.73:
	s_or_b64 exec, exec, s[0:1]
	v_cmp_lt_u32_e32 vcc, v17, v18
	s_and_saveexec_b64 s[0:1], vcc
	s_cbranch_execnz .LBB3213_85
.LBB3213_74:
	s_or_b64 exec, exec, s[0:1]
	v_cmp_lt_u32_e32 vcc, v16, v18
	s_and_saveexec_b64 s[0:1], vcc
	s_cbranch_execz .LBB3213_76
.LBB3213_75:
	v_readfirstlane_b32 s2, v14
	v_readfirstlane_b32 s3, v15
	s_waitcnt lgkmcnt(0)
	s_nop 3
	global_store_dwordx2 v1, v[2:3], s[2:3] offset:3072
.LBB3213_76:
	s_or_b64 exec, exec, s[0:1]
	v_cmp_lt_u32_e64 s[0:1], v11, v18
.LBB3213_77:
	s_and_saveexec_b64 s[2:3], s[0:1]
	s_cbranch_execz .LBB3213_79
; %bb.78:
	v_lshlrev_b32_e32 v1, 3, v11
	v_readfirstlane_b32 s0, v14
	v_readfirstlane_b32 s1, v15
	s_waitcnt lgkmcnt(0)
	s_nop 3
	global_store_dwordx2 v1, v[4:5], s[0:1]
.LBB3213_79:
	s_or_b64 exec, exec, s[2:3]
	v_cmp_eq_u32_e32 vcc, 0, v0
	s_and_b64 s[0:1], vcc, s[24:25]
	s_and_saveexec_b64 s[2:3], s[0:1]
	s_cbranch_execz .LBB3213_81
; %bb.80:
	v_mov_b32_e32 v0, s23
	v_add_co_u32_e32 v1, vcc, s22, v10
	s_waitcnt lgkmcnt(0)
	v_addc_co_u32_e32 v3, vcc, 0, v0, vcc
	v_add_co_u32_e32 v0, vcc, v1, v12
	v_mov_b32_e32 v2, 0
	v_addc_co_u32_e32 v1, vcc, 0, v3, vcc
	global_store_dwordx2 v2, v[0:1], s[20:21]
.LBB3213_81:
	s_endpgm
.LBB3213_82:
	v_readfirstlane_b32 s2, v14
	v_readfirstlane_b32 s3, v15
	s_waitcnt lgkmcnt(1)
	s_nop 3
	global_store_dwordx2 v1, v[6:7], s[2:3]
	s_or_b64 exec, exec, s[0:1]
	v_cmp_lt_u32_e32 vcc, v17, v10
	s_and_saveexec_b64 s[0:1], vcc
	s_cbranch_execz .LBB3213_68
.LBB3213_83:
	v_readfirstlane_b32 s2, v14
	v_readfirstlane_b32 s3, v15
	s_waitcnt lgkmcnt(1)
	s_nop 3
	global_store_dwordx2 v1, v[8:9], s[2:3] offset:1536
	s_or_b64 exec, exec, s[0:1]
	v_cmp_lt_u32_e32 vcc, v16, v10
	s_and_saveexec_b64 s[0:1], vcc
	s_cbranch_execnz .LBB3213_69
	s_branch .LBB3213_70
.LBB3213_84:
	v_readfirstlane_b32 s2, v14
	v_readfirstlane_b32 s3, v15
	s_waitcnt lgkmcnt(1)
	s_nop 3
	global_store_dwordx2 v1, v[6:7], s[2:3]
	s_or_b64 exec, exec, s[0:1]
	v_cmp_lt_u32_e32 vcc, v17, v18
	s_and_saveexec_b64 s[0:1], vcc
	s_cbranch_execz .LBB3213_74
.LBB3213_85:
	v_readfirstlane_b32 s2, v14
	v_readfirstlane_b32 s3, v15
	s_waitcnt lgkmcnt(1)
	s_nop 3
	global_store_dwordx2 v1, v[8:9], s[2:3] offset:1536
	s_or_b64 exec, exec, s[0:1]
	v_cmp_lt_u32_e32 vcc, v16, v18
	s_and_saveexec_b64 s[0:1], vcc
	s_cbranch_execnz .LBB3213_75
	s_branch .LBB3213_76
	.section	.rodata,"a",@progbits
	.p2align	6, 0x0
	.amdhsa_kernel _ZN7rocprim17ROCPRIM_400000_NS6detail17trampoline_kernelINS0_14default_configENS1_25partition_config_selectorILNS1_17partition_subalgoE1ExNS0_10empty_typeEbEEZZNS1_14partition_implILS5_1ELb0ES3_jN6thrust23THRUST_200600_302600_NS6detail15normal_iteratorINSA_10device_ptrIxEEEEPS6_NSA_18transform_iteratorI7is_evenIxESF_NSA_11use_defaultESK_EENS0_5tupleIJSF_NSA_16discard_iteratorISK_EEEEENSM_IJSG_SG_EEES6_PlJS6_EEE10hipError_tPvRmT3_T4_T5_T6_T7_T9_mT8_P12ihipStream_tbDpT10_ENKUlT_T0_E_clISt17integral_constantIbLb1EES1A_IbLb0EEEEDaS16_S17_EUlS16_E_NS1_11comp_targetILNS1_3genE4ELNS1_11target_archE910ELNS1_3gpuE8ELNS1_3repE0EEENS1_30default_config_static_selectorELNS0_4arch9wavefront6targetE1EEEvT1_
		.amdhsa_group_segment_fixed_size 6344
		.amdhsa_private_segment_fixed_size 0
		.amdhsa_kernarg_size 136
		.amdhsa_user_sgpr_count 6
		.amdhsa_user_sgpr_private_segment_buffer 1
		.amdhsa_user_sgpr_dispatch_ptr 0
		.amdhsa_user_sgpr_queue_ptr 0
		.amdhsa_user_sgpr_kernarg_segment_ptr 1
		.amdhsa_user_sgpr_dispatch_id 0
		.amdhsa_user_sgpr_flat_scratch_init 0
		.amdhsa_user_sgpr_kernarg_preload_length 0
		.amdhsa_user_sgpr_kernarg_preload_offset 0
		.amdhsa_user_sgpr_private_segment_size 0
		.amdhsa_uses_dynamic_stack 0
		.amdhsa_system_sgpr_private_segment_wavefront_offset 0
		.amdhsa_system_sgpr_workgroup_id_x 1
		.amdhsa_system_sgpr_workgroup_id_y 0
		.amdhsa_system_sgpr_workgroup_id_z 0
		.amdhsa_system_sgpr_workgroup_info 0
		.amdhsa_system_vgpr_workitem_id 0
		.amdhsa_next_free_vgpr 43
		.amdhsa_next_free_sgpr 40
		.amdhsa_accum_offset 44
		.amdhsa_reserve_vcc 1
		.amdhsa_reserve_flat_scratch 0
		.amdhsa_float_round_mode_32 0
		.amdhsa_float_round_mode_16_64 0
		.amdhsa_float_denorm_mode_32 3
		.amdhsa_float_denorm_mode_16_64 3
		.amdhsa_dx10_clamp 1
		.amdhsa_ieee_mode 1
		.amdhsa_fp16_overflow 0
		.amdhsa_tg_split 0
		.amdhsa_exception_fp_ieee_invalid_op 0
		.amdhsa_exception_fp_denorm_src 0
		.amdhsa_exception_fp_ieee_div_zero 0
		.amdhsa_exception_fp_ieee_overflow 0
		.amdhsa_exception_fp_ieee_underflow 0
		.amdhsa_exception_fp_ieee_inexact 0
		.amdhsa_exception_int_div_zero 0
	.end_amdhsa_kernel
	.section	.text._ZN7rocprim17ROCPRIM_400000_NS6detail17trampoline_kernelINS0_14default_configENS1_25partition_config_selectorILNS1_17partition_subalgoE1ExNS0_10empty_typeEbEEZZNS1_14partition_implILS5_1ELb0ES3_jN6thrust23THRUST_200600_302600_NS6detail15normal_iteratorINSA_10device_ptrIxEEEEPS6_NSA_18transform_iteratorI7is_evenIxESF_NSA_11use_defaultESK_EENS0_5tupleIJSF_NSA_16discard_iteratorISK_EEEEENSM_IJSG_SG_EEES6_PlJS6_EEE10hipError_tPvRmT3_T4_T5_T6_T7_T9_mT8_P12ihipStream_tbDpT10_ENKUlT_T0_E_clISt17integral_constantIbLb1EES1A_IbLb0EEEEDaS16_S17_EUlS16_E_NS1_11comp_targetILNS1_3genE4ELNS1_11target_archE910ELNS1_3gpuE8ELNS1_3repE0EEENS1_30default_config_static_selectorELNS0_4arch9wavefront6targetE1EEEvT1_,"axG",@progbits,_ZN7rocprim17ROCPRIM_400000_NS6detail17trampoline_kernelINS0_14default_configENS1_25partition_config_selectorILNS1_17partition_subalgoE1ExNS0_10empty_typeEbEEZZNS1_14partition_implILS5_1ELb0ES3_jN6thrust23THRUST_200600_302600_NS6detail15normal_iteratorINSA_10device_ptrIxEEEEPS6_NSA_18transform_iteratorI7is_evenIxESF_NSA_11use_defaultESK_EENS0_5tupleIJSF_NSA_16discard_iteratorISK_EEEEENSM_IJSG_SG_EEES6_PlJS6_EEE10hipError_tPvRmT3_T4_T5_T6_T7_T9_mT8_P12ihipStream_tbDpT10_ENKUlT_T0_E_clISt17integral_constantIbLb1EES1A_IbLb0EEEEDaS16_S17_EUlS16_E_NS1_11comp_targetILNS1_3genE4ELNS1_11target_archE910ELNS1_3gpuE8ELNS1_3repE0EEENS1_30default_config_static_selectorELNS0_4arch9wavefront6targetE1EEEvT1_,comdat
.Lfunc_end3213:
	.size	_ZN7rocprim17ROCPRIM_400000_NS6detail17trampoline_kernelINS0_14default_configENS1_25partition_config_selectorILNS1_17partition_subalgoE1ExNS0_10empty_typeEbEEZZNS1_14partition_implILS5_1ELb0ES3_jN6thrust23THRUST_200600_302600_NS6detail15normal_iteratorINSA_10device_ptrIxEEEEPS6_NSA_18transform_iteratorI7is_evenIxESF_NSA_11use_defaultESK_EENS0_5tupleIJSF_NSA_16discard_iteratorISK_EEEEENSM_IJSG_SG_EEES6_PlJS6_EEE10hipError_tPvRmT3_T4_T5_T6_T7_T9_mT8_P12ihipStream_tbDpT10_ENKUlT_T0_E_clISt17integral_constantIbLb1EES1A_IbLb0EEEEDaS16_S17_EUlS16_E_NS1_11comp_targetILNS1_3genE4ELNS1_11target_archE910ELNS1_3gpuE8ELNS1_3repE0EEENS1_30default_config_static_selectorELNS0_4arch9wavefront6targetE1EEEvT1_, .Lfunc_end3213-_ZN7rocprim17ROCPRIM_400000_NS6detail17trampoline_kernelINS0_14default_configENS1_25partition_config_selectorILNS1_17partition_subalgoE1ExNS0_10empty_typeEbEEZZNS1_14partition_implILS5_1ELb0ES3_jN6thrust23THRUST_200600_302600_NS6detail15normal_iteratorINSA_10device_ptrIxEEEEPS6_NSA_18transform_iteratorI7is_evenIxESF_NSA_11use_defaultESK_EENS0_5tupleIJSF_NSA_16discard_iteratorISK_EEEEENSM_IJSG_SG_EEES6_PlJS6_EEE10hipError_tPvRmT3_T4_T5_T6_T7_T9_mT8_P12ihipStream_tbDpT10_ENKUlT_T0_E_clISt17integral_constantIbLb1EES1A_IbLb0EEEEDaS16_S17_EUlS16_E_NS1_11comp_targetILNS1_3genE4ELNS1_11target_archE910ELNS1_3gpuE8ELNS1_3repE0EEENS1_30default_config_static_selectorELNS0_4arch9wavefront6targetE1EEEvT1_
                                        ; -- End function
	.section	.AMDGPU.csdata,"",@progbits
; Kernel info:
; codeLenInByte = 4052
; NumSgprs: 44
; NumVgprs: 43
; NumAgprs: 0
; TotalNumVgprs: 43
; ScratchSize: 0
; MemoryBound: 0
; FloatMode: 240
; IeeeMode: 1
; LDSByteSize: 6344 bytes/workgroup (compile time only)
; SGPRBlocks: 5
; VGPRBlocks: 5
; NumSGPRsForWavesPerEU: 44
; NumVGPRsForWavesPerEU: 43
; AccumOffset: 44
; Occupancy: 8
; WaveLimiterHint : 1
; COMPUTE_PGM_RSRC2:SCRATCH_EN: 0
; COMPUTE_PGM_RSRC2:USER_SGPR: 6
; COMPUTE_PGM_RSRC2:TRAP_HANDLER: 0
; COMPUTE_PGM_RSRC2:TGID_X_EN: 1
; COMPUTE_PGM_RSRC2:TGID_Y_EN: 0
; COMPUTE_PGM_RSRC2:TGID_Z_EN: 0
; COMPUTE_PGM_RSRC2:TIDIG_COMP_CNT: 0
; COMPUTE_PGM_RSRC3_GFX90A:ACCUM_OFFSET: 10
; COMPUTE_PGM_RSRC3_GFX90A:TG_SPLIT: 0
	.section	.text._ZN7rocprim17ROCPRIM_400000_NS6detail17trampoline_kernelINS0_14default_configENS1_25partition_config_selectorILNS1_17partition_subalgoE1ExNS0_10empty_typeEbEEZZNS1_14partition_implILS5_1ELb0ES3_jN6thrust23THRUST_200600_302600_NS6detail15normal_iteratorINSA_10device_ptrIxEEEEPS6_NSA_18transform_iteratorI7is_evenIxESF_NSA_11use_defaultESK_EENS0_5tupleIJSF_NSA_16discard_iteratorISK_EEEEENSM_IJSG_SG_EEES6_PlJS6_EEE10hipError_tPvRmT3_T4_T5_T6_T7_T9_mT8_P12ihipStream_tbDpT10_ENKUlT_T0_E_clISt17integral_constantIbLb1EES1A_IbLb0EEEEDaS16_S17_EUlS16_E_NS1_11comp_targetILNS1_3genE3ELNS1_11target_archE908ELNS1_3gpuE7ELNS1_3repE0EEENS1_30default_config_static_selectorELNS0_4arch9wavefront6targetE1EEEvT1_,"axG",@progbits,_ZN7rocprim17ROCPRIM_400000_NS6detail17trampoline_kernelINS0_14default_configENS1_25partition_config_selectorILNS1_17partition_subalgoE1ExNS0_10empty_typeEbEEZZNS1_14partition_implILS5_1ELb0ES3_jN6thrust23THRUST_200600_302600_NS6detail15normal_iteratorINSA_10device_ptrIxEEEEPS6_NSA_18transform_iteratorI7is_evenIxESF_NSA_11use_defaultESK_EENS0_5tupleIJSF_NSA_16discard_iteratorISK_EEEEENSM_IJSG_SG_EEES6_PlJS6_EEE10hipError_tPvRmT3_T4_T5_T6_T7_T9_mT8_P12ihipStream_tbDpT10_ENKUlT_T0_E_clISt17integral_constantIbLb1EES1A_IbLb0EEEEDaS16_S17_EUlS16_E_NS1_11comp_targetILNS1_3genE3ELNS1_11target_archE908ELNS1_3gpuE7ELNS1_3repE0EEENS1_30default_config_static_selectorELNS0_4arch9wavefront6targetE1EEEvT1_,comdat
	.protected	_ZN7rocprim17ROCPRIM_400000_NS6detail17trampoline_kernelINS0_14default_configENS1_25partition_config_selectorILNS1_17partition_subalgoE1ExNS0_10empty_typeEbEEZZNS1_14partition_implILS5_1ELb0ES3_jN6thrust23THRUST_200600_302600_NS6detail15normal_iteratorINSA_10device_ptrIxEEEEPS6_NSA_18transform_iteratorI7is_evenIxESF_NSA_11use_defaultESK_EENS0_5tupleIJSF_NSA_16discard_iteratorISK_EEEEENSM_IJSG_SG_EEES6_PlJS6_EEE10hipError_tPvRmT3_T4_T5_T6_T7_T9_mT8_P12ihipStream_tbDpT10_ENKUlT_T0_E_clISt17integral_constantIbLb1EES1A_IbLb0EEEEDaS16_S17_EUlS16_E_NS1_11comp_targetILNS1_3genE3ELNS1_11target_archE908ELNS1_3gpuE7ELNS1_3repE0EEENS1_30default_config_static_selectorELNS0_4arch9wavefront6targetE1EEEvT1_ ; -- Begin function _ZN7rocprim17ROCPRIM_400000_NS6detail17trampoline_kernelINS0_14default_configENS1_25partition_config_selectorILNS1_17partition_subalgoE1ExNS0_10empty_typeEbEEZZNS1_14partition_implILS5_1ELb0ES3_jN6thrust23THRUST_200600_302600_NS6detail15normal_iteratorINSA_10device_ptrIxEEEEPS6_NSA_18transform_iteratorI7is_evenIxESF_NSA_11use_defaultESK_EENS0_5tupleIJSF_NSA_16discard_iteratorISK_EEEEENSM_IJSG_SG_EEES6_PlJS6_EEE10hipError_tPvRmT3_T4_T5_T6_T7_T9_mT8_P12ihipStream_tbDpT10_ENKUlT_T0_E_clISt17integral_constantIbLb1EES1A_IbLb0EEEEDaS16_S17_EUlS16_E_NS1_11comp_targetILNS1_3genE3ELNS1_11target_archE908ELNS1_3gpuE7ELNS1_3repE0EEENS1_30default_config_static_selectorELNS0_4arch9wavefront6targetE1EEEvT1_
	.globl	_ZN7rocprim17ROCPRIM_400000_NS6detail17trampoline_kernelINS0_14default_configENS1_25partition_config_selectorILNS1_17partition_subalgoE1ExNS0_10empty_typeEbEEZZNS1_14partition_implILS5_1ELb0ES3_jN6thrust23THRUST_200600_302600_NS6detail15normal_iteratorINSA_10device_ptrIxEEEEPS6_NSA_18transform_iteratorI7is_evenIxESF_NSA_11use_defaultESK_EENS0_5tupleIJSF_NSA_16discard_iteratorISK_EEEEENSM_IJSG_SG_EEES6_PlJS6_EEE10hipError_tPvRmT3_T4_T5_T6_T7_T9_mT8_P12ihipStream_tbDpT10_ENKUlT_T0_E_clISt17integral_constantIbLb1EES1A_IbLb0EEEEDaS16_S17_EUlS16_E_NS1_11comp_targetILNS1_3genE3ELNS1_11target_archE908ELNS1_3gpuE7ELNS1_3repE0EEENS1_30default_config_static_selectorELNS0_4arch9wavefront6targetE1EEEvT1_
	.p2align	8
	.type	_ZN7rocprim17ROCPRIM_400000_NS6detail17trampoline_kernelINS0_14default_configENS1_25partition_config_selectorILNS1_17partition_subalgoE1ExNS0_10empty_typeEbEEZZNS1_14partition_implILS5_1ELb0ES3_jN6thrust23THRUST_200600_302600_NS6detail15normal_iteratorINSA_10device_ptrIxEEEEPS6_NSA_18transform_iteratorI7is_evenIxESF_NSA_11use_defaultESK_EENS0_5tupleIJSF_NSA_16discard_iteratorISK_EEEEENSM_IJSG_SG_EEES6_PlJS6_EEE10hipError_tPvRmT3_T4_T5_T6_T7_T9_mT8_P12ihipStream_tbDpT10_ENKUlT_T0_E_clISt17integral_constantIbLb1EES1A_IbLb0EEEEDaS16_S17_EUlS16_E_NS1_11comp_targetILNS1_3genE3ELNS1_11target_archE908ELNS1_3gpuE7ELNS1_3repE0EEENS1_30default_config_static_selectorELNS0_4arch9wavefront6targetE1EEEvT1_,@function
_ZN7rocprim17ROCPRIM_400000_NS6detail17trampoline_kernelINS0_14default_configENS1_25partition_config_selectorILNS1_17partition_subalgoE1ExNS0_10empty_typeEbEEZZNS1_14partition_implILS5_1ELb0ES3_jN6thrust23THRUST_200600_302600_NS6detail15normal_iteratorINSA_10device_ptrIxEEEEPS6_NSA_18transform_iteratorI7is_evenIxESF_NSA_11use_defaultESK_EENS0_5tupleIJSF_NSA_16discard_iteratorISK_EEEEENSM_IJSG_SG_EEES6_PlJS6_EEE10hipError_tPvRmT3_T4_T5_T6_T7_T9_mT8_P12ihipStream_tbDpT10_ENKUlT_T0_E_clISt17integral_constantIbLb1EES1A_IbLb0EEEEDaS16_S17_EUlS16_E_NS1_11comp_targetILNS1_3genE3ELNS1_11target_archE908ELNS1_3gpuE7ELNS1_3repE0EEENS1_30default_config_static_selectorELNS0_4arch9wavefront6targetE1EEEvT1_: ; @_ZN7rocprim17ROCPRIM_400000_NS6detail17trampoline_kernelINS0_14default_configENS1_25partition_config_selectorILNS1_17partition_subalgoE1ExNS0_10empty_typeEbEEZZNS1_14partition_implILS5_1ELb0ES3_jN6thrust23THRUST_200600_302600_NS6detail15normal_iteratorINSA_10device_ptrIxEEEEPS6_NSA_18transform_iteratorI7is_evenIxESF_NSA_11use_defaultESK_EENS0_5tupleIJSF_NSA_16discard_iteratorISK_EEEEENSM_IJSG_SG_EEES6_PlJS6_EEE10hipError_tPvRmT3_T4_T5_T6_T7_T9_mT8_P12ihipStream_tbDpT10_ENKUlT_T0_E_clISt17integral_constantIbLb1EES1A_IbLb0EEEEDaS16_S17_EUlS16_E_NS1_11comp_targetILNS1_3genE3ELNS1_11target_archE908ELNS1_3gpuE7ELNS1_3repE0EEENS1_30default_config_static_selectorELNS0_4arch9wavefront6targetE1EEEvT1_
; %bb.0:
	.section	.rodata,"a",@progbits
	.p2align	6, 0x0
	.amdhsa_kernel _ZN7rocprim17ROCPRIM_400000_NS6detail17trampoline_kernelINS0_14default_configENS1_25partition_config_selectorILNS1_17partition_subalgoE1ExNS0_10empty_typeEbEEZZNS1_14partition_implILS5_1ELb0ES3_jN6thrust23THRUST_200600_302600_NS6detail15normal_iteratorINSA_10device_ptrIxEEEEPS6_NSA_18transform_iteratorI7is_evenIxESF_NSA_11use_defaultESK_EENS0_5tupleIJSF_NSA_16discard_iteratorISK_EEEEENSM_IJSG_SG_EEES6_PlJS6_EEE10hipError_tPvRmT3_T4_T5_T6_T7_T9_mT8_P12ihipStream_tbDpT10_ENKUlT_T0_E_clISt17integral_constantIbLb1EES1A_IbLb0EEEEDaS16_S17_EUlS16_E_NS1_11comp_targetILNS1_3genE3ELNS1_11target_archE908ELNS1_3gpuE7ELNS1_3repE0EEENS1_30default_config_static_selectorELNS0_4arch9wavefront6targetE1EEEvT1_
		.amdhsa_group_segment_fixed_size 0
		.amdhsa_private_segment_fixed_size 0
		.amdhsa_kernarg_size 136
		.amdhsa_user_sgpr_count 6
		.amdhsa_user_sgpr_private_segment_buffer 1
		.amdhsa_user_sgpr_dispatch_ptr 0
		.amdhsa_user_sgpr_queue_ptr 0
		.amdhsa_user_sgpr_kernarg_segment_ptr 1
		.amdhsa_user_sgpr_dispatch_id 0
		.amdhsa_user_sgpr_flat_scratch_init 0
		.amdhsa_user_sgpr_kernarg_preload_length 0
		.amdhsa_user_sgpr_kernarg_preload_offset 0
		.amdhsa_user_sgpr_private_segment_size 0
		.amdhsa_uses_dynamic_stack 0
		.amdhsa_system_sgpr_private_segment_wavefront_offset 0
		.amdhsa_system_sgpr_workgroup_id_x 1
		.amdhsa_system_sgpr_workgroup_id_y 0
		.amdhsa_system_sgpr_workgroup_id_z 0
		.amdhsa_system_sgpr_workgroup_info 0
		.amdhsa_system_vgpr_workitem_id 0
		.amdhsa_next_free_vgpr 1
		.amdhsa_next_free_sgpr 0
		.amdhsa_accum_offset 4
		.amdhsa_reserve_vcc 0
		.amdhsa_reserve_flat_scratch 0
		.amdhsa_float_round_mode_32 0
		.amdhsa_float_round_mode_16_64 0
		.amdhsa_float_denorm_mode_32 3
		.amdhsa_float_denorm_mode_16_64 3
		.amdhsa_dx10_clamp 1
		.amdhsa_ieee_mode 1
		.amdhsa_fp16_overflow 0
		.amdhsa_tg_split 0
		.amdhsa_exception_fp_ieee_invalid_op 0
		.amdhsa_exception_fp_denorm_src 0
		.amdhsa_exception_fp_ieee_div_zero 0
		.amdhsa_exception_fp_ieee_overflow 0
		.amdhsa_exception_fp_ieee_underflow 0
		.amdhsa_exception_fp_ieee_inexact 0
		.amdhsa_exception_int_div_zero 0
	.end_amdhsa_kernel
	.section	.text._ZN7rocprim17ROCPRIM_400000_NS6detail17trampoline_kernelINS0_14default_configENS1_25partition_config_selectorILNS1_17partition_subalgoE1ExNS0_10empty_typeEbEEZZNS1_14partition_implILS5_1ELb0ES3_jN6thrust23THRUST_200600_302600_NS6detail15normal_iteratorINSA_10device_ptrIxEEEEPS6_NSA_18transform_iteratorI7is_evenIxESF_NSA_11use_defaultESK_EENS0_5tupleIJSF_NSA_16discard_iteratorISK_EEEEENSM_IJSG_SG_EEES6_PlJS6_EEE10hipError_tPvRmT3_T4_T5_T6_T7_T9_mT8_P12ihipStream_tbDpT10_ENKUlT_T0_E_clISt17integral_constantIbLb1EES1A_IbLb0EEEEDaS16_S17_EUlS16_E_NS1_11comp_targetILNS1_3genE3ELNS1_11target_archE908ELNS1_3gpuE7ELNS1_3repE0EEENS1_30default_config_static_selectorELNS0_4arch9wavefront6targetE1EEEvT1_,"axG",@progbits,_ZN7rocprim17ROCPRIM_400000_NS6detail17trampoline_kernelINS0_14default_configENS1_25partition_config_selectorILNS1_17partition_subalgoE1ExNS0_10empty_typeEbEEZZNS1_14partition_implILS5_1ELb0ES3_jN6thrust23THRUST_200600_302600_NS6detail15normal_iteratorINSA_10device_ptrIxEEEEPS6_NSA_18transform_iteratorI7is_evenIxESF_NSA_11use_defaultESK_EENS0_5tupleIJSF_NSA_16discard_iteratorISK_EEEEENSM_IJSG_SG_EEES6_PlJS6_EEE10hipError_tPvRmT3_T4_T5_T6_T7_T9_mT8_P12ihipStream_tbDpT10_ENKUlT_T0_E_clISt17integral_constantIbLb1EES1A_IbLb0EEEEDaS16_S17_EUlS16_E_NS1_11comp_targetILNS1_3genE3ELNS1_11target_archE908ELNS1_3gpuE7ELNS1_3repE0EEENS1_30default_config_static_selectorELNS0_4arch9wavefront6targetE1EEEvT1_,comdat
.Lfunc_end3214:
	.size	_ZN7rocprim17ROCPRIM_400000_NS6detail17trampoline_kernelINS0_14default_configENS1_25partition_config_selectorILNS1_17partition_subalgoE1ExNS0_10empty_typeEbEEZZNS1_14partition_implILS5_1ELb0ES3_jN6thrust23THRUST_200600_302600_NS6detail15normal_iteratorINSA_10device_ptrIxEEEEPS6_NSA_18transform_iteratorI7is_evenIxESF_NSA_11use_defaultESK_EENS0_5tupleIJSF_NSA_16discard_iteratorISK_EEEEENSM_IJSG_SG_EEES6_PlJS6_EEE10hipError_tPvRmT3_T4_T5_T6_T7_T9_mT8_P12ihipStream_tbDpT10_ENKUlT_T0_E_clISt17integral_constantIbLb1EES1A_IbLb0EEEEDaS16_S17_EUlS16_E_NS1_11comp_targetILNS1_3genE3ELNS1_11target_archE908ELNS1_3gpuE7ELNS1_3repE0EEENS1_30default_config_static_selectorELNS0_4arch9wavefront6targetE1EEEvT1_, .Lfunc_end3214-_ZN7rocprim17ROCPRIM_400000_NS6detail17trampoline_kernelINS0_14default_configENS1_25partition_config_selectorILNS1_17partition_subalgoE1ExNS0_10empty_typeEbEEZZNS1_14partition_implILS5_1ELb0ES3_jN6thrust23THRUST_200600_302600_NS6detail15normal_iteratorINSA_10device_ptrIxEEEEPS6_NSA_18transform_iteratorI7is_evenIxESF_NSA_11use_defaultESK_EENS0_5tupleIJSF_NSA_16discard_iteratorISK_EEEEENSM_IJSG_SG_EEES6_PlJS6_EEE10hipError_tPvRmT3_T4_T5_T6_T7_T9_mT8_P12ihipStream_tbDpT10_ENKUlT_T0_E_clISt17integral_constantIbLb1EES1A_IbLb0EEEEDaS16_S17_EUlS16_E_NS1_11comp_targetILNS1_3genE3ELNS1_11target_archE908ELNS1_3gpuE7ELNS1_3repE0EEENS1_30default_config_static_selectorELNS0_4arch9wavefront6targetE1EEEvT1_
                                        ; -- End function
	.section	.AMDGPU.csdata,"",@progbits
; Kernel info:
; codeLenInByte = 0
; NumSgprs: 4
; NumVgprs: 0
; NumAgprs: 0
; TotalNumVgprs: 0
; ScratchSize: 0
; MemoryBound: 0
; FloatMode: 240
; IeeeMode: 1
; LDSByteSize: 0 bytes/workgroup (compile time only)
; SGPRBlocks: 0
; VGPRBlocks: 0
; NumSGPRsForWavesPerEU: 4
; NumVGPRsForWavesPerEU: 1
; AccumOffset: 4
; Occupancy: 8
; WaveLimiterHint : 0
; COMPUTE_PGM_RSRC2:SCRATCH_EN: 0
; COMPUTE_PGM_RSRC2:USER_SGPR: 6
; COMPUTE_PGM_RSRC2:TRAP_HANDLER: 0
; COMPUTE_PGM_RSRC2:TGID_X_EN: 1
; COMPUTE_PGM_RSRC2:TGID_Y_EN: 0
; COMPUTE_PGM_RSRC2:TGID_Z_EN: 0
; COMPUTE_PGM_RSRC2:TIDIG_COMP_CNT: 0
; COMPUTE_PGM_RSRC3_GFX90A:ACCUM_OFFSET: 0
; COMPUTE_PGM_RSRC3_GFX90A:TG_SPLIT: 0
	.section	.text._ZN7rocprim17ROCPRIM_400000_NS6detail17trampoline_kernelINS0_14default_configENS1_25partition_config_selectorILNS1_17partition_subalgoE1ExNS0_10empty_typeEbEEZZNS1_14partition_implILS5_1ELb0ES3_jN6thrust23THRUST_200600_302600_NS6detail15normal_iteratorINSA_10device_ptrIxEEEEPS6_NSA_18transform_iteratorI7is_evenIxESF_NSA_11use_defaultESK_EENS0_5tupleIJSF_NSA_16discard_iteratorISK_EEEEENSM_IJSG_SG_EEES6_PlJS6_EEE10hipError_tPvRmT3_T4_T5_T6_T7_T9_mT8_P12ihipStream_tbDpT10_ENKUlT_T0_E_clISt17integral_constantIbLb1EES1A_IbLb0EEEEDaS16_S17_EUlS16_E_NS1_11comp_targetILNS1_3genE2ELNS1_11target_archE906ELNS1_3gpuE6ELNS1_3repE0EEENS1_30default_config_static_selectorELNS0_4arch9wavefront6targetE1EEEvT1_,"axG",@progbits,_ZN7rocprim17ROCPRIM_400000_NS6detail17trampoline_kernelINS0_14default_configENS1_25partition_config_selectorILNS1_17partition_subalgoE1ExNS0_10empty_typeEbEEZZNS1_14partition_implILS5_1ELb0ES3_jN6thrust23THRUST_200600_302600_NS6detail15normal_iteratorINSA_10device_ptrIxEEEEPS6_NSA_18transform_iteratorI7is_evenIxESF_NSA_11use_defaultESK_EENS0_5tupleIJSF_NSA_16discard_iteratorISK_EEEEENSM_IJSG_SG_EEES6_PlJS6_EEE10hipError_tPvRmT3_T4_T5_T6_T7_T9_mT8_P12ihipStream_tbDpT10_ENKUlT_T0_E_clISt17integral_constantIbLb1EES1A_IbLb0EEEEDaS16_S17_EUlS16_E_NS1_11comp_targetILNS1_3genE2ELNS1_11target_archE906ELNS1_3gpuE6ELNS1_3repE0EEENS1_30default_config_static_selectorELNS0_4arch9wavefront6targetE1EEEvT1_,comdat
	.protected	_ZN7rocprim17ROCPRIM_400000_NS6detail17trampoline_kernelINS0_14default_configENS1_25partition_config_selectorILNS1_17partition_subalgoE1ExNS0_10empty_typeEbEEZZNS1_14partition_implILS5_1ELb0ES3_jN6thrust23THRUST_200600_302600_NS6detail15normal_iteratorINSA_10device_ptrIxEEEEPS6_NSA_18transform_iteratorI7is_evenIxESF_NSA_11use_defaultESK_EENS0_5tupleIJSF_NSA_16discard_iteratorISK_EEEEENSM_IJSG_SG_EEES6_PlJS6_EEE10hipError_tPvRmT3_T4_T5_T6_T7_T9_mT8_P12ihipStream_tbDpT10_ENKUlT_T0_E_clISt17integral_constantIbLb1EES1A_IbLb0EEEEDaS16_S17_EUlS16_E_NS1_11comp_targetILNS1_3genE2ELNS1_11target_archE906ELNS1_3gpuE6ELNS1_3repE0EEENS1_30default_config_static_selectorELNS0_4arch9wavefront6targetE1EEEvT1_ ; -- Begin function _ZN7rocprim17ROCPRIM_400000_NS6detail17trampoline_kernelINS0_14default_configENS1_25partition_config_selectorILNS1_17partition_subalgoE1ExNS0_10empty_typeEbEEZZNS1_14partition_implILS5_1ELb0ES3_jN6thrust23THRUST_200600_302600_NS6detail15normal_iteratorINSA_10device_ptrIxEEEEPS6_NSA_18transform_iteratorI7is_evenIxESF_NSA_11use_defaultESK_EENS0_5tupleIJSF_NSA_16discard_iteratorISK_EEEEENSM_IJSG_SG_EEES6_PlJS6_EEE10hipError_tPvRmT3_T4_T5_T6_T7_T9_mT8_P12ihipStream_tbDpT10_ENKUlT_T0_E_clISt17integral_constantIbLb1EES1A_IbLb0EEEEDaS16_S17_EUlS16_E_NS1_11comp_targetILNS1_3genE2ELNS1_11target_archE906ELNS1_3gpuE6ELNS1_3repE0EEENS1_30default_config_static_selectorELNS0_4arch9wavefront6targetE1EEEvT1_
	.globl	_ZN7rocprim17ROCPRIM_400000_NS6detail17trampoline_kernelINS0_14default_configENS1_25partition_config_selectorILNS1_17partition_subalgoE1ExNS0_10empty_typeEbEEZZNS1_14partition_implILS5_1ELb0ES3_jN6thrust23THRUST_200600_302600_NS6detail15normal_iteratorINSA_10device_ptrIxEEEEPS6_NSA_18transform_iteratorI7is_evenIxESF_NSA_11use_defaultESK_EENS0_5tupleIJSF_NSA_16discard_iteratorISK_EEEEENSM_IJSG_SG_EEES6_PlJS6_EEE10hipError_tPvRmT3_T4_T5_T6_T7_T9_mT8_P12ihipStream_tbDpT10_ENKUlT_T0_E_clISt17integral_constantIbLb1EES1A_IbLb0EEEEDaS16_S17_EUlS16_E_NS1_11comp_targetILNS1_3genE2ELNS1_11target_archE906ELNS1_3gpuE6ELNS1_3repE0EEENS1_30default_config_static_selectorELNS0_4arch9wavefront6targetE1EEEvT1_
	.p2align	8
	.type	_ZN7rocprim17ROCPRIM_400000_NS6detail17trampoline_kernelINS0_14default_configENS1_25partition_config_selectorILNS1_17partition_subalgoE1ExNS0_10empty_typeEbEEZZNS1_14partition_implILS5_1ELb0ES3_jN6thrust23THRUST_200600_302600_NS6detail15normal_iteratorINSA_10device_ptrIxEEEEPS6_NSA_18transform_iteratorI7is_evenIxESF_NSA_11use_defaultESK_EENS0_5tupleIJSF_NSA_16discard_iteratorISK_EEEEENSM_IJSG_SG_EEES6_PlJS6_EEE10hipError_tPvRmT3_T4_T5_T6_T7_T9_mT8_P12ihipStream_tbDpT10_ENKUlT_T0_E_clISt17integral_constantIbLb1EES1A_IbLb0EEEEDaS16_S17_EUlS16_E_NS1_11comp_targetILNS1_3genE2ELNS1_11target_archE906ELNS1_3gpuE6ELNS1_3repE0EEENS1_30default_config_static_selectorELNS0_4arch9wavefront6targetE1EEEvT1_,@function
_ZN7rocprim17ROCPRIM_400000_NS6detail17trampoline_kernelINS0_14default_configENS1_25partition_config_selectorILNS1_17partition_subalgoE1ExNS0_10empty_typeEbEEZZNS1_14partition_implILS5_1ELb0ES3_jN6thrust23THRUST_200600_302600_NS6detail15normal_iteratorINSA_10device_ptrIxEEEEPS6_NSA_18transform_iteratorI7is_evenIxESF_NSA_11use_defaultESK_EENS0_5tupleIJSF_NSA_16discard_iteratorISK_EEEEENSM_IJSG_SG_EEES6_PlJS6_EEE10hipError_tPvRmT3_T4_T5_T6_T7_T9_mT8_P12ihipStream_tbDpT10_ENKUlT_T0_E_clISt17integral_constantIbLb1EES1A_IbLb0EEEEDaS16_S17_EUlS16_E_NS1_11comp_targetILNS1_3genE2ELNS1_11target_archE906ELNS1_3gpuE6ELNS1_3repE0EEENS1_30default_config_static_selectorELNS0_4arch9wavefront6targetE1EEEvT1_: ; @_ZN7rocprim17ROCPRIM_400000_NS6detail17trampoline_kernelINS0_14default_configENS1_25partition_config_selectorILNS1_17partition_subalgoE1ExNS0_10empty_typeEbEEZZNS1_14partition_implILS5_1ELb0ES3_jN6thrust23THRUST_200600_302600_NS6detail15normal_iteratorINSA_10device_ptrIxEEEEPS6_NSA_18transform_iteratorI7is_evenIxESF_NSA_11use_defaultESK_EENS0_5tupleIJSF_NSA_16discard_iteratorISK_EEEEENSM_IJSG_SG_EEES6_PlJS6_EEE10hipError_tPvRmT3_T4_T5_T6_T7_T9_mT8_P12ihipStream_tbDpT10_ENKUlT_T0_E_clISt17integral_constantIbLb1EES1A_IbLb0EEEEDaS16_S17_EUlS16_E_NS1_11comp_targetILNS1_3genE2ELNS1_11target_archE906ELNS1_3gpuE6ELNS1_3repE0EEENS1_30default_config_static_selectorELNS0_4arch9wavefront6targetE1EEEvT1_
; %bb.0:
	.section	.rodata,"a",@progbits
	.p2align	6, 0x0
	.amdhsa_kernel _ZN7rocprim17ROCPRIM_400000_NS6detail17trampoline_kernelINS0_14default_configENS1_25partition_config_selectorILNS1_17partition_subalgoE1ExNS0_10empty_typeEbEEZZNS1_14partition_implILS5_1ELb0ES3_jN6thrust23THRUST_200600_302600_NS6detail15normal_iteratorINSA_10device_ptrIxEEEEPS6_NSA_18transform_iteratorI7is_evenIxESF_NSA_11use_defaultESK_EENS0_5tupleIJSF_NSA_16discard_iteratorISK_EEEEENSM_IJSG_SG_EEES6_PlJS6_EEE10hipError_tPvRmT3_T4_T5_T6_T7_T9_mT8_P12ihipStream_tbDpT10_ENKUlT_T0_E_clISt17integral_constantIbLb1EES1A_IbLb0EEEEDaS16_S17_EUlS16_E_NS1_11comp_targetILNS1_3genE2ELNS1_11target_archE906ELNS1_3gpuE6ELNS1_3repE0EEENS1_30default_config_static_selectorELNS0_4arch9wavefront6targetE1EEEvT1_
		.amdhsa_group_segment_fixed_size 0
		.amdhsa_private_segment_fixed_size 0
		.amdhsa_kernarg_size 136
		.amdhsa_user_sgpr_count 6
		.amdhsa_user_sgpr_private_segment_buffer 1
		.amdhsa_user_sgpr_dispatch_ptr 0
		.amdhsa_user_sgpr_queue_ptr 0
		.amdhsa_user_sgpr_kernarg_segment_ptr 1
		.amdhsa_user_sgpr_dispatch_id 0
		.amdhsa_user_sgpr_flat_scratch_init 0
		.amdhsa_user_sgpr_kernarg_preload_length 0
		.amdhsa_user_sgpr_kernarg_preload_offset 0
		.amdhsa_user_sgpr_private_segment_size 0
		.amdhsa_uses_dynamic_stack 0
		.amdhsa_system_sgpr_private_segment_wavefront_offset 0
		.amdhsa_system_sgpr_workgroup_id_x 1
		.amdhsa_system_sgpr_workgroup_id_y 0
		.amdhsa_system_sgpr_workgroup_id_z 0
		.amdhsa_system_sgpr_workgroup_info 0
		.amdhsa_system_vgpr_workitem_id 0
		.amdhsa_next_free_vgpr 1
		.amdhsa_next_free_sgpr 0
		.amdhsa_accum_offset 4
		.amdhsa_reserve_vcc 0
		.amdhsa_reserve_flat_scratch 0
		.amdhsa_float_round_mode_32 0
		.amdhsa_float_round_mode_16_64 0
		.amdhsa_float_denorm_mode_32 3
		.amdhsa_float_denorm_mode_16_64 3
		.amdhsa_dx10_clamp 1
		.amdhsa_ieee_mode 1
		.amdhsa_fp16_overflow 0
		.amdhsa_tg_split 0
		.amdhsa_exception_fp_ieee_invalid_op 0
		.amdhsa_exception_fp_denorm_src 0
		.amdhsa_exception_fp_ieee_div_zero 0
		.amdhsa_exception_fp_ieee_overflow 0
		.amdhsa_exception_fp_ieee_underflow 0
		.amdhsa_exception_fp_ieee_inexact 0
		.amdhsa_exception_int_div_zero 0
	.end_amdhsa_kernel
	.section	.text._ZN7rocprim17ROCPRIM_400000_NS6detail17trampoline_kernelINS0_14default_configENS1_25partition_config_selectorILNS1_17partition_subalgoE1ExNS0_10empty_typeEbEEZZNS1_14partition_implILS5_1ELb0ES3_jN6thrust23THRUST_200600_302600_NS6detail15normal_iteratorINSA_10device_ptrIxEEEEPS6_NSA_18transform_iteratorI7is_evenIxESF_NSA_11use_defaultESK_EENS0_5tupleIJSF_NSA_16discard_iteratorISK_EEEEENSM_IJSG_SG_EEES6_PlJS6_EEE10hipError_tPvRmT3_T4_T5_T6_T7_T9_mT8_P12ihipStream_tbDpT10_ENKUlT_T0_E_clISt17integral_constantIbLb1EES1A_IbLb0EEEEDaS16_S17_EUlS16_E_NS1_11comp_targetILNS1_3genE2ELNS1_11target_archE906ELNS1_3gpuE6ELNS1_3repE0EEENS1_30default_config_static_selectorELNS0_4arch9wavefront6targetE1EEEvT1_,"axG",@progbits,_ZN7rocprim17ROCPRIM_400000_NS6detail17trampoline_kernelINS0_14default_configENS1_25partition_config_selectorILNS1_17partition_subalgoE1ExNS0_10empty_typeEbEEZZNS1_14partition_implILS5_1ELb0ES3_jN6thrust23THRUST_200600_302600_NS6detail15normal_iteratorINSA_10device_ptrIxEEEEPS6_NSA_18transform_iteratorI7is_evenIxESF_NSA_11use_defaultESK_EENS0_5tupleIJSF_NSA_16discard_iteratorISK_EEEEENSM_IJSG_SG_EEES6_PlJS6_EEE10hipError_tPvRmT3_T4_T5_T6_T7_T9_mT8_P12ihipStream_tbDpT10_ENKUlT_T0_E_clISt17integral_constantIbLb1EES1A_IbLb0EEEEDaS16_S17_EUlS16_E_NS1_11comp_targetILNS1_3genE2ELNS1_11target_archE906ELNS1_3gpuE6ELNS1_3repE0EEENS1_30default_config_static_selectorELNS0_4arch9wavefront6targetE1EEEvT1_,comdat
.Lfunc_end3215:
	.size	_ZN7rocprim17ROCPRIM_400000_NS6detail17trampoline_kernelINS0_14default_configENS1_25partition_config_selectorILNS1_17partition_subalgoE1ExNS0_10empty_typeEbEEZZNS1_14partition_implILS5_1ELb0ES3_jN6thrust23THRUST_200600_302600_NS6detail15normal_iteratorINSA_10device_ptrIxEEEEPS6_NSA_18transform_iteratorI7is_evenIxESF_NSA_11use_defaultESK_EENS0_5tupleIJSF_NSA_16discard_iteratorISK_EEEEENSM_IJSG_SG_EEES6_PlJS6_EEE10hipError_tPvRmT3_T4_T5_T6_T7_T9_mT8_P12ihipStream_tbDpT10_ENKUlT_T0_E_clISt17integral_constantIbLb1EES1A_IbLb0EEEEDaS16_S17_EUlS16_E_NS1_11comp_targetILNS1_3genE2ELNS1_11target_archE906ELNS1_3gpuE6ELNS1_3repE0EEENS1_30default_config_static_selectorELNS0_4arch9wavefront6targetE1EEEvT1_, .Lfunc_end3215-_ZN7rocprim17ROCPRIM_400000_NS6detail17trampoline_kernelINS0_14default_configENS1_25partition_config_selectorILNS1_17partition_subalgoE1ExNS0_10empty_typeEbEEZZNS1_14partition_implILS5_1ELb0ES3_jN6thrust23THRUST_200600_302600_NS6detail15normal_iteratorINSA_10device_ptrIxEEEEPS6_NSA_18transform_iteratorI7is_evenIxESF_NSA_11use_defaultESK_EENS0_5tupleIJSF_NSA_16discard_iteratorISK_EEEEENSM_IJSG_SG_EEES6_PlJS6_EEE10hipError_tPvRmT3_T4_T5_T6_T7_T9_mT8_P12ihipStream_tbDpT10_ENKUlT_T0_E_clISt17integral_constantIbLb1EES1A_IbLb0EEEEDaS16_S17_EUlS16_E_NS1_11comp_targetILNS1_3genE2ELNS1_11target_archE906ELNS1_3gpuE6ELNS1_3repE0EEENS1_30default_config_static_selectorELNS0_4arch9wavefront6targetE1EEEvT1_
                                        ; -- End function
	.section	.AMDGPU.csdata,"",@progbits
; Kernel info:
; codeLenInByte = 0
; NumSgprs: 4
; NumVgprs: 0
; NumAgprs: 0
; TotalNumVgprs: 0
; ScratchSize: 0
; MemoryBound: 0
; FloatMode: 240
; IeeeMode: 1
; LDSByteSize: 0 bytes/workgroup (compile time only)
; SGPRBlocks: 0
; VGPRBlocks: 0
; NumSGPRsForWavesPerEU: 4
; NumVGPRsForWavesPerEU: 1
; AccumOffset: 4
; Occupancy: 8
; WaveLimiterHint : 0
; COMPUTE_PGM_RSRC2:SCRATCH_EN: 0
; COMPUTE_PGM_RSRC2:USER_SGPR: 6
; COMPUTE_PGM_RSRC2:TRAP_HANDLER: 0
; COMPUTE_PGM_RSRC2:TGID_X_EN: 1
; COMPUTE_PGM_RSRC2:TGID_Y_EN: 0
; COMPUTE_PGM_RSRC2:TGID_Z_EN: 0
; COMPUTE_PGM_RSRC2:TIDIG_COMP_CNT: 0
; COMPUTE_PGM_RSRC3_GFX90A:ACCUM_OFFSET: 0
; COMPUTE_PGM_RSRC3_GFX90A:TG_SPLIT: 0
	.section	.text._ZN7rocprim17ROCPRIM_400000_NS6detail17trampoline_kernelINS0_14default_configENS1_25partition_config_selectorILNS1_17partition_subalgoE1ExNS0_10empty_typeEbEEZZNS1_14partition_implILS5_1ELb0ES3_jN6thrust23THRUST_200600_302600_NS6detail15normal_iteratorINSA_10device_ptrIxEEEEPS6_NSA_18transform_iteratorI7is_evenIxESF_NSA_11use_defaultESK_EENS0_5tupleIJSF_NSA_16discard_iteratorISK_EEEEENSM_IJSG_SG_EEES6_PlJS6_EEE10hipError_tPvRmT3_T4_T5_T6_T7_T9_mT8_P12ihipStream_tbDpT10_ENKUlT_T0_E_clISt17integral_constantIbLb1EES1A_IbLb0EEEEDaS16_S17_EUlS16_E_NS1_11comp_targetILNS1_3genE10ELNS1_11target_archE1200ELNS1_3gpuE4ELNS1_3repE0EEENS1_30default_config_static_selectorELNS0_4arch9wavefront6targetE1EEEvT1_,"axG",@progbits,_ZN7rocprim17ROCPRIM_400000_NS6detail17trampoline_kernelINS0_14default_configENS1_25partition_config_selectorILNS1_17partition_subalgoE1ExNS0_10empty_typeEbEEZZNS1_14partition_implILS5_1ELb0ES3_jN6thrust23THRUST_200600_302600_NS6detail15normal_iteratorINSA_10device_ptrIxEEEEPS6_NSA_18transform_iteratorI7is_evenIxESF_NSA_11use_defaultESK_EENS0_5tupleIJSF_NSA_16discard_iteratorISK_EEEEENSM_IJSG_SG_EEES6_PlJS6_EEE10hipError_tPvRmT3_T4_T5_T6_T7_T9_mT8_P12ihipStream_tbDpT10_ENKUlT_T0_E_clISt17integral_constantIbLb1EES1A_IbLb0EEEEDaS16_S17_EUlS16_E_NS1_11comp_targetILNS1_3genE10ELNS1_11target_archE1200ELNS1_3gpuE4ELNS1_3repE0EEENS1_30default_config_static_selectorELNS0_4arch9wavefront6targetE1EEEvT1_,comdat
	.protected	_ZN7rocprim17ROCPRIM_400000_NS6detail17trampoline_kernelINS0_14default_configENS1_25partition_config_selectorILNS1_17partition_subalgoE1ExNS0_10empty_typeEbEEZZNS1_14partition_implILS5_1ELb0ES3_jN6thrust23THRUST_200600_302600_NS6detail15normal_iteratorINSA_10device_ptrIxEEEEPS6_NSA_18transform_iteratorI7is_evenIxESF_NSA_11use_defaultESK_EENS0_5tupleIJSF_NSA_16discard_iteratorISK_EEEEENSM_IJSG_SG_EEES6_PlJS6_EEE10hipError_tPvRmT3_T4_T5_T6_T7_T9_mT8_P12ihipStream_tbDpT10_ENKUlT_T0_E_clISt17integral_constantIbLb1EES1A_IbLb0EEEEDaS16_S17_EUlS16_E_NS1_11comp_targetILNS1_3genE10ELNS1_11target_archE1200ELNS1_3gpuE4ELNS1_3repE0EEENS1_30default_config_static_selectorELNS0_4arch9wavefront6targetE1EEEvT1_ ; -- Begin function _ZN7rocprim17ROCPRIM_400000_NS6detail17trampoline_kernelINS0_14default_configENS1_25partition_config_selectorILNS1_17partition_subalgoE1ExNS0_10empty_typeEbEEZZNS1_14partition_implILS5_1ELb0ES3_jN6thrust23THRUST_200600_302600_NS6detail15normal_iteratorINSA_10device_ptrIxEEEEPS6_NSA_18transform_iteratorI7is_evenIxESF_NSA_11use_defaultESK_EENS0_5tupleIJSF_NSA_16discard_iteratorISK_EEEEENSM_IJSG_SG_EEES6_PlJS6_EEE10hipError_tPvRmT3_T4_T5_T6_T7_T9_mT8_P12ihipStream_tbDpT10_ENKUlT_T0_E_clISt17integral_constantIbLb1EES1A_IbLb0EEEEDaS16_S17_EUlS16_E_NS1_11comp_targetILNS1_3genE10ELNS1_11target_archE1200ELNS1_3gpuE4ELNS1_3repE0EEENS1_30default_config_static_selectorELNS0_4arch9wavefront6targetE1EEEvT1_
	.globl	_ZN7rocprim17ROCPRIM_400000_NS6detail17trampoline_kernelINS0_14default_configENS1_25partition_config_selectorILNS1_17partition_subalgoE1ExNS0_10empty_typeEbEEZZNS1_14partition_implILS5_1ELb0ES3_jN6thrust23THRUST_200600_302600_NS6detail15normal_iteratorINSA_10device_ptrIxEEEEPS6_NSA_18transform_iteratorI7is_evenIxESF_NSA_11use_defaultESK_EENS0_5tupleIJSF_NSA_16discard_iteratorISK_EEEEENSM_IJSG_SG_EEES6_PlJS6_EEE10hipError_tPvRmT3_T4_T5_T6_T7_T9_mT8_P12ihipStream_tbDpT10_ENKUlT_T0_E_clISt17integral_constantIbLb1EES1A_IbLb0EEEEDaS16_S17_EUlS16_E_NS1_11comp_targetILNS1_3genE10ELNS1_11target_archE1200ELNS1_3gpuE4ELNS1_3repE0EEENS1_30default_config_static_selectorELNS0_4arch9wavefront6targetE1EEEvT1_
	.p2align	8
	.type	_ZN7rocprim17ROCPRIM_400000_NS6detail17trampoline_kernelINS0_14default_configENS1_25partition_config_selectorILNS1_17partition_subalgoE1ExNS0_10empty_typeEbEEZZNS1_14partition_implILS5_1ELb0ES3_jN6thrust23THRUST_200600_302600_NS6detail15normal_iteratorINSA_10device_ptrIxEEEEPS6_NSA_18transform_iteratorI7is_evenIxESF_NSA_11use_defaultESK_EENS0_5tupleIJSF_NSA_16discard_iteratorISK_EEEEENSM_IJSG_SG_EEES6_PlJS6_EEE10hipError_tPvRmT3_T4_T5_T6_T7_T9_mT8_P12ihipStream_tbDpT10_ENKUlT_T0_E_clISt17integral_constantIbLb1EES1A_IbLb0EEEEDaS16_S17_EUlS16_E_NS1_11comp_targetILNS1_3genE10ELNS1_11target_archE1200ELNS1_3gpuE4ELNS1_3repE0EEENS1_30default_config_static_selectorELNS0_4arch9wavefront6targetE1EEEvT1_,@function
_ZN7rocprim17ROCPRIM_400000_NS6detail17trampoline_kernelINS0_14default_configENS1_25partition_config_selectorILNS1_17partition_subalgoE1ExNS0_10empty_typeEbEEZZNS1_14partition_implILS5_1ELb0ES3_jN6thrust23THRUST_200600_302600_NS6detail15normal_iteratorINSA_10device_ptrIxEEEEPS6_NSA_18transform_iteratorI7is_evenIxESF_NSA_11use_defaultESK_EENS0_5tupleIJSF_NSA_16discard_iteratorISK_EEEEENSM_IJSG_SG_EEES6_PlJS6_EEE10hipError_tPvRmT3_T4_T5_T6_T7_T9_mT8_P12ihipStream_tbDpT10_ENKUlT_T0_E_clISt17integral_constantIbLb1EES1A_IbLb0EEEEDaS16_S17_EUlS16_E_NS1_11comp_targetILNS1_3genE10ELNS1_11target_archE1200ELNS1_3gpuE4ELNS1_3repE0EEENS1_30default_config_static_selectorELNS0_4arch9wavefront6targetE1EEEvT1_: ; @_ZN7rocprim17ROCPRIM_400000_NS6detail17trampoline_kernelINS0_14default_configENS1_25partition_config_selectorILNS1_17partition_subalgoE1ExNS0_10empty_typeEbEEZZNS1_14partition_implILS5_1ELb0ES3_jN6thrust23THRUST_200600_302600_NS6detail15normal_iteratorINSA_10device_ptrIxEEEEPS6_NSA_18transform_iteratorI7is_evenIxESF_NSA_11use_defaultESK_EENS0_5tupleIJSF_NSA_16discard_iteratorISK_EEEEENSM_IJSG_SG_EEES6_PlJS6_EEE10hipError_tPvRmT3_T4_T5_T6_T7_T9_mT8_P12ihipStream_tbDpT10_ENKUlT_T0_E_clISt17integral_constantIbLb1EES1A_IbLb0EEEEDaS16_S17_EUlS16_E_NS1_11comp_targetILNS1_3genE10ELNS1_11target_archE1200ELNS1_3gpuE4ELNS1_3repE0EEENS1_30default_config_static_selectorELNS0_4arch9wavefront6targetE1EEEvT1_
; %bb.0:
	.section	.rodata,"a",@progbits
	.p2align	6, 0x0
	.amdhsa_kernel _ZN7rocprim17ROCPRIM_400000_NS6detail17trampoline_kernelINS0_14default_configENS1_25partition_config_selectorILNS1_17partition_subalgoE1ExNS0_10empty_typeEbEEZZNS1_14partition_implILS5_1ELb0ES3_jN6thrust23THRUST_200600_302600_NS6detail15normal_iteratorINSA_10device_ptrIxEEEEPS6_NSA_18transform_iteratorI7is_evenIxESF_NSA_11use_defaultESK_EENS0_5tupleIJSF_NSA_16discard_iteratorISK_EEEEENSM_IJSG_SG_EEES6_PlJS6_EEE10hipError_tPvRmT3_T4_T5_T6_T7_T9_mT8_P12ihipStream_tbDpT10_ENKUlT_T0_E_clISt17integral_constantIbLb1EES1A_IbLb0EEEEDaS16_S17_EUlS16_E_NS1_11comp_targetILNS1_3genE10ELNS1_11target_archE1200ELNS1_3gpuE4ELNS1_3repE0EEENS1_30default_config_static_selectorELNS0_4arch9wavefront6targetE1EEEvT1_
		.amdhsa_group_segment_fixed_size 0
		.amdhsa_private_segment_fixed_size 0
		.amdhsa_kernarg_size 136
		.amdhsa_user_sgpr_count 6
		.amdhsa_user_sgpr_private_segment_buffer 1
		.amdhsa_user_sgpr_dispatch_ptr 0
		.amdhsa_user_sgpr_queue_ptr 0
		.amdhsa_user_sgpr_kernarg_segment_ptr 1
		.amdhsa_user_sgpr_dispatch_id 0
		.amdhsa_user_sgpr_flat_scratch_init 0
		.amdhsa_user_sgpr_kernarg_preload_length 0
		.amdhsa_user_sgpr_kernarg_preload_offset 0
		.amdhsa_user_sgpr_private_segment_size 0
		.amdhsa_uses_dynamic_stack 0
		.amdhsa_system_sgpr_private_segment_wavefront_offset 0
		.amdhsa_system_sgpr_workgroup_id_x 1
		.amdhsa_system_sgpr_workgroup_id_y 0
		.amdhsa_system_sgpr_workgroup_id_z 0
		.amdhsa_system_sgpr_workgroup_info 0
		.amdhsa_system_vgpr_workitem_id 0
		.amdhsa_next_free_vgpr 1
		.amdhsa_next_free_sgpr 0
		.amdhsa_accum_offset 4
		.amdhsa_reserve_vcc 0
		.amdhsa_reserve_flat_scratch 0
		.amdhsa_float_round_mode_32 0
		.amdhsa_float_round_mode_16_64 0
		.amdhsa_float_denorm_mode_32 3
		.amdhsa_float_denorm_mode_16_64 3
		.amdhsa_dx10_clamp 1
		.amdhsa_ieee_mode 1
		.amdhsa_fp16_overflow 0
		.amdhsa_tg_split 0
		.amdhsa_exception_fp_ieee_invalid_op 0
		.amdhsa_exception_fp_denorm_src 0
		.amdhsa_exception_fp_ieee_div_zero 0
		.amdhsa_exception_fp_ieee_overflow 0
		.amdhsa_exception_fp_ieee_underflow 0
		.amdhsa_exception_fp_ieee_inexact 0
		.amdhsa_exception_int_div_zero 0
	.end_amdhsa_kernel
	.section	.text._ZN7rocprim17ROCPRIM_400000_NS6detail17trampoline_kernelINS0_14default_configENS1_25partition_config_selectorILNS1_17partition_subalgoE1ExNS0_10empty_typeEbEEZZNS1_14partition_implILS5_1ELb0ES3_jN6thrust23THRUST_200600_302600_NS6detail15normal_iteratorINSA_10device_ptrIxEEEEPS6_NSA_18transform_iteratorI7is_evenIxESF_NSA_11use_defaultESK_EENS0_5tupleIJSF_NSA_16discard_iteratorISK_EEEEENSM_IJSG_SG_EEES6_PlJS6_EEE10hipError_tPvRmT3_T4_T5_T6_T7_T9_mT8_P12ihipStream_tbDpT10_ENKUlT_T0_E_clISt17integral_constantIbLb1EES1A_IbLb0EEEEDaS16_S17_EUlS16_E_NS1_11comp_targetILNS1_3genE10ELNS1_11target_archE1200ELNS1_3gpuE4ELNS1_3repE0EEENS1_30default_config_static_selectorELNS0_4arch9wavefront6targetE1EEEvT1_,"axG",@progbits,_ZN7rocprim17ROCPRIM_400000_NS6detail17trampoline_kernelINS0_14default_configENS1_25partition_config_selectorILNS1_17partition_subalgoE1ExNS0_10empty_typeEbEEZZNS1_14partition_implILS5_1ELb0ES3_jN6thrust23THRUST_200600_302600_NS6detail15normal_iteratorINSA_10device_ptrIxEEEEPS6_NSA_18transform_iteratorI7is_evenIxESF_NSA_11use_defaultESK_EENS0_5tupleIJSF_NSA_16discard_iteratorISK_EEEEENSM_IJSG_SG_EEES6_PlJS6_EEE10hipError_tPvRmT3_T4_T5_T6_T7_T9_mT8_P12ihipStream_tbDpT10_ENKUlT_T0_E_clISt17integral_constantIbLb1EES1A_IbLb0EEEEDaS16_S17_EUlS16_E_NS1_11comp_targetILNS1_3genE10ELNS1_11target_archE1200ELNS1_3gpuE4ELNS1_3repE0EEENS1_30default_config_static_selectorELNS0_4arch9wavefront6targetE1EEEvT1_,comdat
.Lfunc_end3216:
	.size	_ZN7rocprim17ROCPRIM_400000_NS6detail17trampoline_kernelINS0_14default_configENS1_25partition_config_selectorILNS1_17partition_subalgoE1ExNS0_10empty_typeEbEEZZNS1_14partition_implILS5_1ELb0ES3_jN6thrust23THRUST_200600_302600_NS6detail15normal_iteratorINSA_10device_ptrIxEEEEPS6_NSA_18transform_iteratorI7is_evenIxESF_NSA_11use_defaultESK_EENS0_5tupleIJSF_NSA_16discard_iteratorISK_EEEEENSM_IJSG_SG_EEES6_PlJS6_EEE10hipError_tPvRmT3_T4_T5_T6_T7_T9_mT8_P12ihipStream_tbDpT10_ENKUlT_T0_E_clISt17integral_constantIbLb1EES1A_IbLb0EEEEDaS16_S17_EUlS16_E_NS1_11comp_targetILNS1_3genE10ELNS1_11target_archE1200ELNS1_3gpuE4ELNS1_3repE0EEENS1_30default_config_static_selectorELNS0_4arch9wavefront6targetE1EEEvT1_, .Lfunc_end3216-_ZN7rocprim17ROCPRIM_400000_NS6detail17trampoline_kernelINS0_14default_configENS1_25partition_config_selectorILNS1_17partition_subalgoE1ExNS0_10empty_typeEbEEZZNS1_14partition_implILS5_1ELb0ES3_jN6thrust23THRUST_200600_302600_NS6detail15normal_iteratorINSA_10device_ptrIxEEEEPS6_NSA_18transform_iteratorI7is_evenIxESF_NSA_11use_defaultESK_EENS0_5tupleIJSF_NSA_16discard_iteratorISK_EEEEENSM_IJSG_SG_EEES6_PlJS6_EEE10hipError_tPvRmT3_T4_T5_T6_T7_T9_mT8_P12ihipStream_tbDpT10_ENKUlT_T0_E_clISt17integral_constantIbLb1EES1A_IbLb0EEEEDaS16_S17_EUlS16_E_NS1_11comp_targetILNS1_3genE10ELNS1_11target_archE1200ELNS1_3gpuE4ELNS1_3repE0EEENS1_30default_config_static_selectorELNS0_4arch9wavefront6targetE1EEEvT1_
                                        ; -- End function
	.section	.AMDGPU.csdata,"",@progbits
; Kernel info:
; codeLenInByte = 0
; NumSgprs: 4
; NumVgprs: 0
; NumAgprs: 0
; TotalNumVgprs: 0
; ScratchSize: 0
; MemoryBound: 0
; FloatMode: 240
; IeeeMode: 1
; LDSByteSize: 0 bytes/workgroup (compile time only)
; SGPRBlocks: 0
; VGPRBlocks: 0
; NumSGPRsForWavesPerEU: 4
; NumVGPRsForWavesPerEU: 1
; AccumOffset: 4
; Occupancy: 8
; WaveLimiterHint : 0
; COMPUTE_PGM_RSRC2:SCRATCH_EN: 0
; COMPUTE_PGM_RSRC2:USER_SGPR: 6
; COMPUTE_PGM_RSRC2:TRAP_HANDLER: 0
; COMPUTE_PGM_RSRC2:TGID_X_EN: 1
; COMPUTE_PGM_RSRC2:TGID_Y_EN: 0
; COMPUTE_PGM_RSRC2:TGID_Z_EN: 0
; COMPUTE_PGM_RSRC2:TIDIG_COMP_CNT: 0
; COMPUTE_PGM_RSRC3_GFX90A:ACCUM_OFFSET: 0
; COMPUTE_PGM_RSRC3_GFX90A:TG_SPLIT: 0
	.section	.text._ZN7rocprim17ROCPRIM_400000_NS6detail17trampoline_kernelINS0_14default_configENS1_25partition_config_selectorILNS1_17partition_subalgoE1ExNS0_10empty_typeEbEEZZNS1_14partition_implILS5_1ELb0ES3_jN6thrust23THRUST_200600_302600_NS6detail15normal_iteratorINSA_10device_ptrIxEEEEPS6_NSA_18transform_iteratorI7is_evenIxESF_NSA_11use_defaultESK_EENS0_5tupleIJSF_NSA_16discard_iteratorISK_EEEEENSM_IJSG_SG_EEES6_PlJS6_EEE10hipError_tPvRmT3_T4_T5_T6_T7_T9_mT8_P12ihipStream_tbDpT10_ENKUlT_T0_E_clISt17integral_constantIbLb1EES1A_IbLb0EEEEDaS16_S17_EUlS16_E_NS1_11comp_targetILNS1_3genE9ELNS1_11target_archE1100ELNS1_3gpuE3ELNS1_3repE0EEENS1_30default_config_static_selectorELNS0_4arch9wavefront6targetE1EEEvT1_,"axG",@progbits,_ZN7rocprim17ROCPRIM_400000_NS6detail17trampoline_kernelINS0_14default_configENS1_25partition_config_selectorILNS1_17partition_subalgoE1ExNS0_10empty_typeEbEEZZNS1_14partition_implILS5_1ELb0ES3_jN6thrust23THRUST_200600_302600_NS6detail15normal_iteratorINSA_10device_ptrIxEEEEPS6_NSA_18transform_iteratorI7is_evenIxESF_NSA_11use_defaultESK_EENS0_5tupleIJSF_NSA_16discard_iteratorISK_EEEEENSM_IJSG_SG_EEES6_PlJS6_EEE10hipError_tPvRmT3_T4_T5_T6_T7_T9_mT8_P12ihipStream_tbDpT10_ENKUlT_T0_E_clISt17integral_constantIbLb1EES1A_IbLb0EEEEDaS16_S17_EUlS16_E_NS1_11comp_targetILNS1_3genE9ELNS1_11target_archE1100ELNS1_3gpuE3ELNS1_3repE0EEENS1_30default_config_static_selectorELNS0_4arch9wavefront6targetE1EEEvT1_,comdat
	.protected	_ZN7rocprim17ROCPRIM_400000_NS6detail17trampoline_kernelINS0_14default_configENS1_25partition_config_selectorILNS1_17partition_subalgoE1ExNS0_10empty_typeEbEEZZNS1_14partition_implILS5_1ELb0ES3_jN6thrust23THRUST_200600_302600_NS6detail15normal_iteratorINSA_10device_ptrIxEEEEPS6_NSA_18transform_iteratorI7is_evenIxESF_NSA_11use_defaultESK_EENS0_5tupleIJSF_NSA_16discard_iteratorISK_EEEEENSM_IJSG_SG_EEES6_PlJS6_EEE10hipError_tPvRmT3_T4_T5_T6_T7_T9_mT8_P12ihipStream_tbDpT10_ENKUlT_T0_E_clISt17integral_constantIbLb1EES1A_IbLb0EEEEDaS16_S17_EUlS16_E_NS1_11comp_targetILNS1_3genE9ELNS1_11target_archE1100ELNS1_3gpuE3ELNS1_3repE0EEENS1_30default_config_static_selectorELNS0_4arch9wavefront6targetE1EEEvT1_ ; -- Begin function _ZN7rocprim17ROCPRIM_400000_NS6detail17trampoline_kernelINS0_14default_configENS1_25partition_config_selectorILNS1_17partition_subalgoE1ExNS0_10empty_typeEbEEZZNS1_14partition_implILS5_1ELb0ES3_jN6thrust23THRUST_200600_302600_NS6detail15normal_iteratorINSA_10device_ptrIxEEEEPS6_NSA_18transform_iteratorI7is_evenIxESF_NSA_11use_defaultESK_EENS0_5tupleIJSF_NSA_16discard_iteratorISK_EEEEENSM_IJSG_SG_EEES6_PlJS6_EEE10hipError_tPvRmT3_T4_T5_T6_T7_T9_mT8_P12ihipStream_tbDpT10_ENKUlT_T0_E_clISt17integral_constantIbLb1EES1A_IbLb0EEEEDaS16_S17_EUlS16_E_NS1_11comp_targetILNS1_3genE9ELNS1_11target_archE1100ELNS1_3gpuE3ELNS1_3repE0EEENS1_30default_config_static_selectorELNS0_4arch9wavefront6targetE1EEEvT1_
	.globl	_ZN7rocprim17ROCPRIM_400000_NS6detail17trampoline_kernelINS0_14default_configENS1_25partition_config_selectorILNS1_17partition_subalgoE1ExNS0_10empty_typeEbEEZZNS1_14partition_implILS5_1ELb0ES3_jN6thrust23THRUST_200600_302600_NS6detail15normal_iteratorINSA_10device_ptrIxEEEEPS6_NSA_18transform_iteratorI7is_evenIxESF_NSA_11use_defaultESK_EENS0_5tupleIJSF_NSA_16discard_iteratorISK_EEEEENSM_IJSG_SG_EEES6_PlJS6_EEE10hipError_tPvRmT3_T4_T5_T6_T7_T9_mT8_P12ihipStream_tbDpT10_ENKUlT_T0_E_clISt17integral_constantIbLb1EES1A_IbLb0EEEEDaS16_S17_EUlS16_E_NS1_11comp_targetILNS1_3genE9ELNS1_11target_archE1100ELNS1_3gpuE3ELNS1_3repE0EEENS1_30default_config_static_selectorELNS0_4arch9wavefront6targetE1EEEvT1_
	.p2align	8
	.type	_ZN7rocprim17ROCPRIM_400000_NS6detail17trampoline_kernelINS0_14default_configENS1_25partition_config_selectorILNS1_17partition_subalgoE1ExNS0_10empty_typeEbEEZZNS1_14partition_implILS5_1ELb0ES3_jN6thrust23THRUST_200600_302600_NS6detail15normal_iteratorINSA_10device_ptrIxEEEEPS6_NSA_18transform_iteratorI7is_evenIxESF_NSA_11use_defaultESK_EENS0_5tupleIJSF_NSA_16discard_iteratorISK_EEEEENSM_IJSG_SG_EEES6_PlJS6_EEE10hipError_tPvRmT3_T4_T5_T6_T7_T9_mT8_P12ihipStream_tbDpT10_ENKUlT_T0_E_clISt17integral_constantIbLb1EES1A_IbLb0EEEEDaS16_S17_EUlS16_E_NS1_11comp_targetILNS1_3genE9ELNS1_11target_archE1100ELNS1_3gpuE3ELNS1_3repE0EEENS1_30default_config_static_selectorELNS0_4arch9wavefront6targetE1EEEvT1_,@function
_ZN7rocprim17ROCPRIM_400000_NS6detail17trampoline_kernelINS0_14default_configENS1_25partition_config_selectorILNS1_17partition_subalgoE1ExNS0_10empty_typeEbEEZZNS1_14partition_implILS5_1ELb0ES3_jN6thrust23THRUST_200600_302600_NS6detail15normal_iteratorINSA_10device_ptrIxEEEEPS6_NSA_18transform_iteratorI7is_evenIxESF_NSA_11use_defaultESK_EENS0_5tupleIJSF_NSA_16discard_iteratorISK_EEEEENSM_IJSG_SG_EEES6_PlJS6_EEE10hipError_tPvRmT3_T4_T5_T6_T7_T9_mT8_P12ihipStream_tbDpT10_ENKUlT_T0_E_clISt17integral_constantIbLb1EES1A_IbLb0EEEEDaS16_S17_EUlS16_E_NS1_11comp_targetILNS1_3genE9ELNS1_11target_archE1100ELNS1_3gpuE3ELNS1_3repE0EEENS1_30default_config_static_selectorELNS0_4arch9wavefront6targetE1EEEvT1_: ; @_ZN7rocprim17ROCPRIM_400000_NS6detail17trampoline_kernelINS0_14default_configENS1_25partition_config_selectorILNS1_17partition_subalgoE1ExNS0_10empty_typeEbEEZZNS1_14partition_implILS5_1ELb0ES3_jN6thrust23THRUST_200600_302600_NS6detail15normal_iteratorINSA_10device_ptrIxEEEEPS6_NSA_18transform_iteratorI7is_evenIxESF_NSA_11use_defaultESK_EENS0_5tupleIJSF_NSA_16discard_iteratorISK_EEEEENSM_IJSG_SG_EEES6_PlJS6_EEE10hipError_tPvRmT3_T4_T5_T6_T7_T9_mT8_P12ihipStream_tbDpT10_ENKUlT_T0_E_clISt17integral_constantIbLb1EES1A_IbLb0EEEEDaS16_S17_EUlS16_E_NS1_11comp_targetILNS1_3genE9ELNS1_11target_archE1100ELNS1_3gpuE3ELNS1_3repE0EEENS1_30default_config_static_selectorELNS0_4arch9wavefront6targetE1EEEvT1_
; %bb.0:
	.section	.rodata,"a",@progbits
	.p2align	6, 0x0
	.amdhsa_kernel _ZN7rocprim17ROCPRIM_400000_NS6detail17trampoline_kernelINS0_14default_configENS1_25partition_config_selectorILNS1_17partition_subalgoE1ExNS0_10empty_typeEbEEZZNS1_14partition_implILS5_1ELb0ES3_jN6thrust23THRUST_200600_302600_NS6detail15normal_iteratorINSA_10device_ptrIxEEEEPS6_NSA_18transform_iteratorI7is_evenIxESF_NSA_11use_defaultESK_EENS0_5tupleIJSF_NSA_16discard_iteratorISK_EEEEENSM_IJSG_SG_EEES6_PlJS6_EEE10hipError_tPvRmT3_T4_T5_T6_T7_T9_mT8_P12ihipStream_tbDpT10_ENKUlT_T0_E_clISt17integral_constantIbLb1EES1A_IbLb0EEEEDaS16_S17_EUlS16_E_NS1_11comp_targetILNS1_3genE9ELNS1_11target_archE1100ELNS1_3gpuE3ELNS1_3repE0EEENS1_30default_config_static_selectorELNS0_4arch9wavefront6targetE1EEEvT1_
		.amdhsa_group_segment_fixed_size 0
		.amdhsa_private_segment_fixed_size 0
		.amdhsa_kernarg_size 136
		.amdhsa_user_sgpr_count 6
		.amdhsa_user_sgpr_private_segment_buffer 1
		.amdhsa_user_sgpr_dispatch_ptr 0
		.amdhsa_user_sgpr_queue_ptr 0
		.amdhsa_user_sgpr_kernarg_segment_ptr 1
		.amdhsa_user_sgpr_dispatch_id 0
		.amdhsa_user_sgpr_flat_scratch_init 0
		.amdhsa_user_sgpr_kernarg_preload_length 0
		.amdhsa_user_sgpr_kernarg_preload_offset 0
		.amdhsa_user_sgpr_private_segment_size 0
		.amdhsa_uses_dynamic_stack 0
		.amdhsa_system_sgpr_private_segment_wavefront_offset 0
		.amdhsa_system_sgpr_workgroup_id_x 1
		.amdhsa_system_sgpr_workgroup_id_y 0
		.amdhsa_system_sgpr_workgroup_id_z 0
		.amdhsa_system_sgpr_workgroup_info 0
		.amdhsa_system_vgpr_workitem_id 0
		.amdhsa_next_free_vgpr 1
		.amdhsa_next_free_sgpr 0
		.amdhsa_accum_offset 4
		.amdhsa_reserve_vcc 0
		.amdhsa_reserve_flat_scratch 0
		.amdhsa_float_round_mode_32 0
		.amdhsa_float_round_mode_16_64 0
		.amdhsa_float_denorm_mode_32 3
		.amdhsa_float_denorm_mode_16_64 3
		.amdhsa_dx10_clamp 1
		.amdhsa_ieee_mode 1
		.amdhsa_fp16_overflow 0
		.amdhsa_tg_split 0
		.amdhsa_exception_fp_ieee_invalid_op 0
		.amdhsa_exception_fp_denorm_src 0
		.amdhsa_exception_fp_ieee_div_zero 0
		.amdhsa_exception_fp_ieee_overflow 0
		.amdhsa_exception_fp_ieee_underflow 0
		.amdhsa_exception_fp_ieee_inexact 0
		.amdhsa_exception_int_div_zero 0
	.end_amdhsa_kernel
	.section	.text._ZN7rocprim17ROCPRIM_400000_NS6detail17trampoline_kernelINS0_14default_configENS1_25partition_config_selectorILNS1_17partition_subalgoE1ExNS0_10empty_typeEbEEZZNS1_14partition_implILS5_1ELb0ES3_jN6thrust23THRUST_200600_302600_NS6detail15normal_iteratorINSA_10device_ptrIxEEEEPS6_NSA_18transform_iteratorI7is_evenIxESF_NSA_11use_defaultESK_EENS0_5tupleIJSF_NSA_16discard_iteratorISK_EEEEENSM_IJSG_SG_EEES6_PlJS6_EEE10hipError_tPvRmT3_T4_T5_T6_T7_T9_mT8_P12ihipStream_tbDpT10_ENKUlT_T0_E_clISt17integral_constantIbLb1EES1A_IbLb0EEEEDaS16_S17_EUlS16_E_NS1_11comp_targetILNS1_3genE9ELNS1_11target_archE1100ELNS1_3gpuE3ELNS1_3repE0EEENS1_30default_config_static_selectorELNS0_4arch9wavefront6targetE1EEEvT1_,"axG",@progbits,_ZN7rocprim17ROCPRIM_400000_NS6detail17trampoline_kernelINS0_14default_configENS1_25partition_config_selectorILNS1_17partition_subalgoE1ExNS0_10empty_typeEbEEZZNS1_14partition_implILS5_1ELb0ES3_jN6thrust23THRUST_200600_302600_NS6detail15normal_iteratorINSA_10device_ptrIxEEEEPS6_NSA_18transform_iteratorI7is_evenIxESF_NSA_11use_defaultESK_EENS0_5tupleIJSF_NSA_16discard_iteratorISK_EEEEENSM_IJSG_SG_EEES6_PlJS6_EEE10hipError_tPvRmT3_T4_T5_T6_T7_T9_mT8_P12ihipStream_tbDpT10_ENKUlT_T0_E_clISt17integral_constantIbLb1EES1A_IbLb0EEEEDaS16_S17_EUlS16_E_NS1_11comp_targetILNS1_3genE9ELNS1_11target_archE1100ELNS1_3gpuE3ELNS1_3repE0EEENS1_30default_config_static_selectorELNS0_4arch9wavefront6targetE1EEEvT1_,comdat
.Lfunc_end3217:
	.size	_ZN7rocprim17ROCPRIM_400000_NS6detail17trampoline_kernelINS0_14default_configENS1_25partition_config_selectorILNS1_17partition_subalgoE1ExNS0_10empty_typeEbEEZZNS1_14partition_implILS5_1ELb0ES3_jN6thrust23THRUST_200600_302600_NS6detail15normal_iteratorINSA_10device_ptrIxEEEEPS6_NSA_18transform_iteratorI7is_evenIxESF_NSA_11use_defaultESK_EENS0_5tupleIJSF_NSA_16discard_iteratorISK_EEEEENSM_IJSG_SG_EEES6_PlJS6_EEE10hipError_tPvRmT3_T4_T5_T6_T7_T9_mT8_P12ihipStream_tbDpT10_ENKUlT_T0_E_clISt17integral_constantIbLb1EES1A_IbLb0EEEEDaS16_S17_EUlS16_E_NS1_11comp_targetILNS1_3genE9ELNS1_11target_archE1100ELNS1_3gpuE3ELNS1_3repE0EEENS1_30default_config_static_selectorELNS0_4arch9wavefront6targetE1EEEvT1_, .Lfunc_end3217-_ZN7rocprim17ROCPRIM_400000_NS6detail17trampoline_kernelINS0_14default_configENS1_25partition_config_selectorILNS1_17partition_subalgoE1ExNS0_10empty_typeEbEEZZNS1_14partition_implILS5_1ELb0ES3_jN6thrust23THRUST_200600_302600_NS6detail15normal_iteratorINSA_10device_ptrIxEEEEPS6_NSA_18transform_iteratorI7is_evenIxESF_NSA_11use_defaultESK_EENS0_5tupleIJSF_NSA_16discard_iteratorISK_EEEEENSM_IJSG_SG_EEES6_PlJS6_EEE10hipError_tPvRmT3_T4_T5_T6_T7_T9_mT8_P12ihipStream_tbDpT10_ENKUlT_T0_E_clISt17integral_constantIbLb1EES1A_IbLb0EEEEDaS16_S17_EUlS16_E_NS1_11comp_targetILNS1_3genE9ELNS1_11target_archE1100ELNS1_3gpuE3ELNS1_3repE0EEENS1_30default_config_static_selectorELNS0_4arch9wavefront6targetE1EEEvT1_
                                        ; -- End function
	.section	.AMDGPU.csdata,"",@progbits
; Kernel info:
; codeLenInByte = 0
; NumSgprs: 4
; NumVgprs: 0
; NumAgprs: 0
; TotalNumVgprs: 0
; ScratchSize: 0
; MemoryBound: 0
; FloatMode: 240
; IeeeMode: 1
; LDSByteSize: 0 bytes/workgroup (compile time only)
; SGPRBlocks: 0
; VGPRBlocks: 0
; NumSGPRsForWavesPerEU: 4
; NumVGPRsForWavesPerEU: 1
; AccumOffset: 4
; Occupancy: 8
; WaveLimiterHint : 0
; COMPUTE_PGM_RSRC2:SCRATCH_EN: 0
; COMPUTE_PGM_RSRC2:USER_SGPR: 6
; COMPUTE_PGM_RSRC2:TRAP_HANDLER: 0
; COMPUTE_PGM_RSRC2:TGID_X_EN: 1
; COMPUTE_PGM_RSRC2:TGID_Y_EN: 0
; COMPUTE_PGM_RSRC2:TGID_Z_EN: 0
; COMPUTE_PGM_RSRC2:TIDIG_COMP_CNT: 0
; COMPUTE_PGM_RSRC3_GFX90A:ACCUM_OFFSET: 0
; COMPUTE_PGM_RSRC3_GFX90A:TG_SPLIT: 0
	.section	.text._ZN7rocprim17ROCPRIM_400000_NS6detail17trampoline_kernelINS0_14default_configENS1_25partition_config_selectorILNS1_17partition_subalgoE1ExNS0_10empty_typeEbEEZZNS1_14partition_implILS5_1ELb0ES3_jN6thrust23THRUST_200600_302600_NS6detail15normal_iteratorINSA_10device_ptrIxEEEEPS6_NSA_18transform_iteratorI7is_evenIxESF_NSA_11use_defaultESK_EENS0_5tupleIJSF_NSA_16discard_iteratorISK_EEEEENSM_IJSG_SG_EEES6_PlJS6_EEE10hipError_tPvRmT3_T4_T5_T6_T7_T9_mT8_P12ihipStream_tbDpT10_ENKUlT_T0_E_clISt17integral_constantIbLb1EES1A_IbLb0EEEEDaS16_S17_EUlS16_E_NS1_11comp_targetILNS1_3genE8ELNS1_11target_archE1030ELNS1_3gpuE2ELNS1_3repE0EEENS1_30default_config_static_selectorELNS0_4arch9wavefront6targetE1EEEvT1_,"axG",@progbits,_ZN7rocprim17ROCPRIM_400000_NS6detail17trampoline_kernelINS0_14default_configENS1_25partition_config_selectorILNS1_17partition_subalgoE1ExNS0_10empty_typeEbEEZZNS1_14partition_implILS5_1ELb0ES3_jN6thrust23THRUST_200600_302600_NS6detail15normal_iteratorINSA_10device_ptrIxEEEEPS6_NSA_18transform_iteratorI7is_evenIxESF_NSA_11use_defaultESK_EENS0_5tupleIJSF_NSA_16discard_iteratorISK_EEEEENSM_IJSG_SG_EEES6_PlJS6_EEE10hipError_tPvRmT3_T4_T5_T6_T7_T9_mT8_P12ihipStream_tbDpT10_ENKUlT_T0_E_clISt17integral_constantIbLb1EES1A_IbLb0EEEEDaS16_S17_EUlS16_E_NS1_11comp_targetILNS1_3genE8ELNS1_11target_archE1030ELNS1_3gpuE2ELNS1_3repE0EEENS1_30default_config_static_selectorELNS0_4arch9wavefront6targetE1EEEvT1_,comdat
	.protected	_ZN7rocprim17ROCPRIM_400000_NS6detail17trampoline_kernelINS0_14default_configENS1_25partition_config_selectorILNS1_17partition_subalgoE1ExNS0_10empty_typeEbEEZZNS1_14partition_implILS5_1ELb0ES3_jN6thrust23THRUST_200600_302600_NS6detail15normal_iteratorINSA_10device_ptrIxEEEEPS6_NSA_18transform_iteratorI7is_evenIxESF_NSA_11use_defaultESK_EENS0_5tupleIJSF_NSA_16discard_iteratorISK_EEEEENSM_IJSG_SG_EEES6_PlJS6_EEE10hipError_tPvRmT3_T4_T5_T6_T7_T9_mT8_P12ihipStream_tbDpT10_ENKUlT_T0_E_clISt17integral_constantIbLb1EES1A_IbLb0EEEEDaS16_S17_EUlS16_E_NS1_11comp_targetILNS1_3genE8ELNS1_11target_archE1030ELNS1_3gpuE2ELNS1_3repE0EEENS1_30default_config_static_selectorELNS0_4arch9wavefront6targetE1EEEvT1_ ; -- Begin function _ZN7rocprim17ROCPRIM_400000_NS6detail17trampoline_kernelINS0_14default_configENS1_25partition_config_selectorILNS1_17partition_subalgoE1ExNS0_10empty_typeEbEEZZNS1_14partition_implILS5_1ELb0ES3_jN6thrust23THRUST_200600_302600_NS6detail15normal_iteratorINSA_10device_ptrIxEEEEPS6_NSA_18transform_iteratorI7is_evenIxESF_NSA_11use_defaultESK_EENS0_5tupleIJSF_NSA_16discard_iteratorISK_EEEEENSM_IJSG_SG_EEES6_PlJS6_EEE10hipError_tPvRmT3_T4_T5_T6_T7_T9_mT8_P12ihipStream_tbDpT10_ENKUlT_T0_E_clISt17integral_constantIbLb1EES1A_IbLb0EEEEDaS16_S17_EUlS16_E_NS1_11comp_targetILNS1_3genE8ELNS1_11target_archE1030ELNS1_3gpuE2ELNS1_3repE0EEENS1_30default_config_static_selectorELNS0_4arch9wavefront6targetE1EEEvT1_
	.globl	_ZN7rocprim17ROCPRIM_400000_NS6detail17trampoline_kernelINS0_14default_configENS1_25partition_config_selectorILNS1_17partition_subalgoE1ExNS0_10empty_typeEbEEZZNS1_14partition_implILS5_1ELb0ES3_jN6thrust23THRUST_200600_302600_NS6detail15normal_iteratorINSA_10device_ptrIxEEEEPS6_NSA_18transform_iteratorI7is_evenIxESF_NSA_11use_defaultESK_EENS0_5tupleIJSF_NSA_16discard_iteratorISK_EEEEENSM_IJSG_SG_EEES6_PlJS6_EEE10hipError_tPvRmT3_T4_T5_T6_T7_T9_mT8_P12ihipStream_tbDpT10_ENKUlT_T0_E_clISt17integral_constantIbLb1EES1A_IbLb0EEEEDaS16_S17_EUlS16_E_NS1_11comp_targetILNS1_3genE8ELNS1_11target_archE1030ELNS1_3gpuE2ELNS1_3repE0EEENS1_30default_config_static_selectorELNS0_4arch9wavefront6targetE1EEEvT1_
	.p2align	8
	.type	_ZN7rocprim17ROCPRIM_400000_NS6detail17trampoline_kernelINS0_14default_configENS1_25partition_config_selectorILNS1_17partition_subalgoE1ExNS0_10empty_typeEbEEZZNS1_14partition_implILS5_1ELb0ES3_jN6thrust23THRUST_200600_302600_NS6detail15normal_iteratorINSA_10device_ptrIxEEEEPS6_NSA_18transform_iteratorI7is_evenIxESF_NSA_11use_defaultESK_EENS0_5tupleIJSF_NSA_16discard_iteratorISK_EEEEENSM_IJSG_SG_EEES6_PlJS6_EEE10hipError_tPvRmT3_T4_T5_T6_T7_T9_mT8_P12ihipStream_tbDpT10_ENKUlT_T0_E_clISt17integral_constantIbLb1EES1A_IbLb0EEEEDaS16_S17_EUlS16_E_NS1_11comp_targetILNS1_3genE8ELNS1_11target_archE1030ELNS1_3gpuE2ELNS1_3repE0EEENS1_30default_config_static_selectorELNS0_4arch9wavefront6targetE1EEEvT1_,@function
_ZN7rocprim17ROCPRIM_400000_NS6detail17trampoline_kernelINS0_14default_configENS1_25partition_config_selectorILNS1_17partition_subalgoE1ExNS0_10empty_typeEbEEZZNS1_14partition_implILS5_1ELb0ES3_jN6thrust23THRUST_200600_302600_NS6detail15normal_iteratorINSA_10device_ptrIxEEEEPS6_NSA_18transform_iteratorI7is_evenIxESF_NSA_11use_defaultESK_EENS0_5tupleIJSF_NSA_16discard_iteratorISK_EEEEENSM_IJSG_SG_EEES6_PlJS6_EEE10hipError_tPvRmT3_T4_T5_T6_T7_T9_mT8_P12ihipStream_tbDpT10_ENKUlT_T0_E_clISt17integral_constantIbLb1EES1A_IbLb0EEEEDaS16_S17_EUlS16_E_NS1_11comp_targetILNS1_3genE8ELNS1_11target_archE1030ELNS1_3gpuE2ELNS1_3repE0EEENS1_30default_config_static_selectorELNS0_4arch9wavefront6targetE1EEEvT1_: ; @_ZN7rocprim17ROCPRIM_400000_NS6detail17trampoline_kernelINS0_14default_configENS1_25partition_config_selectorILNS1_17partition_subalgoE1ExNS0_10empty_typeEbEEZZNS1_14partition_implILS5_1ELb0ES3_jN6thrust23THRUST_200600_302600_NS6detail15normal_iteratorINSA_10device_ptrIxEEEEPS6_NSA_18transform_iteratorI7is_evenIxESF_NSA_11use_defaultESK_EENS0_5tupleIJSF_NSA_16discard_iteratorISK_EEEEENSM_IJSG_SG_EEES6_PlJS6_EEE10hipError_tPvRmT3_T4_T5_T6_T7_T9_mT8_P12ihipStream_tbDpT10_ENKUlT_T0_E_clISt17integral_constantIbLb1EES1A_IbLb0EEEEDaS16_S17_EUlS16_E_NS1_11comp_targetILNS1_3genE8ELNS1_11target_archE1030ELNS1_3gpuE2ELNS1_3repE0EEENS1_30default_config_static_selectorELNS0_4arch9wavefront6targetE1EEEvT1_
; %bb.0:
	.section	.rodata,"a",@progbits
	.p2align	6, 0x0
	.amdhsa_kernel _ZN7rocprim17ROCPRIM_400000_NS6detail17trampoline_kernelINS0_14default_configENS1_25partition_config_selectorILNS1_17partition_subalgoE1ExNS0_10empty_typeEbEEZZNS1_14partition_implILS5_1ELb0ES3_jN6thrust23THRUST_200600_302600_NS6detail15normal_iteratorINSA_10device_ptrIxEEEEPS6_NSA_18transform_iteratorI7is_evenIxESF_NSA_11use_defaultESK_EENS0_5tupleIJSF_NSA_16discard_iteratorISK_EEEEENSM_IJSG_SG_EEES6_PlJS6_EEE10hipError_tPvRmT3_T4_T5_T6_T7_T9_mT8_P12ihipStream_tbDpT10_ENKUlT_T0_E_clISt17integral_constantIbLb1EES1A_IbLb0EEEEDaS16_S17_EUlS16_E_NS1_11comp_targetILNS1_3genE8ELNS1_11target_archE1030ELNS1_3gpuE2ELNS1_3repE0EEENS1_30default_config_static_selectorELNS0_4arch9wavefront6targetE1EEEvT1_
		.amdhsa_group_segment_fixed_size 0
		.amdhsa_private_segment_fixed_size 0
		.amdhsa_kernarg_size 136
		.amdhsa_user_sgpr_count 6
		.amdhsa_user_sgpr_private_segment_buffer 1
		.amdhsa_user_sgpr_dispatch_ptr 0
		.amdhsa_user_sgpr_queue_ptr 0
		.amdhsa_user_sgpr_kernarg_segment_ptr 1
		.amdhsa_user_sgpr_dispatch_id 0
		.amdhsa_user_sgpr_flat_scratch_init 0
		.amdhsa_user_sgpr_kernarg_preload_length 0
		.amdhsa_user_sgpr_kernarg_preload_offset 0
		.amdhsa_user_sgpr_private_segment_size 0
		.amdhsa_uses_dynamic_stack 0
		.amdhsa_system_sgpr_private_segment_wavefront_offset 0
		.amdhsa_system_sgpr_workgroup_id_x 1
		.amdhsa_system_sgpr_workgroup_id_y 0
		.amdhsa_system_sgpr_workgroup_id_z 0
		.amdhsa_system_sgpr_workgroup_info 0
		.amdhsa_system_vgpr_workitem_id 0
		.amdhsa_next_free_vgpr 1
		.amdhsa_next_free_sgpr 0
		.amdhsa_accum_offset 4
		.amdhsa_reserve_vcc 0
		.amdhsa_reserve_flat_scratch 0
		.amdhsa_float_round_mode_32 0
		.amdhsa_float_round_mode_16_64 0
		.amdhsa_float_denorm_mode_32 3
		.amdhsa_float_denorm_mode_16_64 3
		.amdhsa_dx10_clamp 1
		.amdhsa_ieee_mode 1
		.amdhsa_fp16_overflow 0
		.amdhsa_tg_split 0
		.amdhsa_exception_fp_ieee_invalid_op 0
		.amdhsa_exception_fp_denorm_src 0
		.amdhsa_exception_fp_ieee_div_zero 0
		.amdhsa_exception_fp_ieee_overflow 0
		.amdhsa_exception_fp_ieee_underflow 0
		.amdhsa_exception_fp_ieee_inexact 0
		.amdhsa_exception_int_div_zero 0
	.end_amdhsa_kernel
	.section	.text._ZN7rocprim17ROCPRIM_400000_NS6detail17trampoline_kernelINS0_14default_configENS1_25partition_config_selectorILNS1_17partition_subalgoE1ExNS0_10empty_typeEbEEZZNS1_14partition_implILS5_1ELb0ES3_jN6thrust23THRUST_200600_302600_NS6detail15normal_iteratorINSA_10device_ptrIxEEEEPS6_NSA_18transform_iteratorI7is_evenIxESF_NSA_11use_defaultESK_EENS0_5tupleIJSF_NSA_16discard_iteratorISK_EEEEENSM_IJSG_SG_EEES6_PlJS6_EEE10hipError_tPvRmT3_T4_T5_T6_T7_T9_mT8_P12ihipStream_tbDpT10_ENKUlT_T0_E_clISt17integral_constantIbLb1EES1A_IbLb0EEEEDaS16_S17_EUlS16_E_NS1_11comp_targetILNS1_3genE8ELNS1_11target_archE1030ELNS1_3gpuE2ELNS1_3repE0EEENS1_30default_config_static_selectorELNS0_4arch9wavefront6targetE1EEEvT1_,"axG",@progbits,_ZN7rocprim17ROCPRIM_400000_NS6detail17trampoline_kernelINS0_14default_configENS1_25partition_config_selectorILNS1_17partition_subalgoE1ExNS0_10empty_typeEbEEZZNS1_14partition_implILS5_1ELb0ES3_jN6thrust23THRUST_200600_302600_NS6detail15normal_iteratorINSA_10device_ptrIxEEEEPS6_NSA_18transform_iteratorI7is_evenIxESF_NSA_11use_defaultESK_EENS0_5tupleIJSF_NSA_16discard_iteratorISK_EEEEENSM_IJSG_SG_EEES6_PlJS6_EEE10hipError_tPvRmT3_T4_T5_T6_T7_T9_mT8_P12ihipStream_tbDpT10_ENKUlT_T0_E_clISt17integral_constantIbLb1EES1A_IbLb0EEEEDaS16_S17_EUlS16_E_NS1_11comp_targetILNS1_3genE8ELNS1_11target_archE1030ELNS1_3gpuE2ELNS1_3repE0EEENS1_30default_config_static_selectorELNS0_4arch9wavefront6targetE1EEEvT1_,comdat
.Lfunc_end3218:
	.size	_ZN7rocprim17ROCPRIM_400000_NS6detail17trampoline_kernelINS0_14default_configENS1_25partition_config_selectorILNS1_17partition_subalgoE1ExNS0_10empty_typeEbEEZZNS1_14partition_implILS5_1ELb0ES3_jN6thrust23THRUST_200600_302600_NS6detail15normal_iteratorINSA_10device_ptrIxEEEEPS6_NSA_18transform_iteratorI7is_evenIxESF_NSA_11use_defaultESK_EENS0_5tupleIJSF_NSA_16discard_iteratorISK_EEEEENSM_IJSG_SG_EEES6_PlJS6_EEE10hipError_tPvRmT3_T4_T5_T6_T7_T9_mT8_P12ihipStream_tbDpT10_ENKUlT_T0_E_clISt17integral_constantIbLb1EES1A_IbLb0EEEEDaS16_S17_EUlS16_E_NS1_11comp_targetILNS1_3genE8ELNS1_11target_archE1030ELNS1_3gpuE2ELNS1_3repE0EEENS1_30default_config_static_selectorELNS0_4arch9wavefront6targetE1EEEvT1_, .Lfunc_end3218-_ZN7rocprim17ROCPRIM_400000_NS6detail17trampoline_kernelINS0_14default_configENS1_25partition_config_selectorILNS1_17partition_subalgoE1ExNS0_10empty_typeEbEEZZNS1_14partition_implILS5_1ELb0ES3_jN6thrust23THRUST_200600_302600_NS6detail15normal_iteratorINSA_10device_ptrIxEEEEPS6_NSA_18transform_iteratorI7is_evenIxESF_NSA_11use_defaultESK_EENS0_5tupleIJSF_NSA_16discard_iteratorISK_EEEEENSM_IJSG_SG_EEES6_PlJS6_EEE10hipError_tPvRmT3_T4_T5_T6_T7_T9_mT8_P12ihipStream_tbDpT10_ENKUlT_T0_E_clISt17integral_constantIbLb1EES1A_IbLb0EEEEDaS16_S17_EUlS16_E_NS1_11comp_targetILNS1_3genE8ELNS1_11target_archE1030ELNS1_3gpuE2ELNS1_3repE0EEENS1_30default_config_static_selectorELNS0_4arch9wavefront6targetE1EEEvT1_
                                        ; -- End function
	.section	.AMDGPU.csdata,"",@progbits
; Kernel info:
; codeLenInByte = 0
; NumSgprs: 4
; NumVgprs: 0
; NumAgprs: 0
; TotalNumVgprs: 0
; ScratchSize: 0
; MemoryBound: 0
; FloatMode: 240
; IeeeMode: 1
; LDSByteSize: 0 bytes/workgroup (compile time only)
; SGPRBlocks: 0
; VGPRBlocks: 0
; NumSGPRsForWavesPerEU: 4
; NumVGPRsForWavesPerEU: 1
; AccumOffset: 4
; Occupancy: 8
; WaveLimiterHint : 0
; COMPUTE_PGM_RSRC2:SCRATCH_EN: 0
; COMPUTE_PGM_RSRC2:USER_SGPR: 6
; COMPUTE_PGM_RSRC2:TRAP_HANDLER: 0
; COMPUTE_PGM_RSRC2:TGID_X_EN: 1
; COMPUTE_PGM_RSRC2:TGID_Y_EN: 0
; COMPUTE_PGM_RSRC2:TGID_Z_EN: 0
; COMPUTE_PGM_RSRC2:TIDIG_COMP_CNT: 0
; COMPUTE_PGM_RSRC3_GFX90A:ACCUM_OFFSET: 0
; COMPUTE_PGM_RSRC3_GFX90A:TG_SPLIT: 0
	.section	.text._ZN7rocprim17ROCPRIM_400000_NS6detail17trampoline_kernelINS0_14default_configENS1_25partition_config_selectorILNS1_17partition_subalgoE1ExNS0_10empty_typeEbEEZZNS1_14partition_implILS5_1ELb0ES3_jN6thrust23THRUST_200600_302600_NS6detail15normal_iteratorINSA_10device_ptrIxEEEEPS6_NSA_18transform_iteratorI7is_evenIxESF_NSA_11use_defaultESK_EENS0_5tupleIJSF_NSA_16discard_iteratorISK_EEEEENSM_IJSG_SG_EEES6_PlJS6_EEE10hipError_tPvRmT3_T4_T5_T6_T7_T9_mT8_P12ihipStream_tbDpT10_ENKUlT_T0_E_clISt17integral_constantIbLb0EES1A_IbLb1EEEEDaS16_S17_EUlS16_E_NS1_11comp_targetILNS1_3genE0ELNS1_11target_archE4294967295ELNS1_3gpuE0ELNS1_3repE0EEENS1_30default_config_static_selectorELNS0_4arch9wavefront6targetE1EEEvT1_,"axG",@progbits,_ZN7rocprim17ROCPRIM_400000_NS6detail17trampoline_kernelINS0_14default_configENS1_25partition_config_selectorILNS1_17partition_subalgoE1ExNS0_10empty_typeEbEEZZNS1_14partition_implILS5_1ELb0ES3_jN6thrust23THRUST_200600_302600_NS6detail15normal_iteratorINSA_10device_ptrIxEEEEPS6_NSA_18transform_iteratorI7is_evenIxESF_NSA_11use_defaultESK_EENS0_5tupleIJSF_NSA_16discard_iteratorISK_EEEEENSM_IJSG_SG_EEES6_PlJS6_EEE10hipError_tPvRmT3_T4_T5_T6_T7_T9_mT8_P12ihipStream_tbDpT10_ENKUlT_T0_E_clISt17integral_constantIbLb0EES1A_IbLb1EEEEDaS16_S17_EUlS16_E_NS1_11comp_targetILNS1_3genE0ELNS1_11target_archE4294967295ELNS1_3gpuE0ELNS1_3repE0EEENS1_30default_config_static_selectorELNS0_4arch9wavefront6targetE1EEEvT1_,comdat
	.protected	_ZN7rocprim17ROCPRIM_400000_NS6detail17trampoline_kernelINS0_14default_configENS1_25partition_config_selectorILNS1_17partition_subalgoE1ExNS0_10empty_typeEbEEZZNS1_14partition_implILS5_1ELb0ES3_jN6thrust23THRUST_200600_302600_NS6detail15normal_iteratorINSA_10device_ptrIxEEEEPS6_NSA_18transform_iteratorI7is_evenIxESF_NSA_11use_defaultESK_EENS0_5tupleIJSF_NSA_16discard_iteratorISK_EEEEENSM_IJSG_SG_EEES6_PlJS6_EEE10hipError_tPvRmT3_T4_T5_T6_T7_T9_mT8_P12ihipStream_tbDpT10_ENKUlT_T0_E_clISt17integral_constantIbLb0EES1A_IbLb1EEEEDaS16_S17_EUlS16_E_NS1_11comp_targetILNS1_3genE0ELNS1_11target_archE4294967295ELNS1_3gpuE0ELNS1_3repE0EEENS1_30default_config_static_selectorELNS0_4arch9wavefront6targetE1EEEvT1_ ; -- Begin function _ZN7rocprim17ROCPRIM_400000_NS6detail17trampoline_kernelINS0_14default_configENS1_25partition_config_selectorILNS1_17partition_subalgoE1ExNS0_10empty_typeEbEEZZNS1_14partition_implILS5_1ELb0ES3_jN6thrust23THRUST_200600_302600_NS6detail15normal_iteratorINSA_10device_ptrIxEEEEPS6_NSA_18transform_iteratorI7is_evenIxESF_NSA_11use_defaultESK_EENS0_5tupleIJSF_NSA_16discard_iteratorISK_EEEEENSM_IJSG_SG_EEES6_PlJS6_EEE10hipError_tPvRmT3_T4_T5_T6_T7_T9_mT8_P12ihipStream_tbDpT10_ENKUlT_T0_E_clISt17integral_constantIbLb0EES1A_IbLb1EEEEDaS16_S17_EUlS16_E_NS1_11comp_targetILNS1_3genE0ELNS1_11target_archE4294967295ELNS1_3gpuE0ELNS1_3repE0EEENS1_30default_config_static_selectorELNS0_4arch9wavefront6targetE1EEEvT1_
	.globl	_ZN7rocprim17ROCPRIM_400000_NS6detail17trampoline_kernelINS0_14default_configENS1_25partition_config_selectorILNS1_17partition_subalgoE1ExNS0_10empty_typeEbEEZZNS1_14partition_implILS5_1ELb0ES3_jN6thrust23THRUST_200600_302600_NS6detail15normal_iteratorINSA_10device_ptrIxEEEEPS6_NSA_18transform_iteratorI7is_evenIxESF_NSA_11use_defaultESK_EENS0_5tupleIJSF_NSA_16discard_iteratorISK_EEEEENSM_IJSG_SG_EEES6_PlJS6_EEE10hipError_tPvRmT3_T4_T5_T6_T7_T9_mT8_P12ihipStream_tbDpT10_ENKUlT_T0_E_clISt17integral_constantIbLb0EES1A_IbLb1EEEEDaS16_S17_EUlS16_E_NS1_11comp_targetILNS1_3genE0ELNS1_11target_archE4294967295ELNS1_3gpuE0ELNS1_3repE0EEENS1_30default_config_static_selectorELNS0_4arch9wavefront6targetE1EEEvT1_
	.p2align	8
	.type	_ZN7rocprim17ROCPRIM_400000_NS6detail17trampoline_kernelINS0_14default_configENS1_25partition_config_selectorILNS1_17partition_subalgoE1ExNS0_10empty_typeEbEEZZNS1_14partition_implILS5_1ELb0ES3_jN6thrust23THRUST_200600_302600_NS6detail15normal_iteratorINSA_10device_ptrIxEEEEPS6_NSA_18transform_iteratorI7is_evenIxESF_NSA_11use_defaultESK_EENS0_5tupleIJSF_NSA_16discard_iteratorISK_EEEEENSM_IJSG_SG_EEES6_PlJS6_EEE10hipError_tPvRmT3_T4_T5_T6_T7_T9_mT8_P12ihipStream_tbDpT10_ENKUlT_T0_E_clISt17integral_constantIbLb0EES1A_IbLb1EEEEDaS16_S17_EUlS16_E_NS1_11comp_targetILNS1_3genE0ELNS1_11target_archE4294967295ELNS1_3gpuE0ELNS1_3repE0EEENS1_30default_config_static_selectorELNS0_4arch9wavefront6targetE1EEEvT1_,@function
_ZN7rocprim17ROCPRIM_400000_NS6detail17trampoline_kernelINS0_14default_configENS1_25partition_config_selectorILNS1_17partition_subalgoE1ExNS0_10empty_typeEbEEZZNS1_14partition_implILS5_1ELb0ES3_jN6thrust23THRUST_200600_302600_NS6detail15normal_iteratorINSA_10device_ptrIxEEEEPS6_NSA_18transform_iteratorI7is_evenIxESF_NSA_11use_defaultESK_EENS0_5tupleIJSF_NSA_16discard_iteratorISK_EEEEENSM_IJSG_SG_EEES6_PlJS6_EEE10hipError_tPvRmT3_T4_T5_T6_T7_T9_mT8_P12ihipStream_tbDpT10_ENKUlT_T0_E_clISt17integral_constantIbLb0EES1A_IbLb1EEEEDaS16_S17_EUlS16_E_NS1_11comp_targetILNS1_3genE0ELNS1_11target_archE4294967295ELNS1_3gpuE0ELNS1_3repE0EEENS1_30default_config_static_selectorELNS0_4arch9wavefront6targetE1EEEvT1_: ; @_ZN7rocprim17ROCPRIM_400000_NS6detail17trampoline_kernelINS0_14default_configENS1_25partition_config_selectorILNS1_17partition_subalgoE1ExNS0_10empty_typeEbEEZZNS1_14partition_implILS5_1ELb0ES3_jN6thrust23THRUST_200600_302600_NS6detail15normal_iteratorINSA_10device_ptrIxEEEEPS6_NSA_18transform_iteratorI7is_evenIxESF_NSA_11use_defaultESK_EENS0_5tupleIJSF_NSA_16discard_iteratorISK_EEEEENSM_IJSG_SG_EEES6_PlJS6_EEE10hipError_tPvRmT3_T4_T5_T6_T7_T9_mT8_P12ihipStream_tbDpT10_ENKUlT_T0_E_clISt17integral_constantIbLb0EES1A_IbLb1EEEEDaS16_S17_EUlS16_E_NS1_11comp_targetILNS1_3genE0ELNS1_11target_archE4294967295ELNS1_3gpuE0ELNS1_3repE0EEENS1_30default_config_static_selectorELNS0_4arch9wavefront6targetE1EEEvT1_
; %bb.0:
	.section	.rodata,"a",@progbits
	.p2align	6, 0x0
	.amdhsa_kernel _ZN7rocprim17ROCPRIM_400000_NS6detail17trampoline_kernelINS0_14default_configENS1_25partition_config_selectorILNS1_17partition_subalgoE1ExNS0_10empty_typeEbEEZZNS1_14partition_implILS5_1ELb0ES3_jN6thrust23THRUST_200600_302600_NS6detail15normal_iteratorINSA_10device_ptrIxEEEEPS6_NSA_18transform_iteratorI7is_evenIxESF_NSA_11use_defaultESK_EENS0_5tupleIJSF_NSA_16discard_iteratorISK_EEEEENSM_IJSG_SG_EEES6_PlJS6_EEE10hipError_tPvRmT3_T4_T5_T6_T7_T9_mT8_P12ihipStream_tbDpT10_ENKUlT_T0_E_clISt17integral_constantIbLb0EES1A_IbLb1EEEEDaS16_S17_EUlS16_E_NS1_11comp_targetILNS1_3genE0ELNS1_11target_archE4294967295ELNS1_3gpuE0ELNS1_3repE0EEENS1_30default_config_static_selectorELNS0_4arch9wavefront6targetE1EEEvT1_
		.amdhsa_group_segment_fixed_size 0
		.amdhsa_private_segment_fixed_size 0
		.amdhsa_kernarg_size 152
		.amdhsa_user_sgpr_count 6
		.amdhsa_user_sgpr_private_segment_buffer 1
		.amdhsa_user_sgpr_dispatch_ptr 0
		.amdhsa_user_sgpr_queue_ptr 0
		.amdhsa_user_sgpr_kernarg_segment_ptr 1
		.amdhsa_user_sgpr_dispatch_id 0
		.amdhsa_user_sgpr_flat_scratch_init 0
		.amdhsa_user_sgpr_kernarg_preload_length 0
		.amdhsa_user_sgpr_kernarg_preload_offset 0
		.amdhsa_user_sgpr_private_segment_size 0
		.amdhsa_uses_dynamic_stack 0
		.amdhsa_system_sgpr_private_segment_wavefront_offset 0
		.amdhsa_system_sgpr_workgroup_id_x 1
		.amdhsa_system_sgpr_workgroup_id_y 0
		.amdhsa_system_sgpr_workgroup_id_z 0
		.amdhsa_system_sgpr_workgroup_info 0
		.amdhsa_system_vgpr_workitem_id 0
		.amdhsa_next_free_vgpr 1
		.amdhsa_next_free_sgpr 0
		.amdhsa_accum_offset 4
		.amdhsa_reserve_vcc 0
		.amdhsa_reserve_flat_scratch 0
		.amdhsa_float_round_mode_32 0
		.amdhsa_float_round_mode_16_64 0
		.amdhsa_float_denorm_mode_32 3
		.amdhsa_float_denorm_mode_16_64 3
		.amdhsa_dx10_clamp 1
		.amdhsa_ieee_mode 1
		.amdhsa_fp16_overflow 0
		.amdhsa_tg_split 0
		.amdhsa_exception_fp_ieee_invalid_op 0
		.amdhsa_exception_fp_denorm_src 0
		.amdhsa_exception_fp_ieee_div_zero 0
		.amdhsa_exception_fp_ieee_overflow 0
		.amdhsa_exception_fp_ieee_underflow 0
		.amdhsa_exception_fp_ieee_inexact 0
		.amdhsa_exception_int_div_zero 0
	.end_amdhsa_kernel
	.section	.text._ZN7rocprim17ROCPRIM_400000_NS6detail17trampoline_kernelINS0_14default_configENS1_25partition_config_selectorILNS1_17partition_subalgoE1ExNS0_10empty_typeEbEEZZNS1_14partition_implILS5_1ELb0ES3_jN6thrust23THRUST_200600_302600_NS6detail15normal_iteratorINSA_10device_ptrIxEEEEPS6_NSA_18transform_iteratorI7is_evenIxESF_NSA_11use_defaultESK_EENS0_5tupleIJSF_NSA_16discard_iteratorISK_EEEEENSM_IJSG_SG_EEES6_PlJS6_EEE10hipError_tPvRmT3_T4_T5_T6_T7_T9_mT8_P12ihipStream_tbDpT10_ENKUlT_T0_E_clISt17integral_constantIbLb0EES1A_IbLb1EEEEDaS16_S17_EUlS16_E_NS1_11comp_targetILNS1_3genE0ELNS1_11target_archE4294967295ELNS1_3gpuE0ELNS1_3repE0EEENS1_30default_config_static_selectorELNS0_4arch9wavefront6targetE1EEEvT1_,"axG",@progbits,_ZN7rocprim17ROCPRIM_400000_NS6detail17trampoline_kernelINS0_14default_configENS1_25partition_config_selectorILNS1_17partition_subalgoE1ExNS0_10empty_typeEbEEZZNS1_14partition_implILS5_1ELb0ES3_jN6thrust23THRUST_200600_302600_NS6detail15normal_iteratorINSA_10device_ptrIxEEEEPS6_NSA_18transform_iteratorI7is_evenIxESF_NSA_11use_defaultESK_EENS0_5tupleIJSF_NSA_16discard_iteratorISK_EEEEENSM_IJSG_SG_EEES6_PlJS6_EEE10hipError_tPvRmT3_T4_T5_T6_T7_T9_mT8_P12ihipStream_tbDpT10_ENKUlT_T0_E_clISt17integral_constantIbLb0EES1A_IbLb1EEEEDaS16_S17_EUlS16_E_NS1_11comp_targetILNS1_3genE0ELNS1_11target_archE4294967295ELNS1_3gpuE0ELNS1_3repE0EEENS1_30default_config_static_selectorELNS0_4arch9wavefront6targetE1EEEvT1_,comdat
.Lfunc_end3219:
	.size	_ZN7rocprim17ROCPRIM_400000_NS6detail17trampoline_kernelINS0_14default_configENS1_25partition_config_selectorILNS1_17partition_subalgoE1ExNS0_10empty_typeEbEEZZNS1_14partition_implILS5_1ELb0ES3_jN6thrust23THRUST_200600_302600_NS6detail15normal_iteratorINSA_10device_ptrIxEEEEPS6_NSA_18transform_iteratorI7is_evenIxESF_NSA_11use_defaultESK_EENS0_5tupleIJSF_NSA_16discard_iteratorISK_EEEEENSM_IJSG_SG_EEES6_PlJS6_EEE10hipError_tPvRmT3_T4_T5_T6_T7_T9_mT8_P12ihipStream_tbDpT10_ENKUlT_T0_E_clISt17integral_constantIbLb0EES1A_IbLb1EEEEDaS16_S17_EUlS16_E_NS1_11comp_targetILNS1_3genE0ELNS1_11target_archE4294967295ELNS1_3gpuE0ELNS1_3repE0EEENS1_30default_config_static_selectorELNS0_4arch9wavefront6targetE1EEEvT1_, .Lfunc_end3219-_ZN7rocprim17ROCPRIM_400000_NS6detail17trampoline_kernelINS0_14default_configENS1_25partition_config_selectorILNS1_17partition_subalgoE1ExNS0_10empty_typeEbEEZZNS1_14partition_implILS5_1ELb0ES3_jN6thrust23THRUST_200600_302600_NS6detail15normal_iteratorINSA_10device_ptrIxEEEEPS6_NSA_18transform_iteratorI7is_evenIxESF_NSA_11use_defaultESK_EENS0_5tupleIJSF_NSA_16discard_iteratorISK_EEEEENSM_IJSG_SG_EEES6_PlJS6_EEE10hipError_tPvRmT3_T4_T5_T6_T7_T9_mT8_P12ihipStream_tbDpT10_ENKUlT_T0_E_clISt17integral_constantIbLb0EES1A_IbLb1EEEEDaS16_S17_EUlS16_E_NS1_11comp_targetILNS1_3genE0ELNS1_11target_archE4294967295ELNS1_3gpuE0ELNS1_3repE0EEENS1_30default_config_static_selectorELNS0_4arch9wavefront6targetE1EEEvT1_
                                        ; -- End function
	.section	.AMDGPU.csdata,"",@progbits
; Kernel info:
; codeLenInByte = 0
; NumSgprs: 4
; NumVgprs: 0
; NumAgprs: 0
; TotalNumVgprs: 0
; ScratchSize: 0
; MemoryBound: 0
; FloatMode: 240
; IeeeMode: 1
; LDSByteSize: 0 bytes/workgroup (compile time only)
; SGPRBlocks: 0
; VGPRBlocks: 0
; NumSGPRsForWavesPerEU: 4
; NumVGPRsForWavesPerEU: 1
; AccumOffset: 4
; Occupancy: 8
; WaveLimiterHint : 0
; COMPUTE_PGM_RSRC2:SCRATCH_EN: 0
; COMPUTE_PGM_RSRC2:USER_SGPR: 6
; COMPUTE_PGM_RSRC2:TRAP_HANDLER: 0
; COMPUTE_PGM_RSRC2:TGID_X_EN: 1
; COMPUTE_PGM_RSRC2:TGID_Y_EN: 0
; COMPUTE_PGM_RSRC2:TGID_Z_EN: 0
; COMPUTE_PGM_RSRC2:TIDIG_COMP_CNT: 0
; COMPUTE_PGM_RSRC3_GFX90A:ACCUM_OFFSET: 0
; COMPUTE_PGM_RSRC3_GFX90A:TG_SPLIT: 0
	.section	.text._ZN7rocprim17ROCPRIM_400000_NS6detail17trampoline_kernelINS0_14default_configENS1_25partition_config_selectorILNS1_17partition_subalgoE1ExNS0_10empty_typeEbEEZZNS1_14partition_implILS5_1ELb0ES3_jN6thrust23THRUST_200600_302600_NS6detail15normal_iteratorINSA_10device_ptrIxEEEEPS6_NSA_18transform_iteratorI7is_evenIxESF_NSA_11use_defaultESK_EENS0_5tupleIJSF_NSA_16discard_iteratorISK_EEEEENSM_IJSG_SG_EEES6_PlJS6_EEE10hipError_tPvRmT3_T4_T5_T6_T7_T9_mT8_P12ihipStream_tbDpT10_ENKUlT_T0_E_clISt17integral_constantIbLb0EES1A_IbLb1EEEEDaS16_S17_EUlS16_E_NS1_11comp_targetILNS1_3genE5ELNS1_11target_archE942ELNS1_3gpuE9ELNS1_3repE0EEENS1_30default_config_static_selectorELNS0_4arch9wavefront6targetE1EEEvT1_,"axG",@progbits,_ZN7rocprim17ROCPRIM_400000_NS6detail17trampoline_kernelINS0_14default_configENS1_25partition_config_selectorILNS1_17partition_subalgoE1ExNS0_10empty_typeEbEEZZNS1_14partition_implILS5_1ELb0ES3_jN6thrust23THRUST_200600_302600_NS6detail15normal_iteratorINSA_10device_ptrIxEEEEPS6_NSA_18transform_iteratorI7is_evenIxESF_NSA_11use_defaultESK_EENS0_5tupleIJSF_NSA_16discard_iteratorISK_EEEEENSM_IJSG_SG_EEES6_PlJS6_EEE10hipError_tPvRmT3_T4_T5_T6_T7_T9_mT8_P12ihipStream_tbDpT10_ENKUlT_T0_E_clISt17integral_constantIbLb0EES1A_IbLb1EEEEDaS16_S17_EUlS16_E_NS1_11comp_targetILNS1_3genE5ELNS1_11target_archE942ELNS1_3gpuE9ELNS1_3repE0EEENS1_30default_config_static_selectorELNS0_4arch9wavefront6targetE1EEEvT1_,comdat
	.protected	_ZN7rocprim17ROCPRIM_400000_NS6detail17trampoline_kernelINS0_14default_configENS1_25partition_config_selectorILNS1_17partition_subalgoE1ExNS0_10empty_typeEbEEZZNS1_14partition_implILS5_1ELb0ES3_jN6thrust23THRUST_200600_302600_NS6detail15normal_iteratorINSA_10device_ptrIxEEEEPS6_NSA_18transform_iteratorI7is_evenIxESF_NSA_11use_defaultESK_EENS0_5tupleIJSF_NSA_16discard_iteratorISK_EEEEENSM_IJSG_SG_EEES6_PlJS6_EEE10hipError_tPvRmT3_T4_T5_T6_T7_T9_mT8_P12ihipStream_tbDpT10_ENKUlT_T0_E_clISt17integral_constantIbLb0EES1A_IbLb1EEEEDaS16_S17_EUlS16_E_NS1_11comp_targetILNS1_3genE5ELNS1_11target_archE942ELNS1_3gpuE9ELNS1_3repE0EEENS1_30default_config_static_selectorELNS0_4arch9wavefront6targetE1EEEvT1_ ; -- Begin function _ZN7rocprim17ROCPRIM_400000_NS6detail17trampoline_kernelINS0_14default_configENS1_25partition_config_selectorILNS1_17partition_subalgoE1ExNS0_10empty_typeEbEEZZNS1_14partition_implILS5_1ELb0ES3_jN6thrust23THRUST_200600_302600_NS6detail15normal_iteratorINSA_10device_ptrIxEEEEPS6_NSA_18transform_iteratorI7is_evenIxESF_NSA_11use_defaultESK_EENS0_5tupleIJSF_NSA_16discard_iteratorISK_EEEEENSM_IJSG_SG_EEES6_PlJS6_EEE10hipError_tPvRmT3_T4_T5_T6_T7_T9_mT8_P12ihipStream_tbDpT10_ENKUlT_T0_E_clISt17integral_constantIbLb0EES1A_IbLb1EEEEDaS16_S17_EUlS16_E_NS1_11comp_targetILNS1_3genE5ELNS1_11target_archE942ELNS1_3gpuE9ELNS1_3repE0EEENS1_30default_config_static_selectorELNS0_4arch9wavefront6targetE1EEEvT1_
	.globl	_ZN7rocprim17ROCPRIM_400000_NS6detail17trampoline_kernelINS0_14default_configENS1_25partition_config_selectorILNS1_17partition_subalgoE1ExNS0_10empty_typeEbEEZZNS1_14partition_implILS5_1ELb0ES3_jN6thrust23THRUST_200600_302600_NS6detail15normal_iteratorINSA_10device_ptrIxEEEEPS6_NSA_18transform_iteratorI7is_evenIxESF_NSA_11use_defaultESK_EENS0_5tupleIJSF_NSA_16discard_iteratorISK_EEEEENSM_IJSG_SG_EEES6_PlJS6_EEE10hipError_tPvRmT3_T4_T5_T6_T7_T9_mT8_P12ihipStream_tbDpT10_ENKUlT_T0_E_clISt17integral_constantIbLb0EES1A_IbLb1EEEEDaS16_S17_EUlS16_E_NS1_11comp_targetILNS1_3genE5ELNS1_11target_archE942ELNS1_3gpuE9ELNS1_3repE0EEENS1_30default_config_static_selectorELNS0_4arch9wavefront6targetE1EEEvT1_
	.p2align	8
	.type	_ZN7rocprim17ROCPRIM_400000_NS6detail17trampoline_kernelINS0_14default_configENS1_25partition_config_selectorILNS1_17partition_subalgoE1ExNS0_10empty_typeEbEEZZNS1_14partition_implILS5_1ELb0ES3_jN6thrust23THRUST_200600_302600_NS6detail15normal_iteratorINSA_10device_ptrIxEEEEPS6_NSA_18transform_iteratorI7is_evenIxESF_NSA_11use_defaultESK_EENS0_5tupleIJSF_NSA_16discard_iteratorISK_EEEEENSM_IJSG_SG_EEES6_PlJS6_EEE10hipError_tPvRmT3_T4_T5_T6_T7_T9_mT8_P12ihipStream_tbDpT10_ENKUlT_T0_E_clISt17integral_constantIbLb0EES1A_IbLb1EEEEDaS16_S17_EUlS16_E_NS1_11comp_targetILNS1_3genE5ELNS1_11target_archE942ELNS1_3gpuE9ELNS1_3repE0EEENS1_30default_config_static_selectorELNS0_4arch9wavefront6targetE1EEEvT1_,@function
_ZN7rocprim17ROCPRIM_400000_NS6detail17trampoline_kernelINS0_14default_configENS1_25partition_config_selectorILNS1_17partition_subalgoE1ExNS0_10empty_typeEbEEZZNS1_14partition_implILS5_1ELb0ES3_jN6thrust23THRUST_200600_302600_NS6detail15normal_iteratorINSA_10device_ptrIxEEEEPS6_NSA_18transform_iteratorI7is_evenIxESF_NSA_11use_defaultESK_EENS0_5tupleIJSF_NSA_16discard_iteratorISK_EEEEENSM_IJSG_SG_EEES6_PlJS6_EEE10hipError_tPvRmT3_T4_T5_T6_T7_T9_mT8_P12ihipStream_tbDpT10_ENKUlT_T0_E_clISt17integral_constantIbLb0EES1A_IbLb1EEEEDaS16_S17_EUlS16_E_NS1_11comp_targetILNS1_3genE5ELNS1_11target_archE942ELNS1_3gpuE9ELNS1_3repE0EEENS1_30default_config_static_selectorELNS0_4arch9wavefront6targetE1EEEvT1_: ; @_ZN7rocprim17ROCPRIM_400000_NS6detail17trampoline_kernelINS0_14default_configENS1_25partition_config_selectorILNS1_17partition_subalgoE1ExNS0_10empty_typeEbEEZZNS1_14partition_implILS5_1ELb0ES3_jN6thrust23THRUST_200600_302600_NS6detail15normal_iteratorINSA_10device_ptrIxEEEEPS6_NSA_18transform_iteratorI7is_evenIxESF_NSA_11use_defaultESK_EENS0_5tupleIJSF_NSA_16discard_iteratorISK_EEEEENSM_IJSG_SG_EEES6_PlJS6_EEE10hipError_tPvRmT3_T4_T5_T6_T7_T9_mT8_P12ihipStream_tbDpT10_ENKUlT_T0_E_clISt17integral_constantIbLb0EES1A_IbLb1EEEEDaS16_S17_EUlS16_E_NS1_11comp_targetILNS1_3genE5ELNS1_11target_archE942ELNS1_3gpuE9ELNS1_3repE0EEENS1_30default_config_static_selectorELNS0_4arch9wavefront6targetE1EEEvT1_
; %bb.0:
	.section	.rodata,"a",@progbits
	.p2align	6, 0x0
	.amdhsa_kernel _ZN7rocprim17ROCPRIM_400000_NS6detail17trampoline_kernelINS0_14default_configENS1_25partition_config_selectorILNS1_17partition_subalgoE1ExNS0_10empty_typeEbEEZZNS1_14partition_implILS5_1ELb0ES3_jN6thrust23THRUST_200600_302600_NS6detail15normal_iteratorINSA_10device_ptrIxEEEEPS6_NSA_18transform_iteratorI7is_evenIxESF_NSA_11use_defaultESK_EENS0_5tupleIJSF_NSA_16discard_iteratorISK_EEEEENSM_IJSG_SG_EEES6_PlJS6_EEE10hipError_tPvRmT3_T4_T5_T6_T7_T9_mT8_P12ihipStream_tbDpT10_ENKUlT_T0_E_clISt17integral_constantIbLb0EES1A_IbLb1EEEEDaS16_S17_EUlS16_E_NS1_11comp_targetILNS1_3genE5ELNS1_11target_archE942ELNS1_3gpuE9ELNS1_3repE0EEENS1_30default_config_static_selectorELNS0_4arch9wavefront6targetE1EEEvT1_
		.amdhsa_group_segment_fixed_size 0
		.amdhsa_private_segment_fixed_size 0
		.amdhsa_kernarg_size 152
		.amdhsa_user_sgpr_count 6
		.amdhsa_user_sgpr_private_segment_buffer 1
		.amdhsa_user_sgpr_dispatch_ptr 0
		.amdhsa_user_sgpr_queue_ptr 0
		.amdhsa_user_sgpr_kernarg_segment_ptr 1
		.amdhsa_user_sgpr_dispatch_id 0
		.amdhsa_user_sgpr_flat_scratch_init 0
		.amdhsa_user_sgpr_kernarg_preload_length 0
		.amdhsa_user_sgpr_kernarg_preload_offset 0
		.amdhsa_user_sgpr_private_segment_size 0
		.amdhsa_uses_dynamic_stack 0
		.amdhsa_system_sgpr_private_segment_wavefront_offset 0
		.amdhsa_system_sgpr_workgroup_id_x 1
		.amdhsa_system_sgpr_workgroup_id_y 0
		.amdhsa_system_sgpr_workgroup_id_z 0
		.amdhsa_system_sgpr_workgroup_info 0
		.amdhsa_system_vgpr_workitem_id 0
		.amdhsa_next_free_vgpr 1
		.amdhsa_next_free_sgpr 0
		.amdhsa_accum_offset 4
		.amdhsa_reserve_vcc 0
		.amdhsa_reserve_flat_scratch 0
		.amdhsa_float_round_mode_32 0
		.amdhsa_float_round_mode_16_64 0
		.amdhsa_float_denorm_mode_32 3
		.amdhsa_float_denorm_mode_16_64 3
		.amdhsa_dx10_clamp 1
		.amdhsa_ieee_mode 1
		.amdhsa_fp16_overflow 0
		.amdhsa_tg_split 0
		.amdhsa_exception_fp_ieee_invalid_op 0
		.amdhsa_exception_fp_denorm_src 0
		.amdhsa_exception_fp_ieee_div_zero 0
		.amdhsa_exception_fp_ieee_overflow 0
		.amdhsa_exception_fp_ieee_underflow 0
		.amdhsa_exception_fp_ieee_inexact 0
		.amdhsa_exception_int_div_zero 0
	.end_amdhsa_kernel
	.section	.text._ZN7rocprim17ROCPRIM_400000_NS6detail17trampoline_kernelINS0_14default_configENS1_25partition_config_selectorILNS1_17partition_subalgoE1ExNS0_10empty_typeEbEEZZNS1_14partition_implILS5_1ELb0ES3_jN6thrust23THRUST_200600_302600_NS6detail15normal_iteratorINSA_10device_ptrIxEEEEPS6_NSA_18transform_iteratorI7is_evenIxESF_NSA_11use_defaultESK_EENS0_5tupleIJSF_NSA_16discard_iteratorISK_EEEEENSM_IJSG_SG_EEES6_PlJS6_EEE10hipError_tPvRmT3_T4_T5_T6_T7_T9_mT8_P12ihipStream_tbDpT10_ENKUlT_T0_E_clISt17integral_constantIbLb0EES1A_IbLb1EEEEDaS16_S17_EUlS16_E_NS1_11comp_targetILNS1_3genE5ELNS1_11target_archE942ELNS1_3gpuE9ELNS1_3repE0EEENS1_30default_config_static_selectorELNS0_4arch9wavefront6targetE1EEEvT1_,"axG",@progbits,_ZN7rocprim17ROCPRIM_400000_NS6detail17trampoline_kernelINS0_14default_configENS1_25partition_config_selectorILNS1_17partition_subalgoE1ExNS0_10empty_typeEbEEZZNS1_14partition_implILS5_1ELb0ES3_jN6thrust23THRUST_200600_302600_NS6detail15normal_iteratorINSA_10device_ptrIxEEEEPS6_NSA_18transform_iteratorI7is_evenIxESF_NSA_11use_defaultESK_EENS0_5tupleIJSF_NSA_16discard_iteratorISK_EEEEENSM_IJSG_SG_EEES6_PlJS6_EEE10hipError_tPvRmT3_T4_T5_T6_T7_T9_mT8_P12ihipStream_tbDpT10_ENKUlT_T0_E_clISt17integral_constantIbLb0EES1A_IbLb1EEEEDaS16_S17_EUlS16_E_NS1_11comp_targetILNS1_3genE5ELNS1_11target_archE942ELNS1_3gpuE9ELNS1_3repE0EEENS1_30default_config_static_selectorELNS0_4arch9wavefront6targetE1EEEvT1_,comdat
.Lfunc_end3220:
	.size	_ZN7rocprim17ROCPRIM_400000_NS6detail17trampoline_kernelINS0_14default_configENS1_25partition_config_selectorILNS1_17partition_subalgoE1ExNS0_10empty_typeEbEEZZNS1_14partition_implILS5_1ELb0ES3_jN6thrust23THRUST_200600_302600_NS6detail15normal_iteratorINSA_10device_ptrIxEEEEPS6_NSA_18transform_iteratorI7is_evenIxESF_NSA_11use_defaultESK_EENS0_5tupleIJSF_NSA_16discard_iteratorISK_EEEEENSM_IJSG_SG_EEES6_PlJS6_EEE10hipError_tPvRmT3_T4_T5_T6_T7_T9_mT8_P12ihipStream_tbDpT10_ENKUlT_T0_E_clISt17integral_constantIbLb0EES1A_IbLb1EEEEDaS16_S17_EUlS16_E_NS1_11comp_targetILNS1_3genE5ELNS1_11target_archE942ELNS1_3gpuE9ELNS1_3repE0EEENS1_30default_config_static_selectorELNS0_4arch9wavefront6targetE1EEEvT1_, .Lfunc_end3220-_ZN7rocprim17ROCPRIM_400000_NS6detail17trampoline_kernelINS0_14default_configENS1_25partition_config_selectorILNS1_17partition_subalgoE1ExNS0_10empty_typeEbEEZZNS1_14partition_implILS5_1ELb0ES3_jN6thrust23THRUST_200600_302600_NS6detail15normal_iteratorINSA_10device_ptrIxEEEEPS6_NSA_18transform_iteratorI7is_evenIxESF_NSA_11use_defaultESK_EENS0_5tupleIJSF_NSA_16discard_iteratorISK_EEEEENSM_IJSG_SG_EEES6_PlJS6_EEE10hipError_tPvRmT3_T4_T5_T6_T7_T9_mT8_P12ihipStream_tbDpT10_ENKUlT_T0_E_clISt17integral_constantIbLb0EES1A_IbLb1EEEEDaS16_S17_EUlS16_E_NS1_11comp_targetILNS1_3genE5ELNS1_11target_archE942ELNS1_3gpuE9ELNS1_3repE0EEENS1_30default_config_static_selectorELNS0_4arch9wavefront6targetE1EEEvT1_
                                        ; -- End function
	.section	.AMDGPU.csdata,"",@progbits
; Kernel info:
; codeLenInByte = 0
; NumSgprs: 4
; NumVgprs: 0
; NumAgprs: 0
; TotalNumVgprs: 0
; ScratchSize: 0
; MemoryBound: 0
; FloatMode: 240
; IeeeMode: 1
; LDSByteSize: 0 bytes/workgroup (compile time only)
; SGPRBlocks: 0
; VGPRBlocks: 0
; NumSGPRsForWavesPerEU: 4
; NumVGPRsForWavesPerEU: 1
; AccumOffset: 4
; Occupancy: 8
; WaveLimiterHint : 0
; COMPUTE_PGM_RSRC2:SCRATCH_EN: 0
; COMPUTE_PGM_RSRC2:USER_SGPR: 6
; COMPUTE_PGM_RSRC2:TRAP_HANDLER: 0
; COMPUTE_PGM_RSRC2:TGID_X_EN: 1
; COMPUTE_PGM_RSRC2:TGID_Y_EN: 0
; COMPUTE_PGM_RSRC2:TGID_Z_EN: 0
; COMPUTE_PGM_RSRC2:TIDIG_COMP_CNT: 0
; COMPUTE_PGM_RSRC3_GFX90A:ACCUM_OFFSET: 0
; COMPUTE_PGM_RSRC3_GFX90A:TG_SPLIT: 0
	.section	.text._ZN7rocprim17ROCPRIM_400000_NS6detail17trampoline_kernelINS0_14default_configENS1_25partition_config_selectorILNS1_17partition_subalgoE1ExNS0_10empty_typeEbEEZZNS1_14partition_implILS5_1ELb0ES3_jN6thrust23THRUST_200600_302600_NS6detail15normal_iteratorINSA_10device_ptrIxEEEEPS6_NSA_18transform_iteratorI7is_evenIxESF_NSA_11use_defaultESK_EENS0_5tupleIJSF_NSA_16discard_iteratorISK_EEEEENSM_IJSG_SG_EEES6_PlJS6_EEE10hipError_tPvRmT3_T4_T5_T6_T7_T9_mT8_P12ihipStream_tbDpT10_ENKUlT_T0_E_clISt17integral_constantIbLb0EES1A_IbLb1EEEEDaS16_S17_EUlS16_E_NS1_11comp_targetILNS1_3genE4ELNS1_11target_archE910ELNS1_3gpuE8ELNS1_3repE0EEENS1_30default_config_static_selectorELNS0_4arch9wavefront6targetE1EEEvT1_,"axG",@progbits,_ZN7rocprim17ROCPRIM_400000_NS6detail17trampoline_kernelINS0_14default_configENS1_25partition_config_selectorILNS1_17partition_subalgoE1ExNS0_10empty_typeEbEEZZNS1_14partition_implILS5_1ELb0ES3_jN6thrust23THRUST_200600_302600_NS6detail15normal_iteratorINSA_10device_ptrIxEEEEPS6_NSA_18transform_iteratorI7is_evenIxESF_NSA_11use_defaultESK_EENS0_5tupleIJSF_NSA_16discard_iteratorISK_EEEEENSM_IJSG_SG_EEES6_PlJS6_EEE10hipError_tPvRmT3_T4_T5_T6_T7_T9_mT8_P12ihipStream_tbDpT10_ENKUlT_T0_E_clISt17integral_constantIbLb0EES1A_IbLb1EEEEDaS16_S17_EUlS16_E_NS1_11comp_targetILNS1_3genE4ELNS1_11target_archE910ELNS1_3gpuE8ELNS1_3repE0EEENS1_30default_config_static_selectorELNS0_4arch9wavefront6targetE1EEEvT1_,comdat
	.protected	_ZN7rocprim17ROCPRIM_400000_NS6detail17trampoline_kernelINS0_14default_configENS1_25partition_config_selectorILNS1_17partition_subalgoE1ExNS0_10empty_typeEbEEZZNS1_14partition_implILS5_1ELb0ES3_jN6thrust23THRUST_200600_302600_NS6detail15normal_iteratorINSA_10device_ptrIxEEEEPS6_NSA_18transform_iteratorI7is_evenIxESF_NSA_11use_defaultESK_EENS0_5tupleIJSF_NSA_16discard_iteratorISK_EEEEENSM_IJSG_SG_EEES6_PlJS6_EEE10hipError_tPvRmT3_T4_T5_T6_T7_T9_mT8_P12ihipStream_tbDpT10_ENKUlT_T0_E_clISt17integral_constantIbLb0EES1A_IbLb1EEEEDaS16_S17_EUlS16_E_NS1_11comp_targetILNS1_3genE4ELNS1_11target_archE910ELNS1_3gpuE8ELNS1_3repE0EEENS1_30default_config_static_selectorELNS0_4arch9wavefront6targetE1EEEvT1_ ; -- Begin function _ZN7rocprim17ROCPRIM_400000_NS6detail17trampoline_kernelINS0_14default_configENS1_25partition_config_selectorILNS1_17partition_subalgoE1ExNS0_10empty_typeEbEEZZNS1_14partition_implILS5_1ELb0ES3_jN6thrust23THRUST_200600_302600_NS6detail15normal_iteratorINSA_10device_ptrIxEEEEPS6_NSA_18transform_iteratorI7is_evenIxESF_NSA_11use_defaultESK_EENS0_5tupleIJSF_NSA_16discard_iteratorISK_EEEEENSM_IJSG_SG_EEES6_PlJS6_EEE10hipError_tPvRmT3_T4_T5_T6_T7_T9_mT8_P12ihipStream_tbDpT10_ENKUlT_T0_E_clISt17integral_constantIbLb0EES1A_IbLb1EEEEDaS16_S17_EUlS16_E_NS1_11comp_targetILNS1_3genE4ELNS1_11target_archE910ELNS1_3gpuE8ELNS1_3repE0EEENS1_30default_config_static_selectorELNS0_4arch9wavefront6targetE1EEEvT1_
	.globl	_ZN7rocprim17ROCPRIM_400000_NS6detail17trampoline_kernelINS0_14default_configENS1_25partition_config_selectorILNS1_17partition_subalgoE1ExNS0_10empty_typeEbEEZZNS1_14partition_implILS5_1ELb0ES3_jN6thrust23THRUST_200600_302600_NS6detail15normal_iteratorINSA_10device_ptrIxEEEEPS6_NSA_18transform_iteratorI7is_evenIxESF_NSA_11use_defaultESK_EENS0_5tupleIJSF_NSA_16discard_iteratorISK_EEEEENSM_IJSG_SG_EEES6_PlJS6_EEE10hipError_tPvRmT3_T4_T5_T6_T7_T9_mT8_P12ihipStream_tbDpT10_ENKUlT_T0_E_clISt17integral_constantIbLb0EES1A_IbLb1EEEEDaS16_S17_EUlS16_E_NS1_11comp_targetILNS1_3genE4ELNS1_11target_archE910ELNS1_3gpuE8ELNS1_3repE0EEENS1_30default_config_static_selectorELNS0_4arch9wavefront6targetE1EEEvT1_
	.p2align	8
	.type	_ZN7rocprim17ROCPRIM_400000_NS6detail17trampoline_kernelINS0_14default_configENS1_25partition_config_selectorILNS1_17partition_subalgoE1ExNS0_10empty_typeEbEEZZNS1_14partition_implILS5_1ELb0ES3_jN6thrust23THRUST_200600_302600_NS6detail15normal_iteratorINSA_10device_ptrIxEEEEPS6_NSA_18transform_iteratorI7is_evenIxESF_NSA_11use_defaultESK_EENS0_5tupleIJSF_NSA_16discard_iteratorISK_EEEEENSM_IJSG_SG_EEES6_PlJS6_EEE10hipError_tPvRmT3_T4_T5_T6_T7_T9_mT8_P12ihipStream_tbDpT10_ENKUlT_T0_E_clISt17integral_constantIbLb0EES1A_IbLb1EEEEDaS16_S17_EUlS16_E_NS1_11comp_targetILNS1_3genE4ELNS1_11target_archE910ELNS1_3gpuE8ELNS1_3repE0EEENS1_30default_config_static_selectorELNS0_4arch9wavefront6targetE1EEEvT1_,@function
_ZN7rocprim17ROCPRIM_400000_NS6detail17trampoline_kernelINS0_14default_configENS1_25partition_config_selectorILNS1_17partition_subalgoE1ExNS0_10empty_typeEbEEZZNS1_14partition_implILS5_1ELb0ES3_jN6thrust23THRUST_200600_302600_NS6detail15normal_iteratorINSA_10device_ptrIxEEEEPS6_NSA_18transform_iteratorI7is_evenIxESF_NSA_11use_defaultESK_EENS0_5tupleIJSF_NSA_16discard_iteratorISK_EEEEENSM_IJSG_SG_EEES6_PlJS6_EEE10hipError_tPvRmT3_T4_T5_T6_T7_T9_mT8_P12ihipStream_tbDpT10_ENKUlT_T0_E_clISt17integral_constantIbLb0EES1A_IbLb1EEEEDaS16_S17_EUlS16_E_NS1_11comp_targetILNS1_3genE4ELNS1_11target_archE910ELNS1_3gpuE8ELNS1_3repE0EEENS1_30default_config_static_selectorELNS0_4arch9wavefront6targetE1EEEvT1_: ; @_ZN7rocprim17ROCPRIM_400000_NS6detail17trampoline_kernelINS0_14default_configENS1_25partition_config_selectorILNS1_17partition_subalgoE1ExNS0_10empty_typeEbEEZZNS1_14partition_implILS5_1ELb0ES3_jN6thrust23THRUST_200600_302600_NS6detail15normal_iteratorINSA_10device_ptrIxEEEEPS6_NSA_18transform_iteratorI7is_evenIxESF_NSA_11use_defaultESK_EENS0_5tupleIJSF_NSA_16discard_iteratorISK_EEEEENSM_IJSG_SG_EEES6_PlJS6_EEE10hipError_tPvRmT3_T4_T5_T6_T7_T9_mT8_P12ihipStream_tbDpT10_ENKUlT_T0_E_clISt17integral_constantIbLb0EES1A_IbLb1EEEEDaS16_S17_EUlS16_E_NS1_11comp_targetILNS1_3genE4ELNS1_11target_archE910ELNS1_3gpuE8ELNS1_3repE0EEENS1_30default_config_static_selectorELNS0_4arch9wavefront6targetE1EEEvT1_
; %bb.0:
	s_load_dwordx2 s[6:7], s[4:5], 0x20
	s_load_dwordx2 s[18:19], s[4:5], 0x30
	;; [unrolled: 1-line block ×3, first 2 shown]
	s_load_dwordx4 s[20:23], s[4:5], 0x58
	s_load_dwordx2 s[24:25], s[4:5], 0x78
	v_cmp_eq_u32_e64 s[0:1], 0, v0
	s_and_saveexec_b64 s[8:9], s[0:1]
	s_cbranch_execz .LBB3221_4
; %bb.1:
	s_mov_b64 s[12:13], exec
	v_mbcnt_lo_u32_b32 v1, s12, 0
	v_mbcnt_hi_u32_b32 v1, s13, v1
	v_cmp_eq_u32_e32 vcc, 0, v1
                                        ; implicit-def: $vgpr2
	s_and_saveexec_b64 s[10:11], vcc
	s_cbranch_execz .LBB3221_3
; %bb.2:
	s_load_dwordx2 s[14:15], s[4:5], 0x88
	s_bcnt1_i32_b64 s12, s[12:13]
	v_mov_b32_e32 v2, 0
	v_mov_b32_e32 v3, s12
	s_waitcnt lgkmcnt(0)
	global_atomic_add v2, v2, v3, s[14:15] glc
.LBB3221_3:
	s_or_b64 exec, exec, s[10:11]
	s_waitcnt vmcnt(0)
	v_readfirstlane_b32 s10, v2
	v_add_u32_e32 v1, s10, v1
	v_mov_b32_e32 v2, 0
	ds_write_b32 v2, v1
.LBB3221_4:
	s_or_b64 exec, exec, s[8:9]
	v_mov_b32_e32 v1, 0
	s_load_dwordx4 s[8:11], s[4:5], 0x8
	s_load_dword s12, s[4:5], 0x80
	s_waitcnt lgkmcnt(0)
	s_barrier
	ds_read_b32 v4, v1
	s_waitcnt lgkmcnt(0)
	s_barrier
	global_load_dwordx2 v[10:11], v1, s[22:23]
	s_lshl_b64 s[4:5], s[10:11], 3
	v_mov_b32_e32 v3, s3
	s_add_u32 s13, s8, s4
	s_mul_i32 s3, s12, 0x300
	s_addc_u32 s14, s9, s5
	s_add_i32 s9, s3, s10
	s_sub_i32 s33, s2, s9
	s_add_i32 s15, s12, -1
	s_addk_i32 s33, 0x300
	v_mov_b32_e32 v2, s2
	s_add_u32 s2, s10, s3
	v_readfirstlane_b32 s36, v4
	s_addc_u32 s3, s11, 0
	s_cmp_eq_u32 s36, s15
	s_cselect_b64 s[22:23], -1, 0
	s_cmp_lg_u32 s36, s15
	s_mul_i32 s8, s36, 0x300
	s_mov_b32 s9, 0
	v_cmp_lt_u64_e32 vcc, s[2:3], v[2:3]
	s_cselect_b64 s[2:3], -1, 0
	s_or_b64 s[26:27], vcc, s[2:3]
	s_lshl_b64 s[8:9], s[8:9], 3
	s_add_u32 s12, s13, s8
	s_addc_u32 s13, s14, s9
	s_mov_b64 s[2:3], -1
	s_and_b64 vcc, exec, s[26:27]
	v_lshlrev_b32_e32 v1, 3, v0
	v_lshrrev_b32_e32 v12, 2, v0
	s_cbranch_vccz .LBB3221_6
; %bb.5:
	v_mov_b32_e32 v3, s13
	v_add_co_u32_e32 v2, vcc, s12, v1
	v_addc_co_u32_e32 v3, vcc, 0, v3, vcc
	v_add_co_u32_e32 v4, vcc, 0x1000, v2
	v_addc_co_u32_e32 v5, vcc, 0, v3, vcc
	flat_load_dwordx2 v[6:7], v[2:3]
	flat_load_dwordx2 v[8:9], v[2:3] offset:1536
	flat_load_dwordx2 v[14:15], v[2:3] offset:3072
	;; [unrolled: 1-line block ×3, first 2 shown]
	v_add_u32_e32 v3, 0xc0, v0
	v_add_u32_e32 v4, 0x180, v0
	;; [unrolled: 1-line block ×3, first 2 shown]
	v_and_b32_e32 v2, 56, v12
	v_lshrrev_b32_e32 v3, 2, v3
	v_lshrrev_b32_e32 v4, 2, v4
	;; [unrolled: 1-line block ×3, first 2 shown]
	v_add_u32_e32 v2, v2, v1
	v_and_b32_e32 v3, 0x78, v3
	v_and_b32_e32 v4, 0xf8, v4
	;; [unrolled: 1-line block ×3, first 2 shown]
	v_add_u32_e32 v3, v3, v1
	v_add_u32_e32 v4, v4, v1
	;; [unrolled: 1-line block ×3, first 2 shown]
	s_mov_b64 s[2:3], 0
	s_waitcnt vmcnt(0) lgkmcnt(0)
	ds_write_b64 v2, v[6:7]
	ds_write_b64 v3, v[8:9] offset:1536
	ds_write_b64 v4, v[14:15] offset:3072
	;; [unrolled: 1-line block ×3, first 2 shown]
	s_waitcnt lgkmcnt(0)
	s_barrier
.LBB3221_6:
	s_andn2_b64 vcc, exec, s[2:3]
	v_cmp_gt_u32_e64 s[2:3], s33, v0
	s_cbranch_vccnz .LBB3221_16
; %bb.7:
                                        ; implicit-def: $vgpr2_vgpr3_vgpr4_vgpr5_vgpr6_vgpr7_vgpr8_vgpr9
	s_and_saveexec_b64 s[10:11], s[2:3]
	s_cbranch_execz .LBB3221_9
; %bb.8:
	v_mov_b32_e32 v3, s13
	v_add_co_u32_e32 v2, vcc, s12, v1
	v_addc_co_u32_e32 v3, vcc, 0, v3, vcc
	flat_load_dwordx2 v[2:3], v[2:3]
.LBB3221_9:
	s_or_b64 exec, exec, s[10:11]
	v_add_u32_e32 v13, 0xc0, v0
	v_cmp_gt_u32_e32 vcc, s33, v13
	s_and_saveexec_b64 s[2:3], vcc
	s_cbranch_execz .LBB3221_11
; %bb.10:
	v_mov_b32_e32 v5, s13
	v_add_co_u32_e32 v4, vcc, s12, v1
	v_addc_co_u32_e32 v5, vcc, 0, v5, vcc
	flat_load_dwordx2 v[4:5], v[4:5] offset:1536
.LBB3221_11:
	s_or_b64 exec, exec, s[2:3]
	v_add_u32_e32 v14, 0x180, v0
	v_cmp_gt_u32_e32 vcc, s33, v14
	s_and_saveexec_b64 s[2:3], vcc
	s_cbranch_execz .LBB3221_13
; %bb.12:
	v_mov_b32_e32 v7, s13
	v_add_co_u32_e32 v6, vcc, s12, v1
	v_addc_co_u32_e32 v7, vcc, 0, v7, vcc
	flat_load_dwordx2 v[6:7], v[6:7] offset:3072
.LBB3221_13:
	s_or_b64 exec, exec, s[2:3]
	v_add_u32_e32 v15, 0x240, v0
	v_cmp_gt_u32_e32 vcc, s33, v15
	s_and_saveexec_b64 s[2:3], vcc
	s_cbranch_execz .LBB3221_15
; %bb.14:
	v_lshlrev_b32_e32 v8, 3, v15
	v_mov_b32_e32 v9, s13
	v_add_co_u32_e32 v8, vcc, s12, v8
	v_addc_co_u32_e32 v9, vcc, 0, v9, vcc
	flat_load_dwordx2 v[8:9], v[8:9]
.LBB3221_15:
	s_or_b64 exec, exec, s[2:3]
	v_and_b32_e32 v12, 56, v12
	v_add_u32_e32 v12, v12, v1
	s_waitcnt vmcnt(0) lgkmcnt(0)
	ds_write_b64 v12, v[2:3]
	v_lshrrev_b32_e32 v2, 2, v13
	v_and_b32_e32 v2, 0x78, v2
	v_add_u32_e32 v2, v2, v1
	ds_write_b64 v2, v[4:5] offset:1536
	v_lshrrev_b32_e32 v2, 2, v14
	v_and_b32_e32 v2, 0xf8, v2
	v_add_u32_e32 v2, v2, v1
	ds_write_b64 v2, v[6:7] offset:3072
	;; [unrolled: 4-line block ×3, first 2 shown]
	s_waitcnt lgkmcnt(0)
	s_barrier
.LBB3221_16:
	v_lshlrev_b32_e32 v22, 2, v0
	v_lshrrev_b32_e32 v12, 3, v0
	v_add_lshl_u32 v2, v12, v22, 3
	ds_read2_b64 v[6:9], v2 offset1:1
	ds_read2_b64 v[2:5], v2 offset0:2 offset1:3
	s_add_u32 s2, s6, s4
	s_addc_u32 s3, s7, s5
	s_add_u32 s2, s2, s8
	s_addc_u32 s3, s3, s9
	s_mov_b64 s[4:5], -1
	s_and_b64 vcc, exec, s[26:27]
	v_lshrrev_b32_e32 v13, 5, v0
	s_waitcnt lgkmcnt(0)
	s_barrier
	s_cbranch_vccz .LBB3221_18
; %bb.17:
	global_load_dwordx2 v[14:15], v1, s[2:3]
	global_load_dwordx2 v[16:17], v1, s[2:3] offset:1536
	global_load_dwordx2 v[18:19], v1, s[2:3] offset:3072
	v_mov_b32_e32 v20, s3
	s_waitcnt vmcnt(2)
	v_add_co_u32_e32 v15, vcc, s2, v1
	s_waitcnt vmcnt(1)
	v_addc_co_u32_e32 v17, vcc, 0, v20, vcc
	v_add_co_u32_e32 v20, vcc, 0x1000, v15
	v_addc_co_u32_e32 v21, vcc, 0, v17, vcc
	global_load_dwordx2 v[20:21], v[20:21], off offset:512
	v_add_u32_e32 v17, 0xc0, v0
	s_waitcnt vmcnt(1)
	v_add_u32_e32 v19, 0x180, v0
	v_and_b32_e32 v15, 4, v13
	s_waitcnt vmcnt(0)
	v_add_u32_e32 v21, 0x240, v0
	v_lshrrev_b32_e32 v17, 5, v17
	v_lshrrev_b32_e32 v19, 5, v19
	v_add_u32_e32 v15, v15, v0
	v_lshrrev_b32_e32 v21, 5, v21
	v_and_b32_e32 v17, 12, v17
	v_and_b32_e32 v19, 28, v19
	;; [unrolled: 1-line block ×3, first 2 shown]
	v_add_u32_e32 v17, v17, v0
	v_add_u32_e32 v19, v19, v0
	;; [unrolled: 1-line block ×3, first 2 shown]
	s_mov_b64 s[4:5], 0
	v_xor_b32_e32 v14, -1, v14
	v_xor_b32_e32 v16, -1, v16
	;; [unrolled: 1-line block ×3, first 2 shown]
	v_and_b32_e32 v14, 1, v14
	v_and_b32_e32 v16, 1, v16
	;; [unrolled: 1-line block ×3, first 2 shown]
	ds_write_b8 v15, v14
	ds_write_b8 v17, v16 offset:192
	ds_write_b8 v19, v18 offset:384
	v_xor_b32_e32 v14, -1, v20
	v_and_b32_e32 v14, 1, v14
	ds_write_b8 v21, v14 offset:576
	s_waitcnt lgkmcnt(0)
	s_barrier
.LBB3221_18:
	s_andn2_b64 vcc, exec, s[4:5]
	s_cbranch_vccnz .LBB3221_28
; %bb.19:
	v_cmp_gt_u32_e32 vcc, s33, v0
	v_mov_b32_e32 v14, 0
	v_mov_b32_e32 v15, 0
	s_and_saveexec_b64 s[4:5], vcc
	s_cbranch_execz .LBB3221_21
; %bb.20:
	global_load_dwordx2 v[16:17], v1, s[2:3]
	s_waitcnt vmcnt(0)
	v_xor_b32_e32 v15, -1, v16
	v_and_b32_e32 v15, 1, v15
.LBB3221_21:
	s_or_b64 exec, exec, s[4:5]
	v_add_u32_e32 v16, 0xc0, v0
	v_cmp_gt_u32_e32 vcc, s33, v16
	s_and_saveexec_b64 s[4:5], vcc
	s_cbranch_execz .LBB3221_23
; %bb.22:
	global_load_dwordx2 v[18:19], v1, s[2:3] offset:1536
	s_waitcnt vmcnt(0)
	v_xor_b32_e32 v14, -1, v18
	v_and_b32_e32 v14, 1, v14
.LBB3221_23:
	s_or_b64 exec, exec, s[4:5]
	v_add_u32_e32 v18, 0x180, v0
	v_cmp_gt_u32_e32 vcc, s33, v18
	v_mov_b32_e32 v17, 0
	v_mov_b32_e32 v19, 0
	s_and_saveexec_b64 s[4:5], vcc
	s_cbranch_execz .LBB3221_25
; %bb.24:
	global_load_dwordx2 v[20:21], v1, s[2:3] offset:3072
	s_waitcnt vmcnt(0)
	v_xor_b32_e32 v19, -1, v20
	v_and_b32_e32 v19, 1, v19
.LBB3221_25:
	s_or_b64 exec, exec, s[4:5]
	v_add_u32_e32 v20, 0x240, v0
	v_cmp_gt_u32_e32 vcc, s33, v20
	s_and_saveexec_b64 s[4:5], vcc
	s_cbranch_execz .LBB3221_27
; %bb.26:
	v_lshlrev_b32_e32 v17, 3, v20
	global_load_dwordx2 v[24:25], v17, s[2:3]
	s_waitcnt vmcnt(0)
	v_xor_b32_e32 v17, -1, v24
	v_and_b32_e32 v17, 1, v17
.LBB3221_27:
	s_or_b64 exec, exec, s[4:5]
	v_and_b32_e32 v13, 4, v13
	v_add_u32_e32 v13, v13, v0
	ds_write_b8 v13, v15
	v_lshrrev_b32_e32 v13, 5, v16
	v_and_b32_e32 v13, 12, v13
	v_add_u32_e32 v13, v13, v0
	ds_write_b8 v13, v14 offset:192
	v_lshrrev_b32_e32 v13, 5, v18
	v_and_b32_e32 v13, 28, v13
	v_add_u32_e32 v13, v13, v0
	ds_write_b8 v13, v19 offset:384
	;; [unrolled: 4-line block ×3, first 2 shown]
	s_waitcnt lgkmcnt(0)
	s_barrier
.LBB3221_28:
	v_and_b32_e32 v12, 28, v12
	v_add_u32_e32 v12, v12, v22
	ds_read_b32 v24, v12
	s_cmp_lg_u32 s36, 0
	v_lshrrev_b32_e32 v27, 6, v0
	s_waitcnt lgkmcnt(0)
	s_barrier
	v_lshrrev_b32_e32 v23, 24, v24
	v_bfe_u32 v25, v24, 16, 8
	v_add_u32_sdwa v12, v24, v24 dst_sel:DWORD dst_unused:UNUSED_PAD src0_sel:BYTE_1 src1_sel:BYTE_0
	v_add3_u32 v28, v12, v25, v23
	v_mbcnt_lo_u32_b32 v12, -1, 0
	v_mbcnt_hi_u32_b32 v26, -1, v12
	v_and_b32_e32 v12, 15, v26
	v_cmp_eq_u32_e64 s[14:15], 0, v12
	v_cmp_lt_u32_e64 s[12:13], 1, v12
	v_cmp_lt_u32_e64 s[10:11], 3, v12
	v_cmp_lt_u32_e64 s[8:9], 7, v12
	v_and_b32_e32 v12, 16, v26
	v_cmp_eq_u32_e64 s[4:5], 0, v12
	v_and_b32_e32 v12, 0xc0, v0
	v_min_u32_e32 v12, 0x80, v12
	v_or_b32_e32 v12, 63, v12
	v_cmp_lt_u32_e64 s[2:3], 31, v26
	v_cmp_eq_u32_e64 s[6:7], v12, v0
	s_cbranch_scc0 .LBB3221_55
; %bb.29:
	v_mov_b32_dpp v12, v28 row_shr:1 row_mask:0xf bank_mask:0xf
	v_cndmask_b32_e64 v12, v12, 0, s[14:15]
	v_add_u32_e32 v12, v12, v28
	s_nop 1
	v_mov_b32_dpp v13, v12 row_shr:2 row_mask:0xf bank_mask:0xf
	v_cndmask_b32_e64 v13, 0, v13, s[12:13]
	v_add_u32_e32 v12, v12, v13
	s_nop 1
	;; [unrolled: 4-line block ×4, first 2 shown]
	v_mov_b32_dpp v13, v12 row_bcast:15 row_mask:0xf bank_mask:0xf
	v_cndmask_b32_e64 v13, v13, 0, s[4:5]
	v_add_u32_e32 v12, v12, v13
	s_nop 1
	v_mov_b32_dpp v13, v12 row_bcast:31 row_mask:0xf bank_mask:0xf
	v_cndmask_b32_e64 v13, 0, v13, s[2:3]
	v_add_u32_e32 v12, v12, v13
	s_and_saveexec_b64 s[16:17], s[6:7]
	s_cbranch_execz .LBB3221_31
; %bb.30:
	v_lshlrev_b32_e32 v13, 2, v27
	ds_write_b32 v13, v12
.LBB3221_31:
	s_or_b64 exec, exec, s[16:17]
	v_cmp_gt_u32_e32 vcc, 3, v0
	s_waitcnt lgkmcnt(0)
	s_barrier
	s_and_saveexec_b64 s[16:17], vcc
	s_cbranch_execz .LBB3221_33
; %bb.32:
	ds_read_b32 v13, v22
	v_and_b32_e32 v14, 3, v26
	v_cmp_ne_u32_e32 vcc, 0, v14
	s_waitcnt lgkmcnt(0)
	v_mov_b32_dpp v15, v13 row_shr:1 row_mask:0xf bank_mask:0xf
	v_cndmask_b32_e32 v15, 0, v15, vcc
	v_add_u32_e32 v13, v15, v13
	v_cmp_lt_u32_e32 vcc, 1, v14
	s_nop 0
	v_mov_b32_dpp v15, v13 row_shr:2 row_mask:0xf bank_mask:0xf
	v_cndmask_b32_e32 v14, 0, v15, vcc
	v_add_u32_e32 v13, v13, v14
	ds_write_b32 v22, v13
.LBB3221_33:
	s_or_b64 exec, exec, s[16:17]
	v_cmp_gt_u32_e32 vcc, 64, v0
	v_cmp_lt_u32_e64 s[16:17], 63, v0
	s_waitcnt lgkmcnt(0)
	s_barrier
	s_waitcnt lgkmcnt(0)
                                        ; implicit-def: $vgpr29
	s_and_saveexec_b64 s[28:29], s[16:17]
	s_cbranch_execz .LBB3221_35
; %bb.34:
	v_lshl_add_u32 v13, v27, 2, -4
	ds_read_b32 v29, v13
	s_waitcnt lgkmcnt(0)
	v_add_u32_e32 v12, v29, v12
.LBB3221_35:
	s_or_b64 exec, exec, s[28:29]
	v_add_u32_e32 v13, -1, v26
	v_and_b32_e32 v14, 64, v26
	v_cmp_lt_i32_e64 s[16:17], v13, v14
	v_cndmask_b32_e64 v13, v13, v26, s[16:17]
	v_lshlrev_b32_e32 v13, 2, v13
	ds_bpermute_b32 v30, v13, v12
	v_cmp_eq_u32_e64 s[16:17], 0, v26
	s_and_saveexec_b64 s[28:29], vcc
	s_cbranch_execz .LBB3221_54
; %bb.36:
	v_mov_b32_e32 v19, 0
	ds_read_b32 v12, v19 offset:8
	s_and_saveexec_b64 s[30:31], s[16:17]
	s_cbranch_execz .LBB3221_38
; %bb.37:
	s_add_i32 s34, s36, 64
	s_mov_b32 s35, 0
	s_lshl_b64 s[34:35], s[34:35], 3
	s_add_u32 s34, s24, s34
	v_mov_b32_e32 v13, 1
	s_addc_u32 s35, s25, s35
	s_waitcnt lgkmcnt(0)
	global_store_dwordx2 v19, v[12:13], s[34:35]
.LBB3221_38:
	s_or_b64 exec, exec, s[30:31]
	v_xad_u32 v14, v26, -1, s36
	v_add_u32_e32 v18, 64, v14
	v_lshlrev_b64 v[16:17], 3, v[18:19]
	v_mov_b32_e32 v13, s25
	v_add_co_u32_e32 v20, vcc, s24, v16
	v_addc_co_u32_e32 v21, vcc, v13, v17, vcc
	global_load_dwordx2 v[16:17], v[20:21], off glc
	s_waitcnt vmcnt(0)
	v_cmp_eq_u16_sdwa s[34:35], v17, v19 src0_sel:BYTE_0 src1_sel:DWORD
	s_and_saveexec_b64 s[30:31], s[34:35]
	s_cbranch_execz .LBB3221_42
; %bb.39:
	s_mov_b64 s[34:35], 0
	v_mov_b32_e32 v13, 0
.LBB3221_40:                            ; =>This Inner Loop Header: Depth=1
	global_load_dwordx2 v[16:17], v[20:21], off glc
	s_waitcnt vmcnt(0)
	v_cmp_ne_u16_sdwa s[38:39], v17, v13 src0_sel:BYTE_0 src1_sel:DWORD
	s_or_b64 s[34:35], s[38:39], s[34:35]
	s_andn2_b64 exec, exec, s[34:35]
	s_cbranch_execnz .LBB3221_40
; %bb.41:
	s_or_b64 exec, exec, s[34:35]
.LBB3221_42:
	s_or_b64 exec, exec, s[30:31]
	v_and_b32_e32 v32, 63, v26
	v_mov_b32_e32 v31, 2
	v_cmp_ne_u32_e32 vcc, 63, v32
	v_cmp_eq_u16_sdwa s[30:31], v17, v31 src0_sel:BYTE_0 src1_sel:DWORD
	v_lshlrev_b64 v[18:19], v26, -1
	v_addc_co_u32_e32 v20, vcc, 0, v26, vcc
	v_and_b32_e32 v13, s31, v19
	v_lshlrev_b32_e32 v33, 2, v20
	v_or_b32_e32 v13, 0x80000000, v13
	ds_bpermute_b32 v20, v33, v16
	v_and_b32_e32 v15, s30, v18
	v_ffbl_b32_e32 v13, v13
	v_add_u32_e32 v13, 32, v13
	v_ffbl_b32_e32 v15, v15
	v_min_u32_e32 v13, v15, v13
	v_cmp_lt_u32_e32 vcc, v32, v13
	s_waitcnt lgkmcnt(0)
	v_cndmask_b32_e32 v15, 0, v20, vcc
	v_cmp_gt_u32_e32 vcc, 62, v32
	v_add_u32_e32 v15, v15, v16
	v_cndmask_b32_e64 v16, 0, 1, vcc
	v_lshlrev_b32_e32 v16, 1, v16
	v_add_lshl_u32 v34, v16, v26, 2
	ds_bpermute_b32 v16, v34, v15
	v_add_u32_e32 v35, 2, v32
	v_cmp_le_u32_e32 vcc, v35, v13
	v_add_u32_e32 v37, 4, v32
	v_add_u32_e32 v39, 8, v32
	s_waitcnt lgkmcnt(0)
	v_cndmask_b32_e32 v16, 0, v16, vcc
	v_cmp_gt_u32_e32 vcc, 60, v32
	v_add_u32_e32 v15, v15, v16
	v_cndmask_b32_e64 v16, 0, 1, vcc
	v_lshlrev_b32_e32 v16, 2, v16
	v_add_lshl_u32 v36, v16, v26, 2
	ds_bpermute_b32 v16, v36, v15
	v_cmp_le_u32_e32 vcc, v37, v13
	v_add_u32_e32 v41, 16, v32
	v_add_u32_e32 v43, 32, v32
	s_waitcnt lgkmcnt(0)
	v_cndmask_b32_e32 v16, 0, v16, vcc
	v_cmp_gt_u32_e32 vcc, 56, v32
	v_add_u32_e32 v15, v15, v16
	v_cndmask_b32_e64 v16, 0, 1, vcc
	v_lshlrev_b32_e32 v16, 3, v16
	v_add_lshl_u32 v38, v16, v26, 2
	ds_bpermute_b32 v16, v38, v15
	v_cmp_le_u32_e32 vcc, v39, v13
	s_waitcnt lgkmcnt(0)
	v_cndmask_b32_e32 v16, 0, v16, vcc
	v_cmp_gt_u32_e32 vcc, 48, v32
	v_add_u32_e32 v15, v15, v16
	v_cndmask_b32_e64 v16, 0, 1, vcc
	v_lshlrev_b32_e32 v16, 4, v16
	v_add_lshl_u32 v40, v16, v26, 2
	ds_bpermute_b32 v16, v40, v15
	v_cmp_le_u32_e32 vcc, v41, v13
	;; [unrolled: 9-line block ×3, first 2 shown]
	s_waitcnt lgkmcnt(0)
	v_cndmask_b32_e32 v13, 0, v16, vcc
	v_add_u32_e32 v16, v15, v13
	v_mov_b32_e32 v15, 0
	s_branch .LBB3221_44
.LBB3221_43:                            ;   in Loop: Header=BB3221_44 Depth=1
	s_or_b64 exec, exec, s[30:31]
	v_cmp_eq_u16_sdwa s[30:31], v17, v31 src0_sel:BYTE_0 src1_sel:DWORD
	v_and_b32_e32 v20, s31, v19
	v_or_b32_e32 v20, 0x80000000, v20
	ds_bpermute_b32 v44, v33, v16
	v_and_b32_e32 v21, s30, v18
	v_ffbl_b32_e32 v20, v20
	v_add_u32_e32 v20, 32, v20
	v_ffbl_b32_e32 v21, v21
	v_min_u32_e32 v20, v21, v20
	v_cmp_lt_u32_e32 vcc, v32, v20
	s_waitcnt lgkmcnt(0)
	v_cndmask_b32_e32 v21, 0, v44, vcc
	v_add_u32_e32 v16, v21, v16
	ds_bpermute_b32 v21, v34, v16
	v_cmp_le_u32_e32 vcc, v35, v20
	v_subrev_u32_e32 v14, 64, v14
	s_waitcnt lgkmcnt(0)
	v_cndmask_b32_e32 v21, 0, v21, vcc
	v_add_u32_e32 v16, v16, v21
	ds_bpermute_b32 v21, v36, v16
	v_cmp_le_u32_e32 vcc, v37, v20
	s_waitcnt lgkmcnt(0)
	v_cndmask_b32_e32 v21, 0, v21, vcc
	v_add_u32_e32 v16, v16, v21
	ds_bpermute_b32 v21, v38, v16
	v_cmp_le_u32_e32 vcc, v39, v20
	;; [unrolled: 5-line block ×4, first 2 shown]
	s_waitcnt lgkmcnt(0)
	v_cndmask_b32_e32 v20, 0, v21, vcc
	v_add3_u32 v16, v20, v13, v16
.LBB3221_44:                            ; =>This Loop Header: Depth=1
                                        ;     Child Loop BB3221_47 Depth 2
	v_cmp_ne_u16_sdwa s[30:31], v17, v31 src0_sel:BYTE_0 src1_sel:DWORD
	v_cndmask_b32_e64 v13, 0, 1, s[30:31]
	;;#ASMSTART
	;;#ASMEND
	v_cmp_ne_u32_e32 vcc, 0, v13
	s_cmp_lg_u64 vcc, exec
	v_mov_b32_e32 v13, v16
	s_cbranch_scc1 .LBB3221_49
; %bb.45:                               ;   in Loop: Header=BB3221_44 Depth=1
	v_lshlrev_b64 v[16:17], 3, v[14:15]
	v_mov_b32_e32 v21, s25
	v_add_co_u32_e32 v20, vcc, s24, v16
	v_addc_co_u32_e32 v21, vcc, v21, v17, vcc
	global_load_dwordx2 v[16:17], v[20:21], off glc
	s_waitcnt vmcnt(0)
	v_cmp_eq_u16_sdwa s[34:35], v17, v15 src0_sel:BYTE_0 src1_sel:DWORD
	s_and_saveexec_b64 s[30:31], s[34:35]
	s_cbranch_execz .LBB3221_43
; %bb.46:                               ;   in Loop: Header=BB3221_44 Depth=1
	s_mov_b64 s[34:35], 0
.LBB3221_47:                            ;   Parent Loop BB3221_44 Depth=1
                                        ; =>  This Inner Loop Header: Depth=2
	global_load_dwordx2 v[16:17], v[20:21], off glc
	s_waitcnt vmcnt(0)
	v_cmp_ne_u16_sdwa s[38:39], v17, v15 src0_sel:BYTE_0 src1_sel:DWORD
	s_or_b64 s[34:35], s[38:39], s[34:35]
	s_andn2_b64 exec, exec, s[34:35]
	s_cbranch_execnz .LBB3221_47
; %bb.48:                               ;   in Loop: Header=BB3221_44 Depth=1
	s_or_b64 exec, exec, s[34:35]
	s_branch .LBB3221_43
.LBB3221_49:                            ;   in Loop: Header=BB3221_44 Depth=1
                                        ; implicit-def: $vgpr16
                                        ; implicit-def: $vgpr17
	s_cbranch_execz .LBB3221_44
; %bb.50:
	s_and_saveexec_b64 s[30:31], s[16:17]
	s_cbranch_execz .LBB3221_52
; %bb.51:
	s_add_i32 s34, s36, 64
	s_mov_b32 s35, 0
	s_lshl_b64 s[34:35], s[34:35], 3
	s_add_u32 s34, s24, s34
	v_add_u32_e32 v14, v13, v12
	v_mov_b32_e32 v15, 2
	s_addc_u32 s35, s25, s35
	v_mov_b32_e32 v16, 0
	global_store_dwordx2 v16, v[14:15], s[34:35]
	ds_write_b64 v16, v[12:13] offset:6336
.LBB3221_52:
	s_or_b64 exec, exec, s[30:31]
	s_and_b64 exec, exec, s[0:1]
	s_cbranch_execz .LBB3221_54
; %bb.53:
	v_mov_b32_e32 v12, 0
	ds_write_b32 v12, v13 offset:8
.LBB3221_54:
	s_or_b64 exec, exec, s[28:29]
	v_mov_b32_e32 v12, 0
	s_waitcnt lgkmcnt(0)
	s_barrier
	ds_read_b32 v13, v12 offset:8
	v_cndmask_b32_e64 v14, v30, v29, s[16:17]
	v_cndmask_b32_e64 v14, v14, 0, s[0:1]
	s_waitcnt lgkmcnt(0)
	s_barrier
	v_add_u32_e32 v17, v13, v14
	ds_read_b64 v[12:13], v12 offset:6336
	v_add_u32_sdwa v18, v17, v24 dst_sel:DWORD dst_unused:UNUSED_PAD src0_sel:DWORD src1_sel:BYTE_0
	v_add_u32_sdwa v16, v18, v24 dst_sel:DWORD dst_unused:UNUSED_PAD src0_sel:DWORD src1_sel:BYTE_1
	v_add_u32_e32 v15, v16, v25
	s_waitcnt lgkmcnt(0)
	v_mov_b32_e32 v14, v13
	s_branch .LBB3221_65
.LBB3221_55:
                                        ; implicit-def: $vgpr14
                                        ; implicit-def: $vgpr12
                                        ; implicit-def: $vgpr15
                                        ; implicit-def: $vgpr16
                                        ; implicit-def: $vgpr18
                                        ; implicit-def: $vgpr17
	s_cbranch_execz .LBB3221_65
; %bb.56:
	s_nop 0
	v_mov_b32_dpp v12, v28 row_shr:1 row_mask:0xf bank_mask:0xf
	v_cndmask_b32_e64 v12, v12, 0, s[14:15]
	v_add_u32_e32 v12, v12, v28
	s_nop 1
	v_mov_b32_dpp v13, v12 row_shr:2 row_mask:0xf bank_mask:0xf
	v_cndmask_b32_e64 v13, 0, v13, s[12:13]
	v_add_u32_e32 v12, v12, v13
	s_nop 1
	v_mov_b32_dpp v13, v12 row_shr:4 row_mask:0xf bank_mask:0xf
	v_cndmask_b32_e64 v13, 0, v13, s[10:11]
	v_add_u32_e32 v12, v12, v13
	s_nop 1
	v_mov_b32_dpp v13, v12 row_shr:8 row_mask:0xf bank_mask:0xf
	v_cndmask_b32_e64 v13, 0, v13, s[8:9]
	v_add_u32_e32 v12, v12, v13
	s_nop 1
	v_mov_b32_dpp v13, v12 row_bcast:15 row_mask:0xf bank_mask:0xf
	v_cndmask_b32_e64 v13, v13, 0, s[4:5]
	v_add_u32_e32 v12, v12, v13
	s_nop 1
	v_mov_b32_dpp v13, v12 row_bcast:31 row_mask:0xf bank_mask:0xf
	v_cndmask_b32_e64 v13, 0, v13, s[2:3]
	v_add_u32_e32 v12, v12, v13
	s_and_saveexec_b64 s[2:3], s[6:7]
	s_cbranch_execz .LBB3221_58
; %bb.57:
	v_lshlrev_b32_e32 v13, 2, v27
	ds_write_b32 v13, v12
.LBB3221_58:
	s_or_b64 exec, exec, s[2:3]
	v_cmp_gt_u32_e32 vcc, 3, v0
	s_waitcnt lgkmcnt(0)
	s_barrier
	s_and_saveexec_b64 s[2:3], vcc
	s_cbranch_execz .LBB3221_60
; %bb.59:
	ds_read_b32 v13, v22
	v_and_b32_e32 v14, 3, v26
	v_cmp_ne_u32_e32 vcc, 0, v14
	s_waitcnt lgkmcnt(0)
	v_mov_b32_dpp v15, v13 row_shr:1 row_mask:0xf bank_mask:0xf
	v_cndmask_b32_e32 v15, 0, v15, vcc
	v_add_u32_e32 v13, v15, v13
	v_cmp_lt_u32_e32 vcc, 1, v14
	s_nop 0
	v_mov_b32_dpp v15, v13 row_shr:2 row_mask:0xf bank_mask:0xf
	v_cndmask_b32_e32 v14, 0, v15, vcc
	v_add_u32_e32 v13, v13, v14
	ds_write_b32 v22, v13
.LBB3221_60:
	s_or_b64 exec, exec, s[2:3]
	v_cmp_lt_u32_e32 vcc, 63, v0
	v_mov_b32_e32 v13, 0
	v_mov_b32_e32 v14, 0
	s_waitcnt lgkmcnt(0)
	s_barrier
	s_and_saveexec_b64 s[2:3], vcc
	s_cbranch_execz .LBB3221_62
; %bb.61:
	v_lshl_add_u32 v14, v27, 2, -4
	ds_read_b32 v14, v14
.LBB3221_62:
	s_or_b64 exec, exec, s[2:3]
	v_add_u32_e32 v15, -1, v26
	v_and_b32_e32 v16, 64, v26
	v_cmp_lt_i32_e32 vcc, v15, v16
	v_cndmask_b32_e32 v15, v15, v26, vcc
	s_waitcnt lgkmcnt(0)
	v_add_u32_e32 v12, v14, v12
	v_lshlrev_b32_e32 v15, 2, v15
	ds_bpermute_b32 v15, v15, v12
	ds_read_b32 v12, v13 offset:8
	s_and_saveexec_b64 s[2:3], s[0:1]
	s_cbranch_execz .LBB3221_64
; %bb.63:
	v_mov_b32_e32 v16, 0
	v_mov_b32_e32 v13, 2
	s_waitcnt lgkmcnt(0)
	global_store_dwordx2 v16, v[12:13], s[24:25] offset:512
.LBB3221_64:
	s_or_b64 exec, exec, s[2:3]
	v_cmp_eq_u32_e32 vcc, 0, v26
	s_waitcnt lgkmcnt(1)
	v_cndmask_b32_e32 v13, v15, v14, vcc
	v_cndmask_b32_e64 v17, v13, 0, s[0:1]
	v_add_u32_sdwa v18, v17, v24 dst_sel:DWORD dst_unused:UNUSED_PAD src0_sel:DWORD src1_sel:BYTE_0
	v_add_u32_sdwa v16, v18, v24 dst_sel:DWORD dst_unused:UNUSED_PAD src0_sel:DWORD src1_sel:BYTE_1
	v_mov_b32_e32 v14, 0
	v_add_u32_e32 v15, v16, v25
	s_waitcnt lgkmcnt(0)
	s_barrier
.LBB3221_65:
	v_add_u32_e32 v19, v12, v22
	v_sub_u32_e32 v17, v17, v14
	v_and_b32_e32 v21, 1, v24
	v_sub_u32_e32 v20, v19, v17
	v_cmp_eq_u32_e32 vcc, 1, v21
	v_cndmask_b32_e32 v17, v20, v17, vcc
	v_lshlrev_b32_e32 v17, 3, v17
	v_lshrrev_b32_e32 v13, 8, v24
	ds_write_b64 v17, v[6:7]
	v_sub_u32_e32 v6, v18, v14
	v_sub_u32_e32 v7, v19, v6
	v_and_b32_e32 v13, 1, v13
	v_add_u32_e32 v7, 1, v7
	v_cmp_eq_u32_e32 vcc, 1, v13
	v_cndmask_b32_e32 v6, v7, v6, vcc
	v_lshlrev_b32_e32 v6, 3, v6
	ds_write_b64 v6, v[8:9]
	v_sub_u32_e32 v6, v16, v14
	v_mov_b32_e32 v8, 1
	v_sub_u32_e32 v7, v19, v6
	v_and_b32_sdwa v8, v8, v24 dst_sel:DWORD dst_unused:UNUSED_PAD src0_sel:DWORD src1_sel:WORD_1
	v_add_u32_e32 v7, 2, v7
	v_cmp_eq_u32_e32 vcc, 1, v8
	v_cndmask_b32_e32 v6, v7, v6, vcc
	v_lshlrev_b32_e32 v6, 3, v6
	ds_write_b64 v6, v[2:3]
	v_sub_u32_e32 v2, v15, v14
	v_sub_u32_e32 v3, v19, v2
	v_and_b32_e32 v6, 1, v23
	v_add_u32_e32 v3, 3, v3
	v_cmp_eq_u32_e32 vcc, 1, v6
	v_cndmask_b32_e32 v2, v3, v2, vcc
	v_lshlrev_b32_e32 v2, 3, v2
	ds_write_b64 v2, v[4:5]
	s_waitcnt lgkmcnt(0)
	s_barrier
	ds_read2st64_b64 v[6:9], v1 offset1:3
	ds_read2st64_b64 v[2:5], v1 offset0:6 offset1:9
	v_add_u32_e32 v21, 0xc0, v0
	v_add_u32_e32 v20, 0x180, v0
	;; [unrolled: 1-line block ×3, first 2 shown]
	s_andn2_b64 vcc, exec, s[26:27]
	s_waitcnt vmcnt(0)
	v_lshlrev_b64 v[18:19], 3, v[10:11]
	s_cbranch_vccnz .LBB3221_71
; %bb.66:
	v_mov_b32_e32 v15, 0
	v_mov_b32_e32 v16, s19
	v_add_co_u32_e32 v22, vcc, s18, v18
	v_addc_co_u32_e32 v23, vcc, v16, v19, vcc
	v_lshlrev_b64 v[16:17], 3, v[14:15]
	v_add_co_u32_e32 v16, vcc, v22, v16
	v_addc_co_u32_e32 v17, vcc, v23, v17, vcc
	v_cmp_lt_u32_e32 vcc, v0, v12
	s_and_saveexec_b64 s[2:3], vcc
	s_cbranch_execnz .LBB3221_82
; %bb.67:
	s_or_b64 exec, exec, s[2:3]
	v_cmp_lt_u32_e32 vcc, v21, v12
	s_and_saveexec_b64 s[2:3], vcc
	s_cbranch_execnz .LBB3221_83
.LBB3221_68:
	s_or_b64 exec, exec, s[2:3]
	v_cmp_lt_u32_e32 vcc, v20, v12
	s_and_saveexec_b64 s[2:3], vcc
	s_cbranch_execz .LBB3221_70
.LBB3221_69:
	v_readfirstlane_b32 s4, v16
	v_readfirstlane_b32 s5, v17
	s_waitcnt lgkmcnt(0)
	s_nop 3
	global_store_dwordx2 v1, v[2:3], s[4:5] offset:3072
.LBB3221_70:
	s_or_b64 exec, exec, s[2:3]
	v_cmp_lt_u32_e64 s[2:3], v13, v12
	s_branch .LBB3221_77
.LBB3221_71:
	s_mov_b64 s[2:3], 0
                                        ; implicit-def: $vgpr16_vgpr17
	s_cbranch_execz .LBB3221_77
; %bb.72:
	v_mov_b32_e32 v15, 0
	v_mov_b32_e32 v16, s19
	v_add_co_u32_e32 v18, vcc, s18, v18
	v_addc_co_u32_e32 v19, vcc, v16, v19, vcc
	v_lshlrev_b64 v[16:17], 3, v[14:15]
	v_add_co_u32_e32 v16, vcc, v18, v16
	v_min_u32_e32 v22, s33, v12
	v_addc_co_u32_e32 v17, vcc, v19, v17, vcc
	v_cmp_gt_u32_e32 vcc, v22, v0
	s_and_saveexec_b64 s[2:3], vcc
	s_cbranch_execnz .LBB3221_84
; %bb.73:
	s_or_b64 exec, exec, s[2:3]
	v_cmp_lt_u32_e32 vcc, v21, v22
	s_and_saveexec_b64 s[2:3], vcc
	s_cbranch_execnz .LBB3221_85
.LBB3221_74:
	s_or_b64 exec, exec, s[2:3]
	v_cmp_lt_u32_e32 vcc, v20, v22
	s_and_saveexec_b64 s[2:3], vcc
	s_cbranch_execz .LBB3221_76
.LBB3221_75:
	v_readfirstlane_b32 s4, v16
	v_readfirstlane_b32 s5, v17
	s_waitcnt lgkmcnt(0)
	s_nop 3
	global_store_dwordx2 v1, v[2:3], s[4:5] offset:3072
.LBB3221_76:
	s_or_b64 exec, exec, s[2:3]
	v_cmp_lt_u32_e64 s[2:3], v13, v22
.LBB3221_77:
	s_and_saveexec_b64 s[4:5], s[2:3]
	s_cbranch_execnz .LBB3221_80
; %bb.78:
	s_or_b64 exec, exec, s[4:5]
	s_and_b64 s[0:1], s[0:1], s[22:23]
	s_and_saveexec_b64 s[2:3], s[0:1]
	s_cbranch_execnz .LBB3221_81
.LBB3221_79:
	s_endpgm
.LBB3221_80:
	v_lshlrev_b32_e32 v0, 3, v13
	v_readfirstlane_b32 s2, v16
	v_readfirstlane_b32 s3, v17
	s_waitcnt lgkmcnt(0)
	s_nop 3
	global_store_dwordx2 v0, v[4:5], s[2:3]
	s_or_b64 exec, exec, s[4:5]
	s_and_b64 s[0:1], s[0:1], s[22:23]
	s_and_saveexec_b64 s[2:3], s[0:1]
	s_cbranch_execz .LBB3221_79
.LBB3221_81:
	v_add_co_u32_e32 v0, vcc, v10, v12
	v_addc_co_u32_e32 v1, vcc, 0, v11, vcc
	v_add_co_u32_e32 v0, vcc, v0, v14
	s_waitcnt lgkmcnt(0)
	v_mov_b32_e32 v2, 0
	v_addc_co_u32_e32 v1, vcc, 0, v1, vcc
	global_store_dwordx2 v2, v[0:1], s[20:21]
	s_endpgm
.LBB3221_82:
	v_readfirstlane_b32 s4, v16
	v_readfirstlane_b32 s5, v17
	s_waitcnt lgkmcnt(1)
	s_nop 3
	global_store_dwordx2 v1, v[6:7], s[4:5]
	s_or_b64 exec, exec, s[2:3]
	v_cmp_lt_u32_e32 vcc, v21, v12
	s_and_saveexec_b64 s[2:3], vcc
	s_cbranch_execz .LBB3221_68
.LBB3221_83:
	v_readfirstlane_b32 s4, v16
	v_readfirstlane_b32 s5, v17
	s_waitcnt lgkmcnt(1)
	s_nop 3
	global_store_dwordx2 v1, v[8:9], s[4:5] offset:1536
	s_or_b64 exec, exec, s[2:3]
	v_cmp_lt_u32_e32 vcc, v20, v12
	s_and_saveexec_b64 s[2:3], vcc
	s_cbranch_execnz .LBB3221_69
	s_branch .LBB3221_70
.LBB3221_84:
	v_readfirstlane_b32 s4, v16
	v_readfirstlane_b32 s5, v17
	s_waitcnt lgkmcnt(1)
	s_nop 3
	global_store_dwordx2 v1, v[6:7], s[4:5]
	s_or_b64 exec, exec, s[2:3]
	v_cmp_lt_u32_e32 vcc, v21, v22
	s_and_saveexec_b64 s[2:3], vcc
	s_cbranch_execz .LBB3221_74
.LBB3221_85:
	v_readfirstlane_b32 s4, v16
	v_readfirstlane_b32 s5, v17
	s_waitcnt lgkmcnt(1)
	s_nop 3
	global_store_dwordx2 v1, v[8:9], s[4:5] offset:1536
	s_or_b64 exec, exec, s[2:3]
	v_cmp_lt_u32_e32 vcc, v20, v22
	s_and_saveexec_b64 s[2:3], vcc
	s_cbranch_execnz .LBB3221_75
	s_branch .LBB3221_76
	.section	.rodata,"a",@progbits
	.p2align	6, 0x0
	.amdhsa_kernel _ZN7rocprim17ROCPRIM_400000_NS6detail17trampoline_kernelINS0_14default_configENS1_25partition_config_selectorILNS1_17partition_subalgoE1ExNS0_10empty_typeEbEEZZNS1_14partition_implILS5_1ELb0ES3_jN6thrust23THRUST_200600_302600_NS6detail15normal_iteratorINSA_10device_ptrIxEEEEPS6_NSA_18transform_iteratorI7is_evenIxESF_NSA_11use_defaultESK_EENS0_5tupleIJSF_NSA_16discard_iteratorISK_EEEEENSM_IJSG_SG_EEES6_PlJS6_EEE10hipError_tPvRmT3_T4_T5_T6_T7_T9_mT8_P12ihipStream_tbDpT10_ENKUlT_T0_E_clISt17integral_constantIbLb0EES1A_IbLb1EEEEDaS16_S17_EUlS16_E_NS1_11comp_targetILNS1_3genE4ELNS1_11target_archE910ELNS1_3gpuE8ELNS1_3repE0EEENS1_30default_config_static_selectorELNS0_4arch9wavefront6targetE1EEEvT1_
		.amdhsa_group_segment_fixed_size 6344
		.amdhsa_private_segment_fixed_size 0
		.amdhsa_kernarg_size 152
		.amdhsa_user_sgpr_count 6
		.amdhsa_user_sgpr_private_segment_buffer 1
		.amdhsa_user_sgpr_dispatch_ptr 0
		.amdhsa_user_sgpr_queue_ptr 0
		.amdhsa_user_sgpr_kernarg_segment_ptr 1
		.amdhsa_user_sgpr_dispatch_id 0
		.amdhsa_user_sgpr_flat_scratch_init 0
		.amdhsa_user_sgpr_kernarg_preload_length 0
		.amdhsa_user_sgpr_kernarg_preload_offset 0
		.amdhsa_user_sgpr_private_segment_size 0
		.amdhsa_uses_dynamic_stack 0
		.amdhsa_system_sgpr_private_segment_wavefront_offset 0
		.amdhsa_system_sgpr_workgroup_id_x 1
		.amdhsa_system_sgpr_workgroup_id_y 0
		.amdhsa_system_sgpr_workgroup_id_z 0
		.amdhsa_system_sgpr_workgroup_info 0
		.amdhsa_system_vgpr_workitem_id 0
		.amdhsa_next_free_vgpr 45
		.amdhsa_next_free_sgpr 40
		.amdhsa_accum_offset 48
		.amdhsa_reserve_vcc 1
		.amdhsa_reserve_flat_scratch 0
		.amdhsa_float_round_mode_32 0
		.amdhsa_float_round_mode_16_64 0
		.amdhsa_float_denorm_mode_32 3
		.amdhsa_float_denorm_mode_16_64 3
		.amdhsa_dx10_clamp 1
		.amdhsa_ieee_mode 1
		.amdhsa_fp16_overflow 0
		.amdhsa_tg_split 0
		.amdhsa_exception_fp_ieee_invalid_op 0
		.amdhsa_exception_fp_denorm_src 0
		.amdhsa_exception_fp_ieee_div_zero 0
		.amdhsa_exception_fp_ieee_overflow 0
		.amdhsa_exception_fp_ieee_underflow 0
		.amdhsa_exception_fp_ieee_inexact 0
		.amdhsa_exception_int_div_zero 0
	.end_amdhsa_kernel
	.section	.text._ZN7rocprim17ROCPRIM_400000_NS6detail17trampoline_kernelINS0_14default_configENS1_25partition_config_selectorILNS1_17partition_subalgoE1ExNS0_10empty_typeEbEEZZNS1_14partition_implILS5_1ELb0ES3_jN6thrust23THRUST_200600_302600_NS6detail15normal_iteratorINSA_10device_ptrIxEEEEPS6_NSA_18transform_iteratorI7is_evenIxESF_NSA_11use_defaultESK_EENS0_5tupleIJSF_NSA_16discard_iteratorISK_EEEEENSM_IJSG_SG_EEES6_PlJS6_EEE10hipError_tPvRmT3_T4_T5_T6_T7_T9_mT8_P12ihipStream_tbDpT10_ENKUlT_T0_E_clISt17integral_constantIbLb0EES1A_IbLb1EEEEDaS16_S17_EUlS16_E_NS1_11comp_targetILNS1_3genE4ELNS1_11target_archE910ELNS1_3gpuE8ELNS1_3repE0EEENS1_30default_config_static_selectorELNS0_4arch9wavefront6targetE1EEEvT1_,"axG",@progbits,_ZN7rocprim17ROCPRIM_400000_NS6detail17trampoline_kernelINS0_14default_configENS1_25partition_config_selectorILNS1_17partition_subalgoE1ExNS0_10empty_typeEbEEZZNS1_14partition_implILS5_1ELb0ES3_jN6thrust23THRUST_200600_302600_NS6detail15normal_iteratorINSA_10device_ptrIxEEEEPS6_NSA_18transform_iteratorI7is_evenIxESF_NSA_11use_defaultESK_EENS0_5tupleIJSF_NSA_16discard_iteratorISK_EEEEENSM_IJSG_SG_EEES6_PlJS6_EEE10hipError_tPvRmT3_T4_T5_T6_T7_T9_mT8_P12ihipStream_tbDpT10_ENKUlT_T0_E_clISt17integral_constantIbLb0EES1A_IbLb1EEEEDaS16_S17_EUlS16_E_NS1_11comp_targetILNS1_3genE4ELNS1_11target_archE910ELNS1_3gpuE8ELNS1_3repE0EEENS1_30default_config_static_selectorELNS0_4arch9wavefront6targetE1EEEvT1_,comdat
.Lfunc_end3221:
	.size	_ZN7rocprim17ROCPRIM_400000_NS6detail17trampoline_kernelINS0_14default_configENS1_25partition_config_selectorILNS1_17partition_subalgoE1ExNS0_10empty_typeEbEEZZNS1_14partition_implILS5_1ELb0ES3_jN6thrust23THRUST_200600_302600_NS6detail15normal_iteratorINSA_10device_ptrIxEEEEPS6_NSA_18transform_iteratorI7is_evenIxESF_NSA_11use_defaultESK_EENS0_5tupleIJSF_NSA_16discard_iteratorISK_EEEEENSM_IJSG_SG_EEES6_PlJS6_EEE10hipError_tPvRmT3_T4_T5_T6_T7_T9_mT8_P12ihipStream_tbDpT10_ENKUlT_T0_E_clISt17integral_constantIbLb0EES1A_IbLb1EEEEDaS16_S17_EUlS16_E_NS1_11comp_targetILNS1_3genE4ELNS1_11target_archE910ELNS1_3gpuE8ELNS1_3repE0EEENS1_30default_config_static_selectorELNS0_4arch9wavefront6targetE1EEEvT1_, .Lfunc_end3221-_ZN7rocprim17ROCPRIM_400000_NS6detail17trampoline_kernelINS0_14default_configENS1_25partition_config_selectorILNS1_17partition_subalgoE1ExNS0_10empty_typeEbEEZZNS1_14partition_implILS5_1ELb0ES3_jN6thrust23THRUST_200600_302600_NS6detail15normal_iteratorINSA_10device_ptrIxEEEEPS6_NSA_18transform_iteratorI7is_evenIxESF_NSA_11use_defaultESK_EENS0_5tupleIJSF_NSA_16discard_iteratorISK_EEEEENSM_IJSG_SG_EEES6_PlJS6_EEE10hipError_tPvRmT3_T4_T5_T6_T7_T9_mT8_P12ihipStream_tbDpT10_ENKUlT_T0_E_clISt17integral_constantIbLb0EES1A_IbLb1EEEEDaS16_S17_EUlS16_E_NS1_11comp_targetILNS1_3genE4ELNS1_11target_archE910ELNS1_3gpuE8ELNS1_3repE0EEENS1_30default_config_static_selectorELNS0_4arch9wavefront6targetE1EEEvT1_
                                        ; -- End function
	.section	.AMDGPU.csdata,"",@progbits
; Kernel info:
; codeLenInByte = 4100
; NumSgprs: 44
; NumVgprs: 45
; NumAgprs: 0
; TotalNumVgprs: 45
; ScratchSize: 0
; MemoryBound: 0
; FloatMode: 240
; IeeeMode: 1
; LDSByteSize: 6344 bytes/workgroup (compile time only)
; SGPRBlocks: 5
; VGPRBlocks: 5
; NumSGPRsForWavesPerEU: 44
; NumVGPRsForWavesPerEU: 45
; AccumOffset: 48
; Occupancy: 8
; WaveLimiterHint : 1
; COMPUTE_PGM_RSRC2:SCRATCH_EN: 0
; COMPUTE_PGM_RSRC2:USER_SGPR: 6
; COMPUTE_PGM_RSRC2:TRAP_HANDLER: 0
; COMPUTE_PGM_RSRC2:TGID_X_EN: 1
; COMPUTE_PGM_RSRC2:TGID_Y_EN: 0
; COMPUTE_PGM_RSRC2:TGID_Z_EN: 0
; COMPUTE_PGM_RSRC2:TIDIG_COMP_CNT: 0
; COMPUTE_PGM_RSRC3_GFX90A:ACCUM_OFFSET: 11
; COMPUTE_PGM_RSRC3_GFX90A:TG_SPLIT: 0
	.section	.text._ZN7rocprim17ROCPRIM_400000_NS6detail17trampoline_kernelINS0_14default_configENS1_25partition_config_selectorILNS1_17partition_subalgoE1ExNS0_10empty_typeEbEEZZNS1_14partition_implILS5_1ELb0ES3_jN6thrust23THRUST_200600_302600_NS6detail15normal_iteratorINSA_10device_ptrIxEEEEPS6_NSA_18transform_iteratorI7is_evenIxESF_NSA_11use_defaultESK_EENS0_5tupleIJSF_NSA_16discard_iteratorISK_EEEEENSM_IJSG_SG_EEES6_PlJS6_EEE10hipError_tPvRmT3_T4_T5_T6_T7_T9_mT8_P12ihipStream_tbDpT10_ENKUlT_T0_E_clISt17integral_constantIbLb0EES1A_IbLb1EEEEDaS16_S17_EUlS16_E_NS1_11comp_targetILNS1_3genE3ELNS1_11target_archE908ELNS1_3gpuE7ELNS1_3repE0EEENS1_30default_config_static_selectorELNS0_4arch9wavefront6targetE1EEEvT1_,"axG",@progbits,_ZN7rocprim17ROCPRIM_400000_NS6detail17trampoline_kernelINS0_14default_configENS1_25partition_config_selectorILNS1_17partition_subalgoE1ExNS0_10empty_typeEbEEZZNS1_14partition_implILS5_1ELb0ES3_jN6thrust23THRUST_200600_302600_NS6detail15normal_iteratorINSA_10device_ptrIxEEEEPS6_NSA_18transform_iteratorI7is_evenIxESF_NSA_11use_defaultESK_EENS0_5tupleIJSF_NSA_16discard_iteratorISK_EEEEENSM_IJSG_SG_EEES6_PlJS6_EEE10hipError_tPvRmT3_T4_T5_T6_T7_T9_mT8_P12ihipStream_tbDpT10_ENKUlT_T0_E_clISt17integral_constantIbLb0EES1A_IbLb1EEEEDaS16_S17_EUlS16_E_NS1_11comp_targetILNS1_3genE3ELNS1_11target_archE908ELNS1_3gpuE7ELNS1_3repE0EEENS1_30default_config_static_selectorELNS0_4arch9wavefront6targetE1EEEvT1_,comdat
	.protected	_ZN7rocprim17ROCPRIM_400000_NS6detail17trampoline_kernelINS0_14default_configENS1_25partition_config_selectorILNS1_17partition_subalgoE1ExNS0_10empty_typeEbEEZZNS1_14partition_implILS5_1ELb0ES3_jN6thrust23THRUST_200600_302600_NS6detail15normal_iteratorINSA_10device_ptrIxEEEEPS6_NSA_18transform_iteratorI7is_evenIxESF_NSA_11use_defaultESK_EENS0_5tupleIJSF_NSA_16discard_iteratorISK_EEEEENSM_IJSG_SG_EEES6_PlJS6_EEE10hipError_tPvRmT3_T4_T5_T6_T7_T9_mT8_P12ihipStream_tbDpT10_ENKUlT_T0_E_clISt17integral_constantIbLb0EES1A_IbLb1EEEEDaS16_S17_EUlS16_E_NS1_11comp_targetILNS1_3genE3ELNS1_11target_archE908ELNS1_3gpuE7ELNS1_3repE0EEENS1_30default_config_static_selectorELNS0_4arch9wavefront6targetE1EEEvT1_ ; -- Begin function _ZN7rocprim17ROCPRIM_400000_NS6detail17trampoline_kernelINS0_14default_configENS1_25partition_config_selectorILNS1_17partition_subalgoE1ExNS0_10empty_typeEbEEZZNS1_14partition_implILS5_1ELb0ES3_jN6thrust23THRUST_200600_302600_NS6detail15normal_iteratorINSA_10device_ptrIxEEEEPS6_NSA_18transform_iteratorI7is_evenIxESF_NSA_11use_defaultESK_EENS0_5tupleIJSF_NSA_16discard_iteratorISK_EEEEENSM_IJSG_SG_EEES6_PlJS6_EEE10hipError_tPvRmT3_T4_T5_T6_T7_T9_mT8_P12ihipStream_tbDpT10_ENKUlT_T0_E_clISt17integral_constantIbLb0EES1A_IbLb1EEEEDaS16_S17_EUlS16_E_NS1_11comp_targetILNS1_3genE3ELNS1_11target_archE908ELNS1_3gpuE7ELNS1_3repE0EEENS1_30default_config_static_selectorELNS0_4arch9wavefront6targetE1EEEvT1_
	.globl	_ZN7rocprim17ROCPRIM_400000_NS6detail17trampoline_kernelINS0_14default_configENS1_25partition_config_selectorILNS1_17partition_subalgoE1ExNS0_10empty_typeEbEEZZNS1_14partition_implILS5_1ELb0ES3_jN6thrust23THRUST_200600_302600_NS6detail15normal_iteratorINSA_10device_ptrIxEEEEPS6_NSA_18transform_iteratorI7is_evenIxESF_NSA_11use_defaultESK_EENS0_5tupleIJSF_NSA_16discard_iteratorISK_EEEEENSM_IJSG_SG_EEES6_PlJS6_EEE10hipError_tPvRmT3_T4_T5_T6_T7_T9_mT8_P12ihipStream_tbDpT10_ENKUlT_T0_E_clISt17integral_constantIbLb0EES1A_IbLb1EEEEDaS16_S17_EUlS16_E_NS1_11comp_targetILNS1_3genE3ELNS1_11target_archE908ELNS1_3gpuE7ELNS1_3repE0EEENS1_30default_config_static_selectorELNS0_4arch9wavefront6targetE1EEEvT1_
	.p2align	8
	.type	_ZN7rocprim17ROCPRIM_400000_NS6detail17trampoline_kernelINS0_14default_configENS1_25partition_config_selectorILNS1_17partition_subalgoE1ExNS0_10empty_typeEbEEZZNS1_14partition_implILS5_1ELb0ES3_jN6thrust23THRUST_200600_302600_NS6detail15normal_iteratorINSA_10device_ptrIxEEEEPS6_NSA_18transform_iteratorI7is_evenIxESF_NSA_11use_defaultESK_EENS0_5tupleIJSF_NSA_16discard_iteratorISK_EEEEENSM_IJSG_SG_EEES6_PlJS6_EEE10hipError_tPvRmT3_T4_T5_T6_T7_T9_mT8_P12ihipStream_tbDpT10_ENKUlT_T0_E_clISt17integral_constantIbLb0EES1A_IbLb1EEEEDaS16_S17_EUlS16_E_NS1_11comp_targetILNS1_3genE3ELNS1_11target_archE908ELNS1_3gpuE7ELNS1_3repE0EEENS1_30default_config_static_selectorELNS0_4arch9wavefront6targetE1EEEvT1_,@function
_ZN7rocprim17ROCPRIM_400000_NS6detail17trampoline_kernelINS0_14default_configENS1_25partition_config_selectorILNS1_17partition_subalgoE1ExNS0_10empty_typeEbEEZZNS1_14partition_implILS5_1ELb0ES3_jN6thrust23THRUST_200600_302600_NS6detail15normal_iteratorINSA_10device_ptrIxEEEEPS6_NSA_18transform_iteratorI7is_evenIxESF_NSA_11use_defaultESK_EENS0_5tupleIJSF_NSA_16discard_iteratorISK_EEEEENSM_IJSG_SG_EEES6_PlJS6_EEE10hipError_tPvRmT3_T4_T5_T6_T7_T9_mT8_P12ihipStream_tbDpT10_ENKUlT_T0_E_clISt17integral_constantIbLb0EES1A_IbLb1EEEEDaS16_S17_EUlS16_E_NS1_11comp_targetILNS1_3genE3ELNS1_11target_archE908ELNS1_3gpuE7ELNS1_3repE0EEENS1_30default_config_static_selectorELNS0_4arch9wavefront6targetE1EEEvT1_: ; @_ZN7rocprim17ROCPRIM_400000_NS6detail17trampoline_kernelINS0_14default_configENS1_25partition_config_selectorILNS1_17partition_subalgoE1ExNS0_10empty_typeEbEEZZNS1_14partition_implILS5_1ELb0ES3_jN6thrust23THRUST_200600_302600_NS6detail15normal_iteratorINSA_10device_ptrIxEEEEPS6_NSA_18transform_iteratorI7is_evenIxESF_NSA_11use_defaultESK_EENS0_5tupleIJSF_NSA_16discard_iteratorISK_EEEEENSM_IJSG_SG_EEES6_PlJS6_EEE10hipError_tPvRmT3_T4_T5_T6_T7_T9_mT8_P12ihipStream_tbDpT10_ENKUlT_T0_E_clISt17integral_constantIbLb0EES1A_IbLb1EEEEDaS16_S17_EUlS16_E_NS1_11comp_targetILNS1_3genE3ELNS1_11target_archE908ELNS1_3gpuE7ELNS1_3repE0EEENS1_30default_config_static_selectorELNS0_4arch9wavefront6targetE1EEEvT1_
; %bb.0:
	.section	.rodata,"a",@progbits
	.p2align	6, 0x0
	.amdhsa_kernel _ZN7rocprim17ROCPRIM_400000_NS6detail17trampoline_kernelINS0_14default_configENS1_25partition_config_selectorILNS1_17partition_subalgoE1ExNS0_10empty_typeEbEEZZNS1_14partition_implILS5_1ELb0ES3_jN6thrust23THRUST_200600_302600_NS6detail15normal_iteratorINSA_10device_ptrIxEEEEPS6_NSA_18transform_iteratorI7is_evenIxESF_NSA_11use_defaultESK_EENS0_5tupleIJSF_NSA_16discard_iteratorISK_EEEEENSM_IJSG_SG_EEES6_PlJS6_EEE10hipError_tPvRmT3_T4_T5_T6_T7_T9_mT8_P12ihipStream_tbDpT10_ENKUlT_T0_E_clISt17integral_constantIbLb0EES1A_IbLb1EEEEDaS16_S17_EUlS16_E_NS1_11comp_targetILNS1_3genE3ELNS1_11target_archE908ELNS1_3gpuE7ELNS1_3repE0EEENS1_30default_config_static_selectorELNS0_4arch9wavefront6targetE1EEEvT1_
		.amdhsa_group_segment_fixed_size 0
		.amdhsa_private_segment_fixed_size 0
		.amdhsa_kernarg_size 152
		.amdhsa_user_sgpr_count 6
		.amdhsa_user_sgpr_private_segment_buffer 1
		.amdhsa_user_sgpr_dispatch_ptr 0
		.amdhsa_user_sgpr_queue_ptr 0
		.amdhsa_user_sgpr_kernarg_segment_ptr 1
		.amdhsa_user_sgpr_dispatch_id 0
		.amdhsa_user_sgpr_flat_scratch_init 0
		.amdhsa_user_sgpr_kernarg_preload_length 0
		.amdhsa_user_sgpr_kernarg_preload_offset 0
		.amdhsa_user_sgpr_private_segment_size 0
		.amdhsa_uses_dynamic_stack 0
		.amdhsa_system_sgpr_private_segment_wavefront_offset 0
		.amdhsa_system_sgpr_workgroup_id_x 1
		.amdhsa_system_sgpr_workgroup_id_y 0
		.amdhsa_system_sgpr_workgroup_id_z 0
		.amdhsa_system_sgpr_workgroup_info 0
		.amdhsa_system_vgpr_workitem_id 0
		.amdhsa_next_free_vgpr 1
		.amdhsa_next_free_sgpr 0
		.amdhsa_accum_offset 4
		.amdhsa_reserve_vcc 0
		.amdhsa_reserve_flat_scratch 0
		.amdhsa_float_round_mode_32 0
		.amdhsa_float_round_mode_16_64 0
		.amdhsa_float_denorm_mode_32 3
		.amdhsa_float_denorm_mode_16_64 3
		.amdhsa_dx10_clamp 1
		.amdhsa_ieee_mode 1
		.amdhsa_fp16_overflow 0
		.amdhsa_tg_split 0
		.amdhsa_exception_fp_ieee_invalid_op 0
		.amdhsa_exception_fp_denorm_src 0
		.amdhsa_exception_fp_ieee_div_zero 0
		.amdhsa_exception_fp_ieee_overflow 0
		.amdhsa_exception_fp_ieee_underflow 0
		.amdhsa_exception_fp_ieee_inexact 0
		.amdhsa_exception_int_div_zero 0
	.end_amdhsa_kernel
	.section	.text._ZN7rocprim17ROCPRIM_400000_NS6detail17trampoline_kernelINS0_14default_configENS1_25partition_config_selectorILNS1_17partition_subalgoE1ExNS0_10empty_typeEbEEZZNS1_14partition_implILS5_1ELb0ES3_jN6thrust23THRUST_200600_302600_NS6detail15normal_iteratorINSA_10device_ptrIxEEEEPS6_NSA_18transform_iteratorI7is_evenIxESF_NSA_11use_defaultESK_EENS0_5tupleIJSF_NSA_16discard_iteratorISK_EEEEENSM_IJSG_SG_EEES6_PlJS6_EEE10hipError_tPvRmT3_T4_T5_T6_T7_T9_mT8_P12ihipStream_tbDpT10_ENKUlT_T0_E_clISt17integral_constantIbLb0EES1A_IbLb1EEEEDaS16_S17_EUlS16_E_NS1_11comp_targetILNS1_3genE3ELNS1_11target_archE908ELNS1_3gpuE7ELNS1_3repE0EEENS1_30default_config_static_selectorELNS0_4arch9wavefront6targetE1EEEvT1_,"axG",@progbits,_ZN7rocprim17ROCPRIM_400000_NS6detail17trampoline_kernelINS0_14default_configENS1_25partition_config_selectorILNS1_17partition_subalgoE1ExNS0_10empty_typeEbEEZZNS1_14partition_implILS5_1ELb0ES3_jN6thrust23THRUST_200600_302600_NS6detail15normal_iteratorINSA_10device_ptrIxEEEEPS6_NSA_18transform_iteratorI7is_evenIxESF_NSA_11use_defaultESK_EENS0_5tupleIJSF_NSA_16discard_iteratorISK_EEEEENSM_IJSG_SG_EEES6_PlJS6_EEE10hipError_tPvRmT3_T4_T5_T6_T7_T9_mT8_P12ihipStream_tbDpT10_ENKUlT_T0_E_clISt17integral_constantIbLb0EES1A_IbLb1EEEEDaS16_S17_EUlS16_E_NS1_11comp_targetILNS1_3genE3ELNS1_11target_archE908ELNS1_3gpuE7ELNS1_3repE0EEENS1_30default_config_static_selectorELNS0_4arch9wavefront6targetE1EEEvT1_,comdat
.Lfunc_end3222:
	.size	_ZN7rocprim17ROCPRIM_400000_NS6detail17trampoline_kernelINS0_14default_configENS1_25partition_config_selectorILNS1_17partition_subalgoE1ExNS0_10empty_typeEbEEZZNS1_14partition_implILS5_1ELb0ES3_jN6thrust23THRUST_200600_302600_NS6detail15normal_iteratorINSA_10device_ptrIxEEEEPS6_NSA_18transform_iteratorI7is_evenIxESF_NSA_11use_defaultESK_EENS0_5tupleIJSF_NSA_16discard_iteratorISK_EEEEENSM_IJSG_SG_EEES6_PlJS6_EEE10hipError_tPvRmT3_T4_T5_T6_T7_T9_mT8_P12ihipStream_tbDpT10_ENKUlT_T0_E_clISt17integral_constantIbLb0EES1A_IbLb1EEEEDaS16_S17_EUlS16_E_NS1_11comp_targetILNS1_3genE3ELNS1_11target_archE908ELNS1_3gpuE7ELNS1_3repE0EEENS1_30default_config_static_selectorELNS0_4arch9wavefront6targetE1EEEvT1_, .Lfunc_end3222-_ZN7rocprim17ROCPRIM_400000_NS6detail17trampoline_kernelINS0_14default_configENS1_25partition_config_selectorILNS1_17partition_subalgoE1ExNS0_10empty_typeEbEEZZNS1_14partition_implILS5_1ELb0ES3_jN6thrust23THRUST_200600_302600_NS6detail15normal_iteratorINSA_10device_ptrIxEEEEPS6_NSA_18transform_iteratorI7is_evenIxESF_NSA_11use_defaultESK_EENS0_5tupleIJSF_NSA_16discard_iteratorISK_EEEEENSM_IJSG_SG_EEES6_PlJS6_EEE10hipError_tPvRmT3_T4_T5_T6_T7_T9_mT8_P12ihipStream_tbDpT10_ENKUlT_T0_E_clISt17integral_constantIbLb0EES1A_IbLb1EEEEDaS16_S17_EUlS16_E_NS1_11comp_targetILNS1_3genE3ELNS1_11target_archE908ELNS1_3gpuE7ELNS1_3repE0EEENS1_30default_config_static_selectorELNS0_4arch9wavefront6targetE1EEEvT1_
                                        ; -- End function
	.section	.AMDGPU.csdata,"",@progbits
; Kernel info:
; codeLenInByte = 0
; NumSgprs: 4
; NumVgprs: 0
; NumAgprs: 0
; TotalNumVgprs: 0
; ScratchSize: 0
; MemoryBound: 0
; FloatMode: 240
; IeeeMode: 1
; LDSByteSize: 0 bytes/workgroup (compile time only)
; SGPRBlocks: 0
; VGPRBlocks: 0
; NumSGPRsForWavesPerEU: 4
; NumVGPRsForWavesPerEU: 1
; AccumOffset: 4
; Occupancy: 8
; WaveLimiterHint : 0
; COMPUTE_PGM_RSRC2:SCRATCH_EN: 0
; COMPUTE_PGM_RSRC2:USER_SGPR: 6
; COMPUTE_PGM_RSRC2:TRAP_HANDLER: 0
; COMPUTE_PGM_RSRC2:TGID_X_EN: 1
; COMPUTE_PGM_RSRC2:TGID_Y_EN: 0
; COMPUTE_PGM_RSRC2:TGID_Z_EN: 0
; COMPUTE_PGM_RSRC2:TIDIG_COMP_CNT: 0
; COMPUTE_PGM_RSRC3_GFX90A:ACCUM_OFFSET: 0
; COMPUTE_PGM_RSRC3_GFX90A:TG_SPLIT: 0
	.section	.text._ZN7rocprim17ROCPRIM_400000_NS6detail17trampoline_kernelINS0_14default_configENS1_25partition_config_selectorILNS1_17partition_subalgoE1ExNS0_10empty_typeEbEEZZNS1_14partition_implILS5_1ELb0ES3_jN6thrust23THRUST_200600_302600_NS6detail15normal_iteratorINSA_10device_ptrIxEEEEPS6_NSA_18transform_iteratorI7is_evenIxESF_NSA_11use_defaultESK_EENS0_5tupleIJSF_NSA_16discard_iteratorISK_EEEEENSM_IJSG_SG_EEES6_PlJS6_EEE10hipError_tPvRmT3_T4_T5_T6_T7_T9_mT8_P12ihipStream_tbDpT10_ENKUlT_T0_E_clISt17integral_constantIbLb0EES1A_IbLb1EEEEDaS16_S17_EUlS16_E_NS1_11comp_targetILNS1_3genE2ELNS1_11target_archE906ELNS1_3gpuE6ELNS1_3repE0EEENS1_30default_config_static_selectorELNS0_4arch9wavefront6targetE1EEEvT1_,"axG",@progbits,_ZN7rocprim17ROCPRIM_400000_NS6detail17trampoline_kernelINS0_14default_configENS1_25partition_config_selectorILNS1_17partition_subalgoE1ExNS0_10empty_typeEbEEZZNS1_14partition_implILS5_1ELb0ES3_jN6thrust23THRUST_200600_302600_NS6detail15normal_iteratorINSA_10device_ptrIxEEEEPS6_NSA_18transform_iteratorI7is_evenIxESF_NSA_11use_defaultESK_EENS0_5tupleIJSF_NSA_16discard_iteratorISK_EEEEENSM_IJSG_SG_EEES6_PlJS6_EEE10hipError_tPvRmT3_T4_T5_T6_T7_T9_mT8_P12ihipStream_tbDpT10_ENKUlT_T0_E_clISt17integral_constantIbLb0EES1A_IbLb1EEEEDaS16_S17_EUlS16_E_NS1_11comp_targetILNS1_3genE2ELNS1_11target_archE906ELNS1_3gpuE6ELNS1_3repE0EEENS1_30default_config_static_selectorELNS0_4arch9wavefront6targetE1EEEvT1_,comdat
	.protected	_ZN7rocprim17ROCPRIM_400000_NS6detail17trampoline_kernelINS0_14default_configENS1_25partition_config_selectorILNS1_17partition_subalgoE1ExNS0_10empty_typeEbEEZZNS1_14partition_implILS5_1ELb0ES3_jN6thrust23THRUST_200600_302600_NS6detail15normal_iteratorINSA_10device_ptrIxEEEEPS6_NSA_18transform_iteratorI7is_evenIxESF_NSA_11use_defaultESK_EENS0_5tupleIJSF_NSA_16discard_iteratorISK_EEEEENSM_IJSG_SG_EEES6_PlJS6_EEE10hipError_tPvRmT3_T4_T5_T6_T7_T9_mT8_P12ihipStream_tbDpT10_ENKUlT_T0_E_clISt17integral_constantIbLb0EES1A_IbLb1EEEEDaS16_S17_EUlS16_E_NS1_11comp_targetILNS1_3genE2ELNS1_11target_archE906ELNS1_3gpuE6ELNS1_3repE0EEENS1_30default_config_static_selectorELNS0_4arch9wavefront6targetE1EEEvT1_ ; -- Begin function _ZN7rocprim17ROCPRIM_400000_NS6detail17trampoline_kernelINS0_14default_configENS1_25partition_config_selectorILNS1_17partition_subalgoE1ExNS0_10empty_typeEbEEZZNS1_14partition_implILS5_1ELb0ES3_jN6thrust23THRUST_200600_302600_NS6detail15normal_iteratorINSA_10device_ptrIxEEEEPS6_NSA_18transform_iteratorI7is_evenIxESF_NSA_11use_defaultESK_EENS0_5tupleIJSF_NSA_16discard_iteratorISK_EEEEENSM_IJSG_SG_EEES6_PlJS6_EEE10hipError_tPvRmT3_T4_T5_T6_T7_T9_mT8_P12ihipStream_tbDpT10_ENKUlT_T0_E_clISt17integral_constantIbLb0EES1A_IbLb1EEEEDaS16_S17_EUlS16_E_NS1_11comp_targetILNS1_3genE2ELNS1_11target_archE906ELNS1_3gpuE6ELNS1_3repE0EEENS1_30default_config_static_selectorELNS0_4arch9wavefront6targetE1EEEvT1_
	.globl	_ZN7rocprim17ROCPRIM_400000_NS6detail17trampoline_kernelINS0_14default_configENS1_25partition_config_selectorILNS1_17partition_subalgoE1ExNS0_10empty_typeEbEEZZNS1_14partition_implILS5_1ELb0ES3_jN6thrust23THRUST_200600_302600_NS6detail15normal_iteratorINSA_10device_ptrIxEEEEPS6_NSA_18transform_iteratorI7is_evenIxESF_NSA_11use_defaultESK_EENS0_5tupleIJSF_NSA_16discard_iteratorISK_EEEEENSM_IJSG_SG_EEES6_PlJS6_EEE10hipError_tPvRmT3_T4_T5_T6_T7_T9_mT8_P12ihipStream_tbDpT10_ENKUlT_T0_E_clISt17integral_constantIbLb0EES1A_IbLb1EEEEDaS16_S17_EUlS16_E_NS1_11comp_targetILNS1_3genE2ELNS1_11target_archE906ELNS1_3gpuE6ELNS1_3repE0EEENS1_30default_config_static_selectorELNS0_4arch9wavefront6targetE1EEEvT1_
	.p2align	8
	.type	_ZN7rocprim17ROCPRIM_400000_NS6detail17trampoline_kernelINS0_14default_configENS1_25partition_config_selectorILNS1_17partition_subalgoE1ExNS0_10empty_typeEbEEZZNS1_14partition_implILS5_1ELb0ES3_jN6thrust23THRUST_200600_302600_NS6detail15normal_iteratorINSA_10device_ptrIxEEEEPS6_NSA_18transform_iteratorI7is_evenIxESF_NSA_11use_defaultESK_EENS0_5tupleIJSF_NSA_16discard_iteratorISK_EEEEENSM_IJSG_SG_EEES6_PlJS6_EEE10hipError_tPvRmT3_T4_T5_T6_T7_T9_mT8_P12ihipStream_tbDpT10_ENKUlT_T0_E_clISt17integral_constantIbLb0EES1A_IbLb1EEEEDaS16_S17_EUlS16_E_NS1_11comp_targetILNS1_3genE2ELNS1_11target_archE906ELNS1_3gpuE6ELNS1_3repE0EEENS1_30default_config_static_selectorELNS0_4arch9wavefront6targetE1EEEvT1_,@function
_ZN7rocprim17ROCPRIM_400000_NS6detail17trampoline_kernelINS0_14default_configENS1_25partition_config_selectorILNS1_17partition_subalgoE1ExNS0_10empty_typeEbEEZZNS1_14partition_implILS5_1ELb0ES3_jN6thrust23THRUST_200600_302600_NS6detail15normal_iteratorINSA_10device_ptrIxEEEEPS6_NSA_18transform_iteratorI7is_evenIxESF_NSA_11use_defaultESK_EENS0_5tupleIJSF_NSA_16discard_iteratorISK_EEEEENSM_IJSG_SG_EEES6_PlJS6_EEE10hipError_tPvRmT3_T4_T5_T6_T7_T9_mT8_P12ihipStream_tbDpT10_ENKUlT_T0_E_clISt17integral_constantIbLb0EES1A_IbLb1EEEEDaS16_S17_EUlS16_E_NS1_11comp_targetILNS1_3genE2ELNS1_11target_archE906ELNS1_3gpuE6ELNS1_3repE0EEENS1_30default_config_static_selectorELNS0_4arch9wavefront6targetE1EEEvT1_: ; @_ZN7rocprim17ROCPRIM_400000_NS6detail17trampoline_kernelINS0_14default_configENS1_25partition_config_selectorILNS1_17partition_subalgoE1ExNS0_10empty_typeEbEEZZNS1_14partition_implILS5_1ELb0ES3_jN6thrust23THRUST_200600_302600_NS6detail15normal_iteratorINSA_10device_ptrIxEEEEPS6_NSA_18transform_iteratorI7is_evenIxESF_NSA_11use_defaultESK_EENS0_5tupleIJSF_NSA_16discard_iteratorISK_EEEEENSM_IJSG_SG_EEES6_PlJS6_EEE10hipError_tPvRmT3_T4_T5_T6_T7_T9_mT8_P12ihipStream_tbDpT10_ENKUlT_T0_E_clISt17integral_constantIbLb0EES1A_IbLb1EEEEDaS16_S17_EUlS16_E_NS1_11comp_targetILNS1_3genE2ELNS1_11target_archE906ELNS1_3gpuE6ELNS1_3repE0EEENS1_30default_config_static_selectorELNS0_4arch9wavefront6targetE1EEEvT1_
; %bb.0:
	.section	.rodata,"a",@progbits
	.p2align	6, 0x0
	.amdhsa_kernel _ZN7rocprim17ROCPRIM_400000_NS6detail17trampoline_kernelINS0_14default_configENS1_25partition_config_selectorILNS1_17partition_subalgoE1ExNS0_10empty_typeEbEEZZNS1_14partition_implILS5_1ELb0ES3_jN6thrust23THRUST_200600_302600_NS6detail15normal_iteratorINSA_10device_ptrIxEEEEPS6_NSA_18transform_iteratorI7is_evenIxESF_NSA_11use_defaultESK_EENS0_5tupleIJSF_NSA_16discard_iteratorISK_EEEEENSM_IJSG_SG_EEES6_PlJS6_EEE10hipError_tPvRmT3_T4_T5_T6_T7_T9_mT8_P12ihipStream_tbDpT10_ENKUlT_T0_E_clISt17integral_constantIbLb0EES1A_IbLb1EEEEDaS16_S17_EUlS16_E_NS1_11comp_targetILNS1_3genE2ELNS1_11target_archE906ELNS1_3gpuE6ELNS1_3repE0EEENS1_30default_config_static_selectorELNS0_4arch9wavefront6targetE1EEEvT1_
		.amdhsa_group_segment_fixed_size 0
		.amdhsa_private_segment_fixed_size 0
		.amdhsa_kernarg_size 152
		.amdhsa_user_sgpr_count 6
		.amdhsa_user_sgpr_private_segment_buffer 1
		.amdhsa_user_sgpr_dispatch_ptr 0
		.amdhsa_user_sgpr_queue_ptr 0
		.amdhsa_user_sgpr_kernarg_segment_ptr 1
		.amdhsa_user_sgpr_dispatch_id 0
		.amdhsa_user_sgpr_flat_scratch_init 0
		.amdhsa_user_sgpr_kernarg_preload_length 0
		.amdhsa_user_sgpr_kernarg_preload_offset 0
		.amdhsa_user_sgpr_private_segment_size 0
		.amdhsa_uses_dynamic_stack 0
		.amdhsa_system_sgpr_private_segment_wavefront_offset 0
		.amdhsa_system_sgpr_workgroup_id_x 1
		.amdhsa_system_sgpr_workgroup_id_y 0
		.amdhsa_system_sgpr_workgroup_id_z 0
		.amdhsa_system_sgpr_workgroup_info 0
		.amdhsa_system_vgpr_workitem_id 0
		.amdhsa_next_free_vgpr 1
		.amdhsa_next_free_sgpr 0
		.amdhsa_accum_offset 4
		.amdhsa_reserve_vcc 0
		.amdhsa_reserve_flat_scratch 0
		.amdhsa_float_round_mode_32 0
		.amdhsa_float_round_mode_16_64 0
		.amdhsa_float_denorm_mode_32 3
		.amdhsa_float_denorm_mode_16_64 3
		.amdhsa_dx10_clamp 1
		.amdhsa_ieee_mode 1
		.amdhsa_fp16_overflow 0
		.amdhsa_tg_split 0
		.amdhsa_exception_fp_ieee_invalid_op 0
		.amdhsa_exception_fp_denorm_src 0
		.amdhsa_exception_fp_ieee_div_zero 0
		.amdhsa_exception_fp_ieee_overflow 0
		.amdhsa_exception_fp_ieee_underflow 0
		.amdhsa_exception_fp_ieee_inexact 0
		.amdhsa_exception_int_div_zero 0
	.end_amdhsa_kernel
	.section	.text._ZN7rocprim17ROCPRIM_400000_NS6detail17trampoline_kernelINS0_14default_configENS1_25partition_config_selectorILNS1_17partition_subalgoE1ExNS0_10empty_typeEbEEZZNS1_14partition_implILS5_1ELb0ES3_jN6thrust23THRUST_200600_302600_NS6detail15normal_iteratorINSA_10device_ptrIxEEEEPS6_NSA_18transform_iteratorI7is_evenIxESF_NSA_11use_defaultESK_EENS0_5tupleIJSF_NSA_16discard_iteratorISK_EEEEENSM_IJSG_SG_EEES6_PlJS6_EEE10hipError_tPvRmT3_T4_T5_T6_T7_T9_mT8_P12ihipStream_tbDpT10_ENKUlT_T0_E_clISt17integral_constantIbLb0EES1A_IbLb1EEEEDaS16_S17_EUlS16_E_NS1_11comp_targetILNS1_3genE2ELNS1_11target_archE906ELNS1_3gpuE6ELNS1_3repE0EEENS1_30default_config_static_selectorELNS0_4arch9wavefront6targetE1EEEvT1_,"axG",@progbits,_ZN7rocprim17ROCPRIM_400000_NS6detail17trampoline_kernelINS0_14default_configENS1_25partition_config_selectorILNS1_17partition_subalgoE1ExNS0_10empty_typeEbEEZZNS1_14partition_implILS5_1ELb0ES3_jN6thrust23THRUST_200600_302600_NS6detail15normal_iteratorINSA_10device_ptrIxEEEEPS6_NSA_18transform_iteratorI7is_evenIxESF_NSA_11use_defaultESK_EENS0_5tupleIJSF_NSA_16discard_iteratorISK_EEEEENSM_IJSG_SG_EEES6_PlJS6_EEE10hipError_tPvRmT3_T4_T5_T6_T7_T9_mT8_P12ihipStream_tbDpT10_ENKUlT_T0_E_clISt17integral_constantIbLb0EES1A_IbLb1EEEEDaS16_S17_EUlS16_E_NS1_11comp_targetILNS1_3genE2ELNS1_11target_archE906ELNS1_3gpuE6ELNS1_3repE0EEENS1_30default_config_static_selectorELNS0_4arch9wavefront6targetE1EEEvT1_,comdat
.Lfunc_end3223:
	.size	_ZN7rocprim17ROCPRIM_400000_NS6detail17trampoline_kernelINS0_14default_configENS1_25partition_config_selectorILNS1_17partition_subalgoE1ExNS0_10empty_typeEbEEZZNS1_14partition_implILS5_1ELb0ES3_jN6thrust23THRUST_200600_302600_NS6detail15normal_iteratorINSA_10device_ptrIxEEEEPS6_NSA_18transform_iteratorI7is_evenIxESF_NSA_11use_defaultESK_EENS0_5tupleIJSF_NSA_16discard_iteratorISK_EEEEENSM_IJSG_SG_EEES6_PlJS6_EEE10hipError_tPvRmT3_T4_T5_T6_T7_T9_mT8_P12ihipStream_tbDpT10_ENKUlT_T0_E_clISt17integral_constantIbLb0EES1A_IbLb1EEEEDaS16_S17_EUlS16_E_NS1_11comp_targetILNS1_3genE2ELNS1_11target_archE906ELNS1_3gpuE6ELNS1_3repE0EEENS1_30default_config_static_selectorELNS0_4arch9wavefront6targetE1EEEvT1_, .Lfunc_end3223-_ZN7rocprim17ROCPRIM_400000_NS6detail17trampoline_kernelINS0_14default_configENS1_25partition_config_selectorILNS1_17partition_subalgoE1ExNS0_10empty_typeEbEEZZNS1_14partition_implILS5_1ELb0ES3_jN6thrust23THRUST_200600_302600_NS6detail15normal_iteratorINSA_10device_ptrIxEEEEPS6_NSA_18transform_iteratorI7is_evenIxESF_NSA_11use_defaultESK_EENS0_5tupleIJSF_NSA_16discard_iteratorISK_EEEEENSM_IJSG_SG_EEES6_PlJS6_EEE10hipError_tPvRmT3_T4_T5_T6_T7_T9_mT8_P12ihipStream_tbDpT10_ENKUlT_T0_E_clISt17integral_constantIbLb0EES1A_IbLb1EEEEDaS16_S17_EUlS16_E_NS1_11comp_targetILNS1_3genE2ELNS1_11target_archE906ELNS1_3gpuE6ELNS1_3repE0EEENS1_30default_config_static_selectorELNS0_4arch9wavefront6targetE1EEEvT1_
                                        ; -- End function
	.section	.AMDGPU.csdata,"",@progbits
; Kernel info:
; codeLenInByte = 0
; NumSgprs: 4
; NumVgprs: 0
; NumAgprs: 0
; TotalNumVgprs: 0
; ScratchSize: 0
; MemoryBound: 0
; FloatMode: 240
; IeeeMode: 1
; LDSByteSize: 0 bytes/workgroup (compile time only)
; SGPRBlocks: 0
; VGPRBlocks: 0
; NumSGPRsForWavesPerEU: 4
; NumVGPRsForWavesPerEU: 1
; AccumOffset: 4
; Occupancy: 8
; WaveLimiterHint : 0
; COMPUTE_PGM_RSRC2:SCRATCH_EN: 0
; COMPUTE_PGM_RSRC2:USER_SGPR: 6
; COMPUTE_PGM_RSRC2:TRAP_HANDLER: 0
; COMPUTE_PGM_RSRC2:TGID_X_EN: 1
; COMPUTE_PGM_RSRC2:TGID_Y_EN: 0
; COMPUTE_PGM_RSRC2:TGID_Z_EN: 0
; COMPUTE_PGM_RSRC2:TIDIG_COMP_CNT: 0
; COMPUTE_PGM_RSRC3_GFX90A:ACCUM_OFFSET: 0
; COMPUTE_PGM_RSRC3_GFX90A:TG_SPLIT: 0
	.section	.text._ZN7rocprim17ROCPRIM_400000_NS6detail17trampoline_kernelINS0_14default_configENS1_25partition_config_selectorILNS1_17partition_subalgoE1ExNS0_10empty_typeEbEEZZNS1_14partition_implILS5_1ELb0ES3_jN6thrust23THRUST_200600_302600_NS6detail15normal_iteratorINSA_10device_ptrIxEEEEPS6_NSA_18transform_iteratorI7is_evenIxESF_NSA_11use_defaultESK_EENS0_5tupleIJSF_NSA_16discard_iteratorISK_EEEEENSM_IJSG_SG_EEES6_PlJS6_EEE10hipError_tPvRmT3_T4_T5_T6_T7_T9_mT8_P12ihipStream_tbDpT10_ENKUlT_T0_E_clISt17integral_constantIbLb0EES1A_IbLb1EEEEDaS16_S17_EUlS16_E_NS1_11comp_targetILNS1_3genE10ELNS1_11target_archE1200ELNS1_3gpuE4ELNS1_3repE0EEENS1_30default_config_static_selectorELNS0_4arch9wavefront6targetE1EEEvT1_,"axG",@progbits,_ZN7rocprim17ROCPRIM_400000_NS6detail17trampoline_kernelINS0_14default_configENS1_25partition_config_selectorILNS1_17partition_subalgoE1ExNS0_10empty_typeEbEEZZNS1_14partition_implILS5_1ELb0ES3_jN6thrust23THRUST_200600_302600_NS6detail15normal_iteratorINSA_10device_ptrIxEEEEPS6_NSA_18transform_iteratorI7is_evenIxESF_NSA_11use_defaultESK_EENS0_5tupleIJSF_NSA_16discard_iteratorISK_EEEEENSM_IJSG_SG_EEES6_PlJS6_EEE10hipError_tPvRmT3_T4_T5_T6_T7_T9_mT8_P12ihipStream_tbDpT10_ENKUlT_T0_E_clISt17integral_constantIbLb0EES1A_IbLb1EEEEDaS16_S17_EUlS16_E_NS1_11comp_targetILNS1_3genE10ELNS1_11target_archE1200ELNS1_3gpuE4ELNS1_3repE0EEENS1_30default_config_static_selectorELNS0_4arch9wavefront6targetE1EEEvT1_,comdat
	.protected	_ZN7rocprim17ROCPRIM_400000_NS6detail17trampoline_kernelINS0_14default_configENS1_25partition_config_selectorILNS1_17partition_subalgoE1ExNS0_10empty_typeEbEEZZNS1_14partition_implILS5_1ELb0ES3_jN6thrust23THRUST_200600_302600_NS6detail15normal_iteratorINSA_10device_ptrIxEEEEPS6_NSA_18transform_iteratorI7is_evenIxESF_NSA_11use_defaultESK_EENS0_5tupleIJSF_NSA_16discard_iteratorISK_EEEEENSM_IJSG_SG_EEES6_PlJS6_EEE10hipError_tPvRmT3_T4_T5_T6_T7_T9_mT8_P12ihipStream_tbDpT10_ENKUlT_T0_E_clISt17integral_constantIbLb0EES1A_IbLb1EEEEDaS16_S17_EUlS16_E_NS1_11comp_targetILNS1_3genE10ELNS1_11target_archE1200ELNS1_3gpuE4ELNS1_3repE0EEENS1_30default_config_static_selectorELNS0_4arch9wavefront6targetE1EEEvT1_ ; -- Begin function _ZN7rocprim17ROCPRIM_400000_NS6detail17trampoline_kernelINS0_14default_configENS1_25partition_config_selectorILNS1_17partition_subalgoE1ExNS0_10empty_typeEbEEZZNS1_14partition_implILS5_1ELb0ES3_jN6thrust23THRUST_200600_302600_NS6detail15normal_iteratorINSA_10device_ptrIxEEEEPS6_NSA_18transform_iteratorI7is_evenIxESF_NSA_11use_defaultESK_EENS0_5tupleIJSF_NSA_16discard_iteratorISK_EEEEENSM_IJSG_SG_EEES6_PlJS6_EEE10hipError_tPvRmT3_T4_T5_T6_T7_T9_mT8_P12ihipStream_tbDpT10_ENKUlT_T0_E_clISt17integral_constantIbLb0EES1A_IbLb1EEEEDaS16_S17_EUlS16_E_NS1_11comp_targetILNS1_3genE10ELNS1_11target_archE1200ELNS1_3gpuE4ELNS1_3repE0EEENS1_30default_config_static_selectorELNS0_4arch9wavefront6targetE1EEEvT1_
	.globl	_ZN7rocprim17ROCPRIM_400000_NS6detail17trampoline_kernelINS0_14default_configENS1_25partition_config_selectorILNS1_17partition_subalgoE1ExNS0_10empty_typeEbEEZZNS1_14partition_implILS5_1ELb0ES3_jN6thrust23THRUST_200600_302600_NS6detail15normal_iteratorINSA_10device_ptrIxEEEEPS6_NSA_18transform_iteratorI7is_evenIxESF_NSA_11use_defaultESK_EENS0_5tupleIJSF_NSA_16discard_iteratorISK_EEEEENSM_IJSG_SG_EEES6_PlJS6_EEE10hipError_tPvRmT3_T4_T5_T6_T7_T9_mT8_P12ihipStream_tbDpT10_ENKUlT_T0_E_clISt17integral_constantIbLb0EES1A_IbLb1EEEEDaS16_S17_EUlS16_E_NS1_11comp_targetILNS1_3genE10ELNS1_11target_archE1200ELNS1_3gpuE4ELNS1_3repE0EEENS1_30default_config_static_selectorELNS0_4arch9wavefront6targetE1EEEvT1_
	.p2align	8
	.type	_ZN7rocprim17ROCPRIM_400000_NS6detail17trampoline_kernelINS0_14default_configENS1_25partition_config_selectorILNS1_17partition_subalgoE1ExNS0_10empty_typeEbEEZZNS1_14partition_implILS5_1ELb0ES3_jN6thrust23THRUST_200600_302600_NS6detail15normal_iteratorINSA_10device_ptrIxEEEEPS6_NSA_18transform_iteratorI7is_evenIxESF_NSA_11use_defaultESK_EENS0_5tupleIJSF_NSA_16discard_iteratorISK_EEEEENSM_IJSG_SG_EEES6_PlJS6_EEE10hipError_tPvRmT3_T4_T5_T6_T7_T9_mT8_P12ihipStream_tbDpT10_ENKUlT_T0_E_clISt17integral_constantIbLb0EES1A_IbLb1EEEEDaS16_S17_EUlS16_E_NS1_11comp_targetILNS1_3genE10ELNS1_11target_archE1200ELNS1_3gpuE4ELNS1_3repE0EEENS1_30default_config_static_selectorELNS0_4arch9wavefront6targetE1EEEvT1_,@function
_ZN7rocprim17ROCPRIM_400000_NS6detail17trampoline_kernelINS0_14default_configENS1_25partition_config_selectorILNS1_17partition_subalgoE1ExNS0_10empty_typeEbEEZZNS1_14partition_implILS5_1ELb0ES3_jN6thrust23THRUST_200600_302600_NS6detail15normal_iteratorINSA_10device_ptrIxEEEEPS6_NSA_18transform_iteratorI7is_evenIxESF_NSA_11use_defaultESK_EENS0_5tupleIJSF_NSA_16discard_iteratorISK_EEEEENSM_IJSG_SG_EEES6_PlJS6_EEE10hipError_tPvRmT3_T4_T5_T6_T7_T9_mT8_P12ihipStream_tbDpT10_ENKUlT_T0_E_clISt17integral_constantIbLb0EES1A_IbLb1EEEEDaS16_S17_EUlS16_E_NS1_11comp_targetILNS1_3genE10ELNS1_11target_archE1200ELNS1_3gpuE4ELNS1_3repE0EEENS1_30default_config_static_selectorELNS0_4arch9wavefront6targetE1EEEvT1_: ; @_ZN7rocprim17ROCPRIM_400000_NS6detail17trampoline_kernelINS0_14default_configENS1_25partition_config_selectorILNS1_17partition_subalgoE1ExNS0_10empty_typeEbEEZZNS1_14partition_implILS5_1ELb0ES3_jN6thrust23THRUST_200600_302600_NS6detail15normal_iteratorINSA_10device_ptrIxEEEEPS6_NSA_18transform_iteratorI7is_evenIxESF_NSA_11use_defaultESK_EENS0_5tupleIJSF_NSA_16discard_iteratorISK_EEEEENSM_IJSG_SG_EEES6_PlJS6_EEE10hipError_tPvRmT3_T4_T5_T6_T7_T9_mT8_P12ihipStream_tbDpT10_ENKUlT_T0_E_clISt17integral_constantIbLb0EES1A_IbLb1EEEEDaS16_S17_EUlS16_E_NS1_11comp_targetILNS1_3genE10ELNS1_11target_archE1200ELNS1_3gpuE4ELNS1_3repE0EEENS1_30default_config_static_selectorELNS0_4arch9wavefront6targetE1EEEvT1_
; %bb.0:
	.section	.rodata,"a",@progbits
	.p2align	6, 0x0
	.amdhsa_kernel _ZN7rocprim17ROCPRIM_400000_NS6detail17trampoline_kernelINS0_14default_configENS1_25partition_config_selectorILNS1_17partition_subalgoE1ExNS0_10empty_typeEbEEZZNS1_14partition_implILS5_1ELb0ES3_jN6thrust23THRUST_200600_302600_NS6detail15normal_iteratorINSA_10device_ptrIxEEEEPS6_NSA_18transform_iteratorI7is_evenIxESF_NSA_11use_defaultESK_EENS0_5tupleIJSF_NSA_16discard_iteratorISK_EEEEENSM_IJSG_SG_EEES6_PlJS6_EEE10hipError_tPvRmT3_T4_T5_T6_T7_T9_mT8_P12ihipStream_tbDpT10_ENKUlT_T0_E_clISt17integral_constantIbLb0EES1A_IbLb1EEEEDaS16_S17_EUlS16_E_NS1_11comp_targetILNS1_3genE10ELNS1_11target_archE1200ELNS1_3gpuE4ELNS1_3repE0EEENS1_30default_config_static_selectorELNS0_4arch9wavefront6targetE1EEEvT1_
		.amdhsa_group_segment_fixed_size 0
		.amdhsa_private_segment_fixed_size 0
		.amdhsa_kernarg_size 152
		.amdhsa_user_sgpr_count 6
		.amdhsa_user_sgpr_private_segment_buffer 1
		.amdhsa_user_sgpr_dispatch_ptr 0
		.amdhsa_user_sgpr_queue_ptr 0
		.amdhsa_user_sgpr_kernarg_segment_ptr 1
		.amdhsa_user_sgpr_dispatch_id 0
		.amdhsa_user_sgpr_flat_scratch_init 0
		.amdhsa_user_sgpr_kernarg_preload_length 0
		.amdhsa_user_sgpr_kernarg_preload_offset 0
		.amdhsa_user_sgpr_private_segment_size 0
		.amdhsa_uses_dynamic_stack 0
		.amdhsa_system_sgpr_private_segment_wavefront_offset 0
		.amdhsa_system_sgpr_workgroup_id_x 1
		.amdhsa_system_sgpr_workgroup_id_y 0
		.amdhsa_system_sgpr_workgroup_id_z 0
		.amdhsa_system_sgpr_workgroup_info 0
		.amdhsa_system_vgpr_workitem_id 0
		.amdhsa_next_free_vgpr 1
		.amdhsa_next_free_sgpr 0
		.amdhsa_accum_offset 4
		.amdhsa_reserve_vcc 0
		.amdhsa_reserve_flat_scratch 0
		.amdhsa_float_round_mode_32 0
		.amdhsa_float_round_mode_16_64 0
		.amdhsa_float_denorm_mode_32 3
		.amdhsa_float_denorm_mode_16_64 3
		.amdhsa_dx10_clamp 1
		.amdhsa_ieee_mode 1
		.amdhsa_fp16_overflow 0
		.amdhsa_tg_split 0
		.amdhsa_exception_fp_ieee_invalid_op 0
		.amdhsa_exception_fp_denorm_src 0
		.amdhsa_exception_fp_ieee_div_zero 0
		.amdhsa_exception_fp_ieee_overflow 0
		.amdhsa_exception_fp_ieee_underflow 0
		.amdhsa_exception_fp_ieee_inexact 0
		.amdhsa_exception_int_div_zero 0
	.end_amdhsa_kernel
	.section	.text._ZN7rocprim17ROCPRIM_400000_NS6detail17trampoline_kernelINS0_14default_configENS1_25partition_config_selectorILNS1_17partition_subalgoE1ExNS0_10empty_typeEbEEZZNS1_14partition_implILS5_1ELb0ES3_jN6thrust23THRUST_200600_302600_NS6detail15normal_iteratorINSA_10device_ptrIxEEEEPS6_NSA_18transform_iteratorI7is_evenIxESF_NSA_11use_defaultESK_EENS0_5tupleIJSF_NSA_16discard_iteratorISK_EEEEENSM_IJSG_SG_EEES6_PlJS6_EEE10hipError_tPvRmT3_T4_T5_T6_T7_T9_mT8_P12ihipStream_tbDpT10_ENKUlT_T0_E_clISt17integral_constantIbLb0EES1A_IbLb1EEEEDaS16_S17_EUlS16_E_NS1_11comp_targetILNS1_3genE10ELNS1_11target_archE1200ELNS1_3gpuE4ELNS1_3repE0EEENS1_30default_config_static_selectorELNS0_4arch9wavefront6targetE1EEEvT1_,"axG",@progbits,_ZN7rocprim17ROCPRIM_400000_NS6detail17trampoline_kernelINS0_14default_configENS1_25partition_config_selectorILNS1_17partition_subalgoE1ExNS0_10empty_typeEbEEZZNS1_14partition_implILS5_1ELb0ES3_jN6thrust23THRUST_200600_302600_NS6detail15normal_iteratorINSA_10device_ptrIxEEEEPS6_NSA_18transform_iteratorI7is_evenIxESF_NSA_11use_defaultESK_EENS0_5tupleIJSF_NSA_16discard_iteratorISK_EEEEENSM_IJSG_SG_EEES6_PlJS6_EEE10hipError_tPvRmT3_T4_T5_T6_T7_T9_mT8_P12ihipStream_tbDpT10_ENKUlT_T0_E_clISt17integral_constantIbLb0EES1A_IbLb1EEEEDaS16_S17_EUlS16_E_NS1_11comp_targetILNS1_3genE10ELNS1_11target_archE1200ELNS1_3gpuE4ELNS1_3repE0EEENS1_30default_config_static_selectorELNS0_4arch9wavefront6targetE1EEEvT1_,comdat
.Lfunc_end3224:
	.size	_ZN7rocprim17ROCPRIM_400000_NS6detail17trampoline_kernelINS0_14default_configENS1_25partition_config_selectorILNS1_17partition_subalgoE1ExNS0_10empty_typeEbEEZZNS1_14partition_implILS5_1ELb0ES3_jN6thrust23THRUST_200600_302600_NS6detail15normal_iteratorINSA_10device_ptrIxEEEEPS6_NSA_18transform_iteratorI7is_evenIxESF_NSA_11use_defaultESK_EENS0_5tupleIJSF_NSA_16discard_iteratorISK_EEEEENSM_IJSG_SG_EEES6_PlJS6_EEE10hipError_tPvRmT3_T4_T5_T6_T7_T9_mT8_P12ihipStream_tbDpT10_ENKUlT_T0_E_clISt17integral_constantIbLb0EES1A_IbLb1EEEEDaS16_S17_EUlS16_E_NS1_11comp_targetILNS1_3genE10ELNS1_11target_archE1200ELNS1_3gpuE4ELNS1_3repE0EEENS1_30default_config_static_selectorELNS0_4arch9wavefront6targetE1EEEvT1_, .Lfunc_end3224-_ZN7rocprim17ROCPRIM_400000_NS6detail17trampoline_kernelINS0_14default_configENS1_25partition_config_selectorILNS1_17partition_subalgoE1ExNS0_10empty_typeEbEEZZNS1_14partition_implILS5_1ELb0ES3_jN6thrust23THRUST_200600_302600_NS6detail15normal_iteratorINSA_10device_ptrIxEEEEPS6_NSA_18transform_iteratorI7is_evenIxESF_NSA_11use_defaultESK_EENS0_5tupleIJSF_NSA_16discard_iteratorISK_EEEEENSM_IJSG_SG_EEES6_PlJS6_EEE10hipError_tPvRmT3_T4_T5_T6_T7_T9_mT8_P12ihipStream_tbDpT10_ENKUlT_T0_E_clISt17integral_constantIbLb0EES1A_IbLb1EEEEDaS16_S17_EUlS16_E_NS1_11comp_targetILNS1_3genE10ELNS1_11target_archE1200ELNS1_3gpuE4ELNS1_3repE0EEENS1_30default_config_static_selectorELNS0_4arch9wavefront6targetE1EEEvT1_
                                        ; -- End function
	.section	.AMDGPU.csdata,"",@progbits
; Kernel info:
; codeLenInByte = 0
; NumSgprs: 4
; NumVgprs: 0
; NumAgprs: 0
; TotalNumVgprs: 0
; ScratchSize: 0
; MemoryBound: 0
; FloatMode: 240
; IeeeMode: 1
; LDSByteSize: 0 bytes/workgroup (compile time only)
; SGPRBlocks: 0
; VGPRBlocks: 0
; NumSGPRsForWavesPerEU: 4
; NumVGPRsForWavesPerEU: 1
; AccumOffset: 4
; Occupancy: 8
; WaveLimiterHint : 0
; COMPUTE_PGM_RSRC2:SCRATCH_EN: 0
; COMPUTE_PGM_RSRC2:USER_SGPR: 6
; COMPUTE_PGM_RSRC2:TRAP_HANDLER: 0
; COMPUTE_PGM_RSRC2:TGID_X_EN: 1
; COMPUTE_PGM_RSRC2:TGID_Y_EN: 0
; COMPUTE_PGM_RSRC2:TGID_Z_EN: 0
; COMPUTE_PGM_RSRC2:TIDIG_COMP_CNT: 0
; COMPUTE_PGM_RSRC3_GFX90A:ACCUM_OFFSET: 0
; COMPUTE_PGM_RSRC3_GFX90A:TG_SPLIT: 0
	.section	.text._ZN7rocprim17ROCPRIM_400000_NS6detail17trampoline_kernelINS0_14default_configENS1_25partition_config_selectorILNS1_17partition_subalgoE1ExNS0_10empty_typeEbEEZZNS1_14partition_implILS5_1ELb0ES3_jN6thrust23THRUST_200600_302600_NS6detail15normal_iteratorINSA_10device_ptrIxEEEEPS6_NSA_18transform_iteratorI7is_evenIxESF_NSA_11use_defaultESK_EENS0_5tupleIJSF_NSA_16discard_iteratorISK_EEEEENSM_IJSG_SG_EEES6_PlJS6_EEE10hipError_tPvRmT3_T4_T5_T6_T7_T9_mT8_P12ihipStream_tbDpT10_ENKUlT_T0_E_clISt17integral_constantIbLb0EES1A_IbLb1EEEEDaS16_S17_EUlS16_E_NS1_11comp_targetILNS1_3genE9ELNS1_11target_archE1100ELNS1_3gpuE3ELNS1_3repE0EEENS1_30default_config_static_selectorELNS0_4arch9wavefront6targetE1EEEvT1_,"axG",@progbits,_ZN7rocprim17ROCPRIM_400000_NS6detail17trampoline_kernelINS0_14default_configENS1_25partition_config_selectorILNS1_17partition_subalgoE1ExNS0_10empty_typeEbEEZZNS1_14partition_implILS5_1ELb0ES3_jN6thrust23THRUST_200600_302600_NS6detail15normal_iteratorINSA_10device_ptrIxEEEEPS6_NSA_18transform_iteratorI7is_evenIxESF_NSA_11use_defaultESK_EENS0_5tupleIJSF_NSA_16discard_iteratorISK_EEEEENSM_IJSG_SG_EEES6_PlJS6_EEE10hipError_tPvRmT3_T4_T5_T6_T7_T9_mT8_P12ihipStream_tbDpT10_ENKUlT_T0_E_clISt17integral_constantIbLb0EES1A_IbLb1EEEEDaS16_S17_EUlS16_E_NS1_11comp_targetILNS1_3genE9ELNS1_11target_archE1100ELNS1_3gpuE3ELNS1_3repE0EEENS1_30default_config_static_selectorELNS0_4arch9wavefront6targetE1EEEvT1_,comdat
	.protected	_ZN7rocprim17ROCPRIM_400000_NS6detail17trampoline_kernelINS0_14default_configENS1_25partition_config_selectorILNS1_17partition_subalgoE1ExNS0_10empty_typeEbEEZZNS1_14partition_implILS5_1ELb0ES3_jN6thrust23THRUST_200600_302600_NS6detail15normal_iteratorINSA_10device_ptrIxEEEEPS6_NSA_18transform_iteratorI7is_evenIxESF_NSA_11use_defaultESK_EENS0_5tupleIJSF_NSA_16discard_iteratorISK_EEEEENSM_IJSG_SG_EEES6_PlJS6_EEE10hipError_tPvRmT3_T4_T5_T6_T7_T9_mT8_P12ihipStream_tbDpT10_ENKUlT_T0_E_clISt17integral_constantIbLb0EES1A_IbLb1EEEEDaS16_S17_EUlS16_E_NS1_11comp_targetILNS1_3genE9ELNS1_11target_archE1100ELNS1_3gpuE3ELNS1_3repE0EEENS1_30default_config_static_selectorELNS0_4arch9wavefront6targetE1EEEvT1_ ; -- Begin function _ZN7rocprim17ROCPRIM_400000_NS6detail17trampoline_kernelINS0_14default_configENS1_25partition_config_selectorILNS1_17partition_subalgoE1ExNS0_10empty_typeEbEEZZNS1_14partition_implILS5_1ELb0ES3_jN6thrust23THRUST_200600_302600_NS6detail15normal_iteratorINSA_10device_ptrIxEEEEPS6_NSA_18transform_iteratorI7is_evenIxESF_NSA_11use_defaultESK_EENS0_5tupleIJSF_NSA_16discard_iteratorISK_EEEEENSM_IJSG_SG_EEES6_PlJS6_EEE10hipError_tPvRmT3_T4_T5_T6_T7_T9_mT8_P12ihipStream_tbDpT10_ENKUlT_T0_E_clISt17integral_constantIbLb0EES1A_IbLb1EEEEDaS16_S17_EUlS16_E_NS1_11comp_targetILNS1_3genE9ELNS1_11target_archE1100ELNS1_3gpuE3ELNS1_3repE0EEENS1_30default_config_static_selectorELNS0_4arch9wavefront6targetE1EEEvT1_
	.globl	_ZN7rocprim17ROCPRIM_400000_NS6detail17trampoline_kernelINS0_14default_configENS1_25partition_config_selectorILNS1_17partition_subalgoE1ExNS0_10empty_typeEbEEZZNS1_14partition_implILS5_1ELb0ES3_jN6thrust23THRUST_200600_302600_NS6detail15normal_iteratorINSA_10device_ptrIxEEEEPS6_NSA_18transform_iteratorI7is_evenIxESF_NSA_11use_defaultESK_EENS0_5tupleIJSF_NSA_16discard_iteratorISK_EEEEENSM_IJSG_SG_EEES6_PlJS6_EEE10hipError_tPvRmT3_T4_T5_T6_T7_T9_mT8_P12ihipStream_tbDpT10_ENKUlT_T0_E_clISt17integral_constantIbLb0EES1A_IbLb1EEEEDaS16_S17_EUlS16_E_NS1_11comp_targetILNS1_3genE9ELNS1_11target_archE1100ELNS1_3gpuE3ELNS1_3repE0EEENS1_30default_config_static_selectorELNS0_4arch9wavefront6targetE1EEEvT1_
	.p2align	8
	.type	_ZN7rocprim17ROCPRIM_400000_NS6detail17trampoline_kernelINS0_14default_configENS1_25partition_config_selectorILNS1_17partition_subalgoE1ExNS0_10empty_typeEbEEZZNS1_14partition_implILS5_1ELb0ES3_jN6thrust23THRUST_200600_302600_NS6detail15normal_iteratorINSA_10device_ptrIxEEEEPS6_NSA_18transform_iteratorI7is_evenIxESF_NSA_11use_defaultESK_EENS0_5tupleIJSF_NSA_16discard_iteratorISK_EEEEENSM_IJSG_SG_EEES6_PlJS6_EEE10hipError_tPvRmT3_T4_T5_T6_T7_T9_mT8_P12ihipStream_tbDpT10_ENKUlT_T0_E_clISt17integral_constantIbLb0EES1A_IbLb1EEEEDaS16_S17_EUlS16_E_NS1_11comp_targetILNS1_3genE9ELNS1_11target_archE1100ELNS1_3gpuE3ELNS1_3repE0EEENS1_30default_config_static_selectorELNS0_4arch9wavefront6targetE1EEEvT1_,@function
_ZN7rocprim17ROCPRIM_400000_NS6detail17trampoline_kernelINS0_14default_configENS1_25partition_config_selectorILNS1_17partition_subalgoE1ExNS0_10empty_typeEbEEZZNS1_14partition_implILS5_1ELb0ES3_jN6thrust23THRUST_200600_302600_NS6detail15normal_iteratorINSA_10device_ptrIxEEEEPS6_NSA_18transform_iteratorI7is_evenIxESF_NSA_11use_defaultESK_EENS0_5tupleIJSF_NSA_16discard_iteratorISK_EEEEENSM_IJSG_SG_EEES6_PlJS6_EEE10hipError_tPvRmT3_T4_T5_T6_T7_T9_mT8_P12ihipStream_tbDpT10_ENKUlT_T0_E_clISt17integral_constantIbLb0EES1A_IbLb1EEEEDaS16_S17_EUlS16_E_NS1_11comp_targetILNS1_3genE9ELNS1_11target_archE1100ELNS1_3gpuE3ELNS1_3repE0EEENS1_30default_config_static_selectorELNS0_4arch9wavefront6targetE1EEEvT1_: ; @_ZN7rocprim17ROCPRIM_400000_NS6detail17trampoline_kernelINS0_14default_configENS1_25partition_config_selectorILNS1_17partition_subalgoE1ExNS0_10empty_typeEbEEZZNS1_14partition_implILS5_1ELb0ES3_jN6thrust23THRUST_200600_302600_NS6detail15normal_iteratorINSA_10device_ptrIxEEEEPS6_NSA_18transform_iteratorI7is_evenIxESF_NSA_11use_defaultESK_EENS0_5tupleIJSF_NSA_16discard_iteratorISK_EEEEENSM_IJSG_SG_EEES6_PlJS6_EEE10hipError_tPvRmT3_T4_T5_T6_T7_T9_mT8_P12ihipStream_tbDpT10_ENKUlT_T0_E_clISt17integral_constantIbLb0EES1A_IbLb1EEEEDaS16_S17_EUlS16_E_NS1_11comp_targetILNS1_3genE9ELNS1_11target_archE1100ELNS1_3gpuE3ELNS1_3repE0EEENS1_30default_config_static_selectorELNS0_4arch9wavefront6targetE1EEEvT1_
; %bb.0:
	.section	.rodata,"a",@progbits
	.p2align	6, 0x0
	.amdhsa_kernel _ZN7rocprim17ROCPRIM_400000_NS6detail17trampoline_kernelINS0_14default_configENS1_25partition_config_selectorILNS1_17partition_subalgoE1ExNS0_10empty_typeEbEEZZNS1_14partition_implILS5_1ELb0ES3_jN6thrust23THRUST_200600_302600_NS6detail15normal_iteratorINSA_10device_ptrIxEEEEPS6_NSA_18transform_iteratorI7is_evenIxESF_NSA_11use_defaultESK_EENS0_5tupleIJSF_NSA_16discard_iteratorISK_EEEEENSM_IJSG_SG_EEES6_PlJS6_EEE10hipError_tPvRmT3_T4_T5_T6_T7_T9_mT8_P12ihipStream_tbDpT10_ENKUlT_T0_E_clISt17integral_constantIbLb0EES1A_IbLb1EEEEDaS16_S17_EUlS16_E_NS1_11comp_targetILNS1_3genE9ELNS1_11target_archE1100ELNS1_3gpuE3ELNS1_3repE0EEENS1_30default_config_static_selectorELNS0_4arch9wavefront6targetE1EEEvT1_
		.amdhsa_group_segment_fixed_size 0
		.amdhsa_private_segment_fixed_size 0
		.amdhsa_kernarg_size 152
		.amdhsa_user_sgpr_count 6
		.amdhsa_user_sgpr_private_segment_buffer 1
		.amdhsa_user_sgpr_dispatch_ptr 0
		.amdhsa_user_sgpr_queue_ptr 0
		.amdhsa_user_sgpr_kernarg_segment_ptr 1
		.amdhsa_user_sgpr_dispatch_id 0
		.amdhsa_user_sgpr_flat_scratch_init 0
		.amdhsa_user_sgpr_kernarg_preload_length 0
		.amdhsa_user_sgpr_kernarg_preload_offset 0
		.amdhsa_user_sgpr_private_segment_size 0
		.amdhsa_uses_dynamic_stack 0
		.amdhsa_system_sgpr_private_segment_wavefront_offset 0
		.amdhsa_system_sgpr_workgroup_id_x 1
		.amdhsa_system_sgpr_workgroup_id_y 0
		.amdhsa_system_sgpr_workgroup_id_z 0
		.amdhsa_system_sgpr_workgroup_info 0
		.amdhsa_system_vgpr_workitem_id 0
		.amdhsa_next_free_vgpr 1
		.amdhsa_next_free_sgpr 0
		.amdhsa_accum_offset 4
		.amdhsa_reserve_vcc 0
		.amdhsa_reserve_flat_scratch 0
		.amdhsa_float_round_mode_32 0
		.amdhsa_float_round_mode_16_64 0
		.amdhsa_float_denorm_mode_32 3
		.amdhsa_float_denorm_mode_16_64 3
		.amdhsa_dx10_clamp 1
		.amdhsa_ieee_mode 1
		.amdhsa_fp16_overflow 0
		.amdhsa_tg_split 0
		.amdhsa_exception_fp_ieee_invalid_op 0
		.amdhsa_exception_fp_denorm_src 0
		.amdhsa_exception_fp_ieee_div_zero 0
		.amdhsa_exception_fp_ieee_overflow 0
		.amdhsa_exception_fp_ieee_underflow 0
		.amdhsa_exception_fp_ieee_inexact 0
		.amdhsa_exception_int_div_zero 0
	.end_amdhsa_kernel
	.section	.text._ZN7rocprim17ROCPRIM_400000_NS6detail17trampoline_kernelINS0_14default_configENS1_25partition_config_selectorILNS1_17partition_subalgoE1ExNS0_10empty_typeEbEEZZNS1_14partition_implILS5_1ELb0ES3_jN6thrust23THRUST_200600_302600_NS6detail15normal_iteratorINSA_10device_ptrIxEEEEPS6_NSA_18transform_iteratorI7is_evenIxESF_NSA_11use_defaultESK_EENS0_5tupleIJSF_NSA_16discard_iteratorISK_EEEEENSM_IJSG_SG_EEES6_PlJS6_EEE10hipError_tPvRmT3_T4_T5_T6_T7_T9_mT8_P12ihipStream_tbDpT10_ENKUlT_T0_E_clISt17integral_constantIbLb0EES1A_IbLb1EEEEDaS16_S17_EUlS16_E_NS1_11comp_targetILNS1_3genE9ELNS1_11target_archE1100ELNS1_3gpuE3ELNS1_3repE0EEENS1_30default_config_static_selectorELNS0_4arch9wavefront6targetE1EEEvT1_,"axG",@progbits,_ZN7rocprim17ROCPRIM_400000_NS6detail17trampoline_kernelINS0_14default_configENS1_25partition_config_selectorILNS1_17partition_subalgoE1ExNS0_10empty_typeEbEEZZNS1_14partition_implILS5_1ELb0ES3_jN6thrust23THRUST_200600_302600_NS6detail15normal_iteratorINSA_10device_ptrIxEEEEPS6_NSA_18transform_iteratorI7is_evenIxESF_NSA_11use_defaultESK_EENS0_5tupleIJSF_NSA_16discard_iteratorISK_EEEEENSM_IJSG_SG_EEES6_PlJS6_EEE10hipError_tPvRmT3_T4_T5_T6_T7_T9_mT8_P12ihipStream_tbDpT10_ENKUlT_T0_E_clISt17integral_constantIbLb0EES1A_IbLb1EEEEDaS16_S17_EUlS16_E_NS1_11comp_targetILNS1_3genE9ELNS1_11target_archE1100ELNS1_3gpuE3ELNS1_3repE0EEENS1_30default_config_static_selectorELNS0_4arch9wavefront6targetE1EEEvT1_,comdat
.Lfunc_end3225:
	.size	_ZN7rocprim17ROCPRIM_400000_NS6detail17trampoline_kernelINS0_14default_configENS1_25partition_config_selectorILNS1_17partition_subalgoE1ExNS0_10empty_typeEbEEZZNS1_14partition_implILS5_1ELb0ES3_jN6thrust23THRUST_200600_302600_NS6detail15normal_iteratorINSA_10device_ptrIxEEEEPS6_NSA_18transform_iteratorI7is_evenIxESF_NSA_11use_defaultESK_EENS0_5tupleIJSF_NSA_16discard_iteratorISK_EEEEENSM_IJSG_SG_EEES6_PlJS6_EEE10hipError_tPvRmT3_T4_T5_T6_T7_T9_mT8_P12ihipStream_tbDpT10_ENKUlT_T0_E_clISt17integral_constantIbLb0EES1A_IbLb1EEEEDaS16_S17_EUlS16_E_NS1_11comp_targetILNS1_3genE9ELNS1_11target_archE1100ELNS1_3gpuE3ELNS1_3repE0EEENS1_30default_config_static_selectorELNS0_4arch9wavefront6targetE1EEEvT1_, .Lfunc_end3225-_ZN7rocprim17ROCPRIM_400000_NS6detail17trampoline_kernelINS0_14default_configENS1_25partition_config_selectorILNS1_17partition_subalgoE1ExNS0_10empty_typeEbEEZZNS1_14partition_implILS5_1ELb0ES3_jN6thrust23THRUST_200600_302600_NS6detail15normal_iteratorINSA_10device_ptrIxEEEEPS6_NSA_18transform_iteratorI7is_evenIxESF_NSA_11use_defaultESK_EENS0_5tupleIJSF_NSA_16discard_iteratorISK_EEEEENSM_IJSG_SG_EEES6_PlJS6_EEE10hipError_tPvRmT3_T4_T5_T6_T7_T9_mT8_P12ihipStream_tbDpT10_ENKUlT_T0_E_clISt17integral_constantIbLb0EES1A_IbLb1EEEEDaS16_S17_EUlS16_E_NS1_11comp_targetILNS1_3genE9ELNS1_11target_archE1100ELNS1_3gpuE3ELNS1_3repE0EEENS1_30default_config_static_selectorELNS0_4arch9wavefront6targetE1EEEvT1_
                                        ; -- End function
	.section	.AMDGPU.csdata,"",@progbits
; Kernel info:
; codeLenInByte = 0
; NumSgprs: 4
; NumVgprs: 0
; NumAgprs: 0
; TotalNumVgprs: 0
; ScratchSize: 0
; MemoryBound: 0
; FloatMode: 240
; IeeeMode: 1
; LDSByteSize: 0 bytes/workgroup (compile time only)
; SGPRBlocks: 0
; VGPRBlocks: 0
; NumSGPRsForWavesPerEU: 4
; NumVGPRsForWavesPerEU: 1
; AccumOffset: 4
; Occupancy: 8
; WaveLimiterHint : 0
; COMPUTE_PGM_RSRC2:SCRATCH_EN: 0
; COMPUTE_PGM_RSRC2:USER_SGPR: 6
; COMPUTE_PGM_RSRC2:TRAP_HANDLER: 0
; COMPUTE_PGM_RSRC2:TGID_X_EN: 1
; COMPUTE_PGM_RSRC2:TGID_Y_EN: 0
; COMPUTE_PGM_RSRC2:TGID_Z_EN: 0
; COMPUTE_PGM_RSRC2:TIDIG_COMP_CNT: 0
; COMPUTE_PGM_RSRC3_GFX90A:ACCUM_OFFSET: 0
; COMPUTE_PGM_RSRC3_GFX90A:TG_SPLIT: 0
	.section	.text._ZN7rocprim17ROCPRIM_400000_NS6detail17trampoline_kernelINS0_14default_configENS1_25partition_config_selectorILNS1_17partition_subalgoE1ExNS0_10empty_typeEbEEZZNS1_14partition_implILS5_1ELb0ES3_jN6thrust23THRUST_200600_302600_NS6detail15normal_iteratorINSA_10device_ptrIxEEEEPS6_NSA_18transform_iteratorI7is_evenIxESF_NSA_11use_defaultESK_EENS0_5tupleIJSF_NSA_16discard_iteratorISK_EEEEENSM_IJSG_SG_EEES6_PlJS6_EEE10hipError_tPvRmT3_T4_T5_T6_T7_T9_mT8_P12ihipStream_tbDpT10_ENKUlT_T0_E_clISt17integral_constantIbLb0EES1A_IbLb1EEEEDaS16_S17_EUlS16_E_NS1_11comp_targetILNS1_3genE8ELNS1_11target_archE1030ELNS1_3gpuE2ELNS1_3repE0EEENS1_30default_config_static_selectorELNS0_4arch9wavefront6targetE1EEEvT1_,"axG",@progbits,_ZN7rocprim17ROCPRIM_400000_NS6detail17trampoline_kernelINS0_14default_configENS1_25partition_config_selectorILNS1_17partition_subalgoE1ExNS0_10empty_typeEbEEZZNS1_14partition_implILS5_1ELb0ES3_jN6thrust23THRUST_200600_302600_NS6detail15normal_iteratorINSA_10device_ptrIxEEEEPS6_NSA_18transform_iteratorI7is_evenIxESF_NSA_11use_defaultESK_EENS0_5tupleIJSF_NSA_16discard_iteratorISK_EEEEENSM_IJSG_SG_EEES6_PlJS6_EEE10hipError_tPvRmT3_T4_T5_T6_T7_T9_mT8_P12ihipStream_tbDpT10_ENKUlT_T0_E_clISt17integral_constantIbLb0EES1A_IbLb1EEEEDaS16_S17_EUlS16_E_NS1_11comp_targetILNS1_3genE8ELNS1_11target_archE1030ELNS1_3gpuE2ELNS1_3repE0EEENS1_30default_config_static_selectorELNS0_4arch9wavefront6targetE1EEEvT1_,comdat
	.protected	_ZN7rocprim17ROCPRIM_400000_NS6detail17trampoline_kernelINS0_14default_configENS1_25partition_config_selectorILNS1_17partition_subalgoE1ExNS0_10empty_typeEbEEZZNS1_14partition_implILS5_1ELb0ES3_jN6thrust23THRUST_200600_302600_NS6detail15normal_iteratorINSA_10device_ptrIxEEEEPS6_NSA_18transform_iteratorI7is_evenIxESF_NSA_11use_defaultESK_EENS0_5tupleIJSF_NSA_16discard_iteratorISK_EEEEENSM_IJSG_SG_EEES6_PlJS6_EEE10hipError_tPvRmT3_T4_T5_T6_T7_T9_mT8_P12ihipStream_tbDpT10_ENKUlT_T0_E_clISt17integral_constantIbLb0EES1A_IbLb1EEEEDaS16_S17_EUlS16_E_NS1_11comp_targetILNS1_3genE8ELNS1_11target_archE1030ELNS1_3gpuE2ELNS1_3repE0EEENS1_30default_config_static_selectorELNS0_4arch9wavefront6targetE1EEEvT1_ ; -- Begin function _ZN7rocprim17ROCPRIM_400000_NS6detail17trampoline_kernelINS0_14default_configENS1_25partition_config_selectorILNS1_17partition_subalgoE1ExNS0_10empty_typeEbEEZZNS1_14partition_implILS5_1ELb0ES3_jN6thrust23THRUST_200600_302600_NS6detail15normal_iteratorINSA_10device_ptrIxEEEEPS6_NSA_18transform_iteratorI7is_evenIxESF_NSA_11use_defaultESK_EENS0_5tupleIJSF_NSA_16discard_iteratorISK_EEEEENSM_IJSG_SG_EEES6_PlJS6_EEE10hipError_tPvRmT3_T4_T5_T6_T7_T9_mT8_P12ihipStream_tbDpT10_ENKUlT_T0_E_clISt17integral_constantIbLb0EES1A_IbLb1EEEEDaS16_S17_EUlS16_E_NS1_11comp_targetILNS1_3genE8ELNS1_11target_archE1030ELNS1_3gpuE2ELNS1_3repE0EEENS1_30default_config_static_selectorELNS0_4arch9wavefront6targetE1EEEvT1_
	.globl	_ZN7rocprim17ROCPRIM_400000_NS6detail17trampoline_kernelINS0_14default_configENS1_25partition_config_selectorILNS1_17partition_subalgoE1ExNS0_10empty_typeEbEEZZNS1_14partition_implILS5_1ELb0ES3_jN6thrust23THRUST_200600_302600_NS6detail15normal_iteratorINSA_10device_ptrIxEEEEPS6_NSA_18transform_iteratorI7is_evenIxESF_NSA_11use_defaultESK_EENS0_5tupleIJSF_NSA_16discard_iteratorISK_EEEEENSM_IJSG_SG_EEES6_PlJS6_EEE10hipError_tPvRmT3_T4_T5_T6_T7_T9_mT8_P12ihipStream_tbDpT10_ENKUlT_T0_E_clISt17integral_constantIbLb0EES1A_IbLb1EEEEDaS16_S17_EUlS16_E_NS1_11comp_targetILNS1_3genE8ELNS1_11target_archE1030ELNS1_3gpuE2ELNS1_3repE0EEENS1_30default_config_static_selectorELNS0_4arch9wavefront6targetE1EEEvT1_
	.p2align	8
	.type	_ZN7rocprim17ROCPRIM_400000_NS6detail17trampoline_kernelINS0_14default_configENS1_25partition_config_selectorILNS1_17partition_subalgoE1ExNS0_10empty_typeEbEEZZNS1_14partition_implILS5_1ELb0ES3_jN6thrust23THRUST_200600_302600_NS6detail15normal_iteratorINSA_10device_ptrIxEEEEPS6_NSA_18transform_iteratorI7is_evenIxESF_NSA_11use_defaultESK_EENS0_5tupleIJSF_NSA_16discard_iteratorISK_EEEEENSM_IJSG_SG_EEES6_PlJS6_EEE10hipError_tPvRmT3_T4_T5_T6_T7_T9_mT8_P12ihipStream_tbDpT10_ENKUlT_T0_E_clISt17integral_constantIbLb0EES1A_IbLb1EEEEDaS16_S17_EUlS16_E_NS1_11comp_targetILNS1_3genE8ELNS1_11target_archE1030ELNS1_3gpuE2ELNS1_3repE0EEENS1_30default_config_static_selectorELNS0_4arch9wavefront6targetE1EEEvT1_,@function
_ZN7rocprim17ROCPRIM_400000_NS6detail17trampoline_kernelINS0_14default_configENS1_25partition_config_selectorILNS1_17partition_subalgoE1ExNS0_10empty_typeEbEEZZNS1_14partition_implILS5_1ELb0ES3_jN6thrust23THRUST_200600_302600_NS6detail15normal_iteratorINSA_10device_ptrIxEEEEPS6_NSA_18transform_iteratorI7is_evenIxESF_NSA_11use_defaultESK_EENS0_5tupleIJSF_NSA_16discard_iteratorISK_EEEEENSM_IJSG_SG_EEES6_PlJS6_EEE10hipError_tPvRmT3_T4_T5_T6_T7_T9_mT8_P12ihipStream_tbDpT10_ENKUlT_T0_E_clISt17integral_constantIbLb0EES1A_IbLb1EEEEDaS16_S17_EUlS16_E_NS1_11comp_targetILNS1_3genE8ELNS1_11target_archE1030ELNS1_3gpuE2ELNS1_3repE0EEENS1_30default_config_static_selectorELNS0_4arch9wavefront6targetE1EEEvT1_: ; @_ZN7rocprim17ROCPRIM_400000_NS6detail17trampoline_kernelINS0_14default_configENS1_25partition_config_selectorILNS1_17partition_subalgoE1ExNS0_10empty_typeEbEEZZNS1_14partition_implILS5_1ELb0ES3_jN6thrust23THRUST_200600_302600_NS6detail15normal_iteratorINSA_10device_ptrIxEEEEPS6_NSA_18transform_iteratorI7is_evenIxESF_NSA_11use_defaultESK_EENS0_5tupleIJSF_NSA_16discard_iteratorISK_EEEEENSM_IJSG_SG_EEES6_PlJS6_EEE10hipError_tPvRmT3_T4_T5_T6_T7_T9_mT8_P12ihipStream_tbDpT10_ENKUlT_T0_E_clISt17integral_constantIbLb0EES1A_IbLb1EEEEDaS16_S17_EUlS16_E_NS1_11comp_targetILNS1_3genE8ELNS1_11target_archE1030ELNS1_3gpuE2ELNS1_3repE0EEENS1_30default_config_static_selectorELNS0_4arch9wavefront6targetE1EEEvT1_
; %bb.0:
	.section	.rodata,"a",@progbits
	.p2align	6, 0x0
	.amdhsa_kernel _ZN7rocprim17ROCPRIM_400000_NS6detail17trampoline_kernelINS0_14default_configENS1_25partition_config_selectorILNS1_17partition_subalgoE1ExNS0_10empty_typeEbEEZZNS1_14partition_implILS5_1ELb0ES3_jN6thrust23THRUST_200600_302600_NS6detail15normal_iteratorINSA_10device_ptrIxEEEEPS6_NSA_18transform_iteratorI7is_evenIxESF_NSA_11use_defaultESK_EENS0_5tupleIJSF_NSA_16discard_iteratorISK_EEEEENSM_IJSG_SG_EEES6_PlJS6_EEE10hipError_tPvRmT3_T4_T5_T6_T7_T9_mT8_P12ihipStream_tbDpT10_ENKUlT_T0_E_clISt17integral_constantIbLb0EES1A_IbLb1EEEEDaS16_S17_EUlS16_E_NS1_11comp_targetILNS1_3genE8ELNS1_11target_archE1030ELNS1_3gpuE2ELNS1_3repE0EEENS1_30default_config_static_selectorELNS0_4arch9wavefront6targetE1EEEvT1_
		.amdhsa_group_segment_fixed_size 0
		.amdhsa_private_segment_fixed_size 0
		.amdhsa_kernarg_size 152
		.amdhsa_user_sgpr_count 6
		.amdhsa_user_sgpr_private_segment_buffer 1
		.amdhsa_user_sgpr_dispatch_ptr 0
		.amdhsa_user_sgpr_queue_ptr 0
		.amdhsa_user_sgpr_kernarg_segment_ptr 1
		.amdhsa_user_sgpr_dispatch_id 0
		.amdhsa_user_sgpr_flat_scratch_init 0
		.amdhsa_user_sgpr_kernarg_preload_length 0
		.amdhsa_user_sgpr_kernarg_preload_offset 0
		.amdhsa_user_sgpr_private_segment_size 0
		.amdhsa_uses_dynamic_stack 0
		.amdhsa_system_sgpr_private_segment_wavefront_offset 0
		.amdhsa_system_sgpr_workgroup_id_x 1
		.amdhsa_system_sgpr_workgroup_id_y 0
		.amdhsa_system_sgpr_workgroup_id_z 0
		.amdhsa_system_sgpr_workgroup_info 0
		.amdhsa_system_vgpr_workitem_id 0
		.amdhsa_next_free_vgpr 1
		.amdhsa_next_free_sgpr 0
		.amdhsa_accum_offset 4
		.amdhsa_reserve_vcc 0
		.amdhsa_reserve_flat_scratch 0
		.amdhsa_float_round_mode_32 0
		.amdhsa_float_round_mode_16_64 0
		.amdhsa_float_denorm_mode_32 3
		.amdhsa_float_denorm_mode_16_64 3
		.amdhsa_dx10_clamp 1
		.amdhsa_ieee_mode 1
		.amdhsa_fp16_overflow 0
		.amdhsa_tg_split 0
		.amdhsa_exception_fp_ieee_invalid_op 0
		.amdhsa_exception_fp_denorm_src 0
		.amdhsa_exception_fp_ieee_div_zero 0
		.amdhsa_exception_fp_ieee_overflow 0
		.amdhsa_exception_fp_ieee_underflow 0
		.amdhsa_exception_fp_ieee_inexact 0
		.amdhsa_exception_int_div_zero 0
	.end_amdhsa_kernel
	.section	.text._ZN7rocprim17ROCPRIM_400000_NS6detail17trampoline_kernelINS0_14default_configENS1_25partition_config_selectorILNS1_17partition_subalgoE1ExNS0_10empty_typeEbEEZZNS1_14partition_implILS5_1ELb0ES3_jN6thrust23THRUST_200600_302600_NS6detail15normal_iteratorINSA_10device_ptrIxEEEEPS6_NSA_18transform_iteratorI7is_evenIxESF_NSA_11use_defaultESK_EENS0_5tupleIJSF_NSA_16discard_iteratorISK_EEEEENSM_IJSG_SG_EEES6_PlJS6_EEE10hipError_tPvRmT3_T4_T5_T6_T7_T9_mT8_P12ihipStream_tbDpT10_ENKUlT_T0_E_clISt17integral_constantIbLb0EES1A_IbLb1EEEEDaS16_S17_EUlS16_E_NS1_11comp_targetILNS1_3genE8ELNS1_11target_archE1030ELNS1_3gpuE2ELNS1_3repE0EEENS1_30default_config_static_selectorELNS0_4arch9wavefront6targetE1EEEvT1_,"axG",@progbits,_ZN7rocprim17ROCPRIM_400000_NS6detail17trampoline_kernelINS0_14default_configENS1_25partition_config_selectorILNS1_17partition_subalgoE1ExNS0_10empty_typeEbEEZZNS1_14partition_implILS5_1ELb0ES3_jN6thrust23THRUST_200600_302600_NS6detail15normal_iteratorINSA_10device_ptrIxEEEEPS6_NSA_18transform_iteratorI7is_evenIxESF_NSA_11use_defaultESK_EENS0_5tupleIJSF_NSA_16discard_iteratorISK_EEEEENSM_IJSG_SG_EEES6_PlJS6_EEE10hipError_tPvRmT3_T4_T5_T6_T7_T9_mT8_P12ihipStream_tbDpT10_ENKUlT_T0_E_clISt17integral_constantIbLb0EES1A_IbLb1EEEEDaS16_S17_EUlS16_E_NS1_11comp_targetILNS1_3genE8ELNS1_11target_archE1030ELNS1_3gpuE2ELNS1_3repE0EEENS1_30default_config_static_selectorELNS0_4arch9wavefront6targetE1EEEvT1_,comdat
.Lfunc_end3226:
	.size	_ZN7rocprim17ROCPRIM_400000_NS6detail17trampoline_kernelINS0_14default_configENS1_25partition_config_selectorILNS1_17partition_subalgoE1ExNS0_10empty_typeEbEEZZNS1_14partition_implILS5_1ELb0ES3_jN6thrust23THRUST_200600_302600_NS6detail15normal_iteratorINSA_10device_ptrIxEEEEPS6_NSA_18transform_iteratorI7is_evenIxESF_NSA_11use_defaultESK_EENS0_5tupleIJSF_NSA_16discard_iteratorISK_EEEEENSM_IJSG_SG_EEES6_PlJS6_EEE10hipError_tPvRmT3_T4_T5_T6_T7_T9_mT8_P12ihipStream_tbDpT10_ENKUlT_T0_E_clISt17integral_constantIbLb0EES1A_IbLb1EEEEDaS16_S17_EUlS16_E_NS1_11comp_targetILNS1_3genE8ELNS1_11target_archE1030ELNS1_3gpuE2ELNS1_3repE0EEENS1_30default_config_static_selectorELNS0_4arch9wavefront6targetE1EEEvT1_, .Lfunc_end3226-_ZN7rocprim17ROCPRIM_400000_NS6detail17trampoline_kernelINS0_14default_configENS1_25partition_config_selectorILNS1_17partition_subalgoE1ExNS0_10empty_typeEbEEZZNS1_14partition_implILS5_1ELb0ES3_jN6thrust23THRUST_200600_302600_NS6detail15normal_iteratorINSA_10device_ptrIxEEEEPS6_NSA_18transform_iteratorI7is_evenIxESF_NSA_11use_defaultESK_EENS0_5tupleIJSF_NSA_16discard_iteratorISK_EEEEENSM_IJSG_SG_EEES6_PlJS6_EEE10hipError_tPvRmT3_T4_T5_T6_T7_T9_mT8_P12ihipStream_tbDpT10_ENKUlT_T0_E_clISt17integral_constantIbLb0EES1A_IbLb1EEEEDaS16_S17_EUlS16_E_NS1_11comp_targetILNS1_3genE8ELNS1_11target_archE1030ELNS1_3gpuE2ELNS1_3repE0EEENS1_30default_config_static_selectorELNS0_4arch9wavefront6targetE1EEEvT1_
                                        ; -- End function
	.section	.AMDGPU.csdata,"",@progbits
; Kernel info:
; codeLenInByte = 0
; NumSgprs: 4
; NumVgprs: 0
; NumAgprs: 0
; TotalNumVgprs: 0
; ScratchSize: 0
; MemoryBound: 0
; FloatMode: 240
; IeeeMode: 1
; LDSByteSize: 0 bytes/workgroup (compile time only)
; SGPRBlocks: 0
; VGPRBlocks: 0
; NumSGPRsForWavesPerEU: 4
; NumVGPRsForWavesPerEU: 1
; AccumOffset: 4
; Occupancy: 8
; WaveLimiterHint : 0
; COMPUTE_PGM_RSRC2:SCRATCH_EN: 0
; COMPUTE_PGM_RSRC2:USER_SGPR: 6
; COMPUTE_PGM_RSRC2:TRAP_HANDLER: 0
; COMPUTE_PGM_RSRC2:TGID_X_EN: 1
; COMPUTE_PGM_RSRC2:TGID_Y_EN: 0
; COMPUTE_PGM_RSRC2:TGID_Z_EN: 0
; COMPUTE_PGM_RSRC2:TIDIG_COMP_CNT: 0
; COMPUTE_PGM_RSRC3_GFX90A:ACCUM_OFFSET: 0
; COMPUTE_PGM_RSRC3_GFX90A:TG_SPLIT: 0
	.section	.text._ZN7rocprim17ROCPRIM_400000_NS6detail17trampoline_kernelINS0_14default_configENS1_25partition_config_selectorILNS1_17partition_subalgoE1ExNS0_10empty_typeEbEEZZNS1_14partition_implILS5_1ELb0ES3_jN6thrust23THRUST_200600_302600_NS6detail15normal_iteratorINSA_10device_ptrIxEEEEPS6_NSA_18transform_iteratorI7is_evenIxESF_NSA_11use_defaultESK_EENS0_5tupleIJNSA_16discard_iteratorISK_EESF_EEENSM_IJSG_SG_EEES6_PlJS6_EEE10hipError_tPvRmT3_T4_T5_T6_T7_T9_mT8_P12ihipStream_tbDpT10_ENKUlT_T0_E_clISt17integral_constantIbLb0EES1B_EEDaS16_S17_EUlS16_E_NS1_11comp_targetILNS1_3genE0ELNS1_11target_archE4294967295ELNS1_3gpuE0ELNS1_3repE0EEENS1_30default_config_static_selectorELNS0_4arch9wavefront6targetE1EEEvT1_,"axG",@progbits,_ZN7rocprim17ROCPRIM_400000_NS6detail17trampoline_kernelINS0_14default_configENS1_25partition_config_selectorILNS1_17partition_subalgoE1ExNS0_10empty_typeEbEEZZNS1_14partition_implILS5_1ELb0ES3_jN6thrust23THRUST_200600_302600_NS6detail15normal_iteratorINSA_10device_ptrIxEEEEPS6_NSA_18transform_iteratorI7is_evenIxESF_NSA_11use_defaultESK_EENS0_5tupleIJNSA_16discard_iteratorISK_EESF_EEENSM_IJSG_SG_EEES6_PlJS6_EEE10hipError_tPvRmT3_T4_T5_T6_T7_T9_mT8_P12ihipStream_tbDpT10_ENKUlT_T0_E_clISt17integral_constantIbLb0EES1B_EEDaS16_S17_EUlS16_E_NS1_11comp_targetILNS1_3genE0ELNS1_11target_archE4294967295ELNS1_3gpuE0ELNS1_3repE0EEENS1_30default_config_static_selectorELNS0_4arch9wavefront6targetE1EEEvT1_,comdat
	.protected	_ZN7rocprim17ROCPRIM_400000_NS6detail17trampoline_kernelINS0_14default_configENS1_25partition_config_selectorILNS1_17partition_subalgoE1ExNS0_10empty_typeEbEEZZNS1_14partition_implILS5_1ELb0ES3_jN6thrust23THRUST_200600_302600_NS6detail15normal_iteratorINSA_10device_ptrIxEEEEPS6_NSA_18transform_iteratorI7is_evenIxESF_NSA_11use_defaultESK_EENS0_5tupleIJNSA_16discard_iteratorISK_EESF_EEENSM_IJSG_SG_EEES6_PlJS6_EEE10hipError_tPvRmT3_T4_T5_T6_T7_T9_mT8_P12ihipStream_tbDpT10_ENKUlT_T0_E_clISt17integral_constantIbLb0EES1B_EEDaS16_S17_EUlS16_E_NS1_11comp_targetILNS1_3genE0ELNS1_11target_archE4294967295ELNS1_3gpuE0ELNS1_3repE0EEENS1_30default_config_static_selectorELNS0_4arch9wavefront6targetE1EEEvT1_ ; -- Begin function _ZN7rocprim17ROCPRIM_400000_NS6detail17trampoline_kernelINS0_14default_configENS1_25partition_config_selectorILNS1_17partition_subalgoE1ExNS0_10empty_typeEbEEZZNS1_14partition_implILS5_1ELb0ES3_jN6thrust23THRUST_200600_302600_NS6detail15normal_iteratorINSA_10device_ptrIxEEEEPS6_NSA_18transform_iteratorI7is_evenIxESF_NSA_11use_defaultESK_EENS0_5tupleIJNSA_16discard_iteratorISK_EESF_EEENSM_IJSG_SG_EEES6_PlJS6_EEE10hipError_tPvRmT3_T4_T5_T6_T7_T9_mT8_P12ihipStream_tbDpT10_ENKUlT_T0_E_clISt17integral_constantIbLb0EES1B_EEDaS16_S17_EUlS16_E_NS1_11comp_targetILNS1_3genE0ELNS1_11target_archE4294967295ELNS1_3gpuE0ELNS1_3repE0EEENS1_30default_config_static_selectorELNS0_4arch9wavefront6targetE1EEEvT1_
	.globl	_ZN7rocprim17ROCPRIM_400000_NS6detail17trampoline_kernelINS0_14default_configENS1_25partition_config_selectorILNS1_17partition_subalgoE1ExNS0_10empty_typeEbEEZZNS1_14partition_implILS5_1ELb0ES3_jN6thrust23THRUST_200600_302600_NS6detail15normal_iteratorINSA_10device_ptrIxEEEEPS6_NSA_18transform_iteratorI7is_evenIxESF_NSA_11use_defaultESK_EENS0_5tupleIJNSA_16discard_iteratorISK_EESF_EEENSM_IJSG_SG_EEES6_PlJS6_EEE10hipError_tPvRmT3_T4_T5_T6_T7_T9_mT8_P12ihipStream_tbDpT10_ENKUlT_T0_E_clISt17integral_constantIbLb0EES1B_EEDaS16_S17_EUlS16_E_NS1_11comp_targetILNS1_3genE0ELNS1_11target_archE4294967295ELNS1_3gpuE0ELNS1_3repE0EEENS1_30default_config_static_selectorELNS0_4arch9wavefront6targetE1EEEvT1_
	.p2align	8
	.type	_ZN7rocprim17ROCPRIM_400000_NS6detail17trampoline_kernelINS0_14default_configENS1_25partition_config_selectorILNS1_17partition_subalgoE1ExNS0_10empty_typeEbEEZZNS1_14partition_implILS5_1ELb0ES3_jN6thrust23THRUST_200600_302600_NS6detail15normal_iteratorINSA_10device_ptrIxEEEEPS6_NSA_18transform_iteratorI7is_evenIxESF_NSA_11use_defaultESK_EENS0_5tupleIJNSA_16discard_iteratorISK_EESF_EEENSM_IJSG_SG_EEES6_PlJS6_EEE10hipError_tPvRmT3_T4_T5_T6_T7_T9_mT8_P12ihipStream_tbDpT10_ENKUlT_T0_E_clISt17integral_constantIbLb0EES1B_EEDaS16_S17_EUlS16_E_NS1_11comp_targetILNS1_3genE0ELNS1_11target_archE4294967295ELNS1_3gpuE0ELNS1_3repE0EEENS1_30default_config_static_selectorELNS0_4arch9wavefront6targetE1EEEvT1_,@function
_ZN7rocprim17ROCPRIM_400000_NS6detail17trampoline_kernelINS0_14default_configENS1_25partition_config_selectorILNS1_17partition_subalgoE1ExNS0_10empty_typeEbEEZZNS1_14partition_implILS5_1ELb0ES3_jN6thrust23THRUST_200600_302600_NS6detail15normal_iteratorINSA_10device_ptrIxEEEEPS6_NSA_18transform_iteratorI7is_evenIxESF_NSA_11use_defaultESK_EENS0_5tupleIJNSA_16discard_iteratorISK_EESF_EEENSM_IJSG_SG_EEES6_PlJS6_EEE10hipError_tPvRmT3_T4_T5_T6_T7_T9_mT8_P12ihipStream_tbDpT10_ENKUlT_T0_E_clISt17integral_constantIbLb0EES1B_EEDaS16_S17_EUlS16_E_NS1_11comp_targetILNS1_3genE0ELNS1_11target_archE4294967295ELNS1_3gpuE0ELNS1_3repE0EEENS1_30default_config_static_selectorELNS0_4arch9wavefront6targetE1EEEvT1_: ; @_ZN7rocprim17ROCPRIM_400000_NS6detail17trampoline_kernelINS0_14default_configENS1_25partition_config_selectorILNS1_17partition_subalgoE1ExNS0_10empty_typeEbEEZZNS1_14partition_implILS5_1ELb0ES3_jN6thrust23THRUST_200600_302600_NS6detail15normal_iteratorINSA_10device_ptrIxEEEEPS6_NSA_18transform_iteratorI7is_evenIxESF_NSA_11use_defaultESK_EENS0_5tupleIJNSA_16discard_iteratorISK_EESF_EEENSM_IJSG_SG_EEES6_PlJS6_EEE10hipError_tPvRmT3_T4_T5_T6_T7_T9_mT8_P12ihipStream_tbDpT10_ENKUlT_T0_E_clISt17integral_constantIbLb0EES1B_EEDaS16_S17_EUlS16_E_NS1_11comp_targetILNS1_3genE0ELNS1_11target_archE4294967295ELNS1_3gpuE0ELNS1_3repE0EEENS1_30default_config_static_selectorELNS0_4arch9wavefront6targetE1EEEvT1_
; %bb.0:
	.section	.rodata,"a",@progbits
	.p2align	6, 0x0
	.amdhsa_kernel _ZN7rocprim17ROCPRIM_400000_NS6detail17trampoline_kernelINS0_14default_configENS1_25partition_config_selectorILNS1_17partition_subalgoE1ExNS0_10empty_typeEbEEZZNS1_14partition_implILS5_1ELb0ES3_jN6thrust23THRUST_200600_302600_NS6detail15normal_iteratorINSA_10device_ptrIxEEEEPS6_NSA_18transform_iteratorI7is_evenIxESF_NSA_11use_defaultESK_EENS0_5tupleIJNSA_16discard_iteratorISK_EESF_EEENSM_IJSG_SG_EEES6_PlJS6_EEE10hipError_tPvRmT3_T4_T5_T6_T7_T9_mT8_P12ihipStream_tbDpT10_ENKUlT_T0_E_clISt17integral_constantIbLb0EES1B_EEDaS16_S17_EUlS16_E_NS1_11comp_targetILNS1_3genE0ELNS1_11target_archE4294967295ELNS1_3gpuE0ELNS1_3repE0EEENS1_30default_config_static_selectorELNS0_4arch9wavefront6targetE1EEEvT1_
		.amdhsa_group_segment_fixed_size 0
		.amdhsa_private_segment_fixed_size 0
		.amdhsa_kernarg_size 136
		.amdhsa_user_sgpr_count 6
		.amdhsa_user_sgpr_private_segment_buffer 1
		.amdhsa_user_sgpr_dispatch_ptr 0
		.amdhsa_user_sgpr_queue_ptr 0
		.amdhsa_user_sgpr_kernarg_segment_ptr 1
		.amdhsa_user_sgpr_dispatch_id 0
		.amdhsa_user_sgpr_flat_scratch_init 0
		.amdhsa_user_sgpr_kernarg_preload_length 0
		.amdhsa_user_sgpr_kernarg_preload_offset 0
		.amdhsa_user_sgpr_private_segment_size 0
		.amdhsa_uses_dynamic_stack 0
		.amdhsa_system_sgpr_private_segment_wavefront_offset 0
		.amdhsa_system_sgpr_workgroup_id_x 1
		.amdhsa_system_sgpr_workgroup_id_y 0
		.amdhsa_system_sgpr_workgroup_id_z 0
		.amdhsa_system_sgpr_workgroup_info 0
		.amdhsa_system_vgpr_workitem_id 0
		.amdhsa_next_free_vgpr 1
		.amdhsa_next_free_sgpr 0
		.amdhsa_accum_offset 4
		.amdhsa_reserve_vcc 0
		.amdhsa_reserve_flat_scratch 0
		.amdhsa_float_round_mode_32 0
		.amdhsa_float_round_mode_16_64 0
		.amdhsa_float_denorm_mode_32 3
		.amdhsa_float_denorm_mode_16_64 3
		.amdhsa_dx10_clamp 1
		.amdhsa_ieee_mode 1
		.amdhsa_fp16_overflow 0
		.amdhsa_tg_split 0
		.amdhsa_exception_fp_ieee_invalid_op 0
		.amdhsa_exception_fp_denorm_src 0
		.amdhsa_exception_fp_ieee_div_zero 0
		.amdhsa_exception_fp_ieee_overflow 0
		.amdhsa_exception_fp_ieee_underflow 0
		.amdhsa_exception_fp_ieee_inexact 0
		.amdhsa_exception_int_div_zero 0
	.end_amdhsa_kernel
	.section	.text._ZN7rocprim17ROCPRIM_400000_NS6detail17trampoline_kernelINS0_14default_configENS1_25partition_config_selectorILNS1_17partition_subalgoE1ExNS0_10empty_typeEbEEZZNS1_14partition_implILS5_1ELb0ES3_jN6thrust23THRUST_200600_302600_NS6detail15normal_iteratorINSA_10device_ptrIxEEEEPS6_NSA_18transform_iteratorI7is_evenIxESF_NSA_11use_defaultESK_EENS0_5tupleIJNSA_16discard_iteratorISK_EESF_EEENSM_IJSG_SG_EEES6_PlJS6_EEE10hipError_tPvRmT3_T4_T5_T6_T7_T9_mT8_P12ihipStream_tbDpT10_ENKUlT_T0_E_clISt17integral_constantIbLb0EES1B_EEDaS16_S17_EUlS16_E_NS1_11comp_targetILNS1_3genE0ELNS1_11target_archE4294967295ELNS1_3gpuE0ELNS1_3repE0EEENS1_30default_config_static_selectorELNS0_4arch9wavefront6targetE1EEEvT1_,"axG",@progbits,_ZN7rocprim17ROCPRIM_400000_NS6detail17trampoline_kernelINS0_14default_configENS1_25partition_config_selectorILNS1_17partition_subalgoE1ExNS0_10empty_typeEbEEZZNS1_14partition_implILS5_1ELb0ES3_jN6thrust23THRUST_200600_302600_NS6detail15normal_iteratorINSA_10device_ptrIxEEEEPS6_NSA_18transform_iteratorI7is_evenIxESF_NSA_11use_defaultESK_EENS0_5tupleIJNSA_16discard_iteratorISK_EESF_EEENSM_IJSG_SG_EEES6_PlJS6_EEE10hipError_tPvRmT3_T4_T5_T6_T7_T9_mT8_P12ihipStream_tbDpT10_ENKUlT_T0_E_clISt17integral_constantIbLb0EES1B_EEDaS16_S17_EUlS16_E_NS1_11comp_targetILNS1_3genE0ELNS1_11target_archE4294967295ELNS1_3gpuE0ELNS1_3repE0EEENS1_30default_config_static_selectorELNS0_4arch9wavefront6targetE1EEEvT1_,comdat
.Lfunc_end3227:
	.size	_ZN7rocprim17ROCPRIM_400000_NS6detail17trampoline_kernelINS0_14default_configENS1_25partition_config_selectorILNS1_17partition_subalgoE1ExNS0_10empty_typeEbEEZZNS1_14partition_implILS5_1ELb0ES3_jN6thrust23THRUST_200600_302600_NS6detail15normal_iteratorINSA_10device_ptrIxEEEEPS6_NSA_18transform_iteratorI7is_evenIxESF_NSA_11use_defaultESK_EENS0_5tupleIJNSA_16discard_iteratorISK_EESF_EEENSM_IJSG_SG_EEES6_PlJS6_EEE10hipError_tPvRmT3_T4_T5_T6_T7_T9_mT8_P12ihipStream_tbDpT10_ENKUlT_T0_E_clISt17integral_constantIbLb0EES1B_EEDaS16_S17_EUlS16_E_NS1_11comp_targetILNS1_3genE0ELNS1_11target_archE4294967295ELNS1_3gpuE0ELNS1_3repE0EEENS1_30default_config_static_selectorELNS0_4arch9wavefront6targetE1EEEvT1_, .Lfunc_end3227-_ZN7rocprim17ROCPRIM_400000_NS6detail17trampoline_kernelINS0_14default_configENS1_25partition_config_selectorILNS1_17partition_subalgoE1ExNS0_10empty_typeEbEEZZNS1_14partition_implILS5_1ELb0ES3_jN6thrust23THRUST_200600_302600_NS6detail15normal_iteratorINSA_10device_ptrIxEEEEPS6_NSA_18transform_iteratorI7is_evenIxESF_NSA_11use_defaultESK_EENS0_5tupleIJNSA_16discard_iteratorISK_EESF_EEENSM_IJSG_SG_EEES6_PlJS6_EEE10hipError_tPvRmT3_T4_T5_T6_T7_T9_mT8_P12ihipStream_tbDpT10_ENKUlT_T0_E_clISt17integral_constantIbLb0EES1B_EEDaS16_S17_EUlS16_E_NS1_11comp_targetILNS1_3genE0ELNS1_11target_archE4294967295ELNS1_3gpuE0ELNS1_3repE0EEENS1_30default_config_static_selectorELNS0_4arch9wavefront6targetE1EEEvT1_
                                        ; -- End function
	.section	.AMDGPU.csdata,"",@progbits
; Kernel info:
; codeLenInByte = 0
; NumSgprs: 4
; NumVgprs: 0
; NumAgprs: 0
; TotalNumVgprs: 0
; ScratchSize: 0
; MemoryBound: 0
; FloatMode: 240
; IeeeMode: 1
; LDSByteSize: 0 bytes/workgroup (compile time only)
; SGPRBlocks: 0
; VGPRBlocks: 0
; NumSGPRsForWavesPerEU: 4
; NumVGPRsForWavesPerEU: 1
; AccumOffset: 4
; Occupancy: 8
; WaveLimiterHint : 0
; COMPUTE_PGM_RSRC2:SCRATCH_EN: 0
; COMPUTE_PGM_RSRC2:USER_SGPR: 6
; COMPUTE_PGM_RSRC2:TRAP_HANDLER: 0
; COMPUTE_PGM_RSRC2:TGID_X_EN: 1
; COMPUTE_PGM_RSRC2:TGID_Y_EN: 0
; COMPUTE_PGM_RSRC2:TGID_Z_EN: 0
; COMPUTE_PGM_RSRC2:TIDIG_COMP_CNT: 0
; COMPUTE_PGM_RSRC3_GFX90A:ACCUM_OFFSET: 0
; COMPUTE_PGM_RSRC3_GFX90A:TG_SPLIT: 0
	.section	.text._ZN7rocprim17ROCPRIM_400000_NS6detail17trampoline_kernelINS0_14default_configENS1_25partition_config_selectorILNS1_17partition_subalgoE1ExNS0_10empty_typeEbEEZZNS1_14partition_implILS5_1ELb0ES3_jN6thrust23THRUST_200600_302600_NS6detail15normal_iteratorINSA_10device_ptrIxEEEEPS6_NSA_18transform_iteratorI7is_evenIxESF_NSA_11use_defaultESK_EENS0_5tupleIJNSA_16discard_iteratorISK_EESF_EEENSM_IJSG_SG_EEES6_PlJS6_EEE10hipError_tPvRmT3_T4_T5_T6_T7_T9_mT8_P12ihipStream_tbDpT10_ENKUlT_T0_E_clISt17integral_constantIbLb0EES1B_EEDaS16_S17_EUlS16_E_NS1_11comp_targetILNS1_3genE5ELNS1_11target_archE942ELNS1_3gpuE9ELNS1_3repE0EEENS1_30default_config_static_selectorELNS0_4arch9wavefront6targetE1EEEvT1_,"axG",@progbits,_ZN7rocprim17ROCPRIM_400000_NS6detail17trampoline_kernelINS0_14default_configENS1_25partition_config_selectorILNS1_17partition_subalgoE1ExNS0_10empty_typeEbEEZZNS1_14partition_implILS5_1ELb0ES3_jN6thrust23THRUST_200600_302600_NS6detail15normal_iteratorINSA_10device_ptrIxEEEEPS6_NSA_18transform_iteratorI7is_evenIxESF_NSA_11use_defaultESK_EENS0_5tupleIJNSA_16discard_iteratorISK_EESF_EEENSM_IJSG_SG_EEES6_PlJS6_EEE10hipError_tPvRmT3_T4_T5_T6_T7_T9_mT8_P12ihipStream_tbDpT10_ENKUlT_T0_E_clISt17integral_constantIbLb0EES1B_EEDaS16_S17_EUlS16_E_NS1_11comp_targetILNS1_3genE5ELNS1_11target_archE942ELNS1_3gpuE9ELNS1_3repE0EEENS1_30default_config_static_selectorELNS0_4arch9wavefront6targetE1EEEvT1_,comdat
	.protected	_ZN7rocprim17ROCPRIM_400000_NS6detail17trampoline_kernelINS0_14default_configENS1_25partition_config_selectorILNS1_17partition_subalgoE1ExNS0_10empty_typeEbEEZZNS1_14partition_implILS5_1ELb0ES3_jN6thrust23THRUST_200600_302600_NS6detail15normal_iteratorINSA_10device_ptrIxEEEEPS6_NSA_18transform_iteratorI7is_evenIxESF_NSA_11use_defaultESK_EENS0_5tupleIJNSA_16discard_iteratorISK_EESF_EEENSM_IJSG_SG_EEES6_PlJS6_EEE10hipError_tPvRmT3_T4_T5_T6_T7_T9_mT8_P12ihipStream_tbDpT10_ENKUlT_T0_E_clISt17integral_constantIbLb0EES1B_EEDaS16_S17_EUlS16_E_NS1_11comp_targetILNS1_3genE5ELNS1_11target_archE942ELNS1_3gpuE9ELNS1_3repE0EEENS1_30default_config_static_selectorELNS0_4arch9wavefront6targetE1EEEvT1_ ; -- Begin function _ZN7rocprim17ROCPRIM_400000_NS6detail17trampoline_kernelINS0_14default_configENS1_25partition_config_selectorILNS1_17partition_subalgoE1ExNS0_10empty_typeEbEEZZNS1_14partition_implILS5_1ELb0ES3_jN6thrust23THRUST_200600_302600_NS6detail15normal_iteratorINSA_10device_ptrIxEEEEPS6_NSA_18transform_iteratorI7is_evenIxESF_NSA_11use_defaultESK_EENS0_5tupleIJNSA_16discard_iteratorISK_EESF_EEENSM_IJSG_SG_EEES6_PlJS6_EEE10hipError_tPvRmT3_T4_T5_T6_T7_T9_mT8_P12ihipStream_tbDpT10_ENKUlT_T0_E_clISt17integral_constantIbLb0EES1B_EEDaS16_S17_EUlS16_E_NS1_11comp_targetILNS1_3genE5ELNS1_11target_archE942ELNS1_3gpuE9ELNS1_3repE0EEENS1_30default_config_static_selectorELNS0_4arch9wavefront6targetE1EEEvT1_
	.globl	_ZN7rocprim17ROCPRIM_400000_NS6detail17trampoline_kernelINS0_14default_configENS1_25partition_config_selectorILNS1_17partition_subalgoE1ExNS0_10empty_typeEbEEZZNS1_14partition_implILS5_1ELb0ES3_jN6thrust23THRUST_200600_302600_NS6detail15normal_iteratorINSA_10device_ptrIxEEEEPS6_NSA_18transform_iteratorI7is_evenIxESF_NSA_11use_defaultESK_EENS0_5tupleIJNSA_16discard_iteratorISK_EESF_EEENSM_IJSG_SG_EEES6_PlJS6_EEE10hipError_tPvRmT3_T4_T5_T6_T7_T9_mT8_P12ihipStream_tbDpT10_ENKUlT_T0_E_clISt17integral_constantIbLb0EES1B_EEDaS16_S17_EUlS16_E_NS1_11comp_targetILNS1_3genE5ELNS1_11target_archE942ELNS1_3gpuE9ELNS1_3repE0EEENS1_30default_config_static_selectorELNS0_4arch9wavefront6targetE1EEEvT1_
	.p2align	8
	.type	_ZN7rocprim17ROCPRIM_400000_NS6detail17trampoline_kernelINS0_14default_configENS1_25partition_config_selectorILNS1_17partition_subalgoE1ExNS0_10empty_typeEbEEZZNS1_14partition_implILS5_1ELb0ES3_jN6thrust23THRUST_200600_302600_NS6detail15normal_iteratorINSA_10device_ptrIxEEEEPS6_NSA_18transform_iteratorI7is_evenIxESF_NSA_11use_defaultESK_EENS0_5tupleIJNSA_16discard_iteratorISK_EESF_EEENSM_IJSG_SG_EEES6_PlJS6_EEE10hipError_tPvRmT3_T4_T5_T6_T7_T9_mT8_P12ihipStream_tbDpT10_ENKUlT_T0_E_clISt17integral_constantIbLb0EES1B_EEDaS16_S17_EUlS16_E_NS1_11comp_targetILNS1_3genE5ELNS1_11target_archE942ELNS1_3gpuE9ELNS1_3repE0EEENS1_30default_config_static_selectorELNS0_4arch9wavefront6targetE1EEEvT1_,@function
_ZN7rocprim17ROCPRIM_400000_NS6detail17trampoline_kernelINS0_14default_configENS1_25partition_config_selectorILNS1_17partition_subalgoE1ExNS0_10empty_typeEbEEZZNS1_14partition_implILS5_1ELb0ES3_jN6thrust23THRUST_200600_302600_NS6detail15normal_iteratorINSA_10device_ptrIxEEEEPS6_NSA_18transform_iteratorI7is_evenIxESF_NSA_11use_defaultESK_EENS0_5tupleIJNSA_16discard_iteratorISK_EESF_EEENSM_IJSG_SG_EEES6_PlJS6_EEE10hipError_tPvRmT3_T4_T5_T6_T7_T9_mT8_P12ihipStream_tbDpT10_ENKUlT_T0_E_clISt17integral_constantIbLb0EES1B_EEDaS16_S17_EUlS16_E_NS1_11comp_targetILNS1_3genE5ELNS1_11target_archE942ELNS1_3gpuE9ELNS1_3repE0EEENS1_30default_config_static_selectorELNS0_4arch9wavefront6targetE1EEEvT1_: ; @_ZN7rocprim17ROCPRIM_400000_NS6detail17trampoline_kernelINS0_14default_configENS1_25partition_config_selectorILNS1_17partition_subalgoE1ExNS0_10empty_typeEbEEZZNS1_14partition_implILS5_1ELb0ES3_jN6thrust23THRUST_200600_302600_NS6detail15normal_iteratorINSA_10device_ptrIxEEEEPS6_NSA_18transform_iteratorI7is_evenIxESF_NSA_11use_defaultESK_EENS0_5tupleIJNSA_16discard_iteratorISK_EESF_EEENSM_IJSG_SG_EEES6_PlJS6_EEE10hipError_tPvRmT3_T4_T5_T6_T7_T9_mT8_P12ihipStream_tbDpT10_ENKUlT_T0_E_clISt17integral_constantIbLb0EES1B_EEDaS16_S17_EUlS16_E_NS1_11comp_targetILNS1_3genE5ELNS1_11target_archE942ELNS1_3gpuE9ELNS1_3repE0EEENS1_30default_config_static_selectorELNS0_4arch9wavefront6targetE1EEEvT1_
; %bb.0:
	.section	.rodata,"a",@progbits
	.p2align	6, 0x0
	.amdhsa_kernel _ZN7rocprim17ROCPRIM_400000_NS6detail17trampoline_kernelINS0_14default_configENS1_25partition_config_selectorILNS1_17partition_subalgoE1ExNS0_10empty_typeEbEEZZNS1_14partition_implILS5_1ELb0ES3_jN6thrust23THRUST_200600_302600_NS6detail15normal_iteratorINSA_10device_ptrIxEEEEPS6_NSA_18transform_iteratorI7is_evenIxESF_NSA_11use_defaultESK_EENS0_5tupleIJNSA_16discard_iteratorISK_EESF_EEENSM_IJSG_SG_EEES6_PlJS6_EEE10hipError_tPvRmT3_T4_T5_T6_T7_T9_mT8_P12ihipStream_tbDpT10_ENKUlT_T0_E_clISt17integral_constantIbLb0EES1B_EEDaS16_S17_EUlS16_E_NS1_11comp_targetILNS1_3genE5ELNS1_11target_archE942ELNS1_3gpuE9ELNS1_3repE0EEENS1_30default_config_static_selectorELNS0_4arch9wavefront6targetE1EEEvT1_
		.amdhsa_group_segment_fixed_size 0
		.amdhsa_private_segment_fixed_size 0
		.amdhsa_kernarg_size 136
		.amdhsa_user_sgpr_count 6
		.amdhsa_user_sgpr_private_segment_buffer 1
		.amdhsa_user_sgpr_dispatch_ptr 0
		.amdhsa_user_sgpr_queue_ptr 0
		.amdhsa_user_sgpr_kernarg_segment_ptr 1
		.amdhsa_user_sgpr_dispatch_id 0
		.amdhsa_user_sgpr_flat_scratch_init 0
		.amdhsa_user_sgpr_kernarg_preload_length 0
		.amdhsa_user_sgpr_kernarg_preload_offset 0
		.amdhsa_user_sgpr_private_segment_size 0
		.amdhsa_uses_dynamic_stack 0
		.amdhsa_system_sgpr_private_segment_wavefront_offset 0
		.amdhsa_system_sgpr_workgroup_id_x 1
		.amdhsa_system_sgpr_workgroup_id_y 0
		.amdhsa_system_sgpr_workgroup_id_z 0
		.amdhsa_system_sgpr_workgroup_info 0
		.amdhsa_system_vgpr_workitem_id 0
		.amdhsa_next_free_vgpr 1
		.amdhsa_next_free_sgpr 0
		.amdhsa_accum_offset 4
		.amdhsa_reserve_vcc 0
		.amdhsa_reserve_flat_scratch 0
		.amdhsa_float_round_mode_32 0
		.amdhsa_float_round_mode_16_64 0
		.amdhsa_float_denorm_mode_32 3
		.amdhsa_float_denorm_mode_16_64 3
		.amdhsa_dx10_clamp 1
		.amdhsa_ieee_mode 1
		.amdhsa_fp16_overflow 0
		.amdhsa_tg_split 0
		.amdhsa_exception_fp_ieee_invalid_op 0
		.amdhsa_exception_fp_denorm_src 0
		.amdhsa_exception_fp_ieee_div_zero 0
		.amdhsa_exception_fp_ieee_overflow 0
		.amdhsa_exception_fp_ieee_underflow 0
		.amdhsa_exception_fp_ieee_inexact 0
		.amdhsa_exception_int_div_zero 0
	.end_amdhsa_kernel
	.section	.text._ZN7rocprim17ROCPRIM_400000_NS6detail17trampoline_kernelINS0_14default_configENS1_25partition_config_selectorILNS1_17partition_subalgoE1ExNS0_10empty_typeEbEEZZNS1_14partition_implILS5_1ELb0ES3_jN6thrust23THRUST_200600_302600_NS6detail15normal_iteratorINSA_10device_ptrIxEEEEPS6_NSA_18transform_iteratorI7is_evenIxESF_NSA_11use_defaultESK_EENS0_5tupleIJNSA_16discard_iteratorISK_EESF_EEENSM_IJSG_SG_EEES6_PlJS6_EEE10hipError_tPvRmT3_T4_T5_T6_T7_T9_mT8_P12ihipStream_tbDpT10_ENKUlT_T0_E_clISt17integral_constantIbLb0EES1B_EEDaS16_S17_EUlS16_E_NS1_11comp_targetILNS1_3genE5ELNS1_11target_archE942ELNS1_3gpuE9ELNS1_3repE0EEENS1_30default_config_static_selectorELNS0_4arch9wavefront6targetE1EEEvT1_,"axG",@progbits,_ZN7rocprim17ROCPRIM_400000_NS6detail17trampoline_kernelINS0_14default_configENS1_25partition_config_selectorILNS1_17partition_subalgoE1ExNS0_10empty_typeEbEEZZNS1_14partition_implILS5_1ELb0ES3_jN6thrust23THRUST_200600_302600_NS6detail15normal_iteratorINSA_10device_ptrIxEEEEPS6_NSA_18transform_iteratorI7is_evenIxESF_NSA_11use_defaultESK_EENS0_5tupleIJNSA_16discard_iteratorISK_EESF_EEENSM_IJSG_SG_EEES6_PlJS6_EEE10hipError_tPvRmT3_T4_T5_T6_T7_T9_mT8_P12ihipStream_tbDpT10_ENKUlT_T0_E_clISt17integral_constantIbLb0EES1B_EEDaS16_S17_EUlS16_E_NS1_11comp_targetILNS1_3genE5ELNS1_11target_archE942ELNS1_3gpuE9ELNS1_3repE0EEENS1_30default_config_static_selectorELNS0_4arch9wavefront6targetE1EEEvT1_,comdat
.Lfunc_end3228:
	.size	_ZN7rocprim17ROCPRIM_400000_NS6detail17trampoline_kernelINS0_14default_configENS1_25partition_config_selectorILNS1_17partition_subalgoE1ExNS0_10empty_typeEbEEZZNS1_14partition_implILS5_1ELb0ES3_jN6thrust23THRUST_200600_302600_NS6detail15normal_iteratorINSA_10device_ptrIxEEEEPS6_NSA_18transform_iteratorI7is_evenIxESF_NSA_11use_defaultESK_EENS0_5tupleIJNSA_16discard_iteratorISK_EESF_EEENSM_IJSG_SG_EEES6_PlJS6_EEE10hipError_tPvRmT3_T4_T5_T6_T7_T9_mT8_P12ihipStream_tbDpT10_ENKUlT_T0_E_clISt17integral_constantIbLb0EES1B_EEDaS16_S17_EUlS16_E_NS1_11comp_targetILNS1_3genE5ELNS1_11target_archE942ELNS1_3gpuE9ELNS1_3repE0EEENS1_30default_config_static_selectorELNS0_4arch9wavefront6targetE1EEEvT1_, .Lfunc_end3228-_ZN7rocprim17ROCPRIM_400000_NS6detail17trampoline_kernelINS0_14default_configENS1_25partition_config_selectorILNS1_17partition_subalgoE1ExNS0_10empty_typeEbEEZZNS1_14partition_implILS5_1ELb0ES3_jN6thrust23THRUST_200600_302600_NS6detail15normal_iteratorINSA_10device_ptrIxEEEEPS6_NSA_18transform_iteratorI7is_evenIxESF_NSA_11use_defaultESK_EENS0_5tupleIJNSA_16discard_iteratorISK_EESF_EEENSM_IJSG_SG_EEES6_PlJS6_EEE10hipError_tPvRmT3_T4_T5_T6_T7_T9_mT8_P12ihipStream_tbDpT10_ENKUlT_T0_E_clISt17integral_constantIbLb0EES1B_EEDaS16_S17_EUlS16_E_NS1_11comp_targetILNS1_3genE5ELNS1_11target_archE942ELNS1_3gpuE9ELNS1_3repE0EEENS1_30default_config_static_selectorELNS0_4arch9wavefront6targetE1EEEvT1_
                                        ; -- End function
	.section	.AMDGPU.csdata,"",@progbits
; Kernel info:
; codeLenInByte = 0
; NumSgprs: 4
; NumVgprs: 0
; NumAgprs: 0
; TotalNumVgprs: 0
; ScratchSize: 0
; MemoryBound: 0
; FloatMode: 240
; IeeeMode: 1
; LDSByteSize: 0 bytes/workgroup (compile time only)
; SGPRBlocks: 0
; VGPRBlocks: 0
; NumSGPRsForWavesPerEU: 4
; NumVGPRsForWavesPerEU: 1
; AccumOffset: 4
; Occupancy: 8
; WaveLimiterHint : 0
; COMPUTE_PGM_RSRC2:SCRATCH_EN: 0
; COMPUTE_PGM_RSRC2:USER_SGPR: 6
; COMPUTE_PGM_RSRC2:TRAP_HANDLER: 0
; COMPUTE_PGM_RSRC2:TGID_X_EN: 1
; COMPUTE_PGM_RSRC2:TGID_Y_EN: 0
; COMPUTE_PGM_RSRC2:TGID_Z_EN: 0
; COMPUTE_PGM_RSRC2:TIDIG_COMP_CNT: 0
; COMPUTE_PGM_RSRC3_GFX90A:ACCUM_OFFSET: 0
; COMPUTE_PGM_RSRC3_GFX90A:TG_SPLIT: 0
	.section	.text._ZN7rocprim17ROCPRIM_400000_NS6detail17trampoline_kernelINS0_14default_configENS1_25partition_config_selectorILNS1_17partition_subalgoE1ExNS0_10empty_typeEbEEZZNS1_14partition_implILS5_1ELb0ES3_jN6thrust23THRUST_200600_302600_NS6detail15normal_iteratorINSA_10device_ptrIxEEEEPS6_NSA_18transform_iteratorI7is_evenIxESF_NSA_11use_defaultESK_EENS0_5tupleIJNSA_16discard_iteratorISK_EESF_EEENSM_IJSG_SG_EEES6_PlJS6_EEE10hipError_tPvRmT3_T4_T5_T6_T7_T9_mT8_P12ihipStream_tbDpT10_ENKUlT_T0_E_clISt17integral_constantIbLb0EES1B_EEDaS16_S17_EUlS16_E_NS1_11comp_targetILNS1_3genE4ELNS1_11target_archE910ELNS1_3gpuE8ELNS1_3repE0EEENS1_30default_config_static_selectorELNS0_4arch9wavefront6targetE1EEEvT1_,"axG",@progbits,_ZN7rocprim17ROCPRIM_400000_NS6detail17trampoline_kernelINS0_14default_configENS1_25partition_config_selectorILNS1_17partition_subalgoE1ExNS0_10empty_typeEbEEZZNS1_14partition_implILS5_1ELb0ES3_jN6thrust23THRUST_200600_302600_NS6detail15normal_iteratorINSA_10device_ptrIxEEEEPS6_NSA_18transform_iteratorI7is_evenIxESF_NSA_11use_defaultESK_EENS0_5tupleIJNSA_16discard_iteratorISK_EESF_EEENSM_IJSG_SG_EEES6_PlJS6_EEE10hipError_tPvRmT3_T4_T5_T6_T7_T9_mT8_P12ihipStream_tbDpT10_ENKUlT_T0_E_clISt17integral_constantIbLb0EES1B_EEDaS16_S17_EUlS16_E_NS1_11comp_targetILNS1_3genE4ELNS1_11target_archE910ELNS1_3gpuE8ELNS1_3repE0EEENS1_30default_config_static_selectorELNS0_4arch9wavefront6targetE1EEEvT1_,comdat
	.protected	_ZN7rocprim17ROCPRIM_400000_NS6detail17trampoline_kernelINS0_14default_configENS1_25partition_config_selectorILNS1_17partition_subalgoE1ExNS0_10empty_typeEbEEZZNS1_14partition_implILS5_1ELb0ES3_jN6thrust23THRUST_200600_302600_NS6detail15normal_iteratorINSA_10device_ptrIxEEEEPS6_NSA_18transform_iteratorI7is_evenIxESF_NSA_11use_defaultESK_EENS0_5tupleIJNSA_16discard_iteratorISK_EESF_EEENSM_IJSG_SG_EEES6_PlJS6_EEE10hipError_tPvRmT3_T4_T5_T6_T7_T9_mT8_P12ihipStream_tbDpT10_ENKUlT_T0_E_clISt17integral_constantIbLb0EES1B_EEDaS16_S17_EUlS16_E_NS1_11comp_targetILNS1_3genE4ELNS1_11target_archE910ELNS1_3gpuE8ELNS1_3repE0EEENS1_30default_config_static_selectorELNS0_4arch9wavefront6targetE1EEEvT1_ ; -- Begin function _ZN7rocprim17ROCPRIM_400000_NS6detail17trampoline_kernelINS0_14default_configENS1_25partition_config_selectorILNS1_17partition_subalgoE1ExNS0_10empty_typeEbEEZZNS1_14partition_implILS5_1ELb0ES3_jN6thrust23THRUST_200600_302600_NS6detail15normal_iteratorINSA_10device_ptrIxEEEEPS6_NSA_18transform_iteratorI7is_evenIxESF_NSA_11use_defaultESK_EENS0_5tupleIJNSA_16discard_iteratorISK_EESF_EEENSM_IJSG_SG_EEES6_PlJS6_EEE10hipError_tPvRmT3_T4_T5_T6_T7_T9_mT8_P12ihipStream_tbDpT10_ENKUlT_T0_E_clISt17integral_constantIbLb0EES1B_EEDaS16_S17_EUlS16_E_NS1_11comp_targetILNS1_3genE4ELNS1_11target_archE910ELNS1_3gpuE8ELNS1_3repE0EEENS1_30default_config_static_selectorELNS0_4arch9wavefront6targetE1EEEvT1_
	.globl	_ZN7rocprim17ROCPRIM_400000_NS6detail17trampoline_kernelINS0_14default_configENS1_25partition_config_selectorILNS1_17partition_subalgoE1ExNS0_10empty_typeEbEEZZNS1_14partition_implILS5_1ELb0ES3_jN6thrust23THRUST_200600_302600_NS6detail15normal_iteratorINSA_10device_ptrIxEEEEPS6_NSA_18transform_iteratorI7is_evenIxESF_NSA_11use_defaultESK_EENS0_5tupleIJNSA_16discard_iteratorISK_EESF_EEENSM_IJSG_SG_EEES6_PlJS6_EEE10hipError_tPvRmT3_T4_T5_T6_T7_T9_mT8_P12ihipStream_tbDpT10_ENKUlT_T0_E_clISt17integral_constantIbLb0EES1B_EEDaS16_S17_EUlS16_E_NS1_11comp_targetILNS1_3genE4ELNS1_11target_archE910ELNS1_3gpuE8ELNS1_3repE0EEENS1_30default_config_static_selectorELNS0_4arch9wavefront6targetE1EEEvT1_
	.p2align	8
	.type	_ZN7rocprim17ROCPRIM_400000_NS6detail17trampoline_kernelINS0_14default_configENS1_25partition_config_selectorILNS1_17partition_subalgoE1ExNS0_10empty_typeEbEEZZNS1_14partition_implILS5_1ELb0ES3_jN6thrust23THRUST_200600_302600_NS6detail15normal_iteratorINSA_10device_ptrIxEEEEPS6_NSA_18transform_iteratorI7is_evenIxESF_NSA_11use_defaultESK_EENS0_5tupleIJNSA_16discard_iteratorISK_EESF_EEENSM_IJSG_SG_EEES6_PlJS6_EEE10hipError_tPvRmT3_T4_T5_T6_T7_T9_mT8_P12ihipStream_tbDpT10_ENKUlT_T0_E_clISt17integral_constantIbLb0EES1B_EEDaS16_S17_EUlS16_E_NS1_11comp_targetILNS1_3genE4ELNS1_11target_archE910ELNS1_3gpuE8ELNS1_3repE0EEENS1_30default_config_static_selectorELNS0_4arch9wavefront6targetE1EEEvT1_,@function
_ZN7rocprim17ROCPRIM_400000_NS6detail17trampoline_kernelINS0_14default_configENS1_25partition_config_selectorILNS1_17partition_subalgoE1ExNS0_10empty_typeEbEEZZNS1_14partition_implILS5_1ELb0ES3_jN6thrust23THRUST_200600_302600_NS6detail15normal_iteratorINSA_10device_ptrIxEEEEPS6_NSA_18transform_iteratorI7is_evenIxESF_NSA_11use_defaultESK_EENS0_5tupleIJNSA_16discard_iteratorISK_EESF_EEENSM_IJSG_SG_EEES6_PlJS6_EEE10hipError_tPvRmT3_T4_T5_T6_T7_T9_mT8_P12ihipStream_tbDpT10_ENKUlT_T0_E_clISt17integral_constantIbLb0EES1B_EEDaS16_S17_EUlS16_E_NS1_11comp_targetILNS1_3genE4ELNS1_11target_archE910ELNS1_3gpuE8ELNS1_3repE0EEENS1_30default_config_static_selectorELNS0_4arch9wavefront6targetE1EEEvT1_: ; @_ZN7rocprim17ROCPRIM_400000_NS6detail17trampoline_kernelINS0_14default_configENS1_25partition_config_selectorILNS1_17partition_subalgoE1ExNS0_10empty_typeEbEEZZNS1_14partition_implILS5_1ELb0ES3_jN6thrust23THRUST_200600_302600_NS6detail15normal_iteratorINSA_10device_ptrIxEEEEPS6_NSA_18transform_iteratorI7is_evenIxESF_NSA_11use_defaultESK_EENS0_5tupleIJNSA_16discard_iteratorISK_EESF_EEENSM_IJSG_SG_EEES6_PlJS6_EEE10hipError_tPvRmT3_T4_T5_T6_T7_T9_mT8_P12ihipStream_tbDpT10_ENKUlT_T0_E_clISt17integral_constantIbLb0EES1B_EEDaS16_S17_EUlS16_E_NS1_11comp_targetILNS1_3genE4ELNS1_11target_archE910ELNS1_3gpuE8ELNS1_3repE0EEENS1_30default_config_static_selectorELNS0_4arch9wavefront6targetE1EEEvT1_
; %bb.0:
	s_load_dwordx2 s[0:1], s[4:5], 0x68
	s_load_dwordx4 s[24:27], s[4:5], 0x8
	s_load_dwordx2 s[2:3], s[4:5], 0x20
	s_load_dwordx4 s[20:23], s[4:5], 0x58
	s_mul_i32 s10, s6, 0x300
	s_waitcnt lgkmcnt(0)
	v_mov_b32_e32 v3, s1
	s_load_dword s1, s[4:5], 0x80
	s_lshl_b64 s[8:9], s[26:27], 3
	s_add_u32 s7, s24, s8
	s_addc_u32 s12, s25, s9
	v_mov_b32_e32 v2, s0
	s_waitcnt lgkmcnt(0)
	s_add_i32 s13, s1, -1
	s_mulk_i32 s1, 0x300
	s_add_i32 s11, s1, s26
	s_sub_i32 s33, s0, s11
	s_addk_i32 s33, 0x300
	s_add_u32 s0, s26, s1
	s_addc_u32 s1, s27, 0
	s_cmp_eq_u32 s6, s13
	s_load_dwordx2 s[28:29], s[22:23], 0x0
	s_cselect_b64 s[22:23], -1, 0
	s_cmp_lg_u32 s6, s13
	s_mov_b32 s11, 0
	v_cmp_lt_u64_e32 vcc, s[0:1], v[2:3]
	s_cselect_b64 s[0:1], -1, 0
	s_or_b64 s[24:25], s[0:1], vcc
	s_lshl_b64 s[30:31], s[10:11], 3
	s_add_u32 s7, s7, s30
	s_addc_u32 s12, s12, s31
	s_mov_b64 s[0:1], -1
	s_and_b64 vcc, exec, s[24:25]
	v_lshlrev_b32_e32 v20, 3, v0
	v_lshrrev_b32_e32 v1, 2, v0
	s_cbranch_vccz .LBB3229_2
; %bb.1:
	v_mov_b32_e32 v3, s12
	v_add_co_u32_e32 v2, vcc, s7, v20
	v_addc_co_u32_e32 v3, vcc, 0, v3, vcc
	v_add_co_u32_e32 v4, vcc, 0x1000, v2
	v_addc_co_u32_e32 v5, vcc, 0, v3, vcc
	flat_load_dwordx2 v[6:7], v[2:3]
	flat_load_dwordx2 v[8:9], v[2:3] offset:1536
	flat_load_dwordx2 v[10:11], v[2:3] offset:3072
	;; [unrolled: 1-line block ×3, first 2 shown]
	v_add_u32_e32 v3, 0xc0, v0
	v_add_u32_e32 v4, 0x180, v0
	;; [unrolled: 1-line block ×3, first 2 shown]
	v_and_b32_e32 v2, 56, v1
	v_lshrrev_b32_e32 v3, 2, v3
	v_lshrrev_b32_e32 v4, 2, v4
	;; [unrolled: 1-line block ×3, first 2 shown]
	v_add_u32_e32 v2, v2, v20
	v_and_b32_e32 v3, 0x78, v3
	v_and_b32_e32 v4, 0xf8, v4
	;; [unrolled: 1-line block ×3, first 2 shown]
	v_add_u32_e32 v3, v3, v20
	v_add_u32_e32 v4, v4, v20
	;; [unrolled: 1-line block ×3, first 2 shown]
	s_mov_b64 s[0:1], 0
	s_waitcnt vmcnt(0) lgkmcnt(0)
	ds_write_b64 v2, v[6:7]
	ds_write_b64 v3, v[8:9] offset:1536
	ds_write_b64 v4, v[10:11] offset:3072
	;; [unrolled: 1-line block ×3, first 2 shown]
	s_waitcnt lgkmcnt(0)
	s_barrier
.LBB3229_2:
	s_andn2_b64 vcc, exec, s[0:1]
	v_cmp_gt_u32_e64 s[0:1], s33, v0
	s_cbranch_vccnz .LBB3229_12
; %bb.3:
                                        ; implicit-def: $vgpr2_vgpr3_vgpr4_vgpr5_vgpr6_vgpr7_vgpr8_vgpr9
	s_and_saveexec_b64 s[10:11], s[0:1]
	s_cbranch_execz .LBB3229_5
; %bb.4:
	v_mov_b32_e32 v3, s12
	v_add_co_u32_e32 v2, vcc, s7, v20
	v_addc_co_u32_e32 v3, vcc, 0, v3, vcc
	flat_load_dwordx2 v[2:3], v[2:3]
.LBB3229_5:
	s_or_b64 exec, exec, s[10:11]
	v_add_u32_e32 v10, 0xc0, v0
	v_cmp_gt_u32_e32 vcc, s33, v10
	s_and_saveexec_b64 s[0:1], vcc
	s_cbranch_execz .LBB3229_7
; %bb.6:
	v_mov_b32_e32 v5, s12
	v_add_co_u32_e32 v4, vcc, s7, v20
	v_addc_co_u32_e32 v5, vcc, 0, v5, vcc
	flat_load_dwordx2 v[4:5], v[4:5] offset:1536
.LBB3229_7:
	s_or_b64 exec, exec, s[0:1]
	v_add_u32_e32 v11, 0x180, v0
	v_cmp_gt_u32_e32 vcc, s33, v11
	s_and_saveexec_b64 s[0:1], vcc
	s_cbranch_execz .LBB3229_9
; %bb.8:
	v_mov_b32_e32 v7, s12
	v_add_co_u32_e32 v6, vcc, s7, v20
	v_addc_co_u32_e32 v7, vcc, 0, v7, vcc
	flat_load_dwordx2 v[6:7], v[6:7] offset:3072
.LBB3229_9:
	s_or_b64 exec, exec, s[0:1]
	v_add_u32_e32 v12, 0x240, v0
	v_cmp_gt_u32_e32 vcc, s33, v12
	s_and_saveexec_b64 s[0:1], vcc
	s_cbranch_execz .LBB3229_11
; %bb.10:
	v_lshlrev_b32_e32 v8, 3, v12
	v_mov_b32_e32 v9, s12
	v_add_co_u32_e32 v8, vcc, s7, v8
	v_addc_co_u32_e32 v9, vcc, 0, v9, vcc
	flat_load_dwordx2 v[8:9], v[8:9]
.LBB3229_11:
	s_or_b64 exec, exec, s[0:1]
	v_and_b32_e32 v1, 56, v1
	v_add_u32_e32 v1, v1, v20
	s_waitcnt vmcnt(0) lgkmcnt(0)
	ds_write_b64 v1, v[2:3]
	v_lshrrev_b32_e32 v1, 2, v10
	v_and_b32_e32 v1, 0x78, v1
	v_add_u32_e32 v1, v1, v20
	ds_write_b64 v1, v[4:5] offset:1536
	v_lshrrev_b32_e32 v1, 2, v11
	v_and_b32_e32 v1, 0xf8, v1
	v_add_u32_e32 v1, v1, v20
	ds_write_b64 v1, v[6:7] offset:3072
	;; [unrolled: 4-line block ×3, first 2 shown]
	s_waitcnt lgkmcnt(0)
	s_barrier
.LBB3229_12:
	v_lshlrev_b32_e32 v1, 2, v0
	v_lshrrev_b32_e32 v10, 3, v0
	v_add_lshl_u32 v2, v10, v1, 3
	s_waitcnt lgkmcnt(0)
	ds_read2_b64 v[6:9], v2 offset1:1
	ds_read2_b64 v[2:5], v2 offset0:2 offset1:3
	s_add_u32 s0, s2, s8
	s_addc_u32 s1, s3, s9
	s_add_u32 s0, s0, s30
	s_addc_u32 s1, s1, s31
	s_mov_b64 s[2:3], -1
	s_and_b64 vcc, exec, s[24:25]
	v_lshrrev_b32_e32 v11, 5, v0
	s_waitcnt lgkmcnt(0)
	s_barrier
	s_cbranch_vccz .LBB3229_14
; %bb.13:
	global_load_dwordx2 v[12:13], v20, s[0:1]
	global_load_dwordx2 v[14:15], v20, s[0:1] offset:1536
	global_load_dwordx2 v[16:17], v20, s[0:1] offset:3072
	v_mov_b32_e32 v18, s1
	s_waitcnt vmcnt(2)
	v_add_co_u32_e32 v13, vcc, s0, v20
	s_waitcnt vmcnt(1)
	v_addc_co_u32_e32 v15, vcc, 0, v18, vcc
	v_add_co_u32_e32 v18, vcc, 0x1000, v13
	v_addc_co_u32_e32 v19, vcc, 0, v15, vcc
	global_load_dwordx2 v[18:19], v[18:19], off offset:512
	v_add_u32_e32 v15, 0xc0, v0
	s_waitcnt vmcnt(1)
	v_add_u32_e32 v17, 0x180, v0
	v_and_b32_e32 v13, 4, v11
	s_waitcnt vmcnt(0)
	v_add_u32_e32 v19, 0x240, v0
	v_lshrrev_b32_e32 v15, 5, v15
	v_lshrrev_b32_e32 v17, 5, v17
	v_add_u32_e32 v13, v13, v0
	v_lshrrev_b32_e32 v19, 5, v19
	v_and_b32_e32 v15, 12, v15
	v_and_b32_e32 v17, 28, v17
	;; [unrolled: 1-line block ×3, first 2 shown]
	v_add_u32_e32 v15, v15, v0
	v_add_u32_e32 v17, v17, v0
	;; [unrolled: 1-line block ×3, first 2 shown]
	s_mov_b64 s[2:3], 0
	v_xor_b32_e32 v12, -1, v12
	v_xor_b32_e32 v14, -1, v14
	v_xor_b32_e32 v16, -1, v16
	v_and_b32_e32 v12, 1, v12
	v_and_b32_e32 v14, 1, v14
	;; [unrolled: 1-line block ×3, first 2 shown]
	ds_write_b8 v13, v12
	ds_write_b8 v15, v14 offset:192
	ds_write_b8 v17, v16 offset:384
	v_xor_b32_e32 v12, -1, v18
	v_and_b32_e32 v12, 1, v12
	ds_write_b8 v19, v12 offset:576
	s_waitcnt lgkmcnt(0)
	s_barrier
.LBB3229_14:
	s_load_dwordx2 s[34:35], s[4:5], 0x78
	s_andn2_b64 vcc, exec, s[2:3]
	s_cbranch_vccnz .LBB3229_24
; %bb.15:
	v_cmp_gt_u32_e32 vcc, s33, v0
	v_mov_b32_e32 v12, 0
	v_mov_b32_e32 v13, 0
	s_and_saveexec_b64 s[2:3], vcc
	s_cbranch_execz .LBB3229_17
; %bb.16:
	global_load_dwordx2 v[14:15], v20, s[0:1]
	s_waitcnt vmcnt(0)
	v_xor_b32_e32 v13, -1, v14
	v_and_b32_e32 v13, 1, v13
.LBB3229_17:
	s_or_b64 exec, exec, s[2:3]
	v_add_u32_e32 v14, 0xc0, v0
	v_cmp_gt_u32_e32 vcc, s33, v14
	s_and_saveexec_b64 s[2:3], vcc
	s_cbranch_execz .LBB3229_19
; %bb.18:
	global_load_dwordx2 v[16:17], v20, s[0:1] offset:1536
	s_waitcnt vmcnt(0)
	v_xor_b32_e32 v12, -1, v16
	v_and_b32_e32 v12, 1, v12
.LBB3229_19:
	s_or_b64 exec, exec, s[2:3]
	v_add_u32_e32 v16, 0x180, v0
	v_cmp_gt_u32_e32 vcc, s33, v16
	v_mov_b32_e32 v15, 0
	v_mov_b32_e32 v17, 0
	s_and_saveexec_b64 s[2:3], vcc
	s_cbranch_execz .LBB3229_21
; %bb.20:
	global_load_dwordx2 v[18:19], v20, s[0:1] offset:3072
	s_waitcnt vmcnt(0)
	v_xor_b32_e32 v17, -1, v18
	v_and_b32_e32 v17, 1, v17
.LBB3229_21:
	s_or_b64 exec, exec, s[2:3]
	v_add_u32_e32 v18, 0x240, v0
	v_cmp_gt_u32_e32 vcc, s33, v18
	s_and_saveexec_b64 s[2:3], vcc
	s_cbranch_execz .LBB3229_23
; %bb.22:
	v_lshlrev_b32_e32 v15, 3, v18
	global_load_dwordx2 v[22:23], v15, s[0:1]
	s_waitcnt vmcnt(0)
	v_xor_b32_e32 v15, -1, v22
	v_and_b32_e32 v15, 1, v15
.LBB3229_23:
	s_or_b64 exec, exec, s[2:3]
	v_and_b32_e32 v11, 4, v11
	v_add_u32_e32 v11, v11, v0
	ds_write_b8 v11, v13
	v_lshrrev_b32_e32 v11, 5, v14
	v_and_b32_e32 v11, 12, v11
	v_add_u32_e32 v11, v11, v0
	ds_write_b8 v11, v12 offset:192
	v_lshrrev_b32_e32 v11, 5, v16
	v_and_b32_e32 v11, 28, v11
	v_add_u32_e32 v11, v11, v0
	ds_write_b8 v11, v17 offset:384
	;; [unrolled: 4-line block ×3, first 2 shown]
	s_waitcnt lgkmcnt(0)
	s_barrier
.LBB3229_24:
	v_and_b32_e32 v10, 28, v10
	v_add_u32_e32 v10, v10, v1
	s_waitcnt lgkmcnt(0)
	ds_read_b32 v22, v10
	s_cmp_lg_u32 s6, 0
	v_lshrrev_b32_e32 v25, 6, v0
	s_waitcnt lgkmcnt(0)
	s_barrier
	v_lshrrev_b32_e32 v21, 24, v22
	v_bfe_u32 v23, v22, 16, 8
	v_add_u32_sdwa v10, v22, v22 dst_sel:DWORD dst_unused:UNUSED_PAD src0_sel:BYTE_1 src1_sel:BYTE_0
	v_add3_u32 v26, v10, v23, v21
	v_mbcnt_lo_u32_b32 v10, -1, 0
	v_mbcnt_hi_u32_b32 v24, -1, v10
	v_and_b32_e32 v10, 15, v24
	v_cmp_eq_u32_e64 s[14:15], 0, v10
	v_cmp_lt_u32_e64 s[12:13], 1, v10
	v_cmp_lt_u32_e64 s[10:11], 3, v10
	;; [unrolled: 1-line block ×3, first 2 shown]
	v_and_b32_e32 v10, 16, v24
	v_cmp_eq_u32_e64 s[2:3], 0, v10
	v_and_b32_e32 v10, 0xc0, v0
	v_min_u32_e32 v10, 0x80, v10
	v_or_b32_e32 v10, 63, v10
	v_cmp_lt_u32_e64 s[0:1], 31, v24
	v_cmp_eq_u32_e64 s[18:19], v10, v0
	s_cbranch_scc0 .LBB3229_51
; %bb.25:
	v_mov_b32_dpp v10, v26 row_shr:1 row_mask:0xf bank_mask:0xf
	v_cndmask_b32_e64 v10, v10, 0, s[14:15]
	v_add_u32_e32 v10, v10, v26
	s_nop 1
	v_mov_b32_dpp v11, v10 row_shr:2 row_mask:0xf bank_mask:0xf
	v_cndmask_b32_e64 v11, 0, v11, s[12:13]
	v_add_u32_e32 v10, v10, v11
	s_nop 1
	;; [unrolled: 4-line block ×4, first 2 shown]
	v_mov_b32_dpp v11, v10 row_bcast:15 row_mask:0xf bank_mask:0xf
	v_cndmask_b32_e64 v11, v11, 0, s[2:3]
	v_add_u32_e32 v10, v10, v11
	s_nop 1
	v_mov_b32_dpp v11, v10 row_bcast:31 row_mask:0xf bank_mask:0xf
	v_cndmask_b32_e64 v11, 0, v11, s[0:1]
	v_add_u32_e32 v10, v10, v11
	s_and_saveexec_b64 s[16:17], s[18:19]
	s_cbranch_execz .LBB3229_27
; %bb.26:
	v_lshlrev_b32_e32 v11, 2, v25
	ds_write_b32 v11, v10
.LBB3229_27:
	s_or_b64 exec, exec, s[16:17]
	v_cmp_gt_u32_e32 vcc, 3, v0
	s_waitcnt lgkmcnt(0)
	s_barrier
	s_and_saveexec_b64 s[16:17], vcc
	s_cbranch_execz .LBB3229_29
; %bb.28:
	ds_read_b32 v11, v1
	v_and_b32_e32 v12, 3, v24
	v_cmp_ne_u32_e32 vcc, 0, v12
	s_waitcnt lgkmcnt(0)
	v_mov_b32_dpp v13, v11 row_shr:1 row_mask:0xf bank_mask:0xf
	v_cndmask_b32_e32 v13, 0, v13, vcc
	v_add_u32_e32 v11, v13, v11
	v_cmp_lt_u32_e32 vcc, 1, v12
	s_nop 0
	v_mov_b32_dpp v13, v11 row_shr:2 row_mask:0xf bank_mask:0xf
	v_cndmask_b32_e32 v12, 0, v13, vcc
	v_add_u32_e32 v11, v11, v12
	ds_write_b32 v1, v11
.LBB3229_29:
	s_or_b64 exec, exec, s[16:17]
	v_cmp_gt_u32_e32 vcc, 64, v0
	v_cmp_lt_u32_e64 s[16:17], 63, v0
	s_waitcnt lgkmcnt(0)
	s_barrier
	s_waitcnt lgkmcnt(0)
                                        ; implicit-def: $vgpr27
	s_and_saveexec_b64 s[36:37], s[16:17]
	s_cbranch_execz .LBB3229_31
; %bb.30:
	v_lshl_add_u32 v11, v25, 2, -4
	ds_read_b32 v27, v11
	s_waitcnt lgkmcnt(0)
	v_add_u32_e32 v10, v27, v10
.LBB3229_31:
	s_or_b64 exec, exec, s[36:37]
	v_add_u32_e32 v11, -1, v24
	v_and_b32_e32 v12, 64, v24
	v_cmp_lt_i32_e64 s[16:17], v11, v12
	v_cndmask_b32_e64 v11, v11, v24, s[16:17]
	v_lshlrev_b32_e32 v11, 2, v11
	ds_bpermute_b32 v28, v11, v10
	v_cmp_eq_u32_e64 s[16:17], 0, v24
	s_and_saveexec_b64 s[36:37], vcc
	s_cbranch_execz .LBB3229_50
; %bb.32:
	v_mov_b32_e32 v17, 0
	ds_read_b32 v10, v17 offset:8
	s_and_saveexec_b64 s[38:39], s[16:17]
	s_cbranch_execz .LBB3229_34
; %bb.33:
	s_add_i32 s40, s6, 64
	s_mov_b32 s41, 0
	s_lshl_b64 s[40:41], s[40:41], 3
	s_add_u32 s40, s34, s40
	v_mov_b32_e32 v11, 1
	s_addc_u32 s41, s35, s41
	s_waitcnt lgkmcnt(0)
	global_store_dwordx2 v17, v[10:11], s[40:41]
.LBB3229_34:
	s_or_b64 exec, exec, s[38:39]
	v_xad_u32 v12, v24, -1, s6
	v_add_u32_e32 v16, 64, v12
	v_lshlrev_b64 v[14:15], 3, v[16:17]
	v_mov_b32_e32 v11, s35
	v_add_co_u32_e32 v18, vcc, s34, v14
	v_addc_co_u32_e32 v19, vcc, v11, v15, vcc
	global_load_dwordx2 v[14:15], v[18:19], off glc
	s_waitcnt vmcnt(0)
	v_cmp_eq_u16_sdwa s[40:41], v15, v17 src0_sel:BYTE_0 src1_sel:DWORD
	s_and_saveexec_b64 s[38:39], s[40:41]
	s_cbranch_execz .LBB3229_38
; %bb.35:
	s_mov_b64 s[40:41], 0
	v_mov_b32_e32 v11, 0
.LBB3229_36:                            ; =>This Inner Loop Header: Depth=1
	global_load_dwordx2 v[14:15], v[18:19], off glc
	s_waitcnt vmcnt(0)
	v_cmp_ne_u16_sdwa s[42:43], v15, v11 src0_sel:BYTE_0 src1_sel:DWORD
	s_or_b64 s[40:41], s[42:43], s[40:41]
	s_andn2_b64 exec, exec, s[40:41]
	s_cbranch_execnz .LBB3229_36
; %bb.37:
	s_or_b64 exec, exec, s[40:41]
.LBB3229_38:
	s_or_b64 exec, exec, s[38:39]
	v_and_b32_e32 v30, 63, v24
	v_mov_b32_e32 v29, 2
	v_cmp_ne_u32_e32 vcc, 63, v30
	v_cmp_eq_u16_sdwa s[38:39], v15, v29 src0_sel:BYTE_0 src1_sel:DWORD
	v_lshlrev_b64 v[16:17], v24, -1
	v_addc_co_u32_e32 v18, vcc, 0, v24, vcc
	v_and_b32_e32 v11, s39, v17
	v_lshlrev_b32_e32 v31, 2, v18
	v_or_b32_e32 v11, 0x80000000, v11
	ds_bpermute_b32 v18, v31, v14
	v_and_b32_e32 v13, s38, v16
	v_ffbl_b32_e32 v11, v11
	v_add_u32_e32 v11, 32, v11
	v_ffbl_b32_e32 v13, v13
	v_min_u32_e32 v11, v13, v11
	v_cmp_lt_u32_e32 vcc, v30, v11
	s_waitcnt lgkmcnt(0)
	v_cndmask_b32_e32 v13, 0, v18, vcc
	v_cmp_gt_u32_e32 vcc, 62, v30
	v_add_u32_e32 v13, v13, v14
	v_cndmask_b32_e64 v14, 0, 1, vcc
	v_lshlrev_b32_e32 v14, 1, v14
	v_add_lshl_u32 v32, v14, v24, 2
	ds_bpermute_b32 v14, v32, v13
	v_add_u32_e32 v33, 2, v30
	v_cmp_le_u32_e32 vcc, v33, v11
	v_add_u32_e32 v35, 4, v30
	v_add_u32_e32 v37, 8, v30
	s_waitcnt lgkmcnt(0)
	v_cndmask_b32_e32 v14, 0, v14, vcc
	v_cmp_gt_u32_e32 vcc, 60, v30
	v_add_u32_e32 v13, v13, v14
	v_cndmask_b32_e64 v14, 0, 1, vcc
	v_lshlrev_b32_e32 v14, 2, v14
	v_add_lshl_u32 v34, v14, v24, 2
	ds_bpermute_b32 v14, v34, v13
	v_cmp_le_u32_e32 vcc, v35, v11
	v_add_u32_e32 v39, 16, v30
	v_add_u32_e32 v41, 32, v30
	s_waitcnt lgkmcnt(0)
	v_cndmask_b32_e32 v14, 0, v14, vcc
	v_cmp_gt_u32_e32 vcc, 56, v30
	v_add_u32_e32 v13, v13, v14
	v_cndmask_b32_e64 v14, 0, 1, vcc
	v_lshlrev_b32_e32 v14, 3, v14
	v_add_lshl_u32 v36, v14, v24, 2
	ds_bpermute_b32 v14, v36, v13
	v_cmp_le_u32_e32 vcc, v37, v11
	s_waitcnt lgkmcnt(0)
	v_cndmask_b32_e32 v14, 0, v14, vcc
	v_cmp_gt_u32_e32 vcc, 48, v30
	v_add_u32_e32 v13, v13, v14
	v_cndmask_b32_e64 v14, 0, 1, vcc
	v_lshlrev_b32_e32 v14, 4, v14
	v_add_lshl_u32 v38, v14, v24, 2
	ds_bpermute_b32 v14, v38, v13
	v_cmp_le_u32_e32 vcc, v39, v11
	;; [unrolled: 9-line block ×3, first 2 shown]
	s_waitcnt lgkmcnt(0)
	v_cndmask_b32_e32 v11, 0, v14, vcc
	v_add_u32_e32 v14, v13, v11
	v_mov_b32_e32 v13, 0
	s_branch .LBB3229_40
.LBB3229_39:                            ;   in Loop: Header=BB3229_40 Depth=1
	s_or_b64 exec, exec, s[38:39]
	v_cmp_eq_u16_sdwa s[38:39], v15, v29 src0_sel:BYTE_0 src1_sel:DWORD
	v_and_b32_e32 v18, s39, v17
	v_or_b32_e32 v18, 0x80000000, v18
	ds_bpermute_b32 v42, v31, v14
	v_and_b32_e32 v19, s38, v16
	v_ffbl_b32_e32 v18, v18
	v_add_u32_e32 v18, 32, v18
	v_ffbl_b32_e32 v19, v19
	v_min_u32_e32 v18, v19, v18
	v_cmp_lt_u32_e32 vcc, v30, v18
	s_waitcnt lgkmcnt(0)
	v_cndmask_b32_e32 v19, 0, v42, vcc
	v_add_u32_e32 v14, v19, v14
	ds_bpermute_b32 v19, v32, v14
	v_cmp_le_u32_e32 vcc, v33, v18
	v_subrev_u32_e32 v12, 64, v12
	s_waitcnt lgkmcnt(0)
	v_cndmask_b32_e32 v19, 0, v19, vcc
	v_add_u32_e32 v14, v14, v19
	ds_bpermute_b32 v19, v34, v14
	v_cmp_le_u32_e32 vcc, v35, v18
	s_waitcnt lgkmcnt(0)
	v_cndmask_b32_e32 v19, 0, v19, vcc
	v_add_u32_e32 v14, v14, v19
	ds_bpermute_b32 v19, v36, v14
	v_cmp_le_u32_e32 vcc, v37, v18
	;; [unrolled: 5-line block ×4, first 2 shown]
	s_waitcnt lgkmcnt(0)
	v_cndmask_b32_e32 v18, 0, v19, vcc
	v_add3_u32 v14, v18, v11, v14
.LBB3229_40:                            ; =>This Loop Header: Depth=1
                                        ;     Child Loop BB3229_43 Depth 2
	v_cmp_ne_u16_sdwa s[38:39], v15, v29 src0_sel:BYTE_0 src1_sel:DWORD
	v_cndmask_b32_e64 v11, 0, 1, s[38:39]
	;;#ASMSTART
	;;#ASMEND
	v_cmp_ne_u32_e32 vcc, 0, v11
	s_cmp_lg_u64 vcc, exec
	v_mov_b32_e32 v11, v14
	s_cbranch_scc1 .LBB3229_45
; %bb.41:                               ;   in Loop: Header=BB3229_40 Depth=1
	v_lshlrev_b64 v[14:15], 3, v[12:13]
	v_mov_b32_e32 v19, s35
	v_add_co_u32_e32 v18, vcc, s34, v14
	v_addc_co_u32_e32 v19, vcc, v19, v15, vcc
	global_load_dwordx2 v[14:15], v[18:19], off glc
	s_waitcnt vmcnt(0)
	v_cmp_eq_u16_sdwa s[40:41], v15, v13 src0_sel:BYTE_0 src1_sel:DWORD
	s_and_saveexec_b64 s[38:39], s[40:41]
	s_cbranch_execz .LBB3229_39
; %bb.42:                               ;   in Loop: Header=BB3229_40 Depth=1
	s_mov_b64 s[40:41], 0
.LBB3229_43:                            ;   Parent Loop BB3229_40 Depth=1
                                        ; =>  This Inner Loop Header: Depth=2
	global_load_dwordx2 v[14:15], v[18:19], off glc
	s_waitcnt vmcnt(0)
	v_cmp_ne_u16_sdwa s[42:43], v15, v13 src0_sel:BYTE_0 src1_sel:DWORD
	s_or_b64 s[40:41], s[42:43], s[40:41]
	s_andn2_b64 exec, exec, s[40:41]
	s_cbranch_execnz .LBB3229_43
; %bb.44:                               ;   in Loop: Header=BB3229_40 Depth=1
	s_or_b64 exec, exec, s[40:41]
	s_branch .LBB3229_39
.LBB3229_45:                            ;   in Loop: Header=BB3229_40 Depth=1
                                        ; implicit-def: $vgpr14
                                        ; implicit-def: $vgpr15
	s_cbranch_execz .LBB3229_40
; %bb.46:
	s_and_saveexec_b64 s[38:39], s[16:17]
	s_cbranch_execz .LBB3229_48
; %bb.47:
	s_add_i32 s6, s6, 64
	s_mov_b32 s7, 0
	s_lshl_b64 s[6:7], s[6:7], 3
	s_add_u32 s6, s34, s6
	v_add_u32_e32 v12, v11, v10
	v_mov_b32_e32 v13, 2
	s_addc_u32 s7, s35, s7
	v_mov_b32_e32 v14, 0
	global_store_dwordx2 v14, v[12:13], s[6:7]
	ds_write_b64 v14, v[10:11] offset:6336
.LBB3229_48:
	s_or_b64 exec, exec, s[38:39]
	v_cmp_eq_u32_e32 vcc, 0, v0
	s_and_b64 exec, exec, vcc
	s_cbranch_execz .LBB3229_50
; %bb.49:
	v_mov_b32_e32 v10, 0
	ds_write_b32 v10, v11 offset:8
.LBB3229_50:
	s_or_b64 exec, exec, s[36:37]
	v_mov_b32_e32 v10, 0
	s_waitcnt lgkmcnt(0)
	s_barrier
	ds_read_b32 v11, v10 offset:8
	v_cndmask_b32_e64 v12, v28, v27, s[16:17]
	v_cmp_ne_u32_e32 vcc, 0, v0
	v_cndmask_b32_e32 v12, 0, v12, vcc
	s_waitcnt lgkmcnt(0)
	v_add_u32_e32 v14, v11, v12
	s_barrier
	ds_read_b64 v[10:11], v10 offset:6336
	v_add_u32_sdwa v15, v14, v22 dst_sel:DWORD dst_unused:UNUSED_PAD src0_sel:DWORD src1_sel:BYTE_0
	v_add_u32_sdwa v13, v15, v22 dst_sel:DWORD dst_unused:UNUSED_PAD src0_sel:DWORD src1_sel:BYTE_1
	v_add_u32_e32 v12, v13, v23
	s_load_dwordx2 s[4:5], s[4:5], 0x40
	s_branch .LBB3229_61
.LBB3229_51:
                                        ; implicit-def: $vgpr11
                                        ; implicit-def: $vgpr12
                                        ; implicit-def: $vgpr13
                                        ; implicit-def: $vgpr15
                                        ; implicit-def: $vgpr14
	s_load_dwordx2 s[4:5], s[4:5], 0x40
	s_cbranch_execz .LBB3229_61
; %bb.52:
	s_waitcnt lgkmcnt(0)
	v_mov_b32_dpp v10, v26 row_shr:1 row_mask:0xf bank_mask:0xf
	v_cndmask_b32_e64 v10, v10, 0, s[14:15]
	v_add_u32_e32 v10, v10, v26
	s_nop 1
	v_mov_b32_dpp v11, v10 row_shr:2 row_mask:0xf bank_mask:0xf
	v_cndmask_b32_e64 v11, 0, v11, s[12:13]
	v_add_u32_e32 v10, v10, v11
	s_nop 1
	;; [unrolled: 4-line block ×4, first 2 shown]
	v_mov_b32_dpp v11, v10 row_bcast:15 row_mask:0xf bank_mask:0xf
	v_cndmask_b32_e64 v11, v11, 0, s[2:3]
	v_add_u32_e32 v10, v10, v11
	s_nop 1
	v_mov_b32_dpp v11, v10 row_bcast:31 row_mask:0xf bank_mask:0xf
	v_cndmask_b32_e64 v11, 0, v11, s[0:1]
	v_add_u32_e32 v10, v10, v11
	s_and_saveexec_b64 s[0:1], s[18:19]
	s_cbranch_execz .LBB3229_54
; %bb.53:
	v_lshlrev_b32_e32 v11, 2, v25
	ds_write_b32 v11, v10
.LBB3229_54:
	s_or_b64 exec, exec, s[0:1]
	v_cmp_gt_u32_e32 vcc, 3, v0
	s_waitcnt lgkmcnt(0)
	s_barrier
	s_and_saveexec_b64 s[0:1], vcc
	s_cbranch_execz .LBB3229_56
; %bb.55:
	ds_read_b32 v11, v1
	v_and_b32_e32 v12, 3, v24
	v_cmp_ne_u32_e32 vcc, 0, v12
	s_waitcnt lgkmcnt(0)
	v_mov_b32_dpp v13, v11 row_shr:1 row_mask:0xf bank_mask:0xf
	v_cndmask_b32_e32 v13, 0, v13, vcc
	v_add_u32_e32 v11, v13, v11
	v_cmp_lt_u32_e32 vcc, 1, v12
	s_nop 0
	v_mov_b32_dpp v13, v11 row_shr:2 row_mask:0xf bank_mask:0xf
	v_cndmask_b32_e32 v12, 0, v13, vcc
	v_add_u32_e32 v11, v11, v12
	ds_write_b32 v1, v11
.LBB3229_56:
	s_or_b64 exec, exec, s[0:1]
	v_cmp_lt_u32_e32 vcc, 63, v0
	v_mov_b32_e32 v11, 0
	v_mov_b32_e32 v12, 0
	s_waitcnt lgkmcnt(0)
	s_barrier
	s_and_saveexec_b64 s[0:1], vcc
	s_cbranch_execz .LBB3229_58
; %bb.57:
	v_lshl_add_u32 v12, v25, 2, -4
	ds_read_b32 v12, v12
.LBB3229_58:
	s_or_b64 exec, exec, s[0:1]
	v_add_u32_e32 v13, -1, v24
	v_and_b32_e32 v14, 64, v24
	v_cmp_lt_i32_e32 vcc, v13, v14
	v_cndmask_b32_e32 v13, v13, v24, vcc
	s_waitcnt lgkmcnt(0)
	v_add_u32_e32 v10, v12, v10
	v_lshlrev_b32_e32 v13, 2, v13
	ds_bpermute_b32 v13, v13, v10
	ds_read_b32 v10, v11 offset:8
	v_cmp_eq_u32_e32 vcc, 0, v0
	s_and_saveexec_b64 s[0:1], vcc
	s_cbranch_execz .LBB3229_60
; %bb.59:
	v_mov_b32_e32 v14, 0
	v_mov_b32_e32 v11, 2
	s_waitcnt lgkmcnt(0)
	global_store_dwordx2 v14, v[10:11], s[34:35] offset:512
.LBB3229_60:
	s_or_b64 exec, exec, s[0:1]
	v_cmp_eq_u32_e64 s[0:1], 0, v24
	s_waitcnt lgkmcnt(1)
	v_cndmask_b32_e64 v12, v13, v12, s[0:1]
	v_cndmask_b32_e64 v14, v12, 0, vcc
	v_add_u32_sdwa v15, v14, v22 dst_sel:DWORD dst_unused:UNUSED_PAD src0_sel:DWORD src1_sel:BYTE_0
	v_add_u32_sdwa v13, v15, v22 dst_sel:DWORD dst_unused:UNUSED_PAD src0_sel:DWORD src1_sel:BYTE_1
	v_mov_b32_e32 v11, 0
	v_add_u32_e32 v12, v13, v23
	s_waitcnt lgkmcnt(0)
	s_barrier
.LBB3229_61:
	s_waitcnt lgkmcnt(0)
	v_add_u32_e32 v1, v10, v1
	v_sub_u32_e32 v14, v14, v11
	v_and_b32_e32 v18, 1, v22
	v_sub_u32_e32 v17, v1, v14
	v_cmp_eq_u32_e32 vcc, 1, v18
	v_cndmask_b32_e32 v14, v17, v14, vcc
	v_lshlrev_b32_e32 v14, 3, v14
	v_lshrrev_b32_e32 v16, 8, v22
	ds_write_b64 v14, v[6:7]
	v_sub_u32_e32 v6, v15, v11
	v_sub_u32_e32 v7, v1, v6
	v_and_b32_e32 v14, 1, v16
	v_add_u32_e32 v7, 1, v7
	v_cmp_eq_u32_e32 vcc, 1, v14
	v_cndmask_b32_e32 v6, v7, v6, vcc
	v_lshlrev_b32_e32 v6, 3, v6
	ds_write_b64 v6, v[8:9]
	v_sub_u32_e32 v6, v13, v11
	v_mov_b32_e32 v8, 1
	v_sub_u32_e32 v7, v1, v6
	v_and_b32_sdwa v8, v8, v22 dst_sel:DWORD dst_unused:UNUSED_PAD src0_sel:DWORD src1_sel:WORD_1
	v_add_u32_e32 v7, 2, v7
	v_cmp_eq_u32_e32 vcc, 1, v8
	v_cndmask_b32_e32 v6, v7, v6, vcc
	v_lshlrev_b32_e32 v6, 3, v6
	ds_write_b64 v6, v[2:3]
	v_sub_u32_e32 v2, v12, v11
	v_sub_u32_e32 v1, v1, v2
	v_and_b32_e32 v3, 1, v21
	v_add_u32_e32 v1, 3, v1
	v_cmp_eq_u32_e32 vcc, 1, v3
	v_cndmask_b32_e32 v1, v1, v2, vcc
	v_lshlrev_b32_e32 v1, 3, v1
	ds_write_b64 v1, v[4:5]
	v_mov_b32_e32 v1, s29
	v_add_co_u32_e32 v12, vcc, s28, v10
	v_addc_co_u32_e32 v1, vcc, 0, v1, vcc
	v_add_co_u32_e32 v12, vcc, v12, v11
	v_addc_co_u32_e32 v13, vcc, 0, v1, vcc
	v_mov_b32_e32 v1, s27
	v_sub_co_u32_e32 v18, vcc, s26, v12
	v_subb_co_u32_e32 v19, vcc, v1, v13, vcc
	v_lshlrev_b64 v[18:19], 3, v[18:19]
	s_waitcnt lgkmcnt(0)
	s_barrier
	ds_read2st64_b64 v[6:9], v20 offset1:3
	ds_read2st64_b64 v[2:5], v20 offset0:6 offset1:9
	v_mov_b32_e32 v1, s5
	v_add_co_u32_e32 v11, vcc, s4, v18
	v_addc_co_u32_e32 v1, vcc, v1, v19, vcc
	v_mov_b32_e32 v18, s31
	v_add_co_u32_e32 v14, vcc, s30, v11
	v_addc_co_u32_e32 v1, vcc, v1, v18, vcc
	v_add_u32_e32 v17, 0xc0, v0
	v_add_u32_e32 v16, 0x180, v0
	;; [unrolled: 1-line block ×3, first 2 shown]
	s_andn2_b64 vcc, exec, s[24:25]
	v_cmp_ge_u32_e64 s[0:1], v0, v10
	s_cbranch_vccnz .LBB3229_67
; %bb.62:
	s_and_saveexec_b64 s[2:3], s[0:1]
	s_cbranch_execnz .LBB3229_80
; %bb.63:
	s_or_b64 exec, exec, s[2:3]
	v_cmp_ge_u32_e32 vcc, v17, v10
	s_and_saveexec_b64 s[0:1], vcc
	s_cbranch_execnz .LBB3229_81
.LBB3229_64:
	s_or_b64 exec, exec, s[0:1]
	v_cmp_ge_u32_e32 vcc, v16, v10
	s_and_saveexec_b64 s[0:1], vcc
	s_cbranch_execz .LBB3229_66
.LBB3229_65:
	v_readfirstlane_b32 s2, v14
	v_readfirstlane_b32 s3, v1
	s_waitcnt lgkmcnt(0)
	s_nop 3
	global_store_dwordx2 v20, v[2:3], s[2:3] offset:3072
.LBB3229_66:
	s_or_b64 exec, exec, s[0:1]
	v_cmp_ge_u32_e64 s[0:1], v15, v10
	s_branch .LBB3229_75
.LBB3229_67:
	s_mov_b64 s[0:1], 0
	s_cbranch_execz .LBB3229_75
; %bb.68:
	v_cmp_gt_u32_e32 vcc, s33, v0
	v_cmp_ge_u32_e64 s[0:1], v0, v10
	s_and_b64 s[2:3], vcc, s[0:1]
	s_and_saveexec_b64 s[0:1], s[2:3]
	s_cbranch_execz .LBB3229_70
; %bb.69:
	v_readfirstlane_b32 s2, v14
	v_readfirstlane_b32 s3, v1
	s_waitcnt lgkmcnt(1)
	s_nop 3
	global_store_dwordx2 v20, v[6:7], s[2:3]
.LBB3229_70:
	s_or_b64 exec, exec, s[0:1]
	v_cmp_gt_u32_e32 vcc, s33, v17
	v_cmp_ge_u32_e64 s[0:1], v17, v10
	s_and_b64 s[2:3], vcc, s[0:1]
	s_and_saveexec_b64 s[0:1], s[2:3]
	s_cbranch_execz .LBB3229_72
; %bb.71:
	v_readfirstlane_b32 s2, v14
	v_readfirstlane_b32 s3, v1
	s_waitcnt lgkmcnt(1)
	s_nop 3
	global_store_dwordx2 v20, v[8:9], s[2:3] offset:1536
.LBB3229_72:
	s_or_b64 exec, exec, s[0:1]
	v_cmp_gt_u32_e32 vcc, s33, v16
	v_cmp_ge_u32_e64 s[0:1], v16, v10
	s_and_b64 s[2:3], vcc, s[0:1]
	s_and_saveexec_b64 s[0:1], s[2:3]
	s_cbranch_execz .LBB3229_74
; %bb.73:
	v_readfirstlane_b32 s2, v14
	v_readfirstlane_b32 s3, v1
	s_waitcnt lgkmcnt(0)
	s_nop 3
	global_store_dwordx2 v20, v[2:3], s[2:3] offset:3072
.LBB3229_74:
	s_or_b64 exec, exec, s[0:1]
	v_cmp_gt_u32_e32 vcc, s33, v15
	v_cmp_ge_u32_e64 s[0:1], v15, v10
	s_and_b64 s[0:1], vcc, s[0:1]
.LBB3229_75:
	s_and_saveexec_b64 s[2:3], s[0:1]
	s_cbranch_execz .LBB3229_77
; %bb.76:
	s_waitcnt lgkmcnt(0)
	v_lshlrev_b32_e32 v2, 3, v15
	v_readfirstlane_b32 s0, v14
	v_readfirstlane_b32 s1, v1
	s_nop 4
	global_store_dwordx2 v2, v[4:5], s[0:1]
.LBB3229_77:
	s_or_b64 exec, exec, s[2:3]
	v_cmp_eq_u32_e32 vcc, 0, v0
	s_and_b64 s[0:1], vcc, s[22:23]
	s_and_saveexec_b64 s[2:3], s[0:1]
	s_cbranch_execz .LBB3229_79
; %bb.78:
	v_mov_b32_e32 v0, 0
	global_store_dwordx2 v0, v[12:13], s[20:21]
.LBB3229_79:
	s_endpgm
.LBB3229_80:
	v_readfirstlane_b32 s0, v14
	v_readfirstlane_b32 s1, v1
	s_waitcnt lgkmcnt(1)
	s_nop 3
	global_store_dwordx2 v20, v[6:7], s[0:1]
	s_or_b64 exec, exec, s[2:3]
	v_cmp_ge_u32_e32 vcc, v17, v10
	s_and_saveexec_b64 s[0:1], vcc
	s_cbranch_execz .LBB3229_64
.LBB3229_81:
	v_readfirstlane_b32 s2, v14
	v_readfirstlane_b32 s3, v1
	s_waitcnt lgkmcnt(1)
	s_nop 3
	global_store_dwordx2 v20, v[8:9], s[2:3] offset:1536
	s_or_b64 exec, exec, s[0:1]
	v_cmp_ge_u32_e32 vcc, v16, v10
	s_and_saveexec_b64 s[0:1], vcc
	s_cbranch_execnz .LBB3229_65
	s_branch .LBB3229_66
	.section	.rodata,"a",@progbits
	.p2align	6, 0x0
	.amdhsa_kernel _ZN7rocprim17ROCPRIM_400000_NS6detail17trampoline_kernelINS0_14default_configENS1_25partition_config_selectorILNS1_17partition_subalgoE1ExNS0_10empty_typeEbEEZZNS1_14partition_implILS5_1ELb0ES3_jN6thrust23THRUST_200600_302600_NS6detail15normal_iteratorINSA_10device_ptrIxEEEEPS6_NSA_18transform_iteratorI7is_evenIxESF_NSA_11use_defaultESK_EENS0_5tupleIJNSA_16discard_iteratorISK_EESF_EEENSM_IJSG_SG_EEES6_PlJS6_EEE10hipError_tPvRmT3_T4_T5_T6_T7_T9_mT8_P12ihipStream_tbDpT10_ENKUlT_T0_E_clISt17integral_constantIbLb0EES1B_EEDaS16_S17_EUlS16_E_NS1_11comp_targetILNS1_3genE4ELNS1_11target_archE910ELNS1_3gpuE8ELNS1_3repE0EEENS1_30default_config_static_selectorELNS0_4arch9wavefront6targetE1EEEvT1_
		.amdhsa_group_segment_fixed_size 6344
		.amdhsa_private_segment_fixed_size 0
		.amdhsa_kernarg_size 136
		.amdhsa_user_sgpr_count 6
		.amdhsa_user_sgpr_private_segment_buffer 1
		.amdhsa_user_sgpr_dispatch_ptr 0
		.amdhsa_user_sgpr_queue_ptr 0
		.amdhsa_user_sgpr_kernarg_segment_ptr 1
		.amdhsa_user_sgpr_dispatch_id 0
		.amdhsa_user_sgpr_flat_scratch_init 0
		.amdhsa_user_sgpr_kernarg_preload_length 0
		.amdhsa_user_sgpr_kernarg_preload_offset 0
		.amdhsa_user_sgpr_private_segment_size 0
		.amdhsa_uses_dynamic_stack 0
		.amdhsa_system_sgpr_private_segment_wavefront_offset 0
		.amdhsa_system_sgpr_workgroup_id_x 1
		.amdhsa_system_sgpr_workgroup_id_y 0
		.amdhsa_system_sgpr_workgroup_id_z 0
		.amdhsa_system_sgpr_workgroup_info 0
		.amdhsa_system_vgpr_workitem_id 0
		.amdhsa_next_free_vgpr 43
		.amdhsa_next_free_sgpr 44
		.amdhsa_accum_offset 44
		.amdhsa_reserve_vcc 1
		.amdhsa_reserve_flat_scratch 0
		.amdhsa_float_round_mode_32 0
		.amdhsa_float_round_mode_16_64 0
		.amdhsa_float_denorm_mode_32 3
		.amdhsa_float_denorm_mode_16_64 3
		.amdhsa_dx10_clamp 1
		.amdhsa_ieee_mode 1
		.amdhsa_fp16_overflow 0
		.amdhsa_tg_split 0
		.amdhsa_exception_fp_ieee_invalid_op 0
		.amdhsa_exception_fp_denorm_src 0
		.amdhsa_exception_fp_ieee_div_zero 0
		.amdhsa_exception_fp_ieee_overflow 0
		.amdhsa_exception_fp_ieee_underflow 0
		.amdhsa_exception_fp_ieee_inexact 0
		.amdhsa_exception_int_div_zero 0
	.end_amdhsa_kernel
	.section	.text._ZN7rocprim17ROCPRIM_400000_NS6detail17trampoline_kernelINS0_14default_configENS1_25partition_config_selectorILNS1_17partition_subalgoE1ExNS0_10empty_typeEbEEZZNS1_14partition_implILS5_1ELb0ES3_jN6thrust23THRUST_200600_302600_NS6detail15normal_iteratorINSA_10device_ptrIxEEEEPS6_NSA_18transform_iteratorI7is_evenIxESF_NSA_11use_defaultESK_EENS0_5tupleIJNSA_16discard_iteratorISK_EESF_EEENSM_IJSG_SG_EEES6_PlJS6_EEE10hipError_tPvRmT3_T4_T5_T6_T7_T9_mT8_P12ihipStream_tbDpT10_ENKUlT_T0_E_clISt17integral_constantIbLb0EES1B_EEDaS16_S17_EUlS16_E_NS1_11comp_targetILNS1_3genE4ELNS1_11target_archE910ELNS1_3gpuE8ELNS1_3repE0EEENS1_30default_config_static_selectorELNS0_4arch9wavefront6targetE1EEEvT1_,"axG",@progbits,_ZN7rocprim17ROCPRIM_400000_NS6detail17trampoline_kernelINS0_14default_configENS1_25partition_config_selectorILNS1_17partition_subalgoE1ExNS0_10empty_typeEbEEZZNS1_14partition_implILS5_1ELb0ES3_jN6thrust23THRUST_200600_302600_NS6detail15normal_iteratorINSA_10device_ptrIxEEEEPS6_NSA_18transform_iteratorI7is_evenIxESF_NSA_11use_defaultESK_EENS0_5tupleIJNSA_16discard_iteratorISK_EESF_EEENSM_IJSG_SG_EEES6_PlJS6_EEE10hipError_tPvRmT3_T4_T5_T6_T7_T9_mT8_P12ihipStream_tbDpT10_ENKUlT_T0_E_clISt17integral_constantIbLb0EES1B_EEDaS16_S17_EUlS16_E_NS1_11comp_targetILNS1_3genE4ELNS1_11target_archE910ELNS1_3gpuE8ELNS1_3repE0EEENS1_30default_config_static_selectorELNS0_4arch9wavefront6targetE1EEEvT1_,comdat
.Lfunc_end3229:
	.size	_ZN7rocprim17ROCPRIM_400000_NS6detail17trampoline_kernelINS0_14default_configENS1_25partition_config_selectorILNS1_17partition_subalgoE1ExNS0_10empty_typeEbEEZZNS1_14partition_implILS5_1ELb0ES3_jN6thrust23THRUST_200600_302600_NS6detail15normal_iteratorINSA_10device_ptrIxEEEEPS6_NSA_18transform_iteratorI7is_evenIxESF_NSA_11use_defaultESK_EENS0_5tupleIJNSA_16discard_iteratorISK_EESF_EEENSM_IJSG_SG_EEES6_PlJS6_EEE10hipError_tPvRmT3_T4_T5_T6_T7_T9_mT8_P12ihipStream_tbDpT10_ENKUlT_T0_E_clISt17integral_constantIbLb0EES1B_EEDaS16_S17_EUlS16_E_NS1_11comp_targetILNS1_3genE4ELNS1_11target_archE910ELNS1_3gpuE8ELNS1_3repE0EEENS1_30default_config_static_selectorELNS0_4arch9wavefront6targetE1EEEvT1_, .Lfunc_end3229-_ZN7rocprim17ROCPRIM_400000_NS6detail17trampoline_kernelINS0_14default_configENS1_25partition_config_selectorILNS1_17partition_subalgoE1ExNS0_10empty_typeEbEEZZNS1_14partition_implILS5_1ELb0ES3_jN6thrust23THRUST_200600_302600_NS6detail15normal_iteratorINSA_10device_ptrIxEEEEPS6_NSA_18transform_iteratorI7is_evenIxESF_NSA_11use_defaultESK_EENS0_5tupleIJNSA_16discard_iteratorISK_EESF_EEENSM_IJSG_SG_EEES6_PlJS6_EEE10hipError_tPvRmT3_T4_T5_T6_T7_T9_mT8_P12ihipStream_tbDpT10_ENKUlT_T0_E_clISt17integral_constantIbLb0EES1B_EEDaS16_S17_EUlS16_E_NS1_11comp_targetILNS1_3genE4ELNS1_11target_archE910ELNS1_3gpuE8ELNS1_3repE0EEENS1_30default_config_static_selectorELNS0_4arch9wavefront6targetE1EEEvT1_
                                        ; -- End function
	.section	.AMDGPU.csdata,"",@progbits
; Kernel info:
; codeLenInByte = 3948
; NumSgprs: 48
; NumVgprs: 43
; NumAgprs: 0
; TotalNumVgprs: 43
; ScratchSize: 0
; MemoryBound: 0
; FloatMode: 240
; IeeeMode: 1
; LDSByteSize: 6344 bytes/workgroup (compile time only)
; SGPRBlocks: 5
; VGPRBlocks: 5
; NumSGPRsForWavesPerEU: 48
; NumVGPRsForWavesPerEU: 43
; AccumOffset: 44
; Occupancy: 8
; WaveLimiterHint : 1
; COMPUTE_PGM_RSRC2:SCRATCH_EN: 0
; COMPUTE_PGM_RSRC2:USER_SGPR: 6
; COMPUTE_PGM_RSRC2:TRAP_HANDLER: 0
; COMPUTE_PGM_RSRC2:TGID_X_EN: 1
; COMPUTE_PGM_RSRC2:TGID_Y_EN: 0
; COMPUTE_PGM_RSRC2:TGID_Z_EN: 0
; COMPUTE_PGM_RSRC2:TIDIG_COMP_CNT: 0
; COMPUTE_PGM_RSRC3_GFX90A:ACCUM_OFFSET: 10
; COMPUTE_PGM_RSRC3_GFX90A:TG_SPLIT: 0
	.section	.text._ZN7rocprim17ROCPRIM_400000_NS6detail17trampoline_kernelINS0_14default_configENS1_25partition_config_selectorILNS1_17partition_subalgoE1ExNS0_10empty_typeEbEEZZNS1_14partition_implILS5_1ELb0ES3_jN6thrust23THRUST_200600_302600_NS6detail15normal_iteratorINSA_10device_ptrIxEEEEPS6_NSA_18transform_iteratorI7is_evenIxESF_NSA_11use_defaultESK_EENS0_5tupleIJNSA_16discard_iteratorISK_EESF_EEENSM_IJSG_SG_EEES6_PlJS6_EEE10hipError_tPvRmT3_T4_T5_T6_T7_T9_mT8_P12ihipStream_tbDpT10_ENKUlT_T0_E_clISt17integral_constantIbLb0EES1B_EEDaS16_S17_EUlS16_E_NS1_11comp_targetILNS1_3genE3ELNS1_11target_archE908ELNS1_3gpuE7ELNS1_3repE0EEENS1_30default_config_static_selectorELNS0_4arch9wavefront6targetE1EEEvT1_,"axG",@progbits,_ZN7rocprim17ROCPRIM_400000_NS6detail17trampoline_kernelINS0_14default_configENS1_25partition_config_selectorILNS1_17partition_subalgoE1ExNS0_10empty_typeEbEEZZNS1_14partition_implILS5_1ELb0ES3_jN6thrust23THRUST_200600_302600_NS6detail15normal_iteratorINSA_10device_ptrIxEEEEPS6_NSA_18transform_iteratorI7is_evenIxESF_NSA_11use_defaultESK_EENS0_5tupleIJNSA_16discard_iteratorISK_EESF_EEENSM_IJSG_SG_EEES6_PlJS6_EEE10hipError_tPvRmT3_T4_T5_T6_T7_T9_mT8_P12ihipStream_tbDpT10_ENKUlT_T0_E_clISt17integral_constantIbLb0EES1B_EEDaS16_S17_EUlS16_E_NS1_11comp_targetILNS1_3genE3ELNS1_11target_archE908ELNS1_3gpuE7ELNS1_3repE0EEENS1_30default_config_static_selectorELNS0_4arch9wavefront6targetE1EEEvT1_,comdat
	.protected	_ZN7rocprim17ROCPRIM_400000_NS6detail17trampoline_kernelINS0_14default_configENS1_25partition_config_selectorILNS1_17partition_subalgoE1ExNS0_10empty_typeEbEEZZNS1_14partition_implILS5_1ELb0ES3_jN6thrust23THRUST_200600_302600_NS6detail15normal_iteratorINSA_10device_ptrIxEEEEPS6_NSA_18transform_iteratorI7is_evenIxESF_NSA_11use_defaultESK_EENS0_5tupleIJNSA_16discard_iteratorISK_EESF_EEENSM_IJSG_SG_EEES6_PlJS6_EEE10hipError_tPvRmT3_T4_T5_T6_T7_T9_mT8_P12ihipStream_tbDpT10_ENKUlT_T0_E_clISt17integral_constantIbLb0EES1B_EEDaS16_S17_EUlS16_E_NS1_11comp_targetILNS1_3genE3ELNS1_11target_archE908ELNS1_3gpuE7ELNS1_3repE0EEENS1_30default_config_static_selectorELNS0_4arch9wavefront6targetE1EEEvT1_ ; -- Begin function _ZN7rocprim17ROCPRIM_400000_NS6detail17trampoline_kernelINS0_14default_configENS1_25partition_config_selectorILNS1_17partition_subalgoE1ExNS0_10empty_typeEbEEZZNS1_14partition_implILS5_1ELb0ES3_jN6thrust23THRUST_200600_302600_NS6detail15normal_iteratorINSA_10device_ptrIxEEEEPS6_NSA_18transform_iteratorI7is_evenIxESF_NSA_11use_defaultESK_EENS0_5tupleIJNSA_16discard_iteratorISK_EESF_EEENSM_IJSG_SG_EEES6_PlJS6_EEE10hipError_tPvRmT3_T4_T5_T6_T7_T9_mT8_P12ihipStream_tbDpT10_ENKUlT_T0_E_clISt17integral_constantIbLb0EES1B_EEDaS16_S17_EUlS16_E_NS1_11comp_targetILNS1_3genE3ELNS1_11target_archE908ELNS1_3gpuE7ELNS1_3repE0EEENS1_30default_config_static_selectorELNS0_4arch9wavefront6targetE1EEEvT1_
	.globl	_ZN7rocprim17ROCPRIM_400000_NS6detail17trampoline_kernelINS0_14default_configENS1_25partition_config_selectorILNS1_17partition_subalgoE1ExNS0_10empty_typeEbEEZZNS1_14partition_implILS5_1ELb0ES3_jN6thrust23THRUST_200600_302600_NS6detail15normal_iteratorINSA_10device_ptrIxEEEEPS6_NSA_18transform_iteratorI7is_evenIxESF_NSA_11use_defaultESK_EENS0_5tupleIJNSA_16discard_iteratorISK_EESF_EEENSM_IJSG_SG_EEES6_PlJS6_EEE10hipError_tPvRmT3_T4_T5_T6_T7_T9_mT8_P12ihipStream_tbDpT10_ENKUlT_T0_E_clISt17integral_constantIbLb0EES1B_EEDaS16_S17_EUlS16_E_NS1_11comp_targetILNS1_3genE3ELNS1_11target_archE908ELNS1_3gpuE7ELNS1_3repE0EEENS1_30default_config_static_selectorELNS0_4arch9wavefront6targetE1EEEvT1_
	.p2align	8
	.type	_ZN7rocprim17ROCPRIM_400000_NS6detail17trampoline_kernelINS0_14default_configENS1_25partition_config_selectorILNS1_17partition_subalgoE1ExNS0_10empty_typeEbEEZZNS1_14partition_implILS5_1ELb0ES3_jN6thrust23THRUST_200600_302600_NS6detail15normal_iteratorINSA_10device_ptrIxEEEEPS6_NSA_18transform_iteratorI7is_evenIxESF_NSA_11use_defaultESK_EENS0_5tupleIJNSA_16discard_iteratorISK_EESF_EEENSM_IJSG_SG_EEES6_PlJS6_EEE10hipError_tPvRmT3_T4_T5_T6_T7_T9_mT8_P12ihipStream_tbDpT10_ENKUlT_T0_E_clISt17integral_constantIbLb0EES1B_EEDaS16_S17_EUlS16_E_NS1_11comp_targetILNS1_3genE3ELNS1_11target_archE908ELNS1_3gpuE7ELNS1_3repE0EEENS1_30default_config_static_selectorELNS0_4arch9wavefront6targetE1EEEvT1_,@function
_ZN7rocprim17ROCPRIM_400000_NS6detail17trampoline_kernelINS0_14default_configENS1_25partition_config_selectorILNS1_17partition_subalgoE1ExNS0_10empty_typeEbEEZZNS1_14partition_implILS5_1ELb0ES3_jN6thrust23THRUST_200600_302600_NS6detail15normal_iteratorINSA_10device_ptrIxEEEEPS6_NSA_18transform_iteratorI7is_evenIxESF_NSA_11use_defaultESK_EENS0_5tupleIJNSA_16discard_iteratorISK_EESF_EEENSM_IJSG_SG_EEES6_PlJS6_EEE10hipError_tPvRmT3_T4_T5_T6_T7_T9_mT8_P12ihipStream_tbDpT10_ENKUlT_T0_E_clISt17integral_constantIbLb0EES1B_EEDaS16_S17_EUlS16_E_NS1_11comp_targetILNS1_3genE3ELNS1_11target_archE908ELNS1_3gpuE7ELNS1_3repE0EEENS1_30default_config_static_selectorELNS0_4arch9wavefront6targetE1EEEvT1_: ; @_ZN7rocprim17ROCPRIM_400000_NS6detail17trampoline_kernelINS0_14default_configENS1_25partition_config_selectorILNS1_17partition_subalgoE1ExNS0_10empty_typeEbEEZZNS1_14partition_implILS5_1ELb0ES3_jN6thrust23THRUST_200600_302600_NS6detail15normal_iteratorINSA_10device_ptrIxEEEEPS6_NSA_18transform_iteratorI7is_evenIxESF_NSA_11use_defaultESK_EENS0_5tupleIJNSA_16discard_iteratorISK_EESF_EEENSM_IJSG_SG_EEES6_PlJS6_EEE10hipError_tPvRmT3_T4_T5_T6_T7_T9_mT8_P12ihipStream_tbDpT10_ENKUlT_T0_E_clISt17integral_constantIbLb0EES1B_EEDaS16_S17_EUlS16_E_NS1_11comp_targetILNS1_3genE3ELNS1_11target_archE908ELNS1_3gpuE7ELNS1_3repE0EEENS1_30default_config_static_selectorELNS0_4arch9wavefront6targetE1EEEvT1_
; %bb.0:
	.section	.rodata,"a",@progbits
	.p2align	6, 0x0
	.amdhsa_kernel _ZN7rocprim17ROCPRIM_400000_NS6detail17trampoline_kernelINS0_14default_configENS1_25partition_config_selectorILNS1_17partition_subalgoE1ExNS0_10empty_typeEbEEZZNS1_14partition_implILS5_1ELb0ES3_jN6thrust23THRUST_200600_302600_NS6detail15normal_iteratorINSA_10device_ptrIxEEEEPS6_NSA_18transform_iteratorI7is_evenIxESF_NSA_11use_defaultESK_EENS0_5tupleIJNSA_16discard_iteratorISK_EESF_EEENSM_IJSG_SG_EEES6_PlJS6_EEE10hipError_tPvRmT3_T4_T5_T6_T7_T9_mT8_P12ihipStream_tbDpT10_ENKUlT_T0_E_clISt17integral_constantIbLb0EES1B_EEDaS16_S17_EUlS16_E_NS1_11comp_targetILNS1_3genE3ELNS1_11target_archE908ELNS1_3gpuE7ELNS1_3repE0EEENS1_30default_config_static_selectorELNS0_4arch9wavefront6targetE1EEEvT1_
		.amdhsa_group_segment_fixed_size 0
		.amdhsa_private_segment_fixed_size 0
		.amdhsa_kernarg_size 136
		.amdhsa_user_sgpr_count 6
		.amdhsa_user_sgpr_private_segment_buffer 1
		.amdhsa_user_sgpr_dispatch_ptr 0
		.amdhsa_user_sgpr_queue_ptr 0
		.amdhsa_user_sgpr_kernarg_segment_ptr 1
		.amdhsa_user_sgpr_dispatch_id 0
		.amdhsa_user_sgpr_flat_scratch_init 0
		.amdhsa_user_sgpr_kernarg_preload_length 0
		.amdhsa_user_sgpr_kernarg_preload_offset 0
		.amdhsa_user_sgpr_private_segment_size 0
		.amdhsa_uses_dynamic_stack 0
		.amdhsa_system_sgpr_private_segment_wavefront_offset 0
		.amdhsa_system_sgpr_workgroup_id_x 1
		.amdhsa_system_sgpr_workgroup_id_y 0
		.amdhsa_system_sgpr_workgroup_id_z 0
		.amdhsa_system_sgpr_workgroup_info 0
		.amdhsa_system_vgpr_workitem_id 0
		.amdhsa_next_free_vgpr 1
		.amdhsa_next_free_sgpr 0
		.amdhsa_accum_offset 4
		.amdhsa_reserve_vcc 0
		.amdhsa_reserve_flat_scratch 0
		.amdhsa_float_round_mode_32 0
		.amdhsa_float_round_mode_16_64 0
		.amdhsa_float_denorm_mode_32 3
		.amdhsa_float_denorm_mode_16_64 3
		.amdhsa_dx10_clamp 1
		.amdhsa_ieee_mode 1
		.amdhsa_fp16_overflow 0
		.amdhsa_tg_split 0
		.amdhsa_exception_fp_ieee_invalid_op 0
		.amdhsa_exception_fp_denorm_src 0
		.amdhsa_exception_fp_ieee_div_zero 0
		.amdhsa_exception_fp_ieee_overflow 0
		.amdhsa_exception_fp_ieee_underflow 0
		.amdhsa_exception_fp_ieee_inexact 0
		.amdhsa_exception_int_div_zero 0
	.end_amdhsa_kernel
	.section	.text._ZN7rocprim17ROCPRIM_400000_NS6detail17trampoline_kernelINS0_14default_configENS1_25partition_config_selectorILNS1_17partition_subalgoE1ExNS0_10empty_typeEbEEZZNS1_14partition_implILS5_1ELb0ES3_jN6thrust23THRUST_200600_302600_NS6detail15normal_iteratorINSA_10device_ptrIxEEEEPS6_NSA_18transform_iteratorI7is_evenIxESF_NSA_11use_defaultESK_EENS0_5tupleIJNSA_16discard_iteratorISK_EESF_EEENSM_IJSG_SG_EEES6_PlJS6_EEE10hipError_tPvRmT3_T4_T5_T6_T7_T9_mT8_P12ihipStream_tbDpT10_ENKUlT_T0_E_clISt17integral_constantIbLb0EES1B_EEDaS16_S17_EUlS16_E_NS1_11comp_targetILNS1_3genE3ELNS1_11target_archE908ELNS1_3gpuE7ELNS1_3repE0EEENS1_30default_config_static_selectorELNS0_4arch9wavefront6targetE1EEEvT1_,"axG",@progbits,_ZN7rocprim17ROCPRIM_400000_NS6detail17trampoline_kernelINS0_14default_configENS1_25partition_config_selectorILNS1_17partition_subalgoE1ExNS0_10empty_typeEbEEZZNS1_14partition_implILS5_1ELb0ES3_jN6thrust23THRUST_200600_302600_NS6detail15normal_iteratorINSA_10device_ptrIxEEEEPS6_NSA_18transform_iteratorI7is_evenIxESF_NSA_11use_defaultESK_EENS0_5tupleIJNSA_16discard_iteratorISK_EESF_EEENSM_IJSG_SG_EEES6_PlJS6_EEE10hipError_tPvRmT3_T4_T5_T6_T7_T9_mT8_P12ihipStream_tbDpT10_ENKUlT_T0_E_clISt17integral_constantIbLb0EES1B_EEDaS16_S17_EUlS16_E_NS1_11comp_targetILNS1_3genE3ELNS1_11target_archE908ELNS1_3gpuE7ELNS1_3repE0EEENS1_30default_config_static_selectorELNS0_4arch9wavefront6targetE1EEEvT1_,comdat
.Lfunc_end3230:
	.size	_ZN7rocprim17ROCPRIM_400000_NS6detail17trampoline_kernelINS0_14default_configENS1_25partition_config_selectorILNS1_17partition_subalgoE1ExNS0_10empty_typeEbEEZZNS1_14partition_implILS5_1ELb0ES3_jN6thrust23THRUST_200600_302600_NS6detail15normal_iteratorINSA_10device_ptrIxEEEEPS6_NSA_18transform_iteratorI7is_evenIxESF_NSA_11use_defaultESK_EENS0_5tupleIJNSA_16discard_iteratorISK_EESF_EEENSM_IJSG_SG_EEES6_PlJS6_EEE10hipError_tPvRmT3_T4_T5_T6_T7_T9_mT8_P12ihipStream_tbDpT10_ENKUlT_T0_E_clISt17integral_constantIbLb0EES1B_EEDaS16_S17_EUlS16_E_NS1_11comp_targetILNS1_3genE3ELNS1_11target_archE908ELNS1_3gpuE7ELNS1_3repE0EEENS1_30default_config_static_selectorELNS0_4arch9wavefront6targetE1EEEvT1_, .Lfunc_end3230-_ZN7rocprim17ROCPRIM_400000_NS6detail17trampoline_kernelINS0_14default_configENS1_25partition_config_selectorILNS1_17partition_subalgoE1ExNS0_10empty_typeEbEEZZNS1_14partition_implILS5_1ELb0ES3_jN6thrust23THRUST_200600_302600_NS6detail15normal_iteratorINSA_10device_ptrIxEEEEPS6_NSA_18transform_iteratorI7is_evenIxESF_NSA_11use_defaultESK_EENS0_5tupleIJNSA_16discard_iteratorISK_EESF_EEENSM_IJSG_SG_EEES6_PlJS6_EEE10hipError_tPvRmT3_T4_T5_T6_T7_T9_mT8_P12ihipStream_tbDpT10_ENKUlT_T0_E_clISt17integral_constantIbLb0EES1B_EEDaS16_S17_EUlS16_E_NS1_11comp_targetILNS1_3genE3ELNS1_11target_archE908ELNS1_3gpuE7ELNS1_3repE0EEENS1_30default_config_static_selectorELNS0_4arch9wavefront6targetE1EEEvT1_
                                        ; -- End function
	.section	.AMDGPU.csdata,"",@progbits
; Kernel info:
; codeLenInByte = 0
; NumSgprs: 4
; NumVgprs: 0
; NumAgprs: 0
; TotalNumVgprs: 0
; ScratchSize: 0
; MemoryBound: 0
; FloatMode: 240
; IeeeMode: 1
; LDSByteSize: 0 bytes/workgroup (compile time only)
; SGPRBlocks: 0
; VGPRBlocks: 0
; NumSGPRsForWavesPerEU: 4
; NumVGPRsForWavesPerEU: 1
; AccumOffset: 4
; Occupancy: 8
; WaveLimiterHint : 0
; COMPUTE_PGM_RSRC2:SCRATCH_EN: 0
; COMPUTE_PGM_RSRC2:USER_SGPR: 6
; COMPUTE_PGM_RSRC2:TRAP_HANDLER: 0
; COMPUTE_PGM_RSRC2:TGID_X_EN: 1
; COMPUTE_PGM_RSRC2:TGID_Y_EN: 0
; COMPUTE_PGM_RSRC2:TGID_Z_EN: 0
; COMPUTE_PGM_RSRC2:TIDIG_COMP_CNT: 0
; COMPUTE_PGM_RSRC3_GFX90A:ACCUM_OFFSET: 0
; COMPUTE_PGM_RSRC3_GFX90A:TG_SPLIT: 0
	.section	.text._ZN7rocprim17ROCPRIM_400000_NS6detail17trampoline_kernelINS0_14default_configENS1_25partition_config_selectorILNS1_17partition_subalgoE1ExNS0_10empty_typeEbEEZZNS1_14partition_implILS5_1ELb0ES3_jN6thrust23THRUST_200600_302600_NS6detail15normal_iteratorINSA_10device_ptrIxEEEEPS6_NSA_18transform_iteratorI7is_evenIxESF_NSA_11use_defaultESK_EENS0_5tupleIJNSA_16discard_iteratorISK_EESF_EEENSM_IJSG_SG_EEES6_PlJS6_EEE10hipError_tPvRmT3_T4_T5_T6_T7_T9_mT8_P12ihipStream_tbDpT10_ENKUlT_T0_E_clISt17integral_constantIbLb0EES1B_EEDaS16_S17_EUlS16_E_NS1_11comp_targetILNS1_3genE2ELNS1_11target_archE906ELNS1_3gpuE6ELNS1_3repE0EEENS1_30default_config_static_selectorELNS0_4arch9wavefront6targetE1EEEvT1_,"axG",@progbits,_ZN7rocprim17ROCPRIM_400000_NS6detail17trampoline_kernelINS0_14default_configENS1_25partition_config_selectorILNS1_17partition_subalgoE1ExNS0_10empty_typeEbEEZZNS1_14partition_implILS5_1ELb0ES3_jN6thrust23THRUST_200600_302600_NS6detail15normal_iteratorINSA_10device_ptrIxEEEEPS6_NSA_18transform_iteratorI7is_evenIxESF_NSA_11use_defaultESK_EENS0_5tupleIJNSA_16discard_iteratorISK_EESF_EEENSM_IJSG_SG_EEES6_PlJS6_EEE10hipError_tPvRmT3_T4_T5_T6_T7_T9_mT8_P12ihipStream_tbDpT10_ENKUlT_T0_E_clISt17integral_constantIbLb0EES1B_EEDaS16_S17_EUlS16_E_NS1_11comp_targetILNS1_3genE2ELNS1_11target_archE906ELNS1_3gpuE6ELNS1_3repE0EEENS1_30default_config_static_selectorELNS0_4arch9wavefront6targetE1EEEvT1_,comdat
	.protected	_ZN7rocprim17ROCPRIM_400000_NS6detail17trampoline_kernelINS0_14default_configENS1_25partition_config_selectorILNS1_17partition_subalgoE1ExNS0_10empty_typeEbEEZZNS1_14partition_implILS5_1ELb0ES3_jN6thrust23THRUST_200600_302600_NS6detail15normal_iteratorINSA_10device_ptrIxEEEEPS6_NSA_18transform_iteratorI7is_evenIxESF_NSA_11use_defaultESK_EENS0_5tupleIJNSA_16discard_iteratorISK_EESF_EEENSM_IJSG_SG_EEES6_PlJS6_EEE10hipError_tPvRmT3_T4_T5_T6_T7_T9_mT8_P12ihipStream_tbDpT10_ENKUlT_T0_E_clISt17integral_constantIbLb0EES1B_EEDaS16_S17_EUlS16_E_NS1_11comp_targetILNS1_3genE2ELNS1_11target_archE906ELNS1_3gpuE6ELNS1_3repE0EEENS1_30default_config_static_selectorELNS0_4arch9wavefront6targetE1EEEvT1_ ; -- Begin function _ZN7rocprim17ROCPRIM_400000_NS6detail17trampoline_kernelINS0_14default_configENS1_25partition_config_selectorILNS1_17partition_subalgoE1ExNS0_10empty_typeEbEEZZNS1_14partition_implILS5_1ELb0ES3_jN6thrust23THRUST_200600_302600_NS6detail15normal_iteratorINSA_10device_ptrIxEEEEPS6_NSA_18transform_iteratorI7is_evenIxESF_NSA_11use_defaultESK_EENS0_5tupleIJNSA_16discard_iteratorISK_EESF_EEENSM_IJSG_SG_EEES6_PlJS6_EEE10hipError_tPvRmT3_T4_T5_T6_T7_T9_mT8_P12ihipStream_tbDpT10_ENKUlT_T0_E_clISt17integral_constantIbLb0EES1B_EEDaS16_S17_EUlS16_E_NS1_11comp_targetILNS1_3genE2ELNS1_11target_archE906ELNS1_3gpuE6ELNS1_3repE0EEENS1_30default_config_static_selectorELNS0_4arch9wavefront6targetE1EEEvT1_
	.globl	_ZN7rocprim17ROCPRIM_400000_NS6detail17trampoline_kernelINS0_14default_configENS1_25partition_config_selectorILNS1_17partition_subalgoE1ExNS0_10empty_typeEbEEZZNS1_14partition_implILS5_1ELb0ES3_jN6thrust23THRUST_200600_302600_NS6detail15normal_iteratorINSA_10device_ptrIxEEEEPS6_NSA_18transform_iteratorI7is_evenIxESF_NSA_11use_defaultESK_EENS0_5tupleIJNSA_16discard_iteratorISK_EESF_EEENSM_IJSG_SG_EEES6_PlJS6_EEE10hipError_tPvRmT3_T4_T5_T6_T7_T9_mT8_P12ihipStream_tbDpT10_ENKUlT_T0_E_clISt17integral_constantIbLb0EES1B_EEDaS16_S17_EUlS16_E_NS1_11comp_targetILNS1_3genE2ELNS1_11target_archE906ELNS1_3gpuE6ELNS1_3repE0EEENS1_30default_config_static_selectorELNS0_4arch9wavefront6targetE1EEEvT1_
	.p2align	8
	.type	_ZN7rocprim17ROCPRIM_400000_NS6detail17trampoline_kernelINS0_14default_configENS1_25partition_config_selectorILNS1_17partition_subalgoE1ExNS0_10empty_typeEbEEZZNS1_14partition_implILS5_1ELb0ES3_jN6thrust23THRUST_200600_302600_NS6detail15normal_iteratorINSA_10device_ptrIxEEEEPS6_NSA_18transform_iteratorI7is_evenIxESF_NSA_11use_defaultESK_EENS0_5tupleIJNSA_16discard_iteratorISK_EESF_EEENSM_IJSG_SG_EEES6_PlJS6_EEE10hipError_tPvRmT3_T4_T5_T6_T7_T9_mT8_P12ihipStream_tbDpT10_ENKUlT_T0_E_clISt17integral_constantIbLb0EES1B_EEDaS16_S17_EUlS16_E_NS1_11comp_targetILNS1_3genE2ELNS1_11target_archE906ELNS1_3gpuE6ELNS1_3repE0EEENS1_30default_config_static_selectorELNS0_4arch9wavefront6targetE1EEEvT1_,@function
_ZN7rocprim17ROCPRIM_400000_NS6detail17trampoline_kernelINS0_14default_configENS1_25partition_config_selectorILNS1_17partition_subalgoE1ExNS0_10empty_typeEbEEZZNS1_14partition_implILS5_1ELb0ES3_jN6thrust23THRUST_200600_302600_NS6detail15normal_iteratorINSA_10device_ptrIxEEEEPS6_NSA_18transform_iteratorI7is_evenIxESF_NSA_11use_defaultESK_EENS0_5tupleIJNSA_16discard_iteratorISK_EESF_EEENSM_IJSG_SG_EEES6_PlJS6_EEE10hipError_tPvRmT3_T4_T5_T6_T7_T9_mT8_P12ihipStream_tbDpT10_ENKUlT_T0_E_clISt17integral_constantIbLb0EES1B_EEDaS16_S17_EUlS16_E_NS1_11comp_targetILNS1_3genE2ELNS1_11target_archE906ELNS1_3gpuE6ELNS1_3repE0EEENS1_30default_config_static_selectorELNS0_4arch9wavefront6targetE1EEEvT1_: ; @_ZN7rocprim17ROCPRIM_400000_NS6detail17trampoline_kernelINS0_14default_configENS1_25partition_config_selectorILNS1_17partition_subalgoE1ExNS0_10empty_typeEbEEZZNS1_14partition_implILS5_1ELb0ES3_jN6thrust23THRUST_200600_302600_NS6detail15normal_iteratorINSA_10device_ptrIxEEEEPS6_NSA_18transform_iteratorI7is_evenIxESF_NSA_11use_defaultESK_EENS0_5tupleIJNSA_16discard_iteratorISK_EESF_EEENSM_IJSG_SG_EEES6_PlJS6_EEE10hipError_tPvRmT3_T4_T5_T6_T7_T9_mT8_P12ihipStream_tbDpT10_ENKUlT_T0_E_clISt17integral_constantIbLb0EES1B_EEDaS16_S17_EUlS16_E_NS1_11comp_targetILNS1_3genE2ELNS1_11target_archE906ELNS1_3gpuE6ELNS1_3repE0EEENS1_30default_config_static_selectorELNS0_4arch9wavefront6targetE1EEEvT1_
; %bb.0:
	.section	.rodata,"a",@progbits
	.p2align	6, 0x0
	.amdhsa_kernel _ZN7rocprim17ROCPRIM_400000_NS6detail17trampoline_kernelINS0_14default_configENS1_25partition_config_selectorILNS1_17partition_subalgoE1ExNS0_10empty_typeEbEEZZNS1_14partition_implILS5_1ELb0ES3_jN6thrust23THRUST_200600_302600_NS6detail15normal_iteratorINSA_10device_ptrIxEEEEPS6_NSA_18transform_iteratorI7is_evenIxESF_NSA_11use_defaultESK_EENS0_5tupleIJNSA_16discard_iteratorISK_EESF_EEENSM_IJSG_SG_EEES6_PlJS6_EEE10hipError_tPvRmT3_T4_T5_T6_T7_T9_mT8_P12ihipStream_tbDpT10_ENKUlT_T0_E_clISt17integral_constantIbLb0EES1B_EEDaS16_S17_EUlS16_E_NS1_11comp_targetILNS1_3genE2ELNS1_11target_archE906ELNS1_3gpuE6ELNS1_3repE0EEENS1_30default_config_static_selectorELNS0_4arch9wavefront6targetE1EEEvT1_
		.amdhsa_group_segment_fixed_size 0
		.amdhsa_private_segment_fixed_size 0
		.amdhsa_kernarg_size 136
		.amdhsa_user_sgpr_count 6
		.amdhsa_user_sgpr_private_segment_buffer 1
		.amdhsa_user_sgpr_dispatch_ptr 0
		.amdhsa_user_sgpr_queue_ptr 0
		.amdhsa_user_sgpr_kernarg_segment_ptr 1
		.amdhsa_user_sgpr_dispatch_id 0
		.amdhsa_user_sgpr_flat_scratch_init 0
		.amdhsa_user_sgpr_kernarg_preload_length 0
		.amdhsa_user_sgpr_kernarg_preload_offset 0
		.amdhsa_user_sgpr_private_segment_size 0
		.amdhsa_uses_dynamic_stack 0
		.amdhsa_system_sgpr_private_segment_wavefront_offset 0
		.amdhsa_system_sgpr_workgroup_id_x 1
		.amdhsa_system_sgpr_workgroup_id_y 0
		.amdhsa_system_sgpr_workgroup_id_z 0
		.amdhsa_system_sgpr_workgroup_info 0
		.amdhsa_system_vgpr_workitem_id 0
		.amdhsa_next_free_vgpr 1
		.amdhsa_next_free_sgpr 0
		.amdhsa_accum_offset 4
		.amdhsa_reserve_vcc 0
		.amdhsa_reserve_flat_scratch 0
		.amdhsa_float_round_mode_32 0
		.amdhsa_float_round_mode_16_64 0
		.amdhsa_float_denorm_mode_32 3
		.amdhsa_float_denorm_mode_16_64 3
		.amdhsa_dx10_clamp 1
		.amdhsa_ieee_mode 1
		.amdhsa_fp16_overflow 0
		.amdhsa_tg_split 0
		.amdhsa_exception_fp_ieee_invalid_op 0
		.amdhsa_exception_fp_denorm_src 0
		.amdhsa_exception_fp_ieee_div_zero 0
		.amdhsa_exception_fp_ieee_overflow 0
		.amdhsa_exception_fp_ieee_underflow 0
		.amdhsa_exception_fp_ieee_inexact 0
		.amdhsa_exception_int_div_zero 0
	.end_amdhsa_kernel
	.section	.text._ZN7rocprim17ROCPRIM_400000_NS6detail17trampoline_kernelINS0_14default_configENS1_25partition_config_selectorILNS1_17partition_subalgoE1ExNS0_10empty_typeEbEEZZNS1_14partition_implILS5_1ELb0ES3_jN6thrust23THRUST_200600_302600_NS6detail15normal_iteratorINSA_10device_ptrIxEEEEPS6_NSA_18transform_iteratorI7is_evenIxESF_NSA_11use_defaultESK_EENS0_5tupleIJNSA_16discard_iteratorISK_EESF_EEENSM_IJSG_SG_EEES6_PlJS6_EEE10hipError_tPvRmT3_T4_T5_T6_T7_T9_mT8_P12ihipStream_tbDpT10_ENKUlT_T0_E_clISt17integral_constantIbLb0EES1B_EEDaS16_S17_EUlS16_E_NS1_11comp_targetILNS1_3genE2ELNS1_11target_archE906ELNS1_3gpuE6ELNS1_3repE0EEENS1_30default_config_static_selectorELNS0_4arch9wavefront6targetE1EEEvT1_,"axG",@progbits,_ZN7rocprim17ROCPRIM_400000_NS6detail17trampoline_kernelINS0_14default_configENS1_25partition_config_selectorILNS1_17partition_subalgoE1ExNS0_10empty_typeEbEEZZNS1_14partition_implILS5_1ELb0ES3_jN6thrust23THRUST_200600_302600_NS6detail15normal_iteratorINSA_10device_ptrIxEEEEPS6_NSA_18transform_iteratorI7is_evenIxESF_NSA_11use_defaultESK_EENS0_5tupleIJNSA_16discard_iteratorISK_EESF_EEENSM_IJSG_SG_EEES6_PlJS6_EEE10hipError_tPvRmT3_T4_T5_T6_T7_T9_mT8_P12ihipStream_tbDpT10_ENKUlT_T0_E_clISt17integral_constantIbLb0EES1B_EEDaS16_S17_EUlS16_E_NS1_11comp_targetILNS1_3genE2ELNS1_11target_archE906ELNS1_3gpuE6ELNS1_3repE0EEENS1_30default_config_static_selectorELNS0_4arch9wavefront6targetE1EEEvT1_,comdat
.Lfunc_end3231:
	.size	_ZN7rocprim17ROCPRIM_400000_NS6detail17trampoline_kernelINS0_14default_configENS1_25partition_config_selectorILNS1_17partition_subalgoE1ExNS0_10empty_typeEbEEZZNS1_14partition_implILS5_1ELb0ES3_jN6thrust23THRUST_200600_302600_NS6detail15normal_iteratorINSA_10device_ptrIxEEEEPS6_NSA_18transform_iteratorI7is_evenIxESF_NSA_11use_defaultESK_EENS0_5tupleIJNSA_16discard_iteratorISK_EESF_EEENSM_IJSG_SG_EEES6_PlJS6_EEE10hipError_tPvRmT3_T4_T5_T6_T7_T9_mT8_P12ihipStream_tbDpT10_ENKUlT_T0_E_clISt17integral_constantIbLb0EES1B_EEDaS16_S17_EUlS16_E_NS1_11comp_targetILNS1_3genE2ELNS1_11target_archE906ELNS1_3gpuE6ELNS1_3repE0EEENS1_30default_config_static_selectorELNS0_4arch9wavefront6targetE1EEEvT1_, .Lfunc_end3231-_ZN7rocprim17ROCPRIM_400000_NS6detail17trampoline_kernelINS0_14default_configENS1_25partition_config_selectorILNS1_17partition_subalgoE1ExNS0_10empty_typeEbEEZZNS1_14partition_implILS5_1ELb0ES3_jN6thrust23THRUST_200600_302600_NS6detail15normal_iteratorINSA_10device_ptrIxEEEEPS6_NSA_18transform_iteratorI7is_evenIxESF_NSA_11use_defaultESK_EENS0_5tupleIJNSA_16discard_iteratorISK_EESF_EEENSM_IJSG_SG_EEES6_PlJS6_EEE10hipError_tPvRmT3_T4_T5_T6_T7_T9_mT8_P12ihipStream_tbDpT10_ENKUlT_T0_E_clISt17integral_constantIbLb0EES1B_EEDaS16_S17_EUlS16_E_NS1_11comp_targetILNS1_3genE2ELNS1_11target_archE906ELNS1_3gpuE6ELNS1_3repE0EEENS1_30default_config_static_selectorELNS0_4arch9wavefront6targetE1EEEvT1_
                                        ; -- End function
	.section	.AMDGPU.csdata,"",@progbits
; Kernel info:
; codeLenInByte = 0
; NumSgprs: 4
; NumVgprs: 0
; NumAgprs: 0
; TotalNumVgprs: 0
; ScratchSize: 0
; MemoryBound: 0
; FloatMode: 240
; IeeeMode: 1
; LDSByteSize: 0 bytes/workgroup (compile time only)
; SGPRBlocks: 0
; VGPRBlocks: 0
; NumSGPRsForWavesPerEU: 4
; NumVGPRsForWavesPerEU: 1
; AccumOffset: 4
; Occupancy: 8
; WaveLimiterHint : 0
; COMPUTE_PGM_RSRC2:SCRATCH_EN: 0
; COMPUTE_PGM_RSRC2:USER_SGPR: 6
; COMPUTE_PGM_RSRC2:TRAP_HANDLER: 0
; COMPUTE_PGM_RSRC2:TGID_X_EN: 1
; COMPUTE_PGM_RSRC2:TGID_Y_EN: 0
; COMPUTE_PGM_RSRC2:TGID_Z_EN: 0
; COMPUTE_PGM_RSRC2:TIDIG_COMP_CNT: 0
; COMPUTE_PGM_RSRC3_GFX90A:ACCUM_OFFSET: 0
; COMPUTE_PGM_RSRC3_GFX90A:TG_SPLIT: 0
	.section	.text._ZN7rocprim17ROCPRIM_400000_NS6detail17trampoline_kernelINS0_14default_configENS1_25partition_config_selectorILNS1_17partition_subalgoE1ExNS0_10empty_typeEbEEZZNS1_14partition_implILS5_1ELb0ES3_jN6thrust23THRUST_200600_302600_NS6detail15normal_iteratorINSA_10device_ptrIxEEEEPS6_NSA_18transform_iteratorI7is_evenIxESF_NSA_11use_defaultESK_EENS0_5tupleIJNSA_16discard_iteratorISK_EESF_EEENSM_IJSG_SG_EEES6_PlJS6_EEE10hipError_tPvRmT3_T4_T5_T6_T7_T9_mT8_P12ihipStream_tbDpT10_ENKUlT_T0_E_clISt17integral_constantIbLb0EES1B_EEDaS16_S17_EUlS16_E_NS1_11comp_targetILNS1_3genE10ELNS1_11target_archE1200ELNS1_3gpuE4ELNS1_3repE0EEENS1_30default_config_static_selectorELNS0_4arch9wavefront6targetE1EEEvT1_,"axG",@progbits,_ZN7rocprim17ROCPRIM_400000_NS6detail17trampoline_kernelINS0_14default_configENS1_25partition_config_selectorILNS1_17partition_subalgoE1ExNS0_10empty_typeEbEEZZNS1_14partition_implILS5_1ELb0ES3_jN6thrust23THRUST_200600_302600_NS6detail15normal_iteratorINSA_10device_ptrIxEEEEPS6_NSA_18transform_iteratorI7is_evenIxESF_NSA_11use_defaultESK_EENS0_5tupleIJNSA_16discard_iteratorISK_EESF_EEENSM_IJSG_SG_EEES6_PlJS6_EEE10hipError_tPvRmT3_T4_T5_T6_T7_T9_mT8_P12ihipStream_tbDpT10_ENKUlT_T0_E_clISt17integral_constantIbLb0EES1B_EEDaS16_S17_EUlS16_E_NS1_11comp_targetILNS1_3genE10ELNS1_11target_archE1200ELNS1_3gpuE4ELNS1_3repE0EEENS1_30default_config_static_selectorELNS0_4arch9wavefront6targetE1EEEvT1_,comdat
	.protected	_ZN7rocprim17ROCPRIM_400000_NS6detail17trampoline_kernelINS0_14default_configENS1_25partition_config_selectorILNS1_17partition_subalgoE1ExNS0_10empty_typeEbEEZZNS1_14partition_implILS5_1ELb0ES3_jN6thrust23THRUST_200600_302600_NS6detail15normal_iteratorINSA_10device_ptrIxEEEEPS6_NSA_18transform_iteratorI7is_evenIxESF_NSA_11use_defaultESK_EENS0_5tupleIJNSA_16discard_iteratorISK_EESF_EEENSM_IJSG_SG_EEES6_PlJS6_EEE10hipError_tPvRmT3_T4_T5_T6_T7_T9_mT8_P12ihipStream_tbDpT10_ENKUlT_T0_E_clISt17integral_constantIbLb0EES1B_EEDaS16_S17_EUlS16_E_NS1_11comp_targetILNS1_3genE10ELNS1_11target_archE1200ELNS1_3gpuE4ELNS1_3repE0EEENS1_30default_config_static_selectorELNS0_4arch9wavefront6targetE1EEEvT1_ ; -- Begin function _ZN7rocprim17ROCPRIM_400000_NS6detail17trampoline_kernelINS0_14default_configENS1_25partition_config_selectorILNS1_17partition_subalgoE1ExNS0_10empty_typeEbEEZZNS1_14partition_implILS5_1ELb0ES3_jN6thrust23THRUST_200600_302600_NS6detail15normal_iteratorINSA_10device_ptrIxEEEEPS6_NSA_18transform_iteratorI7is_evenIxESF_NSA_11use_defaultESK_EENS0_5tupleIJNSA_16discard_iteratorISK_EESF_EEENSM_IJSG_SG_EEES6_PlJS6_EEE10hipError_tPvRmT3_T4_T5_T6_T7_T9_mT8_P12ihipStream_tbDpT10_ENKUlT_T0_E_clISt17integral_constantIbLb0EES1B_EEDaS16_S17_EUlS16_E_NS1_11comp_targetILNS1_3genE10ELNS1_11target_archE1200ELNS1_3gpuE4ELNS1_3repE0EEENS1_30default_config_static_selectorELNS0_4arch9wavefront6targetE1EEEvT1_
	.globl	_ZN7rocprim17ROCPRIM_400000_NS6detail17trampoline_kernelINS0_14default_configENS1_25partition_config_selectorILNS1_17partition_subalgoE1ExNS0_10empty_typeEbEEZZNS1_14partition_implILS5_1ELb0ES3_jN6thrust23THRUST_200600_302600_NS6detail15normal_iteratorINSA_10device_ptrIxEEEEPS6_NSA_18transform_iteratorI7is_evenIxESF_NSA_11use_defaultESK_EENS0_5tupleIJNSA_16discard_iteratorISK_EESF_EEENSM_IJSG_SG_EEES6_PlJS6_EEE10hipError_tPvRmT3_T4_T5_T6_T7_T9_mT8_P12ihipStream_tbDpT10_ENKUlT_T0_E_clISt17integral_constantIbLb0EES1B_EEDaS16_S17_EUlS16_E_NS1_11comp_targetILNS1_3genE10ELNS1_11target_archE1200ELNS1_3gpuE4ELNS1_3repE0EEENS1_30default_config_static_selectorELNS0_4arch9wavefront6targetE1EEEvT1_
	.p2align	8
	.type	_ZN7rocprim17ROCPRIM_400000_NS6detail17trampoline_kernelINS0_14default_configENS1_25partition_config_selectorILNS1_17partition_subalgoE1ExNS0_10empty_typeEbEEZZNS1_14partition_implILS5_1ELb0ES3_jN6thrust23THRUST_200600_302600_NS6detail15normal_iteratorINSA_10device_ptrIxEEEEPS6_NSA_18transform_iteratorI7is_evenIxESF_NSA_11use_defaultESK_EENS0_5tupleIJNSA_16discard_iteratorISK_EESF_EEENSM_IJSG_SG_EEES6_PlJS6_EEE10hipError_tPvRmT3_T4_T5_T6_T7_T9_mT8_P12ihipStream_tbDpT10_ENKUlT_T0_E_clISt17integral_constantIbLb0EES1B_EEDaS16_S17_EUlS16_E_NS1_11comp_targetILNS1_3genE10ELNS1_11target_archE1200ELNS1_3gpuE4ELNS1_3repE0EEENS1_30default_config_static_selectorELNS0_4arch9wavefront6targetE1EEEvT1_,@function
_ZN7rocprim17ROCPRIM_400000_NS6detail17trampoline_kernelINS0_14default_configENS1_25partition_config_selectorILNS1_17partition_subalgoE1ExNS0_10empty_typeEbEEZZNS1_14partition_implILS5_1ELb0ES3_jN6thrust23THRUST_200600_302600_NS6detail15normal_iteratorINSA_10device_ptrIxEEEEPS6_NSA_18transform_iteratorI7is_evenIxESF_NSA_11use_defaultESK_EENS0_5tupleIJNSA_16discard_iteratorISK_EESF_EEENSM_IJSG_SG_EEES6_PlJS6_EEE10hipError_tPvRmT3_T4_T5_T6_T7_T9_mT8_P12ihipStream_tbDpT10_ENKUlT_T0_E_clISt17integral_constantIbLb0EES1B_EEDaS16_S17_EUlS16_E_NS1_11comp_targetILNS1_3genE10ELNS1_11target_archE1200ELNS1_3gpuE4ELNS1_3repE0EEENS1_30default_config_static_selectorELNS0_4arch9wavefront6targetE1EEEvT1_: ; @_ZN7rocprim17ROCPRIM_400000_NS6detail17trampoline_kernelINS0_14default_configENS1_25partition_config_selectorILNS1_17partition_subalgoE1ExNS0_10empty_typeEbEEZZNS1_14partition_implILS5_1ELb0ES3_jN6thrust23THRUST_200600_302600_NS6detail15normal_iteratorINSA_10device_ptrIxEEEEPS6_NSA_18transform_iteratorI7is_evenIxESF_NSA_11use_defaultESK_EENS0_5tupleIJNSA_16discard_iteratorISK_EESF_EEENSM_IJSG_SG_EEES6_PlJS6_EEE10hipError_tPvRmT3_T4_T5_T6_T7_T9_mT8_P12ihipStream_tbDpT10_ENKUlT_T0_E_clISt17integral_constantIbLb0EES1B_EEDaS16_S17_EUlS16_E_NS1_11comp_targetILNS1_3genE10ELNS1_11target_archE1200ELNS1_3gpuE4ELNS1_3repE0EEENS1_30default_config_static_selectorELNS0_4arch9wavefront6targetE1EEEvT1_
; %bb.0:
	.section	.rodata,"a",@progbits
	.p2align	6, 0x0
	.amdhsa_kernel _ZN7rocprim17ROCPRIM_400000_NS6detail17trampoline_kernelINS0_14default_configENS1_25partition_config_selectorILNS1_17partition_subalgoE1ExNS0_10empty_typeEbEEZZNS1_14partition_implILS5_1ELb0ES3_jN6thrust23THRUST_200600_302600_NS6detail15normal_iteratorINSA_10device_ptrIxEEEEPS6_NSA_18transform_iteratorI7is_evenIxESF_NSA_11use_defaultESK_EENS0_5tupleIJNSA_16discard_iteratorISK_EESF_EEENSM_IJSG_SG_EEES6_PlJS6_EEE10hipError_tPvRmT3_T4_T5_T6_T7_T9_mT8_P12ihipStream_tbDpT10_ENKUlT_T0_E_clISt17integral_constantIbLb0EES1B_EEDaS16_S17_EUlS16_E_NS1_11comp_targetILNS1_3genE10ELNS1_11target_archE1200ELNS1_3gpuE4ELNS1_3repE0EEENS1_30default_config_static_selectorELNS0_4arch9wavefront6targetE1EEEvT1_
		.amdhsa_group_segment_fixed_size 0
		.amdhsa_private_segment_fixed_size 0
		.amdhsa_kernarg_size 136
		.amdhsa_user_sgpr_count 6
		.amdhsa_user_sgpr_private_segment_buffer 1
		.amdhsa_user_sgpr_dispatch_ptr 0
		.amdhsa_user_sgpr_queue_ptr 0
		.amdhsa_user_sgpr_kernarg_segment_ptr 1
		.amdhsa_user_sgpr_dispatch_id 0
		.amdhsa_user_sgpr_flat_scratch_init 0
		.amdhsa_user_sgpr_kernarg_preload_length 0
		.amdhsa_user_sgpr_kernarg_preload_offset 0
		.amdhsa_user_sgpr_private_segment_size 0
		.amdhsa_uses_dynamic_stack 0
		.amdhsa_system_sgpr_private_segment_wavefront_offset 0
		.amdhsa_system_sgpr_workgroup_id_x 1
		.amdhsa_system_sgpr_workgroup_id_y 0
		.amdhsa_system_sgpr_workgroup_id_z 0
		.amdhsa_system_sgpr_workgroup_info 0
		.amdhsa_system_vgpr_workitem_id 0
		.amdhsa_next_free_vgpr 1
		.amdhsa_next_free_sgpr 0
		.amdhsa_accum_offset 4
		.amdhsa_reserve_vcc 0
		.amdhsa_reserve_flat_scratch 0
		.amdhsa_float_round_mode_32 0
		.amdhsa_float_round_mode_16_64 0
		.amdhsa_float_denorm_mode_32 3
		.amdhsa_float_denorm_mode_16_64 3
		.amdhsa_dx10_clamp 1
		.amdhsa_ieee_mode 1
		.amdhsa_fp16_overflow 0
		.amdhsa_tg_split 0
		.amdhsa_exception_fp_ieee_invalid_op 0
		.amdhsa_exception_fp_denorm_src 0
		.amdhsa_exception_fp_ieee_div_zero 0
		.amdhsa_exception_fp_ieee_overflow 0
		.amdhsa_exception_fp_ieee_underflow 0
		.amdhsa_exception_fp_ieee_inexact 0
		.amdhsa_exception_int_div_zero 0
	.end_amdhsa_kernel
	.section	.text._ZN7rocprim17ROCPRIM_400000_NS6detail17trampoline_kernelINS0_14default_configENS1_25partition_config_selectorILNS1_17partition_subalgoE1ExNS0_10empty_typeEbEEZZNS1_14partition_implILS5_1ELb0ES3_jN6thrust23THRUST_200600_302600_NS6detail15normal_iteratorINSA_10device_ptrIxEEEEPS6_NSA_18transform_iteratorI7is_evenIxESF_NSA_11use_defaultESK_EENS0_5tupleIJNSA_16discard_iteratorISK_EESF_EEENSM_IJSG_SG_EEES6_PlJS6_EEE10hipError_tPvRmT3_T4_T5_T6_T7_T9_mT8_P12ihipStream_tbDpT10_ENKUlT_T0_E_clISt17integral_constantIbLb0EES1B_EEDaS16_S17_EUlS16_E_NS1_11comp_targetILNS1_3genE10ELNS1_11target_archE1200ELNS1_3gpuE4ELNS1_3repE0EEENS1_30default_config_static_selectorELNS0_4arch9wavefront6targetE1EEEvT1_,"axG",@progbits,_ZN7rocprim17ROCPRIM_400000_NS6detail17trampoline_kernelINS0_14default_configENS1_25partition_config_selectorILNS1_17partition_subalgoE1ExNS0_10empty_typeEbEEZZNS1_14partition_implILS5_1ELb0ES3_jN6thrust23THRUST_200600_302600_NS6detail15normal_iteratorINSA_10device_ptrIxEEEEPS6_NSA_18transform_iteratorI7is_evenIxESF_NSA_11use_defaultESK_EENS0_5tupleIJNSA_16discard_iteratorISK_EESF_EEENSM_IJSG_SG_EEES6_PlJS6_EEE10hipError_tPvRmT3_T4_T5_T6_T7_T9_mT8_P12ihipStream_tbDpT10_ENKUlT_T0_E_clISt17integral_constantIbLb0EES1B_EEDaS16_S17_EUlS16_E_NS1_11comp_targetILNS1_3genE10ELNS1_11target_archE1200ELNS1_3gpuE4ELNS1_3repE0EEENS1_30default_config_static_selectorELNS0_4arch9wavefront6targetE1EEEvT1_,comdat
.Lfunc_end3232:
	.size	_ZN7rocprim17ROCPRIM_400000_NS6detail17trampoline_kernelINS0_14default_configENS1_25partition_config_selectorILNS1_17partition_subalgoE1ExNS0_10empty_typeEbEEZZNS1_14partition_implILS5_1ELb0ES3_jN6thrust23THRUST_200600_302600_NS6detail15normal_iteratorINSA_10device_ptrIxEEEEPS6_NSA_18transform_iteratorI7is_evenIxESF_NSA_11use_defaultESK_EENS0_5tupleIJNSA_16discard_iteratorISK_EESF_EEENSM_IJSG_SG_EEES6_PlJS6_EEE10hipError_tPvRmT3_T4_T5_T6_T7_T9_mT8_P12ihipStream_tbDpT10_ENKUlT_T0_E_clISt17integral_constantIbLb0EES1B_EEDaS16_S17_EUlS16_E_NS1_11comp_targetILNS1_3genE10ELNS1_11target_archE1200ELNS1_3gpuE4ELNS1_3repE0EEENS1_30default_config_static_selectorELNS0_4arch9wavefront6targetE1EEEvT1_, .Lfunc_end3232-_ZN7rocprim17ROCPRIM_400000_NS6detail17trampoline_kernelINS0_14default_configENS1_25partition_config_selectorILNS1_17partition_subalgoE1ExNS0_10empty_typeEbEEZZNS1_14partition_implILS5_1ELb0ES3_jN6thrust23THRUST_200600_302600_NS6detail15normal_iteratorINSA_10device_ptrIxEEEEPS6_NSA_18transform_iteratorI7is_evenIxESF_NSA_11use_defaultESK_EENS0_5tupleIJNSA_16discard_iteratorISK_EESF_EEENSM_IJSG_SG_EEES6_PlJS6_EEE10hipError_tPvRmT3_T4_T5_T6_T7_T9_mT8_P12ihipStream_tbDpT10_ENKUlT_T0_E_clISt17integral_constantIbLb0EES1B_EEDaS16_S17_EUlS16_E_NS1_11comp_targetILNS1_3genE10ELNS1_11target_archE1200ELNS1_3gpuE4ELNS1_3repE0EEENS1_30default_config_static_selectorELNS0_4arch9wavefront6targetE1EEEvT1_
                                        ; -- End function
	.section	.AMDGPU.csdata,"",@progbits
; Kernel info:
; codeLenInByte = 0
; NumSgprs: 4
; NumVgprs: 0
; NumAgprs: 0
; TotalNumVgprs: 0
; ScratchSize: 0
; MemoryBound: 0
; FloatMode: 240
; IeeeMode: 1
; LDSByteSize: 0 bytes/workgroup (compile time only)
; SGPRBlocks: 0
; VGPRBlocks: 0
; NumSGPRsForWavesPerEU: 4
; NumVGPRsForWavesPerEU: 1
; AccumOffset: 4
; Occupancy: 8
; WaveLimiterHint : 0
; COMPUTE_PGM_RSRC2:SCRATCH_EN: 0
; COMPUTE_PGM_RSRC2:USER_SGPR: 6
; COMPUTE_PGM_RSRC2:TRAP_HANDLER: 0
; COMPUTE_PGM_RSRC2:TGID_X_EN: 1
; COMPUTE_PGM_RSRC2:TGID_Y_EN: 0
; COMPUTE_PGM_RSRC2:TGID_Z_EN: 0
; COMPUTE_PGM_RSRC2:TIDIG_COMP_CNT: 0
; COMPUTE_PGM_RSRC3_GFX90A:ACCUM_OFFSET: 0
; COMPUTE_PGM_RSRC3_GFX90A:TG_SPLIT: 0
	.section	.text._ZN7rocprim17ROCPRIM_400000_NS6detail17trampoline_kernelINS0_14default_configENS1_25partition_config_selectorILNS1_17partition_subalgoE1ExNS0_10empty_typeEbEEZZNS1_14partition_implILS5_1ELb0ES3_jN6thrust23THRUST_200600_302600_NS6detail15normal_iteratorINSA_10device_ptrIxEEEEPS6_NSA_18transform_iteratorI7is_evenIxESF_NSA_11use_defaultESK_EENS0_5tupleIJNSA_16discard_iteratorISK_EESF_EEENSM_IJSG_SG_EEES6_PlJS6_EEE10hipError_tPvRmT3_T4_T5_T6_T7_T9_mT8_P12ihipStream_tbDpT10_ENKUlT_T0_E_clISt17integral_constantIbLb0EES1B_EEDaS16_S17_EUlS16_E_NS1_11comp_targetILNS1_3genE9ELNS1_11target_archE1100ELNS1_3gpuE3ELNS1_3repE0EEENS1_30default_config_static_selectorELNS0_4arch9wavefront6targetE1EEEvT1_,"axG",@progbits,_ZN7rocprim17ROCPRIM_400000_NS6detail17trampoline_kernelINS0_14default_configENS1_25partition_config_selectorILNS1_17partition_subalgoE1ExNS0_10empty_typeEbEEZZNS1_14partition_implILS5_1ELb0ES3_jN6thrust23THRUST_200600_302600_NS6detail15normal_iteratorINSA_10device_ptrIxEEEEPS6_NSA_18transform_iteratorI7is_evenIxESF_NSA_11use_defaultESK_EENS0_5tupleIJNSA_16discard_iteratorISK_EESF_EEENSM_IJSG_SG_EEES6_PlJS6_EEE10hipError_tPvRmT3_T4_T5_T6_T7_T9_mT8_P12ihipStream_tbDpT10_ENKUlT_T0_E_clISt17integral_constantIbLb0EES1B_EEDaS16_S17_EUlS16_E_NS1_11comp_targetILNS1_3genE9ELNS1_11target_archE1100ELNS1_3gpuE3ELNS1_3repE0EEENS1_30default_config_static_selectorELNS0_4arch9wavefront6targetE1EEEvT1_,comdat
	.protected	_ZN7rocprim17ROCPRIM_400000_NS6detail17trampoline_kernelINS0_14default_configENS1_25partition_config_selectorILNS1_17partition_subalgoE1ExNS0_10empty_typeEbEEZZNS1_14partition_implILS5_1ELb0ES3_jN6thrust23THRUST_200600_302600_NS6detail15normal_iteratorINSA_10device_ptrIxEEEEPS6_NSA_18transform_iteratorI7is_evenIxESF_NSA_11use_defaultESK_EENS0_5tupleIJNSA_16discard_iteratorISK_EESF_EEENSM_IJSG_SG_EEES6_PlJS6_EEE10hipError_tPvRmT3_T4_T5_T6_T7_T9_mT8_P12ihipStream_tbDpT10_ENKUlT_T0_E_clISt17integral_constantIbLb0EES1B_EEDaS16_S17_EUlS16_E_NS1_11comp_targetILNS1_3genE9ELNS1_11target_archE1100ELNS1_3gpuE3ELNS1_3repE0EEENS1_30default_config_static_selectorELNS0_4arch9wavefront6targetE1EEEvT1_ ; -- Begin function _ZN7rocprim17ROCPRIM_400000_NS6detail17trampoline_kernelINS0_14default_configENS1_25partition_config_selectorILNS1_17partition_subalgoE1ExNS0_10empty_typeEbEEZZNS1_14partition_implILS5_1ELb0ES3_jN6thrust23THRUST_200600_302600_NS6detail15normal_iteratorINSA_10device_ptrIxEEEEPS6_NSA_18transform_iteratorI7is_evenIxESF_NSA_11use_defaultESK_EENS0_5tupleIJNSA_16discard_iteratorISK_EESF_EEENSM_IJSG_SG_EEES6_PlJS6_EEE10hipError_tPvRmT3_T4_T5_T6_T7_T9_mT8_P12ihipStream_tbDpT10_ENKUlT_T0_E_clISt17integral_constantIbLb0EES1B_EEDaS16_S17_EUlS16_E_NS1_11comp_targetILNS1_3genE9ELNS1_11target_archE1100ELNS1_3gpuE3ELNS1_3repE0EEENS1_30default_config_static_selectorELNS0_4arch9wavefront6targetE1EEEvT1_
	.globl	_ZN7rocprim17ROCPRIM_400000_NS6detail17trampoline_kernelINS0_14default_configENS1_25partition_config_selectorILNS1_17partition_subalgoE1ExNS0_10empty_typeEbEEZZNS1_14partition_implILS5_1ELb0ES3_jN6thrust23THRUST_200600_302600_NS6detail15normal_iteratorINSA_10device_ptrIxEEEEPS6_NSA_18transform_iteratorI7is_evenIxESF_NSA_11use_defaultESK_EENS0_5tupleIJNSA_16discard_iteratorISK_EESF_EEENSM_IJSG_SG_EEES6_PlJS6_EEE10hipError_tPvRmT3_T4_T5_T6_T7_T9_mT8_P12ihipStream_tbDpT10_ENKUlT_T0_E_clISt17integral_constantIbLb0EES1B_EEDaS16_S17_EUlS16_E_NS1_11comp_targetILNS1_3genE9ELNS1_11target_archE1100ELNS1_3gpuE3ELNS1_3repE0EEENS1_30default_config_static_selectorELNS0_4arch9wavefront6targetE1EEEvT1_
	.p2align	8
	.type	_ZN7rocprim17ROCPRIM_400000_NS6detail17trampoline_kernelINS0_14default_configENS1_25partition_config_selectorILNS1_17partition_subalgoE1ExNS0_10empty_typeEbEEZZNS1_14partition_implILS5_1ELb0ES3_jN6thrust23THRUST_200600_302600_NS6detail15normal_iteratorINSA_10device_ptrIxEEEEPS6_NSA_18transform_iteratorI7is_evenIxESF_NSA_11use_defaultESK_EENS0_5tupleIJNSA_16discard_iteratorISK_EESF_EEENSM_IJSG_SG_EEES6_PlJS6_EEE10hipError_tPvRmT3_T4_T5_T6_T7_T9_mT8_P12ihipStream_tbDpT10_ENKUlT_T0_E_clISt17integral_constantIbLb0EES1B_EEDaS16_S17_EUlS16_E_NS1_11comp_targetILNS1_3genE9ELNS1_11target_archE1100ELNS1_3gpuE3ELNS1_3repE0EEENS1_30default_config_static_selectorELNS0_4arch9wavefront6targetE1EEEvT1_,@function
_ZN7rocprim17ROCPRIM_400000_NS6detail17trampoline_kernelINS0_14default_configENS1_25partition_config_selectorILNS1_17partition_subalgoE1ExNS0_10empty_typeEbEEZZNS1_14partition_implILS5_1ELb0ES3_jN6thrust23THRUST_200600_302600_NS6detail15normal_iteratorINSA_10device_ptrIxEEEEPS6_NSA_18transform_iteratorI7is_evenIxESF_NSA_11use_defaultESK_EENS0_5tupleIJNSA_16discard_iteratorISK_EESF_EEENSM_IJSG_SG_EEES6_PlJS6_EEE10hipError_tPvRmT3_T4_T5_T6_T7_T9_mT8_P12ihipStream_tbDpT10_ENKUlT_T0_E_clISt17integral_constantIbLb0EES1B_EEDaS16_S17_EUlS16_E_NS1_11comp_targetILNS1_3genE9ELNS1_11target_archE1100ELNS1_3gpuE3ELNS1_3repE0EEENS1_30default_config_static_selectorELNS0_4arch9wavefront6targetE1EEEvT1_: ; @_ZN7rocprim17ROCPRIM_400000_NS6detail17trampoline_kernelINS0_14default_configENS1_25partition_config_selectorILNS1_17partition_subalgoE1ExNS0_10empty_typeEbEEZZNS1_14partition_implILS5_1ELb0ES3_jN6thrust23THRUST_200600_302600_NS6detail15normal_iteratorINSA_10device_ptrIxEEEEPS6_NSA_18transform_iteratorI7is_evenIxESF_NSA_11use_defaultESK_EENS0_5tupleIJNSA_16discard_iteratorISK_EESF_EEENSM_IJSG_SG_EEES6_PlJS6_EEE10hipError_tPvRmT3_T4_T5_T6_T7_T9_mT8_P12ihipStream_tbDpT10_ENKUlT_T0_E_clISt17integral_constantIbLb0EES1B_EEDaS16_S17_EUlS16_E_NS1_11comp_targetILNS1_3genE9ELNS1_11target_archE1100ELNS1_3gpuE3ELNS1_3repE0EEENS1_30default_config_static_selectorELNS0_4arch9wavefront6targetE1EEEvT1_
; %bb.0:
	.section	.rodata,"a",@progbits
	.p2align	6, 0x0
	.amdhsa_kernel _ZN7rocprim17ROCPRIM_400000_NS6detail17trampoline_kernelINS0_14default_configENS1_25partition_config_selectorILNS1_17partition_subalgoE1ExNS0_10empty_typeEbEEZZNS1_14partition_implILS5_1ELb0ES3_jN6thrust23THRUST_200600_302600_NS6detail15normal_iteratorINSA_10device_ptrIxEEEEPS6_NSA_18transform_iteratorI7is_evenIxESF_NSA_11use_defaultESK_EENS0_5tupleIJNSA_16discard_iteratorISK_EESF_EEENSM_IJSG_SG_EEES6_PlJS6_EEE10hipError_tPvRmT3_T4_T5_T6_T7_T9_mT8_P12ihipStream_tbDpT10_ENKUlT_T0_E_clISt17integral_constantIbLb0EES1B_EEDaS16_S17_EUlS16_E_NS1_11comp_targetILNS1_3genE9ELNS1_11target_archE1100ELNS1_3gpuE3ELNS1_3repE0EEENS1_30default_config_static_selectorELNS0_4arch9wavefront6targetE1EEEvT1_
		.amdhsa_group_segment_fixed_size 0
		.amdhsa_private_segment_fixed_size 0
		.amdhsa_kernarg_size 136
		.amdhsa_user_sgpr_count 6
		.amdhsa_user_sgpr_private_segment_buffer 1
		.amdhsa_user_sgpr_dispatch_ptr 0
		.amdhsa_user_sgpr_queue_ptr 0
		.amdhsa_user_sgpr_kernarg_segment_ptr 1
		.amdhsa_user_sgpr_dispatch_id 0
		.amdhsa_user_sgpr_flat_scratch_init 0
		.amdhsa_user_sgpr_kernarg_preload_length 0
		.amdhsa_user_sgpr_kernarg_preload_offset 0
		.amdhsa_user_sgpr_private_segment_size 0
		.amdhsa_uses_dynamic_stack 0
		.amdhsa_system_sgpr_private_segment_wavefront_offset 0
		.amdhsa_system_sgpr_workgroup_id_x 1
		.amdhsa_system_sgpr_workgroup_id_y 0
		.amdhsa_system_sgpr_workgroup_id_z 0
		.amdhsa_system_sgpr_workgroup_info 0
		.amdhsa_system_vgpr_workitem_id 0
		.amdhsa_next_free_vgpr 1
		.amdhsa_next_free_sgpr 0
		.amdhsa_accum_offset 4
		.amdhsa_reserve_vcc 0
		.amdhsa_reserve_flat_scratch 0
		.amdhsa_float_round_mode_32 0
		.amdhsa_float_round_mode_16_64 0
		.amdhsa_float_denorm_mode_32 3
		.amdhsa_float_denorm_mode_16_64 3
		.amdhsa_dx10_clamp 1
		.amdhsa_ieee_mode 1
		.amdhsa_fp16_overflow 0
		.amdhsa_tg_split 0
		.amdhsa_exception_fp_ieee_invalid_op 0
		.amdhsa_exception_fp_denorm_src 0
		.amdhsa_exception_fp_ieee_div_zero 0
		.amdhsa_exception_fp_ieee_overflow 0
		.amdhsa_exception_fp_ieee_underflow 0
		.amdhsa_exception_fp_ieee_inexact 0
		.amdhsa_exception_int_div_zero 0
	.end_amdhsa_kernel
	.section	.text._ZN7rocprim17ROCPRIM_400000_NS6detail17trampoline_kernelINS0_14default_configENS1_25partition_config_selectorILNS1_17partition_subalgoE1ExNS0_10empty_typeEbEEZZNS1_14partition_implILS5_1ELb0ES3_jN6thrust23THRUST_200600_302600_NS6detail15normal_iteratorINSA_10device_ptrIxEEEEPS6_NSA_18transform_iteratorI7is_evenIxESF_NSA_11use_defaultESK_EENS0_5tupleIJNSA_16discard_iteratorISK_EESF_EEENSM_IJSG_SG_EEES6_PlJS6_EEE10hipError_tPvRmT3_T4_T5_T6_T7_T9_mT8_P12ihipStream_tbDpT10_ENKUlT_T0_E_clISt17integral_constantIbLb0EES1B_EEDaS16_S17_EUlS16_E_NS1_11comp_targetILNS1_3genE9ELNS1_11target_archE1100ELNS1_3gpuE3ELNS1_3repE0EEENS1_30default_config_static_selectorELNS0_4arch9wavefront6targetE1EEEvT1_,"axG",@progbits,_ZN7rocprim17ROCPRIM_400000_NS6detail17trampoline_kernelINS0_14default_configENS1_25partition_config_selectorILNS1_17partition_subalgoE1ExNS0_10empty_typeEbEEZZNS1_14partition_implILS5_1ELb0ES3_jN6thrust23THRUST_200600_302600_NS6detail15normal_iteratorINSA_10device_ptrIxEEEEPS6_NSA_18transform_iteratorI7is_evenIxESF_NSA_11use_defaultESK_EENS0_5tupleIJNSA_16discard_iteratorISK_EESF_EEENSM_IJSG_SG_EEES6_PlJS6_EEE10hipError_tPvRmT3_T4_T5_T6_T7_T9_mT8_P12ihipStream_tbDpT10_ENKUlT_T0_E_clISt17integral_constantIbLb0EES1B_EEDaS16_S17_EUlS16_E_NS1_11comp_targetILNS1_3genE9ELNS1_11target_archE1100ELNS1_3gpuE3ELNS1_3repE0EEENS1_30default_config_static_selectorELNS0_4arch9wavefront6targetE1EEEvT1_,comdat
.Lfunc_end3233:
	.size	_ZN7rocprim17ROCPRIM_400000_NS6detail17trampoline_kernelINS0_14default_configENS1_25partition_config_selectorILNS1_17partition_subalgoE1ExNS0_10empty_typeEbEEZZNS1_14partition_implILS5_1ELb0ES3_jN6thrust23THRUST_200600_302600_NS6detail15normal_iteratorINSA_10device_ptrIxEEEEPS6_NSA_18transform_iteratorI7is_evenIxESF_NSA_11use_defaultESK_EENS0_5tupleIJNSA_16discard_iteratorISK_EESF_EEENSM_IJSG_SG_EEES6_PlJS6_EEE10hipError_tPvRmT3_T4_T5_T6_T7_T9_mT8_P12ihipStream_tbDpT10_ENKUlT_T0_E_clISt17integral_constantIbLb0EES1B_EEDaS16_S17_EUlS16_E_NS1_11comp_targetILNS1_3genE9ELNS1_11target_archE1100ELNS1_3gpuE3ELNS1_3repE0EEENS1_30default_config_static_selectorELNS0_4arch9wavefront6targetE1EEEvT1_, .Lfunc_end3233-_ZN7rocprim17ROCPRIM_400000_NS6detail17trampoline_kernelINS0_14default_configENS1_25partition_config_selectorILNS1_17partition_subalgoE1ExNS0_10empty_typeEbEEZZNS1_14partition_implILS5_1ELb0ES3_jN6thrust23THRUST_200600_302600_NS6detail15normal_iteratorINSA_10device_ptrIxEEEEPS6_NSA_18transform_iteratorI7is_evenIxESF_NSA_11use_defaultESK_EENS0_5tupleIJNSA_16discard_iteratorISK_EESF_EEENSM_IJSG_SG_EEES6_PlJS6_EEE10hipError_tPvRmT3_T4_T5_T6_T7_T9_mT8_P12ihipStream_tbDpT10_ENKUlT_T0_E_clISt17integral_constantIbLb0EES1B_EEDaS16_S17_EUlS16_E_NS1_11comp_targetILNS1_3genE9ELNS1_11target_archE1100ELNS1_3gpuE3ELNS1_3repE0EEENS1_30default_config_static_selectorELNS0_4arch9wavefront6targetE1EEEvT1_
                                        ; -- End function
	.section	.AMDGPU.csdata,"",@progbits
; Kernel info:
; codeLenInByte = 0
; NumSgprs: 4
; NumVgprs: 0
; NumAgprs: 0
; TotalNumVgprs: 0
; ScratchSize: 0
; MemoryBound: 0
; FloatMode: 240
; IeeeMode: 1
; LDSByteSize: 0 bytes/workgroup (compile time only)
; SGPRBlocks: 0
; VGPRBlocks: 0
; NumSGPRsForWavesPerEU: 4
; NumVGPRsForWavesPerEU: 1
; AccumOffset: 4
; Occupancy: 8
; WaveLimiterHint : 0
; COMPUTE_PGM_RSRC2:SCRATCH_EN: 0
; COMPUTE_PGM_RSRC2:USER_SGPR: 6
; COMPUTE_PGM_RSRC2:TRAP_HANDLER: 0
; COMPUTE_PGM_RSRC2:TGID_X_EN: 1
; COMPUTE_PGM_RSRC2:TGID_Y_EN: 0
; COMPUTE_PGM_RSRC2:TGID_Z_EN: 0
; COMPUTE_PGM_RSRC2:TIDIG_COMP_CNT: 0
; COMPUTE_PGM_RSRC3_GFX90A:ACCUM_OFFSET: 0
; COMPUTE_PGM_RSRC3_GFX90A:TG_SPLIT: 0
	.section	.text._ZN7rocprim17ROCPRIM_400000_NS6detail17trampoline_kernelINS0_14default_configENS1_25partition_config_selectorILNS1_17partition_subalgoE1ExNS0_10empty_typeEbEEZZNS1_14partition_implILS5_1ELb0ES3_jN6thrust23THRUST_200600_302600_NS6detail15normal_iteratorINSA_10device_ptrIxEEEEPS6_NSA_18transform_iteratorI7is_evenIxESF_NSA_11use_defaultESK_EENS0_5tupleIJNSA_16discard_iteratorISK_EESF_EEENSM_IJSG_SG_EEES6_PlJS6_EEE10hipError_tPvRmT3_T4_T5_T6_T7_T9_mT8_P12ihipStream_tbDpT10_ENKUlT_T0_E_clISt17integral_constantIbLb0EES1B_EEDaS16_S17_EUlS16_E_NS1_11comp_targetILNS1_3genE8ELNS1_11target_archE1030ELNS1_3gpuE2ELNS1_3repE0EEENS1_30default_config_static_selectorELNS0_4arch9wavefront6targetE1EEEvT1_,"axG",@progbits,_ZN7rocprim17ROCPRIM_400000_NS6detail17trampoline_kernelINS0_14default_configENS1_25partition_config_selectorILNS1_17partition_subalgoE1ExNS0_10empty_typeEbEEZZNS1_14partition_implILS5_1ELb0ES3_jN6thrust23THRUST_200600_302600_NS6detail15normal_iteratorINSA_10device_ptrIxEEEEPS6_NSA_18transform_iteratorI7is_evenIxESF_NSA_11use_defaultESK_EENS0_5tupleIJNSA_16discard_iteratorISK_EESF_EEENSM_IJSG_SG_EEES6_PlJS6_EEE10hipError_tPvRmT3_T4_T5_T6_T7_T9_mT8_P12ihipStream_tbDpT10_ENKUlT_T0_E_clISt17integral_constantIbLb0EES1B_EEDaS16_S17_EUlS16_E_NS1_11comp_targetILNS1_3genE8ELNS1_11target_archE1030ELNS1_3gpuE2ELNS1_3repE0EEENS1_30default_config_static_selectorELNS0_4arch9wavefront6targetE1EEEvT1_,comdat
	.protected	_ZN7rocprim17ROCPRIM_400000_NS6detail17trampoline_kernelINS0_14default_configENS1_25partition_config_selectorILNS1_17partition_subalgoE1ExNS0_10empty_typeEbEEZZNS1_14partition_implILS5_1ELb0ES3_jN6thrust23THRUST_200600_302600_NS6detail15normal_iteratorINSA_10device_ptrIxEEEEPS6_NSA_18transform_iteratorI7is_evenIxESF_NSA_11use_defaultESK_EENS0_5tupleIJNSA_16discard_iteratorISK_EESF_EEENSM_IJSG_SG_EEES6_PlJS6_EEE10hipError_tPvRmT3_T4_T5_T6_T7_T9_mT8_P12ihipStream_tbDpT10_ENKUlT_T0_E_clISt17integral_constantIbLb0EES1B_EEDaS16_S17_EUlS16_E_NS1_11comp_targetILNS1_3genE8ELNS1_11target_archE1030ELNS1_3gpuE2ELNS1_3repE0EEENS1_30default_config_static_selectorELNS0_4arch9wavefront6targetE1EEEvT1_ ; -- Begin function _ZN7rocprim17ROCPRIM_400000_NS6detail17trampoline_kernelINS0_14default_configENS1_25partition_config_selectorILNS1_17partition_subalgoE1ExNS0_10empty_typeEbEEZZNS1_14partition_implILS5_1ELb0ES3_jN6thrust23THRUST_200600_302600_NS6detail15normal_iteratorINSA_10device_ptrIxEEEEPS6_NSA_18transform_iteratorI7is_evenIxESF_NSA_11use_defaultESK_EENS0_5tupleIJNSA_16discard_iteratorISK_EESF_EEENSM_IJSG_SG_EEES6_PlJS6_EEE10hipError_tPvRmT3_T4_T5_T6_T7_T9_mT8_P12ihipStream_tbDpT10_ENKUlT_T0_E_clISt17integral_constantIbLb0EES1B_EEDaS16_S17_EUlS16_E_NS1_11comp_targetILNS1_3genE8ELNS1_11target_archE1030ELNS1_3gpuE2ELNS1_3repE0EEENS1_30default_config_static_selectorELNS0_4arch9wavefront6targetE1EEEvT1_
	.globl	_ZN7rocprim17ROCPRIM_400000_NS6detail17trampoline_kernelINS0_14default_configENS1_25partition_config_selectorILNS1_17partition_subalgoE1ExNS0_10empty_typeEbEEZZNS1_14partition_implILS5_1ELb0ES3_jN6thrust23THRUST_200600_302600_NS6detail15normal_iteratorINSA_10device_ptrIxEEEEPS6_NSA_18transform_iteratorI7is_evenIxESF_NSA_11use_defaultESK_EENS0_5tupleIJNSA_16discard_iteratorISK_EESF_EEENSM_IJSG_SG_EEES6_PlJS6_EEE10hipError_tPvRmT3_T4_T5_T6_T7_T9_mT8_P12ihipStream_tbDpT10_ENKUlT_T0_E_clISt17integral_constantIbLb0EES1B_EEDaS16_S17_EUlS16_E_NS1_11comp_targetILNS1_3genE8ELNS1_11target_archE1030ELNS1_3gpuE2ELNS1_3repE0EEENS1_30default_config_static_selectorELNS0_4arch9wavefront6targetE1EEEvT1_
	.p2align	8
	.type	_ZN7rocprim17ROCPRIM_400000_NS6detail17trampoline_kernelINS0_14default_configENS1_25partition_config_selectorILNS1_17partition_subalgoE1ExNS0_10empty_typeEbEEZZNS1_14partition_implILS5_1ELb0ES3_jN6thrust23THRUST_200600_302600_NS6detail15normal_iteratorINSA_10device_ptrIxEEEEPS6_NSA_18transform_iteratorI7is_evenIxESF_NSA_11use_defaultESK_EENS0_5tupleIJNSA_16discard_iteratorISK_EESF_EEENSM_IJSG_SG_EEES6_PlJS6_EEE10hipError_tPvRmT3_T4_T5_T6_T7_T9_mT8_P12ihipStream_tbDpT10_ENKUlT_T0_E_clISt17integral_constantIbLb0EES1B_EEDaS16_S17_EUlS16_E_NS1_11comp_targetILNS1_3genE8ELNS1_11target_archE1030ELNS1_3gpuE2ELNS1_3repE0EEENS1_30default_config_static_selectorELNS0_4arch9wavefront6targetE1EEEvT1_,@function
_ZN7rocprim17ROCPRIM_400000_NS6detail17trampoline_kernelINS0_14default_configENS1_25partition_config_selectorILNS1_17partition_subalgoE1ExNS0_10empty_typeEbEEZZNS1_14partition_implILS5_1ELb0ES3_jN6thrust23THRUST_200600_302600_NS6detail15normal_iteratorINSA_10device_ptrIxEEEEPS6_NSA_18transform_iteratorI7is_evenIxESF_NSA_11use_defaultESK_EENS0_5tupleIJNSA_16discard_iteratorISK_EESF_EEENSM_IJSG_SG_EEES6_PlJS6_EEE10hipError_tPvRmT3_T4_T5_T6_T7_T9_mT8_P12ihipStream_tbDpT10_ENKUlT_T0_E_clISt17integral_constantIbLb0EES1B_EEDaS16_S17_EUlS16_E_NS1_11comp_targetILNS1_3genE8ELNS1_11target_archE1030ELNS1_3gpuE2ELNS1_3repE0EEENS1_30default_config_static_selectorELNS0_4arch9wavefront6targetE1EEEvT1_: ; @_ZN7rocprim17ROCPRIM_400000_NS6detail17trampoline_kernelINS0_14default_configENS1_25partition_config_selectorILNS1_17partition_subalgoE1ExNS0_10empty_typeEbEEZZNS1_14partition_implILS5_1ELb0ES3_jN6thrust23THRUST_200600_302600_NS6detail15normal_iteratorINSA_10device_ptrIxEEEEPS6_NSA_18transform_iteratorI7is_evenIxESF_NSA_11use_defaultESK_EENS0_5tupleIJNSA_16discard_iteratorISK_EESF_EEENSM_IJSG_SG_EEES6_PlJS6_EEE10hipError_tPvRmT3_T4_T5_T6_T7_T9_mT8_P12ihipStream_tbDpT10_ENKUlT_T0_E_clISt17integral_constantIbLb0EES1B_EEDaS16_S17_EUlS16_E_NS1_11comp_targetILNS1_3genE8ELNS1_11target_archE1030ELNS1_3gpuE2ELNS1_3repE0EEENS1_30default_config_static_selectorELNS0_4arch9wavefront6targetE1EEEvT1_
; %bb.0:
	.section	.rodata,"a",@progbits
	.p2align	6, 0x0
	.amdhsa_kernel _ZN7rocprim17ROCPRIM_400000_NS6detail17trampoline_kernelINS0_14default_configENS1_25partition_config_selectorILNS1_17partition_subalgoE1ExNS0_10empty_typeEbEEZZNS1_14partition_implILS5_1ELb0ES3_jN6thrust23THRUST_200600_302600_NS6detail15normal_iteratorINSA_10device_ptrIxEEEEPS6_NSA_18transform_iteratorI7is_evenIxESF_NSA_11use_defaultESK_EENS0_5tupleIJNSA_16discard_iteratorISK_EESF_EEENSM_IJSG_SG_EEES6_PlJS6_EEE10hipError_tPvRmT3_T4_T5_T6_T7_T9_mT8_P12ihipStream_tbDpT10_ENKUlT_T0_E_clISt17integral_constantIbLb0EES1B_EEDaS16_S17_EUlS16_E_NS1_11comp_targetILNS1_3genE8ELNS1_11target_archE1030ELNS1_3gpuE2ELNS1_3repE0EEENS1_30default_config_static_selectorELNS0_4arch9wavefront6targetE1EEEvT1_
		.amdhsa_group_segment_fixed_size 0
		.amdhsa_private_segment_fixed_size 0
		.amdhsa_kernarg_size 136
		.amdhsa_user_sgpr_count 6
		.amdhsa_user_sgpr_private_segment_buffer 1
		.amdhsa_user_sgpr_dispatch_ptr 0
		.amdhsa_user_sgpr_queue_ptr 0
		.amdhsa_user_sgpr_kernarg_segment_ptr 1
		.amdhsa_user_sgpr_dispatch_id 0
		.amdhsa_user_sgpr_flat_scratch_init 0
		.amdhsa_user_sgpr_kernarg_preload_length 0
		.amdhsa_user_sgpr_kernarg_preload_offset 0
		.amdhsa_user_sgpr_private_segment_size 0
		.amdhsa_uses_dynamic_stack 0
		.amdhsa_system_sgpr_private_segment_wavefront_offset 0
		.amdhsa_system_sgpr_workgroup_id_x 1
		.amdhsa_system_sgpr_workgroup_id_y 0
		.amdhsa_system_sgpr_workgroup_id_z 0
		.amdhsa_system_sgpr_workgroup_info 0
		.amdhsa_system_vgpr_workitem_id 0
		.amdhsa_next_free_vgpr 1
		.amdhsa_next_free_sgpr 0
		.amdhsa_accum_offset 4
		.amdhsa_reserve_vcc 0
		.amdhsa_reserve_flat_scratch 0
		.amdhsa_float_round_mode_32 0
		.amdhsa_float_round_mode_16_64 0
		.amdhsa_float_denorm_mode_32 3
		.amdhsa_float_denorm_mode_16_64 3
		.amdhsa_dx10_clamp 1
		.amdhsa_ieee_mode 1
		.amdhsa_fp16_overflow 0
		.amdhsa_tg_split 0
		.amdhsa_exception_fp_ieee_invalid_op 0
		.amdhsa_exception_fp_denorm_src 0
		.amdhsa_exception_fp_ieee_div_zero 0
		.amdhsa_exception_fp_ieee_overflow 0
		.amdhsa_exception_fp_ieee_underflow 0
		.amdhsa_exception_fp_ieee_inexact 0
		.amdhsa_exception_int_div_zero 0
	.end_amdhsa_kernel
	.section	.text._ZN7rocprim17ROCPRIM_400000_NS6detail17trampoline_kernelINS0_14default_configENS1_25partition_config_selectorILNS1_17partition_subalgoE1ExNS0_10empty_typeEbEEZZNS1_14partition_implILS5_1ELb0ES3_jN6thrust23THRUST_200600_302600_NS6detail15normal_iteratorINSA_10device_ptrIxEEEEPS6_NSA_18transform_iteratorI7is_evenIxESF_NSA_11use_defaultESK_EENS0_5tupleIJNSA_16discard_iteratorISK_EESF_EEENSM_IJSG_SG_EEES6_PlJS6_EEE10hipError_tPvRmT3_T4_T5_T6_T7_T9_mT8_P12ihipStream_tbDpT10_ENKUlT_T0_E_clISt17integral_constantIbLb0EES1B_EEDaS16_S17_EUlS16_E_NS1_11comp_targetILNS1_3genE8ELNS1_11target_archE1030ELNS1_3gpuE2ELNS1_3repE0EEENS1_30default_config_static_selectorELNS0_4arch9wavefront6targetE1EEEvT1_,"axG",@progbits,_ZN7rocprim17ROCPRIM_400000_NS6detail17trampoline_kernelINS0_14default_configENS1_25partition_config_selectorILNS1_17partition_subalgoE1ExNS0_10empty_typeEbEEZZNS1_14partition_implILS5_1ELb0ES3_jN6thrust23THRUST_200600_302600_NS6detail15normal_iteratorINSA_10device_ptrIxEEEEPS6_NSA_18transform_iteratorI7is_evenIxESF_NSA_11use_defaultESK_EENS0_5tupleIJNSA_16discard_iteratorISK_EESF_EEENSM_IJSG_SG_EEES6_PlJS6_EEE10hipError_tPvRmT3_T4_T5_T6_T7_T9_mT8_P12ihipStream_tbDpT10_ENKUlT_T0_E_clISt17integral_constantIbLb0EES1B_EEDaS16_S17_EUlS16_E_NS1_11comp_targetILNS1_3genE8ELNS1_11target_archE1030ELNS1_3gpuE2ELNS1_3repE0EEENS1_30default_config_static_selectorELNS0_4arch9wavefront6targetE1EEEvT1_,comdat
.Lfunc_end3234:
	.size	_ZN7rocprim17ROCPRIM_400000_NS6detail17trampoline_kernelINS0_14default_configENS1_25partition_config_selectorILNS1_17partition_subalgoE1ExNS0_10empty_typeEbEEZZNS1_14partition_implILS5_1ELb0ES3_jN6thrust23THRUST_200600_302600_NS6detail15normal_iteratorINSA_10device_ptrIxEEEEPS6_NSA_18transform_iteratorI7is_evenIxESF_NSA_11use_defaultESK_EENS0_5tupleIJNSA_16discard_iteratorISK_EESF_EEENSM_IJSG_SG_EEES6_PlJS6_EEE10hipError_tPvRmT3_T4_T5_T6_T7_T9_mT8_P12ihipStream_tbDpT10_ENKUlT_T0_E_clISt17integral_constantIbLb0EES1B_EEDaS16_S17_EUlS16_E_NS1_11comp_targetILNS1_3genE8ELNS1_11target_archE1030ELNS1_3gpuE2ELNS1_3repE0EEENS1_30default_config_static_selectorELNS0_4arch9wavefront6targetE1EEEvT1_, .Lfunc_end3234-_ZN7rocprim17ROCPRIM_400000_NS6detail17trampoline_kernelINS0_14default_configENS1_25partition_config_selectorILNS1_17partition_subalgoE1ExNS0_10empty_typeEbEEZZNS1_14partition_implILS5_1ELb0ES3_jN6thrust23THRUST_200600_302600_NS6detail15normal_iteratorINSA_10device_ptrIxEEEEPS6_NSA_18transform_iteratorI7is_evenIxESF_NSA_11use_defaultESK_EENS0_5tupleIJNSA_16discard_iteratorISK_EESF_EEENSM_IJSG_SG_EEES6_PlJS6_EEE10hipError_tPvRmT3_T4_T5_T6_T7_T9_mT8_P12ihipStream_tbDpT10_ENKUlT_T0_E_clISt17integral_constantIbLb0EES1B_EEDaS16_S17_EUlS16_E_NS1_11comp_targetILNS1_3genE8ELNS1_11target_archE1030ELNS1_3gpuE2ELNS1_3repE0EEENS1_30default_config_static_selectorELNS0_4arch9wavefront6targetE1EEEvT1_
                                        ; -- End function
	.section	.AMDGPU.csdata,"",@progbits
; Kernel info:
; codeLenInByte = 0
; NumSgprs: 4
; NumVgprs: 0
; NumAgprs: 0
; TotalNumVgprs: 0
; ScratchSize: 0
; MemoryBound: 0
; FloatMode: 240
; IeeeMode: 1
; LDSByteSize: 0 bytes/workgroup (compile time only)
; SGPRBlocks: 0
; VGPRBlocks: 0
; NumSGPRsForWavesPerEU: 4
; NumVGPRsForWavesPerEU: 1
; AccumOffset: 4
; Occupancy: 8
; WaveLimiterHint : 0
; COMPUTE_PGM_RSRC2:SCRATCH_EN: 0
; COMPUTE_PGM_RSRC2:USER_SGPR: 6
; COMPUTE_PGM_RSRC2:TRAP_HANDLER: 0
; COMPUTE_PGM_RSRC2:TGID_X_EN: 1
; COMPUTE_PGM_RSRC2:TGID_Y_EN: 0
; COMPUTE_PGM_RSRC2:TGID_Z_EN: 0
; COMPUTE_PGM_RSRC2:TIDIG_COMP_CNT: 0
; COMPUTE_PGM_RSRC3_GFX90A:ACCUM_OFFSET: 0
; COMPUTE_PGM_RSRC3_GFX90A:TG_SPLIT: 0
	.section	.text._ZN7rocprim17ROCPRIM_400000_NS6detail17trampoline_kernelINS0_14default_configENS1_25partition_config_selectorILNS1_17partition_subalgoE1ExNS0_10empty_typeEbEEZZNS1_14partition_implILS5_1ELb0ES3_jN6thrust23THRUST_200600_302600_NS6detail15normal_iteratorINSA_10device_ptrIxEEEEPS6_NSA_18transform_iteratorI7is_evenIxESF_NSA_11use_defaultESK_EENS0_5tupleIJNSA_16discard_iteratorISK_EESF_EEENSM_IJSG_SG_EEES6_PlJS6_EEE10hipError_tPvRmT3_T4_T5_T6_T7_T9_mT8_P12ihipStream_tbDpT10_ENKUlT_T0_E_clISt17integral_constantIbLb1EES1B_EEDaS16_S17_EUlS16_E_NS1_11comp_targetILNS1_3genE0ELNS1_11target_archE4294967295ELNS1_3gpuE0ELNS1_3repE0EEENS1_30default_config_static_selectorELNS0_4arch9wavefront6targetE1EEEvT1_,"axG",@progbits,_ZN7rocprim17ROCPRIM_400000_NS6detail17trampoline_kernelINS0_14default_configENS1_25partition_config_selectorILNS1_17partition_subalgoE1ExNS0_10empty_typeEbEEZZNS1_14partition_implILS5_1ELb0ES3_jN6thrust23THRUST_200600_302600_NS6detail15normal_iteratorINSA_10device_ptrIxEEEEPS6_NSA_18transform_iteratorI7is_evenIxESF_NSA_11use_defaultESK_EENS0_5tupleIJNSA_16discard_iteratorISK_EESF_EEENSM_IJSG_SG_EEES6_PlJS6_EEE10hipError_tPvRmT3_T4_T5_T6_T7_T9_mT8_P12ihipStream_tbDpT10_ENKUlT_T0_E_clISt17integral_constantIbLb1EES1B_EEDaS16_S17_EUlS16_E_NS1_11comp_targetILNS1_3genE0ELNS1_11target_archE4294967295ELNS1_3gpuE0ELNS1_3repE0EEENS1_30default_config_static_selectorELNS0_4arch9wavefront6targetE1EEEvT1_,comdat
	.protected	_ZN7rocprim17ROCPRIM_400000_NS6detail17trampoline_kernelINS0_14default_configENS1_25partition_config_selectorILNS1_17partition_subalgoE1ExNS0_10empty_typeEbEEZZNS1_14partition_implILS5_1ELb0ES3_jN6thrust23THRUST_200600_302600_NS6detail15normal_iteratorINSA_10device_ptrIxEEEEPS6_NSA_18transform_iteratorI7is_evenIxESF_NSA_11use_defaultESK_EENS0_5tupleIJNSA_16discard_iteratorISK_EESF_EEENSM_IJSG_SG_EEES6_PlJS6_EEE10hipError_tPvRmT3_T4_T5_T6_T7_T9_mT8_P12ihipStream_tbDpT10_ENKUlT_T0_E_clISt17integral_constantIbLb1EES1B_EEDaS16_S17_EUlS16_E_NS1_11comp_targetILNS1_3genE0ELNS1_11target_archE4294967295ELNS1_3gpuE0ELNS1_3repE0EEENS1_30default_config_static_selectorELNS0_4arch9wavefront6targetE1EEEvT1_ ; -- Begin function _ZN7rocprim17ROCPRIM_400000_NS6detail17trampoline_kernelINS0_14default_configENS1_25partition_config_selectorILNS1_17partition_subalgoE1ExNS0_10empty_typeEbEEZZNS1_14partition_implILS5_1ELb0ES3_jN6thrust23THRUST_200600_302600_NS6detail15normal_iteratorINSA_10device_ptrIxEEEEPS6_NSA_18transform_iteratorI7is_evenIxESF_NSA_11use_defaultESK_EENS0_5tupleIJNSA_16discard_iteratorISK_EESF_EEENSM_IJSG_SG_EEES6_PlJS6_EEE10hipError_tPvRmT3_T4_T5_T6_T7_T9_mT8_P12ihipStream_tbDpT10_ENKUlT_T0_E_clISt17integral_constantIbLb1EES1B_EEDaS16_S17_EUlS16_E_NS1_11comp_targetILNS1_3genE0ELNS1_11target_archE4294967295ELNS1_3gpuE0ELNS1_3repE0EEENS1_30default_config_static_selectorELNS0_4arch9wavefront6targetE1EEEvT1_
	.globl	_ZN7rocprim17ROCPRIM_400000_NS6detail17trampoline_kernelINS0_14default_configENS1_25partition_config_selectorILNS1_17partition_subalgoE1ExNS0_10empty_typeEbEEZZNS1_14partition_implILS5_1ELb0ES3_jN6thrust23THRUST_200600_302600_NS6detail15normal_iteratorINSA_10device_ptrIxEEEEPS6_NSA_18transform_iteratorI7is_evenIxESF_NSA_11use_defaultESK_EENS0_5tupleIJNSA_16discard_iteratorISK_EESF_EEENSM_IJSG_SG_EEES6_PlJS6_EEE10hipError_tPvRmT3_T4_T5_T6_T7_T9_mT8_P12ihipStream_tbDpT10_ENKUlT_T0_E_clISt17integral_constantIbLb1EES1B_EEDaS16_S17_EUlS16_E_NS1_11comp_targetILNS1_3genE0ELNS1_11target_archE4294967295ELNS1_3gpuE0ELNS1_3repE0EEENS1_30default_config_static_selectorELNS0_4arch9wavefront6targetE1EEEvT1_
	.p2align	8
	.type	_ZN7rocprim17ROCPRIM_400000_NS6detail17trampoline_kernelINS0_14default_configENS1_25partition_config_selectorILNS1_17partition_subalgoE1ExNS0_10empty_typeEbEEZZNS1_14partition_implILS5_1ELb0ES3_jN6thrust23THRUST_200600_302600_NS6detail15normal_iteratorINSA_10device_ptrIxEEEEPS6_NSA_18transform_iteratorI7is_evenIxESF_NSA_11use_defaultESK_EENS0_5tupleIJNSA_16discard_iteratorISK_EESF_EEENSM_IJSG_SG_EEES6_PlJS6_EEE10hipError_tPvRmT3_T4_T5_T6_T7_T9_mT8_P12ihipStream_tbDpT10_ENKUlT_T0_E_clISt17integral_constantIbLb1EES1B_EEDaS16_S17_EUlS16_E_NS1_11comp_targetILNS1_3genE0ELNS1_11target_archE4294967295ELNS1_3gpuE0ELNS1_3repE0EEENS1_30default_config_static_selectorELNS0_4arch9wavefront6targetE1EEEvT1_,@function
_ZN7rocprim17ROCPRIM_400000_NS6detail17trampoline_kernelINS0_14default_configENS1_25partition_config_selectorILNS1_17partition_subalgoE1ExNS0_10empty_typeEbEEZZNS1_14partition_implILS5_1ELb0ES3_jN6thrust23THRUST_200600_302600_NS6detail15normal_iteratorINSA_10device_ptrIxEEEEPS6_NSA_18transform_iteratorI7is_evenIxESF_NSA_11use_defaultESK_EENS0_5tupleIJNSA_16discard_iteratorISK_EESF_EEENSM_IJSG_SG_EEES6_PlJS6_EEE10hipError_tPvRmT3_T4_T5_T6_T7_T9_mT8_P12ihipStream_tbDpT10_ENKUlT_T0_E_clISt17integral_constantIbLb1EES1B_EEDaS16_S17_EUlS16_E_NS1_11comp_targetILNS1_3genE0ELNS1_11target_archE4294967295ELNS1_3gpuE0ELNS1_3repE0EEENS1_30default_config_static_selectorELNS0_4arch9wavefront6targetE1EEEvT1_: ; @_ZN7rocprim17ROCPRIM_400000_NS6detail17trampoline_kernelINS0_14default_configENS1_25partition_config_selectorILNS1_17partition_subalgoE1ExNS0_10empty_typeEbEEZZNS1_14partition_implILS5_1ELb0ES3_jN6thrust23THRUST_200600_302600_NS6detail15normal_iteratorINSA_10device_ptrIxEEEEPS6_NSA_18transform_iteratorI7is_evenIxESF_NSA_11use_defaultESK_EENS0_5tupleIJNSA_16discard_iteratorISK_EESF_EEENSM_IJSG_SG_EEES6_PlJS6_EEE10hipError_tPvRmT3_T4_T5_T6_T7_T9_mT8_P12ihipStream_tbDpT10_ENKUlT_T0_E_clISt17integral_constantIbLb1EES1B_EEDaS16_S17_EUlS16_E_NS1_11comp_targetILNS1_3genE0ELNS1_11target_archE4294967295ELNS1_3gpuE0ELNS1_3repE0EEENS1_30default_config_static_selectorELNS0_4arch9wavefront6targetE1EEEvT1_
; %bb.0:
	.section	.rodata,"a",@progbits
	.p2align	6, 0x0
	.amdhsa_kernel _ZN7rocprim17ROCPRIM_400000_NS6detail17trampoline_kernelINS0_14default_configENS1_25partition_config_selectorILNS1_17partition_subalgoE1ExNS0_10empty_typeEbEEZZNS1_14partition_implILS5_1ELb0ES3_jN6thrust23THRUST_200600_302600_NS6detail15normal_iteratorINSA_10device_ptrIxEEEEPS6_NSA_18transform_iteratorI7is_evenIxESF_NSA_11use_defaultESK_EENS0_5tupleIJNSA_16discard_iteratorISK_EESF_EEENSM_IJSG_SG_EEES6_PlJS6_EEE10hipError_tPvRmT3_T4_T5_T6_T7_T9_mT8_P12ihipStream_tbDpT10_ENKUlT_T0_E_clISt17integral_constantIbLb1EES1B_EEDaS16_S17_EUlS16_E_NS1_11comp_targetILNS1_3genE0ELNS1_11target_archE4294967295ELNS1_3gpuE0ELNS1_3repE0EEENS1_30default_config_static_selectorELNS0_4arch9wavefront6targetE1EEEvT1_
		.amdhsa_group_segment_fixed_size 0
		.amdhsa_private_segment_fixed_size 0
		.amdhsa_kernarg_size 152
		.amdhsa_user_sgpr_count 6
		.amdhsa_user_sgpr_private_segment_buffer 1
		.amdhsa_user_sgpr_dispatch_ptr 0
		.amdhsa_user_sgpr_queue_ptr 0
		.amdhsa_user_sgpr_kernarg_segment_ptr 1
		.amdhsa_user_sgpr_dispatch_id 0
		.amdhsa_user_sgpr_flat_scratch_init 0
		.amdhsa_user_sgpr_kernarg_preload_length 0
		.amdhsa_user_sgpr_kernarg_preload_offset 0
		.amdhsa_user_sgpr_private_segment_size 0
		.amdhsa_uses_dynamic_stack 0
		.amdhsa_system_sgpr_private_segment_wavefront_offset 0
		.amdhsa_system_sgpr_workgroup_id_x 1
		.amdhsa_system_sgpr_workgroup_id_y 0
		.amdhsa_system_sgpr_workgroup_id_z 0
		.amdhsa_system_sgpr_workgroup_info 0
		.amdhsa_system_vgpr_workitem_id 0
		.amdhsa_next_free_vgpr 1
		.amdhsa_next_free_sgpr 0
		.amdhsa_accum_offset 4
		.amdhsa_reserve_vcc 0
		.amdhsa_reserve_flat_scratch 0
		.amdhsa_float_round_mode_32 0
		.amdhsa_float_round_mode_16_64 0
		.amdhsa_float_denorm_mode_32 3
		.amdhsa_float_denorm_mode_16_64 3
		.amdhsa_dx10_clamp 1
		.amdhsa_ieee_mode 1
		.amdhsa_fp16_overflow 0
		.amdhsa_tg_split 0
		.amdhsa_exception_fp_ieee_invalid_op 0
		.amdhsa_exception_fp_denorm_src 0
		.amdhsa_exception_fp_ieee_div_zero 0
		.amdhsa_exception_fp_ieee_overflow 0
		.amdhsa_exception_fp_ieee_underflow 0
		.amdhsa_exception_fp_ieee_inexact 0
		.amdhsa_exception_int_div_zero 0
	.end_amdhsa_kernel
	.section	.text._ZN7rocprim17ROCPRIM_400000_NS6detail17trampoline_kernelINS0_14default_configENS1_25partition_config_selectorILNS1_17partition_subalgoE1ExNS0_10empty_typeEbEEZZNS1_14partition_implILS5_1ELb0ES3_jN6thrust23THRUST_200600_302600_NS6detail15normal_iteratorINSA_10device_ptrIxEEEEPS6_NSA_18transform_iteratorI7is_evenIxESF_NSA_11use_defaultESK_EENS0_5tupleIJNSA_16discard_iteratorISK_EESF_EEENSM_IJSG_SG_EEES6_PlJS6_EEE10hipError_tPvRmT3_T4_T5_T6_T7_T9_mT8_P12ihipStream_tbDpT10_ENKUlT_T0_E_clISt17integral_constantIbLb1EES1B_EEDaS16_S17_EUlS16_E_NS1_11comp_targetILNS1_3genE0ELNS1_11target_archE4294967295ELNS1_3gpuE0ELNS1_3repE0EEENS1_30default_config_static_selectorELNS0_4arch9wavefront6targetE1EEEvT1_,"axG",@progbits,_ZN7rocprim17ROCPRIM_400000_NS6detail17trampoline_kernelINS0_14default_configENS1_25partition_config_selectorILNS1_17partition_subalgoE1ExNS0_10empty_typeEbEEZZNS1_14partition_implILS5_1ELb0ES3_jN6thrust23THRUST_200600_302600_NS6detail15normal_iteratorINSA_10device_ptrIxEEEEPS6_NSA_18transform_iteratorI7is_evenIxESF_NSA_11use_defaultESK_EENS0_5tupleIJNSA_16discard_iteratorISK_EESF_EEENSM_IJSG_SG_EEES6_PlJS6_EEE10hipError_tPvRmT3_T4_T5_T6_T7_T9_mT8_P12ihipStream_tbDpT10_ENKUlT_T0_E_clISt17integral_constantIbLb1EES1B_EEDaS16_S17_EUlS16_E_NS1_11comp_targetILNS1_3genE0ELNS1_11target_archE4294967295ELNS1_3gpuE0ELNS1_3repE0EEENS1_30default_config_static_selectorELNS0_4arch9wavefront6targetE1EEEvT1_,comdat
.Lfunc_end3235:
	.size	_ZN7rocprim17ROCPRIM_400000_NS6detail17trampoline_kernelINS0_14default_configENS1_25partition_config_selectorILNS1_17partition_subalgoE1ExNS0_10empty_typeEbEEZZNS1_14partition_implILS5_1ELb0ES3_jN6thrust23THRUST_200600_302600_NS6detail15normal_iteratorINSA_10device_ptrIxEEEEPS6_NSA_18transform_iteratorI7is_evenIxESF_NSA_11use_defaultESK_EENS0_5tupleIJNSA_16discard_iteratorISK_EESF_EEENSM_IJSG_SG_EEES6_PlJS6_EEE10hipError_tPvRmT3_T4_T5_T6_T7_T9_mT8_P12ihipStream_tbDpT10_ENKUlT_T0_E_clISt17integral_constantIbLb1EES1B_EEDaS16_S17_EUlS16_E_NS1_11comp_targetILNS1_3genE0ELNS1_11target_archE4294967295ELNS1_3gpuE0ELNS1_3repE0EEENS1_30default_config_static_selectorELNS0_4arch9wavefront6targetE1EEEvT1_, .Lfunc_end3235-_ZN7rocprim17ROCPRIM_400000_NS6detail17trampoline_kernelINS0_14default_configENS1_25partition_config_selectorILNS1_17partition_subalgoE1ExNS0_10empty_typeEbEEZZNS1_14partition_implILS5_1ELb0ES3_jN6thrust23THRUST_200600_302600_NS6detail15normal_iteratorINSA_10device_ptrIxEEEEPS6_NSA_18transform_iteratorI7is_evenIxESF_NSA_11use_defaultESK_EENS0_5tupleIJNSA_16discard_iteratorISK_EESF_EEENSM_IJSG_SG_EEES6_PlJS6_EEE10hipError_tPvRmT3_T4_T5_T6_T7_T9_mT8_P12ihipStream_tbDpT10_ENKUlT_T0_E_clISt17integral_constantIbLb1EES1B_EEDaS16_S17_EUlS16_E_NS1_11comp_targetILNS1_3genE0ELNS1_11target_archE4294967295ELNS1_3gpuE0ELNS1_3repE0EEENS1_30default_config_static_selectorELNS0_4arch9wavefront6targetE1EEEvT1_
                                        ; -- End function
	.section	.AMDGPU.csdata,"",@progbits
; Kernel info:
; codeLenInByte = 0
; NumSgprs: 4
; NumVgprs: 0
; NumAgprs: 0
; TotalNumVgprs: 0
; ScratchSize: 0
; MemoryBound: 0
; FloatMode: 240
; IeeeMode: 1
; LDSByteSize: 0 bytes/workgroup (compile time only)
; SGPRBlocks: 0
; VGPRBlocks: 0
; NumSGPRsForWavesPerEU: 4
; NumVGPRsForWavesPerEU: 1
; AccumOffset: 4
; Occupancy: 8
; WaveLimiterHint : 0
; COMPUTE_PGM_RSRC2:SCRATCH_EN: 0
; COMPUTE_PGM_RSRC2:USER_SGPR: 6
; COMPUTE_PGM_RSRC2:TRAP_HANDLER: 0
; COMPUTE_PGM_RSRC2:TGID_X_EN: 1
; COMPUTE_PGM_RSRC2:TGID_Y_EN: 0
; COMPUTE_PGM_RSRC2:TGID_Z_EN: 0
; COMPUTE_PGM_RSRC2:TIDIG_COMP_CNT: 0
; COMPUTE_PGM_RSRC3_GFX90A:ACCUM_OFFSET: 0
; COMPUTE_PGM_RSRC3_GFX90A:TG_SPLIT: 0
	.section	.text._ZN7rocprim17ROCPRIM_400000_NS6detail17trampoline_kernelINS0_14default_configENS1_25partition_config_selectorILNS1_17partition_subalgoE1ExNS0_10empty_typeEbEEZZNS1_14partition_implILS5_1ELb0ES3_jN6thrust23THRUST_200600_302600_NS6detail15normal_iteratorINSA_10device_ptrIxEEEEPS6_NSA_18transform_iteratorI7is_evenIxESF_NSA_11use_defaultESK_EENS0_5tupleIJNSA_16discard_iteratorISK_EESF_EEENSM_IJSG_SG_EEES6_PlJS6_EEE10hipError_tPvRmT3_T4_T5_T6_T7_T9_mT8_P12ihipStream_tbDpT10_ENKUlT_T0_E_clISt17integral_constantIbLb1EES1B_EEDaS16_S17_EUlS16_E_NS1_11comp_targetILNS1_3genE5ELNS1_11target_archE942ELNS1_3gpuE9ELNS1_3repE0EEENS1_30default_config_static_selectorELNS0_4arch9wavefront6targetE1EEEvT1_,"axG",@progbits,_ZN7rocprim17ROCPRIM_400000_NS6detail17trampoline_kernelINS0_14default_configENS1_25partition_config_selectorILNS1_17partition_subalgoE1ExNS0_10empty_typeEbEEZZNS1_14partition_implILS5_1ELb0ES3_jN6thrust23THRUST_200600_302600_NS6detail15normal_iteratorINSA_10device_ptrIxEEEEPS6_NSA_18transform_iteratorI7is_evenIxESF_NSA_11use_defaultESK_EENS0_5tupleIJNSA_16discard_iteratorISK_EESF_EEENSM_IJSG_SG_EEES6_PlJS6_EEE10hipError_tPvRmT3_T4_T5_T6_T7_T9_mT8_P12ihipStream_tbDpT10_ENKUlT_T0_E_clISt17integral_constantIbLb1EES1B_EEDaS16_S17_EUlS16_E_NS1_11comp_targetILNS1_3genE5ELNS1_11target_archE942ELNS1_3gpuE9ELNS1_3repE0EEENS1_30default_config_static_selectorELNS0_4arch9wavefront6targetE1EEEvT1_,comdat
	.protected	_ZN7rocprim17ROCPRIM_400000_NS6detail17trampoline_kernelINS0_14default_configENS1_25partition_config_selectorILNS1_17partition_subalgoE1ExNS0_10empty_typeEbEEZZNS1_14partition_implILS5_1ELb0ES3_jN6thrust23THRUST_200600_302600_NS6detail15normal_iteratorINSA_10device_ptrIxEEEEPS6_NSA_18transform_iteratorI7is_evenIxESF_NSA_11use_defaultESK_EENS0_5tupleIJNSA_16discard_iteratorISK_EESF_EEENSM_IJSG_SG_EEES6_PlJS6_EEE10hipError_tPvRmT3_T4_T5_T6_T7_T9_mT8_P12ihipStream_tbDpT10_ENKUlT_T0_E_clISt17integral_constantIbLb1EES1B_EEDaS16_S17_EUlS16_E_NS1_11comp_targetILNS1_3genE5ELNS1_11target_archE942ELNS1_3gpuE9ELNS1_3repE0EEENS1_30default_config_static_selectorELNS0_4arch9wavefront6targetE1EEEvT1_ ; -- Begin function _ZN7rocprim17ROCPRIM_400000_NS6detail17trampoline_kernelINS0_14default_configENS1_25partition_config_selectorILNS1_17partition_subalgoE1ExNS0_10empty_typeEbEEZZNS1_14partition_implILS5_1ELb0ES3_jN6thrust23THRUST_200600_302600_NS6detail15normal_iteratorINSA_10device_ptrIxEEEEPS6_NSA_18transform_iteratorI7is_evenIxESF_NSA_11use_defaultESK_EENS0_5tupleIJNSA_16discard_iteratorISK_EESF_EEENSM_IJSG_SG_EEES6_PlJS6_EEE10hipError_tPvRmT3_T4_T5_T6_T7_T9_mT8_P12ihipStream_tbDpT10_ENKUlT_T0_E_clISt17integral_constantIbLb1EES1B_EEDaS16_S17_EUlS16_E_NS1_11comp_targetILNS1_3genE5ELNS1_11target_archE942ELNS1_3gpuE9ELNS1_3repE0EEENS1_30default_config_static_selectorELNS0_4arch9wavefront6targetE1EEEvT1_
	.globl	_ZN7rocprim17ROCPRIM_400000_NS6detail17trampoline_kernelINS0_14default_configENS1_25partition_config_selectorILNS1_17partition_subalgoE1ExNS0_10empty_typeEbEEZZNS1_14partition_implILS5_1ELb0ES3_jN6thrust23THRUST_200600_302600_NS6detail15normal_iteratorINSA_10device_ptrIxEEEEPS6_NSA_18transform_iteratorI7is_evenIxESF_NSA_11use_defaultESK_EENS0_5tupleIJNSA_16discard_iteratorISK_EESF_EEENSM_IJSG_SG_EEES6_PlJS6_EEE10hipError_tPvRmT3_T4_T5_T6_T7_T9_mT8_P12ihipStream_tbDpT10_ENKUlT_T0_E_clISt17integral_constantIbLb1EES1B_EEDaS16_S17_EUlS16_E_NS1_11comp_targetILNS1_3genE5ELNS1_11target_archE942ELNS1_3gpuE9ELNS1_3repE0EEENS1_30default_config_static_selectorELNS0_4arch9wavefront6targetE1EEEvT1_
	.p2align	8
	.type	_ZN7rocprim17ROCPRIM_400000_NS6detail17trampoline_kernelINS0_14default_configENS1_25partition_config_selectorILNS1_17partition_subalgoE1ExNS0_10empty_typeEbEEZZNS1_14partition_implILS5_1ELb0ES3_jN6thrust23THRUST_200600_302600_NS6detail15normal_iteratorINSA_10device_ptrIxEEEEPS6_NSA_18transform_iteratorI7is_evenIxESF_NSA_11use_defaultESK_EENS0_5tupleIJNSA_16discard_iteratorISK_EESF_EEENSM_IJSG_SG_EEES6_PlJS6_EEE10hipError_tPvRmT3_T4_T5_T6_T7_T9_mT8_P12ihipStream_tbDpT10_ENKUlT_T0_E_clISt17integral_constantIbLb1EES1B_EEDaS16_S17_EUlS16_E_NS1_11comp_targetILNS1_3genE5ELNS1_11target_archE942ELNS1_3gpuE9ELNS1_3repE0EEENS1_30default_config_static_selectorELNS0_4arch9wavefront6targetE1EEEvT1_,@function
_ZN7rocprim17ROCPRIM_400000_NS6detail17trampoline_kernelINS0_14default_configENS1_25partition_config_selectorILNS1_17partition_subalgoE1ExNS0_10empty_typeEbEEZZNS1_14partition_implILS5_1ELb0ES3_jN6thrust23THRUST_200600_302600_NS6detail15normal_iteratorINSA_10device_ptrIxEEEEPS6_NSA_18transform_iteratorI7is_evenIxESF_NSA_11use_defaultESK_EENS0_5tupleIJNSA_16discard_iteratorISK_EESF_EEENSM_IJSG_SG_EEES6_PlJS6_EEE10hipError_tPvRmT3_T4_T5_T6_T7_T9_mT8_P12ihipStream_tbDpT10_ENKUlT_T0_E_clISt17integral_constantIbLb1EES1B_EEDaS16_S17_EUlS16_E_NS1_11comp_targetILNS1_3genE5ELNS1_11target_archE942ELNS1_3gpuE9ELNS1_3repE0EEENS1_30default_config_static_selectorELNS0_4arch9wavefront6targetE1EEEvT1_: ; @_ZN7rocprim17ROCPRIM_400000_NS6detail17trampoline_kernelINS0_14default_configENS1_25partition_config_selectorILNS1_17partition_subalgoE1ExNS0_10empty_typeEbEEZZNS1_14partition_implILS5_1ELb0ES3_jN6thrust23THRUST_200600_302600_NS6detail15normal_iteratorINSA_10device_ptrIxEEEEPS6_NSA_18transform_iteratorI7is_evenIxESF_NSA_11use_defaultESK_EENS0_5tupleIJNSA_16discard_iteratorISK_EESF_EEENSM_IJSG_SG_EEES6_PlJS6_EEE10hipError_tPvRmT3_T4_T5_T6_T7_T9_mT8_P12ihipStream_tbDpT10_ENKUlT_T0_E_clISt17integral_constantIbLb1EES1B_EEDaS16_S17_EUlS16_E_NS1_11comp_targetILNS1_3genE5ELNS1_11target_archE942ELNS1_3gpuE9ELNS1_3repE0EEENS1_30default_config_static_selectorELNS0_4arch9wavefront6targetE1EEEvT1_
; %bb.0:
	.section	.rodata,"a",@progbits
	.p2align	6, 0x0
	.amdhsa_kernel _ZN7rocprim17ROCPRIM_400000_NS6detail17trampoline_kernelINS0_14default_configENS1_25partition_config_selectorILNS1_17partition_subalgoE1ExNS0_10empty_typeEbEEZZNS1_14partition_implILS5_1ELb0ES3_jN6thrust23THRUST_200600_302600_NS6detail15normal_iteratorINSA_10device_ptrIxEEEEPS6_NSA_18transform_iteratorI7is_evenIxESF_NSA_11use_defaultESK_EENS0_5tupleIJNSA_16discard_iteratorISK_EESF_EEENSM_IJSG_SG_EEES6_PlJS6_EEE10hipError_tPvRmT3_T4_T5_T6_T7_T9_mT8_P12ihipStream_tbDpT10_ENKUlT_T0_E_clISt17integral_constantIbLb1EES1B_EEDaS16_S17_EUlS16_E_NS1_11comp_targetILNS1_3genE5ELNS1_11target_archE942ELNS1_3gpuE9ELNS1_3repE0EEENS1_30default_config_static_selectorELNS0_4arch9wavefront6targetE1EEEvT1_
		.amdhsa_group_segment_fixed_size 0
		.amdhsa_private_segment_fixed_size 0
		.amdhsa_kernarg_size 152
		.amdhsa_user_sgpr_count 6
		.amdhsa_user_sgpr_private_segment_buffer 1
		.amdhsa_user_sgpr_dispatch_ptr 0
		.amdhsa_user_sgpr_queue_ptr 0
		.amdhsa_user_sgpr_kernarg_segment_ptr 1
		.amdhsa_user_sgpr_dispatch_id 0
		.amdhsa_user_sgpr_flat_scratch_init 0
		.amdhsa_user_sgpr_kernarg_preload_length 0
		.amdhsa_user_sgpr_kernarg_preload_offset 0
		.amdhsa_user_sgpr_private_segment_size 0
		.amdhsa_uses_dynamic_stack 0
		.amdhsa_system_sgpr_private_segment_wavefront_offset 0
		.amdhsa_system_sgpr_workgroup_id_x 1
		.amdhsa_system_sgpr_workgroup_id_y 0
		.amdhsa_system_sgpr_workgroup_id_z 0
		.amdhsa_system_sgpr_workgroup_info 0
		.amdhsa_system_vgpr_workitem_id 0
		.amdhsa_next_free_vgpr 1
		.amdhsa_next_free_sgpr 0
		.amdhsa_accum_offset 4
		.amdhsa_reserve_vcc 0
		.amdhsa_reserve_flat_scratch 0
		.amdhsa_float_round_mode_32 0
		.amdhsa_float_round_mode_16_64 0
		.amdhsa_float_denorm_mode_32 3
		.amdhsa_float_denorm_mode_16_64 3
		.amdhsa_dx10_clamp 1
		.amdhsa_ieee_mode 1
		.amdhsa_fp16_overflow 0
		.amdhsa_tg_split 0
		.amdhsa_exception_fp_ieee_invalid_op 0
		.amdhsa_exception_fp_denorm_src 0
		.amdhsa_exception_fp_ieee_div_zero 0
		.amdhsa_exception_fp_ieee_overflow 0
		.amdhsa_exception_fp_ieee_underflow 0
		.amdhsa_exception_fp_ieee_inexact 0
		.amdhsa_exception_int_div_zero 0
	.end_amdhsa_kernel
	.section	.text._ZN7rocprim17ROCPRIM_400000_NS6detail17trampoline_kernelINS0_14default_configENS1_25partition_config_selectorILNS1_17partition_subalgoE1ExNS0_10empty_typeEbEEZZNS1_14partition_implILS5_1ELb0ES3_jN6thrust23THRUST_200600_302600_NS6detail15normal_iteratorINSA_10device_ptrIxEEEEPS6_NSA_18transform_iteratorI7is_evenIxESF_NSA_11use_defaultESK_EENS0_5tupleIJNSA_16discard_iteratorISK_EESF_EEENSM_IJSG_SG_EEES6_PlJS6_EEE10hipError_tPvRmT3_T4_T5_T6_T7_T9_mT8_P12ihipStream_tbDpT10_ENKUlT_T0_E_clISt17integral_constantIbLb1EES1B_EEDaS16_S17_EUlS16_E_NS1_11comp_targetILNS1_3genE5ELNS1_11target_archE942ELNS1_3gpuE9ELNS1_3repE0EEENS1_30default_config_static_selectorELNS0_4arch9wavefront6targetE1EEEvT1_,"axG",@progbits,_ZN7rocprim17ROCPRIM_400000_NS6detail17trampoline_kernelINS0_14default_configENS1_25partition_config_selectorILNS1_17partition_subalgoE1ExNS0_10empty_typeEbEEZZNS1_14partition_implILS5_1ELb0ES3_jN6thrust23THRUST_200600_302600_NS6detail15normal_iteratorINSA_10device_ptrIxEEEEPS6_NSA_18transform_iteratorI7is_evenIxESF_NSA_11use_defaultESK_EENS0_5tupleIJNSA_16discard_iteratorISK_EESF_EEENSM_IJSG_SG_EEES6_PlJS6_EEE10hipError_tPvRmT3_T4_T5_T6_T7_T9_mT8_P12ihipStream_tbDpT10_ENKUlT_T0_E_clISt17integral_constantIbLb1EES1B_EEDaS16_S17_EUlS16_E_NS1_11comp_targetILNS1_3genE5ELNS1_11target_archE942ELNS1_3gpuE9ELNS1_3repE0EEENS1_30default_config_static_selectorELNS0_4arch9wavefront6targetE1EEEvT1_,comdat
.Lfunc_end3236:
	.size	_ZN7rocprim17ROCPRIM_400000_NS6detail17trampoline_kernelINS0_14default_configENS1_25partition_config_selectorILNS1_17partition_subalgoE1ExNS0_10empty_typeEbEEZZNS1_14partition_implILS5_1ELb0ES3_jN6thrust23THRUST_200600_302600_NS6detail15normal_iteratorINSA_10device_ptrIxEEEEPS6_NSA_18transform_iteratorI7is_evenIxESF_NSA_11use_defaultESK_EENS0_5tupleIJNSA_16discard_iteratorISK_EESF_EEENSM_IJSG_SG_EEES6_PlJS6_EEE10hipError_tPvRmT3_T4_T5_T6_T7_T9_mT8_P12ihipStream_tbDpT10_ENKUlT_T0_E_clISt17integral_constantIbLb1EES1B_EEDaS16_S17_EUlS16_E_NS1_11comp_targetILNS1_3genE5ELNS1_11target_archE942ELNS1_3gpuE9ELNS1_3repE0EEENS1_30default_config_static_selectorELNS0_4arch9wavefront6targetE1EEEvT1_, .Lfunc_end3236-_ZN7rocprim17ROCPRIM_400000_NS6detail17trampoline_kernelINS0_14default_configENS1_25partition_config_selectorILNS1_17partition_subalgoE1ExNS0_10empty_typeEbEEZZNS1_14partition_implILS5_1ELb0ES3_jN6thrust23THRUST_200600_302600_NS6detail15normal_iteratorINSA_10device_ptrIxEEEEPS6_NSA_18transform_iteratorI7is_evenIxESF_NSA_11use_defaultESK_EENS0_5tupleIJNSA_16discard_iteratorISK_EESF_EEENSM_IJSG_SG_EEES6_PlJS6_EEE10hipError_tPvRmT3_T4_T5_T6_T7_T9_mT8_P12ihipStream_tbDpT10_ENKUlT_T0_E_clISt17integral_constantIbLb1EES1B_EEDaS16_S17_EUlS16_E_NS1_11comp_targetILNS1_3genE5ELNS1_11target_archE942ELNS1_3gpuE9ELNS1_3repE0EEENS1_30default_config_static_selectorELNS0_4arch9wavefront6targetE1EEEvT1_
                                        ; -- End function
	.section	.AMDGPU.csdata,"",@progbits
; Kernel info:
; codeLenInByte = 0
; NumSgprs: 4
; NumVgprs: 0
; NumAgprs: 0
; TotalNumVgprs: 0
; ScratchSize: 0
; MemoryBound: 0
; FloatMode: 240
; IeeeMode: 1
; LDSByteSize: 0 bytes/workgroup (compile time only)
; SGPRBlocks: 0
; VGPRBlocks: 0
; NumSGPRsForWavesPerEU: 4
; NumVGPRsForWavesPerEU: 1
; AccumOffset: 4
; Occupancy: 8
; WaveLimiterHint : 0
; COMPUTE_PGM_RSRC2:SCRATCH_EN: 0
; COMPUTE_PGM_RSRC2:USER_SGPR: 6
; COMPUTE_PGM_RSRC2:TRAP_HANDLER: 0
; COMPUTE_PGM_RSRC2:TGID_X_EN: 1
; COMPUTE_PGM_RSRC2:TGID_Y_EN: 0
; COMPUTE_PGM_RSRC2:TGID_Z_EN: 0
; COMPUTE_PGM_RSRC2:TIDIG_COMP_CNT: 0
; COMPUTE_PGM_RSRC3_GFX90A:ACCUM_OFFSET: 0
; COMPUTE_PGM_RSRC3_GFX90A:TG_SPLIT: 0
	.section	.text._ZN7rocprim17ROCPRIM_400000_NS6detail17trampoline_kernelINS0_14default_configENS1_25partition_config_selectorILNS1_17partition_subalgoE1ExNS0_10empty_typeEbEEZZNS1_14partition_implILS5_1ELb0ES3_jN6thrust23THRUST_200600_302600_NS6detail15normal_iteratorINSA_10device_ptrIxEEEEPS6_NSA_18transform_iteratorI7is_evenIxESF_NSA_11use_defaultESK_EENS0_5tupleIJNSA_16discard_iteratorISK_EESF_EEENSM_IJSG_SG_EEES6_PlJS6_EEE10hipError_tPvRmT3_T4_T5_T6_T7_T9_mT8_P12ihipStream_tbDpT10_ENKUlT_T0_E_clISt17integral_constantIbLb1EES1B_EEDaS16_S17_EUlS16_E_NS1_11comp_targetILNS1_3genE4ELNS1_11target_archE910ELNS1_3gpuE8ELNS1_3repE0EEENS1_30default_config_static_selectorELNS0_4arch9wavefront6targetE1EEEvT1_,"axG",@progbits,_ZN7rocprim17ROCPRIM_400000_NS6detail17trampoline_kernelINS0_14default_configENS1_25partition_config_selectorILNS1_17partition_subalgoE1ExNS0_10empty_typeEbEEZZNS1_14partition_implILS5_1ELb0ES3_jN6thrust23THRUST_200600_302600_NS6detail15normal_iteratorINSA_10device_ptrIxEEEEPS6_NSA_18transform_iteratorI7is_evenIxESF_NSA_11use_defaultESK_EENS0_5tupleIJNSA_16discard_iteratorISK_EESF_EEENSM_IJSG_SG_EEES6_PlJS6_EEE10hipError_tPvRmT3_T4_T5_T6_T7_T9_mT8_P12ihipStream_tbDpT10_ENKUlT_T0_E_clISt17integral_constantIbLb1EES1B_EEDaS16_S17_EUlS16_E_NS1_11comp_targetILNS1_3genE4ELNS1_11target_archE910ELNS1_3gpuE8ELNS1_3repE0EEENS1_30default_config_static_selectorELNS0_4arch9wavefront6targetE1EEEvT1_,comdat
	.protected	_ZN7rocprim17ROCPRIM_400000_NS6detail17trampoline_kernelINS0_14default_configENS1_25partition_config_selectorILNS1_17partition_subalgoE1ExNS0_10empty_typeEbEEZZNS1_14partition_implILS5_1ELb0ES3_jN6thrust23THRUST_200600_302600_NS6detail15normal_iteratorINSA_10device_ptrIxEEEEPS6_NSA_18transform_iteratorI7is_evenIxESF_NSA_11use_defaultESK_EENS0_5tupleIJNSA_16discard_iteratorISK_EESF_EEENSM_IJSG_SG_EEES6_PlJS6_EEE10hipError_tPvRmT3_T4_T5_T6_T7_T9_mT8_P12ihipStream_tbDpT10_ENKUlT_T0_E_clISt17integral_constantIbLb1EES1B_EEDaS16_S17_EUlS16_E_NS1_11comp_targetILNS1_3genE4ELNS1_11target_archE910ELNS1_3gpuE8ELNS1_3repE0EEENS1_30default_config_static_selectorELNS0_4arch9wavefront6targetE1EEEvT1_ ; -- Begin function _ZN7rocprim17ROCPRIM_400000_NS6detail17trampoline_kernelINS0_14default_configENS1_25partition_config_selectorILNS1_17partition_subalgoE1ExNS0_10empty_typeEbEEZZNS1_14partition_implILS5_1ELb0ES3_jN6thrust23THRUST_200600_302600_NS6detail15normal_iteratorINSA_10device_ptrIxEEEEPS6_NSA_18transform_iteratorI7is_evenIxESF_NSA_11use_defaultESK_EENS0_5tupleIJNSA_16discard_iteratorISK_EESF_EEENSM_IJSG_SG_EEES6_PlJS6_EEE10hipError_tPvRmT3_T4_T5_T6_T7_T9_mT8_P12ihipStream_tbDpT10_ENKUlT_T0_E_clISt17integral_constantIbLb1EES1B_EEDaS16_S17_EUlS16_E_NS1_11comp_targetILNS1_3genE4ELNS1_11target_archE910ELNS1_3gpuE8ELNS1_3repE0EEENS1_30default_config_static_selectorELNS0_4arch9wavefront6targetE1EEEvT1_
	.globl	_ZN7rocprim17ROCPRIM_400000_NS6detail17trampoline_kernelINS0_14default_configENS1_25partition_config_selectorILNS1_17partition_subalgoE1ExNS0_10empty_typeEbEEZZNS1_14partition_implILS5_1ELb0ES3_jN6thrust23THRUST_200600_302600_NS6detail15normal_iteratorINSA_10device_ptrIxEEEEPS6_NSA_18transform_iteratorI7is_evenIxESF_NSA_11use_defaultESK_EENS0_5tupleIJNSA_16discard_iteratorISK_EESF_EEENSM_IJSG_SG_EEES6_PlJS6_EEE10hipError_tPvRmT3_T4_T5_T6_T7_T9_mT8_P12ihipStream_tbDpT10_ENKUlT_T0_E_clISt17integral_constantIbLb1EES1B_EEDaS16_S17_EUlS16_E_NS1_11comp_targetILNS1_3genE4ELNS1_11target_archE910ELNS1_3gpuE8ELNS1_3repE0EEENS1_30default_config_static_selectorELNS0_4arch9wavefront6targetE1EEEvT1_
	.p2align	8
	.type	_ZN7rocprim17ROCPRIM_400000_NS6detail17trampoline_kernelINS0_14default_configENS1_25partition_config_selectorILNS1_17partition_subalgoE1ExNS0_10empty_typeEbEEZZNS1_14partition_implILS5_1ELb0ES3_jN6thrust23THRUST_200600_302600_NS6detail15normal_iteratorINSA_10device_ptrIxEEEEPS6_NSA_18transform_iteratorI7is_evenIxESF_NSA_11use_defaultESK_EENS0_5tupleIJNSA_16discard_iteratorISK_EESF_EEENSM_IJSG_SG_EEES6_PlJS6_EEE10hipError_tPvRmT3_T4_T5_T6_T7_T9_mT8_P12ihipStream_tbDpT10_ENKUlT_T0_E_clISt17integral_constantIbLb1EES1B_EEDaS16_S17_EUlS16_E_NS1_11comp_targetILNS1_3genE4ELNS1_11target_archE910ELNS1_3gpuE8ELNS1_3repE0EEENS1_30default_config_static_selectorELNS0_4arch9wavefront6targetE1EEEvT1_,@function
_ZN7rocprim17ROCPRIM_400000_NS6detail17trampoline_kernelINS0_14default_configENS1_25partition_config_selectorILNS1_17partition_subalgoE1ExNS0_10empty_typeEbEEZZNS1_14partition_implILS5_1ELb0ES3_jN6thrust23THRUST_200600_302600_NS6detail15normal_iteratorINSA_10device_ptrIxEEEEPS6_NSA_18transform_iteratorI7is_evenIxESF_NSA_11use_defaultESK_EENS0_5tupleIJNSA_16discard_iteratorISK_EESF_EEENSM_IJSG_SG_EEES6_PlJS6_EEE10hipError_tPvRmT3_T4_T5_T6_T7_T9_mT8_P12ihipStream_tbDpT10_ENKUlT_T0_E_clISt17integral_constantIbLb1EES1B_EEDaS16_S17_EUlS16_E_NS1_11comp_targetILNS1_3genE4ELNS1_11target_archE910ELNS1_3gpuE8ELNS1_3repE0EEENS1_30default_config_static_selectorELNS0_4arch9wavefront6targetE1EEEvT1_: ; @_ZN7rocprim17ROCPRIM_400000_NS6detail17trampoline_kernelINS0_14default_configENS1_25partition_config_selectorILNS1_17partition_subalgoE1ExNS0_10empty_typeEbEEZZNS1_14partition_implILS5_1ELb0ES3_jN6thrust23THRUST_200600_302600_NS6detail15normal_iteratorINSA_10device_ptrIxEEEEPS6_NSA_18transform_iteratorI7is_evenIxESF_NSA_11use_defaultESK_EENS0_5tupleIJNSA_16discard_iteratorISK_EESF_EEENSM_IJSG_SG_EEES6_PlJS6_EEE10hipError_tPvRmT3_T4_T5_T6_T7_T9_mT8_P12ihipStream_tbDpT10_ENKUlT_T0_E_clISt17integral_constantIbLb1EES1B_EEDaS16_S17_EUlS16_E_NS1_11comp_targetILNS1_3genE4ELNS1_11target_archE910ELNS1_3gpuE8ELNS1_3repE0EEENS1_30default_config_static_selectorELNS0_4arch9wavefront6targetE1EEEvT1_
; %bb.0:
	s_load_dwordx2 s[6:7], s[4:5], 0x20
	s_load_dwordx2 s[24:25], s[4:5], 0x40
	;; [unrolled: 1-line block ×3, first 2 shown]
	s_load_dwordx4 s[20:23], s[4:5], 0x58
	s_load_dwordx2 s[28:29], s[4:5], 0x78
	v_cmp_eq_u32_e64 s[0:1], 0, v0
	s_and_saveexec_b64 s[8:9], s[0:1]
	s_cbranch_execz .LBB3237_4
; %bb.1:
	s_mov_b64 s[12:13], exec
	v_mbcnt_lo_u32_b32 v1, s12, 0
	v_mbcnt_hi_u32_b32 v1, s13, v1
	v_cmp_eq_u32_e32 vcc, 0, v1
                                        ; implicit-def: $vgpr2
	s_and_saveexec_b64 s[10:11], vcc
	s_cbranch_execz .LBB3237_3
; %bb.2:
	s_load_dwordx2 s[14:15], s[4:5], 0x88
	s_bcnt1_i32_b64 s12, s[12:13]
	v_mov_b32_e32 v2, 0
	v_mov_b32_e32 v3, s12
	s_waitcnt lgkmcnt(0)
	global_atomic_add v2, v2, v3, s[14:15] glc
.LBB3237_3:
	s_or_b64 exec, exec, s[10:11]
	s_waitcnt vmcnt(0)
	v_readfirstlane_b32 s10, v2
	v_add_u32_e32 v1, s10, v1
	v_mov_b32_e32 v2, 0
	ds_write_b32 v2, v1
.LBB3237_4:
	s_or_b64 exec, exec, s[8:9]
	v_mov_b32_e32 v3, 0
	s_load_dwordx4 s[16:19], s[4:5], 0x8
	s_load_dword s8, s[4:5], 0x80
	s_waitcnt lgkmcnt(0)
	s_barrier
	ds_read_b32 v1, v3
	s_waitcnt lgkmcnt(0)
	s_barrier
	global_load_dwordx2 v[10:11], v3, s[22:23]
	v_mov_b32_e32 v5, s3
	s_lshl_b64 s[4:5], s[18:19], 3
	s_movk_i32 s3, 0x300
	s_add_u32 s9, s16, s4
	v_mul_lo_u32 v2, v1, s3
	s_mul_i32 s3, s8, 0x300
	s_addc_u32 s10, s17, s5
	s_add_i32 s11, s8, -1
	s_add_i32 s8, s3, s18
	s_sub_i32 s33, s2, s8
	s_addk_i32 s33, 0x300
	v_mov_b32_e32 v4, s2
	s_add_u32 s2, s18, s3
	v_readfirstlane_b32 s38, v1
	s_addc_u32 s3, s19, 0
	s_cmp_eq_u32 s38, s11
	s_cselect_b64 s[22:23], -1, 0
	s_cmp_lg_u32 s38, s11
	v_cmp_lt_u64_e32 vcc, s[2:3], v[4:5]
	s_cselect_b64 s[2:3], -1, 0
	v_lshlrev_b64 v[12:13], 3, v[2:3]
	s_or_b64 s[26:27], vcc, s[2:3]
	v_mov_b32_e32 v1, s10
	v_add_co_u32_e32 v14, vcc, s9, v12
	v_addc_co_u32_e32 v15, vcc, v1, v13, vcc
	s_mov_b64 s[2:3], -1
	s_and_b64 vcc, exec, s[26:27]
	v_lshlrev_b32_e32 v24, 3, v0
	v_lshrrev_b32_e32 v1, 2, v0
	s_cbranch_vccz .LBB3237_6
; %bb.5:
	v_add_co_u32_e32 v2, vcc, v14, v24
	v_addc_co_u32_e32 v3, vcc, 0, v15, vcc
	v_add_co_u32_e32 v4, vcc, 0x1000, v2
	v_addc_co_u32_e32 v5, vcc, 0, v3, vcc
	flat_load_dwordx2 v[6:7], v[2:3]
	flat_load_dwordx2 v[8:9], v[2:3] offset:1536
	flat_load_dwordx2 v[16:17], v[2:3] offset:3072
	;; [unrolled: 1-line block ×3, first 2 shown]
	v_add_u32_e32 v3, 0xc0, v0
	v_add_u32_e32 v4, 0x180, v0
	;; [unrolled: 1-line block ×3, first 2 shown]
	v_and_b32_e32 v2, 56, v1
	v_lshrrev_b32_e32 v3, 2, v3
	v_lshrrev_b32_e32 v4, 2, v4
	;; [unrolled: 1-line block ×3, first 2 shown]
	v_add_u32_e32 v2, v2, v24
	v_and_b32_e32 v3, 0x78, v3
	v_and_b32_e32 v4, 0xf8, v4
	;; [unrolled: 1-line block ×3, first 2 shown]
	v_add_u32_e32 v3, v3, v24
	v_add_u32_e32 v4, v4, v24
	;; [unrolled: 1-line block ×3, first 2 shown]
	s_mov_b64 s[2:3], 0
	s_waitcnt vmcnt(0) lgkmcnt(0)
	ds_write_b64 v2, v[6:7]
	ds_write_b64 v3, v[8:9] offset:1536
	ds_write_b64 v4, v[16:17] offset:3072
	;; [unrolled: 1-line block ×3, first 2 shown]
	s_waitcnt lgkmcnt(0)
	s_barrier
.LBB3237_6:
	s_andn2_b64 vcc, exec, s[2:3]
	v_cmp_gt_u32_e64 s[2:3], s33, v0
	s_cbranch_vccnz .LBB3237_16
; %bb.7:
                                        ; implicit-def: $vgpr2_vgpr3_vgpr4_vgpr5_vgpr6_vgpr7_vgpr8_vgpr9
	s_and_saveexec_b64 s[8:9], s[2:3]
	s_cbranch_execz .LBB3237_9
; %bb.8:
	v_add_co_u32_e32 v2, vcc, v14, v24
	v_addc_co_u32_e32 v3, vcc, 0, v15, vcc
	flat_load_dwordx2 v[2:3], v[2:3]
.LBB3237_9:
	s_or_b64 exec, exec, s[8:9]
	v_add_u32_e32 v16, 0xc0, v0
	v_cmp_gt_u32_e32 vcc, s33, v16
	s_and_saveexec_b64 s[2:3], vcc
	s_cbranch_execz .LBB3237_11
; %bb.10:
	v_add_co_u32_e32 v4, vcc, v14, v24
	v_addc_co_u32_e32 v5, vcc, 0, v15, vcc
	flat_load_dwordx2 v[4:5], v[4:5] offset:1536
.LBB3237_11:
	s_or_b64 exec, exec, s[2:3]
	v_add_u32_e32 v17, 0x180, v0
	v_cmp_gt_u32_e32 vcc, s33, v17
	s_and_saveexec_b64 s[2:3], vcc
	s_cbranch_execz .LBB3237_13
; %bb.12:
	v_add_co_u32_e32 v6, vcc, v14, v24
	v_addc_co_u32_e32 v7, vcc, 0, v15, vcc
	flat_load_dwordx2 v[6:7], v[6:7] offset:3072
.LBB3237_13:
	s_or_b64 exec, exec, s[2:3]
	v_add_u32_e32 v18, 0x240, v0
	v_cmp_gt_u32_e32 vcc, s33, v18
	s_and_saveexec_b64 s[2:3], vcc
	s_cbranch_execz .LBB3237_15
; %bb.14:
	v_lshlrev_b32_e32 v8, 3, v18
	v_add_co_u32_e32 v8, vcc, v14, v8
	v_addc_co_u32_e32 v9, vcc, 0, v15, vcc
	flat_load_dwordx2 v[8:9], v[8:9]
.LBB3237_15:
	s_or_b64 exec, exec, s[2:3]
	v_and_b32_e32 v1, 56, v1
	v_add_u32_e32 v1, v1, v24
	s_waitcnt vmcnt(0) lgkmcnt(0)
	ds_write_b64 v1, v[2:3]
	v_lshrrev_b32_e32 v1, 2, v16
	v_and_b32_e32 v1, 0x78, v1
	v_add_u32_e32 v1, v1, v24
	ds_write_b64 v1, v[4:5] offset:1536
	v_lshrrev_b32_e32 v1, 2, v17
	v_and_b32_e32 v1, 0xf8, v1
	v_add_u32_e32 v1, v1, v24
	ds_write_b64 v1, v[6:7] offset:3072
	;; [unrolled: 4-line block ×3, first 2 shown]
	s_waitcnt lgkmcnt(0)
	s_barrier
.LBB3237_16:
	v_lshlrev_b32_e32 v25, 2, v0
	v_lshrrev_b32_e32 v15, 3, v0
	v_add_lshl_u32 v1, v15, v25, 3
	s_add_u32 s2, s6, s4
	ds_read2_b64 v[6:9], v1 offset1:1
	ds_read2_b64 v[2:5], v1 offset0:2 offset1:3
	s_addc_u32 s3, s7, s5
	v_mov_b32_e32 v1, s3
	v_add_co_u32_e32 v14, vcc, s2, v12
	v_addc_co_u32_e32 v1, vcc, v1, v13, vcc
	s_mov_b64 s[2:3], -1
	s_and_b64 vcc, exec, s[26:27]
	v_lshrrev_b32_e32 v16, 5, v0
	s_waitcnt lgkmcnt(0)
	s_barrier
	s_cbranch_vccz .LBB3237_18
; %bb.17:
	v_add_co_u32_e32 v17, vcc, v14, v24
	v_addc_co_u32_e32 v27, vcc, 0, v1, vcc
	v_add_co_u32_e32 v26, vcc, 0x1000, v17
	v_readfirstlane_b32 s2, v14
	v_readfirstlane_b32 s3, v1
	v_addc_co_u32_e32 v27, vcc, 0, v27, vcc
	s_nop 3
	global_load_dwordx2 v[18:19], v24, s[2:3]
	global_load_dwordx2 v[20:21], v24, s[2:3] offset:1536
	global_load_dwordx2 v[22:23], v24, s[2:3] offset:3072
	s_waitcnt vmcnt(2)
	v_add_u32_e32 v19, 0xc0, v0
	global_load_dwordx2 v[26:27], v[26:27], off offset:512
	s_waitcnt vmcnt(2)
	v_add_u32_e32 v21, 0x180, v0
	s_waitcnt vmcnt(1)
	v_add_u32_e32 v23, 0x240, v0
	v_and_b32_e32 v17, 4, v16
	v_lshrrev_b32_e32 v19, 5, v19
	v_lshrrev_b32_e32 v21, 5, v21
	;; [unrolled: 1-line block ×3, first 2 shown]
	v_add_u32_e32 v17, v17, v0
	v_and_b32_e32 v19, 12, v19
	v_and_b32_e32 v21, 28, v21
	;; [unrolled: 1-line block ×3, first 2 shown]
	v_add_u32_e32 v19, v19, v0
	v_add_u32_e32 v21, v21, v0
	;; [unrolled: 1-line block ×3, first 2 shown]
	s_mov_b64 s[2:3], 0
	v_xor_b32_e32 v18, -1, v18
	v_xor_b32_e32 v20, -1, v20
	;; [unrolled: 1-line block ×3, first 2 shown]
	v_and_b32_e32 v18, 1, v18
	s_waitcnt vmcnt(0)
	v_xor_b32_e32 v26, -1, v26
	v_and_b32_e32 v20, 1, v20
	v_and_b32_e32 v22, 1, v22
	ds_write_b8 v17, v18
	ds_write_b8 v19, v20 offset:192
	ds_write_b8 v21, v22 offset:384
	v_and_b32_e32 v17, 1, v26
	ds_write_b8 v23, v17 offset:576
	s_waitcnt lgkmcnt(0)
	s_barrier
.LBB3237_18:
	s_andn2_b64 vcc, exec, s[2:3]
	s_cbranch_vccnz .LBB3237_28
; %bb.19:
	v_cmp_gt_u32_e32 vcc, s33, v0
	v_mov_b32_e32 v17, 0
	v_mov_b32_e32 v18, 0
	s_and_saveexec_b64 s[2:3], vcc
	s_cbranch_execz .LBB3237_21
; %bb.20:
	v_readfirstlane_b32 s4, v14
	v_readfirstlane_b32 s5, v1
	s_nop 4
	global_load_dwordx2 v[18:19], v24, s[4:5]
	s_waitcnt vmcnt(0)
	v_xor_b32_e32 v18, -1, v18
	v_and_b32_e32 v18, 1, v18
.LBB3237_21:
	s_or_b64 exec, exec, s[2:3]
	v_add_u32_e32 v19, 0xc0, v0
	v_cmp_gt_u32_e32 vcc, s33, v19
	s_and_saveexec_b64 s[2:3], vcc
	s_cbranch_execz .LBB3237_23
; %bb.22:
	v_readfirstlane_b32 s4, v14
	v_readfirstlane_b32 s5, v1
	s_nop 4
	global_load_dwordx2 v[20:21], v24, s[4:5] offset:1536
	s_waitcnt vmcnt(0)
	v_xor_b32_e32 v17, -1, v20
	v_and_b32_e32 v17, 1, v17
.LBB3237_23:
	s_or_b64 exec, exec, s[2:3]
	v_add_u32_e32 v20, 0x180, v0
	v_cmp_gt_u32_e32 vcc, s33, v20
	v_mov_b32_e32 v21, 0
	v_mov_b32_e32 v22, 0
	s_and_saveexec_b64 s[2:3], vcc
	s_cbranch_execz .LBB3237_25
; %bb.24:
	v_readfirstlane_b32 s4, v14
	v_readfirstlane_b32 s5, v1
	s_nop 4
	global_load_dwordx2 v[22:23], v24, s[4:5] offset:3072
	s_waitcnt vmcnt(0)
	v_xor_b32_e32 v22, -1, v22
	v_and_b32_e32 v22, 1, v22
.LBB3237_25:
	s_or_b64 exec, exec, s[2:3]
	v_add_u32_e32 v23, 0x240, v0
	v_cmp_gt_u32_e32 vcc, s33, v23
	s_and_saveexec_b64 s[2:3], vcc
	s_cbranch_execz .LBB3237_27
; %bb.26:
	v_lshlrev_b32_e32 v21, 3, v23
	v_readfirstlane_b32 s4, v14
	v_readfirstlane_b32 s5, v1
	s_nop 4
	global_load_dwordx2 v[26:27], v21, s[4:5]
	s_waitcnt vmcnt(0)
	v_xor_b32_e32 v1, -1, v26
	v_and_b32_e32 v21, 1, v1
.LBB3237_27:
	s_or_b64 exec, exec, s[2:3]
	v_and_b32_e32 v1, 4, v16
	v_add_u32_e32 v1, v1, v0
	ds_write_b8 v1, v18
	v_lshrrev_b32_e32 v1, 5, v19
	v_and_b32_e32 v1, 12, v1
	v_add_u32_e32 v1, v1, v0
	ds_write_b8 v1, v17 offset:192
	v_lshrrev_b32_e32 v1, 5, v20
	v_and_b32_e32 v1, 28, v1
	v_add_u32_e32 v1, v1, v0
	ds_write_b8 v1, v22 offset:384
	;; [unrolled: 4-line block ×3, first 2 shown]
	s_waitcnt lgkmcnt(0)
	s_barrier
.LBB3237_28:
	v_and_b32_e32 v1, 28, v15
	v_add_u32_e32 v1, v1, v25
	ds_read_b32 v26, v1
	s_cmp_lg_u32 s38, 0
	v_lshrrev_b32_e32 v29, 6, v0
	s_waitcnt lgkmcnt(0)
	s_barrier
	v_lshrrev_b32_e32 v1, 24, v26
	v_bfe_u32 v27, v26, 16, 8
	v_add_u32_sdwa v14, v26, v26 dst_sel:DWORD dst_unused:UNUSED_PAD src0_sel:BYTE_1 src1_sel:BYTE_0
	v_add3_u32 v30, v14, v27, v1
	v_mbcnt_lo_u32_b32 v14, -1, 0
	v_mbcnt_hi_u32_b32 v28, -1, v14
	v_and_b32_e32 v14, 15, v28
	v_cmp_eq_u32_e64 s[14:15], 0, v14
	v_cmp_lt_u32_e64 s[12:13], 1, v14
	v_cmp_lt_u32_e64 s[10:11], 3, v14
	;; [unrolled: 1-line block ×3, first 2 shown]
	v_and_b32_e32 v14, 16, v28
	v_cmp_eq_u32_e64 s[4:5], 0, v14
	v_and_b32_e32 v14, 0xc0, v0
	v_min_u32_e32 v14, 0x80, v14
	v_or_b32_e32 v14, 63, v14
	v_cmp_lt_u32_e64 s[2:3], 31, v28
	v_cmp_eq_u32_e64 s[6:7], v14, v0
	s_cbranch_scc0 .LBB3237_59
; %bb.29:
	v_mov_b32_dpp v14, v30 row_shr:1 row_mask:0xf bank_mask:0xf
	v_cndmask_b32_e64 v14, v14, 0, s[14:15]
	v_add_u32_e32 v14, v14, v30
	s_nop 1
	v_mov_b32_dpp v15, v14 row_shr:2 row_mask:0xf bank_mask:0xf
	v_cndmask_b32_e64 v15, 0, v15, s[12:13]
	v_add_u32_e32 v14, v14, v15
	s_nop 1
	;; [unrolled: 4-line block ×4, first 2 shown]
	v_mov_b32_dpp v15, v14 row_bcast:15 row_mask:0xf bank_mask:0xf
	v_cndmask_b32_e64 v15, v15, 0, s[4:5]
	v_add_u32_e32 v14, v14, v15
	s_nop 1
	v_mov_b32_dpp v15, v14 row_bcast:31 row_mask:0xf bank_mask:0xf
	v_cndmask_b32_e64 v15, 0, v15, s[2:3]
	v_add_u32_e32 v14, v14, v15
	s_and_saveexec_b64 s[16:17], s[6:7]
	s_cbranch_execz .LBB3237_31
; %bb.30:
	v_lshlrev_b32_e32 v15, 2, v29
	ds_write_b32 v15, v14
.LBB3237_31:
	s_or_b64 exec, exec, s[16:17]
	v_cmp_gt_u32_e32 vcc, 3, v0
	s_waitcnt lgkmcnt(0)
	s_barrier
	s_and_saveexec_b64 s[16:17], vcc
	s_cbranch_execz .LBB3237_33
; %bb.32:
	ds_read_b32 v15, v25
	v_and_b32_e32 v16, 3, v28
	v_cmp_ne_u32_e32 vcc, 0, v16
	s_waitcnt lgkmcnt(0)
	v_mov_b32_dpp v17, v15 row_shr:1 row_mask:0xf bank_mask:0xf
	v_cndmask_b32_e32 v17, 0, v17, vcc
	v_add_u32_e32 v15, v17, v15
	v_cmp_lt_u32_e32 vcc, 1, v16
	s_nop 0
	v_mov_b32_dpp v17, v15 row_shr:2 row_mask:0xf bank_mask:0xf
	v_cndmask_b32_e32 v16, 0, v17, vcc
	v_add_u32_e32 v15, v15, v16
	ds_write_b32 v25, v15
.LBB3237_33:
	s_or_b64 exec, exec, s[16:17]
	v_cmp_gt_u32_e32 vcc, 64, v0
	v_cmp_lt_u32_e64 s[16:17], 63, v0
	s_waitcnt lgkmcnt(0)
	s_barrier
	s_waitcnt lgkmcnt(0)
                                        ; implicit-def: $vgpr31
	s_and_saveexec_b64 s[30:31], s[16:17]
	s_cbranch_execz .LBB3237_35
; %bb.34:
	v_lshl_add_u32 v15, v29, 2, -4
	ds_read_b32 v31, v15
	s_waitcnt lgkmcnt(0)
	v_add_u32_e32 v14, v31, v14
.LBB3237_35:
	s_or_b64 exec, exec, s[30:31]
	v_add_u32_e32 v15, -1, v28
	v_and_b32_e32 v16, 64, v28
	v_cmp_lt_i32_e64 s[16:17], v15, v16
	v_cndmask_b32_e64 v15, v15, v28, s[16:17]
	v_lshlrev_b32_e32 v15, 2, v15
	ds_bpermute_b32 v32, v15, v14
	v_cmp_eq_u32_e64 s[16:17], 0, v28
	s_and_saveexec_b64 s[30:31], vcc
	s_cbranch_execz .LBB3237_58
; %bb.36:
	v_mov_b32_e32 v23, 0
	ds_read_b32 v14, v23 offset:8
	s_and_saveexec_b64 s[34:35], s[16:17]
	s_cbranch_execz .LBB3237_38
; %bb.37:
	s_add_i32 s36, s38, 64
	s_mov_b32 s37, 0
	s_lshl_b64 s[36:37], s[36:37], 3
	s_add_u32 s36, s28, s36
	v_mov_b32_e32 v15, 1
	s_addc_u32 s37, s29, s37
	s_waitcnt lgkmcnt(0)
	global_store_dwordx2 v23, v[14:15], s[36:37]
.LBB3237_38:
	s_or_b64 exec, exec, s[34:35]
	v_xad_u32 v16, v28, -1, s38
	v_add_u32_e32 v22, 64, v16
	v_lshlrev_b64 v[18:19], 3, v[22:23]
	v_mov_b32_e32 v15, s29
	v_add_co_u32_e32 v18, vcc, s28, v18
	v_addc_co_u32_e32 v19, vcc, v15, v19, vcc
	global_load_dwordx2 v[20:21], v[18:19], off glc
	s_waitcnt vmcnt(0)
	v_cmp_eq_u16_sdwa s[36:37], v21, v23 src0_sel:BYTE_0 src1_sel:DWORD
	s_and_saveexec_b64 s[34:35], s[36:37]
	s_cbranch_execz .LBB3237_44
; %bb.39:
	s_mov_b32 s39, 1
	s_mov_b64 s[36:37], 0
	v_mov_b32_e32 v15, 0
.LBB3237_40:                            ; =>This Loop Header: Depth=1
                                        ;     Child Loop BB3237_41 Depth 2
	s_max_u32 s40, s39, 1
.LBB3237_41:                            ;   Parent Loop BB3237_40 Depth=1
                                        ; =>  This Inner Loop Header: Depth=2
	s_add_i32 s40, s40, -1
	s_cmp_eq_u32 s40, 0
	s_sleep 1
	s_cbranch_scc0 .LBB3237_41
; %bb.42:                               ;   in Loop: Header=BB3237_40 Depth=1
	global_load_dwordx2 v[20:21], v[18:19], off glc
	s_cmp_lt_u32 s39, 32
	s_cselect_b64 s[40:41], -1, 0
	s_cmp_lg_u64 s[40:41], 0
	s_addc_u32 s39, s39, 0
	s_waitcnt vmcnt(0)
	v_cmp_ne_u16_sdwa s[40:41], v21, v15 src0_sel:BYTE_0 src1_sel:DWORD
	s_or_b64 s[36:37], s[40:41], s[36:37]
	s_andn2_b64 exec, exec, s[36:37]
	s_cbranch_execnz .LBB3237_40
; %bb.43:
	s_or_b64 exec, exec, s[36:37]
.LBB3237_44:
	s_or_b64 exec, exec, s[34:35]
	v_and_b32_e32 v34, 63, v28
	v_mov_b32_e32 v33, 2
	v_cmp_ne_u32_e32 vcc, 63, v34
	v_cmp_eq_u16_sdwa s[34:35], v21, v33 src0_sel:BYTE_0 src1_sel:DWORD
	v_lshlrev_b64 v[18:19], v28, -1
	v_addc_co_u32_e32 v22, vcc, 0, v28, vcc
	v_and_b32_e32 v15, s35, v19
	v_lshlrev_b32_e32 v35, 2, v22
	v_or_b32_e32 v15, 0x80000000, v15
	ds_bpermute_b32 v22, v35, v20
	v_and_b32_e32 v17, s34, v18
	v_ffbl_b32_e32 v15, v15
	v_add_u32_e32 v15, 32, v15
	v_ffbl_b32_e32 v17, v17
	v_min_u32_e32 v15, v17, v15
	v_cmp_lt_u32_e32 vcc, v34, v15
	s_waitcnt lgkmcnt(0)
	v_cndmask_b32_e32 v17, 0, v22, vcc
	v_cmp_gt_u32_e32 vcc, 62, v34
	v_add_u32_e32 v17, v17, v20
	v_cndmask_b32_e64 v20, 0, 1, vcc
	v_lshlrev_b32_e32 v20, 1, v20
	v_add_lshl_u32 v36, v20, v28, 2
	ds_bpermute_b32 v20, v36, v17
	v_add_u32_e32 v37, 2, v34
	v_cmp_le_u32_e32 vcc, v37, v15
	v_add_u32_e32 v39, 4, v34
	v_add_u32_e32 v41, 8, v34
	s_waitcnt lgkmcnt(0)
	v_cndmask_b32_e32 v20, 0, v20, vcc
	v_cmp_gt_u32_e32 vcc, 60, v34
	v_add_u32_e32 v17, v17, v20
	v_cndmask_b32_e64 v20, 0, 1, vcc
	v_lshlrev_b32_e32 v20, 2, v20
	v_add_lshl_u32 v38, v20, v28, 2
	ds_bpermute_b32 v20, v38, v17
	v_cmp_le_u32_e32 vcc, v39, v15
	v_add_u32_e32 v43, 16, v34
	v_add_u32_e32 v45, 32, v34
	s_waitcnt lgkmcnt(0)
	v_cndmask_b32_e32 v20, 0, v20, vcc
	v_cmp_gt_u32_e32 vcc, 56, v34
	v_add_u32_e32 v17, v17, v20
	v_cndmask_b32_e64 v20, 0, 1, vcc
	v_lshlrev_b32_e32 v20, 3, v20
	v_add_lshl_u32 v40, v20, v28, 2
	ds_bpermute_b32 v20, v40, v17
	v_cmp_le_u32_e32 vcc, v41, v15
	s_waitcnt lgkmcnt(0)
	v_cndmask_b32_e32 v20, 0, v20, vcc
	v_cmp_gt_u32_e32 vcc, 48, v34
	v_add_u32_e32 v17, v17, v20
	v_cndmask_b32_e64 v20, 0, 1, vcc
	v_lshlrev_b32_e32 v20, 4, v20
	v_add_lshl_u32 v42, v20, v28, 2
	ds_bpermute_b32 v20, v42, v17
	v_cmp_le_u32_e32 vcc, v43, v15
	;; [unrolled: 9-line block ×3, first 2 shown]
	s_waitcnt lgkmcnt(0)
	v_cndmask_b32_e32 v15, 0, v20, vcc
	v_add_u32_e32 v20, v17, v15
	v_mov_b32_e32 v17, 0
	s_branch .LBB3237_46
.LBB3237_45:                            ;   in Loop: Header=BB3237_46 Depth=1
	s_or_b64 exec, exec, s[34:35]
	v_cmp_eq_u16_sdwa s[34:35], v21, v33 src0_sel:BYTE_0 src1_sel:DWORD
	v_and_b32_e32 v22, s35, v19
	v_or_b32_e32 v22, 0x80000000, v22
	ds_bpermute_b32 v46, v35, v20
	v_and_b32_e32 v23, s34, v18
	v_ffbl_b32_e32 v22, v22
	v_add_u32_e32 v22, 32, v22
	v_ffbl_b32_e32 v23, v23
	v_min_u32_e32 v22, v23, v22
	v_cmp_lt_u32_e32 vcc, v34, v22
	s_waitcnt lgkmcnt(0)
	v_cndmask_b32_e32 v23, 0, v46, vcc
	v_add_u32_e32 v20, v23, v20
	ds_bpermute_b32 v23, v36, v20
	v_cmp_le_u32_e32 vcc, v37, v22
	v_subrev_u32_e32 v16, 64, v16
	s_waitcnt lgkmcnt(0)
	v_cndmask_b32_e32 v23, 0, v23, vcc
	v_add_u32_e32 v20, v20, v23
	ds_bpermute_b32 v23, v38, v20
	v_cmp_le_u32_e32 vcc, v39, v22
	s_waitcnt lgkmcnt(0)
	v_cndmask_b32_e32 v23, 0, v23, vcc
	v_add_u32_e32 v20, v20, v23
	ds_bpermute_b32 v23, v40, v20
	v_cmp_le_u32_e32 vcc, v41, v22
	;; [unrolled: 5-line block ×4, first 2 shown]
	s_waitcnt lgkmcnt(0)
	v_cndmask_b32_e32 v22, 0, v23, vcc
	v_add3_u32 v20, v22, v15, v20
.LBB3237_46:                            ; =>This Loop Header: Depth=1
                                        ;     Child Loop BB3237_49 Depth 2
                                        ;       Child Loop BB3237_50 Depth 3
	v_cmp_ne_u16_sdwa s[34:35], v21, v33 src0_sel:BYTE_0 src1_sel:DWORD
	v_cndmask_b32_e64 v15, 0, 1, s[34:35]
	;;#ASMSTART
	;;#ASMEND
	v_cmp_ne_u32_e32 vcc, 0, v15
	s_cmp_lg_u64 vcc, exec
	v_mov_b32_e32 v15, v20
	s_cbranch_scc1 .LBB3237_53
; %bb.47:                               ;   in Loop: Header=BB3237_46 Depth=1
	v_lshlrev_b64 v[20:21], 3, v[16:17]
	v_mov_b32_e32 v23, s29
	v_add_co_u32_e32 v22, vcc, s28, v20
	v_addc_co_u32_e32 v23, vcc, v23, v21, vcc
	global_load_dwordx2 v[20:21], v[22:23], off glc
	s_waitcnt vmcnt(0)
	v_cmp_eq_u16_sdwa s[36:37], v21, v17 src0_sel:BYTE_0 src1_sel:DWORD
	s_and_saveexec_b64 s[34:35], s[36:37]
	s_cbranch_execz .LBB3237_45
; %bb.48:                               ;   in Loop: Header=BB3237_46 Depth=1
	s_mov_b32 s39, 1
	s_mov_b64 s[36:37], 0
.LBB3237_49:                            ;   Parent Loop BB3237_46 Depth=1
                                        ; =>  This Loop Header: Depth=2
                                        ;       Child Loop BB3237_50 Depth 3
	s_max_u32 s40, s39, 1
.LBB3237_50:                            ;   Parent Loop BB3237_46 Depth=1
                                        ;     Parent Loop BB3237_49 Depth=2
                                        ; =>    This Inner Loop Header: Depth=3
	s_add_i32 s40, s40, -1
	s_cmp_eq_u32 s40, 0
	s_sleep 1
	s_cbranch_scc0 .LBB3237_50
; %bb.51:                               ;   in Loop: Header=BB3237_49 Depth=2
	global_load_dwordx2 v[20:21], v[22:23], off glc
	s_cmp_lt_u32 s39, 32
	s_cselect_b64 s[40:41], -1, 0
	s_cmp_lg_u64 s[40:41], 0
	s_addc_u32 s39, s39, 0
	s_waitcnt vmcnt(0)
	v_cmp_ne_u16_sdwa s[40:41], v21, v17 src0_sel:BYTE_0 src1_sel:DWORD
	s_or_b64 s[36:37], s[40:41], s[36:37]
	s_andn2_b64 exec, exec, s[36:37]
	s_cbranch_execnz .LBB3237_49
; %bb.52:                               ;   in Loop: Header=BB3237_46 Depth=1
	s_or_b64 exec, exec, s[36:37]
	s_branch .LBB3237_45
.LBB3237_53:                            ;   in Loop: Header=BB3237_46 Depth=1
                                        ; implicit-def: $vgpr20
                                        ; implicit-def: $vgpr21
	s_cbranch_execz .LBB3237_46
; %bb.54:
	s_and_saveexec_b64 s[34:35], s[16:17]
	s_cbranch_execz .LBB3237_56
; %bb.55:
	s_add_i32 s36, s38, 64
	s_mov_b32 s37, 0
	s_lshl_b64 s[36:37], s[36:37], 3
	s_add_u32 s36, s28, s36
	v_add_u32_e32 v16, v15, v14
	v_mov_b32_e32 v17, 2
	s_addc_u32 s37, s29, s37
	v_mov_b32_e32 v18, 0
	global_store_dwordx2 v18, v[16:17], s[36:37]
	ds_write_b64 v18, v[14:15] offset:6336
.LBB3237_56:
	s_or_b64 exec, exec, s[34:35]
	s_and_b64 exec, exec, s[0:1]
	s_cbranch_execz .LBB3237_58
; %bb.57:
	v_mov_b32_e32 v14, 0
	ds_write_b32 v14, v15 offset:8
.LBB3237_58:
	s_or_b64 exec, exec, s[30:31]
	v_mov_b32_e32 v14, 0
	s_waitcnt lgkmcnt(0)
	s_barrier
	ds_read_b32 v15, v14 offset:8
	v_cndmask_b32_e64 v16, v32, v31, s[16:17]
	v_cndmask_b32_e64 v16, v16, 0, s[0:1]
	s_waitcnt lgkmcnt(0)
	s_barrier
	v_add_u32_e32 v18, v15, v16
	ds_read_b64 v[14:15], v14 offset:6336
	v_add_u32_sdwa v19, v18, v26 dst_sel:DWORD dst_unused:UNUSED_PAD src0_sel:DWORD src1_sel:BYTE_0
	v_add_u32_sdwa v17, v19, v26 dst_sel:DWORD dst_unused:UNUSED_PAD src0_sel:DWORD src1_sel:BYTE_1
	v_add_u32_e32 v16, v17, v27
	s_branch .LBB3237_69
.LBB3237_59:
                                        ; implicit-def: $vgpr15
                                        ; implicit-def: $vgpr16
                                        ; implicit-def: $vgpr17
                                        ; implicit-def: $vgpr19
                                        ; implicit-def: $vgpr18
	s_cbranch_execz .LBB3237_69
; %bb.60:
	s_waitcnt lgkmcnt(0)
	v_mov_b32_dpp v14, v30 row_shr:1 row_mask:0xf bank_mask:0xf
	v_cndmask_b32_e64 v14, v14, 0, s[14:15]
	v_add_u32_e32 v14, v14, v30
	s_nop 1
	v_mov_b32_dpp v15, v14 row_shr:2 row_mask:0xf bank_mask:0xf
	v_cndmask_b32_e64 v15, 0, v15, s[12:13]
	v_add_u32_e32 v14, v14, v15
	s_nop 1
	;; [unrolled: 4-line block ×4, first 2 shown]
	v_mov_b32_dpp v15, v14 row_bcast:15 row_mask:0xf bank_mask:0xf
	v_cndmask_b32_e64 v15, v15, 0, s[4:5]
	v_add_u32_e32 v14, v14, v15
	s_nop 1
	v_mov_b32_dpp v15, v14 row_bcast:31 row_mask:0xf bank_mask:0xf
	v_cndmask_b32_e64 v15, 0, v15, s[2:3]
	v_add_u32_e32 v14, v14, v15
	s_and_saveexec_b64 s[2:3], s[6:7]
	s_cbranch_execz .LBB3237_62
; %bb.61:
	v_lshlrev_b32_e32 v15, 2, v29
	ds_write_b32 v15, v14
.LBB3237_62:
	s_or_b64 exec, exec, s[2:3]
	v_cmp_gt_u32_e32 vcc, 3, v0
	s_waitcnt lgkmcnt(0)
	s_barrier
	s_and_saveexec_b64 s[2:3], vcc
	s_cbranch_execz .LBB3237_64
; %bb.63:
	ds_read_b32 v15, v25
	v_and_b32_e32 v16, 3, v28
	v_cmp_ne_u32_e32 vcc, 0, v16
	s_waitcnt lgkmcnt(0)
	v_mov_b32_dpp v17, v15 row_shr:1 row_mask:0xf bank_mask:0xf
	v_cndmask_b32_e32 v17, 0, v17, vcc
	v_add_u32_e32 v15, v17, v15
	v_cmp_lt_u32_e32 vcc, 1, v16
	s_nop 0
	v_mov_b32_dpp v17, v15 row_shr:2 row_mask:0xf bank_mask:0xf
	v_cndmask_b32_e32 v16, 0, v17, vcc
	v_add_u32_e32 v15, v15, v16
	ds_write_b32 v25, v15
.LBB3237_64:
	s_or_b64 exec, exec, s[2:3]
	v_cmp_lt_u32_e32 vcc, 63, v0
	v_mov_b32_e32 v15, 0
	v_mov_b32_e32 v16, 0
	s_waitcnt lgkmcnt(0)
	s_barrier
	s_and_saveexec_b64 s[2:3], vcc
	s_cbranch_execz .LBB3237_66
; %bb.65:
	v_lshl_add_u32 v16, v29, 2, -4
	ds_read_b32 v16, v16
.LBB3237_66:
	s_or_b64 exec, exec, s[2:3]
	v_add_u32_e32 v17, -1, v28
	v_and_b32_e32 v18, 64, v28
	v_cmp_lt_i32_e32 vcc, v17, v18
	v_cndmask_b32_e32 v17, v17, v28, vcc
	s_waitcnt lgkmcnt(0)
	v_add_u32_e32 v14, v16, v14
	v_lshlrev_b32_e32 v17, 2, v17
	ds_bpermute_b32 v17, v17, v14
	ds_read_b32 v14, v15 offset:8
	s_and_saveexec_b64 s[2:3], s[0:1]
	s_cbranch_execz .LBB3237_68
; %bb.67:
	v_mov_b32_e32 v18, 0
	v_mov_b32_e32 v15, 2
	s_waitcnt lgkmcnt(0)
	global_store_dwordx2 v18, v[14:15], s[28:29] offset:512
.LBB3237_68:
	s_or_b64 exec, exec, s[2:3]
	v_cmp_eq_u32_e32 vcc, 0, v28
	s_waitcnt lgkmcnt(1)
	v_cndmask_b32_e32 v16, v17, v16, vcc
	v_cndmask_b32_e64 v18, v16, 0, s[0:1]
	v_add_u32_sdwa v19, v18, v26 dst_sel:DWORD dst_unused:UNUSED_PAD src0_sel:DWORD src1_sel:BYTE_0
	v_add_u32_sdwa v17, v19, v26 dst_sel:DWORD dst_unused:UNUSED_PAD src0_sel:DWORD src1_sel:BYTE_1
	v_mov_b32_e32 v15, 0
	v_add_u32_e32 v16, v17, v27
	s_waitcnt lgkmcnt(0)
	s_barrier
.LBB3237_69:
	s_waitcnt lgkmcnt(0)
	v_add_u32_e32 v21, v14, v25
	v_sub_u32_e32 v18, v18, v15
	v_and_b32_e32 v23, 1, v26
	v_sub_u32_e32 v22, v21, v18
	v_cmp_eq_u32_e32 vcc, 1, v23
	v_cndmask_b32_e32 v18, v22, v18, vcc
	v_lshlrev_b32_e32 v18, 3, v18
	v_lshrrev_b32_e32 v20, 8, v26
	ds_write_b64 v18, v[6:7]
	v_sub_u32_e32 v6, v19, v15
	v_sub_u32_e32 v7, v21, v6
	v_and_b32_e32 v18, 1, v20
	v_add_u32_e32 v7, 1, v7
	v_cmp_eq_u32_e32 vcc, 1, v18
	v_cndmask_b32_e32 v6, v7, v6, vcc
	v_lshlrev_b32_e32 v6, 3, v6
	ds_write_b64 v6, v[8:9]
	v_sub_u32_e32 v6, v17, v15
	v_mov_b32_e32 v8, 1
	v_sub_u32_e32 v7, v21, v6
	v_and_b32_sdwa v8, v8, v26 dst_sel:DWORD dst_unused:UNUSED_PAD src0_sel:DWORD src1_sel:WORD_1
	v_add_u32_e32 v7, 2, v7
	v_cmp_eq_u32_e32 vcc, 1, v8
	v_cndmask_b32_e32 v6, v7, v6, vcc
	v_lshlrev_b32_e32 v6, 3, v6
	ds_write_b64 v6, v[2:3]
	v_sub_u32_e32 v2, v16, v15
	v_sub_u32_e32 v3, v21, v2
	v_and_b32_e32 v1, 1, v1
	v_add_u32_e32 v3, 3, v3
	v_cmp_eq_u32_e32 vcc, 1, v1
	v_cndmask_b32_e32 v1, v3, v2, vcc
	v_lshlrev_b32_e32 v1, 3, v1
	ds_write_b64 v1, v[4:5]
	s_waitcnt vmcnt(0)
	v_add_co_u32_e32 v1, vcc, v10, v14
	v_addc_co_u32_e32 v11, vcc, 0, v11, vcc
	v_add_co_u32_e32 v10, vcc, v1, v15
	v_addc_co_u32_e32 v11, vcc, 0, v11, vcc
	v_mov_b32_e32 v1, s19
	v_sub_co_u32_e32 v20, vcc, s18, v10
	v_subb_co_u32_e32 v21, vcc, v1, v11, vcc
	v_lshlrev_b64 v[20:21], 3, v[20:21]
	s_waitcnt lgkmcnt(0)
	s_barrier
	ds_read2st64_b64 v[6:9], v24 offset1:3
	ds_read2st64_b64 v[2:5], v24 offset0:6 offset1:9
	v_mov_b32_e32 v1, s25
	v_add_co_u32_e32 v15, vcc, s24, v20
	v_addc_co_u32_e32 v1, vcc, v1, v21, vcc
	v_add_co_u32_e32 v12, vcc, v15, v12
	v_addc_co_u32_e32 v1, vcc, v1, v13, vcc
	v_add_u32_e32 v18, 0xc0, v0
	v_add_u32_e32 v17, 0x180, v0
	;; [unrolled: 1-line block ×3, first 2 shown]
	s_andn2_b64 vcc, exec, s[26:27]
	v_cmp_ge_u32_e64 s[2:3], v0, v14
	s_cbranch_vccnz .LBB3237_75
; %bb.70:
	s_and_saveexec_b64 s[4:5], s[2:3]
	s_cbranch_execnz .LBB3237_88
; %bb.71:
	s_or_b64 exec, exec, s[4:5]
	v_cmp_ge_u32_e32 vcc, v18, v14
	s_and_saveexec_b64 s[2:3], vcc
	s_cbranch_execnz .LBB3237_89
.LBB3237_72:
	s_or_b64 exec, exec, s[2:3]
	v_cmp_ge_u32_e32 vcc, v17, v14
	s_and_saveexec_b64 s[2:3], vcc
	s_cbranch_execz .LBB3237_74
.LBB3237_73:
	v_readfirstlane_b32 s4, v12
	v_readfirstlane_b32 s5, v1
	s_waitcnt lgkmcnt(0)
	s_nop 3
	global_store_dwordx2 v24, v[2:3], s[4:5] offset:3072
.LBB3237_74:
	s_or_b64 exec, exec, s[2:3]
	v_cmp_ge_u32_e64 s[2:3], v16, v14
	s_branch .LBB3237_83
.LBB3237_75:
	s_mov_b64 s[2:3], 0
	s_cbranch_execz .LBB3237_83
; %bb.76:
	v_cmp_gt_u32_e32 vcc, s33, v0
	v_cmp_ge_u32_e64 s[2:3], v0, v14
	s_and_b64 s[4:5], vcc, s[2:3]
	s_and_saveexec_b64 s[2:3], s[4:5]
	s_cbranch_execz .LBB3237_78
; %bb.77:
	v_readfirstlane_b32 s4, v12
	v_readfirstlane_b32 s5, v1
	s_waitcnt lgkmcnt(1)
	s_nop 3
	global_store_dwordx2 v24, v[6:7], s[4:5]
.LBB3237_78:
	s_or_b64 exec, exec, s[2:3]
	v_cmp_gt_u32_e32 vcc, s33, v18
	v_cmp_ge_u32_e64 s[2:3], v18, v14
	s_and_b64 s[4:5], vcc, s[2:3]
	s_and_saveexec_b64 s[2:3], s[4:5]
	s_cbranch_execz .LBB3237_80
; %bb.79:
	v_readfirstlane_b32 s4, v12
	v_readfirstlane_b32 s5, v1
	s_waitcnt lgkmcnt(1)
	s_nop 3
	global_store_dwordx2 v24, v[8:9], s[4:5] offset:1536
.LBB3237_80:
	s_or_b64 exec, exec, s[2:3]
	v_cmp_gt_u32_e32 vcc, s33, v17
	v_cmp_ge_u32_e64 s[2:3], v17, v14
	s_and_b64 s[4:5], vcc, s[2:3]
	s_and_saveexec_b64 s[2:3], s[4:5]
	s_cbranch_execz .LBB3237_82
; %bb.81:
	v_readfirstlane_b32 s4, v12
	v_readfirstlane_b32 s5, v1
	s_waitcnt lgkmcnt(0)
	s_nop 3
	global_store_dwordx2 v24, v[2:3], s[4:5] offset:3072
.LBB3237_82:
	s_or_b64 exec, exec, s[2:3]
	v_cmp_gt_u32_e32 vcc, s33, v16
	v_cmp_ge_u32_e64 s[2:3], v16, v14
	s_and_b64 s[2:3], vcc, s[2:3]
.LBB3237_83:
	s_and_saveexec_b64 s[4:5], s[2:3]
	s_cbranch_execnz .LBB3237_86
; %bb.84:
	s_or_b64 exec, exec, s[4:5]
	s_and_b64 s[0:1], s[0:1], s[22:23]
	s_and_saveexec_b64 s[2:3], s[0:1]
	s_cbranch_execnz .LBB3237_87
.LBB3237_85:
	s_endpgm
.LBB3237_86:
	v_lshlrev_b32_e32 v0, 3, v16
	v_readfirstlane_b32 s2, v12
	v_readfirstlane_b32 s3, v1
	s_waitcnt lgkmcnt(0)
	s_nop 3
	global_store_dwordx2 v0, v[4:5], s[2:3]
	s_or_b64 exec, exec, s[4:5]
	s_and_b64 s[0:1], s[0:1], s[22:23]
	s_and_saveexec_b64 s[2:3], s[0:1]
	s_cbranch_execz .LBB3237_85
.LBB3237_87:
	v_mov_b32_e32 v0, 0
	global_store_dwordx2 v0, v[10:11], s[20:21]
	s_endpgm
.LBB3237_88:
	v_readfirstlane_b32 s2, v12
	v_readfirstlane_b32 s3, v1
	s_waitcnt lgkmcnt(1)
	s_nop 3
	global_store_dwordx2 v24, v[6:7], s[2:3]
	s_or_b64 exec, exec, s[4:5]
	v_cmp_ge_u32_e32 vcc, v18, v14
	s_and_saveexec_b64 s[2:3], vcc
	s_cbranch_execz .LBB3237_72
.LBB3237_89:
	v_readfirstlane_b32 s4, v12
	v_readfirstlane_b32 s5, v1
	s_waitcnt lgkmcnt(1)
	s_nop 3
	global_store_dwordx2 v24, v[8:9], s[4:5] offset:1536
	s_or_b64 exec, exec, s[2:3]
	v_cmp_ge_u32_e32 vcc, v17, v14
	s_and_saveexec_b64 s[2:3], vcc
	s_cbranch_execnz .LBB3237_73
	s_branch .LBB3237_74
	.section	.rodata,"a",@progbits
	.p2align	6, 0x0
	.amdhsa_kernel _ZN7rocprim17ROCPRIM_400000_NS6detail17trampoline_kernelINS0_14default_configENS1_25partition_config_selectorILNS1_17partition_subalgoE1ExNS0_10empty_typeEbEEZZNS1_14partition_implILS5_1ELb0ES3_jN6thrust23THRUST_200600_302600_NS6detail15normal_iteratorINSA_10device_ptrIxEEEEPS6_NSA_18transform_iteratorI7is_evenIxESF_NSA_11use_defaultESK_EENS0_5tupleIJNSA_16discard_iteratorISK_EESF_EEENSM_IJSG_SG_EEES6_PlJS6_EEE10hipError_tPvRmT3_T4_T5_T6_T7_T9_mT8_P12ihipStream_tbDpT10_ENKUlT_T0_E_clISt17integral_constantIbLb1EES1B_EEDaS16_S17_EUlS16_E_NS1_11comp_targetILNS1_3genE4ELNS1_11target_archE910ELNS1_3gpuE8ELNS1_3repE0EEENS1_30default_config_static_selectorELNS0_4arch9wavefront6targetE1EEEvT1_
		.amdhsa_group_segment_fixed_size 6344
		.amdhsa_private_segment_fixed_size 0
		.amdhsa_kernarg_size 152
		.amdhsa_user_sgpr_count 6
		.amdhsa_user_sgpr_private_segment_buffer 1
		.amdhsa_user_sgpr_dispatch_ptr 0
		.amdhsa_user_sgpr_queue_ptr 0
		.amdhsa_user_sgpr_kernarg_segment_ptr 1
		.amdhsa_user_sgpr_dispatch_id 0
		.amdhsa_user_sgpr_flat_scratch_init 0
		.amdhsa_user_sgpr_kernarg_preload_length 0
		.amdhsa_user_sgpr_kernarg_preload_offset 0
		.amdhsa_user_sgpr_private_segment_size 0
		.amdhsa_uses_dynamic_stack 0
		.amdhsa_system_sgpr_private_segment_wavefront_offset 0
		.amdhsa_system_sgpr_workgroup_id_x 1
		.amdhsa_system_sgpr_workgroup_id_y 0
		.amdhsa_system_sgpr_workgroup_id_z 0
		.amdhsa_system_sgpr_workgroup_info 0
		.amdhsa_system_vgpr_workitem_id 0
		.amdhsa_next_free_vgpr 47
		.amdhsa_next_free_sgpr 42
		.amdhsa_accum_offset 48
		.amdhsa_reserve_vcc 1
		.amdhsa_reserve_flat_scratch 0
		.amdhsa_float_round_mode_32 0
		.amdhsa_float_round_mode_16_64 0
		.amdhsa_float_denorm_mode_32 3
		.amdhsa_float_denorm_mode_16_64 3
		.amdhsa_dx10_clamp 1
		.amdhsa_ieee_mode 1
		.amdhsa_fp16_overflow 0
		.amdhsa_tg_split 0
		.amdhsa_exception_fp_ieee_invalid_op 0
		.amdhsa_exception_fp_denorm_src 0
		.amdhsa_exception_fp_ieee_div_zero 0
		.amdhsa_exception_fp_ieee_overflow 0
		.amdhsa_exception_fp_ieee_underflow 0
		.amdhsa_exception_fp_ieee_inexact 0
		.amdhsa_exception_int_div_zero 0
	.end_amdhsa_kernel
	.section	.text._ZN7rocprim17ROCPRIM_400000_NS6detail17trampoline_kernelINS0_14default_configENS1_25partition_config_selectorILNS1_17partition_subalgoE1ExNS0_10empty_typeEbEEZZNS1_14partition_implILS5_1ELb0ES3_jN6thrust23THRUST_200600_302600_NS6detail15normal_iteratorINSA_10device_ptrIxEEEEPS6_NSA_18transform_iteratorI7is_evenIxESF_NSA_11use_defaultESK_EENS0_5tupleIJNSA_16discard_iteratorISK_EESF_EEENSM_IJSG_SG_EEES6_PlJS6_EEE10hipError_tPvRmT3_T4_T5_T6_T7_T9_mT8_P12ihipStream_tbDpT10_ENKUlT_T0_E_clISt17integral_constantIbLb1EES1B_EEDaS16_S17_EUlS16_E_NS1_11comp_targetILNS1_3genE4ELNS1_11target_archE910ELNS1_3gpuE8ELNS1_3repE0EEENS1_30default_config_static_selectorELNS0_4arch9wavefront6targetE1EEEvT1_,"axG",@progbits,_ZN7rocprim17ROCPRIM_400000_NS6detail17trampoline_kernelINS0_14default_configENS1_25partition_config_selectorILNS1_17partition_subalgoE1ExNS0_10empty_typeEbEEZZNS1_14partition_implILS5_1ELb0ES3_jN6thrust23THRUST_200600_302600_NS6detail15normal_iteratorINSA_10device_ptrIxEEEEPS6_NSA_18transform_iteratorI7is_evenIxESF_NSA_11use_defaultESK_EENS0_5tupleIJNSA_16discard_iteratorISK_EESF_EEENSM_IJSG_SG_EEES6_PlJS6_EEE10hipError_tPvRmT3_T4_T5_T6_T7_T9_mT8_P12ihipStream_tbDpT10_ENKUlT_T0_E_clISt17integral_constantIbLb1EES1B_EEDaS16_S17_EUlS16_E_NS1_11comp_targetILNS1_3genE4ELNS1_11target_archE910ELNS1_3gpuE8ELNS1_3repE0EEENS1_30default_config_static_selectorELNS0_4arch9wavefront6targetE1EEEvT1_,comdat
.Lfunc_end3237:
	.size	_ZN7rocprim17ROCPRIM_400000_NS6detail17trampoline_kernelINS0_14default_configENS1_25partition_config_selectorILNS1_17partition_subalgoE1ExNS0_10empty_typeEbEEZZNS1_14partition_implILS5_1ELb0ES3_jN6thrust23THRUST_200600_302600_NS6detail15normal_iteratorINSA_10device_ptrIxEEEEPS6_NSA_18transform_iteratorI7is_evenIxESF_NSA_11use_defaultESK_EENS0_5tupleIJNSA_16discard_iteratorISK_EESF_EEENSM_IJSG_SG_EEES6_PlJS6_EEE10hipError_tPvRmT3_T4_T5_T6_T7_T9_mT8_P12ihipStream_tbDpT10_ENKUlT_T0_E_clISt17integral_constantIbLb1EES1B_EEDaS16_S17_EUlS16_E_NS1_11comp_targetILNS1_3genE4ELNS1_11target_archE910ELNS1_3gpuE8ELNS1_3repE0EEENS1_30default_config_static_selectorELNS0_4arch9wavefront6targetE1EEEvT1_, .Lfunc_end3237-_ZN7rocprim17ROCPRIM_400000_NS6detail17trampoline_kernelINS0_14default_configENS1_25partition_config_selectorILNS1_17partition_subalgoE1ExNS0_10empty_typeEbEEZZNS1_14partition_implILS5_1ELb0ES3_jN6thrust23THRUST_200600_302600_NS6detail15normal_iteratorINSA_10device_ptrIxEEEEPS6_NSA_18transform_iteratorI7is_evenIxESF_NSA_11use_defaultESK_EENS0_5tupleIJNSA_16discard_iteratorISK_EESF_EEENSM_IJSG_SG_EEES6_PlJS6_EEE10hipError_tPvRmT3_T4_T5_T6_T7_T9_mT8_P12ihipStream_tbDpT10_ENKUlT_T0_E_clISt17integral_constantIbLb1EES1B_EEDaS16_S17_EUlS16_E_NS1_11comp_targetILNS1_3genE4ELNS1_11target_archE910ELNS1_3gpuE8ELNS1_3repE0EEENS1_30default_config_static_selectorELNS0_4arch9wavefront6targetE1EEEvT1_
                                        ; -- End function
	.section	.AMDGPU.csdata,"",@progbits
; Kernel info:
; codeLenInByte = 4196
; NumSgprs: 46
; NumVgprs: 47
; NumAgprs: 0
; TotalNumVgprs: 47
; ScratchSize: 0
; MemoryBound: 0
; FloatMode: 240
; IeeeMode: 1
; LDSByteSize: 6344 bytes/workgroup (compile time only)
; SGPRBlocks: 5
; VGPRBlocks: 5
; NumSGPRsForWavesPerEU: 46
; NumVGPRsForWavesPerEU: 47
; AccumOffset: 48
; Occupancy: 8
; WaveLimiterHint : 1
; COMPUTE_PGM_RSRC2:SCRATCH_EN: 0
; COMPUTE_PGM_RSRC2:USER_SGPR: 6
; COMPUTE_PGM_RSRC2:TRAP_HANDLER: 0
; COMPUTE_PGM_RSRC2:TGID_X_EN: 1
; COMPUTE_PGM_RSRC2:TGID_Y_EN: 0
; COMPUTE_PGM_RSRC2:TGID_Z_EN: 0
; COMPUTE_PGM_RSRC2:TIDIG_COMP_CNT: 0
; COMPUTE_PGM_RSRC3_GFX90A:ACCUM_OFFSET: 11
; COMPUTE_PGM_RSRC3_GFX90A:TG_SPLIT: 0
	.section	.text._ZN7rocprim17ROCPRIM_400000_NS6detail17trampoline_kernelINS0_14default_configENS1_25partition_config_selectorILNS1_17partition_subalgoE1ExNS0_10empty_typeEbEEZZNS1_14partition_implILS5_1ELb0ES3_jN6thrust23THRUST_200600_302600_NS6detail15normal_iteratorINSA_10device_ptrIxEEEEPS6_NSA_18transform_iteratorI7is_evenIxESF_NSA_11use_defaultESK_EENS0_5tupleIJNSA_16discard_iteratorISK_EESF_EEENSM_IJSG_SG_EEES6_PlJS6_EEE10hipError_tPvRmT3_T4_T5_T6_T7_T9_mT8_P12ihipStream_tbDpT10_ENKUlT_T0_E_clISt17integral_constantIbLb1EES1B_EEDaS16_S17_EUlS16_E_NS1_11comp_targetILNS1_3genE3ELNS1_11target_archE908ELNS1_3gpuE7ELNS1_3repE0EEENS1_30default_config_static_selectorELNS0_4arch9wavefront6targetE1EEEvT1_,"axG",@progbits,_ZN7rocprim17ROCPRIM_400000_NS6detail17trampoline_kernelINS0_14default_configENS1_25partition_config_selectorILNS1_17partition_subalgoE1ExNS0_10empty_typeEbEEZZNS1_14partition_implILS5_1ELb0ES3_jN6thrust23THRUST_200600_302600_NS6detail15normal_iteratorINSA_10device_ptrIxEEEEPS6_NSA_18transform_iteratorI7is_evenIxESF_NSA_11use_defaultESK_EENS0_5tupleIJNSA_16discard_iteratorISK_EESF_EEENSM_IJSG_SG_EEES6_PlJS6_EEE10hipError_tPvRmT3_T4_T5_T6_T7_T9_mT8_P12ihipStream_tbDpT10_ENKUlT_T0_E_clISt17integral_constantIbLb1EES1B_EEDaS16_S17_EUlS16_E_NS1_11comp_targetILNS1_3genE3ELNS1_11target_archE908ELNS1_3gpuE7ELNS1_3repE0EEENS1_30default_config_static_selectorELNS0_4arch9wavefront6targetE1EEEvT1_,comdat
	.protected	_ZN7rocprim17ROCPRIM_400000_NS6detail17trampoline_kernelINS0_14default_configENS1_25partition_config_selectorILNS1_17partition_subalgoE1ExNS0_10empty_typeEbEEZZNS1_14partition_implILS5_1ELb0ES3_jN6thrust23THRUST_200600_302600_NS6detail15normal_iteratorINSA_10device_ptrIxEEEEPS6_NSA_18transform_iteratorI7is_evenIxESF_NSA_11use_defaultESK_EENS0_5tupleIJNSA_16discard_iteratorISK_EESF_EEENSM_IJSG_SG_EEES6_PlJS6_EEE10hipError_tPvRmT3_T4_T5_T6_T7_T9_mT8_P12ihipStream_tbDpT10_ENKUlT_T0_E_clISt17integral_constantIbLb1EES1B_EEDaS16_S17_EUlS16_E_NS1_11comp_targetILNS1_3genE3ELNS1_11target_archE908ELNS1_3gpuE7ELNS1_3repE0EEENS1_30default_config_static_selectorELNS0_4arch9wavefront6targetE1EEEvT1_ ; -- Begin function _ZN7rocprim17ROCPRIM_400000_NS6detail17trampoline_kernelINS0_14default_configENS1_25partition_config_selectorILNS1_17partition_subalgoE1ExNS0_10empty_typeEbEEZZNS1_14partition_implILS5_1ELb0ES3_jN6thrust23THRUST_200600_302600_NS6detail15normal_iteratorINSA_10device_ptrIxEEEEPS6_NSA_18transform_iteratorI7is_evenIxESF_NSA_11use_defaultESK_EENS0_5tupleIJNSA_16discard_iteratorISK_EESF_EEENSM_IJSG_SG_EEES6_PlJS6_EEE10hipError_tPvRmT3_T4_T5_T6_T7_T9_mT8_P12ihipStream_tbDpT10_ENKUlT_T0_E_clISt17integral_constantIbLb1EES1B_EEDaS16_S17_EUlS16_E_NS1_11comp_targetILNS1_3genE3ELNS1_11target_archE908ELNS1_3gpuE7ELNS1_3repE0EEENS1_30default_config_static_selectorELNS0_4arch9wavefront6targetE1EEEvT1_
	.globl	_ZN7rocprim17ROCPRIM_400000_NS6detail17trampoline_kernelINS0_14default_configENS1_25partition_config_selectorILNS1_17partition_subalgoE1ExNS0_10empty_typeEbEEZZNS1_14partition_implILS5_1ELb0ES3_jN6thrust23THRUST_200600_302600_NS6detail15normal_iteratorINSA_10device_ptrIxEEEEPS6_NSA_18transform_iteratorI7is_evenIxESF_NSA_11use_defaultESK_EENS0_5tupleIJNSA_16discard_iteratorISK_EESF_EEENSM_IJSG_SG_EEES6_PlJS6_EEE10hipError_tPvRmT3_T4_T5_T6_T7_T9_mT8_P12ihipStream_tbDpT10_ENKUlT_T0_E_clISt17integral_constantIbLb1EES1B_EEDaS16_S17_EUlS16_E_NS1_11comp_targetILNS1_3genE3ELNS1_11target_archE908ELNS1_3gpuE7ELNS1_3repE0EEENS1_30default_config_static_selectorELNS0_4arch9wavefront6targetE1EEEvT1_
	.p2align	8
	.type	_ZN7rocprim17ROCPRIM_400000_NS6detail17trampoline_kernelINS0_14default_configENS1_25partition_config_selectorILNS1_17partition_subalgoE1ExNS0_10empty_typeEbEEZZNS1_14partition_implILS5_1ELb0ES3_jN6thrust23THRUST_200600_302600_NS6detail15normal_iteratorINSA_10device_ptrIxEEEEPS6_NSA_18transform_iteratorI7is_evenIxESF_NSA_11use_defaultESK_EENS0_5tupleIJNSA_16discard_iteratorISK_EESF_EEENSM_IJSG_SG_EEES6_PlJS6_EEE10hipError_tPvRmT3_T4_T5_T6_T7_T9_mT8_P12ihipStream_tbDpT10_ENKUlT_T0_E_clISt17integral_constantIbLb1EES1B_EEDaS16_S17_EUlS16_E_NS1_11comp_targetILNS1_3genE3ELNS1_11target_archE908ELNS1_3gpuE7ELNS1_3repE0EEENS1_30default_config_static_selectorELNS0_4arch9wavefront6targetE1EEEvT1_,@function
_ZN7rocprim17ROCPRIM_400000_NS6detail17trampoline_kernelINS0_14default_configENS1_25partition_config_selectorILNS1_17partition_subalgoE1ExNS0_10empty_typeEbEEZZNS1_14partition_implILS5_1ELb0ES3_jN6thrust23THRUST_200600_302600_NS6detail15normal_iteratorINSA_10device_ptrIxEEEEPS6_NSA_18transform_iteratorI7is_evenIxESF_NSA_11use_defaultESK_EENS0_5tupleIJNSA_16discard_iteratorISK_EESF_EEENSM_IJSG_SG_EEES6_PlJS6_EEE10hipError_tPvRmT3_T4_T5_T6_T7_T9_mT8_P12ihipStream_tbDpT10_ENKUlT_T0_E_clISt17integral_constantIbLb1EES1B_EEDaS16_S17_EUlS16_E_NS1_11comp_targetILNS1_3genE3ELNS1_11target_archE908ELNS1_3gpuE7ELNS1_3repE0EEENS1_30default_config_static_selectorELNS0_4arch9wavefront6targetE1EEEvT1_: ; @_ZN7rocprim17ROCPRIM_400000_NS6detail17trampoline_kernelINS0_14default_configENS1_25partition_config_selectorILNS1_17partition_subalgoE1ExNS0_10empty_typeEbEEZZNS1_14partition_implILS5_1ELb0ES3_jN6thrust23THRUST_200600_302600_NS6detail15normal_iteratorINSA_10device_ptrIxEEEEPS6_NSA_18transform_iteratorI7is_evenIxESF_NSA_11use_defaultESK_EENS0_5tupleIJNSA_16discard_iteratorISK_EESF_EEENSM_IJSG_SG_EEES6_PlJS6_EEE10hipError_tPvRmT3_T4_T5_T6_T7_T9_mT8_P12ihipStream_tbDpT10_ENKUlT_T0_E_clISt17integral_constantIbLb1EES1B_EEDaS16_S17_EUlS16_E_NS1_11comp_targetILNS1_3genE3ELNS1_11target_archE908ELNS1_3gpuE7ELNS1_3repE0EEENS1_30default_config_static_selectorELNS0_4arch9wavefront6targetE1EEEvT1_
; %bb.0:
	.section	.rodata,"a",@progbits
	.p2align	6, 0x0
	.amdhsa_kernel _ZN7rocprim17ROCPRIM_400000_NS6detail17trampoline_kernelINS0_14default_configENS1_25partition_config_selectorILNS1_17partition_subalgoE1ExNS0_10empty_typeEbEEZZNS1_14partition_implILS5_1ELb0ES3_jN6thrust23THRUST_200600_302600_NS6detail15normal_iteratorINSA_10device_ptrIxEEEEPS6_NSA_18transform_iteratorI7is_evenIxESF_NSA_11use_defaultESK_EENS0_5tupleIJNSA_16discard_iteratorISK_EESF_EEENSM_IJSG_SG_EEES6_PlJS6_EEE10hipError_tPvRmT3_T4_T5_T6_T7_T9_mT8_P12ihipStream_tbDpT10_ENKUlT_T0_E_clISt17integral_constantIbLb1EES1B_EEDaS16_S17_EUlS16_E_NS1_11comp_targetILNS1_3genE3ELNS1_11target_archE908ELNS1_3gpuE7ELNS1_3repE0EEENS1_30default_config_static_selectorELNS0_4arch9wavefront6targetE1EEEvT1_
		.amdhsa_group_segment_fixed_size 0
		.amdhsa_private_segment_fixed_size 0
		.amdhsa_kernarg_size 152
		.amdhsa_user_sgpr_count 6
		.amdhsa_user_sgpr_private_segment_buffer 1
		.amdhsa_user_sgpr_dispatch_ptr 0
		.amdhsa_user_sgpr_queue_ptr 0
		.amdhsa_user_sgpr_kernarg_segment_ptr 1
		.amdhsa_user_sgpr_dispatch_id 0
		.amdhsa_user_sgpr_flat_scratch_init 0
		.amdhsa_user_sgpr_kernarg_preload_length 0
		.amdhsa_user_sgpr_kernarg_preload_offset 0
		.amdhsa_user_sgpr_private_segment_size 0
		.amdhsa_uses_dynamic_stack 0
		.amdhsa_system_sgpr_private_segment_wavefront_offset 0
		.amdhsa_system_sgpr_workgroup_id_x 1
		.amdhsa_system_sgpr_workgroup_id_y 0
		.amdhsa_system_sgpr_workgroup_id_z 0
		.amdhsa_system_sgpr_workgroup_info 0
		.amdhsa_system_vgpr_workitem_id 0
		.amdhsa_next_free_vgpr 1
		.amdhsa_next_free_sgpr 0
		.amdhsa_accum_offset 4
		.amdhsa_reserve_vcc 0
		.amdhsa_reserve_flat_scratch 0
		.amdhsa_float_round_mode_32 0
		.amdhsa_float_round_mode_16_64 0
		.amdhsa_float_denorm_mode_32 3
		.amdhsa_float_denorm_mode_16_64 3
		.amdhsa_dx10_clamp 1
		.amdhsa_ieee_mode 1
		.amdhsa_fp16_overflow 0
		.amdhsa_tg_split 0
		.amdhsa_exception_fp_ieee_invalid_op 0
		.amdhsa_exception_fp_denorm_src 0
		.amdhsa_exception_fp_ieee_div_zero 0
		.amdhsa_exception_fp_ieee_overflow 0
		.amdhsa_exception_fp_ieee_underflow 0
		.amdhsa_exception_fp_ieee_inexact 0
		.amdhsa_exception_int_div_zero 0
	.end_amdhsa_kernel
	.section	.text._ZN7rocprim17ROCPRIM_400000_NS6detail17trampoline_kernelINS0_14default_configENS1_25partition_config_selectorILNS1_17partition_subalgoE1ExNS0_10empty_typeEbEEZZNS1_14partition_implILS5_1ELb0ES3_jN6thrust23THRUST_200600_302600_NS6detail15normal_iteratorINSA_10device_ptrIxEEEEPS6_NSA_18transform_iteratorI7is_evenIxESF_NSA_11use_defaultESK_EENS0_5tupleIJNSA_16discard_iteratorISK_EESF_EEENSM_IJSG_SG_EEES6_PlJS6_EEE10hipError_tPvRmT3_T4_T5_T6_T7_T9_mT8_P12ihipStream_tbDpT10_ENKUlT_T0_E_clISt17integral_constantIbLb1EES1B_EEDaS16_S17_EUlS16_E_NS1_11comp_targetILNS1_3genE3ELNS1_11target_archE908ELNS1_3gpuE7ELNS1_3repE0EEENS1_30default_config_static_selectorELNS0_4arch9wavefront6targetE1EEEvT1_,"axG",@progbits,_ZN7rocprim17ROCPRIM_400000_NS6detail17trampoline_kernelINS0_14default_configENS1_25partition_config_selectorILNS1_17partition_subalgoE1ExNS0_10empty_typeEbEEZZNS1_14partition_implILS5_1ELb0ES3_jN6thrust23THRUST_200600_302600_NS6detail15normal_iteratorINSA_10device_ptrIxEEEEPS6_NSA_18transform_iteratorI7is_evenIxESF_NSA_11use_defaultESK_EENS0_5tupleIJNSA_16discard_iteratorISK_EESF_EEENSM_IJSG_SG_EEES6_PlJS6_EEE10hipError_tPvRmT3_T4_T5_T6_T7_T9_mT8_P12ihipStream_tbDpT10_ENKUlT_T0_E_clISt17integral_constantIbLb1EES1B_EEDaS16_S17_EUlS16_E_NS1_11comp_targetILNS1_3genE3ELNS1_11target_archE908ELNS1_3gpuE7ELNS1_3repE0EEENS1_30default_config_static_selectorELNS0_4arch9wavefront6targetE1EEEvT1_,comdat
.Lfunc_end3238:
	.size	_ZN7rocprim17ROCPRIM_400000_NS6detail17trampoline_kernelINS0_14default_configENS1_25partition_config_selectorILNS1_17partition_subalgoE1ExNS0_10empty_typeEbEEZZNS1_14partition_implILS5_1ELb0ES3_jN6thrust23THRUST_200600_302600_NS6detail15normal_iteratorINSA_10device_ptrIxEEEEPS6_NSA_18transform_iteratorI7is_evenIxESF_NSA_11use_defaultESK_EENS0_5tupleIJNSA_16discard_iteratorISK_EESF_EEENSM_IJSG_SG_EEES6_PlJS6_EEE10hipError_tPvRmT3_T4_T5_T6_T7_T9_mT8_P12ihipStream_tbDpT10_ENKUlT_T0_E_clISt17integral_constantIbLb1EES1B_EEDaS16_S17_EUlS16_E_NS1_11comp_targetILNS1_3genE3ELNS1_11target_archE908ELNS1_3gpuE7ELNS1_3repE0EEENS1_30default_config_static_selectorELNS0_4arch9wavefront6targetE1EEEvT1_, .Lfunc_end3238-_ZN7rocprim17ROCPRIM_400000_NS6detail17trampoline_kernelINS0_14default_configENS1_25partition_config_selectorILNS1_17partition_subalgoE1ExNS0_10empty_typeEbEEZZNS1_14partition_implILS5_1ELb0ES3_jN6thrust23THRUST_200600_302600_NS6detail15normal_iteratorINSA_10device_ptrIxEEEEPS6_NSA_18transform_iteratorI7is_evenIxESF_NSA_11use_defaultESK_EENS0_5tupleIJNSA_16discard_iteratorISK_EESF_EEENSM_IJSG_SG_EEES6_PlJS6_EEE10hipError_tPvRmT3_T4_T5_T6_T7_T9_mT8_P12ihipStream_tbDpT10_ENKUlT_T0_E_clISt17integral_constantIbLb1EES1B_EEDaS16_S17_EUlS16_E_NS1_11comp_targetILNS1_3genE3ELNS1_11target_archE908ELNS1_3gpuE7ELNS1_3repE0EEENS1_30default_config_static_selectorELNS0_4arch9wavefront6targetE1EEEvT1_
                                        ; -- End function
	.section	.AMDGPU.csdata,"",@progbits
; Kernel info:
; codeLenInByte = 0
; NumSgprs: 4
; NumVgprs: 0
; NumAgprs: 0
; TotalNumVgprs: 0
; ScratchSize: 0
; MemoryBound: 0
; FloatMode: 240
; IeeeMode: 1
; LDSByteSize: 0 bytes/workgroup (compile time only)
; SGPRBlocks: 0
; VGPRBlocks: 0
; NumSGPRsForWavesPerEU: 4
; NumVGPRsForWavesPerEU: 1
; AccumOffset: 4
; Occupancy: 8
; WaveLimiterHint : 0
; COMPUTE_PGM_RSRC2:SCRATCH_EN: 0
; COMPUTE_PGM_RSRC2:USER_SGPR: 6
; COMPUTE_PGM_RSRC2:TRAP_HANDLER: 0
; COMPUTE_PGM_RSRC2:TGID_X_EN: 1
; COMPUTE_PGM_RSRC2:TGID_Y_EN: 0
; COMPUTE_PGM_RSRC2:TGID_Z_EN: 0
; COMPUTE_PGM_RSRC2:TIDIG_COMP_CNT: 0
; COMPUTE_PGM_RSRC3_GFX90A:ACCUM_OFFSET: 0
; COMPUTE_PGM_RSRC3_GFX90A:TG_SPLIT: 0
	.section	.text._ZN7rocprim17ROCPRIM_400000_NS6detail17trampoline_kernelINS0_14default_configENS1_25partition_config_selectorILNS1_17partition_subalgoE1ExNS0_10empty_typeEbEEZZNS1_14partition_implILS5_1ELb0ES3_jN6thrust23THRUST_200600_302600_NS6detail15normal_iteratorINSA_10device_ptrIxEEEEPS6_NSA_18transform_iteratorI7is_evenIxESF_NSA_11use_defaultESK_EENS0_5tupleIJNSA_16discard_iteratorISK_EESF_EEENSM_IJSG_SG_EEES6_PlJS6_EEE10hipError_tPvRmT3_T4_T5_T6_T7_T9_mT8_P12ihipStream_tbDpT10_ENKUlT_T0_E_clISt17integral_constantIbLb1EES1B_EEDaS16_S17_EUlS16_E_NS1_11comp_targetILNS1_3genE2ELNS1_11target_archE906ELNS1_3gpuE6ELNS1_3repE0EEENS1_30default_config_static_selectorELNS0_4arch9wavefront6targetE1EEEvT1_,"axG",@progbits,_ZN7rocprim17ROCPRIM_400000_NS6detail17trampoline_kernelINS0_14default_configENS1_25partition_config_selectorILNS1_17partition_subalgoE1ExNS0_10empty_typeEbEEZZNS1_14partition_implILS5_1ELb0ES3_jN6thrust23THRUST_200600_302600_NS6detail15normal_iteratorINSA_10device_ptrIxEEEEPS6_NSA_18transform_iteratorI7is_evenIxESF_NSA_11use_defaultESK_EENS0_5tupleIJNSA_16discard_iteratorISK_EESF_EEENSM_IJSG_SG_EEES6_PlJS6_EEE10hipError_tPvRmT3_T4_T5_T6_T7_T9_mT8_P12ihipStream_tbDpT10_ENKUlT_T0_E_clISt17integral_constantIbLb1EES1B_EEDaS16_S17_EUlS16_E_NS1_11comp_targetILNS1_3genE2ELNS1_11target_archE906ELNS1_3gpuE6ELNS1_3repE0EEENS1_30default_config_static_selectorELNS0_4arch9wavefront6targetE1EEEvT1_,comdat
	.protected	_ZN7rocprim17ROCPRIM_400000_NS6detail17trampoline_kernelINS0_14default_configENS1_25partition_config_selectorILNS1_17partition_subalgoE1ExNS0_10empty_typeEbEEZZNS1_14partition_implILS5_1ELb0ES3_jN6thrust23THRUST_200600_302600_NS6detail15normal_iteratorINSA_10device_ptrIxEEEEPS6_NSA_18transform_iteratorI7is_evenIxESF_NSA_11use_defaultESK_EENS0_5tupleIJNSA_16discard_iteratorISK_EESF_EEENSM_IJSG_SG_EEES6_PlJS6_EEE10hipError_tPvRmT3_T4_T5_T6_T7_T9_mT8_P12ihipStream_tbDpT10_ENKUlT_T0_E_clISt17integral_constantIbLb1EES1B_EEDaS16_S17_EUlS16_E_NS1_11comp_targetILNS1_3genE2ELNS1_11target_archE906ELNS1_3gpuE6ELNS1_3repE0EEENS1_30default_config_static_selectorELNS0_4arch9wavefront6targetE1EEEvT1_ ; -- Begin function _ZN7rocprim17ROCPRIM_400000_NS6detail17trampoline_kernelINS0_14default_configENS1_25partition_config_selectorILNS1_17partition_subalgoE1ExNS0_10empty_typeEbEEZZNS1_14partition_implILS5_1ELb0ES3_jN6thrust23THRUST_200600_302600_NS6detail15normal_iteratorINSA_10device_ptrIxEEEEPS6_NSA_18transform_iteratorI7is_evenIxESF_NSA_11use_defaultESK_EENS0_5tupleIJNSA_16discard_iteratorISK_EESF_EEENSM_IJSG_SG_EEES6_PlJS6_EEE10hipError_tPvRmT3_T4_T5_T6_T7_T9_mT8_P12ihipStream_tbDpT10_ENKUlT_T0_E_clISt17integral_constantIbLb1EES1B_EEDaS16_S17_EUlS16_E_NS1_11comp_targetILNS1_3genE2ELNS1_11target_archE906ELNS1_3gpuE6ELNS1_3repE0EEENS1_30default_config_static_selectorELNS0_4arch9wavefront6targetE1EEEvT1_
	.globl	_ZN7rocprim17ROCPRIM_400000_NS6detail17trampoline_kernelINS0_14default_configENS1_25partition_config_selectorILNS1_17partition_subalgoE1ExNS0_10empty_typeEbEEZZNS1_14partition_implILS5_1ELb0ES3_jN6thrust23THRUST_200600_302600_NS6detail15normal_iteratorINSA_10device_ptrIxEEEEPS6_NSA_18transform_iteratorI7is_evenIxESF_NSA_11use_defaultESK_EENS0_5tupleIJNSA_16discard_iteratorISK_EESF_EEENSM_IJSG_SG_EEES6_PlJS6_EEE10hipError_tPvRmT3_T4_T5_T6_T7_T9_mT8_P12ihipStream_tbDpT10_ENKUlT_T0_E_clISt17integral_constantIbLb1EES1B_EEDaS16_S17_EUlS16_E_NS1_11comp_targetILNS1_3genE2ELNS1_11target_archE906ELNS1_3gpuE6ELNS1_3repE0EEENS1_30default_config_static_selectorELNS0_4arch9wavefront6targetE1EEEvT1_
	.p2align	8
	.type	_ZN7rocprim17ROCPRIM_400000_NS6detail17trampoline_kernelINS0_14default_configENS1_25partition_config_selectorILNS1_17partition_subalgoE1ExNS0_10empty_typeEbEEZZNS1_14partition_implILS5_1ELb0ES3_jN6thrust23THRUST_200600_302600_NS6detail15normal_iteratorINSA_10device_ptrIxEEEEPS6_NSA_18transform_iteratorI7is_evenIxESF_NSA_11use_defaultESK_EENS0_5tupleIJNSA_16discard_iteratorISK_EESF_EEENSM_IJSG_SG_EEES6_PlJS6_EEE10hipError_tPvRmT3_T4_T5_T6_T7_T9_mT8_P12ihipStream_tbDpT10_ENKUlT_T0_E_clISt17integral_constantIbLb1EES1B_EEDaS16_S17_EUlS16_E_NS1_11comp_targetILNS1_3genE2ELNS1_11target_archE906ELNS1_3gpuE6ELNS1_3repE0EEENS1_30default_config_static_selectorELNS0_4arch9wavefront6targetE1EEEvT1_,@function
_ZN7rocprim17ROCPRIM_400000_NS6detail17trampoline_kernelINS0_14default_configENS1_25partition_config_selectorILNS1_17partition_subalgoE1ExNS0_10empty_typeEbEEZZNS1_14partition_implILS5_1ELb0ES3_jN6thrust23THRUST_200600_302600_NS6detail15normal_iteratorINSA_10device_ptrIxEEEEPS6_NSA_18transform_iteratorI7is_evenIxESF_NSA_11use_defaultESK_EENS0_5tupleIJNSA_16discard_iteratorISK_EESF_EEENSM_IJSG_SG_EEES6_PlJS6_EEE10hipError_tPvRmT3_T4_T5_T6_T7_T9_mT8_P12ihipStream_tbDpT10_ENKUlT_T0_E_clISt17integral_constantIbLb1EES1B_EEDaS16_S17_EUlS16_E_NS1_11comp_targetILNS1_3genE2ELNS1_11target_archE906ELNS1_3gpuE6ELNS1_3repE0EEENS1_30default_config_static_selectorELNS0_4arch9wavefront6targetE1EEEvT1_: ; @_ZN7rocprim17ROCPRIM_400000_NS6detail17trampoline_kernelINS0_14default_configENS1_25partition_config_selectorILNS1_17partition_subalgoE1ExNS0_10empty_typeEbEEZZNS1_14partition_implILS5_1ELb0ES3_jN6thrust23THRUST_200600_302600_NS6detail15normal_iteratorINSA_10device_ptrIxEEEEPS6_NSA_18transform_iteratorI7is_evenIxESF_NSA_11use_defaultESK_EENS0_5tupleIJNSA_16discard_iteratorISK_EESF_EEENSM_IJSG_SG_EEES6_PlJS6_EEE10hipError_tPvRmT3_T4_T5_T6_T7_T9_mT8_P12ihipStream_tbDpT10_ENKUlT_T0_E_clISt17integral_constantIbLb1EES1B_EEDaS16_S17_EUlS16_E_NS1_11comp_targetILNS1_3genE2ELNS1_11target_archE906ELNS1_3gpuE6ELNS1_3repE0EEENS1_30default_config_static_selectorELNS0_4arch9wavefront6targetE1EEEvT1_
; %bb.0:
	.section	.rodata,"a",@progbits
	.p2align	6, 0x0
	.amdhsa_kernel _ZN7rocprim17ROCPRIM_400000_NS6detail17trampoline_kernelINS0_14default_configENS1_25partition_config_selectorILNS1_17partition_subalgoE1ExNS0_10empty_typeEbEEZZNS1_14partition_implILS5_1ELb0ES3_jN6thrust23THRUST_200600_302600_NS6detail15normal_iteratorINSA_10device_ptrIxEEEEPS6_NSA_18transform_iteratorI7is_evenIxESF_NSA_11use_defaultESK_EENS0_5tupleIJNSA_16discard_iteratorISK_EESF_EEENSM_IJSG_SG_EEES6_PlJS6_EEE10hipError_tPvRmT3_T4_T5_T6_T7_T9_mT8_P12ihipStream_tbDpT10_ENKUlT_T0_E_clISt17integral_constantIbLb1EES1B_EEDaS16_S17_EUlS16_E_NS1_11comp_targetILNS1_3genE2ELNS1_11target_archE906ELNS1_3gpuE6ELNS1_3repE0EEENS1_30default_config_static_selectorELNS0_4arch9wavefront6targetE1EEEvT1_
		.amdhsa_group_segment_fixed_size 0
		.amdhsa_private_segment_fixed_size 0
		.amdhsa_kernarg_size 152
		.amdhsa_user_sgpr_count 6
		.amdhsa_user_sgpr_private_segment_buffer 1
		.amdhsa_user_sgpr_dispatch_ptr 0
		.amdhsa_user_sgpr_queue_ptr 0
		.amdhsa_user_sgpr_kernarg_segment_ptr 1
		.amdhsa_user_sgpr_dispatch_id 0
		.amdhsa_user_sgpr_flat_scratch_init 0
		.amdhsa_user_sgpr_kernarg_preload_length 0
		.amdhsa_user_sgpr_kernarg_preload_offset 0
		.amdhsa_user_sgpr_private_segment_size 0
		.amdhsa_uses_dynamic_stack 0
		.amdhsa_system_sgpr_private_segment_wavefront_offset 0
		.amdhsa_system_sgpr_workgroup_id_x 1
		.amdhsa_system_sgpr_workgroup_id_y 0
		.amdhsa_system_sgpr_workgroup_id_z 0
		.amdhsa_system_sgpr_workgroup_info 0
		.amdhsa_system_vgpr_workitem_id 0
		.amdhsa_next_free_vgpr 1
		.amdhsa_next_free_sgpr 0
		.amdhsa_accum_offset 4
		.amdhsa_reserve_vcc 0
		.amdhsa_reserve_flat_scratch 0
		.amdhsa_float_round_mode_32 0
		.amdhsa_float_round_mode_16_64 0
		.amdhsa_float_denorm_mode_32 3
		.amdhsa_float_denorm_mode_16_64 3
		.amdhsa_dx10_clamp 1
		.amdhsa_ieee_mode 1
		.amdhsa_fp16_overflow 0
		.amdhsa_tg_split 0
		.amdhsa_exception_fp_ieee_invalid_op 0
		.amdhsa_exception_fp_denorm_src 0
		.amdhsa_exception_fp_ieee_div_zero 0
		.amdhsa_exception_fp_ieee_overflow 0
		.amdhsa_exception_fp_ieee_underflow 0
		.amdhsa_exception_fp_ieee_inexact 0
		.amdhsa_exception_int_div_zero 0
	.end_amdhsa_kernel
	.section	.text._ZN7rocprim17ROCPRIM_400000_NS6detail17trampoline_kernelINS0_14default_configENS1_25partition_config_selectorILNS1_17partition_subalgoE1ExNS0_10empty_typeEbEEZZNS1_14partition_implILS5_1ELb0ES3_jN6thrust23THRUST_200600_302600_NS6detail15normal_iteratorINSA_10device_ptrIxEEEEPS6_NSA_18transform_iteratorI7is_evenIxESF_NSA_11use_defaultESK_EENS0_5tupleIJNSA_16discard_iteratorISK_EESF_EEENSM_IJSG_SG_EEES6_PlJS6_EEE10hipError_tPvRmT3_T4_T5_T6_T7_T9_mT8_P12ihipStream_tbDpT10_ENKUlT_T0_E_clISt17integral_constantIbLb1EES1B_EEDaS16_S17_EUlS16_E_NS1_11comp_targetILNS1_3genE2ELNS1_11target_archE906ELNS1_3gpuE6ELNS1_3repE0EEENS1_30default_config_static_selectorELNS0_4arch9wavefront6targetE1EEEvT1_,"axG",@progbits,_ZN7rocprim17ROCPRIM_400000_NS6detail17trampoline_kernelINS0_14default_configENS1_25partition_config_selectorILNS1_17partition_subalgoE1ExNS0_10empty_typeEbEEZZNS1_14partition_implILS5_1ELb0ES3_jN6thrust23THRUST_200600_302600_NS6detail15normal_iteratorINSA_10device_ptrIxEEEEPS6_NSA_18transform_iteratorI7is_evenIxESF_NSA_11use_defaultESK_EENS0_5tupleIJNSA_16discard_iteratorISK_EESF_EEENSM_IJSG_SG_EEES6_PlJS6_EEE10hipError_tPvRmT3_T4_T5_T6_T7_T9_mT8_P12ihipStream_tbDpT10_ENKUlT_T0_E_clISt17integral_constantIbLb1EES1B_EEDaS16_S17_EUlS16_E_NS1_11comp_targetILNS1_3genE2ELNS1_11target_archE906ELNS1_3gpuE6ELNS1_3repE0EEENS1_30default_config_static_selectorELNS0_4arch9wavefront6targetE1EEEvT1_,comdat
.Lfunc_end3239:
	.size	_ZN7rocprim17ROCPRIM_400000_NS6detail17trampoline_kernelINS0_14default_configENS1_25partition_config_selectorILNS1_17partition_subalgoE1ExNS0_10empty_typeEbEEZZNS1_14partition_implILS5_1ELb0ES3_jN6thrust23THRUST_200600_302600_NS6detail15normal_iteratorINSA_10device_ptrIxEEEEPS6_NSA_18transform_iteratorI7is_evenIxESF_NSA_11use_defaultESK_EENS0_5tupleIJNSA_16discard_iteratorISK_EESF_EEENSM_IJSG_SG_EEES6_PlJS6_EEE10hipError_tPvRmT3_T4_T5_T6_T7_T9_mT8_P12ihipStream_tbDpT10_ENKUlT_T0_E_clISt17integral_constantIbLb1EES1B_EEDaS16_S17_EUlS16_E_NS1_11comp_targetILNS1_3genE2ELNS1_11target_archE906ELNS1_3gpuE6ELNS1_3repE0EEENS1_30default_config_static_selectorELNS0_4arch9wavefront6targetE1EEEvT1_, .Lfunc_end3239-_ZN7rocprim17ROCPRIM_400000_NS6detail17trampoline_kernelINS0_14default_configENS1_25partition_config_selectorILNS1_17partition_subalgoE1ExNS0_10empty_typeEbEEZZNS1_14partition_implILS5_1ELb0ES3_jN6thrust23THRUST_200600_302600_NS6detail15normal_iteratorINSA_10device_ptrIxEEEEPS6_NSA_18transform_iteratorI7is_evenIxESF_NSA_11use_defaultESK_EENS0_5tupleIJNSA_16discard_iteratorISK_EESF_EEENSM_IJSG_SG_EEES6_PlJS6_EEE10hipError_tPvRmT3_T4_T5_T6_T7_T9_mT8_P12ihipStream_tbDpT10_ENKUlT_T0_E_clISt17integral_constantIbLb1EES1B_EEDaS16_S17_EUlS16_E_NS1_11comp_targetILNS1_3genE2ELNS1_11target_archE906ELNS1_3gpuE6ELNS1_3repE0EEENS1_30default_config_static_selectorELNS0_4arch9wavefront6targetE1EEEvT1_
                                        ; -- End function
	.section	.AMDGPU.csdata,"",@progbits
; Kernel info:
; codeLenInByte = 0
; NumSgprs: 4
; NumVgprs: 0
; NumAgprs: 0
; TotalNumVgprs: 0
; ScratchSize: 0
; MemoryBound: 0
; FloatMode: 240
; IeeeMode: 1
; LDSByteSize: 0 bytes/workgroup (compile time only)
; SGPRBlocks: 0
; VGPRBlocks: 0
; NumSGPRsForWavesPerEU: 4
; NumVGPRsForWavesPerEU: 1
; AccumOffset: 4
; Occupancy: 8
; WaveLimiterHint : 0
; COMPUTE_PGM_RSRC2:SCRATCH_EN: 0
; COMPUTE_PGM_RSRC2:USER_SGPR: 6
; COMPUTE_PGM_RSRC2:TRAP_HANDLER: 0
; COMPUTE_PGM_RSRC2:TGID_X_EN: 1
; COMPUTE_PGM_RSRC2:TGID_Y_EN: 0
; COMPUTE_PGM_RSRC2:TGID_Z_EN: 0
; COMPUTE_PGM_RSRC2:TIDIG_COMP_CNT: 0
; COMPUTE_PGM_RSRC3_GFX90A:ACCUM_OFFSET: 0
; COMPUTE_PGM_RSRC3_GFX90A:TG_SPLIT: 0
	.section	.text._ZN7rocprim17ROCPRIM_400000_NS6detail17trampoline_kernelINS0_14default_configENS1_25partition_config_selectorILNS1_17partition_subalgoE1ExNS0_10empty_typeEbEEZZNS1_14partition_implILS5_1ELb0ES3_jN6thrust23THRUST_200600_302600_NS6detail15normal_iteratorINSA_10device_ptrIxEEEEPS6_NSA_18transform_iteratorI7is_evenIxESF_NSA_11use_defaultESK_EENS0_5tupleIJNSA_16discard_iteratorISK_EESF_EEENSM_IJSG_SG_EEES6_PlJS6_EEE10hipError_tPvRmT3_T4_T5_T6_T7_T9_mT8_P12ihipStream_tbDpT10_ENKUlT_T0_E_clISt17integral_constantIbLb1EES1B_EEDaS16_S17_EUlS16_E_NS1_11comp_targetILNS1_3genE10ELNS1_11target_archE1200ELNS1_3gpuE4ELNS1_3repE0EEENS1_30default_config_static_selectorELNS0_4arch9wavefront6targetE1EEEvT1_,"axG",@progbits,_ZN7rocprim17ROCPRIM_400000_NS6detail17trampoline_kernelINS0_14default_configENS1_25partition_config_selectorILNS1_17partition_subalgoE1ExNS0_10empty_typeEbEEZZNS1_14partition_implILS5_1ELb0ES3_jN6thrust23THRUST_200600_302600_NS6detail15normal_iteratorINSA_10device_ptrIxEEEEPS6_NSA_18transform_iteratorI7is_evenIxESF_NSA_11use_defaultESK_EENS0_5tupleIJNSA_16discard_iteratorISK_EESF_EEENSM_IJSG_SG_EEES6_PlJS6_EEE10hipError_tPvRmT3_T4_T5_T6_T7_T9_mT8_P12ihipStream_tbDpT10_ENKUlT_T0_E_clISt17integral_constantIbLb1EES1B_EEDaS16_S17_EUlS16_E_NS1_11comp_targetILNS1_3genE10ELNS1_11target_archE1200ELNS1_3gpuE4ELNS1_3repE0EEENS1_30default_config_static_selectorELNS0_4arch9wavefront6targetE1EEEvT1_,comdat
	.protected	_ZN7rocprim17ROCPRIM_400000_NS6detail17trampoline_kernelINS0_14default_configENS1_25partition_config_selectorILNS1_17partition_subalgoE1ExNS0_10empty_typeEbEEZZNS1_14partition_implILS5_1ELb0ES3_jN6thrust23THRUST_200600_302600_NS6detail15normal_iteratorINSA_10device_ptrIxEEEEPS6_NSA_18transform_iteratorI7is_evenIxESF_NSA_11use_defaultESK_EENS0_5tupleIJNSA_16discard_iteratorISK_EESF_EEENSM_IJSG_SG_EEES6_PlJS6_EEE10hipError_tPvRmT3_T4_T5_T6_T7_T9_mT8_P12ihipStream_tbDpT10_ENKUlT_T0_E_clISt17integral_constantIbLb1EES1B_EEDaS16_S17_EUlS16_E_NS1_11comp_targetILNS1_3genE10ELNS1_11target_archE1200ELNS1_3gpuE4ELNS1_3repE0EEENS1_30default_config_static_selectorELNS0_4arch9wavefront6targetE1EEEvT1_ ; -- Begin function _ZN7rocprim17ROCPRIM_400000_NS6detail17trampoline_kernelINS0_14default_configENS1_25partition_config_selectorILNS1_17partition_subalgoE1ExNS0_10empty_typeEbEEZZNS1_14partition_implILS5_1ELb0ES3_jN6thrust23THRUST_200600_302600_NS6detail15normal_iteratorINSA_10device_ptrIxEEEEPS6_NSA_18transform_iteratorI7is_evenIxESF_NSA_11use_defaultESK_EENS0_5tupleIJNSA_16discard_iteratorISK_EESF_EEENSM_IJSG_SG_EEES6_PlJS6_EEE10hipError_tPvRmT3_T4_T5_T6_T7_T9_mT8_P12ihipStream_tbDpT10_ENKUlT_T0_E_clISt17integral_constantIbLb1EES1B_EEDaS16_S17_EUlS16_E_NS1_11comp_targetILNS1_3genE10ELNS1_11target_archE1200ELNS1_3gpuE4ELNS1_3repE0EEENS1_30default_config_static_selectorELNS0_4arch9wavefront6targetE1EEEvT1_
	.globl	_ZN7rocprim17ROCPRIM_400000_NS6detail17trampoline_kernelINS0_14default_configENS1_25partition_config_selectorILNS1_17partition_subalgoE1ExNS0_10empty_typeEbEEZZNS1_14partition_implILS5_1ELb0ES3_jN6thrust23THRUST_200600_302600_NS6detail15normal_iteratorINSA_10device_ptrIxEEEEPS6_NSA_18transform_iteratorI7is_evenIxESF_NSA_11use_defaultESK_EENS0_5tupleIJNSA_16discard_iteratorISK_EESF_EEENSM_IJSG_SG_EEES6_PlJS6_EEE10hipError_tPvRmT3_T4_T5_T6_T7_T9_mT8_P12ihipStream_tbDpT10_ENKUlT_T0_E_clISt17integral_constantIbLb1EES1B_EEDaS16_S17_EUlS16_E_NS1_11comp_targetILNS1_3genE10ELNS1_11target_archE1200ELNS1_3gpuE4ELNS1_3repE0EEENS1_30default_config_static_selectorELNS0_4arch9wavefront6targetE1EEEvT1_
	.p2align	8
	.type	_ZN7rocprim17ROCPRIM_400000_NS6detail17trampoline_kernelINS0_14default_configENS1_25partition_config_selectorILNS1_17partition_subalgoE1ExNS0_10empty_typeEbEEZZNS1_14partition_implILS5_1ELb0ES3_jN6thrust23THRUST_200600_302600_NS6detail15normal_iteratorINSA_10device_ptrIxEEEEPS6_NSA_18transform_iteratorI7is_evenIxESF_NSA_11use_defaultESK_EENS0_5tupleIJNSA_16discard_iteratorISK_EESF_EEENSM_IJSG_SG_EEES6_PlJS6_EEE10hipError_tPvRmT3_T4_T5_T6_T7_T9_mT8_P12ihipStream_tbDpT10_ENKUlT_T0_E_clISt17integral_constantIbLb1EES1B_EEDaS16_S17_EUlS16_E_NS1_11comp_targetILNS1_3genE10ELNS1_11target_archE1200ELNS1_3gpuE4ELNS1_3repE0EEENS1_30default_config_static_selectorELNS0_4arch9wavefront6targetE1EEEvT1_,@function
_ZN7rocprim17ROCPRIM_400000_NS6detail17trampoline_kernelINS0_14default_configENS1_25partition_config_selectorILNS1_17partition_subalgoE1ExNS0_10empty_typeEbEEZZNS1_14partition_implILS5_1ELb0ES3_jN6thrust23THRUST_200600_302600_NS6detail15normal_iteratorINSA_10device_ptrIxEEEEPS6_NSA_18transform_iteratorI7is_evenIxESF_NSA_11use_defaultESK_EENS0_5tupleIJNSA_16discard_iteratorISK_EESF_EEENSM_IJSG_SG_EEES6_PlJS6_EEE10hipError_tPvRmT3_T4_T5_T6_T7_T9_mT8_P12ihipStream_tbDpT10_ENKUlT_T0_E_clISt17integral_constantIbLb1EES1B_EEDaS16_S17_EUlS16_E_NS1_11comp_targetILNS1_3genE10ELNS1_11target_archE1200ELNS1_3gpuE4ELNS1_3repE0EEENS1_30default_config_static_selectorELNS0_4arch9wavefront6targetE1EEEvT1_: ; @_ZN7rocprim17ROCPRIM_400000_NS6detail17trampoline_kernelINS0_14default_configENS1_25partition_config_selectorILNS1_17partition_subalgoE1ExNS0_10empty_typeEbEEZZNS1_14partition_implILS5_1ELb0ES3_jN6thrust23THRUST_200600_302600_NS6detail15normal_iteratorINSA_10device_ptrIxEEEEPS6_NSA_18transform_iteratorI7is_evenIxESF_NSA_11use_defaultESK_EENS0_5tupleIJNSA_16discard_iteratorISK_EESF_EEENSM_IJSG_SG_EEES6_PlJS6_EEE10hipError_tPvRmT3_T4_T5_T6_T7_T9_mT8_P12ihipStream_tbDpT10_ENKUlT_T0_E_clISt17integral_constantIbLb1EES1B_EEDaS16_S17_EUlS16_E_NS1_11comp_targetILNS1_3genE10ELNS1_11target_archE1200ELNS1_3gpuE4ELNS1_3repE0EEENS1_30default_config_static_selectorELNS0_4arch9wavefront6targetE1EEEvT1_
; %bb.0:
	.section	.rodata,"a",@progbits
	.p2align	6, 0x0
	.amdhsa_kernel _ZN7rocprim17ROCPRIM_400000_NS6detail17trampoline_kernelINS0_14default_configENS1_25partition_config_selectorILNS1_17partition_subalgoE1ExNS0_10empty_typeEbEEZZNS1_14partition_implILS5_1ELb0ES3_jN6thrust23THRUST_200600_302600_NS6detail15normal_iteratorINSA_10device_ptrIxEEEEPS6_NSA_18transform_iteratorI7is_evenIxESF_NSA_11use_defaultESK_EENS0_5tupleIJNSA_16discard_iteratorISK_EESF_EEENSM_IJSG_SG_EEES6_PlJS6_EEE10hipError_tPvRmT3_T4_T5_T6_T7_T9_mT8_P12ihipStream_tbDpT10_ENKUlT_T0_E_clISt17integral_constantIbLb1EES1B_EEDaS16_S17_EUlS16_E_NS1_11comp_targetILNS1_3genE10ELNS1_11target_archE1200ELNS1_3gpuE4ELNS1_3repE0EEENS1_30default_config_static_selectorELNS0_4arch9wavefront6targetE1EEEvT1_
		.amdhsa_group_segment_fixed_size 0
		.amdhsa_private_segment_fixed_size 0
		.amdhsa_kernarg_size 152
		.amdhsa_user_sgpr_count 6
		.amdhsa_user_sgpr_private_segment_buffer 1
		.amdhsa_user_sgpr_dispatch_ptr 0
		.amdhsa_user_sgpr_queue_ptr 0
		.amdhsa_user_sgpr_kernarg_segment_ptr 1
		.amdhsa_user_sgpr_dispatch_id 0
		.amdhsa_user_sgpr_flat_scratch_init 0
		.amdhsa_user_sgpr_kernarg_preload_length 0
		.amdhsa_user_sgpr_kernarg_preload_offset 0
		.amdhsa_user_sgpr_private_segment_size 0
		.amdhsa_uses_dynamic_stack 0
		.amdhsa_system_sgpr_private_segment_wavefront_offset 0
		.amdhsa_system_sgpr_workgroup_id_x 1
		.amdhsa_system_sgpr_workgroup_id_y 0
		.amdhsa_system_sgpr_workgroup_id_z 0
		.amdhsa_system_sgpr_workgroup_info 0
		.amdhsa_system_vgpr_workitem_id 0
		.amdhsa_next_free_vgpr 1
		.amdhsa_next_free_sgpr 0
		.amdhsa_accum_offset 4
		.amdhsa_reserve_vcc 0
		.amdhsa_reserve_flat_scratch 0
		.amdhsa_float_round_mode_32 0
		.amdhsa_float_round_mode_16_64 0
		.amdhsa_float_denorm_mode_32 3
		.amdhsa_float_denorm_mode_16_64 3
		.amdhsa_dx10_clamp 1
		.amdhsa_ieee_mode 1
		.amdhsa_fp16_overflow 0
		.amdhsa_tg_split 0
		.amdhsa_exception_fp_ieee_invalid_op 0
		.amdhsa_exception_fp_denorm_src 0
		.amdhsa_exception_fp_ieee_div_zero 0
		.amdhsa_exception_fp_ieee_overflow 0
		.amdhsa_exception_fp_ieee_underflow 0
		.amdhsa_exception_fp_ieee_inexact 0
		.amdhsa_exception_int_div_zero 0
	.end_amdhsa_kernel
	.section	.text._ZN7rocprim17ROCPRIM_400000_NS6detail17trampoline_kernelINS0_14default_configENS1_25partition_config_selectorILNS1_17partition_subalgoE1ExNS0_10empty_typeEbEEZZNS1_14partition_implILS5_1ELb0ES3_jN6thrust23THRUST_200600_302600_NS6detail15normal_iteratorINSA_10device_ptrIxEEEEPS6_NSA_18transform_iteratorI7is_evenIxESF_NSA_11use_defaultESK_EENS0_5tupleIJNSA_16discard_iteratorISK_EESF_EEENSM_IJSG_SG_EEES6_PlJS6_EEE10hipError_tPvRmT3_T4_T5_T6_T7_T9_mT8_P12ihipStream_tbDpT10_ENKUlT_T0_E_clISt17integral_constantIbLb1EES1B_EEDaS16_S17_EUlS16_E_NS1_11comp_targetILNS1_3genE10ELNS1_11target_archE1200ELNS1_3gpuE4ELNS1_3repE0EEENS1_30default_config_static_selectorELNS0_4arch9wavefront6targetE1EEEvT1_,"axG",@progbits,_ZN7rocprim17ROCPRIM_400000_NS6detail17trampoline_kernelINS0_14default_configENS1_25partition_config_selectorILNS1_17partition_subalgoE1ExNS0_10empty_typeEbEEZZNS1_14partition_implILS5_1ELb0ES3_jN6thrust23THRUST_200600_302600_NS6detail15normal_iteratorINSA_10device_ptrIxEEEEPS6_NSA_18transform_iteratorI7is_evenIxESF_NSA_11use_defaultESK_EENS0_5tupleIJNSA_16discard_iteratorISK_EESF_EEENSM_IJSG_SG_EEES6_PlJS6_EEE10hipError_tPvRmT3_T4_T5_T6_T7_T9_mT8_P12ihipStream_tbDpT10_ENKUlT_T0_E_clISt17integral_constantIbLb1EES1B_EEDaS16_S17_EUlS16_E_NS1_11comp_targetILNS1_3genE10ELNS1_11target_archE1200ELNS1_3gpuE4ELNS1_3repE0EEENS1_30default_config_static_selectorELNS0_4arch9wavefront6targetE1EEEvT1_,comdat
.Lfunc_end3240:
	.size	_ZN7rocprim17ROCPRIM_400000_NS6detail17trampoline_kernelINS0_14default_configENS1_25partition_config_selectorILNS1_17partition_subalgoE1ExNS0_10empty_typeEbEEZZNS1_14partition_implILS5_1ELb0ES3_jN6thrust23THRUST_200600_302600_NS6detail15normal_iteratorINSA_10device_ptrIxEEEEPS6_NSA_18transform_iteratorI7is_evenIxESF_NSA_11use_defaultESK_EENS0_5tupleIJNSA_16discard_iteratorISK_EESF_EEENSM_IJSG_SG_EEES6_PlJS6_EEE10hipError_tPvRmT3_T4_T5_T6_T7_T9_mT8_P12ihipStream_tbDpT10_ENKUlT_T0_E_clISt17integral_constantIbLb1EES1B_EEDaS16_S17_EUlS16_E_NS1_11comp_targetILNS1_3genE10ELNS1_11target_archE1200ELNS1_3gpuE4ELNS1_3repE0EEENS1_30default_config_static_selectorELNS0_4arch9wavefront6targetE1EEEvT1_, .Lfunc_end3240-_ZN7rocprim17ROCPRIM_400000_NS6detail17trampoline_kernelINS0_14default_configENS1_25partition_config_selectorILNS1_17partition_subalgoE1ExNS0_10empty_typeEbEEZZNS1_14partition_implILS5_1ELb0ES3_jN6thrust23THRUST_200600_302600_NS6detail15normal_iteratorINSA_10device_ptrIxEEEEPS6_NSA_18transform_iteratorI7is_evenIxESF_NSA_11use_defaultESK_EENS0_5tupleIJNSA_16discard_iteratorISK_EESF_EEENSM_IJSG_SG_EEES6_PlJS6_EEE10hipError_tPvRmT3_T4_T5_T6_T7_T9_mT8_P12ihipStream_tbDpT10_ENKUlT_T0_E_clISt17integral_constantIbLb1EES1B_EEDaS16_S17_EUlS16_E_NS1_11comp_targetILNS1_3genE10ELNS1_11target_archE1200ELNS1_3gpuE4ELNS1_3repE0EEENS1_30default_config_static_selectorELNS0_4arch9wavefront6targetE1EEEvT1_
                                        ; -- End function
	.section	.AMDGPU.csdata,"",@progbits
; Kernel info:
; codeLenInByte = 0
; NumSgprs: 4
; NumVgprs: 0
; NumAgprs: 0
; TotalNumVgprs: 0
; ScratchSize: 0
; MemoryBound: 0
; FloatMode: 240
; IeeeMode: 1
; LDSByteSize: 0 bytes/workgroup (compile time only)
; SGPRBlocks: 0
; VGPRBlocks: 0
; NumSGPRsForWavesPerEU: 4
; NumVGPRsForWavesPerEU: 1
; AccumOffset: 4
; Occupancy: 8
; WaveLimiterHint : 0
; COMPUTE_PGM_RSRC2:SCRATCH_EN: 0
; COMPUTE_PGM_RSRC2:USER_SGPR: 6
; COMPUTE_PGM_RSRC2:TRAP_HANDLER: 0
; COMPUTE_PGM_RSRC2:TGID_X_EN: 1
; COMPUTE_PGM_RSRC2:TGID_Y_EN: 0
; COMPUTE_PGM_RSRC2:TGID_Z_EN: 0
; COMPUTE_PGM_RSRC2:TIDIG_COMP_CNT: 0
; COMPUTE_PGM_RSRC3_GFX90A:ACCUM_OFFSET: 0
; COMPUTE_PGM_RSRC3_GFX90A:TG_SPLIT: 0
	.section	.text._ZN7rocprim17ROCPRIM_400000_NS6detail17trampoline_kernelINS0_14default_configENS1_25partition_config_selectorILNS1_17partition_subalgoE1ExNS0_10empty_typeEbEEZZNS1_14partition_implILS5_1ELb0ES3_jN6thrust23THRUST_200600_302600_NS6detail15normal_iteratorINSA_10device_ptrIxEEEEPS6_NSA_18transform_iteratorI7is_evenIxESF_NSA_11use_defaultESK_EENS0_5tupleIJNSA_16discard_iteratorISK_EESF_EEENSM_IJSG_SG_EEES6_PlJS6_EEE10hipError_tPvRmT3_T4_T5_T6_T7_T9_mT8_P12ihipStream_tbDpT10_ENKUlT_T0_E_clISt17integral_constantIbLb1EES1B_EEDaS16_S17_EUlS16_E_NS1_11comp_targetILNS1_3genE9ELNS1_11target_archE1100ELNS1_3gpuE3ELNS1_3repE0EEENS1_30default_config_static_selectorELNS0_4arch9wavefront6targetE1EEEvT1_,"axG",@progbits,_ZN7rocprim17ROCPRIM_400000_NS6detail17trampoline_kernelINS0_14default_configENS1_25partition_config_selectorILNS1_17partition_subalgoE1ExNS0_10empty_typeEbEEZZNS1_14partition_implILS5_1ELb0ES3_jN6thrust23THRUST_200600_302600_NS6detail15normal_iteratorINSA_10device_ptrIxEEEEPS6_NSA_18transform_iteratorI7is_evenIxESF_NSA_11use_defaultESK_EENS0_5tupleIJNSA_16discard_iteratorISK_EESF_EEENSM_IJSG_SG_EEES6_PlJS6_EEE10hipError_tPvRmT3_T4_T5_T6_T7_T9_mT8_P12ihipStream_tbDpT10_ENKUlT_T0_E_clISt17integral_constantIbLb1EES1B_EEDaS16_S17_EUlS16_E_NS1_11comp_targetILNS1_3genE9ELNS1_11target_archE1100ELNS1_3gpuE3ELNS1_3repE0EEENS1_30default_config_static_selectorELNS0_4arch9wavefront6targetE1EEEvT1_,comdat
	.protected	_ZN7rocprim17ROCPRIM_400000_NS6detail17trampoline_kernelINS0_14default_configENS1_25partition_config_selectorILNS1_17partition_subalgoE1ExNS0_10empty_typeEbEEZZNS1_14partition_implILS5_1ELb0ES3_jN6thrust23THRUST_200600_302600_NS6detail15normal_iteratorINSA_10device_ptrIxEEEEPS6_NSA_18transform_iteratorI7is_evenIxESF_NSA_11use_defaultESK_EENS0_5tupleIJNSA_16discard_iteratorISK_EESF_EEENSM_IJSG_SG_EEES6_PlJS6_EEE10hipError_tPvRmT3_T4_T5_T6_T7_T9_mT8_P12ihipStream_tbDpT10_ENKUlT_T0_E_clISt17integral_constantIbLb1EES1B_EEDaS16_S17_EUlS16_E_NS1_11comp_targetILNS1_3genE9ELNS1_11target_archE1100ELNS1_3gpuE3ELNS1_3repE0EEENS1_30default_config_static_selectorELNS0_4arch9wavefront6targetE1EEEvT1_ ; -- Begin function _ZN7rocprim17ROCPRIM_400000_NS6detail17trampoline_kernelINS0_14default_configENS1_25partition_config_selectorILNS1_17partition_subalgoE1ExNS0_10empty_typeEbEEZZNS1_14partition_implILS5_1ELb0ES3_jN6thrust23THRUST_200600_302600_NS6detail15normal_iteratorINSA_10device_ptrIxEEEEPS6_NSA_18transform_iteratorI7is_evenIxESF_NSA_11use_defaultESK_EENS0_5tupleIJNSA_16discard_iteratorISK_EESF_EEENSM_IJSG_SG_EEES6_PlJS6_EEE10hipError_tPvRmT3_T4_T5_T6_T7_T9_mT8_P12ihipStream_tbDpT10_ENKUlT_T0_E_clISt17integral_constantIbLb1EES1B_EEDaS16_S17_EUlS16_E_NS1_11comp_targetILNS1_3genE9ELNS1_11target_archE1100ELNS1_3gpuE3ELNS1_3repE0EEENS1_30default_config_static_selectorELNS0_4arch9wavefront6targetE1EEEvT1_
	.globl	_ZN7rocprim17ROCPRIM_400000_NS6detail17trampoline_kernelINS0_14default_configENS1_25partition_config_selectorILNS1_17partition_subalgoE1ExNS0_10empty_typeEbEEZZNS1_14partition_implILS5_1ELb0ES3_jN6thrust23THRUST_200600_302600_NS6detail15normal_iteratorINSA_10device_ptrIxEEEEPS6_NSA_18transform_iteratorI7is_evenIxESF_NSA_11use_defaultESK_EENS0_5tupleIJNSA_16discard_iteratorISK_EESF_EEENSM_IJSG_SG_EEES6_PlJS6_EEE10hipError_tPvRmT3_T4_T5_T6_T7_T9_mT8_P12ihipStream_tbDpT10_ENKUlT_T0_E_clISt17integral_constantIbLb1EES1B_EEDaS16_S17_EUlS16_E_NS1_11comp_targetILNS1_3genE9ELNS1_11target_archE1100ELNS1_3gpuE3ELNS1_3repE0EEENS1_30default_config_static_selectorELNS0_4arch9wavefront6targetE1EEEvT1_
	.p2align	8
	.type	_ZN7rocprim17ROCPRIM_400000_NS6detail17trampoline_kernelINS0_14default_configENS1_25partition_config_selectorILNS1_17partition_subalgoE1ExNS0_10empty_typeEbEEZZNS1_14partition_implILS5_1ELb0ES3_jN6thrust23THRUST_200600_302600_NS6detail15normal_iteratorINSA_10device_ptrIxEEEEPS6_NSA_18transform_iteratorI7is_evenIxESF_NSA_11use_defaultESK_EENS0_5tupleIJNSA_16discard_iteratorISK_EESF_EEENSM_IJSG_SG_EEES6_PlJS6_EEE10hipError_tPvRmT3_T4_T5_T6_T7_T9_mT8_P12ihipStream_tbDpT10_ENKUlT_T0_E_clISt17integral_constantIbLb1EES1B_EEDaS16_S17_EUlS16_E_NS1_11comp_targetILNS1_3genE9ELNS1_11target_archE1100ELNS1_3gpuE3ELNS1_3repE0EEENS1_30default_config_static_selectorELNS0_4arch9wavefront6targetE1EEEvT1_,@function
_ZN7rocprim17ROCPRIM_400000_NS6detail17trampoline_kernelINS0_14default_configENS1_25partition_config_selectorILNS1_17partition_subalgoE1ExNS0_10empty_typeEbEEZZNS1_14partition_implILS5_1ELb0ES3_jN6thrust23THRUST_200600_302600_NS6detail15normal_iteratorINSA_10device_ptrIxEEEEPS6_NSA_18transform_iteratorI7is_evenIxESF_NSA_11use_defaultESK_EENS0_5tupleIJNSA_16discard_iteratorISK_EESF_EEENSM_IJSG_SG_EEES6_PlJS6_EEE10hipError_tPvRmT3_T4_T5_T6_T7_T9_mT8_P12ihipStream_tbDpT10_ENKUlT_T0_E_clISt17integral_constantIbLb1EES1B_EEDaS16_S17_EUlS16_E_NS1_11comp_targetILNS1_3genE9ELNS1_11target_archE1100ELNS1_3gpuE3ELNS1_3repE0EEENS1_30default_config_static_selectorELNS0_4arch9wavefront6targetE1EEEvT1_: ; @_ZN7rocprim17ROCPRIM_400000_NS6detail17trampoline_kernelINS0_14default_configENS1_25partition_config_selectorILNS1_17partition_subalgoE1ExNS0_10empty_typeEbEEZZNS1_14partition_implILS5_1ELb0ES3_jN6thrust23THRUST_200600_302600_NS6detail15normal_iteratorINSA_10device_ptrIxEEEEPS6_NSA_18transform_iteratorI7is_evenIxESF_NSA_11use_defaultESK_EENS0_5tupleIJNSA_16discard_iteratorISK_EESF_EEENSM_IJSG_SG_EEES6_PlJS6_EEE10hipError_tPvRmT3_T4_T5_T6_T7_T9_mT8_P12ihipStream_tbDpT10_ENKUlT_T0_E_clISt17integral_constantIbLb1EES1B_EEDaS16_S17_EUlS16_E_NS1_11comp_targetILNS1_3genE9ELNS1_11target_archE1100ELNS1_3gpuE3ELNS1_3repE0EEENS1_30default_config_static_selectorELNS0_4arch9wavefront6targetE1EEEvT1_
; %bb.0:
	.section	.rodata,"a",@progbits
	.p2align	6, 0x0
	.amdhsa_kernel _ZN7rocprim17ROCPRIM_400000_NS6detail17trampoline_kernelINS0_14default_configENS1_25partition_config_selectorILNS1_17partition_subalgoE1ExNS0_10empty_typeEbEEZZNS1_14partition_implILS5_1ELb0ES3_jN6thrust23THRUST_200600_302600_NS6detail15normal_iteratorINSA_10device_ptrIxEEEEPS6_NSA_18transform_iteratorI7is_evenIxESF_NSA_11use_defaultESK_EENS0_5tupleIJNSA_16discard_iteratorISK_EESF_EEENSM_IJSG_SG_EEES6_PlJS6_EEE10hipError_tPvRmT3_T4_T5_T6_T7_T9_mT8_P12ihipStream_tbDpT10_ENKUlT_T0_E_clISt17integral_constantIbLb1EES1B_EEDaS16_S17_EUlS16_E_NS1_11comp_targetILNS1_3genE9ELNS1_11target_archE1100ELNS1_3gpuE3ELNS1_3repE0EEENS1_30default_config_static_selectorELNS0_4arch9wavefront6targetE1EEEvT1_
		.amdhsa_group_segment_fixed_size 0
		.amdhsa_private_segment_fixed_size 0
		.amdhsa_kernarg_size 152
		.amdhsa_user_sgpr_count 6
		.amdhsa_user_sgpr_private_segment_buffer 1
		.amdhsa_user_sgpr_dispatch_ptr 0
		.amdhsa_user_sgpr_queue_ptr 0
		.amdhsa_user_sgpr_kernarg_segment_ptr 1
		.amdhsa_user_sgpr_dispatch_id 0
		.amdhsa_user_sgpr_flat_scratch_init 0
		.amdhsa_user_sgpr_kernarg_preload_length 0
		.amdhsa_user_sgpr_kernarg_preload_offset 0
		.amdhsa_user_sgpr_private_segment_size 0
		.amdhsa_uses_dynamic_stack 0
		.amdhsa_system_sgpr_private_segment_wavefront_offset 0
		.amdhsa_system_sgpr_workgroup_id_x 1
		.amdhsa_system_sgpr_workgroup_id_y 0
		.amdhsa_system_sgpr_workgroup_id_z 0
		.amdhsa_system_sgpr_workgroup_info 0
		.amdhsa_system_vgpr_workitem_id 0
		.amdhsa_next_free_vgpr 1
		.amdhsa_next_free_sgpr 0
		.amdhsa_accum_offset 4
		.amdhsa_reserve_vcc 0
		.amdhsa_reserve_flat_scratch 0
		.amdhsa_float_round_mode_32 0
		.amdhsa_float_round_mode_16_64 0
		.amdhsa_float_denorm_mode_32 3
		.amdhsa_float_denorm_mode_16_64 3
		.amdhsa_dx10_clamp 1
		.amdhsa_ieee_mode 1
		.amdhsa_fp16_overflow 0
		.amdhsa_tg_split 0
		.amdhsa_exception_fp_ieee_invalid_op 0
		.amdhsa_exception_fp_denorm_src 0
		.amdhsa_exception_fp_ieee_div_zero 0
		.amdhsa_exception_fp_ieee_overflow 0
		.amdhsa_exception_fp_ieee_underflow 0
		.amdhsa_exception_fp_ieee_inexact 0
		.amdhsa_exception_int_div_zero 0
	.end_amdhsa_kernel
	.section	.text._ZN7rocprim17ROCPRIM_400000_NS6detail17trampoline_kernelINS0_14default_configENS1_25partition_config_selectorILNS1_17partition_subalgoE1ExNS0_10empty_typeEbEEZZNS1_14partition_implILS5_1ELb0ES3_jN6thrust23THRUST_200600_302600_NS6detail15normal_iteratorINSA_10device_ptrIxEEEEPS6_NSA_18transform_iteratorI7is_evenIxESF_NSA_11use_defaultESK_EENS0_5tupleIJNSA_16discard_iteratorISK_EESF_EEENSM_IJSG_SG_EEES6_PlJS6_EEE10hipError_tPvRmT3_T4_T5_T6_T7_T9_mT8_P12ihipStream_tbDpT10_ENKUlT_T0_E_clISt17integral_constantIbLb1EES1B_EEDaS16_S17_EUlS16_E_NS1_11comp_targetILNS1_3genE9ELNS1_11target_archE1100ELNS1_3gpuE3ELNS1_3repE0EEENS1_30default_config_static_selectorELNS0_4arch9wavefront6targetE1EEEvT1_,"axG",@progbits,_ZN7rocprim17ROCPRIM_400000_NS6detail17trampoline_kernelINS0_14default_configENS1_25partition_config_selectorILNS1_17partition_subalgoE1ExNS0_10empty_typeEbEEZZNS1_14partition_implILS5_1ELb0ES3_jN6thrust23THRUST_200600_302600_NS6detail15normal_iteratorINSA_10device_ptrIxEEEEPS6_NSA_18transform_iteratorI7is_evenIxESF_NSA_11use_defaultESK_EENS0_5tupleIJNSA_16discard_iteratorISK_EESF_EEENSM_IJSG_SG_EEES6_PlJS6_EEE10hipError_tPvRmT3_T4_T5_T6_T7_T9_mT8_P12ihipStream_tbDpT10_ENKUlT_T0_E_clISt17integral_constantIbLb1EES1B_EEDaS16_S17_EUlS16_E_NS1_11comp_targetILNS1_3genE9ELNS1_11target_archE1100ELNS1_3gpuE3ELNS1_3repE0EEENS1_30default_config_static_selectorELNS0_4arch9wavefront6targetE1EEEvT1_,comdat
.Lfunc_end3241:
	.size	_ZN7rocprim17ROCPRIM_400000_NS6detail17trampoline_kernelINS0_14default_configENS1_25partition_config_selectorILNS1_17partition_subalgoE1ExNS0_10empty_typeEbEEZZNS1_14partition_implILS5_1ELb0ES3_jN6thrust23THRUST_200600_302600_NS6detail15normal_iteratorINSA_10device_ptrIxEEEEPS6_NSA_18transform_iteratorI7is_evenIxESF_NSA_11use_defaultESK_EENS0_5tupleIJNSA_16discard_iteratorISK_EESF_EEENSM_IJSG_SG_EEES6_PlJS6_EEE10hipError_tPvRmT3_T4_T5_T6_T7_T9_mT8_P12ihipStream_tbDpT10_ENKUlT_T0_E_clISt17integral_constantIbLb1EES1B_EEDaS16_S17_EUlS16_E_NS1_11comp_targetILNS1_3genE9ELNS1_11target_archE1100ELNS1_3gpuE3ELNS1_3repE0EEENS1_30default_config_static_selectorELNS0_4arch9wavefront6targetE1EEEvT1_, .Lfunc_end3241-_ZN7rocprim17ROCPRIM_400000_NS6detail17trampoline_kernelINS0_14default_configENS1_25partition_config_selectorILNS1_17partition_subalgoE1ExNS0_10empty_typeEbEEZZNS1_14partition_implILS5_1ELb0ES3_jN6thrust23THRUST_200600_302600_NS6detail15normal_iteratorINSA_10device_ptrIxEEEEPS6_NSA_18transform_iteratorI7is_evenIxESF_NSA_11use_defaultESK_EENS0_5tupleIJNSA_16discard_iteratorISK_EESF_EEENSM_IJSG_SG_EEES6_PlJS6_EEE10hipError_tPvRmT3_T4_T5_T6_T7_T9_mT8_P12ihipStream_tbDpT10_ENKUlT_T0_E_clISt17integral_constantIbLb1EES1B_EEDaS16_S17_EUlS16_E_NS1_11comp_targetILNS1_3genE9ELNS1_11target_archE1100ELNS1_3gpuE3ELNS1_3repE0EEENS1_30default_config_static_selectorELNS0_4arch9wavefront6targetE1EEEvT1_
                                        ; -- End function
	.section	.AMDGPU.csdata,"",@progbits
; Kernel info:
; codeLenInByte = 0
; NumSgprs: 4
; NumVgprs: 0
; NumAgprs: 0
; TotalNumVgprs: 0
; ScratchSize: 0
; MemoryBound: 0
; FloatMode: 240
; IeeeMode: 1
; LDSByteSize: 0 bytes/workgroup (compile time only)
; SGPRBlocks: 0
; VGPRBlocks: 0
; NumSGPRsForWavesPerEU: 4
; NumVGPRsForWavesPerEU: 1
; AccumOffset: 4
; Occupancy: 8
; WaveLimiterHint : 0
; COMPUTE_PGM_RSRC2:SCRATCH_EN: 0
; COMPUTE_PGM_RSRC2:USER_SGPR: 6
; COMPUTE_PGM_RSRC2:TRAP_HANDLER: 0
; COMPUTE_PGM_RSRC2:TGID_X_EN: 1
; COMPUTE_PGM_RSRC2:TGID_Y_EN: 0
; COMPUTE_PGM_RSRC2:TGID_Z_EN: 0
; COMPUTE_PGM_RSRC2:TIDIG_COMP_CNT: 0
; COMPUTE_PGM_RSRC3_GFX90A:ACCUM_OFFSET: 0
; COMPUTE_PGM_RSRC3_GFX90A:TG_SPLIT: 0
	.section	.text._ZN7rocprim17ROCPRIM_400000_NS6detail17trampoline_kernelINS0_14default_configENS1_25partition_config_selectorILNS1_17partition_subalgoE1ExNS0_10empty_typeEbEEZZNS1_14partition_implILS5_1ELb0ES3_jN6thrust23THRUST_200600_302600_NS6detail15normal_iteratorINSA_10device_ptrIxEEEEPS6_NSA_18transform_iteratorI7is_evenIxESF_NSA_11use_defaultESK_EENS0_5tupleIJNSA_16discard_iteratorISK_EESF_EEENSM_IJSG_SG_EEES6_PlJS6_EEE10hipError_tPvRmT3_T4_T5_T6_T7_T9_mT8_P12ihipStream_tbDpT10_ENKUlT_T0_E_clISt17integral_constantIbLb1EES1B_EEDaS16_S17_EUlS16_E_NS1_11comp_targetILNS1_3genE8ELNS1_11target_archE1030ELNS1_3gpuE2ELNS1_3repE0EEENS1_30default_config_static_selectorELNS0_4arch9wavefront6targetE1EEEvT1_,"axG",@progbits,_ZN7rocprim17ROCPRIM_400000_NS6detail17trampoline_kernelINS0_14default_configENS1_25partition_config_selectorILNS1_17partition_subalgoE1ExNS0_10empty_typeEbEEZZNS1_14partition_implILS5_1ELb0ES3_jN6thrust23THRUST_200600_302600_NS6detail15normal_iteratorINSA_10device_ptrIxEEEEPS6_NSA_18transform_iteratorI7is_evenIxESF_NSA_11use_defaultESK_EENS0_5tupleIJNSA_16discard_iteratorISK_EESF_EEENSM_IJSG_SG_EEES6_PlJS6_EEE10hipError_tPvRmT3_T4_T5_T6_T7_T9_mT8_P12ihipStream_tbDpT10_ENKUlT_T0_E_clISt17integral_constantIbLb1EES1B_EEDaS16_S17_EUlS16_E_NS1_11comp_targetILNS1_3genE8ELNS1_11target_archE1030ELNS1_3gpuE2ELNS1_3repE0EEENS1_30default_config_static_selectorELNS0_4arch9wavefront6targetE1EEEvT1_,comdat
	.protected	_ZN7rocprim17ROCPRIM_400000_NS6detail17trampoline_kernelINS0_14default_configENS1_25partition_config_selectorILNS1_17partition_subalgoE1ExNS0_10empty_typeEbEEZZNS1_14partition_implILS5_1ELb0ES3_jN6thrust23THRUST_200600_302600_NS6detail15normal_iteratorINSA_10device_ptrIxEEEEPS6_NSA_18transform_iteratorI7is_evenIxESF_NSA_11use_defaultESK_EENS0_5tupleIJNSA_16discard_iteratorISK_EESF_EEENSM_IJSG_SG_EEES6_PlJS6_EEE10hipError_tPvRmT3_T4_T5_T6_T7_T9_mT8_P12ihipStream_tbDpT10_ENKUlT_T0_E_clISt17integral_constantIbLb1EES1B_EEDaS16_S17_EUlS16_E_NS1_11comp_targetILNS1_3genE8ELNS1_11target_archE1030ELNS1_3gpuE2ELNS1_3repE0EEENS1_30default_config_static_selectorELNS0_4arch9wavefront6targetE1EEEvT1_ ; -- Begin function _ZN7rocprim17ROCPRIM_400000_NS6detail17trampoline_kernelINS0_14default_configENS1_25partition_config_selectorILNS1_17partition_subalgoE1ExNS0_10empty_typeEbEEZZNS1_14partition_implILS5_1ELb0ES3_jN6thrust23THRUST_200600_302600_NS6detail15normal_iteratorINSA_10device_ptrIxEEEEPS6_NSA_18transform_iteratorI7is_evenIxESF_NSA_11use_defaultESK_EENS0_5tupleIJNSA_16discard_iteratorISK_EESF_EEENSM_IJSG_SG_EEES6_PlJS6_EEE10hipError_tPvRmT3_T4_T5_T6_T7_T9_mT8_P12ihipStream_tbDpT10_ENKUlT_T0_E_clISt17integral_constantIbLb1EES1B_EEDaS16_S17_EUlS16_E_NS1_11comp_targetILNS1_3genE8ELNS1_11target_archE1030ELNS1_3gpuE2ELNS1_3repE0EEENS1_30default_config_static_selectorELNS0_4arch9wavefront6targetE1EEEvT1_
	.globl	_ZN7rocprim17ROCPRIM_400000_NS6detail17trampoline_kernelINS0_14default_configENS1_25partition_config_selectorILNS1_17partition_subalgoE1ExNS0_10empty_typeEbEEZZNS1_14partition_implILS5_1ELb0ES3_jN6thrust23THRUST_200600_302600_NS6detail15normal_iteratorINSA_10device_ptrIxEEEEPS6_NSA_18transform_iteratorI7is_evenIxESF_NSA_11use_defaultESK_EENS0_5tupleIJNSA_16discard_iteratorISK_EESF_EEENSM_IJSG_SG_EEES6_PlJS6_EEE10hipError_tPvRmT3_T4_T5_T6_T7_T9_mT8_P12ihipStream_tbDpT10_ENKUlT_T0_E_clISt17integral_constantIbLb1EES1B_EEDaS16_S17_EUlS16_E_NS1_11comp_targetILNS1_3genE8ELNS1_11target_archE1030ELNS1_3gpuE2ELNS1_3repE0EEENS1_30default_config_static_selectorELNS0_4arch9wavefront6targetE1EEEvT1_
	.p2align	8
	.type	_ZN7rocprim17ROCPRIM_400000_NS6detail17trampoline_kernelINS0_14default_configENS1_25partition_config_selectorILNS1_17partition_subalgoE1ExNS0_10empty_typeEbEEZZNS1_14partition_implILS5_1ELb0ES3_jN6thrust23THRUST_200600_302600_NS6detail15normal_iteratorINSA_10device_ptrIxEEEEPS6_NSA_18transform_iteratorI7is_evenIxESF_NSA_11use_defaultESK_EENS0_5tupleIJNSA_16discard_iteratorISK_EESF_EEENSM_IJSG_SG_EEES6_PlJS6_EEE10hipError_tPvRmT3_T4_T5_T6_T7_T9_mT8_P12ihipStream_tbDpT10_ENKUlT_T0_E_clISt17integral_constantIbLb1EES1B_EEDaS16_S17_EUlS16_E_NS1_11comp_targetILNS1_3genE8ELNS1_11target_archE1030ELNS1_3gpuE2ELNS1_3repE0EEENS1_30default_config_static_selectorELNS0_4arch9wavefront6targetE1EEEvT1_,@function
_ZN7rocprim17ROCPRIM_400000_NS6detail17trampoline_kernelINS0_14default_configENS1_25partition_config_selectorILNS1_17partition_subalgoE1ExNS0_10empty_typeEbEEZZNS1_14partition_implILS5_1ELb0ES3_jN6thrust23THRUST_200600_302600_NS6detail15normal_iteratorINSA_10device_ptrIxEEEEPS6_NSA_18transform_iteratorI7is_evenIxESF_NSA_11use_defaultESK_EENS0_5tupleIJNSA_16discard_iteratorISK_EESF_EEENSM_IJSG_SG_EEES6_PlJS6_EEE10hipError_tPvRmT3_T4_T5_T6_T7_T9_mT8_P12ihipStream_tbDpT10_ENKUlT_T0_E_clISt17integral_constantIbLb1EES1B_EEDaS16_S17_EUlS16_E_NS1_11comp_targetILNS1_3genE8ELNS1_11target_archE1030ELNS1_3gpuE2ELNS1_3repE0EEENS1_30default_config_static_selectorELNS0_4arch9wavefront6targetE1EEEvT1_: ; @_ZN7rocprim17ROCPRIM_400000_NS6detail17trampoline_kernelINS0_14default_configENS1_25partition_config_selectorILNS1_17partition_subalgoE1ExNS0_10empty_typeEbEEZZNS1_14partition_implILS5_1ELb0ES3_jN6thrust23THRUST_200600_302600_NS6detail15normal_iteratorINSA_10device_ptrIxEEEEPS6_NSA_18transform_iteratorI7is_evenIxESF_NSA_11use_defaultESK_EENS0_5tupleIJNSA_16discard_iteratorISK_EESF_EEENSM_IJSG_SG_EEES6_PlJS6_EEE10hipError_tPvRmT3_T4_T5_T6_T7_T9_mT8_P12ihipStream_tbDpT10_ENKUlT_T0_E_clISt17integral_constantIbLb1EES1B_EEDaS16_S17_EUlS16_E_NS1_11comp_targetILNS1_3genE8ELNS1_11target_archE1030ELNS1_3gpuE2ELNS1_3repE0EEENS1_30default_config_static_selectorELNS0_4arch9wavefront6targetE1EEEvT1_
; %bb.0:
	.section	.rodata,"a",@progbits
	.p2align	6, 0x0
	.amdhsa_kernel _ZN7rocprim17ROCPRIM_400000_NS6detail17trampoline_kernelINS0_14default_configENS1_25partition_config_selectorILNS1_17partition_subalgoE1ExNS0_10empty_typeEbEEZZNS1_14partition_implILS5_1ELb0ES3_jN6thrust23THRUST_200600_302600_NS6detail15normal_iteratorINSA_10device_ptrIxEEEEPS6_NSA_18transform_iteratorI7is_evenIxESF_NSA_11use_defaultESK_EENS0_5tupleIJNSA_16discard_iteratorISK_EESF_EEENSM_IJSG_SG_EEES6_PlJS6_EEE10hipError_tPvRmT3_T4_T5_T6_T7_T9_mT8_P12ihipStream_tbDpT10_ENKUlT_T0_E_clISt17integral_constantIbLb1EES1B_EEDaS16_S17_EUlS16_E_NS1_11comp_targetILNS1_3genE8ELNS1_11target_archE1030ELNS1_3gpuE2ELNS1_3repE0EEENS1_30default_config_static_selectorELNS0_4arch9wavefront6targetE1EEEvT1_
		.amdhsa_group_segment_fixed_size 0
		.amdhsa_private_segment_fixed_size 0
		.amdhsa_kernarg_size 152
		.amdhsa_user_sgpr_count 6
		.amdhsa_user_sgpr_private_segment_buffer 1
		.amdhsa_user_sgpr_dispatch_ptr 0
		.amdhsa_user_sgpr_queue_ptr 0
		.amdhsa_user_sgpr_kernarg_segment_ptr 1
		.amdhsa_user_sgpr_dispatch_id 0
		.amdhsa_user_sgpr_flat_scratch_init 0
		.amdhsa_user_sgpr_kernarg_preload_length 0
		.amdhsa_user_sgpr_kernarg_preload_offset 0
		.amdhsa_user_sgpr_private_segment_size 0
		.amdhsa_uses_dynamic_stack 0
		.amdhsa_system_sgpr_private_segment_wavefront_offset 0
		.amdhsa_system_sgpr_workgroup_id_x 1
		.amdhsa_system_sgpr_workgroup_id_y 0
		.amdhsa_system_sgpr_workgroup_id_z 0
		.amdhsa_system_sgpr_workgroup_info 0
		.amdhsa_system_vgpr_workitem_id 0
		.amdhsa_next_free_vgpr 1
		.amdhsa_next_free_sgpr 0
		.amdhsa_accum_offset 4
		.amdhsa_reserve_vcc 0
		.amdhsa_reserve_flat_scratch 0
		.amdhsa_float_round_mode_32 0
		.amdhsa_float_round_mode_16_64 0
		.amdhsa_float_denorm_mode_32 3
		.amdhsa_float_denorm_mode_16_64 3
		.amdhsa_dx10_clamp 1
		.amdhsa_ieee_mode 1
		.amdhsa_fp16_overflow 0
		.amdhsa_tg_split 0
		.amdhsa_exception_fp_ieee_invalid_op 0
		.amdhsa_exception_fp_denorm_src 0
		.amdhsa_exception_fp_ieee_div_zero 0
		.amdhsa_exception_fp_ieee_overflow 0
		.amdhsa_exception_fp_ieee_underflow 0
		.amdhsa_exception_fp_ieee_inexact 0
		.amdhsa_exception_int_div_zero 0
	.end_amdhsa_kernel
	.section	.text._ZN7rocprim17ROCPRIM_400000_NS6detail17trampoline_kernelINS0_14default_configENS1_25partition_config_selectorILNS1_17partition_subalgoE1ExNS0_10empty_typeEbEEZZNS1_14partition_implILS5_1ELb0ES3_jN6thrust23THRUST_200600_302600_NS6detail15normal_iteratorINSA_10device_ptrIxEEEEPS6_NSA_18transform_iteratorI7is_evenIxESF_NSA_11use_defaultESK_EENS0_5tupleIJNSA_16discard_iteratorISK_EESF_EEENSM_IJSG_SG_EEES6_PlJS6_EEE10hipError_tPvRmT3_T4_T5_T6_T7_T9_mT8_P12ihipStream_tbDpT10_ENKUlT_T0_E_clISt17integral_constantIbLb1EES1B_EEDaS16_S17_EUlS16_E_NS1_11comp_targetILNS1_3genE8ELNS1_11target_archE1030ELNS1_3gpuE2ELNS1_3repE0EEENS1_30default_config_static_selectorELNS0_4arch9wavefront6targetE1EEEvT1_,"axG",@progbits,_ZN7rocprim17ROCPRIM_400000_NS6detail17trampoline_kernelINS0_14default_configENS1_25partition_config_selectorILNS1_17partition_subalgoE1ExNS0_10empty_typeEbEEZZNS1_14partition_implILS5_1ELb0ES3_jN6thrust23THRUST_200600_302600_NS6detail15normal_iteratorINSA_10device_ptrIxEEEEPS6_NSA_18transform_iteratorI7is_evenIxESF_NSA_11use_defaultESK_EENS0_5tupleIJNSA_16discard_iteratorISK_EESF_EEENSM_IJSG_SG_EEES6_PlJS6_EEE10hipError_tPvRmT3_T4_T5_T6_T7_T9_mT8_P12ihipStream_tbDpT10_ENKUlT_T0_E_clISt17integral_constantIbLb1EES1B_EEDaS16_S17_EUlS16_E_NS1_11comp_targetILNS1_3genE8ELNS1_11target_archE1030ELNS1_3gpuE2ELNS1_3repE0EEENS1_30default_config_static_selectorELNS0_4arch9wavefront6targetE1EEEvT1_,comdat
.Lfunc_end3242:
	.size	_ZN7rocprim17ROCPRIM_400000_NS6detail17trampoline_kernelINS0_14default_configENS1_25partition_config_selectorILNS1_17partition_subalgoE1ExNS0_10empty_typeEbEEZZNS1_14partition_implILS5_1ELb0ES3_jN6thrust23THRUST_200600_302600_NS6detail15normal_iteratorINSA_10device_ptrIxEEEEPS6_NSA_18transform_iteratorI7is_evenIxESF_NSA_11use_defaultESK_EENS0_5tupleIJNSA_16discard_iteratorISK_EESF_EEENSM_IJSG_SG_EEES6_PlJS6_EEE10hipError_tPvRmT3_T4_T5_T6_T7_T9_mT8_P12ihipStream_tbDpT10_ENKUlT_T0_E_clISt17integral_constantIbLb1EES1B_EEDaS16_S17_EUlS16_E_NS1_11comp_targetILNS1_3genE8ELNS1_11target_archE1030ELNS1_3gpuE2ELNS1_3repE0EEENS1_30default_config_static_selectorELNS0_4arch9wavefront6targetE1EEEvT1_, .Lfunc_end3242-_ZN7rocprim17ROCPRIM_400000_NS6detail17trampoline_kernelINS0_14default_configENS1_25partition_config_selectorILNS1_17partition_subalgoE1ExNS0_10empty_typeEbEEZZNS1_14partition_implILS5_1ELb0ES3_jN6thrust23THRUST_200600_302600_NS6detail15normal_iteratorINSA_10device_ptrIxEEEEPS6_NSA_18transform_iteratorI7is_evenIxESF_NSA_11use_defaultESK_EENS0_5tupleIJNSA_16discard_iteratorISK_EESF_EEENSM_IJSG_SG_EEES6_PlJS6_EEE10hipError_tPvRmT3_T4_T5_T6_T7_T9_mT8_P12ihipStream_tbDpT10_ENKUlT_T0_E_clISt17integral_constantIbLb1EES1B_EEDaS16_S17_EUlS16_E_NS1_11comp_targetILNS1_3genE8ELNS1_11target_archE1030ELNS1_3gpuE2ELNS1_3repE0EEENS1_30default_config_static_selectorELNS0_4arch9wavefront6targetE1EEEvT1_
                                        ; -- End function
	.section	.AMDGPU.csdata,"",@progbits
; Kernel info:
; codeLenInByte = 0
; NumSgprs: 4
; NumVgprs: 0
; NumAgprs: 0
; TotalNumVgprs: 0
; ScratchSize: 0
; MemoryBound: 0
; FloatMode: 240
; IeeeMode: 1
; LDSByteSize: 0 bytes/workgroup (compile time only)
; SGPRBlocks: 0
; VGPRBlocks: 0
; NumSGPRsForWavesPerEU: 4
; NumVGPRsForWavesPerEU: 1
; AccumOffset: 4
; Occupancy: 8
; WaveLimiterHint : 0
; COMPUTE_PGM_RSRC2:SCRATCH_EN: 0
; COMPUTE_PGM_RSRC2:USER_SGPR: 6
; COMPUTE_PGM_RSRC2:TRAP_HANDLER: 0
; COMPUTE_PGM_RSRC2:TGID_X_EN: 1
; COMPUTE_PGM_RSRC2:TGID_Y_EN: 0
; COMPUTE_PGM_RSRC2:TGID_Z_EN: 0
; COMPUTE_PGM_RSRC2:TIDIG_COMP_CNT: 0
; COMPUTE_PGM_RSRC3_GFX90A:ACCUM_OFFSET: 0
; COMPUTE_PGM_RSRC3_GFX90A:TG_SPLIT: 0
	.section	.text._ZN7rocprim17ROCPRIM_400000_NS6detail17trampoline_kernelINS0_14default_configENS1_25partition_config_selectorILNS1_17partition_subalgoE1ExNS0_10empty_typeEbEEZZNS1_14partition_implILS5_1ELb0ES3_jN6thrust23THRUST_200600_302600_NS6detail15normal_iteratorINSA_10device_ptrIxEEEEPS6_NSA_18transform_iteratorI7is_evenIxESF_NSA_11use_defaultESK_EENS0_5tupleIJNSA_16discard_iteratorISK_EESF_EEENSM_IJSG_SG_EEES6_PlJS6_EEE10hipError_tPvRmT3_T4_T5_T6_T7_T9_mT8_P12ihipStream_tbDpT10_ENKUlT_T0_E_clISt17integral_constantIbLb1EES1A_IbLb0EEEEDaS16_S17_EUlS16_E_NS1_11comp_targetILNS1_3genE0ELNS1_11target_archE4294967295ELNS1_3gpuE0ELNS1_3repE0EEENS1_30default_config_static_selectorELNS0_4arch9wavefront6targetE1EEEvT1_,"axG",@progbits,_ZN7rocprim17ROCPRIM_400000_NS6detail17trampoline_kernelINS0_14default_configENS1_25partition_config_selectorILNS1_17partition_subalgoE1ExNS0_10empty_typeEbEEZZNS1_14partition_implILS5_1ELb0ES3_jN6thrust23THRUST_200600_302600_NS6detail15normal_iteratorINSA_10device_ptrIxEEEEPS6_NSA_18transform_iteratorI7is_evenIxESF_NSA_11use_defaultESK_EENS0_5tupleIJNSA_16discard_iteratorISK_EESF_EEENSM_IJSG_SG_EEES6_PlJS6_EEE10hipError_tPvRmT3_T4_T5_T6_T7_T9_mT8_P12ihipStream_tbDpT10_ENKUlT_T0_E_clISt17integral_constantIbLb1EES1A_IbLb0EEEEDaS16_S17_EUlS16_E_NS1_11comp_targetILNS1_3genE0ELNS1_11target_archE4294967295ELNS1_3gpuE0ELNS1_3repE0EEENS1_30default_config_static_selectorELNS0_4arch9wavefront6targetE1EEEvT1_,comdat
	.protected	_ZN7rocprim17ROCPRIM_400000_NS6detail17trampoline_kernelINS0_14default_configENS1_25partition_config_selectorILNS1_17partition_subalgoE1ExNS0_10empty_typeEbEEZZNS1_14partition_implILS5_1ELb0ES3_jN6thrust23THRUST_200600_302600_NS6detail15normal_iteratorINSA_10device_ptrIxEEEEPS6_NSA_18transform_iteratorI7is_evenIxESF_NSA_11use_defaultESK_EENS0_5tupleIJNSA_16discard_iteratorISK_EESF_EEENSM_IJSG_SG_EEES6_PlJS6_EEE10hipError_tPvRmT3_T4_T5_T6_T7_T9_mT8_P12ihipStream_tbDpT10_ENKUlT_T0_E_clISt17integral_constantIbLb1EES1A_IbLb0EEEEDaS16_S17_EUlS16_E_NS1_11comp_targetILNS1_3genE0ELNS1_11target_archE4294967295ELNS1_3gpuE0ELNS1_3repE0EEENS1_30default_config_static_selectorELNS0_4arch9wavefront6targetE1EEEvT1_ ; -- Begin function _ZN7rocprim17ROCPRIM_400000_NS6detail17trampoline_kernelINS0_14default_configENS1_25partition_config_selectorILNS1_17partition_subalgoE1ExNS0_10empty_typeEbEEZZNS1_14partition_implILS5_1ELb0ES3_jN6thrust23THRUST_200600_302600_NS6detail15normal_iteratorINSA_10device_ptrIxEEEEPS6_NSA_18transform_iteratorI7is_evenIxESF_NSA_11use_defaultESK_EENS0_5tupleIJNSA_16discard_iteratorISK_EESF_EEENSM_IJSG_SG_EEES6_PlJS6_EEE10hipError_tPvRmT3_T4_T5_T6_T7_T9_mT8_P12ihipStream_tbDpT10_ENKUlT_T0_E_clISt17integral_constantIbLb1EES1A_IbLb0EEEEDaS16_S17_EUlS16_E_NS1_11comp_targetILNS1_3genE0ELNS1_11target_archE4294967295ELNS1_3gpuE0ELNS1_3repE0EEENS1_30default_config_static_selectorELNS0_4arch9wavefront6targetE1EEEvT1_
	.globl	_ZN7rocprim17ROCPRIM_400000_NS6detail17trampoline_kernelINS0_14default_configENS1_25partition_config_selectorILNS1_17partition_subalgoE1ExNS0_10empty_typeEbEEZZNS1_14partition_implILS5_1ELb0ES3_jN6thrust23THRUST_200600_302600_NS6detail15normal_iteratorINSA_10device_ptrIxEEEEPS6_NSA_18transform_iteratorI7is_evenIxESF_NSA_11use_defaultESK_EENS0_5tupleIJNSA_16discard_iteratorISK_EESF_EEENSM_IJSG_SG_EEES6_PlJS6_EEE10hipError_tPvRmT3_T4_T5_T6_T7_T9_mT8_P12ihipStream_tbDpT10_ENKUlT_T0_E_clISt17integral_constantIbLb1EES1A_IbLb0EEEEDaS16_S17_EUlS16_E_NS1_11comp_targetILNS1_3genE0ELNS1_11target_archE4294967295ELNS1_3gpuE0ELNS1_3repE0EEENS1_30default_config_static_selectorELNS0_4arch9wavefront6targetE1EEEvT1_
	.p2align	8
	.type	_ZN7rocprim17ROCPRIM_400000_NS6detail17trampoline_kernelINS0_14default_configENS1_25partition_config_selectorILNS1_17partition_subalgoE1ExNS0_10empty_typeEbEEZZNS1_14partition_implILS5_1ELb0ES3_jN6thrust23THRUST_200600_302600_NS6detail15normal_iteratorINSA_10device_ptrIxEEEEPS6_NSA_18transform_iteratorI7is_evenIxESF_NSA_11use_defaultESK_EENS0_5tupleIJNSA_16discard_iteratorISK_EESF_EEENSM_IJSG_SG_EEES6_PlJS6_EEE10hipError_tPvRmT3_T4_T5_T6_T7_T9_mT8_P12ihipStream_tbDpT10_ENKUlT_T0_E_clISt17integral_constantIbLb1EES1A_IbLb0EEEEDaS16_S17_EUlS16_E_NS1_11comp_targetILNS1_3genE0ELNS1_11target_archE4294967295ELNS1_3gpuE0ELNS1_3repE0EEENS1_30default_config_static_selectorELNS0_4arch9wavefront6targetE1EEEvT1_,@function
_ZN7rocprim17ROCPRIM_400000_NS6detail17trampoline_kernelINS0_14default_configENS1_25partition_config_selectorILNS1_17partition_subalgoE1ExNS0_10empty_typeEbEEZZNS1_14partition_implILS5_1ELb0ES3_jN6thrust23THRUST_200600_302600_NS6detail15normal_iteratorINSA_10device_ptrIxEEEEPS6_NSA_18transform_iteratorI7is_evenIxESF_NSA_11use_defaultESK_EENS0_5tupleIJNSA_16discard_iteratorISK_EESF_EEENSM_IJSG_SG_EEES6_PlJS6_EEE10hipError_tPvRmT3_T4_T5_T6_T7_T9_mT8_P12ihipStream_tbDpT10_ENKUlT_T0_E_clISt17integral_constantIbLb1EES1A_IbLb0EEEEDaS16_S17_EUlS16_E_NS1_11comp_targetILNS1_3genE0ELNS1_11target_archE4294967295ELNS1_3gpuE0ELNS1_3repE0EEENS1_30default_config_static_selectorELNS0_4arch9wavefront6targetE1EEEvT1_: ; @_ZN7rocprim17ROCPRIM_400000_NS6detail17trampoline_kernelINS0_14default_configENS1_25partition_config_selectorILNS1_17partition_subalgoE1ExNS0_10empty_typeEbEEZZNS1_14partition_implILS5_1ELb0ES3_jN6thrust23THRUST_200600_302600_NS6detail15normal_iteratorINSA_10device_ptrIxEEEEPS6_NSA_18transform_iteratorI7is_evenIxESF_NSA_11use_defaultESK_EENS0_5tupleIJNSA_16discard_iteratorISK_EESF_EEENSM_IJSG_SG_EEES6_PlJS6_EEE10hipError_tPvRmT3_T4_T5_T6_T7_T9_mT8_P12ihipStream_tbDpT10_ENKUlT_T0_E_clISt17integral_constantIbLb1EES1A_IbLb0EEEEDaS16_S17_EUlS16_E_NS1_11comp_targetILNS1_3genE0ELNS1_11target_archE4294967295ELNS1_3gpuE0ELNS1_3repE0EEENS1_30default_config_static_selectorELNS0_4arch9wavefront6targetE1EEEvT1_
; %bb.0:
	.section	.rodata,"a",@progbits
	.p2align	6, 0x0
	.amdhsa_kernel _ZN7rocprim17ROCPRIM_400000_NS6detail17trampoline_kernelINS0_14default_configENS1_25partition_config_selectorILNS1_17partition_subalgoE1ExNS0_10empty_typeEbEEZZNS1_14partition_implILS5_1ELb0ES3_jN6thrust23THRUST_200600_302600_NS6detail15normal_iteratorINSA_10device_ptrIxEEEEPS6_NSA_18transform_iteratorI7is_evenIxESF_NSA_11use_defaultESK_EENS0_5tupleIJNSA_16discard_iteratorISK_EESF_EEENSM_IJSG_SG_EEES6_PlJS6_EEE10hipError_tPvRmT3_T4_T5_T6_T7_T9_mT8_P12ihipStream_tbDpT10_ENKUlT_T0_E_clISt17integral_constantIbLb1EES1A_IbLb0EEEEDaS16_S17_EUlS16_E_NS1_11comp_targetILNS1_3genE0ELNS1_11target_archE4294967295ELNS1_3gpuE0ELNS1_3repE0EEENS1_30default_config_static_selectorELNS0_4arch9wavefront6targetE1EEEvT1_
		.amdhsa_group_segment_fixed_size 0
		.amdhsa_private_segment_fixed_size 0
		.amdhsa_kernarg_size 136
		.amdhsa_user_sgpr_count 6
		.amdhsa_user_sgpr_private_segment_buffer 1
		.amdhsa_user_sgpr_dispatch_ptr 0
		.amdhsa_user_sgpr_queue_ptr 0
		.amdhsa_user_sgpr_kernarg_segment_ptr 1
		.amdhsa_user_sgpr_dispatch_id 0
		.amdhsa_user_sgpr_flat_scratch_init 0
		.amdhsa_user_sgpr_kernarg_preload_length 0
		.amdhsa_user_sgpr_kernarg_preload_offset 0
		.amdhsa_user_sgpr_private_segment_size 0
		.amdhsa_uses_dynamic_stack 0
		.amdhsa_system_sgpr_private_segment_wavefront_offset 0
		.amdhsa_system_sgpr_workgroup_id_x 1
		.amdhsa_system_sgpr_workgroup_id_y 0
		.amdhsa_system_sgpr_workgroup_id_z 0
		.amdhsa_system_sgpr_workgroup_info 0
		.amdhsa_system_vgpr_workitem_id 0
		.amdhsa_next_free_vgpr 1
		.amdhsa_next_free_sgpr 0
		.amdhsa_accum_offset 4
		.amdhsa_reserve_vcc 0
		.amdhsa_reserve_flat_scratch 0
		.amdhsa_float_round_mode_32 0
		.amdhsa_float_round_mode_16_64 0
		.amdhsa_float_denorm_mode_32 3
		.amdhsa_float_denorm_mode_16_64 3
		.amdhsa_dx10_clamp 1
		.amdhsa_ieee_mode 1
		.amdhsa_fp16_overflow 0
		.amdhsa_tg_split 0
		.amdhsa_exception_fp_ieee_invalid_op 0
		.amdhsa_exception_fp_denorm_src 0
		.amdhsa_exception_fp_ieee_div_zero 0
		.amdhsa_exception_fp_ieee_overflow 0
		.amdhsa_exception_fp_ieee_underflow 0
		.amdhsa_exception_fp_ieee_inexact 0
		.amdhsa_exception_int_div_zero 0
	.end_amdhsa_kernel
	.section	.text._ZN7rocprim17ROCPRIM_400000_NS6detail17trampoline_kernelINS0_14default_configENS1_25partition_config_selectorILNS1_17partition_subalgoE1ExNS0_10empty_typeEbEEZZNS1_14partition_implILS5_1ELb0ES3_jN6thrust23THRUST_200600_302600_NS6detail15normal_iteratorINSA_10device_ptrIxEEEEPS6_NSA_18transform_iteratorI7is_evenIxESF_NSA_11use_defaultESK_EENS0_5tupleIJNSA_16discard_iteratorISK_EESF_EEENSM_IJSG_SG_EEES6_PlJS6_EEE10hipError_tPvRmT3_T4_T5_T6_T7_T9_mT8_P12ihipStream_tbDpT10_ENKUlT_T0_E_clISt17integral_constantIbLb1EES1A_IbLb0EEEEDaS16_S17_EUlS16_E_NS1_11comp_targetILNS1_3genE0ELNS1_11target_archE4294967295ELNS1_3gpuE0ELNS1_3repE0EEENS1_30default_config_static_selectorELNS0_4arch9wavefront6targetE1EEEvT1_,"axG",@progbits,_ZN7rocprim17ROCPRIM_400000_NS6detail17trampoline_kernelINS0_14default_configENS1_25partition_config_selectorILNS1_17partition_subalgoE1ExNS0_10empty_typeEbEEZZNS1_14partition_implILS5_1ELb0ES3_jN6thrust23THRUST_200600_302600_NS6detail15normal_iteratorINSA_10device_ptrIxEEEEPS6_NSA_18transform_iteratorI7is_evenIxESF_NSA_11use_defaultESK_EENS0_5tupleIJNSA_16discard_iteratorISK_EESF_EEENSM_IJSG_SG_EEES6_PlJS6_EEE10hipError_tPvRmT3_T4_T5_T6_T7_T9_mT8_P12ihipStream_tbDpT10_ENKUlT_T0_E_clISt17integral_constantIbLb1EES1A_IbLb0EEEEDaS16_S17_EUlS16_E_NS1_11comp_targetILNS1_3genE0ELNS1_11target_archE4294967295ELNS1_3gpuE0ELNS1_3repE0EEENS1_30default_config_static_selectorELNS0_4arch9wavefront6targetE1EEEvT1_,comdat
.Lfunc_end3243:
	.size	_ZN7rocprim17ROCPRIM_400000_NS6detail17trampoline_kernelINS0_14default_configENS1_25partition_config_selectorILNS1_17partition_subalgoE1ExNS0_10empty_typeEbEEZZNS1_14partition_implILS5_1ELb0ES3_jN6thrust23THRUST_200600_302600_NS6detail15normal_iteratorINSA_10device_ptrIxEEEEPS6_NSA_18transform_iteratorI7is_evenIxESF_NSA_11use_defaultESK_EENS0_5tupleIJNSA_16discard_iteratorISK_EESF_EEENSM_IJSG_SG_EEES6_PlJS6_EEE10hipError_tPvRmT3_T4_T5_T6_T7_T9_mT8_P12ihipStream_tbDpT10_ENKUlT_T0_E_clISt17integral_constantIbLb1EES1A_IbLb0EEEEDaS16_S17_EUlS16_E_NS1_11comp_targetILNS1_3genE0ELNS1_11target_archE4294967295ELNS1_3gpuE0ELNS1_3repE0EEENS1_30default_config_static_selectorELNS0_4arch9wavefront6targetE1EEEvT1_, .Lfunc_end3243-_ZN7rocprim17ROCPRIM_400000_NS6detail17trampoline_kernelINS0_14default_configENS1_25partition_config_selectorILNS1_17partition_subalgoE1ExNS0_10empty_typeEbEEZZNS1_14partition_implILS5_1ELb0ES3_jN6thrust23THRUST_200600_302600_NS6detail15normal_iteratorINSA_10device_ptrIxEEEEPS6_NSA_18transform_iteratorI7is_evenIxESF_NSA_11use_defaultESK_EENS0_5tupleIJNSA_16discard_iteratorISK_EESF_EEENSM_IJSG_SG_EEES6_PlJS6_EEE10hipError_tPvRmT3_T4_T5_T6_T7_T9_mT8_P12ihipStream_tbDpT10_ENKUlT_T0_E_clISt17integral_constantIbLb1EES1A_IbLb0EEEEDaS16_S17_EUlS16_E_NS1_11comp_targetILNS1_3genE0ELNS1_11target_archE4294967295ELNS1_3gpuE0ELNS1_3repE0EEENS1_30default_config_static_selectorELNS0_4arch9wavefront6targetE1EEEvT1_
                                        ; -- End function
	.section	.AMDGPU.csdata,"",@progbits
; Kernel info:
; codeLenInByte = 0
; NumSgprs: 4
; NumVgprs: 0
; NumAgprs: 0
; TotalNumVgprs: 0
; ScratchSize: 0
; MemoryBound: 0
; FloatMode: 240
; IeeeMode: 1
; LDSByteSize: 0 bytes/workgroup (compile time only)
; SGPRBlocks: 0
; VGPRBlocks: 0
; NumSGPRsForWavesPerEU: 4
; NumVGPRsForWavesPerEU: 1
; AccumOffset: 4
; Occupancy: 8
; WaveLimiterHint : 0
; COMPUTE_PGM_RSRC2:SCRATCH_EN: 0
; COMPUTE_PGM_RSRC2:USER_SGPR: 6
; COMPUTE_PGM_RSRC2:TRAP_HANDLER: 0
; COMPUTE_PGM_RSRC2:TGID_X_EN: 1
; COMPUTE_PGM_RSRC2:TGID_Y_EN: 0
; COMPUTE_PGM_RSRC2:TGID_Z_EN: 0
; COMPUTE_PGM_RSRC2:TIDIG_COMP_CNT: 0
; COMPUTE_PGM_RSRC3_GFX90A:ACCUM_OFFSET: 0
; COMPUTE_PGM_RSRC3_GFX90A:TG_SPLIT: 0
	.section	.text._ZN7rocprim17ROCPRIM_400000_NS6detail17trampoline_kernelINS0_14default_configENS1_25partition_config_selectorILNS1_17partition_subalgoE1ExNS0_10empty_typeEbEEZZNS1_14partition_implILS5_1ELb0ES3_jN6thrust23THRUST_200600_302600_NS6detail15normal_iteratorINSA_10device_ptrIxEEEEPS6_NSA_18transform_iteratorI7is_evenIxESF_NSA_11use_defaultESK_EENS0_5tupleIJNSA_16discard_iteratorISK_EESF_EEENSM_IJSG_SG_EEES6_PlJS6_EEE10hipError_tPvRmT3_T4_T5_T6_T7_T9_mT8_P12ihipStream_tbDpT10_ENKUlT_T0_E_clISt17integral_constantIbLb1EES1A_IbLb0EEEEDaS16_S17_EUlS16_E_NS1_11comp_targetILNS1_3genE5ELNS1_11target_archE942ELNS1_3gpuE9ELNS1_3repE0EEENS1_30default_config_static_selectorELNS0_4arch9wavefront6targetE1EEEvT1_,"axG",@progbits,_ZN7rocprim17ROCPRIM_400000_NS6detail17trampoline_kernelINS0_14default_configENS1_25partition_config_selectorILNS1_17partition_subalgoE1ExNS0_10empty_typeEbEEZZNS1_14partition_implILS5_1ELb0ES3_jN6thrust23THRUST_200600_302600_NS6detail15normal_iteratorINSA_10device_ptrIxEEEEPS6_NSA_18transform_iteratorI7is_evenIxESF_NSA_11use_defaultESK_EENS0_5tupleIJNSA_16discard_iteratorISK_EESF_EEENSM_IJSG_SG_EEES6_PlJS6_EEE10hipError_tPvRmT3_T4_T5_T6_T7_T9_mT8_P12ihipStream_tbDpT10_ENKUlT_T0_E_clISt17integral_constantIbLb1EES1A_IbLb0EEEEDaS16_S17_EUlS16_E_NS1_11comp_targetILNS1_3genE5ELNS1_11target_archE942ELNS1_3gpuE9ELNS1_3repE0EEENS1_30default_config_static_selectorELNS0_4arch9wavefront6targetE1EEEvT1_,comdat
	.protected	_ZN7rocprim17ROCPRIM_400000_NS6detail17trampoline_kernelINS0_14default_configENS1_25partition_config_selectorILNS1_17partition_subalgoE1ExNS0_10empty_typeEbEEZZNS1_14partition_implILS5_1ELb0ES3_jN6thrust23THRUST_200600_302600_NS6detail15normal_iteratorINSA_10device_ptrIxEEEEPS6_NSA_18transform_iteratorI7is_evenIxESF_NSA_11use_defaultESK_EENS0_5tupleIJNSA_16discard_iteratorISK_EESF_EEENSM_IJSG_SG_EEES6_PlJS6_EEE10hipError_tPvRmT3_T4_T5_T6_T7_T9_mT8_P12ihipStream_tbDpT10_ENKUlT_T0_E_clISt17integral_constantIbLb1EES1A_IbLb0EEEEDaS16_S17_EUlS16_E_NS1_11comp_targetILNS1_3genE5ELNS1_11target_archE942ELNS1_3gpuE9ELNS1_3repE0EEENS1_30default_config_static_selectorELNS0_4arch9wavefront6targetE1EEEvT1_ ; -- Begin function _ZN7rocprim17ROCPRIM_400000_NS6detail17trampoline_kernelINS0_14default_configENS1_25partition_config_selectorILNS1_17partition_subalgoE1ExNS0_10empty_typeEbEEZZNS1_14partition_implILS5_1ELb0ES3_jN6thrust23THRUST_200600_302600_NS6detail15normal_iteratorINSA_10device_ptrIxEEEEPS6_NSA_18transform_iteratorI7is_evenIxESF_NSA_11use_defaultESK_EENS0_5tupleIJNSA_16discard_iteratorISK_EESF_EEENSM_IJSG_SG_EEES6_PlJS6_EEE10hipError_tPvRmT3_T4_T5_T6_T7_T9_mT8_P12ihipStream_tbDpT10_ENKUlT_T0_E_clISt17integral_constantIbLb1EES1A_IbLb0EEEEDaS16_S17_EUlS16_E_NS1_11comp_targetILNS1_3genE5ELNS1_11target_archE942ELNS1_3gpuE9ELNS1_3repE0EEENS1_30default_config_static_selectorELNS0_4arch9wavefront6targetE1EEEvT1_
	.globl	_ZN7rocprim17ROCPRIM_400000_NS6detail17trampoline_kernelINS0_14default_configENS1_25partition_config_selectorILNS1_17partition_subalgoE1ExNS0_10empty_typeEbEEZZNS1_14partition_implILS5_1ELb0ES3_jN6thrust23THRUST_200600_302600_NS6detail15normal_iteratorINSA_10device_ptrIxEEEEPS6_NSA_18transform_iteratorI7is_evenIxESF_NSA_11use_defaultESK_EENS0_5tupleIJNSA_16discard_iteratorISK_EESF_EEENSM_IJSG_SG_EEES6_PlJS6_EEE10hipError_tPvRmT3_T4_T5_T6_T7_T9_mT8_P12ihipStream_tbDpT10_ENKUlT_T0_E_clISt17integral_constantIbLb1EES1A_IbLb0EEEEDaS16_S17_EUlS16_E_NS1_11comp_targetILNS1_3genE5ELNS1_11target_archE942ELNS1_3gpuE9ELNS1_3repE0EEENS1_30default_config_static_selectorELNS0_4arch9wavefront6targetE1EEEvT1_
	.p2align	8
	.type	_ZN7rocprim17ROCPRIM_400000_NS6detail17trampoline_kernelINS0_14default_configENS1_25partition_config_selectorILNS1_17partition_subalgoE1ExNS0_10empty_typeEbEEZZNS1_14partition_implILS5_1ELb0ES3_jN6thrust23THRUST_200600_302600_NS6detail15normal_iteratorINSA_10device_ptrIxEEEEPS6_NSA_18transform_iteratorI7is_evenIxESF_NSA_11use_defaultESK_EENS0_5tupleIJNSA_16discard_iteratorISK_EESF_EEENSM_IJSG_SG_EEES6_PlJS6_EEE10hipError_tPvRmT3_T4_T5_T6_T7_T9_mT8_P12ihipStream_tbDpT10_ENKUlT_T0_E_clISt17integral_constantIbLb1EES1A_IbLb0EEEEDaS16_S17_EUlS16_E_NS1_11comp_targetILNS1_3genE5ELNS1_11target_archE942ELNS1_3gpuE9ELNS1_3repE0EEENS1_30default_config_static_selectorELNS0_4arch9wavefront6targetE1EEEvT1_,@function
_ZN7rocprim17ROCPRIM_400000_NS6detail17trampoline_kernelINS0_14default_configENS1_25partition_config_selectorILNS1_17partition_subalgoE1ExNS0_10empty_typeEbEEZZNS1_14partition_implILS5_1ELb0ES3_jN6thrust23THRUST_200600_302600_NS6detail15normal_iteratorINSA_10device_ptrIxEEEEPS6_NSA_18transform_iteratorI7is_evenIxESF_NSA_11use_defaultESK_EENS0_5tupleIJNSA_16discard_iteratorISK_EESF_EEENSM_IJSG_SG_EEES6_PlJS6_EEE10hipError_tPvRmT3_T4_T5_T6_T7_T9_mT8_P12ihipStream_tbDpT10_ENKUlT_T0_E_clISt17integral_constantIbLb1EES1A_IbLb0EEEEDaS16_S17_EUlS16_E_NS1_11comp_targetILNS1_3genE5ELNS1_11target_archE942ELNS1_3gpuE9ELNS1_3repE0EEENS1_30default_config_static_selectorELNS0_4arch9wavefront6targetE1EEEvT1_: ; @_ZN7rocprim17ROCPRIM_400000_NS6detail17trampoline_kernelINS0_14default_configENS1_25partition_config_selectorILNS1_17partition_subalgoE1ExNS0_10empty_typeEbEEZZNS1_14partition_implILS5_1ELb0ES3_jN6thrust23THRUST_200600_302600_NS6detail15normal_iteratorINSA_10device_ptrIxEEEEPS6_NSA_18transform_iteratorI7is_evenIxESF_NSA_11use_defaultESK_EENS0_5tupleIJNSA_16discard_iteratorISK_EESF_EEENSM_IJSG_SG_EEES6_PlJS6_EEE10hipError_tPvRmT3_T4_T5_T6_T7_T9_mT8_P12ihipStream_tbDpT10_ENKUlT_T0_E_clISt17integral_constantIbLb1EES1A_IbLb0EEEEDaS16_S17_EUlS16_E_NS1_11comp_targetILNS1_3genE5ELNS1_11target_archE942ELNS1_3gpuE9ELNS1_3repE0EEENS1_30default_config_static_selectorELNS0_4arch9wavefront6targetE1EEEvT1_
; %bb.0:
	.section	.rodata,"a",@progbits
	.p2align	6, 0x0
	.amdhsa_kernel _ZN7rocprim17ROCPRIM_400000_NS6detail17trampoline_kernelINS0_14default_configENS1_25partition_config_selectorILNS1_17partition_subalgoE1ExNS0_10empty_typeEbEEZZNS1_14partition_implILS5_1ELb0ES3_jN6thrust23THRUST_200600_302600_NS6detail15normal_iteratorINSA_10device_ptrIxEEEEPS6_NSA_18transform_iteratorI7is_evenIxESF_NSA_11use_defaultESK_EENS0_5tupleIJNSA_16discard_iteratorISK_EESF_EEENSM_IJSG_SG_EEES6_PlJS6_EEE10hipError_tPvRmT3_T4_T5_T6_T7_T9_mT8_P12ihipStream_tbDpT10_ENKUlT_T0_E_clISt17integral_constantIbLb1EES1A_IbLb0EEEEDaS16_S17_EUlS16_E_NS1_11comp_targetILNS1_3genE5ELNS1_11target_archE942ELNS1_3gpuE9ELNS1_3repE0EEENS1_30default_config_static_selectorELNS0_4arch9wavefront6targetE1EEEvT1_
		.amdhsa_group_segment_fixed_size 0
		.amdhsa_private_segment_fixed_size 0
		.amdhsa_kernarg_size 136
		.amdhsa_user_sgpr_count 6
		.amdhsa_user_sgpr_private_segment_buffer 1
		.amdhsa_user_sgpr_dispatch_ptr 0
		.amdhsa_user_sgpr_queue_ptr 0
		.amdhsa_user_sgpr_kernarg_segment_ptr 1
		.amdhsa_user_sgpr_dispatch_id 0
		.amdhsa_user_sgpr_flat_scratch_init 0
		.amdhsa_user_sgpr_kernarg_preload_length 0
		.amdhsa_user_sgpr_kernarg_preload_offset 0
		.amdhsa_user_sgpr_private_segment_size 0
		.amdhsa_uses_dynamic_stack 0
		.amdhsa_system_sgpr_private_segment_wavefront_offset 0
		.amdhsa_system_sgpr_workgroup_id_x 1
		.amdhsa_system_sgpr_workgroup_id_y 0
		.amdhsa_system_sgpr_workgroup_id_z 0
		.amdhsa_system_sgpr_workgroup_info 0
		.amdhsa_system_vgpr_workitem_id 0
		.amdhsa_next_free_vgpr 1
		.amdhsa_next_free_sgpr 0
		.amdhsa_accum_offset 4
		.amdhsa_reserve_vcc 0
		.amdhsa_reserve_flat_scratch 0
		.amdhsa_float_round_mode_32 0
		.amdhsa_float_round_mode_16_64 0
		.amdhsa_float_denorm_mode_32 3
		.amdhsa_float_denorm_mode_16_64 3
		.amdhsa_dx10_clamp 1
		.amdhsa_ieee_mode 1
		.amdhsa_fp16_overflow 0
		.amdhsa_tg_split 0
		.amdhsa_exception_fp_ieee_invalid_op 0
		.amdhsa_exception_fp_denorm_src 0
		.amdhsa_exception_fp_ieee_div_zero 0
		.amdhsa_exception_fp_ieee_overflow 0
		.amdhsa_exception_fp_ieee_underflow 0
		.amdhsa_exception_fp_ieee_inexact 0
		.amdhsa_exception_int_div_zero 0
	.end_amdhsa_kernel
	.section	.text._ZN7rocprim17ROCPRIM_400000_NS6detail17trampoline_kernelINS0_14default_configENS1_25partition_config_selectorILNS1_17partition_subalgoE1ExNS0_10empty_typeEbEEZZNS1_14partition_implILS5_1ELb0ES3_jN6thrust23THRUST_200600_302600_NS6detail15normal_iteratorINSA_10device_ptrIxEEEEPS6_NSA_18transform_iteratorI7is_evenIxESF_NSA_11use_defaultESK_EENS0_5tupleIJNSA_16discard_iteratorISK_EESF_EEENSM_IJSG_SG_EEES6_PlJS6_EEE10hipError_tPvRmT3_T4_T5_T6_T7_T9_mT8_P12ihipStream_tbDpT10_ENKUlT_T0_E_clISt17integral_constantIbLb1EES1A_IbLb0EEEEDaS16_S17_EUlS16_E_NS1_11comp_targetILNS1_3genE5ELNS1_11target_archE942ELNS1_3gpuE9ELNS1_3repE0EEENS1_30default_config_static_selectorELNS0_4arch9wavefront6targetE1EEEvT1_,"axG",@progbits,_ZN7rocprim17ROCPRIM_400000_NS6detail17trampoline_kernelINS0_14default_configENS1_25partition_config_selectorILNS1_17partition_subalgoE1ExNS0_10empty_typeEbEEZZNS1_14partition_implILS5_1ELb0ES3_jN6thrust23THRUST_200600_302600_NS6detail15normal_iteratorINSA_10device_ptrIxEEEEPS6_NSA_18transform_iteratorI7is_evenIxESF_NSA_11use_defaultESK_EENS0_5tupleIJNSA_16discard_iteratorISK_EESF_EEENSM_IJSG_SG_EEES6_PlJS6_EEE10hipError_tPvRmT3_T4_T5_T6_T7_T9_mT8_P12ihipStream_tbDpT10_ENKUlT_T0_E_clISt17integral_constantIbLb1EES1A_IbLb0EEEEDaS16_S17_EUlS16_E_NS1_11comp_targetILNS1_3genE5ELNS1_11target_archE942ELNS1_3gpuE9ELNS1_3repE0EEENS1_30default_config_static_selectorELNS0_4arch9wavefront6targetE1EEEvT1_,comdat
.Lfunc_end3244:
	.size	_ZN7rocprim17ROCPRIM_400000_NS6detail17trampoline_kernelINS0_14default_configENS1_25partition_config_selectorILNS1_17partition_subalgoE1ExNS0_10empty_typeEbEEZZNS1_14partition_implILS5_1ELb0ES3_jN6thrust23THRUST_200600_302600_NS6detail15normal_iteratorINSA_10device_ptrIxEEEEPS6_NSA_18transform_iteratorI7is_evenIxESF_NSA_11use_defaultESK_EENS0_5tupleIJNSA_16discard_iteratorISK_EESF_EEENSM_IJSG_SG_EEES6_PlJS6_EEE10hipError_tPvRmT3_T4_T5_T6_T7_T9_mT8_P12ihipStream_tbDpT10_ENKUlT_T0_E_clISt17integral_constantIbLb1EES1A_IbLb0EEEEDaS16_S17_EUlS16_E_NS1_11comp_targetILNS1_3genE5ELNS1_11target_archE942ELNS1_3gpuE9ELNS1_3repE0EEENS1_30default_config_static_selectorELNS0_4arch9wavefront6targetE1EEEvT1_, .Lfunc_end3244-_ZN7rocprim17ROCPRIM_400000_NS6detail17trampoline_kernelINS0_14default_configENS1_25partition_config_selectorILNS1_17partition_subalgoE1ExNS0_10empty_typeEbEEZZNS1_14partition_implILS5_1ELb0ES3_jN6thrust23THRUST_200600_302600_NS6detail15normal_iteratorINSA_10device_ptrIxEEEEPS6_NSA_18transform_iteratorI7is_evenIxESF_NSA_11use_defaultESK_EENS0_5tupleIJNSA_16discard_iteratorISK_EESF_EEENSM_IJSG_SG_EEES6_PlJS6_EEE10hipError_tPvRmT3_T4_T5_T6_T7_T9_mT8_P12ihipStream_tbDpT10_ENKUlT_T0_E_clISt17integral_constantIbLb1EES1A_IbLb0EEEEDaS16_S17_EUlS16_E_NS1_11comp_targetILNS1_3genE5ELNS1_11target_archE942ELNS1_3gpuE9ELNS1_3repE0EEENS1_30default_config_static_selectorELNS0_4arch9wavefront6targetE1EEEvT1_
                                        ; -- End function
	.section	.AMDGPU.csdata,"",@progbits
; Kernel info:
; codeLenInByte = 0
; NumSgprs: 4
; NumVgprs: 0
; NumAgprs: 0
; TotalNumVgprs: 0
; ScratchSize: 0
; MemoryBound: 0
; FloatMode: 240
; IeeeMode: 1
; LDSByteSize: 0 bytes/workgroup (compile time only)
; SGPRBlocks: 0
; VGPRBlocks: 0
; NumSGPRsForWavesPerEU: 4
; NumVGPRsForWavesPerEU: 1
; AccumOffset: 4
; Occupancy: 8
; WaveLimiterHint : 0
; COMPUTE_PGM_RSRC2:SCRATCH_EN: 0
; COMPUTE_PGM_RSRC2:USER_SGPR: 6
; COMPUTE_PGM_RSRC2:TRAP_HANDLER: 0
; COMPUTE_PGM_RSRC2:TGID_X_EN: 1
; COMPUTE_PGM_RSRC2:TGID_Y_EN: 0
; COMPUTE_PGM_RSRC2:TGID_Z_EN: 0
; COMPUTE_PGM_RSRC2:TIDIG_COMP_CNT: 0
; COMPUTE_PGM_RSRC3_GFX90A:ACCUM_OFFSET: 0
; COMPUTE_PGM_RSRC3_GFX90A:TG_SPLIT: 0
	.section	.text._ZN7rocprim17ROCPRIM_400000_NS6detail17trampoline_kernelINS0_14default_configENS1_25partition_config_selectorILNS1_17partition_subalgoE1ExNS0_10empty_typeEbEEZZNS1_14partition_implILS5_1ELb0ES3_jN6thrust23THRUST_200600_302600_NS6detail15normal_iteratorINSA_10device_ptrIxEEEEPS6_NSA_18transform_iteratorI7is_evenIxESF_NSA_11use_defaultESK_EENS0_5tupleIJNSA_16discard_iteratorISK_EESF_EEENSM_IJSG_SG_EEES6_PlJS6_EEE10hipError_tPvRmT3_T4_T5_T6_T7_T9_mT8_P12ihipStream_tbDpT10_ENKUlT_T0_E_clISt17integral_constantIbLb1EES1A_IbLb0EEEEDaS16_S17_EUlS16_E_NS1_11comp_targetILNS1_3genE4ELNS1_11target_archE910ELNS1_3gpuE8ELNS1_3repE0EEENS1_30default_config_static_selectorELNS0_4arch9wavefront6targetE1EEEvT1_,"axG",@progbits,_ZN7rocprim17ROCPRIM_400000_NS6detail17trampoline_kernelINS0_14default_configENS1_25partition_config_selectorILNS1_17partition_subalgoE1ExNS0_10empty_typeEbEEZZNS1_14partition_implILS5_1ELb0ES3_jN6thrust23THRUST_200600_302600_NS6detail15normal_iteratorINSA_10device_ptrIxEEEEPS6_NSA_18transform_iteratorI7is_evenIxESF_NSA_11use_defaultESK_EENS0_5tupleIJNSA_16discard_iteratorISK_EESF_EEENSM_IJSG_SG_EEES6_PlJS6_EEE10hipError_tPvRmT3_T4_T5_T6_T7_T9_mT8_P12ihipStream_tbDpT10_ENKUlT_T0_E_clISt17integral_constantIbLb1EES1A_IbLb0EEEEDaS16_S17_EUlS16_E_NS1_11comp_targetILNS1_3genE4ELNS1_11target_archE910ELNS1_3gpuE8ELNS1_3repE0EEENS1_30default_config_static_selectorELNS0_4arch9wavefront6targetE1EEEvT1_,comdat
	.protected	_ZN7rocprim17ROCPRIM_400000_NS6detail17trampoline_kernelINS0_14default_configENS1_25partition_config_selectorILNS1_17partition_subalgoE1ExNS0_10empty_typeEbEEZZNS1_14partition_implILS5_1ELb0ES3_jN6thrust23THRUST_200600_302600_NS6detail15normal_iteratorINSA_10device_ptrIxEEEEPS6_NSA_18transform_iteratorI7is_evenIxESF_NSA_11use_defaultESK_EENS0_5tupleIJNSA_16discard_iteratorISK_EESF_EEENSM_IJSG_SG_EEES6_PlJS6_EEE10hipError_tPvRmT3_T4_T5_T6_T7_T9_mT8_P12ihipStream_tbDpT10_ENKUlT_T0_E_clISt17integral_constantIbLb1EES1A_IbLb0EEEEDaS16_S17_EUlS16_E_NS1_11comp_targetILNS1_3genE4ELNS1_11target_archE910ELNS1_3gpuE8ELNS1_3repE0EEENS1_30default_config_static_selectorELNS0_4arch9wavefront6targetE1EEEvT1_ ; -- Begin function _ZN7rocprim17ROCPRIM_400000_NS6detail17trampoline_kernelINS0_14default_configENS1_25partition_config_selectorILNS1_17partition_subalgoE1ExNS0_10empty_typeEbEEZZNS1_14partition_implILS5_1ELb0ES3_jN6thrust23THRUST_200600_302600_NS6detail15normal_iteratorINSA_10device_ptrIxEEEEPS6_NSA_18transform_iteratorI7is_evenIxESF_NSA_11use_defaultESK_EENS0_5tupleIJNSA_16discard_iteratorISK_EESF_EEENSM_IJSG_SG_EEES6_PlJS6_EEE10hipError_tPvRmT3_T4_T5_T6_T7_T9_mT8_P12ihipStream_tbDpT10_ENKUlT_T0_E_clISt17integral_constantIbLb1EES1A_IbLb0EEEEDaS16_S17_EUlS16_E_NS1_11comp_targetILNS1_3genE4ELNS1_11target_archE910ELNS1_3gpuE8ELNS1_3repE0EEENS1_30default_config_static_selectorELNS0_4arch9wavefront6targetE1EEEvT1_
	.globl	_ZN7rocprim17ROCPRIM_400000_NS6detail17trampoline_kernelINS0_14default_configENS1_25partition_config_selectorILNS1_17partition_subalgoE1ExNS0_10empty_typeEbEEZZNS1_14partition_implILS5_1ELb0ES3_jN6thrust23THRUST_200600_302600_NS6detail15normal_iteratorINSA_10device_ptrIxEEEEPS6_NSA_18transform_iteratorI7is_evenIxESF_NSA_11use_defaultESK_EENS0_5tupleIJNSA_16discard_iteratorISK_EESF_EEENSM_IJSG_SG_EEES6_PlJS6_EEE10hipError_tPvRmT3_T4_T5_T6_T7_T9_mT8_P12ihipStream_tbDpT10_ENKUlT_T0_E_clISt17integral_constantIbLb1EES1A_IbLb0EEEEDaS16_S17_EUlS16_E_NS1_11comp_targetILNS1_3genE4ELNS1_11target_archE910ELNS1_3gpuE8ELNS1_3repE0EEENS1_30default_config_static_selectorELNS0_4arch9wavefront6targetE1EEEvT1_
	.p2align	8
	.type	_ZN7rocprim17ROCPRIM_400000_NS6detail17trampoline_kernelINS0_14default_configENS1_25partition_config_selectorILNS1_17partition_subalgoE1ExNS0_10empty_typeEbEEZZNS1_14partition_implILS5_1ELb0ES3_jN6thrust23THRUST_200600_302600_NS6detail15normal_iteratorINSA_10device_ptrIxEEEEPS6_NSA_18transform_iteratorI7is_evenIxESF_NSA_11use_defaultESK_EENS0_5tupleIJNSA_16discard_iteratorISK_EESF_EEENSM_IJSG_SG_EEES6_PlJS6_EEE10hipError_tPvRmT3_T4_T5_T6_T7_T9_mT8_P12ihipStream_tbDpT10_ENKUlT_T0_E_clISt17integral_constantIbLb1EES1A_IbLb0EEEEDaS16_S17_EUlS16_E_NS1_11comp_targetILNS1_3genE4ELNS1_11target_archE910ELNS1_3gpuE8ELNS1_3repE0EEENS1_30default_config_static_selectorELNS0_4arch9wavefront6targetE1EEEvT1_,@function
_ZN7rocprim17ROCPRIM_400000_NS6detail17trampoline_kernelINS0_14default_configENS1_25partition_config_selectorILNS1_17partition_subalgoE1ExNS0_10empty_typeEbEEZZNS1_14partition_implILS5_1ELb0ES3_jN6thrust23THRUST_200600_302600_NS6detail15normal_iteratorINSA_10device_ptrIxEEEEPS6_NSA_18transform_iteratorI7is_evenIxESF_NSA_11use_defaultESK_EENS0_5tupleIJNSA_16discard_iteratorISK_EESF_EEENSM_IJSG_SG_EEES6_PlJS6_EEE10hipError_tPvRmT3_T4_T5_T6_T7_T9_mT8_P12ihipStream_tbDpT10_ENKUlT_T0_E_clISt17integral_constantIbLb1EES1A_IbLb0EEEEDaS16_S17_EUlS16_E_NS1_11comp_targetILNS1_3genE4ELNS1_11target_archE910ELNS1_3gpuE8ELNS1_3repE0EEENS1_30default_config_static_selectorELNS0_4arch9wavefront6targetE1EEEvT1_: ; @_ZN7rocprim17ROCPRIM_400000_NS6detail17trampoline_kernelINS0_14default_configENS1_25partition_config_selectorILNS1_17partition_subalgoE1ExNS0_10empty_typeEbEEZZNS1_14partition_implILS5_1ELb0ES3_jN6thrust23THRUST_200600_302600_NS6detail15normal_iteratorINSA_10device_ptrIxEEEEPS6_NSA_18transform_iteratorI7is_evenIxESF_NSA_11use_defaultESK_EENS0_5tupleIJNSA_16discard_iteratorISK_EESF_EEENSM_IJSG_SG_EEES6_PlJS6_EEE10hipError_tPvRmT3_T4_T5_T6_T7_T9_mT8_P12ihipStream_tbDpT10_ENKUlT_T0_E_clISt17integral_constantIbLb1EES1A_IbLb0EEEEDaS16_S17_EUlS16_E_NS1_11comp_targetILNS1_3genE4ELNS1_11target_archE910ELNS1_3gpuE8ELNS1_3repE0EEENS1_30default_config_static_selectorELNS0_4arch9wavefront6targetE1EEEvT1_
; %bb.0:
	s_load_dwordx2 s[0:1], s[4:5], 0x68
	s_load_dwordx4 s[24:27], s[4:5], 0x8
	s_load_dwordx2 s[2:3], s[4:5], 0x20
	s_load_dwordx4 s[20:23], s[4:5], 0x58
	s_mul_i32 s10, s6, 0x300
	s_waitcnt lgkmcnt(0)
	v_mov_b32_e32 v3, s1
	s_load_dword s1, s[4:5], 0x80
	s_lshl_b64 s[8:9], s[26:27], 3
	s_add_u32 s7, s24, s8
	s_addc_u32 s12, s25, s9
	v_mov_b32_e32 v2, s0
	s_waitcnt lgkmcnt(0)
	s_add_i32 s13, s1, -1
	s_mulk_i32 s1, 0x300
	s_add_i32 s11, s1, s26
	s_sub_i32 s33, s0, s11
	s_addk_i32 s33, 0x300
	s_add_u32 s0, s26, s1
	s_addc_u32 s1, s27, 0
	s_cmp_eq_u32 s6, s13
	s_load_dwordx2 s[28:29], s[22:23], 0x0
	s_cselect_b64 s[22:23], -1, 0
	s_cmp_lg_u32 s6, s13
	s_mov_b32 s11, 0
	v_cmp_lt_u64_e32 vcc, s[0:1], v[2:3]
	s_cselect_b64 s[0:1], -1, 0
	s_or_b64 s[24:25], s[0:1], vcc
	s_lshl_b64 s[30:31], s[10:11], 3
	s_add_u32 s7, s7, s30
	s_addc_u32 s12, s12, s31
	s_mov_b64 s[0:1], -1
	s_and_b64 vcc, exec, s[24:25]
	v_lshlrev_b32_e32 v20, 3, v0
	v_lshrrev_b32_e32 v1, 2, v0
	s_cbranch_vccz .LBB3245_2
; %bb.1:
	v_mov_b32_e32 v3, s12
	v_add_co_u32_e32 v2, vcc, s7, v20
	v_addc_co_u32_e32 v3, vcc, 0, v3, vcc
	v_add_co_u32_e32 v4, vcc, 0x1000, v2
	v_addc_co_u32_e32 v5, vcc, 0, v3, vcc
	flat_load_dwordx2 v[6:7], v[2:3]
	flat_load_dwordx2 v[8:9], v[2:3] offset:1536
	flat_load_dwordx2 v[10:11], v[2:3] offset:3072
	;; [unrolled: 1-line block ×3, first 2 shown]
	v_add_u32_e32 v3, 0xc0, v0
	v_add_u32_e32 v4, 0x180, v0
	;; [unrolled: 1-line block ×3, first 2 shown]
	v_and_b32_e32 v2, 56, v1
	v_lshrrev_b32_e32 v3, 2, v3
	v_lshrrev_b32_e32 v4, 2, v4
	;; [unrolled: 1-line block ×3, first 2 shown]
	v_add_u32_e32 v2, v2, v20
	v_and_b32_e32 v3, 0x78, v3
	v_and_b32_e32 v4, 0xf8, v4
	;; [unrolled: 1-line block ×3, first 2 shown]
	v_add_u32_e32 v3, v3, v20
	v_add_u32_e32 v4, v4, v20
	;; [unrolled: 1-line block ×3, first 2 shown]
	s_mov_b64 s[0:1], 0
	s_waitcnt vmcnt(0) lgkmcnt(0)
	ds_write_b64 v2, v[6:7]
	ds_write_b64 v3, v[8:9] offset:1536
	ds_write_b64 v4, v[10:11] offset:3072
	;; [unrolled: 1-line block ×3, first 2 shown]
	s_waitcnt lgkmcnt(0)
	s_barrier
.LBB3245_2:
	s_andn2_b64 vcc, exec, s[0:1]
	v_cmp_gt_u32_e64 s[0:1], s33, v0
	s_cbranch_vccnz .LBB3245_12
; %bb.3:
                                        ; implicit-def: $vgpr2_vgpr3_vgpr4_vgpr5_vgpr6_vgpr7_vgpr8_vgpr9
	s_and_saveexec_b64 s[10:11], s[0:1]
	s_cbranch_execz .LBB3245_5
; %bb.4:
	v_mov_b32_e32 v3, s12
	v_add_co_u32_e32 v2, vcc, s7, v20
	v_addc_co_u32_e32 v3, vcc, 0, v3, vcc
	flat_load_dwordx2 v[2:3], v[2:3]
.LBB3245_5:
	s_or_b64 exec, exec, s[10:11]
	v_add_u32_e32 v10, 0xc0, v0
	v_cmp_gt_u32_e32 vcc, s33, v10
	s_and_saveexec_b64 s[0:1], vcc
	s_cbranch_execz .LBB3245_7
; %bb.6:
	v_mov_b32_e32 v5, s12
	v_add_co_u32_e32 v4, vcc, s7, v20
	v_addc_co_u32_e32 v5, vcc, 0, v5, vcc
	flat_load_dwordx2 v[4:5], v[4:5] offset:1536
.LBB3245_7:
	s_or_b64 exec, exec, s[0:1]
	v_add_u32_e32 v11, 0x180, v0
	v_cmp_gt_u32_e32 vcc, s33, v11
	s_and_saveexec_b64 s[0:1], vcc
	s_cbranch_execz .LBB3245_9
; %bb.8:
	v_mov_b32_e32 v7, s12
	v_add_co_u32_e32 v6, vcc, s7, v20
	v_addc_co_u32_e32 v7, vcc, 0, v7, vcc
	flat_load_dwordx2 v[6:7], v[6:7] offset:3072
.LBB3245_9:
	s_or_b64 exec, exec, s[0:1]
	v_add_u32_e32 v12, 0x240, v0
	v_cmp_gt_u32_e32 vcc, s33, v12
	s_and_saveexec_b64 s[0:1], vcc
	s_cbranch_execz .LBB3245_11
; %bb.10:
	v_lshlrev_b32_e32 v8, 3, v12
	v_mov_b32_e32 v9, s12
	v_add_co_u32_e32 v8, vcc, s7, v8
	v_addc_co_u32_e32 v9, vcc, 0, v9, vcc
	flat_load_dwordx2 v[8:9], v[8:9]
.LBB3245_11:
	s_or_b64 exec, exec, s[0:1]
	v_and_b32_e32 v1, 56, v1
	v_add_u32_e32 v1, v1, v20
	s_waitcnt vmcnt(0) lgkmcnt(0)
	ds_write_b64 v1, v[2:3]
	v_lshrrev_b32_e32 v1, 2, v10
	v_and_b32_e32 v1, 0x78, v1
	v_add_u32_e32 v1, v1, v20
	ds_write_b64 v1, v[4:5] offset:1536
	v_lshrrev_b32_e32 v1, 2, v11
	v_and_b32_e32 v1, 0xf8, v1
	v_add_u32_e32 v1, v1, v20
	ds_write_b64 v1, v[6:7] offset:3072
	;; [unrolled: 4-line block ×3, first 2 shown]
	s_waitcnt lgkmcnt(0)
	s_barrier
.LBB3245_12:
	v_lshlrev_b32_e32 v1, 2, v0
	v_lshrrev_b32_e32 v10, 3, v0
	v_add_lshl_u32 v2, v10, v1, 3
	s_waitcnt lgkmcnt(0)
	ds_read2_b64 v[6:9], v2 offset1:1
	ds_read2_b64 v[2:5], v2 offset0:2 offset1:3
	s_add_u32 s0, s2, s8
	s_addc_u32 s1, s3, s9
	s_add_u32 s0, s0, s30
	s_addc_u32 s1, s1, s31
	s_mov_b64 s[2:3], -1
	s_and_b64 vcc, exec, s[24:25]
	v_lshrrev_b32_e32 v11, 5, v0
	s_waitcnt lgkmcnt(0)
	s_barrier
	s_cbranch_vccz .LBB3245_14
; %bb.13:
	global_load_dwordx2 v[12:13], v20, s[0:1]
	global_load_dwordx2 v[14:15], v20, s[0:1] offset:1536
	global_load_dwordx2 v[16:17], v20, s[0:1] offset:3072
	v_mov_b32_e32 v18, s1
	s_waitcnt vmcnt(2)
	v_add_co_u32_e32 v13, vcc, s0, v20
	s_waitcnt vmcnt(1)
	v_addc_co_u32_e32 v15, vcc, 0, v18, vcc
	v_add_co_u32_e32 v18, vcc, 0x1000, v13
	v_addc_co_u32_e32 v19, vcc, 0, v15, vcc
	global_load_dwordx2 v[18:19], v[18:19], off offset:512
	v_add_u32_e32 v15, 0xc0, v0
	s_waitcnt vmcnt(1)
	v_add_u32_e32 v17, 0x180, v0
	v_and_b32_e32 v13, 4, v11
	s_waitcnt vmcnt(0)
	v_add_u32_e32 v19, 0x240, v0
	v_lshrrev_b32_e32 v15, 5, v15
	v_lshrrev_b32_e32 v17, 5, v17
	v_add_u32_e32 v13, v13, v0
	v_lshrrev_b32_e32 v19, 5, v19
	v_and_b32_e32 v15, 12, v15
	v_and_b32_e32 v17, 28, v17
	v_and_b32_e32 v19, 28, v19
	v_add_u32_e32 v15, v15, v0
	v_add_u32_e32 v17, v17, v0
	;; [unrolled: 1-line block ×3, first 2 shown]
	s_mov_b64 s[2:3], 0
	v_xor_b32_e32 v12, -1, v12
	v_xor_b32_e32 v14, -1, v14
	;; [unrolled: 1-line block ×3, first 2 shown]
	v_and_b32_e32 v12, 1, v12
	v_and_b32_e32 v14, 1, v14
	;; [unrolled: 1-line block ×3, first 2 shown]
	ds_write_b8 v13, v12
	ds_write_b8 v15, v14 offset:192
	ds_write_b8 v17, v16 offset:384
	v_xor_b32_e32 v12, -1, v18
	v_and_b32_e32 v12, 1, v12
	ds_write_b8 v19, v12 offset:576
	s_waitcnt lgkmcnt(0)
	s_barrier
.LBB3245_14:
	s_load_dwordx2 s[34:35], s[4:5], 0x78
	s_andn2_b64 vcc, exec, s[2:3]
	s_cbranch_vccnz .LBB3245_24
; %bb.15:
	v_cmp_gt_u32_e32 vcc, s33, v0
	v_mov_b32_e32 v12, 0
	v_mov_b32_e32 v13, 0
	s_and_saveexec_b64 s[2:3], vcc
	s_cbranch_execz .LBB3245_17
; %bb.16:
	global_load_dwordx2 v[14:15], v20, s[0:1]
	s_waitcnt vmcnt(0)
	v_xor_b32_e32 v13, -1, v14
	v_and_b32_e32 v13, 1, v13
.LBB3245_17:
	s_or_b64 exec, exec, s[2:3]
	v_add_u32_e32 v14, 0xc0, v0
	v_cmp_gt_u32_e32 vcc, s33, v14
	s_and_saveexec_b64 s[2:3], vcc
	s_cbranch_execz .LBB3245_19
; %bb.18:
	global_load_dwordx2 v[16:17], v20, s[0:1] offset:1536
	s_waitcnt vmcnt(0)
	v_xor_b32_e32 v12, -1, v16
	v_and_b32_e32 v12, 1, v12
.LBB3245_19:
	s_or_b64 exec, exec, s[2:3]
	v_add_u32_e32 v16, 0x180, v0
	v_cmp_gt_u32_e32 vcc, s33, v16
	v_mov_b32_e32 v15, 0
	v_mov_b32_e32 v17, 0
	s_and_saveexec_b64 s[2:3], vcc
	s_cbranch_execz .LBB3245_21
; %bb.20:
	global_load_dwordx2 v[18:19], v20, s[0:1] offset:3072
	s_waitcnt vmcnt(0)
	v_xor_b32_e32 v17, -1, v18
	v_and_b32_e32 v17, 1, v17
.LBB3245_21:
	s_or_b64 exec, exec, s[2:3]
	v_add_u32_e32 v18, 0x240, v0
	v_cmp_gt_u32_e32 vcc, s33, v18
	s_and_saveexec_b64 s[2:3], vcc
	s_cbranch_execz .LBB3245_23
; %bb.22:
	v_lshlrev_b32_e32 v15, 3, v18
	global_load_dwordx2 v[22:23], v15, s[0:1]
	s_waitcnt vmcnt(0)
	v_xor_b32_e32 v15, -1, v22
	v_and_b32_e32 v15, 1, v15
.LBB3245_23:
	s_or_b64 exec, exec, s[2:3]
	v_and_b32_e32 v11, 4, v11
	v_add_u32_e32 v11, v11, v0
	ds_write_b8 v11, v13
	v_lshrrev_b32_e32 v11, 5, v14
	v_and_b32_e32 v11, 12, v11
	v_add_u32_e32 v11, v11, v0
	ds_write_b8 v11, v12 offset:192
	v_lshrrev_b32_e32 v11, 5, v16
	v_and_b32_e32 v11, 28, v11
	v_add_u32_e32 v11, v11, v0
	ds_write_b8 v11, v17 offset:384
	;; [unrolled: 4-line block ×3, first 2 shown]
	s_waitcnt lgkmcnt(0)
	s_barrier
.LBB3245_24:
	v_and_b32_e32 v10, 28, v10
	v_add_u32_e32 v10, v10, v1
	s_waitcnt lgkmcnt(0)
	ds_read_b32 v22, v10
	s_cmp_lg_u32 s6, 0
	v_lshrrev_b32_e32 v25, 6, v0
	s_waitcnt lgkmcnt(0)
	s_barrier
	v_lshrrev_b32_e32 v21, 24, v22
	v_bfe_u32 v23, v22, 16, 8
	v_add_u32_sdwa v10, v22, v22 dst_sel:DWORD dst_unused:UNUSED_PAD src0_sel:BYTE_1 src1_sel:BYTE_0
	v_add3_u32 v26, v10, v23, v21
	v_mbcnt_lo_u32_b32 v10, -1, 0
	v_mbcnt_hi_u32_b32 v24, -1, v10
	v_and_b32_e32 v10, 15, v24
	v_cmp_eq_u32_e64 s[14:15], 0, v10
	v_cmp_lt_u32_e64 s[12:13], 1, v10
	v_cmp_lt_u32_e64 s[10:11], 3, v10
	;; [unrolled: 1-line block ×3, first 2 shown]
	v_and_b32_e32 v10, 16, v24
	v_cmp_eq_u32_e64 s[2:3], 0, v10
	v_and_b32_e32 v10, 0xc0, v0
	v_min_u32_e32 v10, 0x80, v10
	v_or_b32_e32 v10, 63, v10
	v_cmp_lt_u32_e64 s[0:1], 31, v24
	v_cmp_eq_u32_e64 s[18:19], v10, v0
	s_cbranch_scc0 .LBB3245_55
; %bb.25:
	v_mov_b32_dpp v10, v26 row_shr:1 row_mask:0xf bank_mask:0xf
	v_cndmask_b32_e64 v10, v10, 0, s[14:15]
	v_add_u32_e32 v10, v10, v26
	s_nop 1
	v_mov_b32_dpp v11, v10 row_shr:2 row_mask:0xf bank_mask:0xf
	v_cndmask_b32_e64 v11, 0, v11, s[12:13]
	v_add_u32_e32 v10, v10, v11
	s_nop 1
	v_mov_b32_dpp v11, v10 row_shr:4 row_mask:0xf bank_mask:0xf
	v_cndmask_b32_e64 v11, 0, v11, s[10:11]
	v_add_u32_e32 v10, v10, v11
	s_nop 1
	v_mov_b32_dpp v11, v10 row_shr:8 row_mask:0xf bank_mask:0xf
	v_cndmask_b32_e64 v11, 0, v11, s[8:9]
	v_add_u32_e32 v10, v10, v11
	s_nop 1
	v_mov_b32_dpp v11, v10 row_bcast:15 row_mask:0xf bank_mask:0xf
	v_cndmask_b32_e64 v11, v11, 0, s[2:3]
	v_add_u32_e32 v10, v10, v11
	s_nop 1
	v_mov_b32_dpp v11, v10 row_bcast:31 row_mask:0xf bank_mask:0xf
	v_cndmask_b32_e64 v11, 0, v11, s[0:1]
	v_add_u32_e32 v10, v10, v11
	s_and_saveexec_b64 s[16:17], s[18:19]
	s_cbranch_execz .LBB3245_27
; %bb.26:
	v_lshlrev_b32_e32 v11, 2, v25
	ds_write_b32 v11, v10
.LBB3245_27:
	s_or_b64 exec, exec, s[16:17]
	v_cmp_gt_u32_e32 vcc, 3, v0
	s_waitcnt lgkmcnt(0)
	s_barrier
	s_and_saveexec_b64 s[16:17], vcc
	s_cbranch_execz .LBB3245_29
; %bb.28:
	ds_read_b32 v11, v1
	v_and_b32_e32 v12, 3, v24
	v_cmp_ne_u32_e32 vcc, 0, v12
	s_waitcnt lgkmcnt(0)
	v_mov_b32_dpp v13, v11 row_shr:1 row_mask:0xf bank_mask:0xf
	v_cndmask_b32_e32 v13, 0, v13, vcc
	v_add_u32_e32 v11, v13, v11
	v_cmp_lt_u32_e32 vcc, 1, v12
	s_nop 0
	v_mov_b32_dpp v13, v11 row_shr:2 row_mask:0xf bank_mask:0xf
	v_cndmask_b32_e32 v12, 0, v13, vcc
	v_add_u32_e32 v11, v11, v12
	ds_write_b32 v1, v11
.LBB3245_29:
	s_or_b64 exec, exec, s[16:17]
	v_cmp_gt_u32_e32 vcc, 64, v0
	v_cmp_lt_u32_e64 s[16:17], 63, v0
	s_waitcnt lgkmcnt(0)
	s_barrier
	s_waitcnt lgkmcnt(0)
                                        ; implicit-def: $vgpr27
	s_and_saveexec_b64 s[36:37], s[16:17]
	s_cbranch_execz .LBB3245_31
; %bb.30:
	v_lshl_add_u32 v11, v25, 2, -4
	ds_read_b32 v27, v11
	s_waitcnt lgkmcnt(0)
	v_add_u32_e32 v10, v27, v10
.LBB3245_31:
	s_or_b64 exec, exec, s[36:37]
	v_add_u32_e32 v11, -1, v24
	v_and_b32_e32 v12, 64, v24
	v_cmp_lt_i32_e64 s[16:17], v11, v12
	v_cndmask_b32_e64 v11, v11, v24, s[16:17]
	v_lshlrev_b32_e32 v11, 2, v11
	ds_bpermute_b32 v28, v11, v10
	v_cmp_eq_u32_e64 s[16:17], 0, v24
	s_and_saveexec_b64 s[36:37], vcc
	s_cbranch_execz .LBB3245_54
; %bb.32:
	v_mov_b32_e32 v19, 0
	ds_read_b32 v10, v19 offset:8
	s_and_saveexec_b64 s[38:39], s[16:17]
	s_cbranch_execz .LBB3245_34
; %bb.33:
	s_add_i32 s40, s6, 64
	s_mov_b32 s41, 0
	s_lshl_b64 s[40:41], s[40:41], 3
	s_add_u32 s40, s34, s40
	v_mov_b32_e32 v11, 1
	s_addc_u32 s41, s35, s41
	s_waitcnt lgkmcnt(0)
	global_store_dwordx2 v19, v[10:11], s[40:41]
.LBB3245_34:
	s_or_b64 exec, exec, s[38:39]
	v_xad_u32 v12, v24, -1, s6
	v_add_u32_e32 v18, 64, v12
	v_lshlrev_b64 v[14:15], 3, v[18:19]
	v_mov_b32_e32 v11, s35
	v_add_co_u32_e32 v14, vcc, s34, v14
	v_addc_co_u32_e32 v15, vcc, v11, v15, vcc
	global_load_dwordx2 v[16:17], v[14:15], off glc
	s_waitcnt vmcnt(0)
	v_cmp_eq_u16_sdwa s[40:41], v17, v19 src0_sel:BYTE_0 src1_sel:DWORD
	s_and_saveexec_b64 s[38:39], s[40:41]
	s_cbranch_execz .LBB3245_40
; %bb.35:
	s_mov_b32 s7, 1
	s_mov_b64 s[40:41], 0
	v_mov_b32_e32 v11, 0
.LBB3245_36:                            ; =>This Loop Header: Depth=1
                                        ;     Child Loop BB3245_37 Depth 2
	s_max_u32 s42, s7, 1
.LBB3245_37:                            ;   Parent Loop BB3245_36 Depth=1
                                        ; =>  This Inner Loop Header: Depth=2
	s_add_i32 s42, s42, -1
	s_cmp_eq_u32 s42, 0
	s_sleep 1
	s_cbranch_scc0 .LBB3245_37
; %bb.38:                               ;   in Loop: Header=BB3245_36 Depth=1
	global_load_dwordx2 v[16:17], v[14:15], off glc
	s_cmp_lt_u32 s7, 32
	s_cselect_b64 s[42:43], -1, 0
	s_cmp_lg_u64 s[42:43], 0
	s_addc_u32 s7, s7, 0
	s_waitcnt vmcnt(0)
	v_cmp_ne_u16_sdwa s[42:43], v17, v11 src0_sel:BYTE_0 src1_sel:DWORD
	s_or_b64 s[40:41], s[42:43], s[40:41]
	s_andn2_b64 exec, exec, s[40:41]
	s_cbranch_execnz .LBB3245_36
; %bb.39:
	s_or_b64 exec, exec, s[40:41]
.LBB3245_40:
	s_or_b64 exec, exec, s[38:39]
	v_and_b32_e32 v30, 63, v24
	v_mov_b32_e32 v29, 2
	v_cmp_ne_u32_e32 vcc, 63, v30
	v_cmp_eq_u16_sdwa s[38:39], v17, v29 src0_sel:BYTE_0 src1_sel:DWORD
	v_lshlrev_b64 v[14:15], v24, -1
	v_addc_co_u32_e32 v18, vcc, 0, v24, vcc
	v_and_b32_e32 v11, s39, v15
	v_lshlrev_b32_e32 v31, 2, v18
	v_or_b32_e32 v11, 0x80000000, v11
	ds_bpermute_b32 v18, v31, v16
	v_and_b32_e32 v13, s38, v14
	v_ffbl_b32_e32 v11, v11
	v_add_u32_e32 v11, 32, v11
	v_ffbl_b32_e32 v13, v13
	v_min_u32_e32 v11, v13, v11
	v_cmp_lt_u32_e32 vcc, v30, v11
	s_waitcnt lgkmcnt(0)
	v_cndmask_b32_e32 v13, 0, v18, vcc
	v_cmp_gt_u32_e32 vcc, 62, v30
	v_add_u32_e32 v13, v13, v16
	v_cndmask_b32_e64 v16, 0, 1, vcc
	v_lshlrev_b32_e32 v16, 1, v16
	v_add_lshl_u32 v32, v16, v24, 2
	ds_bpermute_b32 v16, v32, v13
	v_add_u32_e32 v33, 2, v30
	v_cmp_le_u32_e32 vcc, v33, v11
	v_add_u32_e32 v35, 4, v30
	v_add_u32_e32 v37, 8, v30
	s_waitcnt lgkmcnt(0)
	v_cndmask_b32_e32 v16, 0, v16, vcc
	v_cmp_gt_u32_e32 vcc, 60, v30
	v_add_u32_e32 v13, v13, v16
	v_cndmask_b32_e64 v16, 0, 1, vcc
	v_lshlrev_b32_e32 v16, 2, v16
	v_add_lshl_u32 v34, v16, v24, 2
	ds_bpermute_b32 v16, v34, v13
	v_cmp_le_u32_e32 vcc, v35, v11
	v_add_u32_e32 v39, 16, v30
	v_add_u32_e32 v41, 32, v30
	s_waitcnt lgkmcnt(0)
	v_cndmask_b32_e32 v16, 0, v16, vcc
	v_cmp_gt_u32_e32 vcc, 56, v30
	v_add_u32_e32 v13, v13, v16
	v_cndmask_b32_e64 v16, 0, 1, vcc
	v_lshlrev_b32_e32 v16, 3, v16
	v_add_lshl_u32 v36, v16, v24, 2
	ds_bpermute_b32 v16, v36, v13
	v_cmp_le_u32_e32 vcc, v37, v11
	s_waitcnt lgkmcnt(0)
	v_cndmask_b32_e32 v16, 0, v16, vcc
	v_cmp_gt_u32_e32 vcc, 48, v30
	v_add_u32_e32 v13, v13, v16
	v_cndmask_b32_e64 v16, 0, 1, vcc
	v_lshlrev_b32_e32 v16, 4, v16
	v_add_lshl_u32 v38, v16, v24, 2
	ds_bpermute_b32 v16, v38, v13
	v_cmp_le_u32_e32 vcc, v39, v11
	;; [unrolled: 9-line block ×3, first 2 shown]
	s_waitcnt lgkmcnt(0)
	v_cndmask_b32_e32 v11, 0, v16, vcc
	v_add_u32_e32 v16, v13, v11
	v_mov_b32_e32 v13, 0
	s_branch .LBB3245_42
.LBB3245_41:                            ;   in Loop: Header=BB3245_42 Depth=1
	s_or_b64 exec, exec, s[38:39]
	v_cmp_eq_u16_sdwa s[38:39], v17, v29 src0_sel:BYTE_0 src1_sel:DWORD
	v_and_b32_e32 v18, s39, v15
	v_or_b32_e32 v18, 0x80000000, v18
	ds_bpermute_b32 v42, v31, v16
	v_and_b32_e32 v19, s38, v14
	v_ffbl_b32_e32 v18, v18
	v_add_u32_e32 v18, 32, v18
	v_ffbl_b32_e32 v19, v19
	v_min_u32_e32 v18, v19, v18
	v_cmp_lt_u32_e32 vcc, v30, v18
	s_waitcnt lgkmcnt(0)
	v_cndmask_b32_e32 v19, 0, v42, vcc
	v_add_u32_e32 v16, v19, v16
	ds_bpermute_b32 v19, v32, v16
	v_cmp_le_u32_e32 vcc, v33, v18
	v_subrev_u32_e32 v12, 64, v12
	s_waitcnt lgkmcnt(0)
	v_cndmask_b32_e32 v19, 0, v19, vcc
	v_add_u32_e32 v16, v16, v19
	ds_bpermute_b32 v19, v34, v16
	v_cmp_le_u32_e32 vcc, v35, v18
	s_waitcnt lgkmcnt(0)
	v_cndmask_b32_e32 v19, 0, v19, vcc
	v_add_u32_e32 v16, v16, v19
	ds_bpermute_b32 v19, v36, v16
	v_cmp_le_u32_e32 vcc, v37, v18
	;; [unrolled: 5-line block ×4, first 2 shown]
	s_waitcnt lgkmcnt(0)
	v_cndmask_b32_e32 v18, 0, v19, vcc
	v_add3_u32 v16, v18, v11, v16
.LBB3245_42:                            ; =>This Loop Header: Depth=1
                                        ;     Child Loop BB3245_45 Depth 2
                                        ;       Child Loop BB3245_46 Depth 3
	v_cmp_ne_u16_sdwa s[38:39], v17, v29 src0_sel:BYTE_0 src1_sel:DWORD
	v_cndmask_b32_e64 v11, 0, 1, s[38:39]
	;;#ASMSTART
	;;#ASMEND
	v_cmp_ne_u32_e32 vcc, 0, v11
	s_cmp_lg_u64 vcc, exec
	v_mov_b32_e32 v11, v16
	s_cbranch_scc1 .LBB3245_49
; %bb.43:                               ;   in Loop: Header=BB3245_42 Depth=1
	v_lshlrev_b64 v[16:17], 3, v[12:13]
	v_mov_b32_e32 v19, s35
	v_add_co_u32_e32 v18, vcc, s34, v16
	v_addc_co_u32_e32 v19, vcc, v19, v17, vcc
	global_load_dwordx2 v[16:17], v[18:19], off glc
	s_waitcnt vmcnt(0)
	v_cmp_eq_u16_sdwa s[40:41], v17, v13 src0_sel:BYTE_0 src1_sel:DWORD
	s_and_saveexec_b64 s[38:39], s[40:41]
	s_cbranch_execz .LBB3245_41
; %bb.44:                               ;   in Loop: Header=BB3245_42 Depth=1
	s_mov_b32 s7, 1
	s_mov_b64 s[40:41], 0
.LBB3245_45:                            ;   Parent Loop BB3245_42 Depth=1
                                        ; =>  This Loop Header: Depth=2
                                        ;       Child Loop BB3245_46 Depth 3
	s_max_u32 s42, s7, 1
.LBB3245_46:                            ;   Parent Loop BB3245_42 Depth=1
                                        ;     Parent Loop BB3245_45 Depth=2
                                        ; =>    This Inner Loop Header: Depth=3
	s_add_i32 s42, s42, -1
	s_cmp_eq_u32 s42, 0
	s_sleep 1
	s_cbranch_scc0 .LBB3245_46
; %bb.47:                               ;   in Loop: Header=BB3245_45 Depth=2
	global_load_dwordx2 v[16:17], v[18:19], off glc
	s_cmp_lt_u32 s7, 32
	s_cselect_b64 s[42:43], -1, 0
	s_cmp_lg_u64 s[42:43], 0
	s_addc_u32 s7, s7, 0
	s_waitcnt vmcnt(0)
	v_cmp_ne_u16_sdwa s[42:43], v17, v13 src0_sel:BYTE_0 src1_sel:DWORD
	s_or_b64 s[40:41], s[42:43], s[40:41]
	s_andn2_b64 exec, exec, s[40:41]
	s_cbranch_execnz .LBB3245_45
; %bb.48:                               ;   in Loop: Header=BB3245_42 Depth=1
	s_or_b64 exec, exec, s[40:41]
	s_branch .LBB3245_41
.LBB3245_49:                            ;   in Loop: Header=BB3245_42 Depth=1
                                        ; implicit-def: $vgpr16
                                        ; implicit-def: $vgpr17
	s_cbranch_execz .LBB3245_42
; %bb.50:
	s_and_saveexec_b64 s[38:39], s[16:17]
	s_cbranch_execz .LBB3245_52
; %bb.51:
	s_add_i32 s6, s6, 64
	s_mov_b32 s7, 0
	s_lshl_b64 s[6:7], s[6:7], 3
	s_add_u32 s6, s34, s6
	v_add_u32_e32 v12, v11, v10
	v_mov_b32_e32 v13, 2
	s_addc_u32 s7, s35, s7
	v_mov_b32_e32 v14, 0
	global_store_dwordx2 v14, v[12:13], s[6:7]
	ds_write_b64 v14, v[10:11] offset:6336
.LBB3245_52:
	s_or_b64 exec, exec, s[38:39]
	v_cmp_eq_u32_e32 vcc, 0, v0
	s_and_b64 exec, exec, vcc
	s_cbranch_execz .LBB3245_54
; %bb.53:
	v_mov_b32_e32 v10, 0
	ds_write_b32 v10, v11 offset:8
.LBB3245_54:
	s_or_b64 exec, exec, s[36:37]
	v_mov_b32_e32 v10, 0
	s_waitcnt lgkmcnt(0)
	s_barrier
	ds_read_b32 v11, v10 offset:8
	v_cndmask_b32_e64 v12, v28, v27, s[16:17]
	v_cmp_ne_u32_e32 vcc, 0, v0
	v_cndmask_b32_e32 v12, 0, v12, vcc
	s_waitcnt lgkmcnt(0)
	v_add_u32_e32 v14, v11, v12
	s_barrier
	ds_read_b64 v[10:11], v10 offset:6336
	v_add_u32_sdwa v15, v14, v22 dst_sel:DWORD dst_unused:UNUSED_PAD src0_sel:DWORD src1_sel:BYTE_0
	v_add_u32_sdwa v13, v15, v22 dst_sel:DWORD dst_unused:UNUSED_PAD src0_sel:DWORD src1_sel:BYTE_1
	v_add_u32_e32 v12, v13, v23
	s_load_dwordx2 s[4:5], s[4:5], 0x40
	s_branch .LBB3245_65
.LBB3245_55:
                                        ; implicit-def: $vgpr11
                                        ; implicit-def: $vgpr12
                                        ; implicit-def: $vgpr13
                                        ; implicit-def: $vgpr15
                                        ; implicit-def: $vgpr14
	s_load_dwordx2 s[4:5], s[4:5], 0x40
	s_cbranch_execz .LBB3245_65
; %bb.56:
	s_waitcnt lgkmcnt(0)
	v_mov_b32_dpp v10, v26 row_shr:1 row_mask:0xf bank_mask:0xf
	v_cndmask_b32_e64 v10, v10, 0, s[14:15]
	v_add_u32_e32 v10, v10, v26
	s_nop 1
	v_mov_b32_dpp v11, v10 row_shr:2 row_mask:0xf bank_mask:0xf
	v_cndmask_b32_e64 v11, 0, v11, s[12:13]
	v_add_u32_e32 v10, v10, v11
	s_nop 1
	v_mov_b32_dpp v11, v10 row_shr:4 row_mask:0xf bank_mask:0xf
	v_cndmask_b32_e64 v11, 0, v11, s[10:11]
	v_add_u32_e32 v10, v10, v11
	s_nop 1
	v_mov_b32_dpp v11, v10 row_shr:8 row_mask:0xf bank_mask:0xf
	v_cndmask_b32_e64 v11, 0, v11, s[8:9]
	v_add_u32_e32 v10, v10, v11
	s_nop 1
	v_mov_b32_dpp v11, v10 row_bcast:15 row_mask:0xf bank_mask:0xf
	v_cndmask_b32_e64 v11, v11, 0, s[2:3]
	v_add_u32_e32 v10, v10, v11
	s_nop 1
	v_mov_b32_dpp v11, v10 row_bcast:31 row_mask:0xf bank_mask:0xf
	v_cndmask_b32_e64 v11, 0, v11, s[0:1]
	v_add_u32_e32 v10, v10, v11
	s_and_saveexec_b64 s[0:1], s[18:19]
	s_cbranch_execz .LBB3245_58
; %bb.57:
	v_lshlrev_b32_e32 v11, 2, v25
	ds_write_b32 v11, v10
.LBB3245_58:
	s_or_b64 exec, exec, s[0:1]
	v_cmp_gt_u32_e32 vcc, 3, v0
	s_waitcnt lgkmcnt(0)
	s_barrier
	s_and_saveexec_b64 s[0:1], vcc
	s_cbranch_execz .LBB3245_60
; %bb.59:
	ds_read_b32 v11, v1
	v_and_b32_e32 v12, 3, v24
	v_cmp_ne_u32_e32 vcc, 0, v12
	s_waitcnt lgkmcnt(0)
	v_mov_b32_dpp v13, v11 row_shr:1 row_mask:0xf bank_mask:0xf
	v_cndmask_b32_e32 v13, 0, v13, vcc
	v_add_u32_e32 v11, v13, v11
	v_cmp_lt_u32_e32 vcc, 1, v12
	s_nop 0
	v_mov_b32_dpp v13, v11 row_shr:2 row_mask:0xf bank_mask:0xf
	v_cndmask_b32_e32 v12, 0, v13, vcc
	v_add_u32_e32 v11, v11, v12
	ds_write_b32 v1, v11
.LBB3245_60:
	s_or_b64 exec, exec, s[0:1]
	v_cmp_lt_u32_e32 vcc, 63, v0
	v_mov_b32_e32 v11, 0
	v_mov_b32_e32 v12, 0
	s_waitcnt lgkmcnt(0)
	s_barrier
	s_and_saveexec_b64 s[0:1], vcc
	s_cbranch_execz .LBB3245_62
; %bb.61:
	v_lshl_add_u32 v12, v25, 2, -4
	ds_read_b32 v12, v12
.LBB3245_62:
	s_or_b64 exec, exec, s[0:1]
	v_add_u32_e32 v13, -1, v24
	v_and_b32_e32 v14, 64, v24
	v_cmp_lt_i32_e32 vcc, v13, v14
	v_cndmask_b32_e32 v13, v13, v24, vcc
	s_waitcnt lgkmcnt(0)
	v_add_u32_e32 v10, v12, v10
	v_lshlrev_b32_e32 v13, 2, v13
	ds_bpermute_b32 v13, v13, v10
	ds_read_b32 v10, v11 offset:8
	v_cmp_eq_u32_e32 vcc, 0, v0
	s_and_saveexec_b64 s[0:1], vcc
	s_cbranch_execz .LBB3245_64
; %bb.63:
	v_mov_b32_e32 v14, 0
	v_mov_b32_e32 v11, 2
	s_waitcnt lgkmcnt(0)
	global_store_dwordx2 v14, v[10:11], s[34:35] offset:512
.LBB3245_64:
	s_or_b64 exec, exec, s[0:1]
	v_cmp_eq_u32_e64 s[0:1], 0, v24
	s_waitcnt lgkmcnt(1)
	v_cndmask_b32_e64 v12, v13, v12, s[0:1]
	v_cndmask_b32_e64 v14, v12, 0, vcc
	v_add_u32_sdwa v15, v14, v22 dst_sel:DWORD dst_unused:UNUSED_PAD src0_sel:DWORD src1_sel:BYTE_0
	v_add_u32_sdwa v13, v15, v22 dst_sel:DWORD dst_unused:UNUSED_PAD src0_sel:DWORD src1_sel:BYTE_1
	v_mov_b32_e32 v11, 0
	v_add_u32_e32 v12, v13, v23
	s_waitcnt lgkmcnt(0)
	s_barrier
.LBB3245_65:
	s_waitcnt lgkmcnt(0)
	v_add_u32_e32 v1, v10, v1
	v_sub_u32_e32 v14, v14, v11
	v_and_b32_e32 v18, 1, v22
	v_sub_u32_e32 v17, v1, v14
	v_cmp_eq_u32_e32 vcc, 1, v18
	v_cndmask_b32_e32 v14, v17, v14, vcc
	v_lshlrev_b32_e32 v14, 3, v14
	v_lshrrev_b32_e32 v16, 8, v22
	ds_write_b64 v14, v[6:7]
	v_sub_u32_e32 v6, v15, v11
	v_sub_u32_e32 v7, v1, v6
	v_and_b32_e32 v14, 1, v16
	v_add_u32_e32 v7, 1, v7
	v_cmp_eq_u32_e32 vcc, 1, v14
	v_cndmask_b32_e32 v6, v7, v6, vcc
	v_lshlrev_b32_e32 v6, 3, v6
	ds_write_b64 v6, v[8:9]
	v_sub_u32_e32 v6, v13, v11
	v_mov_b32_e32 v8, 1
	v_sub_u32_e32 v7, v1, v6
	v_and_b32_sdwa v8, v8, v22 dst_sel:DWORD dst_unused:UNUSED_PAD src0_sel:DWORD src1_sel:WORD_1
	v_add_u32_e32 v7, 2, v7
	v_cmp_eq_u32_e32 vcc, 1, v8
	v_cndmask_b32_e32 v6, v7, v6, vcc
	v_lshlrev_b32_e32 v6, 3, v6
	ds_write_b64 v6, v[2:3]
	v_sub_u32_e32 v2, v12, v11
	v_sub_u32_e32 v1, v1, v2
	v_and_b32_e32 v3, 1, v21
	v_add_u32_e32 v1, 3, v1
	v_cmp_eq_u32_e32 vcc, 1, v3
	v_cndmask_b32_e32 v1, v1, v2, vcc
	v_lshlrev_b32_e32 v1, 3, v1
	ds_write_b64 v1, v[4:5]
	v_mov_b32_e32 v1, s29
	v_add_co_u32_e32 v12, vcc, s28, v10
	v_addc_co_u32_e32 v1, vcc, 0, v1, vcc
	v_add_co_u32_e32 v12, vcc, v12, v11
	v_addc_co_u32_e32 v13, vcc, 0, v1, vcc
	v_mov_b32_e32 v1, s27
	v_sub_co_u32_e32 v18, vcc, s26, v12
	v_subb_co_u32_e32 v19, vcc, v1, v13, vcc
	v_lshlrev_b64 v[18:19], 3, v[18:19]
	s_waitcnt lgkmcnt(0)
	s_barrier
	ds_read2st64_b64 v[6:9], v20 offset1:3
	ds_read2st64_b64 v[2:5], v20 offset0:6 offset1:9
	v_mov_b32_e32 v1, s5
	v_add_co_u32_e32 v11, vcc, s4, v18
	v_addc_co_u32_e32 v1, vcc, v1, v19, vcc
	v_mov_b32_e32 v18, s31
	v_add_co_u32_e32 v14, vcc, s30, v11
	v_addc_co_u32_e32 v1, vcc, v1, v18, vcc
	v_add_u32_e32 v17, 0xc0, v0
	v_add_u32_e32 v16, 0x180, v0
	;; [unrolled: 1-line block ×3, first 2 shown]
	s_andn2_b64 vcc, exec, s[24:25]
	v_cmp_ge_u32_e64 s[0:1], v0, v10
	s_cbranch_vccnz .LBB3245_71
; %bb.66:
	s_and_saveexec_b64 s[2:3], s[0:1]
	s_cbranch_execnz .LBB3245_84
; %bb.67:
	s_or_b64 exec, exec, s[2:3]
	v_cmp_ge_u32_e32 vcc, v17, v10
	s_and_saveexec_b64 s[0:1], vcc
	s_cbranch_execnz .LBB3245_85
.LBB3245_68:
	s_or_b64 exec, exec, s[0:1]
	v_cmp_ge_u32_e32 vcc, v16, v10
	s_and_saveexec_b64 s[0:1], vcc
	s_cbranch_execz .LBB3245_70
.LBB3245_69:
	v_readfirstlane_b32 s2, v14
	v_readfirstlane_b32 s3, v1
	s_waitcnt lgkmcnt(0)
	s_nop 3
	global_store_dwordx2 v20, v[2:3], s[2:3] offset:3072
.LBB3245_70:
	s_or_b64 exec, exec, s[0:1]
	v_cmp_ge_u32_e64 s[0:1], v15, v10
	s_branch .LBB3245_79
.LBB3245_71:
	s_mov_b64 s[0:1], 0
	s_cbranch_execz .LBB3245_79
; %bb.72:
	v_cmp_gt_u32_e32 vcc, s33, v0
	v_cmp_ge_u32_e64 s[0:1], v0, v10
	s_and_b64 s[2:3], vcc, s[0:1]
	s_and_saveexec_b64 s[0:1], s[2:3]
	s_cbranch_execz .LBB3245_74
; %bb.73:
	v_readfirstlane_b32 s2, v14
	v_readfirstlane_b32 s3, v1
	s_waitcnt lgkmcnt(1)
	s_nop 3
	global_store_dwordx2 v20, v[6:7], s[2:3]
.LBB3245_74:
	s_or_b64 exec, exec, s[0:1]
	v_cmp_gt_u32_e32 vcc, s33, v17
	v_cmp_ge_u32_e64 s[0:1], v17, v10
	s_and_b64 s[2:3], vcc, s[0:1]
	s_and_saveexec_b64 s[0:1], s[2:3]
	s_cbranch_execz .LBB3245_76
; %bb.75:
	v_readfirstlane_b32 s2, v14
	v_readfirstlane_b32 s3, v1
	s_waitcnt lgkmcnt(1)
	s_nop 3
	global_store_dwordx2 v20, v[8:9], s[2:3] offset:1536
.LBB3245_76:
	s_or_b64 exec, exec, s[0:1]
	v_cmp_gt_u32_e32 vcc, s33, v16
	v_cmp_ge_u32_e64 s[0:1], v16, v10
	s_and_b64 s[2:3], vcc, s[0:1]
	s_and_saveexec_b64 s[0:1], s[2:3]
	s_cbranch_execz .LBB3245_78
; %bb.77:
	v_readfirstlane_b32 s2, v14
	v_readfirstlane_b32 s3, v1
	s_waitcnt lgkmcnt(0)
	s_nop 3
	global_store_dwordx2 v20, v[2:3], s[2:3] offset:3072
.LBB3245_78:
	s_or_b64 exec, exec, s[0:1]
	v_cmp_gt_u32_e32 vcc, s33, v15
	v_cmp_ge_u32_e64 s[0:1], v15, v10
	s_and_b64 s[0:1], vcc, s[0:1]
.LBB3245_79:
	s_and_saveexec_b64 s[2:3], s[0:1]
	s_cbranch_execz .LBB3245_81
; %bb.80:
	s_waitcnt lgkmcnt(0)
	v_lshlrev_b32_e32 v2, 3, v15
	v_readfirstlane_b32 s0, v14
	v_readfirstlane_b32 s1, v1
	s_nop 4
	global_store_dwordx2 v2, v[4:5], s[0:1]
.LBB3245_81:
	s_or_b64 exec, exec, s[2:3]
	v_cmp_eq_u32_e32 vcc, 0, v0
	s_and_b64 s[0:1], vcc, s[22:23]
	s_and_saveexec_b64 s[2:3], s[0:1]
	s_cbranch_execz .LBB3245_83
; %bb.82:
	v_mov_b32_e32 v0, 0
	global_store_dwordx2 v0, v[12:13], s[20:21]
.LBB3245_83:
	s_endpgm
.LBB3245_84:
	v_readfirstlane_b32 s0, v14
	v_readfirstlane_b32 s1, v1
	s_waitcnt lgkmcnt(1)
	s_nop 3
	global_store_dwordx2 v20, v[6:7], s[0:1]
	s_or_b64 exec, exec, s[2:3]
	v_cmp_ge_u32_e32 vcc, v17, v10
	s_and_saveexec_b64 s[0:1], vcc
	s_cbranch_execz .LBB3245_68
.LBB3245_85:
	v_readfirstlane_b32 s2, v14
	v_readfirstlane_b32 s3, v1
	s_waitcnt lgkmcnt(1)
	s_nop 3
	global_store_dwordx2 v20, v[8:9], s[2:3] offset:1536
	s_or_b64 exec, exec, s[0:1]
	v_cmp_ge_u32_e32 vcc, v16, v10
	s_and_saveexec_b64 s[0:1], vcc
	s_cbranch_execnz .LBB3245_69
	s_branch .LBB3245_70
	.section	.rodata,"a",@progbits
	.p2align	6, 0x0
	.amdhsa_kernel _ZN7rocprim17ROCPRIM_400000_NS6detail17trampoline_kernelINS0_14default_configENS1_25partition_config_selectorILNS1_17partition_subalgoE1ExNS0_10empty_typeEbEEZZNS1_14partition_implILS5_1ELb0ES3_jN6thrust23THRUST_200600_302600_NS6detail15normal_iteratorINSA_10device_ptrIxEEEEPS6_NSA_18transform_iteratorI7is_evenIxESF_NSA_11use_defaultESK_EENS0_5tupleIJNSA_16discard_iteratorISK_EESF_EEENSM_IJSG_SG_EEES6_PlJS6_EEE10hipError_tPvRmT3_T4_T5_T6_T7_T9_mT8_P12ihipStream_tbDpT10_ENKUlT_T0_E_clISt17integral_constantIbLb1EES1A_IbLb0EEEEDaS16_S17_EUlS16_E_NS1_11comp_targetILNS1_3genE4ELNS1_11target_archE910ELNS1_3gpuE8ELNS1_3repE0EEENS1_30default_config_static_selectorELNS0_4arch9wavefront6targetE1EEEvT1_
		.amdhsa_group_segment_fixed_size 6344
		.amdhsa_private_segment_fixed_size 0
		.amdhsa_kernarg_size 136
		.amdhsa_user_sgpr_count 6
		.amdhsa_user_sgpr_private_segment_buffer 1
		.amdhsa_user_sgpr_dispatch_ptr 0
		.amdhsa_user_sgpr_queue_ptr 0
		.amdhsa_user_sgpr_kernarg_segment_ptr 1
		.amdhsa_user_sgpr_dispatch_id 0
		.amdhsa_user_sgpr_flat_scratch_init 0
		.amdhsa_user_sgpr_kernarg_preload_length 0
		.amdhsa_user_sgpr_kernarg_preload_offset 0
		.amdhsa_user_sgpr_private_segment_size 0
		.amdhsa_uses_dynamic_stack 0
		.amdhsa_system_sgpr_private_segment_wavefront_offset 0
		.amdhsa_system_sgpr_workgroup_id_x 1
		.amdhsa_system_sgpr_workgroup_id_y 0
		.amdhsa_system_sgpr_workgroup_id_z 0
		.amdhsa_system_sgpr_workgroup_info 0
		.amdhsa_system_vgpr_workitem_id 0
		.amdhsa_next_free_vgpr 43
		.amdhsa_next_free_sgpr 44
		.amdhsa_accum_offset 44
		.amdhsa_reserve_vcc 1
		.amdhsa_reserve_flat_scratch 0
		.amdhsa_float_round_mode_32 0
		.amdhsa_float_round_mode_16_64 0
		.amdhsa_float_denorm_mode_32 3
		.amdhsa_float_denorm_mode_16_64 3
		.amdhsa_dx10_clamp 1
		.amdhsa_ieee_mode 1
		.amdhsa_fp16_overflow 0
		.amdhsa_tg_split 0
		.amdhsa_exception_fp_ieee_invalid_op 0
		.amdhsa_exception_fp_denorm_src 0
		.amdhsa_exception_fp_ieee_div_zero 0
		.amdhsa_exception_fp_ieee_overflow 0
		.amdhsa_exception_fp_ieee_underflow 0
		.amdhsa_exception_fp_ieee_inexact 0
		.amdhsa_exception_int_div_zero 0
	.end_amdhsa_kernel
	.section	.text._ZN7rocprim17ROCPRIM_400000_NS6detail17trampoline_kernelINS0_14default_configENS1_25partition_config_selectorILNS1_17partition_subalgoE1ExNS0_10empty_typeEbEEZZNS1_14partition_implILS5_1ELb0ES3_jN6thrust23THRUST_200600_302600_NS6detail15normal_iteratorINSA_10device_ptrIxEEEEPS6_NSA_18transform_iteratorI7is_evenIxESF_NSA_11use_defaultESK_EENS0_5tupleIJNSA_16discard_iteratorISK_EESF_EEENSM_IJSG_SG_EEES6_PlJS6_EEE10hipError_tPvRmT3_T4_T5_T6_T7_T9_mT8_P12ihipStream_tbDpT10_ENKUlT_T0_E_clISt17integral_constantIbLb1EES1A_IbLb0EEEEDaS16_S17_EUlS16_E_NS1_11comp_targetILNS1_3genE4ELNS1_11target_archE910ELNS1_3gpuE8ELNS1_3repE0EEENS1_30default_config_static_selectorELNS0_4arch9wavefront6targetE1EEEvT1_,"axG",@progbits,_ZN7rocprim17ROCPRIM_400000_NS6detail17trampoline_kernelINS0_14default_configENS1_25partition_config_selectorILNS1_17partition_subalgoE1ExNS0_10empty_typeEbEEZZNS1_14partition_implILS5_1ELb0ES3_jN6thrust23THRUST_200600_302600_NS6detail15normal_iteratorINSA_10device_ptrIxEEEEPS6_NSA_18transform_iteratorI7is_evenIxESF_NSA_11use_defaultESK_EENS0_5tupleIJNSA_16discard_iteratorISK_EESF_EEENSM_IJSG_SG_EEES6_PlJS6_EEE10hipError_tPvRmT3_T4_T5_T6_T7_T9_mT8_P12ihipStream_tbDpT10_ENKUlT_T0_E_clISt17integral_constantIbLb1EES1A_IbLb0EEEEDaS16_S17_EUlS16_E_NS1_11comp_targetILNS1_3genE4ELNS1_11target_archE910ELNS1_3gpuE8ELNS1_3repE0EEENS1_30default_config_static_selectorELNS0_4arch9wavefront6targetE1EEEvT1_,comdat
.Lfunc_end3245:
	.size	_ZN7rocprim17ROCPRIM_400000_NS6detail17trampoline_kernelINS0_14default_configENS1_25partition_config_selectorILNS1_17partition_subalgoE1ExNS0_10empty_typeEbEEZZNS1_14partition_implILS5_1ELb0ES3_jN6thrust23THRUST_200600_302600_NS6detail15normal_iteratorINSA_10device_ptrIxEEEEPS6_NSA_18transform_iteratorI7is_evenIxESF_NSA_11use_defaultESK_EENS0_5tupleIJNSA_16discard_iteratorISK_EESF_EEENSM_IJSG_SG_EEES6_PlJS6_EEE10hipError_tPvRmT3_T4_T5_T6_T7_T9_mT8_P12ihipStream_tbDpT10_ENKUlT_T0_E_clISt17integral_constantIbLb1EES1A_IbLb0EEEEDaS16_S17_EUlS16_E_NS1_11comp_targetILNS1_3genE4ELNS1_11target_archE910ELNS1_3gpuE8ELNS1_3repE0EEENS1_30default_config_static_selectorELNS0_4arch9wavefront6targetE1EEEvT1_, .Lfunc_end3245-_ZN7rocprim17ROCPRIM_400000_NS6detail17trampoline_kernelINS0_14default_configENS1_25partition_config_selectorILNS1_17partition_subalgoE1ExNS0_10empty_typeEbEEZZNS1_14partition_implILS5_1ELb0ES3_jN6thrust23THRUST_200600_302600_NS6detail15normal_iteratorINSA_10device_ptrIxEEEEPS6_NSA_18transform_iteratorI7is_evenIxESF_NSA_11use_defaultESK_EENS0_5tupleIJNSA_16discard_iteratorISK_EESF_EEENSM_IJSG_SG_EEES6_PlJS6_EEE10hipError_tPvRmT3_T4_T5_T6_T7_T9_mT8_P12ihipStream_tbDpT10_ENKUlT_T0_E_clISt17integral_constantIbLb1EES1A_IbLb0EEEEDaS16_S17_EUlS16_E_NS1_11comp_targetILNS1_3genE4ELNS1_11target_archE910ELNS1_3gpuE8ELNS1_3repE0EEENS1_30default_config_static_selectorELNS0_4arch9wavefront6targetE1EEEvT1_
                                        ; -- End function
	.section	.AMDGPU.csdata,"",@progbits
; Kernel info:
; codeLenInByte = 4028
; NumSgprs: 48
; NumVgprs: 43
; NumAgprs: 0
; TotalNumVgprs: 43
; ScratchSize: 0
; MemoryBound: 0
; FloatMode: 240
; IeeeMode: 1
; LDSByteSize: 6344 bytes/workgroup (compile time only)
; SGPRBlocks: 5
; VGPRBlocks: 5
; NumSGPRsForWavesPerEU: 48
; NumVGPRsForWavesPerEU: 43
; AccumOffset: 44
; Occupancy: 8
; WaveLimiterHint : 1
; COMPUTE_PGM_RSRC2:SCRATCH_EN: 0
; COMPUTE_PGM_RSRC2:USER_SGPR: 6
; COMPUTE_PGM_RSRC2:TRAP_HANDLER: 0
; COMPUTE_PGM_RSRC2:TGID_X_EN: 1
; COMPUTE_PGM_RSRC2:TGID_Y_EN: 0
; COMPUTE_PGM_RSRC2:TGID_Z_EN: 0
; COMPUTE_PGM_RSRC2:TIDIG_COMP_CNT: 0
; COMPUTE_PGM_RSRC3_GFX90A:ACCUM_OFFSET: 10
; COMPUTE_PGM_RSRC3_GFX90A:TG_SPLIT: 0
	.section	.text._ZN7rocprim17ROCPRIM_400000_NS6detail17trampoline_kernelINS0_14default_configENS1_25partition_config_selectorILNS1_17partition_subalgoE1ExNS0_10empty_typeEbEEZZNS1_14partition_implILS5_1ELb0ES3_jN6thrust23THRUST_200600_302600_NS6detail15normal_iteratorINSA_10device_ptrIxEEEEPS6_NSA_18transform_iteratorI7is_evenIxESF_NSA_11use_defaultESK_EENS0_5tupleIJNSA_16discard_iteratorISK_EESF_EEENSM_IJSG_SG_EEES6_PlJS6_EEE10hipError_tPvRmT3_T4_T5_T6_T7_T9_mT8_P12ihipStream_tbDpT10_ENKUlT_T0_E_clISt17integral_constantIbLb1EES1A_IbLb0EEEEDaS16_S17_EUlS16_E_NS1_11comp_targetILNS1_3genE3ELNS1_11target_archE908ELNS1_3gpuE7ELNS1_3repE0EEENS1_30default_config_static_selectorELNS0_4arch9wavefront6targetE1EEEvT1_,"axG",@progbits,_ZN7rocprim17ROCPRIM_400000_NS6detail17trampoline_kernelINS0_14default_configENS1_25partition_config_selectorILNS1_17partition_subalgoE1ExNS0_10empty_typeEbEEZZNS1_14partition_implILS5_1ELb0ES3_jN6thrust23THRUST_200600_302600_NS6detail15normal_iteratorINSA_10device_ptrIxEEEEPS6_NSA_18transform_iteratorI7is_evenIxESF_NSA_11use_defaultESK_EENS0_5tupleIJNSA_16discard_iteratorISK_EESF_EEENSM_IJSG_SG_EEES6_PlJS6_EEE10hipError_tPvRmT3_T4_T5_T6_T7_T9_mT8_P12ihipStream_tbDpT10_ENKUlT_T0_E_clISt17integral_constantIbLb1EES1A_IbLb0EEEEDaS16_S17_EUlS16_E_NS1_11comp_targetILNS1_3genE3ELNS1_11target_archE908ELNS1_3gpuE7ELNS1_3repE0EEENS1_30default_config_static_selectorELNS0_4arch9wavefront6targetE1EEEvT1_,comdat
	.protected	_ZN7rocprim17ROCPRIM_400000_NS6detail17trampoline_kernelINS0_14default_configENS1_25partition_config_selectorILNS1_17partition_subalgoE1ExNS0_10empty_typeEbEEZZNS1_14partition_implILS5_1ELb0ES3_jN6thrust23THRUST_200600_302600_NS6detail15normal_iteratorINSA_10device_ptrIxEEEEPS6_NSA_18transform_iteratorI7is_evenIxESF_NSA_11use_defaultESK_EENS0_5tupleIJNSA_16discard_iteratorISK_EESF_EEENSM_IJSG_SG_EEES6_PlJS6_EEE10hipError_tPvRmT3_T4_T5_T6_T7_T9_mT8_P12ihipStream_tbDpT10_ENKUlT_T0_E_clISt17integral_constantIbLb1EES1A_IbLb0EEEEDaS16_S17_EUlS16_E_NS1_11comp_targetILNS1_3genE3ELNS1_11target_archE908ELNS1_3gpuE7ELNS1_3repE0EEENS1_30default_config_static_selectorELNS0_4arch9wavefront6targetE1EEEvT1_ ; -- Begin function _ZN7rocprim17ROCPRIM_400000_NS6detail17trampoline_kernelINS0_14default_configENS1_25partition_config_selectorILNS1_17partition_subalgoE1ExNS0_10empty_typeEbEEZZNS1_14partition_implILS5_1ELb0ES3_jN6thrust23THRUST_200600_302600_NS6detail15normal_iteratorINSA_10device_ptrIxEEEEPS6_NSA_18transform_iteratorI7is_evenIxESF_NSA_11use_defaultESK_EENS0_5tupleIJNSA_16discard_iteratorISK_EESF_EEENSM_IJSG_SG_EEES6_PlJS6_EEE10hipError_tPvRmT3_T4_T5_T6_T7_T9_mT8_P12ihipStream_tbDpT10_ENKUlT_T0_E_clISt17integral_constantIbLb1EES1A_IbLb0EEEEDaS16_S17_EUlS16_E_NS1_11comp_targetILNS1_3genE3ELNS1_11target_archE908ELNS1_3gpuE7ELNS1_3repE0EEENS1_30default_config_static_selectorELNS0_4arch9wavefront6targetE1EEEvT1_
	.globl	_ZN7rocprim17ROCPRIM_400000_NS6detail17trampoline_kernelINS0_14default_configENS1_25partition_config_selectorILNS1_17partition_subalgoE1ExNS0_10empty_typeEbEEZZNS1_14partition_implILS5_1ELb0ES3_jN6thrust23THRUST_200600_302600_NS6detail15normal_iteratorINSA_10device_ptrIxEEEEPS6_NSA_18transform_iteratorI7is_evenIxESF_NSA_11use_defaultESK_EENS0_5tupleIJNSA_16discard_iteratorISK_EESF_EEENSM_IJSG_SG_EEES6_PlJS6_EEE10hipError_tPvRmT3_T4_T5_T6_T7_T9_mT8_P12ihipStream_tbDpT10_ENKUlT_T0_E_clISt17integral_constantIbLb1EES1A_IbLb0EEEEDaS16_S17_EUlS16_E_NS1_11comp_targetILNS1_3genE3ELNS1_11target_archE908ELNS1_3gpuE7ELNS1_3repE0EEENS1_30default_config_static_selectorELNS0_4arch9wavefront6targetE1EEEvT1_
	.p2align	8
	.type	_ZN7rocprim17ROCPRIM_400000_NS6detail17trampoline_kernelINS0_14default_configENS1_25partition_config_selectorILNS1_17partition_subalgoE1ExNS0_10empty_typeEbEEZZNS1_14partition_implILS5_1ELb0ES3_jN6thrust23THRUST_200600_302600_NS6detail15normal_iteratorINSA_10device_ptrIxEEEEPS6_NSA_18transform_iteratorI7is_evenIxESF_NSA_11use_defaultESK_EENS0_5tupleIJNSA_16discard_iteratorISK_EESF_EEENSM_IJSG_SG_EEES6_PlJS6_EEE10hipError_tPvRmT3_T4_T5_T6_T7_T9_mT8_P12ihipStream_tbDpT10_ENKUlT_T0_E_clISt17integral_constantIbLb1EES1A_IbLb0EEEEDaS16_S17_EUlS16_E_NS1_11comp_targetILNS1_3genE3ELNS1_11target_archE908ELNS1_3gpuE7ELNS1_3repE0EEENS1_30default_config_static_selectorELNS0_4arch9wavefront6targetE1EEEvT1_,@function
_ZN7rocprim17ROCPRIM_400000_NS6detail17trampoline_kernelINS0_14default_configENS1_25partition_config_selectorILNS1_17partition_subalgoE1ExNS0_10empty_typeEbEEZZNS1_14partition_implILS5_1ELb0ES3_jN6thrust23THRUST_200600_302600_NS6detail15normal_iteratorINSA_10device_ptrIxEEEEPS6_NSA_18transform_iteratorI7is_evenIxESF_NSA_11use_defaultESK_EENS0_5tupleIJNSA_16discard_iteratorISK_EESF_EEENSM_IJSG_SG_EEES6_PlJS6_EEE10hipError_tPvRmT3_T4_T5_T6_T7_T9_mT8_P12ihipStream_tbDpT10_ENKUlT_T0_E_clISt17integral_constantIbLb1EES1A_IbLb0EEEEDaS16_S17_EUlS16_E_NS1_11comp_targetILNS1_3genE3ELNS1_11target_archE908ELNS1_3gpuE7ELNS1_3repE0EEENS1_30default_config_static_selectorELNS0_4arch9wavefront6targetE1EEEvT1_: ; @_ZN7rocprim17ROCPRIM_400000_NS6detail17trampoline_kernelINS0_14default_configENS1_25partition_config_selectorILNS1_17partition_subalgoE1ExNS0_10empty_typeEbEEZZNS1_14partition_implILS5_1ELb0ES3_jN6thrust23THRUST_200600_302600_NS6detail15normal_iteratorINSA_10device_ptrIxEEEEPS6_NSA_18transform_iteratorI7is_evenIxESF_NSA_11use_defaultESK_EENS0_5tupleIJNSA_16discard_iteratorISK_EESF_EEENSM_IJSG_SG_EEES6_PlJS6_EEE10hipError_tPvRmT3_T4_T5_T6_T7_T9_mT8_P12ihipStream_tbDpT10_ENKUlT_T0_E_clISt17integral_constantIbLb1EES1A_IbLb0EEEEDaS16_S17_EUlS16_E_NS1_11comp_targetILNS1_3genE3ELNS1_11target_archE908ELNS1_3gpuE7ELNS1_3repE0EEENS1_30default_config_static_selectorELNS0_4arch9wavefront6targetE1EEEvT1_
; %bb.0:
	.section	.rodata,"a",@progbits
	.p2align	6, 0x0
	.amdhsa_kernel _ZN7rocprim17ROCPRIM_400000_NS6detail17trampoline_kernelINS0_14default_configENS1_25partition_config_selectorILNS1_17partition_subalgoE1ExNS0_10empty_typeEbEEZZNS1_14partition_implILS5_1ELb0ES3_jN6thrust23THRUST_200600_302600_NS6detail15normal_iteratorINSA_10device_ptrIxEEEEPS6_NSA_18transform_iteratorI7is_evenIxESF_NSA_11use_defaultESK_EENS0_5tupleIJNSA_16discard_iteratorISK_EESF_EEENSM_IJSG_SG_EEES6_PlJS6_EEE10hipError_tPvRmT3_T4_T5_T6_T7_T9_mT8_P12ihipStream_tbDpT10_ENKUlT_T0_E_clISt17integral_constantIbLb1EES1A_IbLb0EEEEDaS16_S17_EUlS16_E_NS1_11comp_targetILNS1_3genE3ELNS1_11target_archE908ELNS1_3gpuE7ELNS1_3repE0EEENS1_30default_config_static_selectorELNS0_4arch9wavefront6targetE1EEEvT1_
		.amdhsa_group_segment_fixed_size 0
		.amdhsa_private_segment_fixed_size 0
		.amdhsa_kernarg_size 136
		.amdhsa_user_sgpr_count 6
		.amdhsa_user_sgpr_private_segment_buffer 1
		.amdhsa_user_sgpr_dispatch_ptr 0
		.amdhsa_user_sgpr_queue_ptr 0
		.amdhsa_user_sgpr_kernarg_segment_ptr 1
		.amdhsa_user_sgpr_dispatch_id 0
		.amdhsa_user_sgpr_flat_scratch_init 0
		.amdhsa_user_sgpr_kernarg_preload_length 0
		.amdhsa_user_sgpr_kernarg_preload_offset 0
		.amdhsa_user_sgpr_private_segment_size 0
		.amdhsa_uses_dynamic_stack 0
		.amdhsa_system_sgpr_private_segment_wavefront_offset 0
		.amdhsa_system_sgpr_workgroup_id_x 1
		.amdhsa_system_sgpr_workgroup_id_y 0
		.amdhsa_system_sgpr_workgroup_id_z 0
		.amdhsa_system_sgpr_workgroup_info 0
		.amdhsa_system_vgpr_workitem_id 0
		.amdhsa_next_free_vgpr 1
		.amdhsa_next_free_sgpr 0
		.amdhsa_accum_offset 4
		.amdhsa_reserve_vcc 0
		.amdhsa_reserve_flat_scratch 0
		.amdhsa_float_round_mode_32 0
		.amdhsa_float_round_mode_16_64 0
		.amdhsa_float_denorm_mode_32 3
		.amdhsa_float_denorm_mode_16_64 3
		.amdhsa_dx10_clamp 1
		.amdhsa_ieee_mode 1
		.amdhsa_fp16_overflow 0
		.amdhsa_tg_split 0
		.amdhsa_exception_fp_ieee_invalid_op 0
		.amdhsa_exception_fp_denorm_src 0
		.amdhsa_exception_fp_ieee_div_zero 0
		.amdhsa_exception_fp_ieee_overflow 0
		.amdhsa_exception_fp_ieee_underflow 0
		.amdhsa_exception_fp_ieee_inexact 0
		.amdhsa_exception_int_div_zero 0
	.end_amdhsa_kernel
	.section	.text._ZN7rocprim17ROCPRIM_400000_NS6detail17trampoline_kernelINS0_14default_configENS1_25partition_config_selectorILNS1_17partition_subalgoE1ExNS0_10empty_typeEbEEZZNS1_14partition_implILS5_1ELb0ES3_jN6thrust23THRUST_200600_302600_NS6detail15normal_iteratorINSA_10device_ptrIxEEEEPS6_NSA_18transform_iteratorI7is_evenIxESF_NSA_11use_defaultESK_EENS0_5tupleIJNSA_16discard_iteratorISK_EESF_EEENSM_IJSG_SG_EEES6_PlJS6_EEE10hipError_tPvRmT3_T4_T5_T6_T7_T9_mT8_P12ihipStream_tbDpT10_ENKUlT_T0_E_clISt17integral_constantIbLb1EES1A_IbLb0EEEEDaS16_S17_EUlS16_E_NS1_11comp_targetILNS1_3genE3ELNS1_11target_archE908ELNS1_3gpuE7ELNS1_3repE0EEENS1_30default_config_static_selectorELNS0_4arch9wavefront6targetE1EEEvT1_,"axG",@progbits,_ZN7rocprim17ROCPRIM_400000_NS6detail17trampoline_kernelINS0_14default_configENS1_25partition_config_selectorILNS1_17partition_subalgoE1ExNS0_10empty_typeEbEEZZNS1_14partition_implILS5_1ELb0ES3_jN6thrust23THRUST_200600_302600_NS6detail15normal_iteratorINSA_10device_ptrIxEEEEPS6_NSA_18transform_iteratorI7is_evenIxESF_NSA_11use_defaultESK_EENS0_5tupleIJNSA_16discard_iteratorISK_EESF_EEENSM_IJSG_SG_EEES6_PlJS6_EEE10hipError_tPvRmT3_T4_T5_T6_T7_T9_mT8_P12ihipStream_tbDpT10_ENKUlT_T0_E_clISt17integral_constantIbLb1EES1A_IbLb0EEEEDaS16_S17_EUlS16_E_NS1_11comp_targetILNS1_3genE3ELNS1_11target_archE908ELNS1_3gpuE7ELNS1_3repE0EEENS1_30default_config_static_selectorELNS0_4arch9wavefront6targetE1EEEvT1_,comdat
.Lfunc_end3246:
	.size	_ZN7rocprim17ROCPRIM_400000_NS6detail17trampoline_kernelINS0_14default_configENS1_25partition_config_selectorILNS1_17partition_subalgoE1ExNS0_10empty_typeEbEEZZNS1_14partition_implILS5_1ELb0ES3_jN6thrust23THRUST_200600_302600_NS6detail15normal_iteratorINSA_10device_ptrIxEEEEPS6_NSA_18transform_iteratorI7is_evenIxESF_NSA_11use_defaultESK_EENS0_5tupleIJNSA_16discard_iteratorISK_EESF_EEENSM_IJSG_SG_EEES6_PlJS6_EEE10hipError_tPvRmT3_T4_T5_T6_T7_T9_mT8_P12ihipStream_tbDpT10_ENKUlT_T0_E_clISt17integral_constantIbLb1EES1A_IbLb0EEEEDaS16_S17_EUlS16_E_NS1_11comp_targetILNS1_3genE3ELNS1_11target_archE908ELNS1_3gpuE7ELNS1_3repE0EEENS1_30default_config_static_selectorELNS0_4arch9wavefront6targetE1EEEvT1_, .Lfunc_end3246-_ZN7rocprim17ROCPRIM_400000_NS6detail17trampoline_kernelINS0_14default_configENS1_25partition_config_selectorILNS1_17partition_subalgoE1ExNS0_10empty_typeEbEEZZNS1_14partition_implILS5_1ELb0ES3_jN6thrust23THRUST_200600_302600_NS6detail15normal_iteratorINSA_10device_ptrIxEEEEPS6_NSA_18transform_iteratorI7is_evenIxESF_NSA_11use_defaultESK_EENS0_5tupleIJNSA_16discard_iteratorISK_EESF_EEENSM_IJSG_SG_EEES6_PlJS6_EEE10hipError_tPvRmT3_T4_T5_T6_T7_T9_mT8_P12ihipStream_tbDpT10_ENKUlT_T0_E_clISt17integral_constantIbLb1EES1A_IbLb0EEEEDaS16_S17_EUlS16_E_NS1_11comp_targetILNS1_3genE3ELNS1_11target_archE908ELNS1_3gpuE7ELNS1_3repE0EEENS1_30default_config_static_selectorELNS0_4arch9wavefront6targetE1EEEvT1_
                                        ; -- End function
	.section	.AMDGPU.csdata,"",@progbits
; Kernel info:
; codeLenInByte = 0
; NumSgprs: 4
; NumVgprs: 0
; NumAgprs: 0
; TotalNumVgprs: 0
; ScratchSize: 0
; MemoryBound: 0
; FloatMode: 240
; IeeeMode: 1
; LDSByteSize: 0 bytes/workgroup (compile time only)
; SGPRBlocks: 0
; VGPRBlocks: 0
; NumSGPRsForWavesPerEU: 4
; NumVGPRsForWavesPerEU: 1
; AccumOffset: 4
; Occupancy: 8
; WaveLimiterHint : 0
; COMPUTE_PGM_RSRC2:SCRATCH_EN: 0
; COMPUTE_PGM_RSRC2:USER_SGPR: 6
; COMPUTE_PGM_RSRC2:TRAP_HANDLER: 0
; COMPUTE_PGM_RSRC2:TGID_X_EN: 1
; COMPUTE_PGM_RSRC2:TGID_Y_EN: 0
; COMPUTE_PGM_RSRC2:TGID_Z_EN: 0
; COMPUTE_PGM_RSRC2:TIDIG_COMP_CNT: 0
; COMPUTE_PGM_RSRC3_GFX90A:ACCUM_OFFSET: 0
; COMPUTE_PGM_RSRC3_GFX90A:TG_SPLIT: 0
	.section	.text._ZN7rocprim17ROCPRIM_400000_NS6detail17trampoline_kernelINS0_14default_configENS1_25partition_config_selectorILNS1_17partition_subalgoE1ExNS0_10empty_typeEbEEZZNS1_14partition_implILS5_1ELb0ES3_jN6thrust23THRUST_200600_302600_NS6detail15normal_iteratorINSA_10device_ptrIxEEEEPS6_NSA_18transform_iteratorI7is_evenIxESF_NSA_11use_defaultESK_EENS0_5tupleIJNSA_16discard_iteratorISK_EESF_EEENSM_IJSG_SG_EEES6_PlJS6_EEE10hipError_tPvRmT3_T4_T5_T6_T7_T9_mT8_P12ihipStream_tbDpT10_ENKUlT_T0_E_clISt17integral_constantIbLb1EES1A_IbLb0EEEEDaS16_S17_EUlS16_E_NS1_11comp_targetILNS1_3genE2ELNS1_11target_archE906ELNS1_3gpuE6ELNS1_3repE0EEENS1_30default_config_static_selectorELNS0_4arch9wavefront6targetE1EEEvT1_,"axG",@progbits,_ZN7rocprim17ROCPRIM_400000_NS6detail17trampoline_kernelINS0_14default_configENS1_25partition_config_selectorILNS1_17partition_subalgoE1ExNS0_10empty_typeEbEEZZNS1_14partition_implILS5_1ELb0ES3_jN6thrust23THRUST_200600_302600_NS6detail15normal_iteratorINSA_10device_ptrIxEEEEPS6_NSA_18transform_iteratorI7is_evenIxESF_NSA_11use_defaultESK_EENS0_5tupleIJNSA_16discard_iteratorISK_EESF_EEENSM_IJSG_SG_EEES6_PlJS6_EEE10hipError_tPvRmT3_T4_T5_T6_T7_T9_mT8_P12ihipStream_tbDpT10_ENKUlT_T0_E_clISt17integral_constantIbLb1EES1A_IbLb0EEEEDaS16_S17_EUlS16_E_NS1_11comp_targetILNS1_3genE2ELNS1_11target_archE906ELNS1_3gpuE6ELNS1_3repE0EEENS1_30default_config_static_selectorELNS0_4arch9wavefront6targetE1EEEvT1_,comdat
	.protected	_ZN7rocprim17ROCPRIM_400000_NS6detail17trampoline_kernelINS0_14default_configENS1_25partition_config_selectorILNS1_17partition_subalgoE1ExNS0_10empty_typeEbEEZZNS1_14partition_implILS5_1ELb0ES3_jN6thrust23THRUST_200600_302600_NS6detail15normal_iteratorINSA_10device_ptrIxEEEEPS6_NSA_18transform_iteratorI7is_evenIxESF_NSA_11use_defaultESK_EENS0_5tupleIJNSA_16discard_iteratorISK_EESF_EEENSM_IJSG_SG_EEES6_PlJS6_EEE10hipError_tPvRmT3_T4_T5_T6_T7_T9_mT8_P12ihipStream_tbDpT10_ENKUlT_T0_E_clISt17integral_constantIbLb1EES1A_IbLb0EEEEDaS16_S17_EUlS16_E_NS1_11comp_targetILNS1_3genE2ELNS1_11target_archE906ELNS1_3gpuE6ELNS1_3repE0EEENS1_30default_config_static_selectorELNS0_4arch9wavefront6targetE1EEEvT1_ ; -- Begin function _ZN7rocprim17ROCPRIM_400000_NS6detail17trampoline_kernelINS0_14default_configENS1_25partition_config_selectorILNS1_17partition_subalgoE1ExNS0_10empty_typeEbEEZZNS1_14partition_implILS5_1ELb0ES3_jN6thrust23THRUST_200600_302600_NS6detail15normal_iteratorINSA_10device_ptrIxEEEEPS6_NSA_18transform_iteratorI7is_evenIxESF_NSA_11use_defaultESK_EENS0_5tupleIJNSA_16discard_iteratorISK_EESF_EEENSM_IJSG_SG_EEES6_PlJS6_EEE10hipError_tPvRmT3_T4_T5_T6_T7_T9_mT8_P12ihipStream_tbDpT10_ENKUlT_T0_E_clISt17integral_constantIbLb1EES1A_IbLb0EEEEDaS16_S17_EUlS16_E_NS1_11comp_targetILNS1_3genE2ELNS1_11target_archE906ELNS1_3gpuE6ELNS1_3repE0EEENS1_30default_config_static_selectorELNS0_4arch9wavefront6targetE1EEEvT1_
	.globl	_ZN7rocprim17ROCPRIM_400000_NS6detail17trampoline_kernelINS0_14default_configENS1_25partition_config_selectorILNS1_17partition_subalgoE1ExNS0_10empty_typeEbEEZZNS1_14partition_implILS5_1ELb0ES3_jN6thrust23THRUST_200600_302600_NS6detail15normal_iteratorINSA_10device_ptrIxEEEEPS6_NSA_18transform_iteratorI7is_evenIxESF_NSA_11use_defaultESK_EENS0_5tupleIJNSA_16discard_iteratorISK_EESF_EEENSM_IJSG_SG_EEES6_PlJS6_EEE10hipError_tPvRmT3_T4_T5_T6_T7_T9_mT8_P12ihipStream_tbDpT10_ENKUlT_T0_E_clISt17integral_constantIbLb1EES1A_IbLb0EEEEDaS16_S17_EUlS16_E_NS1_11comp_targetILNS1_3genE2ELNS1_11target_archE906ELNS1_3gpuE6ELNS1_3repE0EEENS1_30default_config_static_selectorELNS0_4arch9wavefront6targetE1EEEvT1_
	.p2align	8
	.type	_ZN7rocprim17ROCPRIM_400000_NS6detail17trampoline_kernelINS0_14default_configENS1_25partition_config_selectorILNS1_17partition_subalgoE1ExNS0_10empty_typeEbEEZZNS1_14partition_implILS5_1ELb0ES3_jN6thrust23THRUST_200600_302600_NS6detail15normal_iteratorINSA_10device_ptrIxEEEEPS6_NSA_18transform_iteratorI7is_evenIxESF_NSA_11use_defaultESK_EENS0_5tupleIJNSA_16discard_iteratorISK_EESF_EEENSM_IJSG_SG_EEES6_PlJS6_EEE10hipError_tPvRmT3_T4_T5_T6_T7_T9_mT8_P12ihipStream_tbDpT10_ENKUlT_T0_E_clISt17integral_constantIbLb1EES1A_IbLb0EEEEDaS16_S17_EUlS16_E_NS1_11comp_targetILNS1_3genE2ELNS1_11target_archE906ELNS1_3gpuE6ELNS1_3repE0EEENS1_30default_config_static_selectorELNS0_4arch9wavefront6targetE1EEEvT1_,@function
_ZN7rocprim17ROCPRIM_400000_NS6detail17trampoline_kernelINS0_14default_configENS1_25partition_config_selectorILNS1_17partition_subalgoE1ExNS0_10empty_typeEbEEZZNS1_14partition_implILS5_1ELb0ES3_jN6thrust23THRUST_200600_302600_NS6detail15normal_iteratorINSA_10device_ptrIxEEEEPS6_NSA_18transform_iteratorI7is_evenIxESF_NSA_11use_defaultESK_EENS0_5tupleIJNSA_16discard_iteratorISK_EESF_EEENSM_IJSG_SG_EEES6_PlJS6_EEE10hipError_tPvRmT3_T4_T5_T6_T7_T9_mT8_P12ihipStream_tbDpT10_ENKUlT_T0_E_clISt17integral_constantIbLb1EES1A_IbLb0EEEEDaS16_S17_EUlS16_E_NS1_11comp_targetILNS1_3genE2ELNS1_11target_archE906ELNS1_3gpuE6ELNS1_3repE0EEENS1_30default_config_static_selectorELNS0_4arch9wavefront6targetE1EEEvT1_: ; @_ZN7rocprim17ROCPRIM_400000_NS6detail17trampoline_kernelINS0_14default_configENS1_25partition_config_selectorILNS1_17partition_subalgoE1ExNS0_10empty_typeEbEEZZNS1_14partition_implILS5_1ELb0ES3_jN6thrust23THRUST_200600_302600_NS6detail15normal_iteratorINSA_10device_ptrIxEEEEPS6_NSA_18transform_iteratorI7is_evenIxESF_NSA_11use_defaultESK_EENS0_5tupleIJNSA_16discard_iteratorISK_EESF_EEENSM_IJSG_SG_EEES6_PlJS6_EEE10hipError_tPvRmT3_T4_T5_T6_T7_T9_mT8_P12ihipStream_tbDpT10_ENKUlT_T0_E_clISt17integral_constantIbLb1EES1A_IbLb0EEEEDaS16_S17_EUlS16_E_NS1_11comp_targetILNS1_3genE2ELNS1_11target_archE906ELNS1_3gpuE6ELNS1_3repE0EEENS1_30default_config_static_selectorELNS0_4arch9wavefront6targetE1EEEvT1_
; %bb.0:
	.section	.rodata,"a",@progbits
	.p2align	6, 0x0
	.amdhsa_kernel _ZN7rocprim17ROCPRIM_400000_NS6detail17trampoline_kernelINS0_14default_configENS1_25partition_config_selectorILNS1_17partition_subalgoE1ExNS0_10empty_typeEbEEZZNS1_14partition_implILS5_1ELb0ES3_jN6thrust23THRUST_200600_302600_NS6detail15normal_iteratorINSA_10device_ptrIxEEEEPS6_NSA_18transform_iteratorI7is_evenIxESF_NSA_11use_defaultESK_EENS0_5tupleIJNSA_16discard_iteratorISK_EESF_EEENSM_IJSG_SG_EEES6_PlJS6_EEE10hipError_tPvRmT3_T4_T5_T6_T7_T9_mT8_P12ihipStream_tbDpT10_ENKUlT_T0_E_clISt17integral_constantIbLb1EES1A_IbLb0EEEEDaS16_S17_EUlS16_E_NS1_11comp_targetILNS1_3genE2ELNS1_11target_archE906ELNS1_3gpuE6ELNS1_3repE0EEENS1_30default_config_static_selectorELNS0_4arch9wavefront6targetE1EEEvT1_
		.amdhsa_group_segment_fixed_size 0
		.amdhsa_private_segment_fixed_size 0
		.amdhsa_kernarg_size 136
		.amdhsa_user_sgpr_count 6
		.amdhsa_user_sgpr_private_segment_buffer 1
		.amdhsa_user_sgpr_dispatch_ptr 0
		.amdhsa_user_sgpr_queue_ptr 0
		.amdhsa_user_sgpr_kernarg_segment_ptr 1
		.amdhsa_user_sgpr_dispatch_id 0
		.amdhsa_user_sgpr_flat_scratch_init 0
		.amdhsa_user_sgpr_kernarg_preload_length 0
		.amdhsa_user_sgpr_kernarg_preload_offset 0
		.amdhsa_user_sgpr_private_segment_size 0
		.amdhsa_uses_dynamic_stack 0
		.amdhsa_system_sgpr_private_segment_wavefront_offset 0
		.amdhsa_system_sgpr_workgroup_id_x 1
		.amdhsa_system_sgpr_workgroup_id_y 0
		.amdhsa_system_sgpr_workgroup_id_z 0
		.amdhsa_system_sgpr_workgroup_info 0
		.amdhsa_system_vgpr_workitem_id 0
		.amdhsa_next_free_vgpr 1
		.amdhsa_next_free_sgpr 0
		.amdhsa_accum_offset 4
		.amdhsa_reserve_vcc 0
		.amdhsa_reserve_flat_scratch 0
		.amdhsa_float_round_mode_32 0
		.amdhsa_float_round_mode_16_64 0
		.amdhsa_float_denorm_mode_32 3
		.amdhsa_float_denorm_mode_16_64 3
		.amdhsa_dx10_clamp 1
		.amdhsa_ieee_mode 1
		.amdhsa_fp16_overflow 0
		.amdhsa_tg_split 0
		.amdhsa_exception_fp_ieee_invalid_op 0
		.amdhsa_exception_fp_denorm_src 0
		.amdhsa_exception_fp_ieee_div_zero 0
		.amdhsa_exception_fp_ieee_overflow 0
		.amdhsa_exception_fp_ieee_underflow 0
		.amdhsa_exception_fp_ieee_inexact 0
		.amdhsa_exception_int_div_zero 0
	.end_amdhsa_kernel
	.section	.text._ZN7rocprim17ROCPRIM_400000_NS6detail17trampoline_kernelINS0_14default_configENS1_25partition_config_selectorILNS1_17partition_subalgoE1ExNS0_10empty_typeEbEEZZNS1_14partition_implILS5_1ELb0ES3_jN6thrust23THRUST_200600_302600_NS6detail15normal_iteratorINSA_10device_ptrIxEEEEPS6_NSA_18transform_iteratorI7is_evenIxESF_NSA_11use_defaultESK_EENS0_5tupleIJNSA_16discard_iteratorISK_EESF_EEENSM_IJSG_SG_EEES6_PlJS6_EEE10hipError_tPvRmT3_T4_T5_T6_T7_T9_mT8_P12ihipStream_tbDpT10_ENKUlT_T0_E_clISt17integral_constantIbLb1EES1A_IbLb0EEEEDaS16_S17_EUlS16_E_NS1_11comp_targetILNS1_3genE2ELNS1_11target_archE906ELNS1_3gpuE6ELNS1_3repE0EEENS1_30default_config_static_selectorELNS0_4arch9wavefront6targetE1EEEvT1_,"axG",@progbits,_ZN7rocprim17ROCPRIM_400000_NS6detail17trampoline_kernelINS0_14default_configENS1_25partition_config_selectorILNS1_17partition_subalgoE1ExNS0_10empty_typeEbEEZZNS1_14partition_implILS5_1ELb0ES3_jN6thrust23THRUST_200600_302600_NS6detail15normal_iteratorINSA_10device_ptrIxEEEEPS6_NSA_18transform_iteratorI7is_evenIxESF_NSA_11use_defaultESK_EENS0_5tupleIJNSA_16discard_iteratorISK_EESF_EEENSM_IJSG_SG_EEES6_PlJS6_EEE10hipError_tPvRmT3_T4_T5_T6_T7_T9_mT8_P12ihipStream_tbDpT10_ENKUlT_T0_E_clISt17integral_constantIbLb1EES1A_IbLb0EEEEDaS16_S17_EUlS16_E_NS1_11comp_targetILNS1_3genE2ELNS1_11target_archE906ELNS1_3gpuE6ELNS1_3repE0EEENS1_30default_config_static_selectorELNS0_4arch9wavefront6targetE1EEEvT1_,comdat
.Lfunc_end3247:
	.size	_ZN7rocprim17ROCPRIM_400000_NS6detail17trampoline_kernelINS0_14default_configENS1_25partition_config_selectorILNS1_17partition_subalgoE1ExNS0_10empty_typeEbEEZZNS1_14partition_implILS5_1ELb0ES3_jN6thrust23THRUST_200600_302600_NS6detail15normal_iteratorINSA_10device_ptrIxEEEEPS6_NSA_18transform_iteratorI7is_evenIxESF_NSA_11use_defaultESK_EENS0_5tupleIJNSA_16discard_iteratorISK_EESF_EEENSM_IJSG_SG_EEES6_PlJS6_EEE10hipError_tPvRmT3_T4_T5_T6_T7_T9_mT8_P12ihipStream_tbDpT10_ENKUlT_T0_E_clISt17integral_constantIbLb1EES1A_IbLb0EEEEDaS16_S17_EUlS16_E_NS1_11comp_targetILNS1_3genE2ELNS1_11target_archE906ELNS1_3gpuE6ELNS1_3repE0EEENS1_30default_config_static_selectorELNS0_4arch9wavefront6targetE1EEEvT1_, .Lfunc_end3247-_ZN7rocprim17ROCPRIM_400000_NS6detail17trampoline_kernelINS0_14default_configENS1_25partition_config_selectorILNS1_17partition_subalgoE1ExNS0_10empty_typeEbEEZZNS1_14partition_implILS5_1ELb0ES3_jN6thrust23THRUST_200600_302600_NS6detail15normal_iteratorINSA_10device_ptrIxEEEEPS6_NSA_18transform_iteratorI7is_evenIxESF_NSA_11use_defaultESK_EENS0_5tupleIJNSA_16discard_iteratorISK_EESF_EEENSM_IJSG_SG_EEES6_PlJS6_EEE10hipError_tPvRmT3_T4_T5_T6_T7_T9_mT8_P12ihipStream_tbDpT10_ENKUlT_T0_E_clISt17integral_constantIbLb1EES1A_IbLb0EEEEDaS16_S17_EUlS16_E_NS1_11comp_targetILNS1_3genE2ELNS1_11target_archE906ELNS1_3gpuE6ELNS1_3repE0EEENS1_30default_config_static_selectorELNS0_4arch9wavefront6targetE1EEEvT1_
                                        ; -- End function
	.section	.AMDGPU.csdata,"",@progbits
; Kernel info:
; codeLenInByte = 0
; NumSgprs: 4
; NumVgprs: 0
; NumAgprs: 0
; TotalNumVgprs: 0
; ScratchSize: 0
; MemoryBound: 0
; FloatMode: 240
; IeeeMode: 1
; LDSByteSize: 0 bytes/workgroup (compile time only)
; SGPRBlocks: 0
; VGPRBlocks: 0
; NumSGPRsForWavesPerEU: 4
; NumVGPRsForWavesPerEU: 1
; AccumOffset: 4
; Occupancy: 8
; WaveLimiterHint : 0
; COMPUTE_PGM_RSRC2:SCRATCH_EN: 0
; COMPUTE_PGM_RSRC2:USER_SGPR: 6
; COMPUTE_PGM_RSRC2:TRAP_HANDLER: 0
; COMPUTE_PGM_RSRC2:TGID_X_EN: 1
; COMPUTE_PGM_RSRC2:TGID_Y_EN: 0
; COMPUTE_PGM_RSRC2:TGID_Z_EN: 0
; COMPUTE_PGM_RSRC2:TIDIG_COMP_CNT: 0
; COMPUTE_PGM_RSRC3_GFX90A:ACCUM_OFFSET: 0
; COMPUTE_PGM_RSRC3_GFX90A:TG_SPLIT: 0
	.section	.text._ZN7rocprim17ROCPRIM_400000_NS6detail17trampoline_kernelINS0_14default_configENS1_25partition_config_selectorILNS1_17partition_subalgoE1ExNS0_10empty_typeEbEEZZNS1_14partition_implILS5_1ELb0ES3_jN6thrust23THRUST_200600_302600_NS6detail15normal_iteratorINSA_10device_ptrIxEEEEPS6_NSA_18transform_iteratorI7is_evenIxESF_NSA_11use_defaultESK_EENS0_5tupleIJNSA_16discard_iteratorISK_EESF_EEENSM_IJSG_SG_EEES6_PlJS6_EEE10hipError_tPvRmT3_T4_T5_T6_T7_T9_mT8_P12ihipStream_tbDpT10_ENKUlT_T0_E_clISt17integral_constantIbLb1EES1A_IbLb0EEEEDaS16_S17_EUlS16_E_NS1_11comp_targetILNS1_3genE10ELNS1_11target_archE1200ELNS1_3gpuE4ELNS1_3repE0EEENS1_30default_config_static_selectorELNS0_4arch9wavefront6targetE1EEEvT1_,"axG",@progbits,_ZN7rocprim17ROCPRIM_400000_NS6detail17trampoline_kernelINS0_14default_configENS1_25partition_config_selectorILNS1_17partition_subalgoE1ExNS0_10empty_typeEbEEZZNS1_14partition_implILS5_1ELb0ES3_jN6thrust23THRUST_200600_302600_NS6detail15normal_iteratorINSA_10device_ptrIxEEEEPS6_NSA_18transform_iteratorI7is_evenIxESF_NSA_11use_defaultESK_EENS0_5tupleIJNSA_16discard_iteratorISK_EESF_EEENSM_IJSG_SG_EEES6_PlJS6_EEE10hipError_tPvRmT3_T4_T5_T6_T7_T9_mT8_P12ihipStream_tbDpT10_ENKUlT_T0_E_clISt17integral_constantIbLb1EES1A_IbLb0EEEEDaS16_S17_EUlS16_E_NS1_11comp_targetILNS1_3genE10ELNS1_11target_archE1200ELNS1_3gpuE4ELNS1_3repE0EEENS1_30default_config_static_selectorELNS0_4arch9wavefront6targetE1EEEvT1_,comdat
	.protected	_ZN7rocprim17ROCPRIM_400000_NS6detail17trampoline_kernelINS0_14default_configENS1_25partition_config_selectorILNS1_17partition_subalgoE1ExNS0_10empty_typeEbEEZZNS1_14partition_implILS5_1ELb0ES3_jN6thrust23THRUST_200600_302600_NS6detail15normal_iteratorINSA_10device_ptrIxEEEEPS6_NSA_18transform_iteratorI7is_evenIxESF_NSA_11use_defaultESK_EENS0_5tupleIJNSA_16discard_iteratorISK_EESF_EEENSM_IJSG_SG_EEES6_PlJS6_EEE10hipError_tPvRmT3_T4_T5_T6_T7_T9_mT8_P12ihipStream_tbDpT10_ENKUlT_T0_E_clISt17integral_constantIbLb1EES1A_IbLb0EEEEDaS16_S17_EUlS16_E_NS1_11comp_targetILNS1_3genE10ELNS1_11target_archE1200ELNS1_3gpuE4ELNS1_3repE0EEENS1_30default_config_static_selectorELNS0_4arch9wavefront6targetE1EEEvT1_ ; -- Begin function _ZN7rocprim17ROCPRIM_400000_NS6detail17trampoline_kernelINS0_14default_configENS1_25partition_config_selectorILNS1_17partition_subalgoE1ExNS0_10empty_typeEbEEZZNS1_14partition_implILS5_1ELb0ES3_jN6thrust23THRUST_200600_302600_NS6detail15normal_iteratorINSA_10device_ptrIxEEEEPS6_NSA_18transform_iteratorI7is_evenIxESF_NSA_11use_defaultESK_EENS0_5tupleIJNSA_16discard_iteratorISK_EESF_EEENSM_IJSG_SG_EEES6_PlJS6_EEE10hipError_tPvRmT3_T4_T5_T6_T7_T9_mT8_P12ihipStream_tbDpT10_ENKUlT_T0_E_clISt17integral_constantIbLb1EES1A_IbLb0EEEEDaS16_S17_EUlS16_E_NS1_11comp_targetILNS1_3genE10ELNS1_11target_archE1200ELNS1_3gpuE4ELNS1_3repE0EEENS1_30default_config_static_selectorELNS0_4arch9wavefront6targetE1EEEvT1_
	.globl	_ZN7rocprim17ROCPRIM_400000_NS6detail17trampoline_kernelINS0_14default_configENS1_25partition_config_selectorILNS1_17partition_subalgoE1ExNS0_10empty_typeEbEEZZNS1_14partition_implILS5_1ELb0ES3_jN6thrust23THRUST_200600_302600_NS6detail15normal_iteratorINSA_10device_ptrIxEEEEPS6_NSA_18transform_iteratorI7is_evenIxESF_NSA_11use_defaultESK_EENS0_5tupleIJNSA_16discard_iteratorISK_EESF_EEENSM_IJSG_SG_EEES6_PlJS6_EEE10hipError_tPvRmT3_T4_T5_T6_T7_T9_mT8_P12ihipStream_tbDpT10_ENKUlT_T0_E_clISt17integral_constantIbLb1EES1A_IbLb0EEEEDaS16_S17_EUlS16_E_NS1_11comp_targetILNS1_3genE10ELNS1_11target_archE1200ELNS1_3gpuE4ELNS1_3repE0EEENS1_30default_config_static_selectorELNS0_4arch9wavefront6targetE1EEEvT1_
	.p2align	8
	.type	_ZN7rocprim17ROCPRIM_400000_NS6detail17trampoline_kernelINS0_14default_configENS1_25partition_config_selectorILNS1_17partition_subalgoE1ExNS0_10empty_typeEbEEZZNS1_14partition_implILS5_1ELb0ES3_jN6thrust23THRUST_200600_302600_NS6detail15normal_iteratorINSA_10device_ptrIxEEEEPS6_NSA_18transform_iteratorI7is_evenIxESF_NSA_11use_defaultESK_EENS0_5tupleIJNSA_16discard_iteratorISK_EESF_EEENSM_IJSG_SG_EEES6_PlJS6_EEE10hipError_tPvRmT3_T4_T5_T6_T7_T9_mT8_P12ihipStream_tbDpT10_ENKUlT_T0_E_clISt17integral_constantIbLb1EES1A_IbLb0EEEEDaS16_S17_EUlS16_E_NS1_11comp_targetILNS1_3genE10ELNS1_11target_archE1200ELNS1_3gpuE4ELNS1_3repE0EEENS1_30default_config_static_selectorELNS0_4arch9wavefront6targetE1EEEvT1_,@function
_ZN7rocprim17ROCPRIM_400000_NS6detail17trampoline_kernelINS0_14default_configENS1_25partition_config_selectorILNS1_17partition_subalgoE1ExNS0_10empty_typeEbEEZZNS1_14partition_implILS5_1ELb0ES3_jN6thrust23THRUST_200600_302600_NS6detail15normal_iteratorINSA_10device_ptrIxEEEEPS6_NSA_18transform_iteratorI7is_evenIxESF_NSA_11use_defaultESK_EENS0_5tupleIJNSA_16discard_iteratorISK_EESF_EEENSM_IJSG_SG_EEES6_PlJS6_EEE10hipError_tPvRmT3_T4_T5_T6_T7_T9_mT8_P12ihipStream_tbDpT10_ENKUlT_T0_E_clISt17integral_constantIbLb1EES1A_IbLb0EEEEDaS16_S17_EUlS16_E_NS1_11comp_targetILNS1_3genE10ELNS1_11target_archE1200ELNS1_3gpuE4ELNS1_3repE0EEENS1_30default_config_static_selectorELNS0_4arch9wavefront6targetE1EEEvT1_: ; @_ZN7rocprim17ROCPRIM_400000_NS6detail17trampoline_kernelINS0_14default_configENS1_25partition_config_selectorILNS1_17partition_subalgoE1ExNS0_10empty_typeEbEEZZNS1_14partition_implILS5_1ELb0ES3_jN6thrust23THRUST_200600_302600_NS6detail15normal_iteratorINSA_10device_ptrIxEEEEPS6_NSA_18transform_iteratorI7is_evenIxESF_NSA_11use_defaultESK_EENS0_5tupleIJNSA_16discard_iteratorISK_EESF_EEENSM_IJSG_SG_EEES6_PlJS6_EEE10hipError_tPvRmT3_T4_T5_T6_T7_T9_mT8_P12ihipStream_tbDpT10_ENKUlT_T0_E_clISt17integral_constantIbLb1EES1A_IbLb0EEEEDaS16_S17_EUlS16_E_NS1_11comp_targetILNS1_3genE10ELNS1_11target_archE1200ELNS1_3gpuE4ELNS1_3repE0EEENS1_30default_config_static_selectorELNS0_4arch9wavefront6targetE1EEEvT1_
; %bb.0:
	.section	.rodata,"a",@progbits
	.p2align	6, 0x0
	.amdhsa_kernel _ZN7rocprim17ROCPRIM_400000_NS6detail17trampoline_kernelINS0_14default_configENS1_25partition_config_selectorILNS1_17partition_subalgoE1ExNS0_10empty_typeEbEEZZNS1_14partition_implILS5_1ELb0ES3_jN6thrust23THRUST_200600_302600_NS6detail15normal_iteratorINSA_10device_ptrIxEEEEPS6_NSA_18transform_iteratorI7is_evenIxESF_NSA_11use_defaultESK_EENS0_5tupleIJNSA_16discard_iteratorISK_EESF_EEENSM_IJSG_SG_EEES6_PlJS6_EEE10hipError_tPvRmT3_T4_T5_T6_T7_T9_mT8_P12ihipStream_tbDpT10_ENKUlT_T0_E_clISt17integral_constantIbLb1EES1A_IbLb0EEEEDaS16_S17_EUlS16_E_NS1_11comp_targetILNS1_3genE10ELNS1_11target_archE1200ELNS1_3gpuE4ELNS1_3repE0EEENS1_30default_config_static_selectorELNS0_4arch9wavefront6targetE1EEEvT1_
		.amdhsa_group_segment_fixed_size 0
		.amdhsa_private_segment_fixed_size 0
		.amdhsa_kernarg_size 136
		.amdhsa_user_sgpr_count 6
		.amdhsa_user_sgpr_private_segment_buffer 1
		.amdhsa_user_sgpr_dispatch_ptr 0
		.amdhsa_user_sgpr_queue_ptr 0
		.amdhsa_user_sgpr_kernarg_segment_ptr 1
		.amdhsa_user_sgpr_dispatch_id 0
		.amdhsa_user_sgpr_flat_scratch_init 0
		.amdhsa_user_sgpr_kernarg_preload_length 0
		.amdhsa_user_sgpr_kernarg_preload_offset 0
		.amdhsa_user_sgpr_private_segment_size 0
		.amdhsa_uses_dynamic_stack 0
		.amdhsa_system_sgpr_private_segment_wavefront_offset 0
		.amdhsa_system_sgpr_workgroup_id_x 1
		.amdhsa_system_sgpr_workgroup_id_y 0
		.amdhsa_system_sgpr_workgroup_id_z 0
		.amdhsa_system_sgpr_workgroup_info 0
		.amdhsa_system_vgpr_workitem_id 0
		.amdhsa_next_free_vgpr 1
		.amdhsa_next_free_sgpr 0
		.amdhsa_accum_offset 4
		.amdhsa_reserve_vcc 0
		.amdhsa_reserve_flat_scratch 0
		.amdhsa_float_round_mode_32 0
		.amdhsa_float_round_mode_16_64 0
		.amdhsa_float_denorm_mode_32 3
		.amdhsa_float_denorm_mode_16_64 3
		.amdhsa_dx10_clamp 1
		.amdhsa_ieee_mode 1
		.amdhsa_fp16_overflow 0
		.amdhsa_tg_split 0
		.amdhsa_exception_fp_ieee_invalid_op 0
		.amdhsa_exception_fp_denorm_src 0
		.amdhsa_exception_fp_ieee_div_zero 0
		.amdhsa_exception_fp_ieee_overflow 0
		.amdhsa_exception_fp_ieee_underflow 0
		.amdhsa_exception_fp_ieee_inexact 0
		.amdhsa_exception_int_div_zero 0
	.end_amdhsa_kernel
	.section	.text._ZN7rocprim17ROCPRIM_400000_NS6detail17trampoline_kernelINS0_14default_configENS1_25partition_config_selectorILNS1_17partition_subalgoE1ExNS0_10empty_typeEbEEZZNS1_14partition_implILS5_1ELb0ES3_jN6thrust23THRUST_200600_302600_NS6detail15normal_iteratorINSA_10device_ptrIxEEEEPS6_NSA_18transform_iteratorI7is_evenIxESF_NSA_11use_defaultESK_EENS0_5tupleIJNSA_16discard_iteratorISK_EESF_EEENSM_IJSG_SG_EEES6_PlJS6_EEE10hipError_tPvRmT3_T4_T5_T6_T7_T9_mT8_P12ihipStream_tbDpT10_ENKUlT_T0_E_clISt17integral_constantIbLb1EES1A_IbLb0EEEEDaS16_S17_EUlS16_E_NS1_11comp_targetILNS1_3genE10ELNS1_11target_archE1200ELNS1_3gpuE4ELNS1_3repE0EEENS1_30default_config_static_selectorELNS0_4arch9wavefront6targetE1EEEvT1_,"axG",@progbits,_ZN7rocprim17ROCPRIM_400000_NS6detail17trampoline_kernelINS0_14default_configENS1_25partition_config_selectorILNS1_17partition_subalgoE1ExNS0_10empty_typeEbEEZZNS1_14partition_implILS5_1ELb0ES3_jN6thrust23THRUST_200600_302600_NS6detail15normal_iteratorINSA_10device_ptrIxEEEEPS6_NSA_18transform_iteratorI7is_evenIxESF_NSA_11use_defaultESK_EENS0_5tupleIJNSA_16discard_iteratorISK_EESF_EEENSM_IJSG_SG_EEES6_PlJS6_EEE10hipError_tPvRmT3_T4_T5_T6_T7_T9_mT8_P12ihipStream_tbDpT10_ENKUlT_T0_E_clISt17integral_constantIbLb1EES1A_IbLb0EEEEDaS16_S17_EUlS16_E_NS1_11comp_targetILNS1_3genE10ELNS1_11target_archE1200ELNS1_3gpuE4ELNS1_3repE0EEENS1_30default_config_static_selectorELNS0_4arch9wavefront6targetE1EEEvT1_,comdat
.Lfunc_end3248:
	.size	_ZN7rocprim17ROCPRIM_400000_NS6detail17trampoline_kernelINS0_14default_configENS1_25partition_config_selectorILNS1_17partition_subalgoE1ExNS0_10empty_typeEbEEZZNS1_14partition_implILS5_1ELb0ES3_jN6thrust23THRUST_200600_302600_NS6detail15normal_iteratorINSA_10device_ptrIxEEEEPS6_NSA_18transform_iteratorI7is_evenIxESF_NSA_11use_defaultESK_EENS0_5tupleIJNSA_16discard_iteratorISK_EESF_EEENSM_IJSG_SG_EEES6_PlJS6_EEE10hipError_tPvRmT3_T4_T5_T6_T7_T9_mT8_P12ihipStream_tbDpT10_ENKUlT_T0_E_clISt17integral_constantIbLb1EES1A_IbLb0EEEEDaS16_S17_EUlS16_E_NS1_11comp_targetILNS1_3genE10ELNS1_11target_archE1200ELNS1_3gpuE4ELNS1_3repE0EEENS1_30default_config_static_selectorELNS0_4arch9wavefront6targetE1EEEvT1_, .Lfunc_end3248-_ZN7rocprim17ROCPRIM_400000_NS6detail17trampoline_kernelINS0_14default_configENS1_25partition_config_selectorILNS1_17partition_subalgoE1ExNS0_10empty_typeEbEEZZNS1_14partition_implILS5_1ELb0ES3_jN6thrust23THRUST_200600_302600_NS6detail15normal_iteratorINSA_10device_ptrIxEEEEPS6_NSA_18transform_iteratorI7is_evenIxESF_NSA_11use_defaultESK_EENS0_5tupleIJNSA_16discard_iteratorISK_EESF_EEENSM_IJSG_SG_EEES6_PlJS6_EEE10hipError_tPvRmT3_T4_T5_T6_T7_T9_mT8_P12ihipStream_tbDpT10_ENKUlT_T0_E_clISt17integral_constantIbLb1EES1A_IbLb0EEEEDaS16_S17_EUlS16_E_NS1_11comp_targetILNS1_3genE10ELNS1_11target_archE1200ELNS1_3gpuE4ELNS1_3repE0EEENS1_30default_config_static_selectorELNS0_4arch9wavefront6targetE1EEEvT1_
                                        ; -- End function
	.section	.AMDGPU.csdata,"",@progbits
; Kernel info:
; codeLenInByte = 0
; NumSgprs: 4
; NumVgprs: 0
; NumAgprs: 0
; TotalNumVgprs: 0
; ScratchSize: 0
; MemoryBound: 0
; FloatMode: 240
; IeeeMode: 1
; LDSByteSize: 0 bytes/workgroup (compile time only)
; SGPRBlocks: 0
; VGPRBlocks: 0
; NumSGPRsForWavesPerEU: 4
; NumVGPRsForWavesPerEU: 1
; AccumOffset: 4
; Occupancy: 8
; WaveLimiterHint : 0
; COMPUTE_PGM_RSRC2:SCRATCH_EN: 0
; COMPUTE_PGM_RSRC2:USER_SGPR: 6
; COMPUTE_PGM_RSRC2:TRAP_HANDLER: 0
; COMPUTE_PGM_RSRC2:TGID_X_EN: 1
; COMPUTE_PGM_RSRC2:TGID_Y_EN: 0
; COMPUTE_PGM_RSRC2:TGID_Z_EN: 0
; COMPUTE_PGM_RSRC2:TIDIG_COMP_CNT: 0
; COMPUTE_PGM_RSRC3_GFX90A:ACCUM_OFFSET: 0
; COMPUTE_PGM_RSRC3_GFX90A:TG_SPLIT: 0
	.section	.text._ZN7rocprim17ROCPRIM_400000_NS6detail17trampoline_kernelINS0_14default_configENS1_25partition_config_selectorILNS1_17partition_subalgoE1ExNS0_10empty_typeEbEEZZNS1_14partition_implILS5_1ELb0ES3_jN6thrust23THRUST_200600_302600_NS6detail15normal_iteratorINSA_10device_ptrIxEEEEPS6_NSA_18transform_iteratorI7is_evenIxESF_NSA_11use_defaultESK_EENS0_5tupleIJNSA_16discard_iteratorISK_EESF_EEENSM_IJSG_SG_EEES6_PlJS6_EEE10hipError_tPvRmT3_T4_T5_T6_T7_T9_mT8_P12ihipStream_tbDpT10_ENKUlT_T0_E_clISt17integral_constantIbLb1EES1A_IbLb0EEEEDaS16_S17_EUlS16_E_NS1_11comp_targetILNS1_3genE9ELNS1_11target_archE1100ELNS1_3gpuE3ELNS1_3repE0EEENS1_30default_config_static_selectorELNS0_4arch9wavefront6targetE1EEEvT1_,"axG",@progbits,_ZN7rocprim17ROCPRIM_400000_NS6detail17trampoline_kernelINS0_14default_configENS1_25partition_config_selectorILNS1_17partition_subalgoE1ExNS0_10empty_typeEbEEZZNS1_14partition_implILS5_1ELb0ES3_jN6thrust23THRUST_200600_302600_NS6detail15normal_iteratorINSA_10device_ptrIxEEEEPS6_NSA_18transform_iteratorI7is_evenIxESF_NSA_11use_defaultESK_EENS0_5tupleIJNSA_16discard_iteratorISK_EESF_EEENSM_IJSG_SG_EEES6_PlJS6_EEE10hipError_tPvRmT3_T4_T5_T6_T7_T9_mT8_P12ihipStream_tbDpT10_ENKUlT_T0_E_clISt17integral_constantIbLb1EES1A_IbLb0EEEEDaS16_S17_EUlS16_E_NS1_11comp_targetILNS1_3genE9ELNS1_11target_archE1100ELNS1_3gpuE3ELNS1_3repE0EEENS1_30default_config_static_selectorELNS0_4arch9wavefront6targetE1EEEvT1_,comdat
	.protected	_ZN7rocprim17ROCPRIM_400000_NS6detail17trampoline_kernelINS0_14default_configENS1_25partition_config_selectorILNS1_17partition_subalgoE1ExNS0_10empty_typeEbEEZZNS1_14partition_implILS5_1ELb0ES3_jN6thrust23THRUST_200600_302600_NS6detail15normal_iteratorINSA_10device_ptrIxEEEEPS6_NSA_18transform_iteratorI7is_evenIxESF_NSA_11use_defaultESK_EENS0_5tupleIJNSA_16discard_iteratorISK_EESF_EEENSM_IJSG_SG_EEES6_PlJS6_EEE10hipError_tPvRmT3_T4_T5_T6_T7_T9_mT8_P12ihipStream_tbDpT10_ENKUlT_T0_E_clISt17integral_constantIbLb1EES1A_IbLb0EEEEDaS16_S17_EUlS16_E_NS1_11comp_targetILNS1_3genE9ELNS1_11target_archE1100ELNS1_3gpuE3ELNS1_3repE0EEENS1_30default_config_static_selectorELNS0_4arch9wavefront6targetE1EEEvT1_ ; -- Begin function _ZN7rocprim17ROCPRIM_400000_NS6detail17trampoline_kernelINS0_14default_configENS1_25partition_config_selectorILNS1_17partition_subalgoE1ExNS0_10empty_typeEbEEZZNS1_14partition_implILS5_1ELb0ES3_jN6thrust23THRUST_200600_302600_NS6detail15normal_iteratorINSA_10device_ptrIxEEEEPS6_NSA_18transform_iteratorI7is_evenIxESF_NSA_11use_defaultESK_EENS0_5tupleIJNSA_16discard_iteratorISK_EESF_EEENSM_IJSG_SG_EEES6_PlJS6_EEE10hipError_tPvRmT3_T4_T5_T6_T7_T9_mT8_P12ihipStream_tbDpT10_ENKUlT_T0_E_clISt17integral_constantIbLb1EES1A_IbLb0EEEEDaS16_S17_EUlS16_E_NS1_11comp_targetILNS1_3genE9ELNS1_11target_archE1100ELNS1_3gpuE3ELNS1_3repE0EEENS1_30default_config_static_selectorELNS0_4arch9wavefront6targetE1EEEvT1_
	.globl	_ZN7rocprim17ROCPRIM_400000_NS6detail17trampoline_kernelINS0_14default_configENS1_25partition_config_selectorILNS1_17partition_subalgoE1ExNS0_10empty_typeEbEEZZNS1_14partition_implILS5_1ELb0ES3_jN6thrust23THRUST_200600_302600_NS6detail15normal_iteratorINSA_10device_ptrIxEEEEPS6_NSA_18transform_iteratorI7is_evenIxESF_NSA_11use_defaultESK_EENS0_5tupleIJNSA_16discard_iteratorISK_EESF_EEENSM_IJSG_SG_EEES6_PlJS6_EEE10hipError_tPvRmT3_T4_T5_T6_T7_T9_mT8_P12ihipStream_tbDpT10_ENKUlT_T0_E_clISt17integral_constantIbLb1EES1A_IbLb0EEEEDaS16_S17_EUlS16_E_NS1_11comp_targetILNS1_3genE9ELNS1_11target_archE1100ELNS1_3gpuE3ELNS1_3repE0EEENS1_30default_config_static_selectorELNS0_4arch9wavefront6targetE1EEEvT1_
	.p2align	8
	.type	_ZN7rocprim17ROCPRIM_400000_NS6detail17trampoline_kernelINS0_14default_configENS1_25partition_config_selectorILNS1_17partition_subalgoE1ExNS0_10empty_typeEbEEZZNS1_14partition_implILS5_1ELb0ES3_jN6thrust23THRUST_200600_302600_NS6detail15normal_iteratorINSA_10device_ptrIxEEEEPS6_NSA_18transform_iteratorI7is_evenIxESF_NSA_11use_defaultESK_EENS0_5tupleIJNSA_16discard_iteratorISK_EESF_EEENSM_IJSG_SG_EEES6_PlJS6_EEE10hipError_tPvRmT3_T4_T5_T6_T7_T9_mT8_P12ihipStream_tbDpT10_ENKUlT_T0_E_clISt17integral_constantIbLb1EES1A_IbLb0EEEEDaS16_S17_EUlS16_E_NS1_11comp_targetILNS1_3genE9ELNS1_11target_archE1100ELNS1_3gpuE3ELNS1_3repE0EEENS1_30default_config_static_selectorELNS0_4arch9wavefront6targetE1EEEvT1_,@function
_ZN7rocprim17ROCPRIM_400000_NS6detail17trampoline_kernelINS0_14default_configENS1_25partition_config_selectorILNS1_17partition_subalgoE1ExNS0_10empty_typeEbEEZZNS1_14partition_implILS5_1ELb0ES3_jN6thrust23THRUST_200600_302600_NS6detail15normal_iteratorINSA_10device_ptrIxEEEEPS6_NSA_18transform_iteratorI7is_evenIxESF_NSA_11use_defaultESK_EENS0_5tupleIJNSA_16discard_iteratorISK_EESF_EEENSM_IJSG_SG_EEES6_PlJS6_EEE10hipError_tPvRmT3_T4_T5_T6_T7_T9_mT8_P12ihipStream_tbDpT10_ENKUlT_T0_E_clISt17integral_constantIbLb1EES1A_IbLb0EEEEDaS16_S17_EUlS16_E_NS1_11comp_targetILNS1_3genE9ELNS1_11target_archE1100ELNS1_3gpuE3ELNS1_3repE0EEENS1_30default_config_static_selectorELNS0_4arch9wavefront6targetE1EEEvT1_: ; @_ZN7rocprim17ROCPRIM_400000_NS6detail17trampoline_kernelINS0_14default_configENS1_25partition_config_selectorILNS1_17partition_subalgoE1ExNS0_10empty_typeEbEEZZNS1_14partition_implILS5_1ELb0ES3_jN6thrust23THRUST_200600_302600_NS6detail15normal_iteratorINSA_10device_ptrIxEEEEPS6_NSA_18transform_iteratorI7is_evenIxESF_NSA_11use_defaultESK_EENS0_5tupleIJNSA_16discard_iteratorISK_EESF_EEENSM_IJSG_SG_EEES6_PlJS6_EEE10hipError_tPvRmT3_T4_T5_T6_T7_T9_mT8_P12ihipStream_tbDpT10_ENKUlT_T0_E_clISt17integral_constantIbLb1EES1A_IbLb0EEEEDaS16_S17_EUlS16_E_NS1_11comp_targetILNS1_3genE9ELNS1_11target_archE1100ELNS1_3gpuE3ELNS1_3repE0EEENS1_30default_config_static_selectorELNS0_4arch9wavefront6targetE1EEEvT1_
; %bb.0:
	.section	.rodata,"a",@progbits
	.p2align	6, 0x0
	.amdhsa_kernel _ZN7rocprim17ROCPRIM_400000_NS6detail17trampoline_kernelINS0_14default_configENS1_25partition_config_selectorILNS1_17partition_subalgoE1ExNS0_10empty_typeEbEEZZNS1_14partition_implILS5_1ELb0ES3_jN6thrust23THRUST_200600_302600_NS6detail15normal_iteratorINSA_10device_ptrIxEEEEPS6_NSA_18transform_iteratorI7is_evenIxESF_NSA_11use_defaultESK_EENS0_5tupleIJNSA_16discard_iteratorISK_EESF_EEENSM_IJSG_SG_EEES6_PlJS6_EEE10hipError_tPvRmT3_T4_T5_T6_T7_T9_mT8_P12ihipStream_tbDpT10_ENKUlT_T0_E_clISt17integral_constantIbLb1EES1A_IbLb0EEEEDaS16_S17_EUlS16_E_NS1_11comp_targetILNS1_3genE9ELNS1_11target_archE1100ELNS1_3gpuE3ELNS1_3repE0EEENS1_30default_config_static_selectorELNS0_4arch9wavefront6targetE1EEEvT1_
		.amdhsa_group_segment_fixed_size 0
		.amdhsa_private_segment_fixed_size 0
		.amdhsa_kernarg_size 136
		.amdhsa_user_sgpr_count 6
		.amdhsa_user_sgpr_private_segment_buffer 1
		.amdhsa_user_sgpr_dispatch_ptr 0
		.amdhsa_user_sgpr_queue_ptr 0
		.amdhsa_user_sgpr_kernarg_segment_ptr 1
		.amdhsa_user_sgpr_dispatch_id 0
		.amdhsa_user_sgpr_flat_scratch_init 0
		.amdhsa_user_sgpr_kernarg_preload_length 0
		.amdhsa_user_sgpr_kernarg_preload_offset 0
		.amdhsa_user_sgpr_private_segment_size 0
		.amdhsa_uses_dynamic_stack 0
		.amdhsa_system_sgpr_private_segment_wavefront_offset 0
		.amdhsa_system_sgpr_workgroup_id_x 1
		.amdhsa_system_sgpr_workgroup_id_y 0
		.amdhsa_system_sgpr_workgroup_id_z 0
		.amdhsa_system_sgpr_workgroup_info 0
		.amdhsa_system_vgpr_workitem_id 0
		.amdhsa_next_free_vgpr 1
		.amdhsa_next_free_sgpr 0
		.amdhsa_accum_offset 4
		.amdhsa_reserve_vcc 0
		.amdhsa_reserve_flat_scratch 0
		.amdhsa_float_round_mode_32 0
		.amdhsa_float_round_mode_16_64 0
		.amdhsa_float_denorm_mode_32 3
		.amdhsa_float_denorm_mode_16_64 3
		.amdhsa_dx10_clamp 1
		.amdhsa_ieee_mode 1
		.amdhsa_fp16_overflow 0
		.amdhsa_tg_split 0
		.amdhsa_exception_fp_ieee_invalid_op 0
		.amdhsa_exception_fp_denorm_src 0
		.amdhsa_exception_fp_ieee_div_zero 0
		.amdhsa_exception_fp_ieee_overflow 0
		.amdhsa_exception_fp_ieee_underflow 0
		.amdhsa_exception_fp_ieee_inexact 0
		.amdhsa_exception_int_div_zero 0
	.end_amdhsa_kernel
	.section	.text._ZN7rocprim17ROCPRIM_400000_NS6detail17trampoline_kernelINS0_14default_configENS1_25partition_config_selectorILNS1_17partition_subalgoE1ExNS0_10empty_typeEbEEZZNS1_14partition_implILS5_1ELb0ES3_jN6thrust23THRUST_200600_302600_NS6detail15normal_iteratorINSA_10device_ptrIxEEEEPS6_NSA_18transform_iteratorI7is_evenIxESF_NSA_11use_defaultESK_EENS0_5tupleIJNSA_16discard_iteratorISK_EESF_EEENSM_IJSG_SG_EEES6_PlJS6_EEE10hipError_tPvRmT3_T4_T5_T6_T7_T9_mT8_P12ihipStream_tbDpT10_ENKUlT_T0_E_clISt17integral_constantIbLb1EES1A_IbLb0EEEEDaS16_S17_EUlS16_E_NS1_11comp_targetILNS1_3genE9ELNS1_11target_archE1100ELNS1_3gpuE3ELNS1_3repE0EEENS1_30default_config_static_selectorELNS0_4arch9wavefront6targetE1EEEvT1_,"axG",@progbits,_ZN7rocprim17ROCPRIM_400000_NS6detail17trampoline_kernelINS0_14default_configENS1_25partition_config_selectorILNS1_17partition_subalgoE1ExNS0_10empty_typeEbEEZZNS1_14partition_implILS5_1ELb0ES3_jN6thrust23THRUST_200600_302600_NS6detail15normal_iteratorINSA_10device_ptrIxEEEEPS6_NSA_18transform_iteratorI7is_evenIxESF_NSA_11use_defaultESK_EENS0_5tupleIJNSA_16discard_iteratorISK_EESF_EEENSM_IJSG_SG_EEES6_PlJS6_EEE10hipError_tPvRmT3_T4_T5_T6_T7_T9_mT8_P12ihipStream_tbDpT10_ENKUlT_T0_E_clISt17integral_constantIbLb1EES1A_IbLb0EEEEDaS16_S17_EUlS16_E_NS1_11comp_targetILNS1_3genE9ELNS1_11target_archE1100ELNS1_3gpuE3ELNS1_3repE0EEENS1_30default_config_static_selectorELNS0_4arch9wavefront6targetE1EEEvT1_,comdat
.Lfunc_end3249:
	.size	_ZN7rocprim17ROCPRIM_400000_NS6detail17trampoline_kernelINS0_14default_configENS1_25partition_config_selectorILNS1_17partition_subalgoE1ExNS0_10empty_typeEbEEZZNS1_14partition_implILS5_1ELb0ES3_jN6thrust23THRUST_200600_302600_NS6detail15normal_iteratorINSA_10device_ptrIxEEEEPS6_NSA_18transform_iteratorI7is_evenIxESF_NSA_11use_defaultESK_EENS0_5tupleIJNSA_16discard_iteratorISK_EESF_EEENSM_IJSG_SG_EEES6_PlJS6_EEE10hipError_tPvRmT3_T4_T5_T6_T7_T9_mT8_P12ihipStream_tbDpT10_ENKUlT_T0_E_clISt17integral_constantIbLb1EES1A_IbLb0EEEEDaS16_S17_EUlS16_E_NS1_11comp_targetILNS1_3genE9ELNS1_11target_archE1100ELNS1_3gpuE3ELNS1_3repE0EEENS1_30default_config_static_selectorELNS0_4arch9wavefront6targetE1EEEvT1_, .Lfunc_end3249-_ZN7rocprim17ROCPRIM_400000_NS6detail17trampoline_kernelINS0_14default_configENS1_25partition_config_selectorILNS1_17partition_subalgoE1ExNS0_10empty_typeEbEEZZNS1_14partition_implILS5_1ELb0ES3_jN6thrust23THRUST_200600_302600_NS6detail15normal_iteratorINSA_10device_ptrIxEEEEPS6_NSA_18transform_iteratorI7is_evenIxESF_NSA_11use_defaultESK_EENS0_5tupleIJNSA_16discard_iteratorISK_EESF_EEENSM_IJSG_SG_EEES6_PlJS6_EEE10hipError_tPvRmT3_T4_T5_T6_T7_T9_mT8_P12ihipStream_tbDpT10_ENKUlT_T0_E_clISt17integral_constantIbLb1EES1A_IbLb0EEEEDaS16_S17_EUlS16_E_NS1_11comp_targetILNS1_3genE9ELNS1_11target_archE1100ELNS1_3gpuE3ELNS1_3repE0EEENS1_30default_config_static_selectorELNS0_4arch9wavefront6targetE1EEEvT1_
                                        ; -- End function
	.section	.AMDGPU.csdata,"",@progbits
; Kernel info:
; codeLenInByte = 0
; NumSgprs: 4
; NumVgprs: 0
; NumAgprs: 0
; TotalNumVgprs: 0
; ScratchSize: 0
; MemoryBound: 0
; FloatMode: 240
; IeeeMode: 1
; LDSByteSize: 0 bytes/workgroup (compile time only)
; SGPRBlocks: 0
; VGPRBlocks: 0
; NumSGPRsForWavesPerEU: 4
; NumVGPRsForWavesPerEU: 1
; AccumOffset: 4
; Occupancy: 8
; WaveLimiterHint : 0
; COMPUTE_PGM_RSRC2:SCRATCH_EN: 0
; COMPUTE_PGM_RSRC2:USER_SGPR: 6
; COMPUTE_PGM_RSRC2:TRAP_HANDLER: 0
; COMPUTE_PGM_RSRC2:TGID_X_EN: 1
; COMPUTE_PGM_RSRC2:TGID_Y_EN: 0
; COMPUTE_PGM_RSRC2:TGID_Z_EN: 0
; COMPUTE_PGM_RSRC2:TIDIG_COMP_CNT: 0
; COMPUTE_PGM_RSRC3_GFX90A:ACCUM_OFFSET: 0
; COMPUTE_PGM_RSRC3_GFX90A:TG_SPLIT: 0
	.section	.text._ZN7rocprim17ROCPRIM_400000_NS6detail17trampoline_kernelINS0_14default_configENS1_25partition_config_selectorILNS1_17partition_subalgoE1ExNS0_10empty_typeEbEEZZNS1_14partition_implILS5_1ELb0ES3_jN6thrust23THRUST_200600_302600_NS6detail15normal_iteratorINSA_10device_ptrIxEEEEPS6_NSA_18transform_iteratorI7is_evenIxESF_NSA_11use_defaultESK_EENS0_5tupleIJNSA_16discard_iteratorISK_EESF_EEENSM_IJSG_SG_EEES6_PlJS6_EEE10hipError_tPvRmT3_T4_T5_T6_T7_T9_mT8_P12ihipStream_tbDpT10_ENKUlT_T0_E_clISt17integral_constantIbLb1EES1A_IbLb0EEEEDaS16_S17_EUlS16_E_NS1_11comp_targetILNS1_3genE8ELNS1_11target_archE1030ELNS1_3gpuE2ELNS1_3repE0EEENS1_30default_config_static_selectorELNS0_4arch9wavefront6targetE1EEEvT1_,"axG",@progbits,_ZN7rocprim17ROCPRIM_400000_NS6detail17trampoline_kernelINS0_14default_configENS1_25partition_config_selectorILNS1_17partition_subalgoE1ExNS0_10empty_typeEbEEZZNS1_14partition_implILS5_1ELb0ES3_jN6thrust23THRUST_200600_302600_NS6detail15normal_iteratorINSA_10device_ptrIxEEEEPS6_NSA_18transform_iteratorI7is_evenIxESF_NSA_11use_defaultESK_EENS0_5tupleIJNSA_16discard_iteratorISK_EESF_EEENSM_IJSG_SG_EEES6_PlJS6_EEE10hipError_tPvRmT3_T4_T5_T6_T7_T9_mT8_P12ihipStream_tbDpT10_ENKUlT_T0_E_clISt17integral_constantIbLb1EES1A_IbLb0EEEEDaS16_S17_EUlS16_E_NS1_11comp_targetILNS1_3genE8ELNS1_11target_archE1030ELNS1_3gpuE2ELNS1_3repE0EEENS1_30default_config_static_selectorELNS0_4arch9wavefront6targetE1EEEvT1_,comdat
	.protected	_ZN7rocprim17ROCPRIM_400000_NS6detail17trampoline_kernelINS0_14default_configENS1_25partition_config_selectorILNS1_17partition_subalgoE1ExNS0_10empty_typeEbEEZZNS1_14partition_implILS5_1ELb0ES3_jN6thrust23THRUST_200600_302600_NS6detail15normal_iteratorINSA_10device_ptrIxEEEEPS6_NSA_18transform_iteratorI7is_evenIxESF_NSA_11use_defaultESK_EENS0_5tupleIJNSA_16discard_iteratorISK_EESF_EEENSM_IJSG_SG_EEES6_PlJS6_EEE10hipError_tPvRmT3_T4_T5_T6_T7_T9_mT8_P12ihipStream_tbDpT10_ENKUlT_T0_E_clISt17integral_constantIbLb1EES1A_IbLb0EEEEDaS16_S17_EUlS16_E_NS1_11comp_targetILNS1_3genE8ELNS1_11target_archE1030ELNS1_3gpuE2ELNS1_3repE0EEENS1_30default_config_static_selectorELNS0_4arch9wavefront6targetE1EEEvT1_ ; -- Begin function _ZN7rocprim17ROCPRIM_400000_NS6detail17trampoline_kernelINS0_14default_configENS1_25partition_config_selectorILNS1_17partition_subalgoE1ExNS0_10empty_typeEbEEZZNS1_14partition_implILS5_1ELb0ES3_jN6thrust23THRUST_200600_302600_NS6detail15normal_iteratorINSA_10device_ptrIxEEEEPS6_NSA_18transform_iteratorI7is_evenIxESF_NSA_11use_defaultESK_EENS0_5tupleIJNSA_16discard_iteratorISK_EESF_EEENSM_IJSG_SG_EEES6_PlJS6_EEE10hipError_tPvRmT3_T4_T5_T6_T7_T9_mT8_P12ihipStream_tbDpT10_ENKUlT_T0_E_clISt17integral_constantIbLb1EES1A_IbLb0EEEEDaS16_S17_EUlS16_E_NS1_11comp_targetILNS1_3genE8ELNS1_11target_archE1030ELNS1_3gpuE2ELNS1_3repE0EEENS1_30default_config_static_selectorELNS0_4arch9wavefront6targetE1EEEvT1_
	.globl	_ZN7rocprim17ROCPRIM_400000_NS6detail17trampoline_kernelINS0_14default_configENS1_25partition_config_selectorILNS1_17partition_subalgoE1ExNS0_10empty_typeEbEEZZNS1_14partition_implILS5_1ELb0ES3_jN6thrust23THRUST_200600_302600_NS6detail15normal_iteratorINSA_10device_ptrIxEEEEPS6_NSA_18transform_iteratorI7is_evenIxESF_NSA_11use_defaultESK_EENS0_5tupleIJNSA_16discard_iteratorISK_EESF_EEENSM_IJSG_SG_EEES6_PlJS6_EEE10hipError_tPvRmT3_T4_T5_T6_T7_T9_mT8_P12ihipStream_tbDpT10_ENKUlT_T0_E_clISt17integral_constantIbLb1EES1A_IbLb0EEEEDaS16_S17_EUlS16_E_NS1_11comp_targetILNS1_3genE8ELNS1_11target_archE1030ELNS1_3gpuE2ELNS1_3repE0EEENS1_30default_config_static_selectorELNS0_4arch9wavefront6targetE1EEEvT1_
	.p2align	8
	.type	_ZN7rocprim17ROCPRIM_400000_NS6detail17trampoline_kernelINS0_14default_configENS1_25partition_config_selectorILNS1_17partition_subalgoE1ExNS0_10empty_typeEbEEZZNS1_14partition_implILS5_1ELb0ES3_jN6thrust23THRUST_200600_302600_NS6detail15normal_iteratorINSA_10device_ptrIxEEEEPS6_NSA_18transform_iteratorI7is_evenIxESF_NSA_11use_defaultESK_EENS0_5tupleIJNSA_16discard_iteratorISK_EESF_EEENSM_IJSG_SG_EEES6_PlJS6_EEE10hipError_tPvRmT3_T4_T5_T6_T7_T9_mT8_P12ihipStream_tbDpT10_ENKUlT_T0_E_clISt17integral_constantIbLb1EES1A_IbLb0EEEEDaS16_S17_EUlS16_E_NS1_11comp_targetILNS1_3genE8ELNS1_11target_archE1030ELNS1_3gpuE2ELNS1_3repE0EEENS1_30default_config_static_selectorELNS0_4arch9wavefront6targetE1EEEvT1_,@function
_ZN7rocprim17ROCPRIM_400000_NS6detail17trampoline_kernelINS0_14default_configENS1_25partition_config_selectorILNS1_17partition_subalgoE1ExNS0_10empty_typeEbEEZZNS1_14partition_implILS5_1ELb0ES3_jN6thrust23THRUST_200600_302600_NS6detail15normal_iteratorINSA_10device_ptrIxEEEEPS6_NSA_18transform_iteratorI7is_evenIxESF_NSA_11use_defaultESK_EENS0_5tupleIJNSA_16discard_iteratorISK_EESF_EEENSM_IJSG_SG_EEES6_PlJS6_EEE10hipError_tPvRmT3_T4_T5_T6_T7_T9_mT8_P12ihipStream_tbDpT10_ENKUlT_T0_E_clISt17integral_constantIbLb1EES1A_IbLb0EEEEDaS16_S17_EUlS16_E_NS1_11comp_targetILNS1_3genE8ELNS1_11target_archE1030ELNS1_3gpuE2ELNS1_3repE0EEENS1_30default_config_static_selectorELNS0_4arch9wavefront6targetE1EEEvT1_: ; @_ZN7rocprim17ROCPRIM_400000_NS6detail17trampoline_kernelINS0_14default_configENS1_25partition_config_selectorILNS1_17partition_subalgoE1ExNS0_10empty_typeEbEEZZNS1_14partition_implILS5_1ELb0ES3_jN6thrust23THRUST_200600_302600_NS6detail15normal_iteratorINSA_10device_ptrIxEEEEPS6_NSA_18transform_iteratorI7is_evenIxESF_NSA_11use_defaultESK_EENS0_5tupleIJNSA_16discard_iteratorISK_EESF_EEENSM_IJSG_SG_EEES6_PlJS6_EEE10hipError_tPvRmT3_T4_T5_T6_T7_T9_mT8_P12ihipStream_tbDpT10_ENKUlT_T0_E_clISt17integral_constantIbLb1EES1A_IbLb0EEEEDaS16_S17_EUlS16_E_NS1_11comp_targetILNS1_3genE8ELNS1_11target_archE1030ELNS1_3gpuE2ELNS1_3repE0EEENS1_30default_config_static_selectorELNS0_4arch9wavefront6targetE1EEEvT1_
; %bb.0:
	.section	.rodata,"a",@progbits
	.p2align	6, 0x0
	.amdhsa_kernel _ZN7rocprim17ROCPRIM_400000_NS6detail17trampoline_kernelINS0_14default_configENS1_25partition_config_selectorILNS1_17partition_subalgoE1ExNS0_10empty_typeEbEEZZNS1_14partition_implILS5_1ELb0ES3_jN6thrust23THRUST_200600_302600_NS6detail15normal_iteratorINSA_10device_ptrIxEEEEPS6_NSA_18transform_iteratorI7is_evenIxESF_NSA_11use_defaultESK_EENS0_5tupleIJNSA_16discard_iteratorISK_EESF_EEENSM_IJSG_SG_EEES6_PlJS6_EEE10hipError_tPvRmT3_T4_T5_T6_T7_T9_mT8_P12ihipStream_tbDpT10_ENKUlT_T0_E_clISt17integral_constantIbLb1EES1A_IbLb0EEEEDaS16_S17_EUlS16_E_NS1_11comp_targetILNS1_3genE8ELNS1_11target_archE1030ELNS1_3gpuE2ELNS1_3repE0EEENS1_30default_config_static_selectorELNS0_4arch9wavefront6targetE1EEEvT1_
		.amdhsa_group_segment_fixed_size 0
		.amdhsa_private_segment_fixed_size 0
		.amdhsa_kernarg_size 136
		.amdhsa_user_sgpr_count 6
		.amdhsa_user_sgpr_private_segment_buffer 1
		.amdhsa_user_sgpr_dispatch_ptr 0
		.amdhsa_user_sgpr_queue_ptr 0
		.amdhsa_user_sgpr_kernarg_segment_ptr 1
		.amdhsa_user_sgpr_dispatch_id 0
		.amdhsa_user_sgpr_flat_scratch_init 0
		.amdhsa_user_sgpr_kernarg_preload_length 0
		.amdhsa_user_sgpr_kernarg_preload_offset 0
		.amdhsa_user_sgpr_private_segment_size 0
		.amdhsa_uses_dynamic_stack 0
		.amdhsa_system_sgpr_private_segment_wavefront_offset 0
		.amdhsa_system_sgpr_workgroup_id_x 1
		.amdhsa_system_sgpr_workgroup_id_y 0
		.amdhsa_system_sgpr_workgroup_id_z 0
		.amdhsa_system_sgpr_workgroup_info 0
		.amdhsa_system_vgpr_workitem_id 0
		.amdhsa_next_free_vgpr 1
		.amdhsa_next_free_sgpr 0
		.amdhsa_accum_offset 4
		.amdhsa_reserve_vcc 0
		.amdhsa_reserve_flat_scratch 0
		.amdhsa_float_round_mode_32 0
		.amdhsa_float_round_mode_16_64 0
		.amdhsa_float_denorm_mode_32 3
		.amdhsa_float_denorm_mode_16_64 3
		.amdhsa_dx10_clamp 1
		.amdhsa_ieee_mode 1
		.amdhsa_fp16_overflow 0
		.amdhsa_tg_split 0
		.amdhsa_exception_fp_ieee_invalid_op 0
		.amdhsa_exception_fp_denorm_src 0
		.amdhsa_exception_fp_ieee_div_zero 0
		.amdhsa_exception_fp_ieee_overflow 0
		.amdhsa_exception_fp_ieee_underflow 0
		.amdhsa_exception_fp_ieee_inexact 0
		.amdhsa_exception_int_div_zero 0
	.end_amdhsa_kernel
	.section	.text._ZN7rocprim17ROCPRIM_400000_NS6detail17trampoline_kernelINS0_14default_configENS1_25partition_config_selectorILNS1_17partition_subalgoE1ExNS0_10empty_typeEbEEZZNS1_14partition_implILS5_1ELb0ES3_jN6thrust23THRUST_200600_302600_NS6detail15normal_iteratorINSA_10device_ptrIxEEEEPS6_NSA_18transform_iteratorI7is_evenIxESF_NSA_11use_defaultESK_EENS0_5tupleIJNSA_16discard_iteratorISK_EESF_EEENSM_IJSG_SG_EEES6_PlJS6_EEE10hipError_tPvRmT3_T4_T5_T6_T7_T9_mT8_P12ihipStream_tbDpT10_ENKUlT_T0_E_clISt17integral_constantIbLb1EES1A_IbLb0EEEEDaS16_S17_EUlS16_E_NS1_11comp_targetILNS1_3genE8ELNS1_11target_archE1030ELNS1_3gpuE2ELNS1_3repE0EEENS1_30default_config_static_selectorELNS0_4arch9wavefront6targetE1EEEvT1_,"axG",@progbits,_ZN7rocprim17ROCPRIM_400000_NS6detail17trampoline_kernelINS0_14default_configENS1_25partition_config_selectorILNS1_17partition_subalgoE1ExNS0_10empty_typeEbEEZZNS1_14partition_implILS5_1ELb0ES3_jN6thrust23THRUST_200600_302600_NS6detail15normal_iteratorINSA_10device_ptrIxEEEEPS6_NSA_18transform_iteratorI7is_evenIxESF_NSA_11use_defaultESK_EENS0_5tupleIJNSA_16discard_iteratorISK_EESF_EEENSM_IJSG_SG_EEES6_PlJS6_EEE10hipError_tPvRmT3_T4_T5_T6_T7_T9_mT8_P12ihipStream_tbDpT10_ENKUlT_T0_E_clISt17integral_constantIbLb1EES1A_IbLb0EEEEDaS16_S17_EUlS16_E_NS1_11comp_targetILNS1_3genE8ELNS1_11target_archE1030ELNS1_3gpuE2ELNS1_3repE0EEENS1_30default_config_static_selectorELNS0_4arch9wavefront6targetE1EEEvT1_,comdat
.Lfunc_end3250:
	.size	_ZN7rocprim17ROCPRIM_400000_NS6detail17trampoline_kernelINS0_14default_configENS1_25partition_config_selectorILNS1_17partition_subalgoE1ExNS0_10empty_typeEbEEZZNS1_14partition_implILS5_1ELb0ES3_jN6thrust23THRUST_200600_302600_NS6detail15normal_iteratorINSA_10device_ptrIxEEEEPS6_NSA_18transform_iteratorI7is_evenIxESF_NSA_11use_defaultESK_EENS0_5tupleIJNSA_16discard_iteratorISK_EESF_EEENSM_IJSG_SG_EEES6_PlJS6_EEE10hipError_tPvRmT3_T4_T5_T6_T7_T9_mT8_P12ihipStream_tbDpT10_ENKUlT_T0_E_clISt17integral_constantIbLb1EES1A_IbLb0EEEEDaS16_S17_EUlS16_E_NS1_11comp_targetILNS1_3genE8ELNS1_11target_archE1030ELNS1_3gpuE2ELNS1_3repE0EEENS1_30default_config_static_selectorELNS0_4arch9wavefront6targetE1EEEvT1_, .Lfunc_end3250-_ZN7rocprim17ROCPRIM_400000_NS6detail17trampoline_kernelINS0_14default_configENS1_25partition_config_selectorILNS1_17partition_subalgoE1ExNS0_10empty_typeEbEEZZNS1_14partition_implILS5_1ELb0ES3_jN6thrust23THRUST_200600_302600_NS6detail15normal_iteratorINSA_10device_ptrIxEEEEPS6_NSA_18transform_iteratorI7is_evenIxESF_NSA_11use_defaultESK_EENS0_5tupleIJNSA_16discard_iteratorISK_EESF_EEENSM_IJSG_SG_EEES6_PlJS6_EEE10hipError_tPvRmT3_T4_T5_T6_T7_T9_mT8_P12ihipStream_tbDpT10_ENKUlT_T0_E_clISt17integral_constantIbLb1EES1A_IbLb0EEEEDaS16_S17_EUlS16_E_NS1_11comp_targetILNS1_3genE8ELNS1_11target_archE1030ELNS1_3gpuE2ELNS1_3repE0EEENS1_30default_config_static_selectorELNS0_4arch9wavefront6targetE1EEEvT1_
                                        ; -- End function
	.section	.AMDGPU.csdata,"",@progbits
; Kernel info:
; codeLenInByte = 0
; NumSgprs: 4
; NumVgprs: 0
; NumAgprs: 0
; TotalNumVgprs: 0
; ScratchSize: 0
; MemoryBound: 0
; FloatMode: 240
; IeeeMode: 1
; LDSByteSize: 0 bytes/workgroup (compile time only)
; SGPRBlocks: 0
; VGPRBlocks: 0
; NumSGPRsForWavesPerEU: 4
; NumVGPRsForWavesPerEU: 1
; AccumOffset: 4
; Occupancy: 8
; WaveLimiterHint : 0
; COMPUTE_PGM_RSRC2:SCRATCH_EN: 0
; COMPUTE_PGM_RSRC2:USER_SGPR: 6
; COMPUTE_PGM_RSRC2:TRAP_HANDLER: 0
; COMPUTE_PGM_RSRC2:TGID_X_EN: 1
; COMPUTE_PGM_RSRC2:TGID_Y_EN: 0
; COMPUTE_PGM_RSRC2:TGID_Z_EN: 0
; COMPUTE_PGM_RSRC2:TIDIG_COMP_CNT: 0
; COMPUTE_PGM_RSRC3_GFX90A:ACCUM_OFFSET: 0
; COMPUTE_PGM_RSRC3_GFX90A:TG_SPLIT: 0
	.section	.text._ZN7rocprim17ROCPRIM_400000_NS6detail17trampoline_kernelINS0_14default_configENS1_25partition_config_selectorILNS1_17partition_subalgoE1ExNS0_10empty_typeEbEEZZNS1_14partition_implILS5_1ELb0ES3_jN6thrust23THRUST_200600_302600_NS6detail15normal_iteratorINSA_10device_ptrIxEEEEPS6_NSA_18transform_iteratorI7is_evenIxESF_NSA_11use_defaultESK_EENS0_5tupleIJNSA_16discard_iteratorISK_EESF_EEENSM_IJSG_SG_EEES6_PlJS6_EEE10hipError_tPvRmT3_T4_T5_T6_T7_T9_mT8_P12ihipStream_tbDpT10_ENKUlT_T0_E_clISt17integral_constantIbLb0EES1A_IbLb1EEEEDaS16_S17_EUlS16_E_NS1_11comp_targetILNS1_3genE0ELNS1_11target_archE4294967295ELNS1_3gpuE0ELNS1_3repE0EEENS1_30default_config_static_selectorELNS0_4arch9wavefront6targetE1EEEvT1_,"axG",@progbits,_ZN7rocprim17ROCPRIM_400000_NS6detail17trampoline_kernelINS0_14default_configENS1_25partition_config_selectorILNS1_17partition_subalgoE1ExNS0_10empty_typeEbEEZZNS1_14partition_implILS5_1ELb0ES3_jN6thrust23THRUST_200600_302600_NS6detail15normal_iteratorINSA_10device_ptrIxEEEEPS6_NSA_18transform_iteratorI7is_evenIxESF_NSA_11use_defaultESK_EENS0_5tupleIJNSA_16discard_iteratorISK_EESF_EEENSM_IJSG_SG_EEES6_PlJS6_EEE10hipError_tPvRmT3_T4_T5_T6_T7_T9_mT8_P12ihipStream_tbDpT10_ENKUlT_T0_E_clISt17integral_constantIbLb0EES1A_IbLb1EEEEDaS16_S17_EUlS16_E_NS1_11comp_targetILNS1_3genE0ELNS1_11target_archE4294967295ELNS1_3gpuE0ELNS1_3repE0EEENS1_30default_config_static_selectorELNS0_4arch9wavefront6targetE1EEEvT1_,comdat
	.protected	_ZN7rocprim17ROCPRIM_400000_NS6detail17trampoline_kernelINS0_14default_configENS1_25partition_config_selectorILNS1_17partition_subalgoE1ExNS0_10empty_typeEbEEZZNS1_14partition_implILS5_1ELb0ES3_jN6thrust23THRUST_200600_302600_NS6detail15normal_iteratorINSA_10device_ptrIxEEEEPS6_NSA_18transform_iteratorI7is_evenIxESF_NSA_11use_defaultESK_EENS0_5tupleIJNSA_16discard_iteratorISK_EESF_EEENSM_IJSG_SG_EEES6_PlJS6_EEE10hipError_tPvRmT3_T4_T5_T6_T7_T9_mT8_P12ihipStream_tbDpT10_ENKUlT_T0_E_clISt17integral_constantIbLb0EES1A_IbLb1EEEEDaS16_S17_EUlS16_E_NS1_11comp_targetILNS1_3genE0ELNS1_11target_archE4294967295ELNS1_3gpuE0ELNS1_3repE0EEENS1_30default_config_static_selectorELNS0_4arch9wavefront6targetE1EEEvT1_ ; -- Begin function _ZN7rocprim17ROCPRIM_400000_NS6detail17trampoline_kernelINS0_14default_configENS1_25partition_config_selectorILNS1_17partition_subalgoE1ExNS0_10empty_typeEbEEZZNS1_14partition_implILS5_1ELb0ES3_jN6thrust23THRUST_200600_302600_NS6detail15normal_iteratorINSA_10device_ptrIxEEEEPS6_NSA_18transform_iteratorI7is_evenIxESF_NSA_11use_defaultESK_EENS0_5tupleIJNSA_16discard_iteratorISK_EESF_EEENSM_IJSG_SG_EEES6_PlJS6_EEE10hipError_tPvRmT3_T4_T5_T6_T7_T9_mT8_P12ihipStream_tbDpT10_ENKUlT_T0_E_clISt17integral_constantIbLb0EES1A_IbLb1EEEEDaS16_S17_EUlS16_E_NS1_11comp_targetILNS1_3genE0ELNS1_11target_archE4294967295ELNS1_3gpuE0ELNS1_3repE0EEENS1_30default_config_static_selectorELNS0_4arch9wavefront6targetE1EEEvT1_
	.globl	_ZN7rocprim17ROCPRIM_400000_NS6detail17trampoline_kernelINS0_14default_configENS1_25partition_config_selectorILNS1_17partition_subalgoE1ExNS0_10empty_typeEbEEZZNS1_14partition_implILS5_1ELb0ES3_jN6thrust23THRUST_200600_302600_NS6detail15normal_iteratorINSA_10device_ptrIxEEEEPS6_NSA_18transform_iteratorI7is_evenIxESF_NSA_11use_defaultESK_EENS0_5tupleIJNSA_16discard_iteratorISK_EESF_EEENSM_IJSG_SG_EEES6_PlJS6_EEE10hipError_tPvRmT3_T4_T5_T6_T7_T9_mT8_P12ihipStream_tbDpT10_ENKUlT_T0_E_clISt17integral_constantIbLb0EES1A_IbLb1EEEEDaS16_S17_EUlS16_E_NS1_11comp_targetILNS1_3genE0ELNS1_11target_archE4294967295ELNS1_3gpuE0ELNS1_3repE0EEENS1_30default_config_static_selectorELNS0_4arch9wavefront6targetE1EEEvT1_
	.p2align	8
	.type	_ZN7rocprim17ROCPRIM_400000_NS6detail17trampoline_kernelINS0_14default_configENS1_25partition_config_selectorILNS1_17partition_subalgoE1ExNS0_10empty_typeEbEEZZNS1_14partition_implILS5_1ELb0ES3_jN6thrust23THRUST_200600_302600_NS6detail15normal_iteratorINSA_10device_ptrIxEEEEPS6_NSA_18transform_iteratorI7is_evenIxESF_NSA_11use_defaultESK_EENS0_5tupleIJNSA_16discard_iteratorISK_EESF_EEENSM_IJSG_SG_EEES6_PlJS6_EEE10hipError_tPvRmT3_T4_T5_T6_T7_T9_mT8_P12ihipStream_tbDpT10_ENKUlT_T0_E_clISt17integral_constantIbLb0EES1A_IbLb1EEEEDaS16_S17_EUlS16_E_NS1_11comp_targetILNS1_3genE0ELNS1_11target_archE4294967295ELNS1_3gpuE0ELNS1_3repE0EEENS1_30default_config_static_selectorELNS0_4arch9wavefront6targetE1EEEvT1_,@function
_ZN7rocprim17ROCPRIM_400000_NS6detail17trampoline_kernelINS0_14default_configENS1_25partition_config_selectorILNS1_17partition_subalgoE1ExNS0_10empty_typeEbEEZZNS1_14partition_implILS5_1ELb0ES3_jN6thrust23THRUST_200600_302600_NS6detail15normal_iteratorINSA_10device_ptrIxEEEEPS6_NSA_18transform_iteratorI7is_evenIxESF_NSA_11use_defaultESK_EENS0_5tupleIJNSA_16discard_iteratorISK_EESF_EEENSM_IJSG_SG_EEES6_PlJS6_EEE10hipError_tPvRmT3_T4_T5_T6_T7_T9_mT8_P12ihipStream_tbDpT10_ENKUlT_T0_E_clISt17integral_constantIbLb0EES1A_IbLb1EEEEDaS16_S17_EUlS16_E_NS1_11comp_targetILNS1_3genE0ELNS1_11target_archE4294967295ELNS1_3gpuE0ELNS1_3repE0EEENS1_30default_config_static_selectorELNS0_4arch9wavefront6targetE1EEEvT1_: ; @_ZN7rocprim17ROCPRIM_400000_NS6detail17trampoline_kernelINS0_14default_configENS1_25partition_config_selectorILNS1_17partition_subalgoE1ExNS0_10empty_typeEbEEZZNS1_14partition_implILS5_1ELb0ES3_jN6thrust23THRUST_200600_302600_NS6detail15normal_iteratorINSA_10device_ptrIxEEEEPS6_NSA_18transform_iteratorI7is_evenIxESF_NSA_11use_defaultESK_EENS0_5tupleIJNSA_16discard_iteratorISK_EESF_EEENSM_IJSG_SG_EEES6_PlJS6_EEE10hipError_tPvRmT3_T4_T5_T6_T7_T9_mT8_P12ihipStream_tbDpT10_ENKUlT_T0_E_clISt17integral_constantIbLb0EES1A_IbLb1EEEEDaS16_S17_EUlS16_E_NS1_11comp_targetILNS1_3genE0ELNS1_11target_archE4294967295ELNS1_3gpuE0ELNS1_3repE0EEENS1_30default_config_static_selectorELNS0_4arch9wavefront6targetE1EEEvT1_
; %bb.0:
	.section	.rodata,"a",@progbits
	.p2align	6, 0x0
	.amdhsa_kernel _ZN7rocprim17ROCPRIM_400000_NS6detail17trampoline_kernelINS0_14default_configENS1_25partition_config_selectorILNS1_17partition_subalgoE1ExNS0_10empty_typeEbEEZZNS1_14partition_implILS5_1ELb0ES3_jN6thrust23THRUST_200600_302600_NS6detail15normal_iteratorINSA_10device_ptrIxEEEEPS6_NSA_18transform_iteratorI7is_evenIxESF_NSA_11use_defaultESK_EENS0_5tupleIJNSA_16discard_iteratorISK_EESF_EEENSM_IJSG_SG_EEES6_PlJS6_EEE10hipError_tPvRmT3_T4_T5_T6_T7_T9_mT8_P12ihipStream_tbDpT10_ENKUlT_T0_E_clISt17integral_constantIbLb0EES1A_IbLb1EEEEDaS16_S17_EUlS16_E_NS1_11comp_targetILNS1_3genE0ELNS1_11target_archE4294967295ELNS1_3gpuE0ELNS1_3repE0EEENS1_30default_config_static_selectorELNS0_4arch9wavefront6targetE1EEEvT1_
		.amdhsa_group_segment_fixed_size 0
		.amdhsa_private_segment_fixed_size 0
		.amdhsa_kernarg_size 152
		.amdhsa_user_sgpr_count 6
		.amdhsa_user_sgpr_private_segment_buffer 1
		.amdhsa_user_sgpr_dispatch_ptr 0
		.amdhsa_user_sgpr_queue_ptr 0
		.amdhsa_user_sgpr_kernarg_segment_ptr 1
		.amdhsa_user_sgpr_dispatch_id 0
		.amdhsa_user_sgpr_flat_scratch_init 0
		.amdhsa_user_sgpr_kernarg_preload_length 0
		.amdhsa_user_sgpr_kernarg_preload_offset 0
		.amdhsa_user_sgpr_private_segment_size 0
		.amdhsa_uses_dynamic_stack 0
		.amdhsa_system_sgpr_private_segment_wavefront_offset 0
		.amdhsa_system_sgpr_workgroup_id_x 1
		.amdhsa_system_sgpr_workgroup_id_y 0
		.amdhsa_system_sgpr_workgroup_id_z 0
		.amdhsa_system_sgpr_workgroup_info 0
		.amdhsa_system_vgpr_workitem_id 0
		.amdhsa_next_free_vgpr 1
		.amdhsa_next_free_sgpr 0
		.amdhsa_accum_offset 4
		.amdhsa_reserve_vcc 0
		.amdhsa_reserve_flat_scratch 0
		.amdhsa_float_round_mode_32 0
		.amdhsa_float_round_mode_16_64 0
		.amdhsa_float_denorm_mode_32 3
		.amdhsa_float_denorm_mode_16_64 3
		.amdhsa_dx10_clamp 1
		.amdhsa_ieee_mode 1
		.amdhsa_fp16_overflow 0
		.amdhsa_tg_split 0
		.amdhsa_exception_fp_ieee_invalid_op 0
		.amdhsa_exception_fp_denorm_src 0
		.amdhsa_exception_fp_ieee_div_zero 0
		.amdhsa_exception_fp_ieee_overflow 0
		.amdhsa_exception_fp_ieee_underflow 0
		.amdhsa_exception_fp_ieee_inexact 0
		.amdhsa_exception_int_div_zero 0
	.end_amdhsa_kernel
	.section	.text._ZN7rocprim17ROCPRIM_400000_NS6detail17trampoline_kernelINS0_14default_configENS1_25partition_config_selectorILNS1_17partition_subalgoE1ExNS0_10empty_typeEbEEZZNS1_14partition_implILS5_1ELb0ES3_jN6thrust23THRUST_200600_302600_NS6detail15normal_iteratorINSA_10device_ptrIxEEEEPS6_NSA_18transform_iteratorI7is_evenIxESF_NSA_11use_defaultESK_EENS0_5tupleIJNSA_16discard_iteratorISK_EESF_EEENSM_IJSG_SG_EEES6_PlJS6_EEE10hipError_tPvRmT3_T4_T5_T6_T7_T9_mT8_P12ihipStream_tbDpT10_ENKUlT_T0_E_clISt17integral_constantIbLb0EES1A_IbLb1EEEEDaS16_S17_EUlS16_E_NS1_11comp_targetILNS1_3genE0ELNS1_11target_archE4294967295ELNS1_3gpuE0ELNS1_3repE0EEENS1_30default_config_static_selectorELNS0_4arch9wavefront6targetE1EEEvT1_,"axG",@progbits,_ZN7rocprim17ROCPRIM_400000_NS6detail17trampoline_kernelINS0_14default_configENS1_25partition_config_selectorILNS1_17partition_subalgoE1ExNS0_10empty_typeEbEEZZNS1_14partition_implILS5_1ELb0ES3_jN6thrust23THRUST_200600_302600_NS6detail15normal_iteratorINSA_10device_ptrIxEEEEPS6_NSA_18transform_iteratorI7is_evenIxESF_NSA_11use_defaultESK_EENS0_5tupleIJNSA_16discard_iteratorISK_EESF_EEENSM_IJSG_SG_EEES6_PlJS6_EEE10hipError_tPvRmT3_T4_T5_T6_T7_T9_mT8_P12ihipStream_tbDpT10_ENKUlT_T0_E_clISt17integral_constantIbLb0EES1A_IbLb1EEEEDaS16_S17_EUlS16_E_NS1_11comp_targetILNS1_3genE0ELNS1_11target_archE4294967295ELNS1_3gpuE0ELNS1_3repE0EEENS1_30default_config_static_selectorELNS0_4arch9wavefront6targetE1EEEvT1_,comdat
.Lfunc_end3251:
	.size	_ZN7rocprim17ROCPRIM_400000_NS6detail17trampoline_kernelINS0_14default_configENS1_25partition_config_selectorILNS1_17partition_subalgoE1ExNS0_10empty_typeEbEEZZNS1_14partition_implILS5_1ELb0ES3_jN6thrust23THRUST_200600_302600_NS6detail15normal_iteratorINSA_10device_ptrIxEEEEPS6_NSA_18transform_iteratorI7is_evenIxESF_NSA_11use_defaultESK_EENS0_5tupleIJNSA_16discard_iteratorISK_EESF_EEENSM_IJSG_SG_EEES6_PlJS6_EEE10hipError_tPvRmT3_T4_T5_T6_T7_T9_mT8_P12ihipStream_tbDpT10_ENKUlT_T0_E_clISt17integral_constantIbLb0EES1A_IbLb1EEEEDaS16_S17_EUlS16_E_NS1_11comp_targetILNS1_3genE0ELNS1_11target_archE4294967295ELNS1_3gpuE0ELNS1_3repE0EEENS1_30default_config_static_selectorELNS0_4arch9wavefront6targetE1EEEvT1_, .Lfunc_end3251-_ZN7rocprim17ROCPRIM_400000_NS6detail17trampoline_kernelINS0_14default_configENS1_25partition_config_selectorILNS1_17partition_subalgoE1ExNS0_10empty_typeEbEEZZNS1_14partition_implILS5_1ELb0ES3_jN6thrust23THRUST_200600_302600_NS6detail15normal_iteratorINSA_10device_ptrIxEEEEPS6_NSA_18transform_iteratorI7is_evenIxESF_NSA_11use_defaultESK_EENS0_5tupleIJNSA_16discard_iteratorISK_EESF_EEENSM_IJSG_SG_EEES6_PlJS6_EEE10hipError_tPvRmT3_T4_T5_T6_T7_T9_mT8_P12ihipStream_tbDpT10_ENKUlT_T0_E_clISt17integral_constantIbLb0EES1A_IbLb1EEEEDaS16_S17_EUlS16_E_NS1_11comp_targetILNS1_3genE0ELNS1_11target_archE4294967295ELNS1_3gpuE0ELNS1_3repE0EEENS1_30default_config_static_selectorELNS0_4arch9wavefront6targetE1EEEvT1_
                                        ; -- End function
	.section	.AMDGPU.csdata,"",@progbits
; Kernel info:
; codeLenInByte = 0
; NumSgprs: 4
; NumVgprs: 0
; NumAgprs: 0
; TotalNumVgprs: 0
; ScratchSize: 0
; MemoryBound: 0
; FloatMode: 240
; IeeeMode: 1
; LDSByteSize: 0 bytes/workgroup (compile time only)
; SGPRBlocks: 0
; VGPRBlocks: 0
; NumSGPRsForWavesPerEU: 4
; NumVGPRsForWavesPerEU: 1
; AccumOffset: 4
; Occupancy: 8
; WaveLimiterHint : 0
; COMPUTE_PGM_RSRC2:SCRATCH_EN: 0
; COMPUTE_PGM_RSRC2:USER_SGPR: 6
; COMPUTE_PGM_RSRC2:TRAP_HANDLER: 0
; COMPUTE_PGM_RSRC2:TGID_X_EN: 1
; COMPUTE_PGM_RSRC2:TGID_Y_EN: 0
; COMPUTE_PGM_RSRC2:TGID_Z_EN: 0
; COMPUTE_PGM_RSRC2:TIDIG_COMP_CNT: 0
; COMPUTE_PGM_RSRC3_GFX90A:ACCUM_OFFSET: 0
; COMPUTE_PGM_RSRC3_GFX90A:TG_SPLIT: 0
	.section	.text._ZN7rocprim17ROCPRIM_400000_NS6detail17trampoline_kernelINS0_14default_configENS1_25partition_config_selectorILNS1_17partition_subalgoE1ExNS0_10empty_typeEbEEZZNS1_14partition_implILS5_1ELb0ES3_jN6thrust23THRUST_200600_302600_NS6detail15normal_iteratorINSA_10device_ptrIxEEEEPS6_NSA_18transform_iteratorI7is_evenIxESF_NSA_11use_defaultESK_EENS0_5tupleIJNSA_16discard_iteratorISK_EESF_EEENSM_IJSG_SG_EEES6_PlJS6_EEE10hipError_tPvRmT3_T4_T5_T6_T7_T9_mT8_P12ihipStream_tbDpT10_ENKUlT_T0_E_clISt17integral_constantIbLb0EES1A_IbLb1EEEEDaS16_S17_EUlS16_E_NS1_11comp_targetILNS1_3genE5ELNS1_11target_archE942ELNS1_3gpuE9ELNS1_3repE0EEENS1_30default_config_static_selectorELNS0_4arch9wavefront6targetE1EEEvT1_,"axG",@progbits,_ZN7rocprim17ROCPRIM_400000_NS6detail17trampoline_kernelINS0_14default_configENS1_25partition_config_selectorILNS1_17partition_subalgoE1ExNS0_10empty_typeEbEEZZNS1_14partition_implILS5_1ELb0ES3_jN6thrust23THRUST_200600_302600_NS6detail15normal_iteratorINSA_10device_ptrIxEEEEPS6_NSA_18transform_iteratorI7is_evenIxESF_NSA_11use_defaultESK_EENS0_5tupleIJNSA_16discard_iteratorISK_EESF_EEENSM_IJSG_SG_EEES6_PlJS6_EEE10hipError_tPvRmT3_T4_T5_T6_T7_T9_mT8_P12ihipStream_tbDpT10_ENKUlT_T0_E_clISt17integral_constantIbLb0EES1A_IbLb1EEEEDaS16_S17_EUlS16_E_NS1_11comp_targetILNS1_3genE5ELNS1_11target_archE942ELNS1_3gpuE9ELNS1_3repE0EEENS1_30default_config_static_selectorELNS0_4arch9wavefront6targetE1EEEvT1_,comdat
	.protected	_ZN7rocprim17ROCPRIM_400000_NS6detail17trampoline_kernelINS0_14default_configENS1_25partition_config_selectorILNS1_17partition_subalgoE1ExNS0_10empty_typeEbEEZZNS1_14partition_implILS5_1ELb0ES3_jN6thrust23THRUST_200600_302600_NS6detail15normal_iteratorINSA_10device_ptrIxEEEEPS6_NSA_18transform_iteratorI7is_evenIxESF_NSA_11use_defaultESK_EENS0_5tupleIJNSA_16discard_iteratorISK_EESF_EEENSM_IJSG_SG_EEES6_PlJS6_EEE10hipError_tPvRmT3_T4_T5_T6_T7_T9_mT8_P12ihipStream_tbDpT10_ENKUlT_T0_E_clISt17integral_constantIbLb0EES1A_IbLb1EEEEDaS16_S17_EUlS16_E_NS1_11comp_targetILNS1_3genE5ELNS1_11target_archE942ELNS1_3gpuE9ELNS1_3repE0EEENS1_30default_config_static_selectorELNS0_4arch9wavefront6targetE1EEEvT1_ ; -- Begin function _ZN7rocprim17ROCPRIM_400000_NS6detail17trampoline_kernelINS0_14default_configENS1_25partition_config_selectorILNS1_17partition_subalgoE1ExNS0_10empty_typeEbEEZZNS1_14partition_implILS5_1ELb0ES3_jN6thrust23THRUST_200600_302600_NS6detail15normal_iteratorINSA_10device_ptrIxEEEEPS6_NSA_18transform_iteratorI7is_evenIxESF_NSA_11use_defaultESK_EENS0_5tupleIJNSA_16discard_iteratorISK_EESF_EEENSM_IJSG_SG_EEES6_PlJS6_EEE10hipError_tPvRmT3_T4_T5_T6_T7_T9_mT8_P12ihipStream_tbDpT10_ENKUlT_T0_E_clISt17integral_constantIbLb0EES1A_IbLb1EEEEDaS16_S17_EUlS16_E_NS1_11comp_targetILNS1_3genE5ELNS1_11target_archE942ELNS1_3gpuE9ELNS1_3repE0EEENS1_30default_config_static_selectorELNS0_4arch9wavefront6targetE1EEEvT1_
	.globl	_ZN7rocprim17ROCPRIM_400000_NS6detail17trampoline_kernelINS0_14default_configENS1_25partition_config_selectorILNS1_17partition_subalgoE1ExNS0_10empty_typeEbEEZZNS1_14partition_implILS5_1ELb0ES3_jN6thrust23THRUST_200600_302600_NS6detail15normal_iteratorINSA_10device_ptrIxEEEEPS6_NSA_18transform_iteratorI7is_evenIxESF_NSA_11use_defaultESK_EENS0_5tupleIJNSA_16discard_iteratorISK_EESF_EEENSM_IJSG_SG_EEES6_PlJS6_EEE10hipError_tPvRmT3_T4_T5_T6_T7_T9_mT8_P12ihipStream_tbDpT10_ENKUlT_T0_E_clISt17integral_constantIbLb0EES1A_IbLb1EEEEDaS16_S17_EUlS16_E_NS1_11comp_targetILNS1_3genE5ELNS1_11target_archE942ELNS1_3gpuE9ELNS1_3repE0EEENS1_30default_config_static_selectorELNS0_4arch9wavefront6targetE1EEEvT1_
	.p2align	8
	.type	_ZN7rocprim17ROCPRIM_400000_NS6detail17trampoline_kernelINS0_14default_configENS1_25partition_config_selectorILNS1_17partition_subalgoE1ExNS0_10empty_typeEbEEZZNS1_14partition_implILS5_1ELb0ES3_jN6thrust23THRUST_200600_302600_NS6detail15normal_iteratorINSA_10device_ptrIxEEEEPS6_NSA_18transform_iteratorI7is_evenIxESF_NSA_11use_defaultESK_EENS0_5tupleIJNSA_16discard_iteratorISK_EESF_EEENSM_IJSG_SG_EEES6_PlJS6_EEE10hipError_tPvRmT3_T4_T5_T6_T7_T9_mT8_P12ihipStream_tbDpT10_ENKUlT_T0_E_clISt17integral_constantIbLb0EES1A_IbLb1EEEEDaS16_S17_EUlS16_E_NS1_11comp_targetILNS1_3genE5ELNS1_11target_archE942ELNS1_3gpuE9ELNS1_3repE0EEENS1_30default_config_static_selectorELNS0_4arch9wavefront6targetE1EEEvT1_,@function
_ZN7rocprim17ROCPRIM_400000_NS6detail17trampoline_kernelINS0_14default_configENS1_25partition_config_selectorILNS1_17partition_subalgoE1ExNS0_10empty_typeEbEEZZNS1_14partition_implILS5_1ELb0ES3_jN6thrust23THRUST_200600_302600_NS6detail15normal_iteratorINSA_10device_ptrIxEEEEPS6_NSA_18transform_iteratorI7is_evenIxESF_NSA_11use_defaultESK_EENS0_5tupleIJNSA_16discard_iteratorISK_EESF_EEENSM_IJSG_SG_EEES6_PlJS6_EEE10hipError_tPvRmT3_T4_T5_T6_T7_T9_mT8_P12ihipStream_tbDpT10_ENKUlT_T0_E_clISt17integral_constantIbLb0EES1A_IbLb1EEEEDaS16_S17_EUlS16_E_NS1_11comp_targetILNS1_3genE5ELNS1_11target_archE942ELNS1_3gpuE9ELNS1_3repE0EEENS1_30default_config_static_selectorELNS0_4arch9wavefront6targetE1EEEvT1_: ; @_ZN7rocprim17ROCPRIM_400000_NS6detail17trampoline_kernelINS0_14default_configENS1_25partition_config_selectorILNS1_17partition_subalgoE1ExNS0_10empty_typeEbEEZZNS1_14partition_implILS5_1ELb0ES3_jN6thrust23THRUST_200600_302600_NS6detail15normal_iteratorINSA_10device_ptrIxEEEEPS6_NSA_18transform_iteratorI7is_evenIxESF_NSA_11use_defaultESK_EENS0_5tupleIJNSA_16discard_iteratorISK_EESF_EEENSM_IJSG_SG_EEES6_PlJS6_EEE10hipError_tPvRmT3_T4_T5_T6_T7_T9_mT8_P12ihipStream_tbDpT10_ENKUlT_T0_E_clISt17integral_constantIbLb0EES1A_IbLb1EEEEDaS16_S17_EUlS16_E_NS1_11comp_targetILNS1_3genE5ELNS1_11target_archE942ELNS1_3gpuE9ELNS1_3repE0EEENS1_30default_config_static_selectorELNS0_4arch9wavefront6targetE1EEEvT1_
; %bb.0:
	.section	.rodata,"a",@progbits
	.p2align	6, 0x0
	.amdhsa_kernel _ZN7rocprim17ROCPRIM_400000_NS6detail17trampoline_kernelINS0_14default_configENS1_25partition_config_selectorILNS1_17partition_subalgoE1ExNS0_10empty_typeEbEEZZNS1_14partition_implILS5_1ELb0ES3_jN6thrust23THRUST_200600_302600_NS6detail15normal_iteratorINSA_10device_ptrIxEEEEPS6_NSA_18transform_iteratorI7is_evenIxESF_NSA_11use_defaultESK_EENS0_5tupleIJNSA_16discard_iteratorISK_EESF_EEENSM_IJSG_SG_EEES6_PlJS6_EEE10hipError_tPvRmT3_T4_T5_T6_T7_T9_mT8_P12ihipStream_tbDpT10_ENKUlT_T0_E_clISt17integral_constantIbLb0EES1A_IbLb1EEEEDaS16_S17_EUlS16_E_NS1_11comp_targetILNS1_3genE5ELNS1_11target_archE942ELNS1_3gpuE9ELNS1_3repE0EEENS1_30default_config_static_selectorELNS0_4arch9wavefront6targetE1EEEvT1_
		.amdhsa_group_segment_fixed_size 0
		.amdhsa_private_segment_fixed_size 0
		.amdhsa_kernarg_size 152
		.amdhsa_user_sgpr_count 6
		.amdhsa_user_sgpr_private_segment_buffer 1
		.amdhsa_user_sgpr_dispatch_ptr 0
		.amdhsa_user_sgpr_queue_ptr 0
		.amdhsa_user_sgpr_kernarg_segment_ptr 1
		.amdhsa_user_sgpr_dispatch_id 0
		.amdhsa_user_sgpr_flat_scratch_init 0
		.amdhsa_user_sgpr_kernarg_preload_length 0
		.amdhsa_user_sgpr_kernarg_preload_offset 0
		.amdhsa_user_sgpr_private_segment_size 0
		.amdhsa_uses_dynamic_stack 0
		.amdhsa_system_sgpr_private_segment_wavefront_offset 0
		.amdhsa_system_sgpr_workgroup_id_x 1
		.amdhsa_system_sgpr_workgroup_id_y 0
		.amdhsa_system_sgpr_workgroup_id_z 0
		.amdhsa_system_sgpr_workgroup_info 0
		.amdhsa_system_vgpr_workitem_id 0
		.amdhsa_next_free_vgpr 1
		.amdhsa_next_free_sgpr 0
		.amdhsa_accum_offset 4
		.amdhsa_reserve_vcc 0
		.amdhsa_reserve_flat_scratch 0
		.amdhsa_float_round_mode_32 0
		.amdhsa_float_round_mode_16_64 0
		.amdhsa_float_denorm_mode_32 3
		.amdhsa_float_denorm_mode_16_64 3
		.amdhsa_dx10_clamp 1
		.amdhsa_ieee_mode 1
		.amdhsa_fp16_overflow 0
		.amdhsa_tg_split 0
		.amdhsa_exception_fp_ieee_invalid_op 0
		.amdhsa_exception_fp_denorm_src 0
		.amdhsa_exception_fp_ieee_div_zero 0
		.amdhsa_exception_fp_ieee_overflow 0
		.amdhsa_exception_fp_ieee_underflow 0
		.amdhsa_exception_fp_ieee_inexact 0
		.amdhsa_exception_int_div_zero 0
	.end_amdhsa_kernel
	.section	.text._ZN7rocprim17ROCPRIM_400000_NS6detail17trampoline_kernelINS0_14default_configENS1_25partition_config_selectorILNS1_17partition_subalgoE1ExNS0_10empty_typeEbEEZZNS1_14partition_implILS5_1ELb0ES3_jN6thrust23THRUST_200600_302600_NS6detail15normal_iteratorINSA_10device_ptrIxEEEEPS6_NSA_18transform_iteratorI7is_evenIxESF_NSA_11use_defaultESK_EENS0_5tupleIJNSA_16discard_iteratorISK_EESF_EEENSM_IJSG_SG_EEES6_PlJS6_EEE10hipError_tPvRmT3_T4_T5_T6_T7_T9_mT8_P12ihipStream_tbDpT10_ENKUlT_T0_E_clISt17integral_constantIbLb0EES1A_IbLb1EEEEDaS16_S17_EUlS16_E_NS1_11comp_targetILNS1_3genE5ELNS1_11target_archE942ELNS1_3gpuE9ELNS1_3repE0EEENS1_30default_config_static_selectorELNS0_4arch9wavefront6targetE1EEEvT1_,"axG",@progbits,_ZN7rocprim17ROCPRIM_400000_NS6detail17trampoline_kernelINS0_14default_configENS1_25partition_config_selectorILNS1_17partition_subalgoE1ExNS0_10empty_typeEbEEZZNS1_14partition_implILS5_1ELb0ES3_jN6thrust23THRUST_200600_302600_NS6detail15normal_iteratorINSA_10device_ptrIxEEEEPS6_NSA_18transform_iteratorI7is_evenIxESF_NSA_11use_defaultESK_EENS0_5tupleIJNSA_16discard_iteratorISK_EESF_EEENSM_IJSG_SG_EEES6_PlJS6_EEE10hipError_tPvRmT3_T4_T5_T6_T7_T9_mT8_P12ihipStream_tbDpT10_ENKUlT_T0_E_clISt17integral_constantIbLb0EES1A_IbLb1EEEEDaS16_S17_EUlS16_E_NS1_11comp_targetILNS1_3genE5ELNS1_11target_archE942ELNS1_3gpuE9ELNS1_3repE0EEENS1_30default_config_static_selectorELNS0_4arch9wavefront6targetE1EEEvT1_,comdat
.Lfunc_end3252:
	.size	_ZN7rocprim17ROCPRIM_400000_NS6detail17trampoline_kernelINS0_14default_configENS1_25partition_config_selectorILNS1_17partition_subalgoE1ExNS0_10empty_typeEbEEZZNS1_14partition_implILS5_1ELb0ES3_jN6thrust23THRUST_200600_302600_NS6detail15normal_iteratorINSA_10device_ptrIxEEEEPS6_NSA_18transform_iteratorI7is_evenIxESF_NSA_11use_defaultESK_EENS0_5tupleIJNSA_16discard_iteratorISK_EESF_EEENSM_IJSG_SG_EEES6_PlJS6_EEE10hipError_tPvRmT3_T4_T5_T6_T7_T9_mT8_P12ihipStream_tbDpT10_ENKUlT_T0_E_clISt17integral_constantIbLb0EES1A_IbLb1EEEEDaS16_S17_EUlS16_E_NS1_11comp_targetILNS1_3genE5ELNS1_11target_archE942ELNS1_3gpuE9ELNS1_3repE0EEENS1_30default_config_static_selectorELNS0_4arch9wavefront6targetE1EEEvT1_, .Lfunc_end3252-_ZN7rocprim17ROCPRIM_400000_NS6detail17trampoline_kernelINS0_14default_configENS1_25partition_config_selectorILNS1_17partition_subalgoE1ExNS0_10empty_typeEbEEZZNS1_14partition_implILS5_1ELb0ES3_jN6thrust23THRUST_200600_302600_NS6detail15normal_iteratorINSA_10device_ptrIxEEEEPS6_NSA_18transform_iteratorI7is_evenIxESF_NSA_11use_defaultESK_EENS0_5tupleIJNSA_16discard_iteratorISK_EESF_EEENSM_IJSG_SG_EEES6_PlJS6_EEE10hipError_tPvRmT3_T4_T5_T6_T7_T9_mT8_P12ihipStream_tbDpT10_ENKUlT_T0_E_clISt17integral_constantIbLb0EES1A_IbLb1EEEEDaS16_S17_EUlS16_E_NS1_11comp_targetILNS1_3genE5ELNS1_11target_archE942ELNS1_3gpuE9ELNS1_3repE0EEENS1_30default_config_static_selectorELNS0_4arch9wavefront6targetE1EEEvT1_
                                        ; -- End function
	.section	.AMDGPU.csdata,"",@progbits
; Kernel info:
; codeLenInByte = 0
; NumSgprs: 4
; NumVgprs: 0
; NumAgprs: 0
; TotalNumVgprs: 0
; ScratchSize: 0
; MemoryBound: 0
; FloatMode: 240
; IeeeMode: 1
; LDSByteSize: 0 bytes/workgroup (compile time only)
; SGPRBlocks: 0
; VGPRBlocks: 0
; NumSGPRsForWavesPerEU: 4
; NumVGPRsForWavesPerEU: 1
; AccumOffset: 4
; Occupancy: 8
; WaveLimiterHint : 0
; COMPUTE_PGM_RSRC2:SCRATCH_EN: 0
; COMPUTE_PGM_RSRC2:USER_SGPR: 6
; COMPUTE_PGM_RSRC2:TRAP_HANDLER: 0
; COMPUTE_PGM_RSRC2:TGID_X_EN: 1
; COMPUTE_PGM_RSRC2:TGID_Y_EN: 0
; COMPUTE_PGM_RSRC2:TGID_Z_EN: 0
; COMPUTE_PGM_RSRC2:TIDIG_COMP_CNT: 0
; COMPUTE_PGM_RSRC3_GFX90A:ACCUM_OFFSET: 0
; COMPUTE_PGM_RSRC3_GFX90A:TG_SPLIT: 0
	.section	.text._ZN7rocprim17ROCPRIM_400000_NS6detail17trampoline_kernelINS0_14default_configENS1_25partition_config_selectorILNS1_17partition_subalgoE1ExNS0_10empty_typeEbEEZZNS1_14partition_implILS5_1ELb0ES3_jN6thrust23THRUST_200600_302600_NS6detail15normal_iteratorINSA_10device_ptrIxEEEEPS6_NSA_18transform_iteratorI7is_evenIxESF_NSA_11use_defaultESK_EENS0_5tupleIJNSA_16discard_iteratorISK_EESF_EEENSM_IJSG_SG_EEES6_PlJS6_EEE10hipError_tPvRmT3_T4_T5_T6_T7_T9_mT8_P12ihipStream_tbDpT10_ENKUlT_T0_E_clISt17integral_constantIbLb0EES1A_IbLb1EEEEDaS16_S17_EUlS16_E_NS1_11comp_targetILNS1_3genE4ELNS1_11target_archE910ELNS1_3gpuE8ELNS1_3repE0EEENS1_30default_config_static_selectorELNS0_4arch9wavefront6targetE1EEEvT1_,"axG",@progbits,_ZN7rocprim17ROCPRIM_400000_NS6detail17trampoline_kernelINS0_14default_configENS1_25partition_config_selectorILNS1_17partition_subalgoE1ExNS0_10empty_typeEbEEZZNS1_14partition_implILS5_1ELb0ES3_jN6thrust23THRUST_200600_302600_NS6detail15normal_iteratorINSA_10device_ptrIxEEEEPS6_NSA_18transform_iteratorI7is_evenIxESF_NSA_11use_defaultESK_EENS0_5tupleIJNSA_16discard_iteratorISK_EESF_EEENSM_IJSG_SG_EEES6_PlJS6_EEE10hipError_tPvRmT3_T4_T5_T6_T7_T9_mT8_P12ihipStream_tbDpT10_ENKUlT_T0_E_clISt17integral_constantIbLb0EES1A_IbLb1EEEEDaS16_S17_EUlS16_E_NS1_11comp_targetILNS1_3genE4ELNS1_11target_archE910ELNS1_3gpuE8ELNS1_3repE0EEENS1_30default_config_static_selectorELNS0_4arch9wavefront6targetE1EEEvT1_,comdat
	.protected	_ZN7rocprim17ROCPRIM_400000_NS6detail17trampoline_kernelINS0_14default_configENS1_25partition_config_selectorILNS1_17partition_subalgoE1ExNS0_10empty_typeEbEEZZNS1_14partition_implILS5_1ELb0ES3_jN6thrust23THRUST_200600_302600_NS6detail15normal_iteratorINSA_10device_ptrIxEEEEPS6_NSA_18transform_iteratorI7is_evenIxESF_NSA_11use_defaultESK_EENS0_5tupleIJNSA_16discard_iteratorISK_EESF_EEENSM_IJSG_SG_EEES6_PlJS6_EEE10hipError_tPvRmT3_T4_T5_T6_T7_T9_mT8_P12ihipStream_tbDpT10_ENKUlT_T0_E_clISt17integral_constantIbLb0EES1A_IbLb1EEEEDaS16_S17_EUlS16_E_NS1_11comp_targetILNS1_3genE4ELNS1_11target_archE910ELNS1_3gpuE8ELNS1_3repE0EEENS1_30default_config_static_selectorELNS0_4arch9wavefront6targetE1EEEvT1_ ; -- Begin function _ZN7rocprim17ROCPRIM_400000_NS6detail17trampoline_kernelINS0_14default_configENS1_25partition_config_selectorILNS1_17partition_subalgoE1ExNS0_10empty_typeEbEEZZNS1_14partition_implILS5_1ELb0ES3_jN6thrust23THRUST_200600_302600_NS6detail15normal_iteratorINSA_10device_ptrIxEEEEPS6_NSA_18transform_iteratorI7is_evenIxESF_NSA_11use_defaultESK_EENS0_5tupleIJNSA_16discard_iteratorISK_EESF_EEENSM_IJSG_SG_EEES6_PlJS6_EEE10hipError_tPvRmT3_T4_T5_T6_T7_T9_mT8_P12ihipStream_tbDpT10_ENKUlT_T0_E_clISt17integral_constantIbLb0EES1A_IbLb1EEEEDaS16_S17_EUlS16_E_NS1_11comp_targetILNS1_3genE4ELNS1_11target_archE910ELNS1_3gpuE8ELNS1_3repE0EEENS1_30default_config_static_selectorELNS0_4arch9wavefront6targetE1EEEvT1_
	.globl	_ZN7rocprim17ROCPRIM_400000_NS6detail17trampoline_kernelINS0_14default_configENS1_25partition_config_selectorILNS1_17partition_subalgoE1ExNS0_10empty_typeEbEEZZNS1_14partition_implILS5_1ELb0ES3_jN6thrust23THRUST_200600_302600_NS6detail15normal_iteratorINSA_10device_ptrIxEEEEPS6_NSA_18transform_iteratorI7is_evenIxESF_NSA_11use_defaultESK_EENS0_5tupleIJNSA_16discard_iteratorISK_EESF_EEENSM_IJSG_SG_EEES6_PlJS6_EEE10hipError_tPvRmT3_T4_T5_T6_T7_T9_mT8_P12ihipStream_tbDpT10_ENKUlT_T0_E_clISt17integral_constantIbLb0EES1A_IbLb1EEEEDaS16_S17_EUlS16_E_NS1_11comp_targetILNS1_3genE4ELNS1_11target_archE910ELNS1_3gpuE8ELNS1_3repE0EEENS1_30default_config_static_selectorELNS0_4arch9wavefront6targetE1EEEvT1_
	.p2align	8
	.type	_ZN7rocprim17ROCPRIM_400000_NS6detail17trampoline_kernelINS0_14default_configENS1_25partition_config_selectorILNS1_17partition_subalgoE1ExNS0_10empty_typeEbEEZZNS1_14partition_implILS5_1ELb0ES3_jN6thrust23THRUST_200600_302600_NS6detail15normal_iteratorINSA_10device_ptrIxEEEEPS6_NSA_18transform_iteratorI7is_evenIxESF_NSA_11use_defaultESK_EENS0_5tupleIJNSA_16discard_iteratorISK_EESF_EEENSM_IJSG_SG_EEES6_PlJS6_EEE10hipError_tPvRmT3_T4_T5_T6_T7_T9_mT8_P12ihipStream_tbDpT10_ENKUlT_T0_E_clISt17integral_constantIbLb0EES1A_IbLb1EEEEDaS16_S17_EUlS16_E_NS1_11comp_targetILNS1_3genE4ELNS1_11target_archE910ELNS1_3gpuE8ELNS1_3repE0EEENS1_30default_config_static_selectorELNS0_4arch9wavefront6targetE1EEEvT1_,@function
_ZN7rocprim17ROCPRIM_400000_NS6detail17trampoline_kernelINS0_14default_configENS1_25partition_config_selectorILNS1_17partition_subalgoE1ExNS0_10empty_typeEbEEZZNS1_14partition_implILS5_1ELb0ES3_jN6thrust23THRUST_200600_302600_NS6detail15normal_iteratorINSA_10device_ptrIxEEEEPS6_NSA_18transform_iteratorI7is_evenIxESF_NSA_11use_defaultESK_EENS0_5tupleIJNSA_16discard_iteratorISK_EESF_EEENSM_IJSG_SG_EEES6_PlJS6_EEE10hipError_tPvRmT3_T4_T5_T6_T7_T9_mT8_P12ihipStream_tbDpT10_ENKUlT_T0_E_clISt17integral_constantIbLb0EES1A_IbLb1EEEEDaS16_S17_EUlS16_E_NS1_11comp_targetILNS1_3genE4ELNS1_11target_archE910ELNS1_3gpuE8ELNS1_3repE0EEENS1_30default_config_static_selectorELNS0_4arch9wavefront6targetE1EEEvT1_: ; @_ZN7rocprim17ROCPRIM_400000_NS6detail17trampoline_kernelINS0_14default_configENS1_25partition_config_selectorILNS1_17partition_subalgoE1ExNS0_10empty_typeEbEEZZNS1_14partition_implILS5_1ELb0ES3_jN6thrust23THRUST_200600_302600_NS6detail15normal_iteratorINSA_10device_ptrIxEEEEPS6_NSA_18transform_iteratorI7is_evenIxESF_NSA_11use_defaultESK_EENS0_5tupleIJNSA_16discard_iteratorISK_EESF_EEENSM_IJSG_SG_EEES6_PlJS6_EEE10hipError_tPvRmT3_T4_T5_T6_T7_T9_mT8_P12ihipStream_tbDpT10_ENKUlT_T0_E_clISt17integral_constantIbLb0EES1A_IbLb1EEEEDaS16_S17_EUlS16_E_NS1_11comp_targetILNS1_3genE4ELNS1_11target_archE910ELNS1_3gpuE8ELNS1_3repE0EEENS1_30default_config_static_selectorELNS0_4arch9wavefront6targetE1EEEvT1_
; %bb.0:
	s_load_dwordx2 s[6:7], s[4:5], 0x20
	s_load_dwordx2 s[24:25], s[4:5], 0x40
	;; [unrolled: 1-line block ×3, first 2 shown]
	s_load_dwordx4 s[20:23], s[4:5], 0x58
	s_load_dwordx2 s[28:29], s[4:5], 0x78
	v_cmp_eq_u32_e64 s[0:1], 0, v0
	s_and_saveexec_b64 s[8:9], s[0:1]
	s_cbranch_execz .LBB3253_4
; %bb.1:
	s_mov_b64 s[12:13], exec
	v_mbcnt_lo_u32_b32 v1, s12, 0
	v_mbcnt_hi_u32_b32 v1, s13, v1
	v_cmp_eq_u32_e32 vcc, 0, v1
                                        ; implicit-def: $vgpr2
	s_and_saveexec_b64 s[10:11], vcc
	s_cbranch_execz .LBB3253_3
; %bb.2:
	s_load_dwordx2 s[14:15], s[4:5], 0x88
	s_bcnt1_i32_b64 s12, s[12:13]
	v_mov_b32_e32 v2, 0
	v_mov_b32_e32 v3, s12
	s_waitcnt lgkmcnt(0)
	global_atomic_add v2, v2, v3, s[14:15] glc
.LBB3253_3:
	s_or_b64 exec, exec, s[10:11]
	s_waitcnt vmcnt(0)
	v_readfirstlane_b32 s10, v2
	v_add_u32_e32 v1, s10, v1
	v_mov_b32_e32 v2, 0
	ds_write_b32 v2, v1
.LBB3253_4:
	s_or_b64 exec, exec, s[8:9]
	v_mov_b32_e32 v3, 0
	s_load_dwordx4 s[16:19], s[4:5], 0x8
	s_load_dword s8, s[4:5], 0x80
	s_waitcnt lgkmcnt(0)
	s_barrier
	ds_read_b32 v1, v3
	s_waitcnt lgkmcnt(0)
	s_barrier
	global_load_dwordx2 v[10:11], v3, s[22:23]
	v_mov_b32_e32 v5, s3
	s_lshl_b64 s[4:5], s[18:19], 3
	s_movk_i32 s3, 0x300
	s_add_u32 s9, s16, s4
	v_mul_lo_u32 v2, v1, s3
	s_mul_i32 s3, s8, 0x300
	s_addc_u32 s10, s17, s5
	s_add_i32 s11, s8, -1
	s_add_i32 s8, s3, s18
	s_sub_i32 s33, s2, s8
	s_addk_i32 s33, 0x300
	v_mov_b32_e32 v4, s2
	s_add_u32 s2, s18, s3
	v_readfirstlane_b32 s38, v1
	s_addc_u32 s3, s19, 0
	s_cmp_eq_u32 s38, s11
	s_cselect_b64 s[22:23], -1, 0
	s_cmp_lg_u32 s38, s11
	v_cmp_lt_u64_e32 vcc, s[2:3], v[4:5]
	s_cselect_b64 s[2:3], -1, 0
	v_lshlrev_b64 v[12:13], 3, v[2:3]
	s_or_b64 s[26:27], vcc, s[2:3]
	v_mov_b32_e32 v1, s10
	v_add_co_u32_e32 v14, vcc, s9, v12
	v_addc_co_u32_e32 v15, vcc, v1, v13, vcc
	s_mov_b64 s[2:3], -1
	s_and_b64 vcc, exec, s[26:27]
	v_lshlrev_b32_e32 v24, 3, v0
	v_lshrrev_b32_e32 v1, 2, v0
	s_cbranch_vccz .LBB3253_6
; %bb.5:
	v_add_co_u32_e32 v2, vcc, v14, v24
	v_addc_co_u32_e32 v3, vcc, 0, v15, vcc
	v_add_co_u32_e32 v4, vcc, 0x1000, v2
	v_addc_co_u32_e32 v5, vcc, 0, v3, vcc
	flat_load_dwordx2 v[6:7], v[2:3]
	flat_load_dwordx2 v[8:9], v[2:3] offset:1536
	flat_load_dwordx2 v[16:17], v[2:3] offset:3072
	;; [unrolled: 1-line block ×3, first 2 shown]
	v_add_u32_e32 v3, 0xc0, v0
	v_add_u32_e32 v4, 0x180, v0
	;; [unrolled: 1-line block ×3, first 2 shown]
	v_and_b32_e32 v2, 56, v1
	v_lshrrev_b32_e32 v3, 2, v3
	v_lshrrev_b32_e32 v4, 2, v4
	;; [unrolled: 1-line block ×3, first 2 shown]
	v_add_u32_e32 v2, v2, v24
	v_and_b32_e32 v3, 0x78, v3
	v_and_b32_e32 v4, 0xf8, v4
	v_and_b32_e32 v5, 0xf8, v5
	v_add_u32_e32 v3, v3, v24
	v_add_u32_e32 v4, v4, v24
	;; [unrolled: 1-line block ×3, first 2 shown]
	s_mov_b64 s[2:3], 0
	s_waitcnt vmcnt(0) lgkmcnt(0)
	ds_write_b64 v2, v[6:7]
	ds_write_b64 v3, v[8:9] offset:1536
	ds_write_b64 v4, v[16:17] offset:3072
	ds_write_b64 v5, v[18:19] offset:4608
	s_waitcnt lgkmcnt(0)
	s_barrier
.LBB3253_6:
	s_andn2_b64 vcc, exec, s[2:3]
	v_cmp_gt_u32_e64 s[2:3], s33, v0
	s_cbranch_vccnz .LBB3253_16
; %bb.7:
                                        ; implicit-def: $vgpr2_vgpr3_vgpr4_vgpr5_vgpr6_vgpr7_vgpr8_vgpr9
	s_and_saveexec_b64 s[8:9], s[2:3]
	s_cbranch_execz .LBB3253_9
; %bb.8:
	v_add_co_u32_e32 v2, vcc, v14, v24
	v_addc_co_u32_e32 v3, vcc, 0, v15, vcc
	flat_load_dwordx2 v[2:3], v[2:3]
.LBB3253_9:
	s_or_b64 exec, exec, s[8:9]
	v_add_u32_e32 v16, 0xc0, v0
	v_cmp_gt_u32_e32 vcc, s33, v16
	s_and_saveexec_b64 s[2:3], vcc
	s_cbranch_execz .LBB3253_11
; %bb.10:
	v_add_co_u32_e32 v4, vcc, v14, v24
	v_addc_co_u32_e32 v5, vcc, 0, v15, vcc
	flat_load_dwordx2 v[4:5], v[4:5] offset:1536
.LBB3253_11:
	s_or_b64 exec, exec, s[2:3]
	v_add_u32_e32 v17, 0x180, v0
	v_cmp_gt_u32_e32 vcc, s33, v17
	s_and_saveexec_b64 s[2:3], vcc
	s_cbranch_execz .LBB3253_13
; %bb.12:
	v_add_co_u32_e32 v6, vcc, v14, v24
	v_addc_co_u32_e32 v7, vcc, 0, v15, vcc
	flat_load_dwordx2 v[6:7], v[6:7] offset:3072
.LBB3253_13:
	s_or_b64 exec, exec, s[2:3]
	v_add_u32_e32 v18, 0x240, v0
	v_cmp_gt_u32_e32 vcc, s33, v18
	s_and_saveexec_b64 s[2:3], vcc
	s_cbranch_execz .LBB3253_15
; %bb.14:
	v_lshlrev_b32_e32 v8, 3, v18
	v_add_co_u32_e32 v8, vcc, v14, v8
	v_addc_co_u32_e32 v9, vcc, 0, v15, vcc
	flat_load_dwordx2 v[8:9], v[8:9]
.LBB3253_15:
	s_or_b64 exec, exec, s[2:3]
	v_and_b32_e32 v1, 56, v1
	v_add_u32_e32 v1, v1, v24
	s_waitcnt vmcnt(0) lgkmcnt(0)
	ds_write_b64 v1, v[2:3]
	v_lshrrev_b32_e32 v1, 2, v16
	v_and_b32_e32 v1, 0x78, v1
	v_add_u32_e32 v1, v1, v24
	ds_write_b64 v1, v[4:5] offset:1536
	v_lshrrev_b32_e32 v1, 2, v17
	v_and_b32_e32 v1, 0xf8, v1
	v_add_u32_e32 v1, v1, v24
	ds_write_b64 v1, v[6:7] offset:3072
	;; [unrolled: 4-line block ×3, first 2 shown]
	s_waitcnt lgkmcnt(0)
	s_barrier
.LBB3253_16:
	v_lshlrev_b32_e32 v25, 2, v0
	v_lshrrev_b32_e32 v15, 3, v0
	v_add_lshl_u32 v1, v15, v25, 3
	s_add_u32 s2, s6, s4
	ds_read2_b64 v[6:9], v1 offset1:1
	ds_read2_b64 v[2:5], v1 offset0:2 offset1:3
	s_addc_u32 s3, s7, s5
	v_mov_b32_e32 v1, s3
	v_add_co_u32_e32 v14, vcc, s2, v12
	v_addc_co_u32_e32 v1, vcc, v1, v13, vcc
	s_mov_b64 s[2:3], -1
	s_and_b64 vcc, exec, s[26:27]
	v_lshrrev_b32_e32 v16, 5, v0
	s_waitcnt lgkmcnt(0)
	s_barrier
	s_cbranch_vccz .LBB3253_18
; %bb.17:
	v_add_co_u32_e32 v17, vcc, v14, v24
	v_addc_co_u32_e32 v27, vcc, 0, v1, vcc
	v_add_co_u32_e32 v26, vcc, 0x1000, v17
	v_readfirstlane_b32 s2, v14
	v_readfirstlane_b32 s3, v1
	v_addc_co_u32_e32 v27, vcc, 0, v27, vcc
	s_nop 3
	global_load_dwordx2 v[18:19], v24, s[2:3]
	global_load_dwordx2 v[20:21], v24, s[2:3] offset:1536
	global_load_dwordx2 v[22:23], v24, s[2:3] offset:3072
	s_waitcnt vmcnt(2)
	v_add_u32_e32 v19, 0xc0, v0
	global_load_dwordx2 v[26:27], v[26:27], off offset:512
	s_waitcnt vmcnt(2)
	v_add_u32_e32 v21, 0x180, v0
	s_waitcnt vmcnt(1)
	v_add_u32_e32 v23, 0x240, v0
	v_and_b32_e32 v17, 4, v16
	v_lshrrev_b32_e32 v19, 5, v19
	v_lshrrev_b32_e32 v21, 5, v21
	;; [unrolled: 1-line block ×3, first 2 shown]
	v_add_u32_e32 v17, v17, v0
	v_and_b32_e32 v19, 12, v19
	v_and_b32_e32 v21, 28, v21
	;; [unrolled: 1-line block ×3, first 2 shown]
	v_add_u32_e32 v19, v19, v0
	v_add_u32_e32 v21, v21, v0
	;; [unrolled: 1-line block ×3, first 2 shown]
	s_mov_b64 s[2:3], 0
	v_xor_b32_e32 v18, -1, v18
	v_xor_b32_e32 v20, -1, v20
	v_xor_b32_e32 v22, -1, v22
	v_and_b32_e32 v18, 1, v18
	s_waitcnt vmcnt(0)
	v_xor_b32_e32 v26, -1, v26
	v_and_b32_e32 v20, 1, v20
	v_and_b32_e32 v22, 1, v22
	ds_write_b8 v17, v18
	ds_write_b8 v19, v20 offset:192
	ds_write_b8 v21, v22 offset:384
	v_and_b32_e32 v17, 1, v26
	ds_write_b8 v23, v17 offset:576
	s_waitcnt lgkmcnt(0)
	s_barrier
.LBB3253_18:
	s_andn2_b64 vcc, exec, s[2:3]
	s_cbranch_vccnz .LBB3253_28
; %bb.19:
	v_cmp_gt_u32_e32 vcc, s33, v0
	v_mov_b32_e32 v17, 0
	v_mov_b32_e32 v18, 0
	s_and_saveexec_b64 s[2:3], vcc
	s_cbranch_execz .LBB3253_21
; %bb.20:
	v_readfirstlane_b32 s4, v14
	v_readfirstlane_b32 s5, v1
	s_nop 4
	global_load_dwordx2 v[18:19], v24, s[4:5]
	s_waitcnt vmcnt(0)
	v_xor_b32_e32 v18, -1, v18
	v_and_b32_e32 v18, 1, v18
.LBB3253_21:
	s_or_b64 exec, exec, s[2:3]
	v_add_u32_e32 v19, 0xc0, v0
	v_cmp_gt_u32_e32 vcc, s33, v19
	s_and_saveexec_b64 s[2:3], vcc
	s_cbranch_execz .LBB3253_23
; %bb.22:
	v_readfirstlane_b32 s4, v14
	v_readfirstlane_b32 s5, v1
	s_nop 4
	global_load_dwordx2 v[20:21], v24, s[4:5] offset:1536
	s_waitcnt vmcnt(0)
	v_xor_b32_e32 v17, -1, v20
	v_and_b32_e32 v17, 1, v17
.LBB3253_23:
	s_or_b64 exec, exec, s[2:3]
	v_add_u32_e32 v20, 0x180, v0
	v_cmp_gt_u32_e32 vcc, s33, v20
	v_mov_b32_e32 v21, 0
	v_mov_b32_e32 v22, 0
	s_and_saveexec_b64 s[2:3], vcc
	s_cbranch_execz .LBB3253_25
; %bb.24:
	v_readfirstlane_b32 s4, v14
	v_readfirstlane_b32 s5, v1
	s_nop 4
	global_load_dwordx2 v[22:23], v24, s[4:5] offset:3072
	s_waitcnt vmcnt(0)
	v_xor_b32_e32 v22, -1, v22
	v_and_b32_e32 v22, 1, v22
.LBB3253_25:
	s_or_b64 exec, exec, s[2:3]
	v_add_u32_e32 v23, 0x240, v0
	v_cmp_gt_u32_e32 vcc, s33, v23
	s_and_saveexec_b64 s[2:3], vcc
	s_cbranch_execz .LBB3253_27
; %bb.26:
	v_lshlrev_b32_e32 v21, 3, v23
	v_readfirstlane_b32 s4, v14
	v_readfirstlane_b32 s5, v1
	s_nop 4
	global_load_dwordx2 v[26:27], v21, s[4:5]
	s_waitcnt vmcnt(0)
	v_xor_b32_e32 v1, -1, v26
	v_and_b32_e32 v21, 1, v1
.LBB3253_27:
	s_or_b64 exec, exec, s[2:3]
	v_and_b32_e32 v1, 4, v16
	v_add_u32_e32 v1, v1, v0
	ds_write_b8 v1, v18
	v_lshrrev_b32_e32 v1, 5, v19
	v_and_b32_e32 v1, 12, v1
	v_add_u32_e32 v1, v1, v0
	ds_write_b8 v1, v17 offset:192
	v_lshrrev_b32_e32 v1, 5, v20
	v_and_b32_e32 v1, 28, v1
	v_add_u32_e32 v1, v1, v0
	ds_write_b8 v1, v22 offset:384
	;; [unrolled: 4-line block ×3, first 2 shown]
	s_waitcnt lgkmcnt(0)
	s_barrier
.LBB3253_28:
	v_and_b32_e32 v1, 28, v15
	v_add_u32_e32 v1, v1, v25
	ds_read_b32 v26, v1
	s_cmp_lg_u32 s38, 0
	v_lshrrev_b32_e32 v29, 6, v0
	s_waitcnt lgkmcnt(0)
	s_barrier
	v_lshrrev_b32_e32 v1, 24, v26
	v_bfe_u32 v27, v26, 16, 8
	v_add_u32_sdwa v14, v26, v26 dst_sel:DWORD dst_unused:UNUSED_PAD src0_sel:BYTE_1 src1_sel:BYTE_0
	v_add3_u32 v30, v14, v27, v1
	v_mbcnt_lo_u32_b32 v14, -1, 0
	v_mbcnt_hi_u32_b32 v28, -1, v14
	v_and_b32_e32 v14, 15, v28
	v_cmp_eq_u32_e64 s[14:15], 0, v14
	v_cmp_lt_u32_e64 s[12:13], 1, v14
	v_cmp_lt_u32_e64 s[10:11], 3, v14
	;; [unrolled: 1-line block ×3, first 2 shown]
	v_and_b32_e32 v14, 16, v28
	v_cmp_eq_u32_e64 s[4:5], 0, v14
	v_and_b32_e32 v14, 0xc0, v0
	v_min_u32_e32 v14, 0x80, v14
	v_or_b32_e32 v14, 63, v14
	v_cmp_lt_u32_e64 s[2:3], 31, v28
	v_cmp_eq_u32_e64 s[6:7], v14, v0
	s_cbranch_scc0 .LBB3253_55
; %bb.29:
	v_mov_b32_dpp v14, v30 row_shr:1 row_mask:0xf bank_mask:0xf
	v_cndmask_b32_e64 v14, v14, 0, s[14:15]
	v_add_u32_e32 v14, v14, v30
	s_nop 1
	v_mov_b32_dpp v15, v14 row_shr:2 row_mask:0xf bank_mask:0xf
	v_cndmask_b32_e64 v15, 0, v15, s[12:13]
	v_add_u32_e32 v14, v14, v15
	s_nop 1
	;; [unrolled: 4-line block ×4, first 2 shown]
	v_mov_b32_dpp v15, v14 row_bcast:15 row_mask:0xf bank_mask:0xf
	v_cndmask_b32_e64 v15, v15, 0, s[4:5]
	v_add_u32_e32 v14, v14, v15
	s_nop 1
	v_mov_b32_dpp v15, v14 row_bcast:31 row_mask:0xf bank_mask:0xf
	v_cndmask_b32_e64 v15, 0, v15, s[2:3]
	v_add_u32_e32 v14, v14, v15
	s_and_saveexec_b64 s[16:17], s[6:7]
	s_cbranch_execz .LBB3253_31
; %bb.30:
	v_lshlrev_b32_e32 v15, 2, v29
	ds_write_b32 v15, v14
.LBB3253_31:
	s_or_b64 exec, exec, s[16:17]
	v_cmp_gt_u32_e32 vcc, 3, v0
	s_waitcnt lgkmcnt(0)
	s_barrier
	s_and_saveexec_b64 s[16:17], vcc
	s_cbranch_execz .LBB3253_33
; %bb.32:
	ds_read_b32 v15, v25
	v_and_b32_e32 v16, 3, v28
	v_cmp_ne_u32_e32 vcc, 0, v16
	s_waitcnt lgkmcnt(0)
	v_mov_b32_dpp v17, v15 row_shr:1 row_mask:0xf bank_mask:0xf
	v_cndmask_b32_e32 v17, 0, v17, vcc
	v_add_u32_e32 v15, v17, v15
	v_cmp_lt_u32_e32 vcc, 1, v16
	s_nop 0
	v_mov_b32_dpp v17, v15 row_shr:2 row_mask:0xf bank_mask:0xf
	v_cndmask_b32_e32 v16, 0, v17, vcc
	v_add_u32_e32 v15, v15, v16
	ds_write_b32 v25, v15
.LBB3253_33:
	s_or_b64 exec, exec, s[16:17]
	v_cmp_gt_u32_e32 vcc, 64, v0
	v_cmp_lt_u32_e64 s[16:17], 63, v0
	s_waitcnt lgkmcnt(0)
	s_barrier
	s_waitcnt lgkmcnt(0)
                                        ; implicit-def: $vgpr31
	s_and_saveexec_b64 s[30:31], s[16:17]
	s_cbranch_execz .LBB3253_35
; %bb.34:
	v_lshl_add_u32 v15, v29, 2, -4
	ds_read_b32 v31, v15
	s_waitcnt lgkmcnt(0)
	v_add_u32_e32 v14, v31, v14
.LBB3253_35:
	s_or_b64 exec, exec, s[30:31]
	v_add_u32_e32 v15, -1, v28
	v_and_b32_e32 v16, 64, v28
	v_cmp_lt_i32_e64 s[16:17], v15, v16
	v_cndmask_b32_e64 v15, v15, v28, s[16:17]
	v_lshlrev_b32_e32 v15, 2, v15
	ds_bpermute_b32 v32, v15, v14
	v_cmp_eq_u32_e64 s[16:17], 0, v28
	s_and_saveexec_b64 s[30:31], vcc
	s_cbranch_execz .LBB3253_54
; %bb.36:
	v_mov_b32_e32 v21, 0
	ds_read_b32 v14, v21 offset:8
	s_and_saveexec_b64 s[34:35], s[16:17]
	s_cbranch_execz .LBB3253_38
; %bb.37:
	s_add_i32 s36, s38, 64
	s_mov_b32 s37, 0
	s_lshl_b64 s[36:37], s[36:37], 3
	s_add_u32 s36, s28, s36
	v_mov_b32_e32 v15, 1
	s_addc_u32 s37, s29, s37
	s_waitcnt lgkmcnt(0)
	global_store_dwordx2 v21, v[14:15], s[36:37]
.LBB3253_38:
	s_or_b64 exec, exec, s[34:35]
	v_xad_u32 v16, v28, -1, s38
	v_add_u32_e32 v20, 64, v16
	v_lshlrev_b64 v[18:19], 3, v[20:21]
	v_mov_b32_e32 v15, s29
	v_add_co_u32_e32 v22, vcc, s28, v18
	v_addc_co_u32_e32 v23, vcc, v15, v19, vcc
	global_load_dwordx2 v[18:19], v[22:23], off glc
	s_waitcnt vmcnt(0)
	v_cmp_eq_u16_sdwa s[36:37], v19, v21 src0_sel:BYTE_0 src1_sel:DWORD
	s_and_saveexec_b64 s[34:35], s[36:37]
	s_cbranch_execz .LBB3253_42
; %bb.39:
	s_mov_b64 s[36:37], 0
	v_mov_b32_e32 v15, 0
.LBB3253_40:                            ; =>This Inner Loop Header: Depth=1
	global_load_dwordx2 v[18:19], v[22:23], off glc
	s_waitcnt vmcnt(0)
	v_cmp_ne_u16_sdwa s[40:41], v19, v15 src0_sel:BYTE_0 src1_sel:DWORD
	s_or_b64 s[36:37], s[40:41], s[36:37]
	s_andn2_b64 exec, exec, s[36:37]
	s_cbranch_execnz .LBB3253_40
; %bb.41:
	s_or_b64 exec, exec, s[36:37]
.LBB3253_42:
	s_or_b64 exec, exec, s[34:35]
	v_and_b32_e32 v34, 63, v28
	v_mov_b32_e32 v33, 2
	v_cmp_ne_u32_e32 vcc, 63, v34
	v_cmp_eq_u16_sdwa s[34:35], v19, v33 src0_sel:BYTE_0 src1_sel:DWORD
	v_lshlrev_b64 v[20:21], v28, -1
	v_addc_co_u32_e32 v22, vcc, 0, v28, vcc
	v_and_b32_e32 v15, s35, v21
	v_lshlrev_b32_e32 v35, 2, v22
	v_or_b32_e32 v15, 0x80000000, v15
	ds_bpermute_b32 v22, v35, v18
	v_and_b32_e32 v17, s34, v20
	v_ffbl_b32_e32 v15, v15
	v_add_u32_e32 v15, 32, v15
	v_ffbl_b32_e32 v17, v17
	v_min_u32_e32 v15, v17, v15
	v_cmp_lt_u32_e32 vcc, v34, v15
	s_waitcnt lgkmcnt(0)
	v_cndmask_b32_e32 v17, 0, v22, vcc
	v_cmp_gt_u32_e32 vcc, 62, v34
	v_add_u32_e32 v17, v17, v18
	v_cndmask_b32_e64 v18, 0, 1, vcc
	v_lshlrev_b32_e32 v18, 1, v18
	v_add_lshl_u32 v36, v18, v28, 2
	ds_bpermute_b32 v18, v36, v17
	v_add_u32_e32 v37, 2, v34
	v_cmp_le_u32_e32 vcc, v37, v15
	v_add_u32_e32 v39, 4, v34
	v_add_u32_e32 v41, 8, v34
	s_waitcnt lgkmcnt(0)
	v_cndmask_b32_e32 v18, 0, v18, vcc
	v_cmp_gt_u32_e32 vcc, 60, v34
	v_add_u32_e32 v17, v17, v18
	v_cndmask_b32_e64 v18, 0, 1, vcc
	v_lshlrev_b32_e32 v18, 2, v18
	v_add_lshl_u32 v38, v18, v28, 2
	ds_bpermute_b32 v18, v38, v17
	v_cmp_le_u32_e32 vcc, v39, v15
	v_add_u32_e32 v43, 16, v34
	v_add_u32_e32 v45, 32, v34
	s_waitcnt lgkmcnt(0)
	v_cndmask_b32_e32 v18, 0, v18, vcc
	v_cmp_gt_u32_e32 vcc, 56, v34
	v_add_u32_e32 v17, v17, v18
	v_cndmask_b32_e64 v18, 0, 1, vcc
	v_lshlrev_b32_e32 v18, 3, v18
	v_add_lshl_u32 v40, v18, v28, 2
	ds_bpermute_b32 v18, v40, v17
	v_cmp_le_u32_e32 vcc, v41, v15
	s_waitcnt lgkmcnt(0)
	v_cndmask_b32_e32 v18, 0, v18, vcc
	v_cmp_gt_u32_e32 vcc, 48, v34
	v_add_u32_e32 v17, v17, v18
	v_cndmask_b32_e64 v18, 0, 1, vcc
	v_lshlrev_b32_e32 v18, 4, v18
	v_add_lshl_u32 v42, v18, v28, 2
	ds_bpermute_b32 v18, v42, v17
	v_cmp_le_u32_e32 vcc, v43, v15
	;; [unrolled: 9-line block ×3, first 2 shown]
	s_waitcnt lgkmcnt(0)
	v_cndmask_b32_e32 v15, 0, v18, vcc
	v_add_u32_e32 v18, v17, v15
	v_mov_b32_e32 v17, 0
	s_branch .LBB3253_44
.LBB3253_43:                            ;   in Loop: Header=BB3253_44 Depth=1
	s_or_b64 exec, exec, s[34:35]
	v_cmp_eq_u16_sdwa s[34:35], v19, v33 src0_sel:BYTE_0 src1_sel:DWORD
	v_and_b32_e32 v22, s35, v21
	v_or_b32_e32 v22, 0x80000000, v22
	ds_bpermute_b32 v46, v35, v18
	v_and_b32_e32 v23, s34, v20
	v_ffbl_b32_e32 v22, v22
	v_add_u32_e32 v22, 32, v22
	v_ffbl_b32_e32 v23, v23
	v_min_u32_e32 v22, v23, v22
	v_cmp_lt_u32_e32 vcc, v34, v22
	s_waitcnt lgkmcnt(0)
	v_cndmask_b32_e32 v23, 0, v46, vcc
	v_add_u32_e32 v18, v23, v18
	ds_bpermute_b32 v23, v36, v18
	v_cmp_le_u32_e32 vcc, v37, v22
	v_subrev_u32_e32 v16, 64, v16
	s_waitcnt lgkmcnt(0)
	v_cndmask_b32_e32 v23, 0, v23, vcc
	v_add_u32_e32 v18, v18, v23
	ds_bpermute_b32 v23, v38, v18
	v_cmp_le_u32_e32 vcc, v39, v22
	s_waitcnt lgkmcnt(0)
	v_cndmask_b32_e32 v23, 0, v23, vcc
	v_add_u32_e32 v18, v18, v23
	ds_bpermute_b32 v23, v40, v18
	v_cmp_le_u32_e32 vcc, v41, v22
	;; [unrolled: 5-line block ×4, first 2 shown]
	s_waitcnt lgkmcnt(0)
	v_cndmask_b32_e32 v22, 0, v23, vcc
	v_add3_u32 v18, v22, v15, v18
.LBB3253_44:                            ; =>This Loop Header: Depth=1
                                        ;     Child Loop BB3253_47 Depth 2
	v_cmp_ne_u16_sdwa s[34:35], v19, v33 src0_sel:BYTE_0 src1_sel:DWORD
	v_cndmask_b32_e64 v15, 0, 1, s[34:35]
	;;#ASMSTART
	;;#ASMEND
	v_cmp_ne_u32_e32 vcc, 0, v15
	s_cmp_lg_u64 vcc, exec
	v_mov_b32_e32 v15, v18
	s_cbranch_scc1 .LBB3253_49
; %bb.45:                               ;   in Loop: Header=BB3253_44 Depth=1
	v_lshlrev_b64 v[18:19], 3, v[16:17]
	v_mov_b32_e32 v23, s29
	v_add_co_u32_e32 v22, vcc, s28, v18
	v_addc_co_u32_e32 v23, vcc, v23, v19, vcc
	global_load_dwordx2 v[18:19], v[22:23], off glc
	s_waitcnt vmcnt(0)
	v_cmp_eq_u16_sdwa s[36:37], v19, v17 src0_sel:BYTE_0 src1_sel:DWORD
	s_and_saveexec_b64 s[34:35], s[36:37]
	s_cbranch_execz .LBB3253_43
; %bb.46:                               ;   in Loop: Header=BB3253_44 Depth=1
	s_mov_b64 s[36:37], 0
.LBB3253_47:                            ;   Parent Loop BB3253_44 Depth=1
                                        ; =>  This Inner Loop Header: Depth=2
	global_load_dwordx2 v[18:19], v[22:23], off glc
	s_waitcnt vmcnt(0)
	v_cmp_ne_u16_sdwa s[40:41], v19, v17 src0_sel:BYTE_0 src1_sel:DWORD
	s_or_b64 s[36:37], s[40:41], s[36:37]
	s_andn2_b64 exec, exec, s[36:37]
	s_cbranch_execnz .LBB3253_47
; %bb.48:                               ;   in Loop: Header=BB3253_44 Depth=1
	s_or_b64 exec, exec, s[36:37]
	s_branch .LBB3253_43
.LBB3253_49:                            ;   in Loop: Header=BB3253_44 Depth=1
                                        ; implicit-def: $vgpr18
                                        ; implicit-def: $vgpr19
	s_cbranch_execz .LBB3253_44
; %bb.50:
	s_and_saveexec_b64 s[34:35], s[16:17]
	s_cbranch_execz .LBB3253_52
; %bb.51:
	s_add_i32 s36, s38, 64
	s_mov_b32 s37, 0
	s_lshl_b64 s[36:37], s[36:37], 3
	s_add_u32 s36, s28, s36
	v_add_u32_e32 v16, v15, v14
	v_mov_b32_e32 v17, 2
	s_addc_u32 s37, s29, s37
	v_mov_b32_e32 v18, 0
	global_store_dwordx2 v18, v[16:17], s[36:37]
	ds_write_b64 v18, v[14:15] offset:6336
.LBB3253_52:
	s_or_b64 exec, exec, s[34:35]
	s_and_b64 exec, exec, s[0:1]
	s_cbranch_execz .LBB3253_54
; %bb.53:
	v_mov_b32_e32 v14, 0
	ds_write_b32 v14, v15 offset:8
.LBB3253_54:
	s_or_b64 exec, exec, s[30:31]
	v_mov_b32_e32 v14, 0
	s_waitcnt lgkmcnt(0)
	s_barrier
	ds_read_b32 v15, v14 offset:8
	v_cndmask_b32_e64 v16, v32, v31, s[16:17]
	v_cndmask_b32_e64 v16, v16, 0, s[0:1]
	s_waitcnt lgkmcnt(0)
	s_barrier
	v_add_u32_e32 v18, v15, v16
	ds_read_b64 v[14:15], v14 offset:6336
	v_add_u32_sdwa v19, v18, v26 dst_sel:DWORD dst_unused:UNUSED_PAD src0_sel:DWORD src1_sel:BYTE_0
	v_add_u32_sdwa v17, v19, v26 dst_sel:DWORD dst_unused:UNUSED_PAD src0_sel:DWORD src1_sel:BYTE_1
	v_add_u32_e32 v16, v17, v27
	s_branch .LBB3253_65
.LBB3253_55:
                                        ; implicit-def: $vgpr15
                                        ; implicit-def: $vgpr16
                                        ; implicit-def: $vgpr17
                                        ; implicit-def: $vgpr19
                                        ; implicit-def: $vgpr18
	s_cbranch_execz .LBB3253_65
; %bb.56:
	s_waitcnt lgkmcnt(0)
	v_mov_b32_dpp v14, v30 row_shr:1 row_mask:0xf bank_mask:0xf
	v_cndmask_b32_e64 v14, v14, 0, s[14:15]
	v_add_u32_e32 v14, v14, v30
	s_nop 1
	v_mov_b32_dpp v15, v14 row_shr:2 row_mask:0xf bank_mask:0xf
	v_cndmask_b32_e64 v15, 0, v15, s[12:13]
	v_add_u32_e32 v14, v14, v15
	s_nop 1
	;; [unrolled: 4-line block ×4, first 2 shown]
	v_mov_b32_dpp v15, v14 row_bcast:15 row_mask:0xf bank_mask:0xf
	v_cndmask_b32_e64 v15, v15, 0, s[4:5]
	v_add_u32_e32 v14, v14, v15
	s_nop 1
	v_mov_b32_dpp v15, v14 row_bcast:31 row_mask:0xf bank_mask:0xf
	v_cndmask_b32_e64 v15, 0, v15, s[2:3]
	v_add_u32_e32 v14, v14, v15
	s_and_saveexec_b64 s[2:3], s[6:7]
	s_cbranch_execz .LBB3253_58
; %bb.57:
	v_lshlrev_b32_e32 v15, 2, v29
	ds_write_b32 v15, v14
.LBB3253_58:
	s_or_b64 exec, exec, s[2:3]
	v_cmp_gt_u32_e32 vcc, 3, v0
	s_waitcnt lgkmcnt(0)
	s_barrier
	s_and_saveexec_b64 s[2:3], vcc
	s_cbranch_execz .LBB3253_60
; %bb.59:
	ds_read_b32 v15, v25
	v_and_b32_e32 v16, 3, v28
	v_cmp_ne_u32_e32 vcc, 0, v16
	s_waitcnt lgkmcnt(0)
	v_mov_b32_dpp v17, v15 row_shr:1 row_mask:0xf bank_mask:0xf
	v_cndmask_b32_e32 v17, 0, v17, vcc
	v_add_u32_e32 v15, v17, v15
	v_cmp_lt_u32_e32 vcc, 1, v16
	s_nop 0
	v_mov_b32_dpp v17, v15 row_shr:2 row_mask:0xf bank_mask:0xf
	v_cndmask_b32_e32 v16, 0, v17, vcc
	v_add_u32_e32 v15, v15, v16
	ds_write_b32 v25, v15
.LBB3253_60:
	s_or_b64 exec, exec, s[2:3]
	v_cmp_lt_u32_e32 vcc, 63, v0
	v_mov_b32_e32 v15, 0
	v_mov_b32_e32 v16, 0
	s_waitcnt lgkmcnt(0)
	s_barrier
	s_and_saveexec_b64 s[2:3], vcc
	s_cbranch_execz .LBB3253_62
; %bb.61:
	v_lshl_add_u32 v16, v29, 2, -4
	ds_read_b32 v16, v16
.LBB3253_62:
	s_or_b64 exec, exec, s[2:3]
	v_add_u32_e32 v17, -1, v28
	v_and_b32_e32 v18, 64, v28
	v_cmp_lt_i32_e32 vcc, v17, v18
	v_cndmask_b32_e32 v17, v17, v28, vcc
	s_waitcnt lgkmcnt(0)
	v_add_u32_e32 v14, v16, v14
	v_lshlrev_b32_e32 v17, 2, v17
	ds_bpermute_b32 v17, v17, v14
	ds_read_b32 v14, v15 offset:8
	s_and_saveexec_b64 s[2:3], s[0:1]
	s_cbranch_execz .LBB3253_64
; %bb.63:
	v_mov_b32_e32 v18, 0
	v_mov_b32_e32 v15, 2
	s_waitcnt lgkmcnt(0)
	global_store_dwordx2 v18, v[14:15], s[28:29] offset:512
.LBB3253_64:
	s_or_b64 exec, exec, s[2:3]
	v_cmp_eq_u32_e32 vcc, 0, v28
	s_waitcnt lgkmcnt(1)
	v_cndmask_b32_e32 v16, v17, v16, vcc
	v_cndmask_b32_e64 v18, v16, 0, s[0:1]
	v_add_u32_sdwa v19, v18, v26 dst_sel:DWORD dst_unused:UNUSED_PAD src0_sel:DWORD src1_sel:BYTE_0
	v_add_u32_sdwa v17, v19, v26 dst_sel:DWORD dst_unused:UNUSED_PAD src0_sel:DWORD src1_sel:BYTE_1
	v_mov_b32_e32 v15, 0
	v_add_u32_e32 v16, v17, v27
	s_waitcnt lgkmcnt(0)
	s_barrier
.LBB3253_65:
	s_waitcnt lgkmcnt(0)
	v_add_u32_e32 v21, v14, v25
	v_sub_u32_e32 v18, v18, v15
	v_and_b32_e32 v23, 1, v26
	v_sub_u32_e32 v22, v21, v18
	v_cmp_eq_u32_e32 vcc, 1, v23
	v_cndmask_b32_e32 v18, v22, v18, vcc
	v_lshlrev_b32_e32 v18, 3, v18
	v_lshrrev_b32_e32 v20, 8, v26
	ds_write_b64 v18, v[6:7]
	v_sub_u32_e32 v6, v19, v15
	v_sub_u32_e32 v7, v21, v6
	v_and_b32_e32 v18, 1, v20
	v_add_u32_e32 v7, 1, v7
	v_cmp_eq_u32_e32 vcc, 1, v18
	v_cndmask_b32_e32 v6, v7, v6, vcc
	v_lshlrev_b32_e32 v6, 3, v6
	ds_write_b64 v6, v[8:9]
	v_sub_u32_e32 v6, v17, v15
	v_mov_b32_e32 v8, 1
	v_sub_u32_e32 v7, v21, v6
	v_and_b32_sdwa v8, v8, v26 dst_sel:DWORD dst_unused:UNUSED_PAD src0_sel:DWORD src1_sel:WORD_1
	v_add_u32_e32 v7, 2, v7
	v_cmp_eq_u32_e32 vcc, 1, v8
	v_cndmask_b32_e32 v6, v7, v6, vcc
	v_lshlrev_b32_e32 v6, 3, v6
	ds_write_b64 v6, v[2:3]
	v_sub_u32_e32 v2, v16, v15
	v_sub_u32_e32 v3, v21, v2
	v_and_b32_e32 v1, 1, v1
	v_add_u32_e32 v3, 3, v3
	v_cmp_eq_u32_e32 vcc, 1, v1
	v_cndmask_b32_e32 v1, v3, v2, vcc
	v_lshlrev_b32_e32 v1, 3, v1
	ds_write_b64 v1, v[4:5]
	s_waitcnt vmcnt(0)
	v_add_co_u32_e32 v1, vcc, v10, v14
	v_addc_co_u32_e32 v11, vcc, 0, v11, vcc
	v_add_co_u32_e32 v10, vcc, v1, v15
	v_addc_co_u32_e32 v11, vcc, 0, v11, vcc
	v_mov_b32_e32 v1, s19
	v_sub_co_u32_e32 v20, vcc, s18, v10
	v_subb_co_u32_e32 v21, vcc, v1, v11, vcc
	v_lshlrev_b64 v[20:21], 3, v[20:21]
	s_waitcnt lgkmcnt(0)
	s_barrier
	ds_read2st64_b64 v[6:9], v24 offset1:3
	ds_read2st64_b64 v[2:5], v24 offset0:6 offset1:9
	v_mov_b32_e32 v1, s25
	v_add_co_u32_e32 v15, vcc, s24, v20
	v_addc_co_u32_e32 v1, vcc, v1, v21, vcc
	v_add_co_u32_e32 v12, vcc, v15, v12
	v_addc_co_u32_e32 v1, vcc, v1, v13, vcc
	v_add_u32_e32 v18, 0xc0, v0
	v_add_u32_e32 v17, 0x180, v0
	;; [unrolled: 1-line block ×3, first 2 shown]
	s_andn2_b64 vcc, exec, s[26:27]
	v_cmp_ge_u32_e64 s[2:3], v0, v14
	s_cbranch_vccnz .LBB3253_71
; %bb.66:
	s_and_saveexec_b64 s[4:5], s[2:3]
	s_cbranch_execnz .LBB3253_84
; %bb.67:
	s_or_b64 exec, exec, s[4:5]
	v_cmp_ge_u32_e32 vcc, v18, v14
	s_and_saveexec_b64 s[2:3], vcc
	s_cbranch_execnz .LBB3253_85
.LBB3253_68:
	s_or_b64 exec, exec, s[2:3]
	v_cmp_ge_u32_e32 vcc, v17, v14
	s_and_saveexec_b64 s[2:3], vcc
	s_cbranch_execz .LBB3253_70
.LBB3253_69:
	v_readfirstlane_b32 s4, v12
	v_readfirstlane_b32 s5, v1
	s_waitcnt lgkmcnt(0)
	s_nop 3
	global_store_dwordx2 v24, v[2:3], s[4:5] offset:3072
.LBB3253_70:
	s_or_b64 exec, exec, s[2:3]
	v_cmp_ge_u32_e64 s[2:3], v16, v14
	s_branch .LBB3253_79
.LBB3253_71:
	s_mov_b64 s[2:3], 0
	s_cbranch_execz .LBB3253_79
; %bb.72:
	v_cmp_gt_u32_e32 vcc, s33, v0
	v_cmp_ge_u32_e64 s[2:3], v0, v14
	s_and_b64 s[4:5], vcc, s[2:3]
	s_and_saveexec_b64 s[2:3], s[4:5]
	s_cbranch_execz .LBB3253_74
; %bb.73:
	v_readfirstlane_b32 s4, v12
	v_readfirstlane_b32 s5, v1
	s_waitcnt lgkmcnt(1)
	s_nop 3
	global_store_dwordx2 v24, v[6:7], s[4:5]
.LBB3253_74:
	s_or_b64 exec, exec, s[2:3]
	v_cmp_gt_u32_e32 vcc, s33, v18
	v_cmp_ge_u32_e64 s[2:3], v18, v14
	s_and_b64 s[4:5], vcc, s[2:3]
	s_and_saveexec_b64 s[2:3], s[4:5]
	s_cbranch_execz .LBB3253_76
; %bb.75:
	v_readfirstlane_b32 s4, v12
	v_readfirstlane_b32 s5, v1
	s_waitcnt lgkmcnt(1)
	s_nop 3
	global_store_dwordx2 v24, v[8:9], s[4:5] offset:1536
.LBB3253_76:
	s_or_b64 exec, exec, s[2:3]
	v_cmp_gt_u32_e32 vcc, s33, v17
	v_cmp_ge_u32_e64 s[2:3], v17, v14
	s_and_b64 s[4:5], vcc, s[2:3]
	s_and_saveexec_b64 s[2:3], s[4:5]
	s_cbranch_execz .LBB3253_78
; %bb.77:
	v_readfirstlane_b32 s4, v12
	v_readfirstlane_b32 s5, v1
	s_waitcnt lgkmcnt(0)
	s_nop 3
	global_store_dwordx2 v24, v[2:3], s[4:5] offset:3072
.LBB3253_78:
	s_or_b64 exec, exec, s[2:3]
	v_cmp_gt_u32_e32 vcc, s33, v16
	v_cmp_ge_u32_e64 s[2:3], v16, v14
	s_and_b64 s[2:3], vcc, s[2:3]
.LBB3253_79:
	s_and_saveexec_b64 s[4:5], s[2:3]
	s_cbranch_execnz .LBB3253_82
; %bb.80:
	s_or_b64 exec, exec, s[4:5]
	s_and_b64 s[0:1], s[0:1], s[22:23]
	s_and_saveexec_b64 s[2:3], s[0:1]
	s_cbranch_execnz .LBB3253_83
.LBB3253_81:
	s_endpgm
.LBB3253_82:
	v_lshlrev_b32_e32 v0, 3, v16
	v_readfirstlane_b32 s2, v12
	v_readfirstlane_b32 s3, v1
	s_waitcnt lgkmcnt(0)
	s_nop 3
	global_store_dwordx2 v0, v[4:5], s[2:3]
	s_or_b64 exec, exec, s[4:5]
	s_and_b64 s[0:1], s[0:1], s[22:23]
	s_and_saveexec_b64 s[2:3], s[0:1]
	s_cbranch_execz .LBB3253_81
.LBB3253_83:
	v_mov_b32_e32 v0, 0
	global_store_dwordx2 v0, v[10:11], s[20:21]
	s_endpgm
.LBB3253_84:
	v_readfirstlane_b32 s2, v12
	v_readfirstlane_b32 s3, v1
	s_waitcnt lgkmcnt(1)
	s_nop 3
	global_store_dwordx2 v24, v[6:7], s[2:3]
	s_or_b64 exec, exec, s[4:5]
	v_cmp_ge_u32_e32 vcc, v18, v14
	s_and_saveexec_b64 s[2:3], vcc
	s_cbranch_execz .LBB3253_68
.LBB3253_85:
	v_readfirstlane_b32 s4, v12
	v_readfirstlane_b32 s5, v1
	s_waitcnt lgkmcnt(1)
	s_nop 3
	global_store_dwordx2 v24, v[8:9], s[4:5] offset:1536
	s_or_b64 exec, exec, s[2:3]
	v_cmp_ge_u32_e32 vcc, v17, v14
	s_and_saveexec_b64 s[2:3], vcc
	s_cbranch_execnz .LBB3253_69
	s_branch .LBB3253_70
	.section	.rodata,"a",@progbits
	.p2align	6, 0x0
	.amdhsa_kernel _ZN7rocprim17ROCPRIM_400000_NS6detail17trampoline_kernelINS0_14default_configENS1_25partition_config_selectorILNS1_17partition_subalgoE1ExNS0_10empty_typeEbEEZZNS1_14partition_implILS5_1ELb0ES3_jN6thrust23THRUST_200600_302600_NS6detail15normal_iteratorINSA_10device_ptrIxEEEEPS6_NSA_18transform_iteratorI7is_evenIxESF_NSA_11use_defaultESK_EENS0_5tupleIJNSA_16discard_iteratorISK_EESF_EEENSM_IJSG_SG_EEES6_PlJS6_EEE10hipError_tPvRmT3_T4_T5_T6_T7_T9_mT8_P12ihipStream_tbDpT10_ENKUlT_T0_E_clISt17integral_constantIbLb0EES1A_IbLb1EEEEDaS16_S17_EUlS16_E_NS1_11comp_targetILNS1_3genE4ELNS1_11target_archE910ELNS1_3gpuE8ELNS1_3repE0EEENS1_30default_config_static_selectorELNS0_4arch9wavefront6targetE1EEEvT1_
		.amdhsa_group_segment_fixed_size 6344
		.amdhsa_private_segment_fixed_size 0
		.amdhsa_kernarg_size 152
		.amdhsa_user_sgpr_count 6
		.amdhsa_user_sgpr_private_segment_buffer 1
		.amdhsa_user_sgpr_dispatch_ptr 0
		.amdhsa_user_sgpr_queue_ptr 0
		.amdhsa_user_sgpr_kernarg_segment_ptr 1
		.amdhsa_user_sgpr_dispatch_id 0
		.amdhsa_user_sgpr_flat_scratch_init 0
		.amdhsa_user_sgpr_kernarg_preload_length 0
		.amdhsa_user_sgpr_kernarg_preload_offset 0
		.amdhsa_user_sgpr_private_segment_size 0
		.amdhsa_uses_dynamic_stack 0
		.amdhsa_system_sgpr_private_segment_wavefront_offset 0
		.amdhsa_system_sgpr_workgroup_id_x 1
		.amdhsa_system_sgpr_workgroup_id_y 0
		.amdhsa_system_sgpr_workgroup_id_z 0
		.amdhsa_system_sgpr_workgroup_info 0
		.amdhsa_system_vgpr_workitem_id 0
		.amdhsa_next_free_vgpr 47
		.amdhsa_next_free_sgpr 42
		.amdhsa_accum_offset 48
		.amdhsa_reserve_vcc 1
		.amdhsa_reserve_flat_scratch 0
		.amdhsa_float_round_mode_32 0
		.amdhsa_float_round_mode_16_64 0
		.amdhsa_float_denorm_mode_32 3
		.amdhsa_float_denorm_mode_16_64 3
		.amdhsa_dx10_clamp 1
		.amdhsa_ieee_mode 1
		.amdhsa_fp16_overflow 0
		.amdhsa_tg_split 0
		.amdhsa_exception_fp_ieee_invalid_op 0
		.amdhsa_exception_fp_denorm_src 0
		.amdhsa_exception_fp_ieee_div_zero 0
		.amdhsa_exception_fp_ieee_overflow 0
		.amdhsa_exception_fp_ieee_underflow 0
		.amdhsa_exception_fp_ieee_inexact 0
		.amdhsa_exception_int_div_zero 0
	.end_amdhsa_kernel
	.section	.text._ZN7rocprim17ROCPRIM_400000_NS6detail17trampoline_kernelINS0_14default_configENS1_25partition_config_selectorILNS1_17partition_subalgoE1ExNS0_10empty_typeEbEEZZNS1_14partition_implILS5_1ELb0ES3_jN6thrust23THRUST_200600_302600_NS6detail15normal_iteratorINSA_10device_ptrIxEEEEPS6_NSA_18transform_iteratorI7is_evenIxESF_NSA_11use_defaultESK_EENS0_5tupleIJNSA_16discard_iteratorISK_EESF_EEENSM_IJSG_SG_EEES6_PlJS6_EEE10hipError_tPvRmT3_T4_T5_T6_T7_T9_mT8_P12ihipStream_tbDpT10_ENKUlT_T0_E_clISt17integral_constantIbLb0EES1A_IbLb1EEEEDaS16_S17_EUlS16_E_NS1_11comp_targetILNS1_3genE4ELNS1_11target_archE910ELNS1_3gpuE8ELNS1_3repE0EEENS1_30default_config_static_selectorELNS0_4arch9wavefront6targetE1EEEvT1_,"axG",@progbits,_ZN7rocprim17ROCPRIM_400000_NS6detail17trampoline_kernelINS0_14default_configENS1_25partition_config_selectorILNS1_17partition_subalgoE1ExNS0_10empty_typeEbEEZZNS1_14partition_implILS5_1ELb0ES3_jN6thrust23THRUST_200600_302600_NS6detail15normal_iteratorINSA_10device_ptrIxEEEEPS6_NSA_18transform_iteratorI7is_evenIxESF_NSA_11use_defaultESK_EENS0_5tupleIJNSA_16discard_iteratorISK_EESF_EEENSM_IJSG_SG_EEES6_PlJS6_EEE10hipError_tPvRmT3_T4_T5_T6_T7_T9_mT8_P12ihipStream_tbDpT10_ENKUlT_T0_E_clISt17integral_constantIbLb0EES1A_IbLb1EEEEDaS16_S17_EUlS16_E_NS1_11comp_targetILNS1_3genE4ELNS1_11target_archE910ELNS1_3gpuE8ELNS1_3repE0EEENS1_30default_config_static_selectorELNS0_4arch9wavefront6targetE1EEEvT1_,comdat
.Lfunc_end3253:
	.size	_ZN7rocprim17ROCPRIM_400000_NS6detail17trampoline_kernelINS0_14default_configENS1_25partition_config_selectorILNS1_17partition_subalgoE1ExNS0_10empty_typeEbEEZZNS1_14partition_implILS5_1ELb0ES3_jN6thrust23THRUST_200600_302600_NS6detail15normal_iteratorINSA_10device_ptrIxEEEEPS6_NSA_18transform_iteratorI7is_evenIxESF_NSA_11use_defaultESK_EENS0_5tupleIJNSA_16discard_iteratorISK_EESF_EEENSM_IJSG_SG_EEES6_PlJS6_EEE10hipError_tPvRmT3_T4_T5_T6_T7_T9_mT8_P12ihipStream_tbDpT10_ENKUlT_T0_E_clISt17integral_constantIbLb0EES1A_IbLb1EEEEDaS16_S17_EUlS16_E_NS1_11comp_targetILNS1_3genE4ELNS1_11target_archE910ELNS1_3gpuE8ELNS1_3repE0EEENS1_30default_config_static_selectorELNS0_4arch9wavefront6targetE1EEEvT1_, .Lfunc_end3253-_ZN7rocprim17ROCPRIM_400000_NS6detail17trampoline_kernelINS0_14default_configENS1_25partition_config_selectorILNS1_17partition_subalgoE1ExNS0_10empty_typeEbEEZZNS1_14partition_implILS5_1ELb0ES3_jN6thrust23THRUST_200600_302600_NS6detail15normal_iteratorINSA_10device_ptrIxEEEEPS6_NSA_18transform_iteratorI7is_evenIxESF_NSA_11use_defaultESK_EENS0_5tupleIJNSA_16discard_iteratorISK_EESF_EEENSM_IJSG_SG_EEES6_PlJS6_EEE10hipError_tPvRmT3_T4_T5_T6_T7_T9_mT8_P12ihipStream_tbDpT10_ENKUlT_T0_E_clISt17integral_constantIbLb0EES1A_IbLb1EEEEDaS16_S17_EUlS16_E_NS1_11comp_targetILNS1_3genE4ELNS1_11target_archE910ELNS1_3gpuE8ELNS1_3repE0EEENS1_30default_config_static_selectorELNS0_4arch9wavefront6targetE1EEEvT1_
                                        ; -- End function
	.section	.AMDGPU.csdata,"",@progbits
; Kernel info:
; codeLenInByte = 4116
; NumSgprs: 46
; NumVgprs: 47
; NumAgprs: 0
; TotalNumVgprs: 47
; ScratchSize: 0
; MemoryBound: 0
; FloatMode: 240
; IeeeMode: 1
; LDSByteSize: 6344 bytes/workgroup (compile time only)
; SGPRBlocks: 5
; VGPRBlocks: 5
; NumSGPRsForWavesPerEU: 46
; NumVGPRsForWavesPerEU: 47
; AccumOffset: 48
; Occupancy: 8
; WaveLimiterHint : 1
; COMPUTE_PGM_RSRC2:SCRATCH_EN: 0
; COMPUTE_PGM_RSRC2:USER_SGPR: 6
; COMPUTE_PGM_RSRC2:TRAP_HANDLER: 0
; COMPUTE_PGM_RSRC2:TGID_X_EN: 1
; COMPUTE_PGM_RSRC2:TGID_Y_EN: 0
; COMPUTE_PGM_RSRC2:TGID_Z_EN: 0
; COMPUTE_PGM_RSRC2:TIDIG_COMP_CNT: 0
; COMPUTE_PGM_RSRC3_GFX90A:ACCUM_OFFSET: 11
; COMPUTE_PGM_RSRC3_GFX90A:TG_SPLIT: 0
	.section	.text._ZN7rocprim17ROCPRIM_400000_NS6detail17trampoline_kernelINS0_14default_configENS1_25partition_config_selectorILNS1_17partition_subalgoE1ExNS0_10empty_typeEbEEZZNS1_14partition_implILS5_1ELb0ES3_jN6thrust23THRUST_200600_302600_NS6detail15normal_iteratorINSA_10device_ptrIxEEEEPS6_NSA_18transform_iteratorI7is_evenIxESF_NSA_11use_defaultESK_EENS0_5tupleIJNSA_16discard_iteratorISK_EESF_EEENSM_IJSG_SG_EEES6_PlJS6_EEE10hipError_tPvRmT3_T4_T5_T6_T7_T9_mT8_P12ihipStream_tbDpT10_ENKUlT_T0_E_clISt17integral_constantIbLb0EES1A_IbLb1EEEEDaS16_S17_EUlS16_E_NS1_11comp_targetILNS1_3genE3ELNS1_11target_archE908ELNS1_3gpuE7ELNS1_3repE0EEENS1_30default_config_static_selectorELNS0_4arch9wavefront6targetE1EEEvT1_,"axG",@progbits,_ZN7rocprim17ROCPRIM_400000_NS6detail17trampoline_kernelINS0_14default_configENS1_25partition_config_selectorILNS1_17partition_subalgoE1ExNS0_10empty_typeEbEEZZNS1_14partition_implILS5_1ELb0ES3_jN6thrust23THRUST_200600_302600_NS6detail15normal_iteratorINSA_10device_ptrIxEEEEPS6_NSA_18transform_iteratorI7is_evenIxESF_NSA_11use_defaultESK_EENS0_5tupleIJNSA_16discard_iteratorISK_EESF_EEENSM_IJSG_SG_EEES6_PlJS6_EEE10hipError_tPvRmT3_T4_T5_T6_T7_T9_mT8_P12ihipStream_tbDpT10_ENKUlT_T0_E_clISt17integral_constantIbLb0EES1A_IbLb1EEEEDaS16_S17_EUlS16_E_NS1_11comp_targetILNS1_3genE3ELNS1_11target_archE908ELNS1_3gpuE7ELNS1_3repE0EEENS1_30default_config_static_selectorELNS0_4arch9wavefront6targetE1EEEvT1_,comdat
	.protected	_ZN7rocprim17ROCPRIM_400000_NS6detail17trampoline_kernelINS0_14default_configENS1_25partition_config_selectorILNS1_17partition_subalgoE1ExNS0_10empty_typeEbEEZZNS1_14partition_implILS5_1ELb0ES3_jN6thrust23THRUST_200600_302600_NS6detail15normal_iteratorINSA_10device_ptrIxEEEEPS6_NSA_18transform_iteratorI7is_evenIxESF_NSA_11use_defaultESK_EENS0_5tupleIJNSA_16discard_iteratorISK_EESF_EEENSM_IJSG_SG_EEES6_PlJS6_EEE10hipError_tPvRmT3_T4_T5_T6_T7_T9_mT8_P12ihipStream_tbDpT10_ENKUlT_T0_E_clISt17integral_constantIbLb0EES1A_IbLb1EEEEDaS16_S17_EUlS16_E_NS1_11comp_targetILNS1_3genE3ELNS1_11target_archE908ELNS1_3gpuE7ELNS1_3repE0EEENS1_30default_config_static_selectorELNS0_4arch9wavefront6targetE1EEEvT1_ ; -- Begin function _ZN7rocprim17ROCPRIM_400000_NS6detail17trampoline_kernelINS0_14default_configENS1_25partition_config_selectorILNS1_17partition_subalgoE1ExNS0_10empty_typeEbEEZZNS1_14partition_implILS5_1ELb0ES3_jN6thrust23THRUST_200600_302600_NS6detail15normal_iteratorINSA_10device_ptrIxEEEEPS6_NSA_18transform_iteratorI7is_evenIxESF_NSA_11use_defaultESK_EENS0_5tupleIJNSA_16discard_iteratorISK_EESF_EEENSM_IJSG_SG_EEES6_PlJS6_EEE10hipError_tPvRmT3_T4_T5_T6_T7_T9_mT8_P12ihipStream_tbDpT10_ENKUlT_T0_E_clISt17integral_constantIbLb0EES1A_IbLb1EEEEDaS16_S17_EUlS16_E_NS1_11comp_targetILNS1_3genE3ELNS1_11target_archE908ELNS1_3gpuE7ELNS1_3repE0EEENS1_30default_config_static_selectorELNS0_4arch9wavefront6targetE1EEEvT1_
	.globl	_ZN7rocprim17ROCPRIM_400000_NS6detail17trampoline_kernelINS0_14default_configENS1_25partition_config_selectorILNS1_17partition_subalgoE1ExNS0_10empty_typeEbEEZZNS1_14partition_implILS5_1ELb0ES3_jN6thrust23THRUST_200600_302600_NS6detail15normal_iteratorINSA_10device_ptrIxEEEEPS6_NSA_18transform_iteratorI7is_evenIxESF_NSA_11use_defaultESK_EENS0_5tupleIJNSA_16discard_iteratorISK_EESF_EEENSM_IJSG_SG_EEES6_PlJS6_EEE10hipError_tPvRmT3_T4_T5_T6_T7_T9_mT8_P12ihipStream_tbDpT10_ENKUlT_T0_E_clISt17integral_constantIbLb0EES1A_IbLb1EEEEDaS16_S17_EUlS16_E_NS1_11comp_targetILNS1_3genE3ELNS1_11target_archE908ELNS1_3gpuE7ELNS1_3repE0EEENS1_30default_config_static_selectorELNS0_4arch9wavefront6targetE1EEEvT1_
	.p2align	8
	.type	_ZN7rocprim17ROCPRIM_400000_NS6detail17trampoline_kernelINS0_14default_configENS1_25partition_config_selectorILNS1_17partition_subalgoE1ExNS0_10empty_typeEbEEZZNS1_14partition_implILS5_1ELb0ES3_jN6thrust23THRUST_200600_302600_NS6detail15normal_iteratorINSA_10device_ptrIxEEEEPS6_NSA_18transform_iteratorI7is_evenIxESF_NSA_11use_defaultESK_EENS0_5tupleIJNSA_16discard_iteratorISK_EESF_EEENSM_IJSG_SG_EEES6_PlJS6_EEE10hipError_tPvRmT3_T4_T5_T6_T7_T9_mT8_P12ihipStream_tbDpT10_ENKUlT_T0_E_clISt17integral_constantIbLb0EES1A_IbLb1EEEEDaS16_S17_EUlS16_E_NS1_11comp_targetILNS1_3genE3ELNS1_11target_archE908ELNS1_3gpuE7ELNS1_3repE0EEENS1_30default_config_static_selectorELNS0_4arch9wavefront6targetE1EEEvT1_,@function
_ZN7rocprim17ROCPRIM_400000_NS6detail17trampoline_kernelINS0_14default_configENS1_25partition_config_selectorILNS1_17partition_subalgoE1ExNS0_10empty_typeEbEEZZNS1_14partition_implILS5_1ELb0ES3_jN6thrust23THRUST_200600_302600_NS6detail15normal_iteratorINSA_10device_ptrIxEEEEPS6_NSA_18transform_iteratorI7is_evenIxESF_NSA_11use_defaultESK_EENS0_5tupleIJNSA_16discard_iteratorISK_EESF_EEENSM_IJSG_SG_EEES6_PlJS6_EEE10hipError_tPvRmT3_T4_T5_T6_T7_T9_mT8_P12ihipStream_tbDpT10_ENKUlT_T0_E_clISt17integral_constantIbLb0EES1A_IbLb1EEEEDaS16_S17_EUlS16_E_NS1_11comp_targetILNS1_3genE3ELNS1_11target_archE908ELNS1_3gpuE7ELNS1_3repE0EEENS1_30default_config_static_selectorELNS0_4arch9wavefront6targetE1EEEvT1_: ; @_ZN7rocprim17ROCPRIM_400000_NS6detail17trampoline_kernelINS0_14default_configENS1_25partition_config_selectorILNS1_17partition_subalgoE1ExNS0_10empty_typeEbEEZZNS1_14partition_implILS5_1ELb0ES3_jN6thrust23THRUST_200600_302600_NS6detail15normal_iteratorINSA_10device_ptrIxEEEEPS6_NSA_18transform_iteratorI7is_evenIxESF_NSA_11use_defaultESK_EENS0_5tupleIJNSA_16discard_iteratorISK_EESF_EEENSM_IJSG_SG_EEES6_PlJS6_EEE10hipError_tPvRmT3_T4_T5_T6_T7_T9_mT8_P12ihipStream_tbDpT10_ENKUlT_T0_E_clISt17integral_constantIbLb0EES1A_IbLb1EEEEDaS16_S17_EUlS16_E_NS1_11comp_targetILNS1_3genE3ELNS1_11target_archE908ELNS1_3gpuE7ELNS1_3repE0EEENS1_30default_config_static_selectorELNS0_4arch9wavefront6targetE1EEEvT1_
; %bb.0:
	.section	.rodata,"a",@progbits
	.p2align	6, 0x0
	.amdhsa_kernel _ZN7rocprim17ROCPRIM_400000_NS6detail17trampoline_kernelINS0_14default_configENS1_25partition_config_selectorILNS1_17partition_subalgoE1ExNS0_10empty_typeEbEEZZNS1_14partition_implILS5_1ELb0ES3_jN6thrust23THRUST_200600_302600_NS6detail15normal_iteratorINSA_10device_ptrIxEEEEPS6_NSA_18transform_iteratorI7is_evenIxESF_NSA_11use_defaultESK_EENS0_5tupleIJNSA_16discard_iteratorISK_EESF_EEENSM_IJSG_SG_EEES6_PlJS6_EEE10hipError_tPvRmT3_T4_T5_T6_T7_T9_mT8_P12ihipStream_tbDpT10_ENKUlT_T0_E_clISt17integral_constantIbLb0EES1A_IbLb1EEEEDaS16_S17_EUlS16_E_NS1_11comp_targetILNS1_3genE3ELNS1_11target_archE908ELNS1_3gpuE7ELNS1_3repE0EEENS1_30default_config_static_selectorELNS0_4arch9wavefront6targetE1EEEvT1_
		.amdhsa_group_segment_fixed_size 0
		.amdhsa_private_segment_fixed_size 0
		.amdhsa_kernarg_size 152
		.amdhsa_user_sgpr_count 6
		.amdhsa_user_sgpr_private_segment_buffer 1
		.amdhsa_user_sgpr_dispatch_ptr 0
		.amdhsa_user_sgpr_queue_ptr 0
		.amdhsa_user_sgpr_kernarg_segment_ptr 1
		.amdhsa_user_sgpr_dispatch_id 0
		.amdhsa_user_sgpr_flat_scratch_init 0
		.amdhsa_user_sgpr_kernarg_preload_length 0
		.amdhsa_user_sgpr_kernarg_preload_offset 0
		.amdhsa_user_sgpr_private_segment_size 0
		.amdhsa_uses_dynamic_stack 0
		.amdhsa_system_sgpr_private_segment_wavefront_offset 0
		.amdhsa_system_sgpr_workgroup_id_x 1
		.amdhsa_system_sgpr_workgroup_id_y 0
		.amdhsa_system_sgpr_workgroup_id_z 0
		.amdhsa_system_sgpr_workgroup_info 0
		.amdhsa_system_vgpr_workitem_id 0
		.amdhsa_next_free_vgpr 1
		.amdhsa_next_free_sgpr 0
		.amdhsa_accum_offset 4
		.amdhsa_reserve_vcc 0
		.amdhsa_reserve_flat_scratch 0
		.amdhsa_float_round_mode_32 0
		.amdhsa_float_round_mode_16_64 0
		.amdhsa_float_denorm_mode_32 3
		.amdhsa_float_denorm_mode_16_64 3
		.amdhsa_dx10_clamp 1
		.amdhsa_ieee_mode 1
		.amdhsa_fp16_overflow 0
		.amdhsa_tg_split 0
		.amdhsa_exception_fp_ieee_invalid_op 0
		.amdhsa_exception_fp_denorm_src 0
		.amdhsa_exception_fp_ieee_div_zero 0
		.amdhsa_exception_fp_ieee_overflow 0
		.amdhsa_exception_fp_ieee_underflow 0
		.amdhsa_exception_fp_ieee_inexact 0
		.amdhsa_exception_int_div_zero 0
	.end_amdhsa_kernel
	.section	.text._ZN7rocprim17ROCPRIM_400000_NS6detail17trampoline_kernelINS0_14default_configENS1_25partition_config_selectorILNS1_17partition_subalgoE1ExNS0_10empty_typeEbEEZZNS1_14partition_implILS5_1ELb0ES3_jN6thrust23THRUST_200600_302600_NS6detail15normal_iteratorINSA_10device_ptrIxEEEEPS6_NSA_18transform_iteratorI7is_evenIxESF_NSA_11use_defaultESK_EENS0_5tupleIJNSA_16discard_iteratorISK_EESF_EEENSM_IJSG_SG_EEES6_PlJS6_EEE10hipError_tPvRmT3_T4_T5_T6_T7_T9_mT8_P12ihipStream_tbDpT10_ENKUlT_T0_E_clISt17integral_constantIbLb0EES1A_IbLb1EEEEDaS16_S17_EUlS16_E_NS1_11comp_targetILNS1_3genE3ELNS1_11target_archE908ELNS1_3gpuE7ELNS1_3repE0EEENS1_30default_config_static_selectorELNS0_4arch9wavefront6targetE1EEEvT1_,"axG",@progbits,_ZN7rocprim17ROCPRIM_400000_NS6detail17trampoline_kernelINS0_14default_configENS1_25partition_config_selectorILNS1_17partition_subalgoE1ExNS0_10empty_typeEbEEZZNS1_14partition_implILS5_1ELb0ES3_jN6thrust23THRUST_200600_302600_NS6detail15normal_iteratorINSA_10device_ptrIxEEEEPS6_NSA_18transform_iteratorI7is_evenIxESF_NSA_11use_defaultESK_EENS0_5tupleIJNSA_16discard_iteratorISK_EESF_EEENSM_IJSG_SG_EEES6_PlJS6_EEE10hipError_tPvRmT3_T4_T5_T6_T7_T9_mT8_P12ihipStream_tbDpT10_ENKUlT_T0_E_clISt17integral_constantIbLb0EES1A_IbLb1EEEEDaS16_S17_EUlS16_E_NS1_11comp_targetILNS1_3genE3ELNS1_11target_archE908ELNS1_3gpuE7ELNS1_3repE0EEENS1_30default_config_static_selectorELNS0_4arch9wavefront6targetE1EEEvT1_,comdat
.Lfunc_end3254:
	.size	_ZN7rocprim17ROCPRIM_400000_NS6detail17trampoline_kernelINS0_14default_configENS1_25partition_config_selectorILNS1_17partition_subalgoE1ExNS0_10empty_typeEbEEZZNS1_14partition_implILS5_1ELb0ES3_jN6thrust23THRUST_200600_302600_NS6detail15normal_iteratorINSA_10device_ptrIxEEEEPS6_NSA_18transform_iteratorI7is_evenIxESF_NSA_11use_defaultESK_EENS0_5tupleIJNSA_16discard_iteratorISK_EESF_EEENSM_IJSG_SG_EEES6_PlJS6_EEE10hipError_tPvRmT3_T4_T5_T6_T7_T9_mT8_P12ihipStream_tbDpT10_ENKUlT_T0_E_clISt17integral_constantIbLb0EES1A_IbLb1EEEEDaS16_S17_EUlS16_E_NS1_11comp_targetILNS1_3genE3ELNS1_11target_archE908ELNS1_3gpuE7ELNS1_3repE0EEENS1_30default_config_static_selectorELNS0_4arch9wavefront6targetE1EEEvT1_, .Lfunc_end3254-_ZN7rocprim17ROCPRIM_400000_NS6detail17trampoline_kernelINS0_14default_configENS1_25partition_config_selectorILNS1_17partition_subalgoE1ExNS0_10empty_typeEbEEZZNS1_14partition_implILS5_1ELb0ES3_jN6thrust23THRUST_200600_302600_NS6detail15normal_iteratorINSA_10device_ptrIxEEEEPS6_NSA_18transform_iteratorI7is_evenIxESF_NSA_11use_defaultESK_EENS0_5tupleIJNSA_16discard_iteratorISK_EESF_EEENSM_IJSG_SG_EEES6_PlJS6_EEE10hipError_tPvRmT3_T4_T5_T6_T7_T9_mT8_P12ihipStream_tbDpT10_ENKUlT_T0_E_clISt17integral_constantIbLb0EES1A_IbLb1EEEEDaS16_S17_EUlS16_E_NS1_11comp_targetILNS1_3genE3ELNS1_11target_archE908ELNS1_3gpuE7ELNS1_3repE0EEENS1_30default_config_static_selectorELNS0_4arch9wavefront6targetE1EEEvT1_
                                        ; -- End function
	.section	.AMDGPU.csdata,"",@progbits
; Kernel info:
; codeLenInByte = 0
; NumSgprs: 4
; NumVgprs: 0
; NumAgprs: 0
; TotalNumVgprs: 0
; ScratchSize: 0
; MemoryBound: 0
; FloatMode: 240
; IeeeMode: 1
; LDSByteSize: 0 bytes/workgroup (compile time only)
; SGPRBlocks: 0
; VGPRBlocks: 0
; NumSGPRsForWavesPerEU: 4
; NumVGPRsForWavesPerEU: 1
; AccumOffset: 4
; Occupancy: 8
; WaveLimiterHint : 0
; COMPUTE_PGM_RSRC2:SCRATCH_EN: 0
; COMPUTE_PGM_RSRC2:USER_SGPR: 6
; COMPUTE_PGM_RSRC2:TRAP_HANDLER: 0
; COMPUTE_PGM_RSRC2:TGID_X_EN: 1
; COMPUTE_PGM_RSRC2:TGID_Y_EN: 0
; COMPUTE_PGM_RSRC2:TGID_Z_EN: 0
; COMPUTE_PGM_RSRC2:TIDIG_COMP_CNT: 0
; COMPUTE_PGM_RSRC3_GFX90A:ACCUM_OFFSET: 0
; COMPUTE_PGM_RSRC3_GFX90A:TG_SPLIT: 0
	.section	.text._ZN7rocprim17ROCPRIM_400000_NS6detail17trampoline_kernelINS0_14default_configENS1_25partition_config_selectorILNS1_17partition_subalgoE1ExNS0_10empty_typeEbEEZZNS1_14partition_implILS5_1ELb0ES3_jN6thrust23THRUST_200600_302600_NS6detail15normal_iteratorINSA_10device_ptrIxEEEEPS6_NSA_18transform_iteratorI7is_evenIxESF_NSA_11use_defaultESK_EENS0_5tupleIJNSA_16discard_iteratorISK_EESF_EEENSM_IJSG_SG_EEES6_PlJS6_EEE10hipError_tPvRmT3_T4_T5_T6_T7_T9_mT8_P12ihipStream_tbDpT10_ENKUlT_T0_E_clISt17integral_constantIbLb0EES1A_IbLb1EEEEDaS16_S17_EUlS16_E_NS1_11comp_targetILNS1_3genE2ELNS1_11target_archE906ELNS1_3gpuE6ELNS1_3repE0EEENS1_30default_config_static_selectorELNS0_4arch9wavefront6targetE1EEEvT1_,"axG",@progbits,_ZN7rocprim17ROCPRIM_400000_NS6detail17trampoline_kernelINS0_14default_configENS1_25partition_config_selectorILNS1_17partition_subalgoE1ExNS0_10empty_typeEbEEZZNS1_14partition_implILS5_1ELb0ES3_jN6thrust23THRUST_200600_302600_NS6detail15normal_iteratorINSA_10device_ptrIxEEEEPS6_NSA_18transform_iteratorI7is_evenIxESF_NSA_11use_defaultESK_EENS0_5tupleIJNSA_16discard_iteratorISK_EESF_EEENSM_IJSG_SG_EEES6_PlJS6_EEE10hipError_tPvRmT3_T4_T5_T6_T7_T9_mT8_P12ihipStream_tbDpT10_ENKUlT_T0_E_clISt17integral_constantIbLb0EES1A_IbLb1EEEEDaS16_S17_EUlS16_E_NS1_11comp_targetILNS1_3genE2ELNS1_11target_archE906ELNS1_3gpuE6ELNS1_3repE0EEENS1_30default_config_static_selectorELNS0_4arch9wavefront6targetE1EEEvT1_,comdat
	.protected	_ZN7rocprim17ROCPRIM_400000_NS6detail17trampoline_kernelINS0_14default_configENS1_25partition_config_selectorILNS1_17partition_subalgoE1ExNS0_10empty_typeEbEEZZNS1_14partition_implILS5_1ELb0ES3_jN6thrust23THRUST_200600_302600_NS6detail15normal_iteratorINSA_10device_ptrIxEEEEPS6_NSA_18transform_iteratorI7is_evenIxESF_NSA_11use_defaultESK_EENS0_5tupleIJNSA_16discard_iteratorISK_EESF_EEENSM_IJSG_SG_EEES6_PlJS6_EEE10hipError_tPvRmT3_T4_T5_T6_T7_T9_mT8_P12ihipStream_tbDpT10_ENKUlT_T0_E_clISt17integral_constantIbLb0EES1A_IbLb1EEEEDaS16_S17_EUlS16_E_NS1_11comp_targetILNS1_3genE2ELNS1_11target_archE906ELNS1_3gpuE6ELNS1_3repE0EEENS1_30default_config_static_selectorELNS0_4arch9wavefront6targetE1EEEvT1_ ; -- Begin function _ZN7rocprim17ROCPRIM_400000_NS6detail17trampoline_kernelINS0_14default_configENS1_25partition_config_selectorILNS1_17partition_subalgoE1ExNS0_10empty_typeEbEEZZNS1_14partition_implILS5_1ELb0ES3_jN6thrust23THRUST_200600_302600_NS6detail15normal_iteratorINSA_10device_ptrIxEEEEPS6_NSA_18transform_iteratorI7is_evenIxESF_NSA_11use_defaultESK_EENS0_5tupleIJNSA_16discard_iteratorISK_EESF_EEENSM_IJSG_SG_EEES6_PlJS6_EEE10hipError_tPvRmT3_T4_T5_T6_T7_T9_mT8_P12ihipStream_tbDpT10_ENKUlT_T0_E_clISt17integral_constantIbLb0EES1A_IbLb1EEEEDaS16_S17_EUlS16_E_NS1_11comp_targetILNS1_3genE2ELNS1_11target_archE906ELNS1_3gpuE6ELNS1_3repE0EEENS1_30default_config_static_selectorELNS0_4arch9wavefront6targetE1EEEvT1_
	.globl	_ZN7rocprim17ROCPRIM_400000_NS6detail17trampoline_kernelINS0_14default_configENS1_25partition_config_selectorILNS1_17partition_subalgoE1ExNS0_10empty_typeEbEEZZNS1_14partition_implILS5_1ELb0ES3_jN6thrust23THRUST_200600_302600_NS6detail15normal_iteratorINSA_10device_ptrIxEEEEPS6_NSA_18transform_iteratorI7is_evenIxESF_NSA_11use_defaultESK_EENS0_5tupleIJNSA_16discard_iteratorISK_EESF_EEENSM_IJSG_SG_EEES6_PlJS6_EEE10hipError_tPvRmT3_T4_T5_T6_T7_T9_mT8_P12ihipStream_tbDpT10_ENKUlT_T0_E_clISt17integral_constantIbLb0EES1A_IbLb1EEEEDaS16_S17_EUlS16_E_NS1_11comp_targetILNS1_3genE2ELNS1_11target_archE906ELNS1_3gpuE6ELNS1_3repE0EEENS1_30default_config_static_selectorELNS0_4arch9wavefront6targetE1EEEvT1_
	.p2align	8
	.type	_ZN7rocprim17ROCPRIM_400000_NS6detail17trampoline_kernelINS0_14default_configENS1_25partition_config_selectorILNS1_17partition_subalgoE1ExNS0_10empty_typeEbEEZZNS1_14partition_implILS5_1ELb0ES3_jN6thrust23THRUST_200600_302600_NS6detail15normal_iteratorINSA_10device_ptrIxEEEEPS6_NSA_18transform_iteratorI7is_evenIxESF_NSA_11use_defaultESK_EENS0_5tupleIJNSA_16discard_iteratorISK_EESF_EEENSM_IJSG_SG_EEES6_PlJS6_EEE10hipError_tPvRmT3_T4_T5_T6_T7_T9_mT8_P12ihipStream_tbDpT10_ENKUlT_T0_E_clISt17integral_constantIbLb0EES1A_IbLb1EEEEDaS16_S17_EUlS16_E_NS1_11comp_targetILNS1_3genE2ELNS1_11target_archE906ELNS1_3gpuE6ELNS1_3repE0EEENS1_30default_config_static_selectorELNS0_4arch9wavefront6targetE1EEEvT1_,@function
_ZN7rocprim17ROCPRIM_400000_NS6detail17trampoline_kernelINS0_14default_configENS1_25partition_config_selectorILNS1_17partition_subalgoE1ExNS0_10empty_typeEbEEZZNS1_14partition_implILS5_1ELb0ES3_jN6thrust23THRUST_200600_302600_NS6detail15normal_iteratorINSA_10device_ptrIxEEEEPS6_NSA_18transform_iteratorI7is_evenIxESF_NSA_11use_defaultESK_EENS0_5tupleIJNSA_16discard_iteratorISK_EESF_EEENSM_IJSG_SG_EEES6_PlJS6_EEE10hipError_tPvRmT3_T4_T5_T6_T7_T9_mT8_P12ihipStream_tbDpT10_ENKUlT_T0_E_clISt17integral_constantIbLb0EES1A_IbLb1EEEEDaS16_S17_EUlS16_E_NS1_11comp_targetILNS1_3genE2ELNS1_11target_archE906ELNS1_3gpuE6ELNS1_3repE0EEENS1_30default_config_static_selectorELNS0_4arch9wavefront6targetE1EEEvT1_: ; @_ZN7rocprim17ROCPRIM_400000_NS6detail17trampoline_kernelINS0_14default_configENS1_25partition_config_selectorILNS1_17partition_subalgoE1ExNS0_10empty_typeEbEEZZNS1_14partition_implILS5_1ELb0ES3_jN6thrust23THRUST_200600_302600_NS6detail15normal_iteratorINSA_10device_ptrIxEEEEPS6_NSA_18transform_iteratorI7is_evenIxESF_NSA_11use_defaultESK_EENS0_5tupleIJNSA_16discard_iteratorISK_EESF_EEENSM_IJSG_SG_EEES6_PlJS6_EEE10hipError_tPvRmT3_T4_T5_T6_T7_T9_mT8_P12ihipStream_tbDpT10_ENKUlT_T0_E_clISt17integral_constantIbLb0EES1A_IbLb1EEEEDaS16_S17_EUlS16_E_NS1_11comp_targetILNS1_3genE2ELNS1_11target_archE906ELNS1_3gpuE6ELNS1_3repE0EEENS1_30default_config_static_selectorELNS0_4arch9wavefront6targetE1EEEvT1_
; %bb.0:
	.section	.rodata,"a",@progbits
	.p2align	6, 0x0
	.amdhsa_kernel _ZN7rocprim17ROCPRIM_400000_NS6detail17trampoline_kernelINS0_14default_configENS1_25partition_config_selectorILNS1_17partition_subalgoE1ExNS0_10empty_typeEbEEZZNS1_14partition_implILS5_1ELb0ES3_jN6thrust23THRUST_200600_302600_NS6detail15normal_iteratorINSA_10device_ptrIxEEEEPS6_NSA_18transform_iteratorI7is_evenIxESF_NSA_11use_defaultESK_EENS0_5tupleIJNSA_16discard_iteratorISK_EESF_EEENSM_IJSG_SG_EEES6_PlJS6_EEE10hipError_tPvRmT3_T4_T5_T6_T7_T9_mT8_P12ihipStream_tbDpT10_ENKUlT_T0_E_clISt17integral_constantIbLb0EES1A_IbLb1EEEEDaS16_S17_EUlS16_E_NS1_11comp_targetILNS1_3genE2ELNS1_11target_archE906ELNS1_3gpuE6ELNS1_3repE0EEENS1_30default_config_static_selectorELNS0_4arch9wavefront6targetE1EEEvT1_
		.amdhsa_group_segment_fixed_size 0
		.amdhsa_private_segment_fixed_size 0
		.amdhsa_kernarg_size 152
		.amdhsa_user_sgpr_count 6
		.amdhsa_user_sgpr_private_segment_buffer 1
		.amdhsa_user_sgpr_dispatch_ptr 0
		.amdhsa_user_sgpr_queue_ptr 0
		.amdhsa_user_sgpr_kernarg_segment_ptr 1
		.amdhsa_user_sgpr_dispatch_id 0
		.amdhsa_user_sgpr_flat_scratch_init 0
		.amdhsa_user_sgpr_kernarg_preload_length 0
		.amdhsa_user_sgpr_kernarg_preload_offset 0
		.amdhsa_user_sgpr_private_segment_size 0
		.amdhsa_uses_dynamic_stack 0
		.amdhsa_system_sgpr_private_segment_wavefront_offset 0
		.amdhsa_system_sgpr_workgroup_id_x 1
		.amdhsa_system_sgpr_workgroup_id_y 0
		.amdhsa_system_sgpr_workgroup_id_z 0
		.amdhsa_system_sgpr_workgroup_info 0
		.amdhsa_system_vgpr_workitem_id 0
		.amdhsa_next_free_vgpr 1
		.amdhsa_next_free_sgpr 0
		.amdhsa_accum_offset 4
		.amdhsa_reserve_vcc 0
		.amdhsa_reserve_flat_scratch 0
		.amdhsa_float_round_mode_32 0
		.amdhsa_float_round_mode_16_64 0
		.amdhsa_float_denorm_mode_32 3
		.amdhsa_float_denorm_mode_16_64 3
		.amdhsa_dx10_clamp 1
		.amdhsa_ieee_mode 1
		.amdhsa_fp16_overflow 0
		.amdhsa_tg_split 0
		.amdhsa_exception_fp_ieee_invalid_op 0
		.amdhsa_exception_fp_denorm_src 0
		.amdhsa_exception_fp_ieee_div_zero 0
		.amdhsa_exception_fp_ieee_overflow 0
		.amdhsa_exception_fp_ieee_underflow 0
		.amdhsa_exception_fp_ieee_inexact 0
		.amdhsa_exception_int_div_zero 0
	.end_amdhsa_kernel
	.section	.text._ZN7rocprim17ROCPRIM_400000_NS6detail17trampoline_kernelINS0_14default_configENS1_25partition_config_selectorILNS1_17partition_subalgoE1ExNS0_10empty_typeEbEEZZNS1_14partition_implILS5_1ELb0ES3_jN6thrust23THRUST_200600_302600_NS6detail15normal_iteratorINSA_10device_ptrIxEEEEPS6_NSA_18transform_iteratorI7is_evenIxESF_NSA_11use_defaultESK_EENS0_5tupleIJNSA_16discard_iteratorISK_EESF_EEENSM_IJSG_SG_EEES6_PlJS6_EEE10hipError_tPvRmT3_T4_T5_T6_T7_T9_mT8_P12ihipStream_tbDpT10_ENKUlT_T0_E_clISt17integral_constantIbLb0EES1A_IbLb1EEEEDaS16_S17_EUlS16_E_NS1_11comp_targetILNS1_3genE2ELNS1_11target_archE906ELNS1_3gpuE6ELNS1_3repE0EEENS1_30default_config_static_selectorELNS0_4arch9wavefront6targetE1EEEvT1_,"axG",@progbits,_ZN7rocprim17ROCPRIM_400000_NS6detail17trampoline_kernelINS0_14default_configENS1_25partition_config_selectorILNS1_17partition_subalgoE1ExNS0_10empty_typeEbEEZZNS1_14partition_implILS5_1ELb0ES3_jN6thrust23THRUST_200600_302600_NS6detail15normal_iteratorINSA_10device_ptrIxEEEEPS6_NSA_18transform_iteratorI7is_evenIxESF_NSA_11use_defaultESK_EENS0_5tupleIJNSA_16discard_iteratorISK_EESF_EEENSM_IJSG_SG_EEES6_PlJS6_EEE10hipError_tPvRmT3_T4_T5_T6_T7_T9_mT8_P12ihipStream_tbDpT10_ENKUlT_T0_E_clISt17integral_constantIbLb0EES1A_IbLb1EEEEDaS16_S17_EUlS16_E_NS1_11comp_targetILNS1_3genE2ELNS1_11target_archE906ELNS1_3gpuE6ELNS1_3repE0EEENS1_30default_config_static_selectorELNS0_4arch9wavefront6targetE1EEEvT1_,comdat
.Lfunc_end3255:
	.size	_ZN7rocprim17ROCPRIM_400000_NS6detail17trampoline_kernelINS0_14default_configENS1_25partition_config_selectorILNS1_17partition_subalgoE1ExNS0_10empty_typeEbEEZZNS1_14partition_implILS5_1ELb0ES3_jN6thrust23THRUST_200600_302600_NS6detail15normal_iteratorINSA_10device_ptrIxEEEEPS6_NSA_18transform_iteratorI7is_evenIxESF_NSA_11use_defaultESK_EENS0_5tupleIJNSA_16discard_iteratorISK_EESF_EEENSM_IJSG_SG_EEES6_PlJS6_EEE10hipError_tPvRmT3_T4_T5_T6_T7_T9_mT8_P12ihipStream_tbDpT10_ENKUlT_T0_E_clISt17integral_constantIbLb0EES1A_IbLb1EEEEDaS16_S17_EUlS16_E_NS1_11comp_targetILNS1_3genE2ELNS1_11target_archE906ELNS1_3gpuE6ELNS1_3repE0EEENS1_30default_config_static_selectorELNS0_4arch9wavefront6targetE1EEEvT1_, .Lfunc_end3255-_ZN7rocprim17ROCPRIM_400000_NS6detail17trampoline_kernelINS0_14default_configENS1_25partition_config_selectorILNS1_17partition_subalgoE1ExNS0_10empty_typeEbEEZZNS1_14partition_implILS5_1ELb0ES3_jN6thrust23THRUST_200600_302600_NS6detail15normal_iteratorINSA_10device_ptrIxEEEEPS6_NSA_18transform_iteratorI7is_evenIxESF_NSA_11use_defaultESK_EENS0_5tupleIJNSA_16discard_iteratorISK_EESF_EEENSM_IJSG_SG_EEES6_PlJS6_EEE10hipError_tPvRmT3_T4_T5_T6_T7_T9_mT8_P12ihipStream_tbDpT10_ENKUlT_T0_E_clISt17integral_constantIbLb0EES1A_IbLb1EEEEDaS16_S17_EUlS16_E_NS1_11comp_targetILNS1_3genE2ELNS1_11target_archE906ELNS1_3gpuE6ELNS1_3repE0EEENS1_30default_config_static_selectorELNS0_4arch9wavefront6targetE1EEEvT1_
                                        ; -- End function
	.section	.AMDGPU.csdata,"",@progbits
; Kernel info:
; codeLenInByte = 0
; NumSgprs: 4
; NumVgprs: 0
; NumAgprs: 0
; TotalNumVgprs: 0
; ScratchSize: 0
; MemoryBound: 0
; FloatMode: 240
; IeeeMode: 1
; LDSByteSize: 0 bytes/workgroup (compile time only)
; SGPRBlocks: 0
; VGPRBlocks: 0
; NumSGPRsForWavesPerEU: 4
; NumVGPRsForWavesPerEU: 1
; AccumOffset: 4
; Occupancy: 8
; WaveLimiterHint : 0
; COMPUTE_PGM_RSRC2:SCRATCH_EN: 0
; COMPUTE_PGM_RSRC2:USER_SGPR: 6
; COMPUTE_PGM_RSRC2:TRAP_HANDLER: 0
; COMPUTE_PGM_RSRC2:TGID_X_EN: 1
; COMPUTE_PGM_RSRC2:TGID_Y_EN: 0
; COMPUTE_PGM_RSRC2:TGID_Z_EN: 0
; COMPUTE_PGM_RSRC2:TIDIG_COMP_CNT: 0
; COMPUTE_PGM_RSRC3_GFX90A:ACCUM_OFFSET: 0
; COMPUTE_PGM_RSRC3_GFX90A:TG_SPLIT: 0
	.section	.text._ZN7rocprim17ROCPRIM_400000_NS6detail17trampoline_kernelINS0_14default_configENS1_25partition_config_selectorILNS1_17partition_subalgoE1ExNS0_10empty_typeEbEEZZNS1_14partition_implILS5_1ELb0ES3_jN6thrust23THRUST_200600_302600_NS6detail15normal_iteratorINSA_10device_ptrIxEEEEPS6_NSA_18transform_iteratorI7is_evenIxESF_NSA_11use_defaultESK_EENS0_5tupleIJNSA_16discard_iteratorISK_EESF_EEENSM_IJSG_SG_EEES6_PlJS6_EEE10hipError_tPvRmT3_T4_T5_T6_T7_T9_mT8_P12ihipStream_tbDpT10_ENKUlT_T0_E_clISt17integral_constantIbLb0EES1A_IbLb1EEEEDaS16_S17_EUlS16_E_NS1_11comp_targetILNS1_3genE10ELNS1_11target_archE1200ELNS1_3gpuE4ELNS1_3repE0EEENS1_30default_config_static_selectorELNS0_4arch9wavefront6targetE1EEEvT1_,"axG",@progbits,_ZN7rocprim17ROCPRIM_400000_NS6detail17trampoline_kernelINS0_14default_configENS1_25partition_config_selectorILNS1_17partition_subalgoE1ExNS0_10empty_typeEbEEZZNS1_14partition_implILS5_1ELb0ES3_jN6thrust23THRUST_200600_302600_NS6detail15normal_iteratorINSA_10device_ptrIxEEEEPS6_NSA_18transform_iteratorI7is_evenIxESF_NSA_11use_defaultESK_EENS0_5tupleIJNSA_16discard_iteratorISK_EESF_EEENSM_IJSG_SG_EEES6_PlJS6_EEE10hipError_tPvRmT3_T4_T5_T6_T7_T9_mT8_P12ihipStream_tbDpT10_ENKUlT_T0_E_clISt17integral_constantIbLb0EES1A_IbLb1EEEEDaS16_S17_EUlS16_E_NS1_11comp_targetILNS1_3genE10ELNS1_11target_archE1200ELNS1_3gpuE4ELNS1_3repE0EEENS1_30default_config_static_selectorELNS0_4arch9wavefront6targetE1EEEvT1_,comdat
	.protected	_ZN7rocprim17ROCPRIM_400000_NS6detail17trampoline_kernelINS0_14default_configENS1_25partition_config_selectorILNS1_17partition_subalgoE1ExNS0_10empty_typeEbEEZZNS1_14partition_implILS5_1ELb0ES3_jN6thrust23THRUST_200600_302600_NS6detail15normal_iteratorINSA_10device_ptrIxEEEEPS6_NSA_18transform_iteratorI7is_evenIxESF_NSA_11use_defaultESK_EENS0_5tupleIJNSA_16discard_iteratorISK_EESF_EEENSM_IJSG_SG_EEES6_PlJS6_EEE10hipError_tPvRmT3_T4_T5_T6_T7_T9_mT8_P12ihipStream_tbDpT10_ENKUlT_T0_E_clISt17integral_constantIbLb0EES1A_IbLb1EEEEDaS16_S17_EUlS16_E_NS1_11comp_targetILNS1_3genE10ELNS1_11target_archE1200ELNS1_3gpuE4ELNS1_3repE0EEENS1_30default_config_static_selectorELNS0_4arch9wavefront6targetE1EEEvT1_ ; -- Begin function _ZN7rocprim17ROCPRIM_400000_NS6detail17trampoline_kernelINS0_14default_configENS1_25partition_config_selectorILNS1_17partition_subalgoE1ExNS0_10empty_typeEbEEZZNS1_14partition_implILS5_1ELb0ES3_jN6thrust23THRUST_200600_302600_NS6detail15normal_iteratorINSA_10device_ptrIxEEEEPS6_NSA_18transform_iteratorI7is_evenIxESF_NSA_11use_defaultESK_EENS0_5tupleIJNSA_16discard_iteratorISK_EESF_EEENSM_IJSG_SG_EEES6_PlJS6_EEE10hipError_tPvRmT3_T4_T5_T6_T7_T9_mT8_P12ihipStream_tbDpT10_ENKUlT_T0_E_clISt17integral_constantIbLb0EES1A_IbLb1EEEEDaS16_S17_EUlS16_E_NS1_11comp_targetILNS1_3genE10ELNS1_11target_archE1200ELNS1_3gpuE4ELNS1_3repE0EEENS1_30default_config_static_selectorELNS0_4arch9wavefront6targetE1EEEvT1_
	.globl	_ZN7rocprim17ROCPRIM_400000_NS6detail17trampoline_kernelINS0_14default_configENS1_25partition_config_selectorILNS1_17partition_subalgoE1ExNS0_10empty_typeEbEEZZNS1_14partition_implILS5_1ELb0ES3_jN6thrust23THRUST_200600_302600_NS6detail15normal_iteratorINSA_10device_ptrIxEEEEPS6_NSA_18transform_iteratorI7is_evenIxESF_NSA_11use_defaultESK_EENS0_5tupleIJNSA_16discard_iteratorISK_EESF_EEENSM_IJSG_SG_EEES6_PlJS6_EEE10hipError_tPvRmT3_T4_T5_T6_T7_T9_mT8_P12ihipStream_tbDpT10_ENKUlT_T0_E_clISt17integral_constantIbLb0EES1A_IbLb1EEEEDaS16_S17_EUlS16_E_NS1_11comp_targetILNS1_3genE10ELNS1_11target_archE1200ELNS1_3gpuE4ELNS1_3repE0EEENS1_30default_config_static_selectorELNS0_4arch9wavefront6targetE1EEEvT1_
	.p2align	8
	.type	_ZN7rocprim17ROCPRIM_400000_NS6detail17trampoline_kernelINS0_14default_configENS1_25partition_config_selectorILNS1_17partition_subalgoE1ExNS0_10empty_typeEbEEZZNS1_14partition_implILS5_1ELb0ES3_jN6thrust23THRUST_200600_302600_NS6detail15normal_iteratorINSA_10device_ptrIxEEEEPS6_NSA_18transform_iteratorI7is_evenIxESF_NSA_11use_defaultESK_EENS0_5tupleIJNSA_16discard_iteratorISK_EESF_EEENSM_IJSG_SG_EEES6_PlJS6_EEE10hipError_tPvRmT3_T4_T5_T6_T7_T9_mT8_P12ihipStream_tbDpT10_ENKUlT_T0_E_clISt17integral_constantIbLb0EES1A_IbLb1EEEEDaS16_S17_EUlS16_E_NS1_11comp_targetILNS1_3genE10ELNS1_11target_archE1200ELNS1_3gpuE4ELNS1_3repE0EEENS1_30default_config_static_selectorELNS0_4arch9wavefront6targetE1EEEvT1_,@function
_ZN7rocprim17ROCPRIM_400000_NS6detail17trampoline_kernelINS0_14default_configENS1_25partition_config_selectorILNS1_17partition_subalgoE1ExNS0_10empty_typeEbEEZZNS1_14partition_implILS5_1ELb0ES3_jN6thrust23THRUST_200600_302600_NS6detail15normal_iteratorINSA_10device_ptrIxEEEEPS6_NSA_18transform_iteratorI7is_evenIxESF_NSA_11use_defaultESK_EENS0_5tupleIJNSA_16discard_iteratorISK_EESF_EEENSM_IJSG_SG_EEES6_PlJS6_EEE10hipError_tPvRmT3_T4_T5_T6_T7_T9_mT8_P12ihipStream_tbDpT10_ENKUlT_T0_E_clISt17integral_constantIbLb0EES1A_IbLb1EEEEDaS16_S17_EUlS16_E_NS1_11comp_targetILNS1_3genE10ELNS1_11target_archE1200ELNS1_3gpuE4ELNS1_3repE0EEENS1_30default_config_static_selectorELNS0_4arch9wavefront6targetE1EEEvT1_: ; @_ZN7rocprim17ROCPRIM_400000_NS6detail17trampoline_kernelINS0_14default_configENS1_25partition_config_selectorILNS1_17partition_subalgoE1ExNS0_10empty_typeEbEEZZNS1_14partition_implILS5_1ELb0ES3_jN6thrust23THRUST_200600_302600_NS6detail15normal_iteratorINSA_10device_ptrIxEEEEPS6_NSA_18transform_iteratorI7is_evenIxESF_NSA_11use_defaultESK_EENS0_5tupleIJNSA_16discard_iteratorISK_EESF_EEENSM_IJSG_SG_EEES6_PlJS6_EEE10hipError_tPvRmT3_T4_T5_T6_T7_T9_mT8_P12ihipStream_tbDpT10_ENKUlT_T0_E_clISt17integral_constantIbLb0EES1A_IbLb1EEEEDaS16_S17_EUlS16_E_NS1_11comp_targetILNS1_3genE10ELNS1_11target_archE1200ELNS1_3gpuE4ELNS1_3repE0EEENS1_30default_config_static_selectorELNS0_4arch9wavefront6targetE1EEEvT1_
; %bb.0:
	.section	.rodata,"a",@progbits
	.p2align	6, 0x0
	.amdhsa_kernel _ZN7rocprim17ROCPRIM_400000_NS6detail17trampoline_kernelINS0_14default_configENS1_25partition_config_selectorILNS1_17partition_subalgoE1ExNS0_10empty_typeEbEEZZNS1_14partition_implILS5_1ELb0ES3_jN6thrust23THRUST_200600_302600_NS6detail15normal_iteratorINSA_10device_ptrIxEEEEPS6_NSA_18transform_iteratorI7is_evenIxESF_NSA_11use_defaultESK_EENS0_5tupleIJNSA_16discard_iteratorISK_EESF_EEENSM_IJSG_SG_EEES6_PlJS6_EEE10hipError_tPvRmT3_T4_T5_T6_T7_T9_mT8_P12ihipStream_tbDpT10_ENKUlT_T0_E_clISt17integral_constantIbLb0EES1A_IbLb1EEEEDaS16_S17_EUlS16_E_NS1_11comp_targetILNS1_3genE10ELNS1_11target_archE1200ELNS1_3gpuE4ELNS1_3repE0EEENS1_30default_config_static_selectorELNS0_4arch9wavefront6targetE1EEEvT1_
		.amdhsa_group_segment_fixed_size 0
		.amdhsa_private_segment_fixed_size 0
		.amdhsa_kernarg_size 152
		.amdhsa_user_sgpr_count 6
		.amdhsa_user_sgpr_private_segment_buffer 1
		.amdhsa_user_sgpr_dispatch_ptr 0
		.amdhsa_user_sgpr_queue_ptr 0
		.amdhsa_user_sgpr_kernarg_segment_ptr 1
		.amdhsa_user_sgpr_dispatch_id 0
		.amdhsa_user_sgpr_flat_scratch_init 0
		.amdhsa_user_sgpr_kernarg_preload_length 0
		.amdhsa_user_sgpr_kernarg_preload_offset 0
		.amdhsa_user_sgpr_private_segment_size 0
		.amdhsa_uses_dynamic_stack 0
		.amdhsa_system_sgpr_private_segment_wavefront_offset 0
		.amdhsa_system_sgpr_workgroup_id_x 1
		.amdhsa_system_sgpr_workgroup_id_y 0
		.amdhsa_system_sgpr_workgroup_id_z 0
		.amdhsa_system_sgpr_workgroup_info 0
		.amdhsa_system_vgpr_workitem_id 0
		.amdhsa_next_free_vgpr 1
		.amdhsa_next_free_sgpr 0
		.amdhsa_accum_offset 4
		.amdhsa_reserve_vcc 0
		.amdhsa_reserve_flat_scratch 0
		.amdhsa_float_round_mode_32 0
		.amdhsa_float_round_mode_16_64 0
		.amdhsa_float_denorm_mode_32 3
		.amdhsa_float_denorm_mode_16_64 3
		.amdhsa_dx10_clamp 1
		.amdhsa_ieee_mode 1
		.amdhsa_fp16_overflow 0
		.amdhsa_tg_split 0
		.amdhsa_exception_fp_ieee_invalid_op 0
		.amdhsa_exception_fp_denorm_src 0
		.amdhsa_exception_fp_ieee_div_zero 0
		.amdhsa_exception_fp_ieee_overflow 0
		.amdhsa_exception_fp_ieee_underflow 0
		.amdhsa_exception_fp_ieee_inexact 0
		.amdhsa_exception_int_div_zero 0
	.end_amdhsa_kernel
	.section	.text._ZN7rocprim17ROCPRIM_400000_NS6detail17trampoline_kernelINS0_14default_configENS1_25partition_config_selectorILNS1_17partition_subalgoE1ExNS0_10empty_typeEbEEZZNS1_14partition_implILS5_1ELb0ES3_jN6thrust23THRUST_200600_302600_NS6detail15normal_iteratorINSA_10device_ptrIxEEEEPS6_NSA_18transform_iteratorI7is_evenIxESF_NSA_11use_defaultESK_EENS0_5tupleIJNSA_16discard_iteratorISK_EESF_EEENSM_IJSG_SG_EEES6_PlJS6_EEE10hipError_tPvRmT3_T4_T5_T6_T7_T9_mT8_P12ihipStream_tbDpT10_ENKUlT_T0_E_clISt17integral_constantIbLb0EES1A_IbLb1EEEEDaS16_S17_EUlS16_E_NS1_11comp_targetILNS1_3genE10ELNS1_11target_archE1200ELNS1_3gpuE4ELNS1_3repE0EEENS1_30default_config_static_selectorELNS0_4arch9wavefront6targetE1EEEvT1_,"axG",@progbits,_ZN7rocprim17ROCPRIM_400000_NS6detail17trampoline_kernelINS0_14default_configENS1_25partition_config_selectorILNS1_17partition_subalgoE1ExNS0_10empty_typeEbEEZZNS1_14partition_implILS5_1ELb0ES3_jN6thrust23THRUST_200600_302600_NS6detail15normal_iteratorINSA_10device_ptrIxEEEEPS6_NSA_18transform_iteratorI7is_evenIxESF_NSA_11use_defaultESK_EENS0_5tupleIJNSA_16discard_iteratorISK_EESF_EEENSM_IJSG_SG_EEES6_PlJS6_EEE10hipError_tPvRmT3_T4_T5_T6_T7_T9_mT8_P12ihipStream_tbDpT10_ENKUlT_T0_E_clISt17integral_constantIbLb0EES1A_IbLb1EEEEDaS16_S17_EUlS16_E_NS1_11comp_targetILNS1_3genE10ELNS1_11target_archE1200ELNS1_3gpuE4ELNS1_3repE0EEENS1_30default_config_static_selectorELNS0_4arch9wavefront6targetE1EEEvT1_,comdat
.Lfunc_end3256:
	.size	_ZN7rocprim17ROCPRIM_400000_NS6detail17trampoline_kernelINS0_14default_configENS1_25partition_config_selectorILNS1_17partition_subalgoE1ExNS0_10empty_typeEbEEZZNS1_14partition_implILS5_1ELb0ES3_jN6thrust23THRUST_200600_302600_NS6detail15normal_iteratorINSA_10device_ptrIxEEEEPS6_NSA_18transform_iteratorI7is_evenIxESF_NSA_11use_defaultESK_EENS0_5tupleIJNSA_16discard_iteratorISK_EESF_EEENSM_IJSG_SG_EEES6_PlJS6_EEE10hipError_tPvRmT3_T4_T5_T6_T7_T9_mT8_P12ihipStream_tbDpT10_ENKUlT_T0_E_clISt17integral_constantIbLb0EES1A_IbLb1EEEEDaS16_S17_EUlS16_E_NS1_11comp_targetILNS1_3genE10ELNS1_11target_archE1200ELNS1_3gpuE4ELNS1_3repE0EEENS1_30default_config_static_selectorELNS0_4arch9wavefront6targetE1EEEvT1_, .Lfunc_end3256-_ZN7rocprim17ROCPRIM_400000_NS6detail17trampoline_kernelINS0_14default_configENS1_25partition_config_selectorILNS1_17partition_subalgoE1ExNS0_10empty_typeEbEEZZNS1_14partition_implILS5_1ELb0ES3_jN6thrust23THRUST_200600_302600_NS6detail15normal_iteratorINSA_10device_ptrIxEEEEPS6_NSA_18transform_iteratorI7is_evenIxESF_NSA_11use_defaultESK_EENS0_5tupleIJNSA_16discard_iteratorISK_EESF_EEENSM_IJSG_SG_EEES6_PlJS6_EEE10hipError_tPvRmT3_T4_T5_T6_T7_T9_mT8_P12ihipStream_tbDpT10_ENKUlT_T0_E_clISt17integral_constantIbLb0EES1A_IbLb1EEEEDaS16_S17_EUlS16_E_NS1_11comp_targetILNS1_3genE10ELNS1_11target_archE1200ELNS1_3gpuE4ELNS1_3repE0EEENS1_30default_config_static_selectorELNS0_4arch9wavefront6targetE1EEEvT1_
                                        ; -- End function
	.section	.AMDGPU.csdata,"",@progbits
; Kernel info:
; codeLenInByte = 0
; NumSgprs: 4
; NumVgprs: 0
; NumAgprs: 0
; TotalNumVgprs: 0
; ScratchSize: 0
; MemoryBound: 0
; FloatMode: 240
; IeeeMode: 1
; LDSByteSize: 0 bytes/workgroup (compile time only)
; SGPRBlocks: 0
; VGPRBlocks: 0
; NumSGPRsForWavesPerEU: 4
; NumVGPRsForWavesPerEU: 1
; AccumOffset: 4
; Occupancy: 8
; WaveLimiterHint : 0
; COMPUTE_PGM_RSRC2:SCRATCH_EN: 0
; COMPUTE_PGM_RSRC2:USER_SGPR: 6
; COMPUTE_PGM_RSRC2:TRAP_HANDLER: 0
; COMPUTE_PGM_RSRC2:TGID_X_EN: 1
; COMPUTE_PGM_RSRC2:TGID_Y_EN: 0
; COMPUTE_PGM_RSRC2:TGID_Z_EN: 0
; COMPUTE_PGM_RSRC2:TIDIG_COMP_CNT: 0
; COMPUTE_PGM_RSRC3_GFX90A:ACCUM_OFFSET: 0
; COMPUTE_PGM_RSRC3_GFX90A:TG_SPLIT: 0
	.section	.text._ZN7rocprim17ROCPRIM_400000_NS6detail17trampoline_kernelINS0_14default_configENS1_25partition_config_selectorILNS1_17partition_subalgoE1ExNS0_10empty_typeEbEEZZNS1_14partition_implILS5_1ELb0ES3_jN6thrust23THRUST_200600_302600_NS6detail15normal_iteratorINSA_10device_ptrIxEEEEPS6_NSA_18transform_iteratorI7is_evenIxESF_NSA_11use_defaultESK_EENS0_5tupleIJNSA_16discard_iteratorISK_EESF_EEENSM_IJSG_SG_EEES6_PlJS6_EEE10hipError_tPvRmT3_T4_T5_T6_T7_T9_mT8_P12ihipStream_tbDpT10_ENKUlT_T0_E_clISt17integral_constantIbLb0EES1A_IbLb1EEEEDaS16_S17_EUlS16_E_NS1_11comp_targetILNS1_3genE9ELNS1_11target_archE1100ELNS1_3gpuE3ELNS1_3repE0EEENS1_30default_config_static_selectorELNS0_4arch9wavefront6targetE1EEEvT1_,"axG",@progbits,_ZN7rocprim17ROCPRIM_400000_NS6detail17trampoline_kernelINS0_14default_configENS1_25partition_config_selectorILNS1_17partition_subalgoE1ExNS0_10empty_typeEbEEZZNS1_14partition_implILS5_1ELb0ES3_jN6thrust23THRUST_200600_302600_NS6detail15normal_iteratorINSA_10device_ptrIxEEEEPS6_NSA_18transform_iteratorI7is_evenIxESF_NSA_11use_defaultESK_EENS0_5tupleIJNSA_16discard_iteratorISK_EESF_EEENSM_IJSG_SG_EEES6_PlJS6_EEE10hipError_tPvRmT3_T4_T5_T6_T7_T9_mT8_P12ihipStream_tbDpT10_ENKUlT_T0_E_clISt17integral_constantIbLb0EES1A_IbLb1EEEEDaS16_S17_EUlS16_E_NS1_11comp_targetILNS1_3genE9ELNS1_11target_archE1100ELNS1_3gpuE3ELNS1_3repE0EEENS1_30default_config_static_selectorELNS0_4arch9wavefront6targetE1EEEvT1_,comdat
	.protected	_ZN7rocprim17ROCPRIM_400000_NS6detail17trampoline_kernelINS0_14default_configENS1_25partition_config_selectorILNS1_17partition_subalgoE1ExNS0_10empty_typeEbEEZZNS1_14partition_implILS5_1ELb0ES3_jN6thrust23THRUST_200600_302600_NS6detail15normal_iteratorINSA_10device_ptrIxEEEEPS6_NSA_18transform_iteratorI7is_evenIxESF_NSA_11use_defaultESK_EENS0_5tupleIJNSA_16discard_iteratorISK_EESF_EEENSM_IJSG_SG_EEES6_PlJS6_EEE10hipError_tPvRmT3_T4_T5_T6_T7_T9_mT8_P12ihipStream_tbDpT10_ENKUlT_T0_E_clISt17integral_constantIbLb0EES1A_IbLb1EEEEDaS16_S17_EUlS16_E_NS1_11comp_targetILNS1_3genE9ELNS1_11target_archE1100ELNS1_3gpuE3ELNS1_3repE0EEENS1_30default_config_static_selectorELNS0_4arch9wavefront6targetE1EEEvT1_ ; -- Begin function _ZN7rocprim17ROCPRIM_400000_NS6detail17trampoline_kernelINS0_14default_configENS1_25partition_config_selectorILNS1_17partition_subalgoE1ExNS0_10empty_typeEbEEZZNS1_14partition_implILS5_1ELb0ES3_jN6thrust23THRUST_200600_302600_NS6detail15normal_iteratorINSA_10device_ptrIxEEEEPS6_NSA_18transform_iteratorI7is_evenIxESF_NSA_11use_defaultESK_EENS0_5tupleIJNSA_16discard_iteratorISK_EESF_EEENSM_IJSG_SG_EEES6_PlJS6_EEE10hipError_tPvRmT3_T4_T5_T6_T7_T9_mT8_P12ihipStream_tbDpT10_ENKUlT_T0_E_clISt17integral_constantIbLb0EES1A_IbLb1EEEEDaS16_S17_EUlS16_E_NS1_11comp_targetILNS1_3genE9ELNS1_11target_archE1100ELNS1_3gpuE3ELNS1_3repE0EEENS1_30default_config_static_selectorELNS0_4arch9wavefront6targetE1EEEvT1_
	.globl	_ZN7rocprim17ROCPRIM_400000_NS6detail17trampoline_kernelINS0_14default_configENS1_25partition_config_selectorILNS1_17partition_subalgoE1ExNS0_10empty_typeEbEEZZNS1_14partition_implILS5_1ELb0ES3_jN6thrust23THRUST_200600_302600_NS6detail15normal_iteratorINSA_10device_ptrIxEEEEPS6_NSA_18transform_iteratorI7is_evenIxESF_NSA_11use_defaultESK_EENS0_5tupleIJNSA_16discard_iteratorISK_EESF_EEENSM_IJSG_SG_EEES6_PlJS6_EEE10hipError_tPvRmT3_T4_T5_T6_T7_T9_mT8_P12ihipStream_tbDpT10_ENKUlT_T0_E_clISt17integral_constantIbLb0EES1A_IbLb1EEEEDaS16_S17_EUlS16_E_NS1_11comp_targetILNS1_3genE9ELNS1_11target_archE1100ELNS1_3gpuE3ELNS1_3repE0EEENS1_30default_config_static_selectorELNS0_4arch9wavefront6targetE1EEEvT1_
	.p2align	8
	.type	_ZN7rocprim17ROCPRIM_400000_NS6detail17trampoline_kernelINS0_14default_configENS1_25partition_config_selectorILNS1_17partition_subalgoE1ExNS0_10empty_typeEbEEZZNS1_14partition_implILS5_1ELb0ES3_jN6thrust23THRUST_200600_302600_NS6detail15normal_iteratorINSA_10device_ptrIxEEEEPS6_NSA_18transform_iteratorI7is_evenIxESF_NSA_11use_defaultESK_EENS0_5tupleIJNSA_16discard_iteratorISK_EESF_EEENSM_IJSG_SG_EEES6_PlJS6_EEE10hipError_tPvRmT3_T4_T5_T6_T7_T9_mT8_P12ihipStream_tbDpT10_ENKUlT_T0_E_clISt17integral_constantIbLb0EES1A_IbLb1EEEEDaS16_S17_EUlS16_E_NS1_11comp_targetILNS1_3genE9ELNS1_11target_archE1100ELNS1_3gpuE3ELNS1_3repE0EEENS1_30default_config_static_selectorELNS0_4arch9wavefront6targetE1EEEvT1_,@function
_ZN7rocprim17ROCPRIM_400000_NS6detail17trampoline_kernelINS0_14default_configENS1_25partition_config_selectorILNS1_17partition_subalgoE1ExNS0_10empty_typeEbEEZZNS1_14partition_implILS5_1ELb0ES3_jN6thrust23THRUST_200600_302600_NS6detail15normal_iteratorINSA_10device_ptrIxEEEEPS6_NSA_18transform_iteratorI7is_evenIxESF_NSA_11use_defaultESK_EENS0_5tupleIJNSA_16discard_iteratorISK_EESF_EEENSM_IJSG_SG_EEES6_PlJS6_EEE10hipError_tPvRmT3_T4_T5_T6_T7_T9_mT8_P12ihipStream_tbDpT10_ENKUlT_T0_E_clISt17integral_constantIbLb0EES1A_IbLb1EEEEDaS16_S17_EUlS16_E_NS1_11comp_targetILNS1_3genE9ELNS1_11target_archE1100ELNS1_3gpuE3ELNS1_3repE0EEENS1_30default_config_static_selectorELNS0_4arch9wavefront6targetE1EEEvT1_: ; @_ZN7rocprim17ROCPRIM_400000_NS6detail17trampoline_kernelINS0_14default_configENS1_25partition_config_selectorILNS1_17partition_subalgoE1ExNS0_10empty_typeEbEEZZNS1_14partition_implILS5_1ELb0ES3_jN6thrust23THRUST_200600_302600_NS6detail15normal_iteratorINSA_10device_ptrIxEEEEPS6_NSA_18transform_iteratorI7is_evenIxESF_NSA_11use_defaultESK_EENS0_5tupleIJNSA_16discard_iteratorISK_EESF_EEENSM_IJSG_SG_EEES6_PlJS6_EEE10hipError_tPvRmT3_T4_T5_T6_T7_T9_mT8_P12ihipStream_tbDpT10_ENKUlT_T0_E_clISt17integral_constantIbLb0EES1A_IbLb1EEEEDaS16_S17_EUlS16_E_NS1_11comp_targetILNS1_3genE9ELNS1_11target_archE1100ELNS1_3gpuE3ELNS1_3repE0EEENS1_30default_config_static_selectorELNS0_4arch9wavefront6targetE1EEEvT1_
; %bb.0:
	.section	.rodata,"a",@progbits
	.p2align	6, 0x0
	.amdhsa_kernel _ZN7rocprim17ROCPRIM_400000_NS6detail17trampoline_kernelINS0_14default_configENS1_25partition_config_selectorILNS1_17partition_subalgoE1ExNS0_10empty_typeEbEEZZNS1_14partition_implILS5_1ELb0ES3_jN6thrust23THRUST_200600_302600_NS6detail15normal_iteratorINSA_10device_ptrIxEEEEPS6_NSA_18transform_iteratorI7is_evenIxESF_NSA_11use_defaultESK_EENS0_5tupleIJNSA_16discard_iteratorISK_EESF_EEENSM_IJSG_SG_EEES6_PlJS6_EEE10hipError_tPvRmT3_T4_T5_T6_T7_T9_mT8_P12ihipStream_tbDpT10_ENKUlT_T0_E_clISt17integral_constantIbLb0EES1A_IbLb1EEEEDaS16_S17_EUlS16_E_NS1_11comp_targetILNS1_3genE9ELNS1_11target_archE1100ELNS1_3gpuE3ELNS1_3repE0EEENS1_30default_config_static_selectorELNS0_4arch9wavefront6targetE1EEEvT1_
		.amdhsa_group_segment_fixed_size 0
		.amdhsa_private_segment_fixed_size 0
		.amdhsa_kernarg_size 152
		.amdhsa_user_sgpr_count 6
		.amdhsa_user_sgpr_private_segment_buffer 1
		.amdhsa_user_sgpr_dispatch_ptr 0
		.amdhsa_user_sgpr_queue_ptr 0
		.amdhsa_user_sgpr_kernarg_segment_ptr 1
		.amdhsa_user_sgpr_dispatch_id 0
		.amdhsa_user_sgpr_flat_scratch_init 0
		.amdhsa_user_sgpr_kernarg_preload_length 0
		.amdhsa_user_sgpr_kernarg_preload_offset 0
		.amdhsa_user_sgpr_private_segment_size 0
		.amdhsa_uses_dynamic_stack 0
		.amdhsa_system_sgpr_private_segment_wavefront_offset 0
		.amdhsa_system_sgpr_workgroup_id_x 1
		.amdhsa_system_sgpr_workgroup_id_y 0
		.amdhsa_system_sgpr_workgroup_id_z 0
		.amdhsa_system_sgpr_workgroup_info 0
		.amdhsa_system_vgpr_workitem_id 0
		.amdhsa_next_free_vgpr 1
		.amdhsa_next_free_sgpr 0
		.amdhsa_accum_offset 4
		.amdhsa_reserve_vcc 0
		.amdhsa_reserve_flat_scratch 0
		.amdhsa_float_round_mode_32 0
		.amdhsa_float_round_mode_16_64 0
		.amdhsa_float_denorm_mode_32 3
		.amdhsa_float_denorm_mode_16_64 3
		.amdhsa_dx10_clamp 1
		.amdhsa_ieee_mode 1
		.amdhsa_fp16_overflow 0
		.amdhsa_tg_split 0
		.amdhsa_exception_fp_ieee_invalid_op 0
		.amdhsa_exception_fp_denorm_src 0
		.amdhsa_exception_fp_ieee_div_zero 0
		.amdhsa_exception_fp_ieee_overflow 0
		.amdhsa_exception_fp_ieee_underflow 0
		.amdhsa_exception_fp_ieee_inexact 0
		.amdhsa_exception_int_div_zero 0
	.end_amdhsa_kernel
	.section	.text._ZN7rocprim17ROCPRIM_400000_NS6detail17trampoline_kernelINS0_14default_configENS1_25partition_config_selectorILNS1_17partition_subalgoE1ExNS0_10empty_typeEbEEZZNS1_14partition_implILS5_1ELb0ES3_jN6thrust23THRUST_200600_302600_NS6detail15normal_iteratorINSA_10device_ptrIxEEEEPS6_NSA_18transform_iteratorI7is_evenIxESF_NSA_11use_defaultESK_EENS0_5tupleIJNSA_16discard_iteratorISK_EESF_EEENSM_IJSG_SG_EEES6_PlJS6_EEE10hipError_tPvRmT3_T4_T5_T6_T7_T9_mT8_P12ihipStream_tbDpT10_ENKUlT_T0_E_clISt17integral_constantIbLb0EES1A_IbLb1EEEEDaS16_S17_EUlS16_E_NS1_11comp_targetILNS1_3genE9ELNS1_11target_archE1100ELNS1_3gpuE3ELNS1_3repE0EEENS1_30default_config_static_selectorELNS0_4arch9wavefront6targetE1EEEvT1_,"axG",@progbits,_ZN7rocprim17ROCPRIM_400000_NS6detail17trampoline_kernelINS0_14default_configENS1_25partition_config_selectorILNS1_17partition_subalgoE1ExNS0_10empty_typeEbEEZZNS1_14partition_implILS5_1ELb0ES3_jN6thrust23THRUST_200600_302600_NS6detail15normal_iteratorINSA_10device_ptrIxEEEEPS6_NSA_18transform_iteratorI7is_evenIxESF_NSA_11use_defaultESK_EENS0_5tupleIJNSA_16discard_iteratorISK_EESF_EEENSM_IJSG_SG_EEES6_PlJS6_EEE10hipError_tPvRmT3_T4_T5_T6_T7_T9_mT8_P12ihipStream_tbDpT10_ENKUlT_T0_E_clISt17integral_constantIbLb0EES1A_IbLb1EEEEDaS16_S17_EUlS16_E_NS1_11comp_targetILNS1_3genE9ELNS1_11target_archE1100ELNS1_3gpuE3ELNS1_3repE0EEENS1_30default_config_static_selectorELNS0_4arch9wavefront6targetE1EEEvT1_,comdat
.Lfunc_end3257:
	.size	_ZN7rocprim17ROCPRIM_400000_NS6detail17trampoline_kernelINS0_14default_configENS1_25partition_config_selectorILNS1_17partition_subalgoE1ExNS0_10empty_typeEbEEZZNS1_14partition_implILS5_1ELb0ES3_jN6thrust23THRUST_200600_302600_NS6detail15normal_iteratorINSA_10device_ptrIxEEEEPS6_NSA_18transform_iteratorI7is_evenIxESF_NSA_11use_defaultESK_EENS0_5tupleIJNSA_16discard_iteratorISK_EESF_EEENSM_IJSG_SG_EEES6_PlJS6_EEE10hipError_tPvRmT3_T4_T5_T6_T7_T9_mT8_P12ihipStream_tbDpT10_ENKUlT_T0_E_clISt17integral_constantIbLb0EES1A_IbLb1EEEEDaS16_S17_EUlS16_E_NS1_11comp_targetILNS1_3genE9ELNS1_11target_archE1100ELNS1_3gpuE3ELNS1_3repE0EEENS1_30default_config_static_selectorELNS0_4arch9wavefront6targetE1EEEvT1_, .Lfunc_end3257-_ZN7rocprim17ROCPRIM_400000_NS6detail17trampoline_kernelINS0_14default_configENS1_25partition_config_selectorILNS1_17partition_subalgoE1ExNS0_10empty_typeEbEEZZNS1_14partition_implILS5_1ELb0ES3_jN6thrust23THRUST_200600_302600_NS6detail15normal_iteratorINSA_10device_ptrIxEEEEPS6_NSA_18transform_iteratorI7is_evenIxESF_NSA_11use_defaultESK_EENS0_5tupleIJNSA_16discard_iteratorISK_EESF_EEENSM_IJSG_SG_EEES6_PlJS6_EEE10hipError_tPvRmT3_T4_T5_T6_T7_T9_mT8_P12ihipStream_tbDpT10_ENKUlT_T0_E_clISt17integral_constantIbLb0EES1A_IbLb1EEEEDaS16_S17_EUlS16_E_NS1_11comp_targetILNS1_3genE9ELNS1_11target_archE1100ELNS1_3gpuE3ELNS1_3repE0EEENS1_30default_config_static_selectorELNS0_4arch9wavefront6targetE1EEEvT1_
                                        ; -- End function
	.section	.AMDGPU.csdata,"",@progbits
; Kernel info:
; codeLenInByte = 0
; NumSgprs: 4
; NumVgprs: 0
; NumAgprs: 0
; TotalNumVgprs: 0
; ScratchSize: 0
; MemoryBound: 0
; FloatMode: 240
; IeeeMode: 1
; LDSByteSize: 0 bytes/workgroup (compile time only)
; SGPRBlocks: 0
; VGPRBlocks: 0
; NumSGPRsForWavesPerEU: 4
; NumVGPRsForWavesPerEU: 1
; AccumOffset: 4
; Occupancy: 8
; WaveLimiterHint : 0
; COMPUTE_PGM_RSRC2:SCRATCH_EN: 0
; COMPUTE_PGM_RSRC2:USER_SGPR: 6
; COMPUTE_PGM_RSRC2:TRAP_HANDLER: 0
; COMPUTE_PGM_RSRC2:TGID_X_EN: 1
; COMPUTE_PGM_RSRC2:TGID_Y_EN: 0
; COMPUTE_PGM_RSRC2:TGID_Z_EN: 0
; COMPUTE_PGM_RSRC2:TIDIG_COMP_CNT: 0
; COMPUTE_PGM_RSRC3_GFX90A:ACCUM_OFFSET: 0
; COMPUTE_PGM_RSRC3_GFX90A:TG_SPLIT: 0
	.section	.text._ZN7rocprim17ROCPRIM_400000_NS6detail17trampoline_kernelINS0_14default_configENS1_25partition_config_selectorILNS1_17partition_subalgoE1ExNS0_10empty_typeEbEEZZNS1_14partition_implILS5_1ELb0ES3_jN6thrust23THRUST_200600_302600_NS6detail15normal_iteratorINSA_10device_ptrIxEEEEPS6_NSA_18transform_iteratorI7is_evenIxESF_NSA_11use_defaultESK_EENS0_5tupleIJNSA_16discard_iteratorISK_EESF_EEENSM_IJSG_SG_EEES6_PlJS6_EEE10hipError_tPvRmT3_T4_T5_T6_T7_T9_mT8_P12ihipStream_tbDpT10_ENKUlT_T0_E_clISt17integral_constantIbLb0EES1A_IbLb1EEEEDaS16_S17_EUlS16_E_NS1_11comp_targetILNS1_3genE8ELNS1_11target_archE1030ELNS1_3gpuE2ELNS1_3repE0EEENS1_30default_config_static_selectorELNS0_4arch9wavefront6targetE1EEEvT1_,"axG",@progbits,_ZN7rocprim17ROCPRIM_400000_NS6detail17trampoline_kernelINS0_14default_configENS1_25partition_config_selectorILNS1_17partition_subalgoE1ExNS0_10empty_typeEbEEZZNS1_14partition_implILS5_1ELb0ES3_jN6thrust23THRUST_200600_302600_NS6detail15normal_iteratorINSA_10device_ptrIxEEEEPS6_NSA_18transform_iteratorI7is_evenIxESF_NSA_11use_defaultESK_EENS0_5tupleIJNSA_16discard_iteratorISK_EESF_EEENSM_IJSG_SG_EEES6_PlJS6_EEE10hipError_tPvRmT3_T4_T5_T6_T7_T9_mT8_P12ihipStream_tbDpT10_ENKUlT_T0_E_clISt17integral_constantIbLb0EES1A_IbLb1EEEEDaS16_S17_EUlS16_E_NS1_11comp_targetILNS1_3genE8ELNS1_11target_archE1030ELNS1_3gpuE2ELNS1_3repE0EEENS1_30default_config_static_selectorELNS0_4arch9wavefront6targetE1EEEvT1_,comdat
	.protected	_ZN7rocprim17ROCPRIM_400000_NS6detail17trampoline_kernelINS0_14default_configENS1_25partition_config_selectorILNS1_17partition_subalgoE1ExNS0_10empty_typeEbEEZZNS1_14partition_implILS5_1ELb0ES3_jN6thrust23THRUST_200600_302600_NS6detail15normal_iteratorINSA_10device_ptrIxEEEEPS6_NSA_18transform_iteratorI7is_evenIxESF_NSA_11use_defaultESK_EENS0_5tupleIJNSA_16discard_iteratorISK_EESF_EEENSM_IJSG_SG_EEES6_PlJS6_EEE10hipError_tPvRmT3_T4_T5_T6_T7_T9_mT8_P12ihipStream_tbDpT10_ENKUlT_T0_E_clISt17integral_constantIbLb0EES1A_IbLb1EEEEDaS16_S17_EUlS16_E_NS1_11comp_targetILNS1_3genE8ELNS1_11target_archE1030ELNS1_3gpuE2ELNS1_3repE0EEENS1_30default_config_static_selectorELNS0_4arch9wavefront6targetE1EEEvT1_ ; -- Begin function _ZN7rocprim17ROCPRIM_400000_NS6detail17trampoline_kernelINS0_14default_configENS1_25partition_config_selectorILNS1_17partition_subalgoE1ExNS0_10empty_typeEbEEZZNS1_14partition_implILS5_1ELb0ES3_jN6thrust23THRUST_200600_302600_NS6detail15normal_iteratorINSA_10device_ptrIxEEEEPS6_NSA_18transform_iteratorI7is_evenIxESF_NSA_11use_defaultESK_EENS0_5tupleIJNSA_16discard_iteratorISK_EESF_EEENSM_IJSG_SG_EEES6_PlJS6_EEE10hipError_tPvRmT3_T4_T5_T6_T7_T9_mT8_P12ihipStream_tbDpT10_ENKUlT_T0_E_clISt17integral_constantIbLb0EES1A_IbLb1EEEEDaS16_S17_EUlS16_E_NS1_11comp_targetILNS1_3genE8ELNS1_11target_archE1030ELNS1_3gpuE2ELNS1_3repE0EEENS1_30default_config_static_selectorELNS0_4arch9wavefront6targetE1EEEvT1_
	.globl	_ZN7rocprim17ROCPRIM_400000_NS6detail17trampoline_kernelINS0_14default_configENS1_25partition_config_selectorILNS1_17partition_subalgoE1ExNS0_10empty_typeEbEEZZNS1_14partition_implILS5_1ELb0ES3_jN6thrust23THRUST_200600_302600_NS6detail15normal_iteratorINSA_10device_ptrIxEEEEPS6_NSA_18transform_iteratorI7is_evenIxESF_NSA_11use_defaultESK_EENS0_5tupleIJNSA_16discard_iteratorISK_EESF_EEENSM_IJSG_SG_EEES6_PlJS6_EEE10hipError_tPvRmT3_T4_T5_T6_T7_T9_mT8_P12ihipStream_tbDpT10_ENKUlT_T0_E_clISt17integral_constantIbLb0EES1A_IbLb1EEEEDaS16_S17_EUlS16_E_NS1_11comp_targetILNS1_3genE8ELNS1_11target_archE1030ELNS1_3gpuE2ELNS1_3repE0EEENS1_30default_config_static_selectorELNS0_4arch9wavefront6targetE1EEEvT1_
	.p2align	8
	.type	_ZN7rocprim17ROCPRIM_400000_NS6detail17trampoline_kernelINS0_14default_configENS1_25partition_config_selectorILNS1_17partition_subalgoE1ExNS0_10empty_typeEbEEZZNS1_14partition_implILS5_1ELb0ES3_jN6thrust23THRUST_200600_302600_NS6detail15normal_iteratorINSA_10device_ptrIxEEEEPS6_NSA_18transform_iteratorI7is_evenIxESF_NSA_11use_defaultESK_EENS0_5tupleIJNSA_16discard_iteratorISK_EESF_EEENSM_IJSG_SG_EEES6_PlJS6_EEE10hipError_tPvRmT3_T4_T5_T6_T7_T9_mT8_P12ihipStream_tbDpT10_ENKUlT_T0_E_clISt17integral_constantIbLb0EES1A_IbLb1EEEEDaS16_S17_EUlS16_E_NS1_11comp_targetILNS1_3genE8ELNS1_11target_archE1030ELNS1_3gpuE2ELNS1_3repE0EEENS1_30default_config_static_selectorELNS0_4arch9wavefront6targetE1EEEvT1_,@function
_ZN7rocprim17ROCPRIM_400000_NS6detail17trampoline_kernelINS0_14default_configENS1_25partition_config_selectorILNS1_17partition_subalgoE1ExNS0_10empty_typeEbEEZZNS1_14partition_implILS5_1ELb0ES3_jN6thrust23THRUST_200600_302600_NS6detail15normal_iteratorINSA_10device_ptrIxEEEEPS6_NSA_18transform_iteratorI7is_evenIxESF_NSA_11use_defaultESK_EENS0_5tupleIJNSA_16discard_iteratorISK_EESF_EEENSM_IJSG_SG_EEES6_PlJS6_EEE10hipError_tPvRmT3_T4_T5_T6_T7_T9_mT8_P12ihipStream_tbDpT10_ENKUlT_T0_E_clISt17integral_constantIbLb0EES1A_IbLb1EEEEDaS16_S17_EUlS16_E_NS1_11comp_targetILNS1_3genE8ELNS1_11target_archE1030ELNS1_3gpuE2ELNS1_3repE0EEENS1_30default_config_static_selectorELNS0_4arch9wavefront6targetE1EEEvT1_: ; @_ZN7rocprim17ROCPRIM_400000_NS6detail17trampoline_kernelINS0_14default_configENS1_25partition_config_selectorILNS1_17partition_subalgoE1ExNS0_10empty_typeEbEEZZNS1_14partition_implILS5_1ELb0ES3_jN6thrust23THRUST_200600_302600_NS6detail15normal_iteratorINSA_10device_ptrIxEEEEPS6_NSA_18transform_iteratorI7is_evenIxESF_NSA_11use_defaultESK_EENS0_5tupleIJNSA_16discard_iteratorISK_EESF_EEENSM_IJSG_SG_EEES6_PlJS6_EEE10hipError_tPvRmT3_T4_T5_T6_T7_T9_mT8_P12ihipStream_tbDpT10_ENKUlT_T0_E_clISt17integral_constantIbLb0EES1A_IbLb1EEEEDaS16_S17_EUlS16_E_NS1_11comp_targetILNS1_3genE8ELNS1_11target_archE1030ELNS1_3gpuE2ELNS1_3repE0EEENS1_30default_config_static_selectorELNS0_4arch9wavefront6targetE1EEEvT1_
; %bb.0:
	.section	.rodata,"a",@progbits
	.p2align	6, 0x0
	.amdhsa_kernel _ZN7rocprim17ROCPRIM_400000_NS6detail17trampoline_kernelINS0_14default_configENS1_25partition_config_selectorILNS1_17partition_subalgoE1ExNS0_10empty_typeEbEEZZNS1_14partition_implILS5_1ELb0ES3_jN6thrust23THRUST_200600_302600_NS6detail15normal_iteratorINSA_10device_ptrIxEEEEPS6_NSA_18transform_iteratorI7is_evenIxESF_NSA_11use_defaultESK_EENS0_5tupleIJNSA_16discard_iteratorISK_EESF_EEENSM_IJSG_SG_EEES6_PlJS6_EEE10hipError_tPvRmT3_T4_T5_T6_T7_T9_mT8_P12ihipStream_tbDpT10_ENKUlT_T0_E_clISt17integral_constantIbLb0EES1A_IbLb1EEEEDaS16_S17_EUlS16_E_NS1_11comp_targetILNS1_3genE8ELNS1_11target_archE1030ELNS1_3gpuE2ELNS1_3repE0EEENS1_30default_config_static_selectorELNS0_4arch9wavefront6targetE1EEEvT1_
		.amdhsa_group_segment_fixed_size 0
		.amdhsa_private_segment_fixed_size 0
		.amdhsa_kernarg_size 152
		.amdhsa_user_sgpr_count 6
		.amdhsa_user_sgpr_private_segment_buffer 1
		.amdhsa_user_sgpr_dispatch_ptr 0
		.amdhsa_user_sgpr_queue_ptr 0
		.amdhsa_user_sgpr_kernarg_segment_ptr 1
		.amdhsa_user_sgpr_dispatch_id 0
		.amdhsa_user_sgpr_flat_scratch_init 0
		.amdhsa_user_sgpr_kernarg_preload_length 0
		.amdhsa_user_sgpr_kernarg_preload_offset 0
		.amdhsa_user_sgpr_private_segment_size 0
		.amdhsa_uses_dynamic_stack 0
		.amdhsa_system_sgpr_private_segment_wavefront_offset 0
		.amdhsa_system_sgpr_workgroup_id_x 1
		.amdhsa_system_sgpr_workgroup_id_y 0
		.amdhsa_system_sgpr_workgroup_id_z 0
		.amdhsa_system_sgpr_workgroup_info 0
		.amdhsa_system_vgpr_workitem_id 0
		.amdhsa_next_free_vgpr 1
		.amdhsa_next_free_sgpr 0
		.amdhsa_accum_offset 4
		.amdhsa_reserve_vcc 0
		.amdhsa_reserve_flat_scratch 0
		.amdhsa_float_round_mode_32 0
		.amdhsa_float_round_mode_16_64 0
		.amdhsa_float_denorm_mode_32 3
		.amdhsa_float_denorm_mode_16_64 3
		.amdhsa_dx10_clamp 1
		.amdhsa_ieee_mode 1
		.amdhsa_fp16_overflow 0
		.amdhsa_tg_split 0
		.amdhsa_exception_fp_ieee_invalid_op 0
		.amdhsa_exception_fp_denorm_src 0
		.amdhsa_exception_fp_ieee_div_zero 0
		.amdhsa_exception_fp_ieee_overflow 0
		.amdhsa_exception_fp_ieee_underflow 0
		.amdhsa_exception_fp_ieee_inexact 0
		.amdhsa_exception_int_div_zero 0
	.end_amdhsa_kernel
	.section	.text._ZN7rocprim17ROCPRIM_400000_NS6detail17trampoline_kernelINS0_14default_configENS1_25partition_config_selectorILNS1_17partition_subalgoE1ExNS0_10empty_typeEbEEZZNS1_14partition_implILS5_1ELb0ES3_jN6thrust23THRUST_200600_302600_NS6detail15normal_iteratorINSA_10device_ptrIxEEEEPS6_NSA_18transform_iteratorI7is_evenIxESF_NSA_11use_defaultESK_EENS0_5tupleIJNSA_16discard_iteratorISK_EESF_EEENSM_IJSG_SG_EEES6_PlJS6_EEE10hipError_tPvRmT3_T4_T5_T6_T7_T9_mT8_P12ihipStream_tbDpT10_ENKUlT_T0_E_clISt17integral_constantIbLb0EES1A_IbLb1EEEEDaS16_S17_EUlS16_E_NS1_11comp_targetILNS1_3genE8ELNS1_11target_archE1030ELNS1_3gpuE2ELNS1_3repE0EEENS1_30default_config_static_selectorELNS0_4arch9wavefront6targetE1EEEvT1_,"axG",@progbits,_ZN7rocprim17ROCPRIM_400000_NS6detail17trampoline_kernelINS0_14default_configENS1_25partition_config_selectorILNS1_17partition_subalgoE1ExNS0_10empty_typeEbEEZZNS1_14partition_implILS5_1ELb0ES3_jN6thrust23THRUST_200600_302600_NS6detail15normal_iteratorINSA_10device_ptrIxEEEEPS6_NSA_18transform_iteratorI7is_evenIxESF_NSA_11use_defaultESK_EENS0_5tupleIJNSA_16discard_iteratorISK_EESF_EEENSM_IJSG_SG_EEES6_PlJS6_EEE10hipError_tPvRmT3_T4_T5_T6_T7_T9_mT8_P12ihipStream_tbDpT10_ENKUlT_T0_E_clISt17integral_constantIbLb0EES1A_IbLb1EEEEDaS16_S17_EUlS16_E_NS1_11comp_targetILNS1_3genE8ELNS1_11target_archE1030ELNS1_3gpuE2ELNS1_3repE0EEENS1_30default_config_static_selectorELNS0_4arch9wavefront6targetE1EEEvT1_,comdat
.Lfunc_end3258:
	.size	_ZN7rocprim17ROCPRIM_400000_NS6detail17trampoline_kernelINS0_14default_configENS1_25partition_config_selectorILNS1_17partition_subalgoE1ExNS0_10empty_typeEbEEZZNS1_14partition_implILS5_1ELb0ES3_jN6thrust23THRUST_200600_302600_NS6detail15normal_iteratorINSA_10device_ptrIxEEEEPS6_NSA_18transform_iteratorI7is_evenIxESF_NSA_11use_defaultESK_EENS0_5tupleIJNSA_16discard_iteratorISK_EESF_EEENSM_IJSG_SG_EEES6_PlJS6_EEE10hipError_tPvRmT3_T4_T5_T6_T7_T9_mT8_P12ihipStream_tbDpT10_ENKUlT_T0_E_clISt17integral_constantIbLb0EES1A_IbLb1EEEEDaS16_S17_EUlS16_E_NS1_11comp_targetILNS1_3genE8ELNS1_11target_archE1030ELNS1_3gpuE2ELNS1_3repE0EEENS1_30default_config_static_selectorELNS0_4arch9wavefront6targetE1EEEvT1_, .Lfunc_end3258-_ZN7rocprim17ROCPRIM_400000_NS6detail17trampoline_kernelINS0_14default_configENS1_25partition_config_selectorILNS1_17partition_subalgoE1ExNS0_10empty_typeEbEEZZNS1_14partition_implILS5_1ELb0ES3_jN6thrust23THRUST_200600_302600_NS6detail15normal_iteratorINSA_10device_ptrIxEEEEPS6_NSA_18transform_iteratorI7is_evenIxESF_NSA_11use_defaultESK_EENS0_5tupleIJNSA_16discard_iteratorISK_EESF_EEENSM_IJSG_SG_EEES6_PlJS6_EEE10hipError_tPvRmT3_T4_T5_T6_T7_T9_mT8_P12ihipStream_tbDpT10_ENKUlT_T0_E_clISt17integral_constantIbLb0EES1A_IbLb1EEEEDaS16_S17_EUlS16_E_NS1_11comp_targetILNS1_3genE8ELNS1_11target_archE1030ELNS1_3gpuE2ELNS1_3repE0EEENS1_30default_config_static_selectorELNS0_4arch9wavefront6targetE1EEEvT1_
                                        ; -- End function
	.section	.AMDGPU.csdata,"",@progbits
; Kernel info:
; codeLenInByte = 0
; NumSgprs: 4
; NumVgprs: 0
; NumAgprs: 0
; TotalNumVgprs: 0
; ScratchSize: 0
; MemoryBound: 0
; FloatMode: 240
; IeeeMode: 1
; LDSByteSize: 0 bytes/workgroup (compile time only)
; SGPRBlocks: 0
; VGPRBlocks: 0
; NumSGPRsForWavesPerEU: 4
; NumVGPRsForWavesPerEU: 1
; AccumOffset: 4
; Occupancy: 8
; WaveLimiterHint : 0
; COMPUTE_PGM_RSRC2:SCRATCH_EN: 0
; COMPUTE_PGM_RSRC2:USER_SGPR: 6
; COMPUTE_PGM_RSRC2:TRAP_HANDLER: 0
; COMPUTE_PGM_RSRC2:TGID_X_EN: 1
; COMPUTE_PGM_RSRC2:TGID_Y_EN: 0
; COMPUTE_PGM_RSRC2:TGID_Z_EN: 0
; COMPUTE_PGM_RSRC2:TIDIG_COMP_CNT: 0
; COMPUTE_PGM_RSRC3_GFX90A:ACCUM_OFFSET: 0
; COMPUTE_PGM_RSRC3_GFX90A:TG_SPLIT: 0
	.section	.text._ZN7rocprim17ROCPRIM_400000_NS6detail17trampoline_kernelINS0_14default_configENS1_25partition_config_selectorILNS1_17partition_subalgoE1EiNS0_10empty_typeEbEEZZNS1_14partition_implILS5_1ELb0ES3_jN6thrust23THRUST_200600_302600_NS6detail15normal_iteratorINSA_10device_ptrIiEEEEPS6_NSA_18transform_iteratorI7is_evenIiESF_NSA_11use_defaultESK_EENS0_5tupleIJNSA_16discard_iteratorISK_EESO_EEENSM_IJSG_SG_EEES6_PlJS6_EEE10hipError_tPvRmT3_T4_T5_T6_T7_T9_mT8_P12ihipStream_tbDpT10_ENKUlT_T0_E_clISt17integral_constantIbLb0EES1B_EEDaS16_S17_EUlS16_E_NS1_11comp_targetILNS1_3genE0ELNS1_11target_archE4294967295ELNS1_3gpuE0ELNS1_3repE0EEENS1_30default_config_static_selectorELNS0_4arch9wavefront6targetE1EEEvT1_,"axG",@progbits,_ZN7rocprim17ROCPRIM_400000_NS6detail17trampoline_kernelINS0_14default_configENS1_25partition_config_selectorILNS1_17partition_subalgoE1EiNS0_10empty_typeEbEEZZNS1_14partition_implILS5_1ELb0ES3_jN6thrust23THRUST_200600_302600_NS6detail15normal_iteratorINSA_10device_ptrIiEEEEPS6_NSA_18transform_iteratorI7is_evenIiESF_NSA_11use_defaultESK_EENS0_5tupleIJNSA_16discard_iteratorISK_EESO_EEENSM_IJSG_SG_EEES6_PlJS6_EEE10hipError_tPvRmT3_T4_T5_T6_T7_T9_mT8_P12ihipStream_tbDpT10_ENKUlT_T0_E_clISt17integral_constantIbLb0EES1B_EEDaS16_S17_EUlS16_E_NS1_11comp_targetILNS1_3genE0ELNS1_11target_archE4294967295ELNS1_3gpuE0ELNS1_3repE0EEENS1_30default_config_static_selectorELNS0_4arch9wavefront6targetE1EEEvT1_,comdat
	.protected	_ZN7rocprim17ROCPRIM_400000_NS6detail17trampoline_kernelINS0_14default_configENS1_25partition_config_selectorILNS1_17partition_subalgoE1EiNS0_10empty_typeEbEEZZNS1_14partition_implILS5_1ELb0ES3_jN6thrust23THRUST_200600_302600_NS6detail15normal_iteratorINSA_10device_ptrIiEEEEPS6_NSA_18transform_iteratorI7is_evenIiESF_NSA_11use_defaultESK_EENS0_5tupleIJNSA_16discard_iteratorISK_EESO_EEENSM_IJSG_SG_EEES6_PlJS6_EEE10hipError_tPvRmT3_T4_T5_T6_T7_T9_mT8_P12ihipStream_tbDpT10_ENKUlT_T0_E_clISt17integral_constantIbLb0EES1B_EEDaS16_S17_EUlS16_E_NS1_11comp_targetILNS1_3genE0ELNS1_11target_archE4294967295ELNS1_3gpuE0ELNS1_3repE0EEENS1_30default_config_static_selectorELNS0_4arch9wavefront6targetE1EEEvT1_ ; -- Begin function _ZN7rocprim17ROCPRIM_400000_NS6detail17trampoline_kernelINS0_14default_configENS1_25partition_config_selectorILNS1_17partition_subalgoE1EiNS0_10empty_typeEbEEZZNS1_14partition_implILS5_1ELb0ES3_jN6thrust23THRUST_200600_302600_NS6detail15normal_iteratorINSA_10device_ptrIiEEEEPS6_NSA_18transform_iteratorI7is_evenIiESF_NSA_11use_defaultESK_EENS0_5tupleIJNSA_16discard_iteratorISK_EESO_EEENSM_IJSG_SG_EEES6_PlJS6_EEE10hipError_tPvRmT3_T4_T5_T6_T7_T9_mT8_P12ihipStream_tbDpT10_ENKUlT_T0_E_clISt17integral_constantIbLb0EES1B_EEDaS16_S17_EUlS16_E_NS1_11comp_targetILNS1_3genE0ELNS1_11target_archE4294967295ELNS1_3gpuE0ELNS1_3repE0EEENS1_30default_config_static_selectorELNS0_4arch9wavefront6targetE1EEEvT1_
	.globl	_ZN7rocprim17ROCPRIM_400000_NS6detail17trampoline_kernelINS0_14default_configENS1_25partition_config_selectorILNS1_17partition_subalgoE1EiNS0_10empty_typeEbEEZZNS1_14partition_implILS5_1ELb0ES3_jN6thrust23THRUST_200600_302600_NS6detail15normal_iteratorINSA_10device_ptrIiEEEEPS6_NSA_18transform_iteratorI7is_evenIiESF_NSA_11use_defaultESK_EENS0_5tupleIJNSA_16discard_iteratorISK_EESO_EEENSM_IJSG_SG_EEES6_PlJS6_EEE10hipError_tPvRmT3_T4_T5_T6_T7_T9_mT8_P12ihipStream_tbDpT10_ENKUlT_T0_E_clISt17integral_constantIbLb0EES1B_EEDaS16_S17_EUlS16_E_NS1_11comp_targetILNS1_3genE0ELNS1_11target_archE4294967295ELNS1_3gpuE0ELNS1_3repE0EEENS1_30default_config_static_selectorELNS0_4arch9wavefront6targetE1EEEvT1_
	.p2align	8
	.type	_ZN7rocprim17ROCPRIM_400000_NS6detail17trampoline_kernelINS0_14default_configENS1_25partition_config_selectorILNS1_17partition_subalgoE1EiNS0_10empty_typeEbEEZZNS1_14partition_implILS5_1ELb0ES3_jN6thrust23THRUST_200600_302600_NS6detail15normal_iteratorINSA_10device_ptrIiEEEEPS6_NSA_18transform_iteratorI7is_evenIiESF_NSA_11use_defaultESK_EENS0_5tupleIJNSA_16discard_iteratorISK_EESO_EEENSM_IJSG_SG_EEES6_PlJS6_EEE10hipError_tPvRmT3_T4_T5_T6_T7_T9_mT8_P12ihipStream_tbDpT10_ENKUlT_T0_E_clISt17integral_constantIbLb0EES1B_EEDaS16_S17_EUlS16_E_NS1_11comp_targetILNS1_3genE0ELNS1_11target_archE4294967295ELNS1_3gpuE0ELNS1_3repE0EEENS1_30default_config_static_selectorELNS0_4arch9wavefront6targetE1EEEvT1_,@function
_ZN7rocprim17ROCPRIM_400000_NS6detail17trampoline_kernelINS0_14default_configENS1_25partition_config_selectorILNS1_17partition_subalgoE1EiNS0_10empty_typeEbEEZZNS1_14partition_implILS5_1ELb0ES3_jN6thrust23THRUST_200600_302600_NS6detail15normal_iteratorINSA_10device_ptrIiEEEEPS6_NSA_18transform_iteratorI7is_evenIiESF_NSA_11use_defaultESK_EENS0_5tupleIJNSA_16discard_iteratorISK_EESO_EEENSM_IJSG_SG_EEES6_PlJS6_EEE10hipError_tPvRmT3_T4_T5_T6_T7_T9_mT8_P12ihipStream_tbDpT10_ENKUlT_T0_E_clISt17integral_constantIbLb0EES1B_EEDaS16_S17_EUlS16_E_NS1_11comp_targetILNS1_3genE0ELNS1_11target_archE4294967295ELNS1_3gpuE0ELNS1_3repE0EEENS1_30default_config_static_selectorELNS0_4arch9wavefront6targetE1EEEvT1_: ; @_ZN7rocprim17ROCPRIM_400000_NS6detail17trampoline_kernelINS0_14default_configENS1_25partition_config_selectorILNS1_17partition_subalgoE1EiNS0_10empty_typeEbEEZZNS1_14partition_implILS5_1ELb0ES3_jN6thrust23THRUST_200600_302600_NS6detail15normal_iteratorINSA_10device_ptrIiEEEEPS6_NSA_18transform_iteratorI7is_evenIiESF_NSA_11use_defaultESK_EENS0_5tupleIJNSA_16discard_iteratorISK_EESO_EEENSM_IJSG_SG_EEES6_PlJS6_EEE10hipError_tPvRmT3_T4_T5_T6_T7_T9_mT8_P12ihipStream_tbDpT10_ENKUlT_T0_E_clISt17integral_constantIbLb0EES1B_EEDaS16_S17_EUlS16_E_NS1_11comp_targetILNS1_3genE0ELNS1_11target_archE4294967295ELNS1_3gpuE0ELNS1_3repE0EEENS1_30default_config_static_selectorELNS0_4arch9wavefront6targetE1EEEvT1_
; %bb.0:
	.section	.rodata,"a",@progbits
	.p2align	6, 0x0
	.amdhsa_kernel _ZN7rocprim17ROCPRIM_400000_NS6detail17trampoline_kernelINS0_14default_configENS1_25partition_config_selectorILNS1_17partition_subalgoE1EiNS0_10empty_typeEbEEZZNS1_14partition_implILS5_1ELb0ES3_jN6thrust23THRUST_200600_302600_NS6detail15normal_iteratorINSA_10device_ptrIiEEEEPS6_NSA_18transform_iteratorI7is_evenIiESF_NSA_11use_defaultESK_EENS0_5tupleIJNSA_16discard_iteratorISK_EESO_EEENSM_IJSG_SG_EEES6_PlJS6_EEE10hipError_tPvRmT3_T4_T5_T6_T7_T9_mT8_P12ihipStream_tbDpT10_ENKUlT_T0_E_clISt17integral_constantIbLb0EES1B_EEDaS16_S17_EUlS16_E_NS1_11comp_targetILNS1_3genE0ELNS1_11target_archE4294967295ELNS1_3gpuE0ELNS1_3repE0EEENS1_30default_config_static_selectorELNS0_4arch9wavefront6targetE1EEEvT1_
		.amdhsa_group_segment_fixed_size 0
		.amdhsa_private_segment_fixed_size 0
		.amdhsa_kernarg_size 144
		.amdhsa_user_sgpr_count 6
		.amdhsa_user_sgpr_private_segment_buffer 1
		.amdhsa_user_sgpr_dispatch_ptr 0
		.amdhsa_user_sgpr_queue_ptr 0
		.amdhsa_user_sgpr_kernarg_segment_ptr 1
		.amdhsa_user_sgpr_dispatch_id 0
		.amdhsa_user_sgpr_flat_scratch_init 0
		.amdhsa_user_sgpr_kernarg_preload_length 0
		.amdhsa_user_sgpr_kernarg_preload_offset 0
		.amdhsa_user_sgpr_private_segment_size 0
		.amdhsa_uses_dynamic_stack 0
		.amdhsa_system_sgpr_private_segment_wavefront_offset 0
		.amdhsa_system_sgpr_workgroup_id_x 1
		.amdhsa_system_sgpr_workgroup_id_y 0
		.amdhsa_system_sgpr_workgroup_id_z 0
		.amdhsa_system_sgpr_workgroup_info 0
		.amdhsa_system_vgpr_workitem_id 0
		.amdhsa_next_free_vgpr 1
		.amdhsa_next_free_sgpr 0
		.amdhsa_accum_offset 4
		.amdhsa_reserve_vcc 0
		.amdhsa_reserve_flat_scratch 0
		.amdhsa_float_round_mode_32 0
		.amdhsa_float_round_mode_16_64 0
		.amdhsa_float_denorm_mode_32 3
		.amdhsa_float_denorm_mode_16_64 3
		.amdhsa_dx10_clamp 1
		.amdhsa_ieee_mode 1
		.amdhsa_fp16_overflow 0
		.amdhsa_tg_split 0
		.amdhsa_exception_fp_ieee_invalid_op 0
		.amdhsa_exception_fp_denorm_src 0
		.amdhsa_exception_fp_ieee_div_zero 0
		.amdhsa_exception_fp_ieee_overflow 0
		.amdhsa_exception_fp_ieee_underflow 0
		.amdhsa_exception_fp_ieee_inexact 0
		.amdhsa_exception_int_div_zero 0
	.end_amdhsa_kernel
	.section	.text._ZN7rocprim17ROCPRIM_400000_NS6detail17trampoline_kernelINS0_14default_configENS1_25partition_config_selectorILNS1_17partition_subalgoE1EiNS0_10empty_typeEbEEZZNS1_14partition_implILS5_1ELb0ES3_jN6thrust23THRUST_200600_302600_NS6detail15normal_iteratorINSA_10device_ptrIiEEEEPS6_NSA_18transform_iteratorI7is_evenIiESF_NSA_11use_defaultESK_EENS0_5tupleIJNSA_16discard_iteratorISK_EESO_EEENSM_IJSG_SG_EEES6_PlJS6_EEE10hipError_tPvRmT3_T4_T5_T6_T7_T9_mT8_P12ihipStream_tbDpT10_ENKUlT_T0_E_clISt17integral_constantIbLb0EES1B_EEDaS16_S17_EUlS16_E_NS1_11comp_targetILNS1_3genE0ELNS1_11target_archE4294967295ELNS1_3gpuE0ELNS1_3repE0EEENS1_30default_config_static_selectorELNS0_4arch9wavefront6targetE1EEEvT1_,"axG",@progbits,_ZN7rocprim17ROCPRIM_400000_NS6detail17trampoline_kernelINS0_14default_configENS1_25partition_config_selectorILNS1_17partition_subalgoE1EiNS0_10empty_typeEbEEZZNS1_14partition_implILS5_1ELb0ES3_jN6thrust23THRUST_200600_302600_NS6detail15normal_iteratorINSA_10device_ptrIiEEEEPS6_NSA_18transform_iteratorI7is_evenIiESF_NSA_11use_defaultESK_EENS0_5tupleIJNSA_16discard_iteratorISK_EESO_EEENSM_IJSG_SG_EEES6_PlJS6_EEE10hipError_tPvRmT3_T4_T5_T6_T7_T9_mT8_P12ihipStream_tbDpT10_ENKUlT_T0_E_clISt17integral_constantIbLb0EES1B_EEDaS16_S17_EUlS16_E_NS1_11comp_targetILNS1_3genE0ELNS1_11target_archE4294967295ELNS1_3gpuE0ELNS1_3repE0EEENS1_30default_config_static_selectorELNS0_4arch9wavefront6targetE1EEEvT1_,comdat
.Lfunc_end3259:
	.size	_ZN7rocprim17ROCPRIM_400000_NS6detail17trampoline_kernelINS0_14default_configENS1_25partition_config_selectorILNS1_17partition_subalgoE1EiNS0_10empty_typeEbEEZZNS1_14partition_implILS5_1ELb0ES3_jN6thrust23THRUST_200600_302600_NS6detail15normal_iteratorINSA_10device_ptrIiEEEEPS6_NSA_18transform_iteratorI7is_evenIiESF_NSA_11use_defaultESK_EENS0_5tupleIJNSA_16discard_iteratorISK_EESO_EEENSM_IJSG_SG_EEES6_PlJS6_EEE10hipError_tPvRmT3_T4_T5_T6_T7_T9_mT8_P12ihipStream_tbDpT10_ENKUlT_T0_E_clISt17integral_constantIbLb0EES1B_EEDaS16_S17_EUlS16_E_NS1_11comp_targetILNS1_3genE0ELNS1_11target_archE4294967295ELNS1_3gpuE0ELNS1_3repE0EEENS1_30default_config_static_selectorELNS0_4arch9wavefront6targetE1EEEvT1_, .Lfunc_end3259-_ZN7rocprim17ROCPRIM_400000_NS6detail17trampoline_kernelINS0_14default_configENS1_25partition_config_selectorILNS1_17partition_subalgoE1EiNS0_10empty_typeEbEEZZNS1_14partition_implILS5_1ELb0ES3_jN6thrust23THRUST_200600_302600_NS6detail15normal_iteratorINSA_10device_ptrIiEEEEPS6_NSA_18transform_iteratorI7is_evenIiESF_NSA_11use_defaultESK_EENS0_5tupleIJNSA_16discard_iteratorISK_EESO_EEENSM_IJSG_SG_EEES6_PlJS6_EEE10hipError_tPvRmT3_T4_T5_T6_T7_T9_mT8_P12ihipStream_tbDpT10_ENKUlT_T0_E_clISt17integral_constantIbLb0EES1B_EEDaS16_S17_EUlS16_E_NS1_11comp_targetILNS1_3genE0ELNS1_11target_archE4294967295ELNS1_3gpuE0ELNS1_3repE0EEENS1_30default_config_static_selectorELNS0_4arch9wavefront6targetE1EEEvT1_
                                        ; -- End function
	.section	.AMDGPU.csdata,"",@progbits
; Kernel info:
; codeLenInByte = 0
; NumSgprs: 4
; NumVgprs: 0
; NumAgprs: 0
; TotalNumVgprs: 0
; ScratchSize: 0
; MemoryBound: 0
; FloatMode: 240
; IeeeMode: 1
; LDSByteSize: 0 bytes/workgroup (compile time only)
; SGPRBlocks: 0
; VGPRBlocks: 0
; NumSGPRsForWavesPerEU: 4
; NumVGPRsForWavesPerEU: 1
; AccumOffset: 4
; Occupancy: 8
; WaveLimiterHint : 0
; COMPUTE_PGM_RSRC2:SCRATCH_EN: 0
; COMPUTE_PGM_RSRC2:USER_SGPR: 6
; COMPUTE_PGM_RSRC2:TRAP_HANDLER: 0
; COMPUTE_PGM_RSRC2:TGID_X_EN: 1
; COMPUTE_PGM_RSRC2:TGID_Y_EN: 0
; COMPUTE_PGM_RSRC2:TGID_Z_EN: 0
; COMPUTE_PGM_RSRC2:TIDIG_COMP_CNT: 0
; COMPUTE_PGM_RSRC3_GFX90A:ACCUM_OFFSET: 0
; COMPUTE_PGM_RSRC3_GFX90A:TG_SPLIT: 0
	.section	.text._ZN7rocprim17ROCPRIM_400000_NS6detail17trampoline_kernelINS0_14default_configENS1_25partition_config_selectorILNS1_17partition_subalgoE1EiNS0_10empty_typeEbEEZZNS1_14partition_implILS5_1ELb0ES3_jN6thrust23THRUST_200600_302600_NS6detail15normal_iteratorINSA_10device_ptrIiEEEEPS6_NSA_18transform_iteratorI7is_evenIiESF_NSA_11use_defaultESK_EENS0_5tupleIJNSA_16discard_iteratorISK_EESO_EEENSM_IJSG_SG_EEES6_PlJS6_EEE10hipError_tPvRmT3_T4_T5_T6_T7_T9_mT8_P12ihipStream_tbDpT10_ENKUlT_T0_E_clISt17integral_constantIbLb0EES1B_EEDaS16_S17_EUlS16_E_NS1_11comp_targetILNS1_3genE5ELNS1_11target_archE942ELNS1_3gpuE9ELNS1_3repE0EEENS1_30default_config_static_selectorELNS0_4arch9wavefront6targetE1EEEvT1_,"axG",@progbits,_ZN7rocprim17ROCPRIM_400000_NS6detail17trampoline_kernelINS0_14default_configENS1_25partition_config_selectorILNS1_17partition_subalgoE1EiNS0_10empty_typeEbEEZZNS1_14partition_implILS5_1ELb0ES3_jN6thrust23THRUST_200600_302600_NS6detail15normal_iteratorINSA_10device_ptrIiEEEEPS6_NSA_18transform_iteratorI7is_evenIiESF_NSA_11use_defaultESK_EENS0_5tupleIJNSA_16discard_iteratorISK_EESO_EEENSM_IJSG_SG_EEES6_PlJS6_EEE10hipError_tPvRmT3_T4_T5_T6_T7_T9_mT8_P12ihipStream_tbDpT10_ENKUlT_T0_E_clISt17integral_constantIbLb0EES1B_EEDaS16_S17_EUlS16_E_NS1_11comp_targetILNS1_3genE5ELNS1_11target_archE942ELNS1_3gpuE9ELNS1_3repE0EEENS1_30default_config_static_selectorELNS0_4arch9wavefront6targetE1EEEvT1_,comdat
	.protected	_ZN7rocprim17ROCPRIM_400000_NS6detail17trampoline_kernelINS0_14default_configENS1_25partition_config_selectorILNS1_17partition_subalgoE1EiNS0_10empty_typeEbEEZZNS1_14partition_implILS5_1ELb0ES3_jN6thrust23THRUST_200600_302600_NS6detail15normal_iteratorINSA_10device_ptrIiEEEEPS6_NSA_18transform_iteratorI7is_evenIiESF_NSA_11use_defaultESK_EENS0_5tupleIJNSA_16discard_iteratorISK_EESO_EEENSM_IJSG_SG_EEES6_PlJS6_EEE10hipError_tPvRmT3_T4_T5_T6_T7_T9_mT8_P12ihipStream_tbDpT10_ENKUlT_T0_E_clISt17integral_constantIbLb0EES1B_EEDaS16_S17_EUlS16_E_NS1_11comp_targetILNS1_3genE5ELNS1_11target_archE942ELNS1_3gpuE9ELNS1_3repE0EEENS1_30default_config_static_selectorELNS0_4arch9wavefront6targetE1EEEvT1_ ; -- Begin function _ZN7rocprim17ROCPRIM_400000_NS6detail17trampoline_kernelINS0_14default_configENS1_25partition_config_selectorILNS1_17partition_subalgoE1EiNS0_10empty_typeEbEEZZNS1_14partition_implILS5_1ELb0ES3_jN6thrust23THRUST_200600_302600_NS6detail15normal_iteratorINSA_10device_ptrIiEEEEPS6_NSA_18transform_iteratorI7is_evenIiESF_NSA_11use_defaultESK_EENS0_5tupleIJNSA_16discard_iteratorISK_EESO_EEENSM_IJSG_SG_EEES6_PlJS6_EEE10hipError_tPvRmT3_T4_T5_T6_T7_T9_mT8_P12ihipStream_tbDpT10_ENKUlT_T0_E_clISt17integral_constantIbLb0EES1B_EEDaS16_S17_EUlS16_E_NS1_11comp_targetILNS1_3genE5ELNS1_11target_archE942ELNS1_3gpuE9ELNS1_3repE0EEENS1_30default_config_static_selectorELNS0_4arch9wavefront6targetE1EEEvT1_
	.globl	_ZN7rocprim17ROCPRIM_400000_NS6detail17trampoline_kernelINS0_14default_configENS1_25partition_config_selectorILNS1_17partition_subalgoE1EiNS0_10empty_typeEbEEZZNS1_14partition_implILS5_1ELb0ES3_jN6thrust23THRUST_200600_302600_NS6detail15normal_iteratorINSA_10device_ptrIiEEEEPS6_NSA_18transform_iteratorI7is_evenIiESF_NSA_11use_defaultESK_EENS0_5tupleIJNSA_16discard_iteratorISK_EESO_EEENSM_IJSG_SG_EEES6_PlJS6_EEE10hipError_tPvRmT3_T4_T5_T6_T7_T9_mT8_P12ihipStream_tbDpT10_ENKUlT_T0_E_clISt17integral_constantIbLb0EES1B_EEDaS16_S17_EUlS16_E_NS1_11comp_targetILNS1_3genE5ELNS1_11target_archE942ELNS1_3gpuE9ELNS1_3repE0EEENS1_30default_config_static_selectorELNS0_4arch9wavefront6targetE1EEEvT1_
	.p2align	8
	.type	_ZN7rocprim17ROCPRIM_400000_NS6detail17trampoline_kernelINS0_14default_configENS1_25partition_config_selectorILNS1_17partition_subalgoE1EiNS0_10empty_typeEbEEZZNS1_14partition_implILS5_1ELb0ES3_jN6thrust23THRUST_200600_302600_NS6detail15normal_iteratorINSA_10device_ptrIiEEEEPS6_NSA_18transform_iteratorI7is_evenIiESF_NSA_11use_defaultESK_EENS0_5tupleIJNSA_16discard_iteratorISK_EESO_EEENSM_IJSG_SG_EEES6_PlJS6_EEE10hipError_tPvRmT3_T4_T5_T6_T7_T9_mT8_P12ihipStream_tbDpT10_ENKUlT_T0_E_clISt17integral_constantIbLb0EES1B_EEDaS16_S17_EUlS16_E_NS1_11comp_targetILNS1_3genE5ELNS1_11target_archE942ELNS1_3gpuE9ELNS1_3repE0EEENS1_30default_config_static_selectorELNS0_4arch9wavefront6targetE1EEEvT1_,@function
_ZN7rocprim17ROCPRIM_400000_NS6detail17trampoline_kernelINS0_14default_configENS1_25partition_config_selectorILNS1_17partition_subalgoE1EiNS0_10empty_typeEbEEZZNS1_14partition_implILS5_1ELb0ES3_jN6thrust23THRUST_200600_302600_NS6detail15normal_iteratorINSA_10device_ptrIiEEEEPS6_NSA_18transform_iteratorI7is_evenIiESF_NSA_11use_defaultESK_EENS0_5tupleIJNSA_16discard_iteratorISK_EESO_EEENSM_IJSG_SG_EEES6_PlJS6_EEE10hipError_tPvRmT3_T4_T5_T6_T7_T9_mT8_P12ihipStream_tbDpT10_ENKUlT_T0_E_clISt17integral_constantIbLb0EES1B_EEDaS16_S17_EUlS16_E_NS1_11comp_targetILNS1_3genE5ELNS1_11target_archE942ELNS1_3gpuE9ELNS1_3repE0EEENS1_30default_config_static_selectorELNS0_4arch9wavefront6targetE1EEEvT1_: ; @_ZN7rocprim17ROCPRIM_400000_NS6detail17trampoline_kernelINS0_14default_configENS1_25partition_config_selectorILNS1_17partition_subalgoE1EiNS0_10empty_typeEbEEZZNS1_14partition_implILS5_1ELb0ES3_jN6thrust23THRUST_200600_302600_NS6detail15normal_iteratorINSA_10device_ptrIiEEEEPS6_NSA_18transform_iteratorI7is_evenIiESF_NSA_11use_defaultESK_EENS0_5tupleIJNSA_16discard_iteratorISK_EESO_EEENSM_IJSG_SG_EEES6_PlJS6_EEE10hipError_tPvRmT3_T4_T5_T6_T7_T9_mT8_P12ihipStream_tbDpT10_ENKUlT_T0_E_clISt17integral_constantIbLb0EES1B_EEDaS16_S17_EUlS16_E_NS1_11comp_targetILNS1_3genE5ELNS1_11target_archE942ELNS1_3gpuE9ELNS1_3repE0EEENS1_30default_config_static_selectorELNS0_4arch9wavefront6targetE1EEEvT1_
; %bb.0:
	.section	.rodata,"a",@progbits
	.p2align	6, 0x0
	.amdhsa_kernel _ZN7rocprim17ROCPRIM_400000_NS6detail17trampoline_kernelINS0_14default_configENS1_25partition_config_selectorILNS1_17partition_subalgoE1EiNS0_10empty_typeEbEEZZNS1_14partition_implILS5_1ELb0ES3_jN6thrust23THRUST_200600_302600_NS6detail15normal_iteratorINSA_10device_ptrIiEEEEPS6_NSA_18transform_iteratorI7is_evenIiESF_NSA_11use_defaultESK_EENS0_5tupleIJNSA_16discard_iteratorISK_EESO_EEENSM_IJSG_SG_EEES6_PlJS6_EEE10hipError_tPvRmT3_T4_T5_T6_T7_T9_mT8_P12ihipStream_tbDpT10_ENKUlT_T0_E_clISt17integral_constantIbLb0EES1B_EEDaS16_S17_EUlS16_E_NS1_11comp_targetILNS1_3genE5ELNS1_11target_archE942ELNS1_3gpuE9ELNS1_3repE0EEENS1_30default_config_static_selectorELNS0_4arch9wavefront6targetE1EEEvT1_
		.amdhsa_group_segment_fixed_size 0
		.amdhsa_private_segment_fixed_size 0
		.amdhsa_kernarg_size 144
		.amdhsa_user_sgpr_count 6
		.amdhsa_user_sgpr_private_segment_buffer 1
		.amdhsa_user_sgpr_dispatch_ptr 0
		.amdhsa_user_sgpr_queue_ptr 0
		.amdhsa_user_sgpr_kernarg_segment_ptr 1
		.amdhsa_user_sgpr_dispatch_id 0
		.amdhsa_user_sgpr_flat_scratch_init 0
		.amdhsa_user_sgpr_kernarg_preload_length 0
		.amdhsa_user_sgpr_kernarg_preload_offset 0
		.amdhsa_user_sgpr_private_segment_size 0
		.amdhsa_uses_dynamic_stack 0
		.amdhsa_system_sgpr_private_segment_wavefront_offset 0
		.amdhsa_system_sgpr_workgroup_id_x 1
		.amdhsa_system_sgpr_workgroup_id_y 0
		.amdhsa_system_sgpr_workgroup_id_z 0
		.amdhsa_system_sgpr_workgroup_info 0
		.amdhsa_system_vgpr_workitem_id 0
		.amdhsa_next_free_vgpr 1
		.amdhsa_next_free_sgpr 0
		.amdhsa_accum_offset 4
		.amdhsa_reserve_vcc 0
		.amdhsa_reserve_flat_scratch 0
		.amdhsa_float_round_mode_32 0
		.amdhsa_float_round_mode_16_64 0
		.amdhsa_float_denorm_mode_32 3
		.amdhsa_float_denorm_mode_16_64 3
		.amdhsa_dx10_clamp 1
		.amdhsa_ieee_mode 1
		.amdhsa_fp16_overflow 0
		.amdhsa_tg_split 0
		.amdhsa_exception_fp_ieee_invalid_op 0
		.amdhsa_exception_fp_denorm_src 0
		.amdhsa_exception_fp_ieee_div_zero 0
		.amdhsa_exception_fp_ieee_overflow 0
		.amdhsa_exception_fp_ieee_underflow 0
		.amdhsa_exception_fp_ieee_inexact 0
		.amdhsa_exception_int_div_zero 0
	.end_amdhsa_kernel
	.section	.text._ZN7rocprim17ROCPRIM_400000_NS6detail17trampoline_kernelINS0_14default_configENS1_25partition_config_selectorILNS1_17partition_subalgoE1EiNS0_10empty_typeEbEEZZNS1_14partition_implILS5_1ELb0ES3_jN6thrust23THRUST_200600_302600_NS6detail15normal_iteratorINSA_10device_ptrIiEEEEPS6_NSA_18transform_iteratorI7is_evenIiESF_NSA_11use_defaultESK_EENS0_5tupleIJNSA_16discard_iteratorISK_EESO_EEENSM_IJSG_SG_EEES6_PlJS6_EEE10hipError_tPvRmT3_T4_T5_T6_T7_T9_mT8_P12ihipStream_tbDpT10_ENKUlT_T0_E_clISt17integral_constantIbLb0EES1B_EEDaS16_S17_EUlS16_E_NS1_11comp_targetILNS1_3genE5ELNS1_11target_archE942ELNS1_3gpuE9ELNS1_3repE0EEENS1_30default_config_static_selectorELNS0_4arch9wavefront6targetE1EEEvT1_,"axG",@progbits,_ZN7rocprim17ROCPRIM_400000_NS6detail17trampoline_kernelINS0_14default_configENS1_25partition_config_selectorILNS1_17partition_subalgoE1EiNS0_10empty_typeEbEEZZNS1_14partition_implILS5_1ELb0ES3_jN6thrust23THRUST_200600_302600_NS6detail15normal_iteratorINSA_10device_ptrIiEEEEPS6_NSA_18transform_iteratorI7is_evenIiESF_NSA_11use_defaultESK_EENS0_5tupleIJNSA_16discard_iteratorISK_EESO_EEENSM_IJSG_SG_EEES6_PlJS6_EEE10hipError_tPvRmT3_T4_T5_T6_T7_T9_mT8_P12ihipStream_tbDpT10_ENKUlT_T0_E_clISt17integral_constantIbLb0EES1B_EEDaS16_S17_EUlS16_E_NS1_11comp_targetILNS1_3genE5ELNS1_11target_archE942ELNS1_3gpuE9ELNS1_3repE0EEENS1_30default_config_static_selectorELNS0_4arch9wavefront6targetE1EEEvT1_,comdat
.Lfunc_end3260:
	.size	_ZN7rocprim17ROCPRIM_400000_NS6detail17trampoline_kernelINS0_14default_configENS1_25partition_config_selectorILNS1_17partition_subalgoE1EiNS0_10empty_typeEbEEZZNS1_14partition_implILS5_1ELb0ES3_jN6thrust23THRUST_200600_302600_NS6detail15normal_iteratorINSA_10device_ptrIiEEEEPS6_NSA_18transform_iteratorI7is_evenIiESF_NSA_11use_defaultESK_EENS0_5tupleIJNSA_16discard_iteratorISK_EESO_EEENSM_IJSG_SG_EEES6_PlJS6_EEE10hipError_tPvRmT3_T4_T5_T6_T7_T9_mT8_P12ihipStream_tbDpT10_ENKUlT_T0_E_clISt17integral_constantIbLb0EES1B_EEDaS16_S17_EUlS16_E_NS1_11comp_targetILNS1_3genE5ELNS1_11target_archE942ELNS1_3gpuE9ELNS1_3repE0EEENS1_30default_config_static_selectorELNS0_4arch9wavefront6targetE1EEEvT1_, .Lfunc_end3260-_ZN7rocprim17ROCPRIM_400000_NS6detail17trampoline_kernelINS0_14default_configENS1_25partition_config_selectorILNS1_17partition_subalgoE1EiNS0_10empty_typeEbEEZZNS1_14partition_implILS5_1ELb0ES3_jN6thrust23THRUST_200600_302600_NS6detail15normal_iteratorINSA_10device_ptrIiEEEEPS6_NSA_18transform_iteratorI7is_evenIiESF_NSA_11use_defaultESK_EENS0_5tupleIJNSA_16discard_iteratorISK_EESO_EEENSM_IJSG_SG_EEES6_PlJS6_EEE10hipError_tPvRmT3_T4_T5_T6_T7_T9_mT8_P12ihipStream_tbDpT10_ENKUlT_T0_E_clISt17integral_constantIbLb0EES1B_EEDaS16_S17_EUlS16_E_NS1_11comp_targetILNS1_3genE5ELNS1_11target_archE942ELNS1_3gpuE9ELNS1_3repE0EEENS1_30default_config_static_selectorELNS0_4arch9wavefront6targetE1EEEvT1_
                                        ; -- End function
	.section	.AMDGPU.csdata,"",@progbits
; Kernel info:
; codeLenInByte = 0
; NumSgprs: 4
; NumVgprs: 0
; NumAgprs: 0
; TotalNumVgprs: 0
; ScratchSize: 0
; MemoryBound: 0
; FloatMode: 240
; IeeeMode: 1
; LDSByteSize: 0 bytes/workgroup (compile time only)
; SGPRBlocks: 0
; VGPRBlocks: 0
; NumSGPRsForWavesPerEU: 4
; NumVGPRsForWavesPerEU: 1
; AccumOffset: 4
; Occupancy: 8
; WaveLimiterHint : 0
; COMPUTE_PGM_RSRC2:SCRATCH_EN: 0
; COMPUTE_PGM_RSRC2:USER_SGPR: 6
; COMPUTE_PGM_RSRC2:TRAP_HANDLER: 0
; COMPUTE_PGM_RSRC2:TGID_X_EN: 1
; COMPUTE_PGM_RSRC2:TGID_Y_EN: 0
; COMPUTE_PGM_RSRC2:TGID_Z_EN: 0
; COMPUTE_PGM_RSRC2:TIDIG_COMP_CNT: 0
; COMPUTE_PGM_RSRC3_GFX90A:ACCUM_OFFSET: 0
; COMPUTE_PGM_RSRC3_GFX90A:TG_SPLIT: 0
	.section	.text._ZN7rocprim17ROCPRIM_400000_NS6detail17trampoline_kernelINS0_14default_configENS1_25partition_config_selectorILNS1_17partition_subalgoE1EiNS0_10empty_typeEbEEZZNS1_14partition_implILS5_1ELb0ES3_jN6thrust23THRUST_200600_302600_NS6detail15normal_iteratorINSA_10device_ptrIiEEEEPS6_NSA_18transform_iteratorI7is_evenIiESF_NSA_11use_defaultESK_EENS0_5tupleIJNSA_16discard_iteratorISK_EESO_EEENSM_IJSG_SG_EEES6_PlJS6_EEE10hipError_tPvRmT3_T4_T5_T6_T7_T9_mT8_P12ihipStream_tbDpT10_ENKUlT_T0_E_clISt17integral_constantIbLb0EES1B_EEDaS16_S17_EUlS16_E_NS1_11comp_targetILNS1_3genE4ELNS1_11target_archE910ELNS1_3gpuE8ELNS1_3repE0EEENS1_30default_config_static_selectorELNS0_4arch9wavefront6targetE1EEEvT1_,"axG",@progbits,_ZN7rocprim17ROCPRIM_400000_NS6detail17trampoline_kernelINS0_14default_configENS1_25partition_config_selectorILNS1_17partition_subalgoE1EiNS0_10empty_typeEbEEZZNS1_14partition_implILS5_1ELb0ES3_jN6thrust23THRUST_200600_302600_NS6detail15normal_iteratorINSA_10device_ptrIiEEEEPS6_NSA_18transform_iteratorI7is_evenIiESF_NSA_11use_defaultESK_EENS0_5tupleIJNSA_16discard_iteratorISK_EESO_EEENSM_IJSG_SG_EEES6_PlJS6_EEE10hipError_tPvRmT3_T4_T5_T6_T7_T9_mT8_P12ihipStream_tbDpT10_ENKUlT_T0_E_clISt17integral_constantIbLb0EES1B_EEDaS16_S17_EUlS16_E_NS1_11comp_targetILNS1_3genE4ELNS1_11target_archE910ELNS1_3gpuE8ELNS1_3repE0EEENS1_30default_config_static_selectorELNS0_4arch9wavefront6targetE1EEEvT1_,comdat
	.protected	_ZN7rocprim17ROCPRIM_400000_NS6detail17trampoline_kernelINS0_14default_configENS1_25partition_config_selectorILNS1_17partition_subalgoE1EiNS0_10empty_typeEbEEZZNS1_14partition_implILS5_1ELb0ES3_jN6thrust23THRUST_200600_302600_NS6detail15normal_iteratorINSA_10device_ptrIiEEEEPS6_NSA_18transform_iteratorI7is_evenIiESF_NSA_11use_defaultESK_EENS0_5tupleIJNSA_16discard_iteratorISK_EESO_EEENSM_IJSG_SG_EEES6_PlJS6_EEE10hipError_tPvRmT3_T4_T5_T6_T7_T9_mT8_P12ihipStream_tbDpT10_ENKUlT_T0_E_clISt17integral_constantIbLb0EES1B_EEDaS16_S17_EUlS16_E_NS1_11comp_targetILNS1_3genE4ELNS1_11target_archE910ELNS1_3gpuE8ELNS1_3repE0EEENS1_30default_config_static_selectorELNS0_4arch9wavefront6targetE1EEEvT1_ ; -- Begin function _ZN7rocprim17ROCPRIM_400000_NS6detail17trampoline_kernelINS0_14default_configENS1_25partition_config_selectorILNS1_17partition_subalgoE1EiNS0_10empty_typeEbEEZZNS1_14partition_implILS5_1ELb0ES3_jN6thrust23THRUST_200600_302600_NS6detail15normal_iteratorINSA_10device_ptrIiEEEEPS6_NSA_18transform_iteratorI7is_evenIiESF_NSA_11use_defaultESK_EENS0_5tupleIJNSA_16discard_iteratorISK_EESO_EEENSM_IJSG_SG_EEES6_PlJS6_EEE10hipError_tPvRmT3_T4_T5_T6_T7_T9_mT8_P12ihipStream_tbDpT10_ENKUlT_T0_E_clISt17integral_constantIbLb0EES1B_EEDaS16_S17_EUlS16_E_NS1_11comp_targetILNS1_3genE4ELNS1_11target_archE910ELNS1_3gpuE8ELNS1_3repE0EEENS1_30default_config_static_selectorELNS0_4arch9wavefront6targetE1EEEvT1_
	.globl	_ZN7rocprim17ROCPRIM_400000_NS6detail17trampoline_kernelINS0_14default_configENS1_25partition_config_selectorILNS1_17partition_subalgoE1EiNS0_10empty_typeEbEEZZNS1_14partition_implILS5_1ELb0ES3_jN6thrust23THRUST_200600_302600_NS6detail15normal_iteratorINSA_10device_ptrIiEEEEPS6_NSA_18transform_iteratorI7is_evenIiESF_NSA_11use_defaultESK_EENS0_5tupleIJNSA_16discard_iteratorISK_EESO_EEENSM_IJSG_SG_EEES6_PlJS6_EEE10hipError_tPvRmT3_T4_T5_T6_T7_T9_mT8_P12ihipStream_tbDpT10_ENKUlT_T0_E_clISt17integral_constantIbLb0EES1B_EEDaS16_S17_EUlS16_E_NS1_11comp_targetILNS1_3genE4ELNS1_11target_archE910ELNS1_3gpuE8ELNS1_3repE0EEENS1_30default_config_static_selectorELNS0_4arch9wavefront6targetE1EEEvT1_
	.p2align	8
	.type	_ZN7rocprim17ROCPRIM_400000_NS6detail17trampoline_kernelINS0_14default_configENS1_25partition_config_selectorILNS1_17partition_subalgoE1EiNS0_10empty_typeEbEEZZNS1_14partition_implILS5_1ELb0ES3_jN6thrust23THRUST_200600_302600_NS6detail15normal_iteratorINSA_10device_ptrIiEEEEPS6_NSA_18transform_iteratorI7is_evenIiESF_NSA_11use_defaultESK_EENS0_5tupleIJNSA_16discard_iteratorISK_EESO_EEENSM_IJSG_SG_EEES6_PlJS6_EEE10hipError_tPvRmT3_T4_T5_T6_T7_T9_mT8_P12ihipStream_tbDpT10_ENKUlT_T0_E_clISt17integral_constantIbLb0EES1B_EEDaS16_S17_EUlS16_E_NS1_11comp_targetILNS1_3genE4ELNS1_11target_archE910ELNS1_3gpuE8ELNS1_3repE0EEENS1_30default_config_static_selectorELNS0_4arch9wavefront6targetE1EEEvT1_,@function
_ZN7rocprim17ROCPRIM_400000_NS6detail17trampoline_kernelINS0_14default_configENS1_25partition_config_selectorILNS1_17partition_subalgoE1EiNS0_10empty_typeEbEEZZNS1_14partition_implILS5_1ELb0ES3_jN6thrust23THRUST_200600_302600_NS6detail15normal_iteratorINSA_10device_ptrIiEEEEPS6_NSA_18transform_iteratorI7is_evenIiESF_NSA_11use_defaultESK_EENS0_5tupleIJNSA_16discard_iteratorISK_EESO_EEENSM_IJSG_SG_EEES6_PlJS6_EEE10hipError_tPvRmT3_T4_T5_T6_T7_T9_mT8_P12ihipStream_tbDpT10_ENKUlT_T0_E_clISt17integral_constantIbLb0EES1B_EEDaS16_S17_EUlS16_E_NS1_11comp_targetILNS1_3genE4ELNS1_11target_archE910ELNS1_3gpuE8ELNS1_3repE0EEENS1_30default_config_static_selectorELNS0_4arch9wavefront6targetE1EEEvT1_: ; @_ZN7rocprim17ROCPRIM_400000_NS6detail17trampoline_kernelINS0_14default_configENS1_25partition_config_selectorILNS1_17partition_subalgoE1EiNS0_10empty_typeEbEEZZNS1_14partition_implILS5_1ELb0ES3_jN6thrust23THRUST_200600_302600_NS6detail15normal_iteratorINSA_10device_ptrIiEEEEPS6_NSA_18transform_iteratorI7is_evenIiESF_NSA_11use_defaultESK_EENS0_5tupleIJNSA_16discard_iteratorISK_EESO_EEENSM_IJSG_SG_EEES6_PlJS6_EEE10hipError_tPvRmT3_T4_T5_T6_T7_T9_mT8_P12ihipStream_tbDpT10_ENKUlT_T0_E_clISt17integral_constantIbLb0EES1B_EEDaS16_S17_EUlS16_E_NS1_11comp_targetILNS1_3genE4ELNS1_11target_archE910ELNS1_3gpuE8ELNS1_3repE0EEENS1_30default_config_static_selectorELNS0_4arch9wavefront6targetE1EEEvT1_
; %bb.0:
	s_load_dwordx2 s[0:1], s[4:5], 0x70
	s_load_dwordx4 s[12:15], s[4:5], 0x8
	s_load_dwordx2 s[2:3], s[4:5], 0x20
	s_load_dwordx4 s[20:23], s[4:5], 0x60
	s_waitcnt lgkmcnt(0)
	v_mov_b32_e32 v3, s1
	s_load_dword s1, s[4:5], 0x88
	s_lshl_b64 s[8:9], s[14:15], 2
	s_add_u32 s16, s12, s8
	s_addc_u32 s17, s13, s9
	v_mov_b32_e32 v2, s0
	s_waitcnt lgkmcnt(0)
	s_add_i32 s10, s1, -1
	s_mulk_i32 s1, 0x700
	s_add_i32 s7, s1, s14
	s_sub_i32 s7, s0, s7
	s_addk_i32 s7, 0x700
	s_add_u32 s0, s14, s1
	s_addc_u32 s1, s15, 0
	s_cmp_eq_u32 s6, s10
	s_load_dwordx2 s[18:19], s[22:23], 0x0
	s_cselect_b64 s[22:23], -1, 0
	s_cmp_lg_u32 s6, s10
	s_mul_i32 s12, s6, 0x700
	s_mov_b32 s13, 0
	v_cmp_lt_u64_e32 vcc, s[0:1], v[2:3]
	s_cselect_b64 s[0:1], -1, 0
	s_or_b64 s[10:11], s[0:1], vcc
	s_lshl_b64 s[12:13], s[12:13], 2
	s_add_u32 s16, s16, s12
	s_addc_u32 s17, s17, s13
	s_mov_b64 s[0:1], -1
	s_and_b64 vcc, exec, s[10:11]
	s_cbranch_vccz .LBB3261_2
; %bb.1:
	v_lshlrev_b32_e32 v1, 2, v0
	v_mov_b32_e32 v3, s17
	v_add_co_u32_e32 v2, vcc, s16, v1
	v_addc_co_u32_e32 v3, vcc, 0, v3, vcc
	v_add_co_u32_e32 v4, vcc, 0x1000, v2
	v_addc_co_u32_e32 v5, vcc, 0, v3, vcc
	flat_load_dword v6, v[2:3]
	flat_load_dword v7, v[2:3] offset:1024
	flat_load_dword v8, v[2:3] offset:2048
	;; [unrolled: 1-line block ×3, first 2 shown]
	flat_load_dword v10, v[4:5]
	flat_load_dword v11, v[4:5] offset:1024
	flat_load_dword v12, v[4:5] offset:2048
	s_mov_b64 s[0:1], 0
	s_waitcnt vmcnt(0) lgkmcnt(0)
	ds_write2st64_b32 v1, v6, v7 offset1:4
	ds_write2st64_b32 v1, v8, v9 offset0:8 offset1:12
	ds_write2st64_b32 v1, v10, v11 offset0:16 offset1:20
	ds_write_b32 v1, v12 offset:6144
	s_waitcnt lgkmcnt(0)
	s_barrier
.LBB3261_2:
	s_andn2_b64 vcc, exec, s[0:1]
	v_cmp_gt_u32_e64 s[0:1], s7, v0
	s_cbranch_vccnz .LBB3261_18
; %bb.3:
                                        ; implicit-def: $vgpr2_vgpr3_vgpr4_vgpr5_vgpr6_vgpr7_vgpr8
	s_and_saveexec_b64 s[14:15], s[0:1]
	s_cbranch_execz .LBB3261_5
; %bb.4:
	v_lshlrev_b32_e32 v1, 2, v0
	v_mov_b32_e32 v3, s17
	v_add_co_u32_e32 v2, vcc, s16, v1
	v_addc_co_u32_e32 v3, vcc, 0, v3, vcc
	flat_load_dword v2, v[2:3]
.LBB3261_5:
	s_or_b64 exec, exec, s[14:15]
	v_or_b32_e32 v1, 0x100, v0
	v_cmp_gt_u32_e32 vcc, s7, v1
	s_and_saveexec_b64 s[0:1], vcc
	s_cbranch_execz .LBB3261_7
; %bb.6:
	v_lshlrev_b32_e32 v1, 2, v0
	v_mov_b32_e32 v3, s17
	v_add_co_u32_e32 v10, vcc, s16, v1
	v_addc_co_u32_e32 v11, vcc, 0, v3, vcc
	flat_load_dword v3, v[10:11] offset:1024
.LBB3261_7:
	s_or_b64 exec, exec, s[0:1]
	v_or_b32_e32 v1, 0x200, v0
	v_cmp_gt_u32_e32 vcc, s7, v1
	s_and_saveexec_b64 s[0:1], vcc
	s_cbranch_execz .LBB3261_9
; %bb.8:
	v_lshlrev_b32_e32 v1, 2, v0
	v_mov_b32_e32 v4, s17
	v_add_co_u32_e32 v10, vcc, s16, v1
	v_addc_co_u32_e32 v11, vcc, 0, v4, vcc
	flat_load_dword v4, v[10:11] offset:2048
.LBB3261_9:
	;; [unrolled: 12-line block ×3, first 2 shown]
	s_or_b64 exec, exec, s[0:1]
	v_or_b32_e32 v1, 0x400, v0
	v_cmp_gt_u32_e32 vcc, s7, v1
	s_and_saveexec_b64 s[0:1], vcc
	s_cbranch_execz .LBB3261_13
; %bb.12:
	v_lshlrev_b32_e32 v1, 2, v1
	v_mov_b32_e32 v6, s17
	v_add_co_u32_e32 v10, vcc, s16, v1
	v_addc_co_u32_e32 v11, vcc, 0, v6, vcc
	flat_load_dword v6, v[10:11]
.LBB3261_13:
	s_or_b64 exec, exec, s[0:1]
	v_or_b32_e32 v1, 0x500, v0
	v_cmp_gt_u32_e32 vcc, s7, v1
	s_and_saveexec_b64 s[0:1], vcc
	s_cbranch_execz .LBB3261_15
; %bb.14:
	v_lshlrev_b32_e32 v1, 2, v1
	v_mov_b32_e32 v7, s17
	v_add_co_u32_e32 v10, vcc, s16, v1
	v_addc_co_u32_e32 v11, vcc, 0, v7, vcc
	flat_load_dword v7, v[10:11]
.LBB3261_15:
	;; [unrolled: 12-line block ×3, first 2 shown]
	s_or_b64 exec, exec, s[0:1]
	v_lshlrev_b32_e32 v1, 2, v0
	s_waitcnt vmcnt(0) lgkmcnt(0)
	ds_write2st64_b32 v1, v2, v3 offset1:4
	ds_write2st64_b32 v1, v4, v5 offset0:8 offset1:12
	ds_write2st64_b32 v1, v6, v7 offset0:16 offset1:20
	ds_write_b32 v1, v8 offset:6144
	s_waitcnt lgkmcnt(0)
	s_barrier
.LBB3261_18:
	v_mul_u32_u24_e32 v18, 7, v0
	v_lshlrev_b32_e32 v8, 2, v18
	s_waitcnt lgkmcnt(0)
	ds_read2_b32 v[6:7], v8 offset1:1
	ds_read2_b32 v[4:5], v8 offset0:2 offset1:3
	ds_read2_b32 v[2:3], v8 offset0:4 offset1:5
	ds_read_b32 v1, v8 offset:24
	s_add_u32 s0, s2, s8
	s_addc_u32 s1, s3, s9
	s_add_u32 s0, s0, s12
	s_addc_u32 s1, s1, s13
	s_mov_b64 s[2:3], -1
	s_and_b64 vcc, exec, s[10:11]
	s_waitcnt lgkmcnt(0)
	s_barrier
	s_cbranch_vccz .LBB3261_20
; %bb.19:
	v_lshlrev_b32_e32 v9, 2, v0
	v_mov_b32_e32 v10, s1
	v_add_co_u32_e32 v11, vcc, s0, v9
	v_addc_co_u32_e32 v12, vcc, 0, v10, vcc
	s_movk_i32 s2, 0x1000
	v_add_co_u32_e32 v10, vcc, s2, v11
	v_addc_co_u32_e32 v11, vcc, 0, v12, vcc
	global_load_dword v13, v9, s[0:1]
	global_load_dword v14, v9, s[0:1] offset:1024
	global_load_dword v15, v9, s[0:1] offset:2048
	;; [unrolled: 1-line block ×3, first 2 shown]
	s_nop 0
	global_load_dword v9, v[10:11], off
	global_load_dword v12, v[10:11], off offset:1024
	global_load_dword v17, v[10:11], off offset:2048
	s_mov_b64 s[2:3], 0
	s_waitcnt vmcnt(6)
	v_xor_b32_e32 v10, -1, v13
	s_waitcnt vmcnt(5)
	v_xor_b32_e32 v11, -1, v14
	;; [unrolled: 2-line block ×3, first 2 shown]
	v_xor_b32_e32 v13, -1, v15
	v_xor_b32_e32 v14, -1, v16
	v_and_b32_e32 v10, 1, v10
	v_and_b32_e32 v11, 1, v11
	s_waitcnt vmcnt(1)
	v_xor_b32_e32 v12, -1, v12
	s_waitcnt vmcnt(0)
	v_xor_b32_e32 v15, -1, v17
	v_and_b32_e32 v9, 1, v9
	v_and_b32_e32 v13, 1, v13
	;; [unrolled: 1-line block ×3, first 2 shown]
	ds_write_b8 v0, v10
	ds_write_b8 v0, v11 offset:256
	ds_write_b8 v0, v13 offset:512
	;; [unrolled: 1-line block ×3, first 2 shown]
	v_and_b32_e32 v10, 1, v12
	v_and_b32_e32 v11, 1, v15
	ds_write_b8 v0, v9 offset:1024
	ds_write_b8 v0, v10 offset:1280
	;; [unrolled: 1-line block ×3, first 2 shown]
	s_waitcnt lgkmcnt(0)
	s_barrier
.LBB3261_20:
	s_load_dwordx2 s[24:25], s[4:5], 0x80
	s_andn2_b64 vcc, exec, s[2:3]
	s_cbranch_vccnz .LBB3261_36
; %bb.21:
	v_cmp_gt_u32_e32 vcc, s7, v0
	v_mov_b32_e32 v9, 0
	v_mov_b32_e32 v10, 0
	s_and_saveexec_b64 s[2:3], vcc
	s_cbranch_execz .LBB3261_23
; %bb.22:
	v_lshlrev_b32_e32 v10, 2, v0
	global_load_dword v10, v10, s[0:1]
	s_waitcnt vmcnt(0)
	v_xor_b32_e32 v10, -1, v10
	v_and_b32_e32 v10, 1, v10
.LBB3261_23:
	s_or_b64 exec, exec, s[2:3]
	v_or_b32_e32 v11, 0x100, v0
	v_cmp_gt_u32_e32 vcc, s7, v11
	s_and_saveexec_b64 s[2:3], vcc
	s_cbranch_execz .LBB3261_25
; %bb.24:
	v_lshlrev_b32_e32 v9, 2, v0
	global_load_dword v9, v9, s[0:1] offset:1024
	s_waitcnt vmcnt(0)
	v_xor_b32_e32 v9, -1, v9
	v_and_b32_e32 v9, 1, v9
.LBB3261_25:
	s_or_b64 exec, exec, s[2:3]
	v_or_b32_e32 v11, 0x200, v0
	v_cmp_gt_u32_e32 vcc, s7, v11
	v_mov_b32_e32 v11, 0
	v_mov_b32_e32 v12, 0
	s_and_saveexec_b64 s[2:3], vcc
	s_cbranch_execz .LBB3261_27
; %bb.26:
	v_lshlrev_b32_e32 v12, 2, v0
	global_load_dword v12, v12, s[0:1] offset:2048
	s_waitcnt vmcnt(0)
	v_xor_b32_e32 v12, -1, v12
	v_and_b32_e32 v12, 1, v12
.LBB3261_27:
	s_or_b64 exec, exec, s[2:3]
	v_or_b32_e32 v13, 0x300, v0
	v_cmp_gt_u32_e32 vcc, s7, v13
	s_and_saveexec_b64 s[2:3], vcc
	s_cbranch_execz .LBB3261_29
; %bb.28:
	v_lshlrev_b32_e32 v11, 2, v0
	global_load_dword v11, v11, s[0:1] offset:3072
	s_waitcnt vmcnt(0)
	v_xor_b32_e32 v11, -1, v11
	v_and_b32_e32 v11, 1, v11
.LBB3261_29:
	s_or_b64 exec, exec, s[2:3]
	v_or_b32_e32 v15, 0x400, v0
	v_cmp_gt_u32_e32 vcc, s7, v15
	v_mov_b32_e32 v13, 0
	v_mov_b32_e32 v14, 0
	s_and_saveexec_b64 s[2:3], vcc
	s_cbranch_execz .LBB3261_31
; %bb.30:
	v_lshlrev_b32_e32 v14, 2, v15
	global_load_dword v14, v14, s[0:1]
	s_waitcnt vmcnt(0)
	v_xor_b32_e32 v14, -1, v14
	v_and_b32_e32 v14, 1, v14
.LBB3261_31:
	s_or_b64 exec, exec, s[2:3]
	v_or_b32_e32 v15, 0x500, v0
	v_cmp_gt_u32_e32 vcc, s7, v15
	s_and_saveexec_b64 s[2:3], vcc
	s_cbranch_execz .LBB3261_33
; %bb.32:
	v_lshlrev_b32_e32 v13, 2, v15
	global_load_dword v13, v13, s[0:1]
	s_waitcnt vmcnt(0)
	v_xor_b32_e32 v13, -1, v13
	v_and_b32_e32 v13, 1, v13
.LBB3261_33:
	s_or_b64 exec, exec, s[2:3]
	v_or_b32_e32 v16, 0x600, v0
	v_cmp_gt_u32_e32 vcc, s7, v16
	v_mov_b32_e32 v15, 0
	s_and_saveexec_b64 s[2:3], vcc
	s_cbranch_execz .LBB3261_35
; %bb.34:
	v_lshlrev_b32_e32 v15, 2, v16
	global_load_dword v15, v15, s[0:1]
	s_waitcnt vmcnt(0)
	v_xor_b32_e32 v15, -1, v15
	v_and_b32_e32 v15, 1, v15
.LBB3261_35:
	s_or_b64 exec, exec, s[2:3]
	ds_write_b8 v0, v10
	ds_write_b8 v0, v9 offset:256
	ds_write_b8 v0, v12 offset:512
	;; [unrolled: 1-line block ×6, first 2 shown]
	s_waitcnt lgkmcnt(0)
	s_barrier
.LBB3261_36:
	s_movk_i32 s0, 0xffeb
	v_mad_i32_i24 v27, v0, s0, v8
	s_waitcnt lgkmcnt(0)
	ds_read_u8 v8, v27
	ds_read_u8 v9, v27 offset:1
	ds_read_u8 v10, v27 offset:2
	;; [unrolled: 1-line block ×6, first 2 shown]
	s_waitcnt lgkmcnt(6)
	v_and_b32_e32 v25, 1, v8
	s_waitcnt lgkmcnt(5)
	v_and_b32_e32 v24, 1, v9
	;; [unrolled: 2-line block ×5, first 2 shown]
	v_add3_u32 v8, v24, v25, v23
	s_waitcnt lgkmcnt(1)
	v_and_b32_e32 v20, 1, v13
	s_waitcnt lgkmcnt(0)
	v_and_b32_e32 v19, 1, v14
	v_add3_u32 v8, v8, v22, v21
	v_add3_u32 v29, v8, v20, v19
	v_mbcnt_lo_u32_b32 v8, -1, 0
	v_mbcnt_hi_u32_b32 v26, -1, v8
	v_and_b32_e32 v8, 15, v26
	v_cmp_eq_u32_e64 s[12:13], 0, v8
	v_cmp_lt_u32_e64 s[10:11], 1, v8
	v_cmp_lt_u32_e64 s[8:9], 3, v8
	;; [unrolled: 1-line block ×3, first 2 shown]
	v_and_b32_e32 v8, 16, v26
	v_cmp_eq_u32_e64 s[4:5], 0, v8
	v_or_b32_e32 v8, 63, v0
	s_cmp_lg_u32 s6, 0
	v_cmp_lt_u32_e64 s[0:1], 31, v26
	v_lshrrev_b32_e32 v28, 6, v0
	v_cmp_eq_u32_e64 s[2:3], v8, v0
	s_barrier
	s_cbranch_scc0 .LBB3261_63
; %bb.37:
	v_mov_b32_dpp v8, v29 row_shr:1 row_mask:0xf bank_mask:0xf
	v_cndmask_b32_e64 v8, v8, 0, s[12:13]
	v_add_u32_e32 v8, v8, v29
	s_nop 1
	v_mov_b32_dpp v9, v8 row_shr:2 row_mask:0xf bank_mask:0xf
	v_cndmask_b32_e64 v9, 0, v9, s[10:11]
	v_add_u32_e32 v8, v8, v9
	s_nop 1
	;; [unrolled: 4-line block ×4, first 2 shown]
	v_mov_b32_dpp v9, v8 row_bcast:15 row_mask:0xf bank_mask:0xf
	v_cndmask_b32_e64 v9, v9, 0, s[4:5]
	v_add_u32_e32 v8, v8, v9
	s_nop 1
	v_mov_b32_dpp v9, v8 row_bcast:31 row_mask:0xf bank_mask:0xf
	v_cndmask_b32_e64 v9, 0, v9, s[0:1]
	v_add_u32_e32 v8, v8, v9
	s_and_saveexec_b64 s[14:15], s[2:3]
	s_cbranch_execz .LBB3261_39
; %bb.38:
	v_lshlrev_b32_e32 v9, 2, v28
	ds_write_b32 v9, v8
.LBB3261_39:
	s_or_b64 exec, exec, s[14:15]
	v_cmp_gt_u32_e32 vcc, 4, v0
	s_waitcnt lgkmcnt(0)
	s_barrier
	s_and_saveexec_b64 s[14:15], vcc
	s_cbranch_execz .LBB3261_41
; %bb.40:
	v_lshlrev_b32_e32 v9, 2, v0
	ds_read_b32 v10, v9
	v_and_b32_e32 v11, 3, v26
	v_cmp_ne_u32_e32 vcc, 0, v11
	s_waitcnt lgkmcnt(0)
	v_mov_b32_dpp v12, v10 row_shr:1 row_mask:0xf bank_mask:0xf
	v_cndmask_b32_e32 v12, 0, v12, vcc
	v_add_u32_e32 v10, v12, v10
	v_cmp_lt_u32_e32 vcc, 1, v11
	s_nop 0
	v_mov_b32_dpp v12, v10 row_shr:2 row_mask:0xf bank_mask:0xf
	v_cndmask_b32_e32 v11, 0, v12, vcc
	v_add_u32_e32 v10, v10, v11
	ds_write_b32 v9, v10
.LBB3261_41:
	s_or_b64 exec, exec, s[14:15]
	v_cmp_gt_u32_e32 vcc, 64, v0
	v_cmp_lt_u32_e64 s[14:15], 63, v0
	s_waitcnt lgkmcnt(0)
	s_barrier
	s_waitcnt lgkmcnt(0)
                                        ; implicit-def: $vgpr30
	s_and_saveexec_b64 s[26:27], s[14:15]
	s_cbranch_execz .LBB3261_43
; %bb.42:
	v_lshl_add_u32 v9, v28, 2, -4
	ds_read_b32 v30, v9
	s_waitcnt lgkmcnt(0)
	v_add_u32_e32 v8, v30, v8
.LBB3261_43:
	s_or_b64 exec, exec, s[26:27]
	v_add_u32_e32 v9, -1, v26
	v_and_b32_e32 v10, 64, v26
	v_cmp_lt_i32_e64 s[14:15], v9, v10
	v_cndmask_b32_e64 v9, v9, v26, s[14:15]
	v_lshlrev_b32_e32 v9, 2, v9
	ds_bpermute_b32 v31, v9, v8
	v_cmp_eq_u32_e64 s[14:15], 0, v26
	s_and_saveexec_b64 s[26:27], vcc
	s_cbranch_execz .LBB3261_62
; %bb.44:
	v_mov_b32_e32 v15, 0
	ds_read_b32 v8, v15 offset:12
	s_and_saveexec_b64 s[28:29], s[14:15]
	s_cbranch_execz .LBB3261_46
; %bb.45:
	s_add_i32 s30, s6, 64
	s_mov_b32 s31, 0
	s_lshl_b64 s[30:31], s[30:31], 3
	s_add_u32 s30, s24, s30
	v_mov_b32_e32 v9, 1
	s_addc_u32 s31, s25, s31
	s_waitcnt lgkmcnt(0)
	global_store_dwordx2 v15, v[8:9], s[30:31]
.LBB3261_46:
	s_or_b64 exec, exec, s[28:29]
	v_xad_u32 v10, v26, -1, s6
	v_add_u32_e32 v14, 64, v10
	v_lshlrev_b64 v[12:13], 3, v[14:15]
	v_mov_b32_e32 v9, s25
	v_add_co_u32_e32 v16, vcc, s24, v12
	v_addc_co_u32_e32 v17, vcc, v9, v13, vcc
	global_load_dwordx2 v[12:13], v[16:17], off glc
	s_waitcnt vmcnt(0)
	v_cmp_eq_u16_sdwa s[30:31], v13, v15 src0_sel:BYTE_0 src1_sel:DWORD
	s_and_saveexec_b64 s[28:29], s[30:31]
	s_cbranch_execz .LBB3261_50
; %bb.47:
	s_mov_b64 s[30:31], 0
	v_mov_b32_e32 v9, 0
.LBB3261_48:                            ; =>This Inner Loop Header: Depth=1
	global_load_dwordx2 v[12:13], v[16:17], off glc
	s_waitcnt vmcnt(0)
	v_cmp_ne_u16_sdwa s[34:35], v13, v9 src0_sel:BYTE_0 src1_sel:DWORD
	s_or_b64 s[30:31], s[34:35], s[30:31]
	s_andn2_b64 exec, exec, s[30:31]
	s_cbranch_execnz .LBB3261_48
; %bb.49:
	s_or_b64 exec, exec, s[30:31]
.LBB3261_50:
	s_or_b64 exec, exec, s[28:29]
	v_and_b32_e32 v33, 63, v26
	v_mov_b32_e32 v32, 2
	v_cmp_ne_u32_e32 vcc, 63, v33
	v_cmp_eq_u16_sdwa s[28:29], v13, v32 src0_sel:BYTE_0 src1_sel:DWORD
	v_lshlrev_b64 v[14:15], v26, -1
	v_addc_co_u32_e32 v16, vcc, 0, v26, vcc
	v_and_b32_e32 v9, s29, v15
	v_lshlrev_b32_e32 v34, 2, v16
	v_or_b32_e32 v9, 0x80000000, v9
	ds_bpermute_b32 v16, v34, v12
	v_and_b32_e32 v11, s28, v14
	v_ffbl_b32_e32 v9, v9
	v_add_u32_e32 v9, 32, v9
	v_ffbl_b32_e32 v11, v11
	v_min_u32_e32 v9, v11, v9
	v_cmp_lt_u32_e32 vcc, v33, v9
	s_waitcnt lgkmcnt(0)
	v_cndmask_b32_e32 v11, 0, v16, vcc
	v_cmp_gt_u32_e32 vcc, 62, v33
	v_add_u32_e32 v11, v11, v12
	v_cndmask_b32_e64 v12, 0, 1, vcc
	v_lshlrev_b32_e32 v12, 1, v12
	v_add_lshl_u32 v35, v12, v26, 2
	ds_bpermute_b32 v12, v35, v11
	v_add_u32_e32 v36, 2, v33
	v_cmp_le_u32_e32 vcc, v36, v9
	v_add_u32_e32 v38, 4, v33
	v_add_u32_e32 v40, 8, v33
	s_waitcnt lgkmcnt(0)
	v_cndmask_b32_e32 v12, 0, v12, vcc
	v_cmp_gt_u32_e32 vcc, 60, v33
	v_add_u32_e32 v11, v11, v12
	v_cndmask_b32_e64 v12, 0, 1, vcc
	v_lshlrev_b32_e32 v12, 2, v12
	v_add_lshl_u32 v37, v12, v26, 2
	ds_bpermute_b32 v12, v37, v11
	v_cmp_le_u32_e32 vcc, v38, v9
	v_add_u32_e32 v42, 16, v33
	v_add_u32_e32 v44, 32, v33
	s_waitcnt lgkmcnt(0)
	v_cndmask_b32_e32 v12, 0, v12, vcc
	v_cmp_gt_u32_e32 vcc, 56, v33
	v_add_u32_e32 v11, v11, v12
	v_cndmask_b32_e64 v12, 0, 1, vcc
	v_lshlrev_b32_e32 v12, 3, v12
	v_add_lshl_u32 v39, v12, v26, 2
	ds_bpermute_b32 v12, v39, v11
	v_cmp_le_u32_e32 vcc, v40, v9
	s_waitcnt lgkmcnt(0)
	v_cndmask_b32_e32 v12, 0, v12, vcc
	v_cmp_gt_u32_e32 vcc, 48, v33
	v_add_u32_e32 v11, v11, v12
	v_cndmask_b32_e64 v12, 0, 1, vcc
	v_lshlrev_b32_e32 v12, 4, v12
	v_add_lshl_u32 v41, v12, v26, 2
	ds_bpermute_b32 v12, v41, v11
	v_cmp_le_u32_e32 vcc, v42, v9
	;; [unrolled: 9-line block ×3, first 2 shown]
	s_waitcnt lgkmcnt(0)
	v_cndmask_b32_e32 v9, 0, v12, vcc
	v_add_u32_e32 v12, v11, v9
	v_mov_b32_e32 v11, 0
	s_branch .LBB3261_52
.LBB3261_51:                            ;   in Loop: Header=BB3261_52 Depth=1
	s_or_b64 exec, exec, s[28:29]
	v_cmp_eq_u16_sdwa s[28:29], v13, v32 src0_sel:BYTE_0 src1_sel:DWORD
	v_and_b32_e32 v16, s29, v15
	v_or_b32_e32 v16, 0x80000000, v16
	ds_bpermute_b32 v45, v34, v12
	v_and_b32_e32 v17, s28, v14
	v_ffbl_b32_e32 v16, v16
	v_add_u32_e32 v16, 32, v16
	v_ffbl_b32_e32 v17, v17
	v_min_u32_e32 v16, v17, v16
	v_cmp_lt_u32_e32 vcc, v33, v16
	s_waitcnt lgkmcnt(0)
	v_cndmask_b32_e32 v17, 0, v45, vcc
	v_add_u32_e32 v12, v17, v12
	ds_bpermute_b32 v17, v35, v12
	v_cmp_le_u32_e32 vcc, v36, v16
	v_subrev_u32_e32 v10, 64, v10
	s_waitcnt lgkmcnt(0)
	v_cndmask_b32_e32 v17, 0, v17, vcc
	v_add_u32_e32 v12, v12, v17
	ds_bpermute_b32 v17, v37, v12
	v_cmp_le_u32_e32 vcc, v38, v16
	s_waitcnt lgkmcnt(0)
	v_cndmask_b32_e32 v17, 0, v17, vcc
	v_add_u32_e32 v12, v12, v17
	ds_bpermute_b32 v17, v39, v12
	v_cmp_le_u32_e32 vcc, v40, v16
	;; [unrolled: 5-line block ×4, first 2 shown]
	s_waitcnt lgkmcnt(0)
	v_cndmask_b32_e32 v16, 0, v17, vcc
	v_add3_u32 v12, v16, v9, v12
.LBB3261_52:                            ; =>This Loop Header: Depth=1
                                        ;     Child Loop BB3261_55 Depth 2
	v_cmp_ne_u16_sdwa s[28:29], v13, v32 src0_sel:BYTE_0 src1_sel:DWORD
	v_cndmask_b32_e64 v9, 0, 1, s[28:29]
	;;#ASMSTART
	;;#ASMEND
	v_cmp_ne_u32_e32 vcc, 0, v9
	s_cmp_lg_u64 vcc, exec
	v_mov_b32_e32 v9, v12
	s_cbranch_scc1 .LBB3261_57
; %bb.53:                               ;   in Loop: Header=BB3261_52 Depth=1
	v_lshlrev_b64 v[12:13], 3, v[10:11]
	v_mov_b32_e32 v17, s25
	v_add_co_u32_e32 v16, vcc, s24, v12
	v_addc_co_u32_e32 v17, vcc, v17, v13, vcc
	global_load_dwordx2 v[12:13], v[16:17], off glc
	s_waitcnt vmcnt(0)
	v_cmp_eq_u16_sdwa s[30:31], v13, v11 src0_sel:BYTE_0 src1_sel:DWORD
	s_and_saveexec_b64 s[28:29], s[30:31]
	s_cbranch_execz .LBB3261_51
; %bb.54:                               ;   in Loop: Header=BB3261_52 Depth=1
	s_mov_b64 s[30:31], 0
.LBB3261_55:                            ;   Parent Loop BB3261_52 Depth=1
                                        ; =>  This Inner Loop Header: Depth=2
	global_load_dwordx2 v[12:13], v[16:17], off glc
	s_waitcnt vmcnt(0)
	v_cmp_ne_u16_sdwa s[34:35], v13, v11 src0_sel:BYTE_0 src1_sel:DWORD
	s_or_b64 s[30:31], s[34:35], s[30:31]
	s_andn2_b64 exec, exec, s[30:31]
	s_cbranch_execnz .LBB3261_55
; %bb.56:                               ;   in Loop: Header=BB3261_52 Depth=1
	s_or_b64 exec, exec, s[30:31]
	s_branch .LBB3261_51
.LBB3261_57:                            ;   in Loop: Header=BB3261_52 Depth=1
                                        ; implicit-def: $vgpr12
                                        ; implicit-def: $vgpr13
	s_cbranch_execz .LBB3261_52
; %bb.58:
	s_and_saveexec_b64 s[28:29], s[14:15]
	s_cbranch_execz .LBB3261_60
; %bb.59:
	s_add_i32 s6, s6, 64
	s_mov_b32 s7, 0
	s_lshl_b64 s[6:7], s[6:7], 3
	s_add_u32 s6, s24, s6
	v_add_u32_e32 v10, v9, v8
	v_mov_b32_e32 v11, 2
	s_addc_u32 s7, s25, s7
	v_mov_b32_e32 v12, 0
	global_store_dwordx2 v12, v[10:11], s[6:7]
	ds_write_b64 v12, v[8:9] offset:7168
.LBB3261_60:
	s_or_b64 exec, exec, s[28:29]
	v_cmp_eq_u32_e32 vcc, 0, v0
	s_and_b64 exec, exec, vcc
	s_cbranch_execz .LBB3261_62
; %bb.61:
	v_mov_b32_e32 v8, 0
	ds_write_b32 v8, v9 offset:12
.LBB3261_62:
	s_or_b64 exec, exec, s[26:27]
	v_mov_b32_e32 v8, 0
	s_waitcnt lgkmcnt(0)
	s_barrier
	ds_read_b32 v9, v8 offset:12
	v_cndmask_b32_e64 v10, v31, v30, s[14:15]
	v_cmp_ne_u32_e32 vcc, 0, v0
	v_cndmask_b32_e32 v10, 0, v10, vcc
	s_waitcnt lgkmcnt(0)
	v_add_u32_e32 v16, v9, v10
	v_add_u32_e32 v15, v16, v25
	;; [unrolled: 1-line block ×3, first 2 shown]
	s_barrier
	ds_read_b64 v[8:9], v8 offset:7168
	v_add_u32_e32 v12, v14, v23
	v_add_u32_e32 v13, v12, v22
	;; [unrolled: 1-line block ×4, first 2 shown]
	s_branch .LBB3261_73
.LBB3261_63:
                                        ; implicit-def: $vgpr9
                                        ; implicit-def: $vgpr10
                                        ; implicit-def: $vgpr11
                                        ; implicit-def: $vgpr13
                                        ; implicit-def: $vgpr12
                                        ; implicit-def: $vgpr14
                                        ; implicit-def: $vgpr15
                                        ; implicit-def: $vgpr16
	s_cbranch_execz .LBB3261_73
; %bb.64:
	s_waitcnt lgkmcnt(0)
	v_mov_b32_dpp v8, v29 row_shr:1 row_mask:0xf bank_mask:0xf
	v_cndmask_b32_e64 v8, v8, 0, s[12:13]
	v_add_u32_e32 v8, v8, v29
	s_nop 1
	v_mov_b32_dpp v9, v8 row_shr:2 row_mask:0xf bank_mask:0xf
	v_cndmask_b32_e64 v9, 0, v9, s[10:11]
	v_add_u32_e32 v8, v8, v9
	s_nop 1
	;; [unrolled: 4-line block ×4, first 2 shown]
	v_mov_b32_dpp v9, v8 row_bcast:15 row_mask:0xf bank_mask:0xf
	v_cndmask_b32_e64 v9, v9, 0, s[4:5]
	v_add_u32_e32 v8, v8, v9
	s_nop 1
	v_mov_b32_dpp v9, v8 row_bcast:31 row_mask:0xf bank_mask:0xf
	v_cndmask_b32_e64 v9, 0, v9, s[0:1]
	v_add_u32_e32 v8, v8, v9
	s_and_saveexec_b64 s[0:1], s[2:3]
	s_cbranch_execz .LBB3261_66
; %bb.65:
	v_lshlrev_b32_e32 v9, 2, v28
	ds_write_b32 v9, v8
.LBB3261_66:
	s_or_b64 exec, exec, s[0:1]
	v_cmp_gt_u32_e32 vcc, 4, v0
	s_waitcnt lgkmcnt(0)
	s_barrier
	s_and_saveexec_b64 s[0:1], vcc
	s_cbranch_execz .LBB3261_68
; %bb.67:
	v_mad_i32_i24 v9, v0, -3, v27
	ds_read_b32 v10, v9
	v_and_b32_e32 v11, 3, v26
	v_cmp_ne_u32_e32 vcc, 0, v11
	s_waitcnt lgkmcnt(0)
	v_mov_b32_dpp v12, v10 row_shr:1 row_mask:0xf bank_mask:0xf
	v_cndmask_b32_e32 v12, 0, v12, vcc
	v_add_u32_e32 v10, v12, v10
	v_cmp_lt_u32_e32 vcc, 1, v11
	s_nop 0
	v_mov_b32_dpp v12, v10 row_shr:2 row_mask:0xf bank_mask:0xf
	v_cndmask_b32_e32 v11, 0, v12, vcc
	v_add_u32_e32 v10, v10, v11
	ds_write_b32 v9, v10
.LBB3261_68:
	s_or_b64 exec, exec, s[0:1]
	v_cmp_lt_u32_e32 vcc, 63, v0
	v_mov_b32_e32 v9, 0
	v_mov_b32_e32 v10, 0
	s_waitcnt lgkmcnt(0)
	s_barrier
	s_and_saveexec_b64 s[0:1], vcc
	s_cbranch_execz .LBB3261_70
; %bb.69:
	v_lshl_add_u32 v10, v28, 2, -4
	ds_read_b32 v10, v10
.LBB3261_70:
	s_or_b64 exec, exec, s[0:1]
	v_add_u32_e32 v11, -1, v26
	v_and_b32_e32 v12, 64, v26
	v_cmp_lt_i32_e32 vcc, v11, v12
	v_cndmask_b32_e32 v11, v11, v26, vcc
	s_waitcnt lgkmcnt(0)
	v_add_u32_e32 v8, v10, v8
	v_lshlrev_b32_e32 v11, 2, v11
	ds_bpermute_b32 v11, v11, v8
	ds_read_b32 v8, v9 offset:12
	v_cmp_eq_u32_e32 vcc, 0, v0
	s_and_saveexec_b64 s[0:1], vcc
	s_cbranch_execz .LBB3261_72
; %bb.71:
	v_mov_b32_e32 v12, 0
	v_mov_b32_e32 v9, 2
	s_waitcnt lgkmcnt(0)
	global_store_dwordx2 v12, v[8:9], s[24:25] offset:512
.LBB3261_72:
	s_or_b64 exec, exec, s[0:1]
	v_cmp_eq_u32_e64 s[0:1], 0, v26
	s_waitcnt lgkmcnt(1)
	v_cndmask_b32_e64 v10, v11, v10, s[0:1]
	v_cndmask_b32_e64 v16, v10, 0, vcc
	v_add_u32_e32 v15, v16, v25
	v_add_u32_e32 v14, v15, v24
	;; [unrolled: 1-line block ×5, first 2 shown]
	v_mov_b32_e32 v9, 0
	v_add_u32_e32 v10, v11, v20
	s_waitcnt lgkmcnt(0)
	s_barrier
.LBB3261_73:
	s_waitcnt lgkmcnt(0)
	v_add_u32_e32 v17, v8, v18
	v_sub_u32_e32 v16, v16, v9
	v_sub_u32_e32 v18, v17, v16
	v_cmp_eq_u32_e32 vcc, 1, v25
	v_cndmask_b32_e32 v16, v18, v16, vcc
	v_lshlrev_b32_e32 v16, 2, v16
	ds_write_b32 v16, v6
	v_sub_u32_e32 v6, v15, v9
	v_sub_u32_e32 v15, v17, v6
	v_add_u32_e32 v15, 1, v15
	v_cmp_eq_u32_e32 vcc, 1, v24
	v_cndmask_b32_e32 v6, v15, v6, vcc
	v_lshlrev_b32_e32 v6, 2, v6
	ds_write_b32 v6, v7
	v_sub_u32_e32 v6, v14, v9
	v_sub_u32_e32 v7, v17, v6
	v_add_u32_e32 v7, 2, v7
	;; [unrolled: 7-line block ×6, first 2 shown]
	v_cmp_eq_u32_e32 vcc, 1, v19
	v_cndmask_b32_e32 v2, v3, v2, vcc
	v_cmp_eq_u32_e32 vcc, 0, v0
	v_lshlrev_b32_e32 v2, 2, v2
	s_and_b64 s[0:1], vcc, s[22:23]
	ds_write_b32 v2, v1
	s_waitcnt lgkmcnt(0)
	s_barrier
	s_and_saveexec_b64 s[2:3], s[0:1]
	s_cbranch_execz .LBB3261_75
; %bb.74:
	v_mov_b32_e32 v0, s19
	v_add_co_u32_e32 v1, vcc, s18, v8
	v_addc_co_u32_e32 v3, vcc, 0, v0, vcc
	v_add_co_u32_e32 v0, vcc, v1, v9
	v_mov_b32_e32 v2, 0
	v_addc_co_u32_e32 v1, vcc, 0, v3, vcc
	global_store_dwordx2 v2, v[0:1], s[20:21]
.LBB3261_75:
	s_endpgm
	.section	.rodata,"a",@progbits
	.p2align	6, 0x0
	.amdhsa_kernel _ZN7rocprim17ROCPRIM_400000_NS6detail17trampoline_kernelINS0_14default_configENS1_25partition_config_selectorILNS1_17partition_subalgoE1EiNS0_10empty_typeEbEEZZNS1_14partition_implILS5_1ELb0ES3_jN6thrust23THRUST_200600_302600_NS6detail15normal_iteratorINSA_10device_ptrIiEEEEPS6_NSA_18transform_iteratorI7is_evenIiESF_NSA_11use_defaultESK_EENS0_5tupleIJNSA_16discard_iteratorISK_EESO_EEENSM_IJSG_SG_EEES6_PlJS6_EEE10hipError_tPvRmT3_T4_T5_T6_T7_T9_mT8_P12ihipStream_tbDpT10_ENKUlT_T0_E_clISt17integral_constantIbLb0EES1B_EEDaS16_S17_EUlS16_E_NS1_11comp_targetILNS1_3genE4ELNS1_11target_archE910ELNS1_3gpuE8ELNS1_3repE0EEENS1_30default_config_static_selectorELNS0_4arch9wavefront6targetE1EEEvT1_
		.amdhsa_group_segment_fixed_size 7176
		.amdhsa_private_segment_fixed_size 0
		.amdhsa_kernarg_size 144
		.amdhsa_user_sgpr_count 6
		.amdhsa_user_sgpr_private_segment_buffer 1
		.amdhsa_user_sgpr_dispatch_ptr 0
		.amdhsa_user_sgpr_queue_ptr 0
		.amdhsa_user_sgpr_kernarg_segment_ptr 1
		.amdhsa_user_sgpr_dispatch_id 0
		.amdhsa_user_sgpr_flat_scratch_init 0
		.amdhsa_user_sgpr_kernarg_preload_length 0
		.amdhsa_user_sgpr_kernarg_preload_offset 0
		.amdhsa_user_sgpr_private_segment_size 0
		.amdhsa_uses_dynamic_stack 0
		.amdhsa_system_sgpr_private_segment_wavefront_offset 0
		.amdhsa_system_sgpr_workgroup_id_x 1
		.amdhsa_system_sgpr_workgroup_id_y 0
		.amdhsa_system_sgpr_workgroup_id_z 0
		.amdhsa_system_sgpr_workgroup_info 0
		.amdhsa_system_vgpr_workitem_id 0
		.amdhsa_next_free_vgpr 46
		.amdhsa_next_free_sgpr 36
		.amdhsa_accum_offset 48
		.amdhsa_reserve_vcc 1
		.amdhsa_reserve_flat_scratch 0
		.amdhsa_float_round_mode_32 0
		.amdhsa_float_round_mode_16_64 0
		.amdhsa_float_denorm_mode_32 3
		.amdhsa_float_denorm_mode_16_64 3
		.amdhsa_dx10_clamp 1
		.amdhsa_ieee_mode 1
		.amdhsa_fp16_overflow 0
		.amdhsa_tg_split 0
		.amdhsa_exception_fp_ieee_invalid_op 0
		.amdhsa_exception_fp_denorm_src 0
		.amdhsa_exception_fp_ieee_div_zero 0
		.amdhsa_exception_fp_ieee_overflow 0
		.amdhsa_exception_fp_ieee_underflow 0
		.amdhsa_exception_fp_ieee_inexact 0
		.amdhsa_exception_int_div_zero 0
	.end_amdhsa_kernel
	.section	.text._ZN7rocprim17ROCPRIM_400000_NS6detail17trampoline_kernelINS0_14default_configENS1_25partition_config_selectorILNS1_17partition_subalgoE1EiNS0_10empty_typeEbEEZZNS1_14partition_implILS5_1ELb0ES3_jN6thrust23THRUST_200600_302600_NS6detail15normal_iteratorINSA_10device_ptrIiEEEEPS6_NSA_18transform_iteratorI7is_evenIiESF_NSA_11use_defaultESK_EENS0_5tupleIJNSA_16discard_iteratorISK_EESO_EEENSM_IJSG_SG_EEES6_PlJS6_EEE10hipError_tPvRmT3_T4_T5_T6_T7_T9_mT8_P12ihipStream_tbDpT10_ENKUlT_T0_E_clISt17integral_constantIbLb0EES1B_EEDaS16_S17_EUlS16_E_NS1_11comp_targetILNS1_3genE4ELNS1_11target_archE910ELNS1_3gpuE8ELNS1_3repE0EEENS1_30default_config_static_selectorELNS0_4arch9wavefront6targetE1EEEvT1_,"axG",@progbits,_ZN7rocprim17ROCPRIM_400000_NS6detail17trampoline_kernelINS0_14default_configENS1_25partition_config_selectorILNS1_17partition_subalgoE1EiNS0_10empty_typeEbEEZZNS1_14partition_implILS5_1ELb0ES3_jN6thrust23THRUST_200600_302600_NS6detail15normal_iteratorINSA_10device_ptrIiEEEEPS6_NSA_18transform_iteratorI7is_evenIiESF_NSA_11use_defaultESK_EENS0_5tupleIJNSA_16discard_iteratorISK_EESO_EEENSM_IJSG_SG_EEES6_PlJS6_EEE10hipError_tPvRmT3_T4_T5_T6_T7_T9_mT8_P12ihipStream_tbDpT10_ENKUlT_T0_E_clISt17integral_constantIbLb0EES1B_EEDaS16_S17_EUlS16_E_NS1_11comp_targetILNS1_3genE4ELNS1_11target_archE910ELNS1_3gpuE8ELNS1_3repE0EEENS1_30default_config_static_selectorELNS0_4arch9wavefront6targetE1EEEvT1_,comdat
.Lfunc_end3261:
	.size	_ZN7rocprim17ROCPRIM_400000_NS6detail17trampoline_kernelINS0_14default_configENS1_25partition_config_selectorILNS1_17partition_subalgoE1EiNS0_10empty_typeEbEEZZNS1_14partition_implILS5_1ELb0ES3_jN6thrust23THRUST_200600_302600_NS6detail15normal_iteratorINSA_10device_ptrIiEEEEPS6_NSA_18transform_iteratorI7is_evenIiESF_NSA_11use_defaultESK_EENS0_5tupleIJNSA_16discard_iteratorISK_EESO_EEENSM_IJSG_SG_EEES6_PlJS6_EEE10hipError_tPvRmT3_T4_T5_T6_T7_T9_mT8_P12ihipStream_tbDpT10_ENKUlT_T0_E_clISt17integral_constantIbLb0EES1B_EEDaS16_S17_EUlS16_E_NS1_11comp_targetILNS1_3genE4ELNS1_11target_archE910ELNS1_3gpuE8ELNS1_3repE0EEENS1_30default_config_static_selectorELNS0_4arch9wavefront6targetE1EEEvT1_, .Lfunc_end3261-_ZN7rocprim17ROCPRIM_400000_NS6detail17trampoline_kernelINS0_14default_configENS1_25partition_config_selectorILNS1_17partition_subalgoE1EiNS0_10empty_typeEbEEZZNS1_14partition_implILS5_1ELb0ES3_jN6thrust23THRUST_200600_302600_NS6detail15normal_iteratorINSA_10device_ptrIiEEEEPS6_NSA_18transform_iteratorI7is_evenIiESF_NSA_11use_defaultESK_EENS0_5tupleIJNSA_16discard_iteratorISK_EESO_EEENSM_IJSG_SG_EEES6_PlJS6_EEE10hipError_tPvRmT3_T4_T5_T6_T7_T9_mT8_P12ihipStream_tbDpT10_ENKUlT_T0_E_clISt17integral_constantIbLb0EES1B_EEDaS16_S17_EUlS16_E_NS1_11comp_targetILNS1_3genE4ELNS1_11target_archE910ELNS1_3gpuE8ELNS1_3repE0EEENS1_30default_config_static_selectorELNS0_4arch9wavefront6targetE1EEEvT1_
                                        ; -- End function
	.section	.AMDGPU.csdata,"",@progbits
; Kernel info:
; codeLenInByte = 3832
; NumSgprs: 40
; NumVgprs: 46
; NumAgprs: 0
; TotalNumVgprs: 46
; ScratchSize: 0
; MemoryBound: 0
; FloatMode: 240
; IeeeMode: 1
; LDSByteSize: 7176 bytes/workgroup (compile time only)
; SGPRBlocks: 4
; VGPRBlocks: 5
; NumSGPRsForWavesPerEU: 40
; NumVGPRsForWavesPerEU: 46
; AccumOffset: 48
; Occupancy: 8
; WaveLimiterHint : 1
; COMPUTE_PGM_RSRC2:SCRATCH_EN: 0
; COMPUTE_PGM_RSRC2:USER_SGPR: 6
; COMPUTE_PGM_RSRC2:TRAP_HANDLER: 0
; COMPUTE_PGM_RSRC2:TGID_X_EN: 1
; COMPUTE_PGM_RSRC2:TGID_Y_EN: 0
; COMPUTE_PGM_RSRC2:TGID_Z_EN: 0
; COMPUTE_PGM_RSRC2:TIDIG_COMP_CNT: 0
; COMPUTE_PGM_RSRC3_GFX90A:ACCUM_OFFSET: 11
; COMPUTE_PGM_RSRC3_GFX90A:TG_SPLIT: 0
	.section	.text._ZN7rocprim17ROCPRIM_400000_NS6detail17trampoline_kernelINS0_14default_configENS1_25partition_config_selectorILNS1_17partition_subalgoE1EiNS0_10empty_typeEbEEZZNS1_14partition_implILS5_1ELb0ES3_jN6thrust23THRUST_200600_302600_NS6detail15normal_iteratorINSA_10device_ptrIiEEEEPS6_NSA_18transform_iteratorI7is_evenIiESF_NSA_11use_defaultESK_EENS0_5tupleIJNSA_16discard_iteratorISK_EESO_EEENSM_IJSG_SG_EEES6_PlJS6_EEE10hipError_tPvRmT3_T4_T5_T6_T7_T9_mT8_P12ihipStream_tbDpT10_ENKUlT_T0_E_clISt17integral_constantIbLb0EES1B_EEDaS16_S17_EUlS16_E_NS1_11comp_targetILNS1_3genE3ELNS1_11target_archE908ELNS1_3gpuE7ELNS1_3repE0EEENS1_30default_config_static_selectorELNS0_4arch9wavefront6targetE1EEEvT1_,"axG",@progbits,_ZN7rocprim17ROCPRIM_400000_NS6detail17trampoline_kernelINS0_14default_configENS1_25partition_config_selectorILNS1_17partition_subalgoE1EiNS0_10empty_typeEbEEZZNS1_14partition_implILS5_1ELb0ES3_jN6thrust23THRUST_200600_302600_NS6detail15normal_iteratorINSA_10device_ptrIiEEEEPS6_NSA_18transform_iteratorI7is_evenIiESF_NSA_11use_defaultESK_EENS0_5tupleIJNSA_16discard_iteratorISK_EESO_EEENSM_IJSG_SG_EEES6_PlJS6_EEE10hipError_tPvRmT3_T4_T5_T6_T7_T9_mT8_P12ihipStream_tbDpT10_ENKUlT_T0_E_clISt17integral_constantIbLb0EES1B_EEDaS16_S17_EUlS16_E_NS1_11comp_targetILNS1_3genE3ELNS1_11target_archE908ELNS1_3gpuE7ELNS1_3repE0EEENS1_30default_config_static_selectorELNS0_4arch9wavefront6targetE1EEEvT1_,comdat
	.protected	_ZN7rocprim17ROCPRIM_400000_NS6detail17trampoline_kernelINS0_14default_configENS1_25partition_config_selectorILNS1_17partition_subalgoE1EiNS0_10empty_typeEbEEZZNS1_14partition_implILS5_1ELb0ES3_jN6thrust23THRUST_200600_302600_NS6detail15normal_iteratorINSA_10device_ptrIiEEEEPS6_NSA_18transform_iteratorI7is_evenIiESF_NSA_11use_defaultESK_EENS0_5tupleIJNSA_16discard_iteratorISK_EESO_EEENSM_IJSG_SG_EEES6_PlJS6_EEE10hipError_tPvRmT3_T4_T5_T6_T7_T9_mT8_P12ihipStream_tbDpT10_ENKUlT_T0_E_clISt17integral_constantIbLb0EES1B_EEDaS16_S17_EUlS16_E_NS1_11comp_targetILNS1_3genE3ELNS1_11target_archE908ELNS1_3gpuE7ELNS1_3repE0EEENS1_30default_config_static_selectorELNS0_4arch9wavefront6targetE1EEEvT1_ ; -- Begin function _ZN7rocprim17ROCPRIM_400000_NS6detail17trampoline_kernelINS0_14default_configENS1_25partition_config_selectorILNS1_17partition_subalgoE1EiNS0_10empty_typeEbEEZZNS1_14partition_implILS5_1ELb0ES3_jN6thrust23THRUST_200600_302600_NS6detail15normal_iteratorINSA_10device_ptrIiEEEEPS6_NSA_18transform_iteratorI7is_evenIiESF_NSA_11use_defaultESK_EENS0_5tupleIJNSA_16discard_iteratorISK_EESO_EEENSM_IJSG_SG_EEES6_PlJS6_EEE10hipError_tPvRmT3_T4_T5_T6_T7_T9_mT8_P12ihipStream_tbDpT10_ENKUlT_T0_E_clISt17integral_constantIbLb0EES1B_EEDaS16_S17_EUlS16_E_NS1_11comp_targetILNS1_3genE3ELNS1_11target_archE908ELNS1_3gpuE7ELNS1_3repE0EEENS1_30default_config_static_selectorELNS0_4arch9wavefront6targetE1EEEvT1_
	.globl	_ZN7rocprim17ROCPRIM_400000_NS6detail17trampoline_kernelINS0_14default_configENS1_25partition_config_selectorILNS1_17partition_subalgoE1EiNS0_10empty_typeEbEEZZNS1_14partition_implILS5_1ELb0ES3_jN6thrust23THRUST_200600_302600_NS6detail15normal_iteratorINSA_10device_ptrIiEEEEPS6_NSA_18transform_iteratorI7is_evenIiESF_NSA_11use_defaultESK_EENS0_5tupleIJNSA_16discard_iteratorISK_EESO_EEENSM_IJSG_SG_EEES6_PlJS6_EEE10hipError_tPvRmT3_T4_T5_T6_T7_T9_mT8_P12ihipStream_tbDpT10_ENKUlT_T0_E_clISt17integral_constantIbLb0EES1B_EEDaS16_S17_EUlS16_E_NS1_11comp_targetILNS1_3genE3ELNS1_11target_archE908ELNS1_3gpuE7ELNS1_3repE0EEENS1_30default_config_static_selectorELNS0_4arch9wavefront6targetE1EEEvT1_
	.p2align	8
	.type	_ZN7rocprim17ROCPRIM_400000_NS6detail17trampoline_kernelINS0_14default_configENS1_25partition_config_selectorILNS1_17partition_subalgoE1EiNS0_10empty_typeEbEEZZNS1_14partition_implILS5_1ELb0ES3_jN6thrust23THRUST_200600_302600_NS6detail15normal_iteratorINSA_10device_ptrIiEEEEPS6_NSA_18transform_iteratorI7is_evenIiESF_NSA_11use_defaultESK_EENS0_5tupleIJNSA_16discard_iteratorISK_EESO_EEENSM_IJSG_SG_EEES6_PlJS6_EEE10hipError_tPvRmT3_T4_T5_T6_T7_T9_mT8_P12ihipStream_tbDpT10_ENKUlT_T0_E_clISt17integral_constantIbLb0EES1B_EEDaS16_S17_EUlS16_E_NS1_11comp_targetILNS1_3genE3ELNS1_11target_archE908ELNS1_3gpuE7ELNS1_3repE0EEENS1_30default_config_static_selectorELNS0_4arch9wavefront6targetE1EEEvT1_,@function
_ZN7rocprim17ROCPRIM_400000_NS6detail17trampoline_kernelINS0_14default_configENS1_25partition_config_selectorILNS1_17partition_subalgoE1EiNS0_10empty_typeEbEEZZNS1_14partition_implILS5_1ELb0ES3_jN6thrust23THRUST_200600_302600_NS6detail15normal_iteratorINSA_10device_ptrIiEEEEPS6_NSA_18transform_iteratorI7is_evenIiESF_NSA_11use_defaultESK_EENS0_5tupleIJNSA_16discard_iteratorISK_EESO_EEENSM_IJSG_SG_EEES6_PlJS6_EEE10hipError_tPvRmT3_T4_T5_T6_T7_T9_mT8_P12ihipStream_tbDpT10_ENKUlT_T0_E_clISt17integral_constantIbLb0EES1B_EEDaS16_S17_EUlS16_E_NS1_11comp_targetILNS1_3genE3ELNS1_11target_archE908ELNS1_3gpuE7ELNS1_3repE0EEENS1_30default_config_static_selectorELNS0_4arch9wavefront6targetE1EEEvT1_: ; @_ZN7rocprim17ROCPRIM_400000_NS6detail17trampoline_kernelINS0_14default_configENS1_25partition_config_selectorILNS1_17partition_subalgoE1EiNS0_10empty_typeEbEEZZNS1_14partition_implILS5_1ELb0ES3_jN6thrust23THRUST_200600_302600_NS6detail15normal_iteratorINSA_10device_ptrIiEEEEPS6_NSA_18transform_iteratorI7is_evenIiESF_NSA_11use_defaultESK_EENS0_5tupleIJNSA_16discard_iteratorISK_EESO_EEENSM_IJSG_SG_EEES6_PlJS6_EEE10hipError_tPvRmT3_T4_T5_T6_T7_T9_mT8_P12ihipStream_tbDpT10_ENKUlT_T0_E_clISt17integral_constantIbLb0EES1B_EEDaS16_S17_EUlS16_E_NS1_11comp_targetILNS1_3genE3ELNS1_11target_archE908ELNS1_3gpuE7ELNS1_3repE0EEENS1_30default_config_static_selectorELNS0_4arch9wavefront6targetE1EEEvT1_
; %bb.0:
	.section	.rodata,"a",@progbits
	.p2align	6, 0x0
	.amdhsa_kernel _ZN7rocprim17ROCPRIM_400000_NS6detail17trampoline_kernelINS0_14default_configENS1_25partition_config_selectorILNS1_17partition_subalgoE1EiNS0_10empty_typeEbEEZZNS1_14partition_implILS5_1ELb0ES3_jN6thrust23THRUST_200600_302600_NS6detail15normal_iteratorINSA_10device_ptrIiEEEEPS6_NSA_18transform_iteratorI7is_evenIiESF_NSA_11use_defaultESK_EENS0_5tupleIJNSA_16discard_iteratorISK_EESO_EEENSM_IJSG_SG_EEES6_PlJS6_EEE10hipError_tPvRmT3_T4_T5_T6_T7_T9_mT8_P12ihipStream_tbDpT10_ENKUlT_T0_E_clISt17integral_constantIbLb0EES1B_EEDaS16_S17_EUlS16_E_NS1_11comp_targetILNS1_3genE3ELNS1_11target_archE908ELNS1_3gpuE7ELNS1_3repE0EEENS1_30default_config_static_selectorELNS0_4arch9wavefront6targetE1EEEvT1_
		.amdhsa_group_segment_fixed_size 0
		.amdhsa_private_segment_fixed_size 0
		.amdhsa_kernarg_size 144
		.amdhsa_user_sgpr_count 6
		.amdhsa_user_sgpr_private_segment_buffer 1
		.amdhsa_user_sgpr_dispatch_ptr 0
		.amdhsa_user_sgpr_queue_ptr 0
		.amdhsa_user_sgpr_kernarg_segment_ptr 1
		.amdhsa_user_sgpr_dispatch_id 0
		.amdhsa_user_sgpr_flat_scratch_init 0
		.amdhsa_user_sgpr_kernarg_preload_length 0
		.amdhsa_user_sgpr_kernarg_preload_offset 0
		.amdhsa_user_sgpr_private_segment_size 0
		.amdhsa_uses_dynamic_stack 0
		.amdhsa_system_sgpr_private_segment_wavefront_offset 0
		.amdhsa_system_sgpr_workgroup_id_x 1
		.amdhsa_system_sgpr_workgroup_id_y 0
		.amdhsa_system_sgpr_workgroup_id_z 0
		.amdhsa_system_sgpr_workgroup_info 0
		.amdhsa_system_vgpr_workitem_id 0
		.amdhsa_next_free_vgpr 1
		.amdhsa_next_free_sgpr 0
		.amdhsa_accum_offset 4
		.amdhsa_reserve_vcc 0
		.amdhsa_reserve_flat_scratch 0
		.amdhsa_float_round_mode_32 0
		.amdhsa_float_round_mode_16_64 0
		.amdhsa_float_denorm_mode_32 3
		.amdhsa_float_denorm_mode_16_64 3
		.amdhsa_dx10_clamp 1
		.amdhsa_ieee_mode 1
		.amdhsa_fp16_overflow 0
		.amdhsa_tg_split 0
		.amdhsa_exception_fp_ieee_invalid_op 0
		.amdhsa_exception_fp_denorm_src 0
		.amdhsa_exception_fp_ieee_div_zero 0
		.amdhsa_exception_fp_ieee_overflow 0
		.amdhsa_exception_fp_ieee_underflow 0
		.amdhsa_exception_fp_ieee_inexact 0
		.amdhsa_exception_int_div_zero 0
	.end_amdhsa_kernel
	.section	.text._ZN7rocprim17ROCPRIM_400000_NS6detail17trampoline_kernelINS0_14default_configENS1_25partition_config_selectorILNS1_17partition_subalgoE1EiNS0_10empty_typeEbEEZZNS1_14partition_implILS5_1ELb0ES3_jN6thrust23THRUST_200600_302600_NS6detail15normal_iteratorINSA_10device_ptrIiEEEEPS6_NSA_18transform_iteratorI7is_evenIiESF_NSA_11use_defaultESK_EENS0_5tupleIJNSA_16discard_iteratorISK_EESO_EEENSM_IJSG_SG_EEES6_PlJS6_EEE10hipError_tPvRmT3_T4_T5_T6_T7_T9_mT8_P12ihipStream_tbDpT10_ENKUlT_T0_E_clISt17integral_constantIbLb0EES1B_EEDaS16_S17_EUlS16_E_NS1_11comp_targetILNS1_3genE3ELNS1_11target_archE908ELNS1_3gpuE7ELNS1_3repE0EEENS1_30default_config_static_selectorELNS0_4arch9wavefront6targetE1EEEvT1_,"axG",@progbits,_ZN7rocprim17ROCPRIM_400000_NS6detail17trampoline_kernelINS0_14default_configENS1_25partition_config_selectorILNS1_17partition_subalgoE1EiNS0_10empty_typeEbEEZZNS1_14partition_implILS5_1ELb0ES3_jN6thrust23THRUST_200600_302600_NS6detail15normal_iteratorINSA_10device_ptrIiEEEEPS6_NSA_18transform_iteratorI7is_evenIiESF_NSA_11use_defaultESK_EENS0_5tupleIJNSA_16discard_iteratorISK_EESO_EEENSM_IJSG_SG_EEES6_PlJS6_EEE10hipError_tPvRmT3_T4_T5_T6_T7_T9_mT8_P12ihipStream_tbDpT10_ENKUlT_T0_E_clISt17integral_constantIbLb0EES1B_EEDaS16_S17_EUlS16_E_NS1_11comp_targetILNS1_3genE3ELNS1_11target_archE908ELNS1_3gpuE7ELNS1_3repE0EEENS1_30default_config_static_selectorELNS0_4arch9wavefront6targetE1EEEvT1_,comdat
.Lfunc_end3262:
	.size	_ZN7rocprim17ROCPRIM_400000_NS6detail17trampoline_kernelINS0_14default_configENS1_25partition_config_selectorILNS1_17partition_subalgoE1EiNS0_10empty_typeEbEEZZNS1_14partition_implILS5_1ELb0ES3_jN6thrust23THRUST_200600_302600_NS6detail15normal_iteratorINSA_10device_ptrIiEEEEPS6_NSA_18transform_iteratorI7is_evenIiESF_NSA_11use_defaultESK_EENS0_5tupleIJNSA_16discard_iteratorISK_EESO_EEENSM_IJSG_SG_EEES6_PlJS6_EEE10hipError_tPvRmT3_T4_T5_T6_T7_T9_mT8_P12ihipStream_tbDpT10_ENKUlT_T0_E_clISt17integral_constantIbLb0EES1B_EEDaS16_S17_EUlS16_E_NS1_11comp_targetILNS1_3genE3ELNS1_11target_archE908ELNS1_3gpuE7ELNS1_3repE0EEENS1_30default_config_static_selectorELNS0_4arch9wavefront6targetE1EEEvT1_, .Lfunc_end3262-_ZN7rocprim17ROCPRIM_400000_NS6detail17trampoline_kernelINS0_14default_configENS1_25partition_config_selectorILNS1_17partition_subalgoE1EiNS0_10empty_typeEbEEZZNS1_14partition_implILS5_1ELb0ES3_jN6thrust23THRUST_200600_302600_NS6detail15normal_iteratorINSA_10device_ptrIiEEEEPS6_NSA_18transform_iteratorI7is_evenIiESF_NSA_11use_defaultESK_EENS0_5tupleIJNSA_16discard_iteratorISK_EESO_EEENSM_IJSG_SG_EEES6_PlJS6_EEE10hipError_tPvRmT3_T4_T5_T6_T7_T9_mT8_P12ihipStream_tbDpT10_ENKUlT_T0_E_clISt17integral_constantIbLb0EES1B_EEDaS16_S17_EUlS16_E_NS1_11comp_targetILNS1_3genE3ELNS1_11target_archE908ELNS1_3gpuE7ELNS1_3repE0EEENS1_30default_config_static_selectorELNS0_4arch9wavefront6targetE1EEEvT1_
                                        ; -- End function
	.section	.AMDGPU.csdata,"",@progbits
; Kernel info:
; codeLenInByte = 0
; NumSgprs: 4
; NumVgprs: 0
; NumAgprs: 0
; TotalNumVgprs: 0
; ScratchSize: 0
; MemoryBound: 0
; FloatMode: 240
; IeeeMode: 1
; LDSByteSize: 0 bytes/workgroup (compile time only)
; SGPRBlocks: 0
; VGPRBlocks: 0
; NumSGPRsForWavesPerEU: 4
; NumVGPRsForWavesPerEU: 1
; AccumOffset: 4
; Occupancy: 8
; WaveLimiterHint : 0
; COMPUTE_PGM_RSRC2:SCRATCH_EN: 0
; COMPUTE_PGM_RSRC2:USER_SGPR: 6
; COMPUTE_PGM_RSRC2:TRAP_HANDLER: 0
; COMPUTE_PGM_RSRC2:TGID_X_EN: 1
; COMPUTE_PGM_RSRC2:TGID_Y_EN: 0
; COMPUTE_PGM_RSRC2:TGID_Z_EN: 0
; COMPUTE_PGM_RSRC2:TIDIG_COMP_CNT: 0
; COMPUTE_PGM_RSRC3_GFX90A:ACCUM_OFFSET: 0
; COMPUTE_PGM_RSRC3_GFX90A:TG_SPLIT: 0
	.section	.text._ZN7rocprim17ROCPRIM_400000_NS6detail17trampoline_kernelINS0_14default_configENS1_25partition_config_selectorILNS1_17partition_subalgoE1EiNS0_10empty_typeEbEEZZNS1_14partition_implILS5_1ELb0ES3_jN6thrust23THRUST_200600_302600_NS6detail15normal_iteratorINSA_10device_ptrIiEEEEPS6_NSA_18transform_iteratorI7is_evenIiESF_NSA_11use_defaultESK_EENS0_5tupleIJNSA_16discard_iteratorISK_EESO_EEENSM_IJSG_SG_EEES6_PlJS6_EEE10hipError_tPvRmT3_T4_T5_T6_T7_T9_mT8_P12ihipStream_tbDpT10_ENKUlT_T0_E_clISt17integral_constantIbLb0EES1B_EEDaS16_S17_EUlS16_E_NS1_11comp_targetILNS1_3genE2ELNS1_11target_archE906ELNS1_3gpuE6ELNS1_3repE0EEENS1_30default_config_static_selectorELNS0_4arch9wavefront6targetE1EEEvT1_,"axG",@progbits,_ZN7rocprim17ROCPRIM_400000_NS6detail17trampoline_kernelINS0_14default_configENS1_25partition_config_selectorILNS1_17partition_subalgoE1EiNS0_10empty_typeEbEEZZNS1_14partition_implILS5_1ELb0ES3_jN6thrust23THRUST_200600_302600_NS6detail15normal_iteratorINSA_10device_ptrIiEEEEPS6_NSA_18transform_iteratorI7is_evenIiESF_NSA_11use_defaultESK_EENS0_5tupleIJNSA_16discard_iteratorISK_EESO_EEENSM_IJSG_SG_EEES6_PlJS6_EEE10hipError_tPvRmT3_T4_T5_T6_T7_T9_mT8_P12ihipStream_tbDpT10_ENKUlT_T0_E_clISt17integral_constantIbLb0EES1B_EEDaS16_S17_EUlS16_E_NS1_11comp_targetILNS1_3genE2ELNS1_11target_archE906ELNS1_3gpuE6ELNS1_3repE0EEENS1_30default_config_static_selectorELNS0_4arch9wavefront6targetE1EEEvT1_,comdat
	.protected	_ZN7rocprim17ROCPRIM_400000_NS6detail17trampoline_kernelINS0_14default_configENS1_25partition_config_selectorILNS1_17partition_subalgoE1EiNS0_10empty_typeEbEEZZNS1_14partition_implILS5_1ELb0ES3_jN6thrust23THRUST_200600_302600_NS6detail15normal_iteratorINSA_10device_ptrIiEEEEPS6_NSA_18transform_iteratorI7is_evenIiESF_NSA_11use_defaultESK_EENS0_5tupleIJNSA_16discard_iteratorISK_EESO_EEENSM_IJSG_SG_EEES6_PlJS6_EEE10hipError_tPvRmT3_T4_T5_T6_T7_T9_mT8_P12ihipStream_tbDpT10_ENKUlT_T0_E_clISt17integral_constantIbLb0EES1B_EEDaS16_S17_EUlS16_E_NS1_11comp_targetILNS1_3genE2ELNS1_11target_archE906ELNS1_3gpuE6ELNS1_3repE0EEENS1_30default_config_static_selectorELNS0_4arch9wavefront6targetE1EEEvT1_ ; -- Begin function _ZN7rocprim17ROCPRIM_400000_NS6detail17trampoline_kernelINS0_14default_configENS1_25partition_config_selectorILNS1_17partition_subalgoE1EiNS0_10empty_typeEbEEZZNS1_14partition_implILS5_1ELb0ES3_jN6thrust23THRUST_200600_302600_NS6detail15normal_iteratorINSA_10device_ptrIiEEEEPS6_NSA_18transform_iteratorI7is_evenIiESF_NSA_11use_defaultESK_EENS0_5tupleIJNSA_16discard_iteratorISK_EESO_EEENSM_IJSG_SG_EEES6_PlJS6_EEE10hipError_tPvRmT3_T4_T5_T6_T7_T9_mT8_P12ihipStream_tbDpT10_ENKUlT_T0_E_clISt17integral_constantIbLb0EES1B_EEDaS16_S17_EUlS16_E_NS1_11comp_targetILNS1_3genE2ELNS1_11target_archE906ELNS1_3gpuE6ELNS1_3repE0EEENS1_30default_config_static_selectorELNS0_4arch9wavefront6targetE1EEEvT1_
	.globl	_ZN7rocprim17ROCPRIM_400000_NS6detail17trampoline_kernelINS0_14default_configENS1_25partition_config_selectorILNS1_17partition_subalgoE1EiNS0_10empty_typeEbEEZZNS1_14partition_implILS5_1ELb0ES3_jN6thrust23THRUST_200600_302600_NS6detail15normal_iteratorINSA_10device_ptrIiEEEEPS6_NSA_18transform_iteratorI7is_evenIiESF_NSA_11use_defaultESK_EENS0_5tupleIJNSA_16discard_iteratorISK_EESO_EEENSM_IJSG_SG_EEES6_PlJS6_EEE10hipError_tPvRmT3_T4_T5_T6_T7_T9_mT8_P12ihipStream_tbDpT10_ENKUlT_T0_E_clISt17integral_constantIbLb0EES1B_EEDaS16_S17_EUlS16_E_NS1_11comp_targetILNS1_3genE2ELNS1_11target_archE906ELNS1_3gpuE6ELNS1_3repE0EEENS1_30default_config_static_selectorELNS0_4arch9wavefront6targetE1EEEvT1_
	.p2align	8
	.type	_ZN7rocprim17ROCPRIM_400000_NS6detail17trampoline_kernelINS0_14default_configENS1_25partition_config_selectorILNS1_17partition_subalgoE1EiNS0_10empty_typeEbEEZZNS1_14partition_implILS5_1ELb0ES3_jN6thrust23THRUST_200600_302600_NS6detail15normal_iteratorINSA_10device_ptrIiEEEEPS6_NSA_18transform_iteratorI7is_evenIiESF_NSA_11use_defaultESK_EENS0_5tupleIJNSA_16discard_iteratorISK_EESO_EEENSM_IJSG_SG_EEES6_PlJS6_EEE10hipError_tPvRmT3_T4_T5_T6_T7_T9_mT8_P12ihipStream_tbDpT10_ENKUlT_T0_E_clISt17integral_constantIbLb0EES1B_EEDaS16_S17_EUlS16_E_NS1_11comp_targetILNS1_3genE2ELNS1_11target_archE906ELNS1_3gpuE6ELNS1_3repE0EEENS1_30default_config_static_selectorELNS0_4arch9wavefront6targetE1EEEvT1_,@function
_ZN7rocprim17ROCPRIM_400000_NS6detail17trampoline_kernelINS0_14default_configENS1_25partition_config_selectorILNS1_17partition_subalgoE1EiNS0_10empty_typeEbEEZZNS1_14partition_implILS5_1ELb0ES3_jN6thrust23THRUST_200600_302600_NS6detail15normal_iteratorINSA_10device_ptrIiEEEEPS6_NSA_18transform_iteratorI7is_evenIiESF_NSA_11use_defaultESK_EENS0_5tupleIJNSA_16discard_iteratorISK_EESO_EEENSM_IJSG_SG_EEES6_PlJS6_EEE10hipError_tPvRmT3_T4_T5_T6_T7_T9_mT8_P12ihipStream_tbDpT10_ENKUlT_T0_E_clISt17integral_constantIbLb0EES1B_EEDaS16_S17_EUlS16_E_NS1_11comp_targetILNS1_3genE2ELNS1_11target_archE906ELNS1_3gpuE6ELNS1_3repE0EEENS1_30default_config_static_selectorELNS0_4arch9wavefront6targetE1EEEvT1_: ; @_ZN7rocprim17ROCPRIM_400000_NS6detail17trampoline_kernelINS0_14default_configENS1_25partition_config_selectorILNS1_17partition_subalgoE1EiNS0_10empty_typeEbEEZZNS1_14partition_implILS5_1ELb0ES3_jN6thrust23THRUST_200600_302600_NS6detail15normal_iteratorINSA_10device_ptrIiEEEEPS6_NSA_18transform_iteratorI7is_evenIiESF_NSA_11use_defaultESK_EENS0_5tupleIJNSA_16discard_iteratorISK_EESO_EEENSM_IJSG_SG_EEES6_PlJS6_EEE10hipError_tPvRmT3_T4_T5_T6_T7_T9_mT8_P12ihipStream_tbDpT10_ENKUlT_T0_E_clISt17integral_constantIbLb0EES1B_EEDaS16_S17_EUlS16_E_NS1_11comp_targetILNS1_3genE2ELNS1_11target_archE906ELNS1_3gpuE6ELNS1_3repE0EEENS1_30default_config_static_selectorELNS0_4arch9wavefront6targetE1EEEvT1_
; %bb.0:
	.section	.rodata,"a",@progbits
	.p2align	6, 0x0
	.amdhsa_kernel _ZN7rocprim17ROCPRIM_400000_NS6detail17trampoline_kernelINS0_14default_configENS1_25partition_config_selectorILNS1_17partition_subalgoE1EiNS0_10empty_typeEbEEZZNS1_14partition_implILS5_1ELb0ES3_jN6thrust23THRUST_200600_302600_NS6detail15normal_iteratorINSA_10device_ptrIiEEEEPS6_NSA_18transform_iteratorI7is_evenIiESF_NSA_11use_defaultESK_EENS0_5tupleIJNSA_16discard_iteratorISK_EESO_EEENSM_IJSG_SG_EEES6_PlJS6_EEE10hipError_tPvRmT3_T4_T5_T6_T7_T9_mT8_P12ihipStream_tbDpT10_ENKUlT_T0_E_clISt17integral_constantIbLb0EES1B_EEDaS16_S17_EUlS16_E_NS1_11comp_targetILNS1_3genE2ELNS1_11target_archE906ELNS1_3gpuE6ELNS1_3repE0EEENS1_30default_config_static_selectorELNS0_4arch9wavefront6targetE1EEEvT1_
		.amdhsa_group_segment_fixed_size 0
		.amdhsa_private_segment_fixed_size 0
		.amdhsa_kernarg_size 144
		.amdhsa_user_sgpr_count 6
		.amdhsa_user_sgpr_private_segment_buffer 1
		.amdhsa_user_sgpr_dispatch_ptr 0
		.amdhsa_user_sgpr_queue_ptr 0
		.amdhsa_user_sgpr_kernarg_segment_ptr 1
		.amdhsa_user_sgpr_dispatch_id 0
		.amdhsa_user_sgpr_flat_scratch_init 0
		.amdhsa_user_sgpr_kernarg_preload_length 0
		.amdhsa_user_sgpr_kernarg_preload_offset 0
		.amdhsa_user_sgpr_private_segment_size 0
		.amdhsa_uses_dynamic_stack 0
		.amdhsa_system_sgpr_private_segment_wavefront_offset 0
		.amdhsa_system_sgpr_workgroup_id_x 1
		.amdhsa_system_sgpr_workgroup_id_y 0
		.amdhsa_system_sgpr_workgroup_id_z 0
		.amdhsa_system_sgpr_workgroup_info 0
		.amdhsa_system_vgpr_workitem_id 0
		.amdhsa_next_free_vgpr 1
		.amdhsa_next_free_sgpr 0
		.amdhsa_accum_offset 4
		.amdhsa_reserve_vcc 0
		.amdhsa_reserve_flat_scratch 0
		.amdhsa_float_round_mode_32 0
		.amdhsa_float_round_mode_16_64 0
		.amdhsa_float_denorm_mode_32 3
		.amdhsa_float_denorm_mode_16_64 3
		.amdhsa_dx10_clamp 1
		.amdhsa_ieee_mode 1
		.amdhsa_fp16_overflow 0
		.amdhsa_tg_split 0
		.amdhsa_exception_fp_ieee_invalid_op 0
		.amdhsa_exception_fp_denorm_src 0
		.amdhsa_exception_fp_ieee_div_zero 0
		.amdhsa_exception_fp_ieee_overflow 0
		.amdhsa_exception_fp_ieee_underflow 0
		.amdhsa_exception_fp_ieee_inexact 0
		.amdhsa_exception_int_div_zero 0
	.end_amdhsa_kernel
	.section	.text._ZN7rocprim17ROCPRIM_400000_NS6detail17trampoline_kernelINS0_14default_configENS1_25partition_config_selectorILNS1_17partition_subalgoE1EiNS0_10empty_typeEbEEZZNS1_14partition_implILS5_1ELb0ES3_jN6thrust23THRUST_200600_302600_NS6detail15normal_iteratorINSA_10device_ptrIiEEEEPS6_NSA_18transform_iteratorI7is_evenIiESF_NSA_11use_defaultESK_EENS0_5tupleIJNSA_16discard_iteratorISK_EESO_EEENSM_IJSG_SG_EEES6_PlJS6_EEE10hipError_tPvRmT3_T4_T5_T6_T7_T9_mT8_P12ihipStream_tbDpT10_ENKUlT_T0_E_clISt17integral_constantIbLb0EES1B_EEDaS16_S17_EUlS16_E_NS1_11comp_targetILNS1_3genE2ELNS1_11target_archE906ELNS1_3gpuE6ELNS1_3repE0EEENS1_30default_config_static_selectorELNS0_4arch9wavefront6targetE1EEEvT1_,"axG",@progbits,_ZN7rocprim17ROCPRIM_400000_NS6detail17trampoline_kernelINS0_14default_configENS1_25partition_config_selectorILNS1_17partition_subalgoE1EiNS0_10empty_typeEbEEZZNS1_14partition_implILS5_1ELb0ES3_jN6thrust23THRUST_200600_302600_NS6detail15normal_iteratorINSA_10device_ptrIiEEEEPS6_NSA_18transform_iteratorI7is_evenIiESF_NSA_11use_defaultESK_EENS0_5tupleIJNSA_16discard_iteratorISK_EESO_EEENSM_IJSG_SG_EEES6_PlJS6_EEE10hipError_tPvRmT3_T4_T5_T6_T7_T9_mT8_P12ihipStream_tbDpT10_ENKUlT_T0_E_clISt17integral_constantIbLb0EES1B_EEDaS16_S17_EUlS16_E_NS1_11comp_targetILNS1_3genE2ELNS1_11target_archE906ELNS1_3gpuE6ELNS1_3repE0EEENS1_30default_config_static_selectorELNS0_4arch9wavefront6targetE1EEEvT1_,comdat
.Lfunc_end3263:
	.size	_ZN7rocprim17ROCPRIM_400000_NS6detail17trampoline_kernelINS0_14default_configENS1_25partition_config_selectorILNS1_17partition_subalgoE1EiNS0_10empty_typeEbEEZZNS1_14partition_implILS5_1ELb0ES3_jN6thrust23THRUST_200600_302600_NS6detail15normal_iteratorINSA_10device_ptrIiEEEEPS6_NSA_18transform_iteratorI7is_evenIiESF_NSA_11use_defaultESK_EENS0_5tupleIJNSA_16discard_iteratorISK_EESO_EEENSM_IJSG_SG_EEES6_PlJS6_EEE10hipError_tPvRmT3_T4_T5_T6_T7_T9_mT8_P12ihipStream_tbDpT10_ENKUlT_T0_E_clISt17integral_constantIbLb0EES1B_EEDaS16_S17_EUlS16_E_NS1_11comp_targetILNS1_3genE2ELNS1_11target_archE906ELNS1_3gpuE6ELNS1_3repE0EEENS1_30default_config_static_selectorELNS0_4arch9wavefront6targetE1EEEvT1_, .Lfunc_end3263-_ZN7rocprim17ROCPRIM_400000_NS6detail17trampoline_kernelINS0_14default_configENS1_25partition_config_selectorILNS1_17partition_subalgoE1EiNS0_10empty_typeEbEEZZNS1_14partition_implILS5_1ELb0ES3_jN6thrust23THRUST_200600_302600_NS6detail15normal_iteratorINSA_10device_ptrIiEEEEPS6_NSA_18transform_iteratorI7is_evenIiESF_NSA_11use_defaultESK_EENS0_5tupleIJNSA_16discard_iteratorISK_EESO_EEENSM_IJSG_SG_EEES6_PlJS6_EEE10hipError_tPvRmT3_T4_T5_T6_T7_T9_mT8_P12ihipStream_tbDpT10_ENKUlT_T0_E_clISt17integral_constantIbLb0EES1B_EEDaS16_S17_EUlS16_E_NS1_11comp_targetILNS1_3genE2ELNS1_11target_archE906ELNS1_3gpuE6ELNS1_3repE0EEENS1_30default_config_static_selectorELNS0_4arch9wavefront6targetE1EEEvT1_
                                        ; -- End function
	.section	.AMDGPU.csdata,"",@progbits
; Kernel info:
; codeLenInByte = 0
; NumSgprs: 4
; NumVgprs: 0
; NumAgprs: 0
; TotalNumVgprs: 0
; ScratchSize: 0
; MemoryBound: 0
; FloatMode: 240
; IeeeMode: 1
; LDSByteSize: 0 bytes/workgroup (compile time only)
; SGPRBlocks: 0
; VGPRBlocks: 0
; NumSGPRsForWavesPerEU: 4
; NumVGPRsForWavesPerEU: 1
; AccumOffset: 4
; Occupancy: 8
; WaveLimiterHint : 0
; COMPUTE_PGM_RSRC2:SCRATCH_EN: 0
; COMPUTE_PGM_RSRC2:USER_SGPR: 6
; COMPUTE_PGM_RSRC2:TRAP_HANDLER: 0
; COMPUTE_PGM_RSRC2:TGID_X_EN: 1
; COMPUTE_PGM_RSRC2:TGID_Y_EN: 0
; COMPUTE_PGM_RSRC2:TGID_Z_EN: 0
; COMPUTE_PGM_RSRC2:TIDIG_COMP_CNT: 0
; COMPUTE_PGM_RSRC3_GFX90A:ACCUM_OFFSET: 0
; COMPUTE_PGM_RSRC3_GFX90A:TG_SPLIT: 0
	.section	.text._ZN7rocprim17ROCPRIM_400000_NS6detail17trampoline_kernelINS0_14default_configENS1_25partition_config_selectorILNS1_17partition_subalgoE1EiNS0_10empty_typeEbEEZZNS1_14partition_implILS5_1ELb0ES3_jN6thrust23THRUST_200600_302600_NS6detail15normal_iteratorINSA_10device_ptrIiEEEEPS6_NSA_18transform_iteratorI7is_evenIiESF_NSA_11use_defaultESK_EENS0_5tupleIJNSA_16discard_iteratorISK_EESO_EEENSM_IJSG_SG_EEES6_PlJS6_EEE10hipError_tPvRmT3_T4_T5_T6_T7_T9_mT8_P12ihipStream_tbDpT10_ENKUlT_T0_E_clISt17integral_constantIbLb0EES1B_EEDaS16_S17_EUlS16_E_NS1_11comp_targetILNS1_3genE10ELNS1_11target_archE1200ELNS1_3gpuE4ELNS1_3repE0EEENS1_30default_config_static_selectorELNS0_4arch9wavefront6targetE1EEEvT1_,"axG",@progbits,_ZN7rocprim17ROCPRIM_400000_NS6detail17trampoline_kernelINS0_14default_configENS1_25partition_config_selectorILNS1_17partition_subalgoE1EiNS0_10empty_typeEbEEZZNS1_14partition_implILS5_1ELb0ES3_jN6thrust23THRUST_200600_302600_NS6detail15normal_iteratorINSA_10device_ptrIiEEEEPS6_NSA_18transform_iteratorI7is_evenIiESF_NSA_11use_defaultESK_EENS0_5tupleIJNSA_16discard_iteratorISK_EESO_EEENSM_IJSG_SG_EEES6_PlJS6_EEE10hipError_tPvRmT3_T4_T5_T6_T7_T9_mT8_P12ihipStream_tbDpT10_ENKUlT_T0_E_clISt17integral_constantIbLb0EES1B_EEDaS16_S17_EUlS16_E_NS1_11comp_targetILNS1_3genE10ELNS1_11target_archE1200ELNS1_3gpuE4ELNS1_3repE0EEENS1_30default_config_static_selectorELNS0_4arch9wavefront6targetE1EEEvT1_,comdat
	.protected	_ZN7rocprim17ROCPRIM_400000_NS6detail17trampoline_kernelINS0_14default_configENS1_25partition_config_selectorILNS1_17partition_subalgoE1EiNS0_10empty_typeEbEEZZNS1_14partition_implILS5_1ELb0ES3_jN6thrust23THRUST_200600_302600_NS6detail15normal_iteratorINSA_10device_ptrIiEEEEPS6_NSA_18transform_iteratorI7is_evenIiESF_NSA_11use_defaultESK_EENS0_5tupleIJNSA_16discard_iteratorISK_EESO_EEENSM_IJSG_SG_EEES6_PlJS6_EEE10hipError_tPvRmT3_T4_T5_T6_T7_T9_mT8_P12ihipStream_tbDpT10_ENKUlT_T0_E_clISt17integral_constantIbLb0EES1B_EEDaS16_S17_EUlS16_E_NS1_11comp_targetILNS1_3genE10ELNS1_11target_archE1200ELNS1_3gpuE4ELNS1_3repE0EEENS1_30default_config_static_selectorELNS0_4arch9wavefront6targetE1EEEvT1_ ; -- Begin function _ZN7rocprim17ROCPRIM_400000_NS6detail17trampoline_kernelINS0_14default_configENS1_25partition_config_selectorILNS1_17partition_subalgoE1EiNS0_10empty_typeEbEEZZNS1_14partition_implILS5_1ELb0ES3_jN6thrust23THRUST_200600_302600_NS6detail15normal_iteratorINSA_10device_ptrIiEEEEPS6_NSA_18transform_iteratorI7is_evenIiESF_NSA_11use_defaultESK_EENS0_5tupleIJNSA_16discard_iteratorISK_EESO_EEENSM_IJSG_SG_EEES6_PlJS6_EEE10hipError_tPvRmT3_T4_T5_T6_T7_T9_mT8_P12ihipStream_tbDpT10_ENKUlT_T0_E_clISt17integral_constantIbLb0EES1B_EEDaS16_S17_EUlS16_E_NS1_11comp_targetILNS1_3genE10ELNS1_11target_archE1200ELNS1_3gpuE4ELNS1_3repE0EEENS1_30default_config_static_selectorELNS0_4arch9wavefront6targetE1EEEvT1_
	.globl	_ZN7rocprim17ROCPRIM_400000_NS6detail17trampoline_kernelINS0_14default_configENS1_25partition_config_selectorILNS1_17partition_subalgoE1EiNS0_10empty_typeEbEEZZNS1_14partition_implILS5_1ELb0ES3_jN6thrust23THRUST_200600_302600_NS6detail15normal_iteratorINSA_10device_ptrIiEEEEPS6_NSA_18transform_iteratorI7is_evenIiESF_NSA_11use_defaultESK_EENS0_5tupleIJNSA_16discard_iteratorISK_EESO_EEENSM_IJSG_SG_EEES6_PlJS6_EEE10hipError_tPvRmT3_T4_T5_T6_T7_T9_mT8_P12ihipStream_tbDpT10_ENKUlT_T0_E_clISt17integral_constantIbLb0EES1B_EEDaS16_S17_EUlS16_E_NS1_11comp_targetILNS1_3genE10ELNS1_11target_archE1200ELNS1_3gpuE4ELNS1_3repE0EEENS1_30default_config_static_selectorELNS0_4arch9wavefront6targetE1EEEvT1_
	.p2align	8
	.type	_ZN7rocprim17ROCPRIM_400000_NS6detail17trampoline_kernelINS0_14default_configENS1_25partition_config_selectorILNS1_17partition_subalgoE1EiNS0_10empty_typeEbEEZZNS1_14partition_implILS5_1ELb0ES3_jN6thrust23THRUST_200600_302600_NS6detail15normal_iteratorINSA_10device_ptrIiEEEEPS6_NSA_18transform_iteratorI7is_evenIiESF_NSA_11use_defaultESK_EENS0_5tupleIJNSA_16discard_iteratorISK_EESO_EEENSM_IJSG_SG_EEES6_PlJS6_EEE10hipError_tPvRmT3_T4_T5_T6_T7_T9_mT8_P12ihipStream_tbDpT10_ENKUlT_T0_E_clISt17integral_constantIbLb0EES1B_EEDaS16_S17_EUlS16_E_NS1_11comp_targetILNS1_3genE10ELNS1_11target_archE1200ELNS1_3gpuE4ELNS1_3repE0EEENS1_30default_config_static_selectorELNS0_4arch9wavefront6targetE1EEEvT1_,@function
_ZN7rocprim17ROCPRIM_400000_NS6detail17trampoline_kernelINS0_14default_configENS1_25partition_config_selectorILNS1_17partition_subalgoE1EiNS0_10empty_typeEbEEZZNS1_14partition_implILS5_1ELb0ES3_jN6thrust23THRUST_200600_302600_NS6detail15normal_iteratorINSA_10device_ptrIiEEEEPS6_NSA_18transform_iteratorI7is_evenIiESF_NSA_11use_defaultESK_EENS0_5tupleIJNSA_16discard_iteratorISK_EESO_EEENSM_IJSG_SG_EEES6_PlJS6_EEE10hipError_tPvRmT3_T4_T5_T6_T7_T9_mT8_P12ihipStream_tbDpT10_ENKUlT_T0_E_clISt17integral_constantIbLb0EES1B_EEDaS16_S17_EUlS16_E_NS1_11comp_targetILNS1_3genE10ELNS1_11target_archE1200ELNS1_3gpuE4ELNS1_3repE0EEENS1_30default_config_static_selectorELNS0_4arch9wavefront6targetE1EEEvT1_: ; @_ZN7rocprim17ROCPRIM_400000_NS6detail17trampoline_kernelINS0_14default_configENS1_25partition_config_selectorILNS1_17partition_subalgoE1EiNS0_10empty_typeEbEEZZNS1_14partition_implILS5_1ELb0ES3_jN6thrust23THRUST_200600_302600_NS6detail15normal_iteratorINSA_10device_ptrIiEEEEPS6_NSA_18transform_iteratorI7is_evenIiESF_NSA_11use_defaultESK_EENS0_5tupleIJNSA_16discard_iteratorISK_EESO_EEENSM_IJSG_SG_EEES6_PlJS6_EEE10hipError_tPvRmT3_T4_T5_T6_T7_T9_mT8_P12ihipStream_tbDpT10_ENKUlT_T0_E_clISt17integral_constantIbLb0EES1B_EEDaS16_S17_EUlS16_E_NS1_11comp_targetILNS1_3genE10ELNS1_11target_archE1200ELNS1_3gpuE4ELNS1_3repE0EEENS1_30default_config_static_selectorELNS0_4arch9wavefront6targetE1EEEvT1_
; %bb.0:
	.section	.rodata,"a",@progbits
	.p2align	6, 0x0
	.amdhsa_kernel _ZN7rocprim17ROCPRIM_400000_NS6detail17trampoline_kernelINS0_14default_configENS1_25partition_config_selectorILNS1_17partition_subalgoE1EiNS0_10empty_typeEbEEZZNS1_14partition_implILS5_1ELb0ES3_jN6thrust23THRUST_200600_302600_NS6detail15normal_iteratorINSA_10device_ptrIiEEEEPS6_NSA_18transform_iteratorI7is_evenIiESF_NSA_11use_defaultESK_EENS0_5tupleIJNSA_16discard_iteratorISK_EESO_EEENSM_IJSG_SG_EEES6_PlJS6_EEE10hipError_tPvRmT3_T4_T5_T6_T7_T9_mT8_P12ihipStream_tbDpT10_ENKUlT_T0_E_clISt17integral_constantIbLb0EES1B_EEDaS16_S17_EUlS16_E_NS1_11comp_targetILNS1_3genE10ELNS1_11target_archE1200ELNS1_3gpuE4ELNS1_3repE0EEENS1_30default_config_static_selectorELNS0_4arch9wavefront6targetE1EEEvT1_
		.amdhsa_group_segment_fixed_size 0
		.amdhsa_private_segment_fixed_size 0
		.amdhsa_kernarg_size 144
		.amdhsa_user_sgpr_count 6
		.amdhsa_user_sgpr_private_segment_buffer 1
		.amdhsa_user_sgpr_dispatch_ptr 0
		.amdhsa_user_sgpr_queue_ptr 0
		.amdhsa_user_sgpr_kernarg_segment_ptr 1
		.amdhsa_user_sgpr_dispatch_id 0
		.amdhsa_user_sgpr_flat_scratch_init 0
		.amdhsa_user_sgpr_kernarg_preload_length 0
		.amdhsa_user_sgpr_kernarg_preload_offset 0
		.amdhsa_user_sgpr_private_segment_size 0
		.amdhsa_uses_dynamic_stack 0
		.amdhsa_system_sgpr_private_segment_wavefront_offset 0
		.amdhsa_system_sgpr_workgroup_id_x 1
		.amdhsa_system_sgpr_workgroup_id_y 0
		.amdhsa_system_sgpr_workgroup_id_z 0
		.amdhsa_system_sgpr_workgroup_info 0
		.amdhsa_system_vgpr_workitem_id 0
		.amdhsa_next_free_vgpr 1
		.amdhsa_next_free_sgpr 0
		.amdhsa_accum_offset 4
		.amdhsa_reserve_vcc 0
		.amdhsa_reserve_flat_scratch 0
		.amdhsa_float_round_mode_32 0
		.amdhsa_float_round_mode_16_64 0
		.amdhsa_float_denorm_mode_32 3
		.amdhsa_float_denorm_mode_16_64 3
		.amdhsa_dx10_clamp 1
		.amdhsa_ieee_mode 1
		.amdhsa_fp16_overflow 0
		.amdhsa_tg_split 0
		.amdhsa_exception_fp_ieee_invalid_op 0
		.amdhsa_exception_fp_denorm_src 0
		.amdhsa_exception_fp_ieee_div_zero 0
		.amdhsa_exception_fp_ieee_overflow 0
		.amdhsa_exception_fp_ieee_underflow 0
		.amdhsa_exception_fp_ieee_inexact 0
		.amdhsa_exception_int_div_zero 0
	.end_amdhsa_kernel
	.section	.text._ZN7rocprim17ROCPRIM_400000_NS6detail17trampoline_kernelINS0_14default_configENS1_25partition_config_selectorILNS1_17partition_subalgoE1EiNS0_10empty_typeEbEEZZNS1_14partition_implILS5_1ELb0ES3_jN6thrust23THRUST_200600_302600_NS6detail15normal_iteratorINSA_10device_ptrIiEEEEPS6_NSA_18transform_iteratorI7is_evenIiESF_NSA_11use_defaultESK_EENS0_5tupleIJNSA_16discard_iteratorISK_EESO_EEENSM_IJSG_SG_EEES6_PlJS6_EEE10hipError_tPvRmT3_T4_T5_T6_T7_T9_mT8_P12ihipStream_tbDpT10_ENKUlT_T0_E_clISt17integral_constantIbLb0EES1B_EEDaS16_S17_EUlS16_E_NS1_11comp_targetILNS1_3genE10ELNS1_11target_archE1200ELNS1_3gpuE4ELNS1_3repE0EEENS1_30default_config_static_selectorELNS0_4arch9wavefront6targetE1EEEvT1_,"axG",@progbits,_ZN7rocprim17ROCPRIM_400000_NS6detail17trampoline_kernelINS0_14default_configENS1_25partition_config_selectorILNS1_17partition_subalgoE1EiNS0_10empty_typeEbEEZZNS1_14partition_implILS5_1ELb0ES3_jN6thrust23THRUST_200600_302600_NS6detail15normal_iteratorINSA_10device_ptrIiEEEEPS6_NSA_18transform_iteratorI7is_evenIiESF_NSA_11use_defaultESK_EENS0_5tupleIJNSA_16discard_iteratorISK_EESO_EEENSM_IJSG_SG_EEES6_PlJS6_EEE10hipError_tPvRmT3_T4_T5_T6_T7_T9_mT8_P12ihipStream_tbDpT10_ENKUlT_T0_E_clISt17integral_constantIbLb0EES1B_EEDaS16_S17_EUlS16_E_NS1_11comp_targetILNS1_3genE10ELNS1_11target_archE1200ELNS1_3gpuE4ELNS1_3repE0EEENS1_30default_config_static_selectorELNS0_4arch9wavefront6targetE1EEEvT1_,comdat
.Lfunc_end3264:
	.size	_ZN7rocprim17ROCPRIM_400000_NS6detail17trampoline_kernelINS0_14default_configENS1_25partition_config_selectorILNS1_17partition_subalgoE1EiNS0_10empty_typeEbEEZZNS1_14partition_implILS5_1ELb0ES3_jN6thrust23THRUST_200600_302600_NS6detail15normal_iteratorINSA_10device_ptrIiEEEEPS6_NSA_18transform_iteratorI7is_evenIiESF_NSA_11use_defaultESK_EENS0_5tupleIJNSA_16discard_iteratorISK_EESO_EEENSM_IJSG_SG_EEES6_PlJS6_EEE10hipError_tPvRmT3_T4_T5_T6_T7_T9_mT8_P12ihipStream_tbDpT10_ENKUlT_T0_E_clISt17integral_constantIbLb0EES1B_EEDaS16_S17_EUlS16_E_NS1_11comp_targetILNS1_3genE10ELNS1_11target_archE1200ELNS1_3gpuE4ELNS1_3repE0EEENS1_30default_config_static_selectorELNS0_4arch9wavefront6targetE1EEEvT1_, .Lfunc_end3264-_ZN7rocprim17ROCPRIM_400000_NS6detail17trampoline_kernelINS0_14default_configENS1_25partition_config_selectorILNS1_17partition_subalgoE1EiNS0_10empty_typeEbEEZZNS1_14partition_implILS5_1ELb0ES3_jN6thrust23THRUST_200600_302600_NS6detail15normal_iteratorINSA_10device_ptrIiEEEEPS6_NSA_18transform_iteratorI7is_evenIiESF_NSA_11use_defaultESK_EENS0_5tupleIJNSA_16discard_iteratorISK_EESO_EEENSM_IJSG_SG_EEES6_PlJS6_EEE10hipError_tPvRmT3_T4_T5_T6_T7_T9_mT8_P12ihipStream_tbDpT10_ENKUlT_T0_E_clISt17integral_constantIbLb0EES1B_EEDaS16_S17_EUlS16_E_NS1_11comp_targetILNS1_3genE10ELNS1_11target_archE1200ELNS1_3gpuE4ELNS1_3repE0EEENS1_30default_config_static_selectorELNS0_4arch9wavefront6targetE1EEEvT1_
                                        ; -- End function
	.section	.AMDGPU.csdata,"",@progbits
; Kernel info:
; codeLenInByte = 0
; NumSgprs: 4
; NumVgprs: 0
; NumAgprs: 0
; TotalNumVgprs: 0
; ScratchSize: 0
; MemoryBound: 0
; FloatMode: 240
; IeeeMode: 1
; LDSByteSize: 0 bytes/workgroup (compile time only)
; SGPRBlocks: 0
; VGPRBlocks: 0
; NumSGPRsForWavesPerEU: 4
; NumVGPRsForWavesPerEU: 1
; AccumOffset: 4
; Occupancy: 8
; WaveLimiterHint : 0
; COMPUTE_PGM_RSRC2:SCRATCH_EN: 0
; COMPUTE_PGM_RSRC2:USER_SGPR: 6
; COMPUTE_PGM_RSRC2:TRAP_HANDLER: 0
; COMPUTE_PGM_RSRC2:TGID_X_EN: 1
; COMPUTE_PGM_RSRC2:TGID_Y_EN: 0
; COMPUTE_PGM_RSRC2:TGID_Z_EN: 0
; COMPUTE_PGM_RSRC2:TIDIG_COMP_CNT: 0
; COMPUTE_PGM_RSRC3_GFX90A:ACCUM_OFFSET: 0
; COMPUTE_PGM_RSRC3_GFX90A:TG_SPLIT: 0
	.section	.text._ZN7rocprim17ROCPRIM_400000_NS6detail17trampoline_kernelINS0_14default_configENS1_25partition_config_selectorILNS1_17partition_subalgoE1EiNS0_10empty_typeEbEEZZNS1_14partition_implILS5_1ELb0ES3_jN6thrust23THRUST_200600_302600_NS6detail15normal_iteratorINSA_10device_ptrIiEEEEPS6_NSA_18transform_iteratorI7is_evenIiESF_NSA_11use_defaultESK_EENS0_5tupleIJNSA_16discard_iteratorISK_EESO_EEENSM_IJSG_SG_EEES6_PlJS6_EEE10hipError_tPvRmT3_T4_T5_T6_T7_T9_mT8_P12ihipStream_tbDpT10_ENKUlT_T0_E_clISt17integral_constantIbLb0EES1B_EEDaS16_S17_EUlS16_E_NS1_11comp_targetILNS1_3genE9ELNS1_11target_archE1100ELNS1_3gpuE3ELNS1_3repE0EEENS1_30default_config_static_selectorELNS0_4arch9wavefront6targetE1EEEvT1_,"axG",@progbits,_ZN7rocprim17ROCPRIM_400000_NS6detail17trampoline_kernelINS0_14default_configENS1_25partition_config_selectorILNS1_17partition_subalgoE1EiNS0_10empty_typeEbEEZZNS1_14partition_implILS5_1ELb0ES3_jN6thrust23THRUST_200600_302600_NS6detail15normal_iteratorINSA_10device_ptrIiEEEEPS6_NSA_18transform_iteratorI7is_evenIiESF_NSA_11use_defaultESK_EENS0_5tupleIJNSA_16discard_iteratorISK_EESO_EEENSM_IJSG_SG_EEES6_PlJS6_EEE10hipError_tPvRmT3_T4_T5_T6_T7_T9_mT8_P12ihipStream_tbDpT10_ENKUlT_T0_E_clISt17integral_constantIbLb0EES1B_EEDaS16_S17_EUlS16_E_NS1_11comp_targetILNS1_3genE9ELNS1_11target_archE1100ELNS1_3gpuE3ELNS1_3repE0EEENS1_30default_config_static_selectorELNS0_4arch9wavefront6targetE1EEEvT1_,comdat
	.protected	_ZN7rocprim17ROCPRIM_400000_NS6detail17trampoline_kernelINS0_14default_configENS1_25partition_config_selectorILNS1_17partition_subalgoE1EiNS0_10empty_typeEbEEZZNS1_14partition_implILS5_1ELb0ES3_jN6thrust23THRUST_200600_302600_NS6detail15normal_iteratorINSA_10device_ptrIiEEEEPS6_NSA_18transform_iteratorI7is_evenIiESF_NSA_11use_defaultESK_EENS0_5tupleIJNSA_16discard_iteratorISK_EESO_EEENSM_IJSG_SG_EEES6_PlJS6_EEE10hipError_tPvRmT3_T4_T5_T6_T7_T9_mT8_P12ihipStream_tbDpT10_ENKUlT_T0_E_clISt17integral_constantIbLb0EES1B_EEDaS16_S17_EUlS16_E_NS1_11comp_targetILNS1_3genE9ELNS1_11target_archE1100ELNS1_3gpuE3ELNS1_3repE0EEENS1_30default_config_static_selectorELNS0_4arch9wavefront6targetE1EEEvT1_ ; -- Begin function _ZN7rocprim17ROCPRIM_400000_NS6detail17trampoline_kernelINS0_14default_configENS1_25partition_config_selectorILNS1_17partition_subalgoE1EiNS0_10empty_typeEbEEZZNS1_14partition_implILS5_1ELb0ES3_jN6thrust23THRUST_200600_302600_NS6detail15normal_iteratorINSA_10device_ptrIiEEEEPS6_NSA_18transform_iteratorI7is_evenIiESF_NSA_11use_defaultESK_EENS0_5tupleIJNSA_16discard_iteratorISK_EESO_EEENSM_IJSG_SG_EEES6_PlJS6_EEE10hipError_tPvRmT3_T4_T5_T6_T7_T9_mT8_P12ihipStream_tbDpT10_ENKUlT_T0_E_clISt17integral_constantIbLb0EES1B_EEDaS16_S17_EUlS16_E_NS1_11comp_targetILNS1_3genE9ELNS1_11target_archE1100ELNS1_3gpuE3ELNS1_3repE0EEENS1_30default_config_static_selectorELNS0_4arch9wavefront6targetE1EEEvT1_
	.globl	_ZN7rocprim17ROCPRIM_400000_NS6detail17trampoline_kernelINS0_14default_configENS1_25partition_config_selectorILNS1_17partition_subalgoE1EiNS0_10empty_typeEbEEZZNS1_14partition_implILS5_1ELb0ES3_jN6thrust23THRUST_200600_302600_NS6detail15normal_iteratorINSA_10device_ptrIiEEEEPS6_NSA_18transform_iteratorI7is_evenIiESF_NSA_11use_defaultESK_EENS0_5tupleIJNSA_16discard_iteratorISK_EESO_EEENSM_IJSG_SG_EEES6_PlJS6_EEE10hipError_tPvRmT3_T4_T5_T6_T7_T9_mT8_P12ihipStream_tbDpT10_ENKUlT_T0_E_clISt17integral_constantIbLb0EES1B_EEDaS16_S17_EUlS16_E_NS1_11comp_targetILNS1_3genE9ELNS1_11target_archE1100ELNS1_3gpuE3ELNS1_3repE0EEENS1_30default_config_static_selectorELNS0_4arch9wavefront6targetE1EEEvT1_
	.p2align	8
	.type	_ZN7rocprim17ROCPRIM_400000_NS6detail17trampoline_kernelINS0_14default_configENS1_25partition_config_selectorILNS1_17partition_subalgoE1EiNS0_10empty_typeEbEEZZNS1_14partition_implILS5_1ELb0ES3_jN6thrust23THRUST_200600_302600_NS6detail15normal_iteratorINSA_10device_ptrIiEEEEPS6_NSA_18transform_iteratorI7is_evenIiESF_NSA_11use_defaultESK_EENS0_5tupleIJNSA_16discard_iteratorISK_EESO_EEENSM_IJSG_SG_EEES6_PlJS6_EEE10hipError_tPvRmT3_T4_T5_T6_T7_T9_mT8_P12ihipStream_tbDpT10_ENKUlT_T0_E_clISt17integral_constantIbLb0EES1B_EEDaS16_S17_EUlS16_E_NS1_11comp_targetILNS1_3genE9ELNS1_11target_archE1100ELNS1_3gpuE3ELNS1_3repE0EEENS1_30default_config_static_selectorELNS0_4arch9wavefront6targetE1EEEvT1_,@function
_ZN7rocprim17ROCPRIM_400000_NS6detail17trampoline_kernelINS0_14default_configENS1_25partition_config_selectorILNS1_17partition_subalgoE1EiNS0_10empty_typeEbEEZZNS1_14partition_implILS5_1ELb0ES3_jN6thrust23THRUST_200600_302600_NS6detail15normal_iteratorINSA_10device_ptrIiEEEEPS6_NSA_18transform_iteratorI7is_evenIiESF_NSA_11use_defaultESK_EENS0_5tupleIJNSA_16discard_iteratorISK_EESO_EEENSM_IJSG_SG_EEES6_PlJS6_EEE10hipError_tPvRmT3_T4_T5_T6_T7_T9_mT8_P12ihipStream_tbDpT10_ENKUlT_T0_E_clISt17integral_constantIbLb0EES1B_EEDaS16_S17_EUlS16_E_NS1_11comp_targetILNS1_3genE9ELNS1_11target_archE1100ELNS1_3gpuE3ELNS1_3repE0EEENS1_30default_config_static_selectorELNS0_4arch9wavefront6targetE1EEEvT1_: ; @_ZN7rocprim17ROCPRIM_400000_NS6detail17trampoline_kernelINS0_14default_configENS1_25partition_config_selectorILNS1_17partition_subalgoE1EiNS0_10empty_typeEbEEZZNS1_14partition_implILS5_1ELb0ES3_jN6thrust23THRUST_200600_302600_NS6detail15normal_iteratorINSA_10device_ptrIiEEEEPS6_NSA_18transform_iteratorI7is_evenIiESF_NSA_11use_defaultESK_EENS0_5tupleIJNSA_16discard_iteratorISK_EESO_EEENSM_IJSG_SG_EEES6_PlJS6_EEE10hipError_tPvRmT3_T4_T5_T6_T7_T9_mT8_P12ihipStream_tbDpT10_ENKUlT_T0_E_clISt17integral_constantIbLb0EES1B_EEDaS16_S17_EUlS16_E_NS1_11comp_targetILNS1_3genE9ELNS1_11target_archE1100ELNS1_3gpuE3ELNS1_3repE0EEENS1_30default_config_static_selectorELNS0_4arch9wavefront6targetE1EEEvT1_
; %bb.0:
	.section	.rodata,"a",@progbits
	.p2align	6, 0x0
	.amdhsa_kernel _ZN7rocprim17ROCPRIM_400000_NS6detail17trampoline_kernelINS0_14default_configENS1_25partition_config_selectorILNS1_17partition_subalgoE1EiNS0_10empty_typeEbEEZZNS1_14partition_implILS5_1ELb0ES3_jN6thrust23THRUST_200600_302600_NS6detail15normal_iteratorINSA_10device_ptrIiEEEEPS6_NSA_18transform_iteratorI7is_evenIiESF_NSA_11use_defaultESK_EENS0_5tupleIJNSA_16discard_iteratorISK_EESO_EEENSM_IJSG_SG_EEES6_PlJS6_EEE10hipError_tPvRmT3_T4_T5_T6_T7_T9_mT8_P12ihipStream_tbDpT10_ENKUlT_T0_E_clISt17integral_constantIbLb0EES1B_EEDaS16_S17_EUlS16_E_NS1_11comp_targetILNS1_3genE9ELNS1_11target_archE1100ELNS1_3gpuE3ELNS1_3repE0EEENS1_30default_config_static_selectorELNS0_4arch9wavefront6targetE1EEEvT1_
		.amdhsa_group_segment_fixed_size 0
		.amdhsa_private_segment_fixed_size 0
		.amdhsa_kernarg_size 144
		.amdhsa_user_sgpr_count 6
		.amdhsa_user_sgpr_private_segment_buffer 1
		.amdhsa_user_sgpr_dispatch_ptr 0
		.amdhsa_user_sgpr_queue_ptr 0
		.amdhsa_user_sgpr_kernarg_segment_ptr 1
		.amdhsa_user_sgpr_dispatch_id 0
		.amdhsa_user_sgpr_flat_scratch_init 0
		.amdhsa_user_sgpr_kernarg_preload_length 0
		.amdhsa_user_sgpr_kernarg_preload_offset 0
		.amdhsa_user_sgpr_private_segment_size 0
		.amdhsa_uses_dynamic_stack 0
		.amdhsa_system_sgpr_private_segment_wavefront_offset 0
		.amdhsa_system_sgpr_workgroup_id_x 1
		.amdhsa_system_sgpr_workgroup_id_y 0
		.amdhsa_system_sgpr_workgroup_id_z 0
		.amdhsa_system_sgpr_workgroup_info 0
		.amdhsa_system_vgpr_workitem_id 0
		.amdhsa_next_free_vgpr 1
		.amdhsa_next_free_sgpr 0
		.amdhsa_accum_offset 4
		.amdhsa_reserve_vcc 0
		.amdhsa_reserve_flat_scratch 0
		.amdhsa_float_round_mode_32 0
		.amdhsa_float_round_mode_16_64 0
		.amdhsa_float_denorm_mode_32 3
		.amdhsa_float_denorm_mode_16_64 3
		.amdhsa_dx10_clamp 1
		.amdhsa_ieee_mode 1
		.amdhsa_fp16_overflow 0
		.amdhsa_tg_split 0
		.amdhsa_exception_fp_ieee_invalid_op 0
		.amdhsa_exception_fp_denorm_src 0
		.amdhsa_exception_fp_ieee_div_zero 0
		.amdhsa_exception_fp_ieee_overflow 0
		.amdhsa_exception_fp_ieee_underflow 0
		.amdhsa_exception_fp_ieee_inexact 0
		.amdhsa_exception_int_div_zero 0
	.end_amdhsa_kernel
	.section	.text._ZN7rocprim17ROCPRIM_400000_NS6detail17trampoline_kernelINS0_14default_configENS1_25partition_config_selectorILNS1_17partition_subalgoE1EiNS0_10empty_typeEbEEZZNS1_14partition_implILS5_1ELb0ES3_jN6thrust23THRUST_200600_302600_NS6detail15normal_iteratorINSA_10device_ptrIiEEEEPS6_NSA_18transform_iteratorI7is_evenIiESF_NSA_11use_defaultESK_EENS0_5tupleIJNSA_16discard_iteratorISK_EESO_EEENSM_IJSG_SG_EEES6_PlJS6_EEE10hipError_tPvRmT3_T4_T5_T6_T7_T9_mT8_P12ihipStream_tbDpT10_ENKUlT_T0_E_clISt17integral_constantIbLb0EES1B_EEDaS16_S17_EUlS16_E_NS1_11comp_targetILNS1_3genE9ELNS1_11target_archE1100ELNS1_3gpuE3ELNS1_3repE0EEENS1_30default_config_static_selectorELNS0_4arch9wavefront6targetE1EEEvT1_,"axG",@progbits,_ZN7rocprim17ROCPRIM_400000_NS6detail17trampoline_kernelINS0_14default_configENS1_25partition_config_selectorILNS1_17partition_subalgoE1EiNS0_10empty_typeEbEEZZNS1_14partition_implILS5_1ELb0ES3_jN6thrust23THRUST_200600_302600_NS6detail15normal_iteratorINSA_10device_ptrIiEEEEPS6_NSA_18transform_iteratorI7is_evenIiESF_NSA_11use_defaultESK_EENS0_5tupleIJNSA_16discard_iteratorISK_EESO_EEENSM_IJSG_SG_EEES6_PlJS6_EEE10hipError_tPvRmT3_T4_T5_T6_T7_T9_mT8_P12ihipStream_tbDpT10_ENKUlT_T0_E_clISt17integral_constantIbLb0EES1B_EEDaS16_S17_EUlS16_E_NS1_11comp_targetILNS1_3genE9ELNS1_11target_archE1100ELNS1_3gpuE3ELNS1_3repE0EEENS1_30default_config_static_selectorELNS0_4arch9wavefront6targetE1EEEvT1_,comdat
.Lfunc_end3265:
	.size	_ZN7rocprim17ROCPRIM_400000_NS6detail17trampoline_kernelINS0_14default_configENS1_25partition_config_selectorILNS1_17partition_subalgoE1EiNS0_10empty_typeEbEEZZNS1_14partition_implILS5_1ELb0ES3_jN6thrust23THRUST_200600_302600_NS6detail15normal_iteratorINSA_10device_ptrIiEEEEPS6_NSA_18transform_iteratorI7is_evenIiESF_NSA_11use_defaultESK_EENS0_5tupleIJNSA_16discard_iteratorISK_EESO_EEENSM_IJSG_SG_EEES6_PlJS6_EEE10hipError_tPvRmT3_T4_T5_T6_T7_T9_mT8_P12ihipStream_tbDpT10_ENKUlT_T0_E_clISt17integral_constantIbLb0EES1B_EEDaS16_S17_EUlS16_E_NS1_11comp_targetILNS1_3genE9ELNS1_11target_archE1100ELNS1_3gpuE3ELNS1_3repE0EEENS1_30default_config_static_selectorELNS0_4arch9wavefront6targetE1EEEvT1_, .Lfunc_end3265-_ZN7rocprim17ROCPRIM_400000_NS6detail17trampoline_kernelINS0_14default_configENS1_25partition_config_selectorILNS1_17partition_subalgoE1EiNS0_10empty_typeEbEEZZNS1_14partition_implILS5_1ELb0ES3_jN6thrust23THRUST_200600_302600_NS6detail15normal_iteratorINSA_10device_ptrIiEEEEPS6_NSA_18transform_iteratorI7is_evenIiESF_NSA_11use_defaultESK_EENS0_5tupleIJNSA_16discard_iteratorISK_EESO_EEENSM_IJSG_SG_EEES6_PlJS6_EEE10hipError_tPvRmT3_T4_T5_T6_T7_T9_mT8_P12ihipStream_tbDpT10_ENKUlT_T0_E_clISt17integral_constantIbLb0EES1B_EEDaS16_S17_EUlS16_E_NS1_11comp_targetILNS1_3genE9ELNS1_11target_archE1100ELNS1_3gpuE3ELNS1_3repE0EEENS1_30default_config_static_selectorELNS0_4arch9wavefront6targetE1EEEvT1_
                                        ; -- End function
	.section	.AMDGPU.csdata,"",@progbits
; Kernel info:
; codeLenInByte = 0
; NumSgprs: 4
; NumVgprs: 0
; NumAgprs: 0
; TotalNumVgprs: 0
; ScratchSize: 0
; MemoryBound: 0
; FloatMode: 240
; IeeeMode: 1
; LDSByteSize: 0 bytes/workgroup (compile time only)
; SGPRBlocks: 0
; VGPRBlocks: 0
; NumSGPRsForWavesPerEU: 4
; NumVGPRsForWavesPerEU: 1
; AccumOffset: 4
; Occupancy: 8
; WaveLimiterHint : 0
; COMPUTE_PGM_RSRC2:SCRATCH_EN: 0
; COMPUTE_PGM_RSRC2:USER_SGPR: 6
; COMPUTE_PGM_RSRC2:TRAP_HANDLER: 0
; COMPUTE_PGM_RSRC2:TGID_X_EN: 1
; COMPUTE_PGM_RSRC2:TGID_Y_EN: 0
; COMPUTE_PGM_RSRC2:TGID_Z_EN: 0
; COMPUTE_PGM_RSRC2:TIDIG_COMP_CNT: 0
; COMPUTE_PGM_RSRC3_GFX90A:ACCUM_OFFSET: 0
; COMPUTE_PGM_RSRC3_GFX90A:TG_SPLIT: 0
	.section	.text._ZN7rocprim17ROCPRIM_400000_NS6detail17trampoline_kernelINS0_14default_configENS1_25partition_config_selectorILNS1_17partition_subalgoE1EiNS0_10empty_typeEbEEZZNS1_14partition_implILS5_1ELb0ES3_jN6thrust23THRUST_200600_302600_NS6detail15normal_iteratorINSA_10device_ptrIiEEEEPS6_NSA_18transform_iteratorI7is_evenIiESF_NSA_11use_defaultESK_EENS0_5tupleIJNSA_16discard_iteratorISK_EESO_EEENSM_IJSG_SG_EEES6_PlJS6_EEE10hipError_tPvRmT3_T4_T5_T6_T7_T9_mT8_P12ihipStream_tbDpT10_ENKUlT_T0_E_clISt17integral_constantIbLb0EES1B_EEDaS16_S17_EUlS16_E_NS1_11comp_targetILNS1_3genE8ELNS1_11target_archE1030ELNS1_3gpuE2ELNS1_3repE0EEENS1_30default_config_static_selectorELNS0_4arch9wavefront6targetE1EEEvT1_,"axG",@progbits,_ZN7rocprim17ROCPRIM_400000_NS6detail17trampoline_kernelINS0_14default_configENS1_25partition_config_selectorILNS1_17partition_subalgoE1EiNS0_10empty_typeEbEEZZNS1_14partition_implILS5_1ELb0ES3_jN6thrust23THRUST_200600_302600_NS6detail15normal_iteratorINSA_10device_ptrIiEEEEPS6_NSA_18transform_iteratorI7is_evenIiESF_NSA_11use_defaultESK_EENS0_5tupleIJNSA_16discard_iteratorISK_EESO_EEENSM_IJSG_SG_EEES6_PlJS6_EEE10hipError_tPvRmT3_T4_T5_T6_T7_T9_mT8_P12ihipStream_tbDpT10_ENKUlT_T0_E_clISt17integral_constantIbLb0EES1B_EEDaS16_S17_EUlS16_E_NS1_11comp_targetILNS1_3genE8ELNS1_11target_archE1030ELNS1_3gpuE2ELNS1_3repE0EEENS1_30default_config_static_selectorELNS0_4arch9wavefront6targetE1EEEvT1_,comdat
	.protected	_ZN7rocprim17ROCPRIM_400000_NS6detail17trampoline_kernelINS0_14default_configENS1_25partition_config_selectorILNS1_17partition_subalgoE1EiNS0_10empty_typeEbEEZZNS1_14partition_implILS5_1ELb0ES3_jN6thrust23THRUST_200600_302600_NS6detail15normal_iteratorINSA_10device_ptrIiEEEEPS6_NSA_18transform_iteratorI7is_evenIiESF_NSA_11use_defaultESK_EENS0_5tupleIJNSA_16discard_iteratorISK_EESO_EEENSM_IJSG_SG_EEES6_PlJS6_EEE10hipError_tPvRmT3_T4_T5_T6_T7_T9_mT8_P12ihipStream_tbDpT10_ENKUlT_T0_E_clISt17integral_constantIbLb0EES1B_EEDaS16_S17_EUlS16_E_NS1_11comp_targetILNS1_3genE8ELNS1_11target_archE1030ELNS1_3gpuE2ELNS1_3repE0EEENS1_30default_config_static_selectorELNS0_4arch9wavefront6targetE1EEEvT1_ ; -- Begin function _ZN7rocprim17ROCPRIM_400000_NS6detail17trampoline_kernelINS0_14default_configENS1_25partition_config_selectorILNS1_17partition_subalgoE1EiNS0_10empty_typeEbEEZZNS1_14partition_implILS5_1ELb0ES3_jN6thrust23THRUST_200600_302600_NS6detail15normal_iteratorINSA_10device_ptrIiEEEEPS6_NSA_18transform_iteratorI7is_evenIiESF_NSA_11use_defaultESK_EENS0_5tupleIJNSA_16discard_iteratorISK_EESO_EEENSM_IJSG_SG_EEES6_PlJS6_EEE10hipError_tPvRmT3_T4_T5_T6_T7_T9_mT8_P12ihipStream_tbDpT10_ENKUlT_T0_E_clISt17integral_constantIbLb0EES1B_EEDaS16_S17_EUlS16_E_NS1_11comp_targetILNS1_3genE8ELNS1_11target_archE1030ELNS1_3gpuE2ELNS1_3repE0EEENS1_30default_config_static_selectorELNS0_4arch9wavefront6targetE1EEEvT1_
	.globl	_ZN7rocprim17ROCPRIM_400000_NS6detail17trampoline_kernelINS0_14default_configENS1_25partition_config_selectorILNS1_17partition_subalgoE1EiNS0_10empty_typeEbEEZZNS1_14partition_implILS5_1ELb0ES3_jN6thrust23THRUST_200600_302600_NS6detail15normal_iteratorINSA_10device_ptrIiEEEEPS6_NSA_18transform_iteratorI7is_evenIiESF_NSA_11use_defaultESK_EENS0_5tupleIJNSA_16discard_iteratorISK_EESO_EEENSM_IJSG_SG_EEES6_PlJS6_EEE10hipError_tPvRmT3_T4_T5_T6_T7_T9_mT8_P12ihipStream_tbDpT10_ENKUlT_T0_E_clISt17integral_constantIbLb0EES1B_EEDaS16_S17_EUlS16_E_NS1_11comp_targetILNS1_3genE8ELNS1_11target_archE1030ELNS1_3gpuE2ELNS1_3repE0EEENS1_30default_config_static_selectorELNS0_4arch9wavefront6targetE1EEEvT1_
	.p2align	8
	.type	_ZN7rocprim17ROCPRIM_400000_NS6detail17trampoline_kernelINS0_14default_configENS1_25partition_config_selectorILNS1_17partition_subalgoE1EiNS0_10empty_typeEbEEZZNS1_14partition_implILS5_1ELb0ES3_jN6thrust23THRUST_200600_302600_NS6detail15normal_iteratorINSA_10device_ptrIiEEEEPS6_NSA_18transform_iteratorI7is_evenIiESF_NSA_11use_defaultESK_EENS0_5tupleIJNSA_16discard_iteratorISK_EESO_EEENSM_IJSG_SG_EEES6_PlJS6_EEE10hipError_tPvRmT3_T4_T5_T6_T7_T9_mT8_P12ihipStream_tbDpT10_ENKUlT_T0_E_clISt17integral_constantIbLb0EES1B_EEDaS16_S17_EUlS16_E_NS1_11comp_targetILNS1_3genE8ELNS1_11target_archE1030ELNS1_3gpuE2ELNS1_3repE0EEENS1_30default_config_static_selectorELNS0_4arch9wavefront6targetE1EEEvT1_,@function
_ZN7rocprim17ROCPRIM_400000_NS6detail17trampoline_kernelINS0_14default_configENS1_25partition_config_selectorILNS1_17partition_subalgoE1EiNS0_10empty_typeEbEEZZNS1_14partition_implILS5_1ELb0ES3_jN6thrust23THRUST_200600_302600_NS6detail15normal_iteratorINSA_10device_ptrIiEEEEPS6_NSA_18transform_iteratorI7is_evenIiESF_NSA_11use_defaultESK_EENS0_5tupleIJNSA_16discard_iteratorISK_EESO_EEENSM_IJSG_SG_EEES6_PlJS6_EEE10hipError_tPvRmT3_T4_T5_T6_T7_T9_mT8_P12ihipStream_tbDpT10_ENKUlT_T0_E_clISt17integral_constantIbLb0EES1B_EEDaS16_S17_EUlS16_E_NS1_11comp_targetILNS1_3genE8ELNS1_11target_archE1030ELNS1_3gpuE2ELNS1_3repE0EEENS1_30default_config_static_selectorELNS0_4arch9wavefront6targetE1EEEvT1_: ; @_ZN7rocprim17ROCPRIM_400000_NS6detail17trampoline_kernelINS0_14default_configENS1_25partition_config_selectorILNS1_17partition_subalgoE1EiNS0_10empty_typeEbEEZZNS1_14partition_implILS5_1ELb0ES3_jN6thrust23THRUST_200600_302600_NS6detail15normal_iteratorINSA_10device_ptrIiEEEEPS6_NSA_18transform_iteratorI7is_evenIiESF_NSA_11use_defaultESK_EENS0_5tupleIJNSA_16discard_iteratorISK_EESO_EEENSM_IJSG_SG_EEES6_PlJS6_EEE10hipError_tPvRmT3_T4_T5_T6_T7_T9_mT8_P12ihipStream_tbDpT10_ENKUlT_T0_E_clISt17integral_constantIbLb0EES1B_EEDaS16_S17_EUlS16_E_NS1_11comp_targetILNS1_3genE8ELNS1_11target_archE1030ELNS1_3gpuE2ELNS1_3repE0EEENS1_30default_config_static_selectorELNS0_4arch9wavefront6targetE1EEEvT1_
; %bb.0:
	.section	.rodata,"a",@progbits
	.p2align	6, 0x0
	.amdhsa_kernel _ZN7rocprim17ROCPRIM_400000_NS6detail17trampoline_kernelINS0_14default_configENS1_25partition_config_selectorILNS1_17partition_subalgoE1EiNS0_10empty_typeEbEEZZNS1_14partition_implILS5_1ELb0ES3_jN6thrust23THRUST_200600_302600_NS6detail15normal_iteratorINSA_10device_ptrIiEEEEPS6_NSA_18transform_iteratorI7is_evenIiESF_NSA_11use_defaultESK_EENS0_5tupleIJNSA_16discard_iteratorISK_EESO_EEENSM_IJSG_SG_EEES6_PlJS6_EEE10hipError_tPvRmT3_T4_T5_T6_T7_T9_mT8_P12ihipStream_tbDpT10_ENKUlT_T0_E_clISt17integral_constantIbLb0EES1B_EEDaS16_S17_EUlS16_E_NS1_11comp_targetILNS1_3genE8ELNS1_11target_archE1030ELNS1_3gpuE2ELNS1_3repE0EEENS1_30default_config_static_selectorELNS0_4arch9wavefront6targetE1EEEvT1_
		.amdhsa_group_segment_fixed_size 0
		.amdhsa_private_segment_fixed_size 0
		.amdhsa_kernarg_size 144
		.amdhsa_user_sgpr_count 6
		.amdhsa_user_sgpr_private_segment_buffer 1
		.amdhsa_user_sgpr_dispatch_ptr 0
		.amdhsa_user_sgpr_queue_ptr 0
		.amdhsa_user_sgpr_kernarg_segment_ptr 1
		.amdhsa_user_sgpr_dispatch_id 0
		.amdhsa_user_sgpr_flat_scratch_init 0
		.amdhsa_user_sgpr_kernarg_preload_length 0
		.amdhsa_user_sgpr_kernarg_preload_offset 0
		.amdhsa_user_sgpr_private_segment_size 0
		.amdhsa_uses_dynamic_stack 0
		.amdhsa_system_sgpr_private_segment_wavefront_offset 0
		.amdhsa_system_sgpr_workgroup_id_x 1
		.amdhsa_system_sgpr_workgroup_id_y 0
		.amdhsa_system_sgpr_workgroup_id_z 0
		.amdhsa_system_sgpr_workgroup_info 0
		.amdhsa_system_vgpr_workitem_id 0
		.amdhsa_next_free_vgpr 1
		.amdhsa_next_free_sgpr 0
		.amdhsa_accum_offset 4
		.amdhsa_reserve_vcc 0
		.amdhsa_reserve_flat_scratch 0
		.amdhsa_float_round_mode_32 0
		.amdhsa_float_round_mode_16_64 0
		.amdhsa_float_denorm_mode_32 3
		.amdhsa_float_denorm_mode_16_64 3
		.amdhsa_dx10_clamp 1
		.amdhsa_ieee_mode 1
		.amdhsa_fp16_overflow 0
		.amdhsa_tg_split 0
		.amdhsa_exception_fp_ieee_invalid_op 0
		.amdhsa_exception_fp_denorm_src 0
		.amdhsa_exception_fp_ieee_div_zero 0
		.amdhsa_exception_fp_ieee_overflow 0
		.amdhsa_exception_fp_ieee_underflow 0
		.amdhsa_exception_fp_ieee_inexact 0
		.amdhsa_exception_int_div_zero 0
	.end_amdhsa_kernel
	.section	.text._ZN7rocprim17ROCPRIM_400000_NS6detail17trampoline_kernelINS0_14default_configENS1_25partition_config_selectorILNS1_17partition_subalgoE1EiNS0_10empty_typeEbEEZZNS1_14partition_implILS5_1ELb0ES3_jN6thrust23THRUST_200600_302600_NS6detail15normal_iteratorINSA_10device_ptrIiEEEEPS6_NSA_18transform_iteratorI7is_evenIiESF_NSA_11use_defaultESK_EENS0_5tupleIJNSA_16discard_iteratorISK_EESO_EEENSM_IJSG_SG_EEES6_PlJS6_EEE10hipError_tPvRmT3_T4_T5_T6_T7_T9_mT8_P12ihipStream_tbDpT10_ENKUlT_T0_E_clISt17integral_constantIbLb0EES1B_EEDaS16_S17_EUlS16_E_NS1_11comp_targetILNS1_3genE8ELNS1_11target_archE1030ELNS1_3gpuE2ELNS1_3repE0EEENS1_30default_config_static_selectorELNS0_4arch9wavefront6targetE1EEEvT1_,"axG",@progbits,_ZN7rocprim17ROCPRIM_400000_NS6detail17trampoline_kernelINS0_14default_configENS1_25partition_config_selectorILNS1_17partition_subalgoE1EiNS0_10empty_typeEbEEZZNS1_14partition_implILS5_1ELb0ES3_jN6thrust23THRUST_200600_302600_NS6detail15normal_iteratorINSA_10device_ptrIiEEEEPS6_NSA_18transform_iteratorI7is_evenIiESF_NSA_11use_defaultESK_EENS0_5tupleIJNSA_16discard_iteratorISK_EESO_EEENSM_IJSG_SG_EEES6_PlJS6_EEE10hipError_tPvRmT3_T4_T5_T6_T7_T9_mT8_P12ihipStream_tbDpT10_ENKUlT_T0_E_clISt17integral_constantIbLb0EES1B_EEDaS16_S17_EUlS16_E_NS1_11comp_targetILNS1_3genE8ELNS1_11target_archE1030ELNS1_3gpuE2ELNS1_3repE0EEENS1_30default_config_static_selectorELNS0_4arch9wavefront6targetE1EEEvT1_,comdat
.Lfunc_end3266:
	.size	_ZN7rocprim17ROCPRIM_400000_NS6detail17trampoline_kernelINS0_14default_configENS1_25partition_config_selectorILNS1_17partition_subalgoE1EiNS0_10empty_typeEbEEZZNS1_14partition_implILS5_1ELb0ES3_jN6thrust23THRUST_200600_302600_NS6detail15normal_iteratorINSA_10device_ptrIiEEEEPS6_NSA_18transform_iteratorI7is_evenIiESF_NSA_11use_defaultESK_EENS0_5tupleIJNSA_16discard_iteratorISK_EESO_EEENSM_IJSG_SG_EEES6_PlJS6_EEE10hipError_tPvRmT3_T4_T5_T6_T7_T9_mT8_P12ihipStream_tbDpT10_ENKUlT_T0_E_clISt17integral_constantIbLb0EES1B_EEDaS16_S17_EUlS16_E_NS1_11comp_targetILNS1_3genE8ELNS1_11target_archE1030ELNS1_3gpuE2ELNS1_3repE0EEENS1_30default_config_static_selectorELNS0_4arch9wavefront6targetE1EEEvT1_, .Lfunc_end3266-_ZN7rocprim17ROCPRIM_400000_NS6detail17trampoline_kernelINS0_14default_configENS1_25partition_config_selectorILNS1_17partition_subalgoE1EiNS0_10empty_typeEbEEZZNS1_14partition_implILS5_1ELb0ES3_jN6thrust23THRUST_200600_302600_NS6detail15normal_iteratorINSA_10device_ptrIiEEEEPS6_NSA_18transform_iteratorI7is_evenIiESF_NSA_11use_defaultESK_EENS0_5tupleIJNSA_16discard_iteratorISK_EESO_EEENSM_IJSG_SG_EEES6_PlJS6_EEE10hipError_tPvRmT3_T4_T5_T6_T7_T9_mT8_P12ihipStream_tbDpT10_ENKUlT_T0_E_clISt17integral_constantIbLb0EES1B_EEDaS16_S17_EUlS16_E_NS1_11comp_targetILNS1_3genE8ELNS1_11target_archE1030ELNS1_3gpuE2ELNS1_3repE0EEENS1_30default_config_static_selectorELNS0_4arch9wavefront6targetE1EEEvT1_
                                        ; -- End function
	.section	.AMDGPU.csdata,"",@progbits
; Kernel info:
; codeLenInByte = 0
; NumSgprs: 4
; NumVgprs: 0
; NumAgprs: 0
; TotalNumVgprs: 0
; ScratchSize: 0
; MemoryBound: 0
; FloatMode: 240
; IeeeMode: 1
; LDSByteSize: 0 bytes/workgroup (compile time only)
; SGPRBlocks: 0
; VGPRBlocks: 0
; NumSGPRsForWavesPerEU: 4
; NumVGPRsForWavesPerEU: 1
; AccumOffset: 4
; Occupancy: 8
; WaveLimiterHint : 0
; COMPUTE_PGM_RSRC2:SCRATCH_EN: 0
; COMPUTE_PGM_RSRC2:USER_SGPR: 6
; COMPUTE_PGM_RSRC2:TRAP_HANDLER: 0
; COMPUTE_PGM_RSRC2:TGID_X_EN: 1
; COMPUTE_PGM_RSRC2:TGID_Y_EN: 0
; COMPUTE_PGM_RSRC2:TGID_Z_EN: 0
; COMPUTE_PGM_RSRC2:TIDIG_COMP_CNT: 0
; COMPUTE_PGM_RSRC3_GFX90A:ACCUM_OFFSET: 0
; COMPUTE_PGM_RSRC3_GFX90A:TG_SPLIT: 0
	.section	.text._ZN7rocprim17ROCPRIM_400000_NS6detail17trampoline_kernelINS0_14default_configENS1_25partition_config_selectorILNS1_17partition_subalgoE1EiNS0_10empty_typeEbEEZZNS1_14partition_implILS5_1ELb0ES3_jN6thrust23THRUST_200600_302600_NS6detail15normal_iteratorINSA_10device_ptrIiEEEEPS6_NSA_18transform_iteratorI7is_evenIiESF_NSA_11use_defaultESK_EENS0_5tupleIJNSA_16discard_iteratorISK_EESO_EEENSM_IJSG_SG_EEES6_PlJS6_EEE10hipError_tPvRmT3_T4_T5_T6_T7_T9_mT8_P12ihipStream_tbDpT10_ENKUlT_T0_E_clISt17integral_constantIbLb1EES1B_EEDaS16_S17_EUlS16_E_NS1_11comp_targetILNS1_3genE0ELNS1_11target_archE4294967295ELNS1_3gpuE0ELNS1_3repE0EEENS1_30default_config_static_selectorELNS0_4arch9wavefront6targetE1EEEvT1_,"axG",@progbits,_ZN7rocprim17ROCPRIM_400000_NS6detail17trampoline_kernelINS0_14default_configENS1_25partition_config_selectorILNS1_17partition_subalgoE1EiNS0_10empty_typeEbEEZZNS1_14partition_implILS5_1ELb0ES3_jN6thrust23THRUST_200600_302600_NS6detail15normal_iteratorINSA_10device_ptrIiEEEEPS6_NSA_18transform_iteratorI7is_evenIiESF_NSA_11use_defaultESK_EENS0_5tupleIJNSA_16discard_iteratorISK_EESO_EEENSM_IJSG_SG_EEES6_PlJS6_EEE10hipError_tPvRmT3_T4_T5_T6_T7_T9_mT8_P12ihipStream_tbDpT10_ENKUlT_T0_E_clISt17integral_constantIbLb1EES1B_EEDaS16_S17_EUlS16_E_NS1_11comp_targetILNS1_3genE0ELNS1_11target_archE4294967295ELNS1_3gpuE0ELNS1_3repE0EEENS1_30default_config_static_selectorELNS0_4arch9wavefront6targetE1EEEvT1_,comdat
	.protected	_ZN7rocprim17ROCPRIM_400000_NS6detail17trampoline_kernelINS0_14default_configENS1_25partition_config_selectorILNS1_17partition_subalgoE1EiNS0_10empty_typeEbEEZZNS1_14partition_implILS5_1ELb0ES3_jN6thrust23THRUST_200600_302600_NS6detail15normal_iteratorINSA_10device_ptrIiEEEEPS6_NSA_18transform_iteratorI7is_evenIiESF_NSA_11use_defaultESK_EENS0_5tupleIJNSA_16discard_iteratorISK_EESO_EEENSM_IJSG_SG_EEES6_PlJS6_EEE10hipError_tPvRmT3_T4_T5_T6_T7_T9_mT8_P12ihipStream_tbDpT10_ENKUlT_T0_E_clISt17integral_constantIbLb1EES1B_EEDaS16_S17_EUlS16_E_NS1_11comp_targetILNS1_3genE0ELNS1_11target_archE4294967295ELNS1_3gpuE0ELNS1_3repE0EEENS1_30default_config_static_selectorELNS0_4arch9wavefront6targetE1EEEvT1_ ; -- Begin function _ZN7rocprim17ROCPRIM_400000_NS6detail17trampoline_kernelINS0_14default_configENS1_25partition_config_selectorILNS1_17partition_subalgoE1EiNS0_10empty_typeEbEEZZNS1_14partition_implILS5_1ELb0ES3_jN6thrust23THRUST_200600_302600_NS6detail15normal_iteratorINSA_10device_ptrIiEEEEPS6_NSA_18transform_iteratorI7is_evenIiESF_NSA_11use_defaultESK_EENS0_5tupleIJNSA_16discard_iteratorISK_EESO_EEENSM_IJSG_SG_EEES6_PlJS6_EEE10hipError_tPvRmT3_T4_T5_T6_T7_T9_mT8_P12ihipStream_tbDpT10_ENKUlT_T0_E_clISt17integral_constantIbLb1EES1B_EEDaS16_S17_EUlS16_E_NS1_11comp_targetILNS1_3genE0ELNS1_11target_archE4294967295ELNS1_3gpuE0ELNS1_3repE0EEENS1_30default_config_static_selectorELNS0_4arch9wavefront6targetE1EEEvT1_
	.globl	_ZN7rocprim17ROCPRIM_400000_NS6detail17trampoline_kernelINS0_14default_configENS1_25partition_config_selectorILNS1_17partition_subalgoE1EiNS0_10empty_typeEbEEZZNS1_14partition_implILS5_1ELb0ES3_jN6thrust23THRUST_200600_302600_NS6detail15normal_iteratorINSA_10device_ptrIiEEEEPS6_NSA_18transform_iteratorI7is_evenIiESF_NSA_11use_defaultESK_EENS0_5tupleIJNSA_16discard_iteratorISK_EESO_EEENSM_IJSG_SG_EEES6_PlJS6_EEE10hipError_tPvRmT3_T4_T5_T6_T7_T9_mT8_P12ihipStream_tbDpT10_ENKUlT_T0_E_clISt17integral_constantIbLb1EES1B_EEDaS16_S17_EUlS16_E_NS1_11comp_targetILNS1_3genE0ELNS1_11target_archE4294967295ELNS1_3gpuE0ELNS1_3repE0EEENS1_30default_config_static_selectorELNS0_4arch9wavefront6targetE1EEEvT1_
	.p2align	8
	.type	_ZN7rocprim17ROCPRIM_400000_NS6detail17trampoline_kernelINS0_14default_configENS1_25partition_config_selectorILNS1_17partition_subalgoE1EiNS0_10empty_typeEbEEZZNS1_14partition_implILS5_1ELb0ES3_jN6thrust23THRUST_200600_302600_NS6detail15normal_iteratorINSA_10device_ptrIiEEEEPS6_NSA_18transform_iteratorI7is_evenIiESF_NSA_11use_defaultESK_EENS0_5tupleIJNSA_16discard_iteratorISK_EESO_EEENSM_IJSG_SG_EEES6_PlJS6_EEE10hipError_tPvRmT3_T4_T5_T6_T7_T9_mT8_P12ihipStream_tbDpT10_ENKUlT_T0_E_clISt17integral_constantIbLb1EES1B_EEDaS16_S17_EUlS16_E_NS1_11comp_targetILNS1_3genE0ELNS1_11target_archE4294967295ELNS1_3gpuE0ELNS1_3repE0EEENS1_30default_config_static_selectorELNS0_4arch9wavefront6targetE1EEEvT1_,@function
_ZN7rocprim17ROCPRIM_400000_NS6detail17trampoline_kernelINS0_14default_configENS1_25partition_config_selectorILNS1_17partition_subalgoE1EiNS0_10empty_typeEbEEZZNS1_14partition_implILS5_1ELb0ES3_jN6thrust23THRUST_200600_302600_NS6detail15normal_iteratorINSA_10device_ptrIiEEEEPS6_NSA_18transform_iteratorI7is_evenIiESF_NSA_11use_defaultESK_EENS0_5tupleIJNSA_16discard_iteratorISK_EESO_EEENSM_IJSG_SG_EEES6_PlJS6_EEE10hipError_tPvRmT3_T4_T5_T6_T7_T9_mT8_P12ihipStream_tbDpT10_ENKUlT_T0_E_clISt17integral_constantIbLb1EES1B_EEDaS16_S17_EUlS16_E_NS1_11comp_targetILNS1_3genE0ELNS1_11target_archE4294967295ELNS1_3gpuE0ELNS1_3repE0EEENS1_30default_config_static_selectorELNS0_4arch9wavefront6targetE1EEEvT1_: ; @_ZN7rocprim17ROCPRIM_400000_NS6detail17trampoline_kernelINS0_14default_configENS1_25partition_config_selectorILNS1_17partition_subalgoE1EiNS0_10empty_typeEbEEZZNS1_14partition_implILS5_1ELb0ES3_jN6thrust23THRUST_200600_302600_NS6detail15normal_iteratorINSA_10device_ptrIiEEEEPS6_NSA_18transform_iteratorI7is_evenIiESF_NSA_11use_defaultESK_EENS0_5tupleIJNSA_16discard_iteratorISK_EESO_EEENSM_IJSG_SG_EEES6_PlJS6_EEE10hipError_tPvRmT3_T4_T5_T6_T7_T9_mT8_P12ihipStream_tbDpT10_ENKUlT_T0_E_clISt17integral_constantIbLb1EES1B_EEDaS16_S17_EUlS16_E_NS1_11comp_targetILNS1_3genE0ELNS1_11target_archE4294967295ELNS1_3gpuE0ELNS1_3repE0EEENS1_30default_config_static_selectorELNS0_4arch9wavefront6targetE1EEEvT1_
; %bb.0:
	.section	.rodata,"a",@progbits
	.p2align	6, 0x0
	.amdhsa_kernel _ZN7rocprim17ROCPRIM_400000_NS6detail17trampoline_kernelINS0_14default_configENS1_25partition_config_selectorILNS1_17partition_subalgoE1EiNS0_10empty_typeEbEEZZNS1_14partition_implILS5_1ELb0ES3_jN6thrust23THRUST_200600_302600_NS6detail15normal_iteratorINSA_10device_ptrIiEEEEPS6_NSA_18transform_iteratorI7is_evenIiESF_NSA_11use_defaultESK_EENS0_5tupleIJNSA_16discard_iteratorISK_EESO_EEENSM_IJSG_SG_EEES6_PlJS6_EEE10hipError_tPvRmT3_T4_T5_T6_T7_T9_mT8_P12ihipStream_tbDpT10_ENKUlT_T0_E_clISt17integral_constantIbLb1EES1B_EEDaS16_S17_EUlS16_E_NS1_11comp_targetILNS1_3genE0ELNS1_11target_archE4294967295ELNS1_3gpuE0ELNS1_3repE0EEENS1_30default_config_static_selectorELNS0_4arch9wavefront6targetE1EEEvT1_
		.amdhsa_group_segment_fixed_size 0
		.amdhsa_private_segment_fixed_size 0
		.amdhsa_kernarg_size 160
		.amdhsa_user_sgpr_count 6
		.amdhsa_user_sgpr_private_segment_buffer 1
		.amdhsa_user_sgpr_dispatch_ptr 0
		.amdhsa_user_sgpr_queue_ptr 0
		.amdhsa_user_sgpr_kernarg_segment_ptr 1
		.amdhsa_user_sgpr_dispatch_id 0
		.amdhsa_user_sgpr_flat_scratch_init 0
		.amdhsa_user_sgpr_kernarg_preload_length 0
		.amdhsa_user_sgpr_kernarg_preload_offset 0
		.amdhsa_user_sgpr_private_segment_size 0
		.amdhsa_uses_dynamic_stack 0
		.amdhsa_system_sgpr_private_segment_wavefront_offset 0
		.amdhsa_system_sgpr_workgroup_id_x 1
		.amdhsa_system_sgpr_workgroup_id_y 0
		.amdhsa_system_sgpr_workgroup_id_z 0
		.amdhsa_system_sgpr_workgroup_info 0
		.amdhsa_system_vgpr_workitem_id 0
		.amdhsa_next_free_vgpr 1
		.amdhsa_next_free_sgpr 0
		.amdhsa_accum_offset 4
		.amdhsa_reserve_vcc 0
		.amdhsa_reserve_flat_scratch 0
		.amdhsa_float_round_mode_32 0
		.amdhsa_float_round_mode_16_64 0
		.amdhsa_float_denorm_mode_32 3
		.amdhsa_float_denorm_mode_16_64 3
		.amdhsa_dx10_clamp 1
		.amdhsa_ieee_mode 1
		.amdhsa_fp16_overflow 0
		.amdhsa_tg_split 0
		.amdhsa_exception_fp_ieee_invalid_op 0
		.amdhsa_exception_fp_denorm_src 0
		.amdhsa_exception_fp_ieee_div_zero 0
		.amdhsa_exception_fp_ieee_overflow 0
		.amdhsa_exception_fp_ieee_underflow 0
		.amdhsa_exception_fp_ieee_inexact 0
		.amdhsa_exception_int_div_zero 0
	.end_amdhsa_kernel
	.section	.text._ZN7rocprim17ROCPRIM_400000_NS6detail17trampoline_kernelINS0_14default_configENS1_25partition_config_selectorILNS1_17partition_subalgoE1EiNS0_10empty_typeEbEEZZNS1_14partition_implILS5_1ELb0ES3_jN6thrust23THRUST_200600_302600_NS6detail15normal_iteratorINSA_10device_ptrIiEEEEPS6_NSA_18transform_iteratorI7is_evenIiESF_NSA_11use_defaultESK_EENS0_5tupleIJNSA_16discard_iteratorISK_EESO_EEENSM_IJSG_SG_EEES6_PlJS6_EEE10hipError_tPvRmT3_T4_T5_T6_T7_T9_mT8_P12ihipStream_tbDpT10_ENKUlT_T0_E_clISt17integral_constantIbLb1EES1B_EEDaS16_S17_EUlS16_E_NS1_11comp_targetILNS1_3genE0ELNS1_11target_archE4294967295ELNS1_3gpuE0ELNS1_3repE0EEENS1_30default_config_static_selectorELNS0_4arch9wavefront6targetE1EEEvT1_,"axG",@progbits,_ZN7rocprim17ROCPRIM_400000_NS6detail17trampoline_kernelINS0_14default_configENS1_25partition_config_selectorILNS1_17partition_subalgoE1EiNS0_10empty_typeEbEEZZNS1_14partition_implILS5_1ELb0ES3_jN6thrust23THRUST_200600_302600_NS6detail15normal_iteratorINSA_10device_ptrIiEEEEPS6_NSA_18transform_iteratorI7is_evenIiESF_NSA_11use_defaultESK_EENS0_5tupleIJNSA_16discard_iteratorISK_EESO_EEENSM_IJSG_SG_EEES6_PlJS6_EEE10hipError_tPvRmT3_T4_T5_T6_T7_T9_mT8_P12ihipStream_tbDpT10_ENKUlT_T0_E_clISt17integral_constantIbLb1EES1B_EEDaS16_S17_EUlS16_E_NS1_11comp_targetILNS1_3genE0ELNS1_11target_archE4294967295ELNS1_3gpuE0ELNS1_3repE0EEENS1_30default_config_static_selectorELNS0_4arch9wavefront6targetE1EEEvT1_,comdat
.Lfunc_end3267:
	.size	_ZN7rocprim17ROCPRIM_400000_NS6detail17trampoline_kernelINS0_14default_configENS1_25partition_config_selectorILNS1_17partition_subalgoE1EiNS0_10empty_typeEbEEZZNS1_14partition_implILS5_1ELb0ES3_jN6thrust23THRUST_200600_302600_NS6detail15normal_iteratorINSA_10device_ptrIiEEEEPS6_NSA_18transform_iteratorI7is_evenIiESF_NSA_11use_defaultESK_EENS0_5tupleIJNSA_16discard_iteratorISK_EESO_EEENSM_IJSG_SG_EEES6_PlJS6_EEE10hipError_tPvRmT3_T4_T5_T6_T7_T9_mT8_P12ihipStream_tbDpT10_ENKUlT_T0_E_clISt17integral_constantIbLb1EES1B_EEDaS16_S17_EUlS16_E_NS1_11comp_targetILNS1_3genE0ELNS1_11target_archE4294967295ELNS1_3gpuE0ELNS1_3repE0EEENS1_30default_config_static_selectorELNS0_4arch9wavefront6targetE1EEEvT1_, .Lfunc_end3267-_ZN7rocprim17ROCPRIM_400000_NS6detail17trampoline_kernelINS0_14default_configENS1_25partition_config_selectorILNS1_17partition_subalgoE1EiNS0_10empty_typeEbEEZZNS1_14partition_implILS5_1ELb0ES3_jN6thrust23THRUST_200600_302600_NS6detail15normal_iteratorINSA_10device_ptrIiEEEEPS6_NSA_18transform_iteratorI7is_evenIiESF_NSA_11use_defaultESK_EENS0_5tupleIJNSA_16discard_iteratorISK_EESO_EEENSM_IJSG_SG_EEES6_PlJS6_EEE10hipError_tPvRmT3_T4_T5_T6_T7_T9_mT8_P12ihipStream_tbDpT10_ENKUlT_T0_E_clISt17integral_constantIbLb1EES1B_EEDaS16_S17_EUlS16_E_NS1_11comp_targetILNS1_3genE0ELNS1_11target_archE4294967295ELNS1_3gpuE0ELNS1_3repE0EEENS1_30default_config_static_selectorELNS0_4arch9wavefront6targetE1EEEvT1_
                                        ; -- End function
	.section	.AMDGPU.csdata,"",@progbits
; Kernel info:
; codeLenInByte = 0
; NumSgprs: 4
; NumVgprs: 0
; NumAgprs: 0
; TotalNumVgprs: 0
; ScratchSize: 0
; MemoryBound: 0
; FloatMode: 240
; IeeeMode: 1
; LDSByteSize: 0 bytes/workgroup (compile time only)
; SGPRBlocks: 0
; VGPRBlocks: 0
; NumSGPRsForWavesPerEU: 4
; NumVGPRsForWavesPerEU: 1
; AccumOffset: 4
; Occupancy: 8
; WaveLimiterHint : 0
; COMPUTE_PGM_RSRC2:SCRATCH_EN: 0
; COMPUTE_PGM_RSRC2:USER_SGPR: 6
; COMPUTE_PGM_RSRC2:TRAP_HANDLER: 0
; COMPUTE_PGM_RSRC2:TGID_X_EN: 1
; COMPUTE_PGM_RSRC2:TGID_Y_EN: 0
; COMPUTE_PGM_RSRC2:TGID_Z_EN: 0
; COMPUTE_PGM_RSRC2:TIDIG_COMP_CNT: 0
; COMPUTE_PGM_RSRC3_GFX90A:ACCUM_OFFSET: 0
; COMPUTE_PGM_RSRC3_GFX90A:TG_SPLIT: 0
	.section	.text._ZN7rocprim17ROCPRIM_400000_NS6detail17trampoline_kernelINS0_14default_configENS1_25partition_config_selectorILNS1_17partition_subalgoE1EiNS0_10empty_typeEbEEZZNS1_14partition_implILS5_1ELb0ES3_jN6thrust23THRUST_200600_302600_NS6detail15normal_iteratorINSA_10device_ptrIiEEEEPS6_NSA_18transform_iteratorI7is_evenIiESF_NSA_11use_defaultESK_EENS0_5tupleIJNSA_16discard_iteratorISK_EESO_EEENSM_IJSG_SG_EEES6_PlJS6_EEE10hipError_tPvRmT3_T4_T5_T6_T7_T9_mT8_P12ihipStream_tbDpT10_ENKUlT_T0_E_clISt17integral_constantIbLb1EES1B_EEDaS16_S17_EUlS16_E_NS1_11comp_targetILNS1_3genE5ELNS1_11target_archE942ELNS1_3gpuE9ELNS1_3repE0EEENS1_30default_config_static_selectorELNS0_4arch9wavefront6targetE1EEEvT1_,"axG",@progbits,_ZN7rocprim17ROCPRIM_400000_NS6detail17trampoline_kernelINS0_14default_configENS1_25partition_config_selectorILNS1_17partition_subalgoE1EiNS0_10empty_typeEbEEZZNS1_14partition_implILS5_1ELb0ES3_jN6thrust23THRUST_200600_302600_NS6detail15normal_iteratorINSA_10device_ptrIiEEEEPS6_NSA_18transform_iteratorI7is_evenIiESF_NSA_11use_defaultESK_EENS0_5tupleIJNSA_16discard_iteratorISK_EESO_EEENSM_IJSG_SG_EEES6_PlJS6_EEE10hipError_tPvRmT3_T4_T5_T6_T7_T9_mT8_P12ihipStream_tbDpT10_ENKUlT_T0_E_clISt17integral_constantIbLb1EES1B_EEDaS16_S17_EUlS16_E_NS1_11comp_targetILNS1_3genE5ELNS1_11target_archE942ELNS1_3gpuE9ELNS1_3repE0EEENS1_30default_config_static_selectorELNS0_4arch9wavefront6targetE1EEEvT1_,comdat
	.protected	_ZN7rocprim17ROCPRIM_400000_NS6detail17trampoline_kernelINS0_14default_configENS1_25partition_config_selectorILNS1_17partition_subalgoE1EiNS0_10empty_typeEbEEZZNS1_14partition_implILS5_1ELb0ES3_jN6thrust23THRUST_200600_302600_NS6detail15normal_iteratorINSA_10device_ptrIiEEEEPS6_NSA_18transform_iteratorI7is_evenIiESF_NSA_11use_defaultESK_EENS0_5tupleIJNSA_16discard_iteratorISK_EESO_EEENSM_IJSG_SG_EEES6_PlJS6_EEE10hipError_tPvRmT3_T4_T5_T6_T7_T9_mT8_P12ihipStream_tbDpT10_ENKUlT_T0_E_clISt17integral_constantIbLb1EES1B_EEDaS16_S17_EUlS16_E_NS1_11comp_targetILNS1_3genE5ELNS1_11target_archE942ELNS1_3gpuE9ELNS1_3repE0EEENS1_30default_config_static_selectorELNS0_4arch9wavefront6targetE1EEEvT1_ ; -- Begin function _ZN7rocprim17ROCPRIM_400000_NS6detail17trampoline_kernelINS0_14default_configENS1_25partition_config_selectorILNS1_17partition_subalgoE1EiNS0_10empty_typeEbEEZZNS1_14partition_implILS5_1ELb0ES3_jN6thrust23THRUST_200600_302600_NS6detail15normal_iteratorINSA_10device_ptrIiEEEEPS6_NSA_18transform_iteratorI7is_evenIiESF_NSA_11use_defaultESK_EENS0_5tupleIJNSA_16discard_iteratorISK_EESO_EEENSM_IJSG_SG_EEES6_PlJS6_EEE10hipError_tPvRmT3_T4_T5_T6_T7_T9_mT8_P12ihipStream_tbDpT10_ENKUlT_T0_E_clISt17integral_constantIbLb1EES1B_EEDaS16_S17_EUlS16_E_NS1_11comp_targetILNS1_3genE5ELNS1_11target_archE942ELNS1_3gpuE9ELNS1_3repE0EEENS1_30default_config_static_selectorELNS0_4arch9wavefront6targetE1EEEvT1_
	.globl	_ZN7rocprim17ROCPRIM_400000_NS6detail17trampoline_kernelINS0_14default_configENS1_25partition_config_selectorILNS1_17partition_subalgoE1EiNS0_10empty_typeEbEEZZNS1_14partition_implILS5_1ELb0ES3_jN6thrust23THRUST_200600_302600_NS6detail15normal_iteratorINSA_10device_ptrIiEEEEPS6_NSA_18transform_iteratorI7is_evenIiESF_NSA_11use_defaultESK_EENS0_5tupleIJNSA_16discard_iteratorISK_EESO_EEENSM_IJSG_SG_EEES6_PlJS6_EEE10hipError_tPvRmT3_T4_T5_T6_T7_T9_mT8_P12ihipStream_tbDpT10_ENKUlT_T0_E_clISt17integral_constantIbLb1EES1B_EEDaS16_S17_EUlS16_E_NS1_11comp_targetILNS1_3genE5ELNS1_11target_archE942ELNS1_3gpuE9ELNS1_3repE0EEENS1_30default_config_static_selectorELNS0_4arch9wavefront6targetE1EEEvT1_
	.p2align	8
	.type	_ZN7rocprim17ROCPRIM_400000_NS6detail17trampoline_kernelINS0_14default_configENS1_25partition_config_selectorILNS1_17partition_subalgoE1EiNS0_10empty_typeEbEEZZNS1_14partition_implILS5_1ELb0ES3_jN6thrust23THRUST_200600_302600_NS6detail15normal_iteratorINSA_10device_ptrIiEEEEPS6_NSA_18transform_iteratorI7is_evenIiESF_NSA_11use_defaultESK_EENS0_5tupleIJNSA_16discard_iteratorISK_EESO_EEENSM_IJSG_SG_EEES6_PlJS6_EEE10hipError_tPvRmT3_T4_T5_T6_T7_T9_mT8_P12ihipStream_tbDpT10_ENKUlT_T0_E_clISt17integral_constantIbLb1EES1B_EEDaS16_S17_EUlS16_E_NS1_11comp_targetILNS1_3genE5ELNS1_11target_archE942ELNS1_3gpuE9ELNS1_3repE0EEENS1_30default_config_static_selectorELNS0_4arch9wavefront6targetE1EEEvT1_,@function
_ZN7rocprim17ROCPRIM_400000_NS6detail17trampoline_kernelINS0_14default_configENS1_25partition_config_selectorILNS1_17partition_subalgoE1EiNS0_10empty_typeEbEEZZNS1_14partition_implILS5_1ELb0ES3_jN6thrust23THRUST_200600_302600_NS6detail15normal_iteratorINSA_10device_ptrIiEEEEPS6_NSA_18transform_iteratorI7is_evenIiESF_NSA_11use_defaultESK_EENS0_5tupleIJNSA_16discard_iteratorISK_EESO_EEENSM_IJSG_SG_EEES6_PlJS6_EEE10hipError_tPvRmT3_T4_T5_T6_T7_T9_mT8_P12ihipStream_tbDpT10_ENKUlT_T0_E_clISt17integral_constantIbLb1EES1B_EEDaS16_S17_EUlS16_E_NS1_11comp_targetILNS1_3genE5ELNS1_11target_archE942ELNS1_3gpuE9ELNS1_3repE0EEENS1_30default_config_static_selectorELNS0_4arch9wavefront6targetE1EEEvT1_: ; @_ZN7rocprim17ROCPRIM_400000_NS6detail17trampoline_kernelINS0_14default_configENS1_25partition_config_selectorILNS1_17partition_subalgoE1EiNS0_10empty_typeEbEEZZNS1_14partition_implILS5_1ELb0ES3_jN6thrust23THRUST_200600_302600_NS6detail15normal_iteratorINSA_10device_ptrIiEEEEPS6_NSA_18transform_iteratorI7is_evenIiESF_NSA_11use_defaultESK_EENS0_5tupleIJNSA_16discard_iteratorISK_EESO_EEENSM_IJSG_SG_EEES6_PlJS6_EEE10hipError_tPvRmT3_T4_T5_T6_T7_T9_mT8_P12ihipStream_tbDpT10_ENKUlT_T0_E_clISt17integral_constantIbLb1EES1B_EEDaS16_S17_EUlS16_E_NS1_11comp_targetILNS1_3genE5ELNS1_11target_archE942ELNS1_3gpuE9ELNS1_3repE0EEENS1_30default_config_static_selectorELNS0_4arch9wavefront6targetE1EEEvT1_
; %bb.0:
	.section	.rodata,"a",@progbits
	.p2align	6, 0x0
	.amdhsa_kernel _ZN7rocprim17ROCPRIM_400000_NS6detail17trampoline_kernelINS0_14default_configENS1_25partition_config_selectorILNS1_17partition_subalgoE1EiNS0_10empty_typeEbEEZZNS1_14partition_implILS5_1ELb0ES3_jN6thrust23THRUST_200600_302600_NS6detail15normal_iteratorINSA_10device_ptrIiEEEEPS6_NSA_18transform_iteratorI7is_evenIiESF_NSA_11use_defaultESK_EENS0_5tupleIJNSA_16discard_iteratorISK_EESO_EEENSM_IJSG_SG_EEES6_PlJS6_EEE10hipError_tPvRmT3_T4_T5_T6_T7_T9_mT8_P12ihipStream_tbDpT10_ENKUlT_T0_E_clISt17integral_constantIbLb1EES1B_EEDaS16_S17_EUlS16_E_NS1_11comp_targetILNS1_3genE5ELNS1_11target_archE942ELNS1_3gpuE9ELNS1_3repE0EEENS1_30default_config_static_selectorELNS0_4arch9wavefront6targetE1EEEvT1_
		.amdhsa_group_segment_fixed_size 0
		.amdhsa_private_segment_fixed_size 0
		.amdhsa_kernarg_size 160
		.amdhsa_user_sgpr_count 6
		.amdhsa_user_sgpr_private_segment_buffer 1
		.amdhsa_user_sgpr_dispatch_ptr 0
		.amdhsa_user_sgpr_queue_ptr 0
		.amdhsa_user_sgpr_kernarg_segment_ptr 1
		.amdhsa_user_sgpr_dispatch_id 0
		.amdhsa_user_sgpr_flat_scratch_init 0
		.amdhsa_user_sgpr_kernarg_preload_length 0
		.amdhsa_user_sgpr_kernarg_preload_offset 0
		.amdhsa_user_sgpr_private_segment_size 0
		.amdhsa_uses_dynamic_stack 0
		.amdhsa_system_sgpr_private_segment_wavefront_offset 0
		.amdhsa_system_sgpr_workgroup_id_x 1
		.amdhsa_system_sgpr_workgroup_id_y 0
		.amdhsa_system_sgpr_workgroup_id_z 0
		.amdhsa_system_sgpr_workgroup_info 0
		.amdhsa_system_vgpr_workitem_id 0
		.amdhsa_next_free_vgpr 1
		.amdhsa_next_free_sgpr 0
		.amdhsa_accum_offset 4
		.amdhsa_reserve_vcc 0
		.amdhsa_reserve_flat_scratch 0
		.amdhsa_float_round_mode_32 0
		.amdhsa_float_round_mode_16_64 0
		.amdhsa_float_denorm_mode_32 3
		.amdhsa_float_denorm_mode_16_64 3
		.amdhsa_dx10_clamp 1
		.amdhsa_ieee_mode 1
		.amdhsa_fp16_overflow 0
		.amdhsa_tg_split 0
		.amdhsa_exception_fp_ieee_invalid_op 0
		.amdhsa_exception_fp_denorm_src 0
		.amdhsa_exception_fp_ieee_div_zero 0
		.amdhsa_exception_fp_ieee_overflow 0
		.amdhsa_exception_fp_ieee_underflow 0
		.amdhsa_exception_fp_ieee_inexact 0
		.amdhsa_exception_int_div_zero 0
	.end_amdhsa_kernel
	.section	.text._ZN7rocprim17ROCPRIM_400000_NS6detail17trampoline_kernelINS0_14default_configENS1_25partition_config_selectorILNS1_17partition_subalgoE1EiNS0_10empty_typeEbEEZZNS1_14partition_implILS5_1ELb0ES3_jN6thrust23THRUST_200600_302600_NS6detail15normal_iteratorINSA_10device_ptrIiEEEEPS6_NSA_18transform_iteratorI7is_evenIiESF_NSA_11use_defaultESK_EENS0_5tupleIJNSA_16discard_iteratorISK_EESO_EEENSM_IJSG_SG_EEES6_PlJS6_EEE10hipError_tPvRmT3_T4_T5_T6_T7_T9_mT8_P12ihipStream_tbDpT10_ENKUlT_T0_E_clISt17integral_constantIbLb1EES1B_EEDaS16_S17_EUlS16_E_NS1_11comp_targetILNS1_3genE5ELNS1_11target_archE942ELNS1_3gpuE9ELNS1_3repE0EEENS1_30default_config_static_selectorELNS0_4arch9wavefront6targetE1EEEvT1_,"axG",@progbits,_ZN7rocprim17ROCPRIM_400000_NS6detail17trampoline_kernelINS0_14default_configENS1_25partition_config_selectorILNS1_17partition_subalgoE1EiNS0_10empty_typeEbEEZZNS1_14partition_implILS5_1ELb0ES3_jN6thrust23THRUST_200600_302600_NS6detail15normal_iteratorINSA_10device_ptrIiEEEEPS6_NSA_18transform_iteratorI7is_evenIiESF_NSA_11use_defaultESK_EENS0_5tupleIJNSA_16discard_iteratorISK_EESO_EEENSM_IJSG_SG_EEES6_PlJS6_EEE10hipError_tPvRmT3_T4_T5_T6_T7_T9_mT8_P12ihipStream_tbDpT10_ENKUlT_T0_E_clISt17integral_constantIbLb1EES1B_EEDaS16_S17_EUlS16_E_NS1_11comp_targetILNS1_3genE5ELNS1_11target_archE942ELNS1_3gpuE9ELNS1_3repE0EEENS1_30default_config_static_selectorELNS0_4arch9wavefront6targetE1EEEvT1_,comdat
.Lfunc_end3268:
	.size	_ZN7rocprim17ROCPRIM_400000_NS6detail17trampoline_kernelINS0_14default_configENS1_25partition_config_selectorILNS1_17partition_subalgoE1EiNS0_10empty_typeEbEEZZNS1_14partition_implILS5_1ELb0ES3_jN6thrust23THRUST_200600_302600_NS6detail15normal_iteratorINSA_10device_ptrIiEEEEPS6_NSA_18transform_iteratorI7is_evenIiESF_NSA_11use_defaultESK_EENS0_5tupleIJNSA_16discard_iteratorISK_EESO_EEENSM_IJSG_SG_EEES6_PlJS6_EEE10hipError_tPvRmT3_T4_T5_T6_T7_T9_mT8_P12ihipStream_tbDpT10_ENKUlT_T0_E_clISt17integral_constantIbLb1EES1B_EEDaS16_S17_EUlS16_E_NS1_11comp_targetILNS1_3genE5ELNS1_11target_archE942ELNS1_3gpuE9ELNS1_3repE0EEENS1_30default_config_static_selectorELNS0_4arch9wavefront6targetE1EEEvT1_, .Lfunc_end3268-_ZN7rocprim17ROCPRIM_400000_NS6detail17trampoline_kernelINS0_14default_configENS1_25partition_config_selectorILNS1_17partition_subalgoE1EiNS0_10empty_typeEbEEZZNS1_14partition_implILS5_1ELb0ES3_jN6thrust23THRUST_200600_302600_NS6detail15normal_iteratorINSA_10device_ptrIiEEEEPS6_NSA_18transform_iteratorI7is_evenIiESF_NSA_11use_defaultESK_EENS0_5tupleIJNSA_16discard_iteratorISK_EESO_EEENSM_IJSG_SG_EEES6_PlJS6_EEE10hipError_tPvRmT3_T4_T5_T6_T7_T9_mT8_P12ihipStream_tbDpT10_ENKUlT_T0_E_clISt17integral_constantIbLb1EES1B_EEDaS16_S17_EUlS16_E_NS1_11comp_targetILNS1_3genE5ELNS1_11target_archE942ELNS1_3gpuE9ELNS1_3repE0EEENS1_30default_config_static_selectorELNS0_4arch9wavefront6targetE1EEEvT1_
                                        ; -- End function
	.section	.AMDGPU.csdata,"",@progbits
; Kernel info:
; codeLenInByte = 0
; NumSgprs: 4
; NumVgprs: 0
; NumAgprs: 0
; TotalNumVgprs: 0
; ScratchSize: 0
; MemoryBound: 0
; FloatMode: 240
; IeeeMode: 1
; LDSByteSize: 0 bytes/workgroup (compile time only)
; SGPRBlocks: 0
; VGPRBlocks: 0
; NumSGPRsForWavesPerEU: 4
; NumVGPRsForWavesPerEU: 1
; AccumOffset: 4
; Occupancy: 8
; WaveLimiterHint : 0
; COMPUTE_PGM_RSRC2:SCRATCH_EN: 0
; COMPUTE_PGM_RSRC2:USER_SGPR: 6
; COMPUTE_PGM_RSRC2:TRAP_HANDLER: 0
; COMPUTE_PGM_RSRC2:TGID_X_EN: 1
; COMPUTE_PGM_RSRC2:TGID_Y_EN: 0
; COMPUTE_PGM_RSRC2:TGID_Z_EN: 0
; COMPUTE_PGM_RSRC2:TIDIG_COMP_CNT: 0
; COMPUTE_PGM_RSRC3_GFX90A:ACCUM_OFFSET: 0
; COMPUTE_PGM_RSRC3_GFX90A:TG_SPLIT: 0
	.section	.text._ZN7rocprim17ROCPRIM_400000_NS6detail17trampoline_kernelINS0_14default_configENS1_25partition_config_selectorILNS1_17partition_subalgoE1EiNS0_10empty_typeEbEEZZNS1_14partition_implILS5_1ELb0ES3_jN6thrust23THRUST_200600_302600_NS6detail15normal_iteratorINSA_10device_ptrIiEEEEPS6_NSA_18transform_iteratorI7is_evenIiESF_NSA_11use_defaultESK_EENS0_5tupleIJNSA_16discard_iteratorISK_EESO_EEENSM_IJSG_SG_EEES6_PlJS6_EEE10hipError_tPvRmT3_T4_T5_T6_T7_T9_mT8_P12ihipStream_tbDpT10_ENKUlT_T0_E_clISt17integral_constantIbLb1EES1B_EEDaS16_S17_EUlS16_E_NS1_11comp_targetILNS1_3genE4ELNS1_11target_archE910ELNS1_3gpuE8ELNS1_3repE0EEENS1_30default_config_static_selectorELNS0_4arch9wavefront6targetE1EEEvT1_,"axG",@progbits,_ZN7rocprim17ROCPRIM_400000_NS6detail17trampoline_kernelINS0_14default_configENS1_25partition_config_selectorILNS1_17partition_subalgoE1EiNS0_10empty_typeEbEEZZNS1_14partition_implILS5_1ELb0ES3_jN6thrust23THRUST_200600_302600_NS6detail15normal_iteratorINSA_10device_ptrIiEEEEPS6_NSA_18transform_iteratorI7is_evenIiESF_NSA_11use_defaultESK_EENS0_5tupleIJNSA_16discard_iteratorISK_EESO_EEENSM_IJSG_SG_EEES6_PlJS6_EEE10hipError_tPvRmT3_T4_T5_T6_T7_T9_mT8_P12ihipStream_tbDpT10_ENKUlT_T0_E_clISt17integral_constantIbLb1EES1B_EEDaS16_S17_EUlS16_E_NS1_11comp_targetILNS1_3genE4ELNS1_11target_archE910ELNS1_3gpuE8ELNS1_3repE0EEENS1_30default_config_static_selectorELNS0_4arch9wavefront6targetE1EEEvT1_,comdat
	.protected	_ZN7rocprim17ROCPRIM_400000_NS6detail17trampoline_kernelINS0_14default_configENS1_25partition_config_selectorILNS1_17partition_subalgoE1EiNS0_10empty_typeEbEEZZNS1_14partition_implILS5_1ELb0ES3_jN6thrust23THRUST_200600_302600_NS6detail15normal_iteratorINSA_10device_ptrIiEEEEPS6_NSA_18transform_iteratorI7is_evenIiESF_NSA_11use_defaultESK_EENS0_5tupleIJNSA_16discard_iteratorISK_EESO_EEENSM_IJSG_SG_EEES6_PlJS6_EEE10hipError_tPvRmT3_T4_T5_T6_T7_T9_mT8_P12ihipStream_tbDpT10_ENKUlT_T0_E_clISt17integral_constantIbLb1EES1B_EEDaS16_S17_EUlS16_E_NS1_11comp_targetILNS1_3genE4ELNS1_11target_archE910ELNS1_3gpuE8ELNS1_3repE0EEENS1_30default_config_static_selectorELNS0_4arch9wavefront6targetE1EEEvT1_ ; -- Begin function _ZN7rocprim17ROCPRIM_400000_NS6detail17trampoline_kernelINS0_14default_configENS1_25partition_config_selectorILNS1_17partition_subalgoE1EiNS0_10empty_typeEbEEZZNS1_14partition_implILS5_1ELb0ES3_jN6thrust23THRUST_200600_302600_NS6detail15normal_iteratorINSA_10device_ptrIiEEEEPS6_NSA_18transform_iteratorI7is_evenIiESF_NSA_11use_defaultESK_EENS0_5tupleIJNSA_16discard_iteratorISK_EESO_EEENSM_IJSG_SG_EEES6_PlJS6_EEE10hipError_tPvRmT3_T4_T5_T6_T7_T9_mT8_P12ihipStream_tbDpT10_ENKUlT_T0_E_clISt17integral_constantIbLb1EES1B_EEDaS16_S17_EUlS16_E_NS1_11comp_targetILNS1_3genE4ELNS1_11target_archE910ELNS1_3gpuE8ELNS1_3repE0EEENS1_30default_config_static_selectorELNS0_4arch9wavefront6targetE1EEEvT1_
	.globl	_ZN7rocprim17ROCPRIM_400000_NS6detail17trampoline_kernelINS0_14default_configENS1_25partition_config_selectorILNS1_17partition_subalgoE1EiNS0_10empty_typeEbEEZZNS1_14partition_implILS5_1ELb0ES3_jN6thrust23THRUST_200600_302600_NS6detail15normal_iteratorINSA_10device_ptrIiEEEEPS6_NSA_18transform_iteratorI7is_evenIiESF_NSA_11use_defaultESK_EENS0_5tupleIJNSA_16discard_iteratorISK_EESO_EEENSM_IJSG_SG_EEES6_PlJS6_EEE10hipError_tPvRmT3_T4_T5_T6_T7_T9_mT8_P12ihipStream_tbDpT10_ENKUlT_T0_E_clISt17integral_constantIbLb1EES1B_EEDaS16_S17_EUlS16_E_NS1_11comp_targetILNS1_3genE4ELNS1_11target_archE910ELNS1_3gpuE8ELNS1_3repE0EEENS1_30default_config_static_selectorELNS0_4arch9wavefront6targetE1EEEvT1_
	.p2align	8
	.type	_ZN7rocprim17ROCPRIM_400000_NS6detail17trampoline_kernelINS0_14default_configENS1_25partition_config_selectorILNS1_17partition_subalgoE1EiNS0_10empty_typeEbEEZZNS1_14partition_implILS5_1ELb0ES3_jN6thrust23THRUST_200600_302600_NS6detail15normal_iteratorINSA_10device_ptrIiEEEEPS6_NSA_18transform_iteratorI7is_evenIiESF_NSA_11use_defaultESK_EENS0_5tupleIJNSA_16discard_iteratorISK_EESO_EEENSM_IJSG_SG_EEES6_PlJS6_EEE10hipError_tPvRmT3_T4_T5_T6_T7_T9_mT8_P12ihipStream_tbDpT10_ENKUlT_T0_E_clISt17integral_constantIbLb1EES1B_EEDaS16_S17_EUlS16_E_NS1_11comp_targetILNS1_3genE4ELNS1_11target_archE910ELNS1_3gpuE8ELNS1_3repE0EEENS1_30default_config_static_selectorELNS0_4arch9wavefront6targetE1EEEvT1_,@function
_ZN7rocprim17ROCPRIM_400000_NS6detail17trampoline_kernelINS0_14default_configENS1_25partition_config_selectorILNS1_17partition_subalgoE1EiNS0_10empty_typeEbEEZZNS1_14partition_implILS5_1ELb0ES3_jN6thrust23THRUST_200600_302600_NS6detail15normal_iteratorINSA_10device_ptrIiEEEEPS6_NSA_18transform_iteratorI7is_evenIiESF_NSA_11use_defaultESK_EENS0_5tupleIJNSA_16discard_iteratorISK_EESO_EEENSM_IJSG_SG_EEES6_PlJS6_EEE10hipError_tPvRmT3_T4_T5_T6_T7_T9_mT8_P12ihipStream_tbDpT10_ENKUlT_T0_E_clISt17integral_constantIbLb1EES1B_EEDaS16_S17_EUlS16_E_NS1_11comp_targetILNS1_3genE4ELNS1_11target_archE910ELNS1_3gpuE8ELNS1_3repE0EEENS1_30default_config_static_selectorELNS0_4arch9wavefront6targetE1EEEvT1_: ; @_ZN7rocprim17ROCPRIM_400000_NS6detail17trampoline_kernelINS0_14default_configENS1_25partition_config_selectorILNS1_17partition_subalgoE1EiNS0_10empty_typeEbEEZZNS1_14partition_implILS5_1ELb0ES3_jN6thrust23THRUST_200600_302600_NS6detail15normal_iteratorINSA_10device_ptrIiEEEEPS6_NSA_18transform_iteratorI7is_evenIiESF_NSA_11use_defaultESK_EENS0_5tupleIJNSA_16discard_iteratorISK_EESO_EEENSM_IJSG_SG_EEES6_PlJS6_EEE10hipError_tPvRmT3_T4_T5_T6_T7_T9_mT8_P12ihipStream_tbDpT10_ENKUlT_T0_E_clISt17integral_constantIbLb1EES1B_EEDaS16_S17_EUlS16_E_NS1_11comp_targetILNS1_3genE4ELNS1_11target_archE910ELNS1_3gpuE8ELNS1_3repE0EEENS1_30default_config_static_selectorELNS0_4arch9wavefront6targetE1EEEvT1_
; %bb.0:
	s_load_dwordx2 s[6:7], s[4:5], 0x20
	s_load_dwordx4 s[20:23], s[4:5], 0x60
	s_load_dwordx2 s[2:3], s[4:5], 0x70
	s_load_dwordx2 s[24:25], s[4:5], 0x80
	v_cmp_eq_u32_e64 s[0:1], 0, v0
	s_and_saveexec_b64 s[8:9], s[0:1]
	s_cbranch_execz .LBB3269_4
; %bb.1:
	s_mov_b64 s[12:13], exec
	v_mbcnt_lo_u32_b32 v1, s12, 0
	v_mbcnt_hi_u32_b32 v1, s13, v1
	v_cmp_eq_u32_e32 vcc, 0, v1
                                        ; implicit-def: $vgpr2
	s_and_saveexec_b64 s[10:11], vcc
	s_cbranch_execz .LBB3269_3
; %bb.2:
	s_load_dwordx2 s[14:15], s[4:5], 0x90
	s_bcnt1_i32_b64 s12, s[12:13]
	v_mov_b32_e32 v2, 0
	v_mov_b32_e32 v3, s12
	s_waitcnt lgkmcnt(0)
	global_atomic_add v2, v2, v3, s[14:15] glc
.LBB3269_3:
	s_or_b64 exec, exec, s[10:11]
	s_waitcnt vmcnt(0)
	v_readfirstlane_b32 s10, v2
	v_add_u32_e32 v1, s10, v1
	v_mov_b32_e32 v2, 0
	ds_write_b32 v2, v1
.LBB3269_4:
	s_or_b64 exec, exec, s[8:9]
	v_mov_b32_e32 v1, 0
	s_load_dwordx4 s[8:11], s[4:5], 0x8
	s_load_dword s12, s[4:5], 0x88
	s_waitcnt lgkmcnt(0)
	s_barrier
	ds_read_b32 v4, v1
	s_waitcnt lgkmcnt(0)
	s_barrier
	global_load_dwordx2 v[10:11], v1, s[22:23]
	s_lshl_b64 s[4:5], s[10:11], 2
	v_mov_b32_e32 v3, s3
	s_add_u32 s13, s8, s4
	s_mul_i32 s3, s12, 0x700
	s_addc_u32 s22, s9, s5
	s_add_i32 s9, s3, s10
	s_sub_i32 s14, s2, s9
	s_add_i32 s8, s12, -1
	s_addk_i32 s14, 0x700
	v_mov_b32_e32 v2, s2
	s_add_u32 s2, s10, s3
	v_readfirstlane_b32 s30, v4
	s_addc_u32 s3, s11, 0
	s_cmp_eq_u32 s30, s8
	s_cselect_b64 s[18:19], -1, 0
	s_cmp_lg_u32 s30, s8
	s_mul_i32 s16, s30, 0x700
	s_mov_b32 s17, 0
	v_cmp_lt_u64_e32 vcc, s[2:3], v[2:3]
	s_cselect_b64 s[2:3], -1, 0
	s_or_b64 s[8:9], vcc, s[2:3]
	s_lshl_b64 s[10:11], s[16:17], 2
	s_add_u32 s15, s13, s10
	s_addc_u32 s16, s22, s11
	s_mov_b64 s[2:3], -1
	s_and_b64 vcc, exec, s[8:9]
	s_cbranch_vccz .LBB3269_6
; %bb.5:
	v_lshlrev_b32_e32 v1, 2, v0
	v_mov_b32_e32 v3, s16
	v_add_co_u32_e32 v2, vcc, s15, v1
	v_addc_co_u32_e32 v3, vcc, 0, v3, vcc
	v_add_co_u32_e32 v4, vcc, 0x1000, v2
	v_addc_co_u32_e32 v5, vcc, 0, v3, vcc
	flat_load_dword v6, v[2:3]
	flat_load_dword v7, v[2:3] offset:1024
	flat_load_dword v8, v[2:3] offset:2048
	;; [unrolled: 1-line block ×3, first 2 shown]
	flat_load_dword v12, v[4:5]
	flat_load_dword v13, v[4:5] offset:1024
	flat_load_dword v14, v[4:5] offset:2048
	s_mov_b64 s[2:3], 0
	s_waitcnt vmcnt(0) lgkmcnt(0)
	ds_write2st64_b32 v1, v6, v7 offset1:4
	ds_write2st64_b32 v1, v8, v9 offset0:8 offset1:12
	ds_write2st64_b32 v1, v12, v13 offset0:16 offset1:20
	ds_write_b32 v1, v14 offset:6144
	s_waitcnt lgkmcnt(0)
	s_barrier
.LBB3269_6:
	s_andn2_b64 vcc, exec, s[2:3]
	v_cmp_gt_u32_e64 s[2:3], s14, v0
	s_cbranch_vccnz .LBB3269_22
; %bb.7:
                                        ; implicit-def: $vgpr2_vgpr3_vgpr4_vgpr5_vgpr6_vgpr7_vgpr8
	s_and_saveexec_b64 s[12:13], s[2:3]
	s_cbranch_execz .LBB3269_9
; %bb.8:
	v_lshlrev_b32_e32 v1, 2, v0
	v_mov_b32_e32 v3, s16
	v_add_co_u32_e32 v2, vcc, s15, v1
	v_addc_co_u32_e32 v3, vcc, 0, v3, vcc
	flat_load_dword v2, v[2:3]
.LBB3269_9:
	s_or_b64 exec, exec, s[12:13]
	v_or_b32_e32 v1, 0x100, v0
	v_cmp_gt_u32_e32 vcc, s14, v1
	s_and_saveexec_b64 s[2:3], vcc
	s_cbranch_execz .LBB3269_11
; %bb.10:
	v_lshlrev_b32_e32 v1, 2, v0
	v_mov_b32_e32 v3, s16
	v_add_co_u32_e32 v12, vcc, s15, v1
	v_addc_co_u32_e32 v13, vcc, 0, v3, vcc
	flat_load_dword v3, v[12:13] offset:1024
.LBB3269_11:
	s_or_b64 exec, exec, s[2:3]
	v_or_b32_e32 v1, 0x200, v0
	v_cmp_gt_u32_e32 vcc, s14, v1
	s_and_saveexec_b64 s[2:3], vcc
	s_cbranch_execz .LBB3269_13
; %bb.12:
	v_lshlrev_b32_e32 v1, 2, v0
	v_mov_b32_e32 v4, s16
	v_add_co_u32_e32 v12, vcc, s15, v1
	v_addc_co_u32_e32 v13, vcc, 0, v4, vcc
	flat_load_dword v4, v[12:13] offset:2048
.LBB3269_13:
	;; [unrolled: 12-line block ×3, first 2 shown]
	s_or_b64 exec, exec, s[2:3]
	v_or_b32_e32 v1, 0x400, v0
	v_cmp_gt_u32_e32 vcc, s14, v1
	s_and_saveexec_b64 s[2:3], vcc
	s_cbranch_execz .LBB3269_17
; %bb.16:
	v_lshlrev_b32_e32 v1, 2, v1
	v_mov_b32_e32 v6, s16
	v_add_co_u32_e32 v12, vcc, s15, v1
	v_addc_co_u32_e32 v13, vcc, 0, v6, vcc
	flat_load_dword v6, v[12:13]
.LBB3269_17:
	s_or_b64 exec, exec, s[2:3]
	v_or_b32_e32 v1, 0x500, v0
	v_cmp_gt_u32_e32 vcc, s14, v1
	s_and_saveexec_b64 s[2:3], vcc
	s_cbranch_execz .LBB3269_19
; %bb.18:
	v_lshlrev_b32_e32 v1, 2, v1
	v_mov_b32_e32 v7, s16
	v_add_co_u32_e32 v12, vcc, s15, v1
	v_addc_co_u32_e32 v13, vcc, 0, v7, vcc
	flat_load_dword v7, v[12:13]
.LBB3269_19:
	;; [unrolled: 12-line block ×3, first 2 shown]
	s_or_b64 exec, exec, s[2:3]
	v_lshlrev_b32_e32 v1, 2, v0
	s_waitcnt vmcnt(0) lgkmcnt(0)
	ds_write2st64_b32 v1, v2, v3 offset1:4
	ds_write2st64_b32 v1, v4, v5 offset0:8 offset1:12
	ds_write2st64_b32 v1, v6, v7 offset0:16 offset1:20
	ds_write_b32 v1, v8 offset:6144
	s_waitcnt lgkmcnt(0)
	s_barrier
.LBB3269_22:
	v_mul_u32_u24_e32 v20, 7, v0
	v_lshlrev_b32_e32 v8, 2, v20
	ds_read2_b32 v[6:7], v8 offset1:1
	ds_read2_b32 v[4:5], v8 offset0:2 offset1:3
	ds_read2_b32 v[2:3], v8 offset0:4 offset1:5
	ds_read_b32 v1, v8 offset:24
	s_add_u32 s2, s6, s4
	s_addc_u32 s3, s7, s5
	s_add_u32 s2, s2, s10
	s_addc_u32 s3, s3, s11
	s_mov_b64 s[4:5], -1
	s_and_b64 vcc, exec, s[8:9]
	s_waitcnt lgkmcnt(0)
	s_barrier
	s_cbranch_vccz .LBB3269_24
; %bb.23:
	v_lshlrev_b32_e32 v9, 2, v0
	v_mov_b32_e32 v12, s3
	v_add_co_u32_e32 v13, vcc, s2, v9
	v_addc_co_u32_e32 v14, vcc, 0, v12, vcc
	s_movk_i32 s4, 0x1000
	v_add_co_u32_e32 v12, vcc, s4, v13
	v_addc_co_u32_e32 v13, vcc, 0, v14, vcc
	global_load_dword v15, v9, s[2:3]
	global_load_dword v16, v9, s[2:3] offset:1024
	global_load_dword v17, v9, s[2:3] offset:2048
	;; [unrolled: 1-line block ×3, first 2 shown]
	s_nop 0
	global_load_dword v9, v[12:13], off
	global_load_dword v14, v[12:13], off offset:1024
	global_load_dword v19, v[12:13], off offset:2048
	s_mov_b64 s[4:5], 0
	s_waitcnt vmcnt(6)
	v_xor_b32_e32 v12, -1, v15
	s_waitcnt vmcnt(5)
	v_xor_b32_e32 v13, -1, v16
	;; [unrolled: 2-line block ×3, first 2 shown]
	v_xor_b32_e32 v15, -1, v17
	v_xor_b32_e32 v16, -1, v18
	v_and_b32_e32 v12, 1, v12
	v_and_b32_e32 v13, 1, v13
	s_waitcnt vmcnt(1)
	v_xor_b32_e32 v14, -1, v14
	s_waitcnt vmcnt(0)
	v_xor_b32_e32 v17, -1, v19
	v_and_b32_e32 v9, 1, v9
	v_and_b32_e32 v15, 1, v15
	;; [unrolled: 1-line block ×3, first 2 shown]
	ds_write_b8 v0, v12
	ds_write_b8 v0, v13 offset:256
	ds_write_b8 v0, v15 offset:512
	;; [unrolled: 1-line block ×3, first 2 shown]
	v_and_b32_e32 v12, 1, v14
	v_and_b32_e32 v13, 1, v17
	ds_write_b8 v0, v9 offset:1024
	ds_write_b8 v0, v12 offset:1280
	;; [unrolled: 1-line block ×3, first 2 shown]
	s_waitcnt lgkmcnt(0)
	s_barrier
.LBB3269_24:
	s_andn2_b64 vcc, exec, s[4:5]
	s_cbranch_vccnz .LBB3269_40
; %bb.25:
	v_cmp_gt_u32_e32 vcc, s14, v0
	v_mov_b32_e32 v9, 0
	v_mov_b32_e32 v12, 0
	s_and_saveexec_b64 s[4:5], vcc
	s_cbranch_execz .LBB3269_27
; %bb.26:
	v_lshlrev_b32_e32 v12, 2, v0
	global_load_dword v12, v12, s[2:3]
	s_waitcnt vmcnt(0)
	v_xor_b32_e32 v12, -1, v12
	v_and_b32_e32 v12, 1, v12
.LBB3269_27:
	s_or_b64 exec, exec, s[4:5]
	v_or_b32_e32 v13, 0x100, v0
	v_cmp_gt_u32_e32 vcc, s14, v13
	s_and_saveexec_b64 s[4:5], vcc
	s_cbranch_execz .LBB3269_29
; %bb.28:
	v_lshlrev_b32_e32 v9, 2, v0
	global_load_dword v9, v9, s[2:3] offset:1024
	s_waitcnt vmcnt(0)
	v_xor_b32_e32 v9, -1, v9
	v_and_b32_e32 v9, 1, v9
.LBB3269_29:
	s_or_b64 exec, exec, s[4:5]
	v_or_b32_e32 v13, 0x200, v0
	v_cmp_gt_u32_e32 vcc, s14, v13
	v_mov_b32_e32 v13, 0
	v_mov_b32_e32 v14, 0
	s_and_saveexec_b64 s[4:5], vcc
	s_cbranch_execz .LBB3269_31
; %bb.30:
	v_lshlrev_b32_e32 v14, 2, v0
	global_load_dword v14, v14, s[2:3] offset:2048
	s_waitcnt vmcnt(0)
	v_xor_b32_e32 v14, -1, v14
	v_and_b32_e32 v14, 1, v14
.LBB3269_31:
	s_or_b64 exec, exec, s[4:5]
	v_or_b32_e32 v15, 0x300, v0
	v_cmp_gt_u32_e32 vcc, s14, v15
	s_and_saveexec_b64 s[4:5], vcc
	s_cbranch_execz .LBB3269_33
; %bb.32:
	v_lshlrev_b32_e32 v13, 2, v0
	global_load_dword v13, v13, s[2:3] offset:3072
	s_waitcnt vmcnt(0)
	v_xor_b32_e32 v13, -1, v13
	v_and_b32_e32 v13, 1, v13
.LBB3269_33:
	s_or_b64 exec, exec, s[4:5]
	v_or_b32_e32 v17, 0x400, v0
	v_cmp_gt_u32_e32 vcc, s14, v17
	v_mov_b32_e32 v15, 0
	v_mov_b32_e32 v16, 0
	s_and_saveexec_b64 s[4:5], vcc
	s_cbranch_execz .LBB3269_35
; %bb.34:
	v_lshlrev_b32_e32 v16, 2, v17
	global_load_dword v16, v16, s[2:3]
	s_waitcnt vmcnt(0)
	v_xor_b32_e32 v16, -1, v16
	v_and_b32_e32 v16, 1, v16
.LBB3269_35:
	s_or_b64 exec, exec, s[4:5]
	v_or_b32_e32 v17, 0x500, v0
	v_cmp_gt_u32_e32 vcc, s14, v17
	s_and_saveexec_b64 s[4:5], vcc
	s_cbranch_execz .LBB3269_37
; %bb.36:
	v_lshlrev_b32_e32 v15, 2, v17
	global_load_dword v15, v15, s[2:3]
	s_waitcnt vmcnt(0)
	v_xor_b32_e32 v15, -1, v15
	v_and_b32_e32 v15, 1, v15
.LBB3269_37:
	s_or_b64 exec, exec, s[4:5]
	v_or_b32_e32 v18, 0x600, v0
	v_cmp_gt_u32_e32 vcc, s14, v18
	v_mov_b32_e32 v17, 0
	s_and_saveexec_b64 s[4:5], vcc
	s_cbranch_execz .LBB3269_39
; %bb.38:
	v_lshlrev_b32_e32 v17, 2, v18
	global_load_dword v17, v17, s[2:3]
	s_waitcnt vmcnt(0)
	v_xor_b32_e32 v17, -1, v17
	v_and_b32_e32 v17, 1, v17
.LBB3269_39:
	s_or_b64 exec, exec, s[4:5]
	ds_write_b8 v0, v12
	ds_write_b8 v0, v9 offset:256
	ds_write_b8 v0, v14 offset:512
	;; [unrolled: 1-line block ×6, first 2 shown]
	s_waitcnt lgkmcnt(0)
	s_barrier
.LBB3269_40:
	s_movk_i32 s2, 0xffeb
	v_mad_i32_i24 v29, v0, s2, v8
	ds_read_u8 v8, v29
	ds_read_u8 v9, v29 offset:1
	ds_read_u8 v12, v29 offset:2
	;; [unrolled: 1-line block ×6, first 2 shown]
	s_waitcnt lgkmcnt(6)
	v_and_b32_e32 v27, 1, v8
	s_waitcnt lgkmcnt(5)
	v_and_b32_e32 v26, 1, v9
	;; [unrolled: 2-line block ×5, first 2 shown]
	v_add3_u32 v8, v26, v27, v25
	s_waitcnt lgkmcnt(1)
	v_and_b32_e32 v22, 1, v15
	s_waitcnt lgkmcnt(0)
	v_and_b32_e32 v21, 1, v16
	v_add3_u32 v8, v8, v24, v23
	v_add3_u32 v31, v8, v22, v21
	v_mbcnt_lo_u32_b32 v8, -1, 0
	v_mbcnt_hi_u32_b32 v28, -1, v8
	v_and_b32_e32 v8, 15, v28
	v_cmp_eq_u32_e64 s[14:15], 0, v8
	v_cmp_lt_u32_e64 s[12:13], 1, v8
	v_cmp_lt_u32_e64 s[10:11], 3, v8
	v_cmp_lt_u32_e64 s[8:9], 7, v8
	v_and_b32_e32 v8, 16, v28
	v_cmp_eq_u32_e64 s[6:7], 0, v8
	v_or_b32_e32 v8, 63, v0
	s_cmp_lg_u32 s30, 0
	v_cmp_lt_u32_e64 s[2:3], 31, v28
	v_lshrrev_b32_e32 v30, 6, v0
	v_cmp_eq_u32_e64 s[4:5], v8, v0
	s_barrier
	s_cbranch_scc0 .LBB3269_71
; %bb.41:
	v_mov_b32_dpp v8, v31 row_shr:1 row_mask:0xf bank_mask:0xf
	v_cndmask_b32_e64 v8, v8, 0, s[14:15]
	v_add_u32_e32 v8, v8, v31
	s_nop 1
	v_mov_b32_dpp v9, v8 row_shr:2 row_mask:0xf bank_mask:0xf
	v_cndmask_b32_e64 v9, 0, v9, s[12:13]
	v_add_u32_e32 v8, v8, v9
	s_nop 1
	;; [unrolled: 4-line block ×4, first 2 shown]
	v_mov_b32_dpp v9, v8 row_bcast:15 row_mask:0xf bank_mask:0xf
	v_cndmask_b32_e64 v9, v9, 0, s[6:7]
	v_add_u32_e32 v8, v8, v9
	s_nop 1
	v_mov_b32_dpp v9, v8 row_bcast:31 row_mask:0xf bank_mask:0xf
	v_cndmask_b32_e64 v9, 0, v9, s[2:3]
	v_add_u32_e32 v8, v8, v9
	s_and_saveexec_b64 s[16:17], s[4:5]
	s_cbranch_execz .LBB3269_43
; %bb.42:
	v_lshlrev_b32_e32 v9, 2, v30
	ds_write_b32 v9, v8
.LBB3269_43:
	s_or_b64 exec, exec, s[16:17]
	v_cmp_gt_u32_e32 vcc, 4, v0
	s_waitcnt lgkmcnt(0)
	s_barrier
	s_and_saveexec_b64 s[16:17], vcc
	s_cbranch_execz .LBB3269_45
; %bb.44:
	v_lshlrev_b32_e32 v9, 2, v0
	ds_read_b32 v12, v9
	v_and_b32_e32 v13, 3, v28
	v_cmp_ne_u32_e32 vcc, 0, v13
	s_waitcnt lgkmcnt(0)
	v_mov_b32_dpp v14, v12 row_shr:1 row_mask:0xf bank_mask:0xf
	v_cndmask_b32_e32 v14, 0, v14, vcc
	v_add_u32_e32 v12, v14, v12
	v_cmp_lt_u32_e32 vcc, 1, v13
	s_nop 0
	v_mov_b32_dpp v14, v12 row_shr:2 row_mask:0xf bank_mask:0xf
	v_cndmask_b32_e32 v13, 0, v14, vcc
	v_add_u32_e32 v12, v12, v13
	ds_write_b32 v9, v12
.LBB3269_45:
	s_or_b64 exec, exec, s[16:17]
	v_cmp_gt_u32_e32 vcc, 64, v0
	v_cmp_lt_u32_e64 s[16:17], 63, v0
	s_waitcnt lgkmcnt(0)
	s_barrier
	s_waitcnt lgkmcnt(0)
                                        ; implicit-def: $vgpr32
	s_and_saveexec_b64 s[22:23], s[16:17]
	s_cbranch_execz .LBB3269_47
; %bb.46:
	v_lshl_add_u32 v9, v30, 2, -4
	ds_read_b32 v32, v9
	s_waitcnt lgkmcnt(0)
	v_add_u32_e32 v8, v32, v8
.LBB3269_47:
	s_or_b64 exec, exec, s[22:23]
	v_add_u32_e32 v9, -1, v28
	v_and_b32_e32 v12, 64, v28
	v_cmp_lt_i32_e64 s[16:17], v9, v12
	v_cndmask_b32_e64 v9, v9, v28, s[16:17]
	v_lshlrev_b32_e32 v9, 2, v9
	ds_bpermute_b32 v33, v9, v8
	v_cmp_eq_u32_e64 s[16:17], 0, v28
	s_and_saveexec_b64 s[22:23], vcc
	s_cbranch_execz .LBB3269_70
; %bb.48:
	v_mov_b32_e32 v19, 0
	ds_read_b32 v8, v19 offset:12
	s_and_saveexec_b64 s[26:27], s[16:17]
	s_cbranch_execz .LBB3269_50
; %bb.49:
	s_add_i32 s28, s30, 64
	s_mov_b32 s29, 0
	s_lshl_b64 s[28:29], s[28:29], 3
	s_add_u32 s28, s24, s28
	v_mov_b32_e32 v9, 1
	s_addc_u32 s29, s25, s29
	s_waitcnt lgkmcnt(0)
	global_store_dwordx2 v19, v[8:9], s[28:29]
.LBB3269_50:
	s_or_b64 exec, exec, s[26:27]
	v_xad_u32 v12, v28, -1, s30
	v_add_u32_e32 v18, 64, v12
	v_lshlrev_b64 v[14:15], 3, v[18:19]
	v_mov_b32_e32 v9, s25
	v_add_co_u32_e32 v14, vcc, s24, v14
	v_addc_co_u32_e32 v15, vcc, v9, v15, vcc
	global_load_dwordx2 v[16:17], v[14:15], off glc
	s_waitcnt vmcnt(0)
	v_cmp_eq_u16_sdwa s[28:29], v17, v19 src0_sel:BYTE_0 src1_sel:DWORD
	s_and_saveexec_b64 s[26:27], s[28:29]
	s_cbranch_execz .LBB3269_56
; %bb.51:
	s_mov_b32 s31, 1
	s_mov_b64 s[28:29], 0
	v_mov_b32_e32 v9, 0
.LBB3269_52:                            ; =>This Loop Header: Depth=1
                                        ;     Child Loop BB3269_53 Depth 2
	s_max_u32 s33, s31, 1
.LBB3269_53:                            ;   Parent Loop BB3269_52 Depth=1
                                        ; =>  This Inner Loop Header: Depth=2
	s_add_i32 s33, s33, -1
	s_cmp_eq_u32 s33, 0
	s_sleep 1
	s_cbranch_scc0 .LBB3269_53
; %bb.54:                               ;   in Loop: Header=BB3269_52 Depth=1
	global_load_dwordx2 v[16:17], v[14:15], off glc
	s_cmp_lt_u32 s31, 32
	s_cselect_b64 s[34:35], -1, 0
	s_cmp_lg_u64 s[34:35], 0
	s_addc_u32 s31, s31, 0
	s_waitcnt vmcnt(0)
	v_cmp_ne_u16_sdwa s[34:35], v17, v9 src0_sel:BYTE_0 src1_sel:DWORD
	s_or_b64 s[28:29], s[34:35], s[28:29]
	s_andn2_b64 exec, exec, s[28:29]
	s_cbranch_execnz .LBB3269_52
; %bb.55:
	s_or_b64 exec, exec, s[28:29]
.LBB3269_56:
	s_or_b64 exec, exec, s[26:27]
	v_and_b32_e32 v35, 63, v28
	v_mov_b32_e32 v34, 2
	v_cmp_ne_u32_e32 vcc, 63, v35
	v_cmp_eq_u16_sdwa s[26:27], v17, v34 src0_sel:BYTE_0 src1_sel:DWORD
	v_lshlrev_b64 v[14:15], v28, -1
	v_addc_co_u32_e32 v18, vcc, 0, v28, vcc
	v_and_b32_e32 v9, s27, v15
	v_lshlrev_b32_e32 v36, 2, v18
	v_or_b32_e32 v9, 0x80000000, v9
	ds_bpermute_b32 v18, v36, v16
	v_and_b32_e32 v13, s26, v14
	v_ffbl_b32_e32 v9, v9
	v_add_u32_e32 v9, 32, v9
	v_ffbl_b32_e32 v13, v13
	v_min_u32_e32 v9, v13, v9
	v_cmp_lt_u32_e32 vcc, v35, v9
	s_waitcnt lgkmcnt(0)
	v_cndmask_b32_e32 v13, 0, v18, vcc
	v_cmp_gt_u32_e32 vcc, 62, v35
	v_add_u32_e32 v13, v13, v16
	v_cndmask_b32_e64 v16, 0, 1, vcc
	v_lshlrev_b32_e32 v16, 1, v16
	v_add_lshl_u32 v37, v16, v28, 2
	ds_bpermute_b32 v16, v37, v13
	v_add_u32_e32 v38, 2, v35
	v_cmp_le_u32_e32 vcc, v38, v9
	v_add_u32_e32 v40, 4, v35
	v_add_u32_e32 v42, 8, v35
	s_waitcnt lgkmcnt(0)
	v_cndmask_b32_e32 v16, 0, v16, vcc
	v_cmp_gt_u32_e32 vcc, 60, v35
	v_add_u32_e32 v13, v13, v16
	v_cndmask_b32_e64 v16, 0, 1, vcc
	v_lshlrev_b32_e32 v16, 2, v16
	v_add_lshl_u32 v39, v16, v28, 2
	ds_bpermute_b32 v16, v39, v13
	v_cmp_le_u32_e32 vcc, v40, v9
	v_add_u32_e32 v44, 16, v35
	v_add_u32_e32 v46, 32, v35
	s_waitcnt lgkmcnt(0)
	v_cndmask_b32_e32 v16, 0, v16, vcc
	v_cmp_gt_u32_e32 vcc, 56, v35
	v_add_u32_e32 v13, v13, v16
	v_cndmask_b32_e64 v16, 0, 1, vcc
	v_lshlrev_b32_e32 v16, 3, v16
	v_add_lshl_u32 v41, v16, v28, 2
	ds_bpermute_b32 v16, v41, v13
	v_cmp_le_u32_e32 vcc, v42, v9
	s_waitcnt lgkmcnt(0)
	v_cndmask_b32_e32 v16, 0, v16, vcc
	v_cmp_gt_u32_e32 vcc, 48, v35
	v_add_u32_e32 v13, v13, v16
	v_cndmask_b32_e64 v16, 0, 1, vcc
	v_lshlrev_b32_e32 v16, 4, v16
	v_add_lshl_u32 v43, v16, v28, 2
	ds_bpermute_b32 v16, v43, v13
	v_cmp_le_u32_e32 vcc, v44, v9
	;; [unrolled: 9-line block ×3, first 2 shown]
	s_waitcnt lgkmcnt(0)
	v_cndmask_b32_e32 v9, 0, v16, vcc
	v_add_u32_e32 v16, v13, v9
	v_mov_b32_e32 v13, 0
	s_branch .LBB3269_58
.LBB3269_57:                            ;   in Loop: Header=BB3269_58 Depth=1
	s_or_b64 exec, exec, s[26:27]
	v_cmp_eq_u16_sdwa s[26:27], v17, v34 src0_sel:BYTE_0 src1_sel:DWORD
	v_and_b32_e32 v18, s27, v15
	v_or_b32_e32 v18, 0x80000000, v18
	ds_bpermute_b32 v47, v36, v16
	v_and_b32_e32 v19, s26, v14
	v_ffbl_b32_e32 v18, v18
	v_add_u32_e32 v18, 32, v18
	v_ffbl_b32_e32 v19, v19
	v_min_u32_e32 v18, v19, v18
	v_cmp_lt_u32_e32 vcc, v35, v18
	s_waitcnt lgkmcnt(0)
	v_cndmask_b32_e32 v19, 0, v47, vcc
	v_add_u32_e32 v16, v19, v16
	ds_bpermute_b32 v19, v37, v16
	v_cmp_le_u32_e32 vcc, v38, v18
	v_subrev_u32_e32 v12, 64, v12
	s_waitcnt lgkmcnt(0)
	v_cndmask_b32_e32 v19, 0, v19, vcc
	v_add_u32_e32 v16, v16, v19
	ds_bpermute_b32 v19, v39, v16
	v_cmp_le_u32_e32 vcc, v40, v18
	s_waitcnt lgkmcnt(0)
	v_cndmask_b32_e32 v19, 0, v19, vcc
	v_add_u32_e32 v16, v16, v19
	ds_bpermute_b32 v19, v41, v16
	v_cmp_le_u32_e32 vcc, v42, v18
	;; [unrolled: 5-line block ×4, first 2 shown]
	s_waitcnt lgkmcnt(0)
	v_cndmask_b32_e32 v18, 0, v19, vcc
	v_add3_u32 v16, v18, v9, v16
.LBB3269_58:                            ; =>This Loop Header: Depth=1
                                        ;     Child Loop BB3269_61 Depth 2
                                        ;       Child Loop BB3269_62 Depth 3
	v_cmp_ne_u16_sdwa s[26:27], v17, v34 src0_sel:BYTE_0 src1_sel:DWORD
	v_cndmask_b32_e64 v9, 0, 1, s[26:27]
	;;#ASMSTART
	;;#ASMEND
	v_cmp_ne_u32_e32 vcc, 0, v9
	s_cmp_lg_u64 vcc, exec
	v_mov_b32_e32 v9, v16
	s_cbranch_scc1 .LBB3269_65
; %bb.59:                               ;   in Loop: Header=BB3269_58 Depth=1
	v_lshlrev_b64 v[16:17], 3, v[12:13]
	v_mov_b32_e32 v19, s25
	v_add_co_u32_e32 v18, vcc, s24, v16
	v_addc_co_u32_e32 v19, vcc, v19, v17, vcc
	global_load_dwordx2 v[16:17], v[18:19], off glc
	s_waitcnt vmcnt(0)
	v_cmp_eq_u16_sdwa s[28:29], v17, v13 src0_sel:BYTE_0 src1_sel:DWORD
	s_and_saveexec_b64 s[26:27], s[28:29]
	s_cbranch_execz .LBB3269_57
; %bb.60:                               ;   in Loop: Header=BB3269_58 Depth=1
	s_mov_b32 s31, 1
	s_mov_b64 s[28:29], 0
.LBB3269_61:                            ;   Parent Loop BB3269_58 Depth=1
                                        ; =>  This Loop Header: Depth=2
                                        ;       Child Loop BB3269_62 Depth 3
	s_max_u32 s33, s31, 1
.LBB3269_62:                            ;   Parent Loop BB3269_58 Depth=1
                                        ;     Parent Loop BB3269_61 Depth=2
                                        ; =>    This Inner Loop Header: Depth=3
	s_add_i32 s33, s33, -1
	s_cmp_eq_u32 s33, 0
	s_sleep 1
	s_cbranch_scc0 .LBB3269_62
; %bb.63:                               ;   in Loop: Header=BB3269_61 Depth=2
	global_load_dwordx2 v[16:17], v[18:19], off glc
	s_cmp_lt_u32 s31, 32
	s_cselect_b64 s[34:35], -1, 0
	s_cmp_lg_u64 s[34:35], 0
	s_addc_u32 s31, s31, 0
	s_waitcnt vmcnt(0)
	v_cmp_ne_u16_sdwa s[34:35], v17, v13 src0_sel:BYTE_0 src1_sel:DWORD
	s_or_b64 s[28:29], s[34:35], s[28:29]
	s_andn2_b64 exec, exec, s[28:29]
	s_cbranch_execnz .LBB3269_61
; %bb.64:                               ;   in Loop: Header=BB3269_58 Depth=1
	s_or_b64 exec, exec, s[28:29]
	s_branch .LBB3269_57
.LBB3269_65:                            ;   in Loop: Header=BB3269_58 Depth=1
                                        ; implicit-def: $vgpr16
                                        ; implicit-def: $vgpr17
	s_cbranch_execz .LBB3269_58
; %bb.66:
	s_and_saveexec_b64 s[26:27], s[16:17]
	s_cbranch_execz .LBB3269_68
; %bb.67:
	s_add_i32 s28, s30, 64
	s_mov_b32 s29, 0
	s_lshl_b64 s[28:29], s[28:29], 3
	s_add_u32 s28, s24, s28
	v_add_u32_e32 v12, v9, v8
	v_mov_b32_e32 v13, 2
	s_addc_u32 s29, s25, s29
	v_mov_b32_e32 v14, 0
	global_store_dwordx2 v14, v[12:13], s[28:29]
	ds_write_b64 v14, v[8:9] offset:7168
.LBB3269_68:
	s_or_b64 exec, exec, s[26:27]
	s_and_b64 exec, exec, s[0:1]
	s_cbranch_execz .LBB3269_70
; %bb.69:
	v_mov_b32_e32 v8, 0
	ds_write_b32 v8, v9 offset:12
.LBB3269_70:
	s_or_b64 exec, exec, s[22:23]
	v_mov_b32_e32 v8, 0
	s_waitcnt lgkmcnt(0)
	s_barrier
	ds_read_b32 v9, v8 offset:12
	v_cndmask_b32_e64 v12, v33, v32, s[16:17]
	v_cndmask_b32_e64 v12, v12, 0, s[0:1]
	s_waitcnt lgkmcnt(0)
	s_barrier
	v_add_u32_e32 v18, v9, v12
	v_add_u32_e32 v17, v18, v27
	;; [unrolled: 1-line block ×3, first 2 shown]
	ds_read_b64 v[8:9], v8 offset:7168
	v_add_u32_e32 v14, v16, v25
	v_add_u32_e32 v15, v14, v24
	;; [unrolled: 1-line block ×4, first 2 shown]
	s_branch .LBB3269_81
.LBB3269_71:
                                        ; implicit-def: $vgpr9
                                        ; implicit-def: $vgpr12
                                        ; implicit-def: $vgpr13
                                        ; implicit-def: $vgpr15
                                        ; implicit-def: $vgpr14
                                        ; implicit-def: $vgpr16
                                        ; implicit-def: $vgpr17
                                        ; implicit-def: $vgpr18
	s_cbranch_execz .LBB3269_81
; %bb.72:
	s_waitcnt lgkmcnt(0)
	v_mov_b32_dpp v8, v31 row_shr:1 row_mask:0xf bank_mask:0xf
	v_cndmask_b32_e64 v8, v8, 0, s[14:15]
	v_add_u32_e32 v8, v8, v31
	s_nop 1
	v_mov_b32_dpp v9, v8 row_shr:2 row_mask:0xf bank_mask:0xf
	v_cndmask_b32_e64 v9, 0, v9, s[12:13]
	v_add_u32_e32 v8, v8, v9
	s_nop 1
	;; [unrolled: 4-line block ×4, first 2 shown]
	v_mov_b32_dpp v9, v8 row_bcast:15 row_mask:0xf bank_mask:0xf
	v_cndmask_b32_e64 v9, v9, 0, s[6:7]
	v_add_u32_e32 v8, v8, v9
	s_nop 1
	v_mov_b32_dpp v9, v8 row_bcast:31 row_mask:0xf bank_mask:0xf
	v_cndmask_b32_e64 v9, 0, v9, s[2:3]
	v_add_u32_e32 v8, v8, v9
	s_and_saveexec_b64 s[2:3], s[4:5]
	s_cbranch_execz .LBB3269_74
; %bb.73:
	v_lshlrev_b32_e32 v9, 2, v30
	ds_write_b32 v9, v8
.LBB3269_74:
	s_or_b64 exec, exec, s[2:3]
	v_cmp_gt_u32_e32 vcc, 4, v0
	s_waitcnt lgkmcnt(0)
	s_barrier
	s_and_saveexec_b64 s[2:3], vcc
	s_cbranch_execz .LBB3269_76
; %bb.75:
	v_mad_i32_i24 v9, v0, -3, v29
	ds_read_b32 v12, v9
	v_and_b32_e32 v13, 3, v28
	v_cmp_ne_u32_e32 vcc, 0, v13
	s_waitcnt lgkmcnt(0)
	v_mov_b32_dpp v14, v12 row_shr:1 row_mask:0xf bank_mask:0xf
	v_cndmask_b32_e32 v14, 0, v14, vcc
	v_add_u32_e32 v12, v14, v12
	v_cmp_lt_u32_e32 vcc, 1, v13
	s_nop 0
	v_mov_b32_dpp v14, v12 row_shr:2 row_mask:0xf bank_mask:0xf
	v_cndmask_b32_e32 v13, 0, v14, vcc
	v_add_u32_e32 v12, v12, v13
	ds_write_b32 v9, v12
.LBB3269_76:
	s_or_b64 exec, exec, s[2:3]
	v_cmp_lt_u32_e32 vcc, 63, v0
	v_mov_b32_e32 v9, 0
	v_mov_b32_e32 v0, 0
	s_waitcnt lgkmcnt(0)
	s_barrier
	s_and_saveexec_b64 s[2:3], vcc
	s_cbranch_execz .LBB3269_78
; %bb.77:
	v_lshl_add_u32 v0, v30, 2, -4
	ds_read_b32 v0, v0
.LBB3269_78:
	s_or_b64 exec, exec, s[2:3]
	v_add_u32_e32 v12, -1, v28
	v_and_b32_e32 v13, 64, v28
	v_cmp_lt_i32_e32 vcc, v12, v13
	v_cndmask_b32_e32 v12, v12, v28, vcc
	s_waitcnt lgkmcnt(0)
	v_add_u32_e32 v8, v0, v8
	v_lshlrev_b32_e32 v12, 2, v12
	ds_bpermute_b32 v12, v12, v8
	ds_read_b32 v8, v9 offset:12
	s_and_saveexec_b64 s[2:3], s[0:1]
	s_cbranch_execz .LBB3269_80
; %bb.79:
	v_mov_b32_e32 v13, 0
	v_mov_b32_e32 v9, 2
	s_waitcnt lgkmcnt(0)
	global_store_dwordx2 v13, v[8:9], s[24:25] offset:512
.LBB3269_80:
	s_or_b64 exec, exec, s[2:3]
	v_cmp_eq_u32_e32 vcc, 0, v28
	s_waitcnt lgkmcnt(1)
	v_cndmask_b32_e32 v0, v12, v0, vcc
	v_cndmask_b32_e64 v18, v0, 0, s[0:1]
	v_add_u32_e32 v17, v18, v27
	v_add_u32_e32 v16, v17, v26
	;; [unrolled: 1-line block ×5, first 2 shown]
	v_mov_b32_e32 v9, 0
	v_add_u32_e32 v12, v13, v22
	s_waitcnt lgkmcnt(0)
	s_barrier
.LBB3269_81:
	s_waitcnt lgkmcnt(0)
	v_add_u32_e32 v0, v8, v20
	v_sub_u32_e32 v18, v18, v9
	v_sub_u32_e32 v19, v0, v18
	v_cmp_eq_u32_e32 vcc, 1, v27
	v_cndmask_b32_e32 v18, v19, v18, vcc
	v_lshlrev_b32_e32 v18, 2, v18
	ds_write_b32 v18, v6
	v_sub_u32_e32 v6, v17, v9
	v_sub_u32_e32 v17, v0, v6
	v_add_u32_e32 v17, 1, v17
	v_cmp_eq_u32_e32 vcc, 1, v26
	v_cndmask_b32_e32 v6, v17, v6, vcc
	v_lshlrev_b32_e32 v6, 2, v6
	ds_write_b32 v6, v7
	v_sub_u32_e32 v6, v16, v9
	v_sub_u32_e32 v7, v0, v6
	v_add_u32_e32 v7, 2, v7
	;; [unrolled: 7-line block ×6, first 2 shown]
	v_cmp_eq_u32_e32 vcc, 1, v21
	v_cndmask_b32_e32 v0, v0, v2, vcc
	v_lshlrev_b32_e32 v0, 2, v0
	s_and_b64 s[0:1], s[0:1], s[18:19]
	ds_write_b32 v0, v1
	s_waitcnt lgkmcnt(0)
	s_barrier
	s_and_saveexec_b64 s[2:3], s[0:1]
	s_cbranch_execz .LBB3269_83
; %bb.82:
	s_waitcnt vmcnt(0)
	v_add_co_u32_e32 v0, vcc, v10, v8
	v_addc_co_u32_e32 v1, vcc, 0, v11, vcc
	v_add_co_u32_e32 v0, vcc, v0, v9
	v_mov_b32_e32 v2, 0
	v_addc_co_u32_e32 v1, vcc, 0, v1, vcc
	global_store_dwordx2 v2, v[0:1], s[20:21]
.LBB3269_83:
	s_endpgm
	.section	.rodata,"a",@progbits
	.p2align	6, 0x0
	.amdhsa_kernel _ZN7rocprim17ROCPRIM_400000_NS6detail17trampoline_kernelINS0_14default_configENS1_25partition_config_selectorILNS1_17partition_subalgoE1EiNS0_10empty_typeEbEEZZNS1_14partition_implILS5_1ELb0ES3_jN6thrust23THRUST_200600_302600_NS6detail15normal_iteratorINSA_10device_ptrIiEEEEPS6_NSA_18transform_iteratorI7is_evenIiESF_NSA_11use_defaultESK_EENS0_5tupleIJNSA_16discard_iteratorISK_EESO_EEENSM_IJSG_SG_EEES6_PlJS6_EEE10hipError_tPvRmT3_T4_T5_T6_T7_T9_mT8_P12ihipStream_tbDpT10_ENKUlT_T0_E_clISt17integral_constantIbLb1EES1B_EEDaS16_S17_EUlS16_E_NS1_11comp_targetILNS1_3genE4ELNS1_11target_archE910ELNS1_3gpuE8ELNS1_3repE0EEENS1_30default_config_static_selectorELNS0_4arch9wavefront6targetE1EEEvT1_
		.amdhsa_group_segment_fixed_size 7176
		.amdhsa_private_segment_fixed_size 0
		.amdhsa_kernarg_size 160
		.amdhsa_user_sgpr_count 6
		.amdhsa_user_sgpr_private_segment_buffer 1
		.amdhsa_user_sgpr_dispatch_ptr 0
		.amdhsa_user_sgpr_queue_ptr 0
		.amdhsa_user_sgpr_kernarg_segment_ptr 1
		.amdhsa_user_sgpr_dispatch_id 0
		.amdhsa_user_sgpr_flat_scratch_init 0
		.amdhsa_user_sgpr_kernarg_preload_length 0
		.amdhsa_user_sgpr_kernarg_preload_offset 0
		.amdhsa_user_sgpr_private_segment_size 0
		.amdhsa_uses_dynamic_stack 0
		.amdhsa_system_sgpr_private_segment_wavefront_offset 0
		.amdhsa_system_sgpr_workgroup_id_x 1
		.amdhsa_system_sgpr_workgroup_id_y 0
		.amdhsa_system_sgpr_workgroup_id_z 0
		.amdhsa_system_sgpr_workgroup_info 0
		.amdhsa_system_vgpr_workitem_id 0
		.amdhsa_next_free_vgpr 48
		.amdhsa_next_free_sgpr 36
		.amdhsa_accum_offset 48
		.amdhsa_reserve_vcc 1
		.amdhsa_reserve_flat_scratch 0
		.amdhsa_float_round_mode_32 0
		.amdhsa_float_round_mode_16_64 0
		.amdhsa_float_denorm_mode_32 3
		.amdhsa_float_denorm_mode_16_64 3
		.amdhsa_dx10_clamp 1
		.amdhsa_ieee_mode 1
		.amdhsa_fp16_overflow 0
		.amdhsa_tg_split 0
		.amdhsa_exception_fp_ieee_invalid_op 0
		.amdhsa_exception_fp_denorm_src 0
		.amdhsa_exception_fp_ieee_div_zero 0
		.amdhsa_exception_fp_ieee_overflow 0
		.amdhsa_exception_fp_ieee_underflow 0
		.amdhsa_exception_fp_ieee_inexact 0
		.amdhsa_exception_int_div_zero 0
	.end_amdhsa_kernel
	.section	.text._ZN7rocprim17ROCPRIM_400000_NS6detail17trampoline_kernelINS0_14default_configENS1_25partition_config_selectorILNS1_17partition_subalgoE1EiNS0_10empty_typeEbEEZZNS1_14partition_implILS5_1ELb0ES3_jN6thrust23THRUST_200600_302600_NS6detail15normal_iteratorINSA_10device_ptrIiEEEEPS6_NSA_18transform_iteratorI7is_evenIiESF_NSA_11use_defaultESK_EENS0_5tupleIJNSA_16discard_iteratorISK_EESO_EEENSM_IJSG_SG_EEES6_PlJS6_EEE10hipError_tPvRmT3_T4_T5_T6_T7_T9_mT8_P12ihipStream_tbDpT10_ENKUlT_T0_E_clISt17integral_constantIbLb1EES1B_EEDaS16_S17_EUlS16_E_NS1_11comp_targetILNS1_3genE4ELNS1_11target_archE910ELNS1_3gpuE8ELNS1_3repE0EEENS1_30default_config_static_selectorELNS0_4arch9wavefront6targetE1EEEvT1_,"axG",@progbits,_ZN7rocprim17ROCPRIM_400000_NS6detail17trampoline_kernelINS0_14default_configENS1_25partition_config_selectorILNS1_17partition_subalgoE1EiNS0_10empty_typeEbEEZZNS1_14partition_implILS5_1ELb0ES3_jN6thrust23THRUST_200600_302600_NS6detail15normal_iteratorINSA_10device_ptrIiEEEEPS6_NSA_18transform_iteratorI7is_evenIiESF_NSA_11use_defaultESK_EENS0_5tupleIJNSA_16discard_iteratorISK_EESO_EEENSM_IJSG_SG_EEES6_PlJS6_EEE10hipError_tPvRmT3_T4_T5_T6_T7_T9_mT8_P12ihipStream_tbDpT10_ENKUlT_T0_E_clISt17integral_constantIbLb1EES1B_EEDaS16_S17_EUlS16_E_NS1_11comp_targetILNS1_3genE4ELNS1_11target_archE910ELNS1_3gpuE8ELNS1_3repE0EEENS1_30default_config_static_selectorELNS0_4arch9wavefront6targetE1EEEvT1_,comdat
.Lfunc_end3269:
	.size	_ZN7rocprim17ROCPRIM_400000_NS6detail17trampoline_kernelINS0_14default_configENS1_25partition_config_selectorILNS1_17partition_subalgoE1EiNS0_10empty_typeEbEEZZNS1_14partition_implILS5_1ELb0ES3_jN6thrust23THRUST_200600_302600_NS6detail15normal_iteratorINSA_10device_ptrIiEEEEPS6_NSA_18transform_iteratorI7is_evenIiESF_NSA_11use_defaultESK_EENS0_5tupleIJNSA_16discard_iteratorISK_EESO_EEENSM_IJSG_SG_EEES6_PlJS6_EEE10hipError_tPvRmT3_T4_T5_T6_T7_T9_mT8_P12ihipStream_tbDpT10_ENKUlT_T0_E_clISt17integral_constantIbLb1EES1B_EEDaS16_S17_EUlS16_E_NS1_11comp_targetILNS1_3genE4ELNS1_11target_archE910ELNS1_3gpuE8ELNS1_3repE0EEENS1_30default_config_static_selectorELNS0_4arch9wavefront6targetE1EEEvT1_, .Lfunc_end3269-_ZN7rocprim17ROCPRIM_400000_NS6detail17trampoline_kernelINS0_14default_configENS1_25partition_config_selectorILNS1_17partition_subalgoE1EiNS0_10empty_typeEbEEZZNS1_14partition_implILS5_1ELb0ES3_jN6thrust23THRUST_200600_302600_NS6detail15normal_iteratorINSA_10device_ptrIiEEEEPS6_NSA_18transform_iteratorI7is_evenIiESF_NSA_11use_defaultESK_EENS0_5tupleIJNSA_16discard_iteratorISK_EESO_EEENSM_IJSG_SG_EEES6_PlJS6_EEE10hipError_tPvRmT3_T4_T5_T6_T7_T9_mT8_P12ihipStream_tbDpT10_ENKUlT_T0_E_clISt17integral_constantIbLb1EES1B_EEDaS16_S17_EUlS16_E_NS1_11comp_targetILNS1_3genE4ELNS1_11target_archE910ELNS1_3gpuE8ELNS1_3repE0EEENS1_30default_config_static_selectorELNS0_4arch9wavefront6targetE1EEEvT1_
                                        ; -- End function
	.section	.AMDGPU.csdata,"",@progbits
; Kernel info:
; codeLenInByte = 4024
; NumSgprs: 40
; NumVgprs: 48
; NumAgprs: 0
; TotalNumVgprs: 48
; ScratchSize: 0
; MemoryBound: 0
; FloatMode: 240
; IeeeMode: 1
; LDSByteSize: 7176 bytes/workgroup (compile time only)
; SGPRBlocks: 4
; VGPRBlocks: 5
; NumSGPRsForWavesPerEU: 40
; NumVGPRsForWavesPerEU: 48
; AccumOffset: 48
; Occupancy: 8
; WaveLimiterHint : 1
; COMPUTE_PGM_RSRC2:SCRATCH_EN: 0
; COMPUTE_PGM_RSRC2:USER_SGPR: 6
; COMPUTE_PGM_RSRC2:TRAP_HANDLER: 0
; COMPUTE_PGM_RSRC2:TGID_X_EN: 1
; COMPUTE_PGM_RSRC2:TGID_Y_EN: 0
; COMPUTE_PGM_RSRC2:TGID_Z_EN: 0
; COMPUTE_PGM_RSRC2:TIDIG_COMP_CNT: 0
; COMPUTE_PGM_RSRC3_GFX90A:ACCUM_OFFSET: 11
; COMPUTE_PGM_RSRC3_GFX90A:TG_SPLIT: 0
	.section	.text._ZN7rocprim17ROCPRIM_400000_NS6detail17trampoline_kernelINS0_14default_configENS1_25partition_config_selectorILNS1_17partition_subalgoE1EiNS0_10empty_typeEbEEZZNS1_14partition_implILS5_1ELb0ES3_jN6thrust23THRUST_200600_302600_NS6detail15normal_iteratorINSA_10device_ptrIiEEEEPS6_NSA_18transform_iteratorI7is_evenIiESF_NSA_11use_defaultESK_EENS0_5tupleIJNSA_16discard_iteratorISK_EESO_EEENSM_IJSG_SG_EEES6_PlJS6_EEE10hipError_tPvRmT3_T4_T5_T6_T7_T9_mT8_P12ihipStream_tbDpT10_ENKUlT_T0_E_clISt17integral_constantIbLb1EES1B_EEDaS16_S17_EUlS16_E_NS1_11comp_targetILNS1_3genE3ELNS1_11target_archE908ELNS1_3gpuE7ELNS1_3repE0EEENS1_30default_config_static_selectorELNS0_4arch9wavefront6targetE1EEEvT1_,"axG",@progbits,_ZN7rocprim17ROCPRIM_400000_NS6detail17trampoline_kernelINS0_14default_configENS1_25partition_config_selectorILNS1_17partition_subalgoE1EiNS0_10empty_typeEbEEZZNS1_14partition_implILS5_1ELb0ES3_jN6thrust23THRUST_200600_302600_NS6detail15normal_iteratorINSA_10device_ptrIiEEEEPS6_NSA_18transform_iteratorI7is_evenIiESF_NSA_11use_defaultESK_EENS0_5tupleIJNSA_16discard_iteratorISK_EESO_EEENSM_IJSG_SG_EEES6_PlJS6_EEE10hipError_tPvRmT3_T4_T5_T6_T7_T9_mT8_P12ihipStream_tbDpT10_ENKUlT_T0_E_clISt17integral_constantIbLb1EES1B_EEDaS16_S17_EUlS16_E_NS1_11comp_targetILNS1_3genE3ELNS1_11target_archE908ELNS1_3gpuE7ELNS1_3repE0EEENS1_30default_config_static_selectorELNS0_4arch9wavefront6targetE1EEEvT1_,comdat
	.protected	_ZN7rocprim17ROCPRIM_400000_NS6detail17trampoline_kernelINS0_14default_configENS1_25partition_config_selectorILNS1_17partition_subalgoE1EiNS0_10empty_typeEbEEZZNS1_14partition_implILS5_1ELb0ES3_jN6thrust23THRUST_200600_302600_NS6detail15normal_iteratorINSA_10device_ptrIiEEEEPS6_NSA_18transform_iteratorI7is_evenIiESF_NSA_11use_defaultESK_EENS0_5tupleIJNSA_16discard_iteratorISK_EESO_EEENSM_IJSG_SG_EEES6_PlJS6_EEE10hipError_tPvRmT3_T4_T5_T6_T7_T9_mT8_P12ihipStream_tbDpT10_ENKUlT_T0_E_clISt17integral_constantIbLb1EES1B_EEDaS16_S17_EUlS16_E_NS1_11comp_targetILNS1_3genE3ELNS1_11target_archE908ELNS1_3gpuE7ELNS1_3repE0EEENS1_30default_config_static_selectorELNS0_4arch9wavefront6targetE1EEEvT1_ ; -- Begin function _ZN7rocprim17ROCPRIM_400000_NS6detail17trampoline_kernelINS0_14default_configENS1_25partition_config_selectorILNS1_17partition_subalgoE1EiNS0_10empty_typeEbEEZZNS1_14partition_implILS5_1ELb0ES3_jN6thrust23THRUST_200600_302600_NS6detail15normal_iteratorINSA_10device_ptrIiEEEEPS6_NSA_18transform_iteratorI7is_evenIiESF_NSA_11use_defaultESK_EENS0_5tupleIJNSA_16discard_iteratorISK_EESO_EEENSM_IJSG_SG_EEES6_PlJS6_EEE10hipError_tPvRmT3_T4_T5_T6_T7_T9_mT8_P12ihipStream_tbDpT10_ENKUlT_T0_E_clISt17integral_constantIbLb1EES1B_EEDaS16_S17_EUlS16_E_NS1_11comp_targetILNS1_3genE3ELNS1_11target_archE908ELNS1_3gpuE7ELNS1_3repE0EEENS1_30default_config_static_selectorELNS0_4arch9wavefront6targetE1EEEvT1_
	.globl	_ZN7rocprim17ROCPRIM_400000_NS6detail17trampoline_kernelINS0_14default_configENS1_25partition_config_selectorILNS1_17partition_subalgoE1EiNS0_10empty_typeEbEEZZNS1_14partition_implILS5_1ELb0ES3_jN6thrust23THRUST_200600_302600_NS6detail15normal_iteratorINSA_10device_ptrIiEEEEPS6_NSA_18transform_iteratorI7is_evenIiESF_NSA_11use_defaultESK_EENS0_5tupleIJNSA_16discard_iteratorISK_EESO_EEENSM_IJSG_SG_EEES6_PlJS6_EEE10hipError_tPvRmT3_T4_T5_T6_T7_T9_mT8_P12ihipStream_tbDpT10_ENKUlT_T0_E_clISt17integral_constantIbLb1EES1B_EEDaS16_S17_EUlS16_E_NS1_11comp_targetILNS1_3genE3ELNS1_11target_archE908ELNS1_3gpuE7ELNS1_3repE0EEENS1_30default_config_static_selectorELNS0_4arch9wavefront6targetE1EEEvT1_
	.p2align	8
	.type	_ZN7rocprim17ROCPRIM_400000_NS6detail17trampoline_kernelINS0_14default_configENS1_25partition_config_selectorILNS1_17partition_subalgoE1EiNS0_10empty_typeEbEEZZNS1_14partition_implILS5_1ELb0ES3_jN6thrust23THRUST_200600_302600_NS6detail15normal_iteratorINSA_10device_ptrIiEEEEPS6_NSA_18transform_iteratorI7is_evenIiESF_NSA_11use_defaultESK_EENS0_5tupleIJNSA_16discard_iteratorISK_EESO_EEENSM_IJSG_SG_EEES6_PlJS6_EEE10hipError_tPvRmT3_T4_T5_T6_T7_T9_mT8_P12ihipStream_tbDpT10_ENKUlT_T0_E_clISt17integral_constantIbLb1EES1B_EEDaS16_S17_EUlS16_E_NS1_11comp_targetILNS1_3genE3ELNS1_11target_archE908ELNS1_3gpuE7ELNS1_3repE0EEENS1_30default_config_static_selectorELNS0_4arch9wavefront6targetE1EEEvT1_,@function
_ZN7rocprim17ROCPRIM_400000_NS6detail17trampoline_kernelINS0_14default_configENS1_25partition_config_selectorILNS1_17partition_subalgoE1EiNS0_10empty_typeEbEEZZNS1_14partition_implILS5_1ELb0ES3_jN6thrust23THRUST_200600_302600_NS6detail15normal_iteratorINSA_10device_ptrIiEEEEPS6_NSA_18transform_iteratorI7is_evenIiESF_NSA_11use_defaultESK_EENS0_5tupleIJNSA_16discard_iteratorISK_EESO_EEENSM_IJSG_SG_EEES6_PlJS6_EEE10hipError_tPvRmT3_T4_T5_T6_T7_T9_mT8_P12ihipStream_tbDpT10_ENKUlT_T0_E_clISt17integral_constantIbLb1EES1B_EEDaS16_S17_EUlS16_E_NS1_11comp_targetILNS1_3genE3ELNS1_11target_archE908ELNS1_3gpuE7ELNS1_3repE0EEENS1_30default_config_static_selectorELNS0_4arch9wavefront6targetE1EEEvT1_: ; @_ZN7rocprim17ROCPRIM_400000_NS6detail17trampoline_kernelINS0_14default_configENS1_25partition_config_selectorILNS1_17partition_subalgoE1EiNS0_10empty_typeEbEEZZNS1_14partition_implILS5_1ELb0ES3_jN6thrust23THRUST_200600_302600_NS6detail15normal_iteratorINSA_10device_ptrIiEEEEPS6_NSA_18transform_iteratorI7is_evenIiESF_NSA_11use_defaultESK_EENS0_5tupleIJNSA_16discard_iteratorISK_EESO_EEENSM_IJSG_SG_EEES6_PlJS6_EEE10hipError_tPvRmT3_T4_T5_T6_T7_T9_mT8_P12ihipStream_tbDpT10_ENKUlT_T0_E_clISt17integral_constantIbLb1EES1B_EEDaS16_S17_EUlS16_E_NS1_11comp_targetILNS1_3genE3ELNS1_11target_archE908ELNS1_3gpuE7ELNS1_3repE0EEENS1_30default_config_static_selectorELNS0_4arch9wavefront6targetE1EEEvT1_
; %bb.0:
	.section	.rodata,"a",@progbits
	.p2align	6, 0x0
	.amdhsa_kernel _ZN7rocprim17ROCPRIM_400000_NS6detail17trampoline_kernelINS0_14default_configENS1_25partition_config_selectorILNS1_17partition_subalgoE1EiNS0_10empty_typeEbEEZZNS1_14partition_implILS5_1ELb0ES3_jN6thrust23THRUST_200600_302600_NS6detail15normal_iteratorINSA_10device_ptrIiEEEEPS6_NSA_18transform_iteratorI7is_evenIiESF_NSA_11use_defaultESK_EENS0_5tupleIJNSA_16discard_iteratorISK_EESO_EEENSM_IJSG_SG_EEES6_PlJS6_EEE10hipError_tPvRmT3_T4_T5_T6_T7_T9_mT8_P12ihipStream_tbDpT10_ENKUlT_T0_E_clISt17integral_constantIbLb1EES1B_EEDaS16_S17_EUlS16_E_NS1_11comp_targetILNS1_3genE3ELNS1_11target_archE908ELNS1_3gpuE7ELNS1_3repE0EEENS1_30default_config_static_selectorELNS0_4arch9wavefront6targetE1EEEvT1_
		.amdhsa_group_segment_fixed_size 0
		.amdhsa_private_segment_fixed_size 0
		.amdhsa_kernarg_size 160
		.amdhsa_user_sgpr_count 6
		.amdhsa_user_sgpr_private_segment_buffer 1
		.amdhsa_user_sgpr_dispatch_ptr 0
		.amdhsa_user_sgpr_queue_ptr 0
		.amdhsa_user_sgpr_kernarg_segment_ptr 1
		.amdhsa_user_sgpr_dispatch_id 0
		.amdhsa_user_sgpr_flat_scratch_init 0
		.amdhsa_user_sgpr_kernarg_preload_length 0
		.amdhsa_user_sgpr_kernarg_preload_offset 0
		.amdhsa_user_sgpr_private_segment_size 0
		.amdhsa_uses_dynamic_stack 0
		.amdhsa_system_sgpr_private_segment_wavefront_offset 0
		.amdhsa_system_sgpr_workgroup_id_x 1
		.amdhsa_system_sgpr_workgroup_id_y 0
		.amdhsa_system_sgpr_workgroup_id_z 0
		.amdhsa_system_sgpr_workgroup_info 0
		.amdhsa_system_vgpr_workitem_id 0
		.amdhsa_next_free_vgpr 1
		.amdhsa_next_free_sgpr 0
		.amdhsa_accum_offset 4
		.amdhsa_reserve_vcc 0
		.amdhsa_reserve_flat_scratch 0
		.amdhsa_float_round_mode_32 0
		.amdhsa_float_round_mode_16_64 0
		.amdhsa_float_denorm_mode_32 3
		.amdhsa_float_denorm_mode_16_64 3
		.amdhsa_dx10_clamp 1
		.amdhsa_ieee_mode 1
		.amdhsa_fp16_overflow 0
		.amdhsa_tg_split 0
		.amdhsa_exception_fp_ieee_invalid_op 0
		.amdhsa_exception_fp_denorm_src 0
		.amdhsa_exception_fp_ieee_div_zero 0
		.amdhsa_exception_fp_ieee_overflow 0
		.amdhsa_exception_fp_ieee_underflow 0
		.amdhsa_exception_fp_ieee_inexact 0
		.amdhsa_exception_int_div_zero 0
	.end_amdhsa_kernel
	.section	.text._ZN7rocprim17ROCPRIM_400000_NS6detail17trampoline_kernelINS0_14default_configENS1_25partition_config_selectorILNS1_17partition_subalgoE1EiNS0_10empty_typeEbEEZZNS1_14partition_implILS5_1ELb0ES3_jN6thrust23THRUST_200600_302600_NS6detail15normal_iteratorINSA_10device_ptrIiEEEEPS6_NSA_18transform_iteratorI7is_evenIiESF_NSA_11use_defaultESK_EENS0_5tupleIJNSA_16discard_iteratorISK_EESO_EEENSM_IJSG_SG_EEES6_PlJS6_EEE10hipError_tPvRmT3_T4_T5_T6_T7_T9_mT8_P12ihipStream_tbDpT10_ENKUlT_T0_E_clISt17integral_constantIbLb1EES1B_EEDaS16_S17_EUlS16_E_NS1_11comp_targetILNS1_3genE3ELNS1_11target_archE908ELNS1_3gpuE7ELNS1_3repE0EEENS1_30default_config_static_selectorELNS0_4arch9wavefront6targetE1EEEvT1_,"axG",@progbits,_ZN7rocprim17ROCPRIM_400000_NS6detail17trampoline_kernelINS0_14default_configENS1_25partition_config_selectorILNS1_17partition_subalgoE1EiNS0_10empty_typeEbEEZZNS1_14partition_implILS5_1ELb0ES3_jN6thrust23THRUST_200600_302600_NS6detail15normal_iteratorINSA_10device_ptrIiEEEEPS6_NSA_18transform_iteratorI7is_evenIiESF_NSA_11use_defaultESK_EENS0_5tupleIJNSA_16discard_iteratorISK_EESO_EEENSM_IJSG_SG_EEES6_PlJS6_EEE10hipError_tPvRmT3_T4_T5_T6_T7_T9_mT8_P12ihipStream_tbDpT10_ENKUlT_T0_E_clISt17integral_constantIbLb1EES1B_EEDaS16_S17_EUlS16_E_NS1_11comp_targetILNS1_3genE3ELNS1_11target_archE908ELNS1_3gpuE7ELNS1_3repE0EEENS1_30default_config_static_selectorELNS0_4arch9wavefront6targetE1EEEvT1_,comdat
.Lfunc_end3270:
	.size	_ZN7rocprim17ROCPRIM_400000_NS6detail17trampoline_kernelINS0_14default_configENS1_25partition_config_selectorILNS1_17partition_subalgoE1EiNS0_10empty_typeEbEEZZNS1_14partition_implILS5_1ELb0ES3_jN6thrust23THRUST_200600_302600_NS6detail15normal_iteratorINSA_10device_ptrIiEEEEPS6_NSA_18transform_iteratorI7is_evenIiESF_NSA_11use_defaultESK_EENS0_5tupleIJNSA_16discard_iteratorISK_EESO_EEENSM_IJSG_SG_EEES6_PlJS6_EEE10hipError_tPvRmT3_T4_T5_T6_T7_T9_mT8_P12ihipStream_tbDpT10_ENKUlT_T0_E_clISt17integral_constantIbLb1EES1B_EEDaS16_S17_EUlS16_E_NS1_11comp_targetILNS1_3genE3ELNS1_11target_archE908ELNS1_3gpuE7ELNS1_3repE0EEENS1_30default_config_static_selectorELNS0_4arch9wavefront6targetE1EEEvT1_, .Lfunc_end3270-_ZN7rocprim17ROCPRIM_400000_NS6detail17trampoline_kernelINS0_14default_configENS1_25partition_config_selectorILNS1_17partition_subalgoE1EiNS0_10empty_typeEbEEZZNS1_14partition_implILS5_1ELb0ES3_jN6thrust23THRUST_200600_302600_NS6detail15normal_iteratorINSA_10device_ptrIiEEEEPS6_NSA_18transform_iteratorI7is_evenIiESF_NSA_11use_defaultESK_EENS0_5tupleIJNSA_16discard_iteratorISK_EESO_EEENSM_IJSG_SG_EEES6_PlJS6_EEE10hipError_tPvRmT3_T4_T5_T6_T7_T9_mT8_P12ihipStream_tbDpT10_ENKUlT_T0_E_clISt17integral_constantIbLb1EES1B_EEDaS16_S17_EUlS16_E_NS1_11comp_targetILNS1_3genE3ELNS1_11target_archE908ELNS1_3gpuE7ELNS1_3repE0EEENS1_30default_config_static_selectorELNS0_4arch9wavefront6targetE1EEEvT1_
                                        ; -- End function
	.section	.AMDGPU.csdata,"",@progbits
; Kernel info:
; codeLenInByte = 0
; NumSgprs: 4
; NumVgprs: 0
; NumAgprs: 0
; TotalNumVgprs: 0
; ScratchSize: 0
; MemoryBound: 0
; FloatMode: 240
; IeeeMode: 1
; LDSByteSize: 0 bytes/workgroup (compile time only)
; SGPRBlocks: 0
; VGPRBlocks: 0
; NumSGPRsForWavesPerEU: 4
; NumVGPRsForWavesPerEU: 1
; AccumOffset: 4
; Occupancy: 8
; WaveLimiterHint : 0
; COMPUTE_PGM_RSRC2:SCRATCH_EN: 0
; COMPUTE_PGM_RSRC2:USER_SGPR: 6
; COMPUTE_PGM_RSRC2:TRAP_HANDLER: 0
; COMPUTE_PGM_RSRC2:TGID_X_EN: 1
; COMPUTE_PGM_RSRC2:TGID_Y_EN: 0
; COMPUTE_PGM_RSRC2:TGID_Z_EN: 0
; COMPUTE_PGM_RSRC2:TIDIG_COMP_CNT: 0
; COMPUTE_PGM_RSRC3_GFX90A:ACCUM_OFFSET: 0
; COMPUTE_PGM_RSRC3_GFX90A:TG_SPLIT: 0
	.section	.text._ZN7rocprim17ROCPRIM_400000_NS6detail17trampoline_kernelINS0_14default_configENS1_25partition_config_selectorILNS1_17partition_subalgoE1EiNS0_10empty_typeEbEEZZNS1_14partition_implILS5_1ELb0ES3_jN6thrust23THRUST_200600_302600_NS6detail15normal_iteratorINSA_10device_ptrIiEEEEPS6_NSA_18transform_iteratorI7is_evenIiESF_NSA_11use_defaultESK_EENS0_5tupleIJNSA_16discard_iteratorISK_EESO_EEENSM_IJSG_SG_EEES6_PlJS6_EEE10hipError_tPvRmT3_T4_T5_T6_T7_T9_mT8_P12ihipStream_tbDpT10_ENKUlT_T0_E_clISt17integral_constantIbLb1EES1B_EEDaS16_S17_EUlS16_E_NS1_11comp_targetILNS1_3genE2ELNS1_11target_archE906ELNS1_3gpuE6ELNS1_3repE0EEENS1_30default_config_static_selectorELNS0_4arch9wavefront6targetE1EEEvT1_,"axG",@progbits,_ZN7rocprim17ROCPRIM_400000_NS6detail17trampoline_kernelINS0_14default_configENS1_25partition_config_selectorILNS1_17partition_subalgoE1EiNS0_10empty_typeEbEEZZNS1_14partition_implILS5_1ELb0ES3_jN6thrust23THRUST_200600_302600_NS6detail15normal_iteratorINSA_10device_ptrIiEEEEPS6_NSA_18transform_iteratorI7is_evenIiESF_NSA_11use_defaultESK_EENS0_5tupleIJNSA_16discard_iteratorISK_EESO_EEENSM_IJSG_SG_EEES6_PlJS6_EEE10hipError_tPvRmT3_T4_T5_T6_T7_T9_mT8_P12ihipStream_tbDpT10_ENKUlT_T0_E_clISt17integral_constantIbLb1EES1B_EEDaS16_S17_EUlS16_E_NS1_11comp_targetILNS1_3genE2ELNS1_11target_archE906ELNS1_3gpuE6ELNS1_3repE0EEENS1_30default_config_static_selectorELNS0_4arch9wavefront6targetE1EEEvT1_,comdat
	.protected	_ZN7rocprim17ROCPRIM_400000_NS6detail17trampoline_kernelINS0_14default_configENS1_25partition_config_selectorILNS1_17partition_subalgoE1EiNS0_10empty_typeEbEEZZNS1_14partition_implILS5_1ELb0ES3_jN6thrust23THRUST_200600_302600_NS6detail15normal_iteratorINSA_10device_ptrIiEEEEPS6_NSA_18transform_iteratorI7is_evenIiESF_NSA_11use_defaultESK_EENS0_5tupleIJNSA_16discard_iteratorISK_EESO_EEENSM_IJSG_SG_EEES6_PlJS6_EEE10hipError_tPvRmT3_T4_T5_T6_T7_T9_mT8_P12ihipStream_tbDpT10_ENKUlT_T0_E_clISt17integral_constantIbLb1EES1B_EEDaS16_S17_EUlS16_E_NS1_11comp_targetILNS1_3genE2ELNS1_11target_archE906ELNS1_3gpuE6ELNS1_3repE0EEENS1_30default_config_static_selectorELNS0_4arch9wavefront6targetE1EEEvT1_ ; -- Begin function _ZN7rocprim17ROCPRIM_400000_NS6detail17trampoline_kernelINS0_14default_configENS1_25partition_config_selectorILNS1_17partition_subalgoE1EiNS0_10empty_typeEbEEZZNS1_14partition_implILS5_1ELb0ES3_jN6thrust23THRUST_200600_302600_NS6detail15normal_iteratorINSA_10device_ptrIiEEEEPS6_NSA_18transform_iteratorI7is_evenIiESF_NSA_11use_defaultESK_EENS0_5tupleIJNSA_16discard_iteratorISK_EESO_EEENSM_IJSG_SG_EEES6_PlJS6_EEE10hipError_tPvRmT3_T4_T5_T6_T7_T9_mT8_P12ihipStream_tbDpT10_ENKUlT_T0_E_clISt17integral_constantIbLb1EES1B_EEDaS16_S17_EUlS16_E_NS1_11comp_targetILNS1_3genE2ELNS1_11target_archE906ELNS1_3gpuE6ELNS1_3repE0EEENS1_30default_config_static_selectorELNS0_4arch9wavefront6targetE1EEEvT1_
	.globl	_ZN7rocprim17ROCPRIM_400000_NS6detail17trampoline_kernelINS0_14default_configENS1_25partition_config_selectorILNS1_17partition_subalgoE1EiNS0_10empty_typeEbEEZZNS1_14partition_implILS5_1ELb0ES3_jN6thrust23THRUST_200600_302600_NS6detail15normal_iteratorINSA_10device_ptrIiEEEEPS6_NSA_18transform_iteratorI7is_evenIiESF_NSA_11use_defaultESK_EENS0_5tupleIJNSA_16discard_iteratorISK_EESO_EEENSM_IJSG_SG_EEES6_PlJS6_EEE10hipError_tPvRmT3_T4_T5_T6_T7_T9_mT8_P12ihipStream_tbDpT10_ENKUlT_T0_E_clISt17integral_constantIbLb1EES1B_EEDaS16_S17_EUlS16_E_NS1_11comp_targetILNS1_3genE2ELNS1_11target_archE906ELNS1_3gpuE6ELNS1_3repE0EEENS1_30default_config_static_selectorELNS0_4arch9wavefront6targetE1EEEvT1_
	.p2align	8
	.type	_ZN7rocprim17ROCPRIM_400000_NS6detail17trampoline_kernelINS0_14default_configENS1_25partition_config_selectorILNS1_17partition_subalgoE1EiNS0_10empty_typeEbEEZZNS1_14partition_implILS5_1ELb0ES3_jN6thrust23THRUST_200600_302600_NS6detail15normal_iteratorINSA_10device_ptrIiEEEEPS6_NSA_18transform_iteratorI7is_evenIiESF_NSA_11use_defaultESK_EENS0_5tupleIJNSA_16discard_iteratorISK_EESO_EEENSM_IJSG_SG_EEES6_PlJS6_EEE10hipError_tPvRmT3_T4_T5_T6_T7_T9_mT8_P12ihipStream_tbDpT10_ENKUlT_T0_E_clISt17integral_constantIbLb1EES1B_EEDaS16_S17_EUlS16_E_NS1_11comp_targetILNS1_3genE2ELNS1_11target_archE906ELNS1_3gpuE6ELNS1_3repE0EEENS1_30default_config_static_selectorELNS0_4arch9wavefront6targetE1EEEvT1_,@function
_ZN7rocprim17ROCPRIM_400000_NS6detail17trampoline_kernelINS0_14default_configENS1_25partition_config_selectorILNS1_17partition_subalgoE1EiNS0_10empty_typeEbEEZZNS1_14partition_implILS5_1ELb0ES3_jN6thrust23THRUST_200600_302600_NS6detail15normal_iteratorINSA_10device_ptrIiEEEEPS6_NSA_18transform_iteratorI7is_evenIiESF_NSA_11use_defaultESK_EENS0_5tupleIJNSA_16discard_iteratorISK_EESO_EEENSM_IJSG_SG_EEES6_PlJS6_EEE10hipError_tPvRmT3_T4_T5_T6_T7_T9_mT8_P12ihipStream_tbDpT10_ENKUlT_T0_E_clISt17integral_constantIbLb1EES1B_EEDaS16_S17_EUlS16_E_NS1_11comp_targetILNS1_3genE2ELNS1_11target_archE906ELNS1_3gpuE6ELNS1_3repE0EEENS1_30default_config_static_selectorELNS0_4arch9wavefront6targetE1EEEvT1_: ; @_ZN7rocprim17ROCPRIM_400000_NS6detail17trampoline_kernelINS0_14default_configENS1_25partition_config_selectorILNS1_17partition_subalgoE1EiNS0_10empty_typeEbEEZZNS1_14partition_implILS5_1ELb0ES3_jN6thrust23THRUST_200600_302600_NS6detail15normal_iteratorINSA_10device_ptrIiEEEEPS6_NSA_18transform_iteratorI7is_evenIiESF_NSA_11use_defaultESK_EENS0_5tupleIJNSA_16discard_iteratorISK_EESO_EEENSM_IJSG_SG_EEES6_PlJS6_EEE10hipError_tPvRmT3_T4_T5_T6_T7_T9_mT8_P12ihipStream_tbDpT10_ENKUlT_T0_E_clISt17integral_constantIbLb1EES1B_EEDaS16_S17_EUlS16_E_NS1_11comp_targetILNS1_3genE2ELNS1_11target_archE906ELNS1_3gpuE6ELNS1_3repE0EEENS1_30default_config_static_selectorELNS0_4arch9wavefront6targetE1EEEvT1_
; %bb.0:
	.section	.rodata,"a",@progbits
	.p2align	6, 0x0
	.amdhsa_kernel _ZN7rocprim17ROCPRIM_400000_NS6detail17trampoline_kernelINS0_14default_configENS1_25partition_config_selectorILNS1_17partition_subalgoE1EiNS0_10empty_typeEbEEZZNS1_14partition_implILS5_1ELb0ES3_jN6thrust23THRUST_200600_302600_NS6detail15normal_iteratorINSA_10device_ptrIiEEEEPS6_NSA_18transform_iteratorI7is_evenIiESF_NSA_11use_defaultESK_EENS0_5tupleIJNSA_16discard_iteratorISK_EESO_EEENSM_IJSG_SG_EEES6_PlJS6_EEE10hipError_tPvRmT3_T4_T5_T6_T7_T9_mT8_P12ihipStream_tbDpT10_ENKUlT_T0_E_clISt17integral_constantIbLb1EES1B_EEDaS16_S17_EUlS16_E_NS1_11comp_targetILNS1_3genE2ELNS1_11target_archE906ELNS1_3gpuE6ELNS1_3repE0EEENS1_30default_config_static_selectorELNS0_4arch9wavefront6targetE1EEEvT1_
		.amdhsa_group_segment_fixed_size 0
		.amdhsa_private_segment_fixed_size 0
		.amdhsa_kernarg_size 160
		.amdhsa_user_sgpr_count 6
		.amdhsa_user_sgpr_private_segment_buffer 1
		.amdhsa_user_sgpr_dispatch_ptr 0
		.amdhsa_user_sgpr_queue_ptr 0
		.amdhsa_user_sgpr_kernarg_segment_ptr 1
		.amdhsa_user_sgpr_dispatch_id 0
		.amdhsa_user_sgpr_flat_scratch_init 0
		.amdhsa_user_sgpr_kernarg_preload_length 0
		.amdhsa_user_sgpr_kernarg_preload_offset 0
		.amdhsa_user_sgpr_private_segment_size 0
		.amdhsa_uses_dynamic_stack 0
		.amdhsa_system_sgpr_private_segment_wavefront_offset 0
		.amdhsa_system_sgpr_workgroup_id_x 1
		.amdhsa_system_sgpr_workgroup_id_y 0
		.amdhsa_system_sgpr_workgroup_id_z 0
		.amdhsa_system_sgpr_workgroup_info 0
		.amdhsa_system_vgpr_workitem_id 0
		.amdhsa_next_free_vgpr 1
		.amdhsa_next_free_sgpr 0
		.amdhsa_accum_offset 4
		.amdhsa_reserve_vcc 0
		.amdhsa_reserve_flat_scratch 0
		.amdhsa_float_round_mode_32 0
		.amdhsa_float_round_mode_16_64 0
		.amdhsa_float_denorm_mode_32 3
		.amdhsa_float_denorm_mode_16_64 3
		.amdhsa_dx10_clamp 1
		.amdhsa_ieee_mode 1
		.amdhsa_fp16_overflow 0
		.amdhsa_tg_split 0
		.amdhsa_exception_fp_ieee_invalid_op 0
		.amdhsa_exception_fp_denorm_src 0
		.amdhsa_exception_fp_ieee_div_zero 0
		.amdhsa_exception_fp_ieee_overflow 0
		.amdhsa_exception_fp_ieee_underflow 0
		.amdhsa_exception_fp_ieee_inexact 0
		.amdhsa_exception_int_div_zero 0
	.end_amdhsa_kernel
	.section	.text._ZN7rocprim17ROCPRIM_400000_NS6detail17trampoline_kernelINS0_14default_configENS1_25partition_config_selectorILNS1_17partition_subalgoE1EiNS0_10empty_typeEbEEZZNS1_14partition_implILS5_1ELb0ES3_jN6thrust23THRUST_200600_302600_NS6detail15normal_iteratorINSA_10device_ptrIiEEEEPS6_NSA_18transform_iteratorI7is_evenIiESF_NSA_11use_defaultESK_EENS0_5tupleIJNSA_16discard_iteratorISK_EESO_EEENSM_IJSG_SG_EEES6_PlJS6_EEE10hipError_tPvRmT3_T4_T5_T6_T7_T9_mT8_P12ihipStream_tbDpT10_ENKUlT_T0_E_clISt17integral_constantIbLb1EES1B_EEDaS16_S17_EUlS16_E_NS1_11comp_targetILNS1_3genE2ELNS1_11target_archE906ELNS1_3gpuE6ELNS1_3repE0EEENS1_30default_config_static_selectorELNS0_4arch9wavefront6targetE1EEEvT1_,"axG",@progbits,_ZN7rocprim17ROCPRIM_400000_NS6detail17trampoline_kernelINS0_14default_configENS1_25partition_config_selectorILNS1_17partition_subalgoE1EiNS0_10empty_typeEbEEZZNS1_14partition_implILS5_1ELb0ES3_jN6thrust23THRUST_200600_302600_NS6detail15normal_iteratorINSA_10device_ptrIiEEEEPS6_NSA_18transform_iteratorI7is_evenIiESF_NSA_11use_defaultESK_EENS0_5tupleIJNSA_16discard_iteratorISK_EESO_EEENSM_IJSG_SG_EEES6_PlJS6_EEE10hipError_tPvRmT3_T4_T5_T6_T7_T9_mT8_P12ihipStream_tbDpT10_ENKUlT_T0_E_clISt17integral_constantIbLb1EES1B_EEDaS16_S17_EUlS16_E_NS1_11comp_targetILNS1_3genE2ELNS1_11target_archE906ELNS1_3gpuE6ELNS1_3repE0EEENS1_30default_config_static_selectorELNS0_4arch9wavefront6targetE1EEEvT1_,comdat
.Lfunc_end3271:
	.size	_ZN7rocprim17ROCPRIM_400000_NS6detail17trampoline_kernelINS0_14default_configENS1_25partition_config_selectorILNS1_17partition_subalgoE1EiNS0_10empty_typeEbEEZZNS1_14partition_implILS5_1ELb0ES3_jN6thrust23THRUST_200600_302600_NS6detail15normal_iteratorINSA_10device_ptrIiEEEEPS6_NSA_18transform_iteratorI7is_evenIiESF_NSA_11use_defaultESK_EENS0_5tupleIJNSA_16discard_iteratorISK_EESO_EEENSM_IJSG_SG_EEES6_PlJS6_EEE10hipError_tPvRmT3_T4_T5_T6_T7_T9_mT8_P12ihipStream_tbDpT10_ENKUlT_T0_E_clISt17integral_constantIbLb1EES1B_EEDaS16_S17_EUlS16_E_NS1_11comp_targetILNS1_3genE2ELNS1_11target_archE906ELNS1_3gpuE6ELNS1_3repE0EEENS1_30default_config_static_selectorELNS0_4arch9wavefront6targetE1EEEvT1_, .Lfunc_end3271-_ZN7rocprim17ROCPRIM_400000_NS6detail17trampoline_kernelINS0_14default_configENS1_25partition_config_selectorILNS1_17partition_subalgoE1EiNS0_10empty_typeEbEEZZNS1_14partition_implILS5_1ELb0ES3_jN6thrust23THRUST_200600_302600_NS6detail15normal_iteratorINSA_10device_ptrIiEEEEPS6_NSA_18transform_iteratorI7is_evenIiESF_NSA_11use_defaultESK_EENS0_5tupleIJNSA_16discard_iteratorISK_EESO_EEENSM_IJSG_SG_EEES6_PlJS6_EEE10hipError_tPvRmT3_T4_T5_T6_T7_T9_mT8_P12ihipStream_tbDpT10_ENKUlT_T0_E_clISt17integral_constantIbLb1EES1B_EEDaS16_S17_EUlS16_E_NS1_11comp_targetILNS1_3genE2ELNS1_11target_archE906ELNS1_3gpuE6ELNS1_3repE0EEENS1_30default_config_static_selectorELNS0_4arch9wavefront6targetE1EEEvT1_
                                        ; -- End function
	.section	.AMDGPU.csdata,"",@progbits
; Kernel info:
; codeLenInByte = 0
; NumSgprs: 4
; NumVgprs: 0
; NumAgprs: 0
; TotalNumVgprs: 0
; ScratchSize: 0
; MemoryBound: 0
; FloatMode: 240
; IeeeMode: 1
; LDSByteSize: 0 bytes/workgroup (compile time only)
; SGPRBlocks: 0
; VGPRBlocks: 0
; NumSGPRsForWavesPerEU: 4
; NumVGPRsForWavesPerEU: 1
; AccumOffset: 4
; Occupancy: 8
; WaveLimiterHint : 0
; COMPUTE_PGM_RSRC2:SCRATCH_EN: 0
; COMPUTE_PGM_RSRC2:USER_SGPR: 6
; COMPUTE_PGM_RSRC2:TRAP_HANDLER: 0
; COMPUTE_PGM_RSRC2:TGID_X_EN: 1
; COMPUTE_PGM_RSRC2:TGID_Y_EN: 0
; COMPUTE_PGM_RSRC2:TGID_Z_EN: 0
; COMPUTE_PGM_RSRC2:TIDIG_COMP_CNT: 0
; COMPUTE_PGM_RSRC3_GFX90A:ACCUM_OFFSET: 0
; COMPUTE_PGM_RSRC3_GFX90A:TG_SPLIT: 0
	.section	.text._ZN7rocprim17ROCPRIM_400000_NS6detail17trampoline_kernelINS0_14default_configENS1_25partition_config_selectorILNS1_17partition_subalgoE1EiNS0_10empty_typeEbEEZZNS1_14partition_implILS5_1ELb0ES3_jN6thrust23THRUST_200600_302600_NS6detail15normal_iteratorINSA_10device_ptrIiEEEEPS6_NSA_18transform_iteratorI7is_evenIiESF_NSA_11use_defaultESK_EENS0_5tupleIJNSA_16discard_iteratorISK_EESO_EEENSM_IJSG_SG_EEES6_PlJS6_EEE10hipError_tPvRmT3_T4_T5_T6_T7_T9_mT8_P12ihipStream_tbDpT10_ENKUlT_T0_E_clISt17integral_constantIbLb1EES1B_EEDaS16_S17_EUlS16_E_NS1_11comp_targetILNS1_3genE10ELNS1_11target_archE1200ELNS1_3gpuE4ELNS1_3repE0EEENS1_30default_config_static_selectorELNS0_4arch9wavefront6targetE1EEEvT1_,"axG",@progbits,_ZN7rocprim17ROCPRIM_400000_NS6detail17trampoline_kernelINS0_14default_configENS1_25partition_config_selectorILNS1_17partition_subalgoE1EiNS0_10empty_typeEbEEZZNS1_14partition_implILS5_1ELb0ES3_jN6thrust23THRUST_200600_302600_NS6detail15normal_iteratorINSA_10device_ptrIiEEEEPS6_NSA_18transform_iteratorI7is_evenIiESF_NSA_11use_defaultESK_EENS0_5tupleIJNSA_16discard_iteratorISK_EESO_EEENSM_IJSG_SG_EEES6_PlJS6_EEE10hipError_tPvRmT3_T4_T5_T6_T7_T9_mT8_P12ihipStream_tbDpT10_ENKUlT_T0_E_clISt17integral_constantIbLb1EES1B_EEDaS16_S17_EUlS16_E_NS1_11comp_targetILNS1_3genE10ELNS1_11target_archE1200ELNS1_3gpuE4ELNS1_3repE0EEENS1_30default_config_static_selectorELNS0_4arch9wavefront6targetE1EEEvT1_,comdat
	.protected	_ZN7rocprim17ROCPRIM_400000_NS6detail17trampoline_kernelINS0_14default_configENS1_25partition_config_selectorILNS1_17partition_subalgoE1EiNS0_10empty_typeEbEEZZNS1_14partition_implILS5_1ELb0ES3_jN6thrust23THRUST_200600_302600_NS6detail15normal_iteratorINSA_10device_ptrIiEEEEPS6_NSA_18transform_iteratorI7is_evenIiESF_NSA_11use_defaultESK_EENS0_5tupleIJNSA_16discard_iteratorISK_EESO_EEENSM_IJSG_SG_EEES6_PlJS6_EEE10hipError_tPvRmT3_T4_T5_T6_T7_T9_mT8_P12ihipStream_tbDpT10_ENKUlT_T0_E_clISt17integral_constantIbLb1EES1B_EEDaS16_S17_EUlS16_E_NS1_11comp_targetILNS1_3genE10ELNS1_11target_archE1200ELNS1_3gpuE4ELNS1_3repE0EEENS1_30default_config_static_selectorELNS0_4arch9wavefront6targetE1EEEvT1_ ; -- Begin function _ZN7rocprim17ROCPRIM_400000_NS6detail17trampoline_kernelINS0_14default_configENS1_25partition_config_selectorILNS1_17partition_subalgoE1EiNS0_10empty_typeEbEEZZNS1_14partition_implILS5_1ELb0ES3_jN6thrust23THRUST_200600_302600_NS6detail15normal_iteratorINSA_10device_ptrIiEEEEPS6_NSA_18transform_iteratorI7is_evenIiESF_NSA_11use_defaultESK_EENS0_5tupleIJNSA_16discard_iteratorISK_EESO_EEENSM_IJSG_SG_EEES6_PlJS6_EEE10hipError_tPvRmT3_T4_T5_T6_T7_T9_mT8_P12ihipStream_tbDpT10_ENKUlT_T0_E_clISt17integral_constantIbLb1EES1B_EEDaS16_S17_EUlS16_E_NS1_11comp_targetILNS1_3genE10ELNS1_11target_archE1200ELNS1_3gpuE4ELNS1_3repE0EEENS1_30default_config_static_selectorELNS0_4arch9wavefront6targetE1EEEvT1_
	.globl	_ZN7rocprim17ROCPRIM_400000_NS6detail17trampoline_kernelINS0_14default_configENS1_25partition_config_selectorILNS1_17partition_subalgoE1EiNS0_10empty_typeEbEEZZNS1_14partition_implILS5_1ELb0ES3_jN6thrust23THRUST_200600_302600_NS6detail15normal_iteratorINSA_10device_ptrIiEEEEPS6_NSA_18transform_iteratorI7is_evenIiESF_NSA_11use_defaultESK_EENS0_5tupleIJNSA_16discard_iteratorISK_EESO_EEENSM_IJSG_SG_EEES6_PlJS6_EEE10hipError_tPvRmT3_T4_T5_T6_T7_T9_mT8_P12ihipStream_tbDpT10_ENKUlT_T0_E_clISt17integral_constantIbLb1EES1B_EEDaS16_S17_EUlS16_E_NS1_11comp_targetILNS1_3genE10ELNS1_11target_archE1200ELNS1_3gpuE4ELNS1_3repE0EEENS1_30default_config_static_selectorELNS0_4arch9wavefront6targetE1EEEvT1_
	.p2align	8
	.type	_ZN7rocprim17ROCPRIM_400000_NS6detail17trampoline_kernelINS0_14default_configENS1_25partition_config_selectorILNS1_17partition_subalgoE1EiNS0_10empty_typeEbEEZZNS1_14partition_implILS5_1ELb0ES3_jN6thrust23THRUST_200600_302600_NS6detail15normal_iteratorINSA_10device_ptrIiEEEEPS6_NSA_18transform_iteratorI7is_evenIiESF_NSA_11use_defaultESK_EENS0_5tupleIJNSA_16discard_iteratorISK_EESO_EEENSM_IJSG_SG_EEES6_PlJS6_EEE10hipError_tPvRmT3_T4_T5_T6_T7_T9_mT8_P12ihipStream_tbDpT10_ENKUlT_T0_E_clISt17integral_constantIbLb1EES1B_EEDaS16_S17_EUlS16_E_NS1_11comp_targetILNS1_3genE10ELNS1_11target_archE1200ELNS1_3gpuE4ELNS1_3repE0EEENS1_30default_config_static_selectorELNS0_4arch9wavefront6targetE1EEEvT1_,@function
_ZN7rocprim17ROCPRIM_400000_NS6detail17trampoline_kernelINS0_14default_configENS1_25partition_config_selectorILNS1_17partition_subalgoE1EiNS0_10empty_typeEbEEZZNS1_14partition_implILS5_1ELb0ES3_jN6thrust23THRUST_200600_302600_NS6detail15normal_iteratorINSA_10device_ptrIiEEEEPS6_NSA_18transform_iteratorI7is_evenIiESF_NSA_11use_defaultESK_EENS0_5tupleIJNSA_16discard_iteratorISK_EESO_EEENSM_IJSG_SG_EEES6_PlJS6_EEE10hipError_tPvRmT3_T4_T5_T6_T7_T9_mT8_P12ihipStream_tbDpT10_ENKUlT_T0_E_clISt17integral_constantIbLb1EES1B_EEDaS16_S17_EUlS16_E_NS1_11comp_targetILNS1_3genE10ELNS1_11target_archE1200ELNS1_3gpuE4ELNS1_3repE0EEENS1_30default_config_static_selectorELNS0_4arch9wavefront6targetE1EEEvT1_: ; @_ZN7rocprim17ROCPRIM_400000_NS6detail17trampoline_kernelINS0_14default_configENS1_25partition_config_selectorILNS1_17partition_subalgoE1EiNS0_10empty_typeEbEEZZNS1_14partition_implILS5_1ELb0ES3_jN6thrust23THRUST_200600_302600_NS6detail15normal_iteratorINSA_10device_ptrIiEEEEPS6_NSA_18transform_iteratorI7is_evenIiESF_NSA_11use_defaultESK_EENS0_5tupleIJNSA_16discard_iteratorISK_EESO_EEENSM_IJSG_SG_EEES6_PlJS6_EEE10hipError_tPvRmT3_T4_T5_T6_T7_T9_mT8_P12ihipStream_tbDpT10_ENKUlT_T0_E_clISt17integral_constantIbLb1EES1B_EEDaS16_S17_EUlS16_E_NS1_11comp_targetILNS1_3genE10ELNS1_11target_archE1200ELNS1_3gpuE4ELNS1_3repE0EEENS1_30default_config_static_selectorELNS0_4arch9wavefront6targetE1EEEvT1_
; %bb.0:
	.section	.rodata,"a",@progbits
	.p2align	6, 0x0
	.amdhsa_kernel _ZN7rocprim17ROCPRIM_400000_NS6detail17trampoline_kernelINS0_14default_configENS1_25partition_config_selectorILNS1_17partition_subalgoE1EiNS0_10empty_typeEbEEZZNS1_14partition_implILS5_1ELb0ES3_jN6thrust23THRUST_200600_302600_NS6detail15normal_iteratorINSA_10device_ptrIiEEEEPS6_NSA_18transform_iteratorI7is_evenIiESF_NSA_11use_defaultESK_EENS0_5tupleIJNSA_16discard_iteratorISK_EESO_EEENSM_IJSG_SG_EEES6_PlJS6_EEE10hipError_tPvRmT3_T4_T5_T6_T7_T9_mT8_P12ihipStream_tbDpT10_ENKUlT_T0_E_clISt17integral_constantIbLb1EES1B_EEDaS16_S17_EUlS16_E_NS1_11comp_targetILNS1_3genE10ELNS1_11target_archE1200ELNS1_3gpuE4ELNS1_3repE0EEENS1_30default_config_static_selectorELNS0_4arch9wavefront6targetE1EEEvT1_
		.amdhsa_group_segment_fixed_size 0
		.amdhsa_private_segment_fixed_size 0
		.amdhsa_kernarg_size 160
		.amdhsa_user_sgpr_count 6
		.amdhsa_user_sgpr_private_segment_buffer 1
		.amdhsa_user_sgpr_dispatch_ptr 0
		.amdhsa_user_sgpr_queue_ptr 0
		.amdhsa_user_sgpr_kernarg_segment_ptr 1
		.amdhsa_user_sgpr_dispatch_id 0
		.amdhsa_user_sgpr_flat_scratch_init 0
		.amdhsa_user_sgpr_kernarg_preload_length 0
		.amdhsa_user_sgpr_kernarg_preload_offset 0
		.amdhsa_user_sgpr_private_segment_size 0
		.amdhsa_uses_dynamic_stack 0
		.amdhsa_system_sgpr_private_segment_wavefront_offset 0
		.amdhsa_system_sgpr_workgroup_id_x 1
		.amdhsa_system_sgpr_workgroup_id_y 0
		.amdhsa_system_sgpr_workgroup_id_z 0
		.amdhsa_system_sgpr_workgroup_info 0
		.amdhsa_system_vgpr_workitem_id 0
		.amdhsa_next_free_vgpr 1
		.amdhsa_next_free_sgpr 0
		.amdhsa_accum_offset 4
		.amdhsa_reserve_vcc 0
		.amdhsa_reserve_flat_scratch 0
		.amdhsa_float_round_mode_32 0
		.amdhsa_float_round_mode_16_64 0
		.amdhsa_float_denorm_mode_32 3
		.amdhsa_float_denorm_mode_16_64 3
		.amdhsa_dx10_clamp 1
		.amdhsa_ieee_mode 1
		.amdhsa_fp16_overflow 0
		.amdhsa_tg_split 0
		.amdhsa_exception_fp_ieee_invalid_op 0
		.amdhsa_exception_fp_denorm_src 0
		.amdhsa_exception_fp_ieee_div_zero 0
		.amdhsa_exception_fp_ieee_overflow 0
		.amdhsa_exception_fp_ieee_underflow 0
		.amdhsa_exception_fp_ieee_inexact 0
		.amdhsa_exception_int_div_zero 0
	.end_amdhsa_kernel
	.section	.text._ZN7rocprim17ROCPRIM_400000_NS6detail17trampoline_kernelINS0_14default_configENS1_25partition_config_selectorILNS1_17partition_subalgoE1EiNS0_10empty_typeEbEEZZNS1_14partition_implILS5_1ELb0ES3_jN6thrust23THRUST_200600_302600_NS6detail15normal_iteratorINSA_10device_ptrIiEEEEPS6_NSA_18transform_iteratorI7is_evenIiESF_NSA_11use_defaultESK_EENS0_5tupleIJNSA_16discard_iteratorISK_EESO_EEENSM_IJSG_SG_EEES6_PlJS6_EEE10hipError_tPvRmT3_T4_T5_T6_T7_T9_mT8_P12ihipStream_tbDpT10_ENKUlT_T0_E_clISt17integral_constantIbLb1EES1B_EEDaS16_S17_EUlS16_E_NS1_11comp_targetILNS1_3genE10ELNS1_11target_archE1200ELNS1_3gpuE4ELNS1_3repE0EEENS1_30default_config_static_selectorELNS0_4arch9wavefront6targetE1EEEvT1_,"axG",@progbits,_ZN7rocprim17ROCPRIM_400000_NS6detail17trampoline_kernelINS0_14default_configENS1_25partition_config_selectorILNS1_17partition_subalgoE1EiNS0_10empty_typeEbEEZZNS1_14partition_implILS5_1ELb0ES3_jN6thrust23THRUST_200600_302600_NS6detail15normal_iteratorINSA_10device_ptrIiEEEEPS6_NSA_18transform_iteratorI7is_evenIiESF_NSA_11use_defaultESK_EENS0_5tupleIJNSA_16discard_iteratorISK_EESO_EEENSM_IJSG_SG_EEES6_PlJS6_EEE10hipError_tPvRmT3_T4_T5_T6_T7_T9_mT8_P12ihipStream_tbDpT10_ENKUlT_T0_E_clISt17integral_constantIbLb1EES1B_EEDaS16_S17_EUlS16_E_NS1_11comp_targetILNS1_3genE10ELNS1_11target_archE1200ELNS1_3gpuE4ELNS1_3repE0EEENS1_30default_config_static_selectorELNS0_4arch9wavefront6targetE1EEEvT1_,comdat
.Lfunc_end3272:
	.size	_ZN7rocprim17ROCPRIM_400000_NS6detail17trampoline_kernelINS0_14default_configENS1_25partition_config_selectorILNS1_17partition_subalgoE1EiNS0_10empty_typeEbEEZZNS1_14partition_implILS5_1ELb0ES3_jN6thrust23THRUST_200600_302600_NS6detail15normal_iteratorINSA_10device_ptrIiEEEEPS6_NSA_18transform_iteratorI7is_evenIiESF_NSA_11use_defaultESK_EENS0_5tupleIJNSA_16discard_iteratorISK_EESO_EEENSM_IJSG_SG_EEES6_PlJS6_EEE10hipError_tPvRmT3_T4_T5_T6_T7_T9_mT8_P12ihipStream_tbDpT10_ENKUlT_T0_E_clISt17integral_constantIbLb1EES1B_EEDaS16_S17_EUlS16_E_NS1_11comp_targetILNS1_3genE10ELNS1_11target_archE1200ELNS1_3gpuE4ELNS1_3repE0EEENS1_30default_config_static_selectorELNS0_4arch9wavefront6targetE1EEEvT1_, .Lfunc_end3272-_ZN7rocprim17ROCPRIM_400000_NS6detail17trampoline_kernelINS0_14default_configENS1_25partition_config_selectorILNS1_17partition_subalgoE1EiNS0_10empty_typeEbEEZZNS1_14partition_implILS5_1ELb0ES3_jN6thrust23THRUST_200600_302600_NS6detail15normal_iteratorINSA_10device_ptrIiEEEEPS6_NSA_18transform_iteratorI7is_evenIiESF_NSA_11use_defaultESK_EENS0_5tupleIJNSA_16discard_iteratorISK_EESO_EEENSM_IJSG_SG_EEES6_PlJS6_EEE10hipError_tPvRmT3_T4_T5_T6_T7_T9_mT8_P12ihipStream_tbDpT10_ENKUlT_T0_E_clISt17integral_constantIbLb1EES1B_EEDaS16_S17_EUlS16_E_NS1_11comp_targetILNS1_3genE10ELNS1_11target_archE1200ELNS1_3gpuE4ELNS1_3repE0EEENS1_30default_config_static_selectorELNS0_4arch9wavefront6targetE1EEEvT1_
                                        ; -- End function
	.section	.AMDGPU.csdata,"",@progbits
; Kernel info:
; codeLenInByte = 0
; NumSgprs: 4
; NumVgprs: 0
; NumAgprs: 0
; TotalNumVgprs: 0
; ScratchSize: 0
; MemoryBound: 0
; FloatMode: 240
; IeeeMode: 1
; LDSByteSize: 0 bytes/workgroup (compile time only)
; SGPRBlocks: 0
; VGPRBlocks: 0
; NumSGPRsForWavesPerEU: 4
; NumVGPRsForWavesPerEU: 1
; AccumOffset: 4
; Occupancy: 8
; WaveLimiterHint : 0
; COMPUTE_PGM_RSRC2:SCRATCH_EN: 0
; COMPUTE_PGM_RSRC2:USER_SGPR: 6
; COMPUTE_PGM_RSRC2:TRAP_HANDLER: 0
; COMPUTE_PGM_RSRC2:TGID_X_EN: 1
; COMPUTE_PGM_RSRC2:TGID_Y_EN: 0
; COMPUTE_PGM_RSRC2:TGID_Z_EN: 0
; COMPUTE_PGM_RSRC2:TIDIG_COMP_CNT: 0
; COMPUTE_PGM_RSRC3_GFX90A:ACCUM_OFFSET: 0
; COMPUTE_PGM_RSRC3_GFX90A:TG_SPLIT: 0
	.section	.text._ZN7rocprim17ROCPRIM_400000_NS6detail17trampoline_kernelINS0_14default_configENS1_25partition_config_selectorILNS1_17partition_subalgoE1EiNS0_10empty_typeEbEEZZNS1_14partition_implILS5_1ELb0ES3_jN6thrust23THRUST_200600_302600_NS6detail15normal_iteratorINSA_10device_ptrIiEEEEPS6_NSA_18transform_iteratorI7is_evenIiESF_NSA_11use_defaultESK_EENS0_5tupleIJNSA_16discard_iteratorISK_EESO_EEENSM_IJSG_SG_EEES6_PlJS6_EEE10hipError_tPvRmT3_T4_T5_T6_T7_T9_mT8_P12ihipStream_tbDpT10_ENKUlT_T0_E_clISt17integral_constantIbLb1EES1B_EEDaS16_S17_EUlS16_E_NS1_11comp_targetILNS1_3genE9ELNS1_11target_archE1100ELNS1_3gpuE3ELNS1_3repE0EEENS1_30default_config_static_selectorELNS0_4arch9wavefront6targetE1EEEvT1_,"axG",@progbits,_ZN7rocprim17ROCPRIM_400000_NS6detail17trampoline_kernelINS0_14default_configENS1_25partition_config_selectorILNS1_17partition_subalgoE1EiNS0_10empty_typeEbEEZZNS1_14partition_implILS5_1ELb0ES3_jN6thrust23THRUST_200600_302600_NS6detail15normal_iteratorINSA_10device_ptrIiEEEEPS6_NSA_18transform_iteratorI7is_evenIiESF_NSA_11use_defaultESK_EENS0_5tupleIJNSA_16discard_iteratorISK_EESO_EEENSM_IJSG_SG_EEES6_PlJS6_EEE10hipError_tPvRmT3_T4_T5_T6_T7_T9_mT8_P12ihipStream_tbDpT10_ENKUlT_T0_E_clISt17integral_constantIbLb1EES1B_EEDaS16_S17_EUlS16_E_NS1_11comp_targetILNS1_3genE9ELNS1_11target_archE1100ELNS1_3gpuE3ELNS1_3repE0EEENS1_30default_config_static_selectorELNS0_4arch9wavefront6targetE1EEEvT1_,comdat
	.protected	_ZN7rocprim17ROCPRIM_400000_NS6detail17trampoline_kernelINS0_14default_configENS1_25partition_config_selectorILNS1_17partition_subalgoE1EiNS0_10empty_typeEbEEZZNS1_14partition_implILS5_1ELb0ES3_jN6thrust23THRUST_200600_302600_NS6detail15normal_iteratorINSA_10device_ptrIiEEEEPS6_NSA_18transform_iteratorI7is_evenIiESF_NSA_11use_defaultESK_EENS0_5tupleIJNSA_16discard_iteratorISK_EESO_EEENSM_IJSG_SG_EEES6_PlJS6_EEE10hipError_tPvRmT3_T4_T5_T6_T7_T9_mT8_P12ihipStream_tbDpT10_ENKUlT_T0_E_clISt17integral_constantIbLb1EES1B_EEDaS16_S17_EUlS16_E_NS1_11comp_targetILNS1_3genE9ELNS1_11target_archE1100ELNS1_3gpuE3ELNS1_3repE0EEENS1_30default_config_static_selectorELNS0_4arch9wavefront6targetE1EEEvT1_ ; -- Begin function _ZN7rocprim17ROCPRIM_400000_NS6detail17trampoline_kernelINS0_14default_configENS1_25partition_config_selectorILNS1_17partition_subalgoE1EiNS0_10empty_typeEbEEZZNS1_14partition_implILS5_1ELb0ES3_jN6thrust23THRUST_200600_302600_NS6detail15normal_iteratorINSA_10device_ptrIiEEEEPS6_NSA_18transform_iteratorI7is_evenIiESF_NSA_11use_defaultESK_EENS0_5tupleIJNSA_16discard_iteratorISK_EESO_EEENSM_IJSG_SG_EEES6_PlJS6_EEE10hipError_tPvRmT3_T4_T5_T6_T7_T9_mT8_P12ihipStream_tbDpT10_ENKUlT_T0_E_clISt17integral_constantIbLb1EES1B_EEDaS16_S17_EUlS16_E_NS1_11comp_targetILNS1_3genE9ELNS1_11target_archE1100ELNS1_3gpuE3ELNS1_3repE0EEENS1_30default_config_static_selectorELNS0_4arch9wavefront6targetE1EEEvT1_
	.globl	_ZN7rocprim17ROCPRIM_400000_NS6detail17trampoline_kernelINS0_14default_configENS1_25partition_config_selectorILNS1_17partition_subalgoE1EiNS0_10empty_typeEbEEZZNS1_14partition_implILS5_1ELb0ES3_jN6thrust23THRUST_200600_302600_NS6detail15normal_iteratorINSA_10device_ptrIiEEEEPS6_NSA_18transform_iteratorI7is_evenIiESF_NSA_11use_defaultESK_EENS0_5tupleIJNSA_16discard_iteratorISK_EESO_EEENSM_IJSG_SG_EEES6_PlJS6_EEE10hipError_tPvRmT3_T4_T5_T6_T7_T9_mT8_P12ihipStream_tbDpT10_ENKUlT_T0_E_clISt17integral_constantIbLb1EES1B_EEDaS16_S17_EUlS16_E_NS1_11comp_targetILNS1_3genE9ELNS1_11target_archE1100ELNS1_3gpuE3ELNS1_3repE0EEENS1_30default_config_static_selectorELNS0_4arch9wavefront6targetE1EEEvT1_
	.p2align	8
	.type	_ZN7rocprim17ROCPRIM_400000_NS6detail17trampoline_kernelINS0_14default_configENS1_25partition_config_selectorILNS1_17partition_subalgoE1EiNS0_10empty_typeEbEEZZNS1_14partition_implILS5_1ELb0ES3_jN6thrust23THRUST_200600_302600_NS6detail15normal_iteratorINSA_10device_ptrIiEEEEPS6_NSA_18transform_iteratorI7is_evenIiESF_NSA_11use_defaultESK_EENS0_5tupleIJNSA_16discard_iteratorISK_EESO_EEENSM_IJSG_SG_EEES6_PlJS6_EEE10hipError_tPvRmT3_T4_T5_T6_T7_T9_mT8_P12ihipStream_tbDpT10_ENKUlT_T0_E_clISt17integral_constantIbLb1EES1B_EEDaS16_S17_EUlS16_E_NS1_11comp_targetILNS1_3genE9ELNS1_11target_archE1100ELNS1_3gpuE3ELNS1_3repE0EEENS1_30default_config_static_selectorELNS0_4arch9wavefront6targetE1EEEvT1_,@function
_ZN7rocprim17ROCPRIM_400000_NS6detail17trampoline_kernelINS0_14default_configENS1_25partition_config_selectorILNS1_17partition_subalgoE1EiNS0_10empty_typeEbEEZZNS1_14partition_implILS5_1ELb0ES3_jN6thrust23THRUST_200600_302600_NS6detail15normal_iteratorINSA_10device_ptrIiEEEEPS6_NSA_18transform_iteratorI7is_evenIiESF_NSA_11use_defaultESK_EENS0_5tupleIJNSA_16discard_iteratorISK_EESO_EEENSM_IJSG_SG_EEES6_PlJS6_EEE10hipError_tPvRmT3_T4_T5_T6_T7_T9_mT8_P12ihipStream_tbDpT10_ENKUlT_T0_E_clISt17integral_constantIbLb1EES1B_EEDaS16_S17_EUlS16_E_NS1_11comp_targetILNS1_3genE9ELNS1_11target_archE1100ELNS1_3gpuE3ELNS1_3repE0EEENS1_30default_config_static_selectorELNS0_4arch9wavefront6targetE1EEEvT1_: ; @_ZN7rocprim17ROCPRIM_400000_NS6detail17trampoline_kernelINS0_14default_configENS1_25partition_config_selectorILNS1_17partition_subalgoE1EiNS0_10empty_typeEbEEZZNS1_14partition_implILS5_1ELb0ES3_jN6thrust23THRUST_200600_302600_NS6detail15normal_iteratorINSA_10device_ptrIiEEEEPS6_NSA_18transform_iteratorI7is_evenIiESF_NSA_11use_defaultESK_EENS0_5tupleIJNSA_16discard_iteratorISK_EESO_EEENSM_IJSG_SG_EEES6_PlJS6_EEE10hipError_tPvRmT3_T4_T5_T6_T7_T9_mT8_P12ihipStream_tbDpT10_ENKUlT_T0_E_clISt17integral_constantIbLb1EES1B_EEDaS16_S17_EUlS16_E_NS1_11comp_targetILNS1_3genE9ELNS1_11target_archE1100ELNS1_3gpuE3ELNS1_3repE0EEENS1_30default_config_static_selectorELNS0_4arch9wavefront6targetE1EEEvT1_
; %bb.0:
	.section	.rodata,"a",@progbits
	.p2align	6, 0x0
	.amdhsa_kernel _ZN7rocprim17ROCPRIM_400000_NS6detail17trampoline_kernelINS0_14default_configENS1_25partition_config_selectorILNS1_17partition_subalgoE1EiNS0_10empty_typeEbEEZZNS1_14partition_implILS5_1ELb0ES3_jN6thrust23THRUST_200600_302600_NS6detail15normal_iteratorINSA_10device_ptrIiEEEEPS6_NSA_18transform_iteratorI7is_evenIiESF_NSA_11use_defaultESK_EENS0_5tupleIJNSA_16discard_iteratorISK_EESO_EEENSM_IJSG_SG_EEES6_PlJS6_EEE10hipError_tPvRmT3_T4_T5_T6_T7_T9_mT8_P12ihipStream_tbDpT10_ENKUlT_T0_E_clISt17integral_constantIbLb1EES1B_EEDaS16_S17_EUlS16_E_NS1_11comp_targetILNS1_3genE9ELNS1_11target_archE1100ELNS1_3gpuE3ELNS1_3repE0EEENS1_30default_config_static_selectorELNS0_4arch9wavefront6targetE1EEEvT1_
		.amdhsa_group_segment_fixed_size 0
		.amdhsa_private_segment_fixed_size 0
		.amdhsa_kernarg_size 160
		.amdhsa_user_sgpr_count 6
		.amdhsa_user_sgpr_private_segment_buffer 1
		.amdhsa_user_sgpr_dispatch_ptr 0
		.amdhsa_user_sgpr_queue_ptr 0
		.amdhsa_user_sgpr_kernarg_segment_ptr 1
		.amdhsa_user_sgpr_dispatch_id 0
		.amdhsa_user_sgpr_flat_scratch_init 0
		.amdhsa_user_sgpr_kernarg_preload_length 0
		.amdhsa_user_sgpr_kernarg_preload_offset 0
		.amdhsa_user_sgpr_private_segment_size 0
		.amdhsa_uses_dynamic_stack 0
		.amdhsa_system_sgpr_private_segment_wavefront_offset 0
		.amdhsa_system_sgpr_workgroup_id_x 1
		.amdhsa_system_sgpr_workgroup_id_y 0
		.amdhsa_system_sgpr_workgroup_id_z 0
		.amdhsa_system_sgpr_workgroup_info 0
		.amdhsa_system_vgpr_workitem_id 0
		.amdhsa_next_free_vgpr 1
		.amdhsa_next_free_sgpr 0
		.amdhsa_accum_offset 4
		.amdhsa_reserve_vcc 0
		.amdhsa_reserve_flat_scratch 0
		.amdhsa_float_round_mode_32 0
		.amdhsa_float_round_mode_16_64 0
		.amdhsa_float_denorm_mode_32 3
		.amdhsa_float_denorm_mode_16_64 3
		.amdhsa_dx10_clamp 1
		.amdhsa_ieee_mode 1
		.amdhsa_fp16_overflow 0
		.amdhsa_tg_split 0
		.amdhsa_exception_fp_ieee_invalid_op 0
		.amdhsa_exception_fp_denorm_src 0
		.amdhsa_exception_fp_ieee_div_zero 0
		.amdhsa_exception_fp_ieee_overflow 0
		.amdhsa_exception_fp_ieee_underflow 0
		.amdhsa_exception_fp_ieee_inexact 0
		.amdhsa_exception_int_div_zero 0
	.end_amdhsa_kernel
	.section	.text._ZN7rocprim17ROCPRIM_400000_NS6detail17trampoline_kernelINS0_14default_configENS1_25partition_config_selectorILNS1_17partition_subalgoE1EiNS0_10empty_typeEbEEZZNS1_14partition_implILS5_1ELb0ES3_jN6thrust23THRUST_200600_302600_NS6detail15normal_iteratorINSA_10device_ptrIiEEEEPS6_NSA_18transform_iteratorI7is_evenIiESF_NSA_11use_defaultESK_EENS0_5tupleIJNSA_16discard_iteratorISK_EESO_EEENSM_IJSG_SG_EEES6_PlJS6_EEE10hipError_tPvRmT3_T4_T5_T6_T7_T9_mT8_P12ihipStream_tbDpT10_ENKUlT_T0_E_clISt17integral_constantIbLb1EES1B_EEDaS16_S17_EUlS16_E_NS1_11comp_targetILNS1_3genE9ELNS1_11target_archE1100ELNS1_3gpuE3ELNS1_3repE0EEENS1_30default_config_static_selectorELNS0_4arch9wavefront6targetE1EEEvT1_,"axG",@progbits,_ZN7rocprim17ROCPRIM_400000_NS6detail17trampoline_kernelINS0_14default_configENS1_25partition_config_selectorILNS1_17partition_subalgoE1EiNS0_10empty_typeEbEEZZNS1_14partition_implILS5_1ELb0ES3_jN6thrust23THRUST_200600_302600_NS6detail15normal_iteratorINSA_10device_ptrIiEEEEPS6_NSA_18transform_iteratorI7is_evenIiESF_NSA_11use_defaultESK_EENS0_5tupleIJNSA_16discard_iteratorISK_EESO_EEENSM_IJSG_SG_EEES6_PlJS6_EEE10hipError_tPvRmT3_T4_T5_T6_T7_T9_mT8_P12ihipStream_tbDpT10_ENKUlT_T0_E_clISt17integral_constantIbLb1EES1B_EEDaS16_S17_EUlS16_E_NS1_11comp_targetILNS1_3genE9ELNS1_11target_archE1100ELNS1_3gpuE3ELNS1_3repE0EEENS1_30default_config_static_selectorELNS0_4arch9wavefront6targetE1EEEvT1_,comdat
.Lfunc_end3273:
	.size	_ZN7rocprim17ROCPRIM_400000_NS6detail17trampoline_kernelINS0_14default_configENS1_25partition_config_selectorILNS1_17partition_subalgoE1EiNS0_10empty_typeEbEEZZNS1_14partition_implILS5_1ELb0ES3_jN6thrust23THRUST_200600_302600_NS6detail15normal_iteratorINSA_10device_ptrIiEEEEPS6_NSA_18transform_iteratorI7is_evenIiESF_NSA_11use_defaultESK_EENS0_5tupleIJNSA_16discard_iteratorISK_EESO_EEENSM_IJSG_SG_EEES6_PlJS6_EEE10hipError_tPvRmT3_T4_T5_T6_T7_T9_mT8_P12ihipStream_tbDpT10_ENKUlT_T0_E_clISt17integral_constantIbLb1EES1B_EEDaS16_S17_EUlS16_E_NS1_11comp_targetILNS1_3genE9ELNS1_11target_archE1100ELNS1_3gpuE3ELNS1_3repE0EEENS1_30default_config_static_selectorELNS0_4arch9wavefront6targetE1EEEvT1_, .Lfunc_end3273-_ZN7rocprim17ROCPRIM_400000_NS6detail17trampoline_kernelINS0_14default_configENS1_25partition_config_selectorILNS1_17partition_subalgoE1EiNS0_10empty_typeEbEEZZNS1_14partition_implILS5_1ELb0ES3_jN6thrust23THRUST_200600_302600_NS6detail15normal_iteratorINSA_10device_ptrIiEEEEPS6_NSA_18transform_iteratorI7is_evenIiESF_NSA_11use_defaultESK_EENS0_5tupleIJNSA_16discard_iteratorISK_EESO_EEENSM_IJSG_SG_EEES6_PlJS6_EEE10hipError_tPvRmT3_T4_T5_T6_T7_T9_mT8_P12ihipStream_tbDpT10_ENKUlT_T0_E_clISt17integral_constantIbLb1EES1B_EEDaS16_S17_EUlS16_E_NS1_11comp_targetILNS1_3genE9ELNS1_11target_archE1100ELNS1_3gpuE3ELNS1_3repE0EEENS1_30default_config_static_selectorELNS0_4arch9wavefront6targetE1EEEvT1_
                                        ; -- End function
	.section	.AMDGPU.csdata,"",@progbits
; Kernel info:
; codeLenInByte = 0
; NumSgprs: 4
; NumVgprs: 0
; NumAgprs: 0
; TotalNumVgprs: 0
; ScratchSize: 0
; MemoryBound: 0
; FloatMode: 240
; IeeeMode: 1
; LDSByteSize: 0 bytes/workgroup (compile time only)
; SGPRBlocks: 0
; VGPRBlocks: 0
; NumSGPRsForWavesPerEU: 4
; NumVGPRsForWavesPerEU: 1
; AccumOffset: 4
; Occupancy: 8
; WaveLimiterHint : 0
; COMPUTE_PGM_RSRC2:SCRATCH_EN: 0
; COMPUTE_PGM_RSRC2:USER_SGPR: 6
; COMPUTE_PGM_RSRC2:TRAP_HANDLER: 0
; COMPUTE_PGM_RSRC2:TGID_X_EN: 1
; COMPUTE_PGM_RSRC2:TGID_Y_EN: 0
; COMPUTE_PGM_RSRC2:TGID_Z_EN: 0
; COMPUTE_PGM_RSRC2:TIDIG_COMP_CNT: 0
; COMPUTE_PGM_RSRC3_GFX90A:ACCUM_OFFSET: 0
; COMPUTE_PGM_RSRC3_GFX90A:TG_SPLIT: 0
	.section	.text._ZN7rocprim17ROCPRIM_400000_NS6detail17trampoline_kernelINS0_14default_configENS1_25partition_config_selectorILNS1_17partition_subalgoE1EiNS0_10empty_typeEbEEZZNS1_14partition_implILS5_1ELb0ES3_jN6thrust23THRUST_200600_302600_NS6detail15normal_iteratorINSA_10device_ptrIiEEEEPS6_NSA_18transform_iteratorI7is_evenIiESF_NSA_11use_defaultESK_EENS0_5tupleIJNSA_16discard_iteratorISK_EESO_EEENSM_IJSG_SG_EEES6_PlJS6_EEE10hipError_tPvRmT3_T4_T5_T6_T7_T9_mT8_P12ihipStream_tbDpT10_ENKUlT_T0_E_clISt17integral_constantIbLb1EES1B_EEDaS16_S17_EUlS16_E_NS1_11comp_targetILNS1_3genE8ELNS1_11target_archE1030ELNS1_3gpuE2ELNS1_3repE0EEENS1_30default_config_static_selectorELNS0_4arch9wavefront6targetE1EEEvT1_,"axG",@progbits,_ZN7rocprim17ROCPRIM_400000_NS6detail17trampoline_kernelINS0_14default_configENS1_25partition_config_selectorILNS1_17partition_subalgoE1EiNS0_10empty_typeEbEEZZNS1_14partition_implILS5_1ELb0ES3_jN6thrust23THRUST_200600_302600_NS6detail15normal_iteratorINSA_10device_ptrIiEEEEPS6_NSA_18transform_iteratorI7is_evenIiESF_NSA_11use_defaultESK_EENS0_5tupleIJNSA_16discard_iteratorISK_EESO_EEENSM_IJSG_SG_EEES6_PlJS6_EEE10hipError_tPvRmT3_T4_T5_T6_T7_T9_mT8_P12ihipStream_tbDpT10_ENKUlT_T0_E_clISt17integral_constantIbLb1EES1B_EEDaS16_S17_EUlS16_E_NS1_11comp_targetILNS1_3genE8ELNS1_11target_archE1030ELNS1_3gpuE2ELNS1_3repE0EEENS1_30default_config_static_selectorELNS0_4arch9wavefront6targetE1EEEvT1_,comdat
	.protected	_ZN7rocprim17ROCPRIM_400000_NS6detail17trampoline_kernelINS0_14default_configENS1_25partition_config_selectorILNS1_17partition_subalgoE1EiNS0_10empty_typeEbEEZZNS1_14partition_implILS5_1ELb0ES3_jN6thrust23THRUST_200600_302600_NS6detail15normal_iteratorINSA_10device_ptrIiEEEEPS6_NSA_18transform_iteratorI7is_evenIiESF_NSA_11use_defaultESK_EENS0_5tupleIJNSA_16discard_iteratorISK_EESO_EEENSM_IJSG_SG_EEES6_PlJS6_EEE10hipError_tPvRmT3_T4_T5_T6_T7_T9_mT8_P12ihipStream_tbDpT10_ENKUlT_T0_E_clISt17integral_constantIbLb1EES1B_EEDaS16_S17_EUlS16_E_NS1_11comp_targetILNS1_3genE8ELNS1_11target_archE1030ELNS1_3gpuE2ELNS1_3repE0EEENS1_30default_config_static_selectorELNS0_4arch9wavefront6targetE1EEEvT1_ ; -- Begin function _ZN7rocprim17ROCPRIM_400000_NS6detail17trampoline_kernelINS0_14default_configENS1_25partition_config_selectorILNS1_17partition_subalgoE1EiNS0_10empty_typeEbEEZZNS1_14partition_implILS5_1ELb0ES3_jN6thrust23THRUST_200600_302600_NS6detail15normal_iteratorINSA_10device_ptrIiEEEEPS6_NSA_18transform_iteratorI7is_evenIiESF_NSA_11use_defaultESK_EENS0_5tupleIJNSA_16discard_iteratorISK_EESO_EEENSM_IJSG_SG_EEES6_PlJS6_EEE10hipError_tPvRmT3_T4_T5_T6_T7_T9_mT8_P12ihipStream_tbDpT10_ENKUlT_T0_E_clISt17integral_constantIbLb1EES1B_EEDaS16_S17_EUlS16_E_NS1_11comp_targetILNS1_3genE8ELNS1_11target_archE1030ELNS1_3gpuE2ELNS1_3repE0EEENS1_30default_config_static_selectorELNS0_4arch9wavefront6targetE1EEEvT1_
	.globl	_ZN7rocprim17ROCPRIM_400000_NS6detail17trampoline_kernelINS0_14default_configENS1_25partition_config_selectorILNS1_17partition_subalgoE1EiNS0_10empty_typeEbEEZZNS1_14partition_implILS5_1ELb0ES3_jN6thrust23THRUST_200600_302600_NS6detail15normal_iteratorINSA_10device_ptrIiEEEEPS6_NSA_18transform_iteratorI7is_evenIiESF_NSA_11use_defaultESK_EENS0_5tupleIJNSA_16discard_iteratorISK_EESO_EEENSM_IJSG_SG_EEES6_PlJS6_EEE10hipError_tPvRmT3_T4_T5_T6_T7_T9_mT8_P12ihipStream_tbDpT10_ENKUlT_T0_E_clISt17integral_constantIbLb1EES1B_EEDaS16_S17_EUlS16_E_NS1_11comp_targetILNS1_3genE8ELNS1_11target_archE1030ELNS1_3gpuE2ELNS1_3repE0EEENS1_30default_config_static_selectorELNS0_4arch9wavefront6targetE1EEEvT1_
	.p2align	8
	.type	_ZN7rocprim17ROCPRIM_400000_NS6detail17trampoline_kernelINS0_14default_configENS1_25partition_config_selectorILNS1_17partition_subalgoE1EiNS0_10empty_typeEbEEZZNS1_14partition_implILS5_1ELb0ES3_jN6thrust23THRUST_200600_302600_NS6detail15normal_iteratorINSA_10device_ptrIiEEEEPS6_NSA_18transform_iteratorI7is_evenIiESF_NSA_11use_defaultESK_EENS0_5tupleIJNSA_16discard_iteratorISK_EESO_EEENSM_IJSG_SG_EEES6_PlJS6_EEE10hipError_tPvRmT3_T4_T5_T6_T7_T9_mT8_P12ihipStream_tbDpT10_ENKUlT_T0_E_clISt17integral_constantIbLb1EES1B_EEDaS16_S17_EUlS16_E_NS1_11comp_targetILNS1_3genE8ELNS1_11target_archE1030ELNS1_3gpuE2ELNS1_3repE0EEENS1_30default_config_static_selectorELNS0_4arch9wavefront6targetE1EEEvT1_,@function
_ZN7rocprim17ROCPRIM_400000_NS6detail17trampoline_kernelINS0_14default_configENS1_25partition_config_selectorILNS1_17partition_subalgoE1EiNS0_10empty_typeEbEEZZNS1_14partition_implILS5_1ELb0ES3_jN6thrust23THRUST_200600_302600_NS6detail15normal_iteratorINSA_10device_ptrIiEEEEPS6_NSA_18transform_iteratorI7is_evenIiESF_NSA_11use_defaultESK_EENS0_5tupleIJNSA_16discard_iteratorISK_EESO_EEENSM_IJSG_SG_EEES6_PlJS6_EEE10hipError_tPvRmT3_T4_T5_T6_T7_T9_mT8_P12ihipStream_tbDpT10_ENKUlT_T0_E_clISt17integral_constantIbLb1EES1B_EEDaS16_S17_EUlS16_E_NS1_11comp_targetILNS1_3genE8ELNS1_11target_archE1030ELNS1_3gpuE2ELNS1_3repE0EEENS1_30default_config_static_selectorELNS0_4arch9wavefront6targetE1EEEvT1_: ; @_ZN7rocprim17ROCPRIM_400000_NS6detail17trampoline_kernelINS0_14default_configENS1_25partition_config_selectorILNS1_17partition_subalgoE1EiNS0_10empty_typeEbEEZZNS1_14partition_implILS5_1ELb0ES3_jN6thrust23THRUST_200600_302600_NS6detail15normal_iteratorINSA_10device_ptrIiEEEEPS6_NSA_18transform_iteratorI7is_evenIiESF_NSA_11use_defaultESK_EENS0_5tupleIJNSA_16discard_iteratorISK_EESO_EEENSM_IJSG_SG_EEES6_PlJS6_EEE10hipError_tPvRmT3_T4_T5_T6_T7_T9_mT8_P12ihipStream_tbDpT10_ENKUlT_T0_E_clISt17integral_constantIbLb1EES1B_EEDaS16_S17_EUlS16_E_NS1_11comp_targetILNS1_3genE8ELNS1_11target_archE1030ELNS1_3gpuE2ELNS1_3repE0EEENS1_30default_config_static_selectorELNS0_4arch9wavefront6targetE1EEEvT1_
; %bb.0:
	.section	.rodata,"a",@progbits
	.p2align	6, 0x0
	.amdhsa_kernel _ZN7rocprim17ROCPRIM_400000_NS6detail17trampoline_kernelINS0_14default_configENS1_25partition_config_selectorILNS1_17partition_subalgoE1EiNS0_10empty_typeEbEEZZNS1_14partition_implILS5_1ELb0ES3_jN6thrust23THRUST_200600_302600_NS6detail15normal_iteratorINSA_10device_ptrIiEEEEPS6_NSA_18transform_iteratorI7is_evenIiESF_NSA_11use_defaultESK_EENS0_5tupleIJNSA_16discard_iteratorISK_EESO_EEENSM_IJSG_SG_EEES6_PlJS6_EEE10hipError_tPvRmT3_T4_T5_T6_T7_T9_mT8_P12ihipStream_tbDpT10_ENKUlT_T0_E_clISt17integral_constantIbLb1EES1B_EEDaS16_S17_EUlS16_E_NS1_11comp_targetILNS1_3genE8ELNS1_11target_archE1030ELNS1_3gpuE2ELNS1_3repE0EEENS1_30default_config_static_selectorELNS0_4arch9wavefront6targetE1EEEvT1_
		.amdhsa_group_segment_fixed_size 0
		.amdhsa_private_segment_fixed_size 0
		.amdhsa_kernarg_size 160
		.amdhsa_user_sgpr_count 6
		.amdhsa_user_sgpr_private_segment_buffer 1
		.amdhsa_user_sgpr_dispatch_ptr 0
		.amdhsa_user_sgpr_queue_ptr 0
		.amdhsa_user_sgpr_kernarg_segment_ptr 1
		.amdhsa_user_sgpr_dispatch_id 0
		.amdhsa_user_sgpr_flat_scratch_init 0
		.amdhsa_user_sgpr_kernarg_preload_length 0
		.amdhsa_user_sgpr_kernarg_preload_offset 0
		.amdhsa_user_sgpr_private_segment_size 0
		.amdhsa_uses_dynamic_stack 0
		.amdhsa_system_sgpr_private_segment_wavefront_offset 0
		.amdhsa_system_sgpr_workgroup_id_x 1
		.amdhsa_system_sgpr_workgroup_id_y 0
		.amdhsa_system_sgpr_workgroup_id_z 0
		.amdhsa_system_sgpr_workgroup_info 0
		.amdhsa_system_vgpr_workitem_id 0
		.amdhsa_next_free_vgpr 1
		.amdhsa_next_free_sgpr 0
		.amdhsa_accum_offset 4
		.amdhsa_reserve_vcc 0
		.amdhsa_reserve_flat_scratch 0
		.amdhsa_float_round_mode_32 0
		.amdhsa_float_round_mode_16_64 0
		.amdhsa_float_denorm_mode_32 3
		.amdhsa_float_denorm_mode_16_64 3
		.amdhsa_dx10_clamp 1
		.amdhsa_ieee_mode 1
		.amdhsa_fp16_overflow 0
		.amdhsa_tg_split 0
		.amdhsa_exception_fp_ieee_invalid_op 0
		.amdhsa_exception_fp_denorm_src 0
		.amdhsa_exception_fp_ieee_div_zero 0
		.amdhsa_exception_fp_ieee_overflow 0
		.amdhsa_exception_fp_ieee_underflow 0
		.amdhsa_exception_fp_ieee_inexact 0
		.amdhsa_exception_int_div_zero 0
	.end_amdhsa_kernel
	.section	.text._ZN7rocprim17ROCPRIM_400000_NS6detail17trampoline_kernelINS0_14default_configENS1_25partition_config_selectorILNS1_17partition_subalgoE1EiNS0_10empty_typeEbEEZZNS1_14partition_implILS5_1ELb0ES3_jN6thrust23THRUST_200600_302600_NS6detail15normal_iteratorINSA_10device_ptrIiEEEEPS6_NSA_18transform_iteratorI7is_evenIiESF_NSA_11use_defaultESK_EENS0_5tupleIJNSA_16discard_iteratorISK_EESO_EEENSM_IJSG_SG_EEES6_PlJS6_EEE10hipError_tPvRmT3_T4_T5_T6_T7_T9_mT8_P12ihipStream_tbDpT10_ENKUlT_T0_E_clISt17integral_constantIbLb1EES1B_EEDaS16_S17_EUlS16_E_NS1_11comp_targetILNS1_3genE8ELNS1_11target_archE1030ELNS1_3gpuE2ELNS1_3repE0EEENS1_30default_config_static_selectorELNS0_4arch9wavefront6targetE1EEEvT1_,"axG",@progbits,_ZN7rocprim17ROCPRIM_400000_NS6detail17trampoline_kernelINS0_14default_configENS1_25partition_config_selectorILNS1_17partition_subalgoE1EiNS0_10empty_typeEbEEZZNS1_14partition_implILS5_1ELb0ES3_jN6thrust23THRUST_200600_302600_NS6detail15normal_iteratorINSA_10device_ptrIiEEEEPS6_NSA_18transform_iteratorI7is_evenIiESF_NSA_11use_defaultESK_EENS0_5tupleIJNSA_16discard_iteratorISK_EESO_EEENSM_IJSG_SG_EEES6_PlJS6_EEE10hipError_tPvRmT3_T4_T5_T6_T7_T9_mT8_P12ihipStream_tbDpT10_ENKUlT_T0_E_clISt17integral_constantIbLb1EES1B_EEDaS16_S17_EUlS16_E_NS1_11comp_targetILNS1_3genE8ELNS1_11target_archE1030ELNS1_3gpuE2ELNS1_3repE0EEENS1_30default_config_static_selectorELNS0_4arch9wavefront6targetE1EEEvT1_,comdat
.Lfunc_end3274:
	.size	_ZN7rocprim17ROCPRIM_400000_NS6detail17trampoline_kernelINS0_14default_configENS1_25partition_config_selectorILNS1_17partition_subalgoE1EiNS0_10empty_typeEbEEZZNS1_14partition_implILS5_1ELb0ES3_jN6thrust23THRUST_200600_302600_NS6detail15normal_iteratorINSA_10device_ptrIiEEEEPS6_NSA_18transform_iteratorI7is_evenIiESF_NSA_11use_defaultESK_EENS0_5tupleIJNSA_16discard_iteratorISK_EESO_EEENSM_IJSG_SG_EEES6_PlJS6_EEE10hipError_tPvRmT3_T4_T5_T6_T7_T9_mT8_P12ihipStream_tbDpT10_ENKUlT_T0_E_clISt17integral_constantIbLb1EES1B_EEDaS16_S17_EUlS16_E_NS1_11comp_targetILNS1_3genE8ELNS1_11target_archE1030ELNS1_3gpuE2ELNS1_3repE0EEENS1_30default_config_static_selectorELNS0_4arch9wavefront6targetE1EEEvT1_, .Lfunc_end3274-_ZN7rocprim17ROCPRIM_400000_NS6detail17trampoline_kernelINS0_14default_configENS1_25partition_config_selectorILNS1_17partition_subalgoE1EiNS0_10empty_typeEbEEZZNS1_14partition_implILS5_1ELb0ES3_jN6thrust23THRUST_200600_302600_NS6detail15normal_iteratorINSA_10device_ptrIiEEEEPS6_NSA_18transform_iteratorI7is_evenIiESF_NSA_11use_defaultESK_EENS0_5tupleIJNSA_16discard_iteratorISK_EESO_EEENSM_IJSG_SG_EEES6_PlJS6_EEE10hipError_tPvRmT3_T4_T5_T6_T7_T9_mT8_P12ihipStream_tbDpT10_ENKUlT_T0_E_clISt17integral_constantIbLb1EES1B_EEDaS16_S17_EUlS16_E_NS1_11comp_targetILNS1_3genE8ELNS1_11target_archE1030ELNS1_3gpuE2ELNS1_3repE0EEENS1_30default_config_static_selectorELNS0_4arch9wavefront6targetE1EEEvT1_
                                        ; -- End function
	.section	.AMDGPU.csdata,"",@progbits
; Kernel info:
; codeLenInByte = 0
; NumSgprs: 4
; NumVgprs: 0
; NumAgprs: 0
; TotalNumVgprs: 0
; ScratchSize: 0
; MemoryBound: 0
; FloatMode: 240
; IeeeMode: 1
; LDSByteSize: 0 bytes/workgroup (compile time only)
; SGPRBlocks: 0
; VGPRBlocks: 0
; NumSGPRsForWavesPerEU: 4
; NumVGPRsForWavesPerEU: 1
; AccumOffset: 4
; Occupancy: 8
; WaveLimiterHint : 0
; COMPUTE_PGM_RSRC2:SCRATCH_EN: 0
; COMPUTE_PGM_RSRC2:USER_SGPR: 6
; COMPUTE_PGM_RSRC2:TRAP_HANDLER: 0
; COMPUTE_PGM_RSRC2:TGID_X_EN: 1
; COMPUTE_PGM_RSRC2:TGID_Y_EN: 0
; COMPUTE_PGM_RSRC2:TGID_Z_EN: 0
; COMPUTE_PGM_RSRC2:TIDIG_COMP_CNT: 0
; COMPUTE_PGM_RSRC3_GFX90A:ACCUM_OFFSET: 0
; COMPUTE_PGM_RSRC3_GFX90A:TG_SPLIT: 0
	.section	.text._ZN7rocprim17ROCPRIM_400000_NS6detail17trampoline_kernelINS0_14default_configENS1_25partition_config_selectorILNS1_17partition_subalgoE1EiNS0_10empty_typeEbEEZZNS1_14partition_implILS5_1ELb0ES3_jN6thrust23THRUST_200600_302600_NS6detail15normal_iteratorINSA_10device_ptrIiEEEEPS6_NSA_18transform_iteratorI7is_evenIiESF_NSA_11use_defaultESK_EENS0_5tupleIJNSA_16discard_iteratorISK_EESO_EEENSM_IJSG_SG_EEES6_PlJS6_EEE10hipError_tPvRmT3_T4_T5_T6_T7_T9_mT8_P12ihipStream_tbDpT10_ENKUlT_T0_E_clISt17integral_constantIbLb1EES1A_IbLb0EEEEDaS16_S17_EUlS16_E_NS1_11comp_targetILNS1_3genE0ELNS1_11target_archE4294967295ELNS1_3gpuE0ELNS1_3repE0EEENS1_30default_config_static_selectorELNS0_4arch9wavefront6targetE1EEEvT1_,"axG",@progbits,_ZN7rocprim17ROCPRIM_400000_NS6detail17trampoline_kernelINS0_14default_configENS1_25partition_config_selectorILNS1_17partition_subalgoE1EiNS0_10empty_typeEbEEZZNS1_14partition_implILS5_1ELb0ES3_jN6thrust23THRUST_200600_302600_NS6detail15normal_iteratorINSA_10device_ptrIiEEEEPS6_NSA_18transform_iteratorI7is_evenIiESF_NSA_11use_defaultESK_EENS0_5tupleIJNSA_16discard_iteratorISK_EESO_EEENSM_IJSG_SG_EEES6_PlJS6_EEE10hipError_tPvRmT3_T4_T5_T6_T7_T9_mT8_P12ihipStream_tbDpT10_ENKUlT_T0_E_clISt17integral_constantIbLb1EES1A_IbLb0EEEEDaS16_S17_EUlS16_E_NS1_11comp_targetILNS1_3genE0ELNS1_11target_archE4294967295ELNS1_3gpuE0ELNS1_3repE0EEENS1_30default_config_static_selectorELNS0_4arch9wavefront6targetE1EEEvT1_,comdat
	.protected	_ZN7rocprim17ROCPRIM_400000_NS6detail17trampoline_kernelINS0_14default_configENS1_25partition_config_selectorILNS1_17partition_subalgoE1EiNS0_10empty_typeEbEEZZNS1_14partition_implILS5_1ELb0ES3_jN6thrust23THRUST_200600_302600_NS6detail15normal_iteratorINSA_10device_ptrIiEEEEPS6_NSA_18transform_iteratorI7is_evenIiESF_NSA_11use_defaultESK_EENS0_5tupleIJNSA_16discard_iteratorISK_EESO_EEENSM_IJSG_SG_EEES6_PlJS6_EEE10hipError_tPvRmT3_T4_T5_T6_T7_T9_mT8_P12ihipStream_tbDpT10_ENKUlT_T0_E_clISt17integral_constantIbLb1EES1A_IbLb0EEEEDaS16_S17_EUlS16_E_NS1_11comp_targetILNS1_3genE0ELNS1_11target_archE4294967295ELNS1_3gpuE0ELNS1_3repE0EEENS1_30default_config_static_selectorELNS0_4arch9wavefront6targetE1EEEvT1_ ; -- Begin function _ZN7rocprim17ROCPRIM_400000_NS6detail17trampoline_kernelINS0_14default_configENS1_25partition_config_selectorILNS1_17partition_subalgoE1EiNS0_10empty_typeEbEEZZNS1_14partition_implILS5_1ELb0ES3_jN6thrust23THRUST_200600_302600_NS6detail15normal_iteratorINSA_10device_ptrIiEEEEPS6_NSA_18transform_iteratorI7is_evenIiESF_NSA_11use_defaultESK_EENS0_5tupleIJNSA_16discard_iteratorISK_EESO_EEENSM_IJSG_SG_EEES6_PlJS6_EEE10hipError_tPvRmT3_T4_T5_T6_T7_T9_mT8_P12ihipStream_tbDpT10_ENKUlT_T0_E_clISt17integral_constantIbLb1EES1A_IbLb0EEEEDaS16_S17_EUlS16_E_NS1_11comp_targetILNS1_3genE0ELNS1_11target_archE4294967295ELNS1_3gpuE0ELNS1_3repE0EEENS1_30default_config_static_selectorELNS0_4arch9wavefront6targetE1EEEvT1_
	.globl	_ZN7rocprim17ROCPRIM_400000_NS6detail17trampoline_kernelINS0_14default_configENS1_25partition_config_selectorILNS1_17partition_subalgoE1EiNS0_10empty_typeEbEEZZNS1_14partition_implILS5_1ELb0ES3_jN6thrust23THRUST_200600_302600_NS6detail15normal_iteratorINSA_10device_ptrIiEEEEPS6_NSA_18transform_iteratorI7is_evenIiESF_NSA_11use_defaultESK_EENS0_5tupleIJNSA_16discard_iteratorISK_EESO_EEENSM_IJSG_SG_EEES6_PlJS6_EEE10hipError_tPvRmT3_T4_T5_T6_T7_T9_mT8_P12ihipStream_tbDpT10_ENKUlT_T0_E_clISt17integral_constantIbLb1EES1A_IbLb0EEEEDaS16_S17_EUlS16_E_NS1_11comp_targetILNS1_3genE0ELNS1_11target_archE4294967295ELNS1_3gpuE0ELNS1_3repE0EEENS1_30default_config_static_selectorELNS0_4arch9wavefront6targetE1EEEvT1_
	.p2align	8
	.type	_ZN7rocprim17ROCPRIM_400000_NS6detail17trampoline_kernelINS0_14default_configENS1_25partition_config_selectorILNS1_17partition_subalgoE1EiNS0_10empty_typeEbEEZZNS1_14partition_implILS5_1ELb0ES3_jN6thrust23THRUST_200600_302600_NS6detail15normal_iteratorINSA_10device_ptrIiEEEEPS6_NSA_18transform_iteratorI7is_evenIiESF_NSA_11use_defaultESK_EENS0_5tupleIJNSA_16discard_iteratorISK_EESO_EEENSM_IJSG_SG_EEES6_PlJS6_EEE10hipError_tPvRmT3_T4_T5_T6_T7_T9_mT8_P12ihipStream_tbDpT10_ENKUlT_T0_E_clISt17integral_constantIbLb1EES1A_IbLb0EEEEDaS16_S17_EUlS16_E_NS1_11comp_targetILNS1_3genE0ELNS1_11target_archE4294967295ELNS1_3gpuE0ELNS1_3repE0EEENS1_30default_config_static_selectorELNS0_4arch9wavefront6targetE1EEEvT1_,@function
_ZN7rocprim17ROCPRIM_400000_NS6detail17trampoline_kernelINS0_14default_configENS1_25partition_config_selectorILNS1_17partition_subalgoE1EiNS0_10empty_typeEbEEZZNS1_14partition_implILS5_1ELb0ES3_jN6thrust23THRUST_200600_302600_NS6detail15normal_iteratorINSA_10device_ptrIiEEEEPS6_NSA_18transform_iteratorI7is_evenIiESF_NSA_11use_defaultESK_EENS0_5tupleIJNSA_16discard_iteratorISK_EESO_EEENSM_IJSG_SG_EEES6_PlJS6_EEE10hipError_tPvRmT3_T4_T5_T6_T7_T9_mT8_P12ihipStream_tbDpT10_ENKUlT_T0_E_clISt17integral_constantIbLb1EES1A_IbLb0EEEEDaS16_S17_EUlS16_E_NS1_11comp_targetILNS1_3genE0ELNS1_11target_archE4294967295ELNS1_3gpuE0ELNS1_3repE0EEENS1_30default_config_static_selectorELNS0_4arch9wavefront6targetE1EEEvT1_: ; @_ZN7rocprim17ROCPRIM_400000_NS6detail17trampoline_kernelINS0_14default_configENS1_25partition_config_selectorILNS1_17partition_subalgoE1EiNS0_10empty_typeEbEEZZNS1_14partition_implILS5_1ELb0ES3_jN6thrust23THRUST_200600_302600_NS6detail15normal_iteratorINSA_10device_ptrIiEEEEPS6_NSA_18transform_iteratorI7is_evenIiESF_NSA_11use_defaultESK_EENS0_5tupleIJNSA_16discard_iteratorISK_EESO_EEENSM_IJSG_SG_EEES6_PlJS6_EEE10hipError_tPvRmT3_T4_T5_T6_T7_T9_mT8_P12ihipStream_tbDpT10_ENKUlT_T0_E_clISt17integral_constantIbLb1EES1A_IbLb0EEEEDaS16_S17_EUlS16_E_NS1_11comp_targetILNS1_3genE0ELNS1_11target_archE4294967295ELNS1_3gpuE0ELNS1_3repE0EEENS1_30default_config_static_selectorELNS0_4arch9wavefront6targetE1EEEvT1_
; %bb.0:
	.section	.rodata,"a",@progbits
	.p2align	6, 0x0
	.amdhsa_kernel _ZN7rocprim17ROCPRIM_400000_NS6detail17trampoline_kernelINS0_14default_configENS1_25partition_config_selectorILNS1_17partition_subalgoE1EiNS0_10empty_typeEbEEZZNS1_14partition_implILS5_1ELb0ES3_jN6thrust23THRUST_200600_302600_NS6detail15normal_iteratorINSA_10device_ptrIiEEEEPS6_NSA_18transform_iteratorI7is_evenIiESF_NSA_11use_defaultESK_EENS0_5tupleIJNSA_16discard_iteratorISK_EESO_EEENSM_IJSG_SG_EEES6_PlJS6_EEE10hipError_tPvRmT3_T4_T5_T6_T7_T9_mT8_P12ihipStream_tbDpT10_ENKUlT_T0_E_clISt17integral_constantIbLb1EES1A_IbLb0EEEEDaS16_S17_EUlS16_E_NS1_11comp_targetILNS1_3genE0ELNS1_11target_archE4294967295ELNS1_3gpuE0ELNS1_3repE0EEENS1_30default_config_static_selectorELNS0_4arch9wavefront6targetE1EEEvT1_
		.amdhsa_group_segment_fixed_size 0
		.amdhsa_private_segment_fixed_size 0
		.amdhsa_kernarg_size 144
		.amdhsa_user_sgpr_count 6
		.amdhsa_user_sgpr_private_segment_buffer 1
		.amdhsa_user_sgpr_dispatch_ptr 0
		.amdhsa_user_sgpr_queue_ptr 0
		.amdhsa_user_sgpr_kernarg_segment_ptr 1
		.amdhsa_user_sgpr_dispatch_id 0
		.amdhsa_user_sgpr_flat_scratch_init 0
		.amdhsa_user_sgpr_kernarg_preload_length 0
		.amdhsa_user_sgpr_kernarg_preload_offset 0
		.amdhsa_user_sgpr_private_segment_size 0
		.amdhsa_uses_dynamic_stack 0
		.amdhsa_system_sgpr_private_segment_wavefront_offset 0
		.amdhsa_system_sgpr_workgroup_id_x 1
		.amdhsa_system_sgpr_workgroup_id_y 0
		.amdhsa_system_sgpr_workgroup_id_z 0
		.amdhsa_system_sgpr_workgroup_info 0
		.amdhsa_system_vgpr_workitem_id 0
		.amdhsa_next_free_vgpr 1
		.amdhsa_next_free_sgpr 0
		.amdhsa_accum_offset 4
		.amdhsa_reserve_vcc 0
		.amdhsa_reserve_flat_scratch 0
		.amdhsa_float_round_mode_32 0
		.amdhsa_float_round_mode_16_64 0
		.amdhsa_float_denorm_mode_32 3
		.amdhsa_float_denorm_mode_16_64 3
		.amdhsa_dx10_clamp 1
		.amdhsa_ieee_mode 1
		.amdhsa_fp16_overflow 0
		.amdhsa_tg_split 0
		.amdhsa_exception_fp_ieee_invalid_op 0
		.amdhsa_exception_fp_denorm_src 0
		.amdhsa_exception_fp_ieee_div_zero 0
		.amdhsa_exception_fp_ieee_overflow 0
		.amdhsa_exception_fp_ieee_underflow 0
		.amdhsa_exception_fp_ieee_inexact 0
		.amdhsa_exception_int_div_zero 0
	.end_amdhsa_kernel
	.section	.text._ZN7rocprim17ROCPRIM_400000_NS6detail17trampoline_kernelINS0_14default_configENS1_25partition_config_selectorILNS1_17partition_subalgoE1EiNS0_10empty_typeEbEEZZNS1_14partition_implILS5_1ELb0ES3_jN6thrust23THRUST_200600_302600_NS6detail15normal_iteratorINSA_10device_ptrIiEEEEPS6_NSA_18transform_iteratorI7is_evenIiESF_NSA_11use_defaultESK_EENS0_5tupleIJNSA_16discard_iteratorISK_EESO_EEENSM_IJSG_SG_EEES6_PlJS6_EEE10hipError_tPvRmT3_T4_T5_T6_T7_T9_mT8_P12ihipStream_tbDpT10_ENKUlT_T0_E_clISt17integral_constantIbLb1EES1A_IbLb0EEEEDaS16_S17_EUlS16_E_NS1_11comp_targetILNS1_3genE0ELNS1_11target_archE4294967295ELNS1_3gpuE0ELNS1_3repE0EEENS1_30default_config_static_selectorELNS0_4arch9wavefront6targetE1EEEvT1_,"axG",@progbits,_ZN7rocprim17ROCPRIM_400000_NS6detail17trampoline_kernelINS0_14default_configENS1_25partition_config_selectorILNS1_17partition_subalgoE1EiNS0_10empty_typeEbEEZZNS1_14partition_implILS5_1ELb0ES3_jN6thrust23THRUST_200600_302600_NS6detail15normal_iteratorINSA_10device_ptrIiEEEEPS6_NSA_18transform_iteratorI7is_evenIiESF_NSA_11use_defaultESK_EENS0_5tupleIJNSA_16discard_iteratorISK_EESO_EEENSM_IJSG_SG_EEES6_PlJS6_EEE10hipError_tPvRmT3_T4_T5_T6_T7_T9_mT8_P12ihipStream_tbDpT10_ENKUlT_T0_E_clISt17integral_constantIbLb1EES1A_IbLb0EEEEDaS16_S17_EUlS16_E_NS1_11comp_targetILNS1_3genE0ELNS1_11target_archE4294967295ELNS1_3gpuE0ELNS1_3repE0EEENS1_30default_config_static_selectorELNS0_4arch9wavefront6targetE1EEEvT1_,comdat
.Lfunc_end3275:
	.size	_ZN7rocprim17ROCPRIM_400000_NS6detail17trampoline_kernelINS0_14default_configENS1_25partition_config_selectorILNS1_17partition_subalgoE1EiNS0_10empty_typeEbEEZZNS1_14partition_implILS5_1ELb0ES3_jN6thrust23THRUST_200600_302600_NS6detail15normal_iteratorINSA_10device_ptrIiEEEEPS6_NSA_18transform_iteratorI7is_evenIiESF_NSA_11use_defaultESK_EENS0_5tupleIJNSA_16discard_iteratorISK_EESO_EEENSM_IJSG_SG_EEES6_PlJS6_EEE10hipError_tPvRmT3_T4_T5_T6_T7_T9_mT8_P12ihipStream_tbDpT10_ENKUlT_T0_E_clISt17integral_constantIbLb1EES1A_IbLb0EEEEDaS16_S17_EUlS16_E_NS1_11comp_targetILNS1_3genE0ELNS1_11target_archE4294967295ELNS1_3gpuE0ELNS1_3repE0EEENS1_30default_config_static_selectorELNS0_4arch9wavefront6targetE1EEEvT1_, .Lfunc_end3275-_ZN7rocprim17ROCPRIM_400000_NS6detail17trampoline_kernelINS0_14default_configENS1_25partition_config_selectorILNS1_17partition_subalgoE1EiNS0_10empty_typeEbEEZZNS1_14partition_implILS5_1ELb0ES3_jN6thrust23THRUST_200600_302600_NS6detail15normal_iteratorINSA_10device_ptrIiEEEEPS6_NSA_18transform_iteratorI7is_evenIiESF_NSA_11use_defaultESK_EENS0_5tupleIJNSA_16discard_iteratorISK_EESO_EEENSM_IJSG_SG_EEES6_PlJS6_EEE10hipError_tPvRmT3_T4_T5_T6_T7_T9_mT8_P12ihipStream_tbDpT10_ENKUlT_T0_E_clISt17integral_constantIbLb1EES1A_IbLb0EEEEDaS16_S17_EUlS16_E_NS1_11comp_targetILNS1_3genE0ELNS1_11target_archE4294967295ELNS1_3gpuE0ELNS1_3repE0EEENS1_30default_config_static_selectorELNS0_4arch9wavefront6targetE1EEEvT1_
                                        ; -- End function
	.section	.AMDGPU.csdata,"",@progbits
; Kernel info:
; codeLenInByte = 0
; NumSgprs: 4
; NumVgprs: 0
; NumAgprs: 0
; TotalNumVgprs: 0
; ScratchSize: 0
; MemoryBound: 0
; FloatMode: 240
; IeeeMode: 1
; LDSByteSize: 0 bytes/workgroup (compile time only)
; SGPRBlocks: 0
; VGPRBlocks: 0
; NumSGPRsForWavesPerEU: 4
; NumVGPRsForWavesPerEU: 1
; AccumOffset: 4
; Occupancy: 8
; WaveLimiterHint : 0
; COMPUTE_PGM_RSRC2:SCRATCH_EN: 0
; COMPUTE_PGM_RSRC2:USER_SGPR: 6
; COMPUTE_PGM_RSRC2:TRAP_HANDLER: 0
; COMPUTE_PGM_RSRC2:TGID_X_EN: 1
; COMPUTE_PGM_RSRC2:TGID_Y_EN: 0
; COMPUTE_PGM_RSRC2:TGID_Z_EN: 0
; COMPUTE_PGM_RSRC2:TIDIG_COMP_CNT: 0
; COMPUTE_PGM_RSRC3_GFX90A:ACCUM_OFFSET: 0
; COMPUTE_PGM_RSRC3_GFX90A:TG_SPLIT: 0
	.section	.text._ZN7rocprim17ROCPRIM_400000_NS6detail17trampoline_kernelINS0_14default_configENS1_25partition_config_selectorILNS1_17partition_subalgoE1EiNS0_10empty_typeEbEEZZNS1_14partition_implILS5_1ELb0ES3_jN6thrust23THRUST_200600_302600_NS6detail15normal_iteratorINSA_10device_ptrIiEEEEPS6_NSA_18transform_iteratorI7is_evenIiESF_NSA_11use_defaultESK_EENS0_5tupleIJNSA_16discard_iteratorISK_EESO_EEENSM_IJSG_SG_EEES6_PlJS6_EEE10hipError_tPvRmT3_T4_T5_T6_T7_T9_mT8_P12ihipStream_tbDpT10_ENKUlT_T0_E_clISt17integral_constantIbLb1EES1A_IbLb0EEEEDaS16_S17_EUlS16_E_NS1_11comp_targetILNS1_3genE5ELNS1_11target_archE942ELNS1_3gpuE9ELNS1_3repE0EEENS1_30default_config_static_selectorELNS0_4arch9wavefront6targetE1EEEvT1_,"axG",@progbits,_ZN7rocprim17ROCPRIM_400000_NS6detail17trampoline_kernelINS0_14default_configENS1_25partition_config_selectorILNS1_17partition_subalgoE1EiNS0_10empty_typeEbEEZZNS1_14partition_implILS5_1ELb0ES3_jN6thrust23THRUST_200600_302600_NS6detail15normal_iteratorINSA_10device_ptrIiEEEEPS6_NSA_18transform_iteratorI7is_evenIiESF_NSA_11use_defaultESK_EENS0_5tupleIJNSA_16discard_iteratorISK_EESO_EEENSM_IJSG_SG_EEES6_PlJS6_EEE10hipError_tPvRmT3_T4_T5_T6_T7_T9_mT8_P12ihipStream_tbDpT10_ENKUlT_T0_E_clISt17integral_constantIbLb1EES1A_IbLb0EEEEDaS16_S17_EUlS16_E_NS1_11comp_targetILNS1_3genE5ELNS1_11target_archE942ELNS1_3gpuE9ELNS1_3repE0EEENS1_30default_config_static_selectorELNS0_4arch9wavefront6targetE1EEEvT1_,comdat
	.protected	_ZN7rocprim17ROCPRIM_400000_NS6detail17trampoline_kernelINS0_14default_configENS1_25partition_config_selectorILNS1_17partition_subalgoE1EiNS0_10empty_typeEbEEZZNS1_14partition_implILS5_1ELb0ES3_jN6thrust23THRUST_200600_302600_NS6detail15normal_iteratorINSA_10device_ptrIiEEEEPS6_NSA_18transform_iteratorI7is_evenIiESF_NSA_11use_defaultESK_EENS0_5tupleIJNSA_16discard_iteratorISK_EESO_EEENSM_IJSG_SG_EEES6_PlJS6_EEE10hipError_tPvRmT3_T4_T5_T6_T7_T9_mT8_P12ihipStream_tbDpT10_ENKUlT_T0_E_clISt17integral_constantIbLb1EES1A_IbLb0EEEEDaS16_S17_EUlS16_E_NS1_11comp_targetILNS1_3genE5ELNS1_11target_archE942ELNS1_3gpuE9ELNS1_3repE0EEENS1_30default_config_static_selectorELNS0_4arch9wavefront6targetE1EEEvT1_ ; -- Begin function _ZN7rocprim17ROCPRIM_400000_NS6detail17trampoline_kernelINS0_14default_configENS1_25partition_config_selectorILNS1_17partition_subalgoE1EiNS0_10empty_typeEbEEZZNS1_14partition_implILS5_1ELb0ES3_jN6thrust23THRUST_200600_302600_NS6detail15normal_iteratorINSA_10device_ptrIiEEEEPS6_NSA_18transform_iteratorI7is_evenIiESF_NSA_11use_defaultESK_EENS0_5tupleIJNSA_16discard_iteratorISK_EESO_EEENSM_IJSG_SG_EEES6_PlJS6_EEE10hipError_tPvRmT3_T4_T5_T6_T7_T9_mT8_P12ihipStream_tbDpT10_ENKUlT_T0_E_clISt17integral_constantIbLb1EES1A_IbLb0EEEEDaS16_S17_EUlS16_E_NS1_11comp_targetILNS1_3genE5ELNS1_11target_archE942ELNS1_3gpuE9ELNS1_3repE0EEENS1_30default_config_static_selectorELNS0_4arch9wavefront6targetE1EEEvT1_
	.globl	_ZN7rocprim17ROCPRIM_400000_NS6detail17trampoline_kernelINS0_14default_configENS1_25partition_config_selectorILNS1_17partition_subalgoE1EiNS0_10empty_typeEbEEZZNS1_14partition_implILS5_1ELb0ES3_jN6thrust23THRUST_200600_302600_NS6detail15normal_iteratorINSA_10device_ptrIiEEEEPS6_NSA_18transform_iteratorI7is_evenIiESF_NSA_11use_defaultESK_EENS0_5tupleIJNSA_16discard_iteratorISK_EESO_EEENSM_IJSG_SG_EEES6_PlJS6_EEE10hipError_tPvRmT3_T4_T5_T6_T7_T9_mT8_P12ihipStream_tbDpT10_ENKUlT_T0_E_clISt17integral_constantIbLb1EES1A_IbLb0EEEEDaS16_S17_EUlS16_E_NS1_11comp_targetILNS1_3genE5ELNS1_11target_archE942ELNS1_3gpuE9ELNS1_3repE0EEENS1_30default_config_static_selectorELNS0_4arch9wavefront6targetE1EEEvT1_
	.p2align	8
	.type	_ZN7rocprim17ROCPRIM_400000_NS6detail17trampoline_kernelINS0_14default_configENS1_25partition_config_selectorILNS1_17partition_subalgoE1EiNS0_10empty_typeEbEEZZNS1_14partition_implILS5_1ELb0ES3_jN6thrust23THRUST_200600_302600_NS6detail15normal_iteratorINSA_10device_ptrIiEEEEPS6_NSA_18transform_iteratorI7is_evenIiESF_NSA_11use_defaultESK_EENS0_5tupleIJNSA_16discard_iteratorISK_EESO_EEENSM_IJSG_SG_EEES6_PlJS6_EEE10hipError_tPvRmT3_T4_T5_T6_T7_T9_mT8_P12ihipStream_tbDpT10_ENKUlT_T0_E_clISt17integral_constantIbLb1EES1A_IbLb0EEEEDaS16_S17_EUlS16_E_NS1_11comp_targetILNS1_3genE5ELNS1_11target_archE942ELNS1_3gpuE9ELNS1_3repE0EEENS1_30default_config_static_selectorELNS0_4arch9wavefront6targetE1EEEvT1_,@function
_ZN7rocprim17ROCPRIM_400000_NS6detail17trampoline_kernelINS0_14default_configENS1_25partition_config_selectorILNS1_17partition_subalgoE1EiNS0_10empty_typeEbEEZZNS1_14partition_implILS5_1ELb0ES3_jN6thrust23THRUST_200600_302600_NS6detail15normal_iteratorINSA_10device_ptrIiEEEEPS6_NSA_18transform_iteratorI7is_evenIiESF_NSA_11use_defaultESK_EENS0_5tupleIJNSA_16discard_iteratorISK_EESO_EEENSM_IJSG_SG_EEES6_PlJS6_EEE10hipError_tPvRmT3_T4_T5_T6_T7_T9_mT8_P12ihipStream_tbDpT10_ENKUlT_T0_E_clISt17integral_constantIbLb1EES1A_IbLb0EEEEDaS16_S17_EUlS16_E_NS1_11comp_targetILNS1_3genE5ELNS1_11target_archE942ELNS1_3gpuE9ELNS1_3repE0EEENS1_30default_config_static_selectorELNS0_4arch9wavefront6targetE1EEEvT1_: ; @_ZN7rocprim17ROCPRIM_400000_NS6detail17trampoline_kernelINS0_14default_configENS1_25partition_config_selectorILNS1_17partition_subalgoE1EiNS0_10empty_typeEbEEZZNS1_14partition_implILS5_1ELb0ES3_jN6thrust23THRUST_200600_302600_NS6detail15normal_iteratorINSA_10device_ptrIiEEEEPS6_NSA_18transform_iteratorI7is_evenIiESF_NSA_11use_defaultESK_EENS0_5tupleIJNSA_16discard_iteratorISK_EESO_EEENSM_IJSG_SG_EEES6_PlJS6_EEE10hipError_tPvRmT3_T4_T5_T6_T7_T9_mT8_P12ihipStream_tbDpT10_ENKUlT_T0_E_clISt17integral_constantIbLb1EES1A_IbLb0EEEEDaS16_S17_EUlS16_E_NS1_11comp_targetILNS1_3genE5ELNS1_11target_archE942ELNS1_3gpuE9ELNS1_3repE0EEENS1_30default_config_static_selectorELNS0_4arch9wavefront6targetE1EEEvT1_
; %bb.0:
	.section	.rodata,"a",@progbits
	.p2align	6, 0x0
	.amdhsa_kernel _ZN7rocprim17ROCPRIM_400000_NS6detail17trampoline_kernelINS0_14default_configENS1_25partition_config_selectorILNS1_17partition_subalgoE1EiNS0_10empty_typeEbEEZZNS1_14partition_implILS5_1ELb0ES3_jN6thrust23THRUST_200600_302600_NS6detail15normal_iteratorINSA_10device_ptrIiEEEEPS6_NSA_18transform_iteratorI7is_evenIiESF_NSA_11use_defaultESK_EENS0_5tupleIJNSA_16discard_iteratorISK_EESO_EEENSM_IJSG_SG_EEES6_PlJS6_EEE10hipError_tPvRmT3_T4_T5_T6_T7_T9_mT8_P12ihipStream_tbDpT10_ENKUlT_T0_E_clISt17integral_constantIbLb1EES1A_IbLb0EEEEDaS16_S17_EUlS16_E_NS1_11comp_targetILNS1_3genE5ELNS1_11target_archE942ELNS1_3gpuE9ELNS1_3repE0EEENS1_30default_config_static_selectorELNS0_4arch9wavefront6targetE1EEEvT1_
		.amdhsa_group_segment_fixed_size 0
		.amdhsa_private_segment_fixed_size 0
		.amdhsa_kernarg_size 144
		.amdhsa_user_sgpr_count 6
		.amdhsa_user_sgpr_private_segment_buffer 1
		.amdhsa_user_sgpr_dispatch_ptr 0
		.amdhsa_user_sgpr_queue_ptr 0
		.amdhsa_user_sgpr_kernarg_segment_ptr 1
		.amdhsa_user_sgpr_dispatch_id 0
		.amdhsa_user_sgpr_flat_scratch_init 0
		.amdhsa_user_sgpr_kernarg_preload_length 0
		.amdhsa_user_sgpr_kernarg_preload_offset 0
		.amdhsa_user_sgpr_private_segment_size 0
		.amdhsa_uses_dynamic_stack 0
		.amdhsa_system_sgpr_private_segment_wavefront_offset 0
		.amdhsa_system_sgpr_workgroup_id_x 1
		.amdhsa_system_sgpr_workgroup_id_y 0
		.amdhsa_system_sgpr_workgroup_id_z 0
		.amdhsa_system_sgpr_workgroup_info 0
		.amdhsa_system_vgpr_workitem_id 0
		.amdhsa_next_free_vgpr 1
		.amdhsa_next_free_sgpr 0
		.amdhsa_accum_offset 4
		.amdhsa_reserve_vcc 0
		.amdhsa_reserve_flat_scratch 0
		.amdhsa_float_round_mode_32 0
		.amdhsa_float_round_mode_16_64 0
		.amdhsa_float_denorm_mode_32 3
		.amdhsa_float_denorm_mode_16_64 3
		.amdhsa_dx10_clamp 1
		.amdhsa_ieee_mode 1
		.amdhsa_fp16_overflow 0
		.amdhsa_tg_split 0
		.amdhsa_exception_fp_ieee_invalid_op 0
		.amdhsa_exception_fp_denorm_src 0
		.amdhsa_exception_fp_ieee_div_zero 0
		.amdhsa_exception_fp_ieee_overflow 0
		.amdhsa_exception_fp_ieee_underflow 0
		.amdhsa_exception_fp_ieee_inexact 0
		.amdhsa_exception_int_div_zero 0
	.end_amdhsa_kernel
	.section	.text._ZN7rocprim17ROCPRIM_400000_NS6detail17trampoline_kernelINS0_14default_configENS1_25partition_config_selectorILNS1_17partition_subalgoE1EiNS0_10empty_typeEbEEZZNS1_14partition_implILS5_1ELb0ES3_jN6thrust23THRUST_200600_302600_NS6detail15normal_iteratorINSA_10device_ptrIiEEEEPS6_NSA_18transform_iteratorI7is_evenIiESF_NSA_11use_defaultESK_EENS0_5tupleIJNSA_16discard_iteratorISK_EESO_EEENSM_IJSG_SG_EEES6_PlJS6_EEE10hipError_tPvRmT3_T4_T5_T6_T7_T9_mT8_P12ihipStream_tbDpT10_ENKUlT_T0_E_clISt17integral_constantIbLb1EES1A_IbLb0EEEEDaS16_S17_EUlS16_E_NS1_11comp_targetILNS1_3genE5ELNS1_11target_archE942ELNS1_3gpuE9ELNS1_3repE0EEENS1_30default_config_static_selectorELNS0_4arch9wavefront6targetE1EEEvT1_,"axG",@progbits,_ZN7rocprim17ROCPRIM_400000_NS6detail17trampoline_kernelINS0_14default_configENS1_25partition_config_selectorILNS1_17partition_subalgoE1EiNS0_10empty_typeEbEEZZNS1_14partition_implILS5_1ELb0ES3_jN6thrust23THRUST_200600_302600_NS6detail15normal_iteratorINSA_10device_ptrIiEEEEPS6_NSA_18transform_iteratorI7is_evenIiESF_NSA_11use_defaultESK_EENS0_5tupleIJNSA_16discard_iteratorISK_EESO_EEENSM_IJSG_SG_EEES6_PlJS6_EEE10hipError_tPvRmT3_T4_T5_T6_T7_T9_mT8_P12ihipStream_tbDpT10_ENKUlT_T0_E_clISt17integral_constantIbLb1EES1A_IbLb0EEEEDaS16_S17_EUlS16_E_NS1_11comp_targetILNS1_3genE5ELNS1_11target_archE942ELNS1_3gpuE9ELNS1_3repE0EEENS1_30default_config_static_selectorELNS0_4arch9wavefront6targetE1EEEvT1_,comdat
.Lfunc_end3276:
	.size	_ZN7rocprim17ROCPRIM_400000_NS6detail17trampoline_kernelINS0_14default_configENS1_25partition_config_selectorILNS1_17partition_subalgoE1EiNS0_10empty_typeEbEEZZNS1_14partition_implILS5_1ELb0ES3_jN6thrust23THRUST_200600_302600_NS6detail15normal_iteratorINSA_10device_ptrIiEEEEPS6_NSA_18transform_iteratorI7is_evenIiESF_NSA_11use_defaultESK_EENS0_5tupleIJNSA_16discard_iteratorISK_EESO_EEENSM_IJSG_SG_EEES6_PlJS6_EEE10hipError_tPvRmT3_T4_T5_T6_T7_T9_mT8_P12ihipStream_tbDpT10_ENKUlT_T0_E_clISt17integral_constantIbLb1EES1A_IbLb0EEEEDaS16_S17_EUlS16_E_NS1_11comp_targetILNS1_3genE5ELNS1_11target_archE942ELNS1_3gpuE9ELNS1_3repE0EEENS1_30default_config_static_selectorELNS0_4arch9wavefront6targetE1EEEvT1_, .Lfunc_end3276-_ZN7rocprim17ROCPRIM_400000_NS6detail17trampoline_kernelINS0_14default_configENS1_25partition_config_selectorILNS1_17partition_subalgoE1EiNS0_10empty_typeEbEEZZNS1_14partition_implILS5_1ELb0ES3_jN6thrust23THRUST_200600_302600_NS6detail15normal_iteratorINSA_10device_ptrIiEEEEPS6_NSA_18transform_iteratorI7is_evenIiESF_NSA_11use_defaultESK_EENS0_5tupleIJNSA_16discard_iteratorISK_EESO_EEENSM_IJSG_SG_EEES6_PlJS6_EEE10hipError_tPvRmT3_T4_T5_T6_T7_T9_mT8_P12ihipStream_tbDpT10_ENKUlT_T0_E_clISt17integral_constantIbLb1EES1A_IbLb0EEEEDaS16_S17_EUlS16_E_NS1_11comp_targetILNS1_3genE5ELNS1_11target_archE942ELNS1_3gpuE9ELNS1_3repE0EEENS1_30default_config_static_selectorELNS0_4arch9wavefront6targetE1EEEvT1_
                                        ; -- End function
	.section	.AMDGPU.csdata,"",@progbits
; Kernel info:
; codeLenInByte = 0
; NumSgprs: 4
; NumVgprs: 0
; NumAgprs: 0
; TotalNumVgprs: 0
; ScratchSize: 0
; MemoryBound: 0
; FloatMode: 240
; IeeeMode: 1
; LDSByteSize: 0 bytes/workgroup (compile time only)
; SGPRBlocks: 0
; VGPRBlocks: 0
; NumSGPRsForWavesPerEU: 4
; NumVGPRsForWavesPerEU: 1
; AccumOffset: 4
; Occupancy: 8
; WaveLimiterHint : 0
; COMPUTE_PGM_RSRC2:SCRATCH_EN: 0
; COMPUTE_PGM_RSRC2:USER_SGPR: 6
; COMPUTE_PGM_RSRC2:TRAP_HANDLER: 0
; COMPUTE_PGM_RSRC2:TGID_X_EN: 1
; COMPUTE_PGM_RSRC2:TGID_Y_EN: 0
; COMPUTE_PGM_RSRC2:TGID_Z_EN: 0
; COMPUTE_PGM_RSRC2:TIDIG_COMP_CNT: 0
; COMPUTE_PGM_RSRC3_GFX90A:ACCUM_OFFSET: 0
; COMPUTE_PGM_RSRC3_GFX90A:TG_SPLIT: 0
	.section	.text._ZN7rocprim17ROCPRIM_400000_NS6detail17trampoline_kernelINS0_14default_configENS1_25partition_config_selectorILNS1_17partition_subalgoE1EiNS0_10empty_typeEbEEZZNS1_14partition_implILS5_1ELb0ES3_jN6thrust23THRUST_200600_302600_NS6detail15normal_iteratorINSA_10device_ptrIiEEEEPS6_NSA_18transform_iteratorI7is_evenIiESF_NSA_11use_defaultESK_EENS0_5tupleIJNSA_16discard_iteratorISK_EESO_EEENSM_IJSG_SG_EEES6_PlJS6_EEE10hipError_tPvRmT3_T4_T5_T6_T7_T9_mT8_P12ihipStream_tbDpT10_ENKUlT_T0_E_clISt17integral_constantIbLb1EES1A_IbLb0EEEEDaS16_S17_EUlS16_E_NS1_11comp_targetILNS1_3genE4ELNS1_11target_archE910ELNS1_3gpuE8ELNS1_3repE0EEENS1_30default_config_static_selectorELNS0_4arch9wavefront6targetE1EEEvT1_,"axG",@progbits,_ZN7rocprim17ROCPRIM_400000_NS6detail17trampoline_kernelINS0_14default_configENS1_25partition_config_selectorILNS1_17partition_subalgoE1EiNS0_10empty_typeEbEEZZNS1_14partition_implILS5_1ELb0ES3_jN6thrust23THRUST_200600_302600_NS6detail15normal_iteratorINSA_10device_ptrIiEEEEPS6_NSA_18transform_iteratorI7is_evenIiESF_NSA_11use_defaultESK_EENS0_5tupleIJNSA_16discard_iteratorISK_EESO_EEENSM_IJSG_SG_EEES6_PlJS6_EEE10hipError_tPvRmT3_T4_T5_T6_T7_T9_mT8_P12ihipStream_tbDpT10_ENKUlT_T0_E_clISt17integral_constantIbLb1EES1A_IbLb0EEEEDaS16_S17_EUlS16_E_NS1_11comp_targetILNS1_3genE4ELNS1_11target_archE910ELNS1_3gpuE8ELNS1_3repE0EEENS1_30default_config_static_selectorELNS0_4arch9wavefront6targetE1EEEvT1_,comdat
	.protected	_ZN7rocprim17ROCPRIM_400000_NS6detail17trampoline_kernelINS0_14default_configENS1_25partition_config_selectorILNS1_17partition_subalgoE1EiNS0_10empty_typeEbEEZZNS1_14partition_implILS5_1ELb0ES3_jN6thrust23THRUST_200600_302600_NS6detail15normal_iteratorINSA_10device_ptrIiEEEEPS6_NSA_18transform_iteratorI7is_evenIiESF_NSA_11use_defaultESK_EENS0_5tupleIJNSA_16discard_iteratorISK_EESO_EEENSM_IJSG_SG_EEES6_PlJS6_EEE10hipError_tPvRmT3_T4_T5_T6_T7_T9_mT8_P12ihipStream_tbDpT10_ENKUlT_T0_E_clISt17integral_constantIbLb1EES1A_IbLb0EEEEDaS16_S17_EUlS16_E_NS1_11comp_targetILNS1_3genE4ELNS1_11target_archE910ELNS1_3gpuE8ELNS1_3repE0EEENS1_30default_config_static_selectorELNS0_4arch9wavefront6targetE1EEEvT1_ ; -- Begin function _ZN7rocprim17ROCPRIM_400000_NS6detail17trampoline_kernelINS0_14default_configENS1_25partition_config_selectorILNS1_17partition_subalgoE1EiNS0_10empty_typeEbEEZZNS1_14partition_implILS5_1ELb0ES3_jN6thrust23THRUST_200600_302600_NS6detail15normal_iteratorINSA_10device_ptrIiEEEEPS6_NSA_18transform_iteratorI7is_evenIiESF_NSA_11use_defaultESK_EENS0_5tupleIJNSA_16discard_iteratorISK_EESO_EEENSM_IJSG_SG_EEES6_PlJS6_EEE10hipError_tPvRmT3_T4_T5_T6_T7_T9_mT8_P12ihipStream_tbDpT10_ENKUlT_T0_E_clISt17integral_constantIbLb1EES1A_IbLb0EEEEDaS16_S17_EUlS16_E_NS1_11comp_targetILNS1_3genE4ELNS1_11target_archE910ELNS1_3gpuE8ELNS1_3repE0EEENS1_30default_config_static_selectorELNS0_4arch9wavefront6targetE1EEEvT1_
	.globl	_ZN7rocprim17ROCPRIM_400000_NS6detail17trampoline_kernelINS0_14default_configENS1_25partition_config_selectorILNS1_17partition_subalgoE1EiNS0_10empty_typeEbEEZZNS1_14partition_implILS5_1ELb0ES3_jN6thrust23THRUST_200600_302600_NS6detail15normal_iteratorINSA_10device_ptrIiEEEEPS6_NSA_18transform_iteratorI7is_evenIiESF_NSA_11use_defaultESK_EENS0_5tupleIJNSA_16discard_iteratorISK_EESO_EEENSM_IJSG_SG_EEES6_PlJS6_EEE10hipError_tPvRmT3_T4_T5_T6_T7_T9_mT8_P12ihipStream_tbDpT10_ENKUlT_T0_E_clISt17integral_constantIbLb1EES1A_IbLb0EEEEDaS16_S17_EUlS16_E_NS1_11comp_targetILNS1_3genE4ELNS1_11target_archE910ELNS1_3gpuE8ELNS1_3repE0EEENS1_30default_config_static_selectorELNS0_4arch9wavefront6targetE1EEEvT1_
	.p2align	8
	.type	_ZN7rocprim17ROCPRIM_400000_NS6detail17trampoline_kernelINS0_14default_configENS1_25partition_config_selectorILNS1_17partition_subalgoE1EiNS0_10empty_typeEbEEZZNS1_14partition_implILS5_1ELb0ES3_jN6thrust23THRUST_200600_302600_NS6detail15normal_iteratorINSA_10device_ptrIiEEEEPS6_NSA_18transform_iteratorI7is_evenIiESF_NSA_11use_defaultESK_EENS0_5tupleIJNSA_16discard_iteratorISK_EESO_EEENSM_IJSG_SG_EEES6_PlJS6_EEE10hipError_tPvRmT3_T4_T5_T6_T7_T9_mT8_P12ihipStream_tbDpT10_ENKUlT_T0_E_clISt17integral_constantIbLb1EES1A_IbLb0EEEEDaS16_S17_EUlS16_E_NS1_11comp_targetILNS1_3genE4ELNS1_11target_archE910ELNS1_3gpuE8ELNS1_3repE0EEENS1_30default_config_static_selectorELNS0_4arch9wavefront6targetE1EEEvT1_,@function
_ZN7rocprim17ROCPRIM_400000_NS6detail17trampoline_kernelINS0_14default_configENS1_25partition_config_selectorILNS1_17partition_subalgoE1EiNS0_10empty_typeEbEEZZNS1_14partition_implILS5_1ELb0ES3_jN6thrust23THRUST_200600_302600_NS6detail15normal_iteratorINSA_10device_ptrIiEEEEPS6_NSA_18transform_iteratorI7is_evenIiESF_NSA_11use_defaultESK_EENS0_5tupleIJNSA_16discard_iteratorISK_EESO_EEENSM_IJSG_SG_EEES6_PlJS6_EEE10hipError_tPvRmT3_T4_T5_T6_T7_T9_mT8_P12ihipStream_tbDpT10_ENKUlT_T0_E_clISt17integral_constantIbLb1EES1A_IbLb0EEEEDaS16_S17_EUlS16_E_NS1_11comp_targetILNS1_3genE4ELNS1_11target_archE910ELNS1_3gpuE8ELNS1_3repE0EEENS1_30default_config_static_selectorELNS0_4arch9wavefront6targetE1EEEvT1_: ; @_ZN7rocprim17ROCPRIM_400000_NS6detail17trampoline_kernelINS0_14default_configENS1_25partition_config_selectorILNS1_17partition_subalgoE1EiNS0_10empty_typeEbEEZZNS1_14partition_implILS5_1ELb0ES3_jN6thrust23THRUST_200600_302600_NS6detail15normal_iteratorINSA_10device_ptrIiEEEEPS6_NSA_18transform_iteratorI7is_evenIiESF_NSA_11use_defaultESK_EENS0_5tupleIJNSA_16discard_iteratorISK_EESO_EEENSM_IJSG_SG_EEES6_PlJS6_EEE10hipError_tPvRmT3_T4_T5_T6_T7_T9_mT8_P12ihipStream_tbDpT10_ENKUlT_T0_E_clISt17integral_constantIbLb1EES1A_IbLb0EEEEDaS16_S17_EUlS16_E_NS1_11comp_targetILNS1_3genE4ELNS1_11target_archE910ELNS1_3gpuE8ELNS1_3repE0EEENS1_30default_config_static_selectorELNS0_4arch9wavefront6targetE1EEEvT1_
; %bb.0:
	s_load_dwordx2 s[0:1], s[4:5], 0x70
	s_load_dwordx4 s[12:15], s[4:5], 0x8
	s_load_dwordx2 s[2:3], s[4:5], 0x20
	s_load_dwordx4 s[20:23], s[4:5], 0x60
	s_waitcnt lgkmcnt(0)
	v_mov_b32_e32 v3, s1
	s_load_dword s1, s[4:5], 0x88
	s_lshl_b64 s[8:9], s[14:15], 2
	s_add_u32 s16, s12, s8
	s_addc_u32 s17, s13, s9
	v_mov_b32_e32 v2, s0
	s_waitcnt lgkmcnt(0)
	s_add_i32 s10, s1, -1
	s_mulk_i32 s1, 0x700
	s_add_i32 s7, s1, s14
	s_sub_i32 s7, s0, s7
	s_addk_i32 s7, 0x700
	s_add_u32 s0, s14, s1
	s_addc_u32 s1, s15, 0
	s_cmp_eq_u32 s6, s10
	s_load_dwordx2 s[18:19], s[22:23], 0x0
	s_cselect_b64 s[22:23], -1, 0
	s_cmp_lg_u32 s6, s10
	s_mul_i32 s12, s6, 0x700
	s_mov_b32 s13, 0
	v_cmp_lt_u64_e32 vcc, s[0:1], v[2:3]
	s_cselect_b64 s[0:1], -1, 0
	s_or_b64 s[10:11], s[0:1], vcc
	s_lshl_b64 s[12:13], s[12:13], 2
	s_add_u32 s16, s16, s12
	s_addc_u32 s17, s17, s13
	s_mov_b64 s[0:1], -1
	s_and_b64 vcc, exec, s[10:11]
	s_cbranch_vccz .LBB3277_2
; %bb.1:
	v_lshlrev_b32_e32 v1, 2, v0
	v_mov_b32_e32 v3, s17
	v_add_co_u32_e32 v2, vcc, s16, v1
	v_addc_co_u32_e32 v3, vcc, 0, v3, vcc
	v_add_co_u32_e32 v4, vcc, 0x1000, v2
	v_addc_co_u32_e32 v5, vcc, 0, v3, vcc
	flat_load_dword v6, v[2:3]
	flat_load_dword v7, v[2:3] offset:1024
	flat_load_dword v8, v[2:3] offset:2048
	;; [unrolled: 1-line block ×3, first 2 shown]
	flat_load_dword v10, v[4:5]
	flat_load_dword v11, v[4:5] offset:1024
	flat_load_dword v12, v[4:5] offset:2048
	s_mov_b64 s[0:1], 0
	s_waitcnt vmcnt(0) lgkmcnt(0)
	ds_write2st64_b32 v1, v6, v7 offset1:4
	ds_write2st64_b32 v1, v8, v9 offset0:8 offset1:12
	ds_write2st64_b32 v1, v10, v11 offset0:16 offset1:20
	ds_write_b32 v1, v12 offset:6144
	s_waitcnt lgkmcnt(0)
	s_barrier
.LBB3277_2:
	s_andn2_b64 vcc, exec, s[0:1]
	v_cmp_gt_u32_e64 s[0:1], s7, v0
	s_cbranch_vccnz .LBB3277_18
; %bb.3:
                                        ; implicit-def: $vgpr2_vgpr3_vgpr4_vgpr5_vgpr6_vgpr7_vgpr8
	s_and_saveexec_b64 s[14:15], s[0:1]
	s_cbranch_execz .LBB3277_5
; %bb.4:
	v_lshlrev_b32_e32 v1, 2, v0
	v_mov_b32_e32 v3, s17
	v_add_co_u32_e32 v2, vcc, s16, v1
	v_addc_co_u32_e32 v3, vcc, 0, v3, vcc
	flat_load_dword v2, v[2:3]
.LBB3277_5:
	s_or_b64 exec, exec, s[14:15]
	v_or_b32_e32 v1, 0x100, v0
	v_cmp_gt_u32_e32 vcc, s7, v1
	s_and_saveexec_b64 s[0:1], vcc
	s_cbranch_execz .LBB3277_7
; %bb.6:
	v_lshlrev_b32_e32 v1, 2, v0
	v_mov_b32_e32 v3, s17
	v_add_co_u32_e32 v10, vcc, s16, v1
	v_addc_co_u32_e32 v11, vcc, 0, v3, vcc
	flat_load_dword v3, v[10:11] offset:1024
.LBB3277_7:
	s_or_b64 exec, exec, s[0:1]
	v_or_b32_e32 v1, 0x200, v0
	v_cmp_gt_u32_e32 vcc, s7, v1
	s_and_saveexec_b64 s[0:1], vcc
	s_cbranch_execz .LBB3277_9
; %bb.8:
	v_lshlrev_b32_e32 v1, 2, v0
	v_mov_b32_e32 v4, s17
	v_add_co_u32_e32 v10, vcc, s16, v1
	v_addc_co_u32_e32 v11, vcc, 0, v4, vcc
	flat_load_dword v4, v[10:11] offset:2048
.LBB3277_9:
	;; [unrolled: 12-line block ×3, first 2 shown]
	s_or_b64 exec, exec, s[0:1]
	v_or_b32_e32 v1, 0x400, v0
	v_cmp_gt_u32_e32 vcc, s7, v1
	s_and_saveexec_b64 s[0:1], vcc
	s_cbranch_execz .LBB3277_13
; %bb.12:
	v_lshlrev_b32_e32 v1, 2, v1
	v_mov_b32_e32 v6, s17
	v_add_co_u32_e32 v10, vcc, s16, v1
	v_addc_co_u32_e32 v11, vcc, 0, v6, vcc
	flat_load_dword v6, v[10:11]
.LBB3277_13:
	s_or_b64 exec, exec, s[0:1]
	v_or_b32_e32 v1, 0x500, v0
	v_cmp_gt_u32_e32 vcc, s7, v1
	s_and_saveexec_b64 s[0:1], vcc
	s_cbranch_execz .LBB3277_15
; %bb.14:
	v_lshlrev_b32_e32 v1, 2, v1
	v_mov_b32_e32 v7, s17
	v_add_co_u32_e32 v10, vcc, s16, v1
	v_addc_co_u32_e32 v11, vcc, 0, v7, vcc
	flat_load_dword v7, v[10:11]
.LBB3277_15:
	;; [unrolled: 12-line block ×3, first 2 shown]
	s_or_b64 exec, exec, s[0:1]
	v_lshlrev_b32_e32 v1, 2, v0
	s_waitcnt vmcnt(0) lgkmcnt(0)
	ds_write2st64_b32 v1, v2, v3 offset1:4
	ds_write2st64_b32 v1, v4, v5 offset0:8 offset1:12
	ds_write2st64_b32 v1, v6, v7 offset0:16 offset1:20
	ds_write_b32 v1, v8 offset:6144
	s_waitcnt lgkmcnt(0)
	s_barrier
.LBB3277_18:
	v_mul_u32_u24_e32 v18, 7, v0
	v_lshlrev_b32_e32 v8, 2, v18
	s_waitcnt lgkmcnt(0)
	ds_read2_b32 v[6:7], v8 offset1:1
	ds_read2_b32 v[4:5], v8 offset0:2 offset1:3
	ds_read2_b32 v[2:3], v8 offset0:4 offset1:5
	ds_read_b32 v1, v8 offset:24
	s_add_u32 s0, s2, s8
	s_addc_u32 s1, s3, s9
	s_add_u32 s0, s0, s12
	s_addc_u32 s1, s1, s13
	s_mov_b64 s[2:3], -1
	s_and_b64 vcc, exec, s[10:11]
	s_waitcnt lgkmcnt(0)
	s_barrier
	s_cbranch_vccz .LBB3277_20
; %bb.19:
	v_lshlrev_b32_e32 v9, 2, v0
	v_mov_b32_e32 v10, s1
	v_add_co_u32_e32 v11, vcc, s0, v9
	v_addc_co_u32_e32 v12, vcc, 0, v10, vcc
	s_movk_i32 s2, 0x1000
	v_add_co_u32_e32 v10, vcc, s2, v11
	v_addc_co_u32_e32 v11, vcc, 0, v12, vcc
	global_load_dword v13, v9, s[0:1]
	global_load_dword v14, v9, s[0:1] offset:1024
	global_load_dword v15, v9, s[0:1] offset:2048
	;; [unrolled: 1-line block ×3, first 2 shown]
	s_nop 0
	global_load_dword v9, v[10:11], off
	global_load_dword v12, v[10:11], off offset:1024
	global_load_dword v17, v[10:11], off offset:2048
	s_mov_b64 s[2:3], 0
	s_waitcnt vmcnt(6)
	v_xor_b32_e32 v10, -1, v13
	s_waitcnt vmcnt(5)
	v_xor_b32_e32 v11, -1, v14
	s_waitcnt vmcnt(2)
	v_xor_b32_e32 v9, -1, v9
	v_xor_b32_e32 v13, -1, v15
	v_xor_b32_e32 v14, -1, v16
	v_and_b32_e32 v10, 1, v10
	v_and_b32_e32 v11, 1, v11
	s_waitcnt vmcnt(1)
	v_xor_b32_e32 v12, -1, v12
	s_waitcnt vmcnt(0)
	v_xor_b32_e32 v15, -1, v17
	v_and_b32_e32 v9, 1, v9
	v_and_b32_e32 v13, 1, v13
	;; [unrolled: 1-line block ×3, first 2 shown]
	ds_write_b8 v0, v10
	ds_write_b8 v0, v11 offset:256
	ds_write_b8 v0, v13 offset:512
	;; [unrolled: 1-line block ×3, first 2 shown]
	v_and_b32_e32 v10, 1, v12
	v_and_b32_e32 v11, 1, v15
	ds_write_b8 v0, v9 offset:1024
	ds_write_b8 v0, v10 offset:1280
	;; [unrolled: 1-line block ×3, first 2 shown]
	s_waitcnt lgkmcnt(0)
	s_barrier
.LBB3277_20:
	s_load_dwordx2 s[24:25], s[4:5], 0x80
	s_andn2_b64 vcc, exec, s[2:3]
	s_cbranch_vccnz .LBB3277_36
; %bb.21:
	v_cmp_gt_u32_e32 vcc, s7, v0
	v_mov_b32_e32 v9, 0
	v_mov_b32_e32 v10, 0
	s_and_saveexec_b64 s[2:3], vcc
	s_cbranch_execz .LBB3277_23
; %bb.22:
	v_lshlrev_b32_e32 v10, 2, v0
	global_load_dword v10, v10, s[0:1]
	s_waitcnt vmcnt(0)
	v_xor_b32_e32 v10, -1, v10
	v_and_b32_e32 v10, 1, v10
.LBB3277_23:
	s_or_b64 exec, exec, s[2:3]
	v_or_b32_e32 v11, 0x100, v0
	v_cmp_gt_u32_e32 vcc, s7, v11
	s_and_saveexec_b64 s[2:3], vcc
	s_cbranch_execz .LBB3277_25
; %bb.24:
	v_lshlrev_b32_e32 v9, 2, v0
	global_load_dword v9, v9, s[0:1] offset:1024
	s_waitcnt vmcnt(0)
	v_xor_b32_e32 v9, -1, v9
	v_and_b32_e32 v9, 1, v9
.LBB3277_25:
	s_or_b64 exec, exec, s[2:3]
	v_or_b32_e32 v11, 0x200, v0
	v_cmp_gt_u32_e32 vcc, s7, v11
	v_mov_b32_e32 v11, 0
	v_mov_b32_e32 v12, 0
	s_and_saveexec_b64 s[2:3], vcc
	s_cbranch_execz .LBB3277_27
; %bb.26:
	v_lshlrev_b32_e32 v12, 2, v0
	global_load_dword v12, v12, s[0:1] offset:2048
	s_waitcnt vmcnt(0)
	v_xor_b32_e32 v12, -1, v12
	v_and_b32_e32 v12, 1, v12
.LBB3277_27:
	s_or_b64 exec, exec, s[2:3]
	v_or_b32_e32 v13, 0x300, v0
	v_cmp_gt_u32_e32 vcc, s7, v13
	s_and_saveexec_b64 s[2:3], vcc
	s_cbranch_execz .LBB3277_29
; %bb.28:
	v_lshlrev_b32_e32 v11, 2, v0
	global_load_dword v11, v11, s[0:1] offset:3072
	s_waitcnt vmcnt(0)
	v_xor_b32_e32 v11, -1, v11
	v_and_b32_e32 v11, 1, v11
.LBB3277_29:
	s_or_b64 exec, exec, s[2:3]
	v_or_b32_e32 v15, 0x400, v0
	v_cmp_gt_u32_e32 vcc, s7, v15
	v_mov_b32_e32 v13, 0
	v_mov_b32_e32 v14, 0
	s_and_saveexec_b64 s[2:3], vcc
	s_cbranch_execz .LBB3277_31
; %bb.30:
	v_lshlrev_b32_e32 v14, 2, v15
	global_load_dword v14, v14, s[0:1]
	s_waitcnt vmcnt(0)
	v_xor_b32_e32 v14, -1, v14
	v_and_b32_e32 v14, 1, v14
.LBB3277_31:
	s_or_b64 exec, exec, s[2:3]
	v_or_b32_e32 v15, 0x500, v0
	v_cmp_gt_u32_e32 vcc, s7, v15
	s_and_saveexec_b64 s[2:3], vcc
	s_cbranch_execz .LBB3277_33
; %bb.32:
	v_lshlrev_b32_e32 v13, 2, v15
	global_load_dword v13, v13, s[0:1]
	s_waitcnt vmcnt(0)
	v_xor_b32_e32 v13, -1, v13
	v_and_b32_e32 v13, 1, v13
.LBB3277_33:
	s_or_b64 exec, exec, s[2:3]
	v_or_b32_e32 v16, 0x600, v0
	v_cmp_gt_u32_e32 vcc, s7, v16
	v_mov_b32_e32 v15, 0
	s_and_saveexec_b64 s[2:3], vcc
	s_cbranch_execz .LBB3277_35
; %bb.34:
	v_lshlrev_b32_e32 v15, 2, v16
	global_load_dword v15, v15, s[0:1]
	s_waitcnt vmcnt(0)
	v_xor_b32_e32 v15, -1, v15
	v_and_b32_e32 v15, 1, v15
.LBB3277_35:
	s_or_b64 exec, exec, s[2:3]
	ds_write_b8 v0, v10
	ds_write_b8 v0, v9 offset:256
	ds_write_b8 v0, v12 offset:512
	;; [unrolled: 1-line block ×6, first 2 shown]
	s_waitcnt lgkmcnt(0)
	s_barrier
.LBB3277_36:
	s_movk_i32 s0, 0xffeb
	v_mad_i32_i24 v27, v0, s0, v8
	s_waitcnt lgkmcnt(0)
	ds_read_u8 v8, v27
	ds_read_u8 v9, v27 offset:1
	ds_read_u8 v10, v27 offset:2
	;; [unrolled: 1-line block ×6, first 2 shown]
	s_waitcnt lgkmcnt(6)
	v_and_b32_e32 v25, 1, v8
	s_waitcnt lgkmcnt(5)
	v_and_b32_e32 v24, 1, v9
	;; [unrolled: 2-line block ×5, first 2 shown]
	v_add3_u32 v8, v24, v25, v23
	s_waitcnt lgkmcnt(1)
	v_and_b32_e32 v20, 1, v13
	s_waitcnt lgkmcnt(0)
	v_and_b32_e32 v19, 1, v14
	v_add3_u32 v8, v8, v22, v21
	v_add3_u32 v29, v8, v20, v19
	v_mbcnt_lo_u32_b32 v8, -1, 0
	v_mbcnt_hi_u32_b32 v26, -1, v8
	v_and_b32_e32 v8, 15, v26
	v_cmp_eq_u32_e64 s[12:13], 0, v8
	v_cmp_lt_u32_e64 s[10:11], 1, v8
	v_cmp_lt_u32_e64 s[8:9], 3, v8
	;; [unrolled: 1-line block ×3, first 2 shown]
	v_and_b32_e32 v8, 16, v26
	v_cmp_eq_u32_e64 s[4:5], 0, v8
	v_or_b32_e32 v8, 63, v0
	s_cmp_lg_u32 s6, 0
	v_cmp_lt_u32_e64 s[0:1], 31, v26
	v_lshrrev_b32_e32 v28, 6, v0
	v_cmp_eq_u32_e64 s[2:3], v8, v0
	s_barrier
	s_cbranch_scc0 .LBB3277_67
; %bb.37:
	v_mov_b32_dpp v8, v29 row_shr:1 row_mask:0xf bank_mask:0xf
	v_cndmask_b32_e64 v8, v8, 0, s[12:13]
	v_add_u32_e32 v8, v8, v29
	s_nop 1
	v_mov_b32_dpp v9, v8 row_shr:2 row_mask:0xf bank_mask:0xf
	v_cndmask_b32_e64 v9, 0, v9, s[10:11]
	v_add_u32_e32 v8, v8, v9
	s_nop 1
	v_mov_b32_dpp v9, v8 row_shr:4 row_mask:0xf bank_mask:0xf
	v_cndmask_b32_e64 v9, 0, v9, s[8:9]
	v_add_u32_e32 v8, v8, v9
	s_nop 1
	v_mov_b32_dpp v9, v8 row_shr:8 row_mask:0xf bank_mask:0xf
	v_cndmask_b32_e64 v9, 0, v9, s[16:17]
	v_add_u32_e32 v8, v8, v9
	s_nop 1
	v_mov_b32_dpp v9, v8 row_bcast:15 row_mask:0xf bank_mask:0xf
	v_cndmask_b32_e64 v9, v9, 0, s[4:5]
	v_add_u32_e32 v8, v8, v9
	s_nop 1
	v_mov_b32_dpp v9, v8 row_bcast:31 row_mask:0xf bank_mask:0xf
	v_cndmask_b32_e64 v9, 0, v9, s[0:1]
	v_add_u32_e32 v8, v8, v9
	s_and_saveexec_b64 s[14:15], s[2:3]
	s_cbranch_execz .LBB3277_39
; %bb.38:
	v_lshlrev_b32_e32 v9, 2, v28
	ds_write_b32 v9, v8
.LBB3277_39:
	s_or_b64 exec, exec, s[14:15]
	v_cmp_gt_u32_e32 vcc, 4, v0
	s_waitcnt lgkmcnt(0)
	s_barrier
	s_and_saveexec_b64 s[14:15], vcc
	s_cbranch_execz .LBB3277_41
; %bb.40:
	v_lshlrev_b32_e32 v9, 2, v0
	ds_read_b32 v10, v9
	v_and_b32_e32 v11, 3, v26
	v_cmp_ne_u32_e32 vcc, 0, v11
	s_waitcnt lgkmcnt(0)
	v_mov_b32_dpp v12, v10 row_shr:1 row_mask:0xf bank_mask:0xf
	v_cndmask_b32_e32 v12, 0, v12, vcc
	v_add_u32_e32 v10, v12, v10
	v_cmp_lt_u32_e32 vcc, 1, v11
	s_nop 0
	v_mov_b32_dpp v12, v10 row_shr:2 row_mask:0xf bank_mask:0xf
	v_cndmask_b32_e32 v11, 0, v12, vcc
	v_add_u32_e32 v10, v10, v11
	ds_write_b32 v9, v10
.LBB3277_41:
	s_or_b64 exec, exec, s[14:15]
	v_cmp_gt_u32_e32 vcc, 64, v0
	v_cmp_lt_u32_e64 s[14:15], 63, v0
	s_waitcnt lgkmcnt(0)
	s_barrier
	s_waitcnt lgkmcnt(0)
                                        ; implicit-def: $vgpr30
	s_and_saveexec_b64 s[26:27], s[14:15]
	s_cbranch_execz .LBB3277_43
; %bb.42:
	v_lshl_add_u32 v9, v28, 2, -4
	ds_read_b32 v30, v9
	s_waitcnt lgkmcnt(0)
	v_add_u32_e32 v8, v30, v8
.LBB3277_43:
	s_or_b64 exec, exec, s[26:27]
	v_add_u32_e32 v9, -1, v26
	v_and_b32_e32 v10, 64, v26
	v_cmp_lt_i32_e64 s[14:15], v9, v10
	v_cndmask_b32_e64 v9, v9, v26, s[14:15]
	v_lshlrev_b32_e32 v9, 2, v9
	ds_bpermute_b32 v31, v9, v8
	v_cmp_eq_u32_e64 s[14:15], 0, v26
	s_and_saveexec_b64 s[26:27], vcc
	s_cbranch_execz .LBB3277_66
; %bb.44:
	v_mov_b32_e32 v17, 0
	ds_read_b32 v8, v17 offset:12
	s_and_saveexec_b64 s[28:29], s[14:15]
	s_cbranch_execz .LBB3277_46
; %bb.45:
	s_add_i32 s30, s6, 64
	s_mov_b32 s31, 0
	s_lshl_b64 s[30:31], s[30:31], 3
	s_add_u32 s30, s24, s30
	v_mov_b32_e32 v9, 1
	s_addc_u32 s31, s25, s31
	s_waitcnt lgkmcnt(0)
	global_store_dwordx2 v17, v[8:9], s[30:31]
.LBB3277_46:
	s_or_b64 exec, exec, s[28:29]
	v_xad_u32 v10, v26, -1, s6
	v_add_u32_e32 v16, 64, v10
	v_lshlrev_b64 v[12:13], 3, v[16:17]
	v_mov_b32_e32 v9, s25
	v_add_co_u32_e32 v12, vcc, s24, v12
	v_addc_co_u32_e32 v13, vcc, v9, v13, vcc
	global_load_dwordx2 v[14:15], v[12:13], off glc
	s_waitcnt vmcnt(0)
	v_cmp_eq_u16_sdwa s[30:31], v15, v17 src0_sel:BYTE_0 src1_sel:DWORD
	s_and_saveexec_b64 s[28:29], s[30:31]
	s_cbranch_execz .LBB3277_52
; %bb.47:
	s_mov_b32 s7, 1
	s_mov_b64 s[30:31], 0
	v_mov_b32_e32 v9, 0
.LBB3277_48:                            ; =>This Loop Header: Depth=1
                                        ;     Child Loop BB3277_49 Depth 2
	s_max_u32 s33, s7, 1
.LBB3277_49:                            ;   Parent Loop BB3277_48 Depth=1
                                        ; =>  This Inner Loop Header: Depth=2
	s_add_i32 s33, s33, -1
	s_cmp_eq_u32 s33, 0
	s_sleep 1
	s_cbranch_scc0 .LBB3277_49
; %bb.50:                               ;   in Loop: Header=BB3277_48 Depth=1
	global_load_dwordx2 v[14:15], v[12:13], off glc
	s_cmp_lt_u32 s7, 32
	s_cselect_b64 s[34:35], -1, 0
	s_cmp_lg_u64 s[34:35], 0
	s_addc_u32 s7, s7, 0
	s_waitcnt vmcnt(0)
	v_cmp_ne_u16_sdwa s[34:35], v15, v9 src0_sel:BYTE_0 src1_sel:DWORD
	s_or_b64 s[30:31], s[34:35], s[30:31]
	s_andn2_b64 exec, exec, s[30:31]
	s_cbranch_execnz .LBB3277_48
; %bb.51:
	s_or_b64 exec, exec, s[30:31]
.LBB3277_52:
	s_or_b64 exec, exec, s[28:29]
	v_and_b32_e32 v33, 63, v26
	v_mov_b32_e32 v32, 2
	v_cmp_ne_u32_e32 vcc, 63, v33
	v_cmp_eq_u16_sdwa s[28:29], v15, v32 src0_sel:BYTE_0 src1_sel:DWORD
	v_lshlrev_b64 v[12:13], v26, -1
	v_addc_co_u32_e32 v16, vcc, 0, v26, vcc
	v_and_b32_e32 v9, s29, v13
	v_lshlrev_b32_e32 v34, 2, v16
	v_or_b32_e32 v9, 0x80000000, v9
	ds_bpermute_b32 v16, v34, v14
	v_and_b32_e32 v11, s28, v12
	v_ffbl_b32_e32 v9, v9
	v_add_u32_e32 v9, 32, v9
	v_ffbl_b32_e32 v11, v11
	v_min_u32_e32 v9, v11, v9
	v_cmp_lt_u32_e32 vcc, v33, v9
	s_waitcnt lgkmcnt(0)
	v_cndmask_b32_e32 v11, 0, v16, vcc
	v_cmp_gt_u32_e32 vcc, 62, v33
	v_add_u32_e32 v11, v11, v14
	v_cndmask_b32_e64 v14, 0, 1, vcc
	v_lshlrev_b32_e32 v14, 1, v14
	v_add_lshl_u32 v35, v14, v26, 2
	ds_bpermute_b32 v14, v35, v11
	v_add_u32_e32 v36, 2, v33
	v_cmp_le_u32_e32 vcc, v36, v9
	v_add_u32_e32 v38, 4, v33
	v_add_u32_e32 v40, 8, v33
	s_waitcnt lgkmcnt(0)
	v_cndmask_b32_e32 v14, 0, v14, vcc
	v_cmp_gt_u32_e32 vcc, 60, v33
	v_add_u32_e32 v11, v11, v14
	v_cndmask_b32_e64 v14, 0, 1, vcc
	v_lshlrev_b32_e32 v14, 2, v14
	v_add_lshl_u32 v37, v14, v26, 2
	ds_bpermute_b32 v14, v37, v11
	v_cmp_le_u32_e32 vcc, v38, v9
	v_add_u32_e32 v42, 16, v33
	v_add_u32_e32 v44, 32, v33
	s_waitcnt lgkmcnt(0)
	v_cndmask_b32_e32 v14, 0, v14, vcc
	v_cmp_gt_u32_e32 vcc, 56, v33
	v_add_u32_e32 v11, v11, v14
	v_cndmask_b32_e64 v14, 0, 1, vcc
	v_lshlrev_b32_e32 v14, 3, v14
	v_add_lshl_u32 v39, v14, v26, 2
	ds_bpermute_b32 v14, v39, v11
	v_cmp_le_u32_e32 vcc, v40, v9
	s_waitcnt lgkmcnt(0)
	v_cndmask_b32_e32 v14, 0, v14, vcc
	v_cmp_gt_u32_e32 vcc, 48, v33
	v_add_u32_e32 v11, v11, v14
	v_cndmask_b32_e64 v14, 0, 1, vcc
	v_lshlrev_b32_e32 v14, 4, v14
	v_add_lshl_u32 v41, v14, v26, 2
	ds_bpermute_b32 v14, v41, v11
	v_cmp_le_u32_e32 vcc, v42, v9
	;; [unrolled: 9-line block ×3, first 2 shown]
	s_waitcnt lgkmcnt(0)
	v_cndmask_b32_e32 v9, 0, v14, vcc
	v_add_u32_e32 v14, v11, v9
	v_mov_b32_e32 v11, 0
	s_branch .LBB3277_54
.LBB3277_53:                            ;   in Loop: Header=BB3277_54 Depth=1
	s_or_b64 exec, exec, s[28:29]
	v_cmp_eq_u16_sdwa s[28:29], v15, v32 src0_sel:BYTE_0 src1_sel:DWORD
	v_and_b32_e32 v16, s29, v13
	v_or_b32_e32 v16, 0x80000000, v16
	ds_bpermute_b32 v45, v34, v14
	v_and_b32_e32 v17, s28, v12
	v_ffbl_b32_e32 v16, v16
	v_add_u32_e32 v16, 32, v16
	v_ffbl_b32_e32 v17, v17
	v_min_u32_e32 v16, v17, v16
	v_cmp_lt_u32_e32 vcc, v33, v16
	s_waitcnt lgkmcnt(0)
	v_cndmask_b32_e32 v17, 0, v45, vcc
	v_add_u32_e32 v14, v17, v14
	ds_bpermute_b32 v17, v35, v14
	v_cmp_le_u32_e32 vcc, v36, v16
	v_subrev_u32_e32 v10, 64, v10
	s_waitcnt lgkmcnt(0)
	v_cndmask_b32_e32 v17, 0, v17, vcc
	v_add_u32_e32 v14, v14, v17
	ds_bpermute_b32 v17, v37, v14
	v_cmp_le_u32_e32 vcc, v38, v16
	s_waitcnt lgkmcnt(0)
	v_cndmask_b32_e32 v17, 0, v17, vcc
	v_add_u32_e32 v14, v14, v17
	ds_bpermute_b32 v17, v39, v14
	v_cmp_le_u32_e32 vcc, v40, v16
	;; [unrolled: 5-line block ×4, first 2 shown]
	s_waitcnt lgkmcnt(0)
	v_cndmask_b32_e32 v16, 0, v17, vcc
	v_add3_u32 v14, v16, v9, v14
.LBB3277_54:                            ; =>This Loop Header: Depth=1
                                        ;     Child Loop BB3277_57 Depth 2
                                        ;       Child Loop BB3277_58 Depth 3
	v_cmp_ne_u16_sdwa s[28:29], v15, v32 src0_sel:BYTE_0 src1_sel:DWORD
	v_cndmask_b32_e64 v9, 0, 1, s[28:29]
	;;#ASMSTART
	;;#ASMEND
	v_cmp_ne_u32_e32 vcc, 0, v9
	s_cmp_lg_u64 vcc, exec
	v_mov_b32_e32 v9, v14
	s_cbranch_scc1 .LBB3277_61
; %bb.55:                               ;   in Loop: Header=BB3277_54 Depth=1
	v_lshlrev_b64 v[14:15], 3, v[10:11]
	v_mov_b32_e32 v17, s25
	v_add_co_u32_e32 v16, vcc, s24, v14
	v_addc_co_u32_e32 v17, vcc, v17, v15, vcc
	global_load_dwordx2 v[14:15], v[16:17], off glc
	s_waitcnt vmcnt(0)
	v_cmp_eq_u16_sdwa s[30:31], v15, v11 src0_sel:BYTE_0 src1_sel:DWORD
	s_and_saveexec_b64 s[28:29], s[30:31]
	s_cbranch_execz .LBB3277_53
; %bb.56:                               ;   in Loop: Header=BB3277_54 Depth=1
	s_mov_b32 s7, 1
	s_mov_b64 s[30:31], 0
.LBB3277_57:                            ;   Parent Loop BB3277_54 Depth=1
                                        ; =>  This Loop Header: Depth=2
                                        ;       Child Loop BB3277_58 Depth 3
	s_max_u32 s33, s7, 1
.LBB3277_58:                            ;   Parent Loop BB3277_54 Depth=1
                                        ;     Parent Loop BB3277_57 Depth=2
                                        ; =>    This Inner Loop Header: Depth=3
	s_add_i32 s33, s33, -1
	s_cmp_eq_u32 s33, 0
	s_sleep 1
	s_cbranch_scc0 .LBB3277_58
; %bb.59:                               ;   in Loop: Header=BB3277_57 Depth=2
	global_load_dwordx2 v[14:15], v[16:17], off glc
	s_cmp_lt_u32 s7, 32
	s_cselect_b64 s[34:35], -1, 0
	s_cmp_lg_u64 s[34:35], 0
	s_addc_u32 s7, s7, 0
	s_waitcnt vmcnt(0)
	v_cmp_ne_u16_sdwa s[34:35], v15, v11 src0_sel:BYTE_0 src1_sel:DWORD
	s_or_b64 s[30:31], s[34:35], s[30:31]
	s_andn2_b64 exec, exec, s[30:31]
	s_cbranch_execnz .LBB3277_57
; %bb.60:                               ;   in Loop: Header=BB3277_54 Depth=1
	s_or_b64 exec, exec, s[30:31]
	s_branch .LBB3277_53
.LBB3277_61:                            ;   in Loop: Header=BB3277_54 Depth=1
                                        ; implicit-def: $vgpr14
                                        ; implicit-def: $vgpr15
	s_cbranch_execz .LBB3277_54
; %bb.62:
	s_and_saveexec_b64 s[28:29], s[14:15]
	s_cbranch_execz .LBB3277_64
; %bb.63:
	s_add_i32 s6, s6, 64
	s_mov_b32 s7, 0
	s_lshl_b64 s[6:7], s[6:7], 3
	s_add_u32 s6, s24, s6
	v_add_u32_e32 v10, v9, v8
	v_mov_b32_e32 v11, 2
	s_addc_u32 s7, s25, s7
	v_mov_b32_e32 v12, 0
	global_store_dwordx2 v12, v[10:11], s[6:7]
	ds_write_b64 v12, v[8:9] offset:7168
.LBB3277_64:
	s_or_b64 exec, exec, s[28:29]
	v_cmp_eq_u32_e32 vcc, 0, v0
	s_and_b64 exec, exec, vcc
	s_cbranch_execz .LBB3277_66
; %bb.65:
	v_mov_b32_e32 v8, 0
	ds_write_b32 v8, v9 offset:12
.LBB3277_66:
	s_or_b64 exec, exec, s[26:27]
	v_mov_b32_e32 v8, 0
	s_waitcnt lgkmcnt(0)
	s_barrier
	ds_read_b32 v9, v8 offset:12
	v_cndmask_b32_e64 v10, v31, v30, s[14:15]
	v_cmp_ne_u32_e32 vcc, 0, v0
	v_cndmask_b32_e32 v10, 0, v10, vcc
	s_waitcnt lgkmcnt(0)
	v_add_u32_e32 v16, v9, v10
	v_add_u32_e32 v15, v16, v25
	;; [unrolled: 1-line block ×3, first 2 shown]
	s_barrier
	ds_read_b64 v[8:9], v8 offset:7168
	v_add_u32_e32 v12, v14, v23
	v_add_u32_e32 v13, v12, v22
	;; [unrolled: 1-line block ×4, first 2 shown]
	s_branch .LBB3277_77
.LBB3277_67:
                                        ; implicit-def: $vgpr9
                                        ; implicit-def: $vgpr10
                                        ; implicit-def: $vgpr11
                                        ; implicit-def: $vgpr13
                                        ; implicit-def: $vgpr12
                                        ; implicit-def: $vgpr14
                                        ; implicit-def: $vgpr15
                                        ; implicit-def: $vgpr16
	s_cbranch_execz .LBB3277_77
; %bb.68:
	s_waitcnt lgkmcnt(0)
	v_mov_b32_dpp v8, v29 row_shr:1 row_mask:0xf bank_mask:0xf
	v_cndmask_b32_e64 v8, v8, 0, s[12:13]
	v_add_u32_e32 v8, v8, v29
	s_nop 1
	v_mov_b32_dpp v9, v8 row_shr:2 row_mask:0xf bank_mask:0xf
	v_cndmask_b32_e64 v9, 0, v9, s[10:11]
	v_add_u32_e32 v8, v8, v9
	s_nop 1
	;; [unrolled: 4-line block ×4, first 2 shown]
	v_mov_b32_dpp v9, v8 row_bcast:15 row_mask:0xf bank_mask:0xf
	v_cndmask_b32_e64 v9, v9, 0, s[4:5]
	v_add_u32_e32 v8, v8, v9
	s_nop 1
	v_mov_b32_dpp v9, v8 row_bcast:31 row_mask:0xf bank_mask:0xf
	v_cndmask_b32_e64 v9, 0, v9, s[0:1]
	v_add_u32_e32 v8, v8, v9
	s_and_saveexec_b64 s[0:1], s[2:3]
	s_cbranch_execz .LBB3277_70
; %bb.69:
	v_lshlrev_b32_e32 v9, 2, v28
	ds_write_b32 v9, v8
.LBB3277_70:
	s_or_b64 exec, exec, s[0:1]
	v_cmp_gt_u32_e32 vcc, 4, v0
	s_waitcnt lgkmcnt(0)
	s_barrier
	s_and_saveexec_b64 s[0:1], vcc
	s_cbranch_execz .LBB3277_72
; %bb.71:
	v_mad_i32_i24 v9, v0, -3, v27
	ds_read_b32 v10, v9
	v_and_b32_e32 v11, 3, v26
	v_cmp_ne_u32_e32 vcc, 0, v11
	s_waitcnt lgkmcnt(0)
	v_mov_b32_dpp v12, v10 row_shr:1 row_mask:0xf bank_mask:0xf
	v_cndmask_b32_e32 v12, 0, v12, vcc
	v_add_u32_e32 v10, v12, v10
	v_cmp_lt_u32_e32 vcc, 1, v11
	s_nop 0
	v_mov_b32_dpp v12, v10 row_shr:2 row_mask:0xf bank_mask:0xf
	v_cndmask_b32_e32 v11, 0, v12, vcc
	v_add_u32_e32 v10, v10, v11
	ds_write_b32 v9, v10
.LBB3277_72:
	s_or_b64 exec, exec, s[0:1]
	v_cmp_lt_u32_e32 vcc, 63, v0
	v_mov_b32_e32 v9, 0
	v_mov_b32_e32 v10, 0
	s_waitcnt lgkmcnt(0)
	s_barrier
	s_and_saveexec_b64 s[0:1], vcc
	s_cbranch_execz .LBB3277_74
; %bb.73:
	v_lshl_add_u32 v10, v28, 2, -4
	ds_read_b32 v10, v10
.LBB3277_74:
	s_or_b64 exec, exec, s[0:1]
	v_add_u32_e32 v11, -1, v26
	v_and_b32_e32 v12, 64, v26
	v_cmp_lt_i32_e32 vcc, v11, v12
	v_cndmask_b32_e32 v11, v11, v26, vcc
	s_waitcnt lgkmcnt(0)
	v_add_u32_e32 v8, v10, v8
	v_lshlrev_b32_e32 v11, 2, v11
	ds_bpermute_b32 v11, v11, v8
	ds_read_b32 v8, v9 offset:12
	v_cmp_eq_u32_e32 vcc, 0, v0
	s_and_saveexec_b64 s[0:1], vcc
	s_cbranch_execz .LBB3277_76
; %bb.75:
	v_mov_b32_e32 v12, 0
	v_mov_b32_e32 v9, 2
	s_waitcnt lgkmcnt(0)
	global_store_dwordx2 v12, v[8:9], s[24:25] offset:512
.LBB3277_76:
	s_or_b64 exec, exec, s[0:1]
	v_cmp_eq_u32_e64 s[0:1], 0, v26
	s_waitcnt lgkmcnt(1)
	v_cndmask_b32_e64 v10, v11, v10, s[0:1]
	v_cndmask_b32_e64 v16, v10, 0, vcc
	v_add_u32_e32 v15, v16, v25
	v_add_u32_e32 v14, v15, v24
	;; [unrolled: 1-line block ×5, first 2 shown]
	v_mov_b32_e32 v9, 0
	v_add_u32_e32 v10, v11, v20
	s_waitcnt lgkmcnt(0)
	s_barrier
.LBB3277_77:
	s_waitcnt lgkmcnt(0)
	v_add_u32_e32 v17, v8, v18
	v_sub_u32_e32 v16, v16, v9
	v_sub_u32_e32 v18, v17, v16
	v_cmp_eq_u32_e32 vcc, 1, v25
	v_cndmask_b32_e32 v16, v18, v16, vcc
	v_lshlrev_b32_e32 v16, 2, v16
	ds_write_b32 v16, v6
	v_sub_u32_e32 v6, v15, v9
	v_sub_u32_e32 v15, v17, v6
	v_add_u32_e32 v15, 1, v15
	v_cmp_eq_u32_e32 vcc, 1, v24
	v_cndmask_b32_e32 v6, v15, v6, vcc
	v_lshlrev_b32_e32 v6, 2, v6
	ds_write_b32 v6, v7
	v_sub_u32_e32 v6, v14, v9
	v_sub_u32_e32 v7, v17, v6
	v_add_u32_e32 v7, 2, v7
	;; [unrolled: 7-line block ×6, first 2 shown]
	v_cmp_eq_u32_e32 vcc, 1, v19
	v_cndmask_b32_e32 v2, v3, v2, vcc
	v_cmp_eq_u32_e32 vcc, 0, v0
	v_lshlrev_b32_e32 v2, 2, v2
	s_and_b64 s[0:1], vcc, s[22:23]
	ds_write_b32 v2, v1
	s_waitcnt lgkmcnt(0)
	s_barrier
	s_and_saveexec_b64 s[2:3], s[0:1]
	s_cbranch_execz .LBB3277_79
; %bb.78:
	v_mov_b32_e32 v0, s19
	v_add_co_u32_e32 v1, vcc, s18, v8
	v_addc_co_u32_e32 v3, vcc, 0, v0, vcc
	v_add_co_u32_e32 v0, vcc, v1, v9
	v_mov_b32_e32 v2, 0
	v_addc_co_u32_e32 v1, vcc, 0, v3, vcc
	global_store_dwordx2 v2, v[0:1], s[20:21]
.LBB3277_79:
	s_endpgm
	.section	.rodata,"a",@progbits
	.p2align	6, 0x0
	.amdhsa_kernel _ZN7rocprim17ROCPRIM_400000_NS6detail17trampoline_kernelINS0_14default_configENS1_25partition_config_selectorILNS1_17partition_subalgoE1EiNS0_10empty_typeEbEEZZNS1_14partition_implILS5_1ELb0ES3_jN6thrust23THRUST_200600_302600_NS6detail15normal_iteratorINSA_10device_ptrIiEEEEPS6_NSA_18transform_iteratorI7is_evenIiESF_NSA_11use_defaultESK_EENS0_5tupleIJNSA_16discard_iteratorISK_EESO_EEENSM_IJSG_SG_EEES6_PlJS6_EEE10hipError_tPvRmT3_T4_T5_T6_T7_T9_mT8_P12ihipStream_tbDpT10_ENKUlT_T0_E_clISt17integral_constantIbLb1EES1A_IbLb0EEEEDaS16_S17_EUlS16_E_NS1_11comp_targetILNS1_3genE4ELNS1_11target_archE910ELNS1_3gpuE8ELNS1_3repE0EEENS1_30default_config_static_selectorELNS0_4arch9wavefront6targetE1EEEvT1_
		.amdhsa_group_segment_fixed_size 7176
		.amdhsa_private_segment_fixed_size 0
		.amdhsa_kernarg_size 144
		.amdhsa_user_sgpr_count 6
		.amdhsa_user_sgpr_private_segment_buffer 1
		.amdhsa_user_sgpr_dispatch_ptr 0
		.amdhsa_user_sgpr_queue_ptr 0
		.amdhsa_user_sgpr_kernarg_segment_ptr 1
		.amdhsa_user_sgpr_dispatch_id 0
		.amdhsa_user_sgpr_flat_scratch_init 0
		.amdhsa_user_sgpr_kernarg_preload_length 0
		.amdhsa_user_sgpr_kernarg_preload_offset 0
		.amdhsa_user_sgpr_private_segment_size 0
		.amdhsa_uses_dynamic_stack 0
		.amdhsa_system_sgpr_private_segment_wavefront_offset 0
		.amdhsa_system_sgpr_workgroup_id_x 1
		.amdhsa_system_sgpr_workgroup_id_y 0
		.amdhsa_system_sgpr_workgroup_id_z 0
		.amdhsa_system_sgpr_workgroup_info 0
		.amdhsa_system_vgpr_workitem_id 0
		.amdhsa_next_free_vgpr 46
		.amdhsa_next_free_sgpr 36
		.amdhsa_accum_offset 48
		.amdhsa_reserve_vcc 1
		.amdhsa_reserve_flat_scratch 0
		.amdhsa_float_round_mode_32 0
		.amdhsa_float_round_mode_16_64 0
		.amdhsa_float_denorm_mode_32 3
		.amdhsa_float_denorm_mode_16_64 3
		.amdhsa_dx10_clamp 1
		.amdhsa_ieee_mode 1
		.amdhsa_fp16_overflow 0
		.amdhsa_tg_split 0
		.amdhsa_exception_fp_ieee_invalid_op 0
		.amdhsa_exception_fp_denorm_src 0
		.amdhsa_exception_fp_ieee_div_zero 0
		.amdhsa_exception_fp_ieee_overflow 0
		.amdhsa_exception_fp_ieee_underflow 0
		.amdhsa_exception_fp_ieee_inexact 0
		.amdhsa_exception_int_div_zero 0
	.end_amdhsa_kernel
	.section	.text._ZN7rocprim17ROCPRIM_400000_NS6detail17trampoline_kernelINS0_14default_configENS1_25partition_config_selectorILNS1_17partition_subalgoE1EiNS0_10empty_typeEbEEZZNS1_14partition_implILS5_1ELb0ES3_jN6thrust23THRUST_200600_302600_NS6detail15normal_iteratorINSA_10device_ptrIiEEEEPS6_NSA_18transform_iteratorI7is_evenIiESF_NSA_11use_defaultESK_EENS0_5tupleIJNSA_16discard_iteratorISK_EESO_EEENSM_IJSG_SG_EEES6_PlJS6_EEE10hipError_tPvRmT3_T4_T5_T6_T7_T9_mT8_P12ihipStream_tbDpT10_ENKUlT_T0_E_clISt17integral_constantIbLb1EES1A_IbLb0EEEEDaS16_S17_EUlS16_E_NS1_11comp_targetILNS1_3genE4ELNS1_11target_archE910ELNS1_3gpuE8ELNS1_3repE0EEENS1_30default_config_static_selectorELNS0_4arch9wavefront6targetE1EEEvT1_,"axG",@progbits,_ZN7rocprim17ROCPRIM_400000_NS6detail17trampoline_kernelINS0_14default_configENS1_25partition_config_selectorILNS1_17partition_subalgoE1EiNS0_10empty_typeEbEEZZNS1_14partition_implILS5_1ELb0ES3_jN6thrust23THRUST_200600_302600_NS6detail15normal_iteratorINSA_10device_ptrIiEEEEPS6_NSA_18transform_iteratorI7is_evenIiESF_NSA_11use_defaultESK_EENS0_5tupleIJNSA_16discard_iteratorISK_EESO_EEENSM_IJSG_SG_EEES6_PlJS6_EEE10hipError_tPvRmT3_T4_T5_T6_T7_T9_mT8_P12ihipStream_tbDpT10_ENKUlT_T0_E_clISt17integral_constantIbLb1EES1A_IbLb0EEEEDaS16_S17_EUlS16_E_NS1_11comp_targetILNS1_3genE4ELNS1_11target_archE910ELNS1_3gpuE8ELNS1_3repE0EEENS1_30default_config_static_selectorELNS0_4arch9wavefront6targetE1EEEvT1_,comdat
.Lfunc_end3277:
	.size	_ZN7rocprim17ROCPRIM_400000_NS6detail17trampoline_kernelINS0_14default_configENS1_25partition_config_selectorILNS1_17partition_subalgoE1EiNS0_10empty_typeEbEEZZNS1_14partition_implILS5_1ELb0ES3_jN6thrust23THRUST_200600_302600_NS6detail15normal_iteratorINSA_10device_ptrIiEEEEPS6_NSA_18transform_iteratorI7is_evenIiESF_NSA_11use_defaultESK_EENS0_5tupleIJNSA_16discard_iteratorISK_EESO_EEENSM_IJSG_SG_EEES6_PlJS6_EEE10hipError_tPvRmT3_T4_T5_T6_T7_T9_mT8_P12ihipStream_tbDpT10_ENKUlT_T0_E_clISt17integral_constantIbLb1EES1A_IbLb0EEEEDaS16_S17_EUlS16_E_NS1_11comp_targetILNS1_3genE4ELNS1_11target_archE910ELNS1_3gpuE8ELNS1_3repE0EEENS1_30default_config_static_selectorELNS0_4arch9wavefront6targetE1EEEvT1_, .Lfunc_end3277-_ZN7rocprim17ROCPRIM_400000_NS6detail17trampoline_kernelINS0_14default_configENS1_25partition_config_selectorILNS1_17partition_subalgoE1EiNS0_10empty_typeEbEEZZNS1_14partition_implILS5_1ELb0ES3_jN6thrust23THRUST_200600_302600_NS6detail15normal_iteratorINSA_10device_ptrIiEEEEPS6_NSA_18transform_iteratorI7is_evenIiESF_NSA_11use_defaultESK_EENS0_5tupleIJNSA_16discard_iteratorISK_EESO_EEENSM_IJSG_SG_EEES6_PlJS6_EEE10hipError_tPvRmT3_T4_T5_T6_T7_T9_mT8_P12ihipStream_tbDpT10_ENKUlT_T0_E_clISt17integral_constantIbLb1EES1A_IbLb0EEEEDaS16_S17_EUlS16_E_NS1_11comp_targetILNS1_3genE4ELNS1_11target_archE910ELNS1_3gpuE8ELNS1_3repE0EEENS1_30default_config_static_selectorELNS0_4arch9wavefront6targetE1EEEvT1_
                                        ; -- End function
	.section	.AMDGPU.csdata,"",@progbits
; Kernel info:
; codeLenInByte = 3912
; NumSgprs: 40
; NumVgprs: 46
; NumAgprs: 0
; TotalNumVgprs: 46
; ScratchSize: 0
; MemoryBound: 0
; FloatMode: 240
; IeeeMode: 1
; LDSByteSize: 7176 bytes/workgroup (compile time only)
; SGPRBlocks: 4
; VGPRBlocks: 5
; NumSGPRsForWavesPerEU: 40
; NumVGPRsForWavesPerEU: 46
; AccumOffset: 48
; Occupancy: 8
; WaveLimiterHint : 1
; COMPUTE_PGM_RSRC2:SCRATCH_EN: 0
; COMPUTE_PGM_RSRC2:USER_SGPR: 6
; COMPUTE_PGM_RSRC2:TRAP_HANDLER: 0
; COMPUTE_PGM_RSRC2:TGID_X_EN: 1
; COMPUTE_PGM_RSRC2:TGID_Y_EN: 0
; COMPUTE_PGM_RSRC2:TGID_Z_EN: 0
; COMPUTE_PGM_RSRC2:TIDIG_COMP_CNT: 0
; COMPUTE_PGM_RSRC3_GFX90A:ACCUM_OFFSET: 11
; COMPUTE_PGM_RSRC3_GFX90A:TG_SPLIT: 0
	.section	.text._ZN7rocprim17ROCPRIM_400000_NS6detail17trampoline_kernelINS0_14default_configENS1_25partition_config_selectorILNS1_17partition_subalgoE1EiNS0_10empty_typeEbEEZZNS1_14partition_implILS5_1ELb0ES3_jN6thrust23THRUST_200600_302600_NS6detail15normal_iteratorINSA_10device_ptrIiEEEEPS6_NSA_18transform_iteratorI7is_evenIiESF_NSA_11use_defaultESK_EENS0_5tupleIJNSA_16discard_iteratorISK_EESO_EEENSM_IJSG_SG_EEES6_PlJS6_EEE10hipError_tPvRmT3_T4_T5_T6_T7_T9_mT8_P12ihipStream_tbDpT10_ENKUlT_T0_E_clISt17integral_constantIbLb1EES1A_IbLb0EEEEDaS16_S17_EUlS16_E_NS1_11comp_targetILNS1_3genE3ELNS1_11target_archE908ELNS1_3gpuE7ELNS1_3repE0EEENS1_30default_config_static_selectorELNS0_4arch9wavefront6targetE1EEEvT1_,"axG",@progbits,_ZN7rocprim17ROCPRIM_400000_NS6detail17trampoline_kernelINS0_14default_configENS1_25partition_config_selectorILNS1_17partition_subalgoE1EiNS0_10empty_typeEbEEZZNS1_14partition_implILS5_1ELb0ES3_jN6thrust23THRUST_200600_302600_NS6detail15normal_iteratorINSA_10device_ptrIiEEEEPS6_NSA_18transform_iteratorI7is_evenIiESF_NSA_11use_defaultESK_EENS0_5tupleIJNSA_16discard_iteratorISK_EESO_EEENSM_IJSG_SG_EEES6_PlJS6_EEE10hipError_tPvRmT3_T4_T5_T6_T7_T9_mT8_P12ihipStream_tbDpT10_ENKUlT_T0_E_clISt17integral_constantIbLb1EES1A_IbLb0EEEEDaS16_S17_EUlS16_E_NS1_11comp_targetILNS1_3genE3ELNS1_11target_archE908ELNS1_3gpuE7ELNS1_3repE0EEENS1_30default_config_static_selectorELNS0_4arch9wavefront6targetE1EEEvT1_,comdat
	.protected	_ZN7rocprim17ROCPRIM_400000_NS6detail17trampoline_kernelINS0_14default_configENS1_25partition_config_selectorILNS1_17partition_subalgoE1EiNS0_10empty_typeEbEEZZNS1_14partition_implILS5_1ELb0ES3_jN6thrust23THRUST_200600_302600_NS6detail15normal_iteratorINSA_10device_ptrIiEEEEPS6_NSA_18transform_iteratorI7is_evenIiESF_NSA_11use_defaultESK_EENS0_5tupleIJNSA_16discard_iteratorISK_EESO_EEENSM_IJSG_SG_EEES6_PlJS6_EEE10hipError_tPvRmT3_T4_T5_T6_T7_T9_mT8_P12ihipStream_tbDpT10_ENKUlT_T0_E_clISt17integral_constantIbLb1EES1A_IbLb0EEEEDaS16_S17_EUlS16_E_NS1_11comp_targetILNS1_3genE3ELNS1_11target_archE908ELNS1_3gpuE7ELNS1_3repE0EEENS1_30default_config_static_selectorELNS0_4arch9wavefront6targetE1EEEvT1_ ; -- Begin function _ZN7rocprim17ROCPRIM_400000_NS6detail17trampoline_kernelINS0_14default_configENS1_25partition_config_selectorILNS1_17partition_subalgoE1EiNS0_10empty_typeEbEEZZNS1_14partition_implILS5_1ELb0ES3_jN6thrust23THRUST_200600_302600_NS6detail15normal_iteratorINSA_10device_ptrIiEEEEPS6_NSA_18transform_iteratorI7is_evenIiESF_NSA_11use_defaultESK_EENS0_5tupleIJNSA_16discard_iteratorISK_EESO_EEENSM_IJSG_SG_EEES6_PlJS6_EEE10hipError_tPvRmT3_T4_T5_T6_T7_T9_mT8_P12ihipStream_tbDpT10_ENKUlT_T0_E_clISt17integral_constantIbLb1EES1A_IbLb0EEEEDaS16_S17_EUlS16_E_NS1_11comp_targetILNS1_3genE3ELNS1_11target_archE908ELNS1_3gpuE7ELNS1_3repE0EEENS1_30default_config_static_selectorELNS0_4arch9wavefront6targetE1EEEvT1_
	.globl	_ZN7rocprim17ROCPRIM_400000_NS6detail17trampoline_kernelINS0_14default_configENS1_25partition_config_selectorILNS1_17partition_subalgoE1EiNS0_10empty_typeEbEEZZNS1_14partition_implILS5_1ELb0ES3_jN6thrust23THRUST_200600_302600_NS6detail15normal_iteratorINSA_10device_ptrIiEEEEPS6_NSA_18transform_iteratorI7is_evenIiESF_NSA_11use_defaultESK_EENS0_5tupleIJNSA_16discard_iteratorISK_EESO_EEENSM_IJSG_SG_EEES6_PlJS6_EEE10hipError_tPvRmT3_T4_T5_T6_T7_T9_mT8_P12ihipStream_tbDpT10_ENKUlT_T0_E_clISt17integral_constantIbLb1EES1A_IbLb0EEEEDaS16_S17_EUlS16_E_NS1_11comp_targetILNS1_3genE3ELNS1_11target_archE908ELNS1_3gpuE7ELNS1_3repE0EEENS1_30default_config_static_selectorELNS0_4arch9wavefront6targetE1EEEvT1_
	.p2align	8
	.type	_ZN7rocprim17ROCPRIM_400000_NS6detail17trampoline_kernelINS0_14default_configENS1_25partition_config_selectorILNS1_17partition_subalgoE1EiNS0_10empty_typeEbEEZZNS1_14partition_implILS5_1ELb0ES3_jN6thrust23THRUST_200600_302600_NS6detail15normal_iteratorINSA_10device_ptrIiEEEEPS6_NSA_18transform_iteratorI7is_evenIiESF_NSA_11use_defaultESK_EENS0_5tupleIJNSA_16discard_iteratorISK_EESO_EEENSM_IJSG_SG_EEES6_PlJS6_EEE10hipError_tPvRmT3_T4_T5_T6_T7_T9_mT8_P12ihipStream_tbDpT10_ENKUlT_T0_E_clISt17integral_constantIbLb1EES1A_IbLb0EEEEDaS16_S17_EUlS16_E_NS1_11comp_targetILNS1_3genE3ELNS1_11target_archE908ELNS1_3gpuE7ELNS1_3repE0EEENS1_30default_config_static_selectorELNS0_4arch9wavefront6targetE1EEEvT1_,@function
_ZN7rocprim17ROCPRIM_400000_NS6detail17trampoline_kernelINS0_14default_configENS1_25partition_config_selectorILNS1_17partition_subalgoE1EiNS0_10empty_typeEbEEZZNS1_14partition_implILS5_1ELb0ES3_jN6thrust23THRUST_200600_302600_NS6detail15normal_iteratorINSA_10device_ptrIiEEEEPS6_NSA_18transform_iteratorI7is_evenIiESF_NSA_11use_defaultESK_EENS0_5tupleIJNSA_16discard_iteratorISK_EESO_EEENSM_IJSG_SG_EEES6_PlJS6_EEE10hipError_tPvRmT3_T4_T5_T6_T7_T9_mT8_P12ihipStream_tbDpT10_ENKUlT_T0_E_clISt17integral_constantIbLb1EES1A_IbLb0EEEEDaS16_S17_EUlS16_E_NS1_11comp_targetILNS1_3genE3ELNS1_11target_archE908ELNS1_3gpuE7ELNS1_3repE0EEENS1_30default_config_static_selectorELNS0_4arch9wavefront6targetE1EEEvT1_: ; @_ZN7rocprim17ROCPRIM_400000_NS6detail17trampoline_kernelINS0_14default_configENS1_25partition_config_selectorILNS1_17partition_subalgoE1EiNS0_10empty_typeEbEEZZNS1_14partition_implILS5_1ELb0ES3_jN6thrust23THRUST_200600_302600_NS6detail15normal_iteratorINSA_10device_ptrIiEEEEPS6_NSA_18transform_iteratorI7is_evenIiESF_NSA_11use_defaultESK_EENS0_5tupleIJNSA_16discard_iteratorISK_EESO_EEENSM_IJSG_SG_EEES6_PlJS6_EEE10hipError_tPvRmT3_T4_T5_T6_T7_T9_mT8_P12ihipStream_tbDpT10_ENKUlT_T0_E_clISt17integral_constantIbLb1EES1A_IbLb0EEEEDaS16_S17_EUlS16_E_NS1_11comp_targetILNS1_3genE3ELNS1_11target_archE908ELNS1_3gpuE7ELNS1_3repE0EEENS1_30default_config_static_selectorELNS0_4arch9wavefront6targetE1EEEvT1_
; %bb.0:
	.section	.rodata,"a",@progbits
	.p2align	6, 0x0
	.amdhsa_kernel _ZN7rocprim17ROCPRIM_400000_NS6detail17trampoline_kernelINS0_14default_configENS1_25partition_config_selectorILNS1_17partition_subalgoE1EiNS0_10empty_typeEbEEZZNS1_14partition_implILS5_1ELb0ES3_jN6thrust23THRUST_200600_302600_NS6detail15normal_iteratorINSA_10device_ptrIiEEEEPS6_NSA_18transform_iteratorI7is_evenIiESF_NSA_11use_defaultESK_EENS0_5tupleIJNSA_16discard_iteratorISK_EESO_EEENSM_IJSG_SG_EEES6_PlJS6_EEE10hipError_tPvRmT3_T4_T5_T6_T7_T9_mT8_P12ihipStream_tbDpT10_ENKUlT_T0_E_clISt17integral_constantIbLb1EES1A_IbLb0EEEEDaS16_S17_EUlS16_E_NS1_11comp_targetILNS1_3genE3ELNS1_11target_archE908ELNS1_3gpuE7ELNS1_3repE0EEENS1_30default_config_static_selectorELNS0_4arch9wavefront6targetE1EEEvT1_
		.amdhsa_group_segment_fixed_size 0
		.amdhsa_private_segment_fixed_size 0
		.amdhsa_kernarg_size 144
		.amdhsa_user_sgpr_count 6
		.amdhsa_user_sgpr_private_segment_buffer 1
		.amdhsa_user_sgpr_dispatch_ptr 0
		.amdhsa_user_sgpr_queue_ptr 0
		.amdhsa_user_sgpr_kernarg_segment_ptr 1
		.amdhsa_user_sgpr_dispatch_id 0
		.amdhsa_user_sgpr_flat_scratch_init 0
		.amdhsa_user_sgpr_kernarg_preload_length 0
		.amdhsa_user_sgpr_kernarg_preload_offset 0
		.amdhsa_user_sgpr_private_segment_size 0
		.amdhsa_uses_dynamic_stack 0
		.amdhsa_system_sgpr_private_segment_wavefront_offset 0
		.amdhsa_system_sgpr_workgroup_id_x 1
		.amdhsa_system_sgpr_workgroup_id_y 0
		.amdhsa_system_sgpr_workgroup_id_z 0
		.amdhsa_system_sgpr_workgroup_info 0
		.amdhsa_system_vgpr_workitem_id 0
		.amdhsa_next_free_vgpr 1
		.amdhsa_next_free_sgpr 0
		.amdhsa_accum_offset 4
		.amdhsa_reserve_vcc 0
		.amdhsa_reserve_flat_scratch 0
		.amdhsa_float_round_mode_32 0
		.amdhsa_float_round_mode_16_64 0
		.amdhsa_float_denorm_mode_32 3
		.amdhsa_float_denorm_mode_16_64 3
		.amdhsa_dx10_clamp 1
		.amdhsa_ieee_mode 1
		.amdhsa_fp16_overflow 0
		.amdhsa_tg_split 0
		.amdhsa_exception_fp_ieee_invalid_op 0
		.amdhsa_exception_fp_denorm_src 0
		.amdhsa_exception_fp_ieee_div_zero 0
		.amdhsa_exception_fp_ieee_overflow 0
		.amdhsa_exception_fp_ieee_underflow 0
		.amdhsa_exception_fp_ieee_inexact 0
		.amdhsa_exception_int_div_zero 0
	.end_amdhsa_kernel
	.section	.text._ZN7rocprim17ROCPRIM_400000_NS6detail17trampoline_kernelINS0_14default_configENS1_25partition_config_selectorILNS1_17partition_subalgoE1EiNS0_10empty_typeEbEEZZNS1_14partition_implILS5_1ELb0ES3_jN6thrust23THRUST_200600_302600_NS6detail15normal_iteratorINSA_10device_ptrIiEEEEPS6_NSA_18transform_iteratorI7is_evenIiESF_NSA_11use_defaultESK_EENS0_5tupleIJNSA_16discard_iteratorISK_EESO_EEENSM_IJSG_SG_EEES6_PlJS6_EEE10hipError_tPvRmT3_T4_T5_T6_T7_T9_mT8_P12ihipStream_tbDpT10_ENKUlT_T0_E_clISt17integral_constantIbLb1EES1A_IbLb0EEEEDaS16_S17_EUlS16_E_NS1_11comp_targetILNS1_3genE3ELNS1_11target_archE908ELNS1_3gpuE7ELNS1_3repE0EEENS1_30default_config_static_selectorELNS0_4arch9wavefront6targetE1EEEvT1_,"axG",@progbits,_ZN7rocprim17ROCPRIM_400000_NS6detail17trampoline_kernelINS0_14default_configENS1_25partition_config_selectorILNS1_17partition_subalgoE1EiNS0_10empty_typeEbEEZZNS1_14partition_implILS5_1ELb0ES3_jN6thrust23THRUST_200600_302600_NS6detail15normal_iteratorINSA_10device_ptrIiEEEEPS6_NSA_18transform_iteratorI7is_evenIiESF_NSA_11use_defaultESK_EENS0_5tupleIJNSA_16discard_iteratorISK_EESO_EEENSM_IJSG_SG_EEES6_PlJS6_EEE10hipError_tPvRmT3_T4_T5_T6_T7_T9_mT8_P12ihipStream_tbDpT10_ENKUlT_T0_E_clISt17integral_constantIbLb1EES1A_IbLb0EEEEDaS16_S17_EUlS16_E_NS1_11comp_targetILNS1_3genE3ELNS1_11target_archE908ELNS1_3gpuE7ELNS1_3repE0EEENS1_30default_config_static_selectorELNS0_4arch9wavefront6targetE1EEEvT1_,comdat
.Lfunc_end3278:
	.size	_ZN7rocprim17ROCPRIM_400000_NS6detail17trampoline_kernelINS0_14default_configENS1_25partition_config_selectorILNS1_17partition_subalgoE1EiNS0_10empty_typeEbEEZZNS1_14partition_implILS5_1ELb0ES3_jN6thrust23THRUST_200600_302600_NS6detail15normal_iteratorINSA_10device_ptrIiEEEEPS6_NSA_18transform_iteratorI7is_evenIiESF_NSA_11use_defaultESK_EENS0_5tupleIJNSA_16discard_iteratorISK_EESO_EEENSM_IJSG_SG_EEES6_PlJS6_EEE10hipError_tPvRmT3_T4_T5_T6_T7_T9_mT8_P12ihipStream_tbDpT10_ENKUlT_T0_E_clISt17integral_constantIbLb1EES1A_IbLb0EEEEDaS16_S17_EUlS16_E_NS1_11comp_targetILNS1_3genE3ELNS1_11target_archE908ELNS1_3gpuE7ELNS1_3repE0EEENS1_30default_config_static_selectorELNS0_4arch9wavefront6targetE1EEEvT1_, .Lfunc_end3278-_ZN7rocprim17ROCPRIM_400000_NS6detail17trampoline_kernelINS0_14default_configENS1_25partition_config_selectorILNS1_17partition_subalgoE1EiNS0_10empty_typeEbEEZZNS1_14partition_implILS5_1ELb0ES3_jN6thrust23THRUST_200600_302600_NS6detail15normal_iteratorINSA_10device_ptrIiEEEEPS6_NSA_18transform_iteratorI7is_evenIiESF_NSA_11use_defaultESK_EENS0_5tupleIJNSA_16discard_iteratorISK_EESO_EEENSM_IJSG_SG_EEES6_PlJS6_EEE10hipError_tPvRmT3_T4_T5_T6_T7_T9_mT8_P12ihipStream_tbDpT10_ENKUlT_T0_E_clISt17integral_constantIbLb1EES1A_IbLb0EEEEDaS16_S17_EUlS16_E_NS1_11comp_targetILNS1_3genE3ELNS1_11target_archE908ELNS1_3gpuE7ELNS1_3repE0EEENS1_30default_config_static_selectorELNS0_4arch9wavefront6targetE1EEEvT1_
                                        ; -- End function
	.section	.AMDGPU.csdata,"",@progbits
; Kernel info:
; codeLenInByte = 0
; NumSgprs: 4
; NumVgprs: 0
; NumAgprs: 0
; TotalNumVgprs: 0
; ScratchSize: 0
; MemoryBound: 0
; FloatMode: 240
; IeeeMode: 1
; LDSByteSize: 0 bytes/workgroup (compile time only)
; SGPRBlocks: 0
; VGPRBlocks: 0
; NumSGPRsForWavesPerEU: 4
; NumVGPRsForWavesPerEU: 1
; AccumOffset: 4
; Occupancy: 8
; WaveLimiterHint : 0
; COMPUTE_PGM_RSRC2:SCRATCH_EN: 0
; COMPUTE_PGM_RSRC2:USER_SGPR: 6
; COMPUTE_PGM_RSRC2:TRAP_HANDLER: 0
; COMPUTE_PGM_RSRC2:TGID_X_EN: 1
; COMPUTE_PGM_RSRC2:TGID_Y_EN: 0
; COMPUTE_PGM_RSRC2:TGID_Z_EN: 0
; COMPUTE_PGM_RSRC2:TIDIG_COMP_CNT: 0
; COMPUTE_PGM_RSRC3_GFX90A:ACCUM_OFFSET: 0
; COMPUTE_PGM_RSRC3_GFX90A:TG_SPLIT: 0
	.section	.text._ZN7rocprim17ROCPRIM_400000_NS6detail17trampoline_kernelINS0_14default_configENS1_25partition_config_selectorILNS1_17partition_subalgoE1EiNS0_10empty_typeEbEEZZNS1_14partition_implILS5_1ELb0ES3_jN6thrust23THRUST_200600_302600_NS6detail15normal_iteratorINSA_10device_ptrIiEEEEPS6_NSA_18transform_iteratorI7is_evenIiESF_NSA_11use_defaultESK_EENS0_5tupleIJNSA_16discard_iteratorISK_EESO_EEENSM_IJSG_SG_EEES6_PlJS6_EEE10hipError_tPvRmT3_T4_T5_T6_T7_T9_mT8_P12ihipStream_tbDpT10_ENKUlT_T0_E_clISt17integral_constantIbLb1EES1A_IbLb0EEEEDaS16_S17_EUlS16_E_NS1_11comp_targetILNS1_3genE2ELNS1_11target_archE906ELNS1_3gpuE6ELNS1_3repE0EEENS1_30default_config_static_selectorELNS0_4arch9wavefront6targetE1EEEvT1_,"axG",@progbits,_ZN7rocprim17ROCPRIM_400000_NS6detail17trampoline_kernelINS0_14default_configENS1_25partition_config_selectorILNS1_17partition_subalgoE1EiNS0_10empty_typeEbEEZZNS1_14partition_implILS5_1ELb0ES3_jN6thrust23THRUST_200600_302600_NS6detail15normal_iteratorINSA_10device_ptrIiEEEEPS6_NSA_18transform_iteratorI7is_evenIiESF_NSA_11use_defaultESK_EENS0_5tupleIJNSA_16discard_iteratorISK_EESO_EEENSM_IJSG_SG_EEES6_PlJS6_EEE10hipError_tPvRmT3_T4_T5_T6_T7_T9_mT8_P12ihipStream_tbDpT10_ENKUlT_T0_E_clISt17integral_constantIbLb1EES1A_IbLb0EEEEDaS16_S17_EUlS16_E_NS1_11comp_targetILNS1_3genE2ELNS1_11target_archE906ELNS1_3gpuE6ELNS1_3repE0EEENS1_30default_config_static_selectorELNS0_4arch9wavefront6targetE1EEEvT1_,comdat
	.protected	_ZN7rocprim17ROCPRIM_400000_NS6detail17trampoline_kernelINS0_14default_configENS1_25partition_config_selectorILNS1_17partition_subalgoE1EiNS0_10empty_typeEbEEZZNS1_14partition_implILS5_1ELb0ES3_jN6thrust23THRUST_200600_302600_NS6detail15normal_iteratorINSA_10device_ptrIiEEEEPS6_NSA_18transform_iteratorI7is_evenIiESF_NSA_11use_defaultESK_EENS0_5tupleIJNSA_16discard_iteratorISK_EESO_EEENSM_IJSG_SG_EEES6_PlJS6_EEE10hipError_tPvRmT3_T4_T5_T6_T7_T9_mT8_P12ihipStream_tbDpT10_ENKUlT_T0_E_clISt17integral_constantIbLb1EES1A_IbLb0EEEEDaS16_S17_EUlS16_E_NS1_11comp_targetILNS1_3genE2ELNS1_11target_archE906ELNS1_3gpuE6ELNS1_3repE0EEENS1_30default_config_static_selectorELNS0_4arch9wavefront6targetE1EEEvT1_ ; -- Begin function _ZN7rocprim17ROCPRIM_400000_NS6detail17trampoline_kernelINS0_14default_configENS1_25partition_config_selectorILNS1_17partition_subalgoE1EiNS0_10empty_typeEbEEZZNS1_14partition_implILS5_1ELb0ES3_jN6thrust23THRUST_200600_302600_NS6detail15normal_iteratorINSA_10device_ptrIiEEEEPS6_NSA_18transform_iteratorI7is_evenIiESF_NSA_11use_defaultESK_EENS0_5tupleIJNSA_16discard_iteratorISK_EESO_EEENSM_IJSG_SG_EEES6_PlJS6_EEE10hipError_tPvRmT3_T4_T5_T6_T7_T9_mT8_P12ihipStream_tbDpT10_ENKUlT_T0_E_clISt17integral_constantIbLb1EES1A_IbLb0EEEEDaS16_S17_EUlS16_E_NS1_11comp_targetILNS1_3genE2ELNS1_11target_archE906ELNS1_3gpuE6ELNS1_3repE0EEENS1_30default_config_static_selectorELNS0_4arch9wavefront6targetE1EEEvT1_
	.globl	_ZN7rocprim17ROCPRIM_400000_NS6detail17trampoline_kernelINS0_14default_configENS1_25partition_config_selectorILNS1_17partition_subalgoE1EiNS0_10empty_typeEbEEZZNS1_14partition_implILS5_1ELb0ES3_jN6thrust23THRUST_200600_302600_NS6detail15normal_iteratorINSA_10device_ptrIiEEEEPS6_NSA_18transform_iteratorI7is_evenIiESF_NSA_11use_defaultESK_EENS0_5tupleIJNSA_16discard_iteratorISK_EESO_EEENSM_IJSG_SG_EEES6_PlJS6_EEE10hipError_tPvRmT3_T4_T5_T6_T7_T9_mT8_P12ihipStream_tbDpT10_ENKUlT_T0_E_clISt17integral_constantIbLb1EES1A_IbLb0EEEEDaS16_S17_EUlS16_E_NS1_11comp_targetILNS1_3genE2ELNS1_11target_archE906ELNS1_3gpuE6ELNS1_3repE0EEENS1_30default_config_static_selectorELNS0_4arch9wavefront6targetE1EEEvT1_
	.p2align	8
	.type	_ZN7rocprim17ROCPRIM_400000_NS6detail17trampoline_kernelINS0_14default_configENS1_25partition_config_selectorILNS1_17partition_subalgoE1EiNS0_10empty_typeEbEEZZNS1_14partition_implILS5_1ELb0ES3_jN6thrust23THRUST_200600_302600_NS6detail15normal_iteratorINSA_10device_ptrIiEEEEPS6_NSA_18transform_iteratorI7is_evenIiESF_NSA_11use_defaultESK_EENS0_5tupleIJNSA_16discard_iteratorISK_EESO_EEENSM_IJSG_SG_EEES6_PlJS6_EEE10hipError_tPvRmT3_T4_T5_T6_T7_T9_mT8_P12ihipStream_tbDpT10_ENKUlT_T0_E_clISt17integral_constantIbLb1EES1A_IbLb0EEEEDaS16_S17_EUlS16_E_NS1_11comp_targetILNS1_3genE2ELNS1_11target_archE906ELNS1_3gpuE6ELNS1_3repE0EEENS1_30default_config_static_selectorELNS0_4arch9wavefront6targetE1EEEvT1_,@function
_ZN7rocprim17ROCPRIM_400000_NS6detail17trampoline_kernelINS0_14default_configENS1_25partition_config_selectorILNS1_17partition_subalgoE1EiNS0_10empty_typeEbEEZZNS1_14partition_implILS5_1ELb0ES3_jN6thrust23THRUST_200600_302600_NS6detail15normal_iteratorINSA_10device_ptrIiEEEEPS6_NSA_18transform_iteratorI7is_evenIiESF_NSA_11use_defaultESK_EENS0_5tupleIJNSA_16discard_iteratorISK_EESO_EEENSM_IJSG_SG_EEES6_PlJS6_EEE10hipError_tPvRmT3_T4_T5_T6_T7_T9_mT8_P12ihipStream_tbDpT10_ENKUlT_T0_E_clISt17integral_constantIbLb1EES1A_IbLb0EEEEDaS16_S17_EUlS16_E_NS1_11comp_targetILNS1_3genE2ELNS1_11target_archE906ELNS1_3gpuE6ELNS1_3repE0EEENS1_30default_config_static_selectorELNS0_4arch9wavefront6targetE1EEEvT1_: ; @_ZN7rocprim17ROCPRIM_400000_NS6detail17trampoline_kernelINS0_14default_configENS1_25partition_config_selectorILNS1_17partition_subalgoE1EiNS0_10empty_typeEbEEZZNS1_14partition_implILS5_1ELb0ES3_jN6thrust23THRUST_200600_302600_NS6detail15normal_iteratorINSA_10device_ptrIiEEEEPS6_NSA_18transform_iteratorI7is_evenIiESF_NSA_11use_defaultESK_EENS0_5tupleIJNSA_16discard_iteratorISK_EESO_EEENSM_IJSG_SG_EEES6_PlJS6_EEE10hipError_tPvRmT3_T4_T5_T6_T7_T9_mT8_P12ihipStream_tbDpT10_ENKUlT_T0_E_clISt17integral_constantIbLb1EES1A_IbLb0EEEEDaS16_S17_EUlS16_E_NS1_11comp_targetILNS1_3genE2ELNS1_11target_archE906ELNS1_3gpuE6ELNS1_3repE0EEENS1_30default_config_static_selectorELNS0_4arch9wavefront6targetE1EEEvT1_
; %bb.0:
	.section	.rodata,"a",@progbits
	.p2align	6, 0x0
	.amdhsa_kernel _ZN7rocprim17ROCPRIM_400000_NS6detail17trampoline_kernelINS0_14default_configENS1_25partition_config_selectorILNS1_17partition_subalgoE1EiNS0_10empty_typeEbEEZZNS1_14partition_implILS5_1ELb0ES3_jN6thrust23THRUST_200600_302600_NS6detail15normal_iteratorINSA_10device_ptrIiEEEEPS6_NSA_18transform_iteratorI7is_evenIiESF_NSA_11use_defaultESK_EENS0_5tupleIJNSA_16discard_iteratorISK_EESO_EEENSM_IJSG_SG_EEES6_PlJS6_EEE10hipError_tPvRmT3_T4_T5_T6_T7_T9_mT8_P12ihipStream_tbDpT10_ENKUlT_T0_E_clISt17integral_constantIbLb1EES1A_IbLb0EEEEDaS16_S17_EUlS16_E_NS1_11comp_targetILNS1_3genE2ELNS1_11target_archE906ELNS1_3gpuE6ELNS1_3repE0EEENS1_30default_config_static_selectorELNS0_4arch9wavefront6targetE1EEEvT1_
		.amdhsa_group_segment_fixed_size 0
		.amdhsa_private_segment_fixed_size 0
		.amdhsa_kernarg_size 144
		.amdhsa_user_sgpr_count 6
		.amdhsa_user_sgpr_private_segment_buffer 1
		.amdhsa_user_sgpr_dispatch_ptr 0
		.amdhsa_user_sgpr_queue_ptr 0
		.amdhsa_user_sgpr_kernarg_segment_ptr 1
		.amdhsa_user_sgpr_dispatch_id 0
		.amdhsa_user_sgpr_flat_scratch_init 0
		.amdhsa_user_sgpr_kernarg_preload_length 0
		.amdhsa_user_sgpr_kernarg_preload_offset 0
		.amdhsa_user_sgpr_private_segment_size 0
		.amdhsa_uses_dynamic_stack 0
		.amdhsa_system_sgpr_private_segment_wavefront_offset 0
		.amdhsa_system_sgpr_workgroup_id_x 1
		.amdhsa_system_sgpr_workgroup_id_y 0
		.amdhsa_system_sgpr_workgroup_id_z 0
		.amdhsa_system_sgpr_workgroup_info 0
		.amdhsa_system_vgpr_workitem_id 0
		.amdhsa_next_free_vgpr 1
		.amdhsa_next_free_sgpr 0
		.amdhsa_accum_offset 4
		.amdhsa_reserve_vcc 0
		.amdhsa_reserve_flat_scratch 0
		.amdhsa_float_round_mode_32 0
		.amdhsa_float_round_mode_16_64 0
		.amdhsa_float_denorm_mode_32 3
		.amdhsa_float_denorm_mode_16_64 3
		.amdhsa_dx10_clamp 1
		.amdhsa_ieee_mode 1
		.amdhsa_fp16_overflow 0
		.amdhsa_tg_split 0
		.amdhsa_exception_fp_ieee_invalid_op 0
		.amdhsa_exception_fp_denorm_src 0
		.amdhsa_exception_fp_ieee_div_zero 0
		.amdhsa_exception_fp_ieee_overflow 0
		.amdhsa_exception_fp_ieee_underflow 0
		.amdhsa_exception_fp_ieee_inexact 0
		.amdhsa_exception_int_div_zero 0
	.end_amdhsa_kernel
	.section	.text._ZN7rocprim17ROCPRIM_400000_NS6detail17trampoline_kernelINS0_14default_configENS1_25partition_config_selectorILNS1_17partition_subalgoE1EiNS0_10empty_typeEbEEZZNS1_14partition_implILS5_1ELb0ES3_jN6thrust23THRUST_200600_302600_NS6detail15normal_iteratorINSA_10device_ptrIiEEEEPS6_NSA_18transform_iteratorI7is_evenIiESF_NSA_11use_defaultESK_EENS0_5tupleIJNSA_16discard_iteratorISK_EESO_EEENSM_IJSG_SG_EEES6_PlJS6_EEE10hipError_tPvRmT3_T4_T5_T6_T7_T9_mT8_P12ihipStream_tbDpT10_ENKUlT_T0_E_clISt17integral_constantIbLb1EES1A_IbLb0EEEEDaS16_S17_EUlS16_E_NS1_11comp_targetILNS1_3genE2ELNS1_11target_archE906ELNS1_3gpuE6ELNS1_3repE0EEENS1_30default_config_static_selectorELNS0_4arch9wavefront6targetE1EEEvT1_,"axG",@progbits,_ZN7rocprim17ROCPRIM_400000_NS6detail17trampoline_kernelINS0_14default_configENS1_25partition_config_selectorILNS1_17partition_subalgoE1EiNS0_10empty_typeEbEEZZNS1_14partition_implILS5_1ELb0ES3_jN6thrust23THRUST_200600_302600_NS6detail15normal_iteratorINSA_10device_ptrIiEEEEPS6_NSA_18transform_iteratorI7is_evenIiESF_NSA_11use_defaultESK_EENS0_5tupleIJNSA_16discard_iteratorISK_EESO_EEENSM_IJSG_SG_EEES6_PlJS6_EEE10hipError_tPvRmT3_T4_T5_T6_T7_T9_mT8_P12ihipStream_tbDpT10_ENKUlT_T0_E_clISt17integral_constantIbLb1EES1A_IbLb0EEEEDaS16_S17_EUlS16_E_NS1_11comp_targetILNS1_3genE2ELNS1_11target_archE906ELNS1_3gpuE6ELNS1_3repE0EEENS1_30default_config_static_selectorELNS0_4arch9wavefront6targetE1EEEvT1_,comdat
.Lfunc_end3279:
	.size	_ZN7rocprim17ROCPRIM_400000_NS6detail17trampoline_kernelINS0_14default_configENS1_25partition_config_selectorILNS1_17partition_subalgoE1EiNS0_10empty_typeEbEEZZNS1_14partition_implILS5_1ELb0ES3_jN6thrust23THRUST_200600_302600_NS6detail15normal_iteratorINSA_10device_ptrIiEEEEPS6_NSA_18transform_iteratorI7is_evenIiESF_NSA_11use_defaultESK_EENS0_5tupleIJNSA_16discard_iteratorISK_EESO_EEENSM_IJSG_SG_EEES6_PlJS6_EEE10hipError_tPvRmT3_T4_T5_T6_T7_T9_mT8_P12ihipStream_tbDpT10_ENKUlT_T0_E_clISt17integral_constantIbLb1EES1A_IbLb0EEEEDaS16_S17_EUlS16_E_NS1_11comp_targetILNS1_3genE2ELNS1_11target_archE906ELNS1_3gpuE6ELNS1_3repE0EEENS1_30default_config_static_selectorELNS0_4arch9wavefront6targetE1EEEvT1_, .Lfunc_end3279-_ZN7rocprim17ROCPRIM_400000_NS6detail17trampoline_kernelINS0_14default_configENS1_25partition_config_selectorILNS1_17partition_subalgoE1EiNS0_10empty_typeEbEEZZNS1_14partition_implILS5_1ELb0ES3_jN6thrust23THRUST_200600_302600_NS6detail15normal_iteratorINSA_10device_ptrIiEEEEPS6_NSA_18transform_iteratorI7is_evenIiESF_NSA_11use_defaultESK_EENS0_5tupleIJNSA_16discard_iteratorISK_EESO_EEENSM_IJSG_SG_EEES6_PlJS6_EEE10hipError_tPvRmT3_T4_T5_T6_T7_T9_mT8_P12ihipStream_tbDpT10_ENKUlT_T0_E_clISt17integral_constantIbLb1EES1A_IbLb0EEEEDaS16_S17_EUlS16_E_NS1_11comp_targetILNS1_3genE2ELNS1_11target_archE906ELNS1_3gpuE6ELNS1_3repE0EEENS1_30default_config_static_selectorELNS0_4arch9wavefront6targetE1EEEvT1_
                                        ; -- End function
	.section	.AMDGPU.csdata,"",@progbits
; Kernel info:
; codeLenInByte = 0
; NumSgprs: 4
; NumVgprs: 0
; NumAgprs: 0
; TotalNumVgprs: 0
; ScratchSize: 0
; MemoryBound: 0
; FloatMode: 240
; IeeeMode: 1
; LDSByteSize: 0 bytes/workgroup (compile time only)
; SGPRBlocks: 0
; VGPRBlocks: 0
; NumSGPRsForWavesPerEU: 4
; NumVGPRsForWavesPerEU: 1
; AccumOffset: 4
; Occupancy: 8
; WaveLimiterHint : 0
; COMPUTE_PGM_RSRC2:SCRATCH_EN: 0
; COMPUTE_PGM_RSRC2:USER_SGPR: 6
; COMPUTE_PGM_RSRC2:TRAP_HANDLER: 0
; COMPUTE_PGM_RSRC2:TGID_X_EN: 1
; COMPUTE_PGM_RSRC2:TGID_Y_EN: 0
; COMPUTE_PGM_RSRC2:TGID_Z_EN: 0
; COMPUTE_PGM_RSRC2:TIDIG_COMP_CNT: 0
; COMPUTE_PGM_RSRC3_GFX90A:ACCUM_OFFSET: 0
; COMPUTE_PGM_RSRC3_GFX90A:TG_SPLIT: 0
	.section	.text._ZN7rocprim17ROCPRIM_400000_NS6detail17trampoline_kernelINS0_14default_configENS1_25partition_config_selectorILNS1_17partition_subalgoE1EiNS0_10empty_typeEbEEZZNS1_14partition_implILS5_1ELb0ES3_jN6thrust23THRUST_200600_302600_NS6detail15normal_iteratorINSA_10device_ptrIiEEEEPS6_NSA_18transform_iteratorI7is_evenIiESF_NSA_11use_defaultESK_EENS0_5tupleIJNSA_16discard_iteratorISK_EESO_EEENSM_IJSG_SG_EEES6_PlJS6_EEE10hipError_tPvRmT3_T4_T5_T6_T7_T9_mT8_P12ihipStream_tbDpT10_ENKUlT_T0_E_clISt17integral_constantIbLb1EES1A_IbLb0EEEEDaS16_S17_EUlS16_E_NS1_11comp_targetILNS1_3genE10ELNS1_11target_archE1200ELNS1_3gpuE4ELNS1_3repE0EEENS1_30default_config_static_selectorELNS0_4arch9wavefront6targetE1EEEvT1_,"axG",@progbits,_ZN7rocprim17ROCPRIM_400000_NS6detail17trampoline_kernelINS0_14default_configENS1_25partition_config_selectorILNS1_17partition_subalgoE1EiNS0_10empty_typeEbEEZZNS1_14partition_implILS5_1ELb0ES3_jN6thrust23THRUST_200600_302600_NS6detail15normal_iteratorINSA_10device_ptrIiEEEEPS6_NSA_18transform_iteratorI7is_evenIiESF_NSA_11use_defaultESK_EENS0_5tupleIJNSA_16discard_iteratorISK_EESO_EEENSM_IJSG_SG_EEES6_PlJS6_EEE10hipError_tPvRmT3_T4_T5_T6_T7_T9_mT8_P12ihipStream_tbDpT10_ENKUlT_T0_E_clISt17integral_constantIbLb1EES1A_IbLb0EEEEDaS16_S17_EUlS16_E_NS1_11comp_targetILNS1_3genE10ELNS1_11target_archE1200ELNS1_3gpuE4ELNS1_3repE0EEENS1_30default_config_static_selectorELNS0_4arch9wavefront6targetE1EEEvT1_,comdat
	.protected	_ZN7rocprim17ROCPRIM_400000_NS6detail17trampoline_kernelINS0_14default_configENS1_25partition_config_selectorILNS1_17partition_subalgoE1EiNS0_10empty_typeEbEEZZNS1_14partition_implILS5_1ELb0ES3_jN6thrust23THRUST_200600_302600_NS6detail15normal_iteratorINSA_10device_ptrIiEEEEPS6_NSA_18transform_iteratorI7is_evenIiESF_NSA_11use_defaultESK_EENS0_5tupleIJNSA_16discard_iteratorISK_EESO_EEENSM_IJSG_SG_EEES6_PlJS6_EEE10hipError_tPvRmT3_T4_T5_T6_T7_T9_mT8_P12ihipStream_tbDpT10_ENKUlT_T0_E_clISt17integral_constantIbLb1EES1A_IbLb0EEEEDaS16_S17_EUlS16_E_NS1_11comp_targetILNS1_3genE10ELNS1_11target_archE1200ELNS1_3gpuE4ELNS1_3repE0EEENS1_30default_config_static_selectorELNS0_4arch9wavefront6targetE1EEEvT1_ ; -- Begin function _ZN7rocprim17ROCPRIM_400000_NS6detail17trampoline_kernelINS0_14default_configENS1_25partition_config_selectorILNS1_17partition_subalgoE1EiNS0_10empty_typeEbEEZZNS1_14partition_implILS5_1ELb0ES3_jN6thrust23THRUST_200600_302600_NS6detail15normal_iteratorINSA_10device_ptrIiEEEEPS6_NSA_18transform_iteratorI7is_evenIiESF_NSA_11use_defaultESK_EENS0_5tupleIJNSA_16discard_iteratorISK_EESO_EEENSM_IJSG_SG_EEES6_PlJS6_EEE10hipError_tPvRmT3_T4_T5_T6_T7_T9_mT8_P12ihipStream_tbDpT10_ENKUlT_T0_E_clISt17integral_constantIbLb1EES1A_IbLb0EEEEDaS16_S17_EUlS16_E_NS1_11comp_targetILNS1_3genE10ELNS1_11target_archE1200ELNS1_3gpuE4ELNS1_3repE0EEENS1_30default_config_static_selectorELNS0_4arch9wavefront6targetE1EEEvT1_
	.globl	_ZN7rocprim17ROCPRIM_400000_NS6detail17trampoline_kernelINS0_14default_configENS1_25partition_config_selectorILNS1_17partition_subalgoE1EiNS0_10empty_typeEbEEZZNS1_14partition_implILS5_1ELb0ES3_jN6thrust23THRUST_200600_302600_NS6detail15normal_iteratorINSA_10device_ptrIiEEEEPS6_NSA_18transform_iteratorI7is_evenIiESF_NSA_11use_defaultESK_EENS0_5tupleIJNSA_16discard_iteratorISK_EESO_EEENSM_IJSG_SG_EEES6_PlJS6_EEE10hipError_tPvRmT3_T4_T5_T6_T7_T9_mT8_P12ihipStream_tbDpT10_ENKUlT_T0_E_clISt17integral_constantIbLb1EES1A_IbLb0EEEEDaS16_S17_EUlS16_E_NS1_11comp_targetILNS1_3genE10ELNS1_11target_archE1200ELNS1_3gpuE4ELNS1_3repE0EEENS1_30default_config_static_selectorELNS0_4arch9wavefront6targetE1EEEvT1_
	.p2align	8
	.type	_ZN7rocprim17ROCPRIM_400000_NS6detail17trampoline_kernelINS0_14default_configENS1_25partition_config_selectorILNS1_17partition_subalgoE1EiNS0_10empty_typeEbEEZZNS1_14partition_implILS5_1ELb0ES3_jN6thrust23THRUST_200600_302600_NS6detail15normal_iteratorINSA_10device_ptrIiEEEEPS6_NSA_18transform_iteratorI7is_evenIiESF_NSA_11use_defaultESK_EENS0_5tupleIJNSA_16discard_iteratorISK_EESO_EEENSM_IJSG_SG_EEES6_PlJS6_EEE10hipError_tPvRmT3_T4_T5_T6_T7_T9_mT8_P12ihipStream_tbDpT10_ENKUlT_T0_E_clISt17integral_constantIbLb1EES1A_IbLb0EEEEDaS16_S17_EUlS16_E_NS1_11comp_targetILNS1_3genE10ELNS1_11target_archE1200ELNS1_3gpuE4ELNS1_3repE0EEENS1_30default_config_static_selectorELNS0_4arch9wavefront6targetE1EEEvT1_,@function
_ZN7rocprim17ROCPRIM_400000_NS6detail17trampoline_kernelINS0_14default_configENS1_25partition_config_selectorILNS1_17partition_subalgoE1EiNS0_10empty_typeEbEEZZNS1_14partition_implILS5_1ELb0ES3_jN6thrust23THRUST_200600_302600_NS6detail15normal_iteratorINSA_10device_ptrIiEEEEPS6_NSA_18transform_iteratorI7is_evenIiESF_NSA_11use_defaultESK_EENS0_5tupleIJNSA_16discard_iteratorISK_EESO_EEENSM_IJSG_SG_EEES6_PlJS6_EEE10hipError_tPvRmT3_T4_T5_T6_T7_T9_mT8_P12ihipStream_tbDpT10_ENKUlT_T0_E_clISt17integral_constantIbLb1EES1A_IbLb0EEEEDaS16_S17_EUlS16_E_NS1_11comp_targetILNS1_3genE10ELNS1_11target_archE1200ELNS1_3gpuE4ELNS1_3repE0EEENS1_30default_config_static_selectorELNS0_4arch9wavefront6targetE1EEEvT1_: ; @_ZN7rocprim17ROCPRIM_400000_NS6detail17trampoline_kernelINS0_14default_configENS1_25partition_config_selectorILNS1_17partition_subalgoE1EiNS0_10empty_typeEbEEZZNS1_14partition_implILS5_1ELb0ES3_jN6thrust23THRUST_200600_302600_NS6detail15normal_iteratorINSA_10device_ptrIiEEEEPS6_NSA_18transform_iteratorI7is_evenIiESF_NSA_11use_defaultESK_EENS0_5tupleIJNSA_16discard_iteratorISK_EESO_EEENSM_IJSG_SG_EEES6_PlJS6_EEE10hipError_tPvRmT3_T4_T5_T6_T7_T9_mT8_P12ihipStream_tbDpT10_ENKUlT_T0_E_clISt17integral_constantIbLb1EES1A_IbLb0EEEEDaS16_S17_EUlS16_E_NS1_11comp_targetILNS1_3genE10ELNS1_11target_archE1200ELNS1_3gpuE4ELNS1_3repE0EEENS1_30default_config_static_selectorELNS0_4arch9wavefront6targetE1EEEvT1_
; %bb.0:
	.section	.rodata,"a",@progbits
	.p2align	6, 0x0
	.amdhsa_kernel _ZN7rocprim17ROCPRIM_400000_NS6detail17trampoline_kernelINS0_14default_configENS1_25partition_config_selectorILNS1_17partition_subalgoE1EiNS0_10empty_typeEbEEZZNS1_14partition_implILS5_1ELb0ES3_jN6thrust23THRUST_200600_302600_NS6detail15normal_iteratorINSA_10device_ptrIiEEEEPS6_NSA_18transform_iteratorI7is_evenIiESF_NSA_11use_defaultESK_EENS0_5tupleIJNSA_16discard_iteratorISK_EESO_EEENSM_IJSG_SG_EEES6_PlJS6_EEE10hipError_tPvRmT3_T4_T5_T6_T7_T9_mT8_P12ihipStream_tbDpT10_ENKUlT_T0_E_clISt17integral_constantIbLb1EES1A_IbLb0EEEEDaS16_S17_EUlS16_E_NS1_11comp_targetILNS1_3genE10ELNS1_11target_archE1200ELNS1_3gpuE4ELNS1_3repE0EEENS1_30default_config_static_selectorELNS0_4arch9wavefront6targetE1EEEvT1_
		.amdhsa_group_segment_fixed_size 0
		.amdhsa_private_segment_fixed_size 0
		.amdhsa_kernarg_size 144
		.amdhsa_user_sgpr_count 6
		.amdhsa_user_sgpr_private_segment_buffer 1
		.amdhsa_user_sgpr_dispatch_ptr 0
		.amdhsa_user_sgpr_queue_ptr 0
		.amdhsa_user_sgpr_kernarg_segment_ptr 1
		.amdhsa_user_sgpr_dispatch_id 0
		.amdhsa_user_sgpr_flat_scratch_init 0
		.amdhsa_user_sgpr_kernarg_preload_length 0
		.amdhsa_user_sgpr_kernarg_preload_offset 0
		.amdhsa_user_sgpr_private_segment_size 0
		.amdhsa_uses_dynamic_stack 0
		.amdhsa_system_sgpr_private_segment_wavefront_offset 0
		.amdhsa_system_sgpr_workgroup_id_x 1
		.amdhsa_system_sgpr_workgroup_id_y 0
		.amdhsa_system_sgpr_workgroup_id_z 0
		.amdhsa_system_sgpr_workgroup_info 0
		.amdhsa_system_vgpr_workitem_id 0
		.amdhsa_next_free_vgpr 1
		.amdhsa_next_free_sgpr 0
		.amdhsa_accum_offset 4
		.amdhsa_reserve_vcc 0
		.amdhsa_reserve_flat_scratch 0
		.amdhsa_float_round_mode_32 0
		.amdhsa_float_round_mode_16_64 0
		.amdhsa_float_denorm_mode_32 3
		.amdhsa_float_denorm_mode_16_64 3
		.amdhsa_dx10_clamp 1
		.amdhsa_ieee_mode 1
		.amdhsa_fp16_overflow 0
		.amdhsa_tg_split 0
		.amdhsa_exception_fp_ieee_invalid_op 0
		.amdhsa_exception_fp_denorm_src 0
		.amdhsa_exception_fp_ieee_div_zero 0
		.amdhsa_exception_fp_ieee_overflow 0
		.amdhsa_exception_fp_ieee_underflow 0
		.amdhsa_exception_fp_ieee_inexact 0
		.amdhsa_exception_int_div_zero 0
	.end_amdhsa_kernel
	.section	.text._ZN7rocprim17ROCPRIM_400000_NS6detail17trampoline_kernelINS0_14default_configENS1_25partition_config_selectorILNS1_17partition_subalgoE1EiNS0_10empty_typeEbEEZZNS1_14partition_implILS5_1ELb0ES3_jN6thrust23THRUST_200600_302600_NS6detail15normal_iteratorINSA_10device_ptrIiEEEEPS6_NSA_18transform_iteratorI7is_evenIiESF_NSA_11use_defaultESK_EENS0_5tupleIJNSA_16discard_iteratorISK_EESO_EEENSM_IJSG_SG_EEES6_PlJS6_EEE10hipError_tPvRmT3_T4_T5_T6_T7_T9_mT8_P12ihipStream_tbDpT10_ENKUlT_T0_E_clISt17integral_constantIbLb1EES1A_IbLb0EEEEDaS16_S17_EUlS16_E_NS1_11comp_targetILNS1_3genE10ELNS1_11target_archE1200ELNS1_3gpuE4ELNS1_3repE0EEENS1_30default_config_static_selectorELNS0_4arch9wavefront6targetE1EEEvT1_,"axG",@progbits,_ZN7rocprim17ROCPRIM_400000_NS6detail17trampoline_kernelINS0_14default_configENS1_25partition_config_selectorILNS1_17partition_subalgoE1EiNS0_10empty_typeEbEEZZNS1_14partition_implILS5_1ELb0ES3_jN6thrust23THRUST_200600_302600_NS6detail15normal_iteratorINSA_10device_ptrIiEEEEPS6_NSA_18transform_iteratorI7is_evenIiESF_NSA_11use_defaultESK_EENS0_5tupleIJNSA_16discard_iteratorISK_EESO_EEENSM_IJSG_SG_EEES6_PlJS6_EEE10hipError_tPvRmT3_T4_T5_T6_T7_T9_mT8_P12ihipStream_tbDpT10_ENKUlT_T0_E_clISt17integral_constantIbLb1EES1A_IbLb0EEEEDaS16_S17_EUlS16_E_NS1_11comp_targetILNS1_3genE10ELNS1_11target_archE1200ELNS1_3gpuE4ELNS1_3repE0EEENS1_30default_config_static_selectorELNS0_4arch9wavefront6targetE1EEEvT1_,comdat
.Lfunc_end3280:
	.size	_ZN7rocprim17ROCPRIM_400000_NS6detail17trampoline_kernelINS0_14default_configENS1_25partition_config_selectorILNS1_17partition_subalgoE1EiNS0_10empty_typeEbEEZZNS1_14partition_implILS5_1ELb0ES3_jN6thrust23THRUST_200600_302600_NS6detail15normal_iteratorINSA_10device_ptrIiEEEEPS6_NSA_18transform_iteratorI7is_evenIiESF_NSA_11use_defaultESK_EENS0_5tupleIJNSA_16discard_iteratorISK_EESO_EEENSM_IJSG_SG_EEES6_PlJS6_EEE10hipError_tPvRmT3_T4_T5_T6_T7_T9_mT8_P12ihipStream_tbDpT10_ENKUlT_T0_E_clISt17integral_constantIbLb1EES1A_IbLb0EEEEDaS16_S17_EUlS16_E_NS1_11comp_targetILNS1_3genE10ELNS1_11target_archE1200ELNS1_3gpuE4ELNS1_3repE0EEENS1_30default_config_static_selectorELNS0_4arch9wavefront6targetE1EEEvT1_, .Lfunc_end3280-_ZN7rocprim17ROCPRIM_400000_NS6detail17trampoline_kernelINS0_14default_configENS1_25partition_config_selectorILNS1_17partition_subalgoE1EiNS0_10empty_typeEbEEZZNS1_14partition_implILS5_1ELb0ES3_jN6thrust23THRUST_200600_302600_NS6detail15normal_iteratorINSA_10device_ptrIiEEEEPS6_NSA_18transform_iteratorI7is_evenIiESF_NSA_11use_defaultESK_EENS0_5tupleIJNSA_16discard_iteratorISK_EESO_EEENSM_IJSG_SG_EEES6_PlJS6_EEE10hipError_tPvRmT3_T4_T5_T6_T7_T9_mT8_P12ihipStream_tbDpT10_ENKUlT_T0_E_clISt17integral_constantIbLb1EES1A_IbLb0EEEEDaS16_S17_EUlS16_E_NS1_11comp_targetILNS1_3genE10ELNS1_11target_archE1200ELNS1_3gpuE4ELNS1_3repE0EEENS1_30default_config_static_selectorELNS0_4arch9wavefront6targetE1EEEvT1_
                                        ; -- End function
	.section	.AMDGPU.csdata,"",@progbits
; Kernel info:
; codeLenInByte = 0
; NumSgprs: 4
; NumVgprs: 0
; NumAgprs: 0
; TotalNumVgprs: 0
; ScratchSize: 0
; MemoryBound: 0
; FloatMode: 240
; IeeeMode: 1
; LDSByteSize: 0 bytes/workgroup (compile time only)
; SGPRBlocks: 0
; VGPRBlocks: 0
; NumSGPRsForWavesPerEU: 4
; NumVGPRsForWavesPerEU: 1
; AccumOffset: 4
; Occupancy: 8
; WaveLimiterHint : 0
; COMPUTE_PGM_RSRC2:SCRATCH_EN: 0
; COMPUTE_PGM_RSRC2:USER_SGPR: 6
; COMPUTE_PGM_RSRC2:TRAP_HANDLER: 0
; COMPUTE_PGM_RSRC2:TGID_X_EN: 1
; COMPUTE_PGM_RSRC2:TGID_Y_EN: 0
; COMPUTE_PGM_RSRC2:TGID_Z_EN: 0
; COMPUTE_PGM_RSRC2:TIDIG_COMP_CNT: 0
; COMPUTE_PGM_RSRC3_GFX90A:ACCUM_OFFSET: 0
; COMPUTE_PGM_RSRC3_GFX90A:TG_SPLIT: 0
	.section	.text._ZN7rocprim17ROCPRIM_400000_NS6detail17trampoline_kernelINS0_14default_configENS1_25partition_config_selectorILNS1_17partition_subalgoE1EiNS0_10empty_typeEbEEZZNS1_14partition_implILS5_1ELb0ES3_jN6thrust23THRUST_200600_302600_NS6detail15normal_iteratorINSA_10device_ptrIiEEEEPS6_NSA_18transform_iteratorI7is_evenIiESF_NSA_11use_defaultESK_EENS0_5tupleIJNSA_16discard_iteratorISK_EESO_EEENSM_IJSG_SG_EEES6_PlJS6_EEE10hipError_tPvRmT3_T4_T5_T6_T7_T9_mT8_P12ihipStream_tbDpT10_ENKUlT_T0_E_clISt17integral_constantIbLb1EES1A_IbLb0EEEEDaS16_S17_EUlS16_E_NS1_11comp_targetILNS1_3genE9ELNS1_11target_archE1100ELNS1_3gpuE3ELNS1_3repE0EEENS1_30default_config_static_selectorELNS0_4arch9wavefront6targetE1EEEvT1_,"axG",@progbits,_ZN7rocprim17ROCPRIM_400000_NS6detail17trampoline_kernelINS0_14default_configENS1_25partition_config_selectorILNS1_17partition_subalgoE1EiNS0_10empty_typeEbEEZZNS1_14partition_implILS5_1ELb0ES3_jN6thrust23THRUST_200600_302600_NS6detail15normal_iteratorINSA_10device_ptrIiEEEEPS6_NSA_18transform_iteratorI7is_evenIiESF_NSA_11use_defaultESK_EENS0_5tupleIJNSA_16discard_iteratorISK_EESO_EEENSM_IJSG_SG_EEES6_PlJS6_EEE10hipError_tPvRmT3_T4_T5_T6_T7_T9_mT8_P12ihipStream_tbDpT10_ENKUlT_T0_E_clISt17integral_constantIbLb1EES1A_IbLb0EEEEDaS16_S17_EUlS16_E_NS1_11comp_targetILNS1_3genE9ELNS1_11target_archE1100ELNS1_3gpuE3ELNS1_3repE0EEENS1_30default_config_static_selectorELNS0_4arch9wavefront6targetE1EEEvT1_,comdat
	.protected	_ZN7rocprim17ROCPRIM_400000_NS6detail17trampoline_kernelINS0_14default_configENS1_25partition_config_selectorILNS1_17partition_subalgoE1EiNS0_10empty_typeEbEEZZNS1_14partition_implILS5_1ELb0ES3_jN6thrust23THRUST_200600_302600_NS6detail15normal_iteratorINSA_10device_ptrIiEEEEPS6_NSA_18transform_iteratorI7is_evenIiESF_NSA_11use_defaultESK_EENS0_5tupleIJNSA_16discard_iteratorISK_EESO_EEENSM_IJSG_SG_EEES6_PlJS6_EEE10hipError_tPvRmT3_T4_T5_T6_T7_T9_mT8_P12ihipStream_tbDpT10_ENKUlT_T0_E_clISt17integral_constantIbLb1EES1A_IbLb0EEEEDaS16_S17_EUlS16_E_NS1_11comp_targetILNS1_3genE9ELNS1_11target_archE1100ELNS1_3gpuE3ELNS1_3repE0EEENS1_30default_config_static_selectorELNS0_4arch9wavefront6targetE1EEEvT1_ ; -- Begin function _ZN7rocprim17ROCPRIM_400000_NS6detail17trampoline_kernelINS0_14default_configENS1_25partition_config_selectorILNS1_17partition_subalgoE1EiNS0_10empty_typeEbEEZZNS1_14partition_implILS5_1ELb0ES3_jN6thrust23THRUST_200600_302600_NS6detail15normal_iteratorINSA_10device_ptrIiEEEEPS6_NSA_18transform_iteratorI7is_evenIiESF_NSA_11use_defaultESK_EENS0_5tupleIJNSA_16discard_iteratorISK_EESO_EEENSM_IJSG_SG_EEES6_PlJS6_EEE10hipError_tPvRmT3_T4_T5_T6_T7_T9_mT8_P12ihipStream_tbDpT10_ENKUlT_T0_E_clISt17integral_constantIbLb1EES1A_IbLb0EEEEDaS16_S17_EUlS16_E_NS1_11comp_targetILNS1_3genE9ELNS1_11target_archE1100ELNS1_3gpuE3ELNS1_3repE0EEENS1_30default_config_static_selectorELNS0_4arch9wavefront6targetE1EEEvT1_
	.globl	_ZN7rocprim17ROCPRIM_400000_NS6detail17trampoline_kernelINS0_14default_configENS1_25partition_config_selectorILNS1_17partition_subalgoE1EiNS0_10empty_typeEbEEZZNS1_14partition_implILS5_1ELb0ES3_jN6thrust23THRUST_200600_302600_NS6detail15normal_iteratorINSA_10device_ptrIiEEEEPS6_NSA_18transform_iteratorI7is_evenIiESF_NSA_11use_defaultESK_EENS0_5tupleIJNSA_16discard_iteratorISK_EESO_EEENSM_IJSG_SG_EEES6_PlJS6_EEE10hipError_tPvRmT3_T4_T5_T6_T7_T9_mT8_P12ihipStream_tbDpT10_ENKUlT_T0_E_clISt17integral_constantIbLb1EES1A_IbLb0EEEEDaS16_S17_EUlS16_E_NS1_11comp_targetILNS1_3genE9ELNS1_11target_archE1100ELNS1_3gpuE3ELNS1_3repE0EEENS1_30default_config_static_selectorELNS0_4arch9wavefront6targetE1EEEvT1_
	.p2align	8
	.type	_ZN7rocprim17ROCPRIM_400000_NS6detail17trampoline_kernelINS0_14default_configENS1_25partition_config_selectorILNS1_17partition_subalgoE1EiNS0_10empty_typeEbEEZZNS1_14partition_implILS5_1ELb0ES3_jN6thrust23THRUST_200600_302600_NS6detail15normal_iteratorINSA_10device_ptrIiEEEEPS6_NSA_18transform_iteratorI7is_evenIiESF_NSA_11use_defaultESK_EENS0_5tupleIJNSA_16discard_iteratorISK_EESO_EEENSM_IJSG_SG_EEES6_PlJS6_EEE10hipError_tPvRmT3_T4_T5_T6_T7_T9_mT8_P12ihipStream_tbDpT10_ENKUlT_T0_E_clISt17integral_constantIbLb1EES1A_IbLb0EEEEDaS16_S17_EUlS16_E_NS1_11comp_targetILNS1_3genE9ELNS1_11target_archE1100ELNS1_3gpuE3ELNS1_3repE0EEENS1_30default_config_static_selectorELNS0_4arch9wavefront6targetE1EEEvT1_,@function
_ZN7rocprim17ROCPRIM_400000_NS6detail17trampoline_kernelINS0_14default_configENS1_25partition_config_selectorILNS1_17partition_subalgoE1EiNS0_10empty_typeEbEEZZNS1_14partition_implILS5_1ELb0ES3_jN6thrust23THRUST_200600_302600_NS6detail15normal_iteratorINSA_10device_ptrIiEEEEPS6_NSA_18transform_iteratorI7is_evenIiESF_NSA_11use_defaultESK_EENS0_5tupleIJNSA_16discard_iteratorISK_EESO_EEENSM_IJSG_SG_EEES6_PlJS6_EEE10hipError_tPvRmT3_T4_T5_T6_T7_T9_mT8_P12ihipStream_tbDpT10_ENKUlT_T0_E_clISt17integral_constantIbLb1EES1A_IbLb0EEEEDaS16_S17_EUlS16_E_NS1_11comp_targetILNS1_3genE9ELNS1_11target_archE1100ELNS1_3gpuE3ELNS1_3repE0EEENS1_30default_config_static_selectorELNS0_4arch9wavefront6targetE1EEEvT1_: ; @_ZN7rocprim17ROCPRIM_400000_NS6detail17trampoline_kernelINS0_14default_configENS1_25partition_config_selectorILNS1_17partition_subalgoE1EiNS0_10empty_typeEbEEZZNS1_14partition_implILS5_1ELb0ES3_jN6thrust23THRUST_200600_302600_NS6detail15normal_iteratorINSA_10device_ptrIiEEEEPS6_NSA_18transform_iteratorI7is_evenIiESF_NSA_11use_defaultESK_EENS0_5tupleIJNSA_16discard_iteratorISK_EESO_EEENSM_IJSG_SG_EEES6_PlJS6_EEE10hipError_tPvRmT3_T4_T5_T6_T7_T9_mT8_P12ihipStream_tbDpT10_ENKUlT_T0_E_clISt17integral_constantIbLb1EES1A_IbLb0EEEEDaS16_S17_EUlS16_E_NS1_11comp_targetILNS1_3genE9ELNS1_11target_archE1100ELNS1_3gpuE3ELNS1_3repE0EEENS1_30default_config_static_selectorELNS0_4arch9wavefront6targetE1EEEvT1_
; %bb.0:
	.section	.rodata,"a",@progbits
	.p2align	6, 0x0
	.amdhsa_kernel _ZN7rocprim17ROCPRIM_400000_NS6detail17trampoline_kernelINS0_14default_configENS1_25partition_config_selectorILNS1_17partition_subalgoE1EiNS0_10empty_typeEbEEZZNS1_14partition_implILS5_1ELb0ES3_jN6thrust23THRUST_200600_302600_NS6detail15normal_iteratorINSA_10device_ptrIiEEEEPS6_NSA_18transform_iteratorI7is_evenIiESF_NSA_11use_defaultESK_EENS0_5tupleIJNSA_16discard_iteratorISK_EESO_EEENSM_IJSG_SG_EEES6_PlJS6_EEE10hipError_tPvRmT3_T4_T5_T6_T7_T9_mT8_P12ihipStream_tbDpT10_ENKUlT_T0_E_clISt17integral_constantIbLb1EES1A_IbLb0EEEEDaS16_S17_EUlS16_E_NS1_11comp_targetILNS1_3genE9ELNS1_11target_archE1100ELNS1_3gpuE3ELNS1_3repE0EEENS1_30default_config_static_selectorELNS0_4arch9wavefront6targetE1EEEvT1_
		.amdhsa_group_segment_fixed_size 0
		.amdhsa_private_segment_fixed_size 0
		.amdhsa_kernarg_size 144
		.amdhsa_user_sgpr_count 6
		.amdhsa_user_sgpr_private_segment_buffer 1
		.amdhsa_user_sgpr_dispatch_ptr 0
		.amdhsa_user_sgpr_queue_ptr 0
		.amdhsa_user_sgpr_kernarg_segment_ptr 1
		.amdhsa_user_sgpr_dispatch_id 0
		.amdhsa_user_sgpr_flat_scratch_init 0
		.amdhsa_user_sgpr_kernarg_preload_length 0
		.amdhsa_user_sgpr_kernarg_preload_offset 0
		.amdhsa_user_sgpr_private_segment_size 0
		.amdhsa_uses_dynamic_stack 0
		.amdhsa_system_sgpr_private_segment_wavefront_offset 0
		.amdhsa_system_sgpr_workgroup_id_x 1
		.amdhsa_system_sgpr_workgroup_id_y 0
		.amdhsa_system_sgpr_workgroup_id_z 0
		.amdhsa_system_sgpr_workgroup_info 0
		.amdhsa_system_vgpr_workitem_id 0
		.amdhsa_next_free_vgpr 1
		.amdhsa_next_free_sgpr 0
		.amdhsa_accum_offset 4
		.amdhsa_reserve_vcc 0
		.amdhsa_reserve_flat_scratch 0
		.amdhsa_float_round_mode_32 0
		.amdhsa_float_round_mode_16_64 0
		.amdhsa_float_denorm_mode_32 3
		.amdhsa_float_denorm_mode_16_64 3
		.amdhsa_dx10_clamp 1
		.amdhsa_ieee_mode 1
		.amdhsa_fp16_overflow 0
		.amdhsa_tg_split 0
		.amdhsa_exception_fp_ieee_invalid_op 0
		.amdhsa_exception_fp_denorm_src 0
		.amdhsa_exception_fp_ieee_div_zero 0
		.amdhsa_exception_fp_ieee_overflow 0
		.amdhsa_exception_fp_ieee_underflow 0
		.amdhsa_exception_fp_ieee_inexact 0
		.amdhsa_exception_int_div_zero 0
	.end_amdhsa_kernel
	.section	.text._ZN7rocprim17ROCPRIM_400000_NS6detail17trampoline_kernelINS0_14default_configENS1_25partition_config_selectorILNS1_17partition_subalgoE1EiNS0_10empty_typeEbEEZZNS1_14partition_implILS5_1ELb0ES3_jN6thrust23THRUST_200600_302600_NS6detail15normal_iteratorINSA_10device_ptrIiEEEEPS6_NSA_18transform_iteratorI7is_evenIiESF_NSA_11use_defaultESK_EENS0_5tupleIJNSA_16discard_iteratorISK_EESO_EEENSM_IJSG_SG_EEES6_PlJS6_EEE10hipError_tPvRmT3_T4_T5_T6_T7_T9_mT8_P12ihipStream_tbDpT10_ENKUlT_T0_E_clISt17integral_constantIbLb1EES1A_IbLb0EEEEDaS16_S17_EUlS16_E_NS1_11comp_targetILNS1_3genE9ELNS1_11target_archE1100ELNS1_3gpuE3ELNS1_3repE0EEENS1_30default_config_static_selectorELNS0_4arch9wavefront6targetE1EEEvT1_,"axG",@progbits,_ZN7rocprim17ROCPRIM_400000_NS6detail17trampoline_kernelINS0_14default_configENS1_25partition_config_selectorILNS1_17partition_subalgoE1EiNS0_10empty_typeEbEEZZNS1_14partition_implILS5_1ELb0ES3_jN6thrust23THRUST_200600_302600_NS6detail15normal_iteratorINSA_10device_ptrIiEEEEPS6_NSA_18transform_iteratorI7is_evenIiESF_NSA_11use_defaultESK_EENS0_5tupleIJNSA_16discard_iteratorISK_EESO_EEENSM_IJSG_SG_EEES6_PlJS6_EEE10hipError_tPvRmT3_T4_T5_T6_T7_T9_mT8_P12ihipStream_tbDpT10_ENKUlT_T0_E_clISt17integral_constantIbLb1EES1A_IbLb0EEEEDaS16_S17_EUlS16_E_NS1_11comp_targetILNS1_3genE9ELNS1_11target_archE1100ELNS1_3gpuE3ELNS1_3repE0EEENS1_30default_config_static_selectorELNS0_4arch9wavefront6targetE1EEEvT1_,comdat
.Lfunc_end3281:
	.size	_ZN7rocprim17ROCPRIM_400000_NS6detail17trampoline_kernelINS0_14default_configENS1_25partition_config_selectorILNS1_17partition_subalgoE1EiNS0_10empty_typeEbEEZZNS1_14partition_implILS5_1ELb0ES3_jN6thrust23THRUST_200600_302600_NS6detail15normal_iteratorINSA_10device_ptrIiEEEEPS6_NSA_18transform_iteratorI7is_evenIiESF_NSA_11use_defaultESK_EENS0_5tupleIJNSA_16discard_iteratorISK_EESO_EEENSM_IJSG_SG_EEES6_PlJS6_EEE10hipError_tPvRmT3_T4_T5_T6_T7_T9_mT8_P12ihipStream_tbDpT10_ENKUlT_T0_E_clISt17integral_constantIbLb1EES1A_IbLb0EEEEDaS16_S17_EUlS16_E_NS1_11comp_targetILNS1_3genE9ELNS1_11target_archE1100ELNS1_3gpuE3ELNS1_3repE0EEENS1_30default_config_static_selectorELNS0_4arch9wavefront6targetE1EEEvT1_, .Lfunc_end3281-_ZN7rocprim17ROCPRIM_400000_NS6detail17trampoline_kernelINS0_14default_configENS1_25partition_config_selectorILNS1_17partition_subalgoE1EiNS0_10empty_typeEbEEZZNS1_14partition_implILS5_1ELb0ES3_jN6thrust23THRUST_200600_302600_NS6detail15normal_iteratorINSA_10device_ptrIiEEEEPS6_NSA_18transform_iteratorI7is_evenIiESF_NSA_11use_defaultESK_EENS0_5tupleIJNSA_16discard_iteratorISK_EESO_EEENSM_IJSG_SG_EEES6_PlJS6_EEE10hipError_tPvRmT3_T4_T5_T6_T7_T9_mT8_P12ihipStream_tbDpT10_ENKUlT_T0_E_clISt17integral_constantIbLb1EES1A_IbLb0EEEEDaS16_S17_EUlS16_E_NS1_11comp_targetILNS1_3genE9ELNS1_11target_archE1100ELNS1_3gpuE3ELNS1_3repE0EEENS1_30default_config_static_selectorELNS0_4arch9wavefront6targetE1EEEvT1_
                                        ; -- End function
	.section	.AMDGPU.csdata,"",@progbits
; Kernel info:
; codeLenInByte = 0
; NumSgprs: 4
; NumVgprs: 0
; NumAgprs: 0
; TotalNumVgprs: 0
; ScratchSize: 0
; MemoryBound: 0
; FloatMode: 240
; IeeeMode: 1
; LDSByteSize: 0 bytes/workgroup (compile time only)
; SGPRBlocks: 0
; VGPRBlocks: 0
; NumSGPRsForWavesPerEU: 4
; NumVGPRsForWavesPerEU: 1
; AccumOffset: 4
; Occupancy: 8
; WaveLimiterHint : 0
; COMPUTE_PGM_RSRC2:SCRATCH_EN: 0
; COMPUTE_PGM_RSRC2:USER_SGPR: 6
; COMPUTE_PGM_RSRC2:TRAP_HANDLER: 0
; COMPUTE_PGM_RSRC2:TGID_X_EN: 1
; COMPUTE_PGM_RSRC2:TGID_Y_EN: 0
; COMPUTE_PGM_RSRC2:TGID_Z_EN: 0
; COMPUTE_PGM_RSRC2:TIDIG_COMP_CNT: 0
; COMPUTE_PGM_RSRC3_GFX90A:ACCUM_OFFSET: 0
; COMPUTE_PGM_RSRC3_GFX90A:TG_SPLIT: 0
	.section	.text._ZN7rocprim17ROCPRIM_400000_NS6detail17trampoline_kernelINS0_14default_configENS1_25partition_config_selectorILNS1_17partition_subalgoE1EiNS0_10empty_typeEbEEZZNS1_14partition_implILS5_1ELb0ES3_jN6thrust23THRUST_200600_302600_NS6detail15normal_iteratorINSA_10device_ptrIiEEEEPS6_NSA_18transform_iteratorI7is_evenIiESF_NSA_11use_defaultESK_EENS0_5tupleIJNSA_16discard_iteratorISK_EESO_EEENSM_IJSG_SG_EEES6_PlJS6_EEE10hipError_tPvRmT3_T4_T5_T6_T7_T9_mT8_P12ihipStream_tbDpT10_ENKUlT_T0_E_clISt17integral_constantIbLb1EES1A_IbLb0EEEEDaS16_S17_EUlS16_E_NS1_11comp_targetILNS1_3genE8ELNS1_11target_archE1030ELNS1_3gpuE2ELNS1_3repE0EEENS1_30default_config_static_selectorELNS0_4arch9wavefront6targetE1EEEvT1_,"axG",@progbits,_ZN7rocprim17ROCPRIM_400000_NS6detail17trampoline_kernelINS0_14default_configENS1_25partition_config_selectorILNS1_17partition_subalgoE1EiNS0_10empty_typeEbEEZZNS1_14partition_implILS5_1ELb0ES3_jN6thrust23THRUST_200600_302600_NS6detail15normal_iteratorINSA_10device_ptrIiEEEEPS6_NSA_18transform_iteratorI7is_evenIiESF_NSA_11use_defaultESK_EENS0_5tupleIJNSA_16discard_iteratorISK_EESO_EEENSM_IJSG_SG_EEES6_PlJS6_EEE10hipError_tPvRmT3_T4_T5_T6_T7_T9_mT8_P12ihipStream_tbDpT10_ENKUlT_T0_E_clISt17integral_constantIbLb1EES1A_IbLb0EEEEDaS16_S17_EUlS16_E_NS1_11comp_targetILNS1_3genE8ELNS1_11target_archE1030ELNS1_3gpuE2ELNS1_3repE0EEENS1_30default_config_static_selectorELNS0_4arch9wavefront6targetE1EEEvT1_,comdat
	.protected	_ZN7rocprim17ROCPRIM_400000_NS6detail17trampoline_kernelINS0_14default_configENS1_25partition_config_selectorILNS1_17partition_subalgoE1EiNS0_10empty_typeEbEEZZNS1_14partition_implILS5_1ELb0ES3_jN6thrust23THRUST_200600_302600_NS6detail15normal_iteratorINSA_10device_ptrIiEEEEPS6_NSA_18transform_iteratorI7is_evenIiESF_NSA_11use_defaultESK_EENS0_5tupleIJNSA_16discard_iteratorISK_EESO_EEENSM_IJSG_SG_EEES6_PlJS6_EEE10hipError_tPvRmT3_T4_T5_T6_T7_T9_mT8_P12ihipStream_tbDpT10_ENKUlT_T0_E_clISt17integral_constantIbLb1EES1A_IbLb0EEEEDaS16_S17_EUlS16_E_NS1_11comp_targetILNS1_3genE8ELNS1_11target_archE1030ELNS1_3gpuE2ELNS1_3repE0EEENS1_30default_config_static_selectorELNS0_4arch9wavefront6targetE1EEEvT1_ ; -- Begin function _ZN7rocprim17ROCPRIM_400000_NS6detail17trampoline_kernelINS0_14default_configENS1_25partition_config_selectorILNS1_17partition_subalgoE1EiNS0_10empty_typeEbEEZZNS1_14partition_implILS5_1ELb0ES3_jN6thrust23THRUST_200600_302600_NS6detail15normal_iteratorINSA_10device_ptrIiEEEEPS6_NSA_18transform_iteratorI7is_evenIiESF_NSA_11use_defaultESK_EENS0_5tupleIJNSA_16discard_iteratorISK_EESO_EEENSM_IJSG_SG_EEES6_PlJS6_EEE10hipError_tPvRmT3_T4_T5_T6_T7_T9_mT8_P12ihipStream_tbDpT10_ENKUlT_T0_E_clISt17integral_constantIbLb1EES1A_IbLb0EEEEDaS16_S17_EUlS16_E_NS1_11comp_targetILNS1_3genE8ELNS1_11target_archE1030ELNS1_3gpuE2ELNS1_3repE0EEENS1_30default_config_static_selectorELNS0_4arch9wavefront6targetE1EEEvT1_
	.globl	_ZN7rocprim17ROCPRIM_400000_NS6detail17trampoline_kernelINS0_14default_configENS1_25partition_config_selectorILNS1_17partition_subalgoE1EiNS0_10empty_typeEbEEZZNS1_14partition_implILS5_1ELb0ES3_jN6thrust23THRUST_200600_302600_NS6detail15normal_iteratorINSA_10device_ptrIiEEEEPS6_NSA_18transform_iteratorI7is_evenIiESF_NSA_11use_defaultESK_EENS0_5tupleIJNSA_16discard_iteratorISK_EESO_EEENSM_IJSG_SG_EEES6_PlJS6_EEE10hipError_tPvRmT3_T4_T5_T6_T7_T9_mT8_P12ihipStream_tbDpT10_ENKUlT_T0_E_clISt17integral_constantIbLb1EES1A_IbLb0EEEEDaS16_S17_EUlS16_E_NS1_11comp_targetILNS1_3genE8ELNS1_11target_archE1030ELNS1_3gpuE2ELNS1_3repE0EEENS1_30default_config_static_selectorELNS0_4arch9wavefront6targetE1EEEvT1_
	.p2align	8
	.type	_ZN7rocprim17ROCPRIM_400000_NS6detail17trampoline_kernelINS0_14default_configENS1_25partition_config_selectorILNS1_17partition_subalgoE1EiNS0_10empty_typeEbEEZZNS1_14partition_implILS5_1ELb0ES3_jN6thrust23THRUST_200600_302600_NS6detail15normal_iteratorINSA_10device_ptrIiEEEEPS6_NSA_18transform_iteratorI7is_evenIiESF_NSA_11use_defaultESK_EENS0_5tupleIJNSA_16discard_iteratorISK_EESO_EEENSM_IJSG_SG_EEES6_PlJS6_EEE10hipError_tPvRmT3_T4_T5_T6_T7_T9_mT8_P12ihipStream_tbDpT10_ENKUlT_T0_E_clISt17integral_constantIbLb1EES1A_IbLb0EEEEDaS16_S17_EUlS16_E_NS1_11comp_targetILNS1_3genE8ELNS1_11target_archE1030ELNS1_3gpuE2ELNS1_3repE0EEENS1_30default_config_static_selectorELNS0_4arch9wavefront6targetE1EEEvT1_,@function
_ZN7rocprim17ROCPRIM_400000_NS6detail17trampoline_kernelINS0_14default_configENS1_25partition_config_selectorILNS1_17partition_subalgoE1EiNS0_10empty_typeEbEEZZNS1_14partition_implILS5_1ELb0ES3_jN6thrust23THRUST_200600_302600_NS6detail15normal_iteratorINSA_10device_ptrIiEEEEPS6_NSA_18transform_iteratorI7is_evenIiESF_NSA_11use_defaultESK_EENS0_5tupleIJNSA_16discard_iteratorISK_EESO_EEENSM_IJSG_SG_EEES6_PlJS6_EEE10hipError_tPvRmT3_T4_T5_T6_T7_T9_mT8_P12ihipStream_tbDpT10_ENKUlT_T0_E_clISt17integral_constantIbLb1EES1A_IbLb0EEEEDaS16_S17_EUlS16_E_NS1_11comp_targetILNS1_3genE8ELNS1_11target_archE1030ELNS1_3gpuE2ELNS1_3repE0EEENS1_30default_config_static_selectorELNS0_4arch9wavefront6targetE1EEEvT1_: ; @_ZN7rocprim17ROCPRIM_400000_NS6detail17trampoline_kernelINS0_14default_configENS1_25partition_config_selectorILNS1_17partition_subalgoE1EiNS0_10empty_typeEbEEZZNS1_14partition_implILS5_1ELb0ES3_jN6thrust23THRUST_200600_302600_NS6detail15normal_iteratorINSA_10device_ptrIiEEEEPS6_NSA_18transform_iteratorI7is_evenIiESF_NSA_11use_defaultESK_EENS0_5tupleIJNSA_16discard_iteratorISK_EESO_EEENSM_IJSG_SG_EEES6_PlJS6_EEE10hipError_tPvRmT3_T4_T5_T6_T7_T9_mT8_P12ihipStream_tbDpT10_ENKUlT_T0_E_clISt17integral_constantIbLb1EES1A_IbLb0EEEEDaS16_S17_EUlS16_E_NS1_11comp_targetILNS1_3genE8ELNS1_11target_archE1030ELNS1_3gpuE2ELNS1_3repE0EEENS1_30default_config_static_selectorELNS0_4arch9wavefront6targetE1EEEvT1_
; %bb.0:
	.section	.rodata,"a",@progbits
	.p2align	6, 0x0
	.amdhsa_kernel _ZN7rocprim17ROCPRIM_400000_NS6detail17trampoline_kernelINS0_14default_configENS1_25partition_config_selectorILNS1_17partition_subalgoE1EiNS0_10empty_typeEbEEZZNS1_14partition_implILS5_1ELb0ES3_jN6thrust23THRUST_200600_302600_NS6detail15normal_iteratorINSA_10device_ptrIiEEEEPS6_NSA_18transform_iteratorI7is_evenIiESF_NSA_11use_defaultESK_EENS0_5tupleIJNSA_16discard_iteratorISK_EESO_EEENSM_IJSG_SG_EEES6_PlJS6_EEE10hipError_tPvRmT3_T4_T5_T6_T7_T9_mT8_P12ihipStream_tbDpT10_ENKUlT_T0_E_clISt17integral_constantIbLb1EES1A_IbLb0EEEEDaS16_S17_EUlS16_E_NS1_11comp_targetILNS1_3genE8ELNS1_11target_archE1030ELNS1_3gpuE2ELNS1_3repE0EEENS1_30default_config_static_selectorELNS0_4arch9wavefront6targetE1EEEvT1_
		.amdhsa_group_segment_fixed_size 0
		.amdhsa_private_segment_fixed_size 0
		.amdhsa_kernarg_size 144
		.amdhsa_user_sgpr_count 6
		.amdhsa_user_sgpr_private_segment_buffer 1
		.amdhsa_user_sgpr_dispatch_ptr 0
		.amdhsa_user_sgpr_queue_ptr 0
		.amdhsa_user_sgpr_kernarg_segment_ptr 1
		.amdhsa_user_sgpr_dispatch_id 0
		.amdhsa_user_sgpr_flat_scratch_init 0
		.amdhsa_user_sgpr_kernarg_preload_length 0
		.amdhsa_user_sgpr_kernarg_preload_offset 0
		.amdhsa_user_sgpr_private_segment_size 0
		.amdhsa_uses_dynamic_stack 0
		.amdhsa_system_sgpr_private_segment_wavefront_offset 0
		.amdhsa_system_sgpr_workgroup_id_x 1
		.amdhsa_system_sgpr_workgroup_id_y 0
		.amdhsa_system_sgpr_workgroup_id_z 0
		.amdhsa_system_sgpr_workgroup_info 0
		.amdhsa_system_vgpr_workitem_id 0
		.amdhsa_next_free_vgpr 1
		.amdhsa_next_free_sgpr 0
		.amdhsa_accum_offset 4
		.amdhsa_reserve_vcc 0
		.amdhsa_reserve_flat_scratch 0
		.amdhsa_float_round_mode_32 0
		.amdhsa_float_round_mode_16_64 0
		.amdhsa_float_denorm_mode_32 3
		.amdhsa_float_denorm_mode_16_64 3
		.amdhsa_dx10_clamp 1
		.amdhsa_ieee_mode 1
		.amdhsa_fp16_overflow 0
		.amdhsa_tg_split 0
		.amdhsa_exception_fp_ieee_invalid_op 0
		.amdhsa_exception_fp_denorm_src 0
		.amdhsa_exception_fp_ieee_div_zero 0
		.amdhsa_exception_fp_ieee_overflow 0
		.amdhsa_exception_fp_ieee_underflow 0
		.amdhsa_exception_fp_ieee_inexact 0
		.amdhsa_exception_int_div_zero 0
	.end_amdhsa_kernel
	.section	.text._ZN7rocprim17ROCPRIM_400000_NS6detail17trampoline_kernelINS0_14default_configENS1_25partition_config_selectorILNS1_17partition_subalgoE1EiNS0_10empty_typeEbEEZZNS1_14partition_implILS5_1ELb0ES3_jN6thrust23THRUST_200600_302600_NS6detail15normal_iteratorINSA_10device_ptrIiEEEEPS6_NSA_18transform_iteratorI7is_evenIiESF_NSA_11use_defaultESK_EENS0_5tupleIJNSA_16discard_iteratorISK_EESO_EEENSM_IJSG_SG_EEES6_PlJS6_EEE10hipError_tPvRmT3_T4_T5_T6_T7_T9_mT8_P12ihipStream_tbDpT10_ENKUlT_T0_E_clISt17integral_constantIbLb1EES1A_IbLb0EEEEDaS16_S17_EUlS16_E_NS1_11comp_targetILNS1_3genE8ELNS1_11target_archE1030ELNS1_3gpuE2ELNS1_3repE0EEENS1_30default_config_static_selectorELNS0_4arch9wavefront6targetE1EEEvT1_,"axG",@progbits,_ZN7rocprim17ROCPRIM_400000_NS6detail17trampoline_kernelINS0_14default_configENS1_25partition_config_selectorILNS1_17partition_subalgoE1EiNS0_10empty_typeEbEEZZNS1_14partition_implILS5_1ELb0ES3_jN6thrust23THRUST_200600_302600_NS6detail15normal_iteratorINSA_10device_ptrIiEEEEPS6_NSA_18transform_iteratorI7is_evenIiESF_NSA_11use_defaultESK_EENS0_5tupleIJNSA_16discard_iteratorISK_EESO_EEENSM_IJSG_SG_EEES6_PlJS6_EEE10hipError_tPvRmT3_T4_T5_T6_T7_T9_mT8_P12ihipStream_tbDpT10_ENKUlT_T0_E_clISt17integral_constantIbLb1EES1A_IbLb0EEEEDaS16_S17_EUlS16_E_NS1_11comp_targetILNS1_3genE8ELNS1_11target_archE1030ELNS1_3gpuE2ELNS1_3repE0EEENS1_30default_config_static_selectorELNS0_4arch9wavefront6targetE1EEEvT1_,comdat
.Lfunc_end3282:
	.size	_ZN7rocprim17ROCPRIM_400000_NS6detail17trampoline_kernelINS0_14default_configENS1_25partition_config_selectorILNS1_17partition_subalgoE1EiNS0_10empty_typeEbEEZZNS1_14partition_implILS5_1ELb0ES3_jN6thrust23THRUST_200600_302600_NS6detail15normal_iteratorINSA_10device_ptrIiEEEEPS6_NSA_18transform_iteratorI7is_evenIiESF_NSA_11use_defaultESK_EENS0_5tupleIJNSA_16discard_iteratorISK_EESO_EEENSM_IJSG_SG_EEES6_PlJS6_EEE10hipError_tPvRmT3_T4_T5_T6_T7_T9_mT8_P12ihipStream_tbDpT10_ENKUlT_T0_E_clISt17integral_constantIbLb1EES1A_IbLb0EEEEDaS16_S17_EUlS16_E_NS1_11comp_targetILNS1_3genE8ELNS1_11target_archE1030ELNS1_3gpuE2ELNS1_3repE0EEENS1_30default_config_static_selectorELNS0_4arch9wavefront6targetE1EEEvT1_, .Lfunc_end3282-_ZN7rocprim17ROCPRIM_400000_NS6detail17trampoline_kernelINS0_14default_configENS1_25partition_config_selectorILNS1_17partition_subalgoE1EiNS0_10empty_typeEbEEZZNS1_14partition_implILS5_1ELb0ES3_jN6thrust23THRUST_200600_302600_NS6detail15normal_iteratorINSA_10device_ptrIiEEEEPS6_NSA_18transform_iteratorI7is_evenIiESF_NSA_11use_defaultESK_EENS0_5tupleIJNSA_16discard_iteratorISK_EESO_EEENSM_IJSG_SG_EEES6_PlJS6_EEE10hipError_tPvRmT3_T4_T5_T6_T7_T9_mT8_P12ihipStream_tbDpT10_ENKUlT_T0_E_clISt17integral_constantIbLb1EES1A_IbLb0EEEEDaS16_S17_EUlS16_E_NS1_11comp_targetILNS1_3genE8ELNS1_11target_archE1030ELNS1_3gpuE2ELNS1_3repE0EEENS1_30default_config_static_selectorELNS0_4arch9wavefront6targetE1EEEvT1_
                                        ; -- End function
	.section	.AMDGPU.csdata,"",@progbits
; Kernel info:
; codeLenInByte = 0
; NumSgprs: 4
; NumVgprs: 0
; NumAgprs: 0
; TotalNumVgprs: 0
; ScratchSize: 0
; MemoryBound: 0
; FloatMode: 240
; IeeeMode: 1
; LDSByteSize: 0 bytes/workgroup (compile time only)
; SGPRBlocks: 0
; VGPRBlocks: 0
; NumSGPRsForWavesPerEU: 4
; NumVGPRsForWavesPerEU: 1
; AccumOffset: 4
; Occupancy: 8
; WaveLimiterHint : 0
; COMPUTE_PGM_RSRC2:SCRATCH_EN: 0
; COMPUTE_PGM_RSRC2:USER_SGPR: 6
; COMPUTE_PGM_RSRC2:TRAP_HANDLER: 0
; COMPUTE_PGM_RSRC2:TGID_X_EN: 1
; COMPUTE_PGM_RSRC2:TGID_Y_EN: 0
; COMPUTE_PGM_RSRC2:TGID_Z_EN: 0
; COMPUTE_PGM_RSRC2:TIDIG_COMP_CNT: 0
; COMPUTE_PGM_RSRC3_GFX90A:ACCUM_OFFSET: 0
; COMPUTE_PGM_RSRC3_GFX90A:TG_SPLIT: 0
	.section	.text._ZN7rocprim17ROCPRIM_400000_NS6detail17trampoline_kernelINS0_14default_configENS1_25partition_config_selectorILNS1_17partition_subalgoE1EiNS0_10empty_typeEbEEZZNS1_14partition_implILS5_1ELb0ES3_jN6thrust23THRUST_200600_302600_NS6detail15normal_iteratorINSA_10device_ptrIiEEEEPS6_NSA_18transform_iteratorI7is_evenIiESF_NSA_11use_defaultESK_EENS0_5tupleIJNSA_16discard_iteratorISK_EESO_EEENSM_IJSG_SG_EEES6_PlJS6_EEE10hipError_tPvRmT3_T4_T5_T6_T7_T9_mT8_P12ihipStream_tbDpT10_ENKUlT_T0_E_clISt17integral_constantIbLb0EES1A_IbLb1EEEEDaS16_S17_EUlS16_E_NS1_11comp_targetILNS1_3genE0ELNS1_11target_archE4294967295ELNS1_3gpuE0ELNS1_3repE0EEENS1_30default_config_static_selectorELNS0_4arch9wavefront6targetE1EEEvT1_,"axG",@progbits,_ZN7rocprim17ROCPRIM_400000_NS6detail17trampoline_kernelINS0_14default_configENS1_25partition_config_selectorILNS1_17partition_subalgoE1EiNS0_10empty_typeEbEEZZNS1_14partition_implILS5_1ELb0ES3_jN6thrust23THRUST_200600_302600_NS6detail15normal_iteratorINSA_10device_ptrIiEEEEPS6_NSA_18transform_iteratorI7is_evenIiESF_NSA_11use_defaultESK_EENS0_5tupleIJNSA_16discard_iteratorISK_EESO_EEENSM_IJSG_SG_EEES6_PlJS6_EEE10hipError_tPvRmT3_T4_T5_T6_T7_T9_mT8_P12ihipStream_tbDpT10_ENKUlT_T0_E_clISt17integral_constantIbLb0EES1A_IbLb1EEEEDaS16_S17_EUlS16_E_NS1_11comp_targetILNS1_3genE0ELNS1_11target_archE4294967295ELNS1_3gpuE0ELNS1_3repE0EEENS1_30default_config_static_selectorELNS0_4arch9wavefront6targetE1EEEvT1_,comdat
	.protected	_ZN7rocprim17ROCPRIM_400000_NS6detail17trampoline_kernelINS0_14default_configENS1_25partition_config_selectorILNS1_17partition_subalgoE1EiNS0_10empty_typeEbEEZZNS1_14partition_implILS5_1ELb0ES3_jN6thrust23THRUST_200600_302600_NS6detail15normal_iteratorINSA_10device_ptrIiEEEEPS6_NSA_18transform_iteratorI7is_evenIiESF_NSA_11use_defaultESK_EENS0_5tupleIJNSA_16discard_iteratorISK_EESO_EEENSM_IJSG_SG_EEES6_PlJS6_EEE10hipError_tPvRmT3_T4_T5_T6_T7_T9_mT8_P12ihipStream_tbDpT10_ENKUlT_T0_E_clISt17integral_constantIbLb0EES1A_IbLb1EEEEDaS16_S17_EUlS16_E_NS1_11comp_targetILNS1_3genE0ELNS1_11target_archE4294967295ELNS1_3gpuE0ELNS1_3repE0EEENS1_30default_config_static_selectorELNS0_4arch9wavefront6targetE1EEEvT1_ ; -- Begin function _ZN7rocprim17ROCPRIM_400000_NS6detail17trampoline_kernelINS0_14default_configENS1_25partition_config_selectorILNS1_17partition_subalgoE1EiNS0_10empty_typeEbEEZZNS1_14partition_implILS5_1ELb0ES3_jN6thrust23THRUST_200600_302600_NS6detail15normal_iteratorINSA_10device_ptrIiEEEEPS6_NSA_18transform_iteratorI7is_evenIiESF_NSA_11use_defaultESK_EENS0_5tupleIJNSA_16discard_iteratorISK_EESO_EEENSM_IJSG_SG_EEES6_PlJS6_EEE10hipError_tPvRmT3_T4_T5_T6_T7_T9_mT8_P12ihipStream_tbDpT10_ENKUlT_T0_E_clISt17integral_constantIbLb0EES1A_IbLb1EEEEDaS16_S17_EUlS16_E_NS1_11comp_targetILNS1_3genE0ELNS1_11target_archE4294967295ELNS1_3gpuE0ELNS1_3repE0EEENS1_30default_config_static_selectorELNS0_4arch9wavefront6targetE1EEEvT1_
	.globl	_ZN7rocprim17ROCPRIM_400000_NS6detail17trampoline_kernelINS0_14default_configENS1_25partition_config_selectorILNS1_17partition_subalgoE1EiNS0_10empty_typeEbEEZZNS1_14partition_implILS5_1ELb0ES3_jN6thrust23THRUST_200600_302600_NS6detail15normal_iteratorINSA_10device_ptrIiEEEEPS6_NSA_18transform_iteratorI7is_evenIiESF_NSA_11use_defaultESK_EENS0_5tupleIJNSA_16discard_iteratorISK_EESO_EEENSM_IJSG_SG_EEES6_PlJS6_EEE10hipError_tPvRmT3_T4_T5_T6_T7_T9_mT8_P12ihipStream_tbDpT10_ENKUlT_T0_E_clISt17integral_constantIbLb0EES1A_IbLb1EEEEDaS16_S17_EUlS16_E_NS1_11comp_targetILNS1_3genE0ELNS1_11target_archE4294967295ELNS1_3gpuE0ELNS1_3repE0EEENS1_30default_config_static_selectorELNS0_4arch9wavefront6targetE1EEEvT1_
	.p2align	8
	.type	_ZN7rocprim17ROCPRIM_400000_NS6detail17trampoline_kernelINS0_14default_configENS1_25partition_config_selectorILNS1_17partition_subalgoE1EiNS0_10empty_typeEbEEZZNS1_14partition_implILS5_1ELb0ES3_jN6thrust23THRUST_200600_302600_NS6detail15normal_iteratorINSA_10device_ptrIiEEEEPS6_NSA_18transform_iteratorI7is_evenIiESF_NSA_11use_defaultESK_EENS0_5tupleIJNSA_16discard_iteratorISK_EESO_EEENSM_IJSG_SG_EEES6_PlJS6_EEE10hipError_tPvRmT3_T4_T5_T6_T7_T9_mT8_P12ihipStream_tbDpT10_ENKUlT_T0_E_clISt17integral_constantIbLb0EES1A_IbLb1EEEEDaS16_S17_EUlS16_E_NS1_11comp_targetILNS1_3genE0ELNS1_11target_archE4294967295ELNS1_3gpuE0ELNS1_3repE0EEENS1_30default_config_static_selectorELNS0_4arch9wavefront6targetE1EEEvT1_,@function
_ZN7rocprim17ROCPRIM_400000_NS6detail17trampoline_kernelINS0_14default_configENS1_25partition_config_selectorILNS1_17partition_subalgoE1EiNS0_10empty_typeEbEEZZNS1_14partition_implILS5_1ELb0ES3_jN6thrust23THRUST_200600_302600_NS6detail15normal_iteratorINSA_10device_ptrIiEEEEPS6_NSA_18transform_iteratorI7is_evenIiESF_NSA_11use_defaultESK_EENS0_5tupleIJNSA_16discard_iteratorISK_EESO_EEENSM_IJSG_SG_EEES6_PlJS6_EEE10hipError_tPvRmT3_T4_T5_T6_T7_T9_mT8_P12ihipStream_tbDpT10_ENKUlT_T0_E_clISt17integral_constantIbLb0EES1A_IbLb1EEEEDaS16_S17_EUlS16_E_NS1_11comp_targetILNS1_3genE0ELNS1_11target_archE4294967295ELNS1_3gpuE0ELNS1_3repE0EEENS1_30default_config_static_selectorELNS0_4arch9wavefront6targetE1EEEvT1_: ; @_ZN7rocprim17ROCPRIM_400000_NS6detail17trampoline_kernelINS0_14default_configENS1_25partition_config_selectorILNS1_17partition_subalgoE1EiNS0_10empty_typeEbEEZZNS1_14partition_implILS5_1ELb0ES3_jN6thrust23THRUST_200600_302600_NS6detail15normal_iteratorINSA_10device_ptrIiEEEEPS6_NSA_18transform_iteratorI7is_evenIiESF_NSA_11use_defaultESK_EENS0_5tupleIJNSA_16discard_iteratorISK_EESO_EEENSM_IJSG_SG_EEES6_PlJS6_EEE10hipError_tPvRmT3_T4_T5_T6_T7_T9_mT8_P12ihipStream_tbDpT10_ENKUlT_T0_E_clISt17integral_constantIbLb0EES1A_IbLb1EEEEDaS16_S17_EUlS16_E_NS1_11comp_targetILNS1_3genE0ELNS1_11target_archE4294967295ELNS1_3gpuE0ELNS1_3repE0EEENS1_30default_config_static_selectorELNS0_4arch9wavefront6targetE1EEEvT1_
; %bb.0:
	.section	.rodata,"a",@progbits
	.p2align	6, 0x0
	.amdhsa_kernel _ZN7rocprim17ROCPRIM_400000_NS6detail17trampoline_kernelINS0_14default_configENS1_25partition_config_selectorILNS1_17partition_subalgoE1EiNS0_10empty_typeEbEEZZNS1_14partition_implILS5_1ELb0ES3_jN6thrust23THRUST_200600_302600_NS6detail15normal_iteratorINSA_10device_ptrIiEEEEPS6_NSA_18transform_iteratorI7is_evenIiESF_NSA_11use_defaultESK_EENS0_5tupleIJNSA_16discard_iteratorISK_EESO_EEENSM_IJSG_SG_EEES6_PlJS6_EEE10hipError_tPvRmT3_T4_T5_T6_T7_T9_mT8_P12ihipStream_tbDpT10_ENKUlT_T0_E_clISt17integral_constantIbLb0EES1A_IbLb1EEEEDaS16_S17_EUlS16_E_NS1_11comp_targetILNS1_3genE0ELNS1_11target_archE4294967295ELNS1_3gpuE0ELNS1_3repE0EEENS1_30default_config_static_selectorELNS0_4arch9wavefront6targetE1EEEvT1_
		.amdhsa_group_segment_fixed_size 0
		.amdhsa_private_segment_fixed_size 0
		.amdhsa_kernarg_size 160
		.amdhsa_user_sgpr_count 6
		.amdhsa_user_sgpr_private_segment_buffer 1
		.amdhsa_user_sgpr_dispatch_ptr 0
		.amdhsa_user_sgpr_queue_ptr 0
		.amdhsa_user_sgpr_kernarg_segment_ptr 1
		.amdhsa_user_sgpr_dispatch_id 0
		.amdhsa_user_sgpr_flat_scratch_init 0
		.amdhsa_user_sgpr_kernarg_preload_length 0
		.amdhsa_user_sgpr_kernarg_preload_offset 0
		.amdhsa_user_sgpr_private_segment_size 0
		.amdhsa_uses_dynamic_stack 0
		.amdhsa_system_sgpr_private_segment_wavefront_offset 0
		.amdhsa_system_sgpr_workgroup_id_x 1
		.amdhsa_system_sgpr_workgroup_id_y 0
		.amdhsa_system_sgpr_workgroup_id_z 0
		.amdhsa_system_sgpr_workgroup_info 0
		.amdhsa_system_vgpr_workitem_id 0
		.amdhsa_next_free_vgpr 1
		.amdhsa_next_free_sgpr 0
		.amdhsa_accum_offset 4
		.amdhsa_reserve_vcc 0
		.amdhsa_reserve_flat_scratch 0
		.amdhsa_float_round_mode_32 0
		.amdhsa_float_round_mode_16_64 0
		.amdhsa_float_denorm_mode_32 3
		.amdhsa_float_denorm_mode_16_64 3
		.amdhsa_dx10_clamp 1
		.amdhsa_ieee_mode 1
		.amdhsa_fp16_overflow 0
		.amdhsa_tg_split 0
		.amdhsa_exception_fp_ieee_invalid_op 0
		.amdhsa_exception_fp_denorm_src 0
		.amdhsa_exception_fp_ieee_div_zero 0
		.amdhsa_exception_fp_ieee_overflow 0
		.amdhsa_exception_fp_ieee_underflow 0
		.amdhsa_exception_fp_ieee_inexact 0
		.amdhsa_exception_int_div_zero 0
	.end_amdhsa_kernel
	.section	.text._ZN7rocprim17ROCPRIM_400000_NS6detail17trampoline_kernelINS0_14default_configENS1_25partition_config_selectorILNS1_17partition_subalgoE1EiNS0_10empty_typeEbEEZZNS1_14partition_implILS5_1ELb0ES3_jN6thrust23THRUST_200600_302600_NS6detail15normal_iteratorINSA_10device_ptrIiEEEEPS6_NSA_18transform_iteratorI7is_evenIiESF_NSA_11use_defaultESK_EENS0_5tupleIJNSA_16discard_iteratorISK_EESO_EEENSM_IJSG_SG_EEES6_PlJS6_EEE10hipError_tPvRmT3_T4_T5_T6_T7_T9_mT8_P12ihipStream_tbDpT10_ENKUlT_T0_E_clISt17integral_constantIbLb0EES1A_IbLb1EEEEDaS16_S17_EUlS16_E_NS1_11comp_targetILNS1_3genE0ELNS1_11target_archE4294967295ELNS1_3gpuE0ELNS1_3repE0EEENS1_30default_config_static_selectorELNS0_4arch9wavefront6targetE1EEEvT1_,"axG",@progbits,_ZN7rocprim17ROCPRIM_400000_NS6detail17trampoline_kernelINS0_14default_configENS1_25partition_config_selectorILNS1_17partition_subalgoE1EiNS0_10empty_typeEbEEZZNS1_14partition_implILS5_1ELb0ES3_jN6thrust23THRUST_200600_302600_NS6detail15normal_iteratorINSA_10device_ptrIiEEEEPS6_NSA_18transform_iteratorI7is_evenIiESF_NSA_11use_defaultESK_EENS0_5tupleIJNSA_16discard_iteratorISK_EESO_EEENSM_IJSG_SG_EEES6_PlJS6_EEE10hipError_tPvRmT3_T4_T5_T6_T7_T9_mT8_P12ihipStream_tbDpT10_ENKUlT_T0_E_clISt17integral_constantIbLb0EES1A_IbLb1EEEEDaS16_S17_EUlS16_E_NS1_11comp_targetILNS1_3genE0ELNS1_11target_archE4294967295ELNS1_3gpuE0ELNS1_3repE0EEENS1_30default_config_static_selectorELNS0_4arch9wavefront6targetE1EEEvT1_,comdat
.Lfunc_end3283:
	.size	_ZN7rocprim17ROCPRIM_400000_NS6detail17trampoline_kernelINS0_14default_configENS1_25partition_config_selectorILNS1_17partition_subalgoE1EiNS0_10empty_typeEbEEZZNS1_14partition_implILS5_1ELb0ES3_jN6thrust23THRUST_200600_302600_NS6detail15normal_iteratorINSA_10device_ptrIiEEEEPS6_NSA_18transform_iteratorI7is_evenIiESF_NSA_11use_defaultESK_EENS0_5tupleIJNSA_16discard_iteratorISK_EESO_EEENSM_IJSG_SG_EEES6_PlJS6_EEE10hipError_tPvRmT3_T4_T5_T6_T7_T9_mT8_P12ihipStream_tbDpT10_ENKUlT_T0_E_clISt17integral_constantIbLb0EES1A_IbLb1EEEEDaS16_S17_EUlS16_E_NS1_11comp_targetILNS1_3genE0ELNS1_11target_archE4294967295ELNS1_3gpuE0ELNS1_3repE0EEENS1_30default_config_static_selectorELNS0_4arch9wavefront6targetE1EEEvT1_, .Lfunc_end3283-_ZN7rocprim17ROCPRIM_400000_NS6detail17trampoline_kernelINS0_14default_configENS1_25partition_config_selectorILNS1_17partition_subalgoE1EiNS0_10empty_typeEbEEZZNS1_14partition_implILS5_1ELb0ES3_jN6thrust23THRUST_200600_302600_NS6detail15normal_iteratorINSA_10device_ptrIiEEEEPS6_NSA_18transform_iteratorI7is_evenIiESF_NSA_11use_defaultESK_EENS0_5tupleIJNSA_16discard_iteratorISK_EESO_EEENSM_IJSG_SG_EEES6_PlJS6_EEE10hipError_tPvRmT3_T4_T5_T6_T7_T9_mT8_P12ihipStream_tbDpT10_ENKUlT_T0_E_clISt17integral_constantIbLb0EES1A_IbLb1EEEEDaS16_S17_EUlS16_E_NS1_11comp_targetILNS1_3genE0ELNS1_11target_archE4294967295ELNS1_3gpuE0ELNS1_3repE0EEENS1_30default_config_static_selectorELNS0_4arch9wavefront6targetE1EEEvT1_
                                        ; -- End function
	.section	.AMDGPU.csdata,"",@progbits
; Kernel info:
; codeLenInByte = 0
; NumSgprs: 4
; NumVgprs: 0
; NumAgprs: 0
; TotalNumVgprs: 0
; ScratchSize: 0
; MemoryBound: 0
; FloatMode: 240
; IeeeMode: 1
; LDSByteSize: 0 bytes/workgroup (compile time only)
; SGPRBlocks: 0
; VGPRBlocks: 0
; NumSGPRsForWavesPerEU: 4
; NumVGPRsForWavesPerEU: 1
; AccumOffset: 4
; Occupancy: 8
; WaveLimiterHint : 0
; COMPUTE_PGM_RSRC2:SCRATCH_EN: 0
; COMPUTE_PGM_RSRC2:USER_SGPR: 6
; COMPUTE_PGM_RSRC2:TRAP_HANDLER: 0
; COMPUTE_PGM_RSRC2:TGID_X_EN: 1
; COMPUTE_PGM_RSRC2:TGID_Y_EN: 0
; COMPUTE_PGM_RSRC2:TGID_Z_EN: 0
; COMPUTE_PGM_RSRC2:TIDIG_COMP_CNT: 0
; COMPUTE_PGM_RSRC3_GFX90A:ACCUM_OFFSET: 0
; COMPUTE_PGM_RSRC3_GFX90A:TG_SPLIT: 0
	.section	.text._ZN7rocprim17ROCPRIM_400000_NS6detail17trampoline_kernelINS0_14default_configENS1_25partition_config_selectorILNS1_17partition_subalgoE1EiNS0_10empty_typeEbEEZZNS1_14partition_implILS5_1ELb0ES3_jN6thrust23THRUST_200600_302600_NS6detail15normal_iteratorINSA_10device_ptrIiEEEEPS6_NSA_18transform_iteratorI7is_evenIiESF_NSA_11use_defaultESK_EENS0_5tupleIJNSA_16discard_iteratorISK_EESO_EEENSM_IJSG_SG_EEES6_PlJS6_EEE10hipError_tPvRmT3_T4_T5_T6_T7_T9_mT8_P12ihipStream_tbDpT10_ENKUlT_T0_E_clISt17integral_constantIbLb0EES1A_IbLb1EEEEDaS16_S17_EUlS16_E_NS1_11comp_targetILNS1_3genE5ELNS1_11target_archE942ELNS1_3gpuE9ELNS1_3repE0EEENS1_30default_config_static_selectorELNS0_4arch9wavefront6targetE1EEEvT1_,"axG",@progbits,_ZN7rocprim17ROCPRIM_400000_NS6detail17trampoline_kernelINS0_14default_configENS1_25partition_config_selectorILNS1_17partition_subalgoE1EiNS0_10empty_typeEbEEZZNS1_14partition_implILS5_1ELb0ES3_jN6thrust23THRUST_200600_302600_NS6detail15normal_iteratorINSA_10device_ptrIiEEEEPS6_NSA_18transform_iteratorI7is_evenIiESF_NSA_11use_defaultESK_EENS0_5tupleIJNSA_16discard_iteratorISK_EESO_EEENSM_IJSG_SG_EEES6_PlJS6_EEE10hipError_tPvRmT3_T4_T5_T6_T7_T9_mT8_P12ihipStream_tbDpT10_ENKUlT_T0_E_clISt17integral_constantIbLb0EES1A_IbLb1EEEEDaS16_S17_EUlS16_E_NS1_11comp_targetILNS1_3genE5ELNS1_11target_archE942ELNS1_3gpuE9ELNS1_3repE0EEENS1_30default_config_static_selectorELNS0_4arch9wavefront6targetE1EEEvT1_,comdat
	.protected	_ZN7rocprim17ROCPRIM_400000_NS6detail17trampoline_kernelINS0_14default_configENS1_25partition_config_selectorILNS1_17partition_subalgoE1EiNS0_10empty_typeEbEEZZNS1_14partition_implILS5_1ELb0ES3_jN6thrust23THRUST_200600_302600_NS6detail15normal_iteratorINSA_10device_ptrIiEEEEPS6_NSA_18transform_iteratorI7is_evenIiESF_NSA_11use_defaultESK_EENS0_5tupleIJNSA_16discard_iteratorISK_EESO_EEENSM_IJSG_SG_EEES6_PlJS6_EEE10hipError_tPvRmT3_T4_T5_T6_T7_T9_mT8_P12ihipStream_tbDpT10_ENKUlT_T0_E_clISt17integral_constantIbLb0EES1A_IbLb1EEEEDaS16_S17_EUlS16_E_NS1_11comp_targetILNS1_3genE5ELNS1_11target_archE942ELNS1_3gpuE9ELNS1_3repE0EEENS1_30default_config_static_selectorELNS0_4arch9wavefront6targetE1EEEvT1_ ; -- Begin function _ZN7rocprim17ROCPRIM_400000_NS6detail17trampoline_kernelINS0_14default_configENS1_25partition_config_selectorILNS1_17partition_subalgoE1EiNS0_10empty_typeEbEEZZNS1_14partition_implILS5_1ELb0ES3_jN6thrust23THRUST_200600_302600_NS6detail15normal_iteratorINSA_10device_ptrIiEEEEPS6_NSA_18transform_iteratorI7is_evenIiESF_NSA_11use_defaultESK_EENS0_5tupleIJNSA_16discard_iteratorISK_EESO_EEENSM_IJSG_SG_EEES6_PlJS6_EEE10hipError_tPvRmT3_T4_T5_T6_T7_T9_mT8_P12ihipStream_tbDpT10_ENKUlT_T0_E_clISt17integral_constantIbLb0EES1A_IbLb1EEEEDaS16_S17_EUlS16_E_NS1_11comp_targetILNS1_3genE5ELNS1_11target_archE942ELNS1_3gpuE9ELNS1_3repE0EEENS1_30default_config_static_selectorELNS0_4arch9wavefront6targetE1EEEvT1_
	.globl	_ZN7rocprim17ROCPRIM_400000_NS6detail17trampoline_kernelINS0_14default_configENS1_25partition_config_selectorILNS1_17partition_subalgoE1EiNS0_10empty_typeEbEEZZNS1_14partition_implILS5_1ELb0ES3_jN6thrust23THRUST_200600_302600_NS6detail15normal_iteratorINSA_10device_ptrIiEEEEPS6_NSA_18transform_iteratorI7is_evenIiESF_NSA_11use_defaultESK_EENS0_5tupleIJNSA_16discard_iteratorISK_EESO_EEENSM_IJSG_SG_EEES6_PlJS6_EEE10hipError_tPvRmT3_T4_T5_T6_T7_T9_mT8_P12ihipStream_tbDpT10_ENKUlT_T0_E_clISt17integral_constantIbLb0EES1A_IbLb1EEEEDaS16_S17_EUlS16_E_NS1_11comp_targetILNS1_3genE5ELNS1_11target_archE942ELNS1_3gpuE9ELNS1_3repE0EEENS1_30default_config_static_selectorELNS0_4arch9wavefront6targetE1EEEvT1_
	.p2align	8
	.type	_ZN7rocprim17ROCPRIM_400000_NS6detail17trampoline_kernelINS0_14default_configENS1_25partition_config_selectorILNS1_17partition_subalgoE1EiNS0_10empty_typeEbEEZZNS1_14partition_implILS5_1ELb0ES3_jN6thrust23THRUST_200600_302600_NS6detail15normal_iteratorINSA_10device_ptrIiEEEEPS6_NSA_18transform_iteratorI7is_evenIiESF_NSA_11use_defaultESK_EENS0_5tupleIJNSA_16discard_iteratorISK_EESO_EEENSM_IJSG_SG_EEES6_PlJS6_EEE10hipError_tPvRmT3_T4_T5_T6_T7_T9_mT8_P12ihipStream_tbDpT10_ENKUlT_T0_E_clISt17integral_constantIbLb0EES1A_IbLb1EEEEDaS16_S17_EUlS16_E_NS1_11comp_targetILNS1_3genE5ELNS1_11target_archE942ELNS1_3gpuE9ELNS1_3repE0EEENS1_30default_config_static_selectorELNS0_4arch9wavefront6targetE1EEEvT1_,@function
_ZN7rocprim17ROCPRIM_400000_NS6detail17trampoline_kernelINS0_14default_configENS1_25partition_config_selectorILNS1_17partition_subalgoE1EiNS0_10empty_typeEbEEZZNS1_14partition_implILS5_1ELb0ES3_jN6thrust23THRUST_200600_302600_NS6detail15normal_iteratorINSA_10device_ptrIiEEEEPS6_NSA_18transform_iteratorI7is_evenIiESF_NSA_11use_defaultESK_EENS0_5tupleIJNSA_16discard_iteratorISK_EESO_EEENSM_IJSG_SG_EEES6_PlJS6_EEE10hipError_tPvRmT3_T4_T5_T6_T7_T9_mT8_P12ihipStream_tbDpT10_ENKUlT_T0_E_clISt17integral_constantIbLb0EES1A_IbLb1EEEEDaS16_S17_EUlS16_E_NS1_11comp_targetILNS1_3genE5ELNS1_11target_archE942ELNS1_3gpuE9ELNS1_3repE0EEENS1_30default_config_static_selectorELNS0_4arch9wavefront6targetE1EEEvT1_: ; @_ZN7rocprim17ROCPRIM_400000_NS6detail17trampoline_kernelINS0_14default_configENS1_25partition_config_selectorILNS1_17partition_subalgoE1EiNS0_10empty_typeEbEEZZNS1_14partition_implILS5_1ELb0ES3_jN6thrust23THRUST_200600_302600_NS6detail15normal_iteratorINSA_10device_ptrIiEEEEPS6_NSA_18transform_iteratorI7is_evenIiESF_NSA_11use_defaultESK_EENS0_5tupleIJNSA_16discard_iteratorISK_EESO_EEENSM_IJSG_SG_EEES6_PlJS6_EEE10hipError_tPvRmT3_T4_T5_T6_T7_T9_mT8_P12ihipStream_tbDpT10_ENKUlT_T0_E_clISt17integral_constantIbLb0EES1A_IbLb1EEEEDaS16_S17_EUlS16_E_NS1_11comp_targetILNS1_3genE5ELNS1_11target_archE942ELNS1_3gpuE9ELNS1_3repE0EEENS1_30default_config_static_selectorELNS0_4arch9wavefront6targetE1EEEvT1_
; %bb.0:
	.section	.rodata,"a",@progbits
	.p2align	6, 0x0
	.amdhsa_kernel _ZN7rocprim17ROCPRIM_400000_NS6detail17trampoline_kernelINS0_14default_configENS1_25partition_config_selectorILNS1_17partition_subalgoE1EiNS0_10empty_typeEbEEZZNS1_14partition_implILS5_1ELb0ES3_jN6thrust23THRUST_200600_302600_NS6detail15normal_iteratorINSA_10device_ptrIiEEEEPS6_NSA_18transform_iteratorI7is_evenIiESF_NSA_11use_defaultESK_EENS0_5tupleIJNSA_16discard_iteratorISK_EESO_EEENSM_IJSG_SG_EEES6_PlJS6_EEE10hipError_tPvRmT3_T4_T5_T6_T7_T9_mT8_P12ihipStream_tbDpT10_ENKUlT_T0_E_clISt17integral_constantIbLb0EES1A_IbLb1EEEEDaS16_S17_EUlS16_E_NS1_11comp_targetILNS1_3genE5ELNS1_11target_archE942ELNS1_3gpuE9ELNS1_3repE0EEENS1_30default_config_static_selectorELNS0_4arch9wavefront6targetE1EEEvT1_
		.amdhsa_group_segment_fixed_size 0
		.amdhsa_private_segment_fixed_size 0
		.amdhsa_kernarg_size 160
		.amdhsa_user_sgpr_count 6
		.amdhsa_user_sgpr_private_segment_buffer 1
		.amdhsa_user_sgpr_dispatch_ptr 0
		.amdhsa_user_sgpr_queue_ptr 0
		.amdhsa_user_sgpr_kernarg_segment_ptr 1
		.amdhsa_user_sgpr_dispatch_id 0
		.amdhsa_user_sgpr_flat_scratch_init 0
		.amdhsa_user_sgpr_kernarg_preload_length 0
		.amdhsa_user_sgpr_kernarg_preload_offset 0
		.amdhsa_user_sgpr_private_segment_size 0
		.amdhsa_uses_dynamic_stack 0
		.amdhsa_system_sgpr_private_segment_wavefront_offset 0
		.amdhsa_system_sgpr_workgroup_id_x 1
		.amdhsa_system_sgpr_workgroup_id_y 0
		.amdhsa_system_sgpr_workgroup_id_z 0
		.amdhsa_system_sgpr_workgroup_info 0
		.amdhsa_system_vgpr_workitem_id 0
		.amdhsa_next_free_vgpr 1
		.amdhsa_next_free_sgpr 0
		.amdhsa_accum_offset 4
		.amdhsa_reserve_vcc 0
		.amdhsa_reserve_flat_scratch 0
		.amdhsa_float_round_mode_32 0
		.amdhsa_float_round_mode_16_64 0
		.amdhsa_float_denorm_mode_32 3
		.amdhsa_float_denorm_mode_16_64 3
		.amdhsa_dx10_clamp 1
		.amdhsa_ieee_mode 1
		.amdhsa_fp16_overflow 0
		.amdhsa_tg_split 0
		.amdhsa_exception_fp_ieee_invalid_op 0
		.amdhsa_exception_fp_denorm_src 0
		.amdhsa_exception_fp_ieee_div_zero 0
		.amdhsa_exception_fp_ieee_overflow 0
		.amdhsa_exception_fp_ieee_underflow 0
		.amdhsa_exception_fp_ieee_inexact 0
		.amdhsa_exception_int_div_zero 0
	.end_amdhsa_kernel
	.section	.text._ZN7rocprim17ROCPRIM_400000_NS6detail17trampoline_kernelINS0_14default_configENS1_25partition_config_selectorILNS1_17partition_subalgoE1EiNS0_10empty_typeEbEEZZNS1_14partition_implILS5_1ELb0ES3_jN6thrust23THRUST_200600_302600_NS6detail15normal_iteratorINSA_10device_ptrIiEEEEPS6_NSA_18transform_iteratorI7is_evenIiESF_NSA_11use_defaultESK_EENS0_5tupleIJNSA_16discard_iteratorISK_EESO_EEENSM_IJSG_SG_EEES6_PlJS6_EEE10hipError_tPvRmT3_T4_T5_T6_T7_T9_mT8_P12ihipStream_tbDpT10_ENKUlT_T0_E_clISt17integral_constantIbLb0EES1A_IbLb1EEEEDaS16_S17_EUlS16_E_NS1_11comp_targetILNS1_3genE5ELNS1_11target_archE942ELNS1_3gpuE9ELNS1_3repE0EEENS1_30default_config_static_selectorELNS0_4arch9wavefront6targetE1EEEvT1_,"axG",@progbits,_ZN7rocprim17ROCPRIM_400000_NS6detail17trampoline_kernelINS0_14default_configENS1_25partition_config_selectorILNS1_17partition_subalgoE1EiNS0_10empty_typeEbEEZZNS1_14partition_implILS5_1ELb0ES3_jN6thrust23THRUST_200600_302600_NS6detail15normal_iteratorINSA_10device_ptrIiEEEEPS6_NSA_18transform_iteratorI7is_evenIiESF_NSA_11use_defaultESK_EENS0_5tupleIJNSA_16discard_iteratorISK_EESO_EEENSM_IJSG_SG_EEES6_PlJS6_EEE10hipError_tPvRmT3_T4_T5_T6_T7_T9_mT8_P12ihipStream_tbDpT10_ENKUlT_T0_E_clISt17integral_constantIbLb0EES1A_IbLb1EEEEDaS16_S17_EUlS16_E_NS1_11comp_targetILNS1_3genE5ELNS1_11target_archE942ELNS1_3gpuE9ELNS1_3repE0EEENS1_30default_config_static_selectorELNS0_4arch9wavefront6targetE1EEEvT1_,comdat
.Lfunc_end3284:
	.size	_ZN7rocprim17ROCPRIM_400000_NS6detail17trampoline_kernelINS0_14default_configENS1_25partition_config_selectorILNS1_17partition_subalgoE1EiNS0_10empty_typeEbEEZZNS1_14partition_implILS5_1ELb0ES3_jN6thrust23THRUST_200600_302600_NS6detail15normal_iteratorINSA_10device_ptrIiEEEEPS6_NSA_18transform_iteratorI7is_evenIiESF_NSA_11use_defaultESK_EENS0_5tupleIJNSA_16discard_iteratorISK_EESO_EEENSM_IJSG_SG_EEES6_PlJS6_EEE10hipError_tPvRmT3_T4_T5_T6_T7_T9_mT8_P12ihipStream_tbDpT10_ENKUlT_T0_E_clISt17integral_constantIbLb0EES1A_IbLb1EEEEDaS16_S17_EUlS16_E_NS1_11comp_targetILNS1_3genE5ELNS1_11target_archE942ELNS1_3gpuE9ELNS1_3repE0EEENS1_30default_config_static_selectorELNS0_4arch9wavefront6targetE1EEEvT1_, .Lfunc_end3284-_ZN7rocprim17ROCPRIM_400000_NS6detail17trampoline_kernelINS0_14default_configENS1_25partition_config_selectorILNS1_17partition_subalgoE1EiNS0_10empty_typeEbEEZZNS1_14partition_implILS5_1ELb0ES3_jN6thrust23THRUST_200600_302600_NS6detail15normal_iteratorINSA_10device_ptrIiEEEEPS6_NSA_18transform_iteratorI7is_evenIiESF_NSA_11use_defaultESK_EENS0_5tupleIJNSA_16discard_iteratorISK_EESO_EEENSM_IJSG_SG_EEES6_PlJS6_EEE10hipError_tPvRmT3_T4_T5_T6_T7_T9_mT8_P12ihipStream_tbDpT10_ENKUlT_T0_E_clISt17integral_constantIbLb0EES1A_IbLb1EEEEDaS16_S17_EUlS16_E_NS1_11comp_targetILNS1_3genE5ELNS1_11target_archE942ELNS1_3gpuE9ELNS1_3repE0EEENS1_30default_config_static_selectorELNS0_4arch9wavefront6targetE1EEEvT1_
                                        ; -- End function
	.section	.AMDGPU.csdata,"",@progbits
; Kernel info:
; codeLenInByte = 0
; NumSgprs: 4
; NumVgprs: 0
; NumAgprs: 0
; TotalNumVgprs: 0
; ScratchSize: 0
; MemoryBound: 0
; FloatMode: 240
; IeeeMode: 1
; LDSByteSize: 0 bytes/workgroup (compile time only)
; SGPRBlocks: 0
; VGPRBlocks: 0
; NumSGPRsForWavesPerEU: 4
; NumVGPRsForWavesPerEU: 1
; AccumOffset: 4
; Occupancy: 8
; WaveLimiterHint : 0
; COMPUTE_PGM_RSRC2:SCRATCH_EN: 0
; COMPUTE_PGM_RSRC2:USER_SGPR: 6
; COMPUTE_PGM_RSRC2:TRAP_HANDLER: 0
; COMPUTE_PGM_RSRC2:TGID_X_EN: 1
; COMPUTE_PGM_RSRC2:TGID_Y_EN: 0
; COMPUTE_PGM_RSRC2:TGID_Z_EN: 0
; COMPUTE_PGM_RSRC2:TIDIG_COMP_CNT: 0
; COMPUTE_PGM_RSRC3_GFX90A:ACCUM_OFFSET: 0
; COMPUTE_PGM_RSRC3_GFX90A:TG_SPLIT: 0
	.section	.text._ZN7rocprim17ROCPRIM_400000_NS6detail17trampoline_kernelINS0_14default_configENS1_25partition_config_selectorILNS1_17partition_subalgoE1EiNS0_10empty_typeEbEEZZNS1_14partition_implILS5_1ELb0ES3_jN6thrust23THRUST_200600_302600_NS6detail15normal_iteratorINSA_10device_ptrIiEEEEPS6_NSA_18transform_iteratorI7is_evenIiESF_NSA_11use_defaultESK_EENS0_5tupleIJNSA_16discard_iteratorISK_EESO_EEENSM_IJSG_SG_EEES6_PlJS6_EEE10hipError_tPvRmT3_T4_T5_T6_T7_T9_mT8_P12ihipStream_tbDpT10_ENKUlT_T0_E_clISt17integral_constantIbLb0EES1A_IbLb1EEEEDaS16_S17_EUlS16_E_NS1_11comp_targetILNS1_3genE4ELNS1_11target_archE910ELNS1_3gpuE8ELNS1_3repE0EEENS1_30default_config_static_selectorELNS0_4arch9wavefront6targetE1EEEvT1_,"axG",@progbits,_ZN7rocprim17ROCPRIM_400000_NS6detail17trampoline_kernelINS0_14default_configENS1_25partition_config_selectorILNS1_17partition_subalgoE1EiNS0_10empty_typeEbEEZZNS1_14partition_implILS5_1ELb0ES3_jN6thrust23THRUST_200600_302600_NS6detail15normal_iteratorINSA_10device_ptrIiEEEEPS6_NSA_18transform_iteratorI7is_evenIiESF_NSA_11use_defaultESK_EENS0_5tupleIJNSA_16discard_iteratorISK_EESO_EEENSM_IJSG_SG_EEES6_PlJS6_EEE10hipError_tPvRmT3_T4_T5_T6_T7_T9_mT8_P12ihipStream_tbDpT10_ENKUlT_T0_E_clISt17integral_constantIbLb0EES1A_IbLb1EEEEDaS16_S17_EUlS16_E_NS1_11comp_targetILNS1_3genE4ELNS1_11target_archE910ELNS1_3gpuE8ELNS1_3repE0EEENS1_30default_config_static_selectorELNS0_4arch9wavefront6targetE1EEEvT1_,comdat
	.protected	_ZN7rocprim17ROCPRIM_400000_NS6detail17trampoline_kernelINS0_14default_configENS1_25partition_config_selectorILNS1_17partition_subalgoE1EiNS0_10empty_typeEbEEZZNS1_14partition_implILS5_1ELb0ES3_jN6thrust23THRUST_200600_302600_NS6detail15normal_iteratorINSA_10device_ptrIiEEEEPS6_NSA_18transform_iteratorI7is_evenIiESF_NSA_11use_defaultESK_EENS0_5tupleIJNSA_16discard_iteratorISK_EESO_EEENSM_IJSG_SG_EEES6_PlJS6_EEE10hipError_tPvRmT3_T4_T5_T6_T7_T9_mT8_P12ihipStream_tbDpT10_ENKUlT_T0_E_clISt17integral_constantIbLb0EES1A_IbLb1EEEEDaS16_S17_EUlS16_E_NS1_11comp_targetILNS1_3genE4ELNS1_11target_archE910ELNS1_3gpuE8ELNS1_3repE0EEENS1_30default_config_static_selectorELNS0_4arch9wavefront6targetE1EEEvT1_ ; -- Begin function _ZN7rocprim17ROCPRIM_400000_NS6detail17trampoline_kernelINS0_14default_configENS1_25partition_config_selectorILNS1_17partition_subalgoE1EiNS0_10empty_typeEbEEZZNS1_14partition_implILS5_1ELb0ES3_jN6thrust23THRUST_200600_302600_NS6detail15normal_iteratorINSA_10device_ptrIiEEEEPS6_NSA_18transform_iteratorI7is_evenIiESF_NSA_11use_defaultESK_EENS0_5tupleIJNSA_16discard_iteratorISK_EESO_EEENSM_IJSG_SG_EEES6_PlJS6_EEE10hipError_tPvRmT3_T4_T5_T6_T7_T9_mT8_P12ihipStream_tbDpT10_ENKUlT_T0_E_clISt17integral_constantIbLb0EES1A_IbLb1EEEEDaS16_S17_EUlS16_E_NS1_11comp_targetILNS1_3genE4ELNS1_11target_archE910ELNS1_3gpuE8ELNS1_3repE0EEENS1_30default_config_static_selectorELNS0_4arch9wavefront6targetE1EEEvT1_
	.globl	_ZN7rocprim17ROCPRIM_400000_NS6detail17trampoline_kernelINS0_14default_configENS1_25partition_config_selectorILNS1_17partition_subalgoE1EiNS0_10empty_typeEbEEZZNS1_14partition_implILS5_1ELb0ES3_jN6thrust23THRUST_200600_302600_NS6detail15normal_iteratorINSA_10device_ptrIiEEEEPS6_NSA_18transform_iteratorI7is_evenIiESF_NSA_11use_defaultESK_EENS0_5tupleIJNSA_16discard_iteratorISK_EESO_EEENSM_IJSG_SG_EEES6_PlJS6_EEE10hipError_tPvRmT3_T4_T5_T6_T7_T9_mT8_P12ihipStream_tbDpT10_ENKUlT_T0_E_clISt17integral_constantIbLb0EES1A_IbLb1EEEEDaS16_S17_EUlS16_E_NS1_11comp_targetILNS1_3genE4ELNS1_11target_archE910ELNS1_3gpuE8ELNS1_3repE0EEENS1_30default_config_static_selectorELNS0_4arch9wavefront6targetE1EEEvT1_
	.p2align	8
	.type	_ZN7rocprim17ROCPRIM_400000_NS6detail17trampoline_kernelINS0_14default_configENS1_25partition_config_selectorILNS1_17partition_subalgoE1EiNS0_10empty_typeEbEEZZNS1_14partition_implILS5_1ELb0ES3_jN6thrust23THRUST_200600_302600_NS6detail15normal_iteratorINSA_10device_ptrIiEEEEPS6_NSA_18transform_iteratorI7is_evenIiESF_NSA_11use_defaultESK_EENS0_5tupleIJNSA_16discard_iteratorISK_EESO_EEENSM_IJSG_SG_EEES6_PlJS6_EEE10hipError_tPvRmT3_T4_T5_T6_T7_T9_mT8_P12ihipStream_tbDpT10_ENKUlT_T0_E_clISt17integral_constantIbLb0EES1A_IbLb1EEEEDaS16_S17_EUlS16_E_NS1_11comp_targetILNS1_3genE4ELNS1_11target_archE910ELNS1_3gpuE8ELNS1_3repE0EEENS1_30default_config_static_selectorELNS0_4arch9wavefront6targetE1EEEvT1_,@function
_ZN7rocprim17ROCPRIM_400000_NS6detail17trampoline_kernelINS0_14default_configENS1_25partition_config_selectorILNS1_17partition_subalgoE1EiNS0_10empty_typeEbEEZZNS1_14partition_implILS5_1ELb0ES3_jN6thrust23THRUST_200600_302600_NS6detail15normal_iteratorINSA_10device_ptrIiEEEEPS6_NSA_18transform_iteratorI7is_evenIiESF_NSA_11use_defaultESK_EENS0_5tupleIJNSA_16discard_iteratorISK_EESO_EEENSM_IJSG_SG_EEES6_PlJS6_EEE10hipError_tPvRmT3_T4_T5_T6_T7_T9_mT8_P12ihipStream_tbDpT10_ENKUlT_T0_E_clISt17integral_constantIbLb0EES1A_IbLb1EEEEDaS16_S17_EUlS16_E_NS1_11comp_targetILNS1_3genE4ELNS1_11target_archE910ELNS1_3gpuE8ELNS1_3repE0EEENS1_30default_config_static_selectorELNS0_4arch9wavefront6targetE1EEEvT1_: ; @_ZN7rocprim17ROCPRIM_400000_NS6detail17trampoline_kernelINS0_14default_configENS1_25partition_config_selectorILNS1_17partition_subalgoE1EiNS0_10empty_typeEbEEZZNS1_14partition_implILS5_1ELb0ES3_jN6thrust23THRUST_200600_302600_NS6detail15normal_iteratorINSA_10device_ptrIiEEEEPS6_NSA_18transform_iteratorI7is_evenIiESF_NSA_11use_defaultESK_EENS0_5tupleIJNSA_16discard_iteratorISK_EESO_EEENSM_IJSG_SG_EEES6_PlJS6_EEE10hipError_tPvRmT3_T4_T5_T6_T7_T9_mT8_P12ihipStream_tbDpT10_ENKUlT_T0_E_clISt17integral_constantIbLb0EES1A_IbLb1EEEEDaS16_S17_EUlS16_E_NS1_11comp_targetILNS1_3genE4ELNS1_11target_archE910ELNS1_3gpuE8ELNS1_3repE0EEENS1_30default_config_static_selectorELNS0_4arch9wavefront6targetE1EEEvT1_
; %bb.0:
	s_load_dwordx2 s[6:7], s[4:5], 0x20
	s_load_dwordx4 s[20:23], s[4:5], 0x60
	s_load_dwordx2 s[2:3], s[4:5], 0x70
	s_load_dwordx2 s[24:25], s[4:5], 0x80
	v_cmp_eq_u32_e64 s[0:1], 0, v0
	s_and_saveexec_b64 s[8:9], s[0:1]
	s_cbranch_execz .LBB3285_4
; %bb.1:
	s_mov_b64 s[12:13], exec
	v_mbcnt_lo_u32_b32 v1, s12, 0
	v_mbcnt_hi_u32_b32 v1, s13, v1
	v_cmp_eq_u32_e32 vcc, 0, v1
                                        ; implicit-def: $vgpr2
	s_and_saveexec_b64 s[10:11], vcc
	s_cbranch_execz .LBB3285_3
; %bb.2:
	s_load_dwordx2 s[14:15], s[4:5], 0x90
	s_bcnt1_i32_b64 s12, s[12:13]
	v_mov_b32_e32 v2, 0
	v_mov_b32_e32 v3, s12
	s_waitcnt lgkmcnt(0)
	global_atomic_add v2, v2, v3, s[14:15] glc
.LBB3285_3:
	s_or_b64 exec, exec, s[10:11]
	s_waitcnt vmcnt(0)
	v_readfirstlane_b32 s10, v2
	v_add_u32_e32 v1, s10, v1
	v_mov_b32_e32 v2, 0
	ds_write_b32 v2, v1
.LBB3285_4:
	s_or_b64 exec, exec, s[8:9]
	v_mov_b32_e32 v1, 0
	s_load_dwordx4 s[8:11], s[4:5], 0x8
	s_load_dword s12, s[4:5], 0x88
	s_waitcnt lgkmcnt(0)
	s_barrier
	ds_read_b32 v4, v1
	s_waitcnt lgkmcnt(0)
	s_barrier
	global_load_dwordx2 v[10:11], v1, s[22:23]
	s_lshl_b64 s[4:5], s[10:11], 2
	v_mov_b32_e32 v3, s3
	s_add_u32 s13, s8, s4
	s_mul_i32 s3, s12, 0x700
	s_addc_u32 s22, s9, s5
	s_add_i32 s9, s3, s10
	s_sub_i32 s14, s2, s9
	s_add_i32 s8, s12, -1
	s_addk_i32 s14, 0x700
	v_mov_b32_e32 v2, s2
	s_add_u32 s2, s10, s3
	v_readfirstlane_b32 s30, v4
	s_addc_u32 s3, s11, 0
	s_cmp_eq_u32 s30, s8
	s_cselect_b64 s[18:19], -1, 0
	s_cmp_lg_u32 s30, s8
	s_mul_i32 s16, s30, 0x700
	s_mov_b32 s17, 0
	v_cmp_lt_u64_e32 vcc, s[2:3], v[2:3]
	s_cselect_b64 s[2:3], -1, 0
	s_or_b64 s[8:9], vcc, s[2:3]
	s_lshl_b64 s[10:11], s[16:17], 2
	s_add_u32 s15, s13, s10
	s_addc_u32 s16, s22, s11
	s_mov_b64 s[2:3], -1
	s_and_b64 vcc, exec, s[8:9]
	s_cbranch_vccz .LBB3285_6
; %bb.5:
	v_lshlrev_b32_e32 v1, 2, v0
	v_mov_b32_e32 v3, s16
	v_add_co_u32_e32 v2, vcc, s15, v1
	v_addc_co_u32_e32 v3, vcc, 0, v3, vcc
	v_add_co_u32_e32 v4, vcc, 0x1000, v2
	v_addc_co_u32_e32 v5, vcc, 0, v3, vcc
	flat_load_dword v6, v[2:3]
	flat_load_dword v7, v[2:3] offset:1024
	flat_load_dword v8, v[2:3] offset:2048
	flat_load_dword v9, v[2:3] offset:3072
	flat_load_dword v12, v[4:5]
	flat_load_dword v13, v[4:5] offset:1024
	flat_load_dword v14, v[4:5] offset:2048
	s_mov_b64 s[2:3], 0
	s_waitcnt vmcnt(0) lgkmcnt(0)
	ds_write2st64_b32 v1, v6, v7 offset1:4
	ds_write2st64_b32 v1, v8, v9 offset0:8 offset1:12
	ds_write2st64_b32 v1, v12, v13 offset0:16 offset1:20
	ds_write_b32 v1, v14 offset:6144
	s_waitcnt lgkmcnt(0)
	s_barrier
.LBB3285_6:
	s_andn2_b64 vcc, exec, s[2:3]
	v_cmp_gt_u32_e64 s[2:3], s14, v0
	s_cbranch_vccnz .LBB3285_22
; %bb.7:
                                        ; implicit-def: $vgpr2_vgpr3_vgpr4_vgpr5_vgpr6_vgpr7_vgpr8
	s_and_saveexec_b64 s[12:13], s[2:3]
	s_cbranch_execz .LBB3285_9
; %bb.8:
	v_lshlrev_b32_e32 v1, 2, v0
	v_mov_b32_e32 v3, s16
	v_add_co_u32_e32 v2, vcc, s15, v1
	v_addc_co_u32_e32 v3, vcc, 0, v3, vcc
	flat_load_dword v2, v[2:3]
.LBB3285_9:
	s_or_b64 exec, exec, s[12:13]
	v_or_b32_e32 v1, 0x100, v0
	v_cmp_gt_u32_e32 vcc, s14, v1
	s_and_saveexec_b64 s[2:3], vcc
	s_cbranch_execz .LBB3285_11
; %bb.10:
	v_lshlrev_b32_e32 v1, 2, v0
	v_mov_b32_e32 v3, s16
	v_add_co_u32_e32 v12, vcc, s15, v1
	v_addc_co_u32_e32 v13, vcc, 0, v3, vcc
	flat_load_dword v3, v[12:13] offset:1024
.LBB3285_11:
	s_or_b64 exec, exec, s[2:3]
	v_or_b32_e32 v1, 0x200, v0
	v_cmp_gt_u32_e32 vcc, s14, v1
	s_and_saveexec_b64 s[2:3], vcc
	s_cbranch_execz .LBB3285_13
; %bb.12:
	v_lshlrev_b32_e32 v1, 2, v0
	v_mov_b32_e32 v4, s16
	v_add_co_u32_e32 v12, vcc, s15, v1
	v_addc_co_u32_e32 v13, vcc, 0, v4, vcc
	flat_load_dword v4, v[12:13] offset:2048
.LBB3285_13:
	;; [unrolled: 12-line block ×3, first 2 shown]
	s_or_b64 exec, exec, s[2:3]
	v_or_b32_e32 v1, 0x400, v0
	v_cmp_gt_u32_e32 vcc, s14, v1
	s_and_saveexec_b64 s[2:3], vcc
	s_cbranch_execz .LBB3285_17
; %bb.16:
	v_lshlrev_b32_e32 v1, 2, v1
	v_mov_b32_e32 v6, s16
	v_add_co_u32_e32 v12, vcc, s15, v1
	v_addc_co_u32_e32 v13, vcc, 0, v6, vcc
	flat_load_dword v6, v[12:13]
.LBB3285_17:
	s_or_b64 exec, exec, s[2:3]
	v_or_b32_e32 v1, 0x500, v0
	v_cmp_gt_u32_e32 vcc, s14, v1
	s_and_saveexec_b64 s[2:3], vcc
	s_cbranch_execz .LBB3285_19
; %bb.18:
	v_lshlrev_b32_e32 v1, 2, v1
	v_mov_b32_e32 v7, s16
	v_add_co_u32_e32 v12, vcc, s15, v1
	v_addc_co_u32_e32 v13, vcc, 0, v7, vcc
	flat_load_dword v7, v[12:13]
.LBB3285_19:
	;; [unrolled: 12-line block ×3, first 2 shown]
	s_or_b64 exec, exec, s[2:3]
	v_lshlrev_b32_e32 v1, 2, v0
	s_waitcnt vmcnt(0) lgkmcnt(0)
	ds_write2st64_b32 v1, v2, v3 offset1:4
	ds_write2st64_b32 v1, v4, v5 offset0:8 offset1:12
	ds_write2st64_b32 v1, v6, v7 offset0:16 offset1:20
	ds_write_b32 v1, v8 offset:6144
	s_waitcnt lgkmcnt(0)
	s_barrier
.LBB3285_22:
	v_mul_u32_u24_e32 v20, 7, v0
	v_lshlrev_b32_e32 v8, 2, v20
	ds_read2_b32 v[6:7], v8 offset1:1
	ds_read2_b32 v[4:5], v8 offset0:2 offset1:3
	ds_read2_b32 v[2:3], v8 offset0:4 offset1:5
	ds_read_b32 v1, v8 offset:24
	s_add_u32 s2, s6, s4
	s_addc_u32 s3, s7, s5
	s_add_u32 s2, s2, s10
	s_addc_u32 s3, s3, s11
	s_mov_b64 s[4:5], -1
	s_and_b64 vcc, exec, s[8:9]
	s_waitcnt lgkmcnt(0)
	s_barrier
	s_cbranch_vccz .LBB3285_24
; %bb.23:
	v_lshlrev_b32_e32 v9, 2, v0
	v_mov_b32_e32 v12, s3
	v_add_co_u32_e32 v13, vcc, s2, v9
	v_addc_co_u32_e32 v14, vcc, 0, v12, vcc
	s_movk_i32 s4, 0x1000
	v_add_co_u32_e32 v12, vcc, s4, v13
	v_addc_co_u32_e32 v13, vcc, 0, v14, vcc
	global_load_dword v15, v9, s[2:3]
	global_load_dword v16, v9, s[2:3] offset:1024
	global_load_dword v17, v9, s[2:3] offset:2048
	;; [unrolled: 1-line block ×3, first 2 shown]
	s_nop 0
	global_load_dword v9, v[12:13], off
	global_load_dword v14, v[12:13], off offset:1024
	global_load_dword v19, v[12:13], off offset:2048
	s_mov_b64 s[4:5], 0
	s_waitcnt vmcnt(6)
	v_xor_b32_e32 v12, -1, v15
	s_waitcnt vmcnt(5)
	v_xor_b32_e32 v13, -1, v16
	;; [unrolled: 2-line block ×3, first 2 shown]
	v_xor_b32_e32 v15, -1, v17
	v_xor_b32_e32 v16, -1, v18
	v_and_b32_e32 v12, 1, v12
	v_and_b32_e32 v13, 1, v13
	s_waitcnt vmcnt(1)
	v_xor_b32_e32 v14, -1, v14
	s_waitcnt vmcnt(0)
	v_xor_b32_e32 v17, -1, v19
	v_and_b32_e32 v9, 1, v9
	v_and_b32_e32 v15, 1, v15
	;; [unrolled: 1-line block ×3, first 2 shown]
	ds_write_b8 v0, v12
	ds_write_b8 v0, v13 offset:256
	ds_write_b8 v0, v15 offset:512
	;; [unrolled: 1-line block ×3, first 2 shown]
	v_and_b32_e32 v12, 1, v14
	v_and_b32_e32 v13, 1, v17
	ds_write_b8 v0, v9 offset:1024
	ds_write_b8 v0, v12 offset:1280
	;; [unrolled: 1-line block ×3, first 2 shown]
	s_waitcnt lgkmcnt(0)
	s_barrier
.LBB3285_24:
	s_andn2_b64 vcc, exec, s[4:5]
	s_cbranch_vccnz .LBB3285_40
; %bb.25:
	v_cmp_gt_u32_e32 vcc, s14, v0
	v_mov_b32_e32 v9, 0
	v_mov_b32_e32 v12, 0
	s_and_saveexec_b64 s[4:5], vcc
	s_cbranch_execz .LBB3285_27
; %bb.26:
	v_lshlrev_b32_e32 v12, 2, v0
	global_load_dword v12, v12, s[2:3]
	s_waitcnt vmcnt(0)
	v_xor_b32_e32 v12, -1, v12
	v_and_b32_e32 v12, 1, v12
.LBB3285_27:
	s_or_b64 exec, exec, s[4:5]
	v_or_b32_e32 v13, 0x100, v0
	v_cmp_gt_u32_e32 vcc, s14, v13
	s_and_saveexec_b64 s[4:5], vcc
	s_cbranch_execz .LBB3285_29
; %bb.28:
	v_lshlrev_b32_e32 v9, 2, v0
	global_load_dword v9, v9, s[2:3] offset:1024
	s_waitcnt vmcnt(0)
	v_xor_b32_e32 v9, -1, v9
	v_and_b32_e32 v9, 1, v9
.LBB3285_29:
	s_or_b64 exec, exec, s[4:5]
	v_or_b32_e32 v13, 0x200, v0
	v_cmp_gt_u32_e32 vcc, s14, v13
	v_mov_b32_e32 v13, 0
	v_mov_b32_e32 v14, 0
	s_and_saveexec_b64 s[4:5], vcc
	s_cbranch_execz .LBB3285_31
; %bb.30:
	v_lshlrev_b32_e32 v14, 2, v0
	global_load_dword v14, v14, s[2:3] offset:2048
	s_waitcnt vmcnt(0)
	v_xor_b32_e32 v14, -1, v14
	v_and_b32_e32 v14, 1, v14
.LBB3285_31:
	s_or_b64 exec, exec, s[4:5]
	v_or_b32_e32 v15, 0x300, v0
	v_cmp_gt_u32_e32 vcc, s14, v15
	s_and_saveexec_b64 s[4:5], vcc
	s_cbranch_execz .LBB3285_33
; %bb.32:
	v_lshlrev_b32_e32 v13, 2, v0
	global_load_dword v13, v13, s[2:3] offset:3072
	s_waitcnt vmcnt(0)
	v_xor_b32_e32 v13, -1, v13
	v_and_b32_e32 v13, 1, v13
.LBB3285_33:
	s_or_b64 exec, exec, s[4:5]
	v_or_b32_e32 v17, 0x400, v0
	v_cmp_gt_u32_e32 vcc, s14, v17
	v_mov_b32_e32 v15, 0
	v_mov_b32_e32 v16, 0
	s_and_saveexec_b64 s[4:5], vcc
	s_cbranch_execz .LBB3285_35
; %bb.34:
	v_lshlrev_b32_e32 v16, 2, v17
	global_load_dword v16, v16, s[2:3]
	s_waitcnt vmcnt(0)
	v_xor_b32_e32 v16, -1, v16
	v_and_b32_e32 v16, 1, v16
.LBB3285_35:
	s_or_b64 exec, exec, s[4:5]
	v_or_b32_e32 v17, 0x500, v0
	v_cmp_gt_u32_e32 vcc, s14, v17
	s_and_saveexec_b64 s[4:5], vcc
	s_cbranch_execz .LBB3285_37
; %bb.36:
	v_lshlrev_b32_e32 v15, 2, v17
	global_load_dword v15, v15, s[2:3]
	s_waitcnt vmcnt(0)
	v_xor_b32_e32 v15, -1, v15
	v_and_b32_e32 v15, 1, v15
.LBB3285_37:
	s_or_b64 exec, exec, s[4:5]
	v_or_b32_e32 v18, 0x600, v0
	v_cmp_gt_u32_e32 vcc, s14, v18
	v_mov_b32_e32 v17, 0
	s_and_saveexec_b64 s[4:5], vcc
	s_cbranch_execz .LBB3285_39
; %bb.38:
	v_lshlrev_b32_e32 v17, 2, v18
	global_load_dword v17, v17, s[2:3]
	s_waitcnt vmcnt(0)
	v_xor_b32_e32 v17, -1, v17
	v_and_b32_e32 v17, 1, v17
.LBB3285_39:
	s_or_b64 exec, exec, s[4:5]
	ds_write_b8 v0, v12
	ds_write_b8 v0, v9 offset:256
	ds_write_b8 v0, v14 offset:512
	;; [unrolled: 1-line block ×6, first 2 shown]
	s_waitcnt lgkmcnt(0)
	s_barrier
.LBB3285_40:
	s_movk_i32 s2, 0xffeb
	v_mad_i32_i24 v29, v0, s2, v8
	ds_read_u8 v8, v29
	ds_read_u8 v9, v29 offset:1
	ds_read_u8 v12, v29 offset:2
	;; [unrolled: 1-line block ×6, first 2 shown]
	s_waitcnt lgkmcnt(6)
	v_and_b32_e32 v27, 1, v8
	s_waitcnt lgkmcnt(5)
	v_and_b32_e32 v26, 1, v9
	s_waitcnt lgkmcnt(4)
	v_and_b32_e32 v25, 1, v12
	s_waitcnt lgkmcnt(3)
	v_and_b32_e32 v24, 1, v13
	s_waitcnt lgkmcnt(2)
	v_and_b32_e32 v23, 1, v14
	v_add3_u32 v8, v26, v27, v25
	s_waitcnt lgkmcnt(1)
	v_and_b32_e32 v22, 1, v15
	s_waitcnt lgkmcnt(0)
	v_and_b32_e32 v21, 1, v16
	v_add3_u32 v8, v8, v24, v23
	v_add3_u32 v31, v8, v22, v21
	v_mbcnt_lo_u32_b32 v8, -1, 0
	v_mbcnt_hi_u32_b32 v28, -1, v8
	v_and_b32_e32 v8, 15, v28
	v_cmp_eq_u32_e64 s[14:15], 0, v8
	v_cmp_lt_u32_e64 s[12:13], 1, v8
	v_cmp_lt_u32_e64 s[10:11], 3, v8
	;; [unrolled: 1-line block ×3, first 2 shown]
	v_and_b32_e32 v8, 16, v28
	v_cmp_eq_u32_e64 s[6:7], 0, v8
	v_or_b32_e32 v8, 63, v0
	s_cmp_lg_u32 s30, 0
	v_cmp_lt_u32_e64 s[2:3], 31, v28
	v_lshrrev_b32_e32 v30, 6, v0
	v_cmp_eq_u32_e64 s[4:5], v8, v0
	s_barrier
	s_cbranch_scc0 .LBB3285_67
; %bb.41:
	v_mov_b32_dpp v8, v31 row_shr:1 row_mask:0xf bank_mask:0xf
	v_cndmask_b32_e64 v8, v8, 0, s[14:15]
	v_add_u32_e32 v8, v8, v31
	s_nop 1
	v_mov_b32_dpp v9, v8 row_shr:2 row_mask:0xf bank_mask:0xf
	v_cndmask_b32_e64 v9, 0, v9, s[12:13]
	v_add_u32_e32 v8, v8, v9
	s_nop 1
	;; [unrolled: 4-line block ×4, first 2 shown]
	v_mov_b32_dpp v9, v8 row_bcast:15 row_mask:0xf bank_mask:0xf
	v_cndmask_b32_e64 v9, v9, 0, s[6:7]
	v_add_u32_e32 v8, v8, v9
	s_nop 1
	v_mov_b32_dpp v9, v8 row_bcast:31 row_mask:0xf bank_mask:0xf
	v_cndmask_b32_e64 v9, 0, v9, s[2:3]
	v_add_u32_e32 v8, v8, v9
	s_and_saveexec_b64 s[16:17], s[4:5]
	s_cbranch_execz .LBB3285_43
; %bb.42:
	v_lshlrev_b32_e32 v9, 2, v30
	ds_write_b32 v9, v8
.LBB3285_43:
	s_or_b64 exec, exec, s[16:17]
	v_cmp_gt_u32_e32 vcc, 4, v0
	s_waitcnt lgkmcnt(0)
	s_barrier
	s_and_saveexec_b64 s[16:17], vcc
	s_cbranch_execz .LBB3285_45
; %bb.44:
	v_lshlrev_b32_e32 v9, 2, v0
	ds_read_b32 v12, v9
	v_and_b32_e32 v13, 3, v28
	v_cmp_ne_u32_e32 vcc, 0, v13
	s_waitcnt lgkmcnt(0)
	v_mov_b32_dpp v14, v12 row_shr:1 row_mask:0xf bank_mask:0xf
	v_cndmask_b32_e32 v14, 0, v14, vcc
	v_add_u32_e32 v12, v14, v12
	v_cmp_lt_u32_e32 vcc, 1, v13
	s_nop 0
	v_mov_b32_dpp v14, v12 row_shr:2 row_mask:0xf bank_mask:0xf
	v_cndmask_b32_e32 v13, 0, v14, vcc
	v_add_u32_e32 v12, v12, v13
	ds_write_b32 v9, v12
.LBB3285_45:
	s_or_b64 exec, exec, s[16:17]
	v_cmp_gt_u32_e32 vcc, 64, v0
	v_cmp_lt_u32_e64 s[16:17], 63, v0
	s_waitcnt lgkmcnt(0)
	s_barrier
	s_waitcnt lgkmcnt(0)
                                        ; implicit-def: $vgpr32
	s_and_saveexec_b64 s[22:23], s[16:17]
	s_cbranch_execz .LBB3285_47
; %bb.46:
	v_lshl_add_u32 v9, v30, 2, -4
	ds_read_b32 v32, v9
	s_waitcnt lgkmcnt(0)
	v_add_u32_e32 v8, v32, v8
.LBB3285_47:
	s_or_b64 exec, exec, s[22:23]
	v_add_u32_e32 v9, -1, v28
	v_and_b32_e32 v12, 64, v28
	v_cmp_lt_i32_e64 s[16:17], v9, v12
	v_cndmask_b32_e64 v9, v9, v28, s[16:17]
	v_lshlrev_b32_e32 v9, 2, v9
	ds_bpermute_b32 v33, v9, v8
	v_cmp_eq_u32_e64 s[16:17], 0, v28
	s_and_saveexec_b64 s[22:23], vcc
	s_cbranch_execz .LBB3285_66
; %bb.48:
	v_mov_b32_e32 v17, 0
	ds_read_b32 v8, v17 offset:12
	s_and_saveexec_b64 s[26:27], s[16:17]
	s_cbranch_execz .LBB3285_50
; %bb.49:
	s_add_i32 s28, s30, 64
	s_mov_b32 s29, 0
	s_lshl_b64 s[28:29], s[28:29], 3
	s_add_u32 s28, s24, s28
	v_mov_b32_e32 v9, 1
	s_addc_u32 s29, s25, s29
	s_waitcnt lgkmcnt(0)
	global_store_dwordx2 v17, v[8:9], s[28:29]
.LBB3285_50:
	s_or_b64 exec, exec, s[26:27]
	v_xad_u32 v12, v28, -1, s30
	v_add_u32_e32 v16, 64, v12
	v_lshlrev_b64 v[14:15], 3, v[16:17]
	v_mov_b32_e32 v9, s25
	v_add_co_u32_e32 v18, vcc, s24, v14
	v_addc_co_u32_e32 v19, vcc, v9, v15, vcc
	global_load_dwordx2 v[14:15], v[18:19], off glc
	s_waitcnt vmcnt(0)
	v_cmp_eq_u16_sdwa s[28:29], v15, v17 src0_sel:BYTE_0 src1_sel:DWORD
	s_and_saveexec_b64 s[26:27], s[28:29]
	s_cbranch_execz .LBB3285_54
; %bb.51:
	s_mov_b64 s[28:29], 0
	v_mov_b32_e32 v9, 0
.LBB3285_52:                            ; =>This Inner Loop Header: Depth=1
	global_load_dwordx2 v[14:15], v[18:19], off glc
	s_waitcnt vmcnt(0)
	v_cmp_ne_u16_sdwa s[34:35], v15, v9 src0_sel:BYTE_0 src1_sel:DWORD
	s_or_b64 s[28:29], s[34:35], s[28:29]
	s_andn2_b64 exec, exec, s[28:29]
	s_cbranch_execnz .LBB3285_52
; %bb.53:
	s_or_b64 exec, exec, s[28:29]
.LBB3285_54:
	s_or_b64 exec, exec, s[26:27]
	v_and_b32_e32 v35, 63, v28
	v_mov_b32_e32 v34, 2
	v_cmp_ne_u32_e32 vcc, 63, v35
	v_cmp_eq_u16_sdwa s[26:27], v15, v34 src0_sel:BYTE_0 src1_sel:DWORD
	v_lshlrev_b64 v[16:17], v28, -1
	v_addc_co_u32_e32 v18, vcc, 0, v28, vcc
	v_and_b32_e32 v9, s27, v17
	v_lshlrev_b32_e32 v36, 2, v18
	v_or_b32_e32 v9, 0x80000000, v9
	ds_bpermute_b32 v18, v36, v14
	v_and_b32_e32 v13, s26, v16
	v_ffbl_b32_e32 v9, v9
	v_add_u32_e32 v9, 32, v9
	v_ffbl_b32_e32 v13, v13
	v_min_u32_e32 v9, v13, v9
	v_cmp_lt_u32_e32 vcc, v35, v9
	s_waitcnt lgkmcnt(0)
	v_cndmask_b32_e32 v13, 0, v18, vcc
	v_cmp_gt_u32_e32 vcc, 62, v35
	v_add_u32_e32 v13, v13, v14
	v_cndmask_b32_e64 v14, 0, 1, vcc
	v_lshlrev_b32_e32 v14, 1, v14
	v_add_lshl_u32 v37, v14, v28, 2
	ds_bpermute_b32 v14, v37, v13
	v_add_u32_e32 v38, 2, v35
	v_cmp_le_u32_e32 vcc, v38, v9
	v_add_u32_e32 v40, 4, v35
	v_add_u32_e32 v42, 8, v35
	s_waitcnt lgkmcnt(0)
	v_cndmask_b32_e32 v14, 0, v14, vcc
	v_cmp_gt_u32_e32 vcc, 60, v35
	v_add_u32_e32 v13, v13, v14
	v_cndmask_b32_e64 v14, 0, 1, vcc
	v_lshlrev_b32_e32 v14, 2, v14
	v_add_lshl_u32 v39, v14, v28, 2
	ds_bpermute_b32 v14, v39, v13
	v_cmp_le_u32_e32 vcc, v40, v9
	v_add_u32_e32 v44, 16, v35
	v_add_u32_e32 v46, 32, v35
	s_waitcnt lgkmcnt(0)
	v_cndmask_b32_e32 v14, 0, v14, vcc
	v_cmp_gt_u32_e32 vcc, 56, v35
	v_add_u32_e32 v13, v13, v14
	v_cndmask_b32_e64 v14, 0, 1, vcc
	v_lshlrev_b32_e32 v14, 3, v14
	v_add_lshl_u32 v41, v14, v28, 2
	ds_bpermute_b32 v14, v41, v13
	v_cmp_le_u32_e32 vcc, v42, v9
	s_waitcnt lgkmcnt(0)
	v_cndmask_b32_e32 v14, 0, v14, vcc
	v_cmp_gt_u32_e32 vcc, 48, v35
	v_add_u32_e32 v13, v13, v14
	v_cndmask_b32_e64 v14, 0, 1, vcc
	v_lshlrev_b32_e32 v14, 4, v14
	v_add_lshl_u32 v43, v14, v28, 2
	ds_bpermute_b32 v14, v43, v13
	v_cmp_le_u32_e32 vcc, v44, v9
	;; [unrolled: 9-line block ×3, first 2 shown]
	s_waitcnt lgkmcnt(0)
	v_cndmask_b32_e32 v9, 0, v14, vcc
	v_add_u32_e32 v14, v13, v9
	v_mov_b32_e32 v13, 0
	s_branch .LBB3285_56
.LBB3285_55:                            ;   in Loop: Header=BB3285_56 Depth=1
	s_or_b64 exec, exec, s[26:27]
	v_cmp_eq_u16_sdwa s[26:27], v15, v34 src0_sel:BYTE_0 src1_sel:DWORD
	v_and_b32_e32 v18, s27, v17
	v_or_b32_e32 v18, 0x80000000, v18
	ds_bpermute_b32 v47, v36, v14
	v_and_b32_e32 v19, s26, v16
	v_ffbl_b32_e32 v18, v18
	v_add_u32_e32 v18, 32, v18
	v_ffbl_b32_e32 v19, v19
	v_min_u32_e32 v18, v19, v18
	v_cmp_lt_u32_e32 vcc, v35, v18
	s_waitcnt lgkmcnt(0)
	v_cndmask_b32_e32 v19, 0, v47, vcc
	v_add_u32_e32 v14, v19, v14
	ds_bpermute_b32 v19, v37, v14
	v_cmp_le_u32_e32 vcc, v38, v18
	v_subrev_u32_e32 v12, 64, v12
	s_waitcnt lgkmcnt(0)
	v_cndmask_b32_e32 v19, 0, v19, vcc
	v_add_u32_e32 v14, v14, v19
	ds_bpermute_b32 v19, v39, v14
	v_cmp_le_u32_e32 vcc, v40, v18
	s_waitcnt lgkmcnt(0)
	v_cndmask_b32_e32 v19, 0, v19, vcc
	v_add_u32_e32 v14, v14, v19
	ds_bpermute_b32 v19, v41, v14
	v_cmp_le_u32_e32 vcc, v42, v18
	;; [unrolled: 5-line block ×4, first 2 shown]
	s_waitcnt lgkmcnt(0)
	v_cndmask_b32_e32 v18, 0, v19, vcc
	v_add3_u32 v14, v18, v9, v14
.LBB3285_56:                            ; =>This Loop Header: Depth=1
                                        ;     Child Loop BB3285_59 Depth 2
	v_cmp_ne_u16_sdwa s[26:27], v15, v34 src0_sel:BYTE_0 src1_sel:DWORD
	v_cndmask_b32_e64 v9, 0, 1, s[26:27]
	;;#ASMSTART
	;;#ASMEND
	v_cmp_ne_u32_e32 vcc, 0, v9
	s_cmp_lg_u64 vcc, exec
	v_mov_b32_e32 v9, v14
	s_cbranch_scc1 .LBB3285_61
; %bb.57:                               ;   in Loop: Header=BB3285_56 Depth=1
	v_lshlrev_b64 v[14:15], 3, v[12:13]
	v_mov_b32_e32 v19, s25
	v_add_co_u32_e32 v18, vcc, s24, v14
	v_addc_co_u32_e32 v19, vcc, v19, v15, vcc
	global_load_dwordx2 v[14:15], v[18:19], off glc
	s_waitcnt vmcnt(0)
	v_cmp_eq_u16_sdwa s[28:29], v15, v13 src0_sel:BYTE_0 src1_sel:DWORD
	s_and_saveexec_b64 s[26:27], s[28:29]
	s_cbranch_execz .LBB3285_55
; %bb.58:                               ;   in Loop: Header=BB3285_56 Depth=1
	s_mov_b64 s[28:29], 0
.LBB3285_59:                            ;   Parent Loop BB3285_56 Depth=1
                                        ; =>  This Inner Loop Header: Depth=2
	global_load_dwordx2 v[14:15], v[18:19], off glc
	s_waitcnt vmcnt(0)
	v_cmp_ne_u16_sdwa s[34:35], v15, v13 src0_sel:BYTE_0 src1_sel:DWORD
	s_or_b64 s[28:29], s[34:35], s[28:29]
	s_andn2_b64 exec, exec, s[28:29]
	s_cbranch_execnz .LBB3285_59
; %bb.60:                               ;   in Loop: Header=BB3285_56 Depth=1
	s_or_b64 exec, exec, s[28:29]
	s_branch .LBB3285_55
.LBB3285_61:                            ;   in Loop: Header=BB3285_56 Depth=1
                                        ; implicit-def: $vgpr14
                                        ; implicit-def: $vgpr15
	s_cbranch_execz .LBB3285_56
; %bb.62:
	s_and_saveexec_b64 s[26:27], s[16:17]
	s_cbranch_execz .LBB3285_64
; %bb.63:
	s_add_i32 s28, s30, 64
	s_mov_b32 s29, 0
	s_lshl_b64 s[28:29], s[28:29], 3
	s_add_u32 s28, s24, s28
	v_add_u32_e32 v12, v9, v8
	v_mov_b32_e32 v13, 2
	s_addc_u32 s29, s25, s29
	v_mov_b32_e32 v14, 0
	global_store_dwordx2 v14, v[12:13], s[28:29]
	ds_write_b64 v14, v[8:9] offset:7168
.LBB3285_64:
	s_or_b64 exec, exec, s[26:27]
	s_and_b64 exec, exec, s[0:1]
	s_cbranch_execz .LBB3285_66
; %bb.65:
	v_mov_b32_e32 v8, 0
	ds_write_b32 v8, v9 offset:12
.LBB3285_66:
	s_or_b64 exec, exec, s[22:23]
	v_mov_b32_e32 v8, 0
	s_waitcnt lgkmcnt(0)
	s_barrier
	ds_read_b32 v9, v8 offset:12
	v_cndmask_b32_e64 v12, v33, v32, s[16:17]
	v_cndmask_b32_e64 v12, v12, 0, s[0:1]
	s_waitcnt lgkmcnt(0)
	s_barrier
	v_add_u32_e32 v18, v9, v12
	v_add_u32_e32 v17, v18, v27
	;; [unrolled: 1-line block ×3, first 2 shown]
	ds_read_b64 v[8:9], v8 offset:7168
	v_add_u32_e32 v14, v16, v25
	v_add_u32_e32 v15, v14, v24
	;; [unrolled: 1-line block ×4, first 2 shown]
	s_branch .LBB3285_77
.LBB3285_67:
                                        ; implicit-def: $vgpr9
                                        ; implicit-def: $vgpr12
                                        ; implicit-def: $vgpr13
                                        ; implicit-def: $vgpr15
                                        ; implicit-def: $vgpr14
                                        ; implicit-def: $vgpr16
                                        ; implicit-def: $vgpr17
                                        ; implicit-def: $vgpr18
	s_cbranch_execz .LBB3285_77
; %bb.68:
	s_waitcnt lgkmcnt(0)
	v_mov_b32_dpp v8, v31 row_shr:1 row_mask:0xf bank_mask:0xf
	v_cndmask_b32_e64 v8, v8, 0, s[14:15]
	v_add_u32_e32 v8, v8, v31
	s_nop 1
	v_mov_b32_dpp v9, v8 row_shr:2 row_mask:0xf bank_mask:0xf
	v_cndmask_b32_e64 v9, 0, v9, s[12:13]
	v_add_u32_e32 v8, v8, v9
	s_nop 1
	;; [unrolled: 4-line block ×4, first 2 shown]
	v_mov_b32_dpp v9, v8 row_bcast:15 row_mask:0xf bank_mask:0xf
	v_cndmask_b32_e64 v9, v9, 0, s[6:7]
	v_add_u32_e32 v8, v8, v9
	s_nop 1
	v_mov_b32_dpp v9, v8 row_bcast:31 row_mask:0xf bank_mask:0xf
	v_cndmask_b32_e64 v9, 0, v9, s[2:3]
	v_add_u32_e32 v8, v8, v9
	s_and_saveexec_b64 s[2:3], s[4:5]
	s_cbranch_execz .LBB3285_70
; %bb.69:
	v_lshlrev_b32_e32 v9, 2, v30
	ds_write_b32 v9, v8
.LBB3285_70:
	s_or_b64 exec, exec, s[2:3]
	v_cmp_gt_u32_e32 vcc, 4, v0
	s_waitcnt lgkmcnt(0)
	s_barrier
	s_and_saveexec_b64 s[2:3], vcc
	s_cbranch_execz .LBB3285_72
; %bb.71:
	v_mad_i32_i24 v9, v0, -3, v29
	ds_read_b32 v12, v9
	v_and_b32_e32 v13, 3, v28
	v_cmp_ne_u32_e32 vcc, 0, v13
	s_waitcnt lgkmcnt(0)
	v_mov_b32_dpp v14, v12 row_shr:1 row_mask:0xf bank_mask:0xf
	v_cndmask_b32_e32 v14, 0, v14, vcc
	v_add_u32_e32 v12, v14, v12
	v_cmp_lt_u32_e32 vcc, 1, v13
	s_nop 0
	v_mov_b32_dpp v14, v12 row_shr:2 row_mask:0xf bank_mask:0xf
	v_cndmask_b32_e32 v13, 0, v14, vcc
	v_add_u32_e32 v12, v12, v13
	ds_write_b32 v9, v12
.LBB3285_72:
	s_or_b64 exec, exec, s[2:3]
	v_cmp_lt_u32_e32 vcc, 63, v0
	v_mov_b32_e32 v9, 0
	v_mov_b32_e32 v0, 0
	s_waitcnt lgkmcnt(0)
	s_barrier
	s_and_saveexec_b64 s[2:3], vcc
	s_cbranch_execz .LBB3285_74
; %bb.73:
	v_lshl_add_u32 v0, v30, 2, -4
	ds_read_b32 v0, v0
.LBB3285_74:
	s_or_b64 exec, exec, s[2:3]
	v_add_u32_e32 v12, -1, v28
	v_and_b32_e32 v13, 64, v28
	v_cmp_lt_i32_e32 vcc, v12, v13
	v_cndmask_b32_e32 v12, v12, v28, vcc
	s_waitcnt lgkmcnt(0)
	v_add_u32_e32 v8, v0, v8
	v_lshlrev_b32_e32 v12, 2, v12
	ds_bpermute_b32 v12, v12, v8
	ds_read_b32 v8, v9 offset:12
	s_and_saveexec_b64 s[2:3], s[0:1]
	s_cbranch_execz .LBB3285_76
; %bb.75:
	v_mov_b32_e32 v13, 0
	v_mov_b32_e32 v9, 2
	s_waitcnt lgkmcnt(0)
	global_store_dwordx2 v13, v[8:9], s[24:25] offset:512
.LBB3285_76:
	s_or_b64 exec, exec, s[2:3]
	v_cmp_eq_u32_e32 vcc, 0, v28
	s_waitcnt lgkmcnt(1)
	v_cndmask_b32_e32 v0, v12, v0, vcc
	v_cndmask_b32_e64 v18, v0, 0, s[0:1]
	v_add_u32_e32 v17, v18, v27
	v_add_u32_e32 v16, v17, v26
	;; [unrolled: 1-line block ×5, first 2 shown]
	v_mov_b32_e32 v9, 0
	v_add_u32_e32 v12, v13, v22
	s_waitcnt lgkmcnt(0)
	s_barrier
.LBB3285_77:
	s_waitcnt lgkmcnt(0)
	v_add_u32_e32 v0, v8, v20
	v_sub_u32_e32 v18, v18, v9
	v_sub_u32_e32 v19, v0, v18
	v_cmp_eq_u32_e32 vcc, 1, v27
	v_cndmask_b32_e32 v18, v19, v18, vcc
	v_lshlrev_b32_e32 v18, 2, v18
	ds_write_b32 v18, v6
	v_sub_u32_e32 v6, v17, v9
	v_sub_u32_e32 v17, v0, v6
	v_add_u32_e32 v17, 1, v17
	v_cmp_eq_u32_e32 vcc, 1, v26
	v_cndmask_b32_e32 v6, v17, v6, vcc
	v_lshlrev_b32_e32 v6, 2, v6
	ds_write_b32 v6, v7
	v_sub_u32_e32 v6, v16, v9
	v_sub_u32_e32 v7, v0, v6
	v_add_u32_e32 v7, 2, v7
	;; [unrolled: 7-line block ×6, first 2 shown]
	v_cmp_eq_u32_e32 vcc, 1, v21
	v_cndmask_b32_e32 v0, v0, v2, vcc
	v_lshlrev_b32_e32 v0, 2, v0
	s_and_b64 s[0:1], s[0:1], s[18:19]
	ds_write_b32 v0, v1
	s_waitcnt lgkmcnt(0)
	s_barrier
	s_and_saveexec_b64 s[2:3], s[0:1]
	s_cbranch_execz .LBB3285_79
; %bb.78:
	s_waitcnt vmcnt(0)
	v_add_co_u32_e32 v0, vcc, v10, v8
	v_addc_co_u32_e32 v1, vcc, 0, v11, vcc
	v_add_co_u32_e32 v0, vcc, v0, v9
	v_mov_b32_e32 v2, 0
	v_addc_co_u32_e32 v1, vcc, 0, v1, vcc
	global_store_dwordx2 v2, v[0:1], s[20:21]
.LBB3285_79:
	s_endpgm
	.section	.rodata,"a",@progbits
	.p2align	6, 0x0
	.amdhsa_kernel _ZN7rocprim17ROCPRIM_400000_NS6detail17trampoline_kernelINS0_14default_configENS1_25partition_config_selectorILNS1_17partition_subalgoE1EiNS0_10empty_typeEbEEZZNS1_14partition_implILS5_1ELb0ES3_jN6thrust23THRUST_200600_302600_NS6detail15normal_iteratorINSA_10device_ptrIiEEEEPS6_NSA_18transform_iteratorI7is_evenIiESF_NSA_11use_defaultESK_EENS0_5tupleIJNSA_16discard_iteratorISK_EESO_EEENSM_IJSG_SG_EEES6_PlJS6_EEE10hipError_tPvRmT3_T4_T5_T6_T7_T9_mT8_P12ihipStream_tbDpT10_ENKUlT_T0_E_clISt17integral_constantIbLb0EES1A_IbLb1EEEEDaS16_S17_EUlS16_E_NS1_11comp_targetILNS1_3genE4ELNS1_11target_archE910ELNS1_3gpuE8ELNS1_3repE0EEENS1_30default_config_static_selectorELNS0_4arch9wavefront6targetE1EEEvT1_
		.amdhsa_group_segment_fixed_size 7176
		.amdhsa_private_segment_fixed_size 0
		.amdhsa_kernarg_size 160
		.amdhsa_user_sgpr_count 6
		.amdhsa_user_sgpr_private_segment_buffer 1
		.amdhsa_user_sgpr_dispatch_ptr 0
		.amdhsa_user_sgpr_queue_ptr 0
		.amdhsa_user_sgpr_kernarg_segment_ptr 1
		.amdhsa_user_sgpr_dispatch_id 0
		.amdhsa_user_sgpr_flat_scratch_init 0
		.amdhsa_user_sgpr_kernarg_preload_length 0
		.amdhsa_user_sgpr_kernarg_preload_offset 0
		.amdhsa_user_sgpr_private_segment_size 0
		.amdhsa_uses_dynamic_stack 0
		.amdhsa_system_sgpr_private_segment_wavefront_offset 0
		.amdhsa_system_sgpr_workgroup_id_x 1
		.amdhsa_system_sgpr_workgroup_id_y 0
		.amdhsa_system_sgpr_workgroup_id_z 0
		.amdhsa_system_sgpr_workgroup_info 0
		.amdhsa_system_vgpr_workitem_id 0
		.amdhsa_next_free_vgpr 48
		.amdhsa_next_free_sgpr 36
		.amdhsa_accum_offset 48
		.amdhsa_reserve_vcc 1
		.amdhsa_reserve_flat_scratch 0
		.amdhsa_float_round_mode_32 0
		.amdhsa_float_round_mode_16_64 0
		.amdhsa_float_denorm_mode_32 3
		.amdhsa_float_denorm_mode_16_64 3
		.amdhsa_dx10_clamp 1
		.amdhsa_ieee_mode 1
		.amdhsa_fp16_overflow 0
		.amdhsa_tg_split 0
		.amdhsa_exception_fp_ieee_invalid_op 0
		.amdhsa_exception_fp_denorm_src 0
		.amdhsa_exception_fp_ieee_div_zero 0
		.amdhsa_exception_fp_ieee_overflow 0
		.amdhsa_exception_fp_ieee_underflow 0
		.amdhsa_exception_fp_ieee_inexact 0
		.amdhsa_exception_int_div_zero 0
	.end_amdhsa_kernel
	.section	.text._ZN7rocprim17ROCPRIM_400000_NS6detail17trampoline_kernelINS0_14default_configENS1_25partition_config_selectorILNS1_17partition_subalgoE1EiNS0_10empty_typeEbEEZZNS1_14partition_implILS5_1ELb0ES3_jN6thrust23THRUST_200600_302600_NS6detail15normal_iteratorINSA_10device_ptrIiEEEEPS6_NSA_18transform_iteratorI7is_evenIiESF_NSA_11use_defaultESK_EENS0_5tupleIJNSA_16discard_iteratorISK_EESO_EEENSM_IJSG_SG_EEES6_PlJS6_EEE10hipError_tPvRmT3_T4_T5_T6_T7_T9_mT8_P12ihipStream_tbDpT10_ENKUlT_T0_E_clISt17integral_constantIbLb0EES1A_IbLb1EEEEDaS16_S17_EUlS16_E_NS1_11comp_targetILNS1_3genE4ELNS1_11target_archE910ELNS1_3gpuE8ELNS1_3repE0EEENS1_30default_config_static_selectorELNS0_4arch9wavefront6targetE1EEEvT1_,"axG",@progbits,_ZN7rocprim17ROCPRIM_400000_NS6detail17trampoline_kernelINS0_14default_configENS1_25partition_config_selectorILNS1_17partition_subalgoE1EiNS0_10empty_typeEbEEZZNS1_14partition_implILS5_1ELb0ES3_jN6thrust23THRUST_200600_302600_NS6detail15normal_iteratorINSA_10device_ptrIiEEEEPS6_NSA_18transform_iteratorI7is_evenIiESF_NSA_11use_defaultESK_EENS0_5tupleIJNSA_16discard_iteratorISK_EESO_EEENSM_IJSG_SG_EEES6_PlJS6_EEE10hipError_tPvRmT3_T4_T5_T6_T7_T9_mT8_P12ihipStream_tbDpT10_ENKUlT_T0_E_clISt17integral_constantIbLb0EES1A_IbLb1EEEEDaS16_S17_EUlS16_E_NS1_11comp_targetILNS1_3genE4ELNS1_11target_archE910ELNS1_3gpuE8ELNS1_3repE0EEENS1_30default_config_static_selectorELNS0_4arch9wavefront6targetE1EEEvT1_,comdat
.Lfunc_end3285:
	.size	_ZN7rocprim17ROCPRIM_400000_NS6detail17trampoline_kernelINS0_14default_configENS1_25partition_config_selectorILNS1_17partition_subalgoE1EiNS0_10empty_typeEbEEZZNS1_14partition_implILS5_1ELb0ES3_jN6thrust23THRUST_200600_302600_NS6detail15normal_iteratorINSA_10device_ptrIiEEEEPS6_NSA_18transform_iteratorI7is_evenIiESF_NSA_11use_defaultESK_EENS0_5tupleIJNSA_16discard_iteratorISK_EESO_EEENSM_IJSG_SG_EEES6_PlJS6_EEE10hipError_tPvRmT3_T4_T5_T6_T7_T9_mT8_P12ihipStream_tbDpT10_ENKUlT_T0_E_clISt17integral_constantIbLb0EES1A_IbLb1EEEEDaS16_S17_EUlS16_E_NS1_11comp_targetILNS1_3genE4ELNS1_11target_archE910ELNS1_3gpuE8ELNS1_3repE0EEENS1_30default_config_static_selectorELNS0_4arch9wavefront6targetE1EEEvT1_, .Lfunc_end3285-_ZN7rocprim17ROCPRIM_400000_NS6detail17trampoline_kernelINS0_14default_configENS1_25partition_config_selectorILNS1_17partition_subalgoE1EiNS0_10empty_typeEbEEZZNS1_14partition_implILS5_1ELb0ES3_jN6thrust23THRUST_200600_302600_NS6detail15normal_iteratorINSA_10device_ptrIiEEEEPS6_NSA_18transform_iteratorI7is_evenIiESF_NSA_11use_defaultESK_EENS0_5tupleIJNSA_16discard_iteratorISK_EESO_EEENSM_IJSG_SG_EEES6_PlJS6_EEE10hipError_tPvRmT3_T4_T5_T6_T7_T9_mT8_P12ihipStream_tbDpT10_ENKUlT_T0_E_clISt17integral_constantIbLb0EES1A_IbLb1EEEEDaS16_S17_EUlS16_E_NS1_11comp_targetILNS1_3genE4ELNS1_11target_archE910ELNS1_3gpuE8ELNS1_3repE0EEENS1_30default_config_static_selectorELNS0_4arch9wavefront6targetE1EEEvT1_
                                        ; -- End function
	.section	.AMDGPU.csdata,"",@progbits
; Kernel info:
; codeLenInByte = 3944
; NumSgprs: 40
; NumVgprs: 48
; NumAgprs: 0
; TotalNumVgprs: 48
; ScratchSize: 0
; MemoryBound: 0
; FloatMode: 240
; IeeeMode: 1
; LDSByteSize: 7176 bytes/workgroup (compile time only)
; SGPRBlocks: 4
; VGPRBlocks: 5
; NumSGPRsForWavesPerEU: 40
; NumVGPRsForWavesPerEU: 48
; AccumOffset: 48
; Occupancy: 8
; WaveLimiterHint : 1
; COMPUTE_PGM_RSRC2:SCRATCH_EN: 0
; COMPUTE_PGM_RSRC2:USER_SGPR: 6
; COMPUTE_PGM_RSRC2:TRAP_HANDLER: 0
; COMPUTE_PGM_RSRC2:TGID_X_EN: 1
; COMPUTE_PGM_RSRC2:TGID_Y_EN: 0
; COMPUTE_PGM_RSRC2:TGID_Z_EN: 0
; COMPUTE_PGM_RSRC2:TIDIG_COMP_CNT: 0
; COMPUTE_PGM_RSRC3_GFX90A:ACCUM_OFFSET: 11
; COMPUTE_PGM_RSRC3_GFX90A:TG_SPLIT: 0
	.section	.text._ZN7rocprim17ROCPRIM_400000_NS6detail17trampoline_kernelINS0_14default_configENS1_25partition_config_selectorILNS1_17partition_subalgoE1EiNS0_10empty_typeEbEEZZNS1_14partition_implILS5_1ELb0ES3_jN6thrust23THRUST_200600_302600_NS6detail15normal_iteratorINSA_10device_ptrIiEEEEPS6_NSA_18transform_iteratorI7is_evenIiESF_NSA_11use_defaultESK_EENS0_5tupleIJNSA_16discard_iteratorISK_EESO_EEENSM_IJSG_SG_EEES6_PlJS6_EEE10hipError_tPvRmT3_T4_T5_T6_T7_T9_mT8_P12ihipStream_tbDpT10_ENKUlT_T0_E_clISt17integral_constantIbLb0EES1A_IbLb1EEEEDaS16_S17_EUlS16_E_NS1_11comp_targetILNS1_3genE3ELNS1_11target_archE908ELNS1_3gpuE7ELNS1_3repE0EEENS1_30default_config_static_selectorELNS0_4arch9wavefront6targetE1EEEvT1_,"axG",@progbits,_ZN7rocprim17ROCPRIM_400000_NS6detail17trampoline_kernelINS0_14default_configENS1_25partition_config_selectorILNS1_17partition_subalgoE1EiNS0_10empty_typeEbEEZZNS1_14partition_implILS5_1ELb0ES3_jN6thrust23THRUST_200600_302600_NS6detail15normal_iteratorINSA_10device_ptrIiEEEEPS6_NSA_18transform_iteratorI7is_evenIiESF_NSA_11use_defaultESK_EENS0_5tupleIJNSA_16discard_iteratorISK_EESO_EEENSM_IJSG_SG_EEES6_PlJS6_EEE10hipError_tPvRmT3_T4_T5_T6_T7_T9_mT8_P12ihipStream_tbDpT10_ENKUlT_T0_E_clISt17integral_constantIbLb0EES1A_IbLb1EEEEDaS16_S17_EUlS16_E_NS1_11comp_targetILNS1_3genE3ELNS1_11target_archE908ELNS1_3gpuE7ELNS1_3repE0EEENS1_30default_config_static_selectorELNS0_4arch9wavefront6targetE1EEEvT1_,comdat
	.protected	_ZN7rocprim17ROCPRIM_400000_NS6detail17trampoline_kernelINS0_14default_configENS1_25partition_config_selectorILNS1_17partition_subalgoE1EiNS0_10empty_typeEbEEZZNS1_14partition_implILS5_1ELb0ES3_jN6thrust23THRUST_200600_302600_NS6detail15normal_iteratorINSA_10device_ptrIiEEEEPS6_NSA_18transform_iteratorI7is_evenIiESF_NSA_11use_defaultESK_EENS0_5tupleIJNSA_16discard_iteratorISK_EESO_EEENSM_IJSG_SG_EEES6_PlJS6_EEE10hipError_tPvRmT3_T4_T5_T6_T7_T9_mT8_P12ihipStream_tbDpT10_ENKUlT_T0_E_clISt17integral_constantIbLb0EES1A_IbLb1EEEEDaS16_S17_EUlS16_E_NS1_11comp_targetILNS1_3genE3ELNS1_11target_archE908ELNS1_3gpuE7ELNS1_3repE0EEENS1_30default_config_static_selectorELNS0_4arch9wavefront6targetE1EEEvT1_ ; -- Begin function _ZN7rocprim17ROCPRIM_400000_NS6detail17trampoline_kernelINS0_14default_configENS1_25partition_config_selectorILNS1_17partition_subalgoE1EiNS0_10empty_typeEbEEZZNS1_14partition_implILS5_1ELb0ES3_jN6thrust23THRUST_200600_302600_NS6detail15normal_iteratorINSA_10device_ptrIiEEEEPS6_NSA_18transform_iteratorI7is_evenIiESF_NSA_11use_defaultESK_EENS0_5tupleIJNSA_16discard_iteratorISK_EESO_EEENSM_IJSG_SG_EEES6_PlJS6_EEE10hipError_tPvRmT3_T4_T5_T6_T7_T9_mT8_P12ihipStream_tbDpT10_ENKUlT_T0_E_clISt17integral_constantIbLb0EES1A_IbLb1EEEEDaS16_S17_EUlS16_E_NS1_11comp_targetILNS1_3genE3ELNS1_11target_archE908ELNS1_3gpuE7ELNS1_3repE0EEENS1_30default_config_static_selectorELNS0_4arch9wavefront6targetE1EEEvT1_
	.globl	_ZN7rocprim17ROCPRIM_400000_NS6detail17trampoline_kernelINS0_14default_configENS1_25partition_config_selectorILNS1_17partition_subalgoE1EiNS0_10empty_typeEbEEZZNS1_14partition_implILS5_1ELb0ES3_jN6thrust23THRUST_200600_302600_NS6detail15normal_iteratorINSA_10device_ptrIiEEEEPS6_NSA_18transform_iteratorI7is_evenIiESF_NSA_11use_defaultESK_EENS0_5tupleIJNSA_16discard_iteratorISK_EESO_EEENSM_IJSG_SG_EEES6_PlJS6_EEE10hipError_tPvRmT3_T4_T5_T6_T7_T9_mT8_P12ihipStream_tbDpT10_ENKUlT_T0_E_clISt17integral_constantIbLb0EES1A_IbLb1EEEEDaS16_S17_EUlS16_E_NS1_11comp_targetILNS1_3genE3ELNS1_11target_archE908ELNS1_3gpuE7ELNS1_3repE0EEENS1_30default_config_static_selectorELNS0_4arch9wavefront6targetE1EEEvT1_
	.p2align	8
	.type	_ZN7rocprim17ROCPRIM_400000_NS6detail17trampoline_kernelINS0_14default_configENS1_25partition_config_selectorILNS1_17partition_subalgoE1EiNS0_10empty_typeEbEEZZNS1_14partition_implILS5_1ELb0ES3_jN6thrust23THRUST_200600_302600_NS6detail15normal_iteratorINSA_10device_ptrIiEEEEPS6_NSA_18transform_iteratorI7is_evenIiESF_NSA_11use_defaultESK_EENS0_5tupleIJNSA_16discard_iteratorISK_EESO_EEENSM_IJSG_SG_EEES6_PlJS6_EEE10hipError_tPvRmT3_T4_T5_T6_T7_T9_mT8_P12ihipStream_tbDpT10_ENKUlT_T0_E_clISt17integral_constantIbLb0EES1A_IbLb1EEEEDaS16_S17_EUlS16_E_NS1_11comp_targetILNS1_3genE3ELNS1_11target_archE908ELNS1_3gpuE7ELNS1_3repE0EEENS1_30default_config_static_selectorELNS0_4arch9wavefront6targetE1EEEvT1_,@function
_ZN7rocprim17ROCPRIM_400000_NS6detail17trampoline_kernelINS0_14default_configENS1_25partition_config_selectorILNS1_17partition_subalgoE1EiNS0_10empty_typeEbEEZZNS1_14partition_implILS5_1ELb0ES3_jN6thrust23THRUST_200600_302600_NS6detail15normal_iteratorINSA_10device_ptrIiEEEEPS6_NSA_18transform_iteratorI7is_evenIiESF_NSA_11use_defaultESK_EENS0_5tupleIJNSA_16discard_iteratorISK_EESO_EEENSM_IJSG_SG_EEES6_PlJS6_EEE10hipError_tPvRmT3_T4_T5_T6_T7_T9_mT8_P12ihipStream_tbDpT10_ENKUlT_T0_E_clISt17integral_constantIbLb0EES1A_IbLb1EEEEDaS16_S17_EUlS16_E_NS1_11comp_targetILNS1_3genE3ELNS1_11target_archE908ELNS1_3gpuE7ELNS1_3repE0EEENS1_30default_config_static_selectorELNS0_4arch9wavefront6targetE1EEEvT1_: ; @_ZN7rocprim17ROCPRIM_400000_NS6detail17trampoline_kernelINS0_14default_configENS1_25partition_config_selectorILNS1_17partition_subalgoE1EiNS0_10empty_typeEbEEZZNS1_14partition_implILS5_1ELb0ES3_jN6thrust23THRUST_200600_302600_NS6detail15normal_iteratorINSA_10device_ptrIiEEEEPS6_NSA_18transform_iteratorI7is_evenIiESF_NSA_11use_defaultESK_EENS0_5tupleIJNSA_16discard_iteratorISK_EESO_EEENSM_IJSG_SG_EEES6_PlJS6_EEE10hipError_tPvRmT3_T4_T5_T6_T7_T9_mT8_P12ihipStream_tbDpT10_ENKUlT_T0_E_clISt17integral_constantIbLb0EES1A_IbLb1EEEEDaS16_S17_EUlS16_E_NS1_11comp_targetILNS1_3genE3ELNS1_11target_archE908ELNS1_3gpuE7ELNS1_3repE0EEENS1_30default_config_static_selectorELNS0_4arch9wavefront6targetE1EEEvT1_
; %bb.0:
	.section	.rodata,"a",@progbits
	.p2align	6, 0x0
	.amdhsa_kernel _ZN7rocprim17ROCPRIM_400000_NS6detail17trampoline_kernelINS0_14default_configENS1_25partition_config_selectorILNS1_17partition_subalgoE1EiNS0_10empty_typeEbEEZZNS1_14partition_implILS5_1ELb0ES3_jN6thrust23THRUST_200600_302600_NS6detail15normal_iteratorINSA_10device_ptrIiEEEEPS6_NSA_18transform_iteratorI7is_evenIiESF_NSA_11use_defaultESK_EENS0_5tupleIJNSA_16discard_iteratorISK_EESO_EEENSM_IJSG_SG_EEES6_PlJS6_EEE10hipError_tPvRmT3_T4_T5_T6_T7_T9_mT8_P12ihipStream_tbDpT10_ENKUlT_T0_E_clISt17integral_constantIbLb0EES1A_IbLb1EEEEDaS16_S17_EUlS16_E_NS1_11comp_targetILNS1_3genE3ELNS1_11target_archE908ELNS1_3gpuE7ELNS1_3repE0EEENS1_30default_config_static_selectorELNS0_4arch9wavefront6targetE1EEEvT1_
		.amdhsa_group_segment_fixed_size 0
		.amdhsa_private_segment_fixed_size 0
		.amdhsa_kernarg_size 160
		.amdhsa_user_sgpr_count 6
		.amdhsa_user_sgpr_private_segment_buffer 1
		.amdhsa_user_sgpr_dispatch_ptr 0
		.amdhsa_user_sgpr_queue_ptr 0
		.amdhsa_user_sgpr_kernarg_segment_ptr 1
		.amdhsa_user_sgpr_dispatch_id 0
		.amdhsa_user_sgpr_flat_scratch_init 0
		.amdhsa_user_sgpr_kernarg_preload_length 0
		.amdhsa_user_sgpr_kernarg_preload_offset 0
		.amdhsa_user_sgpr_private_segment_size 0
		.amdhsa_uses_dynamic_stack 0
		.amdhsa_system_sgpr_private_segment_wavefront_offset 0
		.amdhsa_system_sgpr_workgroup_id_x 1
		.amdhsa_system_sgpr_workgroup_id_y 0
		.amdhsa_system_sgpr_workgroup_id_z 0
		.amdhsa_system_sgpr_workgroup_info 0
		.amdhsa_system_vgpr_workitem_id 0
		.amdhsa_next_free_vgpr 1
		.amdhsa_next_free_sgpr 0
		.amdhsa_accum_offset 4
		.amdhsa_reserve_vcc 0
		.amdhsa_reserve_flat_scratch 0
		.amdhsa_float_round_mode_32 0
		.amdhsa_float_round_mode_16_64 0
		.amdhsa_float_denorm_mode_32 3
		.amdhsa_float_denorm_mode_16_64 3
		.amdhsa_dx10_clamp 1
		.amdhsa_ieee_mode 1
		.amdhsa_fp16_overflow 0
		.amdhsa_tg_split 0
		.amdhsa_exception_fp_ieee_invalid_op 0
		.amdhsa_exception_fp_denorm_src 0
		.amdhsa_exception_fp_ieee_div_zero 0
		.amdhsa_exception_fp_ieee_overflow 0
		.amdhsa_exception_fp_ieee_underflow 0
		.amdhsa_exception_fp_ieee_inexact 0
		.amdhsa_exception_int_div_zero 0
	.end_amdhsa_kernel
	.section	.text._ZN7rocprim17ROCPRIM_400000_NS6detail17trampoline_kernelINS0_14default_configENS1_25partition_config_selectorILNS1_17partition_subalgoE1EiNS0_10empty_typeEbEEZZNS1_14partition_implILS5_1ELb0ES3_jN6thrust23THRUST_200600_302600_NS6detail15normal_iteratorINSA_10device_ptrIiEEEEPS6_NSA_18transform_iteratorI7is_evenIiESF_NSA_11use_defaultESK_EENS0_5tupleIJNSA_16discard_iteratorISK_EESO_EEENSM_IJSG_SG_EEES6_PlJS6_EEE10hipError_tPvRmT3_T4_T5_T6_T7_T9_mT8_P12ihipStream_tbDpT10_ENKUlT_T0_E_clISt17integral_constantIbLb0EES1A_IbLb1EEEEDaS16_S17_EUlS16_E_NS1_11comp_targetILNS1_3genE3ELNS1_11target_archE908ELNS1_3gpuE7ELNS1_3repE0EEENS1_30default_config_static_selectorELNS0_4arch9wavefront6targetE1EEEvT1_,"axG",@progbits,_ZN7rocprim17ROCPRIM_400000_NS6detail17trampoline_kernelINS0_14default_configENS1_25partition_config_selectorILNS1_17partition_subalgoE1EiNS0_10empty_typeEbEEZZNS1_14partition_implILS5_1ELb0ES3_jN6thrust23THRUST_200600_302600_NS6detail15normal_iteratorINSA_10device_ptrIiEEEEPS6_NSA_18transform_iteratorI7is_evenIiESF_NSA_11use_defaultESK_EENS0_5tupleIJNSA_16discard_iteratorISK_EESO_EEENSM_IJSG_SG_EEES6_PlJS6_EEE10hipError_tPvRmT3_T4_T5_T6_T7_T9_mT8_P12ihipStream_tbDpT10_ENKUlT_T0_E_clISt17integral_constantIbLb0EES1A_IbLb1EEEEDaS16_S17_EUlS16_E_NS1_11comp_targetILNS1_3genE3ELNS1_11target_archE908ELNS1_3gpuE7ELNS1_3repE0EEENS1_30default_config_static_selectorELNS0_4arch9wavefront6targetE1EEEvT1_,comdat
.Lfunc_end3286:
	.size	_ZN7rocprim17ROCPRIM_400000_NS6detail17trampoline_kernelINS0_14default_configENS1_25partition_config_selectorILNS1_17partition_subalgoE1EiNS0_10empty_typeEbEEZZNS1_14partition_implILS5_1ELb0ES3_jN6thrust23THRUST_200600_302600_NS6detail15normal_iteratorINSA_10device_ptrIiEEEEPS6_NSA_18transform_iteratorI7is_evenIiESF_NSA_11use_defaultESK_EENS0_5tupleIJNSA_16discard_iteratorISK_EESO_EEENSM_IJSG_SG_EEES6_PlJS6_EEE10hipError_tPvRmT3_T4_T5_T6_T7_T9_mT8_P12ihipStream_tbDpT10_ENKUlT_T0_E_clISt17integral_constantIbLb0EES1A_IbLb1EEEEDaS16_S17_EUlS16_E_NS1_11comp_targetILNS1_3genE3ELNS1_11target_archE908ELNS1_3gpuE7ELNS1_3repE0EEENS1_30default_config_static_selectorELNS0_4arch9wavefront6targetE1EEEvT1_, .Lfunc_end3286-_ZN7rocprim17ROCPRIM_400000_NS6detail17trampoline_kernelINS0_14default_configENS1_25partition_config_selectorILNS1_17partition_subalgoE1EiNS0_10empty_typeEbEEZZNS1_14partition_implILS5_1ELb0ES3_jN6thrust23THRUST_200600_302600_NS6detail15normal_iteratorINSA_10device_ptrIiEEEEPS6_NSA_18transform_iteratorI7is_evenIiESF_NSA_11use_defaultESK_EENS0_5tupleIJNSA_16discard_iteratorISK_EESO_EEENSM_IJSG_SG_EEES6_PlJS6_EEE10hipError_tPvRmT3_T4_T5_T6_T7_T9_mT8_P12ihipStream_tbDpT10_ENKUlT_T0_E_clISt17integral_constantIbLb0EES1A_IbLb1EEEEDaS16_S17_EUlS16_E_NS1_11comp_targetILNS1_3genE3ELNS1_11target_archE908ELNS1_3gpuE7ELNS1_3repE0EEENS1_30default_config_static_selectorELNS0_4arch9wavefront6targetE1EEEvT1_
                                        ; -- End function
	.section	.AMDGPU.csdata,"",@progbits
; Kernel info:
; codeLenInByte = 0
; NumSgprs: 4
; NumVgprs: 0
; NumAgprs: 0
; TotalNumVgprs: 0
; ScratchSize: 0
; MemoryBound: 0
; FloatMode: 240
; IeeeMode: 1
; LDSByteSize: 0 bytes/workgroup (compile time only)
; SGPRBlocks: 0
; VGPRBlocks: 0
; NumSGPRsForWavesPerEU: 4
; NumVGPRsForWavesPerEU: 1
; AccumOffset: 4
; Occupancy: 8
; WaveLimiterHint : 0
; COMPUTE_PGM_RSRC2:SCRATCH_EN: 0
; COMPUTE_PGM_RSRC2:USER_SGPR: 6
; COMPUTE_PGM_RSRC2:TRAP_HANDLER: 0
; COMPUTE_PGM_RSRC2:TGID_X_EN: 1
; COMPUTE_PGM_RSRC2:TGID_Y_EN: 0
; COMPUTE_PGM_RSRC2:TGID_Z_EN: 0
; COMPUTE_PGM_RSRC2:TIDIG_COMP_CNT: 0
; COMPUTE_PGM_RSRC3_GFX90A:ACCUM_OFFSET: 0
; COMPUTE_PGM_RSRC3_GFX90A:TG_SPLIT: 0
	.section	.text._ZN7rocprim17ROCPRIM_400000_NS6detail17trampoline_kernelINS0_14default_configENS1_25partition_config_selectorILNS1_17partition_subalgoE1EiNS0_10empty_typeEbEEZZNS1_14partition_implILS5_1ELb0ES3_jN6thrust23THRUST_200600_302600_NS6detail15normal_iteratorINSA_10device_ptrIiEEEEPS6_NSA_18transform_iteratorI7is_evenIiESF_NSA_11use_defaultESK_EENS0_5tupleIJNSA_16discard_iteratorISK_EESO_EEENSM_IJSG_SG_EEES6_PlJS6_EEE10hipError_tPvRmT3_T4_T5_T6_T7_T9_mT8_P12ihipStream_tbDpT10_ENKUlT_T0_E_clISt17integral_constantIbLb0EES1A_IbLb1EEEEDaS16_S17_EUlS16_E_NS1_11comp_targetILNS1_3genE2ELNS1_11target_archE906ELNS1_3gpuE6ELNS1_3repE0EEENS1_30default_config_static_selectorELNS0_4arch9wavefront6targetE1EEEvT1_,"axG",@progbits,_ZN7rocprim17ROCPRIM_400000_NS6detail17trampoline_kernelINS0_14default_configENS1_25partition_config_selectorILNS1_17partition_subalgoE1EiNS0_10empty_typeEbEEZZNS1_14partition_implILS5_1ELb0ES3_jN6thrust23THRUST_200600_302600_NS6detail15normal_iteratorINSA_10device_ptrIiEEEEPS6_NSA_18transform_iteratorI7is_evenIiESF_NSA_11use_defaultESK_EENS0_5tupleIJNSA_16discard_iteratorISK_EESO_EEENSM_IJSG_SG_EEES6_PlJS6_EEE10hipError_tPvRmT3_T4_T5_T6_T7_T9_mT8_P12ihipStream_tbDpT10_ENKUlT_T0_E_clISt17integral_constantIbLb0EES1A_IbLb1EEEEDaS16_S17_EUlS16_E_NS1_11comp_targetILNS1_3genE2ELNS1_11target_archE906ELNS1_3gpuE6ELNS1_3repE0EEENS1_30default_config_static_selectorELNS0_4arch9wavefront6targetE1EEEvT1_,comdat
	.protected	_ZN7rocprim17ROCPRIM_400000_NS6detail17trampoline_kernelINS0_14default_configENS1_25partition_config_selectorILNS1_17partition_subalgoE1EiNS0_10empty_typeEbEEZZNS1_14partition_implILS5_1ELb0ES3_jN6thrust23THRUST_200600_302600_NS6detail15normal_iteratorINSA_10device_ptrIiEEEEPS6_NSA_18transform_iteratorI7is_evenIiESF_NSA_11use_defaultESK_EENS0_5tupleIJNSA_16discard_iteratorISK_EESO_EEENSM_IJSG_SG_EEES6_PlJS6_EEE10hipError_tPvRmT3_T4_T5_T6_T7_T9_mT8_P12ihipStream_tbDpT10_ENKUlT_T0_E_clISt17integral_constantIbLb0EES1A_IbLb1EEEEDaS16_S17_EUlS16_E_NS1_11comp_targetILNS1_3genE2ELNS1_11target_archE906ELNS1_3gpuE6ELNS1_3repE0EEENS1_30default_config_static_selectorELNS0_4arch9wavefront6targetE1EEEvT1_ ; -- Begin function _ZN7rocprim17ROCPRIM_400000_NS6detail17trampoline_kernelINS0_14default_configENS1_25partition_config_selectorILNS1_17partition_subalgoE1EiNS0_10empty_typeEbEEZZNS1_14partition_implILS5_1ELb0ES3_jN6thrust23THRUST_200600_302600_NS6detail15normal_iteratorINSA_10device_ptrIiEEEEPS6_NSA_18transform_iteratorI7is_evenIiESF_NSA_11use_defaultESK_EENS0_5tupleIJNSA_16discard_iteratorISK_EESO_EEENSM_IJSG_SG_EEES6_PlJS6_EEE10hipError_tPvRmT3_T4_T5_T6_T7_T9_mT8_P12ihipStream_tbDpT10_ENKUlT_T0_E_clISt17integral_constantIbLb0EES1A_IbLb1EEEEDaS16_S17_EUlS16_E_NS1_11comp_targetILNS1_3genE2ELNS1_11target_archE906ELNS1_3gpuE6ELNS1_3repE0EEENS1_30default_config_static_selectorELNS0_4arch9wavefront6targetE1EEEvT1_
	.globl	_ZN7rocprim17ROCPRIM_400000_NS6detail17trampoline_kernelINS0_14default_configENS1_25partition_config_selectorILNS1_17partition_subalgoE1EiNS0_10empty_typeEbEEZZNS1_14partition_implILS5_1ELb0ES3_jN6thrust23THRUST_200600_302600_NS6detail15normal_iteratorINSA_10device_ptrIiEEEEPS6_NSA_18transform_iteratorI7is_evenIiESF_NSA_11use_defaultESK_EENS0_5tupleIJNSA_16discard_iteratorISK_EESO_EEENSM_IJSG_SG_EEES6_PlJS6_EEE10hipError_tPvRmT3_T4_T5_T6_T7_T9_mT8_P12ihipStream_tbDpT10_ENKUlT_T0_E_clISt17integral_constantIbLb0EES1A_IbLb1EEEEDaS16_S17_EUlS16_E_NS1_11comp_targetILNS1_3genE2ELNS1_11target_archE906ELNS1_3gpuE6ELNS1_3repE0EEENS1_30default_config_static_selectorELNS0_4arch9wavefront6targetE1EEEvT1_
	.p2align	8
	.type	_ZN7rocprim17ROCPRIM_400000_NS6detail17trampoline_kernelINS0_14default_configENS1_25partition_config_selectorILNS1_17partition_subalgoE1EiNS0_10empty_typeEbEEZZNS1_14partition_implILS5_1ELb0ES3_jN6thrust23THRUST_200600_302600_NS6detail15normal_iteratorINSA_10device_ptrIiEEEEPS6_NSA_18transform_iteratorI7is_evenIiESF_NSA_11use_defaultESK_EENS0_5tupleIJNSA_16discard_iteratorISK_EESO_EEENSM_IJSG_SG_EEES6_PlJS6_EEE10hipError_tPvRmT3_T4_T5_T6_T7_T9_mT8_P12ihipStream_tbDpT10_ENKUlT_T0_E_clISt17integral_constantIbLb0EES1A_IbLb1EEEEDaS16_S17_EUlS16_E_NS1_11comp_targetILNS1_3genE2ELNS1_11target_archE906ELNS1_3gpuE6ELNS1_3repE0EEENS1_30default_config_static_selectorELNS0_4arch9wavefront6targetE1EEEvT1_,@function
_ZN7rocprim17ROCPRIM_400000_NS6detail17trampoline_kernelINS0_14default_configENS1_25partition_config_selectorILNS1_17partition_subalgoE1EiNS0_10empty_typeEbEEZZNS1_14partition_implILS5_1ELb0ES3_jN6thrust23THRUST_200600_302600_NS6detail15normal_iteratorINSA_10device_ptrIiEEEEPS6_NSA_18transform_iteratorI7is_evenIiESF_NSA_11use_defaultESK_EENS0_5tupleIJNSA_16discard_iteratorISK_EESO_EEENSM_IJSG_SG_EEES6_PlJS6_EEE10hipError_tPvRmT3_T4_T5_T6_T7_T9_mT8_P12ihipStream_tbDpT10_ENKUlT_T0_E_clISt17integral_constantIbLb0EES1A_IbLb1EEEEDaS16_S17_EUlS16_E_NS1_11comp_targetILNS1_3genE2ELNS1_11target_archE906ELNS1_3gpuE6ELNS1_3repE0EEENS1_30default_config_static_selectorELNS0_4arch9wavefront6targetE1EEEvT1_: ; @_ZN7rocprim17ROCPRIM_400000_NS6detail17trampoline_kernelINS0_14default_configENS1_25partition_config_selectorILNS1_17partition_subalgoE1EiNS0_10empty_typeEbEEZZNS1_14partition_implILS5_1ELb0ES3_jN6thrust23THRUST_200600_302600_NS6detail15normal_iteratorINSA_10device_ptrIiEEEEPS6_NSA_18transform_iteratorI7is_evenIiESF_NSA_11use_defaultESK_EENS0_5tupleIJNSA_16discard_iteratorISK_EESO_EEENSM_IJSG_SG_EEES6_PlJS6_EEE10hipError_tPvRmT3_T4_T5_T6_T7_T9_mT8_P12ihipStream_tbDpT10_ENKUlT_T0_E_clISt17integral_constantIbLb0EES1A_IbLb1EEEEDaS16_S17_EUlS16_E_NS1_11comp_targetILNS1_3genE2ELNS1_11target_archE906ELNS1_3gpuE6ELNS1_3repE0EEENS1_30default_config_static_selectorELNS0_4arch9wavefront6targetE1EEEvT1_
; %bb.0:
	.section	.rodata,"a",@progbits
	.p2align	6, 0x0
	.amdhsa_kernel _ZN7rocprim17ROCPRIM_400000_NS6detail17trampoline_kernelINS0_14default_configENS1_25partition_config_selectorILNS1_17partition_subalgoE1EiNS0_10empty_typeEbEEZZNS1_14partition_implILS5_1ELb0ES3_jN6thrust23THRUST_200600_302600_NS6detail15normal_iteratorINSA_10device_ptrIiEEEEPS6_NSA_18transform_iteratorI7is_evenIiESF_NSA_11use_defaultESK_EENS0_5tupleIJNSA_16discard_iteratorISK_EESO_EEENSM_IJSG_SG_EEES6_PlJS6_EEE10hipError_tPvRmT3_T4_T5_T6_T7_T9_mT8_P12ihipStream_tbDpT10_ENKUlT_T0_E_clISt17integral_constantIbLb0EES1A_IbLb1EEEEDaS16_S17_EUlS16_E_NS1_11comp_targetILNS1_3genE2ELNS1_11target_archE906ELNS1_3gpuE6ELNS1_3repE0EEENS1_30default_config_static_selectorELNS0_4arch9wavefront6targetE1EEEvT1_
		.amdhsa_group_segment_fixed_size 0
		.amdhsa_private_segment_fixed_size 0
		.amdhsa_kernarg_size 160
		.amdhsa_user_sgpr_count 6
		.amdhsa_user_sgpr_private_segment_buffer 1
		.amdhsa_user_sgpr_dispatch_ptr 0
		.amdhsa_user_sgpr_queue_ptr 0
		.amdhsa_user_sgpr_kernarg_segment_ptr 1
		.amdhsa_user_sgpr_dispatch_id 0
		.amdhsa_user_sgpr_flat_scratch_init 0
		.amdhsa_user_sgpr_kernarg_preload_length 0
		.amdhsa_user_sgpr_kernarg_preload_offset 0
		.amdhsa_user_sgpr_private_segment_size 0
		.amdhsa_uses_dynamic_stack 0
		.amdhsa_system_sgpr_private_segment_wavefront_offset 0
		.amdhsa_system_sgpr_workgroup_id_x 1
		.amdhsa_system_sgpr_workgroup_id_y 0
		.amdhsa_system_sgpr_workgroup_id_z 0
		.amdhsa_system_sgpr_workgroup_info 0
		.amdhsa_system_vgpr_workitem_id 0
		.amdhsa_next_free_vgpr 1
		.amdhsa_next_free_sgpr 0
		.amdhsa_accum_offset 4
		.amdhsa_reserve_vcc 0
		.amdhsa_reserve_flat_scratch 0
		.amdhsa_float_round_mode_32 0
		.amdhsa_float_round_mode_16_64 0
		.amdhsa_float_denorm_mode_32 3
		.amdhsa_float_denorm_mode_16_64 3
		.amdhsa_dx10_clamp 1
		.amdhsa_ieee_mode 1
		.amdhsa_fp16_overflow 0
		.amdhsa_tg_split 0
		.amdhsa_exception_fp_ieee_invalid_op 0
		.amdhsa_exception_fp_denorm_src 0
		.amdhsa_exception_fp_ieee_div_zero 0
		.amdhsa_exception_fp_ieee_overflow 0
		.amdhsa_exception_fp_ieee_underflow 0
		.amdhsa_exception_fp_ieee_inexact 0
		.amdhsa_exception_int_div_zero 0
	.end_amdhsa_kernel
	.section	.text._ZN7rocprim17ROCPRIM_400000_NS6detail17trampoline_kernelINS0_14default_configENS1_25partition_config_selectorILNS1_17partition_subalgoE1EiNS0_10empty_typeEbEEZZNS1_14partition_implILS5_1ELb0ES3_jN6thrust23THRUST_200600_302600_NS6detail15normal_iteratorINSA_10device_ptrIiEEEEPS6_NSA_18transform_iteratorI7is_evenIiESF_NSA_11use_defaultESK_EENS0_5tupleIJNSA_16discard_iteratorISK_EESO_EEENSM_IJSG_SG_EEES6_PlJS6_EEE10hipError_tPvRmT3_T4_T5_T6_T7_T9_mT8_P12ihipStream_tbDpT10_ENKUlT_T0_E_clISt17integral_constantIbLb0EES1A_IbLb1EEEEDaS16_S17_EUlS16_E_NS1_11comp_targetILNS1_3genE2ELNS1_11target_archE906ELNS1_3gpuE6ELNS1_3repE0EEENS1_30default_config_static_selectorELNS0_4arch9wavefront6targetE1EEEvT1_,"axG",@progbits,_ZN7rocprim17ROCPRIM_400000_NS6detail17trampoline_kernelINS0_14default_configENS1_25partition_config_selectorILNS1_17partition_subalgoE1EiNS0_10empty_typeEbEEZZNS1_14partition_implILS5_1ELb0ES3_jN6thrust23THRUST_200600_302600_NS6detail15normal_iteratorINSA_10device_ptrIiEEEEPS6_NSA_18transform_iteratorI7is_evenIiESF_NSA_11use_defaultESK_EENS0_5tupleIJNSA_16discard_iteratorISK_EESO_EEENSM_IJSG_SG_EEES6_PlJS6_EEE10hipError_tPvRmT3_T4_T5_T6_T7_T9_mT8_P12ihipStream_tbDpT10_ENKUlT_T0_E_clISt17integral_constantIbLb0EES1A_IbLb1EEEEDaS16_S17_EUlS16_E_NS1_11comp_targetILNS1_3genE2ELNS1_11target_archE906ELNS1_3gpuE6ELNS1_3repE0EEENS1_30default_config_static_selectorELNS0_4arch9wavefront6targetE1EEEvT1_,comdat
.Lfunc_end3287:
	.size	_ZN7rocprim17ROCPRIM_400000_NS6detail17trampoline_kernelINS0_14default_configENS1_25partition_config_selectorILNS1_17partition_subalgoE1EiNS0_10empty_typeEbEEZZNS1_14partition_implILS5_1ELb0ES3_jN6thrust23THRUST_200600_302600_NS6detail15normal_iteratorINSA_10device_ptrIiEEEEPS6_NSA_18transform_iteratorI7is_evenIiESF_NSA_11use_defaultESK_EENS0_5tupleIJNSA_16discard_iteratorISK_EESO_EEENSM_IJSG_SG_EEES6_PlJS6_EEE10hipError_tPvRmT3_T4_T5_T6_T7_T9_mT8_P12ihipStream_tbDpT10_ENKUlT_T0_E_clISt17integral_constantIbLb0EES1A_IbLb1EEEEDaS16_S17_EUlS16_E_NS1_11comp_targetILNS1_3genE2ELNS1_11target_archE906ELNS1_3gpuE6ELNS1_3repE0EEENS1_30default_config_static_selectorELNS0_4arch9wavefront6targetE1EEEvT1_, .Lfunc_end3287-_ZN7rocprim17ROCPRIM_400000_NS6detail17trampoline_kernelINS0_14default_configENS1_25partition_config_selectorILNS1_17partition_subalgoE1EiNS0_10empty_typeEbEEZZNS1_14partition_implILS5_1ELb0ES3_jN6thrust23THRUST_200600_302600_NS6detail15normal_iteratorINSA_10device_ptrIiEEEEPS6_NSA_18transform_iteratorI7is_evenIiESF_NSA_11use_defaultESK_EENS0_5tupleIJNSA_16discard_iteratorISK_EESO_EEENSM_IJSG_SG_EEES6_PlJS6_EEE10hipError_tPvRmT3_T4_T5_T6_T7_T9_mT8_P12ihipStream_tbDpT10_ENKUlT_T0_E_clISt17integral_constantIbLb0EES1A_IbLb1EEEEDaS16_S17_EUlS16_E_NS1_11comp_targetILNS1_3genE2ELNS1_11target_archE906ELNS1_3gpuE6ELNS1_3repE0EEENS1_30default_config_static_selectorELNS0_4arch9wavefront6targetE1EEEvT1_
                                        ; -- End function
	.section	.AMDGPU.csdata,"",@progbits
; Kernel info:
; codeLenInByte = 0
; NumSgprs: 4
; NumVgprs: 0
; NumAgprs: 0
; TotalNumVgprs: 0
; ScratchSize: 0
; MemoryBound: 0
; FloatMode: 240
; IeeeMode: 1
; LDSByteSize: 0 bytes/workgroup (compile time only)
; SGPRBlocks: 0
; VGPRBlocks: 0
; NumSGPRsForWavesPerEU: 4
; NumVGPRsForWavesPerEU: 1
; AccumOffset: 4
; Occupancy: 8
; WaveLimiterHint : 0
; COMPUTE_PGM_RSRC2:SCRATCH_EN: 0
; COMPUTE_PGM_RSRC2:USER_SGPR: 6
; COMPUTE_PGM_RSRC2:TRAP_HANDLER: 0
; COMPUTE_PGM_RSRC2:TGID_X_EN: 1
; COMPUTE_PGM_RSRC2:TGID_Y_EN: 0
; COMPUTE_PGM_RSRC2:TGID_Z_EN: 0
; COMPUTE_PGM_RSRC2:TIDIG_COMP_CNT: 0
; COMPUTE_PGM_RSRC3_GFX90A:ACCUM_OFFSET: 0
; COMPUTE_PGM_RSRC3_GFX90A:TG_SPLIT: 0
	.section	.text._ZN7rocprim17ROCPRIM_400000_NS6detail17trampoline_kernelINS0_14default_configENS1_25partition_config_selectorILNS1_17partition_subalgoE1EiNS0_10empty_typeEbEEZZNS1_14partition_implILS5_1ELb0ES3_jN6thrust23THRUST_200600_302600_NS6detail15normal_iteratorINSA_10device_ptrIiEEEEPS6_NSA_18transform_iteratorI7is_evenIiESF_NSA_11use_defaultESK_EENS0_5tupleIJNSA_16discard_iteratorISK_EESO_EEENSM_IJSG_SG_EEES6_PlJS6_EEE10hipError_tPvRmT3_T4_T5_T6_T7_T9_mT8_P12ihipStream_tbDpT10_ENKUlT_T0_E_clISt17integral_constantIbLb0EES1A_IbLb1EEEEDaS16_S17_EUlS16_E_NS1_11comp_targetILNS1_3genE10ELNS1_11target_archE1200ELNS1_3gpuE4ELNS1_3repE0EEENS1_30default_config_static_selectorELNS0_4arch9wavefront6targetE1EEEvT1_,"axG",@progbits,_ZN7rocprim17ROCPRIM_400000_NS6detail17trampoline_kernelINS0_14default_configENS1_25partition_config_selectorILNS1_17partition_subalgoE1EiNS0_10empty_typeEbEEZZNS1_14partition_implILS5_1ELb0ES3_jN6thrust23THRUST_200600_302600_NS6detail15normal_iteratorINSA_10device_ptrIiEEEEPS6_NSA_18transform_iteratorI7is_evenIiESF_NSA_11use_defaultESK_EENS0_5tupleIJNSA_16discard_iteratorISK_EESO_EEENSM_IJSG_SG_EEES6_PlJS6_EEE10hipError_tPvRmT3_T4_T5_T6_T7_T9_mT8_P12ihipStream_tbDpT10_ENKUlT_T0_E_clISt17integral_constantIbLb0EES1A_IbLb1EEEEDaS16_S17_EUlS16_E_NS1_11comp_targetILNS1_3genE10ELNS1_11target_archE1200ELNS1_3gpuE4ELNS1_3repE0EEENS1_30default_config_static_selectorELNS0_4arch9wavefront6targetE1EEEvT1_,comdat
	.protected	_ZN7rocprim17ROCPRIM_400000_NS6detail17trampoline_kernelINS0_14default_configENS1_25partition_config_selectorILNS1_17partition_subalgoE1EiNS0_10empty_typeEbEEZZNS1_14partition_implILS5_1ELb0ES3_jN6thrust23THRUST_200600_302600_NS6detail15normal_iteratorINSA_10device_ptrIiEEEEPS6_NSA_18transform_iteratorI7is_evenIiESF_NSA_11use_defaultESK_EENS0_5tupleIJNSA_16discard_iteratorISK_EESO_EEENSM_IJSG_SG_EEES6_PlJS6_EEE10hipError_tPvRmT3_T4_T5_T6_T7_T9_mT8_P12ihipStream_tbDpT10_ENKUlT_T0_E_clISt17integral_constantIbLb0EES1A_IbLb1EEEEDaS16_S17_EUlS16_E_NS1_11comp_targetILNS1_3genE10ELNS1_11target_archE1200ELNS1_3gpuE4ELNS1_3repE0EEENS1_30default_config_static_selectorELNS0_4arch9wavefront6targetE1EEEvT1_ ; -- Begin function _ZN7rocprim17ROCPRIM_400000_NS6detail17trampoline_kernelINS0_14default_configENS1_25partition_config_selectorILNS1_17partition_subalgoE1EiNS0_10empty_typeEbEEZZNS1_14partition_implILS5_1ELb0ES3_jN6thrust23THRUST_200600_302600_NS6detail15normal_iteratorINSA_10device_ptrIiEEEEPS6_NSA_18transform_iteratorI7is_evenIiESF_NSA_11use_defaultESK_EENS0_5tupleIJNSA_16discard_iteratorISK_EESO_EEENSM_IJSG_SG_EEES6_PlJS6_EEE10hipError_tPvRmT3_T4_T5_T6_T7_T9_mT8_P12ihipStream_tbDpT10_ENKUlT_T0_E_clISt17integral_constantIbLb0EES1A_IbLb1EEEEDaS16_S17_EUlS16_E_NS1_11comp_targetILNS1_3genE10ELNS1_11target_archE1200ELNS1_3gpuE4ELNS1_3repE0EEENS1_30default_config_static_selectorELNS0_4arch9wavefront6targetE1EEEvT1_
	.globl	_ZN7rocprim17ROCPRIM_400000_NS6detail17trampoline_kernelINS0_14default_configENS1_25partition_config_selectorILNS1_17partition_subalgoE1EiNS0_10empty_typeEbEEZZNS1_14partition_implILS5_1ELb0ES3_jN6thrust23THRUST_200600_302600_NS6detail15normal_iteratorINSA_10device_ptrIiEEEEPS6_NSA_18transform_iteratorI7is_evenIiESF_NSA_11use_defaultESK_EENS0_5tupleIJNSA_16discard_iteratorISK_EESO_EEENSM_IJSG_SG_EEES6_PlJS6_EEE10hipError_tPvRmT3_T4_T5_T6_T7_T9_mT8_P12ihipStream_tbDpT10_ENKUlT_T0_E_clISt17integral_constantIbLb0EES1A_IbLb1EEEEDaS16_S17_EUlS16_E_NS1_11comp_targetILNS1_3genE10ELNS1_11target_archE1200ELNS1_3gpuE4ELNS1_3repE0EEENS1_30default_config_static_selectorELNS0_4arch9wavefront6targetE1EEEvT1_
	.p2align	8
	.type	_ZN7rocprim17ROCPRIM_400000_NS6detail17trampoline_kernelINS0_14default_configENS1_25partition_config_selectorILNS1_17partition_subalgoE1EiNS0_10empty_typeEbEEZZNS1_14partition_implILS5_1ELb0ES3_jN6thrust23THRUST_200600_302600_NS6detail15normal_iteratorINSA_10device_ptrIiEEEEPS6_NSA_18transform_iteratorI7is_evenIiESF_NSA_11use_defaultESK_EENS0_5tupleIJNSA_16discard_iteratorISK_EESO_EEENSM_IJSG_SG_EEES6_PlJS6_EEE10hipError_tPvRmT3_T4_T5_T6_T7_T9_mT8_P12ihipStream_tbDpT10_ENKUlT_T0_E_clISt17integral_constantIbLb0EES1A_IbLb1EEEEDaS16_S17_EUlS16_E_NS1_11comp_targetILNS1_3genE10ELNS1_11target_archE1200ELNS1_3gpuE4ELNS1_3repE0EEENS1_30default_config_static_selectorELNS0_4arch9wavefront6targetE1EEEvT1_,@function
_ZN7rocprim17ROCPRIM_400000_NS6detail17trampoline_kernelINS0_14default_configENS1_25partition_config_selectorILNS1_17partition_subalgoE1EiNS0_10empty_typeEbEEZZNS1_14partition_implILS5_1ELb0ES3_jN6thrust23THRUST_200600_302600_NS6detail15normal_iteratorINSA_10device_ptrIiEEEEPS6_NSA_18transform_iteratorI7is_evenIiESF_NSA_11use_defaultESK_EENS0_5tupleIJNSA_16discard_iteratorISK_EESO_EEENSM_IJSG_SG_EEES6_PlJS6_EEE10hipError_tPvRmT3_T4_T5_T6_T7_T9_mT8_P12ihipStream_tbDpT10_ENKUlT_T0_E_clISt17integral_constantIbLb0EES1A_IbLb1EEEEDaS16_S17_EUlS16_E_NS1_11comp_targetILNS1_3genE10ELNS1_11target_archE1200ELNS1_3gpuE4ELNS1_3repE0EEENS1_30default_config_static_selectorELNS0_4arch9wavefront6targetE1EEEvT1_: ; @_ZN7rocprim17ROCPRIM_400000_NS6detail17trampoline_kernelINS0_14default_configENS1_25partition_config_selectorILNS1_17partition_subalgoE1EiNS0_10empty_typeEbEEZZNS1_14partition_implILS5_1ELb0ES3_jN6thrust23THRUST_200600_302600_NS6detail15normal_iteratorINSA_10device_ptrIiEEEEPS6_NSA_18transform_iteratorI7is_evenIiESF_NSA_11use_defaultESK_EENS0_5tupleIJNSA_16discard_iteratorISK_EESO_EEENSM_IJSG_SG_EEES6_PlJS6_EEE10hipError_tPvRmT3_T4_T5_T6_T7_T9_mT8_P12ihipStream_tbDpT10_ENKUlT_T0_E_clISt17integral_constantIbLb0EES1A_IbLb1EEEEDaS16_S17_EUlS16_E_NS1_11comp_targetILNS1_3genE10ELNS1_11target_archE1200ELNS1_3gpuE4ELNS1_3repE0EEENS1_30default_config_static_selectorELNS0_4arch9wavefront6targetE1EEEvT1_
; %bb.0:
	.section	.rodata,"a",@progbits
	.p2align	6, 0x0
	.amdhsa_kernel _ZN7rocprim17ROCPRIM_400000_NS6detail17trampoline_kernelINS0_14default_configENS1_25partition_config_selectorILNS1_17partition_subalgoE1EiNS0_10empty_typeEbEEZZNS1_14partition_implILS5_1ELb0ES3_jN6thrust23THRUST_200600_302600_NS6detail15normal_iteratorINSA_10device_ptrIiEEEEPS6_NSA_18transform_iteratorI7is_evenIiESF_NSA_11use_defaultESK_EENS0_5tupleIJNSA_16discard_iteratorISK_EESO_EEENSM_IJSG_SG_EEES6_PlJS6_EEE10hipError_tPvRmT3_T4_T5_T6_T7_T9_mT8_P12ihipStream_tbDpT10_ENKUlT_T0_E_clISt17integral_constantIbLb0EES1A_IbLb1EEEEDaS16_S17_EUlS16_E_NS1_11comp_targetILNS1_3genE10ELNS1_11target_archE1200ELNS1_3gpuE4ELNS1_3repE0EEENS1_30default_config_static_selectorELNS0_4arch9wavefront6targetE1EEEvT1_
		.amdhsa_group_segment_fixed_size 0
		.amdhsa_private_segment_fixed_size 0
		.amdhsa_kernarg_size 160
		.amdhsa_user_sgpr_count 6
		.amdhsa_user_sgpr_private_segment_buffer 1
		.amdhsa_user_sgpr_dispatch_ptr 0
		.amdhsa_user_sgpr_queue_ptr 0
		.amdhsa_user_sgpr_kernarg_segment_ptr 1
		.amdhsa_user_sgpr_dispatch_id 0
		.amdhsa_user_sgpr_flat_scratch_init 0
		.amdhsa_user_sgpr_kernarg_preload_length 0
		.amdhsa_user_sgpr_kernarg_preload_offset 0
		.amdhsa_user_sgpr_private_segment_size 0
		.amdhsa_uses_dynamic_stack 0
		.amdhsa_system_sgpr_private_segment_wavefront_offset 0
		.amdhsa_system_sgpr_workgroup_id_x 1
		.amdhsa_system_sgpr_workgroup_id_y 0
		.amdhsa_system_sgpr_workgroup_id_z 0
		.amdhsa_system_sgpr_workgroup_info 0
		.amdhsa_system_vgpr_workitem_id 0
		.amdhsa_next_free_vgpr 1
		.amdhsa_next_free_sgpr 0
		.amdhsa_accum_offset 4
		.amdhsa_reserve_vcc 0
		.amdhsa_reserve_flat_scratch 0
		.amdhsa_float_round_mode_32 0
		.amdhsa_float_round_mode_16_64 0
		.amdhsa_float_denorm_mode_32 3
		.amdhsa_float_denorm_mode_16_64 3
		.amdhsa_dx10_clamp 1
		.amdhsa_ieee_mode 1
		.amdhsa_fp16_overflow 0
		.amdhsa_tg_split 0
		.amdhsa_exception_fp_ieee_invalid_op 0
		.amdhsa_exception_fp_denorm_src 0
		.amdhsa_exception_fp_ieee_div_zero 0
		.amdhsa_exception_fp_ieee_overflow 0
		.amdhsa_exception_fp_ieee_underflow 0
		.amdhsa_exception_fp_ieee_inexact 0
		.amdhsa_exception_int_div_zero 0
	.end_amdhsa_kernel
	.section	.text._ZN7rocprim17ROCPRIM_400000_NS6detail17trampoline_kernelINS0_14default_configENS1_25partition_config_selectorILNS1_17partition_subalgoE1EiNS0_10empty_typeEbEEZZNS1_14partition_implILS5_1ELb0ES3_jN6thrust23THRUST_200600_302600_NS6detail15normal_iteratorINSA_10device_ptrIiEEEEPS6_NSA_18transform_iteratorI7is_evenIiESF_NSA_11use_defaultESK_EENS0_5tupleIJNSA_16discard_iteratorISK_EESO_EEENSM_IJSG_SG_EEES6_PlJS6_EEE10hipError_tPvRmT3_T4_T5_T6_T7_T9_mT8_P12ihipStream_tbDpT10_ENKUlT_T0_E_clISt17integral_constantIbLb0EES1A_IbLb1EEEEDaS16_S17_EUlS16_E_NS1_11comp_targetILNS1_3genE10ELNS1_11target_archE1200ELNS1_3gpuE4ELNS1_3repE0EEENS1_30default_config_static_selectorELNS0_4arch9wavefront6targetE1EEEvT1_,"axG",@progbits,_ZN7rocprim17ROCPRIM_400000_NS6detail17trampoline_kernelINS0_14default_configENS1_25partition_config_selectorILNS1_17partition_subalgoE1EiNS0_10empty_typeEbEEZZNS1_14partition_implILS5_1ELb0ES3_jN6thrust23THRUST_200600_302600_NS6detail15normal_iteratorINSA_10device_ptrIiEEEEPS6_NSA_18transform_iteratorI7is_evenIiESF_NSA_11use_defaultESK_EENS0_5tupleIJNSA_16discard_iteratorISK_EESO_EEENSM_IJSG_SG_EEES6_PlJS6_EEE10hipError_tPvRmT3_T4_T5_T6_T7_T9_mT8_P12ihipStream_tbDpT10_ENKUlT_T0_E_clISt17integral_constantIbLb0EES1A_IbLb1EEEEDaS16_S17_EUlS16_E_NS1_11comp_targetILNS1_3genE10ELNS1_11target_archE1200ELNS1_3gpuE4ELNS1_3repE0EEENS1_30default_config_static_selectorELNS0_4arch9wavefront6targetE1EEEvT1_,comdat
.Lfunc_end3288:
	.size	_ZN7rocprim17ROCPRIM_400000_NS6detail17trampoline_kernelINS0_14default_configENS1_25partition_config_selectorILNS1_17partition_subalgoE1EiNS0_10empty_typeEbEEZZNS1_14partition_implILS5_1ELb0ES3_jN6thrust23THRUST_200600_302600_NS6detail15normal_iteratorINSA_10device_ptrIiEEEEPS6_NSA_18transform_iteratorI7is_evenIiESF_NSA_11use_defaultESK_EENS0_5tupleIJNSA_16discard_iteratorISK_EESO_EEENSM_IJSG_SG_EEES6_PlJS6_EEE10hipError_tPvRmT3_T4_T5_T6_T7_T9_mT8_P12ihipStream_tbDpT10_ENKUlT_T0_E_clISt17integral_constantIbLb0EES1A_IbLb1EEEEDaS16_S17_EUlS16_E_NS1_11comp_targetILNS1_3genE10ELNS1_11target_archE1200ELNS1_3gpuE4ELNS1_3repE0EEENS1_30default_config_static_selectorELNS0_4arch9wavefront6targetE1EEEvT1_, .Lfunc_end3288-_ZN7rocprim17ROCPRIM_400000_NS6detail17trampoline_kernelINS0_14default_configENS1_25partition_config_selectorILNS1_17partition_subalgoE1EiNS0_10empty_typeEbEEZZNS1_14partition_implILS5_1ELb0ES3_jN6thrust23THRUST_200600_302600_NS6detail15normal_iteratorINSA_10device_ptrIiEEEEPS6_NSA_18transform_iteratorI7is_evenIiESF_NSA_11use_defaultESK_EENS0_5tupleIJNSA_16discard_iteratorISK_EESO_EEENSM_IJSG_SG_EEES6_PlJS6_EEE10hipError_tPvRmT3_T4_T5_T6_T7_T9_mT8_P12ihipStream_tbDpT10_ENKUlT_T0_E_clISt17integral_constantIbLb0EES1A_IbLb1EEEEDaS16_S17_EUlS16_E_NS1_11comp_targetILNS1_3genE10ELNS1_11target_archE1200ELNS1_3gpuE4ELNS1_3repE0EEENS1_30default_config_static_selectorELNS0_4arch9wavefront6targetE1EEEvT1_
                                        ; -- End function
	.section	.AMDGPU.csdata,"",@progbits
; Kernel info:
; codeLenInByte = 0
; NumSgprs: 4
; NumVgprs: 0
; NumAgprs: 0
; TotalNumVgprs: 0
; ScratchSize: 0
; MemoryBound: 0
; FloatMode: 240
; IeeeMode: 1
; LDSByteSize: 0 bytes/workgroup (compile time only)
; SGPRBlocks: 0
; VGPRBlocks: 0
; NumSGPRsForWavesPerEU: 4
; NumVGPRsForWavesPerEU: 1
; AccumOffset: 4
; Occupancy: 8
; WaveLimiterHint : 0
; COMPUTE_PGM_RSRC2:SCRATCH_EN: 0
; COMPUTE_PGM_RSRC2:USER_SGPR: 6
; COMPUTE_PGM_RSRC2:TRAP_HANDLER: 0
; COMPUTE_PGM_RSRC2:TGID_X_EN: 1
; COMPUTE_PGM_RSRC2:TGID_Y_EN: 0
; COMPUTE_PGM_RSRC2:TGID_Z_EN: 0
; COMPUTE_PGM_RSRC2:TIDIG_COMP_CNT: 0
; COMPUTE_PGM_RSRC3_GFX90A:ACCUM_OFFSET: 0
; COMPUTE_PGM_RSRC3_GFX90A:TG_SPLIT: 0
	.section	.text._ZN7rocprim17ROCPRIM_400000_NS6detail17trampoline_kernelINS0_14default_configENS1_25partition_config_selectorILNS1_17partition_subalgoE1EiNS0_10empty_typeEbEEZZNS1_14partition_implILS5_1ELb0ES3_jN6thrust23THRUST_200600_302600_NS6detail15normal_iteratorINSA_10device_ptrIiEEEEPS6_NSA_18transform_iteratorI7is_evenIiESF_NSA_11use_defaultESK_EENS0_5tupleIJNSA_16discard_iteratorISK_EESO_EEENSM_IJSG_SG_EEES6_PlJS6_EEE10hipError_tPvRmT3_T4_T5_T6_T7_T9_mT8_P12ihipStream_tbDpT10_ENKUlT_T0_E_clISt17integral_constantIbLb0EES1A_IbLb1EEEEDaS16_S17_EUlS16_E_NS1_11comp_targetILNS1_3genE9ELNS1_11target_archE1100ELNS1_3gpuE3ELNS1_3repE0EEENS1_30default_config_static_selectorELNS0_4arch9wavefront6targetE1EEEvT1_,"axG",@progbits,_ZN7rocprim17ROCPRIM_400000_NS6detail17trampoline_kernelINS0_14default_configENS1_25partition_config_selectorILNS1_17partition_subalgoE1EiNS0_10empty_typeEbEEZZNS1_14partition_implILS5_1ELb0ES3_jN6thrust23THRUST_200600_302600_NS6detail15normal_iteratorINSA_10device_ptrIiEEEEPS6_NSA_18transform_iteratorI7is_evenIiESF_NSA_11use_defaultESK_EENS0_5tupleIJNSA_16discard_iteratorISK_EESO_EEENSM_IJSG_SG_EEES6_PlJS6_EEE10hipError_tPvRmT3_T4_T5_T6_T7_T9_mT8_P12ihipStream_tbDpT10_ENKUlT_T0_E_clISt17integral_constantIbLb0EES1A_IbLb1EEEEDaS16_S17_EUlS16_E_NS1_11comp_targetILNS1_3genE9ELNS1_11target_archE1100ELNS1_3gpuE3ELNS1_3repE0EEENS1_30default_config_static_selectorELNS0_4arch9wavefront6targetE1EEEvT1_,comdat
	.protected	_ZN7rocprim17ROCPRIM_400000_NS6detail17trampoline_kernelINS0_14default_configENS1_25partition_config_selectorILNS1_17partition_subalgoE1EiNS0_10empty_typeEbEEZZNS1_14partition_implILS5_1ELb0ES3_jN6thrust23THRUST_200600_302600_NS6detail15normal_iteratorINSA_10device_ptrIiEEEEPS6_NSA_18transform_iteratorI7is_evenIiESF_NSA_11use_defaultESK_EENS0_5tupleIJNSA_16discard_iteratorISK_EESO_EEENSM_IJSG_SG_EEES6_PlJS6_EEE10hipError_tPvRmT3_T4_T5_T6_T7_T9_mT8_P12ihipStream_tbDpT10_ENKUlT_T0_E_clISt17integral_constantIbLb0EES1A_IbLb1EEEEDaS16_S17_EUlS16_E_NS1_11comp_targetILNS1_3genE9ELNS1_11target_archE1100ELNS1_3gpuE3ELNS1_3repE0EEENS1_30default_config_static_selectorELNS0_4arch9wavefront6targetE1EEEvT1_ ; -- Begin function _ZN7rocprim17ROCPRIM_400000_NS6detail17trampoline_kernelINS0_14default_configENS1_25partition_config_selectorILNS1_17partition_subalgoE1EiNS0_10empty_typeEbEEZZNS1_14partition_implILS5_1ELb0ES3_jN6thrust23THRUST_200600_302600_NS6detail15normal_iteratorINSA_10device_ptrIiEEEEPS6_NSA_18transform_iteratorI7is_evenIiESF_NSA_11use_defaultESK_EENS0_5tupleIJNSA_16discard_iteratorISK_EESO_EEENSM_IJSG_SG_EEES6_PlJS6_EEE10hipError_tPvRmT3_T4_T5_T6_T7_T9_mT8_P12ihipStream_tbDpT10_ENKUlT_T0_E_clISt17integral_constantIbLb0EES1A_IbLb1EEEEDaS16_S17_EUlS16_E_NS1_11comp_targetILNS1_3genE9ELNS1_11target_archE1100ELNS1_3gpuE3ELNS1_3repE0EEENS1_30default_config_static_selectorELNS0_4arch9wavefront6targetE1EEEvT1_
	.globl	_ZN7rocprim17ROCPRIM_400000_NS6detail17trampoline_kernelINS0_14default_configENS1_25partition_config_selectorILNS1_17partition_subalgoE1EiNS0_10empty_typeEbEEZZNS1_14partition_implILS5_1ELb0ES3_jN6thrust23THRUST_200600_302600_NS6detail15normal_iteratorINSA_10device_ptrIiEEEEPS6_NSA_18transform_iteratorI7is_evenIiESF_NSA_11use_defaultESK_EENS0_5tupleIJNSA_16discard_iteratorISK_EESO_EEENSM_IJSG_SG_EEES6_PlJS6_EEE10hipError_tPvRmT3_T4_T5_T6_T7_T9_mT8_P12ihipStream_tbDpT10_ENKUlT_T0_E_clISt17integral_constantIbLb0EES1A_IbLb1EEEEDaS16_S17_EUlS16_E_NS1_11comp_targetILNS1_3genE9ELNS1_11target_archE1100ELNS1_3gpuE3ELNS1_3repE0EEENS1_30default_config_static_selectorELNS0_4arch9wavefront6targetE1EEEvT1_
	.p2align	8
	.type	_ZN7rocprim17ROCPRIM_400000_NS6detail17trampoline_kernelINS0_14default_configENS1_25partition_config_selectorILNS1_17partition_subalgoE1EiNS0_10empty_typeEbEEZZNS1_14partition_implILS5_1ELb0ES3_jN6thrust23THRUST_200600_302600_NS6detail15normal_iteratorINSA_10device_ptrIiEEEEPS6_NSA_18transform_iteratorI7is_evenIiESF_NSA_11use_defaultESK_EENS0_5tupleIJNSA_16discard_iteratorISK_EESO_EEENSM_IJSG_SG_EEES6_PlJS6_EEE10hipError_tPvRmT3_T4_T5_T6_T7_T9_mT8_P12ihipStream_tbDpT10_ENKUlT_T0_E_clISt17integral_constantIbLb0EES1A_IbLb1EEEEDaS16_S17_EUlS16_E_NS1_11comp_targetILNS1_3genE9ELNS1_11target_archE1100ELNS1_3gpuE3ELNS1_3repE0EEENS1_30default_config_static_selectorELNS0_4arch9wavefront6targetE1EEEvT1_,@function
_ZN7rocprim17ROCPRIM_400000_NS6detail17trampoline_kernelINS0_14default_configENS1_25partition_config_selectorILNS1_17partition_subalgoE1EiNS0_10empty_typeEbEEZZNS1_14partition_implILS5_1ELb0ES3_jN6thrust23THRUST_200600_302600_NS6detail15normal_iteratorINSA_10device_ptrIiEEEEPS6_NSA_18transform_iteratorI7is_evenIiESF_NSA_11use_defaultESK_EENS0_5tupleIJNSA_16discard_iteratorISK_EESO_EEENSM_IJSG_SG_EEES6_PlJS6_EEE10hipError_tPvRmT3_T4_T5_T6_T7_T9_mT8_P12ihipStream_tbDpT10_ENKUlT_T0_E_clISt17integral_constantIbLb0EES1A_IbLb1EEEEDaS16_S17_EUlS16_E_NS1_11comp_targetILNS1_3genE9ELNS1_11target_archE1100ELNS1_3gpuE3ELNS1_3repE0EEENS1_30default_config_static_selectorELNS0_4arch9wavefront6targetE1EEEvT1_: ; @_ZN7rocprim17ROCPRIM_400000_NS6detail17trampoline_kernelINS0_14default_configENS1_25partition_config_selectorILNS1_17partition_subalgoE1EiNS0_10empty_typeEbEEZZNS1_14partition_implILS5_1ELb0ES3_jN6thrust23THRUST_200600_302600_NS6detail15normal_iteratorINSA_10device_ptrIiEEEEPS6_NSA_18transform_iteratorI7is_evenIiESF_NSA_11use_defaultESK_EENS0_5tupleIJNSA_16discard_iteratorISK_EESO_EEENSM_IJSG_SG_EEES6_PlJS6_EEE10hipError_tPvRmT3_T4_T5_T6_T7_T9_mT8_P12ihipStream_tbDpT10_ENKUlT_T0_E_clISt17integral_constantIbLb0EES1A_IbLb1EEEEDaS16_S17_EUlS16_E_NS1_11comp_targetILNS1_3genE9ELNS1_11target_archE1100ELNS1_3gpuE3ELNS1_3repE0EEENS1_30default_config_static_selectorELNS0_4arch9wavefront6targetE1EEEvT1_
; %bb.0:
	.section	.rodata,"a",@progbits
	.p2align	6, 0x0
	.amdhsa_kernel _ZN7rocprim17ROCPRIM_400000_NS6detail17trampoline_kernelINS0_14default_configENS1_25partition_config_selectorILNS1_17partition_subalgoE1EiNS0_10empty_typeEbEEZZNS1_14partition_implILS5_1ELb0ES3_jN6thrust23THRUST_200600_302600_NS6detail15normal_iteratorINSA_10device_ptrIiEEEEPS6_NSA_18transform_iteratorI7is_evenIiESF_NSA_11use_defaultESK_EENS0_5tupleIJNSA_16discard_iteratorISK_EESO_EEENSM_IJSG_SG_EEES6_PlJS6_EEE10hipError_tPvRmT3_T4_T5_T6_T7_T9_mT8_P12ihipStream_tbDpT10_ENKUlT_T0_E_clISt17integral_constantIbLb0EES1A_IbLb1EEEEDaS16_S17_EUlS16_E_NS1_11comp_targetILNS1_3genE9ELNS1_11target_archE1100ELNS1_3gpuE3ELNS1_3repE0EEENS1_30default_config_static_selectorELNS0_4arch9wavefront6targetE1EEEvT1_
		.amdhsa_group_segment_fixed_size 0
		.amdhsa_private_segment_fixed_size 0
		.amdhsa_kernarg_size 160
		.amdhsa_user_sgpr_count 6
		.amdhsa_user_sgpr_private_segment_buffer 1
		.amdhsa_user_sgpr_dispatch_ptr 0
		.amdhsa_user_sgpr_queue_ptr 0
		.amdhsa_user_sgpr_kernarg_segment_ptr 1
		.amdhsa_user_sgpr_dispatch_id 0
		.amdhsa_user_sgpr_flat_scratch_init 0
		.amdhsa_user_sgpr_kernarg_preload_length 0
		.amdhsa_user_sgpr_kernarg_preload_offset 0
		.amdhsa_user_sgpr_private_segment_size 0
		.amdhsa_uses_dynamic_stack 0
		.amdhsa_system_sgpr_private_segment_wavefront_offset 0
		.amdhsa_system_sgpr_workgroup_id_x 1
		.amdhsa_system_sgpr_workgroup_id_y 0
		.amdhsa_system_sgpr_workgroup_id_z 0
		.amdhsa_system_sgpr_workgroup_info 0
		.amdhsa_system_vgpr_workitem_id 0
		.amdhsa_next_free_vgpr 1
		.amdhsa_next_free_sgpr 0
		.amdhsa_accum_offset 4
		.amdhsa_reserve_vcc 0
		.amdhsa_reserve_flat_scratch 0
		.amdhsa_float_round_mode_32 0
		.amdhsa_float_round_mode_16_64 0
		.amdhsa_float_denorm_mode_32 3
		.amdhsa_float_denorm_mode_16_64 3
		.amdhsa_dx10_clamp 1
		.amdhsa_ieee_mode 1
		.amdhsa_fp16_overflow 0
		.amdhsa_tg_split 0
		.amdhsa_exception_fp_ieee_invalid_op 0
		.amdhsa_exception_fp_denorm_src 0
		.amdhsa_exception_fp_ieee_div_zero 0
		.amdhsa_exception_fp_ieee_overflow 0
		.amdhsa_exception_fp_ieee_underflow 0
		.amdhsa_exception_fp_ieee_inexact 0
		.amdhsa_exception_int_div_zero 0
	.end_amdhsa_kernel
	.section	.text._ZN7rocprim17ROCPRIM_400000_NS6detail17trampoline_kernelINS0_14default_configENS1_25partition_config_selectorILNS1_17partition_subalgoE1EiNS0_10empty_typeEbEEZZNS1_14partition_implILS5_1ELb0ES3_jN6thrust23THRUST_200600_302600_NS6detail15normal_iteratorINSA_10device_ptrIiEEEEPS6_NSA_18transform_iteratorI7is_evenIiESF_NSA_11use_defaultESK_EENS0_5tupleIJNSA_16discard_iteratorISK_EESO_EEENSM_IJSG_SG_EEES6_PlJS6_EEE10hipError_tPvRmT3_T4_T5_T6_T7_T9_mT8_P12ihipStream_tbDpT10_ENKUlT_T0_E_clISt17integral_constantIbLb0EES1A_IbLb1EEEEDaS16_S17_EUlS16_E_NS1_11comp_targetILNS1_3genE9ELNS1_11target_archE1100ELNS1_3gpuE3ELNS1_3repE0EEENS1_30default_config_static_selectorELNS0_4arch9wavefront6targetE1EEEvT1_,"axG",@progbits,_ZN7rocprim17ROCPRIM_400000_NS6detail17trampoline_kernelINS0_14default_configENS1_25partition_config_selectorILNS1_17partition_subalgoE1EiNS0_10empty_typeEbEEZZNS1_14partition_implILS5_1ELb0ES3_jN6thrust23THRUST_200600_302600_NS6detail15normal_iteratorINSA_10device_ptrIiEEEEPS6_NSA_18transform_iteratorI7is_evenIiESF_NSA_11use_defaultESK_EENS0_5tupleIJNSA_16discard_iteratorISK_EESO_EEENSM_IJSG_SG_EEES6_PlJS6_EEE10hipError_tPvRmT3_T4_T5_T6_T7_T9_mT8_P12ihipStream_tbDpT10_ENKUlT_T0_E_clISt17integral_constantIbLb0EES1A_IbLb1EEEEDaS16_S17_EUlS16_E_NS1_11comp_targetILNS1_3genE9ELNS1_11target_archE1100ELNS1_3gpuE3ELNS1_3repE0EEENS1_30default_config_static_selectorELNS0_4arch9wavefront6targetE1EEEvT1_,comdat
.Lfunc_end3289:
	.size	_ZN7rocprim17ROCPRIM_400000_NS6detail17trampoline_kernelINS0_14default_configENS1_25partition_config_selectorILNS1_17partition_subalgoE1EiNS0_10empty_typeEbEEZZNS1_14partition_implILS5_1ELb0ES3_jN6thrust23THRUST_200600_302600_NS6detail15normal_iteratorINSA_10device_ptrIiEEEEPS6_NSA_18transform_iteratorI7is_evenIiESF_NSA_11use_defaultESK_EENS0_5tupleIJNSA_16discard_iteratorISK_EESO_EEENSM_IJSG_SG_EEES6_PlJS6_EEE10hipError_tPvRmT3_T4_T5_T6_T7_T9_mT8_P12ihipStream_tbDpT10_ENKUlT_T0_E_clISt17integral_constantIbLb0EES1A_IbLb1EEEEDaS16_S17_EUlS16_E_NS1_11comp_targetILNS1_3genE9ELNS1_11target_archE1100ELNS1_3gpuE3ELNS1_3repE0EEENS1_30default_config_static_selectorELNS0_4arch9wavefront6targetE1EEEvT1_, .Lfunc_end3289-_ZN7rocprim17ROCPRIM_400000_NS6detail17trampoline_kernelINS0_14default_configENS1_25partition_config_selectorILNS1_17partition_subalgoE1EiNS0_10empty_typeEbEEZZNS1_14partition_implILS5_1ELb0ES3_jN6thrust23THRUST_200600_302600_NS6detail15normal_iteratorINSA_10device_ptrIiEEEEPS6_NSA_18transform_iteratorI7is_evenIiESF_NSA_11use_defaultESK_EENS0_5tupleIJNSA_16discard_iteratorISK_EESO_EEENSM_IJSG_SG_EEES6_PlJS6_EEE10hipError_tPvRmT3_T4_T5_T6_T7_T9_mT8_P12ihipStream_tbDpT10_ENKUlT_T0_E_clISt17integral_constantIbLb0EES1A_IbLb1EEEEDaS16_S17_EUlS16_E_NS1_11comp_targetILNS1_3genE9ELNS1_11target_archE1100ELNS1_3gpuE3ELNS1_3repE0EEENS1_30default_config_static_selectorELNS0_4arch9wavefront6targetE1EEEvT1_
                                        ; -- End function
	.section	.AMDGPU.csdata,"",@progbits
; Kernel info:
; codeLenInByte = 0
; NumSgprs: 4
; NumVgprs: 0
; NumAgprs: 0
; TotalNumVgprs: 0
; ScratchSize: 0
; MemoryBound: 0
; FloatMode: 240
; IeeeMode: 1
; LDSByteSize: 0 bytes/workgroup (compile time only)
; SGPRBlocks: 0
; VGPRBlocks: 0
; NumSGPRsForWavesPerEU: 4
; NumVGPRsForWavesPerEU: 1
; AccumOffset: 4
; Occupancy: 8
; WaveLimiterHint : 0
; COMPUTE_PGM_RSRC2:SCRATCH_EN: 0
; COMPUTE_PGM_RSRC2:USER_SGPR: 6
; COMPUTE_PGM_RSRC2:TRAP_HANDLER: 0
; COMPUTE_PGM_RSRC2:TGID_X_EN: 1
; COMPUTE_PGM_RSRC2:TGID_Y_EN: 0
; COMPUTE_PGM_RSRC2:TGID_Z_EN: 0
; COMPUTE_PGM_RSRC2:TIDIG_COMP_CNT: 0
; COMPUTE_PGM_RSRC3_GFX90A:ACCUM_OFFSET: 0
; COMPUTE_PGM_RSRC3_GFX90A:TG_SPLIT: 0
	.section	.text._ZN7rocprim17ROCPRIM_400000_NS6detail17trampoline_kernelINS0_14default_configENS1_25partition_config_selectorILNS1_17partition_subalgoE1EiNS0_10empty_typeEbEEZZNS1_14partition_implILS5_1ELb0ES3_jN6thrust23THRUST_200600_302600_NS6detail15normal_iteratorINSA_10device_ptrIiEEEEPS6_NSA_18transform_iteratorI7is_evenIiESF_NSA_11use_defaultESK_EENS0_5tupleIJNSA_16discard_iteratorISK_EESO_EEENSM_IJSG_SG_EEES6_PlJS6_EEE10hipError_tPvRmT3_T4_T5_T6_T7_T9_mT8_P12ihipStream_tbDpT10_ENKUlT_T0_E_clISt17integral_constantIbLb0EES1A_IbLb1EEEEDaS16_S17_EUlS16_E_NS1_11comp_targetILNS1_3genE8ELNS1_11target_archE1030ELNS1_3gpuE2ELNS1_3repE0EEENS1_30default_config_static_selectorELNS0_4arch9wavefront6targetE1EEEvT1_,"axG",@progbits,_ZN7rocprim17ROCPRIM_400000_NS6detail17trampoline_kernelINS0_14default_configENS1_25partition_config_selectorILNS1_17partition_subalgoE1EiNS0_10empty_typeEbEEZZNS1_14partition_implILS5_1ELb0ES3_jN6thrust23THRUST_200600_302600_NS6detail15normal_iteratorINSA_10device_ptrIiEEEEPS6_NSA_18transform_iteratorI7is_evenIiESF_NSA_11use_defaultESK_EENS0_5tupleIJNSA_16discard_iteratorISK_EESO_EEENSM_IJSG_SG_EEES6_PlJS6_EEE10hipError_tPvRmT3_T4_T5_T6_T7_T9_mT8_P12ihipStream_tbDpT10_ENKUlT_T0_E_clISt17integral_constantIbLb0EES1A_IbLb1EEEEDaS16_S17_EUlS16_E_NS1_11comp_targetILNS1_3genE8ELNS1_11target_archE1030ELNS1_3gpuE2ELNS1_3repE0EEENS1_30default_config_static_selectorELNS0_4arch9wavefront6targetE1EEEvT1_,comdat
	.protected	_ZN7rocprim17ROCPRIM_400000_NS6detail17trampoline_kernelINS0_14default_configENS1_25partition_config_selectorILNS1_17partition_subalgoE1EiNS0_10empty_typeEbEEZZNS1_14partition_implILS5_1ELb0ES3_jN6thrust23THRUST_200600_302600_NS6detail15normal_iteratorINSA_10device_ptrIiEEEEPS6_NSA_18transform_iteratorI7is_evenIiESF_NSA_11use_defaultESK_EENS0_5tupleIJNSA_16discard_iteratorISK_EESO_EEENSM_IJSG_SG_EEES6_PlJS6_EEE10hipError_tPvRmT3_T4_T5_T6_T7_T9_mT8_P12ihipStream_tbDpT10_ENKUlT_T0_E_clISt17integral_constantIbLb0EES1A_IbLb1EEEEDaS16_S17_EUlS16_E_NS1_11comp_targetILNS1_3genE8ELNS1_11target_archE1030ELNS1_3gpuE2ELNS1_3repE0EEENS1_30default_config_static_selectorELNS0_4arch9wavefront6targetE1EEEvT1_ ; -- Begin function _ZN7rocprim17ROCPRIM_400000_NS6detail17trampoline_kernelINS0_14default_configENS1_25partition_config_selectorILNS1_17partition_subalgoE1EiNS0_10empty_typeEbEEZZNS1_14partition_implILS5_1ELb0ES3_jN6thrust23THRUST_200600_302600_NS6detail15normal_iteratorINSA_10device_ptrIiEEEEPS6_NSA_18transform_iteratorI7is_evenIiESF_NSA_11use_defaultESK_EENS0_5tupleIJNSA_16discard_iteratorISK_EESO_EEENSM_IJSG_SG_EEES6_PlJS6_EEE10hipError_tPvRmT3_T4_T5_T6_T7_T9_mT8_P12ihipStream_tbDpT10_ENKUlT_T0_E_clISt17integral_constantIbLb0EES1A_IbLb1EEEEDaS16_S17_EUlS16_E_NS1_11comp_targetILNS1_3genE8ELNS1_11target_archE1030ELNS1_3gpuE2ELNS1_3repE0EEENS1_30default_config_static_selectorELNS0_4arch9wavefront6targetE1EEEvT1_
	.globl	_ZN7rocprim17ROCPRIM_400000_NS6detail17trampoline_kernelINS0_14default_configENS1_25partition_config_selectorILNS1_17partition_subalgoE1EiNS0_10empty_typeEbEEZZNS1_14partition_implILS5_1ELb0ES3_jN6thrust23THRUST_200600_302600_NS6detail15normal_iteratorINSA_10device_ptrIiEEEEPS6_NSA_18transform_iteratorI7is_evenIiESF_NSA_11use_defaultESK_EENS0_5tupleIJNSA_16discard_iteratorISK_EESO_EEENSM_IJSG_SG_EEES6_PlJS6_EEE10hipError_tPvRmT3_T4_T5_T6_T7_T9_mT8_P12ihipStream_tbDpT10_ENKUlT_T0_E_clISt17integral_constantIbLb0EES1A_IbLb1EEEEDaS16_S17_EUlS16_E_NS1_11comp_targetILNS1_3genE8ELNS1_11target_archE1030ELNS1_3gpuE2ELNS1_3repE0EEENS1_30default_config_static_selectorELNS0_4arch9wavefront6targetE1EEEvT1_
	.p2align	8
	.type	_ZN7rocprim17ROCPRIM_400000_NS6detail17trampoline_kernelINS0_14default_configENS1_25partition_config_selectorILNS1_17partition_subalgoE1EiNS0_10empty_typeEbEEZZNS1_14partition_implILS5_1ELb0ES3_jN6thrust23THRUST_200600_302600_NS6detail15normal_iteratorINSA_10device_ptrIiEEEEPS6_NSA_18transform_iteratorI7is_evenIiESF_NSA_11use_defaultESK_EENS0_5tupleIJNSA_16discard_iteratorISK_EESO_EEENSM_IJSG_SG_EEES6_PlJS6_EEE10hipError_tPvRmT3_T4_T5_T6_T7_T9_mT8_P12ihipStream_tbDpT10_ENKUlT_T0_E_clISt17integral_constantIbLb0EES1A_IbLb1EEEEDaS16_S17_EUlS16_E_NS1_11comp_targetILNS1_3genE8ELNS1_11target_archE1030ELNS1_3gpuE2ELNS1_3repE0EEENS1_30default_config_static_selectorELNS0_4arch9wavefront6targetE1EEEvT1_,@function
_ZN7rocprim17ROCPRIM_400000_NS6detail17trampoline_kernelINS0_14default_configENS1_25partition_config_selectorILNS1_17partition_subalgoE1EiNS0_10empty_typeEbEEZZNS1_14partition_implILS5_1ELb0ES3_jN6thrust23THRUST_200600_302600_NS6detail15normal_iteratorINSA_10device_ptrIiEEEEPS6_NSA_18transform_iteratorI7is_evenIiESF_NSA_11use_defaultESK_EENS0_5tupleIJNSA_16discard_iteratorISK_EESO_EEENSM_IJSG_SG_EEES6_PlJS6_EEE10hipError_tPvRmT3_T4_T5_T6_T7_T9_mT8_P12ihipStream_tbDpT10_ENKUlT_T0_E_clISt17integral_constantIbLb0EES1A_IbLb1EEEEDaS16_S17_EUlS16_E_NS1_11comp_targetILNS1_3genE8ELNS1_11target_archE1030ELNS1_3gpuE2ELNS1_3repE0EEENS1_30default_config_static_selectorELNS0_4arch9wavefront6targetE1EEEvT1_: ; @_ZN7rocprim17ROCPRIM_400000_NS6detail17trampoline_kernelINS0_14default_configENS1_25partition_config_selectorILNS1_17partition_subalgoE1EiNS0_10empty_typeEbEEZZNS1_14partition_implILS5_1ELb0ES3_jN6thrust23THRUST_200600_302600_NS6detail15normal_iteratorINSA_10device_ptrIiEEEEPS6_NSA_18transform_iteratorI7is_evenIiESF_NSA_11use_defaultESK_EENS0_5tupleIJNSA_16discard_iteratorISK_EESO_EEENSM_IJSG_SG_EEES6_PlJS6_EEE10hipError_tPvRmT3_T4_T5_T6_T7_T9_mT8_P12ihipStream_tbDpT10_ENKUlT_T0_E_clISt17integral_constantIbLb0EES1A_IbLb1EEEEDaS16_S17_EUlS16_E_NS1_11comp_targetILNS1_3genE8ELNS1_11target_archE1030ELNS1_3gpuE2ELNS1_3repE0EEENS1_30default_config_static_selectorELNS0_4arch9wavefront6targetE1EEEvT1_
; %bb.0:
	.section	.rodata,"a",@progbits
	.p2align	6, 0x0
	.amdhsa_kernel _ZN7rocprim17ROCPRIM_400000_NS6detail17trampoline_kernelINS0_14default_configENS1_25partition_config_selectorILNS1_17partition_subalgoE1EiNS0_10empty_typeEbEEZZNS1_14partition_implILS5_1ELb0ES3_jN6thrust23THRUST_200600_302600_NS6detail15normal_iteratorINSA_10device_ptrIiEEEEPS6_NSA_18transform_iteratorI7is_evenIiESF_NSA_11use_defaultESK_EENS0_5tupleIJNSA_16discard_iteratorISK_EESO_EEENSM_IJSG_SG_EEES6_PlJS6_EEE10hipError_tPvRmT3_T4_T5_T6_T7_T9_mT8_P12ihipStream_tbDpT10_ENKUlT_T0_E_clISt17integral_constantIbLb0EES1A_IbLb1EEEEDaS16_S17_EUlS16_E_NS1_11comp_targetILNS1_3genE8ELNS1_11target_archE1030ELNS1_3gpuE2ELNS1_3repE0EEENS1_30default_config_static_selectorELNS0_4arch9wavefront6targetE1EEEvT1_
		.amdhsa_group_segment_fixed_size 0
		.amdhsa_private_segment_fixed_size 0
		.amdhsa_kernarg_size 160
		.amdhsa_user_sgpr_count 6
		.amdhsa_user_sgpr_private_segment_buffer 1
		.amdhsa_user_sgpr_dispatch_ptr 0
		.amdhsa_user_sgpr_queue_ptr 0
		.amdhsa_user_sgpr_kernarg_segment_ptr 1
		.amdhsa_user_sgpr_dispatch_id 0
		.amdhsa_user_sgpr_flat_scratch_init 0
		.amdhsa_user_sgpr_kernarg_preload_length 0
		.amdhsa_user_sgpr_kernarg_preload_offset 0
		.amdhsa_user_sgpr_private_segment_size 0
		.amdhsa_uses_dynamic_stack 0
		.amdhsa_system_sgpr_private_segment_wavefront_offset 0
		.amdhsa_system_sgpr_workgroup_id_x 1
		.amdhsa_system_sgpr_workgroup_id_y 0
		.amdhsa_system_sgpr_workgroup_id_z 0
		.amdhsa_system_sgpr_workgroup_info 0
		.amdhsa_system_vgpr_workitem_id 0
		.amdhsa_next_free_vgpr 1
		.amdhsa_next_free_sgpr 0
		.amdhsa_accum_offset 4
		.amdhsa_reserve_vcc 0
		.amdhsa_reserve_flat_scratch 0
		.amdhsa_float_round_mode_32 0
		.amdhsa_float_round_mode_16_64 0
		.amdhsa_float_denorm_mode_32 3
		.amdhsa_float_denorm_mode_16_64 3
		.amdhsa_dx10_clamp 1
		.amdhsa_ieee_mode 1
		.amdhsa_fp16_overflow 0
		.amdhsa_tg_split 0
		.amdhsa_exception_fp_ieee_invalid_op 0
		.amdhsa_exception_fp_denorm_src 0
		.amdhsa_exception_fp_ieee_div_zero 0
		.amdhsa_exception_fp_ieee_overflow 0
		.amdhsa_exception_fp_ieee_underflow 0
		.amdhsa_exception_fp_ieee_inexact 0
		.amdhsa_exception_int_div_zero 0
	.end_amdhsa_kernel
	.section	.text._ZN7rocprim17ROCPRIM_400000_NS6detail17trampoline_kernelINS0_14default_configENS1_25partition_config_selectorILNS1_17partition_subalgoE1EiNS0_10empty_typeEbEEZZNS1_14partition_implILS5_1ELb0ES3_jN6thrust23THRUST_200600_302600_NS6detail15normal_iteratorINSA_10device_ptrIiEEEEPS6_NSA_18transform_iteratorI7is_evenIiESF_NSA_11use_defaultESK_EENS0_5tupleIJNSA_16discard_iteratorISK_EESO_EEENSM_IJSG_SG_EEES6_PlJS6_EEE10hipError_tPvRmT3_T4_T5_T6_T7_T9_mT8_P12ihipStream_tbDpT10_ENKUlT_T0_E_clISt17integral_constantIbLb0EES1A_IbLb1EEEEDaS16_S17_EUlS16_E_NS1_11comp_targetILNS1_3genE8ELNS1_11target_archE1030ELNS1_3gpuE2ELNS1_3repE0EEENS1_30default_config_static_selectorELNS0_4arch9wavefront6targetE1EEEvT1_,"axG",@progbits,_ZN7rocprim17ROCPRIM_400000_NS6detail17trampoline_kernelINS0_14default_configENS1_25partition_config_selectorILNS1_17partition_subalgoE1EiNS0_10empty_typeEbEEZZNS1_14partition_implILS5_1ELb0ES3_jN6thrust23THRUST_200600_302600_NS6detail15normal_iteratorINSA_10device_ptrIiEEEEPS6_NSA_18transform_iteratorI7is_evenIiESF_NSA_11use_defaultESK_EENS0_5tupleIJNSA_16discard_iteratorISK_EESO_EEENSM_IJSG_SG_EEES6_PlJS6_EEE10hipError_tPvRmT3_T4_T5_T6_T7_T9_mT8_P12ihipStream_tbDpT10_ENKUlT_T0_E_clISt17integral_constantIbLb0EES1A_IbLb1EEEEDaS16_S17_EUlS16_E_NS1_11comp_targetILNS1_3genE8ELNS1_11target_archE1030ELNS1_3gpuE2ELNS1_3repE0EEENS1_30default_config_static_selectorELNS0_4arch9wavefront6targetE1EEEvT1_,comdat
.Lfunc_end3290:
	.size	_ZN7rocprim17ROCPRIM_400000_NS6detail17trampoline_kernelINS0_14default_configENS1_25partition_config_selectorILNS1_17partition_subalgoE1EiNS0_10empty_typeEbEEZZNS1_14partition_implILS5_1ELb0ES3_jN6thrust23THRUST_200600_302600_NS6detail15normal_iteratorINSA_10device_ptrIiEEEEPS6_NSA_18transform_iteratorI7is_evenIiESF_NSA_11use_defaultESK_EENS0_5tupleIJNSA_16discard_iteratorISK_EESO_EEENSM_IJSG_SG_EEES6_PlJS6_EEE10hipError_tPvRmT3_T4_T5_T6_T7_T9_mT8_P12ihipStream_tbDpT10_ENKUlT_T0_E_clISt17integral_constantIbLb0EES1A_IbLb1EEEEDaS16_S17_EUlS16_E_NS1_11comp_targetILNS1_3genE8ELNS1_11target_archE1030ELNS1_3gpuE2ELNS1_3repE0EEENS1_30default_config_static_selectorELNS0_4arch9wavefront6targetE1EEEvT1_, .Lfunc_end3290-_ZN7rocprim17ROCPRIM_400000_NS6detail17trampoline_kernelINS0_14default_configENS1_25partition_config_selectorILNS1_17partition_subalgoE1EiNS0_10empty_typeEbEEZZNS1_14partition_implILS5_1ELb0ES3_jN6thrust23THRUST_200600_302600_NS6detail15normal_iteratorINSA_10device_ptrIiEEEEPS6_NSA_18transform_iteratorI7is_evenIiESF_NSA_11use_defaultESK_EENS0_5tupleIJNSA_16discard_iteratorISK_EESO_EEENSM_IJSG_SG_EEES6_PlJS6_EEE10hipError_tPvRmT3_T4_T5_T6_T7_T9_mT8_P12ihipStream_tbDpT10_ENKUlT_T0_E_clISt17integral_constantIbLb0EES1A_IbLb1EEEEDaS16_S17_EUlS16_E_NS1_11comp_targetILNS1_3genE8ELNS1_11target_archE1030ELNS1_3gpuE2ELNS1_3repE0EEENS1_30default_config_static_selectorELNS0_4arch9wavefront6targetE1EEEvT1_
                                        ; -- End function
	.section	.AMDGPU.csdata,"",@progbits
; Kernel info:
; codeLenInByte = 0
; NumSgprs: 4
; NumVgprs: 0
; NumAgprs: 0
; TotalNumVgprs: 0
; ScratchSize: 0
; MemoryBound: 0
; FloatMode: 240
; IeeeMode: 1
; LDSByteSize: 0 bytes/workgroup (compile time only)
; SGPRBlocks: 0
; VGPRBlocks: 0
; NumSGPRsForWavesPerEU: 4
; NumVGPRsForWavesPerEU: 1
; AccumOffset: 4
; Occupancy: 8
; WaveLimiterHint : 0
; COMPUTE_PGM_RSRC2:SCRATCH_EN: 0
; COMPUTE_PGM_RSRC2:USER_SGPR: 6
; COMPUTE_PGM_RSRC2:TRAP_HANDLER: 0
; COMPUTE_PGM_RSRC2:TGID_X_EN: 1
; COMPUTE_PGM_RSRC2:TGID_Y_EN: 0
; COMPUTE_PGM_RSRC2:TGID_Z_EN: 0
; COMPUTE_PGM_RSRC2:TIDIG_COMP_CNT: 0
; COMPUTE_PGM_RSRC3_GFX90A:ACCUM_OFFSET: 0
; COMPUTE_PGM_RSRC3_GFX90A:TG_SPLIT: 0
	.section	.text._ZN7rocprim17ROCPRIM_400000_NS6detail17trampoline_kernelINS0_14default_configENS1_25partition_config_selectorILNS1_17partition_subalgoE1EiNS0_10empty_typeEbEEZZNS1_14partition_implILS5_1ELb0ES3_jN6thrust23THRUST_200600_302600_NS6detail15normal_iteratorINSA_10device_ptrIiEEEEPS6_NSA_18transform_iteratorI7is_evenIiESF_NSA_11use_defaultESK_EENS0_5tupleIJSF_NSA_16discard_iteratorISK_EEEEENSM_IJSG_SG_EEES6_PlJS6_EEE10hipError_tPvRmT3_T4_T5_T6_T7_T9_mT8_P12ihipStream_tbDpT10_ENKUlT_T0_E_clISt17integral_constantIbLb0EES1B_EEDaS16_S17_EUlS16_E_NS1_11comp_targetILNS1_3genE0ELNS1_11target_archE4294967295ELNS1_3gpuE0ELNS1_3repE0EEENS1_30default_config_static_selectorELNS0_4arch9wavefront6targetE1EEEvT1_,"axG",@progbits,_ZN7rocprim17ROCPRIM_400000_NS6detail17trampoline_kernelINS0_14default_configENS1_25partition_config_selectorILNS1_17partition_subalgoE1EiNS0_10empty_typeEbEEZZNS1_14partition_implILS5_1ELb0ES3_jN6thrust23THRUST_200600_302600_NS6detail15normal_iteratorINSA_10device_ptrIiEEEEPS6_NSA_18transform_iteratorI7is_evenIiESF_NSA_11use_defaultESK_EENS0_5tupleIJSF_NSA_16discard_iteratorISK_EEEEENSM_IJSG_SG_EEES6_PlJS6_EEE10hipError_tPvRmT3_T4_T5_T6_T7_T9_mT8_P12ihipStream_tbDpT10_ENKUlT_T0_E_clISt17integral_constantIbLb0EES1B_EEDaS16_S17_EUlS16_E_NS1_11comp_targetILNS1_3genE0ELNS1_11target_archE4294967295ELNS1_3gpuE0ELNS1_3repE0EEENS1_30default_config_static_selectorELNS0_4arch9wavefront6targetE1EEEvT1_,comdat
	.protected	_ZN7rocprim17ROCPRIM_400000_NS6detail17trampoline_kernelINS0_14default_configENS1_25partition_config_selectorILNS1_17partition_subalgoE1EiNS0_10empty_typeEbEEZZNS1_14partition_implILS5_1ELb0ES3_jN6thrust23THRUST_200600_302600_NS6detail15normal_iteratorINSA_10device_ptrIiEEEEPS6_NSA_18transform_iteratorI7is_evenIiESF_NSA_11use_defaultESK_EENS0_5tupleIJSF_NSA_16discard_iteratorISK_EEEEENSM_IJSG_SG_EEES6_PlJS6_EEE10hipError_tPvRmT3_T4_T5_T6_T7_T9_mT8_P12ihipStream_tbDpT10_ENKUlT_T0_E_clISt17integral_constantIbLb0EES1B_EEDaS16_S17_EUlS16_E_NS1_11comp_targetILNS1_3genE0ELNS1_11target_archE4294967295ELNS1_3gpuE0ELNS1_3repE0EEENS1_30default_config_static_selectorELNS0_4arch9wavefront6targetE1EEEvT1_ ; -- Begin function _ZN7rocprim17ROCPRIM_400000_NS6detail17trampoline_kernelINS0_14default_configENS1_25partition_config_selectorILNS1_17partition_subalgoE1EiNS0_10empty_typeEbEEZZNS1_14partition_implILS5_1ELb0ES3_jN6thrust23THRUST_200600_302600_NS6detail15normal_iteratorINSA_10device_ptrIiEEEEPS6_NSA_18transform_iteratorI7is_evenIiESF_NSA_11use_defaultESK_EENS0_5tupleIJSF_NSA_16discard_iteratorISK_EEEEENSM_IJSG_SG_EEES6_PlJS6_EEE10hipError_tPvRmT3_T4_T5_T6_T7_T9_mT8_P12ihipStream_tbDpT10_ENKUlT_T0_E_clISt17integral_constantIbLb0EES1B_EEDaS16_S17_EUlS16_E_NS1_11comp_targetILNS1_3genE0ELNS1_11target_archE4294967295ELNS1_3gpuE0ELNS1_3repE0EEENS1_30default_config_static_selectorELNS0_4arch9wavefront6targetE1EEEvT1_
	.globl	_ZN7rocprim17ROCPRIM_400000_NS6detail17trampoline_kernelINS0_14default_configENS1_25partition_config_selectorILNS1_17partition_subalgoE1EiNS0_10empty_typeEbEEZZNS1_14partition_implILS5_1ELb0ES3_jN6thrust23THRUST_200600_302600_NS6detail15normal_iteratorINSA_10device_ptrIiEEEEPS6_NSA_18transform_iteratorI7is_evenIiESF_NSA_11use_defaultESK_EENS0_5tupleIJSF_NSA_16discard_iteratorISK_EEEEENSM_IJSG_SG_EEES6_PlJS6_EEE10hipError_tPvRmT3_T4_T5_T6_T7_T9_mT8_P12ihipStream_tbDpT10_ENKUlT_T0_E_clISt17integral_constantIbLb0EES1B_EEDaS16_S17_EUlS16_E_NS1_11comp_targetILNS1_3genE0ELNS1_11target_archE4294967295ELNS1_3gpuE0ELNS1_3repE0EEENS1_30default_config_static_selectorELNS0_4arch9wavefront6targetE1EEEvT1_
	.p2align	8
	.type	_ZN7rocprim17ROCPRIM_400000_NS6detail17trampoline_kernelINS0_14default_configENS1_25partition_config_selectorILNS1_17partition_subalgoE1EiNS0_10empty_typeEbEEZZNS1_14partition_implILS5_1ELb0ES3_jN6thrust23THRUST_200600_302600_NS6detail15normal_iteratorINSA_10device_ptrIiEEEEPS6_NSA_18transform_iteratorI7is_evenIiESF_NSA_11use_defaultESK_EENS0_5tupleIJSF_NSA_16discard_iteratorISK_EEEEENSM_IJSG_SG_EEES6_PlJS6_EEE10hipError_tPvRmT3_T4_T5_T6_T7_T9_mT8_P12ihipStream_tbDpT10_ENKUlT_T0_E_clISt17integral_constantIbLb0EES1B_EEDaS16_S17_EUlS16_E_NS1_11comp_targetILNS1_3genE0ELNS1_11target_archE4294967295ELNS1_3gpuE0ELNS1_3repE0EEENS1_30default_config_static_selectorELNS0_4arch9wavefront6targetE1EEEvT1_,@function
_ZN7rocprim17ROCPRIM_400000_NS6detail17trampoline_kernelINS0_14default_configENS1_25partition_config_selectorILNS1_17partition_subalgoE1EiNS0_10empty_typeEbEEZZNS1_14partition_implILS5_1ELb0ES3_jN6thrust23THRUST_200600_302600_NS6detail15normal_iteratorINSA_10device_ptrIiEEEEPS6_NSA_18transform_iteratorI7is_evenIiESF_NSA_11use_defaultESK_EENS0_5tupleIJSF_NSA_16discard_iteratorISK_EEEEENSM_IJSG_SG_EEES6_PlJS6_EEE10hipError_tPvRmT3_T4_T5_T6_T7_T9_mT8_P12ihipStream_tbDpT10_ENKUlT_T0_E_clISt17integral_constantIbLb0EES1B_EEDaS16_S17_EUlS16_E_NS1_11comp_targetILNS1_3genE0ELNS1_11target_archE4294967295ELNS1_3gpuE0ELNS1_3repE0EEENS1_30default_config_static_selectorELNS0_4arch9wavefront6targetE1EEEvT1_: ; @_ZN7rocprim17ROCPRIM_400000_NS6detail17trampoline_kernelINS0_14default_configENS1_25partition_config_selectorILNS1_17partition_subalgoE1EiNS0_10empty_typeEbEEZZNS1_14partition_implILS5_1ELb0ES3_jN6thrust23THRUST_200600_302600_NS6detail15normal_iteratorINSA_10device_ptrIiEEEEPS6_NSA_18transform_iteratorI7is_evenIiESF_NSA_11use_defaultESK_EENS0_5tupleIJSF_NSA_16discard_iteratorISK_EEEEENSM_IJSG_SG_EEES6_PlJS6_EEE10hipError_tPvRmT3_T4_T5_T6_T7_T9_mT8_P12ihipStream_tbDpT10_ENKUlT_T0_E_clISt17integral_constantIbLb0EES1B_EEDaS16_S17_EUlS16_E_NS1_11comp_targetILNS1_3genE0ELNS1_11target_archE4294967295ELNS1_3gpuE0ELNS1_3repE0EEENS1_30default_config_static_selectorELNS0_4arch9wavefront6targetE1EEEvT1_
; %bb.0:
	.section	.rodata,"a",@progbits
	.p2align	6, 0x0
	.amdhsa_kernel _ZN7rocprim17ROCPRIM_400000_NS6detail17trampoline_kernelINS0_14default_configENS1_25partition_config_selectorILNS1_17partition_subalgoE1EiNS0_10empty_typeEbEEZZNS1_14partition_implILS5_1ELb0ES3_jN6thrust23THRUST_200600_302600_NS6detail15normal_iteratorINSA_10device_ptrIiEEEEPS6_NSA_18transform_iteratorI7is_evenIiESF_NSA_11use_defaultESK_EENS0_5tupleIJSF_NSA_16discard_iteratorISK_EEEEENSM_IJSG_SG_EEES6_PlJS6_EEE10hipError_tPvRmT3_T4_T5_T6_T7_T9_mT8_P12ihipStream_tbDpT10_ENKUlT_T0_E_clISt17integral_constantIbLb0EES1B_EEDaS16_S17_EUlS16_E_NS1_11comp_targetILNS1_3genE0ELNS1_11target_archE4294967295ELNS1_3gpuE0ELNS1_3repE0EEENS1_30default_config_static_selectorELNS0_4arch9wavefront6targetE1EEEvT1_
		.amdhsa_group_segment_fixed_size 0
		.amdhsa_private_segment_fixed_size 0
		.amdhsa_kernarg_size 136
		.amdhsa_user_sgpr_count 6
		.amdhsa_user_sgpr_private_segment_buffer 1
		.amdhsa_user_sgpr_dispatch_ptr 0
		.amdhsa_user_sgpr_queue_ptr 0
		.amdhsa_user_sgpr_kernarg_segment_ptr 1
		.amdhsa_user_sgpr_dispatch_id 0
		.amdhsa_user_sgpr_flat_scratch_init 0
		.amdhsa_user_sgpr_kernarg_preload_length 0
		.amdhsa_user_sgpr_kernarg_preload_offset 0
		.amdhsa_user_sgpr_private_segment_size 0
		.amdhsa_uses_dynamic_stack 0
		.amdhsa_system_sgpr_private_segment_wavefront_offset 0
		.amdhsa_system_sgpr_workgroup_id_x 1
		.amdhsa_system_sgpr_workgroup_id_y 0
		.amdhsa_system_sgpr_workgroup_id_z 0
		.amdhsa_system_sgpr_workgroup_info 0
		.amdhsa_system_vgpr_workitem_id 0
		.amdhsa_next_free_vgpr 1
		.amdhsa_next_free_sgpr 0
		.amdhsa_accum_offset 4
		.amdhsa_reserve_vcc 0
		.amdhsa_reserve_flat_scratch 0
		.amdhsa_float_round_mode_32 0
		.amdhsa_float_round_mode_16_64 0
		.amdhsa_float_denorm_mode_32 3
		.amdhsa_float_denorm_mode_16_64 3
		.amdhsa_dx10_clamp 1
		.amdhsa_ieee_mode 1
		.amdhsa_fp16_overflow 0
		.amdhsa_tg_split 0
		.amdhsa_exception_fp_ieee_invalid_op 0
		.amdhsa_exception_fp_denorm_src 0
		.amdhsa_exception_fp_ieee_div_zero 0
		.amdhsa_exception_fp_ieee_overflow 0
		.amdhsa_exception_fp_ieee_underflow 0
		.amdhsa_exception_fp_ieee_inexact 0
		.amdhsa_exception_int_div_zero 0
	.end_amdhsa_kernel
	.section	.text._ZN7rocprim17ROCPRIM_400000_NS6detail17trampoline_kernelINS0_14default_configENS1_25partition_config_selectorILNS1_17partition_subalgoE1EiNS0_10empty_typeEbEEZZNS1_14partition_implILS5_1ELb0ES3_jN6thrust23THRUST_200600_302600_NS6detail15normal_iteratorINSA_10device_ptrIiEEEEPS6_NSA_18transform_iteratorI7is_evenIiESF_NSA_11use_defaultESK_EENS0_5tupleIJSF_NSA_16discard_iteratorISK_EEEEENSM_IJSG_SG_EEES6_PlJS6_EEE10hipError_tPvRmT3_T4_T5_T6_T7_T9_mT8_P12ihipStream_tbDpT10_ENKUlT_T0_E_clISt17integral_constantIbLb0EES1B_EEDaS16_S17_EUlS16_E_NS1_11comp_targetILNS1_3genE0ELNS1_11target_archE4294967295ELNS1_3gpuE0ELNS1_3repE0EEENS1_30default_config_static_selectorELNS0_4arch9wavefront6targetE1EEEvT1_,"axG",@progbits,_ZN7rocprim17ROCPRIM_400000_NS6detail17trampoline_kernelINS0_14default_configENS1_25partition_config_selectorILNS1_17partition_subalgoE1EiNS0_10empty_typeEbEEZZNS1_14partition_implILS5_1ELb0ES3_jN6thrust23THRUST_200600_302600_NS6detail15normal_iteratorINSA_10device_ptrIiEEEEPS6_NSA_18transform_iteratorI7is_evenIiESF_NSA_11use_defaultESK_EENS0_5tupleIJSF_NSA_16discard_iteratorISK_EEEEENSM_IJSG_SG_EEES6_PlJS6_EEE10hipError_tPvRmT3_T4_T5_T6_T7_T9_mT8_P12ihipStream_tbDpT10_ENKUlT_T0_E_clISt17integral_constantIbLb0EES1B_EEDaS16_S17_EUlS16_E_NS1_11comp_targetILNS1_3genE0ELNS1_11target_archE4294967295ELNS1_3gpuE0ELNS1_3repE0EEENS1_30default_config_static_selectorELNS0_4arch9wavefront6targetE1EEEvT1_,comdat
.Lfunc_end3291:
	.size	_ZN7rocprim17ROCPRIM_400000_NS6detail17trampoline_kernelINS0_14default_configENS1_25partition_config_selectorILNS1_17partition_subalgoE1EiNS0_10empty_typeEbEEZZNS1_14partition_implILS5_1ELb0ES3_jN6thrust23THRUST_200600_302600_NS6detail15normal_iteratorINSA_10device_ptrIiEEEEPS6_NSA_18transform_iteratorI7is_evenIiESF_NSA_11use_defaultESK_EENS0_5tupleIJSF_NSA_16discard_iteratorISK_EEEEENSM_IJSG_SG_EEES6_PlJS6_EEE10hipError_tPvRmT3_T4_T5_T6_T7_T9_mT8_P12ihipStream_tbDpT10_ENKUlT_T0_E_clISt17integral_constantIbLb0EES1B_EEDaS16_S17_EUlS16_E_NS1_11comp_targetILNS1_3genE0ELNS1_11target_archE4294967295ELNS1_3gpuE0ELNS1_3repE0EEENS1_30default_config_static_selectorELNS0_4arch9wavefront6targetE1EEEvT1_, .Lfunc_end3291-_ZN7rocprim17ROCPRIM_400000_NS6detail17trampoline_kernelINS0_14default_configENS1_25partition_config_selectorILNS1_17partition_subalgoE1EiNS0_10empty_typeEbEEZZNS1_14partition_implILS5_1ELb0ES3_jN6thrust23THRUST_200600_302600_NS6detail15normal_iteratorINSA_10device_ptrIiEEEEPS6_NSA_18transform_iteratorI7is_evenIiESF_NSA_11use_defaultESK_EENS0_5tupleIJSF_NSA_16discard_iteratorISK_EEEEENSM_IJSG_SG_EEES6_PlJS6_EEE10hipError_tPvRmT3_T4_T5_T6_T7_T9_mT8_P12ihipStream_tbDpT10_ENKUlT_T0_E_clISt17integral_constantIbLb0EES1B_EEDaS16_S17_EUlS16_E_NS1_11comp_targetILNS1_3genE0ELNS1_11target_archE4294967295ELNS1_3gpuE0ELNS1_3repE0EEENS1_30default_config_static_selectorELNS0_4arch9wavefront6targetE1EEEvT1_
                                        ; -- End function
	.section	.AMDGPU.csdata,"",@progbits
; Kernel info:
; codeLenInByte = 0
; NumSgprs: 4
; NumVgprs: 0
; NumAgprs: 0
; TotalNumVgprs: 0
; ScratchSize: 0
; MemoryBound: 0
; FloatMode: 240
; IeeeMode: 1
; LDSByteSize: 0 bytes/workgroup (compile time only)
; SGPRBlocks: 0
; VGPRBlocks: 0
; NumSGPRsForWavesPerEU: 4
; NumVGPRsForWavesPerEU: 1
; AccumOffset: 4
; Occupancy: 8
; WaveLimiterHint : 0
; COMPUTE_PGM_RSRC2:SCRATCH_EN: 0
; COMPUTE_PGM_RSRC2:USER_SGPR: 6
; COMPUTE_PGM_RSRC2:TRAP_HANDLER: 0
; COMPUTE_PGM_RSRC2:TGID_X_EN: 1
; COMPUTE_PGM_RSRC2:TGID_Y_EN: 0
; COMPUTE_PGM_RSRC2:TGID_Z_EN: 0
; COMPUTE_PGM_RSRC2:TIDIG_COMP_CNT: 0
; COMPUTE_PGM_RSRC3_GFX90A:ACCUM_OFFSET: 0
; COMPUTE_PGM_RSRC3_GFX90A:TG_SPLIT: 0
	.section	.text._ZN7rocprim17ROCPRIM_400000_NS6detail17trampoline_kernelINS0_14default_configENS1_25partition_config_selectorILNS1_17partition_subalgoE1EiNS0_10empty_typeEbEEZZNS1_14partition_implILS5_1ELb0ES3_jN6thrust23THRUST_200600_302600_NS6detail15normal_iteratorINSA_10device_ptrIiEEEEPS6_NSA_18transform_iteratorI7is_evenIiESF_NSA_11use_defaultESK_EENS0_5tupleIJSF_NSA_16discard_iteratorISK_EEEEENSM_IJSG_SG_EEES6_PlJS6_EEE10hipError_tPvRmT3_T4_T5_T6_T7_T9_mT8_P12ihipStream_tbDpT10_ENKUlT_T0_E_clISt17integral_constantIbLb0EES1B_EEDaS16_S17_EUlS16_E_NS1_11comp_targetILNS1_3genE5ELNS1_11target_archE942ELNS1_3gpuE9ELNS1_3repE0EEENS1_30default_config_static_selectorELNS0_4arch9wavefront6targetE1EEEvT1_,"axG",@progbits,_ZN7rocprim17ROCPRIM_400000_NS6detail17trampoline_kernelINS0_14default_configENS1_25partition_config_selectorILNS1_17partition_subalgoE1EiNS0_10empty_typeEbEEZZNS1_14partition_implILS5_1ELb0ES3_jN6thrust23THRUST_200600_302600_NS6detail15normal_iteratorINSA_10device_ptrIiEEEEPS6_NSA_18transform_iteratorI7is_evenIiESF_NSA_11use_defaultESK_EENS0_5tupleIJSF_NSA_16discard_iteratorISK_EEEEENSM_IJSG_SG_EEES6_PlJS6_EEE10hipError_tPvRmT3_T4_T5_T6_T7_T9_mT8_P12ihipStream_tbDpT10_ENKUlT_T0_E_clISt17integral_constantIbLb0EES1B_EEDaS16_S17_EUlS16_E_NS1_11comp_targetILNS1_3genE5ELNS1_11target_archE942ELNS1_3gpuE9ELNS1_3repE0EEENS1_30default_config_static_selectorELNS0_4arch9wavefront6targetE1EEEvT1_,comdat
	.protected	_ZN7rocprim17ROCPRIM_400000_NS6detail17trampoline_kernelINS0_14default_configENS1_25partition_config_selectorILNS1_17partition_subalgoE1EiNS0_10empty_typeEbEEZZNS1_14partition_implILS5_1ELb0ES3_jN6thrust23THRUST_200600_302600_NS6detail15normal_iteratorINSA_10device_ptrIiEEEEPS6_NSA_18transform_iteratorI7is_evenIiESF_NSA_11use_defaultESK_EENS0_5tupleIJSF_NSA_16discard_iteratorISK_EEEEENSM_IJSG_SG_EEES6_PlJS6_EEE10hipError_tPvRmT3_T4_T5_T6_T7_T9_mT8_P12ihipStream_tbDpT10_ENKUlT_T0_E_clISt17integral_constantIbLb0EES1B_EEDaS16_S17_EUlS16_E_NS1_11comp_targetILNS1_3genE5ELNS1_11target_archE942ELNS1_3gpuE9ELNS1_3repE0EEENS1_30default_config_static_selectorELNS0_4arch9wavefront6targetE1EEEvT1_ ; -- Begin function _ZN7rocprim17ROCPRIM_400000_NS6detail17trampoline_kernelINS0_14default_configENS1_25partition_config_selectorILNS1_17partition_subalgoE1EiNS0_10empty_typeEbEEZZNS1_14partition_implILS5_1ELb0ES3_jN6thrust23THRUST_200600_302600_NS6detail15normal_iteratorINSA_10device_ptrIiEEEEPS6_NSA_18transform_iteratorI7is_evenIiESF_NSA_11use_defaultESK_EENS0_5tupleIJSF_NSA_16discard_iteratorISK_EEEEENSM_IJSG_SG_EEES6_PlJS6_EEE10hipError_tPvRmT3_T4_T5_T6_T7_T9_mT8_P12ihipStream_tbDpT10_ENKUlT_T0_E_clISt17integral_constantIbLb0EES1B_EEDaS16_S17_EUlS16_E_NS1_11comp_targetILNS1_3genE5ELNS1_11target_archE942ELNS1_3gpuE9ELNS1_3repE0EEENS1_30default_config_static_selectorELNS0_4arch9wavefront6targetE1EEEvT1_
	.globl	_ZN7rocprim17ROCPRIM_400000_NS6detail17trampoline_kernelINS0_14default_configENS1_25partition_config_selectorILNS1_17partition_subalgoE1EiNS0_10empty_typeEbEEZZNS1_14partition_implILS5_1ELb0ES3_jN6thrust23THRUST_200600_302600_NS6detail15normal_iteratorINSA_10device_ptrIiEEEEPS6_NSA_18transform_iteratorI7is_evenIiESF_NSA_11use_defaultESK_EENS0_5tupleIJSF_NSA_16discard_iteratorISK_EEEEENSM_IJSG_SG_EEES6_PlJS6_EEE10hipError_tPvRmT3_T4_T5_T6_T7_T9_mT8_P12ihipStream_tbDpT10_ENKUlT_T0_E_clISt17integral_constantIbLb0EES1B_EEDaS16_S17_EUlS16_E_NS1_11comp_targetILNS1_3genE5ELNS1_11target_archE942ELNS1_3gpuE9ELNS1_3repE0EEENS1_30default_config_static_selectorELNS0_4arch9wavefront6targetE1EEEvT1_
	.p2align	8
	.type	_ZN7rocprim17ROCPRIM_400000_NS6detail17trampoline_kernelINS0_14default_configENS1_25partition_config_selectorILNS1_17partition_subalgoE1EiNS0_10empty_typeEbEEZZNS1_14partition_implILS5_1ELb0ES3_jN6thrust23THRUST_200600_302600_NS6detail15normal_iteratorINSA_10device_ptrIiEEEEPS6_NSA_18transform_iteratorI7is_evenIiESF_NSA_11use_defaultESK_EENS0_5tupleIJSF_NSA_16discard_iteratorISK_EEEEENSM_IJSG_SG_EEES6_PlJS6_EEE10hipError_tPvRmT3_T4_T5_T6_T7_T9_mT8_P12ihipStream_tbDpT10_ENKUlT_T0_E_clISt17integral_constantIbLb0EES1B_EEDaS16_S17_EUlS16_E_NS1_11comp_targetILNS1_3genE5ELNS1_11target_archE942ELNS1_3gpuE9ELNS1_3repE0EEENS1_30default_config_static_selectorELNS0_4arch9wavefront6targetE1EEEvT1_,@function
_ZN7rocprim17ROCPRIM_400000_NS6detail17trampoline_kernelINS0_14default_configENS1_25partition_config_selectorILNS1_17partition_subalgoE1EiNS0_10empty_typeEbEEZZNS1_14partition_implILS5_1ELb0ES3_jN6thrust23THRUST_200600_302600_NS6detail15normal_iteratorINSA_10device_ptrIiEEEEPS6_NSA_18transform_iteratorI7is_evenIiESF_NSA_11use_defaultESK_EENS0_5tupleIJSF_NSA_16discard_iteratorISK_EEEEENSM_IJSG_SG_EEES6_PlJS6_EEE10hipError_tPvRmT3_T4_T5_T6_T7_T9_mT8_P12ihipStream_tbDpT10_ENKUlT_T0_E_clISt17integral_constantIbLb0EES1B_EEDaS16_S17_EUlS16_E_NS1_11comp_targetILNS1_3genE5ELNS1_11target_archE942ELNS1_3gpuE9ELNS1_3repE0EEENS1_30default_config_static_selectorELNS0_4arch9wavefront6targetE1EEEvT1_: ; @_ZN7rocprim17ROCPRIM_400000_NS6detail17trampoline_kernelINS0_14default_configENS1_25partition_config_selectorILNS1_17partition_subalgoE1EiNS0_10empty_typeEbEEZZNS1_14partition_implILS5_1ELb0ES3_jN6thrust23THRUST_200600_302600_NS6detail15normal_iteratorINSA_10device_ptrIiEEEEPS6_NSA_18transform_iteratorI7is_evenIiESF_NSA_11use_defaultESK_EENS0_5tupleIJSF_NSA_16discard_iteratorISK_EEEEENSM_IJSG_SG_EEES6_PlJS6_EEE10hipError_tPvRmT3_T4_T5_T6_T7_T9_mT8_P12ihipStream_tbDpT10_ENKUlT_T0_E_clISt17integral_constantIbLb0EES1B_EEDaS16_S17_EUlS16_E_NS1_11comp_targetILNS1_3genE5ELNS1_11target_archE942ELNS1_3gpuE9ELNS1_3repE0EEENS1_30default_config_static_selectorELNS0_4arch9wavefront6targetE1EEEvT1_
; %bb.0:
	.section	.rodata,"a",@progbits
	.p2align	6, 0x0
	.amdhsa_kernel _ZN7rocprim17ROCPRIM_400000_NS6detail17trampoline_kernelINS0_14default_configENS1_25partition_config_selectorILNS1_17partition_subalgoE1EiNS0_10empty_typeEbEEZZNS1_14partition_implILS5_1ELb0ES3_jN6thrust23THRUST_200600_302600_NS6detail15normal_iteratorINSA_10device_ptrIiEEEEPS6_NSA_18transform_iteratorI7is_evenIiESF_NSA_11use_defaultESK_EENS0_5tupleIJSF_NSA_16discard_iteratorISK_EEEEENSM_IJSG_SG_EEES6_PlJS6_EEE10hipError_tPvRmT3_T4_T5_T6_T7_T9_mT8_P12ihipStream_tbDpT10_ENKUlT_T0_E_clISt17integral_constantIbLb0EES1B_EEDaS16_S17_EUlS16_E_NS1_11comp_targetILNS1_3genE5ELNS1_11target_archE942ELNS1_3gpuE9ELNS1_3repE0EEENS1_30default_config_static_selectorELNS0_4arch9wavefront6targetE1EEEvT1_
		.amdhsa_group_segment_fixed_size 0
		.amdhsa_private_segment_fixed_size 0
		.amdhsa_kernarg_size 136
		.amdhsa_user_sgpr_count 6
		.amdhsa_user_sgpr_private_segment_buffer 1
		.amdhsa_user_sgpr_dispatch_ptr 0
		.amdhsa_user_sgpr_queue_ptr 0
		.amdhsa_user_sgpr_kernarg_segment_ptr 1
		.amdhsa_user_sgpr_dispatch_id 0
		.amdhsa_user_sgpr_flat_scratch_init 0
		.amdhsa_user_sgpr_kernarg_preload_length 0
		.amdhsa_user_sgpr_kernarg_preload_offset 0
		.amdhsa_user_sgpr_private_segment_size 0
		.amdhsa_uses_dynamic_stack 0
		.amdhsa_system_sgpr_private_segment_wavefront_offset 0
		.amdhsa_system_sgpr_workgroup_id_x 1
		.amdhsa_system_sgpr_workgroup_id_y 0
		.amdhsa_system_sgpr_workgroup_id_z 0
		.amdhsa_system_sgpr_workgroup_info 0
		.amdhsa_system_vgpr_workitem_id 0
		.amdhsa_next_free_vgpr 1
		.amdhsa_next_free_sgpr 0
		.amdhsa_accum_offset 4
		.amdhsa_reserve_vcc 0
		.amdhsa_reserve_flat_scratch 0
		.amdhsa_float_round_mode_32 0
		.amdhsa_float_round_mode_16_64 0
		.amdhsa_float_denorm_mode_32 3
		.amdhsa_float_denorm_mode_16_64 3
		.amdhsa_dx10_clamp 1
		.amdhsa_ieee_mode 1
		.amdhsa_fp16_overflow 0
		.amdhsa_tg_split 0
		.amdhsa_exception_fp_ieee_invalid_op 0
		.amdhsa_exception_fp_denorm_src 0
		.amdhsa_exception_fp_ieee_div_zero 0
		.amdhsa_exception_fp_ieee_overflow 0
		.amdhsa_exception_fp_ieee_underflow 0
		.amdhsa_exception_fp_ieee_inexact 0
		.amdhsa_exception_int_div_zero 0
	.end_amdhsa_kernel
	.section	.text._ZN7rocprim17ROCPRIM_400000_NS6detail17trampoline_kernelINS0_14default_configENS1_25partition_config_selectorILNS1_17partition_subalgoE1EiNS0_10empty_typeEbEEZZNS1_14partition_implILS5_1ELb0ES3_jN6thrust23THRUST_200600_302600_NS6detail15normal_iteratorINSA_10device_ptrIiEEEEPS6_NSA_18transform_iteratorI7is_evenIiESF_NSA_11use_defaultESK_EENS0_5tupleIJSF_NSA_16discard_iteratorISK_EEEEENSM_IJSG_SG_EEES6_PlJS6_EEE10hipError_tPvRmT3_T4_T5_T6_T7_T9_mT8_P12ihipStream_tbDpT10_ENKUlT_T0_E_clISt17integral_constantIbLb0EES1B_EEDaS16_S17_EUlS16_E_NS1_11comp_targetILNS1_3genE5ELNS1_11target_archE942ELNS1_3gpuE9ELNS1_3repE0EEENS1_30default_config_static_selectorELNS0_4arch9wavefront6targetE1EEEvT1_,"axG",@progbits,_ZN7rocprim17ROCPRIM_400000_NS6detail17trampoline_kernelINS0_14default_configENS1_25partition_config_selectorILNS1_17partition_subalgoE1EiNS0_10empty_typeEbEEZZNS1_14partition_implILS5_1ELb0ES3_jN6thrust23THRUST_200600_302600_NS6detail15normal_iteratorINSA_10device_ptrIiEEEEPS6_NSA_18transform_iteratorI7is_evenIiESF_NSA_11use_defaultESK_EENS0_5tupleIJSF_NSA_16discard_iteratorISK_EEEEENSM_IJSG_SG_EEES6_PlJS6_EEE10hipError_tPvRmT3_T4_T5_T6_T7_T9_mT8_P12ihipStream_tbDpT10_ENKUlT_T0_E_clISt17integral_constantIbLb0EES1B_EEDaS16_S17_EUlS16_E_NS1_11comp_targetILNS1_3genE5ELNS1_11target_archE942ELNS1_3gpuE9ELNS1_3repE0EEENS1_30default_config_static_selectorELNS0_4arch9wavefront6targetE1EEEvT1_,comdat
.Lfunc_end3292:
	.size	_ZN7rocprim17ROCPRIM_400000_NS6detail17trampoline_kernelINS0_14default_configENS1_25partition_config_selectorILNS1_17partition_subalgoE1EiNS0_10empty_typeEbEEZZNS1_14partition_implILS5_1ELb0ES3_jN6thrust23THRUST_200600_302600_NS6detail15normal_iteratorINSA_10device_ptrIiEEEEPS6_NSA_18transform_iteratorI7is_evenIiESF_NSA_11use_defaultESK_EENS0_5tupleIJSF_NSA_16discard_iteratorISK_EEEEENSM_IJSG_SG_EEES6_PlJS6_EEE10hipError_tPvRmT3_T4_T5_T6_T7_T9_mT8_P12ihipStream_tbDpT10_ENKUlT_T0_E_clISt17integral_constantIbLb0EES1B_EEDaS16_S17_EUlS16_E_NS1_11comp_targetILNS1_3genE5ELNS1_11target_archE942ELNS1_3gpuE9ELNS1_3repE0EEENS1_30default_config_static_selectorELNS0_4arch9wavefront6targetE1EEEvT1_, .Lfunc_end3292-_ZN7rocprim17ROCPRIM_400000_NS6detail17trampoline_kernelINS0_14default_configENS1_25partition_config_selectorILNS1_17partition_subalgoE1EiNS0_10empty_typeEbEEZZNS1_14partition_implILS5_1ELb0ES3_jN6thrust23THRUST_200600_302600_NS6detail15normal_iteratorINSA_10device_ptrIiEEEEPS6_NSA_18transform_iteratorI7is_evenIiESF_NSA_11use_defaultESK_EENS0_5tupleIJSF_NSA_16discard_iteratorISK_EEEEENSM_IJSG_SG_EEES6_PlJS6_EEE10hipError_tPvRmT3_T4_T5_T6_T7_T9_mT8_P12ihipStream_tbDpT10_ENKUlT_T0_E_clISt17integral_constantIbLb0EES1B_EEDaS16_S17_EUlS16_E_NS1_11comp_targetILNS1_3genE5ELNS1_11target_archE942ELNS1_3gpuE9ELNS1_3repE0EEENS1_30default_config_static_selectorELNS0_4arch9wavefront6targetE1EEEvT1_
                                        ; -- End function
	.section	.AMDGPU.csdata,"",@progbits
; Kernel info:
; codeLenInByte = 0
; NumSgprs: 4
; NumVgprs: 0
; NumAgprs: 0
; TotalNumVgprs: 0
; ScratchSize: 0
; MemoryBound: 0
; FloatMode: 240
; IeeeMode: 1
; LDSByteSize: 0 bytes/workgroup (compile time only)
; SGPRBlocks: 0
; VGPRBlocks: 0
; NumSGPRsForWavesPerEU: 4
; NumVGPRsForWavesPerEU: 1
; AccumOffset: 4
; Occupancy: 8
; WaveLimiterHint : 0
; COMPUTE_PGM_RSRC2:SCRATCH_EN: 0
; COMPUTE_PGM_RSRC2:USER_SGPR: 6
; COMPUTE_PGM_RSRC2:TRAP_HANDLER: 0
; COMPUTE_PGM_RSRC2:TGID_X_EN: 1
; COMPUTE_PGM_RSRC2:TGID_Y_EN: 0
; COMPUTE_PGM_RSRC2:TGID_Z_EN: 0
; COMPUTE_PGM_RSRC2:TIDIG_COMP_CNT: 0
; COMPUTE_PGM_RSRC3_GFX90A:ACCUM_OFFSET: 0
; COMPUTE_PGM_RSRC3_GFX90A:TG_SPLIT: 0
	.section	.text._ZN7rocprim17ROCPRIM_400000_NS6detail17trampoline_kernelINS0_14default_configENS1_25partition_config_selectorILNS1_17partition_subalgoE1EiNS0_10empty_typeEbEEZZNS1_14partition_implILS5_1ELb0ES3_jN6thrust23THRUST_200600_302600_NS6detail15normal_iteratorINSA_10device_ptrIiEEEEPS6_NSA_18transform_iteratorI7is_evenIiESF_NSA_11use_defaultESK_EENS0_5tupleIJSF_NSA_16discard_iteratorISK_EEEEENSM_IJSG_SG_EEES6_PlJS6_EEE10hipError_tPvRmT3_T4_T5_T6_T7_T9_mT8_P12ihipStream_tbDpT10_ENKUlT_T0_E_clISt17integral_constantIbLb0EES1B_EEDaS16_S17_EUlS16_E_NS1_11comp_targetILNS1_3genE4ELNS1_11target_archE910ELNS1_3gpuE8ELNS1_3repE0EEENS1_30default_config_static_selectorELNS0_4arch9wavefront6targetE1EEEvT1_,"axG",@progbits,_ZN7rocprim17ROCPRIM_400000_NS6detail17trampoline_kernelINS0_14default_configENS1_25partition_config_selectorILNS1_17partition_subalgoE1EiNS0_10empty_typeEbEEZZNS1_14partition_implILS5_1ELb0ES3_jN6thrust23THRUST_200600_302600_NS6detail15normal_iteratorINSA_10device_ptrIiEEEEPS6_NSA_18transform_iteratorI7is_evenIiESF_NSA_11use_defaultESK_EENS0_5tupleIJSF_NSA_16discard_iteratorISK_EEEEENSM_IJSG_SG_EEES6_PlJS6_EEE10hipError_tPvRmT3_T4_T5_T6_T7_T9_mT8_P12ihipStream_tbDpT10_ENKUlT_T0_E_clISt17integral_constantIbLb0EES1B_EEDaS16_S17_EUlS16_E_NS1_11comp_targetILNS1_3genE4ELNS1_11target_archE910ELNS1_3gpuE8ELNS1_3repE0EEENS1_30default_config_static_selectorELNS0_4arch9wavefront6targetE1EEEvT1_,comdat
	.protected	_ZN7rocprim17ROCPRIM_400000_NS6detail17trampoline_kernelINS0_14default_configENS1_25partition_config_selectorILNS1_17partition_subalgoE1EiNS0_10empty_typeEbEEZZNS1_14partition_implILS5_1ELb0ES3_jN6thrust23THRUST_200600_302600_NS6detail15normal_iteratorINSA_10device_ptrIiEEEEPS6_NSA_18transform_iteratorI7is_evenIiESF_NSA_11use_defaultESK_EENS0_5tupleIJSF_NSA_16discard_iteratorISK_EEEEENSM_IJSG_SG_EEES6_PlJS6_EEE10hipError_tPvRmT3_T4_T5_T6_T7_T9_mT8_P12ihipStream_tbDpT10_ENKUlT_T0_E_clISt17integral_constantIbLb0EES1B_EEDaS16_S17_EUlS16_E_NS1_11comp_targetILNS1_3genE4ELNS1_11target_archE910ELNS1_3gpuE8ELNS1_3repE0EEENS1_30default_config_static_selectorELNS0_4arch9wavefront6targetE1EEEvT1_ ; -- Begin function _ZN7rocprim17ROCPRIM_400000_NS6detail17trampoline_kernelINS0_14default_configENS1_25partition_config_selectorILNS1_17partition_subalgoE1EiNS0_10empty_typeEbEEZZNS1_14partition_implILS5_1ELb0ES3_jN6thrust23THRUST_200600_302600_NS6detail15normal_iteratorINSA_10device_ptrIiEEEEPS6_NSA_18transform_iteratorI7is_evenIiESF_NSA_11use_defaultESK_EENS0_5tupleIJSF_NSA_16discard_iteratorISK_EEEEENSM_IJSG_SG_EEES6_PlJS6_EEE10hipError_tPvRmT3_T4_T5_T6_T7_T9_mT8_P12ihipStream_tbDpT10_ENKUlT_T0_E_clISt17integral_constantIbLb0EES1B_EEDaS16_S17_EUlS16_E_NS1_11comp_targetILNS1_3genE4ELNS1_11target_archE910ELNS1_3gpuE8ELNS1_3repE0EEENS1_30default_config_static_selectorELNS0_4arch9wavefront6targetE1EEEvT1_
	.globl	_ZN7rocprim17ROCPRIM_400000_NS6detail17trampoline_kernelINS0_14default_configENS1_25partition_config_selectorILNS1_17partition_subalgoE1EiNS0_10empty_typeEbEEZZNS1_14partition_implILS5_1ELb0ES3_jN6thrust23THRUST_200600_302600_NS6detail15normal_iteratorINSA_10device_ptrIiEEEEPS6_NSA_18transform_iteratorI7is_evenIiESF_NSA_11use_defaultESK_EENS0_5tupleIJSF_NSA_16discard_iteratorISK_EEEEENSM_IJSG_SG_EEES6_PlJS6_EEE10hipError_tPvRmT3_T4_T5_T6_T7_T9_mT8_P12ihipStream_tbDpT10_ENKUlT_T0_E_clISt17integral_constantIbLb0EES1B_EEDaS16_S17_EUlS16_E_NS1_11comp_targetILNS1_3genE4ELNS1_11target_archE910ELNS1_3gpuE8ELNS1_3repE0EEENS1_30default_config_static_selectorELNS0_4arch9wavefront6targetE1EEEvT1_
	.p2align	8
	.type	_ZN7rocprim17ROCPRIM_400000_NS6detail17trampoline_kernelINS0_14default_configENS1_25partition_config_selectorILNS1_17partition_subalgoE1EiNS0_10empty_typeEbEEZZNS1_14partition_implILS5_1ELb0ES3_jN6thrust23THRUST_200600_302600_NS6detail15normal_iteratorINSA_10device_ptrIiEEEEPS6_NSA_18transform_iteratorI7is_evenIiESF_NSA_11use_defaultESK_EENS0_5tupleIJSF_NSA_16discard_iteratorISK_EEEEENSM_IJSG_SG_EEES6_PlJS6_EEE10hipError_tPvRmT3_T4_T5_T6_T7_T9_mT8_P12ihipStream_tbDpT10_ENKUlT_T0_E_clISt17integral_constantIbLb0EES1B_EEDaS16_S17_EUlS16_E_NS1_11comp_targetILNS1_3genE4ELNS1_11target_archE910ELNS1_3gpuE8ELNS1_3repE0EEENS1_30default_config_static_selectorELNS0_4arch9wavefront6targetE1EEEvT1_,@function
_ZN7rocprim17ROCPRIM_400000_NS6detail17trampoline_kernelINS0_14default_configENS1_25partition_config_selectorILNS1_17partition_subalgoE1EiNS0_10empty_typeEbEEZZNS1_14partition_implILS5_1ELb0ES3_jN6thrust23THRUST_200600_302600_NS6detail15normal_iteratorINSA_10device_ptrIiEEEEPS6_NSA_18transform_iteratorI7is_evenIiESF_NSA_11use_defaultESK_EENS0_5tupleIJSF_NSA_16discard_iteratorISK_EEEEENSM_IJSG_SG_EEES6_PlJS6_EEE10hipError_tPvRmT3_T4_T5_T6_T7_T9_mT8_P12ihipStream_tbDpT10_ENKUlT_T0_E_clISt17integral_constantIbLb0EES1B_EEDaS16_S17_EUlS16_E_NS1_11comp_targetILNS1_3genE4ELNS1_11target_archE910ELNS1_3gpuE8ELNS1_3repE0EEENS1_30default_config_static_selectorELNS0_4arch9wavefront6targetE1EEEvT1_: ; @_ZN7rocprim17ROCPRIM_400000_NS6detail17trampoline_kernelINS0_14default_configENS1_25partition_config_selectorILNS1_17partition_subalgoE1EiNS0_10empty_typeEbEEZZNS1_14partition_implILS5_1ELb0ES3_jN6thrust23THRUST_200600_302600_NS6detail15normal_iteratorINSA_10device_ptrIiEEEEPS6_NSA_18transform_iteratorI7is_evenIiESF_NSA_11use_defaultESK_EENS0_5tupleIJSF_NSA_16discard_iteratorISK_EEEEENSM_IJSG_SG_EEES6_PlJS6_EEE10hipError_tPvRmT3_T4_T5_T6_T7_T9_mT8_P12ihipStream_tbDpT10_ENKUlT_T0_E_clISt17integral_constantIbLb0EES1B_EEDaS16_S17_EUlS16_E_NS1_11comp_targetILNS1_3genE4ELNS1_11target_archE910ELNS1_3gpuE8ELNS1_3repE0EEENS1_30default_config_static_selectorELNS0_4arch9wavefront6targetE1EEEvT1_
; %bb.0:
	s_load_dwordx2 s[0:1], s[4:5], 0x68
	s_load_dwordx4 s[12:15], s[4:5], 0x8
	s_load_dwordx2 s[2:3], s[4:5], 0x20
	s_load_dwordx4 s[20:23], s[4:5], 0x58
	s_mul_i32 s10, s6, 0x700
	s_waitcnt lgkmcnt(0)
	v_mov_b32_e32 v3, s1
	s_load_dword s1, s[4:5], 0x80
	s_lshl_b64 s[8:9], s[14:15], 2
	s_add_u32 s7, s12, s8
	s_addc_u32 s12, s13, s9
	v_mov_b32_e32 v2, s0
	s_waitcnt lgkmcnt(0)
	s_add_i32 s13, s1, -1
	s_mulk_i32 s1, 0x700
	s_add_i32 s11, s1, s14
	s_sub_i32 s33, s0, s11
	s_addk_i32 s33, 0x700
	s_add_u32 s0, s14, s1
	s_addc_u32 s1, s15, 0
	s_cmp_eq_u32 s6, s13
	s_load_dwordx2 s[22:23], s[22:23], 0x0
	s_cselect_b64 s[24:25], -1, 0
	s_cmp_lg_u32 s6, s13
	s_mov_b32 s11, 0
	v_cmp_lt_u64_e32 vcc, s[0:1], v[2:3]
	s_cselect_b64 s[0:1], -1, 0
	s_or_b64 s[26:27], s[0:1], vcc
	s_lshl_b64 s[10:11], s[10:11], 2
	s_add_u32 s7, s7, s10
	s_addc_u32 s14, s12, s11
	s_mov_b64 s[0:1], -1
	s_and_b64 vcc, exec, s[26:27]
	v_lshlrev_b32_e32 v1, 2, v0
	s_cbranch_vccz .LBB3293_2
; %bb.1:
	v_mov_b32_e32 v3, s14
	v_add_co_u32_e32 v2, vcc, s7, v1
	v_addc_co_u32_e32 v3, vcc, 0, v3, vcc
	v_add_co_u32_e32 v4, vcc, 0x1000, v2
	v_addc_co_u32_e32 v5, vcc, 0, v3, vcc
	flat_load_dword v6, v[2:3]
	flat_load_dword v7, v[2:3] offset:1024
	flat_load_dword v8, v[2:3] offset:2048
	;; [unrolled: 1-line block ×3, first 2 shown]
	flat_load_dword v10, v[4:5]
	flat_load_dword v11, v[4:5] offset:1024
	flat_load_dword v12, v[4:5] offset:2048
	s_mov_b64 s[0:1], 0
	s_waitcnt vmcnt(0) lgkmcnt(0)
	ds_write2st64_b32 v1, v6, v7 offset1:4
	ds_write2st64_b32 v1, v8, v9 offset0:8 offset1:12
	ds_write2st64_b32 v1, v10, v11 offset0:16 offset1:20
	ds_write_b32 v1, v12 offset:6144
	s_waitcnt lgkmcnt(0)
	s_barrier
.LBB3293_2:
	s_andn2_b64 vcc, exec, s[0:1]
	v_cmp_gt_u32_e64 s[0:1], s33, v0
	s_cbranch_vccnz .LBB3293_18
; %bb.3:
                                        ; implicit-def: $vgpr2_vgpr3_vgpr4_vgpr5_vgpr6_vgpr7_vgpr8
	s_and_saveexec_b64 s[12:13], s[0:1]
	s_cbranch_execz .LBB3293_5
; %bb.4:
	v_mov_b32_e32 v3, s14
	v_add_co_u32_e32 v2, vcc, s7, v1
	v_addc_co_u32_e32 v3, vcc, 0, v3, vcc
	flat_load_dword v2, v[2:3]
.LBB3293_5:
	s_or_b64 exec, exec, s[12:13]
	v_or_b32_e32 v9, 0x100, v0
	v_cmp_gt_u32_e32 vcc, s33, v9
	s_and_saveexec_b64 s[0:1], vcc
	s_cbranch_execz .LBB3293_7
; %bb.6:
	v_mov_b32_e32 v3, s14
	v_add_co_u32_e32 v10, vcc, s7, v1
	v_addc_co_u32_e32 v11, vcc, 0, v3, vcc
	flat_load_dword v3, v[10:11] offset:1024
.LBB3293_7:
	s_or_b64 exec, exec, s[0:1]
	v_or_b32_e32 v9, 0x200, v0
	v_cmp_gt_u32_e32 vcc, s33, v9
	s_and_saveexec_b64 s[0:1], vcc
	s_cbranch_execz .LBB3293_9
; %bb.8:
	v_mov_b32_e32 v4, s14
	v_add_co_u32_e32 v10, vcc, s7, v1
	v_addc_co_u32_e32 v11, vcc, 0, v4, vcc
	flat_load_dword v4, v[10:11] offset:2048
.LBB3293_9:
	;; [unrolled: 11-line block ×3, first 2 shown]
	s_or_b64 exec, exec, s[0:1]
	v_or_b32_e32 v9, 0x400, v0
	v_cmp_gt_u32_e32 vcc, s33, v9
	s_and_saveexec_b64 s[0:1], vcc
	s_cbranch_execz .LBB3293_13
; %bb.12:
	v_lshlrev_b32_e32 v6, 2, v9
	v_mov_b32_e32 v9, s14
	v_add_co_u32_e32 v10, vcc, s7, v6
	v_addc_co_u32_e32 v11, vcc, 0, v9, vcc
	flat_load_dword v6, v[10:11]
.LBB3293_13:
	s_or_b64 exec, exec, s[0:1]
	v_or_b32_e32 v9, 0x500, v0
	v_cmp_gt_u32_e32 vcc, s33, v9
	s_and_saveexec_b64 s[0:1], vcc
	s_cbranch_execz .LBB3293_15
; %bb.14:
	v_lshlrev_b32_e32 v7, 2, v9
	v_mov_b32_e32 v9, s14
	v_add_co_u32_e32 v10, vcc, s7, v7
	v_addc_co_u32_e32 v11, vcc, 0, v9, vcc
	flat_load_dword v7, v[10:11]
.LBB3293_15:
	;; [unrolled: 12-line block ×3, first 2 shown]
	s_or_b64 exec, exec, s[0:1]
	s_waitcnt vmcnt(0) lgkmcnt(0)
	ds_write2st64_b32 v1, v2, v3 offset1:4
	ds_write2st64_b32 v1, v4, v5 offset0:8 offset1:12
	ds_write2st64_b32 v1, v6, v7 offset0:16 offset1:20
	ds_write_b32 v1, v8 offset:6144
	s_waitcnt lgkmcnt(0)
	s_barrier
.LBB3293_18:
	v_mul_u32_u24_e32 v19, 7, v0
	v_lshlrev_b32_e32 v8, 2, v19
	s_waitcnt lgkmcnt(0)
	ds_read2_b32 v[6:7], v8 offset1:1
	ds_read2_b32 v[4:5], v8 offset0:2 offset1:3
	ds_read2_b32 v[2:3], v8 offset0:4 offset1:5
	ds_read_b32 v18, v8 offset:24
	s_add_u32 s0, s2, s8
	s_addc_u32 s1, s3, s9
	s_add_u32 s0, s0, s10
	s_addc_u32 s1, s1, s11
	s_mov_b64 s[2:3], -1
	s_and_b64 vcc, exec, s[26:27]
	s_waitcnt lgkmcnt(0)
	s_barrier
	s_cbranch_vccz .LBB3293_20
; %bb.19:
	v_mov_b32_e32 v9, s1
	v_add_co_u32_e32 v10, vcc, s0, v1
	v_addc_co_u32_e32 v9, vcc, 0, v9, vcc
	s_movk_i32 s2, 0x1000
	v_add_co_u32_e32 v10, vcc, s2, v10
	global_load_dword v12, v1, s[0:1]
	global_load_dword v13, v1, s[0:1] offset:1024
	global_load_dword v14, v1, s[0:1] offset:2048
	;; [unrolled: 1-line block ×3, first 2 shown]
	v_addc_co_u32_e32 v11, vcc, 0, v9, vcc
	global_load_dword v9, v[10:11], off
	global_load_dword v16, v[10:11], off offset:1024
	global_load_dword v17, v[10:11], off offset:2048
	s_mov_b64 s[2:3], 0
	s_waitcnt vmcnt(6)
	v_xor_b32_e32 v10, -1, v12
	s_waitcnt vmcnt(5)
	v_xor_b32_e32 v11, -1, v13
	;; [unrolled: 2-line block ×4, first 2 shown]
	v_and_b32_e32 v10, 1, v10
	v_and_b32_e32 v11, 1, v11
	s_waitcnt vmcnt(2)
	v_xor_b32_e32 v9, -1, v9
	v_and_b32_e32 v12, 1, v12
	v_and_b32_e32 v13, 1, v13
	ds_write_b8 v0, v10
	ds_write_b8 v0, v11 offset:256
	ds_write_b8 v0, v12 offset:512
	;; [unrolled: 1-line block ×3, first 2 shown]
	s_waitcnt vmcnt(1)
	v_xor_b32_e32 v10, -1, v16
	s_waitcnt vmcnt(0)
	v_xor_b32_e32 v11, -1, v17
	v_and_b32_e32 v9, 1, v9
	v_and_b32_e32 v10, 1, v10
	;; [unrolled: 1-line block ×3, first 2 shown]
	ds_write_b8 v0, v9 offset:1024
	ds_write_b8 v0, v10 offset:1280
	;; [unrolled: 1-line block ×3, first 2 shown]
	s_waitcnt lgkmcnt(0)
	s_barrier
.LBB3293_20:
	s_load_dwordx2 s[28:29], s[4:5], 0x78
	s_andn2_b64 vcc, exec, s[2:3]
	s_cbranch_vccnz .LBB3293_36
; %bb.21:
	v_cmp_gt_u32_e32 vcc, s33, v0
	v_mov_b32_e32 v9, 0
	v_mov_b32_e32 v10, 0
	s_and_saveexec_b64 s[2:3], vcc
	s_cbranch_execz .LBB3293_23
; %bb.22:
	global_load_dword v10, v1, s[0:1]
	s_waitcnt vmcnt(0)
	v_xor_b32_e32 v10, -1, v10
	v_and_b32_e32 v10, 1, v10
.LBB3293_23:
	s_or_b64 exec, exec, s[2:3]
	v_or_b32_e32 v11, 0x100, v0
	v_cmp_gt_u32_e32 vcc, s33, v11
	s_and_saveexec_b64 s[2:3], vcc
	s_cbranch_execz .LBB3293_25
; %bb.24:
	global_load_dword v9, v1, s[0:1] offset:1024
	s_waitcnt vmcnt(0)
	v_xor_b32_e32 v9, -1, v9
	v_and_b32_e32 v9, 1, v9
.LBB3293_25:
	s_or_b64 exec, exec, s[2:3]
	v_or_b32_e32 v11, 0x200, v0
	v_cmp_gt_u32_e32 vcc, s33, v11
	v_mov_b32_e32 v11, 0
	v_mov_b32_e32 v12, 0
	s_and_saveexec_b64 s[2:3], vcc
	s_cbranch_execz .LBB3293_27
; %bb.26:
	global_load_dword v12, v1, s[0:1] offset:2048
	s_waitcnt vmcnt(0)
	v_xor_b32_e32 v12, -1, v12
	v_and_b32_e32 v12, 1, v12
.LBB3293_27:
	s_or_b64 exec, exec, s[2:3]
	v_or_b32_e32 v13, 0x300, v0
	v_cmp_gt_u32_e32 vcc, s33, v13
	s_and_saveexec_b64 s[2:3], vcc
	s_cbranch_execz .LBB3293_29
; %bb.28:
	global_load_dword v11, v1, s[0:1] offset:3072
	s_waitcnt vmcnt(0)
	v_xor_b32_e32 v11, -1, v11
	v_and_b32_e32 v11, 1, v11
.LBB3293_29:
	s_or_b64 exec, exec, s[2:3]
	v_or_b32_e32 v15, 0x400, v0
	v_cmp_gt_u32_e32 vcc, s33, v15
	v_mov_b32_e32 v13, 0
	v_mov_b32_e32 v14, 0
	s_and_saveexec_b64 s[2:3], vcc
	s_cbranch_execz .LBB3293_31
; %bb.30:
	v_lshlrev_b32_e32 v14, 2, v15
	global_load_dword v14, v14, s[0:1]
	s_waitcnt vmcnt(0)
	v_xor_b32_e32 v14, -1, v14
	v_and_b32_e32 v14, 1, v14
.LBB3293_31:
	s_or_b64 exec, exec, s[2:3]
	v_or_b32_e32 v15, 0x500, v0
	v_cmp_gt_u32_e32 vcc, s33, v15
	s_and_saveexec_b64 s[2:3], vcc
	s_cbranch_execz .LBB3293_33
; %bb.32:
	v_lshlrev_b32_e32 v13, 2, v15
	global_load_dword v13, v13, s[0:1]
	s_waitcnt vmcnt(0)
	v_xor_b32_e32 v13, -1, v13
	v_and_b32_e32 v13, 1, v13
.LBB3293_33:
	s_or_b64 exec, exec, s[2:3]
	v_or_b32_e32 v16, 0x600, v0
	v_cmp_gt_u32_e32 vcc, s33, v16
	v_mov_b32_e32 v15, 0
	s_and_saveexec_b64 s[2:3], vcc
	s_cbranch_execz .LBB3293_35
; %bb.34:
	v_lshlrev_b32_e32 v15, 2, v16
	global_load_dword v15, v15, s[0:1]
	s_waitcnt vmcnt(0)
	v_xor_b32_e32 v15, -1, v15
	v_and_b32_e32 v15, 1, v15
.LBB3293_35:
	s_or_b64 exec, exec, s[2:3]
	ds_write_b8 v0, v10
	ds_write_b8 v0, v9 offset:256
	ds_write_b8 v0, v12 offset:512
	;; [unrolled: 1-line block ×6, first 2 shown]
	s_waitcnt lgkmcnt(0)
	s_barrier
.LBB3293_36:
	s_movk_i32 s0, 0xffeb
	v_mad_i32_i24 v28, v0, s0, v8
	s_waitcnt lgkmcnt(0)
	ds_read_u8 v8, v28
	ds_read_u8 v9, v28 offset:1
	ds_read_u8 v10, v28 offset:2
	;; [unrolled: 1-line block ×6, first 2 shown]
	s_waitcnt lgkmcnt(6)
	v_and_b32_e32 v26, 1, v8
	s_waitcnt lgkmcnt(5)
	v_and_b32_e32 v25, 1, v9
	;; [unrolled: 2-line block ×5, first 2 shown]
	v_add3_u32 v8, v25, v26, v24
	s_waitcnt lgkmcnt(1)
	v_and_b32_e32 v21, 1, v13
	s_waitcnt lgkmcnt(0)
	v_and_b32_e32 v20, 1, v14
	v_add3_u32 v8, v8, v23, v22
	v_add3_u32 v30, v8, v21, v20
	v_mbcnt_lo_u32_b32 v8, -1, 0
	v_mbcnt_hi_u32_b32 v27, -1, v8
	v_and_b32_e32 v8, 15, v27
	v_cmp_eq_u32_e64 s[14:15], 0, v8
	v_cmp_lt_u32_e64 s[12:13], 1, v8
	v_cmp_lt_u32_e64 s[10:11], 3, v8
	;; [unrolled: 1-line block ×3, first 2 shown]
	v_and_b32_e32 v8, 16, v27
	v_cmp_eq_u32_e64 s[18:19], 0, v8
	v_or_b32_e32 v8, 63, v0
	s_cmp_lg_u32 s6, 0
	v_cmp_lt_u32_e64 s[0:1], 31, v27
	v_lshrrev_b32_e32 v29, 6, v0
	v_cmp_eq_u32_e64 s[2:3], v8, v0
	s_barrier
	s_cbranch_scc0 .LBB3293_63
; %bb.37:
	v_mov_b32_dpp v8, v30 row_shr:1 row_mask:0xf bank_mask:0xf
	v_cndmask_b32_e64 v8, v8, 0, s[14:15]
	v_add_u32_e32 v8, v8, v30
	s_nop 1
	v_mov_b32_dpp v9, v8 row_shr:2 row_mask:0xf bank_mask:0xf
	v_cndmask_b32_e64 v9, 0, v9, s[12:13]
	v_add_u32_e32 v8, v8, v9
	s_nop 1
	;; [unrolled: 4-line block ×4, first 2 shown]
	v_mov_b32_dpp v9, v8 row_bcast:15 row_mask:0xf bank_mask:0xf
	v_cndmask_b32_e64 v9, v9, 0, s[18:19]
	v_add_u32_e32 v8, v8, v9
	s_nop 1
	v_mov_b32_dpp v9, v8 row_bcast:31 row_mask:0xf bank_mask:0xf
	v_cndmask_b32_e64 v9, 0, v9, s[0:1]
	v_add_u32_e32 v8, v8, v9
	s_and_saveexec_b64 s[16:17], s[2:3]
	s_cbranch_execz .LBB3293_39
; %bb.38:
	v_lshlrev_b32_e32 v9, 2, v29
	ds_write_b32 v9, v8
.LBB3293_39:
	s_or_b64 exec, exec, s[16:17]
	v_cmp_gt_u32_e32 vcc, 4, v0
	s_waitcnt lgkmcnt(0)
	s_barrier
	s_and_saveexec_b64 s[16:17], vcc
	s_cbranch_execz .LBB3293_41
; %bb.40:
	ds_read_b32 v9, v1
	v_and_b32_e32 v10, 3, v27
	v_cmp_ne_u32_e32 vcc, 0, v10
	s_waitcnt lgkmcnt(0)
	v_mov_b32_dpp v11, v9 row_shr:1 row_mask:0xf bank_mask:0xf
	v_cndmask_b32_e32 v11, 0, v11, vcc
	v_add_u32_e32 v9, v11, v9
	v_cmp_lt_u32_e32 vcc, 1, v10
	s_nop 0
	v_mov_b32_dpp v11, v9 row_shr:2 row_mask:0xf bank_mask:0xf
	v_cndmask_b32_e32 v10, 0, v11, vcc
	v_add_u32_e32 v9, v9, v10
	ds_write_b32 v1, v9
.LBB3293_41:
	s_or_b64 exec, exec, s[16:17]
	v_cmp_gt_u32_e32 vcc, 64, v0
	v_cmp_lt_u32_e64 s[16:17], 63, v0
	s_waitcnt lgkmcnt(0)
	s_barrier
	s_waitcnt lgkmcnt(0)
                                        ; implicit-def: $vgpr31
	s_and_saveexec_b64 s[30:31], s[16:17]
	s_cbranch_execz .LBB3293_43
; %bb.42:
	v_lshl_add_u32 v9, v29, 2, -4
	ds_read_b32 v31, v9
	s_waitcnt lgkmcnt(0)
	v_add_u32_e32 v8, v31, v8
.LBB3293_43:
	s_or_b64 exec, exec, s[30:31]
	v_add_u32_e32 v9, -1, v27
	v_and_b32_e32 v10, 64, v27
	v_cmp_lt_i32_e64 s[16:17], v9, v10
	v_cndmask_b32_e64 v9, v9, v27, s[16:17]
	v_lshlrev_b32_e32 v9, 2, v9
	ds_bpermute_b32 v32, v9, v8
	v_cmp_eq_u32_e64 s[16:17], 0, v27
	s_and_saveexec_b64 s[30:31], vcc
	s_cbranch_execz .LBB3293_62
; %bb.44:
	v_mov_b32_e32 v15, 0
	ds_read_b32 v8, v15 offset:12
	s_and_saveexec_b64 s[34:35], s[16:17]
	s_cbranch_execz .LBB3293_46
; %bb.45:
	s_add_i32 s36, s6, 64
	s_mov_b32 s37, 0
	s_lshl_b64 s[36:37], s[36:37], 3
	s_add_u32 s36, s28, s36
	v_mov_b32_e32 v9, 1
	s_addc_u32 s37, s29, s37
	s_waitcnt lgkmcnt(0)
	global_store_dwordx2 v15, v[8:9], s[36:37]
.LBB3293_46:
	s_or_b64 exec, exec, s[34:35]
	v_xad_u32 v10, v27, -1, s6
	v_add_u32_e32 v14, 64, v10
	v_lshlrev_b64 v[12:13], 3, v[14:15]
	v_mov_b32_e32 v9, s29
	v_add_co_u32_e32 v16, vcc, s28, v12
	v_addc_co_u32_e32 v17, vcc, v9, v13, vcc
	global_load_dwordx2 v[12:13], v[16:17], off glc
	s_waitcnt vmcnt(0)
	v_cmp_eq_u16_sdwa s[36:37], v13, v15 src0_sel:BYTE_0 src1_sel:DWORD
	s_and_saveexec_b64 s[34:35], s[36:37]
	s_cbranch_execz .LBB3293_50
; %bb.47:
	s_mov_b64 s[36:37], 0
	v_mov_b32_e32 v9, 0
.LBB3293_48:                            ; =>This Inner Loop Header: Depth=1
	global_load_dwordx2 v[12:13], v[16:17], off glc
	s_waitcnt vmcnt(0)
	v_cmp_ne_u16_sdwa s[38:39], v13, v9 src0_sel:BYTE_0 src1_sel:DWORD
	s_or_b64 s[36:37], s[38:39], s[36:37]
	s_andn2_b64 exec, exec, s[36:37]
	s_cbranch_execnz .LBB3293_48
; %bb.49:
	s_or_b64 exec, exec, s[36:37]
.LBB3293_50:
	s_or_b64 exec, exec, s[34:35]
	v_and_b32_e32 v34, 63, v27
	v_mov_b32_e32 v33, 2
	v_cmp_ne_u32_e32 vcc, 63, v34
	v_cmp_eq_u16_sdwa s[34:35], v13, v33 src0_sel:BYTE_0 src1_sel:DWORD
	v_lshlrev_b64 v[14:15], v27, -1
	v_addc_co_u32_e32 v16, vcc, 0, v27, vcc
	v_and_b32_e32 v9, s35, v15
	v_lshlrev_b32_e32 v35, 2, v16
	v_or_b32_e32 v9, 0x80000000, v9
	ds_bpermute_b32 v16, v35, v12
	v_and_b32_e32 v11, s34, v14
	v_ffbl_b32_e32 v9, v9
	v_add_u32_e32 v9, 32, v9
	v_ffbl_b32_e32 v11, v11
	v_min_u32_e32 v9, v11, v9
	v_cmp_lt_u32_e32 vcc, v34, v9
	s_waitcnt lgkmcnt(0)
	v_cndmask_b32_e32 v11, 0, v16, vcc
	v_cmp_gt_u32_e32 vcc, 62, v34
	v_add_u32_e32 v11, v11, v12
	v_cndmask_b32_e64 v12, 0, 1, vcc
	v_lshlrev_b32_e32 v12, 1, v12
	v_add_lshl_u32 v36, v12, v27, 2
	ds_bpermute_b32 v12, v36, v11
	v_add_u32_e32 v37, 2, v34
	v_cmp_le_u32_e32 vcc, v37, v9
	v_add_u32_e32 v39, 4, v34
	v_add_u32_e32 v41, 8, v34
	s_waitcnt lgkmcnt(0)
	v_cndmask_b32_e32 v12, 0, v12, vcc
	v_cmp_gt_u32_e32 vcc, 60, v34
	v_add_u32_e32 v11, v11, v12
	v_cndmask_b32_e64 v12, 0, 1, vcc
	v_lshlrev_b32_e32 v12, 2, v12
	v_add_lshl_u32 v38, v12, v27, 2
	ds_bpermute_b32 v12, v38, v11
	v_cmp_le_u32_e32 vcc, v39, v9
	v_add_u32_e32 v43, 16, v34
	v_add_u32_e32 v45, 32, v34
	s_waitcnt lgkmcnt(0)
	v_cndmask_b32_e32 v12, 0, v12, vcc
	v_cmp_gt_u32_e32 vcc, 56, v34
	v_add_u32_e32 v11, v11, v12
	v_cndmask_b32_e64 v12, 0, 1, vcc
	v_lshlrev_b32_e32 v12, 3, v12
	v_add_lshl_u32 v40, v12, v27, 2
	ds_bpermute_b32 v12, v40, v11
	v_cmp_le_u32_e32 vcc, v41, v9
	s_waitcnt lgkmcnt(0)
	v_cndmask_b32_e32 v12, 0, v12, vcc
	v_cmp_gt_u32_e32 vcc, 48, v34
	v_add_u32_e32 v11, v11, v12
	v_cndmask_b32_e64 v12, 0, 1, vcc
	v_lshlrev_b32_e32 v12, 4, v12
	v_add_lshl_u32 v42, v12, v27, 2
	ds_bpermute_b32 v12, v42, v11
	v_cmp_le_u32_e32 vcc, v43, v9
	s_waitcnt lgkmcnt(0)
	v_cndmask_b32_e32 v12, 0, v12, vcc
	v_cmp_gt_u32_e32 vcc, 32, v34
	v_add_u32_e32 v11, v11, v12
	v_cndmask_b32_e64 v12, 0, 1, vcc
	v_lshlrev_b32_e32 v12, 5, v12
	v_add_lshl_u32 v44, v12, v27, 2
	ds_bpermute_b32 v12, v44, v11
	v_cmp_le_u32_e32 vcc, v45, v9
	s_waitcnt lgkmcnt(0)
	v_cndmask_b32_e32 v9, 0, v12, vcc
	v_add_u32_e32 v12, v11, v9
	v_mov_b32_e32 v11, 0
	s_branch .LBB3293_52
.LBB3293_51:                            ;   in Loop: Header=BB3293_52 Depth=1
	s_or_b64 exec, exec, s[34:35]
	v_cmp_eq_u16_sdwa s[34:35], v13, v33 src0_sel:BYTE_0 src1_sel:DWORD
	v_and_b32_e32 v16, s35, v15
	v_or_b32_e32 v16, 0x80000000, v16
	ds_bpermute_b32 v46, v35, v12
	v_and_b32_e32 v17, s34, v14
	v_ffbl_b32_e32 v16, v16
	v_add_u32_e32 v16, 32, v16
	v_ffbl_b32_e32 v17, v17
	v_min_u32_e32 v16, v17, v16
	v_cmp_lt_u32_e32 vcc, v34, v16
	s_waitcnt lgkmcnt(0)
	v_cndmask_b32_e32 v17, 0, v46, vcc
	v_add_u32_e32 v12, v17, v12
	ds_bpermute_b32 v17, v36, v12
	v_cmp_le_u32_e32 vcc, v37, v16
	v_subrev_u32_e32 v10, 64, v10
	s_waitcnt lgkmcnt(0)
	v_cndmask_b32_e32 v17, 0, v17, vcc
	v_add_u32_e32 v12, v12, v17
	ds_bpermute_b32 v17, v38, v12
	v_cmp_le_u32_e32 vcc, v39, v16
	s_waitcnt lgkmcnt(0)
	v_cndmask_b32_e32 v17, 0, v17, vcc
	v_add_u32_e32 v12, v12, v17
	ds_bpermute_b32 v17, v40, v12
	v_cmp_le_u32_e32 vcc, v41, v16
	;; [unrolled: 5-line block ×4, first 2 shown]
	s_waitcnt lgkmcnt(0)
	v_cndmask_b32_e32 v16, 0, v17, vcc
	v_add3_u32 v12, v16, v9, v12
.LBB3293_52:                            ; =>This Loop Header: Depth=1
                                        ;     Child Loop BB3293_55 Depth 2
	v_cmp_ne_u16_sdwa s[34:35], v13, v33 src0_sel:BYTE_0 src1_sel:DWORD
	v_cndmask_b32_e64 v9, 0, 1, s[34:35]
	;;#ASMSTART
	;;#ASMEND
	v_cmp_ne_u32_e32 vcc, 0, v9
	s_cmp_lg_u64 vcc, exec
	v_mov_b32_e32 v9, v12
	s_cbranch_scc1 .LBB3293_57
; %bb.53:                               ;   in Loop: Header=BB3293_52 Depth=1
	v_lshlrev_b64 v[12:13], 3, v[10:11]
	v_mov_b32_e32 v17, s29
	v_add_co_u32_e32 v16, vcc, s28, v12
	v_addc_co_u32_e32 v17, vcc, v17, v13, vcc
	global_load_dwordx2 v[12:13], v[16:17], off glc
	s_waitcnt vmcnt(0)
	v_cmp_eq_u16_sdwa s[36:37], v13, v11 src0_sel:BYTE_0 src1_sel:DWORD
	s_and_saveexec_b64 s[34:35], s[36:37]
	s_cbranch_execz .LBB3293_51
; %bb.54:                               ;   in Loop: Header=BB3293_52 Depth=1
	s_mov_b64 s[36:37], 0
.LBB3293_55:                            ;   Parent Loop BB3293_52 Depth=1
                                        ; =>  This Inner Loop Header: Depth=2
	global_load_dwordx2 v[12:13], v[16:17], off glc
	s_waitcnt vmcnt(0)
	v_cmp_ne_u16_sdwa s[38:39], v13, v11 src0_sel:BYTE_0 src1_sel:DWORD
	s_or_b64 s[36:37], s[38:39], s[36:37]
	s_andn2_b64 exec, exec, s[36:37]
	s_cbranch_execnz .LBB3293_55
; %bb.56:                               ;   in Loop: Header=BB3293_52 Depth=1
	s_or_b64 exec, exec, s[36:37]
	s_branch .LBB3293_51
.LBB3293_57:                            ;   in Loop: Header=BB3293_52 Depth=1
                                        ; implicit-def: $vgpr12
                                        ; implicit-def: $vgpr13
	s_cbranch_execz .LBB3293_52
; %bb.58:
	s_and_saveexec_b64 s[34:35], s[16:17]
	s_cbranch_execz .LBB3293_60
; %bb.59:
	s_add_i32 s6, s6, 64
	s_mov_b32 s7, 0
	s_lshl_b64 s[6:7], s[6:7], 3
	s_add_u32 s6, s28, s6
	v_add_u32_e32 v10, v9, v8
	v_mov_b32_e32 v11, 2
	s_addc_u32 s7, s29, s7
	v_mov_b32_e32 v12, 0
	global_store_dwordx2 v12, v[10:11], s[6:7]
	ds_write_b64 v12, v[8:9] offset:7168
.LBB3293_60:
	s_or_b64 exec, exec, s[34:35]
	v_cmp_eq_u32_e32 vcc, 0, v0
	s_and_b64 exec, exec, vcc
	s_cbranch_execz .LBB3293_62
; %bb.61:
	v_mov_b32_e32 v8, 0
	ds_write_b32 v8, v9 offset:12
.LBB3293_62:
	s_or_b64 exec, exec, s[30:31]
	v_mov_b32_e32 v8, 0
	s_waitcnt lgkmcnt(0)
	s_barrier
	ds_read_b32 v9, v8 offset:12
	v_cndmask_b32_e64 v10, v32, v31, s[16:17]
	v_cmp_ne_u32_e32 vcc, 0, v0
	v_cndmask_b32_e32 v10, 0, v10, vcc
	s_waitcnt lgkmcnt(0)
	v_add_u32_e32 v17, v9, v10
	v_add_u32_e32 v16, v17, v26
	s_barrier
	ds_read_b64 v[8:9], v8 offset:7168
	v_add_u32_e32 v15, v16, v25
	v_add_u32_e32 v13, v15, v24
	;; [unrolled: 1-line block ×5, first 2 shown]
	s_waitcnt lgkmcnt(0)
	v_mov_b32_e32 v10, v9
	s_load_dwordx2 s[4:5], s[4:5], 0x30
	s_branch .LBB3293_73
.LBB3293_63:
                                        ; implicit-def: $vgpr10
                                        ; implicit-def: $vgpr8
                                        ; implicit-def: $vgpr11
                                        ; implicit-def: $vgpr12
                                        ; implicit-def: $vgpr14
                                        ; implicit-def: $vgpr13
                                        ; implicit-def: $vgpr15
                                        ; implicit-def: $vgpr16
                                        ; implicit-def: $vgpr17
	s_load_dwordx2 s[4:5], s[4:5], 0x30
	s_cbranch_execz .LBB3293_73
; %bb.64:
	v_mov_b32_dpp v8, v30 row_shr:1 row_mask:0xf bank_mask:0xf
	v_cndmask_b32_e64 v8, v8, 0, s[14:15]
	v_add_u32_e32 v8, v8, v30
	s_nop 1
	v_mov_b32_dpp v9, v8 row_shr:2 row_mask:0xf bank_mask:0xf
	v_cndmask_b32_e64 v9, 0, v9, s[12:13]
	v_add_u32_e32 v8, v8, v9
	s_nop 1
	;; [unrolled: 4-line block ×4, first 2 shown]
	v_mov_b32_dpp v9, v8 row_bcast:15 row_mask:0xf bank_mask:0xf
	v_cndmask_b32_e64 v9, v9, 0, s[18:19]
	v_add_u32_e32 v8, v8, v9
	s_nop 1
	v_mov_b32_dpp v9, v8 row_bcast:31 row_mask:0xf bank_mask:0xf
	v_cndmask_b32_e64 v9, 0, v9, s[0:1]
	v_add_u32_e32 v8, v8, v9
	s_and_saveexec_b64 s[0:1], s[2:3]
	s_cbranch_execz .LBB3293_66
; %bb.65:
	v_lshlrev_b32_e32 v9, 2, v29
	ds_write_b32 v9, v8
.LBB3293_66:
	s_or_b64 exec, exec, s[0:1]
	v_cmp_gt_u32_e32 vcc, 4, v0
	s_waitcnt lgkmcnt(0)
	s_barrier
	s_and_saveexec_b64 s[0:1], vcc
	s_cbranch_execz .LBB3293_68
; %bb.67:
	v_mad_i32_i24 v9, v0, -3, v28
	ds_read_b32 v10, v9
	v_and_b32_e32 v11, 3, v27
	v_cmp_ne_u32_e32 vcc, 0, v11
	s_waitcnt lgkmcnt(0)
	v_mov_b32_dpp v12, v10 row_shr:1 row_mask:0xf bank_mask:0xf
	v_cndmask_b32_e32 v12, 0, v12, vcc
	v_add_u32_e32 v10, v12, v10
	v_cmp_lt_u32_e32 vcc, 1, v11
	s_nop 0
	v_mov_b32_dpp v12, v10 row_shr:2 row_mask:0xf bank_mask:0xf
	v_cndmask_b32_e32 v11, 0, v12, vcc
	v_add_u32_e32 v10, v10, v11
	ds_write_b32 v9, v10
.LBB3293_68:
	s_or_b64 exec, exec, s[0:1]
	v_cmp_lt_u32_e32 vcc, 63, v0
	v_mov_b32_e32 v9, 0
	v_mov_b32_e32 v10, 0
	s_waitcnt lgkmcnt(0)
	s_barrier
	s_and_saveexec_b64 s[0:1], vcc
	s_cbranch_execz .LBB3293_70
; %bb.69:
	v_lshl_add_u32 v10, v29, 2, -4
	ds_read_b32 v10, v10
.LBB3293_70:
	s_or_b64 exec, exec, s[0:1]
	v_add_u32_e32 v11, -1, v27
	v_and_b32_e32 v12, 64, v27
	v_cmp_lt_i32_e32 vcc, v11, v12
	v_cndmask_b32_e32 v11, v11, v27, vcc
	s_waitcnt lgkmcnt(0)
	v_add_u32_e32 v8, v10, v8
	v_lshlrev_b32_e32 v11, 2, v11
	ds_bpermute_b32 v11, v11, v8
	ds_read_b32 v8, v9 offset:12
	v_cmp_eq_u32_e32 vcc, 0, v0
	s_and_saveexec_b64 s[0:1], vcc
	s_cbranch_execz .LBB3293_72
; %bb.71:
	v_mov_b32_e32 v12, 0
	v_mov_b32_e32 v9, 2
	s_waitcnt lgkmcnt(0)
	global_store_dwordx2 v12, v[8:9], s[28:29] offset:512
.LBB3293_72:
	s_or_b64 exec, exec, s[0:1]
	v_cmp_eq_u32_e64 s[0:1], 0, v27
	s_waitcnt lgkmcnt(1)
	v_cndmask_b32_e64 v9, v11, v10, s[0:1]
	v_cndmask_b32_e64 v17, v9, 0, vcc
	v_add_u32_e32 v16, v17, v26
	v_add_u32_e32 v15, v16, v25
	;; [unrolled: 1-line block ×5, first 2 shown]
	v_mov_b32_e32 v10, 0
	v_add_u32_e32 v11, v12, v21
	s_waitcnt lgkmcnt(0)
	s_barrier
.LBB3293_73:
	v_add_u32_e32 v9, v8, v19
	v_sub_u32_e32 v17, v17, v10
	v_sub_u32_e32 v19, v9, v17
	v_cmp_eq_u32_e32 vcc, 1, v26
	v_cndmask_b32_e32 v17, v19, v17, vcc
	v_lshlrev_b32_e32 v17, 2, v17
	ds_write_b32 v17, v6
	v_sub_u32_e32 v6, v16, v10
	v_sub_u32_e32 v16, v9, v6
	v_add_u32_e32 v16, 1, v16
	v_cmp_eq_u32_e32 vcc, 1, v25
	v_cndmask_b32_e32 v6, v16, v6, vcc
	v_lshlrev_b32_e32 v6, 2, v6
	ds_write_b32 v6, v7
	v_sub_u32_e32 v6, v15, v10
	v_sub_u32_e32 v7, v9, v6
	v_add_u32_e32 v7, 2, v7
	v_cmp_eq_u32_e32 vcc, 1, v24
	v_cndmask_b32_e32 v6, v7, v6, vcc
	v_lshlrev_b32_e32 v6, 2, v6
	ds_write_b32 v6, v4
	v_sub_u32_e32 v4, v13, v10
	v_sub_u32_e32 v6, v9, v4
	v_add_u32_e32 v6, 3, v6
	v_cmp_eq_u32_e32 vcc, 1, v23
	v_cndmask_b32_e32 v4, v6, v4, vcc
	v_lshlrev_b32_e32 v4, 2, v4
	ds_write_b32 v4, v5
	v_sub_u32_e32 v4, v14, v10
	v_sub_u32_e32 v5, v9, v4
	v_add_u32_e32 v5, 4, v5
	v_cmp_eq_u32_e32 vcc, 1, v22
	v_cndmask_b32_e32 v4, v5, v4, vcc
	v_lshlrev_b32_e32 v4, 2, v4
	ds_write_b32 v4, v2
	v_sub_u32_e32 v2, v12, v10
	v_sub_u32_e32 v4, v9, v2
	v_add_u32_e32 v4, 5, v4
	v_cmp_eq_u32_e32 vcc, 1, v21
	v_cndmask_b32_e32 v2, v4, v2, vcc
	v_lshlrev_b32_e32 v2, 2, v2
	ds_write_b32 v2, v3
	v_sub_u32_e32 v2, v11, v10
	v_sub_u32_e32 v3, v9, v2
	v_add_u32_e32 v3, 6, v3
	v_cmp_eq_u32_e32 vcc, 1, v20
	v_cndmask_b32_e32 v2, v3, v2, vcc
	v_lshlrev_b32_e32 v2, 2, v2
	ds_write_b32 v2, v18
	s_waitcnt lgkmcnt(0)
	s_barrier
	ds_read2st64_b32 v[12:13], v1 offset1:4
	ds_read2st64_b32 v[6:7], v1 offset0:8 offset1:12
	ds_read2st64_b32 v[2:3], v1 offset0:16 offset1:20
	ds_read_b32 v9, v1 offset:6144
	v_or_b32_e32 v19, 0x100, v0
	v_or_b32_e32 v18, 0x200, v0
	;; [unrolled: 1-line block ×5, first 2 shown]
	s_andn2_b64 vcc, exec, s[26:27]
	v_or_b32_e32 v14, 0x600, v0
	s_cbranch_vccnz .LBB3293_82
; %bb.74:
	s_lshl_b64 s[0:1], s[22:23], 2
	v_mov_b32_e32 v11, 0
	s_add_u32 s0, s4, s0
	s_addc_u32 s1, s5, s1
	v_lshlrev_b64 v[4:5], 2, v[10:11]
	v_mov_b32_e32 v11, s1
	v_add_co_u32_e32 v4, vcc, s0, v4
	v_addc_co_u32_e32 v5, vcc, v11, v5, vcc
	v_cmp_gt_u32_e32 vcc, v8, v0
	s_and_saveexec_b64 s[0:1], vcc
	s_cbranch_execnz .LBB3293_96
; %bb.75:
	s_or_b64 exec, exec, s[0:1]
	v_cmp_lt_u32_e32 vcc, v19, v8
	s_and_saveexec_b64 s[0:1], vcc
	s_cbranch_execnz .LBB3293_97
.LBB3293_76:
	s_or_b64 exec, exec, s[0:1]
	v_cmp_lt_u32_e32 vcc, v18, v8
	s_and_saveexec_b64 s[0:1], vcc
	s_cbranch_execnz .LBB3293_98
.LBB3293_77:
	s_or_b64 exec, exec, s[0:1]
	v_cmp_lt_u32_e32 vcc, v17, v8
	s_and_saveexec_b64 s[0:1], vcc
	s_cbranch_execnz .LBB3293_99
.LBB3293_78:
	s_or_b64 exec, exec, s[0:1]
	v_cmp_lt_u32_e32 vcc, v16, v8
	s_and_saveexec_b64 s[0:1], vcc
	s_cbranch_execnz .LBB3293_100
.LBB3293_79:
	s_or_b64 exec, exec, s[0:1]
	v_cmp_lt_u32_e32 vcc, v15, v8
	s_and_saveexec_b64 s[0:1], vcc
	s_cbranch_execz .LBB3293_81
.LBB3293_80:
	v_lshlrev_b32_e32 v11, 2, v15
	v_readfirstlane_b32 s2, v4
	v_readfirstlane_b32 s3, v5
	s_waitcnt lgkmcnt(1)
	s_nop 3
	global_store_dword v11, v3, s[2:3]
.LBB3293_81:
	s_or_b64 exec, exec, s[0:1]
	v_cmp_lt_u32_e64 s[0:1], v14, v8
	s_branch .LBB3293_91
.LBB3293_82:
	s_mov_b64 s[0:1], 0
                                        ; implicit-def: $vgpr4_vgpr5
	s_cbranch_execz .LBB3293_91
; %bb.83:
	s_lshl_b64 s[0:1], s[22:23], 2
	v_mov_b32_e32 v11, 0
	s_add_u32 s0, s4, s0
	s_addc_u32 s1, s5, s1
	v_lshlrev_b64 v[4:5], 2, v[10:11]
	v_mov_b32_e32 v11, s1
	v_add_co_u32_e32 v4, vcc, s0, v4
	v_min_u32_e32 v20, s33, v8
	v_addc_co_u32_e32 v5, vcc, v11, v5, vcc
	v_cmp_gt_u32_e32 vcc, v20, v0
	s_and_saveexec_b64 s[0:1], vcc
	s_cbranch_execnz .LBB3293_101
; %bb.84:
	s_or_b64 exec, exec, s[0:1]
	v_cmp_lt_u32_e32 vcc, v19, v20
	s_and_saveexec_b64 s[0:1], vcc
	s_cbranch_execnz .LBB3293_102
.LBB3293_85:
	s_or_b64 exec, exec, s[0:1]
	v_cmp_lt_u32_e32 vcc, v18, v20
	s_and_saveexec_b64 s[0:1], vcc
	s_cbranch_execnz .LBB3293_103
.LBB3293_86:
	s_or_b64 exec, exec, s[0:1]
	v_cmp_lt_u32_e32 vcc, v17, v20
	s_and_saveexec_b64 s[0:1], vcc
	s_cbranch_execnz .LBB3293_104
.LBB3293_87:
	s_or_b64 exec, exec, s[0:1]
	v_cmp_lt_u32_e32 vcc, v16, v20
	s_and_saveexec_b64 s[0:1], vcc
	s_cbranch_execnz .LBB3293_105
.LBB3293_88:
	s_or_b64 exec, exec, s[0:1]
	v_cmp_lt_u32_e32 vcc, v15, v20
	s_and_saveexec_b64 s[0:1], vcc
	s_cbranch_execz .LBB3293_90
.LBB3293_89:
	v_lshlrev_b32_e32 v1, 2, v15
	v_readfirstlane_b32 s2, v4
	v_readfirstlane_b32 s3, v5
	s_waitcnt lgkmcnt(1)
	s_nop 3
	global_store_dword v1, v3, s[2:3]
.LBB3293_90:
	s_or_b64 exec, exec, s[0:1]
	v_cmp_lt_u32_e64 s[0:1], v14, v20
.LBB3293_91:
	s_and_saveexec_b64 s[2:3], s[0:1]
	s_cbranch_execz .LBB3293_93
; %bb.92:
	v_lshlrev_b32_e32 v1, 2, v14
	v_readfirstlane_b32 s0, v4
	v_readfirstlane_b32 s1, v5
	s_waitcnt lgkmcnt(0)
	s_nop 3
	global_store_dword v1, v9, s[0:1]
.LBB3293_93:
	s_or_b64 exec, exec, s[2:3]
	v_cmp_eq_u32_e32 vcc, 0, v0
	s_and_b64 s[0:1], vcc, s[24:25]
	s_and_saveexec_b64 s[2:3], s[0:1]
	s_cbranch_execz .LBB3293_95
; %bb.94:
	v_mov_b32_e32 v0, s23
	v_add_co_u32_e32 v1, vcc, s22, v8
	s_waitcnt lgkmcnt(1)
	v_addc_co_u32_e32 v3, vcc, 0, v0, vcc
	v_add_co_u32_e32 v0, vcc, v1, v10
	v_mov_b32_e32 v2, 0
	v_addc_co_u32_e32 v1, vcc, 0, v3, vcc
	global_store_dwordx2 v2, v[0:1], s[20:21]
.LBB3293_95:
	s_endpgm
.LBB3293_96:
	v_readfirstlane_b32 s2, v4
	v_readfirstlane_b32 s3, v5
	s_waitcnt lgkmcnt(3)
	s_nop 3
	global_store_dword v1, v12, s[2:3]
	s_or_b64 exec, exec, s[0:1]
	v_cmp_lt_u32_e32 vcc, v19, v8
	s_and_saveexec_b64 s[0:1], vcc
	s_cbranch_execz .LBB3293_76
.LBB3293_97:
	v_readfirstlane_b32 s2, v4
	v_readfirstlane_b32 s3, v5
	s_waitcnt lgkmcnt(3)
	s_nop 3
	global_store_dword v1, v13, s[2:3] offset:1024
	s_or_b64 exec, exec, s[0:1]
	v_cmp_lt_u32_e32 vcc, v18, v8
	s_and_saveexec_b64 s[0:1], vcc
	s_cbranch_execz .LBB3293_77
.LBB3293_98:
	v_readfirstlane_b32 s2, v4
	v_readfirstlane_b32 s3, v5
	s_waitcnt lgkmcnt(2)
	s_nop 3
	global_store_dword v1, v6, s[2:3] offset:2048
	s_or_b64 exec, exec, s[0:1]
	v_cmp_lt_u32_e32 vcc, v17, v8
	s_and_saveexec_b64 s[0:1], vcc
	s_cbranch_execz .LBB3293_78
.LBB3293_99:
	v_readfirstlane_b32 s2, v4
	v_readfirstlane_b32 s3, v5
	s_waitcnt lgkmcnt(2)
	s_nop 3
	global_store_dword v1, v7, s[2:3] offset:3072
	s_or_b64 exec, exec, s[0:1]
	v_cmp_lt_u32_e32 vcc, v16, v8
	s_and_saveexec_b64 s[0:1], vcc
	s_cbranch_execz .LBB3293_79
.LBB3293_100:
	v_lshlrev_b32_e32 v11, 2, v16
	v_readfirstlane_b32 s2, v4
	v_readfirstlane_b32 s3, v5
	s_waitcnt lgkmcnt(1)
	s_nop 3
	global_store_dword v11, v2, s[2:3]
	s_or_b64 exec, exec, s[0:1]
	v_cmp_lt_u32_e32 vcc, v15, v8
	s_and_saveexec_b64 s[0:1], vcc
	s_cbranch_execnz .LBB3293_80
	s_branch .LBB3293_81
.LBB3293_101:
	v_readfirstlane_b32 s2, v4
	v_readfirstlane_b32 s3, v5
	s_waitcnt lgkmcnt(3)
	s_nop 3
	global_store_dword v1, v12, s[2:3]
	s_or_b64 exec, exec, s[0:1]
	v_cmp_lt_u32_e32 vcc, v19, v20
	s_and_saveexec_b64 s[0:1], vcc
	s_cbranch_execz .LBB3293_85
.LBB3293_102:
	v_readfirstlane_b32 s2, v4
	v_readfirstlane_b32 s3, v5
	s_waitcnt lgkmcnt(3)
	s_nop 3
	global_store_dword v1, v13, s[2:3] offset:1024
	s_or_b64 exec, exec, s[0:1]
	v_cmp_lt_u32_e32 vcc, v18, v20
	s_and_saveexec_b64 s[0:1], vcc
	s_cbranch_execz .LBB3293_86
.LBB3293_103:
	v_readfirstlane_b32 s2, v4
	v_readfirstlane_b32 s3, v5
	s_waitcnt lgkmcnt(2)
	s_nop 3
	global_store_dword v1, v6, s[2:3] offset:2048
	s_or_b64 exec, exec, s[0:1]
	v_cmp_lt_u32_e32 vcc, v17, v20
	s_and_saveexec_b64 s[0:1], vcc
	s_cbranch_execz .LBB3293_87
.LBB3293_104:
	v_readfirstlane_b32 s2, v4
	v_readfirstlane_b32 s3, v5
	s_waitcnt lgkmcnt(2)
	s_nop 3
	global_store_dword v1, v7, s[2:3] offset:3072
	s_or_b64 exec, exec, s[0:1]
	v_cmp_lt_u32_e32 vcc, v16, v20
	s_and_saveexec_b64 s[0:1], vcc
	s_cbranch_execz .LBB3293_88
.LBB3293_105:
	v_lshlrev_b32_e32 v1, 2, v16
	v_readfirstlane_b32 s2, v4
	v_readfirstlane_b32 s3, v5
	s_waitcnt lgkmcnt(1)
	s_nop 3
	global_store_dword v1, v2, s[2:3]
	s_or_b64 exec, exec, s[0:1]
	v_cmp_lt_u32_e32 vcc, v15, v20
	s_and_saveexec_b64 s[0:1], vcc
	s_cbranch_execnz .LBB3293_89
	s_branch .LBB3293_90
	.section	.rodata,"a",@progbits
	.p2align	6, 0x0
	.amdhsa_kernel _ZN7rocprim17ROCPRIM_400000_NS6detail17trampoline_kernelINS0_14default_configENS1_25partition_config_selectorILNS1_17partition_subalgoE1EiNS0_10empty_typeEbEEZZNS1_14partition_implILS5_1ELb0ES3_jN6thrust23THRUST_200600_302600_NS6detail15normal_iteratorINSA_10device_ptrIiEEEEPS6_NSA_18transform_iteratorI7is_evenIiESF_NSA_11use_defaultESK_EENS0_5tupleIJSF_NSA_16discard_iteratorISK_EEEEENSM_IJSG_SG_EEES6_PlJS6_EEE10hipError_tPvRmT3_T4_T5_T6_T7_T9_mT8_P12ihipStream_tbDpT10_ENKUlT_T0_E_clISt17integral_constantIbLb0EES1B_EEDaS16_S17_EUlS16_E_NS1_11comp_targetILNS1_3genE4ELNS1_11target_archE910ELNS1_3gpuE8ELNS1_3repE0EEENS1_30default_config_static_selectorELNS0_4arch9wavefront6targetE1EEEvT1_
		.amdhsa_group_segment_fixed_size 7176
		.amdhsa_private_segment_fixed_size 0
		.amdhsa_kernarg_size 136
		.amdhsa_user_sgpr_count 6
		.amdhsa_user_sgpr_private_segment_buffer 1
		.amdhsa_user_sgpr_dispatch_ptr 0
		.amdhsa_user_sgpr_queue_ptr 0
		.amdhsa_user_sgpr_kernarg_segment_ptr 1
		.amdhsa_user_sgpr_dispatch_id 0
		.amdhsa_user_sgpr_flat_scratch_init 0
		.amdhsa_user_sgpr_kernarg_preload_length 0
		.amdhsa_user_sgpr_kernarg_preload_offset 0
		.amdhsa_user_sgpr_private_segment_size 0
		.amdhsa_uses_dynamic_stack 0
		.amdhsa_system_sgpr_private_segment_wavefront_offset 0
		.amdhsa_system_sgpr_workgroup_id_x 1
		.amdhsa_system_sgpr_workgroup_id_y 0
		.amdhsa_system_sgpr_workgroup_id_z 0
		.amdhsa_system_sgpr_workgroup_info 0
		.amdhsa_system_vgpr_workitem_id 0
		.amdhsa_next_free_vgpr 47
		.amdhsa_next_free_sgpr 40
		.amdhsa_accum_offset 48
		.amdhsa_reserve_vcc 1
		.amdhsa_reserve_flat_scratch 0
		.amdhsa_float_round_mode_32 0
		.amdhsa_float_round_mode_16_64 0
		.amdhsa_float_denorm_mode_32 3
		.amdhsa_float_denorm_mode_16_64 3
		.amdhsa_dx10_clamp 1
		.amdhsa_ieee_mode 1
		.amdhsa_fp16_overflow 0
		.amdhsa_tg_split 0
		.amdhsa_exception_fp_ieee_invalid_op 0
		.amdhsa_exception_fp_denorm_src 0
		.amdhsa_exception_fp_ieee_div_zero 0
		.amdhsa_exception_fp_ieee_overflow 0
		.amdhsa_exception_fp_ieee_underflow 0
		.amdhsa_exception_fp_ieee_inexact 0
		.amdhsa_exception_int_div_zero 0
	.end_amdhsa_kernel
	.section	.text._ZN7rocprim17ROCPRIM_400000_NS6detail17trampoline_kernelINS0_14default_configENS1_25partition_config_selectorILNS1_17partition_subalgoE1EiNS0_10empty_typeEbEEZZNS1_14partition_implILS5_1ELb0ES3_jN6thrust23THRUST_200600_302600_NS6detail15normal_iteratorINSA_10device_ptrIiEEEEPS6_NSA_18transform_iteratorI7is_evenIiESF_NSA_11use_defaultESK_EENS0_5tupleIJSF_NSA_16discard_iteratorISK_EEEEENSM_IJSG_SG_EEES6_PlJS6_EEE10hipError_tPvRmT3_T4_T5_T6_T7_T9_mT8_P12ihipStream_tbDpT10_ENKUlT_T0_E_clISt17integral_constantIbLb0EES1B_EEDaS16_S17_EUlS16_E_NS1_11comp_targetILNS1_3genE4ELNS1_11target_archE910ELNS1_3gpuE8ELNS1_3repE0EEENS1_30default_config_static_selectorELNS0_4arch9wavefront6targetE1EEEvT1_,"axG",@progbits,_ZN7rocprim17ROCPRIM_400000_NS6detail17trampoline_kernelINS0_14default_configENS1_25partition_config_selectorILNS1_17partition_subalgoE1EiNS0_10empty_typeEbEEZZNS1_14partition_implILS5_1ELb0ES3_jN6thrust23THRUST_200600_302600_NS6detail15normal_iteratorINSA_10device_ptrIiEEEEPS6_NSA_18transform_iteratorI7is_evenIiESF_NSA_11use_defaultESK_EENS0_5tupleIJSF_NSA_16discard_iteratorISK_EEEEENSM_IJSG_SG_EEES6_PlJS6_EEE10hipError_tPvRmT3_T4_T5_T6_T7_T9_mT8_P12ihipStream_tbDpT10_ENKUlT_T0_E_clISt17integral_constantIbLb0EES1B_EEDaS16_S17_EUlS16_E_NS1_11comp_targetILNS1_3genE4ELNS1_11target_archE910ELNS1_3gpuE8ELNS1_3repE0EEENS1_30default_config_static_selectorELNS0_4arch9wavefront6targetE1EEEvT1_,comdat
.Lfunc_end3293:
	.size	_ZN7rocprim17ROCPRIM_400000_NS6detail17trampoline_kernelINS0_14default_configENS1_25partition_config_selectorILNS1_17partition_subalgoE1EiNS0_10empty_typeEbEEZZNS1_14partition_implILS5_1ELb0ES3_jN6thrust23THRUST_200600_302600_NS6detail15normal_iteratorINSA_10device_ptrIiEEEEPS6_NSA_18transform_iteratorI7is_evenIiESF_NSA_11use_defaultESK_EENS0_5tupleIJSF_NSA_16discard_iteratorISK_EEEEENSM_IJSG_SG_EEES6_PlJS6_EEE10hipError_tPvRmT3_T4_T5_T6_T7_T9_mT8_P12ihipStream_tbDpT10_ENKUlT_T0_E_clISt17integral_constantIbLb0EES1B_EEDaS16_S17_EUlS16_E_NS1_11comp_targetILNS1_3genE4ELNS1_11target_archE910ELNS1_3gpuE8ELNS1_3repE0EEENS1_30default_config_static_selectorELNS0_4arch9wavefront6targetE1EEEvT1_, .Lfunc_end3293-_ZN7rocprim17ROCPRIM_400000_NS6detail17trampoline_kernelINS0_14default_configENS1_25partition_config_selectorILNS1_17partition_subalgoE1EiNS0_10empty_typeEbEEZZNS1_14partition_implILS5_1ELb0ES3_jN6thrust23THRUST_200600_302600_NS6detail15normal_iteratorINSA_10device_ptrIiEEEEPS6_NSA_18transform_iteratorI7is_evenIiESF_NSA_11use_defaultESK_EENS0_5tupleIJSF_NSA_16discard_iteratorISK_EEEEENSM_IJSG_SG_EEES6_PlJS6_EEE10hipError_tPvRmT3_T4_T5_T6_T7_T9_mT8_P12ihipStream_tbDpT10_ENKUlT_T0_E_clISt17integral_constantIbLb0EES1B_EEDaS16_S17_EUlS16_E_NS1_11comp_targetILNS1_3genE4ELNS1_11target_archE910ELNS1_3gpuE8ELNS1_3repE0EEENS1_30default_config_static_selectorELNS0_4arch9wavefront6targetE1EEEvT1_
                                        ; -- End function
	.section	.AMDGPU.csdata,"",@progbits
; Kernel info:
; codeLenInByte = 4708
; NumSgprs: 44
; NumVgprs: 47
; NumAgprs: 0
; TotalNumVgprs: 47
; ScratchSize: 0
; MemoryBound: 0
; FloatMode: 240
; IeeeMode: 1
; LDSByteSize: 7176 bytes/workgroup (compile time only)
; SGPRBlocks: 5
; VGPRBlocks: 5
; NumSGPRsForWavesPerEU: 44
; NumVGPRsForWavesPerEU: 47
; AccumOffset: 48
; Occupancy: 8
; WaveLimiterHint : 1
; COMPUTE_PGM_RSRC2:SCRATCH_EN: 0
; COMPUTE_PGM_RSRC2:USER_SGPR: 6
; COMPUTE_PGM_RSRC2:TRAP_HANDLER: 0
; COMPUTE_PGM_RSRC2:TGID_X_EN: 1
; COMPUTE_PGM_RSRC2:TGID_Y_EN: 0
; COMPUTE_PGM_RSRC2:TGID_Z_EN: 0
; COMPUTE_PGM_RSRC2:TIDIG_COMP_CNT: 0
; COMPUTE_PGM_RSRC3_GFX90A:ACCUM_OFFSET: 11
; COMPUTE_PGM_RSRC3_GFX90A:TG_SPLIT: 0
	.section	.text._ZN7rocprim17ROCPRIM_400000_NS6detail17trampoline_kernelINS0_14default_configENS1_25partition_config_selectorILNS1_17partition_subalgoE1EiNS0_10empty_typeEbEEZZNS1_14partition_implILS5_1ELb0ES3_jN6thrust23THRUST_200600_302600_NS6detail15normal_iteratorINSA_10device_ptrIiEEEEPS6_NSA_18transform_iteratorI7is_evenIiESF_NSA_11use_defaultESK_EENS0_5tupleIJSF_NSA_16discard_iteratorISK_EEEEENSM_IJSG_SG_EEES6_PlJS6_EEE10hipError_tPvRmT3_T4_T5_T6_T7_T9_mT8_P12ihipStream_tbDpT10_ENKUlT_T0_E_clISt17integral_constantIbLb0EES1B_EEDaS16_S17_EUlS16_E_NS1_11comp_targetILNS1_3genE3ELNS1_11target_archE908ELNS1_3gpuE7ELNS1_3repE0EEENS1_30default_config_static_selectorELNS0_4arch9wavefront6targetE1EEEvT1_,"axG",@progbits,_ZN7rocprim17ROCPRIM_400000_NS6detail17trampoline_kernelINS0_14default_configENS1_25partition_config_selectorILNS1_17partition_subalgoE1EiNS0_10empty_typeEbEEZZNS1_14partition_implILS5_1ELb0ES3_jN6thrust23THRUST_200600_302600_NS6detail15normal_iteratorINSA_10device_ptrIiEEEEPS6_NSA_18transform_iteratorI7is_evenIiESF_NSA_11use_defaultESK_EENS0_5tupleIJSF_NSA_16discard_iteratorISK_EEEEENSM_IJSG_SG_EEES6_PlJS6_EEE10hipError_tPvRmT3_T4_T5_T6_T7_T9_mT8_P12ihipStream_tbDpT10_ENKUlT_T0_E_clISt17integral_constantIbLb0EES1B_EEDaS16_S17_EUlS16_E_NS1_11comp_targetILNS1_3genE3ELNS1_11target_archE908ELNS1_3gpuE7ELNS1_3repE0EEENS1_30default_config_static_selectorELNS0_4arch9wavefront6targetE1EEEvT1_,comdat
	.protected	_ZN7rocprim17ROCPRIM_400000_NS6detail17trampoline_kernelINS0_14default_configENS1_25partition_config_selectorILNS1_17partition_subalgoE1EiNS0_10empty_typeEbEEZZNS1_14partition_implILS5_1ELb0ES3_jN6thrust23THRUST_200600_302600_NS6detail15normal_iteratorINSA_10device_ptrIiEEEEPS6_NSA_18transform_iteratorI7is_evenIiESF_NSA_11use_defaultESK_EENS0_5tupleIJSF_NSA_16discard_iteratorISK_EEEEENSM_IJSG_SG_EEES6_PlJS6_EEE10hipError_tPvRmT3_T4_T5_T6_T7_T9_mT8_P12ihipStream_tbDpT10_ENKUlT_T0_E_clISt17integral_constantIbLb0EES1B_EEDaS16_S17_EUlS16_E_NS1_11comp_targetILNS1_3genE3ELNS1_11target_archE908ELNS1_3gpuE7ELNS1_3repE0EEENS1_30default_config_static_selectorELNS0_4arch9wavefront6targetE1EEEvT1_ ; -- Begin function _ZN7rocprim17ROCPRIM_400000_NS6detail17trampoline_kernelINS0_14default_configENS1_25partition_config_selectorILNS1_17partition_subalgoE1EiNS0_10empty_typeEbEEZZNS1_14partition_implILS5_1ELb0ES3_jN6thrust23THRUST_200600_302600_NS6detail15normal_iteratorINSA_10device_ptrIiEEEEPS6_NSA_18transform_iteratorI7is_evenIiESF_NSA_11use_defaultESK_EENS0_5tupleIJSF_NSA_16discard_iteratorISK_EEEEENSM_IJSG_SG_EEES6_PlJS6_EEE10hipError_tPvRmT3_T4_T5_T6_T7_T9_mT8_P12ihipStream_tbDpT10_ENKUlT_T0_E_clISt17integral_constantIbLb0EES1B_EEDaS16_S17_EUlS16_E_NS1_11comp_targetILNS1_3genE3ELNS1_11target_archE908ELNS1_3gpuE7ELNS1_3repE0EEENS1_30default_config_static_selectorELNS0_4arch9wavefront6targetE1EEEvT1_
	.globl	_ZN7rocprim17ROCPRIM_400000_NS6detail17trampoline_kernelINS0_14default_configENS1_25partition_config_selectorILNS1_17partition_subalgoE1EiNS0_10empty_typeEbEEZZNS1_14partition_implILS5_1ELb0ES3_jN6thrust23THRUST_200600_302600_NS6detail15normal_iteratorINSA_10device_ptrIiEEEEPS6_NSA_18transform_iteratorI7is_evenIiESF_NSA_11use_defaultESK_EENS0_5tupleIJSF_NSA_16discard_iteratorISK_EEEEENSM_IJSG_SG_EEES6_PlJS6_EEE10hipError_tPvRmT3_T4_T5_T6_T7_T9_mT8_P12ihipStream_tbDpT10_ENKUlT_T0_E_clISt17integral_constantIbLb0EES1B_EEDaS16_S17_EUlS16_E_NS1_11comp_targetILNS1_3genE3ELNS1_11target_archE908ELNS1_3gpuE7ELNS1_3repE0EEENS1_30default_config_static_selectorELNS0_4arch9wavefront6targetE1EEEvT1_
	.p2align	8
	.type	_ZN7rocprim17ROCPRIM_400000_NS6detail17trampoline_kernelINS0_14default_configENS1_25partition_config_selectorILNS1_17partition_subalgoE1EiNS0_10empty_typeEbEEZZNS1_14partition_implILS5_1ELb0ES3_jN6thrust23THRUST_200600_302600_NS6detail15normal_iteratorINSA_10device_ptrIiEEEEPS6_NSA_18transform_iteratorI7is_evenIiESF_NSA_11use_defaultESK_EENS0_5tupleIJSF_NSA_16discard_iteratorISK_EEEEENSM_IJSG_SG_EEES6_PlJS6_EEE10hipError_tPvRmT3_T4_T5_T6_T7_T9_mT8_P12ihipStream_tbDpT10_ENKUlT_T0_E_clISt17integral_constantIbLb0EES1B_EEDaS16_S17_EUlS16_E_NS1_11comp_targetILNS1_3genE3ELNS1_11target_archE908ELNS1_3gpuE7ELNS1_3repE0EEENS1_30default_config_static_selectorELNS0_4arch9wavefront6targetE1EEEvT1_,@function
_ZN7rocprim17ROCPRIM_400000_NS6detail17trampoline_kernelINS0_14default_configENS1_25partition_config_selectorILNS1_17partition_subalgoE1EiNS0_10empty_typeEbEEZZNS1_14partition_implILS5_1ELb0ES3_jN6thrust23THRUST_200600_302600_NS6detail15normal_iteratorINSA_10device_ptrIiEEEEPS6_NSA_18transform_iteratorI7is_evenIiESF_NSA_11use_defaultESK_EENS0_5tupleIJSF_NSA_16discard_iteratorISK_EEEEENSM_IJSG_SG_EEES6_PlJS6_EEE10hipError_tPvRmT3_T4_T5_T6_T7_T9_mT8_P12ihipStream_tbDpT10_ENKUlT_T0_E_clISt17integral_constantIbLb0EES1B_EEDaS16_S17_EUlS16_E_NS1_11comp_targetILNS1_3genE3ELNS1_11target_archE908ELNS1_3gpuE7ELNS1_3repE0EEENS1_30default_config_static_selectorELNS0_4arch9wavefront6targetE1EEEvT1_: ; @_ZN7rocprim17ROCPRIM_400000_NS6detail17trampoline_kernelINS0_14default_configENS1_25partition_config_selectorILNS1_17partition_subalgoE1EiNS0_10empty_typeEbEEZZNS1_14partition_implILS5_1ELb0ES3_jN6thrust23THRUST_200600_302600_NS6detail15normal_iteratorINSA_10device_ptrIiEEEEPS6_NSA_18transform_iteratorI7is_evenIiESF_NSA_11use_defaultESK_EENS0_5tupleIJSF_NSA_16discard_iteratorISK_EEEEENSM_IJSG_SG_EEES6_PlJS6_EEE10hipError_tPvRmT3_T4_T5_T6_T7_T9_mT8_P12ihipStream_tbDpT10_ENKUlT_T0_E_clISt17integral_constantIbLb0EES1B_EEDaS16_S17_EUlS16_E_NS1_11comp_targetILNS1_3genE3ELNS1_11target_archE908ELNS1_3gpuE7ELNS1_3repE0EEENS1_30default_config_static_selectorELNS0_4arch9wavefront6targetE1EEEvT1_
; %bb.0:
	.section	.rodata,"a",@progbits
	.p2align	6, 0x0
	.amdhsa_kernel _ZN7rocprim17ROCPRIM_400000_NS6detail17trampoline_kernelINS0_14default_configENS1_25partition_config_selectorILNS1_17partition_subalgoE1EiNS0_10empty_typeEbEEZZNS1_14partition_implILS5_1ELb0ES3_jN6thrust23THRUST_200600_302600_NS6detail15normal_iteratorINSA_10device_ptrIiEEEEPS6_NSA_18transform_iteratorI7is_evenIiESF_NSA_11use_defaultESK_EENS0_5tupleIJSF_NSA_16discard_iteratorISK_EEEEENSM_IJSG_SG_EEES6_PlJS6_EEE10hipError_tPvRmT3_T4_T5_T6_T7_T9_mT8_P12ihipStream_tbDpT10_ENKUlT_T0_E_clISt17integral_constantIbLb0EES1B_EEDaS16_S17_EUlS16_E_NS1_11comp_targetILNS1_3genE3ELNS1_11target_archE908ELNS1_3gpuE7ELNS1_3repE0EEENS1_30default_config_static_selectorELNS0_4arch9wavefront6targetE1EEEvT1_
		.amdhsa_group_segment_fixed_size 0
		.amdhsa_private_segment_fixed_size 0
		.amdhsa_kernarg_size 136
		.amdhsa_user_sgpr_count 6
		.amdhsa_user_sgpr_private_segment_buffer 1
		.amdhsa_user_sgpr_dispatch_ptr 0
		.amdhsa_user_sgpr_queue_ptr 0
		.amdhsa_user_sgpr_kernarg_segment_ptr 1
		.amdhsa_user_sgpr_dispatch_id 0
		.amdhsa_user_sgpr_flat_scratch_init 0
		.amdhsa_user_sgpr_kernarg_preload_length 0
		.amdhsa_user_sgpr_kernarg_preload_offset 0
		.amdhsa_user_sgpr_private_segment_size 0
		.amdhsa_uses_dynamic_stack 0
		.amdhsa_system_sgpr_private_segment_wavefront_offset 0
		.amdhsa_system_sgpr_workgroup_id_x 1
		.amdhsa_system_sgpr_workgroup_id_y 0
		.amdhsa_system_sgpr_workgroup_id_z 0
		.amdhsa_system_sgpr_workgroup_info 0
		.amdhsa_system_vgpr_workitem_id 0
		.amdhsa_next_free_vgpr 1
		.amdhsa_next_free_sgpr 0
		.amdhsa_accum_offset 4
		.amdhsa_reserve_vcc 0
		.amdhsa_reserve_flat_scratch 0
		.amdhsa_float_round_mode_32 0
		.amdhsa_float_round_mode_16_64 0
		.amdhsa_float_denorm_mode_32 3
		.amdhsa_float_denorm_mode_16_64 3
		.amdhsa_dx10_clamp 1
		.amdhsa_ieee_mode 1
		.amdhsa_fp16_overflow 0
		.amdhsa_tg_split 0
		.amdhsa_exception_fp_ieee_invalid_op 0
		.amdhsa_exception_fp_denorm_src 0
		.amdhsa_exception_fp_ieee_div_zero 0
		.amdhsa_exception_fp_ieee_overflow 0
		.amdhsa_exception_fp_ieee_underflow 0
		.amdhsa_exception_fp_ieee_inexact 0
		.amdhsa_exception_int_div_zero 0
	.end_amdhsa_kernel
	.section	.text._ZN7rocprim17ROCPRIM_400000_NS6detail17trampoline_kernelINS0_14default_configENS1_25partition_config_selectorILNS1_17partition_subalgoE1EiNS0_10empty_typeEbEEZZNS1_14partition_implILS5_1ELb0ES3_jN6thrust23THRUST_200600_302600_NS6detail15normal_iteratorINSA_10device_ptrIiEEEEPS6_NSA_18transform_iteratorI7is_evenIiESF_NSA_11use_defaultESK_EENS0_5tupleIJSF_NSA_16discard_iteratorISK_EEEEENSM_IJSG_SG_EEES6_PlJS6_EEE10hipError_tPvRmT3_T4_T5_T6_T7_T9_mT8_P12ihipStream_tbDpT10_ENKUlT_T0_E_clISt17integral_constantIbLb0EES1B_EEDaS16_S17_EUlS16_E_NS1_11comp_targetILNS1_3genE3ELNS1_11target_archE908ELNS1_3gpuE7ELNS1_3repE0EEENS1_30default_config_static_selectorELNS0_4arch9wavefront6targetE1EEEvT1_,"axG",@progbits,_ZN7rocprim17ROCPRIM_400000_NS6detail17trampoline_kernelINS0_14default_configENS1_25partition_config_selectorILNS1_17partition_subalgoE1EiNS0_10empty_typeEbEEZZNS1_14partition_implILS5_1ELb0ES3_jN6thrust23THRUST_200600_302600_NS6detail15normal_iteratorINSA_10device_ptrIiEEEEPS6_NSA_18transform_iteratorI7is_evenIiESF_NSA_11use_defaultESK_EENS0_5tupleIJSF_NSA_16discard_iteratorISK_EEEEENSM_IJSG_SG_EEES6_PlJS6_EEE10hipError_tPvRmT3_T4_T5_T6_T7_T9_mT8_P12ihipStream_tbDpT10_ENKUlT_T0_E_clISt17integral_constantIbLb0EES1B_EEDaS16_S17_EUlS16_E_NS1_11comp_targetILNS1_3genE3ELNS1_11target_archE908ELNS1_3gpuE7ELNS1_3repE0EEENS1_30default_config_static_selectorELNS0_4arch9wavefront6targetE1EEEvT1_,comdat
.Lfunc_end3294:
	.size	_ZN7rocprim17ROCPRIM_400000_NS6detail17trampoline_kernelINS0_14default_configENS1_25partition_config_selectorILNS1_17partition_subalgoE1EiNS0_10empty_typeEbEEZZNS1_14partition_implILS5_1ELb0ES3_jN6thrust23THRUST_200600_302600_NS6detail15normal_iteratorINSA_10device_ptrIiEEEEPS6_NSA_18transform_iteratorI7is_evenIiESF_NSA_11use_defaultESK_EENS0_5tupleIJSF_NSA_16discard_iteratorISK_EEEEENSM_IJSG_SG_EEES6_PlJS6_EEE10hipError_tPvRmT3_T4_T5_T6_T7_T9_mT8_P12ihipStream_tbDpT10_ENKUlT_T0_E_clISt17integral_constantIbLb0EES1B_EEDaS16_S17_EUlS16_E_NS1_11comp_targetILNS1_3genE3ELNS1_11target_archE908ELNS1_3gpuE7ELNS1_3repE0EEENS1_30default_config_static_selectorELNS0_4arch9wavefront6targetE1EEEvT1_, .Lfunc_end3294-_ZN7rocprim17ROCPRIM_400000_NS6detail17trampoline_kernelINS0_14default_configENS1_25partition_config_selectorILNS1_17partition_subalgoE1EiNS0_10empty_typeEbEEZZNS1_14partition_implILS5_1ELb0ES3_jN6thrust23THRUST_200600_302600_NS6detail15normal_iteratorINSA_10device_ptrIiEEEEPS6_NSA_18transform_iteratorI7is_evenIiESF_NSA_11use_defaultESK_EENS0_5tupleIJSF_NSA_16discard_iteratorISK_EEEEENSM_IJSG_SG_EEES6_PlJS6_EEE10hipError_tPvRmT3_T4_T5_T6_T7_T9_mT8_P12ihipStream_tbDpT10_ENKUlT_T0_E_clISt17integral_constantIbLb0EES1B_EEDaS16_S17_EUlS16_E_NS1_11comp_targetILNS1_3genE3ELNS1_11target_archE908ELNS1_3gpuE7ELNS1_3repE0EEENS1_30default_config_static_selectorELNS0_4arch9wavefront6targetE1EEEvT1_
                                        ; -- End function
	.section	.AMDGPU.csdata,"",@progbits
; Kernel info:
; codeLenInByte = 0
; NumSgprs: 4
; NumVgprs: 0
; NumAgprs: 0
; TotalNumVgprs: 0
; ScratchSize: 0
; MemoryBound: 0
; FloatMode: 240
; IeeeMode: 1
; LDSByteSize: 0 bytes/workgroup (compile time only)
; SGPRBlocks: 0
; VGPRBlocks: 0
; NumSGPRsForWavesPerEU: 4
; NumVGPRsForWavesPerEU: 1
; AccumOffset: 4
; Occupancy: 8
; WaveLimiterHint : 0
; COMPUTE_PGM_RSRC2:SCRATCH_EN: 0
; COMPUTE_PGM_RSRC2:USER_SGPR: 6
; COMPUTE_PGM_RSRC2:TRAP_HANDLER: 0
; COMPUTE_PGM_RSRC2:TGID_X_EN: 1
; COMPUTE_PGM_RSRC2:TGID_Y_EN: 0
; COMPUTE_PGM_RSRC2:TGID_Z_EN: 0
; COMPUTE_PGM_RSRC2:TIDIG_COMP_CNT: 0
; COMPUTE_PGM_RSRC3_GFX90A:ACCUM_OFFSET: 0
; COMPUTE_PGM_RSRC3_GFX90A:TG_SPLIT: 0
	.section	.text._ZN7rocprim17ROCPRIM_400000_NS6detail17trampoline_kernelINS0_14default_configENS1_25partition_config_selectorILNS1_17partition_subalgoE1EiNS0_10empty_typeEbEEZZNS1_14partition_implILS5_1ELb0ES3_jN6thrust23THRUST_200600_302600_NS6detail15normal_iteratorINSA_10device_ptrIiEEEEPS6_NSA_18transform_iteratorI7is_evenIiESF_NSA_11use_defaultESK_EENS0_5tupleIJSF_NSA_16discard_iteratorISK_EEEEENSM_IJSG_SG_EEES6_PlJS6_EEE10hipError_tPvRmT3_T4_T5_T6_T7_T9_mT8_P12ihipStream_tbDpT10_ENKUlT_T0_E_clISt17integral_constantIbLb0EES1B_EEDaS16_S17_EUlS16_E_NS1_11comp_targetILNS1_3genE2ELNS1_11target_archE906ELNS1_3gpuE6ELNS1_3repE0EEENS1_30default_config_static_selectorELNS0_4arch9wavefront6targetE1EEEvT1_,"axG",@progbits,_ZN7rocprim17ROCPRIM_400000_NS6detail17trampoline_kernelINS0_14default_configENS1_25partition_config_selectorILNS1_17partition_subalgoE1EiNS0_10empty_typeEbEEZZNS1_14partition_implILS5_1ELb0ES3_jN6thrust23THRUST_200600_302600_NS6detail15normal_iteratorINSA_10device_ptrIiEEEEPS6_NSA_18transform_iteratorI7is_evenIiESF_NSA_11use_defaultESK_EENS0_5tupleIJSF_NSA_16discard_iteratorISK_EEEEENSM_IJSG_SG_EEES6_PlJS6_EEE10hipError_tPvRmT3_T4_T5_T6_T7_T9_mT8_P12ihipStream_tbDpT10_ENKUlT_T0_E_clISt17integral_constantIbLb0EES1B_EEDaS16_S17_EUlS16_E_NS1_11comp_targetILNS1_3genE2ELNS1_11target_archE906ELNS1_3gpuE6ELNS1_3repE0EEENS1_30default_config_static_selectorELNS0_4arch9wavefront6targetE1EEEvT1_,comdat
	.protected	_ZN7rocprim17ROCPRIM_400000_NS6detail17trampoline_kernelINS0_14default_configENS1_25partition_config_selectorILNS1_17partition_subalgoE1EiNS0_10empty_typeEbEEZZNS1_14partition_implILS5_1ELb0ES3_jN6thrust23THRUST_200600_302600_NS6detail15normal_iteratorINSA_10device_ptrIiEEEEPS6_NSA_18transform_iteratorI7is_evenIiESF_NSA_11use_defaultESK_EENS0_5tupleIJSF_NSA_16discard_iteratorISK_EEEEENSM_IJSG_SG_EEES6_PlJS6_EEE10hipError_tPvRmT3_T4_T5_T6_T7_T9_mT8_P12ihipStream_tbDpT10_ENKUlT_T0_E_clISt17integral_constantIbLb0EES1B_EEDaS16_S17_EUlS16_E_NS1_11comp_targetILNS1_3genE2ELNS1_11target_archE906ELNS1_3gpuE6ELNS1_3repE0EEENS1_30default_config_static_selectorELNS0_4arch9wavefront6targetE1EEEvT1_ ; -- Begin function _ZN7rocprim17ROCPRIM_400000_NS6detail17trampoline_kernelINS0_14default_configENS1_25partition_config_selectorILNS1_17partition_subalgoE1EiNS0_10empty_typeEbEEZZNS1_14partition_implILS5_1ELb0ES3_jN6thrust23THRUST_200600_302600_NS6detail15normal_iteratorINSA_10device_ptrIiEEEEPS6_NSA_18transform_iteratorI7is_evenIiESF_NSA_11use_defaultESK_EENS0_5tupleIJSF_NSA_16discard_iteratorISK_EEEEENSM_IJSG_SG_EEES6_PlJS6_EEE10hipError_tPvRmT3_T4_T5_T6_T7_T9_mT8_P12ihipStream_tbDpT10_ENKUlT_T0_E_clISt17integral_constantIbLb0EES1B_EEDaS16_S17_EUlS16_E_NS1_11comp_targetILNS1_3genE2ELNS1_11target_archE906ELNS1_3gpuE6ELNS1_3repE0EEENS1_30default_config_static_selectorELNS0_4arch9wavefront6targetE1EEEvT1_
	.globl	_ZN7rocprim17ROCPRIM_400000_NS6detail17trampoline_kernelINS0_14default_configENS1_25partition_config_selectorILNS1_17partition_subalgoE1EiNS0_10empty_typeEbEEZZNS1_14partition_implILS5_1ELb0ES3_jN6thrust23THRUST_200600_302600_NS6detail15normal_iteratorINSA_10device_ptrIiEEEEPS6_NSA_18transform_iteratorI7is_evenIiESF_NSA_11use_defaultESK_EENS0_5tupleIJSF_NSA_16discard_iteratorISK_EEEEENSM_IJSG_SG_EEES6_PlJS6_EEE10hipError_tPvRmT3_T4_T5_T6_T7_T9_mT8_P12ihipStream_tbDpT10_ENKUlT_T0_E_clISt17integral_constantIbLb0EES1B_EEDaS16_S17_EUlS16_E_NS1_11comp_targetILNS1_3genE2ELNS1_11target_archE906ELNS1_3gpuE6ELNS1_3repE0EEENS1_30default_config_static_selectorELNS0_4arch9wavefront6targetE1EEEvT1_
	.p2align	8
	.type	_ZN7rocprim17ROCPRIM_400000_NS6detail17trampoline_kernelINS0_14default_configENS1_25partition_config_selectorILNS1_17partition_subalgoE1EiNS0_10empty_typeEbEEZZNS1_14partition_implILS5_1ELb0ES3_jN6thrust23THRUST_200600_302600_NS6detail15normal_iteratorINSA_10device_ptrIiEEEEPS6_NSA_18transform_iteratorI7is_evenIiESF_NSA_11use_defaultESK_EENS0_5tupleIJSF_NSA_16discard_iteratorISK_EEEEENSM_IJSG_SG_EEES6_PlJS6_EEE10hipError_tPvRmT3_T4_T5_T6_T7_T9_mT8_P12ihipStream_tbDpT10_ENKUlT_T0_E_clISt17integral_constantIbLb0EES1B_EEDaS16_S17_EUlS16_E_NS1_11comp_targetILNS1_3genE2ELNS1_11target_archE906ELNS1_3gpuE6ELNS1_3repE0EEENS1_30default_config_static_selectorELNS0_4arch9wavefront6targetE1EEEvT1_,@function
_ZN7rocprim17ROCPRIM_400000_NS6detail17trampoline_kernelINS0_14default_configENS1_25partition_config_selectorILNS1_17partition_subalgoE1EiNS0_10empty_typeEbEEZZNS1_14partition_implILS5_1ELb0ES3_jN6thrust23THRUST_200600_302600_NS6detail15normal_iteratorINSA_10device_ptrIiEEEEPS6_NSA_18transform_iteratorI7is_evenIiESF_NSA_11use_defaultESK_EENS0_5tupleIJSF_NSA_16discard_iteratorISK_EEEEENSM_IJSG_SG_EEES6_PlJS6_EEE10hipError_tPvRmT3_T4_T5_T6_T7_T9_mT8_P12ihipStream_tbDpT10_ENKUlT_T0_E_clISt17integral_constantIbLb0EES1B_EEDaS16_S17_EUlS16_E_NS1_11comp_targetILNS1_3genE2ELNS1_11target_archE906ELNS1_3gpuE6ELNS1_3repE0EEENS1_30default_config_static_selectorELNS0_4arch9wavefront6targetE1EEEvT1_: ; @_ZN7rocprim17ROCPRIM_400000_NS6detail17trampoline_kernelINS0_14default_configENS1_25partition_config_selectorILNS1_17partition_subalgoE1EiNS0_10empty_typeEbEEZZNS1_14partition_implILS5_1ELb0ES3_jN6thrust23THRUST_200600_302600_NS6detail15normal_iteratorINSA_10device_ptrIiEEEEPS6_NSA_18transform_iteratorI7is_evenIiESF_NSA_11use_defaultESK_EENS0_5tupleIJSF_NSA_16discard_iteratorISK_EEEEENSM_IJSG_SG_EEES6_PlJS6_EEE10hipError_tPvRmT3_T4_T5_T6_T7_T9_mT8_P12ihipStream_tbDpT10_ENKUlT_T0_E_clISt17integral_constantIbLb0EES1B_EEDaS16_S17_EUlS16_E_NS1_11comp_targetILNS1_3genE2ELNS1_11target_archE906ELNS1_3gpuE6ELNS1_3repE0EEENS1_30default_config_static_selectorELNS0_4arch9wavefront6targetE1EEEvT1_
; %bb.0:
	.section	.rodata,"a",@progbits
	.p2align	6, 0x0
	.amdhsa_kernel _ZN7rocprim17ROCPRIM_400000_NS6detail17trampoline_kernelINS0_14default_configENS1_25partition_config_selectorILNS1_17partition_subalgoE1EiNS0_10empty_typeEbEEZZNS1_14partition_implILS5_1ELb0ES3_jN6thrust23THRUST_200600_302600_NS6detail15normal_iteratorINSA_10device_ptrIiEEEEPS6_NSA_18transform_iteratorI7is_evenIiESF_NSA_11use_defaultESK_EENS0_5tupleIJSF_NSA_16discard_iteratorISK_EEEEENSM_IJSG_SG_EEES6_PlJS6_EEE10hipError_tPvRmT3_T4_T5_T6_T7_T9_mT8_P12ihipStream_tbDpT10_ENKUlT_T0_E_clISt17integral_constantIbLb0EES1B_EEDaS16_S17_EUlS16_E_NS1_11comp_targetILNS1_3genE2ELNS1_11target_archE906ELNS1_3gpuE6ELNS1_3repE0EEENS1_30default_config_static_selectorELNS0_4arch9wavefront6targetE1EEEvT1_
		.amdhsa_group_segment_fixed_size 0
		.amdhsa_private_segment_fixed_size 0
		.amdhsa_kernarg_size 136
		.amdhsa_user_sgpr_count 6
		.amdhsa_user_sgpr_private_segment_buffer 1
		.amdhsa_user_sgpr_dispatch_ptr 0
		.amdhsa_user_sgpr_queue_ptr 0
		.amdhsa_user_sgpr_kernarg_segment_ptr 1
		.amdhsa_user_sgpr_dispatch_id 0
		.amdhsa_user_sgpr_flat_scratch_init 0
		.amdhsa_user_sgpr_kernarg_preload_length 0
		.amdhsa_user_sgpr_kernarg_preload_offset 0
		.amdhsa_user_sgpr_private_segment_size 0
		.amdhsa_uses_dynamic_stack 0
		.amdhsa_system_sgpr_private_segment_wavefront_offset 0
		.amdhsa_system_sgpr_workgroup_id_x 1
		.amdhsa_system_sgpr_workgroup_id_y 0
		.amdhsa_system_sgpr_workgroup_id_z 0
		.amdhsa_system_sgpr_workgroup_info 0
		.amdhsa_system_vgpr_workitem_id 0
		.amdhsa_next_free_vgpr 1
		.amdhsa_next_free_sgpr 0
		.amdhsa_accum_offset 4
		.amdhsa_reserve_vcc 0
		.amdhsa_reserve_flat_scratch 0
		.amdhsa_float_round_mode_32 0
		.amdhsa_float_round_mode_16_64 0
		.amdhsa_float_denorm_mode_32 3
		.amdhsa_float_denorm_mode_16_64 3
		.amdhsa_dx10_clamp 1
		.amdhsa_ieee_mode 1
		.amdhsa_fp16_overflow 0
		.amdhsa_tg_split 0
		.amdhsa_exception_fp_ieee_invalid_op 0
		.amdhsa_exception_fp_denorm_src 0
		.amdhsa_exception_fp_ieee_div_zero 0
		.amdhsa_exception_fp_ieee_overflow 0
		.amdhsa_exception_fp_ieee_underflow 0
		.amdhsa_exception_fp_ieee_inexact 0
		.amdhsa_exception_int_div_zero 0
	.end_amdhsa_kernel
	.section	.text._ZN7rocprim17ROCPRIM_400000_NS6detail17trampoline_kernelINS0_14default_configENS1_25partition_config_selectorILNS1_17partition_subalgoE1EiNS0_10empty_typeEbEEZZNS1_14partition_implILS5_1ELb0ES3_jN6thrust23THRUST_200600_302600_NS6detail15normal_iteratorINSA_10device_ptrIiEEEEPS6_NSA_18transform_iteratorI7is_evenIiESF_NSA_11use_defaultESK_EENS0_5tupleIJSF_NSA_16discard_iteratorISK_EEEEENSM_IJSG_SG_EEES6_PlJS6_EEE10hipError_tPvRmT3_T4_T5_T6_T7_T9_mT8_P12ihipStream_tbDpT10_ENKUlT_T0_E_clISt17integral_constantIbLb0EES1B_EEDaS16_S17_EUlS16_E_NS1_11comp_targetILNS1_3genE2ELNS1_11target_archE906ELNS1_3gpuE6ELNS1_3repE0EEENS1_30default_config_static_selectorELNS0_4arch9wavefront6targetE1EEEvT1_,"axG",@progbits,_ZN7rocprim17ROCPRIM_400000_NS6detail17trampoline_kernelINS0_14default_configENS1_25partition_config_selectorILNS1_17partition_subalgoE1EiNS0_10empty_typeEbEEZZNS1_14partition_implILS5_1ELb0ES3_jN6thrust23THRUST_200600_302600_NS6detail15normal_iteratorINSA_10device_ptrIiEEEEPS6_NSA_18transform_iteratorI7is_evenIiESF_NSA_11use_defaultESK_EENS0_5tupleIJSF_NSA_16discard_iteratorISK_EEEEENSM_IJSG_SG_EEES6_PlJS6_EEE10hipError_tPvRmT3_T4_T5_T6_T7_T9_mT8_P12ihipStream_tbDpT10_ENKUlT_T0_E_clISt17integral_constantIbLb0EES1B_EEDaS16_S17_EUlS16_E_NS1_11comp_targetILNS1_3genE2ELNS1_11target_archE906ELNS1_3gpuE6ELNS1_3repE0EEENS1_30default_config_static_selectorELNS0_4arch9wavefront6targetE1EEEvT1_,comdat
.Lfunc_end3295:
	.size	_ZN7rocprim17ROCPRIM_400000_NS6detail17trampoline_kernelINS0_14default_configENS1_25partition_config_selectorILNS1_17partition_subalgoE1EiNS0_10empty_typeEbEEZZNS1_14partition_implILS5_1ELb0ES3_jN6thrust23THRUST_200600_302600_NS6detail15normal_iteratorINSA_10device_ptrIiEEEEPS6_NSA_18transform_iteratorI7is_evenIiESF_NSA_11use_defaultESK_EENS0_5tupleIJSF_NSA_16discard_iteratorISK_EEEEENSM_IJSG_SG_EEES6_PlJS6_EEE10hipError_tPvRmT3_T4_T5_T6_T7_T9_mT8_P12ihipStream_tbDpT10_ENKUlT_T0_E_clISt17integral_constantIbLb0EES1B_EEDaS16_S17_EUlS16_E_NS1_11comp_targetILNS1_3genE2ELNS1_11target_archE906ELNS1_3gpuE6ELNS1_3repE0EEENS1_30default_config_static_selectorELNS0_4arch9wavefront6targetE1EEEvT1_, .Lfunc_end3295-_ZN7rocprim17ROCPRIM_400000_NS6detail17trampoline_kernelINS0_14default_configENS1_25partition_config_selectorILNS1_17partition_subalgoE1EiNS0_10empty_typeEbEEZZNS1_14partition_implILS5_1ELb0ES3_jN6thrust23THRUST_200600_302600_NS6detail15normal_iteratorINSA_10device_ptrIiEEEEPS6_NSA_18transform_iteratorI7is_evenIiESF_NSA_11use_defaultESK_EENS0_5tupleIJSF_NSA_16discard_iteratorISK_EEEEENSM_IJSG_SG_EEES6_PlJS6_EEE10hipError_tPvRmT3_T4_T5_T6_T7_T9_mT8_P12ihipStream_tbDpT10_ENKUlT_T0_E_clISt17integral_constantIbLb0EES1B_EEDaS16_S17_EUlS16_E_NS1_11comp_targetILNS1_3genE2ELNS1_11target_archE906ELNS1_3gpuE6ELNS1_3repE0EEENS1_30default_config_static_selectorELNS0_4arch9wavefront6targetE1EEEvT1_
                                        ; -- End function
	.section	.AMDGPU.csdata,"",@progbits
; Kernel info:
; codeLenInByte = 0
; NumSgprs: 4
; NumVgprs: 0
; NumAgprs: 0
; TotalNumVgprs: 0
; ScratchSize: 0
; MemoryBound: 0
; FloatMode: 240
; IeeeMode: 1
; LDSByteSize: 0 bytes/workgroup (compile time only)
; SGPRBlocks: 0
; VGPRBlocks: 0
; NumSGPRsForWavesPerEU: 4
; NumVGPRsForWavesPerEU: 1
; AccumOffset: 4
; Occupancy: 8
; WaveLimiterHint : 0
; COMPUTE_PGM_RSRC2:SCRATCH_EN: 0
; COMPUTE_PGM_RSRC2:USER_SGPR: 6
; COMPUTE_PGM_RSRC2:TRAP_HANDLER: 0
; COMPUTE_PGM_RSRC2:TGID_X_EN: 1
; COMPUTE_PGM_RSRC2:TGID_Y_EN: 0
; COMPUTE_PGM_RSRC2:TGID_Z_EN: 0
; COMPUTE_PGM_RSRC2:TIDIG_COMP_CNT: 0
; COMPUTE_PGM_RSRC3_GFX90A:ACCUM_OFFSET: 0
; COMPUTE_PGM_RSRC3_GFX90A:TG_SPLIT: 0
	.section	.text._ZN7rocprim17ROCPRIM_400000_NS6detail17trampoline_kernelINS0_14default_configENS1_25partition_config_selectorILNS1_17partition_subalgoE1EiNS0_10empty_typeEbEEZZNS1_14partition_implILS5_1ELb0ES3_jN6thrust23THRUST_200600_302600_NS6detail15normal_iteratorINSA_10device_ptrIiEEEEPS6_NSA_18transform_iteratorI7is_evenIiESF_NSA_11use_defaultESK_EENS0_5tupleIJSF_NSA_16discard_iteratorISK_EEEEENSM_IJSG_SG_EEES6_PlJS6_EEE10hipError_tPvRmT3_T4_T5_T6_T7_T9_mT8_P12ihipStream_tbDpT10_ENKUlT_T0_E_clISt17integral_constantIbLb0EES1B_EEDaS16_S17_EUlS16_E_NS1_11comp_targetILNS1_3genE10ELNS1_11target_archE1200ELNS1_3gpuE4ELNS1_3repE0EEENS1_30default_config_static_selectorELNS0_4arch9wavefront6targetE1EEEvT1_,"axG",@progbits,_ZN7rocprim17ROCPRIM_400000_NS6detail17trampoline_kernelINS0_14default_configENS1_25partition_config_selectorILNS1_17partition_subalgoE1EiNS0_10empty_typeEbEEZZNS1_14partition_implILS5_1ELb0ES3_jN6thrust23THRUST_200600_302600_NS6detail15normal_iteratorINSA_10device_ptrIiEEEEPS6_NSA_18transform_iteratorI7is_evenIiESF_NSA_11use_defaultESK_EENS0_5tupleIJSF_NSA_16discard_iteratorISK_EEEEENSM_IJSG_SG_EEES6_PlJS6_EEE10hipError_tPvRmT3_T4_T5_T6_T7_T9_mT8_P12ihipStream_tbDpT10_ENKUlT_T0_E_clISt17integral_constantIbLb0EES1B_EEDaS16_S17_EUlS16_E_NS1_11comp_targetILNS1_3genE10ELNS1_11target_archE1200ELNS1_3gpuE4ELNS1_3repE0EEENS1_30default_config_static_selectorELNS0_4arch9wavefront6targetE1EEEvT1_,comdat
	.protected	_ZN7rocprim17ROCPRIM_400000_NS6detail17trampoline_kernelINS0_14default_configENS1_25partition_config_selectorILNS1_17partition_subalgoE1EiNS0_10empty_typeEbEEZZNS1_14partition_implILS5_1ELb0ES3_jN6thrust23THRUST_200600_302600_NS6detail15normal_iteratorINSA_10device_ptrIiEEEEPS6_NSA_18transform_iteratorI7is_evenIiESF_NSA_11use_defaultESK_EENS0_5tupleIJSF_NSA_16discard_iteratorISK_EEEEENSM_IJSG_SG_EEES6_PlJS6_EEE10hipError_tPvRmT3_T4_T5_T6_T7_T9_mT8_P12ihipStream_tbDpT10_ENKUlT_T0_E_clISt17integral_constantIbLb0EES1B_EEDaS16_S17_EUlS16_E_NS1_11comp_targetILNS1_3genE10ELNS1_11target_archE1200ELNS1_3gpuE4ELNS1_3repE0EEENS1_30default_config_static_selectorELNS0_4arch9wavefront6targetE1EEEvT1_ ; -- Begin function _ZN7rocprim17ROCPRIM_400000_NS6detail17trampoline_kernelINS0_14default_configENS1_25partition_config_selectorILNS1_17partition_subalgoE1EiNS0_10empty_typeEbEEZZNS1_14partition_implILS5_1ELb0ES3_jN6thrust23THRUST_200600_302600_NS6detail15normal_iteratorINSA_10device_ptrIiEEEEPS6_NSA_18transform_iteratorI7is_evenIiESF_NSA_11use_defaultESK_EENS0_5tupleIJSF_NSA_16discard_iteratorISK_EEEEENSM_IJSG_SG_EEES6_PlJS6_EEE10hipError_tPvRmT3_T4_T5_T6_T7_T9_mT8_P12ihipStream_tbDpT10_ENKUlT_T0_E_clISt17integral_constantIbLb0EES1B_EEDaS16_S17_EUlS16_E_NS1_11comp_targetILNS1_3genE10ELNS1_11target_archE1200ELNS1_3gpuE4ELNS1_3repE0EEENS1_30default_config_static_selectorELNS0_4arch9wavefront6targetE1EEEvT1_
	.globl	_ZN7rocprim17ROCPRIM_400000_NS6detail17trampoline_kernelINS0_14default_configENS1_25partition_config_selectorILNS1_17partition_subalgoE1EiNS0_10empty_typeEbEEZZNS1_14partition_implILS5_1ELb0ES3_jN6thrust23THRUST_200600_302600_NS6detail15normal_iteratorINSA_10device_ptrIiEEEEPS6_NSA_18transform_iteratorI7is_evenIiESF_NSA_11use_defaultESK_EENS0_5tupleIJSF_NSA_16discard_iteratorISK_EEEEENSM_IJSG_SG_EEES6_PlJS6_EEE10hipError_tPvRmT3_T4_T5_T6_T7_T9_mT8_P12ihipStream_tbDpT10_ENKUlT_T0_E_clISt17integral_constantIbLb0EES1B_EEDaS16_S17_EUlS16_E_NS1_11comp_targetILNS1_3genE10ELNS1_11target_archE1200ELNS1_3gpuE4ELNS1_3repE0EEENS1_30default_config_static_selectorELNS0_4arch9wavefront6targetE1EEEvT1_
	.p2align	8
	.type	_ZN7rocprim17ROCPRIM_400000_NS6detail17trampoline_kernelINS0_14default_configENS1_25partition_config_selectorILNS1_17partition_subalgoE1EiNS0_10empty_typeEbEEZZNS1_14partition_implILS5_1ELb0ES3_jN6thrust23THRUST_200600_302600_NS6detail15normal_iteratorINSA_10device_ptrIiEEEEPS6_NSA_18transform_iteratorI7is_evenIiESF_NSA_11use_defaultESK_EENS0_5tupleIJSF_NSA_16discard_iteratorISK_EEEEENSM_IJSG_SG_EEES6_PlJS6_EEE10hipError_tPvRmT3_T4_T5_T6_T7_T9_mT8_P12ihipStream_tbDpT10_ENKUlT_T0_E_clISt17integral_constantIbLb0EES1B_EEDaS16_S17_EUlS16_E_NS1_11comp_targetILNS1_3genE10ELNS1_11target_archE1200ELNS1_3gpuE4ELNS1_3repE0EEENS1_30default_config_static_selectorELNS0_4arch9wavefront6targetE1EEEvT1_,@function
_ZN7rocprim17ROCPRIM_400000_NS6detail17trampoline_kernelINS0_14default_configENS1_25partition_config_selectorILNS1_17partition_subalgoE1EiNS0_10empty_typeEbEEZZNS1_14partition_implILS5_1ELb0ES3_jN6thrust23THRUST_200600_302600_NS6detail15normal_iteratorINSA_10device_ptrIiEEEEPS6_NSA_18transform_iteratorI7is_evenIiESF_NSA_11use_defaultESK_EENS0_5tupleIJSF_NSA_16discard_iteratorISK_EEEEENSM_IJSG_SG_EEES6_PlJS6_EEE10hipError_tPvRmT3_T4_T5_T6_T7_T9_mT8_P12ihipStream_tbDpT10_ENKUlT_T0_E_clISt17integral_constantIbLb0EES1B_EEDaS16_S17_EUlS16_E_NS1_11comp_targetILNS1_3genE10ELNS1_11target_archE1200ELNS1_3gpuE4ELNS1_3repE0EEENS1_30default_config_static_selectorELNS0_4arch9wavefront6targetE1EEEvT1_: ; @_ZN7rocprim17ROCPRIM_400000_NS6detail17trampoline_kernelINS0_14default_configENS1_25partition_config_selectorILNS1_17partition_subalgoE1EiNS0_10empty_typeEbEEZZNS1_14partition_implILS5_1ELb0ES3_jN6thrust23THRUST_200600_302600_NS6detail15normal_iteratorINSA_10device_ptrIiEEEEPS6_NSA_18transform_iteratorI7is_evenIiESF_NSA_11use_defaultESK_EENS0_5tupleIJSF_NSA_16discard_iteratorISK_EEEEENSM_IJSG_SG_EEES6_PlJS6_EEE10hipError_tPvRmT3_T4_T5_T6_T7_T9_mT8_P12ihipStream_tbDpT10_ENKUlT_T0_E_clISt17integral_constantIbLb0EES1B_EEDaS16_S17_EUlS16_E_NS1_11comp_targetILNS1_3genE10ELNS1_11target_archE1200ELNS1_3gpuE4ELNS1_3repE0EEENS1_30default_config_static_selectorELNS0_4arch9wavefront6targetE1EEEvT1_
; %bb.0:
	.section	.rodata,"a",@progbits
	.p2align	6, 0x0
	.amdhsa_kernel _ZN7rocprim17ROCPRIM_400000_NS6detail17trampoline_kernelINS0_14default_configENS1_25partition_config_selectorILNS1_17partition_subalgoE1EiNS0_10empty_typeEbEEZZNS1_14partition_implILS5_1ELb0ES3_jN6thrust23THRUST_200600_302600_NS6detail15normal_iteratorINSA_10device_ptrIiEEEEPS6_NSA_18transform_iteratorI7is_evenIiESF_NSA_11use_defaultESK_EENS0_5tupleIJSF_NSA_16discard_iteratorISK_EEEEENSM_IJSG_SG_EEES6_PlJS6_EEE10hipError_tPvRmT3_T4_T5_T6_T7_T9_mT8_P12ihipStream_tbDpT10_ENKUlT_T0_E_clISt17integral_constantIbLb0EES1B_EEDaS16_S17_EUlS16_E_NS1_11comp_targetILNS1_3genE10ELNS1_11target_archE1200ELNS1_3gpuE4ELNS1_3repE0EEENS1_30default_config_static_selectorELNS0_4arch9wavefront6targetE1EEEvT1_
		.amdhsa_group_segment_fixed_size 0
		.amdhsa_private_segment_fixed_size 0
		.amdhsa_kernarg_size 136
		.amdhsa_user_sgpr_count 6
		.amdhsa_user_sgpr_private_segment_buffer 1
		.amdhsa_user_sgpr_dispatch_ptr 0
		.amdhsa_user_sgpr_queue_ptr 0
		.amdhsa_user_sgpr_kernarg_segment_ptr 1
		.amdhsa_user_sgpr_dispatch_id 0
		.amdhsa_user_sgpr_flat_scratch_init 0
		.amdhsa_user_sgpr_kernarg_preload_length 0
		.amdhsa_user_sgpr_kernarg_preload_offset 0
		.amdhsa_user_sgpr_private_segment_size 0
		.amdhsa_uses_dynamic_stack 0
		.amdhsa_system_sgpr_private_segment_wavefront_offset 0
		.amdhsa_system_sgpr_workgroup_id_x 1
		.amdhsa_system_sgpr_workgroup_id_y 0
		.amdhsa_system_sgpr_workgroup_id_z 0
		.amdhsa_system_sgpr_workgroup_info 0
		.amdhsa_system_vgpr_workitem_id 0
		.amdhsa_next_free_vgpr 1
		.amdhsa_next_free_sgpr 0
		.amdhsa_accum_offset 4
		.amdhsa_reserve_vcc 0
		.amdhsa_reserve_flat_scratch 0
		.amdhsa_float_round_mode_32 0
		.amdhsa_float_round_mode_16_64 0
		.amdhsa_float_denorm_mode_32 3
		.amdhsa_float_denorm_mode_16_64 3
		.amdhsa_dx10_clamp 1
		.amdhsa_ieee_mode 1
		.amdhsa_fp16_overflow 0
		.amdhsa_tg_split 0
		.amdhsa_exception_fp_ieee_invalid_op 0
		.amdhsa_exception_fp_denorm_src 0
		.amdhsa_exception_fp_ieee_div_zero 0
		.amdhsa_exception_fp_ieee_overflow 0
		.amdhsa_exception_fp_ieee_underflow 0
		.amdhsa_exception_fp_ieee_inexact 0
		.amdhsa_exception_int_div_zero 0
	.end_amdhsa_kernel
	.section	.text._ZN7rocprim17ROCPRIM_400000_NS6detail17trampoline_kernelINS0_14default_configENS1_25partition_config_selectorILNS1_17partition_subalgoE1EiNS0_10empty_typeEbEEZZNS1_14partition_implILS5_1ELb0ES3_jN6thrust23THRUST_200600_302600_NS6detail15normal_iteratorINSA_10device_ptrIiEEEEPS6_NSA_18transform_iteratorI7is_evenIiESF_NSA_11use_defaultESK_EENS0_5tupleIJSF_NSA_16discard_iteratorISK_EEEEENSM_IJSG_SG_EEES6_PlJS6_EEE10hipError_tPvRmT3_T4_T5_T6_T7_T9_mT8_P12ihipStream_tbDpT10_ENKUlT_T0_E_clISt17integral_constantIbLb0EES1B_EEDaS16_S17_EUlS16_E_NS1_11comp_targetILNS1_3genE10ELNS1_11target_archE1200ELNS1_3gpuE4ELNS1_3repE0EEENS1_30default_config_static_selectorELNS0_4arch9wavefront6targetE1EEEvT1_,"axG",@progbits,_ZN7rocprim17ROCPRIM_400000_NS6detail17trampoline_kernelINS0_14default_configENS1_25partition_config_selectorILNS1_17partition_subalgoE1EiNS0_10empty_typeEbEEZZNS1_14partition_implILS5_1ELb0ES3_jN6thrust23THRUST_200600_302600_NS6detail15normal_iteratorINSA_10device_ptrIiEEEEPS6_NSA_18transform_iteratorI7is_evenIiESF_NSA_11use_defaultESK_EENS0_5tupleIJSF_NSA_16discard_iteratorISK_EEEEENSM_IJSG_SG_EEES6_PlJS6_EEE10hipError_tPvRmT3_T4_T5_T6_T7_T9_mT8_P12ihipStream_tbDpT10_ENKUlT_T0_E_clISt17integral_constantIbLb0EES1B_EEDaS16_S17_EUlS16_E_NS1_11comp_targetILNS1_3genE10ELNS1_11target_archE1200ELNS1_3gpuE4ELNS1_3repE0EEENS1_30default_config_static_selectorELNS0_4arch9wavefront6targetE1EEEvT1_,comdat
.Lfunc_end3296:
	.size	_ZN7rocprim17ROCPRIM_400000_NS6detail17trampoline_kernelINS0_14default_configENS1_25partition_config_selectorILNS1_17partition_subalgoE1EiNS0_10empty_typeEbEEZZNS1_14partition_implILS5_1ELb0ES3_jN6thrust23THRUST_200600_302600_NS6detail15normal_iteratorINSA_10device_ptrIiEEEEPS6_NSA_18transform_iteratorI7is_evenIiESF_NSA_11use_defaultESK_EENS0_5tupleIJSF_NSA_16discard_iteratorISK_EEEEENSM_IJSG_SG_EEES6_PlJS6_EEE10hipError_tPvRmT3_T4_T5_T6_T7_T9_mT8_P12ihipStream_tbDpT10_ENKUlT_T0_E_clISt17integral_constantIbLb0EES1B_EEDaS16_S17_EUlS16_E_NS1_11comp_targetILNS1_3genE10ELNS1_11target_archE1200ELNS1_3gpuE4ELNS1_3repE0EEENS1_30default_config_static_selectorELNS0_4arch9wavefront6targetE1EEEvT1_, .Lfunc_end3296-_ZN7rocprim17ROCPRIM_400000_NS6detail17trampoline_kernelINS0_14default_configENS1_25partition_config_selectorILNS1_17partition_subalgoE1EiNS0_10empty_typeEbEEZZNS1_14partition_implILS5_1ELb0ES3_jN6thrust23THRUST_200600_302600_NS6detail15normal_iteratorINSA_10device_ptrIiEEEEPS6_NSA_18transform_iteratorI7is_evenIiESF_NSA_11use_defaultESK_EENS0_5tupleIJSF_NSA_16discard_iteratorISK_EEEEENSM_IJSG_SG_EEES6_PlJS6_EEE10hipError_tPvRmT3_T4_T5_T6_T7_T9_mT8_P12ihipStream_tbDpT10_ENKUlT_T0_E_clISt17integral_constantIbLb0EES1B_EEDaS16_S17_EUlS16_E_NS1_11comp_targetILNS1_3genE10ELNS1_11target_archE1200ELNS1_3gpuE4ELNS1_3repE0EEENS1_30default_config_static_selectorELNS0_4arch9wavefront6targetE1EEEvT1_
                                        ; -- End function
	.section	.AMDGPU.csdata,"",@progbits
; Kernel info:
; codeLenInByte = 0
; NumSgprs: 4
; NumVgprs: 0
; NumAgprs: 0
; TotalNumVgprs: 0
; ScratchSize: 0
; MemoryBound: 0
; FloatMode: 240
; IeeeMode: 1
; LDSByteSize: 0 bytes/workgroup (compile time only)
; SGPRBlocks: 0
; VGPRBlocks: 0
; NumSGPRsForWavesPerEU: 4
; NumVGPRsForWavesPerEU: 1
; AccumOffset: 4
; Occupancy: 8
; WaveLimiterHint : 0
; COMPUTE_PGM_RSRC2:SCRATCH_EN: 0
; COMPUTE_PGM_RSRC2:USER_SGPR: 6
; COMPUTE_PGM_RSRC2:TRAP_HANDLER: 0
; COMPUTE_PGM_RSRC2:TGID_X_EN: 1
; COMPUTE_PGM_RSRC2:TGID_Y_EN: 0
; COMPUTE_PGM_RSRC2:TGID_Z_EN: 0
; COMPUTE_PGM_RSRC2:TIDIG_COMP_CNT: 0
; COMPUTE_PGM_RSRC3_GFX90A:ACCUM_OFFSET: 0
; COMPUTE_PGM_RSRC3_GFX90A:TG_SPLIT: 0
	.section	.text._ZN7rocprim17ROCPRIM_400000_NS6detail17trampoline_kernelINS0_14default_configENS1_25partition_config_selectorILNS1_17partition_subalgoE1EiNS0_10empty_typeEbEEZZNS1_14partition_implILS5_1ELb0ES3_jN6thrust23THRUST_200600_302600_NS6detail15normal_iteratorINSA_10device_ptrIiEEEEPS6_NSA_18transform_iteratorI7is_evenIiESF_NSA_11use_defaultESK_EENS0_5tupleIJSF_NSA_16discard_iteratorISK_EEEEENSM_IJSG_SG_EEES6_PlJS6_EEE10hipError_tPvRmT3_T4_T5_T6_T7_T9_mT8_P12ihipStream_tbDpT10_ENKUlT_T0_E_clISt17integral_constantIbLb0EES1B_EEDaS16_S17_EUlS16_E_NS1_11comp_targetILNS1_3genE9ELNS1_11target_archE1100ELNS1_3gpuE3ELNS1_3repE0EEENS1_30default_config_static_selectorELNS0_4arch9wavefront6targetE1EEEvT1_,"axG",@progbits,_ZN7rocprim17ROCPRIM_400000_NS6detail17trampoline_kernelINS0_14default_configENS1_25partition_config_selectorILNS1_17partition_subalgoE1EiNS0_10empty_typeEbEEZZNS1_14partition_implILS5_1ELb0ES3_jN6thrust23THRUST_200600_302600_NS6detail15normal_iteratorINSA_10device_ptrIiEEEEPS6_NSA_18transform_iteratorI7is_evenIiESF_NSA_11use_defaultESK_EENS0_5tupleIJSF_NSA_16discard_iteratorISK_EEEEENSM_IJSG_SG_EEES6_PlJS6_EEE10hipError_tPvRmT3_T4_T5_T6_T7_T9_mT8_P12ihipStream_tbDpT10_ENKUlT_T0_E_clISt17integral_constantIbLb0EES1B_EEDaS16_S17_EUlS16_E_NS1_11comp_targetILNS1_3genE9ELNS1_11target_archE1100ELNS1_3gpuE3ELNS1_3repE0EEENS1_30default_config_static_selectorELNS0_4arch9wavefront6targetE1EEEvT1_,comdat
	.protected	_ZN7rocprim17ROCPRIM_400000_NS6detail17trampoline_kernelINS0_14default_configENS1_25partition_config_selectorILNS1_17partition_subalgoE1EiNS0_10empty_typeEbEEZZNS1_14partition_implILS5_1ELb0ES3_jN6thrust23THRUST_200600_302600_NS6detail15normal_iteratorINSA_10device_ptrIiEEEEPS6_NSA_18transform_iteratorI7is_evenIiESF_NSA_11use_defaultESK_EENS0_5tupleIJSF_NSA_16discard_iteratorISK_EEEEENSM_IJSG_SG_EEES6_PlJS6_EEE10hipError_tPvRmT3_T4_T5_T6_T7_T9_mT8_P12ihipStream_tbDpT10_ENKUlT_T0_E_clISt17integral_constantIbLb0EES1B_EEDaS16_S17_EUlS16_E_NS1_11comp_targetILNS1_3genE9ELNS1_11target_archE1100ELNS1_3gpuE3ELNS1_3repE0EEENS1_30default_config_static_selectorELNS0_4arch9wavefront6targetE1EEEvT1_ ; -- Begin function _ZN7rocprim17ROCPRIM_400000_NS6detail17trampoline_kernelINS0_14default_configENS1_25partition_config_selectorILNS1_17partition_subalgoE1EiNS0_10empty_typeEbEEZZNS1_14partition_implILS5_1ELb0ES3_jN6thrust23THRUST_200600_302600_NS6detail15normal_iteratorINSA_10device_ptrIiEEEEPS6_NSA_18transform_iteratorI7is_evenIiESF_NSA_11use_defaultESK_EENS0_5tupleIJSF_NSA_16discard_iteratorISK_EEEEENSM_IJSG_SG_EEES6_PlJS6_EEE10hipError_tPvRmT3_T4_T5_T6_T7_T9_mT8_P12ihipStream_tbDpT10_ENKUlT_T0_E_clISt17integral_constantIbLb0EES1B_EEDaS16_S17_EUlS16_E_NS1_11comp_targetILNS1_3genE9ELNS1_11target_archE1100ELNS1_3gpuE3ELNS1_3repE0EEENS1_30default_config_static_selectorELNS0_4arch9wavefront6targetE1EEEvT1_
	.globl	_ZN7rocprim17ROCPRIM_400000_NS6detail17trampoline_kernelINS0_14default_configENS1_25partition_config_selectorILNS1_17partition_subalgoE1EiNS0_10empty_typeEbEEZZNS1_14partition_implILS5_1ELb0ES3_jN6thrust23THRUST_200600_302600_NS6detail15normal_iteratorINSA_10device_ptrIiEEEEPS6_NSA_18transform_iteratorI7is_evenIiESF_NSA_11use_defaultESK_EENS0_5tupleIJSF_NSA_16discard_iteratorISK_EEEEENSM_IJSG_SG_EEES6_PlJS6_EEE10hipError_tPvRmT3_T4_T5_T6_T7_T9_mT8_P12ihipStream_tbDpT10_ENKUlT_T0_E_clISt17integral_constantIbLb0EES1B_EEDaS16_S17_EUlS16_E_NS1_11comp_targetILNS1_3genE9ELNS1_11target_archE1100ELNS1_3gpuE3ELNS1_3repE0EEENS1_30default_config_static_selectorELNS0_4arch9wavefront6targetE1EEEvT1_
	.p2align	8
	.type	_ZN7rocprim17ROCPRIM_400000_NS6detail17trampoline_kernelINS0_14default_configENS1_25partition_config_selectorILNS1_17partition_subalgoE1EiNS0_10empty_typeEbEEZZNS1_14partition_implILS5_1ELb0ES3_jN6thrust23THRUST_200600_302600_NS6detail15normal_iteratorINSA_10device_ptrIiEEEEPS6_NSA_18transform_iteratorI7is_evenIiESF_NSA_11use_defaultESK_EENS0_5tupleIJSF_NSA_16discard_iteratorISK_EEEEENSM_IJSG_SG_EEES6_PlJS6_EEE10hipError_tPvRmT3_T4_T5_T6_T7_T9_mT8_P12ihipStream_tbDpT10_ENKUlT_T0_E_clISt17integral_constantIbLb0EES1B_EEDaS16_S17_EUlS16_E_NS1_11comp_targetILNS1_3genE9ELNS1_11target_archE1100ELNS1_3gpuE3ELNS1_3repE0EEENS1_30default_config_static_selectorELNS0_4arch9wavefront6targetE1EEEvT1_,@function
_ZN7rocprim17ROCPRIM_400000_NS6detail17trampoline_kernelINS0_14default_configENS1_25partition_config_selectorILNS1_17partition_subalgoE1EiNS0_10empty_typeEbEEZZNS1_14partition_implILS5_1ELb0ES3_jN6thrust23THRUST_200600_302600_NS6detail15normal_iteratorINSA_10device_ptrIiEEEEPS6_NSA_18transform_iteratorI7is_evenIiESF_NSA_11use_defaultESK_EENS0_5tupleIJSF_NSA_16discard_iteratorISK_EEEEENSM_IJSG_SG_EEES6_PlJS6_EEE10hipError_tPvRmT3_T4_T5_T6_T7_T9_mT8_P12ihipStream_tbDpT10_ENKUlT_T0_E_clISt17integral_constantIbLb0EES1B_EEDaS16_S17_EUlS16_E_NS1_11comp_targetILNS1_3genE9ELNS1_11target_archE1100ELNS1_3gpuE3ELNS1_3repE0EEENS1_30default_config_static_selectorELNS0_4arch9wavefront6targetE1EEEvT1_: ; @_ZN7rocprim17ROCPRIM_400000_NS6detail17trampoline_kernelINS0_14default_configENS1_25partition_config_selectorILNS1_17partition_subalgoE1EiNS0_10empty_typeEbEEZZNS1_14partition_implILS5_1ELb0ES3_jN6thrust23THRUST_200600_302600_NS6detail15normal_iteratorINSA_10device_ptrIiEEEEPS6_NSA_18transform_iteratorI7is_evenIiESF_NSA_11use_defaultESK_EENS0_5tupleIJSF_NSA_16discard_iteratorISK_EEEEENSM_IJSG_SG_EEES6_PlJS6_EEE10hipError_tPvRmT3_T4_T5_T6_T7_T9_mT8_P12ihipStream_tbDpT10_ENKUlT_T0_E_clISt17integral_constantIbLb0EES1B_EEDaS16_S17_EUlS16_E_NS1_11comp_targetILNS1_3genE9ELNS1_11target_archE1100ELNS1_3gpuE3ELNS1_3repE0EEENS1_30default_config_static_selectorELNS0_4arch9wavefront6targetE1EEEvT1_
; %bb.0:
	.section	.rodata,"a",@progbits
	.p2align	6, 0x0
	.amdhsa_kernel _ZN7rocprim17ROCPRIM_400000_NS6detail17trampoline_kernelINS0_14default_configENS1_25partition_config_selectorILNS1_17partition_subalgoE1EiNS0_10empty_typeEbEEZZNS1_14partition_implILS5_1ELb0ES3_jN6thrust23THRUST_200600_302600_NS6detail15normal_iteratorINSA_10device_ptrIiEEEEPS6_NSA_18transform_iteratorI7is_evenIiESF_NSA_11use_defaultESK_EENS0_5tupleIJSF_NSA_16discard_iteratorISK_EEEEENSM_IJSG_SG_EEES6_PlJS6_EEE10hipError_tPvRmT3_T4_T5_T6_T7_T9_mT8_P12ihipStream_tbDpT10_ENKUlT_T0_E_clISt17integral_constantIbLb0EES1B_EEDaS16_S17_EUlS16_E_NS1_11comp_targetILNS1_3genE9ELNS1_11target_archE1100ELNS1_3gpuE3ELNS1_3repE0EEENS1_30default_config_static_selectorELNS0_4arch9wavefront6targetE1EEEvT1_
		.amdhsa_group_segment_fixed_size 0
		.amdhsa_private_segment_fixed_size 0
		.amdhsa_kernarg_size 136
		.amdhsa_user_sgpr_count 6
		.amdhsa_user_sgpr_private_segment_buffer 1
		.amdhsa_user_sgpr_dispatch_ptr 0
		.amdhsa_user_sgpr_queue_ptr 0
		.amdhsa_user_sgpr_kernarg_segment_ptr 1
		.amdhsa_user_sgpr_dispatch_id 0
		.amdhsa_user_sgpr_flat_scratch_init 0
		.amdhsa_user_sgpr_kernarg_preload_length 0
		.amdhsa_user_sgpr_kernarg_preload_offset 0
		.amdhsa_user_sgpr_private_segment_size 0
		.amdhsa_uses_dynamic_stack 0
		.amdhsa_system_sgpr_private_segment_wavefront_offset 0
		.amdhsa_system_sgpr_workgroup_id_x 1
		.amdhsa_system_sgpr_workgroup_id_y 0
		.amdhsa_system_sgpr_workgroup_id_z 0
		.amdhsa_system_sgpr_workgroup_info 0
		.amdhsa_system_vgpr_workitem_id 0
		.amdhsa_next_free_vgpr 1
		.amdhsa_next_free_sgpr 0
		.amdhsa_accum_offset 4
		.amdhsa_reserve_vcc 0
		.amdhsa_reserve_flat_scratch 0
		.amdhsa_float_round_mode_32 0
		.amdhsa_float_round_mode_16_64 0
		.amdhsa_float_denorm_mode_32 3
		.amdhsa_float_denorm_mode_16_64 3
		.amdhsa_dx10_clamp 1
		.amdhsa_ieee_mode 1
		.amdhsa_fp16_overflow 0
		.amdhsa_tg_split 0
		.amdhsa_exception_fp_ieee_invalid_op 0
		.amdhsa_exception_fp_denorm_src 0
		.amdhsa_exception_fp_ieee_div_zero 0
		.amdhsa_exception_fp_ieee_overflow 0
		.amdhsa_exception_fp_ieee_underflow 0
		.amdhsa_exception_fp_ieee_inexact 0
		.amdhsa_exception_int_div_zero 0
	.end_amdhsa_kernel
	.section	.text._ZN7rocprim17ROCPRIM_400000_NS6detail17trampoline_kernelINS0_14default_configENS1_25partition_config_selectorILNS1_17partition_subalgoE1EiNS0_10empty_typeEbEEZZNS1_14partition_implILS5_1ELb0ES3_jN6thrust23THRUST_200600_302600_NS6detail15normal_iteratorINSA_10device_ptrIiEEEEPS6_NSA_18transform_iteratorI7is_evenIiESF_NSA_11use_defaultESK_EENS0_5tupleIJSF_NSA_16discard_iteratorISK_EEEEENSM_IJSG_SG_EEES6_PlJS6_EEE10hipError_tPvRmT3_T4_T5_T6_T7_T9_mT8_P12ihipStream_tbDpT10_ENKUlT_T0_E_clISt17integral_constantIbLb0EES1B_EEDaS16_S17_EUlS16_E_NS1_11comp_targetILNS1_3genE9ELNS1_11target_archE1100ELNS1_3gpuE3ELNS1_3repE0EEENS1_30default_config_static_selectorELNS0_4arch9wavefront6targetE1EEEvT1_,"axG",@progbits,_ZN7rocprim17ROCPRIM_400000_NS6detail17trampoline_kernelINS0_14default_configENS1_25partition_config_selectorILNS1_17partition_subalgoE1EiNS0_10empty_typeEbEEZZNS1_14partition_implILS5_1ELb0ES3_jN6thrust23THRUST_200600_302600_NS6detail15normal_iteratorINSA_10device_ptrIiEEEEPS6_NSA_18transform_iteratorI7is_evenIiESF_NSA_11use_defaultESK_EENS0_5tupleIJSF_NSA_16discard_iteratorISK_EEEEENSM_IJSG_SG_EEES6_PlJS6_EEE10hipError_tPvRmT3_T4_T5_T6_T7_T9_mT8_P12ihipStream_tbDpT10_ENKUlT_T0_E_clISt17integral_constantIbLb0EES1B_EEDaS16_S17_EUlS16_E_NS1_11comp_targetILNS1_3genE9ELNS1_11target_archE1100ELNS1_3gpuE3ELNS1_3repE0EEENS1_30default_config_static_selectorELNS0_4arch9wavefront6targetE1EEEvT1_,comdat
.Lfunc_end3297:
	.size	_ZN7rocprim17ROCPRIM_400000_NS6detail17trampoline_kernelINS0_14default_configENS1_25partition_config_selectorILNS1_17partition_subalgoE1EiNS0_10empty_typeEbEEZZNS1_14partition_implILS5_1ELb0ES3_jN6thrust23THRUST_200600_302600_NS6detail15normal_iteratorINSA_10device_ptrIiEEEEPS6_NSA_18transform_iteratorI7is_evenIiESF_NSA_11use_defaultESK_EENS0_5tupleIJSF_NSA_16discard_iteratorISK_EEEEENSM_IJSG_SG_EEES6_PlJS6_EEE10hipError_tPvRmT3_T4_T5_T6_T7_T9_mT8_P12ihipStream_tbDpT10_ENKUlT_T0_E_clISt17integral_constantIbLb0EES1B_EEDaS16_S17_EUlS16_E_NS1_11comp_targetILNS1_3genE9ELNS1_11target_archE1100ELNS1_3gpuE3ELNS1_3repE0EEENS1_30default_config_static_selectorELNS0_4arch9wavefront6targetE1EEEvT1_, .Lfunc_end3297-_ZN7rocprim17ROCPRIM_400000_NS6detail17trampoline_kernelINS0_14default_configENS1_25partition_config_selectorILNS1_17partition_subalgoE1EiNS0_10empty_typeEbEEZZNS1_14partition_implILS5_1ELb0ES3_jN6thrust23THRUST_200600_302600_NS6detail15normal_iteratorINSA_10device_ptrIiEEEEPS6_NSA_18transform_iteratorI7is_evenIiESF_NSA_11use_defaultESK_EENS0_5tupleIJSF_NSA_16discard_iteratorISK_EEEEENSM_IJSG_SG_EEES6_PlJS6_EEE10hipError_tPvRmT3_T4_T5_T6_T7_T9_mT8_P12ihipStream_tbDpT10_ENKUlT_T0_E_clISt17integral_constantIbLb0EES1B_EEDaS16_S17_EUlS16_E_NS1_11comp_targetILNS1_3genE9ELNS1_11target_archE1100ELNS1_3gpuE3ELNS1_3repE0EEENS1_30default_config_static_selectorELNS0_4arch9wavefront6targetE1EEEvT1_
                                        ; -- End function
	.section	.AMDGPU.csdata,"",@progbits
; Kernel info:
; codeLenInByte = 0
; NumSgprs: 4
; NumVgprs: 0
; NumAgprs: 0
; TotalNumVgprs: 0
; ScratchSize: 0
; MemoryBound: 0
; FloatMode: 240
; IeeeMode: 1
; LDSByteSize: 0 bytes/workgroup (compile time only)
; SGPRBlocks: 0
; VGPRBlocks: 0
; NumSGPRsForWavesPerEU: 4
; NumVGPRsForWavesPerEU: 1
; AccumOffset: 4
; Occupancy: 8
; WaveLimiterHint : 0
; COMPUTE_PGM_RSRC2:SCRATCH_EN: 0
; COMPUTE_PGM_RSRC2:USER_SGPR: 6
; COMPUTE_PGM_RSRC2:TRAP_HANDLER: 0
; COMPUTE_PGM_RSRC2:TGID_X_EN: 1
; COMPUTE_PGM_RSRC2:TGID_Y_EN: 0
; COMPUTE_PGM_RSRC2:TGID_Z_EN: 0
; COMPUTE_PGM_RSRC2:TIDIG_COMP_CNT: 0
; COMPUTE_PGM_RSRC3_GFX90A:ACCUM_OFFSET: 0
; COMPUTE_PGM_RSRC3_GFX90A:TG_SPLIT: 0
	.section	.text._ZN7rocprim17ROCPRIM_400000_NS6detail17trampoline_kernelINS0_14default_configENS1_25partition_config_selectorILNS1_17partition_subalgoE1EiNS0_10empty_typeEbEEZZNS1_14partition_implILS5_1ELb0ES3_jN6thrust23THRUST_200600_302600_NS6detail15normal_iteratorINSA_10device_ptrIiEEEEPS6_NSA_18transform_iteratorI7is_evenIiESF_NSA_11use_defaultESK_EENS0_5tupleIJSF_NSA_16discard_iteratorISK_EEEEENSM_IJSG_SG_EEES6_PlJS6_EEE10hipError_tPvRmT3_T4_T5_T6_T7_T9_mT8_P12ihipStream_tbDpT10_ENKUlT_T0_E_clISt17integral_constantIbLb0EES1B_EEDaS16_S17_EUlS16_E_NS1_11comp_targetILNS1_3genE8ELNS1_11target_archE1030ELNS1_3gpuE2ELNS1_3repE0EEENS1_30default_config_static_selectorELNS0_4arch9wavefront6targetE1EEEvT1_,"axG",@progbits,_ZN7rocprim17ROCPRIM_400000_NS6detail17trampoline_kernelINS0_14default_configENS1_25partition_config_selectorILNS1_17partition_subalgoE1EiNS0_10empty_typeEbEEZZNS1_14partition_implILS5_1ELb0ES3_jN6thrust23THRUST_200600_302600_NS6detail15normal_iteratorINSA_10device_ptrIiEEEEPS6_NSA_18transform_iteratorI7is_evenIiESF_NSA_11use_defaultESK_EENS0_5tupleIJSF_NSA_16discard_iteratorISK_EEEEENSM_IJSG_SG_EEES6_PlJS6_EEE10hipError_tPvRmT3_T4_T5_T6_T7_T9_mT8_P12ihipStream_tbDpT10_ENKUlT_T0_E_clISt17integral_constantIbLb0EES1B_EEDaS16_S17_EUlS16_E_NS1_11comp_targetILNS1_3genE8ELNS1_11target_archE1030ELNS1_3gpuE2ELNS1_3repE0EEENS1_30default_config_static_selectorELNS0_4arch9wavefront6targetE1EEEvT1_,comdat
	.protected	_ZN7rocprim17ROCPRIM_400000_NS6detail17trampoline_kernelINS0_14default_configENS1_25partition_config_selectorILNS1_17partition_subalgoE1EiNS0_10empty_typeEbEEZZNS1_14partition_implILS5_1ELb0ES3_jN6thrust23THRUST_200600_302600_NS6detail15normal_iteratorINSA_10device_ptrIiEEEEPS6_NSA_18transform_iteratorI7is_evenIiESF_NSA_11use_defaultESK_EENS0_5tupleIJSF_NSA_16discard_iteratorISK_EEEEENSM_IJSG_SG_EEES6_PlJS6_EEE10hipError_tPvRmT3_T4_T5_T6_T7_T9_mT8_P12ihipStream_tbDpT10_ENKUlT_T0_E_clISt17integral_constantIbLb0EES1B_EEDaS16_S17_EUlS16_E_NS1_11comp_targetILNS1_3genE8ELNS1_11target_archE1030ELNS1_3gpuE2ELNS1_3repE0EEENS1_30default_config_static_selectorELNS0_4arch9wavefront6targetE1EEEvT1_ ; -- Begin function _ZN7rocprim17ROCPRIM_400000_NS6detail17trampoline_kernelINS0_14default_configENS1_25partition_config_selectorILNS1_17partition_subalgoE1EiNS0_10empty_typeEbEEZZNS1_14partition_implILS5_1ELb0ES3_jN6thrust23THRUST_200600_302600_NS6detail15normal_iteratorINSA_10device_ptrIiEEEEPS6_NSA_18transform_iteratorI7is_evenIiESF_NSA_11use_defaultESK_EENS0_5tupleIJSF_NSA_16discard_iteratorISK_EEEEENSM_IJSG_SG_EEES6_PlJS6_EEE10hipError_tPvRmT3_T4_T5_T6_T7_T9_mT8_P12ihipStream_tbDpT10_ENKUlT_T0_E_clISt17integral_constantIbLb0EES1B_EEDaS16_S17_EUlS16_E_NS1_11comp_targetILNS1_3genE8ELNS1_11target_archE1030ELNS1_3gpuE2ELNS1_3repE0EEENS1_30default_config_static_selectorELNS0_4arch9wavefront6targetE1EEEvT1_
	.globl	_ZN7rocprim17ROCPRIM_400000_NS6detail17trampoline_kernelINS0_14default_configENS1_25partition_config_selectorILNS1_17partition_subalgoE1EiNS0_10empty_typeEbEEZZNS1_14partition_implILS5_1ELb0ES3_jN6thrust23THRUST_200600_302600_NS6detail15normal_iteratorINSA_10device_ptrIiEEEEPS6_NSA_18transform_iteratorI7is_evenIiESF_NSA_11use_defaultESK_EENS0_5tupleIJSF_NSA_16discard_iteratorISK_EEEEENSM_IJSG_SG_EEES6_PlJS6_EEE10hipError_tPvRmT3_T4_T5_T6_T7_T9_mT8_P12ihipStream_tbDpT10_ENKUlT_T0_E_clISt17integral_constantIbLb0EES1B_EEDaS16_S17_EUlS16_E_NS1_11comp_targetILNS1_3genE8ELNS1_11target_archE1030ELNS1_3gpuE2ELNS1_3repE0EEENS1_30default_config_static_selectorELNS0_4arch9wavefront6targetE1EEEvT1_
	.p2align	8
	.type	_ZN7rocprim17ROCPRIM_400000_NS6detail17trampoline_kernelINS0_14default_configENS1_25partition_config_selectorILNS1_17partition_subalgoE1EiNS0_10empty_typeEbEEZZNS1_14partition_implILS5_1ELb0ES3_jN6thrust23THRUST_200600_302600_NS6detail15normal_iteratorINSA_10device_ptrIiEEEEPS6_NSA_18transform_iteratorI7is_evenIiESF_NSA_11use_defaultESK_EENS0_5tupleIJSF_NSA_16discard_iteratorISK_EEEEENSM_IJSG_SG_EEES6_PlJS6_EEE10hipError_tPvRmT3_T4_T5_T6_T7_T9_mT8_P12ihipStream_tbDpT10_ENKUlT_T0_E_clISt17integral_constantIbLb0EES1B_EEDaS16_S17_EUlS16_E_NS1_11comp_targetILNS1_3genE8ELNS1_11target_archE1030ELNS1_3gpuE2ELNS1_3repE0EEENS1_30default_config_static_selectorELNS0_4arch9wavefront6targetE1EEEvT1_,@function
_ZN7rocprim17ROCPRIM_400000_NS6detail17trampoline_kernelINS0_14default_configENS1_25partition_config_selectorILNS1_17partition_subalgoE1EiNS0_10empty_typeEbEEZZNS1_14partition_implILS5_1ELb0ES3_jN6thrust23THRUST_200600_302600_NS6detail15normal_iteratorINSA_10device_ptrIiEEEEPS6_NSA_18transform_iteratorI7is_evenIiESF_NSA_11use_defaultESK_EENS0_5tupleIJSF_NSA_16discard_iteratorISK_EEEEENSM_IJSG_SG_EEES6_PlJS6_EEE10hipError_tPvRmT3_T4_T5_T6_T7_T9_mT8_P12ihipStream_tbDpT10_ENKUlT_T0_E_clISt17integral_constantIbLb0EES1B_EEDaS16_S17_EUlS16_E_NS1_11comp_targetILNS1_3genE8ELNS1_11target_archE1030ELNS1_3gpuE2ELNS1_3repE0EEENS1_30default_config_static_selectorELNS0_4arch9wavefront6targetE1EEEvT1_: ; @_ZN7rocprim17ROCPRIM_400000_NS6detail17trampoline_kernelINS0_14default_configENS1_25partition_config_selectorILNS1_17partition_subalgoE1EiNS0_10empty_typeEbEEZZNS1_14partition_implILS5_1ELb0ES3_jN6thrust23THRUST_200600_302600_NS6detail15normal_iteratorINSA_10device_ptrIiEEEEPS6_NSA_18transform_iteratorI7is_evenIiESF_NSA_11use_defaultESK_EENS0_5tupleIJSF_NSA_16discard_iteratorISK_EEEEENSM_IJSG_SG_EEES6_PlJS6_EEE10hipError_tPvRmT3_T4_T5_T6_T7_T9_mT8_P12ihipStream_tbDpT10_ENKUlT_T0_E_clISt17integral_constantIbLb0EES1B_EEDaS16_S17_EUlS16_E_NS1_11comp_targetILNS1_3genE8ELNS1_11target_archE1030ELNS1_3gpuE2ELNS1_3repE0EEENS1_30default_config_static_selectorELNS0_4arch9wavefront6targetE1EEEvT1_
; %bb.0:
	.section	.rodata,"a",@progbits
	.p2align	6, 0x0
	.amdhsa_kernel _ZN7rocprim17ROCPRIM_400000_NS6detail17trampoline_kernelINS0_14default_configENS1_25partition_config_selectorILNS1_17partition_subalgoE1EiNS0_10empty_typeEbEEZZNS1_14partition_implILS5_1ELb0ES3_jN6thrust23THRUST_200600_302600_NS6detail15normal_iteratorINSA_10device_ptrIiEEEEPS6_NSA_18transform_iteratorI7is_evenIiESF_NSA_11use_defaultESK_EENS0_5tupleIJSF_NSA_16discard_iteratorISK_EEEEENSM_IJSG_SG_EEES6_PlJS6_EEE10hipError_tPvRmT3_T4_T5_T6_T7_T9_mT8_P12ihipStream_tbDpT10_ENKUlT_T0_E_clISt17integral_constantIbLb0EES1B_EEDaS16_S17_EUlS16_E_NS1_11comp_targetILNS1_3genE8ELNS1_11target_archE1030ELNS1_3gpuE2ELNS1_3repE0EEENS1_30default_config_static_selectorELNS0_4arch9wavefront6targetE1EEEvT1_
		.amdhsa_group_segment_fixed_size 0
		.amdhsa_private_segment_fixed_size 0
		.amdhsa_kernarg_size 136
		.amdhsa_user_sgpr_count 6
		.amdhsa_user_sgpr_private_segment_buffer 1
		.amdhsa_user_sgpr_dispatch_ptr 0
		.amdhsa_user_sgpr_queue_ptr 0
		.amdhsa_user_sgpr_kernarg_segment_ptr 1
		.amdhsa_user_sgpr_dispatch_id 0
		.amdhsa_user_sgpr_flat_scratch_init 0
		.amdhsa_user_sgpr_kernarg_preload_length 0
		.amdhsa_user_sgpr_kernarg_preload_offset 0
		.amdhsa_user_sgpr_private_segment_size 0
		.amdhsa_uses_dynamic_stack 0
		.amdhsa_system_sgpr_private_segment_wavefront_offset 0
		.amdhsa_system_sgpr_workgroup_id_x 1
		.amdhsa_system_sgpr_workgroup_id_y 0
		.amdhsa_system_sgpr_workgroup_id_z 0
		.amdhsa_system_sgpr_workgroup_info 0
		.amdhsa_system_vgpr_workitem_id 0
		.amdhsa_next_free_vgpr 1
		.amdhsa_next_free_sgpr 0
		.amdhsa_accum_offset 4
		.amdhsa_reserve_vcc 0
		.amdhsa_reserve_flat_scratch 0
		.amdhsa_float_round_mode_32 0
		.amdhsa_float_round_mode_16_64 0
		.amdhsa_float_denorm_mode_32 3
		.amdhsa_float_denorm_mode_16_64 3
		.amdhsa_dx10_clamp 1
		.amdhsa_ieee_mode 1
		.amdhsa_fp16_overflow 0
		.amdhsa_tg_split 0
		.amdhsa_exception_fp_ieee_invalid_op 0
		.amdhsa_exception_fp_denorm_src 0
		.amdhsa_exception_fp_ieee_div_zero 0
		.amdhsa_exception_fp_ieee_overflow 0
		.amdhsa_exception_fp_ieee_underflow 0
		.amdhsa_exception_fp_ieee_inexact 0
		.amdhsa_exception_int_div_zero 0
	.end_amdhsa_kernel
	.section	.text._ZN7rocprim17ROCPRIM_400000_NS6detail17trampoline_kernelINS0_14default_configENS1_25partition_config_selectorILNS1_17partition_subalgoE1EiNS0_10empty_typeEbEEZZNS1_14partition_implILS5_1ELb0ES3_jN6thrust23THRUST_200600_302600_NS6detail15normal_iteratorINSA_10device_ptrIiEEEEPS6_NSA_18transform_iteratorI7is_evenIiESF_NSA_11use_defaultESK_EENS0_5tupleIJSF_NSA_16discard_iteratorISK_EEEEENSM_IJSG_SG_EEES6_PlJS6_EEE10hipError_tPvRmT3_T4_T5_T6_T7_T9_mT8_P12ihipStream_tbDpT10_ENKUlT_T0_E_clISt17integral_constantIbLb0EES1B_EEDaS16_S17_EUlS16_E_NS1_11comp_targetILNS1_3genE8ELNS1_11target_archE1030ELNS1_3gpuE2ELNS1_3repE0EEENS1_30default_config_static_selectorELNS0_4arch9wavefront6targetE1EEEvT1_,"axG",@progbits,_ZN7rocprim17ROCPRIM_400000_NS6detail17trampoline_kernelINS0_14default_configENS1_25partition_config_selectorILNS1_17partition_subalgoE1EiNS0_10empty_typeEbEEZZNS1_14partition_implILS5_1ELb0ES3_jN6thrust23THRUST_200600_302600_NS6detail15normal_iteratorINSA_10device_ptrIiEEEEPS6_NSA_18transform_iteratorI7is_evenIiESF_NSA_11use_defaultESK_EENS0_5tupleIJSF_NSA_16discard_iteratorISK_EEEEENSM_IJSG_SG_EEES6_PlJS6_EEE10hipError_tPvRmT3_T4_T5_T6_T7_T9_mT8_P12ihipStream_tbDpT10_ENKUlT_T0_E_clISt17integral_constantIbLb0EES1B_EEDaS16_S17_EUlS16_E_NS1_11comp_targetILNS1_3genE8ELNS1_11target_archE1030ELNS1_3gpuE2ELNS1_3repE0EEENS1_30default_config_static_selectorELNS0_4arch9wavefront6targetE1EEEvT1_,comdat
.Lfunc_end3298:
	.size	_ZN7rocprim17ROCPRIM_400000_NS6detail17trampoline_kernelINS0_14default_configENS1_25partition_config_selectorILNS1_17partition_subalgoE1EiNS0_10empty_typeEbEEZZNS1_14partition_implILS5_1ELb0ES3_jN6thrust23THRUST_200600_302600_NS6detail15normal_iteratorINSA_10device_ptrIiEEEEPS6_NSA_18transform_iteratorI7is_evenIiESF_NSA_11use_defaultESK_EENS0_5tupleIJSF_NSA_16discard_iteratorISK_EEEEENSM_IJSG_SG_EEES6_PlJS6_EEE10hipError_tPvRmT3_T4_T5_T6_T7_T9_mT8_P12ihipStream_tbDpT10_ENKUlT_T0_E_clISt17integral_constantIbLb0EES1B_EEDaS16_S17_EUlS16_E_NS1_11comp_targetILNS1_3genE8ELNS1_11target_archE1030ELNS1_3gpuE2ELNS1_3repE0EEENS1_30default_config_static_selectorELNS0_4arch9wavefront6targetE1EEEvT1_, .Lfunc_end3298-_ZN7rocprim17ROCPRIM_400000_NS6detail17trampoline_kernelINS0_14default_configENS1_25partition_config_selectorILNS1_17partition_subalgoE1EiNS0_10empty_typeEbEEZZNS1_14partition_implILS5_1ELb0ES3_jN6thrust23THRUST_200600_302600_NS6detail15normal_iteratorINSA_10device_ptrIiEEEEPS6_NSA_18transform_iteratorI7is_evenIiESF_NSA_11use_defaultESK_EENS0_5tupleIJSF_NSA_16discard_iteratorISK_EEEEENSM_IJSG_SG_EEES6_PlJS6_EEE10hipError_tPvRmT3_T4_T5_T6_T7_T9_mT8_P12ihipStream_tbDpT10_ENKUlT_T0_E_clISt17integral_constantIbLb0EES1B_EEDaS16_S17_EUlS16_E_NS1_11comp_targetILNS1_3genE8ELNS1_11target_archE1030ELNS1_3gpuE2ELNS1_3repE0EEENS1_30default_config_static_selectorELNS0_4arch9wavefront6targetE1EEEvT1_
                                        ; -- End function
	.section	.AMDGPU.csdata,"",@progbits
; Kernel info:
; codeLenInByte = 0
; NumSgprs: 4
; NumVgprs: 0
; NumAgprs: 0
; TotalNumVgprs: 0
; ScratchSize: 0
; MemoryBound: 0
; FloatMode: 240
; IeeeMode: 1
; LDSByteSize: 0 bytes/workgroup (compile time only)
; SGPRBlocks: 0
; VGPRBlocks: 0
; NumSGPRsForWavesPerEU: 4
; NumVGPRsForWavesPerEU: 1
; AccumOffset: 4
; Occupancy: 8
; WaveLimiterHint : 0
; COMPUTE_PGM_RSRC2:SCRATCH_EN: 0
; COMPUTE_PGM_RSRC2:USER_SGPR: 6
; COMPUTE_PGM_RSRC2:TRAP_HANDLER: 0
; COMPUTE_PGM_RSRC2:TGID_X_EN: 1
; COMPUTE_PGM_RSRC2:TGID_Y_EN: 0
; COMPUTE_PGM_RSRC2:TGID_Z_EN: 0
; COMPUTE_PGM_RSRC2:TIDIG_COMP_CNT: 0
; COMPUTE_PGM_RSRC3_GFX90A:ACCUM_OFFSET: 0
; COMPUTE_PGM_RSRC3_GFX90A:TG_SPLIT: 0
	.section	.text._ZN7rocprim17ROCPRIM_400000_NS6detail17trampoline_kernelINS0_14default_configENS1_25partition_config_selectorILNS1_17partition_subalgoE1EiNS0_10empty_typeEbEEZZNS1_14partition_implILS5_1ELb0ES3_jN6thrust23THRUST_200600_302600_NS6detail15normal_iteratorINSA_10device_ptrIiEEEEPS6_NSA_18transform_iteratorI7is_evenIiESF_NSA_11use_defaultESK_EENS0_5tupleIJSF_NSA_16discard_iteratorISK_EEEEENSM_IJSG_SG_EEES6_PlJS6_EEE10hipError_tPvRmT3_T4_T5_T6_T7_T9_mT8_P12ihipStream_tbDpT10_ENKUlT_T0_E_clISt17integral_constantIbLb1EES1B_EEDaS16_S17_EUlS16_E_NS1_11comp_targetILNS1_3genE0ELNS1_11target_archE4294967295ELNS1_3gpuE0ELNS1_3repE0EEENS1_30default_config_static_selectorELNS0_4arch9wavefront6targetE1EEEvT1_,"axG",@progbits,_ZN7rocprim17ROCPRIM_400000_NS6detail17trampoline_kernelINS0_14default_configENS1_25partition_config_selectorILNS1_17partition_subalgoE1EiNS0_10empty_typeEbEEZZNS1_14partition_implILS5_1ELb0ES3_jN6thrust23THRUST_200600_302600_NS6detail15normal_iteratorINSA_10device_ptrIiEEEEPS6_NSA_18transform_iteratorI7is_evenIiESF_NSA_11use_defaultESK_EENS0_5tupleIJSF_NSA_16discard_iteratorISK_EEEEENSM_IJSG_SG_EEES6_PlJS6_EEE10hipError_tPvRmT3_T4_T5_T6_T7_T9_mT8_P12ihipStream_tbDpT10_ENKUlT_T0_E_clISt17integral_constantIbLb1EES1B_EEDaS16_S17_EUlS16_E_NS1_11comp_targetILNS1_3genE0ELNS1_11target_archE4294967295ELNS1_3gpuE0ELNS1_3repE0EEENS1_30default_config_static_selectorELNS0_4arch9wavefront6targetE1EEEvT1_,comdat
	.protected	_ZN7rocprim17ROCPRIM_400000_NS6detail17trampoline_kernelINS0_14default_configENS1_25partition_config_selectorILNS1_17partition_subalgoE1EiNS0_10empty_typeEbEEZZNS1_14partition_implILS5_1ELb0ES3_jN6thrust23THRUST_200600_302600_NS6detail15normal_iteratorINSA_10device_ptrIiEEEEPS6_NSA_18transform_iteratorI7is_evenIiESF_NSA_11use_defaultESK_EENS0_5tupleIJSF_NSA_16discard_iteratorISK_EEEEENSM_IJSG_SG_EEES6_PlJS6_EEE10hipError_tPvRmT3_T4_T5_T6_T7_T9_mT8_P12ihipStream_tbDpT10_ENKUlT_T0_E_clISt17integral_constantIbLb1EES1B_EEDaS16_S17_EUlS16_E_NS1_11comp_targetILNS1_3genE0ELNS1_11target_archE4294967295ELNS1_3gpuE0ELNS1_3repE0EEENS1_30default_config_static_selectorELNS0_4arch9wavefront6targetE1EEEvT1_ ; -- Begin function _ZN7rocprim17ROCPRIM_400000_NS6detail17trampoline_kernelINS0_14default_configENS1_25partition_config_selectorILNS1_17partition_subalgoE1EiNS0_10empty_typeEbEEZZNS1_14partition_implILS5_1ELb0ES3_jN6thrust23THRUST_200600_302600_NS6detail15normal_iteratorINSA_10device_ptrIiEEEEPS6_NSA_18transform_iteratorI7is_evenIiESF_NSA_11use_defaultESK_EENS0_5tupleIJSF_NSA_16discard_iteratorISK_EEEEENSM_IJSG_SG_EEES6_PlJS6_EEE10hipError_tPvRmT3_T4_T5_T6_T7_T9_mT8_P12ihipStream_tbDpT10_ENKUlT_T0_E_clISt17integral_constantIbLb1EES1B_EEDaS16_S17_EUlS16_E_NS1_11comp_targetILNS1_3genE0ELNS1_11target_archE4294967295ELNS1_3gpuE0ELNS1_3repE0EEENS1_30default_config_static_selectorELNS0_4arch9wavefront6targetE1EEEvT1_
	.globl	_ZN7rocprim17ROCPRIM_400000_NS6detail17trampoline_kernelINS0_14default_configENS1_25partition_config_selectorILNS1_17partition_subalgoE1EiNS0_10empty_typeEbEEZZNS1_14partition_implILS5_1ELb0ES3_jN6thrust23THRUST_200600_302600_NS6detail15normal_iteratorINSA_10device_ptrIiEEEEPS6_NSA_18transform_iteratorI7is_evenIiESF_NSA_11use_defaultESK_EENS0_5tupleIJSF_NSA_16discard_iteratorISK_EEEEENSM_IJSG_SG_EEES6_PlJS6_EEE10hipError_tPvRmT3_T4_T5_T6_T7_T9_mT8_P12ihipStream_tbDpT10_ENKUlT_T0_E_clISt17integral_constantIbLb1EES1B_EEDaS16_S17_EUlS16_E_NS1_11comp_targetILNS1_3genE0ELNS1_11target_archE4294967295ELNS1_3gpuE0ELNS1_3repE0EEENS1_30default_config_static_selectorELNS0_4arch9wavefront6targetE1EEEvT1_
	.p2align	8
	.type	_ZN7rocprim17ROCPRIM_400000_NS6detail17trampoline_kernelINS0_14default_configENS1_25partition_config_selectorILNS1_17partition_subalgoE1EiNS0_10empty_typeEbEEZZNS1_14partition_implILS5_1ELb0ES3_jN6thrust23THRUST_200600_302600_NS6detail15normal_iteratorINSA_10device_ptrIiEEEEPS6_NSA_18transform_iteratorI7is_evenIiESF_NSA_11use_defaultESK_EENS0_5tupleIJSF_NSA_16discard_iteratorISK_EEEEENSM_IJSG_SG_EEES6_PlJS6_EEE10hipError_tPvRmT3_T4_T5_T6_T7_T9_mT8_P12ihipStream_tbDpT10_ENKUlT_T0_E_clISt17integral_constantIbLb1EES1B_EEDaS16_S17_EUlS16_E_NS1_11comp_targetILNS1_3genE0ELNS1_11target_archE4294967295ELNS1_3gpuE0ELNS1_3repE0EEENS1_30default_config_static_selectorELNS0_4arch9wavefront6targetE1EEEvT1_,@function
_ZN7rocprim17ROCPRIM_400000_NS6detail17trampoline_kernelINS0_14default_configENS1_25partition_config_selectorILNS1_17partition_subalgoE1EiNS0_10empty_typeEbEEZZNS1_14partition_implILS5_1ELb0ES3_jN6thrust23THRUST_200600_302600_NS6detail15normal_iteratorINSA_10device_ptrIiEEEEPS6_NSA_18transform_iteratorI7is_evenIiESF_NSA_11use_defaultESK_EENS0_5tupleIJSF_NSA_16discard_iteratorISK_EEEEENSM_IJSG_SG_EEES6_PlJS6_EEE10hipError_tPvRmT3_T4_T5_T6_T7_T9_mT8_P12ihipStream_tbDpT10_ENKUlT_T0_E_clISt17integral_constantIbLb1EES1B_EEDaS16_S17_EUlS16_E_NS1_11comp_targetILNS1_3genE0ELNS1_11target_archE4294967295ELNS1_3gpuE0ELNS1_3repE0EEENS1_30default_config_static_selectorELNS0_4arch9wavefront6targetE1EEEvT1_: ; @_ZN7rocprim17ROCPRIM_400000_NS6detail17trampoline_kernelINS0_14default_configENS1_25partition_config_selectorILNS1_17partition_subalgoE1EiNS0_10empty_typeEbEEZZNS1_14partition_implILS5_1ELb0ES3_jN6thrust23THRUST_200600_302600_NS6detail15normal_iteratorINSA_10device_ptrIiEEEEPS6_NSA_18transform_iteratorI7is_evenIiESF_NSA_11use_defaultESK_EENS0_5tupleIJSF_NSA_16discard_iteratorISK_EEEEENSM_IJSG_SG_EEES6_PlJS6_EEE10hipError_tPvRmT3_T4_T5_T6_T7_T9_mT8_P12ihipStream_tbDpT10_ENKUlT_T0_E_clISt17integral_constantIbLb1EES1B_EEDaS16_S17_EUlS16_E_NS1_11comp_targetILNS1_3genE0ELNS1_11target_archE4294967295ELNS1_3gpuE0ELNS1_3repE0EEENS1_30default_config_static_selectorELNS0_4arch9wavefront6targetE1EEEvT1_
; %bb.0:
	.section	.rodata,"a",@progbits
	.p2align	6, 0x0
	.amdhsa_kernel _ZN7rocprim17ROCPRIM_400000_NS6detail17trampoline_kernelINS0_14default_configENS1_25partition_config_selectorILNS1_17partition_subalgoE1EiNS0_10empty_typeEbEEZZNS1_14partition_implILS5_1ELb0ES3_jN6thrust23THRUST_200600_302600_NS6detail15normal_iteratorINSA_10device_ptrIiEEEEPS6_NSA_18transform_iteratorI7is_evenIiESF_NSA_11use_defaultESK_EENS0_5tupleIJSF_NSA_16discard_iteratorISK_EEEEENSM_IJSG_SG_EEES6_PlJS6_EEE10hipError_tPvRmT3_T4_T5_T6_T7_T9_mT8_P12ihipStream_tbDpT10_ENKUlT_T0_E_clISt17integral_constantIbLb1EES1B_EEDaS16_S17_EUlS16_E_NS1_11comp_targetILNS1_3genE0ELNS1_11target_archE4294967295ELNS1_3gpuE0ELNS1_3repE0EEENS1_30default_config_static_selectorELNS0_4arch9wavefront6targetE1EEEvT1_
		.amdhsa_group_segment_fixed_size 0
		.amdhsa_private_segment_fixed_size 0
		.amdhsa_kernarg_size 152
		.amdhsa_user_sgpr_count 6
		.amdhsa_user_sgpr_private_segment_buffer 1
		.amdhsa_user_sgpr_dispatch_ptr 0
		.amdhsa_user_sgpr_queue_ptr 0
		.amdhsa_user_sgpr_kernarg_segment_ptr 1
		.amdhsa_user_sgpr_dispatch_id 0
		.amdhsa_user_sgpr_flat_scratch_init 0
		.amdhsa_user_sgpr_kernarg_preload_length 0
		.amdhsa_user_sgpr_kernarg_preload_offset 0
		.amdhsa_user_sgpr_private_segment_size 0
		.amdhsa_uses_dynamic_stack 0
		.amdhsa_system_sgpr_private_segment_wavefront_offset 0
		.amdhsa_system_sgpr_workgroup_id_x 1
		.amdhsa_system_sgpr_workgroup_id_y 0
		.amdhsa_system_sgpr_workgroup_id_z 0
		.amdhsa_system_sgpr_workgroup_info 0
		.amdhsa_system_vgpr_workitem_id 0
		.amdhsa_next_free_vgpr 1
		.amdhsa_next_free_sgpr 0
		.amdhsa_accum_offset 4
		.amdhsa_reserve_vcc 0
		.amdhsa_reserve_flat_scratch 0
		.amdhsa_float_round_mode_32 0
		.amdhsa_float_round_mode_16_64 0
		.amdhsa_float_denorm_mode_32 3
		.amdhsa_float_denorm_mode_16_64 3
		.amdhsa_dx10_clamp 1
		.amdhsa_ieee_mode 1
		.amdhsa_fp16_overflow 0
		.amdhsa_tg_split 0
		.amdhsa_exception_fp_ieee_invalid_op 0
		.amdhsa_exception_fp_denorm_src 0
		.amdhsa_exception_fp_ieee_div_zero 0
		.amdhsa_exception_fp_ieee_overflow 0
		.amdhsa_exception_fp_ieee_underflow 0
		.amdhsa_exception_fp_ieee_inexact 0
		.amdhsa_exception_int_div_zero 0
	.end_amdhsa_kernel
	.section	.text._ZN7rocprim17ROCPRIM_400000_NS6detail17trampoline_kernelINS0_14default_configENS1_25partition_config_selectorILNS1_17partition_subalgoE1EiNS0_10empty_typeEbEEZZNS1_14partition_implILS5_1ELb0ES3_jN6thrust23THRUST_200600_302600_NS6detail15normal_iteratorINSA_10device_ptrIiEEEEPS6_NSA_18transform_iteratorI7is_evenIiESF_NSA_11use_defaultESK_EENS0_5tupleIJSF_NSA_16discard_iteratorISK_EEEEENSM_IJSG_SG_EEES6_PlJS6_EEE10hipError_tPvRmT3_T4_T5_T6_T7_T9_mT8_P12ihipStream_tbDpT10_ENKUlT_T0_E_clISt17integral_constantIbLb1EES1B_EEDaS16_S17_EUlS16_E_NS1_11comp_targetILNS1_3genE0ELNS1_11target_archE4294967295ELNS1_3gpuE0ELNS1_3repE0EEENS1_30default_config_static_selectorELNS0_4arch9wavefront6targetE1EEEvT1_,"axG",@progbits,_ZN7rocprim17ROCPRIM_400000_NS6detail17trampoline_kernelINS0_14default_configENS1_25partition_config_selectorILNS1_17partition_subalgoE1EiNS0_10empty_typeEbEEZZNS1_14partition_implILS5_1ELb0ES3_jN6thrust23THRUST_200600_302600_NS6detail15normal_iteratorINSA_10device_ptrIiEEEEPS6_NSA_18transform_iteratorI7is_evenIiESF_NSA_11use_defaultESK_EENS0_5tupleIJSF_NSA_16discard_iteratorISK_EEEEENSM_IJSG_SG_EEES6_PlJS6_EEE10hipError_tPvRmT3_T4_T5_T6_T7_T9_mT8_P12ihipStream_tbDpT10_ENKUlT_T0_E_clISt17integral_constantIbLb1EES1B_EEDaS16_S17_EUlS16_E_NS1_11comp_targetILNS1_3genE0ELNS1_11target_archE4294967295ELNS1_3gpuE0ELNS1_3repE0EEENS1_30default_config_static_selectorELNS0_4arch9wavefront6targetE1EEEvT1_,comdat
.Lfunc_end3299:
	.size	_ZN7rocprim17ROCPRIM_400000_NS6detail17trampoline_kernelINS0_14default_configENS1_25partition_config_selectorILNS1_17partition_subalgoE1EiNS0_10empty_typeEbEEZZNS1_14partition_implILS5_1ELb0ES3_jN6thrust23THRUST_200600_302600_NS6detail15normal_iteratorINSA_10device_ptrIiEEEEPS6_NSA_18transform_iteratorI7is_evenIiESF_NSA_11use_defaultESK_EENS0_5tupleIJSF_NSA_16discard_iteratorISK_EEEEENSM_IJSG_SG_EEES6_PlJS6_EEE10hipError_tPvRmT3_T4_T5_T6_T7_T9_mT8_P12ihipStream_tbDpT10_ENKUlT_T0_E_clISt17integral_constantIbLb1EES1B_EEDaS16_S17_EUlS16_E_NS1_11comp_targetILNS1_3genE0ELNS1_11target_archE4294967295ELNS1_3gpuE0ELNS1_3repE0EEENS1_30default_config_static_selectorELNS0_4arch9wavefront6targetE1EEEvT1_, .Lfunc_end3299-_ZN7rocprim17ROCPRIM_400000_NS6detail17trampoline_kernelINS0_14default_configENS1_25partition_config_selectorILNS1_17partition_subalgoE1EiNS0_10empty_typeEbEEZZNS1_14partition_implILS5_1ELb0ES3_jN6thrust23THRUST_200600_302600_NS6detail15normal_iteratorINSA_10device_ptrIiEEEEPS6_NSA_18transform_iteratorI7is_evenIiESF_NSA_11use_defaultESK_EENS0_5tupleIJSF_NSA_16discard_iteratorISK_EEEEENSM_IJSG_SG_EEES6_PlJS6_EEE10hipError_tPvRmT3_T4_T5_T6_T7_T9_mT8_P12ihipStream_tbDpT10_ENKUlT_T0_E_clISt17integral_constantIbLb1EES1B_EEDaS16_S17_EUlS16_E_NS1_11comp_targetILNS1_3genE0ELNS1_11target_archE4294967295ELNS1_3gpuE0ELNS1_3repE0EEENS1_30default_config_static_selectorELNS0_4arch9wavefront6targetE1EEEvT1_
                                        ; -- End function
	.section	.AMDGPU.csdata,"",@progbits
; Kernel info:
; codeLenInByte = 0
; NumSgprs: 4
; NumVgprs: 0
; NumAgprs: 0
; TotalNumVgprs: 0
; ScratchSize: 0
; MemoryBound: 0
; FloatMode: 240
; IeeeMode: 1
; LDSByteSize: 0 bytes/workgroup (compile time only)
; SGPRBlocks: 0
; VGPRBlocks: 0
; NumSGPRsForWavesPerEU: 4
; NumVGPRsForWavesPerEU: 1
; AccumOffset: 4
; Occupancy: 8
; WaveLimiterHint : 0
; COMPUTE_PGM_RSRC2:SCRATCH_EN: 0
; COMPUTE_PGM_RSRC2:USER_SGPR: 6
; COMPUTE_PGM_RSRC2:TRAP_HANDLER: 0
; COMPUTE_PGM_RSRC2:TGID_X_EN: 1
; COMPUTE_PGM_RSRC2:TGID_Y_EN: 0
; COMPUTE_PGM_RSRC2:TGID_Z_EN: 0
; COMPUTE_PGM_RSRC2:TIDIG_COMP_CNT: 0
; COMPUTE_PGM_RSRC3_GFX90A:ACCUM_OFFSET: 0
; COMPUTE_PGM_RSRC3_GFX90A:TG_SPLIT: 0
	.section	.text._ZN7rocprim17ROCPRIM_400000_NS6detail17trampoline_kernelINS0_14default_configENS1_25partition_config_selectorILNS1_17partition_subalgoE1EiNS0_10empty_typeEbEEZZNS1_14partition_implILS5_1ELb0ES3_jN6thrust23THRUST_200600_302600_NS6detail15normal_iteratorINSA_10device_ptrIiEEEEPS6_NSA_18transform_iteratorI7is_evenIiESF_NSA_11use_defaultESK_EENS0_5tupleIJSF_NSA_16discard_iteratorISK_EEEEENSM_IJSG_SG_EEES6_PlJS6_EEE10hipError_tPvRmT3_T4_T5_T6_T7_T9_mT8_P12ihipStream_tbDpT10_ENKUlT_T0_E_clISt17integral_constantIbLb1EES1B_EEDaS16_S17_EUlS16_E_NS1_11comp_targetILNS1_3genE5ELNS1_11target_archE942ELNS1_3gpuE9ELNS1_3repE0EEENS1_30default_config_static_selectorELNS0_4arch9wavefront6targetE1EEEvT1_,"axG",@progbits,_ZN7rocprim17ROCPRIM_400000_NS6detail17trampoline_kernelINS0_14default_configENS1_25partition_config_selectorILNS1_17partition_subalgoE1EiNS0_10empty_typeEbEEZZNS1_14partition_implILS5_1ELb0ES3_jN6thrust23THRUST_200600_302600_NS6detail15normal_iteratorINSA_10device_ptrIiEEEEPS6_NSA_18transform_iteratorI7is_evenIiESF_NSA_11use_defaultESK_EENS0_5tupleIJSF_NSA_16discard_iteratorISK_EEEEENSM_IJSG_SG_EEES6_PlJS6_EEE10hipError_tPvRmT3_T4_T5_T6_T7_T9_mT8_P12ihipStream_tbDpT10_ENKUlT_T0_E_clISt17integral_constantIbLb1EES1B_EEDaS16_S17_EUlS16_E_NS1_11comp_targetILNS1_3genE5ELNS1_11target_archE942ELNS1_3gpuE9ELNS1_3repE0EEENS1_30default_config_static_selectorELNS0_4arch9wavefront6targetE1EEEvT1_,comdat
	.protected	_ZN7rocprim17ROCPRIM_400000_NS6detail17trampoline_kernelINS0_14default_configENS1_25partition_config_selectorILNS1_17partition_subalgoE1EiNS0_10empty_typeEbEEZZNS1_14partition_implILS5_1ELb0ES3_jN6thrust23THRUST_200600_302600_NS6detail15normal_iteratorINSA_10device_ptrIiEEEEPS6_NSA_18transform_iteratorI7is_evenIiESF_NSA_11use_defaultESK_EENS0_5tupleIJSF_NSA_16discard_iteratorISK_EEEEENSM_IJSG_SG_EEES6_PlJS6_EEE10hipError_tPvRmT3_T4_T5_T6_T7_T9_mT8_P12ihipStream_tbDpT10_ENKUlT_T0_E_clISt17integral_constantIbLb1EES1B_EEDaS16_S17_EUlS16_E_NS1_11comp_targetILNS1_3genE5ELNS1_11target_archE942ELNS1_3gpuE9ELNS1_3repE0EEENS1_30default_config_static_selectorELNS0_4arch9wavefront6targetE1EEEvT1_ ; -- Begin function _ZN7rocprim17ROCPRIM_400000_NS6detail17trampoline_kernelINS0_14default_configENS1_25partition_config_selectorILNS1_17partition_subalgoE1EiNS0_10empty_typeEbEEZZNS1_14partition_implILS5_1ELb0ES3_jN6thrust23THRUST_200600_302600_NS6detail15normal_iteratorINSA_10device_ptrIiEEEEPS6_NSA_18transform_iteratorI7is_evenIiESF_NSA_11use_defaultESK_EENS0_5tupleIJSF_NSA_16discard_iteratorISK_EEEEENSM_IJSG_SG_EEES6_PlJS6_EEE10hipError_tPvRmT3_T4_T5_T6_T7_T9_mT8_P12ihipStream_tbDpT10_ENKUlT_T0_E_clISt17integral_constantIbLb1EES1B_EEDaS16_S17_EUlS16_E_NS1_11comp_targetILNS1_3genE5ELNS1_11target_archE942ELNS1_3gpuE9ELNS1_3repE0EEENS1_30default_config_static_selectorELNS0_4arch9wavefront6targetE1EEEvT1_
	.globl	_ZN7rocprim17ROCPRIM_400000_NS6detail17trampoline_kernelINS0_14default_configENS1_25partition_config_selectorILNS1_17partition_subalgoE1EiNS0_10empty_typeEbEEZZNS1_14partition_implILS5_1ELb0ES3_jN6thrust23THRUST_200600_302600_NS6detail15normal_iteratorINSA_10device_ptrIiEEEEPS6_NSA_18transform_iteratorI7is_evenIiESF_NSA_11use_defaultESK_EENS0_5tupleIJSF_NSA_16discard_iteratorISK_EEEEENSM_IJSG_SG_EEES6_PlJS6_EEE10hipError_tPvRmT3_T4_T5_T6_T7_T9_mT8_P12ihipStream_tbDpT10_ENKUlT_T0_E_clISt17integral_constantIbLb1EES1B_EEDaS16_S17_EUlS16_E_NS1_11comp_targetILNS1_3genE5ELNS1_11target_archE942ELNS1_3gpuE9ELNS1_3repE0EEENS1_30default_config_static_selectorELNS0_4arch9wavefront6targetE1EEEvT1_
	.p2align	8
	.type	_ZN7rocprim17ROCPRIM_400000_NS6detail17trampoline_kernelINS0_14default_configENS1_25partition_config_selectorILNS1_17partition_subalgoE1EiNS0_10empty_typeEbEEZZNS1_14partition_implILS5_1ELb0ES3_jN6thrust23THRUST_200600_302600_NS6detail15normal_iteratorINSA_10device_ptrIiEEEEPS6_NSA_18transform_iteratorI7is_evenIiESF_NSA_11use_defaultESK_EENS0_5tupleIJSF_NSA_16discard_iteratorISK_EEEEENSM_IJSG_SG_EEES6_PlJS6_EEE10hipError_tPvRmT3_T4_T5_T6_T7_T9_mT8_P12ihipStream_tbDpT10_ENKUlT_T0_E_clISt17integral_constantIbLb1EES1B_EEDaS16_S17_EUlS16_E_NS1_11comp_targetILNS1_3genE5ELNS1_11target_archE942ELNS1_3gpuE9ELNS1_3repE0EEENS1_30default_config_static_selectorELNS0_4arch9wavefront6targetE1EEEvT1_,@function
_ZN7rocprim17ROCPRIM_400000_NS6detail17trampoline_kernelINS0_14default_configENS1_25partition_config_selectorILNS1_17partition_subalgoE1EiNS0_10empty_typeEbEEZZNS1_14partition_implILS5_1ELb0ES3_jN6thrust23THRUST_200600_302600_NS6detail15normal_iteratorINSA_10device_ptrIiEEEEPS6_NSA_18transform_iteratorI7is_evenIiESF_NSA_11use_defaultESK_EENS0_5tupleIJSF_NSA_16discard_iteratorISK_EEEEENSM_IJSG_SG_EEES6_PlJS6_EEE10hipError_tPvRmT3_T4_T5_T6_T7_T9_mT8_P12ihipStream_tbDpT10_ENKUlT_T0_E_clISt17integral_constantIbLb1EES1B_EEDaS16_S17_EUlS16_E_NS1_11comp_targetILNS1_3genE5ELNS1_11target_archE942ELNS1_3gpuE9ELNS1_3repE0EEENS1_30default_config_static_selectorELNS0_4arch9wavefront6targetE1EEEvT1_: ; @_ZN7rocprim17ROCPRIM_400000_NS6detail17trampoline_kernelINS0_14default_configENS1_25partition_config_selectorILNS1_17partition_subalgoE1EiNS0_10empty_typeEbEEZZNS1_14partition_implILS5_1ELb0ES3_jN6thrust23THRUST_200600_302600_NS6detail15normal_iteratorINSA_10device_ptrIiEEEEPS6_NSA_18transform_iteratorI7is_evenIiESF_NSA_11use_defaultESK_EENS0_5tupleIJSF_NSA_16discard_iteratorISK_EEEEENSM_IJSG_SG_EEES6_PlJS6_EEE10hipError_tPvRmT3_T4_T5_T6_T7_T9_mT8_P12ihipStream_tbDpT10_ENKUlT_T0_E_clISt17integral_constantIbLb1EES1B_EEDaS16_S17_EUlS16_E_NS1_11comp_targetILNS1_3genE5ELNS1_11target_archE942ELNS1_3gpuE9ELNS1_3repE0EEENS1_30default_config_static_selectorELNS0_4arch9wavefront6targetE1EEEvT1_
; %bb.0:
	.section	.rodata,"a",@progbits
	.p2align	6, 0x0
	.amdhsa_kernel _ZN7rocprim17ROCPRIM_400000_NS6detail17trampoline_kernelINS0_14default_configENS1_25partition_config_selectorILNS1_17partition_subalgoE1EiNS0_10empty_typeEbEEZZNS1_14partition_implILS5_1ELb0ES3_jN6thrust23THRUST_200600_302600_NS6detail15normal_iteratorINSA_10device_ptrIiEEEEPS6_NSA_18transform_iteratorI7is_evenIiESF_NSA_11use_defaultESK_EENS0_5tupleIJSF_NSA_16discard_iteratorISK_EEEEENSM_IJSG_SG_EEES6_PlJS6_EEE10hipError_tPvRmT3_T4_T5_T6_T7_T9_mT8_P12ihipStream_tbDpT10_ENKUlT_T0_E_clISt17integral_constantIbLb1EES1B_EEDaS16_S17_EUlS16_E_NS1_11comp_targetILNS1_3genE5ELNS1_11target_archE942ELNS1_3gpuE9ELNS1_3repE0EEENS1_30default_config_static_selectorELNS0_4arch9wavefront6targetE1EEEvT1_
		.amdhsa_group_segment_fixed_size 0
		.amdhsa_private_segment_fixed_size 0
		.amdhsa_kernarg_size 152
		.amdhsa_user_sgpr_count 6
		.amdhsa_user_sgpr_private_segment_buffer 1
		.amdhsa_user_sgpr_dispatch_ptr 0
		.amdhsa_user_sgpr_queue_ptr 0
		.amdhsa_user_sgpr_kernarg_segment_ptr 1
		.amdhsa_user_sgpr_dispatch_id 0
		.amdhsa_user_sgpr_flat_scratch_init 0
		.amdhsa_user_sgpr_kernarg_preload_length 0
		.amdhsa_user_sgpr_kernarg_preload_offset 0
		.amdhsa_user_sgpr_private_segment_size 0
		.amdhsa_uses_dynamic_stack 0
		.amdhsa_system_sgpr_private_segment_wavefront_offset 0
		.amdhsa_system_sgpr_workgroup_id_x 1
		.amdhsa_system_sgpr_workgroup_id_y 0
		.amdhsa_system_sgpr_workgroup_id_z 0
		.amdhsa_system_sgpr_workgroup_info 0
		.amdhsa_system_vgpr_workitem_id 0
		.amdhsa_next_free_vgpr 1
		.amdhsa_next_free_sgpr 0
		.amdhsa_accum_offset 4
		.amdhsa_reserve_vcc 0
		.amdhsa_reserve_flat_scratch 0
		.amdhsa_float_round_mode_32 0
		.amdhsa_float_round_mode_16_64 0
		.amdhsa_float_denorm_mode_32 3
		.amdhsa_float_denorm_mode_16_64 3
		.amdhsa_dx10_clamp 1
		.amdhsa_ieee_mode 1
		.amdhsa_fp16_overflow 0
		.amdhsa_tg_split 0
		.amdhsa_exception_fp_ieee_invalid_op 0
		.amdhsa_exception_fp_denorm_src 0
		.amdhsa_exception_fp_ieee_div_zero 0
		.amdhsa_exception_fp_ieee_overflow 0
		.amdhsa_exception_fp_ieee_underflow 0
		.amdhsa_exception_fp_ieee_inexact 0
		.amdhsa_exception_int_div_zero 0
	.end_amdhsa_kernel
	.section	.text._ZN7rocprim17ROCPRIM_400000_NS6detail17trampoline_kernelINS0_14default_configENS1_25partition_config_selectorILNS1_17partition_subalgoE1EiNS0_10empty_typeEbEEZZNS1_14partition_implILS5_1ELb0ES3_jN6thrust23THRUST_200600_302600_NS6detail15normal_iteratorINSA_10device_ptrIiEEEEPS6_NSA_18transform_iteratorI7is_evenIiESF_NSA_11use_defaultESK_EENS0_5tupleIJSF_NSA_16discard_iteratorISK_EEEEENSM_IJSG_SG_EEES6_PlJS6_EEE10hipError_tPvRmT3_T4_T5_T6_T7_T9_mT8_P12ihipStream_tbDpT10_ENKUlT_T0_E_clISt17integral_constantIbLb1EES1B_EEDaS16_S17_EUlS16_E_NS1_11comp_targetILNS1_3genE5ELNS1_11target_archE942ELNS1_3gpuE9ELNS1_3repE0EEENS1_30default_config_static_selectorELNS0_4arch9wavefront6targetE1EEEvT1_,"axG",@progbits,_ZN7rocprim17ROCPRIM_400000_NS6detail17trampoline_kernelINS0_14default_configENS1_25partition_config_selectorILNS1_17partition_subalgoE1EiNS0_10empty_typeEbEEZZNS1_14partition_implILS5_1ELb0ES3_jN6thrust23THRUST_200600_302600_NS6detail15normal_iteratorINSA_10device_ptrIiEEEEPS6_NSA_18transform_iteratorI7is_evenIiESF_NSA_11use_defaultESK_EENS0_5tupleIJSF_NSA_16discard_iteratorISK_EEEEENSM_IJSG_SG_EEES6_PlJS6_EEE10hipError_tPvRmT3_T4_T5_T6_T7_T9_mT8_P12ihipStream_tbDpT10_ENKUlT_T0_E_clISt17integral_constantIbLb1EES1B_EEDaS16_S17_EUlS16_E_NS1_11comp_targetILNS1_3genE5ELNS1_11target_archE942ELNS1_3gpuE9ELNS1_3repE0EEENS1_30default_config_static_selectorELNS0_4arch9wavefront6targetE1EEEvT1_,comdat
.Lfunc_end3300:
	.size	_ZN7rocprim17ROCPRIM_400000_NS6detail17trampoline_kernelINS0_14default_configENS1_25partition_config_selectorILNS1_17partition_subalgoE1EiNS0_10empty_typeEbEEZZNS1_14partition_implILS5_1ELb0ES3_jN6thrust23THRUST_200600_302600_NS6detail15normal_iteratorINSA_10device_ptrIiEEEEPS6_NSA_18transform_iteratorI7is_evenIiESF_NSA_11use_defaultESK_EENS0_5tupleIJSF_NSA_16discard_iteratorISK_EEEEENSM_IJSG_SG_EEES6_PlJS6_EEE10hipError_tPvRmT3_T4_T5_T6_T7_T9_mT8_P12ihipStream_tbDpT10_ENKUlT_T0_E_clISt17integral_constantIbLb1EES1B_EEDaS16_S17_EUlS16_E_NS1_11comp_targetILNS1_3genE5ELNS1_11target_archE942ELNS1_3gpuE9ELNS1_3repE0EEENS1_30default_config_static_selectorELNS0_4arch9wavefront6targetE1EEEvT1_, .Lfunc_end3300-_ZN7rocprim17ROCPRIM_400000_NS6detail17trampoline_kernelINS0_14default_configENS1_25partition_config_selectorILNS1_17partition_subalgoE1EiNS0_10empty_typeEbEEZZNS1_14partition_implILS5_1ELb0ES3_jN6thrust23THRUST_200600_302600_NS6detail15normal_iteratorINSA_10device_ptrIiEEEEPS6_NSA_18transform_iteratorI7is_evenIiESF_NSA_11use_defaultESK_EENS0_5tupleIJSF_NSA_16discard_iteratorISK_EEEEENSM_IJSG_SG_EEES6_PlJS6_EEE10hipError_tPvRmT3_T4_T5_T6_T7_T9_mT8_P12ihipStream_tbDpT10_ENKUlT_T0_E_clISt17integral_constantIbLb1EES1B_EEDaS16_S17_EUlS16_E_NS1_11comp_targetILNS1_3genE5ELNS1_11target_archE942ELNS1_3gpuE9ELNS1_3repE0EEENS1_30default_config_static_selectorELNS0_4arch9wavefront6targetE1EEEvT1_
                                        ; -- End function
	.section	.AMDGPU.csdata,"",@progbits
; Kernel info:
; codeLenInByte = 0
; NumSgprs: 4
; NumVgprs: 0
; NumAgprs: 0
; TotalNumVgprs: 0
; ScratchSize: 0
; MemoryBound: 0
; FloatMode: 240
; IeeeMode: 1
; LDSByteSize: 0 bytes/workgroup (compile time only)
; SGPRBlocks: 0
; VGPRBlocks: 0
; NumSGPRsForWavesPerEU: 4
; NumVGPRsForWavesPerEU: 1
; AccumOffset: 4
; Occupancy: 8
; WaveLimiterHint : 0
; COMPUTE_PGM_RSRC2:SCRATCH_EN: 0
; COMPUTE_PGM_RSRC2:USER_SGPR: 6
; COMPUTE_PGM_RSRC2:TRAP_HANDLER: 0
; COMPUTE_PGM_RSRC2:TGID_X_EN: 1
; COMPUTE_PGM_RSRC2:TGID_Y_EN: 0
; COMPUTE_PGM_RSRC2:TGID_Z_EN: 0
; COMPUTE_PGM_RSRC2:TIDIG_COMP_CNT: 0
; COMPUTE_PGM_RSRC3_GFX90A:ACCUM_OFFSET: 0
; COMPUTE_PGM_RSRC3_GFX90A:TG_SPLIT: 0
	.section	.text._ZN7rocprim17ROCPRIM_400000_NS6detail17trampoline_kernelINS0_14default_configENS1_25partition_config_selectorILNS1_17partition_subalgoE1EiNS0_10empty_typeEbEEZZNS1_14partition_implILS5_1ELb0ES3_jN6thrust23THRUST_200600_302600_NS6detail15normal_iteratorINSA_10device_ptrIiEEEEPS6_NSA_18transform_iteratorI7is_evenIiESF_NSA_11use_defaultESK_EENS0_5tupleIJSF_NSA_16discard_iteratorISK_EEEEENSM_IJSG_SG_EEES6_PlJS6_EEE10hipError_tPvRmT3_T4_T5_T6_T7_T9_mT8_P12ihipStream_tbDpT10_ENKUlT_T0_E_clISt17integral_constantIbLb1EES1B_EEDaS16_S17_EUlS16_E_NS1_11comp_targetILNS1_3genE4ELNS1_11target_archE910ELNS1_3gpuE8ELNS1_3repE0EEENS1_30default_config_static_selectorELNS0_4arch9wavefront6targetE1EEEvT1_,"axG",@progbits,_ZN7rocprim17ROCPRIM_400000_NS6detail17trampoline_kernelINS0_14default_configENS1_25partition_config_selectorILNS1_17partition_subalgoE1EiNS0_10empty_typeEbEEZZNS1_14partition_implILS5_1ELb0ES3_jN6thrust23THRUST_200600_302600_NS6detail15normal_iteratorINSA_10device_ptrIiEEEEPS6_NSA_18transform_iteratorI7is_evenIiESF_NSA_11use_defaultESK_EENS0_5tupleIJSF_NSA_16discard_iteratorISK_EEEEENSM_IJSG_SG_EEES6_PlJS6_EEE10hipError_tPvRmT3_T4_T5_T6_T7_T9_mT8_P12ihipStream_tbDpT10_ENKUlT_T0_E_clISt17integral_constantIbLb1EES1B_EEDaS16_S17_EUlS16_E_NS1_11comp_targetILNS1_3genE4ELNS1_11target_archE910ELNS1_3gpuE8ELNS1_3repE0EEENS1_30default_config_static_selectorELNS0_4arch9wavefront6targetE1EEEvT1_,comdat
	.protected	_ZN7rocprim17ROCPRIM_400000_NS6detail17trampoline_kernelINS0_14default_configENS1_25partition_config_selectorILNS1_17partition_subalgoE1EiNS0_10empty_typeEbEEZZNS1_14partition_implILS5_1ELb0ES3_jN6thrust23THRUST_200600_302600_NS6detail15normal_iteratorINSA_10device_ptrIiEEEEPS6_NSA_18transform_iteratorI7is_evenIiESF_NSA_11use_defaultESK_EENS0_5tupleIJSF_NSA_16discard_iteratorISK_EEEEENSM_IJSG_SG_EEES6_PlJS6_EEE10hipError_tPvRmT3_T4_T5_T6_T7_T9_mT8_P12ihipStream_tbDpT10_ENKUlT_T0_E_clISt17integral_constantIbLb1EES1B_EEDaS16_S17_EUlS16_E_NS1_11comp_targetILNS1_3genE4ELNS1_11target_archE910ELNS1_3gpuE8ELNS1_3repE0EEENS1_30default_config_static_selectorELNS0_4arch9wavefront6targetE1EEEvT1_ ; -- Begin function _ZN7rocprim17ROCPRIM_400000_NS6detail17trampoline_kernelINS0_14default_configENS1_25partition_config_selectorILNS1_17partition_subalgoE1EiNS0_10empty_typeEbEEZZNS1_14partition_implILS5_1ELb0ES3_jN6thrust23THRUST_200600_302600_NS6detail15normal_iteratorINSA_10device_ptrIiEEEEPS6_NSA_18transform_iteratorI7is_evenIiESF_NSA_11use_defaultESK_EENS0_5tupleIJSF_NSA_16discard_iteratorISK_EEEEENSM_IJSG_SG_EEES6_PlJS6_EEE10hipError_tPvRmT3_T4_T5_T6_T7_T9_mT8_P12ihipStream_tbDpT10_ENKUlT_T0_E_clISt17integral_constantIbLb1EES1B_EEDaS16_S17_EUlS16_E_NS1_11comp_targetILNS1_3genE4ELNS1_11target_archE910ELNS1_3gpuE8ELNS1_3repE0EEENS1_30default_config_static_selectorELNS0_4arch9wavefront6targetE1EEEvT1_
	.globl	_ZN7rocprim17ROCPRIM_400000_NS6detail17trampoline_kernelINS0_14default_configENS1_25partition_config_selectorILNS1_17partition_subalgoE1EiNS0_10empty_typeEbEEZZNS1_14partition_implILS5_1ELb0ES3_jN6thrust23THRUST_200600_302600_NS6detail15normal_iteratorINSA_10device_ptrIiEEEEPS6_NSA_18transform_iteratorI7is_evenIiESF_NSA_11use_defaultESK_EENS0_5tupleIJSF_NSA_16discard_iteratorISK_EEEEENSM_IJSG_SG_EEES6_PlJS6_EEE10hipError_tPvRmT3_T4_T5_T6_T7_T9_mT8_P12ihipStream_tbDpT10_ENKUlT_T0_E_clISt17integral_constantIbLb1EES1B_EEDaS16_S17_EUlS16_E_NS1_11comp_targetILNS1_3genE4ELNS1_11target_archE910ELNS1_3gpuE8ELNS1_3repE0EEENS1_30default_config_static_selectorELNS0_4arch9wavefront6targetE1EEEvT1_
	.p2align	8
	.type	_ZN7rocprim17ROCPRIM_400000_NS6detail17trampoline_kernelINS0_14default_configENS1_25partition_config_selectorILNS1_17partition_subalgoE1EiNS0_10empty_typeEbEEZZNS1_14partition_implILS5_1ELb0ES3_jN6thrust23THRUST_200600_302600_NS6detail15normal_iteratorINSA_10device_ptrIiEEEEPS6_NSA_18transform_iteratorI7is_evenIiESF_NSA_11use_defaultESK_EENS0_5tupleIJSF_NSA_16discard_iteratorISK_EEEEENSM_IJSG_SG_EEES6_PlJS6_EEE10hipError_tPvRmT3_T4_T5_T6_T7_T9_mT8_P12ihipStream_tbDpT10_ENKUlT_T0_E_clISt17integral_constantIbLb1EES1B_EEDaS16_S17_EUlS16_E_NS1_11comp_targetILNS1_3genE4ELNS1_11target_archE910ELNS1_3gpuE8ELNS1_3repE0EEENS1_30default_config_static_selectorELNS0_4arch9wavefront6targetE1EEEvT1_,@function
_ZN7rocprim17ROCPRIM_400000_NS6detail17trampoline_kernelINS0_14default_configENS1_25partition_config_selectorILNS1_17partition_subalgoE1EiNS0_10empty_typeEbEEZZNS1_14partition_implILS5_1ELb0ES3_jN6thrust23THRUST_200600_302600_NS6detail15normal_iteratorINSA_10device_ptrIiEEEEPS6_NSA_18transform_iteratorI7is_evenIiESF_NSA_11use_defaultESK_EENS0_5tupleIJSF_NSA_16discard_iteratorISK_EEEEENSM_IJSG_SG_EEES6_PlJS6_EEE10hipError_tPvRmT3_T4_T5_T6_T7_T9_mT8_P12ihipStream_tbDpT10_ENKUlT_T0_E_clISt17integral_constantIbLb1EES1B_EEDaS16_S17_EUlS16_E_NS1_11comp_targetILNS1_3genE4ELNS1_11target_archE910ELNS1_3gpuE8ELNS1_3repE0EEENS1_30default_config_static_selectorELNS0_4arch9wavefront6targetE1EEEvT1_: ; @_ZN7rocprim17ROCPRIM_400000_NS6detail17trampoline_kernelINS0_14default_configENS1_25partition_config_selectorILNS1_17partition_subalgoE1EiNS0_10empty_typeEbEEZZNS1_14partition_implILS5_1ELb0ES3_jN6thrust23THRUST_200600_302600_NS6detail15normal_iteratorINSA_10device_ptrIiEEEEPS6_NSA_18transform_iteratorI7is_evenIiESF_NSA_11use_defaultESK_EENS0_5tupleIJSF_NSA_16discard_iteratorISK_EEEEENSM_IJSG_SG_EEES6_PlJS6_EEE10hipError_tPvRmT3_T4_T5_T6_T7_T9_mT8_P12ihipStream_tbDpT10_ENKUlT_T0_E_clISt17integral_constantIbLb1EES1B_EEDaS16_S17_EUlS16_E_NS1_11comp_targetILNS1_3genE4ELNS1_11target_archE910ELNS1_3gpuE8ELNS1_3repE0EEENS1_30default_config_static_selectorELNS0_4arch9wavefront6targetE1EEEvT1_
; %bb.0:
	s_load_dwordx2 s[6:7], s[4:5], 0x20
	s_load_dwordx2 s[24:25], s[4:5], 0x30
	;; [unrolled: 1-line block ×3, first 2 shown]
	s_load_dwordx4 s[20:23], s[4:5], 0x58
	s_load_dwordx2 s[26:27], s[4:5], 0x78
	v_cmp_eq_u32_e64 s[0:1], 0, v0
	s_and_saveexec_b64 s[8:9], s[0:1]
	s_cbranch_execz .LBB3301_4
; %bb.1:
	s_mov_b64 s[12:13], exec
	v_mbcnt_lo_u32_b32 v1, s12, 0
	v_mbcnt_hi_u32_b32 v1, s13, v1
	v_cmp_eq_u32_e32 vcc, 0, v1
                                        ; implicit-def: $vgpr2
	s_and_saveexec_b64 s[10:11], vcc
	s_cbranch_execz .LBB3301_3
; %bb.2:
	s_load_dwordx2 s[14:15], s[4:5], 0x88
	s_bcnt1_i32_b64 s12, s[12:13]
	v_mov_b32_e32 v2, 0
	v_mov_b32_e32 v3, s12
	s_waitcnt lgkmcnt(0)
	global_atomic_add v2, v2, v3, s[14:15] glc
.LBB3301_3:
	s_or_b64 exec, exec, s[10:11]
	s_waitcnt vmcnt(0)
	v_readfirstlane_b32 s10, v2
	v_add_u32_e32 v1, s10, v1
	v_mov_b32_e32 v2, 0
	ds_write_b32 v2, v1
.LBB3301_4:
	s_or_b64 exec, exec, s[8:9]
	v_mov_b32_e32 v1, 0
	s_load_dwordx4 s[8:11], s[4:5], 0x8
	s_load_dword s12, s[4:5], 0x80
	s_waitcnt lgkmcnt(0)
	s_barrier
	ds_read_b32 v4, v1
	s_waitcnt lgkmcnt(0)
	s_barrier
	global_load_dwordx2 v[10:11], v1, s[22:23]
	s_lshl_b64 s[4:5], s[10:11], 2
	v_mov_b32_e32 v3, s3
	s_add_u32 s13, s8, s4
	s_mul_i32 s3, s12, 0x700
	s_addc_u32 s14, s9, s5
	s_add_i32 s9, s3, s10
	s_sub_i32 s33, s2, s9
	s_add_i32 s15, s12, -1
	s_addk_i32 s33, 0x700
	v_mov_b32_e32 v2, s2
	s_add_u32 s2, s10, s3
	v_readfirstlane_b32 s36, v4
	s_addc_u32 s3, s11, 0
	s_cmp_eq_u32 s36, s15
	s_cselect_b64 s[18:19], -1, 0
	s_cmp_lg_u32 s36, s15
	s_mul_i32 s8, s36, 0x700
	s_mov_b32 s9, 0
	v_cmp_lt_u64_e32 vcc, s[2:3], v[2:3]
	s_cselect_b64 s[2:3], -1, 0
	s_or_b64 s[22:23], vcc, s[2:3]
	s_lshl_b64 s[8:9], s[8:9], 2
	s_add_u32 s12, s13, s8
	s_addc_u32 s13, s14, s9
	s_mov_b64 s[2:3], -1
	s_and_b64 vcc, exec, s[22:23]
	v_lshlrev_b32_e32 v1, 2, v0
	s_cbranch_vccz .LBB3301_6
; %bb.5:
	v_mov_b32_e32 v3, s13
	v_add_co_u32_e32 v2, vcc, s12, v1
	v_addc_co_u32_e32 v3, vcc, 0, v3, vcc
	v_add_co_u32_e32 v4, vcc, 0x1000, v2
	v_addc_co_u32_e32 v5, vcc, 0, v3, vcc
	flat_load_dword v6, v[2:3]
	flat_load_dword v7, v[2:3] offset:1024
	flat_load_dword v8, v[2:3] offset:2048
	;; [unrolled: 1-line block ×3, first 2 shown]
	flat_load_dword v12, v[4:5]
	flat_load_dword v13, v[4:5] offset:1024
	flat_load_dword v14, v[4:5] offset:2048
	s_mov_b64 s[2:3], 0
	s_waitcnt vmcnt(0) lgkmcnt(0)
	ds_write2st64_b32 v1, v6, v7 offset1:4
	ds_write2st64_b32 v1, v8, v9 offset0:8 offset1:12
	ds_write2st64_b32 v1, v12, v13 offset0:16 offset1:20
	ds_write_b32 v1, v14 offset:6144
	s_waitcnt lgkmcnt(0)
	s_barrier
.LBB3301_6:
	s_andn2_b64 vcc, exec, s[2:3]
	v_cmp_gt_u32_e64 s[2:3], s33, v0
	s_cbranch_vccnz .LBB3301_22
; %bb.7:
                                        ; implicit-def: $vgpr2_vgpr3_vgpr4_vgpr5_vgpr6_vgpr7_vgpr8
	s_and_saveexec_b64 s[10:11], s[2:3]
	s_cbranch_execz .LBB3301_9
; %bb.8:
	v_mov_b32_e32 v3, s13
	v_add_co_u32_e32 v2, vcc, s12, v1
	v_addc_co_u32_e32 v3, vcc, 0, v3, vcc
	flat_load_dword v2, v[2:3]
.LBB3301_9:
	s_or_b64 exec, exec, s[10:11]
	v_or_b32_e32 v9, 0x100, v0
	v_cmp_gt_u32_e32 vcc, s33, v9
	s_and_saveexec_b64 s[2:3], vcc
	s_cbranch_execz .LBB3301_11
; %bb.10:
	v_mov_b32_e32 v3, s13
	v_add_co_u32_e32 v12, vcc, s12, v1
	v_addc_co_u32_e32 v13, vcc, 0, v3, vcc
	flat_load_dword v3, v[12:13] offset:1024
.LBB3301_11:
	s_or_b64 exec, exec, s[2:3]
	v_or_b32_e32 v9, 0x200, v0
	v_cmp_gt_u32_e32 vcc, s33, v9
	s_and_saveexec_b64 s[2:3], vcc
	s_cbranch_execz .LBB3301_13
; %bb.12:
	v_mov_b32_e32 v4, s13
	v_add_co_u32_e32 v12, vcc, s12, v1
	v_addc_co_u32_e32 v13, vcc, 0, v4, vcc
	flat_load_dword v4, v[12:13] offset:2048
.LBB3301_13:
	;; [unrolled: 11-line block ×3, first 2 shown]
	s_or_b64 exec, exec, s[2:3]
	v_or_b32_e32 v9, 0x400, v0
	v_cmp_gt_u32_e32 vcc, s33, v9
	s_and_saveexec_b64 s[2:3], vcc
	s_cbranch_execz .LBB3301_17
; %bb.16:
	v_lshlrev_b32_e32 v6, 2, v9
	v_mov_b32_e32 v9, s13
	v_add_co_u32_e32 v12, vcc, s12, v6
	v_addc_co_u32_e32 v13, vcc, 0, v9, vcc
	flat_load_dword v6, v[12:13]
.LBB3301_17:
	s_or_b64 exec, exec, s[2:3]
	v_or_b32_e32 v9, 0x500, v0
	v_cmp_gt_u32_e32 vcc, s33, v9
	s_and_saveexec_b64 s[2:3], vcc
	s_cbranch_execz .LBB3301_19
; %bb.18:
	v_lshlrev_b32_e32 v7, 2, v9
	v_mov_b32_e32 v9, s13
	v_add_co_u32_e32 v12, vcc, s12, v7
	v_addc_co_u32_e32 v13, vcc, 0, v9, vcc
	flat_load_dword v7, v[12:13]
.LBB3301_19:
	;; [unrolled: 12-line block ×3, first 2 shown]
	s_or_b64 exec, exec, s[2:3]
	s_waitcnt vmcnt(0) lgkmcnt(0)
	ds_write2st64_b32 v1, v2, v3 offset1:4
	ds_write2st64_b32 v1, v4, v5 offset0:8 offset1:12
	ds_write2st64_b32 v1, v6, v7 offset0:16 offset1:20
	ds_write_b32 v1, v8 offset:6144
	s_waitcnt lgkmcnt(0)
	s_barrier
.LBB3301_22:
	v_mul_u32_u24_e32 v21, 7, v0
	v_lshlrev_b32_e32 v8, 2, v21
	ds_read2_b32 v[6:7], v8 offset1:1
	ds_read2_b32 v[4:5], v8 offset0:2 offset1:3
	ds_read2_b32 v[2:3], v8 offset0:4 offset1:5
	ds_read_b32 v20, v8 offset:24
	s_add_u32 s2, s6, s4
	s_addc_u32 s3, s7, s5
	s_add_u32 s2, s2, s8
	s_addc_u32 s3, s3, s9
	s_mov_b64 s[4:5], -1
	s_and_b64 vcc, exec, s[22:23]
	s_waitcnt lgkmcnt(0)
	s_barrier
	s_cbranch_vccz .LBB3301_24
; %bb.23:
	v_mov_b32_e32 v9, s3
	v_add_co_u32_e32 v12, vcc, s2, v1
	v_addc_co_u32_e32 v9, vcc, 0, v9, vcc
	s_movk_i32 s4, 0x1000
	v_add_co_u32_e32 v12, vcc, s4, v12
	global_load_dword v14, v1, s[2:3]
	global_load_dword v15, v1, s[2:3] offset:1024
	global_load_dword v16, v1, s[2:3] offset:2048
	;; [unrolled: 1-line block ×3, first 2 shown]
	v_addc_co_u32_e32 v13, vcc, 0, v9, vcc
	global_load_dword v9, v[12:13], off
	global_load_dword v18, v[12:13], off offset:1024
	global_load_dword v19, v[12:13], off offset:2048
	s_mov_b64 s[4:5], 0
	s_waitcnt vmcnt(6)
	v_xor_b32_e32 v12, -1, v14
	s_waitcnt vmcnt(5)
	v_xor_b32_e32 v13, -1, v15
	;; [unrolled: 2-line block ×4, first 2 shown]
	v_and_b32_e32 v12, 1, v12
	v_and_b32_e32 v13, 1, v13
	s_waitcnt vmcnt(2)
	v_xor_b32_e32 v9, -1, v9
	v_and_b32_e32 v14, 1, v14
	v_and_b32_e32 v15, 1, v15
	ds_write_b8 v0, v12
	ds_write_b8 v0, v13 offset:256
	ds_write_b8 v0, v14 offset:512
	;; [unrolled: 1-line block ×3, first 2 shown]
	s_waitcnt vmcnt(1)
	v_xor_b32_e32 v12, -1, v18
	s_waitcnt vmcnt(0)
	v_xor_b32_e32 v13, -1, v19
	v_and_b32_e32 v9, 1, v9
	v_and_b32_e32 v12, 1, v12
	;; [unrolled: 1-line block ×3, first 2 shown]
	ds_write_b8 v0, v9 offset:1024
	ds_write_b8 v0, v12 offset:1280
	;; [unrolled: 1-line block ×3, first 2 shown]
	s_waitcnt lgkmcnt(0)
	s_barrier
.LBB3301_24:
	s_andn2_b64 vcc, exec, s[4:5]
	s_cbranch_vccnz .LBB3301_40
; %bb.25:
	v_cmp_gt_u32_e32 vcc, s33, v0
	v_mov_b32_e32 v9, 0
	v_mov_b32_e32 v12, 0
	s_and_saveexec_b64 s[4:5], vcc
	s_cbranch_execz .LBB3301_27
; %bb.26:
	global_load_dword v12, v1, s[2:3]
	s_waitcnt vmcnt(0)
	v_xor_b32_e32 v12, -1, v12
	v_and_b32_e32 v12, 1, v12
.LBB3301_27:
	s_or_b64 exec, exec, s[4:5]
	v_or_b32_e32 v13, 0x100, v0
	v_cmp_gt_u32_e32 vcc, s33, v13
	s_and_saveexec_b64 s[4:5], vcc
	s_cbranch_execz .LBB3301_29
; %bb.28:
	global_load_dword v9, v1, s[2:3] offset:1024
	s_waitcnt vmcnt(0)
	v_xor_b32_e32 v9, -1, v9
	v_and_b32_e32 v9, 1, v9
.LBB3301_29:
	s_or_b64 exec, exec, s[4:5]
	v_or_b32_e32 v13, 0x200, v0
	v_cmp_gt_u32_e32 vcc, s33, v13
	v_mov_b32_e32 v13, 0
	v_mov_b32_e32 v14, 0
	s_and_saveexec_b64 s[4:5], vcc
	s_cbranch_execz .LBB3301_31
; %bb.30:
	global_load_dword v14, v1, s[2:3] offset:2048
	s_waitcnt vmcnt(0)
	v_xor_b32_e32 v14, -1, v14
	v_and_b32_e32 v14, 1, v14
.LBB3301_31:
	s_or_b64 exec, exec, s[4:5]
	v_or_b32_e32 v15, 0x300, v0
	v_cmp_gt_u32_e32 vcc, s33, v15
	s_and_saveexec_b64 s[4:5], vcc
	s_cbranch_execz .LBB3301_33
; %bb.32:
	global_load_dword v13, v1, s[2:3] offset:3072
	s_waitcnt vmcnt(0)
	v_xor_b32_e32 v13, -1, v13
	v_and_b32_e32 v13, 1, v13
.LBB3301_33:
	s_or_b64 exec, exec, s[4:5]
	v_or_b32_e32 v17, 0x400, v0
	v_cmp_gt_u32_e32 vcc, s33, v17
	v_mov_b32_e32 v15, 0
	v_mov_b32_e32 v16, 0
	s_and_saveexec_b64 s[4:5], vcc
	s_cbranch_execz .LBB3301_35
; %bb.34:
	v_lshlrev_b32_e32 v16, 2, v17
	global_load_dword v16, v16, s[2:3]
	s_waitcnt vmcnt(0)
	v_xor_b32_e32 v16, -1, v16
	v_and_b32_e32 v16, 1, v16
.LBB3301_35:
	s_or_b64 exec, exec, s[4:5]
	v_or_b32_e32 v17, 0x500, v0
	v_cmp_gt_u32_e32 vcc, s33, v17
	s_and_saveexec_b64 s[4:5], vcc
	s_cbranch_execz .LBB3301_37
; %bb.36:
	v_lshlrev_b32_e32 v15, 2, v17
	global_load_dword v15, v15, s[2:3]
	s_waitcnt vmcnt(0)
	v_xor_b32_e32 v15, -1, v15
	v_and_b32_e32 v15, 1, v15
.LBB3301_37:
	s_or_b64 exec, exec, s[4:5]
	v_or_b32_e32 v18, 0x600, v0
	v_cmp_gt_u32_e32 vcc, s33, v18
	v_mov_b32_e32 v17, 0
	s_and_saveexec_b64 s[4:5], vcc
	s_cbranch_execz .LBB3301_39
; %bb.38:
	v_lshlrev_b32_e32 v17, 2, v18
	global_load_dword v17, v17, s[2:3]
	s_waitcnt vmcnt(0)
	v_xor_b32_e32 v17, -1, v17
	v_and_b32_e32 v17, 1, v17
.LBB3301_39:
	s_or_b64 exec, exec, s[4:5]
	ds_write_b8 v0, v12
	ds_write_b8 v0, v9 offset:256
	ds_write_b8 v0, v14 offset:512
	;; [unrolled: 1-line block ×6, first 2 shown]
	s_waitcnt lgkmcnt(0)
	s_barrier
.LBB3301_40:
	s_movk_i32 s2, 0xffeb
	v_mad_i32_i24 v30, v0, s2, v8
	ds_read_u8 v8, v30
	ds_read_u8 v9, v30 offset:1
	ds_read_u8 v12, v30 offset:2
	;; [unrolled: 1-line block ×6, first 2 shown]
	s_waitcnt lgkmcnt(6)
	v_and_b32_e32 v28, 1, v8
	s_waitcnt lgkmcnt(5)
	v_and_b32_e32 v27, 1, v9
	;; [unrolled: 2-line block ×5, first 2 shown]
	v_add3_u32 v8, v27, v28, v26
	s_waitcnt lgkmcnt(1)
	v_and_b32_e32 v23, 1, v15
	s_waitcnt lgkmcnt(0)
	v_and_b32_e32 v22, 1, v16
	v_add3_u32 v8, v8, v25, v24
	v_add3_u32 v32, v8, v23, v22
	v_mbcnt_lo_u32_b32 v8, -1, 0
	v_mbcnt_hi_u32_b32 v29, -1, v8
	v_and_b32_e32 v8, 15, v29
	v_cmp_eq_u32_e64 s[14:15], 0, v8
	v_cmp_lt_u32_e64 s[12:13], 1, v8
	v_cmp_lt_u32_e64 s[10:11], 3, v8
	;; [unrolled: 1-line block ×3, first 2 shown]
	v_and_b32_e32 v8, 16, v29
	v_cmp_eq_u32_e64 s[6:7], 0, v8
	v_or_b32_e32 v8, 63, v0
	s_cmp_lg_u32 s36, 0
	v_cmp_lt_u32_e64 s[2:3], 31, v29
	v_lshrrev_b32_e32 v31, 6, v0
	v_cmp_eq_u32_e64 s[4:5], v8, v0
	s_barrier
	s_cbranch_scc0 .LBB3301_71
; %bb.41:
	v_mov_b32_dpp v8, v32 row_shr:1 row_mask:0xf bank_mask:0xf
	v_cndmask_b32_e64 v8, v8, 0, s[14:15]
	v_add_u32_e32 v8, v8, v32
	s_nop 1
	v_mov_b32_dpp v9, v8 row_shr:2 row_mask:0xf bank_mask:0xf
	v_cndmask_b32_e64 v9, 0, v9, s[12:13]
	v_add_u32_e32 v8, v8, v9
	s_nop 1
	;; [unrolled: 4-line block ×4, first 2 shown]
	v_mov_b32_dpp v9, v8 row_bcast:15 row_mask:0xf bank_mask:0xf
	v_cndmask_b32_e64 v9, v9, 0, s[6:7]
	v_add_u32_e32 v8, v8, v9
	s_nop 1
	v_mov_b32_dpp v9, v8 row_bcast:31 row_mask:0xf bank_mask:0xf
	v_cndmask_b32_e64 v9, 0, v9, s[2:3]
	v_add_u32_e32 v8, v8, v9
	s_and_saveexec_b64 s[16:17], s[4:5]
	s_cbranch_execz .LBB3301_43
; %bb.42:
	v_lshlrev_b32_e32 v9, 2, v31
	ds_write_b32 v9, v8
.LBB3301_43:
	s_or_b64 exec, exec, s[16:17]
	v_cmp_gt_u32_e32 vcc, 4, v0
	s_waitcnt lgkmcnt(0)
	s_barrier
	s_and_saveexec_b64 s[16:17], vcc
	s_cbranch_execz .LBB3301_45
; %bb.44:
	ds_read_b32 v9, v1
	v_and_b32_e32 v12, 3, v29
	v_cmp_ne_u32_e32 vcc, 0, v12
	s_waitcnt lgkmcnt(0)
	v_mov_b32_dpp v13, v9 row_shr:1 row_mask:0xf bank_mask:0xf
	v_cndmask_b32_e32 v13, 0, v13, vcc
	v_add_u32_e32 v9, v13, v9
	v_cmp_lt_u32_e32 vcc, 1, v12
	s_nop 0
	v_mov_b32_dpp v13, v9 row_shr:2 row_mask:0xf bank_mask:0xf
	v_cndmask_b32_e32 v12, 0, v13, vcc
	v_add_u32_e32 v9, v9, v12
	ds_write_b32 v1, v9
.LBB3301_45:
	s_or_b64 exec, exec, s[16:17]
	v_cmp_gt_u32_e32 vcc, 64, v0
	v_cmp_lt_u32_e64 s[16:17], 63, v0
	s_waitcnt lgkmcnt(0)
	s_barrier
	s_waitcnt lgkmcnt(0)
                                        ; implicit-def: $vgpr33
	s_and_saveexec_b64 s[28:29], s[16:17]
	s_cbranch_execz .LBB3301_47
; %bb.46:
	v_lshl_add_u32 v9, v31, 2, -4
	ds_read_b32 v33, v9
	s_waitcnt lgkmcnt(0)
	v_add_u32_e32 v8, v33, v8
.LBB3301_47:
	s_or_b64 exec, exec, s[28:29]
	v_add_u32_e32 v9, -1, v29
	v_and_b32_e32 v12, 64, v29
	v_cmp_lt_i32_e64 s[16:17], v9, v12
	v_cndmask_b32_e64 v9, v9, v29, s[16:17]
	v_lshlrev_b32_e32 v9, 2, v9
	ds_bpermute_b32 v34, v9, v8
	v_cmp_eq_u32_e64 s[16:17], 0, v29
	s_and_saveexec_b64 s[28:29], vcc
	s_cbranch_execz .LBB3301_70
; %bb.48:
	v_mov_b32_e32 v19, 0
	ds_read_b32 v8, v19 offset:12
	s_and_saveexec_b64 s[30:31], s[16:17]
	s_cbranch_execz .LBB3301_50
; %bb.49:
	s_add_i32 s34, s36, 64
	s_mov_b32 s35, 0
	s_lshl_b64 s[34:35], s[34:35], 3
	s_add_u32 s34, s26, s34
	v_mov_b32_e32 v9, 1
	s_addc_u32 s35, s27, s35
	s_waitcnt lgkmcnt(0)
	global_store_dwordx2 v19, v[8:9], s[34:35]
.LBB3301_50:
	s_or_b64 exec, exec, s[30:31]
	v_xad_u32 v12, v29, -1, s36
	v_add_u32_e32 v18, 64, v12
	v_lshlrev_b64 v[14:15], 3, v[18:19]
	v_mov_b32_e32 v9, s27
	v_add_co_u32_e32 v14, vcc, s26, v14
	v_addc_co_u32_e32 v15, vcc, v9, v15, vcc
	global_load_dwordx2 v[16:17], v[14:15], off glc
	s_waitcnt vmcnt(0)
	v_cmp_eq_u16_sdwa s[34:35], v17, v19 src0_sel:BYTE_0 src1_sel:DWORD
	s_and_saveexec_b64 s[30:31], s[34:35]
	s_cbranch_execz .LBB3301_56
; %bb.51:
	s_mov_b32 s37, 1
	s_mov_b64 s[34:35], 0
	v_mov_b32_e32 v9, 0
.LBB3301_52:                            ; =>This Loop Header: Depth=1
                                        ;     Child Loop BB3301_53 Depth 2
	s_max_u32 s38, s37, 1
.LBB3301_53:                            ;   Parent Loop BB3301_52 Depth=1
                                        ; =>  This Inner Loop Header: Depth=2
	s_add_i32 s38, s38, -1
	s_cmp_eq_u32 s38, 0
	s_sleep 1
	s_cbranch_scc0 .LBB3301_53
; %bb.54:                               ;   in Loop: Header=BB3301_52 Depth=1
	global_load_dwordx2 v[16:17], v[14:15], off glc
	s_cmp_lt_u32 s37, 32
	s_cselect_b64 s[38:39], -1, 0
	s_cmp_lg_u64 s[38:39], 0
	s_addc_u32 s37, s37, 0
	s_waitcnt vmcnt(0)
	v_cmp_ne_u16_sdwa s[38:39], v17, v9 src0_sel:BYTE_0 src1_sel:DWORD
	s_or_b64 s[34:35], s[38:39], s[34:35]
	s_andn2_b64 exec, exec, s[34:35]
	s_cbranch_execnz .LBB3301_52
; %bb.55:
	s_or_b64 exec, exec, s[34:35]
.LBB3301_56:
	s_or_b64 exec, exec, s[30:31]
	v_and_b32_e32 v36, 63, v29
	v_mov_b32_e32 v35, 2
	v_cmp_ne_u32_e32 vcc, 63, v36
	v_cmp_eq_u16_sdwa s[30:31], v17, v35 src0_sel:BYTE_0 src1_sel:DWORD
	v_lshlrev_b64 v[14:15], v29, -1
	v_addc_co_u32_e32 v18, vcc, 0, v29, vcc
	v_and_b32_e32 v9, s31, v15
	v_lshlrev_b32_e32 v37, 2, v18
	v_or_b32_e32 v9, 0x80000000, v9
	ds_bpermute_b32 v18, v37, v16
	v_and_b32_e32 v13, s30, v14
	v_ffbl_b32_e32 v9, v9
	v_add_u32_e32 v9, 32, v9
	v_ffbl_b32_e32 v13, v13
	v_min_u32_e32 v9, v13, v9
	v_cmp_lt_u32_e32 vcc, v36, v9
	s_waitcnt lgkmcnt(0)
	v_cndmask_b32_e32 v13, 0, v18, vcc
	v_cmp_gt_u32_e32 vcc, 62, v36
	v_add_u32_e32 v13, v13, v16
	v_cndmask_b32_e64 v16, 0, 1, vcc
	v_lshlrev_b32_e32 v16, 1, v16
	v_add_lshl_u32 v38, v16, v29, 2
	ds_bpermute_b32 v16, v38, v13
	v_add_u32_e32 v39, 2, v36
	v_cmp_le_u32_e32 vcc, v39, v9
	v_add_u32_e32 v41, 4, v36
	v_add_u32_e32 v43, 8, v36
	s_waitcnt lgkmcnt(0)
	v_cndmask_b32_e32 v16, 0, v16, vcc
	v_cmp_gt_u32_e32 vcc, 60, v36
	v_add_u32_e32 v13, v13, v16
	v_cndmask_b32_e64 v16, 0, 1, vcc
	v_lshlrev_b32_e32 v16, 2, v16
	v_add_lshl_u32 v40, v16, v29, 2
	ds_bpermute_b32 v16, v40, v13
	v_cmp_le_u32_e32 vcc, v41, v9
	v_add_u32_e32 v45, 16, v36
	v_add_u32_e32 v47, 32, v36
	s_waitcnt lgkmcnt(0)
	v_cndmask_b32_e32 v16, 0, v16, vcc
	v_cmp_gt_u32_e32 vcc, 56, v36
	v_add_u32_e32 v13, v13, v16
	v_cndmask_b32_e64 v16, 0, 1, vcc
	v_lshlrev_b32_e32 v16, 3, v16
	v_add_lshl_u32 v42, v16, v29, 2
	ds_bpermute_b32 v16, v42, v13
	v_cmp_le_u32_e32 vcc, v43, v9
	s_waitcnt lgkmcnt(0)
	v_cndmask_b32_e32 v16, 0, v16, vcc
	v_cmp_gt_u32_e32 vcc, 48, v36
	v_add_u32_e32 v13, v13, v16
	v_cndmask_b32_e64 v16, 0, 1, vcc
	v_lshlrev_b32_e32 v16, 4, v16
	v_add_lshl_u32 v44, v16, v29, 2
	ds_bpermute_b32 v16, v44, v13
	v_cmp_le_u32_e32 vcc, v45, v9
	;; [unrolled: 9-line block ×3, first 2 shown]
	s_waitcnt lgkmcnt(0)
	v_cndmask_b32_e32 v9, 0, v16, vcc
	v_add_u32_e32 v16, v13, v9
	v_mov_b32_e32 v13, 0
	s_branch .LBB3301_58
.LBB3301_57:                            ;   in Loop: Header=BB3301_58 Depth=1
	s_or_b64 exec, exec, s[30:31]
	v_cmp_eq_u16_sdwa s[30:31], v17, v35 src0_sel:BYTE_0 src1_sel:DWORD
	v_and_b32_e32 v18, s31, v15
	v_or_b32_e32 v18, 0x80000000, v18
	ds_bpermute_b32 v48, v37, v16
	v_and_b32_e32 v19, s30, v14
	v_ffbl_b32_e32 v18, v18
	v_add_u32_e32 v18, 32, v18
	v_ffbl_b32_e32 v19, v19
	v_min_u32_e32 v18, v19, v18
	v_cmp_lt_u32_e32 vcc, v36, v18
	s_waitcnt lgkmcnt(0)
	v_cndmask_b32_e32 v19, 0, v48, vcc
	v_add_u32_e32 v16, v19, v16
	ds_bpermute_b32 v19, v38, v16
	v_cmp_le_u32_e32 vcc, v39, v18
	v_subrev_u32_e32 v12, 64, v12
	s_waitcnt lgkmcnt(0)
	v_cndmask_b32_e32 v19, 0, v19, vcc
	v_add_u32_e32 v16, v16, v19
	ds_bpermute_b32 v19, v40, v16
	v_cmp_le_u32_e32 vcc, v41, v18
	s_waitcnt lgkmcnt(0)
	v_cndmask_b32_e32 v19, 0, v19, vcc
	v_add_u32_e32 v16, v16, v19
	ds_bpermute_b32 v19, v42, v16
	v_cmp_le_u32_e32 vcc, v43, v18
	;; [unrolled: 5-line block ×4, first 2 shown]
	s_waitcnt lgkmcnt(0)
	v_cndmask_b32_e32 v18, 0, v19, vcc
	v_add3_u32 v16, v18, v9, v16
.LBB3301_58:                            ; =>This Loop Header: Depth=1
                                        ;     Child Loop BB3301_61 Depth 2
                                        ;       Child Loop BB3301_62 Depth 3
	v_cmp_ne_u16_sdwa s[30:31], v17, v35 src0_sel:BYTE_0 src1_sel:DWORD
	v_cndmask_b32_e64 v9, 0, 1, s[30:31]
	;;#ASMSTART
	;;#ASMEND
	v_cmp_ne_u32_e32 vcc, 0, v9
	s_cmp_lg_u64 vcc, exec
	v_mov_b32_e32 v9, v16
	s_cbranch_scc1 .LBB3301_65
; %bb.59:                               ;   in Loop: Header=BB3301_58 Depth=1
	v_lshlrev_b64 v[16:17], 3, v[12:13]
	v_mov_b32_e32 v19, s27
	v_add_co_u32_e32 v18, vcc, s26, v16
	v_addc_co_u32_e32 v19, vcc, v19, v17, vcc
	global_load_dwordx2 v[16:17], v[18:19], off glc
	s_waitcnt vmcnt(0)
	v_cmp_eq_u16_sdwa s[34:35], v17, v13 src0_sel:BYTE_0 src1_sel:DWORD
	s_and_saveexec_b64 s[30:31], s[34:35]
	s_cbranch_execz .LBB3301_57
; %bb.60:                               ;   in Loop: Header=BB3301_58 Depth=1
	s_mov_b32 s37, 1
	s_mov_b64 s[34:35], 0
.LBB3301_61:                            ;   Parent Loop BB3301_58 Depth=1
                                        ; =>  This Loop Header: Depth=2
                                        ;       Child Loop BB3301_62 Depth 3
	s_max_u32 s38, s37, 1
.LBB3301_62:                            ;   Parent Loop BB3301_58 Depth=1
                                        ;     Parent Loop BB3301_61 Depth=2
                                        ; =>    This Inner Loop Header: Depth=3
	s_add_i32 s38, s38, -1
	s_cmp_eq_u32 s38, 0
	s_sleep 1
	s_cbranch_scc0 .LBB3301_62
; %bb.63:                               ;   in Loop: Header=BB3301_61 Depth=2
	global_load_dwordx2 v[16:17], v[18:19], off glc
	s_cmp_lt_u32 s37, 32
	s_cselect_b64 s[38:39], -1, 0
	s_cmp_lg_u64 s[38:39], 0
	s_addc_u32 s37, s37, 0
	s_waitcnt vmcnt(0)
	v_cmp_ne_u16_sdwa s[38:39], v17, v13 src0_sel:BYTE_0 src1_sel:DWORD
	s_or_b64 s[34:35], s[38:39], s[34:35]
	s_andn2_b64 exec, exec, s[34:35]
	s_cbranch_execnz .LBB3301_61
; %bb.64:                               ;   in Loop: Header=BB3301_58 Depth=1
	s_or_b64 exec, exec, s[34:35]
	s_branch .LBB3301_57
.LBB3301_65:                            ;   in Loop: Header=BB3301_58 Depth=1
                                        ; implicit-def: $vgpr16
                                        ; implicit-def: $vgpr17
	s_cbranch_execz .LBB3301_58
; %bb.66:
	s_and_saveexec_b64 s[30:31], s[16:17]
	s_cbranch_execz .LBB3301_68
; %bb.67:
	s_add_i32 s34, s36, 64
	s_mov_b32 s35, 0
	s_lshl_b64 s[34:35], s[34:35], 3
	s_add_u32 s34, s26, s34
	v_add_u32_e32 v12, v9, v8
	v_mov_b32_e32 v13, 2
	s_addc_u32 s35, s27, s35
	v_mov_b32_e32 v14, 0
	global_store_dwordx2 v14, v[12:13], s[34:35]
	ds_write_b64 v14, v[8:9] offset:7168
.LBB3301_68:
	s_or_b64 exec, exec, s[30:31]
	s_and_b64 exec, exec, s[0:1]
	s_cbranch_execz .LBB3301_70
; %bb.69:
	v_mov_b32_e32 v8, 0
	ds_write_b32 v8, v9 offset:12
.LBB3301_70:
	s_or_b64 exec, exec, s[28:29]
	v_mov_b32_e32 v8, 0
	s_waitcnt lgkmcnt(0)
	s_barrier
	ds_read_b32 v9, v8 offset:12
	v_cndmask_b32_e64 v12, v34, v33, s[16:17]
	v_cndmask_b32_e64 v12, v12, 0, s[0:1]
	s_waitcnt lgkmcnt(0)
	s_barrier
	v_add_u32_e32 v19, v9, v12
	v_add_u32_e32 v18, v19, v28
	ds_read_b64 v[8:9], v8 offset:7168
	v_add_u32_e32 v17, v18, v27
	v_add_u32_e32 v15, v17, v26
	;; [unrolled: 1-line block ×5, first 2 shown]
	s_waitcnt lgkmcnt(0)
	v_mov_b32_e32 v12, v9
	s_branch .LBB3301_81
.LBB3301_71:
                                        ; implicit-def: $vgpr12
                                        ; implicit-def: $vgpr8
                                        ; implicit-def: $vgpr13
                                        ; implicit-def: $vgpr14
                                        ; implicit-def: $vgpr16
                                        ; implicit-def: $vgpr15
                                        ; implicit-def: $vgpr17
                                        ; implicit-def: $vgpr18
                                        ; implicit-def: $vgpr19
	s_cbranch_execz .LBB3301_81
; %bb.72:
	s_nop 0
	v_mov_b32_dpp v8, v32 row_shr:1 row_mask:0xf bank_mask:0xf
	v_cndmask_b32_e64 v8, v8, 0, s[14:15]
	v_add_u32_e32 v8, v8, v32
	s_nop 1
	v_mov_b32_dpp v9, v8 row_shr:2 row_mask:0xf bank_mask:0xf
	v_cndmask_b32_e64 v9, 0, v9, s[12:13]
	v_add_u32_e32 v8, v8, v9
	;; [unrolled: 4-line block ×4, first 2 shown]
	s_nop 1
	v_mov_b32_dpp v9, v8 row_bcast:15 row_mask:0xf bank_mask:0xf
	v_cndmask_b32_e64 v9, v9, 0, s[6:7]
	v_add_u32_e32 v8, v8, v9
	s_nop 1
	v_mov_b32_dpp v9, v8 row_bcast:31 row_mask:0xf bank_mask:0xf
	v_cndmask_b32_e64 v9, 0, v9, s[2:3]
	v_add_u32_e32 v8, v8, v9
	s_and_saveexec_b64 s[2:3], s[4:5]
	s_cbranch_execz .LBB3301_74
; %bb.73:
	v_lshlrev_b32_e32 v9, 2, v31
	ds_write_b32 v9, v8
.LBB3301_74:
	s_or_b64 exec, exec, s[2:3]
	v_cmp_gt_u32_e32 vcc, 4, v0
	s_waitcnt lgkmcnt(0)
	s_barrier
	s_and_saveexec_b64 s[2:3], vcc
	s_cbranch_execz .LBB3301_76
; %bb.75:
	v_mad_i32_i24 v9, v0, -3, v30
	ds_read_b32 v12, v9
	v_and_b32_e32 v13, 3, v29
	v_cmp_ne_u32_e32 vcc, 0, v13
	s_waitcnt lgkmcnt(0)
	v_mov_b32_dpp v14, v12 row_shr:1 row_mask:0xf bank_mask:0xf
	v_cndmask_b32_e32 v14, 0, v14, vcc
	v_add_u32_e32 v12, v14, v12
	v_cmp_lt_u32_e32 vcc, 1, v13
	s_nop 0
	v_mov_b32_dpp v14, v12 row_shr:2 row_mask:0xf bank_mask:0xf
	v_cndmask_b32_e32 v13, 0, v14, vcc
	v_add_u32_e32 v12, v12, v13
	ds_write_b32 v9, v12
.LBB3301_76:
	s_or_b64 exec, exec, s[2:3]
	v_cmp_lt_u32_e32 vcc, 63, v0
	v_mov_b32_e32 v9, 0
	v_mov_b32_e32 v12, 0
	s_waitcnt lgkmcnt(0)
	s_barrier
	s_and_saveexec_b64 s[2:3], vcc
	s_cbranch_execz .LBB3301_78
; %bb.77:
	v_lshl_add_u32 v12, v31, 2, -4
	ds_read_b32 v12, v12
.LBB3301_78:
	s_or_b64 exec, exec, s[2:3]
	v_add_u32_e32 v13, -1, v29
	v_and_b32_e32 v14, 64, v29
	v_cmp_lt_i32_e32 vcc, v13, v14
	v_cndmask_b32_e32 v13, v13, v29, vcc
	s_waitcnt lgkmcnt(0)
	v_add_u32_e32 v8, v12, v8
	v_lshlrev_b32_e32 v13, 2, v13
	ds_bpermute_b32 v13, v13, v8
	ds_read_b32 v8, v9 offset:12
	s_and_saveexec_b64 s[2:3], s[0:1]
	s_cbranch_execz .LBB3301_80
; %bb.79:
	v_mov_b32_e32 v14, 0
	v_mov_b32_e32 v9, 2
	s_waitcnt lgkmcnt(0)
	global_store_dwordx2 v14, v[8:9], s[26:27] offset:512
.LBB3301_80:
	s_or_b64 exec, exec, s[2:3]
	v_cmp_eq_u32_e32 vcc, 0, v29
	s_waitcnt lgkmcnt(1)
	v_cndmask_b32_e32 v9, v13, v12, vcc
	v_cndmask_b32_e64 v19, v9, 0, s[0:1]
	v_add_u32_e32 v18, v19, v28
	v_add_u32_e32 v17, v18, v27
	;; [unrolled: 1-line block ×5, first 2 shown]
	v_mov_b32_e32 v12, 0
	v_add_u32_e32 v13, v14, v23
	s_waitcnt lgkmcnt(0)
	s_barrier
.LBB3301_81:
	v_add_u32_e32 v9, v8, v21
	v_sub_u32_e32 v19, v19, v12
	v_sub_u32_e32 v21, v9, v19
	v_cmp_eq_u32_e32 vcc, 1, v28
	v_cndmask_b32_e32 v19, v21, v19, vcc
	v_lshlrev_b32_e32 v19, 2, v19
	ds_write_b32 v19, v6
	v_sub_u32_e32 v6, v18, v12
	v_sub_u32_e32 v18, v9, v6
	v_add_u32_e32 v18, 1, v18
	v_cmp_eq_u32_e32 vcc, 1, v27
	v_cndmask_b32_e32 v6, v18, v6, vcc
	v_lshlrev_b32_e32 v6, 2, v6
	ds_write_b32 v6, v7
	v_sub_u32_e32 v6, v17, v12
	v_sub_u32_e32 v7, v9, v6
	v_add_u32_e32 v7, 2, v7
	;; [unrolled: 7-line block ×6, first 2 shown]
	v_cmp_eq_u32_e32 vcc, 1, v22
	v_cndmask_b32_e32 v2, v3, v2, vcc
	v_lshlrev_b32_e32 v2, 2, v2
	ds_write_b32 v2, v20
	s_waitcnt lgkmcnt(0)
	s_barrier
	ds_read2st64_b32 v[14:15], v1 offset1:4
	ds_read2st64_b32 v[6:7], v1 offset0:8 offset1:12
	ds_read2st64_b32 v[2:3], v1 offset0:16 offset1:20
	ds_read_b32 v9, v1 offset:6144
	v_or_b32_e32 v23, 0x100, v0
	v_or_b32_e32 v22, 0x200, v0
	;; [unrolled: 1-line block ×6, first 2 shown]
	s_andn2_b64 vcc, exec, s[22:23]
	s_waitcnt vmcnt(0)
	v_lshlrev_b64 v[16:17], 2, v[10:11]
	s_cbranch_vccnz .LBB3301_90
; %bb.82:
	v_mov_b32_e32 v13, 0
	v_mov_b32_e32 v4, s25
	v_add_co_u32_e32 v24, vcc, s24, v16
	v_addc_co_u32_e32 v25, vcc, v4, v17, vcc
	v_lshlrev_b64 v[4:5], 2, v[12:13]
	v_add_co_u32_e32 v4, vcc, v24, v4
	v_addc_co_u32_e32 v5, vcc, v25, v5, vcc
	v_cmp_gt_u32_e32 vcc, v8, v0
	s_and_saveexec_b64 s[2:3], vcc
	s_cbranch_execnz .LBB3301_104
; %bb.83:
	s_or_b64 exec, exec, s[2:3]
	v_cmp_lt_u32_e32 vcc, v23, v8
	s_and_saveexec_b64 s[2:3], vcc
	s_cbranch_execnz .LBB3301_105
.LBB3301_84:
	s_or_b64 exec, exec, s[2:3]
	v_cmp_lt_u32_e32 vcc, v22, v8
	s_and_saveexec_b64 s[2:3], vcc
	s_cbranch_execnz .LBB3301_106
.LBB3301_85:
	s_or_b64 exec, exec, s[2:3]
	v_cmp_lt_u32_e32 vcc, v21, v8
	s_and_saveexec_b64 s[2:3], vcc
	s_cbranch_execnz .LBB3301_107
.LBB3301_86:
	s_or_b64 exec, exec, s[2:3]
	v_cmp_lt_u32_e32 vcc, v20, v8
	s_and_saveexec_b64 s[2:3], vcc
	s_cbranch_execnz .LBB3301_108
.LBB3301_87:
	s_or_b64 exec, exec, s[2:3]
	v_cmp_lt_u32_e32 vcc, v19, v8
	s_and_saveexec_b64 s[2:3], vcc
	s_cbranch_execz .LBB3301_89
.LBB3301_88:
	v_lshlrev_b32_e32 v13, 2, v19
	v_readfirstlane_b32 s4, v4
	v_readfirstlane_b32 s5, v5
	s_waitcnt lgkmcnt(1)
	s_nop 3
	global_store_dword v13, v3, s[4:5]
.LBB3301_89:
	s_or_b64 exec, exec, s[2:3]
	v_cmp_lt_u32_e64 s[2:3], v18, v8
	s_branch .LBB3301_99
.LBB3301_90:
	s_mov_b64 s[2:3], 0
                                        ; implicit-def: $vgpr4_vgpr5
	s_cbranch_execz .LBB3301_99
; %bb.91:
	v_mov_b32_e32 v13, 0
	v_mov_b32_e32 v4, s25
	v_add_co_u32_e32 v16, vcc, s24, v16
	v_addc_co_u32_e32 v17, vcc, v4, v17, vcc
	v_lshlrev_b64 v[4:5], 2, v[12:13]
	v_add_co_u32_e32 v4, vcc, v16, v4
	v_min_u32_e32 v24, s33, v8
	v_addc_co_u32_e32 v5, vcc, v17, v5, vcc
	v_cmp_gt_u32_e32 vcc, v24, v0
	s_and_saveexec_b64 s[2:3], vcc
	s_cbranch_execnz .LBB3301_109
; %bb.92:
	s_or_b64 exec, exec, s[2:3]
	v_cmp_lt_u32_e32 vcc, v23, v24
	s_and_saveexec_b64 s[2:3], vcc
	s_cbranch_execnz .LBB3301_110
.LBB3301_93:
	s_or_b64 exec, exec, s[2:3]
	v_cmp_lt_u32_e32 vcc, v22, v24
	s_and_saveexec_b64 s[2:3], vcc
	s_cbranch_execnz .LBB3301_111
.LBB3301_94:
	s_or_b64 exec, exec, s[2:3]
	v_cmp_lt_u32_e32 vcc, v21, v24
	s_and_saveexec_b64 s[2:3], vcc
	s_cbranch_execnz .LBB3301_112
.LBB3301_95:
	s_or_b64 exec, exec, s[2:3]
	v_cmp_lt_u32_e32 vcc, v20, v24
	s_and_saveexec_b64 s[2:3], vcc
	s_cbranch_execnz .LBB3301_113
.LBB3301_96:
	s_or_b64 exec, exec, s[2:3]
	v_cmp_lt_u32_e32 vcc, v19, v24
	s_and_saveexec_b64 s[2:3], vcc
	s_cbranch_execz .LBB3301_98
.LBB3301_97:
	v_lshlrev_b32_e32 v0, 2, v19
	v_readfirstlane_b32 s4, v4
	v_readfirstlane_b32 s5, v5
	s_waitcnt lgkmcnt(1)
	s_nop 3
	global_store_dword v0, v3, s[4:5]
.LBB3301_98:
	s_or_b64 exec, exec, s[2:3]
	v_cmp_lt_u32_e64 s[2:3], v18, v24
.LBB3301_99:
	s_and_saveexec_b64 s[4:5], s[2:3]
	s_cbranch_execnz .LBB3301_102
; %bb.100:
	s_or_b64 exec, exec, s[4:5]
	s_and_b64 s[0:1], s[0:1], s[18:19]
	s_and_saveexec_b64 s[2:3], s[0:1]
	s_cbranch_execnz .LBB3301_103
.LBB3301_101:
	s_endpgm
.LBB3301_102:
	v_lshlrev_b32_e32 v0, 2, v18
	v_readfirstlane_b32 s2, v4
	v_readfirstlane_b32 s3, v5
	s_waitcnt lgkmcnt(0)
	s_nop 3
	global_store_dword v0, v9, s[2:3]
	s_or_b64 exec, exec, s[4:5]
	s_and_b64 s[0:1], s[0:1], s[18:19]
	s_and_saveexec_b64 s[2:3], s[0:1]
	s_cbranch_execz .LBB3301_101
.LBB3301_103:
	v_add_co_u32_e32 v0, vcc, v10, v8
	v_addc_co_u32_e32 v1, vcc, 0, v11, vcc
	v_add_co_u32_e32 v0, vcc, v0, v12
	s_waitcnt lgkmcnt(1)
	v_mov_b32_e32 v2, 0
	v_addc_co_u32_e32 v1, vcc, 0, v1, vcc
	global_store_dwordx2 v2, v[0:1], s[20:21]
	s_endpgm
.LBB3301_104:
	v_readfirstlane_b32 s4, v4
	v_readfirstlane_b32 s5, v5
	s_waitcnt lgkmcnt(3)
	s_nop 3
	global_store_dword v1, v14, s[4:5]
	s_or_b64 exec, exec, s[2:3]
	v_cmp_lt_u32_e32 vcc, v23, v8
	s_and_saveexec_b64 s[2:3], vcc
	s_cbranch_execz .LBB3301_84
.LBB3301_105:
	v_readfirstlane_b32 s4, v4
	v_readfirstlane_b32 s5, v5
	s_waitcnt lgkmcnt(3)
	s_nop 3
	global_store_dword v1, v15, s[4:5] offset:1024
	s_or_b64 exec, exec, s[2:3]
	v_cmp_lt_u32_e32 vcc, v22, v8
	s_and_saveexec_b64 s[2:3], vcc
	s_cbranch_execz .LBB3301_85
.LBB3301_106:
	v_readfirstlane_b32 s4, v4
	v_readfirstlane_b32 s5, v5
	s_waitcnt lgkmcnt(2)
	s_nop 3
	global_store_dword v1, v6, s[4:5] offset:2048
	s_or_b64 exec, exec, s[2:3]
	v_cmp_lt_u32_e32 vcc, v21, v8
	s_and_saveexec_b64 s[2:3], vcc
	s_cbranch_execz .LBB3301_86
.LBB3301_107:
	v_readfirstlane_b32 s4, v4
	v_readfirstlane_b32 s5, v5
	s_waitcnt lgkmcnt(2)
	s_nop 3
	global_store_dword v1, v7, s[4:5] offset:3072
	s_or_b64 exec, exec, s[2:3]
	v_cmp_lt_u32_e32 vcc, v20, v8
	s_and_saveexec_b64 s[2:3], vcc
	s_cbranch_execz .LBB3301_87
.LBB3301_108:
	v_lshlrev_b32_e32 v13, 2, v20
	v_readfirstlane_b32 s4, v4
	v_readfirstlane_b32 s5, v5
	s_waitcnt lgkmcnt(1)
	s_nop 3
	global_store_dword v13, v2, s[4:5]
	s_or_b64 exec, exec, s[2:3]
	v_cmp_lt_u32_e32 vcc, v19, v8
	s_and_saveexec_b64 s[2:3], vcc
	s_cbranch_execnz .LBB3301_88
	s_branch .LBB3301_89
.LBB3301_109:
	v_readfirstlane_b32 s4, v4
	v_readfirstlane_b32 s5, v5
	s_waitcnt lgkmcnt(3)
	s_nop 3
	global_store_dword v1, v14, s[4:5]
	s_or_b64 exec, exec, s[2:3]
	v_cmp_lt_u32_e32 vcc, v23, v24
	s_and_saveexec_b64 s[2:3], vcc
	s_cbranch_execz .LBB3301_93
.LBB3301_110:
	v_readfirstlane_b32 s4, v4
	v_readfirstlane_b32 s5, v5
	s_waitcnt lgkmcnt(3)
	s_nop 3
	global_store_dword v1, v15, s[4:5] offset:1024
	s_or_b64 exec, exec, s[2:3]
	v_cmp_lt_u32_e32 vcc, v22, v24
	s_and_saveexec_b64 s[2:3], vcc
	s_cbranch_execz .LBB3301_94
.LBB3301_111:
	v_readfirstlane_b32 s4, v4
	v_readfirstlane_b32 s5, v5
	s_waitcnt lgkmcnt(2)
	s_nop 3
	global_store_dword v1, v6, s[4:5] offset:2048
	s_or_b64 exec, exec, s[2:3]
	v_cmp_lt_u32_e32 vcc, v21, v24
	s_and_saveexec_b64 s[2:3], vcc
	s_cbranch_execz .LBB3301_95
.LBB3301_112:
	v_readfirstlane_b32 s4, v4
	v_readfirstlane_b32 s5, v5
	s_waitcnt lgkmcnt(2)
	s_nop 3
	global_store_dword v1, v7, s[4:5] offset:3072
	s_or_b64 exec, exec, s[2:3]
	v_cmp_lt_u32_e32 vcc, v20, v24
	s_and_saveexec_b64 s[2:3], vcc
	s_cbranch_execz .LBB3301_96
.LBB3301_113:
	v_lshlrev_b32_e32 v0, 2, v20
	v_readfirstlane_b32 s4, v4
	v_readfirstlane_b32 s5, v5
	s_waitcnt lgkmcnt(1)
	s_nop 3
	global_store_dword v0, v2, s[4:5]
	s_or_b64 exec, exec, s[2:3]
	v_cmp_lt_u32_e32 vcc, v19, v24
	s_and_saveexec_b64 s[2:3], vcc
	s_cbranch_execnz .LBB3301_97
	s_branch .LBB3301_98
	.section	.rodata,"a",@progbits
	.p2align	6, 0x0
	.amdhsa_kernel _ZN7rocprim17ROCPRIM_400000_NS6detail17trampoline_kernelINS0_14default_configENS1_25partition_config_selectorILNS1_17partition_subalgoE1EiNS0_10empty_typeEbEEZZNS1_14partition_implILS5_1ELb0ES3_jN6thrust23THRUST_200600_302600_NS6detail15normal_iteratorINSA_10device_ptrIiEEEEPS6_NSA_18transform_iteratorI7is_evenIiESF_NSA_11use_defaultESK_EENS0_5tupleIJSF_NSA_16discard_iteratorISK_EEEEENSM_IJSG_SG_EEES6_PlJS6_EEE10hipError_tPvRmT3_T4_T5_T6_T7_T9_mT8_P12ihipStream_tbDpT10_ENKUlT_T0_E_clISt17integral_constantIbLb1EES1B_EEDaS16_S17_EUlS16_E_NS1_11comp_targetILNS1_3genE4ELNS1_11target_archE910ELNS1_3gpuE8ELNS1_3repE0EEENS1_30default_config_static_selectorELNS0_4arch9wavefront6targetE1EEEvT1_
		.amdhsa_group_segment_fixed_size 7176
		.amdhsa_private_segment_fixed_size 0
		.amdhsa_kernarg_size 152
		.amdhsa_user_sgpr_count 6
		.amdhsa_user_sgpr_private_segment_buffer 1
		.amdhsa_user_sgpr_dispatch_ptr 0
		.amdhsa_user_sgpr_queue_ptr 0
		.amdhsa_user_sgpr_kernarg_segment_ptr 1
		.amdhsa_user_sgpr_dispatch_id 0
		.amdhsa_user_sgpr_flat_scratch_init 0
		.amdhsa_user_sgpr_kernarg_preload_length 0
		.amdhsa_user_sgpr_kernarg_preload_offset 0
		.amdhsa_user_sgpr_private_segment_size 0
		.amdhsa_uses_dynamic_stack 0
		.amdhsa_system_sgpr_private_segment_wavefront_offset 0
		.amdhsa_system_sgpr_workgroup_id_x 1
		.amdhsa_system_sgpr_workgroup_id_y 0
		.amdhsa_system_sgpr_workgroup_id_z 0
		.amdhsa_system_sgpr_workgroup_info 0
		.amdhsa_system_vgpr_workitem_id 0
		.amdhsa_next_free_vgpr 49
		.amdhsa_next_free_sgpr 40
		.amdhsa_accum_offset 52
		.amdhsa_reserve_vcc 1
		.amdhsa_reserve_flat_scratch 0
		.amdhsa_float_round_mode_32 0
		.amdhsa_float_round_mode_16_64 0
		.amdhsa_float_denorm_mode_32 3
		.amdhsa_float_denorm_mode_16_64 3
		.amdhsa_dx10_clamp 1
		.amdhsa_ieee_mode 1
		.amdhsa_fp16_overflow 0
		.amdhsa_tg_split 0
		.amdhsa_exception_fp_ieee_invalid_op 0
		.amdhsa_exception_fp_denorm_src 0
		.amdhsa_exception_fp_ieee_div_zero 0
		.amdhsa_exception_fp_ieee_overflow 0
		.amdhsa_exception_fp_ieee_underflow 0
		.amdhsa_exception_fp_ieee_inexact 0
		.amdhsa_exception_int_div_zero 0
	.end_amdhsa_kernel
	.section	.text._ZN7rocprim17ROCPRIM_400000_NS6detail17trampoline_kernelINS0_14default_configENS1_25partition_config_selectorILNS1_17partition_subalgoE1EiNS0_10empty_typeEbEEZZNS1_14partition_implILS5_1ELb0ES3_jN6thrust23THRUST_200600_302600_NS6detail15normal_iteratorINSA_10device_ptrIiEEEEPS6_NSA_18transform_iteratorI7is_evenIiESF_NSA_11use_defaultESK_EENS0_5tupleIJSF_NSA_16discard_iteratorISK_EEEEENSM_IJSG_SG_EEES6_PlJS6_EEE10hipError_tPvRmT3_T4_T5_T6_T7_T9_mT8_P12ihipStream_tbDpT10_ENKUlT_T0_E_clISt17integral_constantIbLb1EES1B_EEDaS16_S17_EUlS16_E_NS1_11comp_targetILNS1_3genE4ELNS1_11target_archE910ELNS1_3gpuE8ELNS1_3repE0EEENS1_30default_config_static_selectorELNS0_4arch9wavefront6targetE1EEEvT1_,"axG",@progbits,_ZN7rocprim17ROCPRIM_400000_NS6detail17trampoline_kernelINS0_14default_configENS1_25partition_config_selectorILNS1_17partition_subalgoE1EiNS0_10empty_typeEbEEZZNS1_14partition_implILS5_1ELb0ES3_jN6thrust23THRUST_200600_302600_NS6detail15normal_iteratorINSA_10device_ptrIiEEEEPS6_NSA_18transform_iteratorI7is_evenIiESF_NSA_11use_defaultESK_EENS0_5tupleIJSF_NSA_16discard_iteratorISK_EEEEENSM_IJSG_SG_EEES6_PlJS6_EEE10hipError_tPvRmT3_T4_T5_T6_T7_T9_mT8_P12ihipStream_tbDpT10_ENKUlT_T0_E_clISt17integral_constantIbLb1EES1B_EEDaS16_S17_EUlS16_E_NS1_11comp_targetILNS1_3genE4ELNS1_11target_archE910ELNS1_3gpuE8ELNS1_3repE0EEENS1_30default_config_static_selectorELNS0_4arch9wavefront6targetE1EEEvT1_,comdat
.Lfunc_end3301:
	.size	_ZN7rocprim17ROCPRIM_400000_NS6detail17trampoline_kernelINS0_14default_configENS1_25partition_config_selectorILNS1_17partition_subalgoE1EiNS0_10empty_typeEbEEZZNS1_14partition_implILS5_1ELb0ES3_jN6thrust23THRUST_200600_302600_NS6detail15normal_iteratorINSA_10device_ptrIiEEEEPS6_NSA_18transform_iteratorI7is_evenIiESF_NSA_11use_defaultESK_EENS0_5tupleIJSF_NSA_16discard_iteratorISK_EEEEENSM_IJSG_SG_EEES6_PlJS6_EEE10hipError_tPvRmT3_T4_T5_T6_T7_T9_mT8_P12ihipStream_tbDpT10_ENKUlT_T0_E_clISt17integral_constantIbLb1EES1B_EEDaS16_S17_EUlS16_E_NS1_11comp_targetILNS1_3genE4ELNS1_11target_archE910ELNS1_3gpuE8ELNS1_3repE0EEENS1_30default_config_static_selectorELNS0_4arch9wavefront6targetE1EEEvT1_, .Lfunc_end3301-_ZN7rocprim17ROCPRIM_400000_NS6detail17trampoline_kernelINS0_14default_configENS1_25partition_config_selectorILNS1_17partition_subalgoE1EiNS0_10empty_typeEbEEZZNS1_14partition_implILS5_1ELb0ES3_jN6thrust23THRUST_200600_302600_NS6detail15normal_iteratorINSA_10device_ptrIiEEEEPS6_NSA_18transform_iteratorI7is_evenIiESF_NSA_11use_defaultESK_EENS0_5tupleIJSF_NSA_16discard_iteratorISK_EEEEENSM_IJSG_SG_EEES6_PlJS6_EEE10hipError_tPvRmT3_T4_T5_T6_T7_T9_mT8_P12ihipStream_tbDpT10_ENKUlT_T0_E_clISt17integral_constantIbLb1EES1B_EEDaS16_S17_EUlS16_E_NS1_11comp_targetILNS1_3genE4ELNS1_11target_archE910ELNS1_3gpuE8ELNS1_3repE0EEENS1_30default_config_static_selectorELNS0_4arch9wavefront6targetE1EEEvT1_
                                        ; -- End function
	.section	.AMDGPU.csdata,"",@progbits
; Kernel info:
; codeLenInByte = 4916
; NumSgprs: 44
; NumVgprs: 49
; NumAgprs: 0
; TotalNumVgprs: 49
; ScratchSize: 0
; MemoryBound: 0
; FloatMode: 240
; IeeeMode: 1
; LDSByteSize: 7176 bytes/workgroup (compile time only)
; SGPRBlocks: 5
; VGPRBlocks: 6
; NumSGPRsForWavesPerEU: 44
; NumVGPRsForWavesPerEU: 49
; AccumOffset: 52
; Occupancy: 8
; WaveLimiterHint : 1
; COMPUTE_PGM_RSRC2:SCRATCH_EN: 0
; COMPUTE_PGM_RSRC2:USER_SGPR: 6
; COMPUTE_PGM_RSRC2:TRAP_HANDLER: 0
; COMPUTE_PGM_RSRC2:TGID_X_EN: 1
; COMPUTE_PGM_RSRC2:TGID_Y_EN: 0
; COMPUTE_PGM_RSRC2:TGID_Z_EN: 0
; COMPUTE_PGM_RSRC2:TIDIG_COMP_CNT: 0
; COMPUTE_PGM_RSRC3_GFX90A:ACCUM_OFFSET: 12
; COMPUTE_PGM_RSRC3_GFX90A:TG_SPLIT: 0
	.section	.text._ZN7rocprim17ROCPRIM_400000_NS6detail17trampoline_kernelINS0_14default_configENS1_25partition_config_selectorILNS1_17partition_subalgoE1EiNS0_10empty_typeEbEEZZNS1_14partition_implILS5_1ELb0ES3_jN6thrust23THRUST_200600_302600_NS6detail15normal_iteratorINSA_10device_ptrIiEEEEPS6_NSA_18transform_iteratorI7is_evenIiESF_NSA_11use_defaultESK_EENS0_5tupleIJSF_NSA_16discard_iteratorISK_EEEEENSM_IJSG_SG_EEES6_PlJS6_EEE10hipError_tPvRmT3_T4_T5_T6_T7_T9_mT8_P12ihipStream_tbDpT10_ENKUlT_T0_E_clISt17integral_constantIbLb1EES1B_EEDaS16_S17_EUlS16_E_NS1_11comp_targetILNS1_3genE3ELNS1_11target_archE908ELNS1_3gpuE7ELNS1_3repE0EEENS1_30default_config_static_selectorELNS0_4arch9wavefront6targetE1EEEvT1_,"axG",@progbits,_ZN7rocprim17ROCPRIM_400000_NS6detail17trampoline_kernelINS0_14default_configENS1_25partition_config_selectorILNS1_17partition_subalgoE1EiNS0_10empty_typeEbEEZZNS1_14partition_implILS5_1ELb0ES3_jN6thrust23THRUST_200600_302600_NS6detail15normal_iteratorINSA_10device_ptrIiEEEEPS6_NSA_18transform_iteratorI7is_evenIiESF_NSA_11use_defaultESK_EENS0_5tupleIJSF_NSA_16discard_iteratorISK_EEEEENSM_IJSG_SG_EEES6_PlJS6_EEE10hipError_tPvRmT3_T4_T5_T6_T7_T9_mT8_P12ihipStream_tbDpT10_ENKUlT_T0_E_clISt17integral_constantIbLb1EES1B_EEDaS16_S17_EUlS16_E_NS1_11comp_targetILNS1_3genE3ELNS1_11target_archE908ELNS1_3gpuE7ELNS1_3repE0EEENS1_30default_config_static_selectorELNS0_4arch9wavefront6targetE1EEEvT1_,comdat
	.protected	_ZN7rocprim17ROCPRIM_400000_NS6detail17trampoline_kernelINS0_14default_configENS1_25partition_config_selectorILNS1_17partition_subalgoE1EiNS0_10empty_typeEbEEZZNS1_14partition_implILS5_1ELb0ES3_jN6thrust23THRUST_200600_302600_NS6detail15normal_iteratorINSA_10device_ptrIiEEEEPS6_NSA_18transform_iteratorI7is_evenIiESF_NSA_11use_defaultESK_EENS0_5tupleIJSF_NSA_16discard_iteratorISK_EEEEENSM_IJSG_SG_EEES6_PlJS6_EEE10hipError_tPvRmT3_T4_T5_T6_T7_T9_mT8_P12ihipStream_tbDpT10_ENKUlT_T0_E_clISt17integral_constantIbLb1EES1B_EEDaS16_S17_EUlS16_E_NS1_11comp_targetILNS1_3genE3ELNS1_11target_archE908ELNS1_3gpuE7ELNS1_3repE0EEENS1_30default_config_static_selectorELNS0_4arch9wavefront6targetE1EEEvT1_ ; -- Begin function _ZN7rocprim17ROCPRIM_400000_NS6detail17trampoline_kernelINS0_14default_configENS1_25partition_config_selectorILNS1_17partition_subalgoE1EiNS0_10empty_typeEbEEZZNS1_14partition_implILS5_1ELb0ES3_jN6thrust23THRUST_200600_302600_NS6detail15normal_iteratorINSA_10device_ptrIiEEEEPS6_NSA_18transform_iteratorI7is_evenIiESF_NSA_11use_defaultESK_EENS0_5tupleIJSF_NSA_16discard_iteratorISK_EEEEENSM_IJSG_SG_EEES6_PlJS6_EEE10hipError_tPvRmT3_T4_T5_T6_T7_T9_mT8_P12ihipStream_tbDpT10_ENKUlT_T0_E_clISt17integral_constantIbLb1EES1B_EEDaS16_S17_EUlS16_E_NS1_11comp_targetILNS1_3genE3ELNS1_11target_archE908ELNS1_3gpuE7ELNS1_3repE0EEENS1_30default_config_static_selectorELNS0_4arch9wavefront6targetE1EEEvT1_
	.globl	_ZN7rocprim17ROCPRIM_400000_NS6detail17trampoline_kernelINS0_14default_configENS1_25partition_config_selectorILNS1_17partition_subalgoE1EiNS0_10empty_typeEbEEZZNS1_14partition_implILS5_1ELb0ES3_jN6thrust23THRUST_200600_302600_NS6detail15normal_iteratorINSA_10device_ptrIiEEEEPS6_NSA_18transform_iteratorI7is_evenIiESF_NSA_11use_defaultESK_EENS0_5tupleIJSF_NSA_16discard_iteratorISK_EEEEENSM_IJSG_SG_EEES6_PlJS6_EEE10hipError_tPvRmT3_T4_T5_T6_T7_T9_mT8_P12ihipStream_tbDpT10_ENKUlT_T0_E_clISt17integral_constantIbLb1EES1B_EEDaS16_S17_EUlS16_E_NS1_11comp_targetILNS1_3genE3ELNS1_11target_archE908ELNS1_3gpuE7ELNS1_3repE0EEENS1_30default_config_static_selectorELNS0_4arch9wavefront6targetE1EEEvT1_
	.p2align	8
	.type	_ZN7rocprim17ROCPRIM_400000_NS6detail17trampoline_kernelINS0_14default_configENS1_25partition_config_selectorILNS1_17partition_subalgoE1EiNS0_10empty_typeEbEEZZNS1_14partition_implILS5_1ELb0ES3_jN6thrust23THRUST_200600_302600_NS6detail15normal_iteratorINSA_10device_ptrIiEEEEPS6_NSA_18transform_iteratorI7is_evenIiESF_NSA_11use_defaultESK_EENS0_5tupleIJSF_NSA_16discard_iteratorISK_EEEEENSM_IJSG_SG_EEES6_PlJS6_EEE10hipError_tPvRmT3_T4_T5_T6_T7_T9_mT8_P12ihipStream_tbDpT10_ENKUlT_T0_E_clISt17integral_constantIbLb1EES1B_EEDaS16_S17_EUlS16_E_NS1_11comp_targetILNS1_3genE3ELNS1_11target_archE908ELNS1_3gpuE7ELNS1_3repE0EEENS1_30default_config_static_selectorELNS0_4arch9wavefront6targetE1EEEvT1_,@function
_ZN7rocprim17ROCPRIM_400000_NS6detail17trampoline_kernelINS0_14default_configENS1_25partition_config_selectorILNS1_17partition_subalgoE1EiNS0_10empty_typeEbEEZZNS1_14partition_implILS5_1ELb0ES3_jN6thrust23THRUST_200600_302600_NS6detail15normal_iteratorINSA_10device_ptrIiEEEEPS6_NSA_18transform_iteratorI7is_evenIiESF_NSA_11use_defaultESK_EENS0_5tupleIJSF_NSA_16discard_iteratorISK_EEEEENSM_IJSG_SG_EEES6_PlJS6_EEE10hipError_tPvRmT3_T4_T5_T6_T7_T9_mT8_P12ihipStream_tbDpT10_ENKUlT_T0_E_clISt17integral_constantIbLb1EES1B_EEDaS16_S17_EUlS16_E_NS1_11comp_targetILNS1_3genE3ELNS1_11target_archE908ELNS1_3gpuE7ELNS1_3repE0EEENS1_30default_config_static_selectorELNS0_4arch9wavefront6targetE1EEEvT1_: ; @_ZN7rocprim17ROCPRIM_400000_NS6detail17trampoline_kernelINS0_14default_configENS1_25partition_config_selectorILNS1_17partition_subalgoE1EiNS0_10empty_typeEbEEZZNS1_14partition_implILS5_1ELb0ES3_jN6thrust23THRUST_200600_302600_NS6detail15normal_iteratorINSA_10device_ptrIiEEEEPS6_NSA_18transform_iteratorI7is_evenIiESF_NSA_11use_defaultESK_EENS0_5tupleIJSF_NSA_16discard_iteratorISK_EEEEENSM_IJSG_SG_EEES6_PlJS6_EEE10hipError_tPvRmT3_T4_T5_T6_T7_T9_mT8_P12ihipStream_tbDpT10_ENKUlT_T0_E_clISt17integral_constantIbLb1EES1B_EEDaS16_S17_EUlS16_E_NS1_11comp_targetILNS1_3genE3ELNS1_11target_archE908ELNS1_3gpuE7ELNS1_3repE0EEENS1_30default_config_static_selectorELNS0_4arch9wavefront6targetE1EEEvT1_
; %bb.0:
	.section	.rodata,"a",@progbits
	.p2align	6, 0x0
	.amdhsa_kernel _ZN7rocprim17ROCPRIM_400000_NS6detail17trampoline_kernelINS0_14default_configENS1_25partition_config_selectorILNS1_17partition_subalgoE1EiNS0_10empty_typeEbEEZZNS1_14partition_implILS5_1ELb0ES3_jN6thrust23THRUST_200600_302600_NS6detail15normal_iteratorINSA_10device_ptrIiEEEEPS6_NSA_18transform_iteratorI7is_evenIiESF_NSA_11use_defaultESK_EENS0_5tupleIJSF_NSA_16discard_iteratorISK_EEEEENSM_IJSG_SG_EEES6_PlJS6_EEE10hipError_tPvRmT3_T4_T5_T6_T7_T9_mT8_P12ihipStream_tbDpT10_ENKUlT_T0_E_clISt17integral_constantIbLb1EES1B_EEDaS16_S17_EUlS16_E_NS1_11comp_targetILNS1_3genE3ELNS1_11target_archE908ELNS1_3gpuE7ELNS1_3repE0EEENS1_30default_config_static_selectorELNS0_4arch9wavefront6targetE1EEEvT1_
		.amdhsa_group_segment_fixed_size 0
		.amdhsa_private_segment_fixed_size 0
		.amdhsa_kernarg_size 152
		.amdhsa_user_sgpr_count 6
		.amdhsa_user_sgpr_private_segment_buffer 1
		.amdhsa_user_sgpr_dispatch_ptr 0
		.amdhsa_user_sgpr_queue_ptr 0
		.amdhsa_user_sgpr_kernarg_segment_ptr 1
		.amdhsa_user_sgpr_dispatch_id 0
		.amdhsa_user_sgpr_flat_scratch_init 0
		.amdhsa_user_sgpr_kernarg_preload_length 0
		.amdhsa_user_sgpr_kernarg_preload_offset 0
		.amdhsa_user_sgpr_private_segment_size 0
		.amdhsa_uses_dynamic_stack 0
		.amdhsa_system_sgpr_private_segment_wavefront_offset 0
		.amdhsa_system_sgpr_workgroup_id_x 1
		.amdhsa_system_sgpr_workgroup_id_y 0
		.amdhsa_system_sgpr_workgroup_id_z 0
		.amdhsa_system_sgpr_workgroup_info 0
		.amdhsa_system_vgpr_workitem_id 0
		.amdhsa_next_free_vgpr 1
		.amdhsa_next_free_sgpr 0
		.amdhsa_accum_offset 4
		.amdhsa_reserve_vcc 0
		.amdhsa_reserve_flat_scratch 0
		.amdhsa_float_round_mode_32 0
		.amdhsa_float_round_mode_16_64 0
		.amdhsa_float_denorm_mode_32 3
		.amdhsa_float_denorm_mode_16_64 3
		.amdhsa_dx10_clamp 1
		.amdhsa_ieee_mode 1
		.amdhsa_fp16_overflow 0
		.amdhsa_tg_split 0
		.amdhsa_exception_fp_ieee_invalid_op 0
		.amdhsa_exception_fp_denorm_src 0
		.amdhsa_exception_fp_ieee_div_zero 0
		.amdhsa_exception_fp_ieee_overflow 0
		.amdhsa_exception_fp_ieee_underflow 0
		.amdhsa_exception_fp_ieee_inexact 0
		.amdhsa_exception_int_div_zero 0
	.end_amdhsa_kernel
	.section	.text._ZN7rocprim17ROCPRIM_400000_NS6detail17trampoline_kernelINS0_14default_configENS1_25partition_config_selectorILNS1_17partition_subalgoE1EiNS0_10empty_typeEbEEZZNS1_14partition_implILS5_1ELb0ES3_jN6thrust23THRUST_200600_302600_NS6detail15normal_iteratorINSA_10device_ptrIiEEEEPS6_NSA_18transform_iteratorI7is_evenIiESF_NSA_11use_defaultESK_EENS0_5tupleIJSF_NSA_16discard_iteratorISK_EEEEENSM_IJSG_SG_EEES6_PlJS6_EEE10hipError_tPvRmT3_T4_T5_T6_T7_T9_mT8_P12ihipStream_tbDpT10_ENKUlT_T0_E_clISt17integral_constantIbLb1EES1B_EEDaS16_S17_EUlS16_E_NS1_11comp_targetILNS1_3genE3ELNS1_11target_archE908ELNS1_3gpuE7ELNS1_3repE0EEENS1_30default_config_static_selectorELNS0_4arch9wavefront6targetE1EEEvT1_,"axG",@progbits,_ZN7rocprim17ROCPRIM_400000_NS6detail17trampoline_kernelINS0_14default_configENS1_25partition_config_selectorILNS1_17partition_subalgoE1EiNS0_10empty_typeEbEEZZNS1_14partition_implILS5_1ELb0ES3_jN6thrust23THRUST_200600_302600_NS6detail15normal_iteratorINSA_10device_ptrIiEEEEPS6_NSA_18transform_iteratorI7is_evenIiESF_NSA_11use_defaultESK_EENS0_5tupleIJSF_NSA_16discard_iteratorISK_EEEEENSM_IJSG_SG_EEES6_PlJS6_EEE10hipError_tPvRmT3_T4_T5_T6_T7_T9_mT8_P12ihipStream_tbDpT10_ENKUlT_T0_E_clISt17integral_constantIbLb1EES1B_EEDaS16_S17_EUlS16_E_NS1_11comp_targetILNS1_3genE3ELNS1_11target_archE908ELNS1_3gpuE7ELNS1_3repE0EEENS1_30default_config_static_selectorELNS0_4arch9wavefront6targetE1EEEvT1_,comdat
.Lfunc_end3302:
	.size	_ZN7rocprim17ROCPRIM_400000_NS6detail17trampoline_kernelINS0_14default_configENS1_25partition_config_selectorILNS1_17partition_subalgoE1EiNS0_10empty_typeEbEEZZNS1_14partition_implILS5_1ELb0ES3_jN6thrust23THRUST_200600_302600_NS6detail15normal_iteratorINSA_10device_ptrIiEEEEPS6_NSA_18transform_iteratorI7is_evenIiESF_NSA_11use_defaultESK_EENS0_5tupleIJSF_NSA_16discard_iteratorISK_EEEEENSM_IJSG_SG_EEES6_PlJS6_EEE10hipError_tPvRmT3_T4_T5_T6_T7_T9_mT8_P12ihipStream_tbDpT10_ENKUlT_T0_E_clISt17integral_constantIbLb1EES1B_EEDaS16_S17_EUlS16_E_NS1_11comp_targetILNS1_3genE3ELNS1_11target_archE908ELNS1_3gpuE7ELNS1_3repE0EEENS1_30default_config_static_selectorELNS0_4arch9wavefront6targetE1EEEvT1_, .Lfunc_end3302-_ZN7rocprim17ROCPRIM_400000_NS6detail17trampoline_kernelINS0_14default_configENS1_25partition_config_selectorILNS1_17partition_subalgoE1EiNS0_10empty_typeEbEEZZNS1_14partition_implILS5_1ELb0ES3_jN6thrust23THRUST_200600_302600_NS6detail15normal_iteratorINSA_10device_ptrIiEEEEPS6_NSA_18transform_iteratorI7is_evenIiESF_NSA_11use_defaultESK_EENS0_5tupleIJSF_NSA_16discard_iteratorISK_EEEEENSM_IJSG_SG_EEES6_PlJS6_EEE10hipError_tPvRmT3_T4_T5_T6_T7_T9_mT8_P12ihipStream_tbDpT10_ENKUlT_T0_E_clISt17integral_constantIbLb1EES1B_EEDaS16_S17_EUlS16_E_NS1_11comp_targetILNS1_3genE3ELNS1_11target_archE908ELNS1_3gpuE7ELNS1_3repE0EEENS1_30default_config_static_selectorELNS0_4arch9wavefront6targetE1EEEvT1_
                                        ; -- End function
	.section	.AMDGPU.csdata,"",@progbits
; Kernel info:
; codeLenInByte = 0
; NumSgprs: 4
; NumVgprs: 0
; NumAgprs: 0
; TotalNumVgprs: 0
; ScratchSize: 0
; MemoryBound: 0
; FloatMode: 240
; IeeeMode: 1
; LDSByteSize: 0 bytes/workgroup (compile time only)
; SGPRBlocks: 0
; VGPRBlocks: 0
; NumSGPRsForWavesPerEU: 4
; NumVGPRsForWavesPerEU: 1
; AccumOffset: 4
; Occupancy: 8
; WaveLimiterHint : 0
; COMPUTE_PGM_RSRC2:SCRATCH_EN: 0
; COMPUTE_PGM_RSRC2:USER_SGPR: 6
; COMPUTE_PGM_RSRC2:TRAP_HANDLER: 0
; COMPUTE_PGM_RSRC2:TGID_X_EN: 1
; COMPUTE_PGM_RSRC2:TGID_Y_EN: 0
; COMPUTE_PGM_RSRC2:TGID_Z_EN: 0
; COMPUTE_PGM_RSRC2:TIDIG_COMP_CNT: 0
; COMPUTE_PGM_RSRC3_GFX90A:ACCUM_OFFSET: 0
; COMPUTE_PGM_RSRC3_GFX90A:TG_SPLIT: 0
	.section	.text._ZN7rocprim17ROCPRIM_400000_NS6detail17trampoline_kernelINS0_14default_configENS1_25partition_config_selectorILNS1_17partition_subalgoE1EiNS0_10empty_typeEbEEZZNS1_14partition_implILS5_1ELb0ES3_jN6thrust23THRUST_200600_302600_NS6detail15normal_iteratorINSA_10device_ptrIiEEEEPS6_NSA_18transform_iteratorI7is_evenIiESF_NSA_11use_defaultESK_EENS0_5tupleIJSF_NSA_16discard_iteratorISK_EEEEENSM_IJSG_SG_EEES6_PlJS6_EEE10hipError_tPvRmT3_T4_T5_T6_T7_T9_mT8_P12ihipStream_tbDpT10_ENKUlT_T0_E_clISt17integral_constantIbLb1EES1B_EEDaS16_S17_EUlS16_E_NS1_11comp_targetILNS1_3genE2ELNS1_11target_archE906ELNS1_3gpuE6ELNS1_3repE0EEENS1_30default_config_static_selectorELNS0_4arch9wavefront6targetE1EEEvT1_,"axG",@progbits,_ZN7rocprim17ROCPRIM_400000_NS6detail17trampoline_kernelINS0_14default_configENS1_25partition_config_selectorILNS1_17partition_subalgoE1EiNS0_10empty_typeEbEEZZNS1_14partition_implILS5_1ELb0ES3_jN6thrust23THRUST_200600_302600_NS6detail15normal_iteratorINSA_10device_ptrIiEEEEPS6_NSA_18transform_iteratorI7is_evenIiESF_NSA_11use_defaultESK_EENS0_5tupleIJSF_NSA_16discard_iteratorISK_EEEEENSM_IJSG_SG_EEES6_PlJS6_EEE10hipError_tPvRmT3_T4_T5_T6_T7_T9_mT8_P12ihipStream_tbDpT10_ENKUlT_T0_E_clISt17integral_constantIbLb1EES1B_EEDaS16_S17_EUlS16_E_NS1_11comp_targetILNS1_3genE2ELNS1_11target_archE906ELNS1_3gpuE6ELNS1_3repE0EEENS1_30default_config_static_selectorELNS0_4arch9wavefront6targetE1EEEvT1_,comdat
	.protected	_ZN7rocprim17ROCPRIM_400000_NS6detail17trampoline_kernelINS0_14default_configENS1_25partition_config_selectorILNS1_17partition_subalgoE1EiNS0_10empty_typeEbEEZZNS1_14partition_implILS5_1ELb0ES3_jN6thrust23THRUST_200600_302600_NS6detail15normal_iteratorINSA_10device_ptrIiEEEEPS6_NSA_18transform_iteratorI7is_evenIiESF_NSA_11use_defaultESK_EENS0_5tupleIJSF_NSA_16discard_iteratorISK_EEEEENSM_IJSG_SG_EEES6_PlJS6_EEE10hipError_tPvRmT3_T4_T5_T6_T7_T9_mT8_P12ihipStream_tbDpT10_ENKUlT_T0_E_clISt17integral_constantIbLb1EES1B_EEDaS16_S17_EUlS16_E_NS1_11comp_targetILNS1_3genE2ELNS1_11target_archE906ELNS1_3gpuE6ELNS1_3repE0EEENS1_30default_config_static_selectorELNS0_4arch9wavefront6targetE1EEEvT1_ ; -- Begin function _ZN7rocprim17ROCPRIM_400000_NS6detail17trampoline_kernelINS0_14default_configENS1_25partition_config_selectorILNS1_17partition_subalgoE1EiNS0_10empty_typeEbEEZZNS1_14partition_implILS5_1ELb0ES3_jN6thrust23THRUST_200600_302600_NS6detail15normal_iteratorINSA_10device_ptrIiEEEEPS6_NSA_18transform_iteratorI7is_evenIiESF_NSA_11use_defaultESK_EENS0_5tupleIJSF_NSA_16discard_iteratorISK_EEEEENSM_IJSG_SG_EEES6_PlJS6_EEE10hipError_tPvRmT3_T4_T5_T6_T7_T9_mT8_P12ihipStream_tbDpT10_ENKUlT_T0_E_clISt17integral_constantIbLb1EES1B_EEDaS16_S17_EUlS16_E_NS1_11comp_targetILNS1_3genE2ELNS1_11target_archE906ELNS1_3gpuE6ELNS1_3repE0EEENS1_30default_config_static_selectorELNS0_4arch9wavefront6targetE1EEEvT1_
	.globl	_ZN7rocprim17ROCPRIM_400000_NS6detail17trampoline_kernelINS0_14default_configENS1_25partition_config_selectorILNS1_17partition_subalgoE1EiNS0_10empty_typeEbEEZZNS1_14partition_implILS5_1ELb0ES3_jN6thrust23THRUST_200600_302600_NS6detail15normal_iteratorINSA_10device_ptrIiEEEEPS6_NSA_18transform_iteratorI7is_evenIiESF_NSA_11use_defaultESK_EENS0_5tupleIJSF_NSA_16discard_iteratorISK_EEEEENSM_IJSG_SG_EEES6_PlJS6_EEE10hipError_tPvRmT3_T4_T5_T6_T7_T9_mT8_P12ihipStream_tbDpT10_ENKUlT_T0_E_clISt17integral_constantIbLb1EES1B_EEDaS16_S17_EUlS16_E_NS1_11comp_targetILNS1_3genE2ELNS1_11target_archE906ELNS1_3gpuE6ELNS1_3repE0EEENS1_30default_config_static_selectorELNS0_4arch9wavefront6targetE1EEEvT1_
	.p2align	8
	.type	_ZN7rocprim17ROCPRIM_400000_NS6detail17trampoline_kernelINS0_14default_configENS1_25partition_config_selectorILNS1_17partition_subalgoE1EiNS0_10empty_typeEbEEZZNS1_14partition_implILS5_1ELb0ES3_jN6thrust23THRUST_200600_302600_NS6detail15normal_iteratorINSA_10device_ptrIiEEEEPS6_NSA_18transform_iteratorI7is_evenIiESF_NSA_11use_defaultESK_EENS0_5tupleIJSF_NSA_16discard_iteratorISK_EEEEENSM_IJSG_SG_EEES6_PlJS6_EEE10hipError_tPvRmT3_T4_T5_T6_T7_T9_mT8_P12ihipStream_tbDpT10_ENKUlT_T0_E_clISt17integral_constantIbLb1EES1B_EEDaS16_S17_EUlS16_E_NS1_11comp_targetILNS1_3genE2ELNS1_11target_archE906ELNS1_3gpuE6ELNS1_3repE0EEENS1_30default_config_static_selectorELNS0_4arch9wavefront6targetE1EEEvT1_,@function
_ZN7rocprim17ROCPRIM_400000_NS6detail17trampoline_kernelINS0_14default_configENS1_25partition_config_selectorILNS1_17partition_subalgoE1EiNS0_10empty_typeEbEEZZNS1_14partition_implILS5_1ELb0ES3_jN6thrust23THRUST_200600_302600_NS6detail15normal_iteratorINSA_10device_ptrIiEEEEPS6_NSA_18transform_iteratorI7is_evenIiESF_NSA_11use_defaultESK_EENS0_5tupleIJSF_NSA_16discard_iteratorISK_EEEEENSM_IJSG_SG_EEES6_PlJS6_EEE10hipError_tPvRmT3_T4_T5_T6_T7_T9_mT8_P12ihipStream_tbDpT10_ENKUlT_T0_E_clISt17integral_constantIbLb1EES1B_EEDaS16_S17_EUlS16_E_NS1_11comp_targetILNS1_3genE2ELNS1_11target_archE906ELNS1_3gpuE6ELNS1_3repE0EEENS1_30default_config_static_selectorELNS0_4arch9wavefront6targetE1EEEvT1_: ; @_ZN7rocprim17ROCPRIM_400000_NS6detail17trampoline_kernelINS0_14default_configENS1_25partition_config_selectorILNS1_17partition_subalgoE1EiNS0_10empty_typeEbEEZZNS1_14partition_implILS5_1ELb0ES3_jN6thrust23THRUST_200600_302600_NS6detail15normal_iteratorINSA_10device_ptrIiEEEEPS6_NSA_18transform_iteratorI7is_evenIiESF_NSA_11use_defaultESK_EENS0_5tupleIJSF_NSA_16discard_iteratorISK_EEEEENSM_IJSG_SG_EEES6_PlJS6_EEE10hipError_tPvRmT3_T4_T5_T6_T7_T9_mT8_P12ihipStream_tbDpT10_ENKUlT_T0_E_clISt17integral_constantIbLb1EES1B_EEDaS16_S17_EUlS16_E_NS1_11comp_targetILNS1_3genE2ELNS1_11target_archE906ELNS1_3gpuE6ELNS1_3repE0EEENS1_30default_config_static_selectorELNS0_4arch9wavefront6targetE1EEEvT1_
; %bb.0:
	.section	.rodata,"a",@progbits
	.p2align	6, 0x0
	.amdhsa_kernel _ZN7rocprim17ROCPRIM_400000_NS6detail17trampoline_kernelINS0_14default_configENS1_25partition_config_selectorILNS1_17partition_subalgoE1EiNS0_10empty_typeEbEEZZNS1_14partition_implILS5_1ELb0ES3_jN6thrust23THRUST_200600_302600_NS6detail15normal_iteratorINSA_10device_ptrIiEEEEPS6_NSA_18transform_iteratorI7is_evenIiESF_NSA_11use_defaultESK_EENS0_5tupleIJSF_NSA_16discard_iteratorISK_EEEEENSM_IJSG_SG_EEES6_PlJS6_EEE10hipError_tPvRmT3_T4_T5_T6_T7_T9_mT8_P12ihipStream_tbDpT10_ENKUlT_T0_E_clISt17integral_constantIbLb1EES1B_EEDaS16_S17_EUlS16_E_NS1_11comp_targetILNS1_3genE2ELNS1_11target_archE906ELNS1_3gpuE6ELNS1_3repE0EEENS1_30default_config_static_selectorELNS0_4arch9wavefront6targetE1EEEvT1_
		.amdhsa_group_segment_fixed_size 0
		.amdhsa_private_segment_fixed_size 0
		.amdhsa_kernarg_size 152
		.amdhsa_user_sgpr_count 6
		.amdhsa_user_sgpr_private_segment_buffer 1
		.amdhsa_user_sgpr_dispatch_ptr 0
		.amdhsa_user_sgpr_queue_ptr 0
		.amdhsa_user_sgpr_kernarg_segment_ptr 1
		.amdhsa_user_sgpr_dispatch_id 0
		.amdhsa_user_sgpr_flat_scratch_init 0
		.amdhsa_user_sgpr_kernarg_preload_length 0
		.amdhsa_user_sgpr_kernarg_preload_offset 0
		.amdhsa_user_sgpr_private_segment_size 0
		.amdhsa_uses_dynamic_stack 0
		.amdhsa_system_sgpr_private_segment_wavefront_offset 0
		.amdhsa_system_sgpr_workgroup_id_x 1
		.amdhsa_system_sgpr_workgroup_id_y 0
		.amdhsa_system_sgpr_workgroup_id_z 0
		.amdhsa_system_sgpr_workgroup_info 0
		.amdhsa_system_vgpr_workitem_id 0
		.amdhsa_next_free_vgpr 1
		.amdhsa_next_free_sgpr 0
		.amdhsa_accum_offset 4
		.amdhsa_reserve_vcc 0
		.amdhsa_reserve_flat_scratch 0
		.amdhsa_float_round_mode_32 0
		.amdhsa_float_round_mode_16_64 0
		.amdhsa_float_denorm_mode_32 3
		.amdhsa_float_denorm_mode_16_64 3
		.amdhsa_dx10_clamp 1
		.amdhsa_ieee_mode 1
		.amdhsa_fp16_overflow 0
		.amdhsa_tg_split 0
		.amdhsa_exception_fp_ieee_invalid_op 0
		.amdhsa_exception_fp_denorm_src 0
		.amdhsa_exception_fp_ieee_div_zero 0
		.amdhsa_exception_fp_ieee_overflow 0
		.amdhsa_exception_fp_ieee_underflow 0
		.amdhsa_exception_fp_ieee_inexact 0
		.amdhsa_exception_int_div_zero 0
	.end_amdhsa_kernel
	.section	.text._ZN7rocprim17ROCPRIM_400000_NS6detail17trampoline_kernelINS0_14default_configENS1_25partition_config_selectorILNS1_17partition_subalgoE1EiNS0_10empty_typeEbEEZZNS1_14partition_implILS5_1ELb0ES3_jN6thrust23THRUST_200600_302600_NS6detail15normal_iteratorINSA_10device_ptrIiEEEEPS6_NSA_18transform_iteratorI7is_evenIiESF_NSA_11use_defaultESK_EENS0_5tupleIJSF_NSA_16discard_iteratorISK_EEEEENSM_IJSG_SG_EEES6_PlJS6_EEE10hipError_tPvRmT3_T4_T5_T6_T7_T9_mT8_P12ihipStream_tbDpT10_ENKUlT_T0_E_clISt17integral_constantIbLb1EES1B_EEDaS16_S17_EUlS16_E_NS1_11comp_targetILNS1_3genE2ELNS1_11target_archE906ELNS1_3gpuE6ELNS1_3repE0EEENS1_30default_config_static_selectorELNS0_4arch9wavefront6targetE1EEEvT1_,"axG",@progbits,_ZN7rocprim17ROCPRIM_400000_NS6detail17trampoline_kernelINS0_14default_configENS1_25partition_config_selectorILNS1_17partition_subalgoE1EiNS0_10empty_typeEbEEZZNS1_14partition_implILS5_1ELb0ES3_jN6thrust23THRUST_200600_302600_NS6detail15normal_iteratorINSA_10device_ptrIiEEEEPS6_NSA_18transform_iteratorI7is_evenIiESF_NSA_11use_defaultESK_EENS0_5tupleIJSF_NSA_16discard_iteratorISK_EEEEENSM_IJSG_SG_EEES6_PlJS6_EEE10hipError_tPvRmT3_T4_T5_T6_T7_T9_mT8_P12ihipStream_tbDpT10_ENKUlT_T0_E_clISt17integral_constantIbLb1EES1B_EEDaS16_S17_EUlS16_E_NS1_11comp_targetILNS1_3genE2ELNS1_11target_archE906ELNS1_3gpuE6ELNS1_3repE0EEENS1_30default_config_static_selectorELNS0_4arch9wavefront6targetE1EEEvT1_,comdat
.Lfunc_end3303:
	.size	_ZN7rocprim17ROCPRIM_400000_NS6detail17trampoline_kernelINS0_14default_configENS1_25partition_config_selectorILNS1_17partition_subalgoE1EiNS0_10empty_typeEbEEZZNS1_14partition_implILS5_1ELb0ES3_jN6thrust23THRUST_200600_302600_NS6detail15normal_iteratorINSA_10device_ptrIiEEEEPS6_NSA_18transform_iteratorI7is_evenIiESF_NSA_11use_defaultESK_EENS0_5tupleIJSF_NSA_16discard_iteratorISK_EEEEENSM_IJSG_SG_EEES6_PlJS6_EEE10hipError_tPvRmT3_T4_T5_T6_T7_T9_mT8_P12ihipStream_tbDpT10_ENKUlT_T0_E_clISt17integral_constantIbLb1EES1B_EEDaS16_S17_EUlS16_E_NS1_11comp_targetILNS1_3genE2ELNS1_11target_archE906ELNS1_3gpuE6ELNS1_3repE0EEENS1_30default_config_static_selectorELNS0_4arch9wavefront6targetE1EEEvT1_, .Lfunc_end3303-_ZN7rocprim17ROCPRIM_400000_NS6detail17trampoline_kernelINS0_14default_configENS1_25partition_config_selectorILNS1_17partition_subalgoE1EiNS0_10empty_typeEbEEZZNS1_14partition_implILS5_1ELb0ES3_jN6thrust23THRUST_200600_302600_NS6detail15normal_iteratorINSA_10device_ptrIiEEEEPS6_NSA_18transform_iteratorI7is_evenIiESF_NSA_11use_defaultESK_EENS0_5tupleIJSF_NSA_16discard_iteratorISK_EEEEENSM_IJSG_SG_EEES6_PlJS6_EEE10hipError_tPvRmT3_T4_T5_T6_T7_T9_mT8_P12ihipStream_tbDpT10_ENKUlT_T0_E_clISt17integral_constantIbLb1EES1B_EEDaS16_S17_EUlS16_E_NS1_11comp_targetILNS1_3genE2ELNS1_11target_archE906ELNS1_3gpuE6ELNS1_3repE0EEENS1_30default_config_static_selectorELNS0_4arch9wavefront6targetE1EEEvT1_
                                        ; -- End function
	.section	.AMDGPU.csdata,"",@progbits
; Kernel info:
; codeLenInByte = 0
; NumSgprs: 4
; NumVgprs: 0
; NumAgprs: 0
; TotalNumVgprs: 0
; ScratchSize: 0
; MemoryBound: 0
; FloatMode: 240
; IeeeMode: 1
; LDSByteSize: 0 bytes/workgroup (compile time only)
; SGPRBlocks: 0
; VGPRBlocks: 0
; NumSGPRsForWavesPerEU: 4
; NumVGPRsForWavesPerEU: 1
; AccumOffset: 4
; Occupancy: 8
; WaveLimiterHint : 0
; COMPUTE_PGM_RSRC2:SCRATCH_EN: 0
; COMPUTE_PGM_RSRC2:USER_SGPR: 6
; COMPUTE_PGM_RSRC2:TRAP_HANDLER: 0
; COMPUTE_PGM_RSRC2:TGID_X_EN: 1
; COMPUTE_PGM_RSRC2:TGID_Y_EN: 0
; COMPUTE_PGM_RSRC2:TGID_Z_EN: 0
; COMPUTE_PGM_RSRC2:TIDIG_COMP_CNT: 0
; COMPUTE_PGM_RSRC3_GFX90A:ACCUM_OFFSET: 0
; COMPUTE_PGM_RSRC3_GFX90A:TG_SPLIT: 0
	.section	.text._ZN7rocprim17ROCPRIM_400000_NS6detail17trampoline_kernelINS0_14default_configENS1_25partition_config_selectorILNS1_17partition_subalgoE1EiNS0_10empty_typeEbEEZZNS1_14partition_implILS5_1ELb0ES3_jN6thrust23THRUST_200600_302600_NS6detail15normal_iteratorINSA_10device_ptrIiEEEEPS6_NSA_18transform_iteratorI7is_evenIiESF_NSA_11use_defaultESK_EENS0_5tupleIJSF_NSA_16discard_iteratorISK_EEEEENSM_IJSG_SG_EEES6_PlJS6_EEE10hipError_tPvRmT3_T4_T5_T6_T7_T9_mT8_P12ihipStream_tbDpT10_ENKUlT_T0_E_clISt17integral_constantIbLb1EES1B_EEDaS16_S17_EUlS16_E_NS1_11comp_targetILNS1_3genE10ELNS1_11target_archE1200ELNS1_3gpuE4ELNS1_3repE0EEENS1_30default_config_static_selectorELNS0_4arch9wavefront6targetE1EEEvT1_,"axG",@progbits,_ZN7rocprim17ROCPRIM_400000_NS6detail17trampoline_kernelINS0_14default_configENS1_25partition_config_selectorILNS1_17partition_subalgoE1EiNS0_10empty_typeEbEEZZNS1_14partition_implILS5_1ELb0ES3_jN6thrust23THRUST_200600_302600_NS6detail15normal_iteratorINSA_10device_ptrIiEEEEPS6_NSA_18transform_iteratorI7is_evenIiESF_NSA_11use_defaultESK_EENS0_5tupleIJSF_NSA_16discard_iteratorISK_EEEEENSM_IJSG_SG_EEES6_PlJS6_EEE10hipError_tPvRmT3_T4_T5_T6_T7_T9_mT8_P12ihipStream_tbDpT10_ENKUlT_T0_E_clISt17integral_constantIbLb1EES1B_EEDaS16_S17_EUlS16_E_NS1_11comp_targetILNS1_3genE10ELNS1_11target_archE1200ELNS1_3gpuE4ELNS1_3repE0EEENS1_30default_config_static_selectorELNS0_4arch9wavefront6targetE1EEEvT1_,comdat
	.protected	_ZN7rocprim17ROCPRIM_400000_NS6detail17trampoline_kernelINS0_14default_configENS1_25partition_config_selectorILNS1_17partition_subalgoE1EiNS0_10empty_typeEbEEZZNS1_14partition_implILS5_1ELb0ES3_jN6thrust23THRUST_200600_302600_NS6detail15normal_iteratorINSA_10device_ptrIiEEEEPS6_NSA_18transform_iteratorI7is_evenIiESF_NSA_11use_defaultESK_EENS0_5tupleIJSF_NSA_16discard_iteratorISK_EEEEENSM_IJSG_SG_EEES6_PlJS6_EEE10hipError_tPvRmT3_T4_T5_T6_T7_T9_mT8_P12ihipStream_tbDpT10_ENKUlT_T0_E_clISt17integral_constantIbLb1EES1B_EEDaS16_S17_EUlS16_E_NS1_11comp_targetILNS1_3genE10ELNS1_11target_archE1200ELNS1_3gpuE4ELNS1_3repE0EEENS1_30default_config_static_selectorELNS0_4arch9wavefront6targetE1EEEvT1_ ; -- Begin function _ZN7rocprim17ROCPRIM_400000_NS6detail17trampoline_kernelINS0_14default_configENS1_25partition_config_selectorILNS1_17partition_subalgoE1EiNS0_10empty_typeEbEEZZNS1_14partition_implILS5_1ELb0ES3_jN6thrust23THRUST_200600_302600_NS6detail15normal_iteratorINSA_10device_ptrIiEEEEPS6_NSA_18transform_iteratorI7is_evenIiESF_NSA_11use_defaultESK_EENS0_5tupleIJSF_NSA_16discard_iteratorISK_EEEEENSM_IJSG_SG_EEES6_PlJS6_EEE10hipError_tPvRmT3_T4_T5_T6_T7_T9_mT8_P12ihipStream_tbDpT10_ENKUlT_T0_E_clISt17integral_constantIbLb1EES1B_EEDaS16_S17_EUlS16_E_NS1_11comp_targetILNS1_3genE10ELNS1_11target_archE1200ELNS1_3gpuE4ELNS1_3repE0EEENS1_30default_config_static_selectorELNS0_4arch9wavefront6targetE1EEEvT1_
	.globl	_ZN7rocprim17ROCPRIM_400000_NS6detail17trampoline_kernelINS0_14default_configENS1_25partition_config_selectorILNS1_17partition_subalgoE1EiNS0_10empty_typeEbEEZZNS1_14partition_implILS5_1ELb0ES3_jN6thrust23THRUST_200600_302600_NS6detail15normal_iteratorINSA_10device_ptrIiEEEEPS6_NSA_18transform_iteratorI7is_evenIiESF_NSA_11use_defaultESK_EENS0_5tupleIJSF_NSA_16discard_iteratorISK_EEEEENSM_IJSG_SG_EEES6_PlJS6_EEE10hipError_tPvRmT3_T4_T5_T6_T7_T9_mT8_P12ihipStream_tbDpT10_ENKUlT_T0_E_clISt17integral_constantIbLb1EES1B_EEDaS16_S17_EUlS16_E_NS1_11comp_targetILNS1_3genE10ELNS1_11target_archE1200ELNS1_3gpuE4ELNS1_3repE0EEENS1_30default_config_static_selectorELNS0_4arch9wavefront6targetE1EEEvT1_
	.p2align	8
	.type	_ZN7rocprim17ROCPRIM_400000_NS6detail17trampoline_kernelINS0_14default_configENS1_25partition_config_selectorILNS1_17partition_subalgoE1EiNS0_10empty_typeEbEEZZNS1_14partition_implILS5_1ELb0ES3_jN6thrust23THRUST_200600_302600_NS6detail15normal_iteratorINSA_10device_ptrIiEEEEPS6_NSA_18transform_iteratorI7is_evenIiESF_NSA_11use_defaultESK_EENS0_5tupleIJSF_NSA_16discard_iteratorISK_EEEEENSM_IJSG_SG_EEES6_PlJS6_EEE10hipError_tPvRmT3_T4_T5_T6_T7_T9_mT8_P12ihipStream_tbDpT10_ENKUlT_T0_E_clISt17integral_constantIbLb1EES1B_EEDaS16_S17_EUlS16_E_NS1_11comp_targetILNS1_3genE10ELNS1_11target_archE1200ELNS1_3gpuE4ELNS1_3repE0EEENS1_30default_config_static_selectorELNS0_4arch9wavefront6targetE1EEEvT1_,@function
_ZN7rocprim17ROCPRIM_400000_NS6detail17trampoline_kernelINS0_14default_configENS1_25partition_config_selectorILNS1_17partition_subalgoE1EiNS0_10empty_typeEbEEZZNS1_14partition_implILS5_1ELb0ES3_jN6thrust23THRUST_200600_302600_NS6detail15normal_iteratorINSA_10device_ptrIiEEEEPS6_NSA_18transform_iteratorI7is_evenIiESF_NSA_11use_defaultESK_EENS0_5tupleIJSF_NSA_16discard_iteratorISK_EEEEENSM_IJSG_SG_EEES6_PlJS6_EEE10hipError_tPvRmT3_T4_T5_T6_T7_T9_mT8_P12ihipStream_tbDpT10_ENKUlT_T0_E_clISt17integral_constantIbLb1EES1B_EEDaS16_S17_EUlS16_E_NS1_11comp_targetILNS1_3genE10ELNS1_11target_archE1200ELNS1_3gpuE4ELNS1_3repE0EEENS1_30default_config_static_selectorELNS0_4arch9wavefront6targetE1EEEvT1_: ; @_ZN7rocprim17ROCPRIM_400000_NS6detail17trampoline_kernelINS0_14default_configENS1_25partition_config_selectorILNS1_17partition_subalgoE1EiNS0_10empty_typeEbEEZZNS1_14partition_implILS5_1ELb0ES3_jN6thrust23THRUST_200600_302600_NS6detail15normal_iteratorINSA_10device_ptrIiEEEEPS6_NSA_18transform_iteratorI7is_evenIiESF_NSA_11use_defaultESK_EENS0_5tupleIJSF_NSA_16discard_iteratorISK_EEEEENSM_IJSG_SG_EEES6_PlJS6_EEE10hipError_tPvRmT3_T4_T5_T6_T7_T9_mT8_P12ihipStream_tbDpT10_ENKUlT_T0_E_clISt17integral_constantIbLb1EES1B_EEDaS16_S17_EUlS16_E_NS1_11comp_targetILNS1_3genE10ELNS1_11target_archE1200ELNS1_3gpuE4ELNS1_3repE0EEENS1_30default_config_static_selectorELNS0_4arch9wavefront6targetE1EEEvT1_
; %bb.0:
	.section	.rodata,"a",@progbits
	.p2align	6, 0x0
	.amdhsa_kernel _ZN7rocprim17ROCPRIM_400000_NS6detail17trampoline_kernelINS0_14default_configENS1_25partition_config_selectorILNS1_17partition_subalgoE1EiNS0_10empty_typeEbEEZZNS1_14partition_implILS5_1ELb0ES3_jN6thrust23THRUST_200600_302600_NS6detail15normal_iteratorINSA_10device_ptrIiEEEEPS6_NSA_18transform_iteratorI7is_evenIiESF_NSA_11use_defaultESK_EENS0_5tupleIJSF_NSA_16discard_iteratorISK_EEEEENSM_IJSG_SG_EEES6_PlJS6_EEE10hipError_tPvRmT3_T4_T5_T6_T7_T9_mT8_P12ihipStream_tbDpT10_ENKUlT_T0_E_clISt17integral_constantIbLb1EES1B_EEDaS16_S17_EUlS16_E_NS1_11comp_targetILNS1_3genE10ELNS1_11target_archE1200ELNS1_3gpuE4ELNS1_3repE0EEENS1_30default_config_static_selectorELNS0_4arch9wavefront6targetE1EEEvT1_
		.amdhsa_group_segment_fixed_size 0
		.amdhsa_private_segment_fixed_size 0
		.amdhsa_kernarg_size 152
		.amdhsa_user_sgpr_count 6
		.amdhsa_user_sgpr_private_segment_buffer 1
		.amdhsa_user_sgpr_dispatch_ptr 0
		.amdhsa_user_sgpr_queue_ptr 0
		.amdhsa_user_sgpr_kernarg_segment_ptr 1
		.amdhsa_user_sgpr_dispatch_id 0
		.amdhsa_user_sgpr_flat_scratch_init 0
		.amdhsa_user_sgpr_kernarg_preload_length 0
		.amdhsa_user_sgpr_kernarg_preload_offset 0
		.amdhsa_user_sgpr_private_segment_size 0
		.amdhsa_uses_dynamic_stack 0
		.amdhsa_system_sgpr_private_segment_wavefront_offset 0
		.amdhsa_system_sgpr_workgroup_id_x 1
		.amdhsa_system_sgpr_workgroup_id_y 0
		.amdhsa_system_sgpr_workgroup_id_z 0
		.amdhsa_system_sgpr_workgroup_info 0
		.amdhsa_system_vgpr_workitem_id 0
		.amdhsa_next_free_vgpr 1
		.amdhsa_next_free_sgpr 0
		.amdhsa_accum_offset 4
		.amdhsa_reserve_vcc 0
		.amdhsa_reserve_flat_scratch 0
		.amdhsa_float_round_mode_32 0
		.amdhsa_float_round_mode_16_64 0
		.amdhsa_float_denorm_mode_32 3
		.amdhsa_float_denorm_mode_16_64 3
		.amdhsa_dx10_clamp 1
		.amdhsa_ieee_mode 1
		.amdhsa_fp16_overflow 0
		.amdhsa_tg_split 0
		.amdhsa_exception_fp_ieee_invalid_op 0
		.amdhsa_exception_fp_denorm_src 0
		.amdhsa_exception_fp_ieee_div_zero 0
		.amdhsa_exception_fp_ieee_overflow 0
		.amdhsa_exception_fp_ieee_underflow 0
		.amdhsa_exception_fp_ieee_inexact 0
		.amdhsa_exception_int_div_zero 0
	.end_amdhsa_kernel
	.section	.text._ZN7rocprim17ROCPRIM_400000_NS6detail17trampoline_kernelINS0_14default_configENS1_25partition_config_selectorILNS1_17partition_subalgoE1EiNS0_10empty_typeEbEEZZNS1_14partition_implILS5_1ELb0ES3_jN6thrust23THRUST_200600_302600_NS6detail15normal_iteratorINSA_10device_ptrIiEEEEPS6_NSA_18transform_iteratorI7is_evenIiESF_NSA_11use_defaultESK_EENS0_5tupleIJSF_NSA_16discard_iteratorISK_EEEEENSM_IJSG_SG_EEES6_PlJS6_EEE10hipError_tPvRmT3_T4_T5_T6_T7_T9_mT8_P12ihipStream_tbDpT10_ENKUlT_T0_E_clISt17integral_constantIbLb1EES1B_EEDaS16_S17_EUlS16_E_NS1_11comp_targetILNS1_3genE10ELNS1_11target_archE1200ELNS1_3gpuE4ELNS1_3repE0EEENS1_30default_config_static_selectorELNS0_4arch9wavefront6targetE1EEEvT1_,"axG",@progbits,_ZN7rocprim17ROCPRIM_400000_NS6detail17trampoline_kernelINS0_14default_configENS1_25partition_config_selectorILNS1_17partition_subalgoE1EiNS0_10empty_typeEbEEZZNS1_14partition_implILS5_1ELb0ES3_jN6thrust23THRUST_200600_302600_NS6detail15normal_iteratorINSA_10device_ptrIiEEEEPS6_NSA_18transform_iteratorI7is_evenIiESF_NSA_11use_defaultESK_EENS0_5tupleIJSF_NSA_16discard_iteratorISK_EEEEENSM_IJSG_SG_EEES6_PlJS6_EEE10hipError_tPvRmT3_T4_T5_T6_T7_T9_mT8_P12ihipStream_tbDpT10_ENKUlT_T0_E_clISt17integral_constantIbLb1EES1B_EEDaS16_S17_EUlS16_E_NS1_11comp_targetILNS1_3genE10ELNS1_11target_archE1200ELNS1_3gpuE4ELNS1_3repE0EEENS1_30default_config_static_selectorELNS0_4arch9wavefront6targetE1EEEvT1_,comdat
.Lfunc_end3304:
	.size	_ZN7rocprim17ROCPRIM_400000_NS6detail17trampoline_kernelINS0_14default_configENS1_25partition_config_selectorILNS1_17partition_subalgoE1EiNS0_10empty_typeEbEEZZNS1_14partition_implILS5_1ELb0ES3_jN6thrust23THRUST_200600_302600_NS6detail15normal_iteratorINSA_10device_ptrIiEEEEPS6_NSA_18transform_iteratorI7is_evenIiESF_NSA_11use_defaultESK_EENS0_5tupleIJSF_NSA_16discard_iteratorISK_EEEEENSM_IJSG_SG_EEES6_PlJS6_EEE10hipError_tPvRmT3_T4_T5_T6_T7_T9_mT8_P12ihipStream_tbDpT10_ENKUlT_T0_E_clISt17integral_constantIbLb1EES1B_EEDaS16_S17_EUlS16_E_NS1_11comp_targetILNS1_3genE10ELNS1_11target_archE1200ELNS1_3gpuE4ELNS1_3repE0EEENS1_30default_config_static_selectorELNS0_4arch9wavefront6targetE1EEEvT1_, .Lfunc_end3304-_ZN7rocprim17ROCPRIM_400000_NS6detail17trampoline_kernelINS0_14default_configENS1_25partition_config_selectorILNS1_17partition_subalgoE1EiNS0_10empty_typeEbEEZZNS1_14partition_implILS5_1ELb0ES3_jN6thrust23THRUST_200600_302600_NS6detail15normal_iteratorINSA_10device_ptrIiEEEEPS6_NSA_18transform_iteratorI7is_evenIiESF_NSA_11use_defaultESK_EENS0_5tupleIJSF_NSA_16discard_iteratorISK_EEEEENSM_IJSG_SG_EEES6_PlJS6_EEE10hipError_tPvRmT3_T4_T5_T6_T7_T9_mT8_P12ihipStream_tbDpT10_ENKUlT_T0_E_clISt17integral_constantIbLb1EES1B_EEDaS16_S17_EUlS16_E_NS1_11comp_targetILNS1_3genE10ELNS1_11target_archE1200ELNS1_3gpuE4ELNS1_3repE0EEENS1_30default_config_static_selectorELNS0_4arch9wavefront6targetE1EEEvT1_
                                        ; -- End function
	.section	.AMDGPU.csdata,"",@progbits
; Kernel info:
; codeLenInByte = 0
; NumSgprs: 4
; NumVgprs: 0
; NumAgprs: 0
; TotalNumVgprs: 0
; ScratchSize: 0
; MemoryBound: 0
; FloatMode: 240
; IeeeMode: 1
; LDSByteSize: 0 bytes/workgroup (compile time only)
; SGPRBlocks: 0
; VGPRBlocks: 0
; NumSGPRsForWavesPerEU: 4
; NumVGPRsForWavesPerEU: 1
; AccumOffset: 4
; Occupancy: 8
; WaveLimiterHint : 0
; COMPUTE_PGM_RSRC2:SCRATCH_EN: 0
; COMPUTE_PGM_RSRC2:USER_SGPR: 6
; COMPUTE_PGM_RSRC2:TRAP_HANDLER: 0
; COMPUTE_PGM_RSRC2:TGID_X_EN: 1
; COMPUTE_PGM_RSRC2:TGID_Y_EN: 0
; COMPUTE_PGM_RSRC2:TGID_Z_EN: 0
; COMPUTE_PGM_RSRC2:TIDIG_COMP_CNT: 0
; COMPUTE_PGM_RSRC3_GFX90A:ACCUM_OFFSET: 0
; COMPUTE_PGM_RSRC3_GFX90A:TG_SPLIT: 0
	.section	.text._ZN7rocprim17ROCPRIM_400000_NS6detail17trampoline_kernelINS0_14default_configENS1_25partition_config_selectorILNS1_17partition_subalgoE1EiNS0_10empty_typeEbEEZZNS1_14partition_implILS5_1ELb0ES3_jN6thrust23THRUST_200600_302600_NS6detail15normal_iteratorINSA_10device_ptrIiEEEEPS6_NSA_18transform_iteratorI7is_evenIiESF_NSA_11use_defaultESK_EENS0_5tupleIJSF_NSA_16discard_iteratorISK_EEEEENSM_IJSG_SG_EEES6_PlJS6_EEE10hipError_tPvRmT3_T4_T5_T6_T7_T9_mT8_P12ihipStream_tbDpT10_ENKUlT_T0_E_clISt17integral_constantIbLb1EES1B_EEDaS16_S17_EUlS16_E_NS1_11comp_targetILNS1_3genE9ELNS1_11target_archE1100ELNS1_3gpuE3ELNS1_3repE0EEENS1_30default_config_static_selectorELNS0_4arch9wavefront6targetE1EEEvT1_,"axG",@progbits,_ZN7rocprim17ROCPRIM_400000_NS6detail17trampoline_kernelINS0_14default_configENS1_25partition_config_selectorILNS1_17partition_subalgoE1EiNS0_10empty_typeEbEEZZNS1_14partition_implILS5_1ELb0ES3_jN6thrust23THRUST_200600_302600_NS6detail15normal_iteratorINSA_10device_ptrIiEEEEPS6_NSA_18transform_iteratorI7is_evenIiESF_NSA_11use_defaultESK_EENS0_5tupleIJSF_NSA_16discard_iteratorISK_EEEEENSM_IJSG_SG_EEES6_PlJS6_EEE10hipError_tPvRmT3_T4_T5_T6_T7_T9_mT8_P12ihipStream_tbDpT10_ENKUlT_T0_E_clISt17integral_constantIbLb1EES1B_EEDaS16_S17_EUlS16_E_NS1_11comp_targetILNS1_3genE9ELNS1_11target_archE1100ELNS1_3gpuE3ELNS1_3repE0EEENS1_30default_config_static_selectorELNS0_4arch9wavefront6targetE1EEEvT1_,comdat
	.protected	_ZN7rocprim17ROCPRIM_400000_NS6detail17trampoline_kernelINS0_14default_configENS1_25partition_config_selectorILNS1_17partition_subalgoE1EiNS0_10empty_typeEbEEZZNS1_14partition_implILS5_1ELb0ES3_jN6thrust23THRUST_200600_302600_NS6detail15normal_iteratorINSA_10device_ptrIiEEEEPS6_NSA_18transform_iteratorI7is_evenIiESF_NSA_11use_defaultESK_EENS0_5tupleIJSF_NSA_16discard_iteratorISK_EEEEENSM_IJSG_SG_EEES6_PlJS6_EEE10hipError_tPvRmT3_T4_T5_T6_T7_T9_mT8_P12ihipStream_tbDpT10_ENKUlT_T0_E_clISt17integral_constantIbLb1EES1B_EEDaS16_S17_EUlS16_E_NS1_11comp_targetILNS1_3genE9ELNS1_11target_archE1100ELNS1_3gpuE3ELNS1_3repE0EEENS1_30default_config_static_selectorELNS0_4arch9wavefront6targetE1EEEvT1_ ; -- Begin function _ZN7rocprim17ROCPRIM_400000_NS6detail17trampoline_kernelINS0_14default_configENS1_25partition_config_selectorILNS1_17partition_subalgoE1EiNS0_10empty_typeEbEEZZNS1_14partition_implILS5_1ELb0ES3_jN6thrust23THRUST_200600_302600_NS6detail15normal_iteratorINSA_10device_ptrIiEEEEPS6_NSA_18transform_iteratorI7is_evenIiESF_NSA_11use_defaultESK_EENS0_5tupleIJSF_NSA_16discard_iteratorISK_EEEEENSM_IJSG_SG_EEES6_PlJS6_EEE10hipError_tPvRmT3_T4_T5_T6_T7_T9_mT8_P12ihipStream_tbDpT10_ENKUlT_T0_E_clISt17integral_constantIbLb1EES1B_EEDaS16_S17_EUlS16_E_NS1_11comp_targetILNS1_3genE9ELNS1_11target_archE1100ELNS1_3gpuE3ELNS1_3repE0EEENS1_30default_config_static_selectorELNS0_4arch9wavefront6targetE1EEEvT1_
	.globl	_ZN7rocprim17ROCPRIM_400000_NS6detail17trampoline_kernelINS0_14default_configENS1_25partition_config_selectorILNS1_17partition_subalgoE1EiNS0_10empty_typeEbEEZZNS1_14partition_implILS5_1ELb0ES3_jN6thrust23THRUST_200600_302600_NS6detail15normal_iteratorINSA_10device_ptrIiEEEEPS6_NSA_18transform_iteratorI7is_evenIiESF_NSA_11use_defaultESK_EENS0_5tupleIJSF_NSA_16discard_iteratorISK_EEEEENSM_IJSG_SG_EEES6_PlJS6_EEE10hipError_tPvRmT3_T4_T5_T6_T7_T9_mT8_P12ihipStream_tbDpT10_ENKUlT_T0_E_clISt17integral_constantIbLb1EES1B_EEDaS16_S17_EUlS16_E_NS1_11comp_targetILNS1_3genE9ELNS1_11target_archE1100ELNS1_3gpuE3ELNS1_3repE0EEENS1_30default_config_static_selectorELNS0_4arch9wavefront6targetE1EEEvT1_
	.p2align	8
	.type	_ZN7rocprim17ROCPRIM_400000_NS6detail17trampoline_kernelINS0_14default_configENS1_25partition_config_selectorILNS1_17partition_subalgoE1EiNS0_10empty_typeEbEEZZNS1_14partition_implILS5_1ELb0ES3_jN6thrust23THRUST_200600_302600_NS6detail15normal_iteratorINSA_10device_ptrIiEEEEPS6_NSA_18transform_iteratorI7is_evenIiESF_NSA_11use_defaultESK_EENS0_5tupleIJSF_NSA_16discard_iteratorISK_EEEEENSM_IJSG_SG_EEES6_PlJS6_EEE10hipError_tPvRmT3_T4_T5_T6_T7_T9_mT8_P12ihipStream_tbDpT10_ENKUlT_T0_E_clISt17integral_constantIbLb1EES1B_EEDaS16_S17_EUlS16_E_NS1_11comp_targetILNS1_3genE9ELNS1_11target_archE1100ELNS1_3gpuE3ELNS1_3repE0EEENS1_30default_config_static_selectorELNS0_4arch9wavefront6targetE1EEEvT1_,@function
_ZN7rocprim17ROCPRIM_400000_NS6detail17trampoline_kernelINS0_14default_configENS1_25partition_config_selectorILNS1_17partition_subalgoE1EiNS0_10empty_typeEbEEZZNS1_14partition_implILS5_1ELb0ES3_jN6thrust23THRUST_200600_302600_NS6detail15normal_iteratorINSA_10device_ptrIiEEEEPS6_NSA_18transform_iteratorI7is_evenIiESF_NSA_11use_defaultESK_EENS0_5tupleIJSF_NSA_16discard_iteratorISK_EEEEENSM_IJSG_SG_EEES6_PlJS6_EEE10hipError_tPvRmT3_T4_T5_T6_T7_T9_mT8_P12ihipStream_tbDpT10_ENKUlT_T0_E_clISt17integral_constantIbLb1EES1B_EEDaS16_S17_EUlS16_E_NS1_11comp_targetILNS1_3genE9ELNS1_11target_archE1100ELNS1_3gpuE3ELNS1_3repE0EEENS1_30default_config_static_selectorELNS0_4arch9wavefront6targetE1EEEvT1_: ; @_ZN7rocprim17ROCPRIM_400000_NS6detail17trampoline_kernelINS0_14default_configENS1_25partition_config_selectorILNS1_17partition_subalgoE1EiNS0_10empty_typeEbEEZZNS1_14partition_implILS5_1ELb0ES3_jN6thrust23THRUST_200600_302600_NS6detail15normal_iteratorINSA_10device_ptrIiEEEEPS6_NSA_18transform_iteratorI7is_evenIiESF_NSA_11use_defaultESK_EENS0_5tupleIJSF_NSA_16discard_iteratorISK_EEEEENSM_IJSG_SG_EEES6_PlJS6_EEE10hipError_tPvRmT3_T4_T5_T6_T7_T9_mT8_P12ihipStream_tbDpT10_ENKUlT_T0_E_clISt17integral_constantIbLb1EES1B_EEDaS16_S17_EUlS16_E_NS1_11comp_targetILNS1_3genE9ELNS1_11target_archE1100ELNS1_3gpuE3ELNS1_3repE0EEENS1_30default_config_static_selectorELNS0_4arch9wavefront6targetE1EEEvT1_
; %bb.0:
	.section	.rodata,"a",@progbits
	.p2align	6, 0x0
	.amdhsa_kernel _ZN7rocprim17ROCPRIM_400000_NS6detail17trampoline_kernelINS0_14default_configENS1_25partition_config_selectorILNS1_17partition_subalgoE1EiNS0_10empty_typeEbEEZZNS1_14partition_implILS5_1ELb0ES3_jN6thrust23THRUST_200600_302600_NS6detail15normal_iteratorINSA_10device_ptrIiEEEEPS6_NSA_18transform_iteratorI7is_evenIiESF_NSA_11use_defaultESK_EENS0_5tupleIJSF_NSA_16discard_iteratorISK_EEEEENSM_IJSG_SG_EEES6_PlJS6_EEE10hipError_tPvRmT3_T4_T5_T6_T7_T9_mT8_P12ihipStream_tbDpT10_ENKUlT_T0_E_clISt17integral_constantIbLb1EES1B_EEDaS16_S17_EUlS16_E_NS1_11comp_targetILNS1_3genE9ELNS1_11target_archE1100ELNS1_3gpuE3ELNS1_3repE0EEENS1_30default_config_static_selectorELNS0_4arch9wavefront6targetE1EEEvT1_
		.amdhsa_group_segment_fixed_size 0
		.amdhsa_private_segment_fixed_size 0
		.amdhsa_kernarg_size 152
		.amdhsa_user_sgpr_count 6
		.amdhsa_user_sgpr_private_segment_buffer 1
		.amdhsa_user_sgpr_dispatch_ptr 0
		.amdhsa_user_sgpr_queue_ptr 0
		.amdhsa_user_sgpr_kernarg_segment_ptr 1
		.amdhsa_user_sgpr_dispatch_id 0
		.amdhsa_user_sgpr_flat_scratch_init 0
		.amdhsa_user_sgpr_kernarg_preload_length 0
		.amdhsa_user_sgpr_kernarg_preload_offset 0
		.amdhsa_user_sgpr_private_segment_size 0
		.amdhsa_uses_dynamic_stack 0
		.amdhsa_system_sgpr_private_segment_wavefront_offset 0
		.amdhsa_system_sgpr_workgroup_id_x 1
		.amdhsa_system_sgpr_workgroup_id_y 0
		.amdhsa_system_sgpr_workgroup_id_z 0
		.amdhsa_system_sgpr_workgroup_info 0
		.amdhsa_system_vgpr_workitem_id 0
		.amdhsa_next_free_vgpr 1
		.amdhsa_next_free_sgpr 0
		.amdhsa_accum_offset 4
		.amdhsa_reserve_vcc 0
		.amdhsa_reserve_flat_scratch 0
		.amdhsa_float_round_mode_32 0
		.amdhsa_float_round_mode_16_64 0
		.amdhsa_float_denorm_mode_32 3
		.amdhsa_float_denorm_mode_16_64 3
		.amdhsa_dx10_clamp 1
		.amdhsa_ieee_mode 1
		.amdhsa_fp16_overflow 0
		.amdhsa_tg_split 0
		.amdhsa_exception_fp_ieee_invalid_op 0
		.amdhsa_exception_fp_denorm_src 0
		.amdhsa_exception_fp_ieee_div_zero 0
		.amdhsa_exception_fp_ieee_overflow 0
		.amdhsa_exception_fp_ieee_underflow 0
		.amdhsa_exception_fp_ieee_inexact 0
		.amdhsa_exception_int_div_zero 0
	.end_amdhsa_kernel
	.section	.text._ZN7rocprim17ROCPRIM_400000_NS6detail17trampoline_kernelINS0_14default_configENS1_25partition_config_selectorILNS1_17partition_subalgoE1EiNS0_10empty_typeEbEEZZNS1_14partition_implILS5_1ELb0ES3_jN6thrust23THRUST_200600_302600_NS6detail15normal_iteratorINSA_10device_ptrIiEEEEPS6_NSA_18transform_iteratorI7is_evenIiESF_NSA_11use_defaultESK_EENS0_5tupleIJSF_NSA_16discard_iteratorISK_EEEEENSM_IJSG_SG_EEES6_PlJS6_EEE10hipError_tPvRmT3_T4_T5_T6_T7_T9_mT8_P12ihipStream_tbDpT10_ENKUlT_T0_E_clISt17integral_constantIbLb1EES1B_EEDaS16_S17_EUlS16_E_NS1_11comp_targetILNS1_3genE9ELNS1_11target_archE1100ELNS1_3gpuE3ELNS1_3repE0EEENS1_30default_config_static_selectorELNS0_4arch9wavefront6targetE1EEEvT1_,"axG",@progbits,_ZN7rocprim17ROCPRIM_400000_NS6detail17trampoline_kernelINS0_14default_configENS1_25partition_config_selectorILNS1_17partition_subalgoE1EiNS0_10empty_typeEbEEZZNS1_14partition_implILS5_1ELb0ES3_jN6thrust23THRUST_200600_302600_NS6detail15normal_iteratorINSA_10device_ptrIiEEEEPS6_NSA_18transform_iteratorI7is_evenIiESF_NSA_11use_defaultESK_EENS0_5tupleIJSF_NSA_16discard_iteratorISK_EEEEENSM_IJSG_SG_EEES6_PlJS6_EEE10hipError_tPvRmT3_T4_T5_T6_T7_T9_mT8_P12ihipStream_tbDpT10_ENKUlT_T0_E_clISt17integral_constantIbLb1EES1B_EEDaS16_S17_EUlS16_E_NS1_11comp_targetILNS1_3genE9ELNS1_11target_archE1100ELNS1_3gpuE3ELNS1_3repE0EEENS1_30default_config_static_selectorELNS0_4arch9wavefront6targetE1EEEvT1_,comdat
.Lfunc_end3305:
	.size	_ZN7rocprim17ROCPRIM_400000_NS6detail17trampoline_kernelINS0_14default_configENS1_25partition_config_selectorILNS1_17partition_subalgoE1EiNS0_10empty_typeEbEEZZNS1_14partition_implILS5_1ELb0ES3_jN6thrust23THRUST_200600_302600_NS6detail15normal_iteratorINSA_10device_ptrIiEEEEPS6_NSA_18transform_iteratorI7is_evenIiESF_NSA_11use_defaultESK_EENS0_5tupleIJSF_NSA_16discard_iteratorISK_EEEEENSM_IJSG_SG_EEES6_PlJS6_EEE10hipError_tPvRmT3_T4_T5_T6_T7_T9_mT8_P12ihipStream_tbDpT10_ENKUlT_T0_E_clISt17integral_constantIbLb1EES1B_EEDaS16_S17_EUlS16_E_NS1_11comp_targetILNS1_3genE9ELNS1_11target_archE1100ELNS1_3gpuE3ELNS1_3repE0EEENS1_30default_config_static_selectorELNS0_4arch9wavefront6targetE1EEEvT1_, .Lfunc_end3305-_ZN7rocprim17ROCPRIM_400000_NS6detail17trampoline_kernelINS0_14default_configENS1_25partition_config_selectorILNS1_17partition_subalgoE1EiNS0_10empty_typeEbEEZZNS1_14partition_implILS5_1ELb0ES3_jN6thrust23THRUST_200600_302600_NS6detail15normal_iteratorINSA_10device_ptrIiEEEEPS6_NSA_18transform_iteratorI7is_evenIiESF_NSA_11use_defaultESK_EENS0_5tupleIJSF_NSA_16discard_iteratorISK_EEEEENSM_IJSG_SG_EEES6_PlJS6_EEE10hipError_tPvRmT3_T4_T5_T6_T7_T9_mT8_P12ihipStream_tbDpT10_ENKUlT_T0_E_clISt17integral_constantIbLb1EES1B_EEDaS16_S17_EUlS16_E_NS1_11comp_targetILNS1_3genE9ELNS1_11target_archE1100ELNS1_3gpuE3ELNS1_3repE0EEENS1_30default_config_static_selectorELNS0_4arch9wavefront6targetE1EEEvT1_
                                        ; -- End function
	.section	.AMDGPU.csdata,"",@progbits
; Kernel info:
; codeLenInByte = 0
; NumSgprs: 4
; NumVgprs: 0
; NumAgprs: 0
; TotalNumVgprs: 0
; ScratchSize: 0
; MemoryBound: 0
; FloatMode: 240
; IeeeMode: 1
; LDSByteSize: 0 bytes/workgroup (compile time only)
; SGPRBlocks: 0
; VGPRBlocks: 0
; NumSGPRsForWavesPerEU: 4
; NumVGPRsForWavesPerEU: 1
; AccumOffset: 4
; Occupancy: 8
; WaveLimiterHint : 0
; COMPUTE_PGM_RSRC2:SCRATCH_EN: 0
; COMPUTE_PGM_RSRC2:USER_SGPR: 6
; COMPUTE_PGM_RSRC2:TRAP_HANDLER: 0
; COMPUTE_PGM_RSRC2:TGID_X_EN: 1
; COMPUTE_PGM_RSRC2:TGID_Y_EN: 0
; COMPUTE_PGM_RSRC2:TGID_Z_EN: 0
; COMPUTE_PGM_RSRC2:TIDIG_COMP_CNT: 0
; COMPUTE_PGM_RSRC3_GFX90A:ACCUM_OFFSET: 0
; COMPUTE_PGM_RSRC3_GFX90A:TG_SPLIT: 0
	.section	.text._ZN7rocprim17ROCPRIM_400000_NS6detail17trampoline_kernelINS0_14default_configENS1_25partition_config_selectorILNS1_17partition_subalgoE1EiNS0_10empty_typeEbEEZZNS1_14partition_implILS5_1ELb0ES3_jN6thrust23THRUST_200600_302600_NS6detail15normal_iteratorINSA_10device_ptrIiEEEEPS6_NSA_18transform_iteratorI7is_evenIiESF_NSA_11use_defaultESK_EENS0_5tupleIJSF_NSA_16discard_iteratorISK_EEEEENSM_IJSG_SG_EEES6_PlJS6_EEE10hipError_tPvRmT3_T4_T5_T6_T7_T9_mT8_P12ihipStream_tbDpT10_ENKUlT_T0_E_clISt17integral_constantIbLb1EES1B_EEDaS16_S17_EUlS16_E_NS1_11comp_targetILNS1_3genE8ELNS1_11target_archE1030ELNS1_3gpuE2ELNS1_3repE0EEENS1_30default_config_static_selectorELNS0_4arch9wavefront6targetE1EEEvT1_,"axG",@progbits,_ZN7rocprim17ROCPRIM_400000_NS6detail17trampoline_kernelINS0_14default_configENS1_25partition_config_selectorILNS1_17partition_subalgoE1EiNS0_10empty_typeEbEEZZNS1_14partition_implILS5_1ELb0ES3_jN6thrust23THRUST_200600_302600_NS6detail15normal_iteratorINSA_10device_ptrIiEEEEPS6_NSA_18transform_iteratorI7is_evenIiESF_NSA_11use_defaultESK_EENS0_5tupleIJSF_NSA_16discard_iteratorISK_EEEEENSM_IJSG_SG_EEES6_PlJS6_EEE10hipError_tPvRmT3_T4_T5_T6_T7_T9_mT8_P12ihipStream_tbDpT10_ENKUlT_T0_E_clISt17integral_constantIbLb1EES1B_EEDaS16_S17_EUlS16_E_NS1_11comp_targetILNS1_3genE8ELNS1_11target_archE1030ELNS1_3gpuE2ELNS1_3repE0EEENS1_30default_config_static_selectorELNS0_4arch9wavefront6targetE1EEEvT1_,comdat
	.protected	_ZN7rocprim17ROCPRIM_400000_NS6detail17trampoline_kernelINS0_14default_configENS1_25partition_config_selectorILNS1_17partition_subalgoE1EiNS0_10empty_typeEbEEZZNS1_14partition_implILS5_1ELb0ES3_jN6thrust23THRUST_200600_302600_NS6detail15normal_iteratorINSA_10device_ptrIiEEEEPS6_NSA_18transform_iteratorI7is_evenIiESF_NSA_11use_defaultESK_EENS0_5tupleIJSF_NSA_16discard_iteratorISK_EEEEENSM_IJSG_SG_EEES6_PlJS6_EEE10hipError_tPvRmT3_T4_T5_T6_T7_T9_mT8_P12ihipStream_tbDpT10_ENKUlT_T0_E_clISt17integral_constantIbLb1EES1B_EEDaS16_S17_EUlS16_E_NS1_11comp_targetILNS1_3genE8ELNS1_11target_archE1030ELNS1_3gpuE2ELNS1_3repE0EEENS1_30default_config_static_selectorELNS0_4arch9wavefront6targetE1EEEvT1_ ; -- Begin function _ZN7rocprim17ROCPRIM_400000_NS6detail17trampoline_kernelINS0_14default_configENS1_25partition_config_selectorILNS1_17partition_subalgoE1EiNS0_10empty_typeEbEEZZNS1_14partition_implILS5_1ELb0ES3_jN6thrust23THRUST_200600_302600_NS6detail15normal_iteratorINSA_10device_ptrIiEEEEPS6_NSA_18transform_iteratorI7is_evenIiESF_NSA_11use_defaultESK_EENS0_5tupleIJSF_NSA_16discard_iteratorISK_EEEEENSM_IJSG_SG_EEES6_PlJS6_EEE10hipError_tPvRmT3_T4_T5_T6_T7_T9_mT8_P12ihipStream_tbDpT10_ENKUlT_T0_E_clISt17integral_constantIbLb1EES1B_EEDaS16_S17_EUlS16_E_NS1_11comp_targetILNS1_3genE8ELNS1_11target_archE1030ELNS1_3gpuE2ELNS1_3repE0EEENS1_30default_config_static_selectorELNS0_4arch9wavefront6targetE1EEEvT1_
	.globl	_ZN7rocprim17ROCPRIM_400000_NS6detail17trampoline_kernelINS0_14default_configENS1_25partition_config_selectorILNS1_17partition_subalgoE1EiNS0_10empty_typeEbEEZZNS1_14partition_implILS5_1ELb0ES3_jN6thrust23THRUST_200600_302600_NS6detail15normal_iteratorINSA_10device_ptrIiEEEEPS6_NSA_18transform_iteratorI7is_evenIiESF_NSA_11use_defaultESK_EENS0_5tupleIJSF_NSA_16discard_iteratorISK_EEEEENSM_IJSG_SG_EEES6_PlJS6_EEE10hipError_tPvRmT3_T4_T5_T6_T7_T9_mT8_P12ihipStream_tbDpT10_ENKUlT_T0_E_clISt17integral_constantIbLb1EES1B_EEDaS16_S17_EUlS16_E_NS1_11comp_targetILNS1_3genE8ELNS1_11target_archE1030ELNS1_3gpuE2ELNS1_3repE0EEENS1_30default_config_static_selectorELNS0_4arch9wavefront6targetE1EEEvT1_
	.p2align	8
	.type	_ZN7rocprim17ROCPRIM_400000_NS6detail17trampoline_kernelINS0_14default_configENS1_25partition_config_selectorILNS1_17partition_subalgoE1EiNS0_10empty_typeEbEEZZNS1_14partition_implILS5_1ELb0ES3_jN6thrust23THRUST_200600_302600_NS6detail15normal_iteratorINSA_10device_ptrIiEEEEPS6_NSA_18transform_iteratorI7is_evenIiESF_NSA_11use_defaultESK_EENS0_5tupleIJSF_NSA_16discard_iteratorISK_EEEEENSM_IJSG_SG_EEES6_PlJS6_EEE10hipError_tPvRmT3_T4_T5_T6_T7_T9_mT8_P12ihipStream_tbDpT10_ENKUlT_T0_E_clISt17integral_constantIbLb1EES1B_EEDaS16_S17_EUlS16_E_NS1_11comp_targetILNS1_3genE8ELNS1_11target_archE1030ELNS1_3gpuE2ELNS1_3repE0EEENS1_30default_config_static_selectorELNS0_4arch9wavefront6targetE1EEEvT1_,@function
_ZN7rocprim17ROCPRIM_400000_NS6detail17trampoline_kernelINS0_14default_configENS1_25partition_config_selectorILNS1_17partition_subalgoE1EiNS0_10empty_typeEbEEZZNS1_14partition_implILS5_1ELb0ES3_jN6thrust23THRUST_200600_302600_NS6detail15normal_iteratorINSA_10device_ptrIiEEEEPS6_NSA_18transform_iteratorI7is_evenIiESF_NSA_11use_defaultESK_EENS0_5tupleIJSF_NSA_16discard_iteratorISK_EEEEENSM_IJSG_SG_EEES6_PlJS6_EEE10hipError_tPvRmT3_T4_T5_T6_T7_T9_mT8_P12ihipStream_tbDpT10_ENKUlT_T0_E_clISt17integral_constantIbLb1EES1B_EEDaS16_S17_EUlS16_E_NS1_11comp_targetILNS1_3genE8ELNS1_11target_archE1030ELNS1_3gpuE2ELNS1_3repE0EEENS1_30default_config_static_selectorELNS0_4arch9wavefront6targetE1EEEvT1_: ; @_ZN7rocprim17ROCPRIM_400000_NS6detail17trampoline_kernelINS0_14default_configENS1_25partition_config_selectorILNS1_17partition_subalgoE1EiNS0_10empty_typeEbEEZZNS1_14partition_implILS5_1ELb0ES3_jN6thrust23THRUST_200600_302600_NS6detail15normal_iteratorINSA_10device_ptrIiEEEEPS6_NSA_18transform_iteratorI7is_evenIiESF_NSA_11use_defaultESK_EENS0_5tupleIJSF_NSA_16discard_iteratorISK_EEEEENSM_IJSG_SG_EEES6_PlJS6_EEE10hipError_tPvRmT3_T4_T5_T6_T7_T9_mT8_P12ihipStream_tbDpT10_ENKUlT_T0_E_clISt17integral_constantIbLb1EES1B_EEDaS16_S17_EUlS16_E_NS1_11comp_targetILNS1_3genE8ELNS1_11target_archE1030ELNS1_3gpuE2ELNS1_3repE0EEENS1_30default_config_static_selectorELNS0_4arch9wavefront6targetE1EEEvT1_
; %bb.0:
	.section	.rodata,"a",@progbits
	.p2align	6, 0x0
	.amdhsa_kernel _ZN7rocprim17ROCPRIM_400000_NS6detail17trampoline_kernelINS0_14default_configENS1_25partition_config_selectorILNS1_17partition_subalgoE1EiNS0_10empty_typeEbEEZZNS1_14partition_implILS5_1ELb0ES3_jN6thrust23THRUST_200600_302600_NS6detail15normal_iteratorINSA_10device_ptrIiEEEEPS6_NSA_18transform_iteratorI7is_evenIiESF_NSA_11use_defaultESK_EENS0_5tupleIJSF_NSA_16discard_iteratorISK_EEEEENSM_IJSG_SG_EEES6_PlJS6_EEE10hipError_tPvRmT3_T4_T5_T6_T7_T9_mT8_P12ihipStream_tbDpT10_ENKUlT_T0_E_clISt17integral_constantIbLb1EES1B_EEDaS16_S17_EUlS16_E_NS1_11comp_targetILNS1_3genE8ELNS1_11target_archE1030ELNS1_3gpuE2ELNS1_3repE0EEENS1_30default_config_static_selectorELNS0_4arch9wavefront6targetE1EEEvT1_
		.amdhsa_group_segment_fixed_size 0
		.amdhsa_private_segment_fixed_size 0
		.amdhsa_kernarg_size 152
		.amdhsa_user_sgpr_count 6
		.amdhsa_user_sgpr_private_segment_buffer 1
		.amdhsa_user_sgpr_dispatch_ptr 0
		.amdhsa_user_sgpr_queue_ptr 0
		.amdhsa_user_sgpr_kernarg_segment_ptr 1
		.amdhsa_user_sgpr_dispatch_id 0
		.amdhsa_user_sgpr_flat_scratch_init 0
		.amdhsa_user_sgpr_kernarg_preload_length 0
		.amdhsa_user_sgpr_kernarg_preload_offset 0
		.amdhsa_user_sgpr_private_segment_size 0
		.amdhsa_uses_dynamic_stack 0
		.amdhsa_system_sgpr_private_segment_wavefront_offset 0
		.amdhsa_system_sgpr_workgroup_id_x 1
		.amdhsa_system_sgpr_workgroup_id_y 0
		.amdhsa_system_sgpr_workgroup_id_z 0
		.amdhsa_system_sgpr_workgroup_info 0
		.amdhsa_system_vgpr_workitem_id 0
		.amdhsa_next_free_vgpr 1
		.amdhsa_next_free_sgpr 0
		.amdhsa_accum_offset 4
		.amdhsa_reserve_vcc 0
		.amdhsa_reserve_flat_scratch 0
		.amdhsa_float_round_mode_32 0
		.amdhsa_float_round_mode_16_64 0
		.amdhsa_float_denorm_mode_32 3
		.amdhsa_float_denorm_mode_16_64 3
		.amdhsa_dx10_clamp 1
		.amdhsa_ieee_mode 1
		.amdhsa_fp16_overflow 0
		.amdhsa_tg_split 0
		.amdhsa_exception_fp_ieee_invalid_op 0
		.amdhsa_exception_fp_denorm_src 0
		.amdhsa_exception_fp_ieee_div_zero 0
		.amdhsa_exception_fp_ieee_overflow 0
		.amdhsa_exception_fp_ieee_underflow 0
		.amdhsa_exception_fp_ieee_inexact 0
		.amdhsa_exception_int_div_zero 0
	.end_amdhsa_kernel
	.section	.text._ZN7rocprim17ROCPRIM_400000_NS6detail17trampoline_kernelINS0_14default_configENS1_25partition_config_selectorILNS1_17partition_subalgoE1EiNS0_10empty_typeEbEEZZNS1_14partition_implILS5_1ELb0ES3_jN6thrust23THRUST_200600_302600_NS6detail15normal_iteratorINSA_10device_ptrIiEEEEPS6_NSA_18transform_iteratorI7is_evenIiESF_NSA_11use_defaultESK_EENS0_5tupleIJSF_NSA_16discard_iteratorISK_EEEEENSM_IJSG_SG_EEES6_PlJS6_EEE10hipError_tPvRmT3_T4_T5_T6_T7_T9_mT8_P12ihipStream_tbDpT10_ENKUlT_T0_E_clISt17integral_constantIbLb1EES1B_EEDaS16_S17_EUlS16_E_NS1_11comp_targetILNS1_3genE8ELNS1_11target_archE1030ELNS1_3gpuE2ELNS1_3repE0EEENS1_30default_config_static_selectorELNS0_4arch9wavefront6targetE1EEEvT1_,"axG",@progbits,_ZN7rocprim17ROCPRIM_400000_NS6detail17trampoline_kernelINS0_14default_configENS1_25partition_config_selectorILNS1_17partition_subalgoE1EiNS0_10empty_typeEbEEZZNS1_14partition_implILS5_1ELb0ES3_jN6thrust23THRUST_200600_302600_NS6detail15normal_iteratorINSA_10device_ptrIiEEEEPS6_NSA_18transform_iteratorI7is_evenIiESF_NSA_11use_defaultESK_EENS0_5tupleIJSF_NSA_16discard_iteratorISK_EEEEENSM_IJSG_SG_EEES6_PlJS6_EEE10hipError_tPvRmT3_T4_T5_T6_T7_T9_mT8_P12ihipStream_tbDpT10_ENKUlT_T0_E_clISt17integral_constantIbLb1EES1B_EEDaS16_S17_EUlS16_E_NS1_11comp_targetILNS1_3genE8ELNS1_11target_archE1030ELNS1_3gpuE2ELNS1_3repE0EEENS1_30default_config_static_selectorELNS0_4arch9wavefront6targetE1EEEvT1_,comdat
.Lfunc_end3306:
	.size	_ZN7rocprim17ROCPRIM_400000_NS6detail17trampoline_kernelINS0_14default_configENS1_25partition_config_selectorILNS1_17partition_subalgoE1EiNS0_10empty_typeEbEEZZNS1_14partition_implILS5_1ELb0ES3_jN6thrust23THRUST_200600_302600_NS6detail15normal_iteratorINSA_10device_ptrIiEEEEPS6_NSA_18transform_iteratorI7is_evenIiESF_NSA_11use_defaultESK_EENS0_5tupleIJSF_NSA_16discard_iteratorISK_EEEEENSM_IJSG_SG_EEES6_PlJS6_EEE10hipError_tPvRmT3_T4_T5_T6_T7_T9_mT8_P12ihipStream_tbDpT10_ENKUlT_T0_E_clISt17integral_constantIbLb1EES1B_EEDaS16_S17_EUlS16_E_NS1_11comp_targetILNS1_3genE8ELNS1_11target_archE1030ELNS1_3gpuE2ELNS1_3repE0EEENS1_30default_config_static_selectorELNS0_4arch9wavefront6targetE1EEEvT1_, .Lfunc_end3306-_ZN7rocprim17ROCPRIM_400000_NS6detail17trampoline_kernelINS0_14default_configENS1_25partition_config_selectorILNS1_17partition_subalgoE1EiNS0_10empty_typeEbEEZZNS1_14partition_implILS5_1ELb0ES3_jN6thrust23THRUST_200600_302600_NS6detail15normal_iteratorINSA_10device_ptrIiEEEEPS6_NSA_18transform_iteratorI7is_evenIiESF_NSA_11use_defaultESK_EENS0_5tupleIJSF_NSA_16discard_iteratorISK_EEEEENSM_IJSG_SG_EEES6_PlJS6_EEE10hipError_tPvRmT3_T4_T5_T6_T7_T9_mT8_P12ihipStream_tbDpT10_ENKUlT_T0_E_clISt17integral_constantIbLb1EES1B_EEDaS16_S17_EUlS16_E_NS1_11comp_targetILNS1_3genE8ELNS1_11target_archE1030ELNS1_3gpuE2ELNS1_3repE0EEENS1_30default_config_static_selectorELNS0_4arch9wavefront6targetE1EEEvT1_
                                        ; -- End function
	.section	.AMDGPU.csdata,"",@progbits
; Kernel info:
; codeLenInByte = 0
; NumSgprs: 4
; NumVgprs: 0
; NumAgprs: 0
; TotalNumVgprs: 0
; ScratchSize: 0
; MemoryBound: 0
; FloatMode: 240
; IeeeMode: 1
; LDSByteSize: 0 bytes/workgroup (compile time only)
; SGPRBlocks: 0
; VGPRBlocks: 0
; NumSGPRsForWavesPerEU: 4
; NumVGPRsForWavesPerEU: 1
; AccumOffset: 4
; Occupancy: 8
; WaveLimiterHint : 0
; COMPUTE_PGM_RSRC2:SCRATCH_EN: 0
; COMPUTE_PGM_RSRC2:USER_SGPR: 6
; COMPUTE_PGM_RSRC2:TRAP_HANDLER: 0
; COMPUTE_PGM_RSRC2:TGID_X_EN: 1
; COMPUTE_PGM_RSRC2:TGID_Y_EN: 0
; COMPUTE_PGM_RSRC2:TGID_Z_EN: 0
; COMPUTE_PGM_RSRC2:TIDIG_COMP_CNT: 0
; COMPUTE_PGM_RSRC3_GFX90A:ACCUM_OFFSET: 0
; COMPUTE_PGM_RSRC3_GFX90A:TG_SPLIT: 0
	.section	.text._ZN7rocprim17ROCPRIM_400000_NS6detail17trampoline_kernelINS0_14default_configENS1_25partition_config_selectorILNS1_17partition_subalgoE1EiNS0_10empty_typeEbEEZZNS1_14partition_implILS5_1ELb0ES3_jN6thrust23THRUST_200600_302600_NS6detail15normal_iteratorINSA_10device_ptrIiEEEEPS6_NSA_18transform_iteratorI7is_evenIiESF_NSA_11use_defaultESK_EENS0_5tupleIJSF_NSA_16discard_iteratorISK_EEEEENSM_IJSG_SG_EEES6_PlJS6_EEE10hipError_tPvRmT3_T4_T5_T6_T7_T9_mT8_P12ihipStream_tbDpT10_ENKUlT_T0_E_clISt17integral_constantIbLb1EES1A_IbLb0EEEEDaS16_S17_EUlS16_E_NS1_11comp_targetILNS1_3genE0ELNS1_11target_archE4294967295ELNS1_3gpuE0ELNS1_3repE0EEENS1_30default_config_static_selectorELNS0_4arch9wavefront6targetE1EEEvT1_,"axG",@progbits,_ZN7rocprim17ROCPRIM_400000_NS6detail17trampoline_kernelINS0_14default_configENS1_25partition_config_selectorILNS1_17partition_subalgoE1EiNS0_10empty_typeEbEEZZNS1_14partition_implILS5_1ELb0ES3_jN6thrust23THRUST_200600_302600_NS6detail15normal_iteratorINSA_10device_ptrIiEEEEPS6_NSA_18transform_iteratorI7is_evenIiESF_NSA_11use_defaultESK_EENS0_5tupleIJSF_NSA_16discard_iteratorISK_EEEEENSM_IJSG_SG_EEES6_PlJS6_EEE10hipError_tPvRmT3_T4_T5_T6_T7_T9_mT8_P12ihipStream_tbDpT10_ENKUlT_T0_E_clISt17integral_constantIbLb1EES1A_IbLb0EEEEDaS16_S17_EUlS16_E_NS1_11comp_targetILNS1_3genE0ELNS1_11target_archE4294967295ELNS1_3gpuE0ELNS1_3repE0EEENS1_30default_config_static_selectorELNS0_4arch9wavefront6targetE1EEEvT1_,comdat
	.protected	_ZN7rocprim17ROCPRIM_400000_NS6detail17trampoline_kernelINS0_14default_configENS1_25partition_config_selectorILNS1_17partition_subalgoE1EiNS0_10empty_typeEbEEZZNS1_14partition_implILS5_1ELb0ES3_jN6thrust23THRUST_200600_302600_NS6detail15normal_iteratorINSA_10device_ptrIiEEEEPS6_NSA_18transform_iteratorI7is_evenIiESF_NSA_11use_defaultESK_EENS0_5tupleIJSF_NSA_16discard_iteratorISK_EEEEENSM_IJSG_SG_EEES6_PlJS6_EEE10hipError_tPvRmT3_T4_T5_T6_T7_T9_mT8_P12ihipStream_tbDpT10_ENKUlT_T0_E_clISt17integral_constantIbLb1EES1A_IbLb0EEEEDaS16_S17_EUlS16_E_NS1_11comp_targetILNS1_3genE0ELNS1_11target_archE4294967295ELNS1_3gpuE0ELNS1_3repE0EEENS1_30default_config_static_selectorELNS0_4arch9wavefront6targetE1EEEvT1_ ; -- Begin function _ZN7rocprim17ROCPRIM_400000_NS6detail17trampoline_kernelINS0_14default_configENS1_25partition_config_selectorILNS1_17partition_subalgoE1EiNS0_10empty_typeEbEEZZNS1_14partition_implILS5_1ELb0ES3_jN6thrust23THRUST_200600_302600_NS6detail15normal_iteratorINSA_10device_ptrIiEEEEPS6_NSA_18transform_iteratorI7is_evenIiESF_NSA_11use_defaultESK_EENS0_5tupleIJSF_NSA_16discard_iteratorISK_EEEEENSM_IJSG_SG_EEES6_PlJS6_EEE10hipError_tPvRmT3_T4_T5_T6_T7_T9_mT8_P12ihipStream_tbDpT10_ENKUlT_T0_E_clISt17integral_constantIbLb1EES1A_IbLb0EEEEDaS16_S17_EUlS16_E_NS1_11comp_targetILNS1_3genE0ELNS1_11target_archE4294967295ELNS1_3gpuE0ELNS1_3repE0EEENS1_30default_config_static_selectorELNS0_4arch9wavefront6targetE1EEEvT1_
	.globl	_ZN7rocprim17ROCPRIM_400000_NS6detail17trampoline_kernelINS0_14default_configENS1_25partition_config_selectorILNS1_17partition_subalgoE1EiNS0_10empty_typeEbEEZZNS1_14partition_implILS5_1ELb0ES3_jN6thrust23THRUST_200600_302600_NS6detail15normal_iteratorINSA_10device_ptrIiEEEEPS6_NSA_18transform_iteratorI7is_evenIiESF_NSA_11use_defaultESK_EENS0_5tupleIJSF_NSA_16discard_iteratorISK_EEEEENSM_IJSG_SG_EEES6_PlJS6_EEE10hipError_tPvRmT3_T4_T5_T6_T7_T9_mT8_P12ihipStream_tbDpT10_ENKUlT_T0_E_clISt17integral_constantIbLb1EES1A_IbLb0EEEEDaS16_S17_EUlS16_E_NS1_11comp_targetILNS1_3genE0ELNS1_11target_archE4294967295ELNS1_3gpuE0ELNS1_3repE0EEENS1_30default_config_static_selectorELNS0_4arch9wavefront6targetE1EEEvT1_
	.p2align	8
	.type	_ZN7rocprim17ROCPRIM_400000_NS6detail17trampoline_kernelINS0_14default_configENS1_25partition_config_selectorILNS1_17partition_subalgoE1EiNS0_10empty_typeEbEEZZNS1_14partition_implILS5_1ELb0ES3_jN6thrust23THRUST_200600_302600_NS6detail15normal_iteratorINSA_10device_ptrIiEEEEPS6_NSA_18transform_iteratorI7is_evenIiESF_NSA_11use_defaultESK_EENS0_5tupleIJSF_NSA_16discard_iteratorISK_EEEEENSM_IJSG_SG_EEES6_PlJS6_EEE10hipError_tPvRmT3_T4_T5_T6_T7_T9_mT8_P12ihipStream_tbDpT10_ENKUlT_T0_E_clISt17integral_constantIbLb1EES1A_IbLb0EEEEDaS16_S17_EUlS16_E_NS1_11comp_targetILNS1_3genE0ELNS1_11target_archE4294967295ELNS1_3gpuE0ELNS1_3repE0EEENS1_30default_config_static_selectorELNS0_4arch9wavefront6targetE1EEEvT1_,@function
_ZN7rocprim17ROCPRIM_400000_NS6detail17trampoline_kernelINS0_14default_configENS1_25partition_config_selectorILNS1_17partition_subalgoE1EiNS0_10empty_typeEbEEZZNS1_14partition_implILS5_1ELb0ES3_jN6thrust23THRUST_200600_302600_NS6detail15normal_iteratorINSA_10device_ptrIiEEEEPS6_NSA_18transform_iteratorI7is_evenIiESF_NSA_11use_defaultESK_EENS0_5tupleIJSF_NSA_16discard_iteratorISK_EEEEENSM_IJSG_SG_EEES6_PlJS6_EEE10hipError_tPvRmT3_T4_T5_T6_T7_T9_mT8_P12ihipStream_tbDpT10_ENKUlT_T0_E_clISt17integral_constantIbLb1EES1A_IbLb0EEEEDaS16_S17_EUlS16_E_NS1_11comp_targetILNS1_3genE0ELNS1_11target_archE4294967295ELNS1_3gpuE0ELNS1_3repE0EEENS1_30default_config_static_selectorELNS0_4arch9wavefront6targetE1EEEvT1_: ; @_ZN7rocprim17ROCPRIM_400000_NS6detail17trampoline_kernelINS0_14default_configENS1_25partition_config_selectorILNS1_17partition_subalgoE1EiNS0_10empty_typeEbEEZZNS1_14partition_implILS5_1ELb0ES3_jN6thrust23THRUST_200600_302600_NS6detail15normal_iteratorINSA_10device_ptrIiEEEEPS6_NSA_18transform_iteratorI7is_evenIiESF_NSA_11use_defaultESK_EENS0_5tupleIJSF_NSA_16discard_iteratorISK_EEEEENSM_IJSG_SG_EEES6_PlJS6_EEE10hipError_tPvRmT3_T4_T5_T6_T7_T9_mT8_P12ihipStream_tbDpT10_ENKUlT_T0_E_clISt17integral_constantIbLb1EES1A_IbLb0EEEEDaS16_S17_EUlS16_E_NS1_11comp_targetILNS1_3genE0ELNS1_11target_archE4294967295ELNS1_3gpuE0ELNS1_3repE0EEENS1_30default_config_static_selectorELNS0_4arch9wavefront6targetE1EEEvT1_
; %bb.0:
	.section	.rodata,"a",@progbits
	.p2align	6, 0x0
	.amdhsa_kernel _ZN7rocprim17ROCPRIM_400000_NS6detail17trampoline_kernelINS0_14default_configENS1_25partition_config_selectorILNS1_17partition_subalgoE1EiNS0_10empty_typeEbEEZZNS1_14partition_implILS5_1ELb0ES3_jN6thrust23THRUST_200600_302600_NS6detail15normal_iteratorINSA_10device_ptrIiEEEEPS6_NSA_18transform_iteratorI7is_evenIiESF_NSA_11use_defaultESK_EENS0_5tupleIJSF_NSA_16discard_iteratorISK_EEEEENSM_IJSG_SG_EEES6_PlJS6_EEE10hipError_tPvRmT3_T4_T5_T6_T7_T9_mT8_P12ihipStream_tbDpT10_ENKUlT_T0_E_clISt17integral_constantIbLb1EES1A_IbLb0EEEEDaS16_S17_EUlS16_E_NS1_11comp_targetILNS1_3genE0ELNS1_11target_archE4294967295ELNS1_3gpuE0ELNS1_3repE0EEENS1_30default_config_static_selectorELNS0_4arch9wavefront6targetE1EEEvT1_
		.amdhsa_group_segment_fixed_size 0
		.amdhsa_private_segment_fixed_size 0
		.amdhsa_kernarg_size 136
		.amdhsa_user_sgpr_count 6
		.amdhsa_user_sgpr_private_segment_buffer 1
		.amdhsa_user_sgpr_dispatch_ptr 0
		.amdhsa_user_sgpr_queue_ptr 0
		.amdhsa_user_sgpr_kernarg_segment_ptr 1
		.amdhsa_user_sgpr_dispatch_id 0
		.amdhsa_user_sgpr_flat_scratch_init 0
		.amdhsa_user_sgpr_kernarg_preload_length 0
		.amdhsa_user_sgpr_kernarg_preload_offset 0
		.amdhsa_user_sgpr_private_segment_size 0
		.amdhsa_uses_dynamic_stack 0
		.amdhsa_system_sgpr_private_segment_wavefront_offset 0
		.amdhsa_system_sgpr_workgroup_id_x 1
		.amdhsa_system_sgpr_workgroup_id_y 0
		.amdhsa_system_sgpr_workgroup_id_z 0
		.amdhsa_system_sgpr_workgroup_info 0
		.amdhsa_system_vgpr_workitem_id 0
		.amdhsa_next_free_vgpr 1
		.amdhsa_next_free_sgpr 0
		.amdhsa_accum_offset 4
		.amdhsa_reserve_vcc 0
		.amdhsa_reserve_flat_scratch 0
		.amdhsa_float_round_mode_32 0
		.amdhsa_float_round_mode_16_64 0
		.amdhsa_float_denorm_mode_32 3
		.amdhsa_float_denorm_mode_16_64 3
		.amdhsa_dx10_clamp 1
		.amdhsa_ieee_mode 1
		.amdhsa_fp16_overflow 0
		.amdhsa_tg_split 0
		.amdhsa_exception_fp_ieee_invalid_op 0
		.amdhsa_exception_fp_denorm_src 0
		.amdhsa_exception_fp_ieee_div_zero 0
		.amdhsa_exception_fp_ieee_overflow 0
		.amdhsa_exception_fp_ieee_underflow 0
		.amdhsa_exception_fp_ieee_inexact 0
		.amdhsa_exception_int_div_zero 0
	.end_amdhsa_kernel
	.section	.text._ZN7rocprim17ROCPRIM_400000_NS6detail17trampoline_kernelINS0_14default_configENS1_25partition_config_selectorILNS1_17partition_subalgoE1EiNS0_10empty_typeEbEEZZNS1_14partition_implILS5_1ELb0ES3_jN6thrust23THRUST_200600_302600_NS6detail15normal_iteratorINSA_10device_ptrIiEEEEPS6_NSA_18transform_iteratorI7is_evenIiESF_NSA_11use_defaultESK_EENS0_5tupleIJSF_NSA_16discard_iteratorISK_EEEEENSM_IJSG_SG_EEES6_PlJS6_EEE10hipError_tPvRmT3_T4_T5_T6_T7_T9_mT8_P12ihipStream_tbDpT10_ENKUlT_T0_E_clISt17integral_constantIbLb1EES1A_IbLb0EEEEDaS16_S17_EUlS16_E_NS1_11comp_targetILNS1_3genE0ELNS1_11target_archE4294967295ELNS1_3gpuE0ELNS1_3repE0EEENS1_30default_config_static_selectorELNS0_4arch9wavefront6targetE1EEEvT1_,"axG",@progbits,_ZN7rocprim17ROCPRIM_400000_NS6detail17trampoline_kernelINS0_14default_configENS1_25partition_config_selectorILNS1_17partition_subalgoE1EiNS0_10empty_typeEbEEZZNS1_14partition_implILS5_1ELb0ES3_jN6thrust23THRUST_200600_302600_NS6detail15normal_iteratorINSA_10device_ptrIiEEEEPS6_NSA_18transform_iteratorI7is_evenIiESF_NSA_11use_defaultESK_EENS0_5tupleIJSF_NSA_16discard_iteratorISK_EEEEENSM_IJSG_SG_EEES6_PlJS6_EEE10hipError_tPvRmT3_T4_T5_T6_T7_T9_mT8_P12ihipStream_tbDpT10_ENKUlT_T0_E_clISt17integral_constantIbLb1EES1A_IbLb0EEEEDaS16_S17_EUlS16_E_NS1_11comp_targetILNS1_3genE0ELNS1_11target_archE4294967295ELNS1_3gpuE0ELNS1_3repE0EEENS1_30default_config_static_selectorELNS0_4arch9wavefront6targetE1EEEvT1_,comdat
.Lfunc_end3307:
	.size	_ZN7rocprim17ROCPRIM_400000_NS6detail17trampoline_kernelINS0_14default_configENS1_25partition_config_selectorILNS1_17partition_subalgoE1EiNS0_10empty_typeEbEEZZNS1_14partition_implILS5_1ELb0ES3_jN6thrust23THRUST_200600_302600_NS6detail15normal_iteratorINSA_10device_ptrIiEEEEPS6_NSA_18transform_iteratorI7is_evenIiESF_NSA_11use_defaultESK_EENS0_5tupleIJSF_NSA_16discard_iteratorISK_EEEEENSM_IJSG_SG_EEES6_PlJS6_EEE10hipError_tPvRmT3_T4_T5_T6_T7_T9_mT8_P12ihipStream_tbDpT10_ENKUlT_T0_E_clISt17integral_constantIbLb1EES1A_IbLb0EEEEDaS16_S17_EUlS16_E_NS1_11comp_targetILNS1_3genE0ELNS1_11target_archE4294967295ELNS1_3gpuE0ELNS1_3repE0EEENS1_30default_config_static_selectorELNS0_4arch9wavefront6targetE1EEEvT1_, .Lfunc_end3307-_ZN7rocprim17ROCPRIM_400000_NS6detail17trampoline_kernelINS0_14default_configENS1_25partition_config_selectorILNS1_17partition_subalgoE1EiNS0_10empty_typeEbEEZZNS1_14partition_implILS5_1ELb0ES3_jN6thrust23THRUST_200600_302600_NS6detail15normal_iteratorINSA_10device_ptrIiEEEEPS6_NSA_18transform_iteratorI7is_evenIiESF_NSA_11use_defaultESK_EENS0_5tupleIJSF_NSA_16discard_iteratorISK_EEEEENSM_IJSG_SG_EEES6_PlJS6_EEE10hipError_tPvRmT3_T4_T5_T6_T7_T9_mT8_P12ihipStream_tbDpT10_ENKUlT_T0_E_clISt17integral_constantIbLb1EES1A_IbLb0EEEEDaS16_S17_EUlS16_E_NS1_11comp_targetILNS1_3genE0ELNS1_11target_archE4294967295ELNS1_3gpuE0ELNS1_3repE0EEENS1_30default_config_static_selectorELNS0_4arch9wavefront6targetE1EEEvT1_
                                        ; -- End function
	.section	.AMDGPU.csdata,"",@progbits
; Kernel info:
; codeLenInByte = 0
; NumSgprs: 4
; NumVgprs: 0
; NumAgprs: 0
; TotalNumVgprs: 0
; ScratchSize: 0
; MemoryBound: 0
; FloatMode: 240
; IeeeMode: 1
; LDSByteSize: 0 bytes/workgroup (compile time only)
; SGPRBlocks: 0
; VGPRBlocks: 0
; NumSGPRsForWavesPerEU: 4
; NumVGPRsForWavesPerEU: 1
; AccumOffset: 4
; Occupancy: 8
; WaveLimiterHint : 0
; COMPUTE_PGM_RSRC2:SCRATCH_EN: 0
; COMPUTE_PGM_RSRC2:USER_SGPR: 6
; COMPUTE_PGM_RSRC2:TRAP_HANDLER: 0
; COMPUTE_PGM_RSRC2:TGID_X_EN: 1
; COMPUTE_PGM_RSRC2:TGID_Y_EN: 0
; COMPUTE_PGM_RSRC2:TGID_Z_EN: 0
; COMPUTE_PGM_RSRC2:TIDIG_COMP_CNT: 0
; COMPUTE_PGM_RSRC3_GFX90A:ACCUM_OFFSET: 0
; COMPUTE_PGM_RSRC3_GFX90A:TG_SPLIT: 0
	.section	.text._ZN7rocprim17ROCPRIM_400000_NS6detail17trampoline_kernelINS0_14default_configENS1_25partition_config_selectorILNS1_17partition_subalgoE1EiNS0_10empty_typeEbEEZZNS1_14partition_implILS5_1ELb0ES3_jN6thrust23THRUST_200600_302600_NS6detail15normal_iteratorINSA_10device_ptrIiEEEEPS6_NSA_18transform_iteratorI7is_evenIiESF_NSA_11use_defaultESK_EENS0_5tupleIJSF_NSA_16discard_iteratorISK_EEEEENSM_IJSG_SG_EEES6_PlJS6_EEE10hipError_tPvRmT3_T4_T5_T6_T7_T9_mT8_P12ihipStream_tbDpT10_ENKUlT_T0_E_clISt17integral_constantIbLb1EES1A_IbLb0EEEEDaS16_S17_EUlS16_E_NS1_11comp_targetILNS1_3genE5ELNS1_11target_archE942ELNS1_3gpuE9ELNS1_3repE0EEENS1_30default_config_static_selectorELNS0_4arch9wavefront6targetE1EEEvT1_,"axG",@progbits,_ZN7rocprim17ROCPRIM_400000_NS6detail17trampoline_kernelINS0_14default_configENS1_25partition_config_selectorILNS1_17partition_subalgoE1EiNS0_10empty_typeEbEEZZNS1_14partition_implILS5_1ELb0ES3_jN6thrust23THRUST_200600_302600_NS6detail15normal_iteratorINSA_10device_ptrIiEEEEPS6_NSA_18transform_iteratorI7is_evenIiESF_NSA_11use_defaultESK_EENS0_5tupleIJSF_NSA_16discard_iteratorISK_EEEEENSM_IJSG_SG_EEES6_PlJS6_EEE10hipError_tPvRmT3_T4_T5_T6_T7_T9_mT8_P12ihipStream_tbDpT10_ENKUlT_T0_E_clISt17integral_constantIbLb1EES1A_IbLb0EEEEDaS16_S17_EUlS16_E_NS1_11comp_targetILNS1_3genE5ELNS1_11target_archE942ELNS1_3gpuE9ELNS1_3repE0EEENS1_30default_config_static_selectorELNS0_4arch9wavefront6targetE1EEEvT1_,comdat
	.protected	_ZN7rocprim17ROCPRIM_400000_NS6detail17trampoline_kernelINS0_14default_configENS1_25partition_config_selectorILNS1_17partition_subalgoE1EiNS0_10empty_typeEbEEZZNS1_14partition_implILS5_1ELb0ES3_jN6thrust23THRUST_200600_302600_NS6detail15normal_iteratorINSA_10device_ptrIiEEEEPS6_NSA_18transform_iteratorI7is_evenIiESF_NSA_11use_defaultESK_EENS0_5tupleIJSF_NSA_16discard_iteratorISK_EEEEENSM_IJSG_SG_EEES6_PlJS6_EEE10hipError_tPvRmT3_T4_T5_T6_T7_T9_mT8_P12ihipStream_tbDpT10_ENKUlT_T0_E_clISt17integral_constantIbLb1EES1A_IbLb0EEEEDaS16_S17_EUlS16_E_NS1_11comp_targetILNS1_3genE5ELNS1_11target_archE942ELNS1_3gpuE9ELNS1_3repE0EEENS1_30default_config_static_selectorELNS0_4arch9wavefront6targetE1EEEvT1_ ; -- Begin function _ZN7rocprim17ROCPRIM_400000_NS6detail17trampoline_kernelINS0_14default_configENS1_25partition_config_selectorILNS1_17partition_subalgoE1EiNS0_10empty_typeEbEEZZNS1_14partition_implILS5_1ELb0ES3_jN6thrust23THRUST_200600_302600_NS6detail15normal_iteratorINSA_10device_ptrIiEEEEPS6_NSA_18transform_iteratorI7is_evenIiESF_NSA_11use_defaultESK_EENS0_5tupleIJSF_NSA_16discard_iteratorISK_EEEEENSM_IJSG_SG_EEES6_PlJS6_EEE10hipError_tPvRmT3_T4_T5_T6_T7_T9_mT8_P12ihipStream_tbDpT10_ENKUlT_T0_E_clISt17integral_constantIbLb1EES1A_IbLb0EEEEDaS16_S17_EUlS16_E_NS1_11comp_targetILNS1_3genE5ELNS1_11target_archE942ELNS1_3gpuE9ELNS1_3repE0EEENS1_30default_config_static_selectorELNS0_4arch9wavefront6targetE1EEEvT1_
	.globl	_ZN7rocprim17ROCPRIM_400000_NS6detail17trampoline_kernelINS0_14default_configENS1_25partition_config_selectorILNS1_17partition_subalgoE1EiNS0_10empty_typeEbEEZZNS1_14partition_implILS5_1ELb0ES3_jN6thrust23THRUST_200600_302600_NS6detail15normal_iteratorINSA_10device_ptrIiEEEEPS6_NSA_18transform_iteratorI7is_evenIiESF_NSA_11use_defaultESK_EENS0_5tupleIJSF_NSA_16discard_iteratorISK_EEEEENSM_IJSG_SG_EEES6_PlJS6_EEE10hipError_tPvRmT3_T4_T5_T6_T7_T9_mT8_P12ihipStream_tbDpT10_ENKUlT_T0_E_clISt17integral_constantIbLb1EES1A_IbLb0EEEEDaS16_S17_EUlS16_E_NS1_11comp_targetILNS1_3genE5ELNS1_11target_archE942ELNS1_3gpuE9ELNS1_3repE0EEENS1_30default_config_static_selectorELNS0_4arch9wavefront6targetE1EEEvT1_
	.p2align	8
	.type	_ZN7rocprim17ROCPRIM_400000_NS6detail17trampoline_kernelINS0_14default_configENS1_25partition_config_selectorILNS1_17partition_subalgoE1EiNS0_10empty_typeEbEEZZNS1_14partition_implILS5_1ELb0ES3_jN6thrust23THRUST_200600_302600_NS6detail15normal_iteratorINSA_10device_ptrIiEEEEPS6_NSA_18transform_iteratorI7is_evenIiESF_NSA_11use_defaultESK_EENS0_5tupleIJSF_NSA_16discard_iteratorISK_EEEEENSM_IJSG_SG_EEES6_PlJS6_EEE10hipError_tPvRmT3_T4_T5_T6_T7_T9_mT8_P12ihipStream_tbDpT10_ENKUlT_T0_E_clISt17integral_constantIbLb1EES1A_IbLb0EEEEDaS16_S17_EUlS16_E_NS1_11comp_targetILNS1_3genE5ELNS1_11target_archE942ELNS1_3gpuE9ELNS1_3repE0EEENS1_30default_config_static_selectorELNS0_4arch9wavefront6targetE1EEEvT1_,@function
_ZN7rocprim17ROCPRIM_400000_NS6detail17trampoline_kernelINS0_14default_configENS1_25partition_config_selectorILNS1_17partition_subalgoE1EiNS0_10empty_typeEbEEZZNS1_14partition_implILS5_1ELb0ES3_jN6thrust23THRUST_200600_302600_NS6detail15normal_iteratorINSA_10device_ptrIiEEEEPS6_NSA_18transform_iteratorI7is_evenIiESF_NSA_11use_defaultESK_EENS0_5tupleIJSF_NSA_16discard_iteratorISK_EEEEENSM_IJSG_SG_EEES6_PlJS6_EEE10hipError_tPvRmT3_T4_T5_T6_T7_T9_mT8_P12ihipStream_tbDpT10_ENKUlT_T0_E_clISt17integral_constantIbLb1EES1A_IbLb0EEEEDaS16_S17_EUlS16_E_NS1_11comp_targetILNS1_3genE5ELNS1_11target_archE942ELNS1_3gpuE9ELNS1_3repE0EEENS1_30default_config_static_selectorELNS0_4arch9wavefront6targetE1EEEvT1_: ; @_ZN7rocprim17ROCPRIM_400000_NS6detail17trampoline_kernelINS0_14default_configENS1_25partition_config_selectorILNS1_17partition_subalgoE1EiNS0_10empty_typeEbEEZZNS1_14partition_implILS5_1ELb0ES3_jN6thrust23THRUST_200600_302600_NS6detail15normal_iteratorINSA_10device_ptrIiEEEEPS6_NSA_18transform_iteratorI7is_evenIiESF_NSA_11use_defaultESK_EENS0_5tupleIJSF_NSA_16discard_iteratorISK_EEEEENSM_IJSG_SG_EEES6_PlJS6_EEE10hipError_tPvRmT3_T4_T5_T6_T7_T9_mT8_P12ihipStream_tbDpT10_ENKUlT_T0_E_clISt17integral_constantIbLb1EES1A_IbLb0EEEEDaS16_S17_EUlS16_E_NS1_11comp_targetILNS1_3genE5ELNS1_11target_archE942ELNS1_3gpuE9ELNS1_3repE0EEENS1_30default_config_static_selectorELNS0_4arch9wavefront6targetE1EEEvT1_
; %bb.0:
	.section	.rodata,"a",@progbits
	.p2align	6, 0x0
	.amdhsa_kernel _ZN7rocprim17ROCPRIM_400000_NS6detail17trampoline_kernelINS0_14default_configENS1_25partition_config_selectorILNS1_17partition_subalgoE1EiNS0_10empty_typeEbEEZZNS1_14partition_implILS5_1ELb0ES3_jN6thrust23THRUST_200600_302600_NS6detail15normal_iteratorINSA_10device_ptrIiEEEEPS6_NSA_18transform_iteratorI7is_evenIiESF_NSA_11use_defaultESK_EENS0_5tupleIJSF_NSA_16discard_iteratorISK_EEEEENSM_IJSG_SG_EEES6_PlJS6_EEE10hipError_tPvRmT3_T4_T5_T6_T7_T9_mT8_P12ihipStream_tbDpT10_ENKUlT_T0_E_clISt17integral_constantIbLb1EES1A_IbLb0EEEEDaS16_S17_EUlS16_E_NS1_11comp_targetILNS1_3genE5ELNS1_11target_archE942ELNS1_3gpuE9ELNS1_3repE0EEENS1_30default_config_static_selectorELNS0_4arch9wavefront6targetE1EEEvT1_
		.amdhsa_group_segment_fixed_size 0
		.amdhsa_private_segment_fixed_size 0
		.amdhsa_kernarg_size 136
		.amdhsa_user_sgpr_count 6
		.amdhsa_user_sgpr_private_segment_buffer 1
		.amdhsa_user_sgpr_dispatch_ptr 0
		.amdhsa_user_sgpr_queue_ptr 0
		.amdhsa_user_sgpr_kernarg_segment_ptr 1
		.amdhsa_user_sgpr_dispatch_id 0
		.amdhsa_user_sgpr_flat_scratch_init 0
		.amdhsa_user_sgpr_kernarg_preload_length 0
		.amdhsa_user_sgpr_kernarg_preload_offset 0
		.amdhsa_user_sgpr_private_segment_size 0
		.amdhsa_uses_dynamic_stack 0
		.amdhsa_system_sgpr_private_segment_wavefront_offset 0
		.amdhsa_system_sgpr_workgroup_id_x 1
		.amdhsa_system_sgpr_workgroup_id_y 0
		.amdhsa_system_sgpr_workgroup_id_z 0
		.amdhsa_system_sgpr_workgroup_info 0
		.amdhsa_system_vgpr_workitem_id 0
		.amdhsa_next_free_vgpr 1
		.amdhsa_next_free_sgpr 0
		.amdhsa_accum_offset 4
		.amdhsa_reserve_vcc 0
		.amdhsa_reserve_flat_scratch 0
		.amdhsa_float_round_mode_32 0
		.amdhsa_float_round_mode_16_64 0
		.amdhsa_float_denorm_mode_32 3
		.amdhsa_float_denorm_mode_16_64 3
		.amdhsa_dx10_clamp 1
		.amdhsa_ieee_mode 1
		.amdhsa_fp16_overflow 0
		.amdhsa_tg_split 0
		.amdhsa_exception_fp_ieee_invalid_op 0
		.amdhsa_exception_fp_denorm_src 0
		.amdhsa_exception_fp_ieee_div_zero 0
		.amdhsa_exception_fp_ieee_overflow 0
		.amdhsa_exception_fp_ieee_underflow 0
		.amdhsa_exception_fp_ieee_inexact 0
		.amdhsa_exception_int_div_zero 0
	.end_amdhsa_kernel
	.section	.text._ZN7rocprim17ROCPRIM_400000_NS6detail17trampoline_kernelINS0_14default_configENS1_25partition_config_selectorILNS1_17partition_subalgoE1EiNS0_10empty_typeEbEEZZNS1_14partition_implILS5_1ELb0ES3_jN6thrust23THRUST_200600_302600_NS6detail15normal_iteratorINSA_10device_ptrIiEEEEPS6_NSA_18transform_iteratorI7is_evenIiESF_NSA_11use_defaultESK_EENS0_5tupleIJSF_NSA_16discard_iteratorISK_EEEEENSM_IJSG_SG_EEES6_PlJS6_EEE10hipError_tPvRmT3_T4_T5_T6_T7_T9_mT8_P12ihipStream_tbDpT10_ENKUlT_T0_E_clISt17integral_constantIbLb1EES1A_IbLb0EEEEDaS16_S17_EUlS16_E_NS1_11comp_targetILNS1_3genE5ELNS1_11target_archE942ELNS1_3gpuE9ELNS1_3repE0EEENS1_30default_config_static_selectorELNS0_4arch9wavefront6targetE1EEEvT1_,"axG",@progbits,_ZN7rocprim17ROCPRIM_400000_NS6detail17trampoline_kernelINS0_14default_configENS1_25partition_config_selectorILNS1_17partition_subalgoE1EiNS0_10empty_typeEbEEZZNS1_14partition_implILS5_1ELb0ES3_jN6thrust23THRUST_200600_302600_NS6detail15normal_iteratorINSA_10device_ptrIiEEEEPS6_NSA_18transform_iteratorI7is_evenIiESF_NSA_11use_defaultESK_EENS0_5tupleIJSF_NSA_16discard_iteratorISK_EEEEENSM_IJSG_SG_EEES6_PlJS6_EEE10hipError_tPvRmT3_T4_T5_T6_T7_T9_mT8_P12ihipStream_tbDpT10_ENKUlT_T0_E_clISt17integral_constantIbLb1EES1A_IbLb0EEEEDaS16_S17_EUlS16_E_NS1_11comp_targetILNS1_3genE5ELNS1_11target_archE942ELNS1_3gpuE9ELNS1_3repE0EEENS1_30default_config_static_selectorELNS0_4arch9wavefront6targetE1EEEvT1_,comdat
.Lfunc_end3308:
	.size	_ZN7rocprim17ROCPRIM_400000_NS6detail17trampoline_kernelINS0_14default_configENS1_25partition_config_selectorILNS1_17partition_subalgoE1EiNS0_10empty_typeEbEEZZNS1_14partition_implILS5_1ELb0ES3_jN6thrust23THRUST_200600_302600_NS6detail15normal_iteratorINSA_10device_ptrIiEEEEPS6_NSA_18transform_iteratorI7is_evenIiESF_NSA_11use_defaultESK_EENS0_5tupleIJSF_NSA_16discard_iteratorISK_EEEEENSM_IJSG_SG_EEES6_PlJS6_EEE10hipError_tPvRmT3_T4_T5_T6_T7_T9_mT8_P12ihipStream_tbDpT10_ENKUlT_T0_E_clISt17integral_constantIbLb1EES1A_IbLb0EEEEDaS16_S17_EUlS16_E_NS1_11comp_targetILNS1_3genE5ELNS1_11target_archE942ELNS1_3gpuE9ELNS1_3repE0EEENS1_30default_config_static_selectorELNS0_4arch9wavefront6targetE1EEEvT1_, .Lfunc_end3308-_ZN7rocprim17ROCPRIM_400000_NS6detail17trampoline_kernelINS0_14default_configENS1_25partition_config_selectorILNS1_17partition_subalgoE1EiNS0_10empty_typeEbEEZZNS1_14partition_implILS5_1ELb0ES3_jN6thrust23THRUST_200600_302600_NS6detail15normal_iteratorINSA_10device_ptrIiEEEEPS6_NSA_18transform_iteratorI7is_evenIiESF_NSA_11use_defaultESK_EENS0_5tupleIJSF_NSA_16discard_iteratorISK_EEEEENSM_IJSG_SG_EEES6_PlJS6_EEE10hipError_tPvRmT3_T4_T5_T6_T7_T9_mT8_P12ihipStream_tbDpT10_ENKUlT_T0_E_clISt17integral_constantIbLb1EES1A_IbLb0EEEEDaS16_S17_EUlS16_E_NS1_11comp_targetILNS1_3genE5ELNS1_11target_archE942ELNS1_3gpuE9ELNS1_3repE0EEENS1_30default_config_static_selectorELNS0_4arch9wavefront6targetE1EEEvT1_
                                        ; -- End function
	.section	.AMDGPU.csdata,"",@progbits
; Kernel info:
; codeLenInByte = 0
; NumSgprs: 4
; NumVgprs: 0
; NumAgprs: 0
; TotalNumVgprs: 0
; ScratchSize: 0
; MemoryBound: 0
; FloatMode: 240
; IeeeMode: 1
; LDSByteSize: 0 bytes/workgroup (compile time only)
; SGPRBlocks: 0
; VGPRBlocks: 0
; NumSGPRsForWavesPerEU: 4
; NumVGPRsForWavesPerEU: 1
; AccumOffset: 4
; Occupancy: 8
; WaveLimiterHint : 0
; COMPUTE_PGM_RSRC2:SCRATCH_EN: 0
; COMPUTE_PGM_RSRC2:USER_SGPR: 6
; COMPUTE_PGM_RSRC2:TRAP_HANDLER: 0
; COMPUTE_PGM_RSRC2:TGID_X_EN: 1
; COMPUTE_PGM_RSRC2:TGID_Y_EN: 0
; COMPUTE_PGM_RSRC2:TGID_Z_EN: 0
; COMPUTE_PGM_RSRC2:TIDIG_COMP_CNT: 0
; COMPUTE_PGM_RSRC3_GFX90A:ACCUM_OFFSET: 0
; COMPUTE_PGM_RSRC3_GFX90A:TG_SPLIT: 0
	.section	.text._ZN7rocprim17ROCPRIM_400000_NS6detail17trampoline_kernelINS0_14default_configENS1_25partition_config_selectorILNS1_17partition_subalgoE1EiNS0_10empty_typeEbEEZZNS1_14partition_implILS5_1ELb0ES3_jN6thrust23THRUST_200600_302600_NS6detail15normal_iteratorINSA_10device_ptrIiEEEEPS6_NSA_18transform_iteratorI7is_evenIiESF_NSA_11use_defaultESK_EENS0_5tupleIJSF_NSA_16discard_iteratorISK_EEEEENSM_IJSG_SG_EEES6_PlJS6_EEE10hipError_tPvRmT3_T4_T5_T6_T7_T9_mT8_P12ihipStream_tbDpT10_ENKUlT_T0_E_clISt17integral_constantIbLb1EES1A_IbLb0EEEEDaS16_S17_EUlS16_E_NS1_11comp_targetILNS1_3genE4ELNS1_11target_archE910ELNS1_3gpuE8ELNS1_3repE0EEENS1_30default_config_static_selectorELNS0_4arch9wavefront6targetE1EEEvT1_,"axG",@progbits,_ZN7rocprim17ROCPRIM_400000_NS6detail17trampoline_kernelINS0_14default_configENS1_25partition_config_selectorILNS1_17partition_subalgoE1EiNS0_10empty_typeEbEEZZNS1_14partition_implILS5_1ELb0ES3_jN6thrust23THRUST_200600_302600_NS6detail15normal_iteratorINSA_10device_ptrIiEEEEPS6_NSA_18transform_iteratorI7is_evenIiESF_NSA_11use_defaultESK_EENS0_5tupleIJSF_NSA_16discard_iteratorISK_EEEEENSM_IJSG_SG_EEES6_PlJS6_EEE10hipError_tPvRmT3_T4_T5_T6_T7_T9_mT8_P12ihipStream_tbDpT10_ENKUlT_T0_E_clISt17integral_constantIbLb1EES1A_IbLb0EEEEDaS16_S17_EUlS16_E_NS1_11comp_targetILNS1_3genE4ELNS1_11target_archE910ELNS1_3gpuE8ELNS1_3repE0EEENS1_30default_config_static_selectorELNS0_4arch9wavefront6targetE1EEEvT1_,comdat
	.protected	_ZN7rocprim17ROCPRIM_400000_NS6detail17trampoline_kernelINS0_14default_configENS1_25partition_config_selectorILNS1_17partition_subalgoE1EiNS0_10empty_typeEbEEZZNS1_14partition_implILS5_1ELb0ES3_jN6thrust23THRUST_200600_302600_NS6detail15normal_iteratorINSA_10device_ptrIiEEEEPS6_NSA_18transform_iteratorI7is_evenIiESF_NSA_11use_defaultESK_EENS0_5tupleIJSF_NSA_16discard_iteratorISK_EEEEENSM_IJSG_SG_EEES6_PlJS6_EEE10hipError_tPvRmT3_T4_T5_T6_T7_T9_mT8_P12ihipStream_tbDpT10_ENKUlT_T0_E_clISt17integral_constantIbLb1EES1A_IbLb0EEEEDaS16_S17_EUlS16_E_NS1_11comp_targetILNS1_3genE4ELNS1_11target_archE910ELNS1_3gpuE8ELNS1_3repE0EEENS1_30default_config_static_selectorELNS0_4arch9wavefront6targetE1EEEvT1_ ; -- Begin function _ZN7rocprim17ROCPRIM_400000_NS6detail17trampoline_kernelINS0_14default_configENS1_25partition_config_selectorILNS1_17partition_subalgoE1EiNS0_10empty_typeEbEEZZNS1_14partition_implILS5_1ELb0ES3_jN6thrust23THRUST_200600_302600_NS6detail15normal_iteratorINSA_10device_ptrIiEEEEPS6_NSA_18transform_iteratorI7is_evenIiESF_NSA_11use_defaultESK_EENS0_5tupleIJSF_NSA_16discard_iteratorISK_EEEEENSM_IJSG_SG_EEES6_PlJS6_EEE10hipError_tPvRmT3_T4_T5_T6_T7_T9_mT8_P12ihipStream_tbDpT10_ENKUlT_T0_E_clISt17integral_constantIbLb1EES1A_IbLb0EEEEDaS16_S17_EUlS16_E_NS1_11comp_targetILNS1_3genE4ELNS1_11target_archE910ELNS1_3gpuE8ELNS1_3repE0EEENS1_30default_config_static_selectorELNS0_4arch9wavefront6targetE1EEEvT1_
	.globl	_ZN7rocprim17ROCPRIM_400000_NS6detail17trampoline_kernelINS0_14default_configENS1_25partition_config_selectorILNS1_17partition_subalgoE1EiNS0_10empty_typeEbEEZZNS1_14partition_implILS5_1ELb0ES3_jN6thrust23THRUST_200600_302600_NS6detail15normal_iteratorINSA_10device_ptrIiEEEEPS6_NSA_18transform_iteratorI7is_evenIiESF_NSA_11use_defaultESK_EENS0_5tupleIJSF_NSA_16discard_iteratorISK_EEEEENSM_IJSG_SG_EEES6_PlJS6_EEE10hipError_tPvRmT3_T4_T5_T6_T7_T9_mT8_P12ihipStream_tbDpT10_ENKUlT_T0_E_clISt17integral_constantIbLb1EES1A_IbLb0EEEEDaS16_S17_EUlS16_E_NS1_11comp_targetILNS1_3genE4ELNS1_11target_archE910ELNS1_3gpuE8ELNS1_3repE0EEENS1_30default_config_static_selectorELNS0_4arch9wavefront6targetE1EEEvT1_
	.p2align	8
	.type	_ZN7rocprim17ROCPRIM_400000_NS6detail17trampoline_kernelINS0_14default_configENS1_25partition_config_selectorILNS1_17partition_subalgoE1EiNS0_10empty_typeEbEEZZNS1_14partition_implILS5_1ELb0ES3_jN6thrust23THRUST_200600_302600_NS6detail15normal_iteratorINSA_10device_ptrIiEEEEPS6_NSA_18transform_iteratorI7is_evenIiESF_NSA_11use_defaultESK_EENS0_5tupleIJSF_NSA_16discard_iteratorISK_EEEEENSM_IJSG_SG_EEES6_PlJS6_EEE10hipError_tPvRmT3_T4_T5_T6_T7_T9_mT8_P12ihipStream_tbDpT10_ENKUlT_T0_E_clISt17integral_constantIbLb1EES1A_IbLb0EEEEDaS16_S17_EUlS16_E_NS1_11comp_targetILNS1_3genE4ELNS1_11target_archE910ELNS1_3gpuE8ELNS1_3repE0EEENS1_30default_config_static_selectorELNS0_4arch9wavefront6targetE1EEEvT1_,@function
_ZN7rocprim17ROCPRIM_400000_NS6detail17trampoline_kernelINS0_14default_configENS1_25partition_config_selectorILNS1_17partition_subalgoE1EiNS0_10empty_typeEbEEZZNS1_14partition_implILS5_1ELb0ES3_jN6thrust23THRUST_200600_302600_NS6detail15normal_iteratorINSA_10device_ptrIiEEEEPS6_NSA_18transform_iteratorI7is_evenIiESF_NSA_11use_defaultESK_EENS0_5tupleIJSF_NSA_16discard_iteratorISK_EEEEENSM_IJSG_SG_EEES6_PlJS6_EEE10hipError_tPvRmT3_T4_T5_T6_T7_T9_mT8_P12ihipStream_tbDpT10_ENKUlT_T0_E_clISt17integral_constantIbLb1EES1A_IbLb0EEEEDaS16_S17_EUlS16_E_NS1_11comp_targetILNS1_3genE4ELNS1_11target_archE910ELNS1_3gpuE8ELNS1_3repE0EEENS1_30default_config_static_selectorELNS0_4arch9wavefront6targetE1EEEvT1_: ; @_ZN7rocprim17ROCPRIM_400000_NS6detail17trampoline_kernelINS0_14default_configENS1_25partition_config_selectorILNS1_17partition_subalgoE1EiNS0_10empty_typeEbEEZZNS1_14partition_implILS5_1ELb0ES3_jN6thrust23THRUST_200600_302600_NS6detail15normal_iteratorINSA_10device_ptrIiEEEEPS6_NSA_18transform_iteratorI7is_evenIiESF_NSA_11use_defaultESK_EENS0_5tupleIJSF_NSA_16discard_iteratorISK_EEEEENSM_IJSG_SG_EEES6_PlJS6_EEE10hipError_tPvRmT3_T4_T5_T6_T7_T9_mT8_P12ihipStream_tbDpT10_ENKUlT_T0_E_clISt17integral_constantIbLb1EES1A_IbLb0EEEEDaS16_S17_EUlS16_E_NS1_11comp_targetILNS1_3genE4ELNS1_11target_archE910ELNS1_3gpuE8ELNS1_3repE0EEENS1_30default_config_static_selectorELNS0_4arch9wavefront6targetE1EEEvT1_
; %bb.0:
	s_load_dwordx2 s[0:1], s[4:5], 0x68
	s_load_dwordx4 s[12:15], s[4:5], 0x8
	s_load_dwordx2 s[2:3], s[4:5], 0x20
	s_load_dwordx4 s[20:23], s[4:5], 0x58
	s_mul_i32 s10, s6, 0x700
	s_waitcnt lgkmcnt(0)
	v_mov_b32_e32 v3, s1
	s_load_dword s1, s[4:5], 0x80
	s_lshl_b64 s[8:9], s[14:15], 2
	s_add_u32 s7, s12, s8
	s_addc_u32 s12, s13, s9
	v_mov_b32_e32 v2, s0
	s_waitcnt lgkmcnt(0)
	s_add_i32 s13, s1, -1
	s_mulk_i32 s1, 0x700
	s_add_i32 s11, s1, s14
	s_sub_i32 s33, s0, s11
	s_addk_i32 s33, 0x700
	s_add_u32 s0, s14, s1
	s_addc_u32 s1, s15, 0
	s_cmp_eq_u32 s6, s13
	s_load_dwordx2 s[22:23], s[22:23], 0x0
	s_cselect_b64 s[24:25], -1, 0
	s_cmp_lg_u32 s6, s13
	s_mov_b32 s11, 0
	v_cmp_lt_u64_e32 vcc, s[0:1], v[2:3]
	s_cselect_b64 s[0:1], -1, 0
	s_or_b64 s[26:27], s[0:1], vcc
	s_lshl_b64 s[10:11], s[10:11], 2
	s_add_u32 s7, s7, s10
	s_addc_u32 s14, s12, s11
	s_mov_b64 s[0:1], -1
	s_and_b64 vcc, exec, s[26:27]
	v_lshlrev_b32_e32 v1, 2, v0
	s_cbranch_vccz .LBB3309_2
; %bb.1:
	v_mov_b32_e32 v3, s14
	v_add_co_u32_e32 v2, vcc, s7, v1
	v_addc_co_u32_e32 v3, vcc, 0, v3, vcc
	v_add_co_u32_e32 v4, vcc, 0x1000, v2
	v_addc_co_u32_e32 v5, vcc, 0, v3, vcc
	flat_load_dword v6, v[2:3]
	flat_load_dword v7, v[2:3] offset:1024
	flat_load_dword v8, v[2:3] offset:2048
	;; [unrolled: 1-line block ×3, first 2 shown]
	flat_load_dword v10, v[4:5]
	flat_load_dword v11, v[4:5] offset:1024
	flat_load_dword v12, v[4:5] offset:2048
	s_mov_b64 s[0:1], 0
	s_waitcnt vmcnt(0) lgkmcnt(0)
	ds_write2st64_b32 v1, v6, v7 offset1:4
	ds_write2st64_b32 v1, v8, v9 offset0:8 offset1:12
	ds_write2st64_b32 v1, v10, v11 offset0:16 offset1:20
	ds_write_b32 v1, v12 offset:6144
	s_waitcnt lgkmcnt(0)
	s_barrier
.LBB3309_2:
	s_andn2_b64 vcc, exec, s[0:1]
	v_cmp_gt_u32_e64 s[0:1], s33, v0
	s_cbranch_vccnz .LBB3309_18
; %bb.3:
                                        ; implicit-def: $vgpr2_vgpr3_vgpr4_vgpr5_vgpr6_vgpr7_vgpr8
	s_and_saveexec_b64 s[12:13], s[0:1]
	s_cbranch_execz .LBB3309_5
; %bb.4:
	v_mov_b32_e32 v3, s14
	v_add_co_u32_e32 v2, vcc, s7, v1
	v_addc_co_u32_e32 v3, vcc, 0, v3, vcc
	flat_load_dword v2, v[2:3]
.LBB3309_5:
	s_or_b64 exec, exec, s[12:13]
	v_or_b32_e32 v9, 0x100, v0
	v_cmp_gt_u32_e32 vcc, s33, v9
	s_and_saveexec_b64 s[0:1], vcc
	s_cbranch_execz .LBB3309_7
; %bb.6:
	v_mov_b32_e32 v3, s14
	v_add_co_u32_e32 v10, vcc, s7, v1
	v_addc_co_u32_e32 v11, vcc, 0, v3, vcc
	flat_load_dword v3, v[10:11] offset:1024
.LBB3309_7:
	s_or_b64 exec, exec, s[0:1]
	v_or_b32_e32 v9, 0x200, v0
	v_cmp_gt_u32_e32 vcc, s33, v9
	s_and_saveexec_b64 s[0:1], vcc
	s_cbranch_execz .LBB3309_9
; %bb.8:
	v_mov_b32_e32 v4, s14
	v_add_co_u32_e32 v10, vcc, s7, v1
	v_addc_co_u32_e32 v11, vcc, 0, v4, vcc
	flat_load_dword v4, v[10:11] offset:2048
.LBB3309_9:
	;; [unrolled: 11-line block ×3, first 2 shown]
	s_or_b64 exec, exec, s[0:1]
	v_or_b32_e32 v9, 0x400, v0
	v_cmp_gt_u32_e32 vcc, s33, v9
	s_and_saveexec_b64 s[0:1], vcc
	s_cbranch_execz .LBB3309_13
; %bb.12:
	v_lshlrev_b32_e32 v6, 2, v9
	v_mov_b32_e32 v9, s14
	v_add_co_u32_e32 v10, vcc, s7, v6
	v_addc_co_u32_e32 v11, vcc, 0, v9, vcc
	flat_load_dword v6, v[10:11]
.LBB3309_13:
	s_or_b64 exec, exec, s[0:1]
	v_or_b32_e32 v9, 0x500, v0
	v_cmp_gt_u32_e32 vcc, s33, v9
	s_and_saveexec_b64 s[0:1], vcc
	s_cbranch_execz .LBB3309_15
; %bb.14:
	v_lshlrev_b32_e32 v7, 2, v9
	v_mov_b32_e32 v9, s14
	v_add_co_u32_e32 v10, vcc, s7, v7
	v_addc_co_u32_e32 v11, vcc, 0, v9, vcc
	flat_load_dword v7, v[10:11]
.LBB3309_15:
	;; [unrolled: 12-line block ×3, first 2 shown]
	s_or_b64 exec, exec, s[0:1]
	s_waitcnt vmcnt(0) lgkmcnt(0)
	ds_write2st64_b32 v1, v2, v3 offset1:4
	ds_write2st64_b32 v1, v4, v5 offset0:8 offset1:12
	ds_write2st64_b32 v1, v6, v7 offset0:16 offset1:20
	ds_write_b32 v1, v8 offset:6144
	s_waitcnt lgkmcnt(0)
	s_barrier
.LBB3309_18:
	v_mul_u32_u24_e32 v19, 7, v0
	v_lshlrev_b32_e32 v8, 2, v19
	s_waitcnt lgkmcnt(0)
	ds_read2_b32 v[6:7], v8 offset1:1
	ds_read2_b32 v[4:5], v8 offset0:2 offset1:3
	ds_read2_b32 v[2:3], v8 offset0:4 offset1:5
	ds_read_b32 v18, v8 offset:24
	s_add_u32 s0, s2, s8
	s_addc_u32 s1, s3, s9
	s_add_u32 s0, s0, s10
	s_addc_u32 s1, s1, s11
	s_mov_b64 s[2:3], -1
	s_and_b64 vcc, exec, s[26:27]
	s_waitcnt lgkmcnt(0)
	s_barrier
	s_cbranch_vccz .LBB3309_20
; %bb.19:
	v_mov_b32_e32 v9, s1
	v_add_co_u32_e32 v10, vcc, s0, v1
	v_addc_co_u32_e32 v9, vcc, 0, v9, vcc
	s_movk_i32 s2, 0x1000
	v_add_co_u32_e32 v10, vcc, s2, v10
	global_load_dword v12, v1, s[0:1]
	global_load_dword v13, v1, s[0:1] offset:1024
	global_load_dword v14, v1, s[0:1] offset:2048
	;; [unrolled: 1-line block ×3, first 2 shown]
	v_addc_co_u32_e32 v11, vcc, 0, v9, vcc
	global_load_dword v9, v[10:11], off
	global_load_dword v16, v[10:11], off offset:1024
	global_load_dword v17, v[10:11], off offset:2048
	s_mov_b64 s[2:3], 0
	s_waitcnt vmcnt(6)
	v_xor_b32_e32 v10, -1, v12
	s_waitcnt vmcnt(5)
	v_xor_b32_e32 v11, -1, v13
	;; [unrolled: 2-line block ×4, first 2 shown]
	v_and_b32_e32 v10, 1, v10
	v_and_b32_e32 v11, 1, v11
	s_waitcnt vmcnt(2)
	v_xor_b32_e32 v9, -1, v9
	v_and_b32_e32 v12, 1, v12
	v_and_b32_e32 v13, 1, v13
	ds_write_b8 v0, v10
	ds_write_b8 v0, v11 offset:256
	ds_write_b8 v0, v12 offset:512
	;; [unrolled: 1-line block ×3, first 2 shown]
	s_waitcnt vmcnt(1)
	v_xor_b32_e32 v10, -1, v16
	s_waitcnt vmcnt(0)
	v_xor_b32_e32 v11, -1, v17
	v_and_b32_e32 v9, 1, v9
	v_and_b32_e32 v10, 1, v10
	;; [unrolled: 1-line block ×3, first 2 shown]
	ds_write_b8 v0, v9 offset:1024
	ds_write_b8 v0, v10 offset:1280
	;; [unrolled: 1-line block ×3, first 2 shown]
	s_waitcnt lgkmcnt(0)
	s_barrier
.LBB3309_20:
	s_load_dwordx2 s[28:29], s[4:5], 0x78
	s_andn2_b64 vcc, exec, s[2:3]
	s_cbranch_vccnz .LBB3309_36
; %bb.21:
	v_cmp_gt_u32_e32 vcc, s33, v0
	v_mov_b32_e32 v9, 0
	v_mov_b32_e32 v10, 0
	s_and_saveexec_b64 s[2:3], vcc
	s_cbranch_execz .LBB3309_23
; %bb.22:
	global_load_dword v10, v1, s[0:1]
	s_waitcnt vmcnt(0)
	v_xor_b32_e32 v10, -1, v10
	v_and_b32_e32 v10, 1, v10
.LBB3309_23:
	s_or_b64 exec, exec, s[2:3]
	v_or_b32_e32 v11, 0x100, v0
	v_cmp_gt_u32_e32 vcc, s33, v11
	s_and_saveexec_b64 s[2:3], vcc
	s_cbranch_execz .LBB3309_25
; %bb.24:
	global_load_dword v9, v1, s[0:1] offset:1024
	s_waitcnt vmcnt(0)
	v_xor_b32_e32 v9, -1, v9
	v_and_b32_e32 v9, 1, v9
.LBB3309_25:
	s_or_b64 exec, exec, s[2:3]
	v_or_b32_e32 v11, 0x200, v0
	v_cmp_gt_u32_e32 vcc, s33, v11
	v_mov_b32_e32 v11, 0
	v_mov_b32_e32 v12, 0
	s_and_saveexec_b64 s[2:3], vcc
	s_cbranch_execz .LBB3309_27
; %bb.26:
	global_load_dword v12, v1, s[0:1] offset:2048
	s_waitcnt vmcnt(0)
	v_xor_b32_e32 v12, -1, v12
	v_and_b32_e32 v12, 1, v12
.LBB3309_27:
	s_or_b64 exec, exec, s[2:3]
	v_or_b32_e32 v13, 0x300, v0
	v_cmp_gt_u32_e32 vcc, s33, v13
	s_and_saveexec_b64 s[2:3], vcc
	s_cbranch_execz .LBB3309_29
; %bb.28:
	global_load_dword v11, v1, s[0:1] offset:3072
	s_waitcnt vmcnt(0)
	v_xor_b32_e32 v11, -1, v11
	v_and_b32_e32 v11, 1, v11
.LBB3309_29:
	s_or_b64 exec, exec, s[2:3]
	v_or_b32_e32 v15, 0x400, v0
	v_cmp_gt_u32_e32 vcc, s33, v15
	v_mov_b32_e32 v13, 0
	v_mov_b32_e32 v14, 0
	s_and_saveexec_b64 s[2:3], vcc
	s_cbranch_execz .LBB3309_31
; %bb.30:
	v_lshlrev_b32_e32 v14, 2, v15
	global_load_dword v14, v14, s[0:1]
	s_waitcnt vmcnt(0)
	v_xor_b32_e32 v14, -1, v14
	v_and_b32_e32 v14, 1, v14
.LBB3309_31:
	s_or_b64 exec, exec, s[2:3]
	v_or_b32_e32 v15, 0x500, v0
	v_cmp_gt_u32_e32 vcc, s33, v15
	s_and_saveexec_b64 s[2:3], vcc
	s_cbranch_execz .LBB3309_33
; %bb.32:
	v_lshlrev_b32_e32 v13, 2, v15
	global_load_dword v13, v13, s[0:1]
	s_waitcnt vmcnt(0)
	v_xor_b32_e32 v13, -1, v13
	v_and_b32_e32 v13, 1, v13
.LBB3309_33:
	s_or_b64 exec, exec, s[2:3]
	v_or_b32_e32 v16, 0x600, v0
	v_cmp_gt_u32_e32 vcc, s33, v16
	v_mov_b32_e32 v15, 0
	s_and_saveexec_b64 s[2:3], vcc
	s_cbranch_execz .LBB3309_35
; %bb.34:
	v_lshlrev_b32_e32 v15, 2, v16
	global_load_dword v15, v15, s[0:1]
	s_waitcnt vmcnt(0)
	v_xor_b32_e32 v15, -1, v15
	v_and_b32_e32 v15, 1, v15
.LBB3309_35:
	s_or_b64 exec, exec, s[2:3]
	ds_write_b8 v0, v10
	ds_write_b8 v0, v9 offset:256
	ds_write_b8 v0, v12 offset:512
	;; [unrolled: 1-line block ×6, first 2 shown]
	s_waitcnt lgkmcnt(0)
	s_barrier
.LBB3309_36:
	s_movk_i32 s0, 0xffeb
	v_mad_i32_i24 v28, v0, s0, v8
	s_waitcnt lgkmcnt(0)
	ds_read_u8 v8, v28
	ds_read_u8 v9, v28 offset:1
	ds_read_u8 v10, v28 offset:2
	;; [unrolled: 1-line block ×6, first 2 shown]
	s_waitcnt lgkmcnt(6)
	v_and_b32_e32 v26, 1, v8
	s_waitcnt lgkmcnt(5)
	v_and_b32_e32 v25, 1, v9
	;; [unrolled: 2-line block ×5, first 2 shown]
	v_add3_u32 v8, v25, v26, v24
	s_waitcnt lgkmcnt(1)
	v_and_b32_e32 v21, 1, v13
	s_waitcnt lgkmcnt(0)
	v_and_b32_e32 v20, 1, v14
	v_add3_u32 v8, v8, v23, v22
	v_add3_u32 v30, v8, v21, v20
	v_mbcnt_lo_u32_b32 v8, -1, 0
	v_mbcnt_hi_u32_b32 v27, -1, v8
	v_and_b32_e32 v8, 15, v27
	v_cmp_eq_u32_e64 s[14:15], 0, v8
	v_cmp_lt_u32_e64 s[12:13], 1, v8
	v_cmp_lt_u32_e64 s[10:11], 3, v8
	;; [unrolled: 1-line block ×3, first 2 shown]
	v_and_b32_e32 v8, 16, v27
	v_cmp_eq_u32_e64 s[18:19], 0, v8
	v_or_b32_e32 v8, 63, v0
	s_cmp_lg_u32 s6, 0
	v_cmp_lt_u32_e64 s[0:1], 31, v27
	v_lshrrev_b32_e32 v29, 6, v0
	v_cmp_eq_u32_e64 s[2:3], v8, v0
	s_barrier
	s_cbranch_scc0 .LBB3309_67
; %bb.37:
	v_mov_b32_dpp v8, v30 row_shr:1 row_mask:0xf bank_mask:0xf
	v_cndmask_b32_e64 v8, v8, 0, s[14:15]
	v_add_u32_e32 v8, v8, v30
	s_nop 1
	v_mov_b32_dpp v9, v8 row_shr:2 row_mask:0xf bank_mask:0xf
	v_cndmask_b32_e64 v9, 0, v9, s[12:13]
	v_add_u32_e32 v8, v8, v9
	s_nop 1
	v_mov_b32_dpp v9, v8 row_shr:4 row_mask:0xf bank_mask:0xf
	v_cndmask_b32_e64 v9, 0, v9, s[10:11]
	v_add_u32_e32 v8, v8, v9
	s_nop 1
	v_mov_b32_dpp v9, v8 row_shr:8 row_mask:0xf bank_mask:0xf
	v_cndmask_b32_e64 v9, 0, v9, s[8:9]
	v_add_u32_e32 v8, v8, v9
	s_nop 1
	v_mov_b32_dpp v9, v8 row_bcast:15 row_mask:0xf bank_mask:0xf
	v_cndmask_b32_e64 v9, v9, 0, s[18:19]
	v_add_u32_e32 v8, v8, v9
	s_nop 1
	v_mov_b32_dpp v9, v8 row_bcast:31 row_mask:0xf bank_mask:0xf
	v_cndmask_b32_e64 v9, 0, v9, s[0:1]
	v_add_u32_e32 v8, v8, v9
	s_and_saveexec_b64 s[16:17], s[2:3]
	s_cbranch_execz .LBB3309_39
; %bb.38:
	v_lshlrev_b32_e32 v9, 2, v29
	ds_write_b32 v9, v8
.LBB3309_39:
	s_or_b64 exec, exec, s[16:17]
	v_cmp_gt_u32_e32 vcc, 4, v0
	s_waitcnt lgkmcnt(0)
	s_barrier
	s_and_saveexec_b64 s[16:17], vcc
	s_cbranch_execz .LBB3309_41
; %bb.40:
	ds_read_b32 v9, v1
	v_and_b32_e32 v10, 3, v27
	v_cmp_ne_u32_e32 vcc, 0, v10
	s_waitcnt lgkmcnt(0)
	v_mov_b32_dpp v11, v9 row_shr:1 row_mask:0xf bank_mask:0xf
	v_cndmask_b32_e32 v11, 0, v11, vcc
	v_add_u32_e32 v9, v11, v9
	v_cmp_lt_u32_e32 vcc, 1, v10
	s_nop 0
	v_mov_b32_dpp v11, v9 row_shr:2 row_mask:0xf bank_mask:0xf
	v_cndmask_b32_e32 v10, 0, v11, vcc
	v_add_u32_e32 v9, v9, v10
	ds_write_b32 v1, v9
.LBB3309_41:
	s_or_b64 exec, exec, s[16:17]
	v_cmp_gt_u32_e32 vcc, 64, v0
	v_cmp_lt_u32_e64 s[16:17], 63, v0
	s_waitcnt lgkmcnt(0)
	s_barrier
	s_waitcnt lgkmcnt(0)
                                        ; implicit-def: $vgpr31
	s_and_saveexec_b64 s[30:31], s[16:17]
	s_cbranch_execz .LBB3309_43
; %bb.42:
	v_lshl_add_u32 v9, v29, 2, -4
	ds_read_b32 v31, v9
	s_waitcnt lgkmcnt(0)
	v_add_u32_e32 v8, v31, v8
.LBB3309_43:
	s_or_b64 exec, exec, s[30:31]
	v_add_u32_e32 v9, -1, v27
	v_and_b32_e32 v10, 64, v27
	v_cmp_lt_i32_e64 s[16:17], v9, v10
	v_cndmask_b32_e64 v9, v9, v27, s[16:17]
	v_lshlrev_b32_e32 v9, 2, v9
	ds_bpermute_b32 v32, v9, v8
	v_cmp_eq_u32_e64 s[16:17], 0, v27
	s_and_saveexec_b64 s[30:31], vcc
	s_cbranch_execz .LBB3309_66
; %bb.44:
	v_mov_b32_e32 v17, 0
	ds_read_b32 v8, v17 offset:12
	s_and_saveexec_b64 s[34:35], s[16:17]
	s_cbranch_execz .LBB3309_46
; %bb.45:
	s_add_i32 s36, s6, 64
	s_mov_b32 s37, 0
	s_lshl_b64 s[36:37], s[36:37], 3
	s_add_u32 s36, s28, s36
	v_mov_b32_e32 v9, 1
	s_addc_u32 s37, s29, s37
	s_waitcnt lgkmcnt(0)
	global_store_dwordx2 v17, v[8:9], s[36:37]
.LBB3309_46:
	s_or_b64 exec, exec, s[34:35]
	v_xad_u32 v10, v27, -1, s6
	v_add_u32_e32 v16, 64, v10
	v_lshlrev_b64 v[12:13], 3, v[16:17]
	v_mov_b32_e32 v9, s29
	v_add_co_u32_e32 v12, vcc, s28, v12
	v_addc_co_u32_e32 v13, vcc, v9, v13, vcc
	global_load_dwordx2 v[14:15], v[12:13], off glc
	s_waitcnt vmcnt(0)
	v_cmp_eq_u16_sdwa s[36:37], v15, v17 src0_sel:BYTE_0 src1_sel:DWORD
	s_and_saveexec_b64 s[34:35], s[36:37]
	s_cbranch_execz .LBB3309_52
; %bb.47:
	s_mov_b32 s7, 1
	s_mov_b64 s[36:37], 0
	v_mov_b32_e32 v9, 0
.LBB3309_48:                            ; =>This Loop Header: Depth=1
                                        ;     Child Loop BB3309_49 Depth 2
	s_max_u32 s38, s7, 1
.LBB3309_49:                            ;   Parent Loop BB3309_48 Depth=1
                                        ; =>  This Inner Loop Header: Depth=2
	s_add_i32 s38, s38, -1
	s_cmp_eq_u32 s38, 0
	s_sleep 1
	s_cbranch_scc0 .LBB3309_49
; %bb.50:                               ;   in Loop: Header=BB3309_48 Depth=1
	global_load_dwordx2 v[14:15], v[12:13], off glc
	s_cmp_lt_u32 s7, 32
	s_cselect_b64 s[38:39], -1, 0
	s_cmp_lg_u64 s[38:39], 0
	s_addc_u32 s7, s7, 0
	s_waitcnt vmcnt(0)
	v_cmp_ne_u16_sdwa s[38:39], v15, v9 src0_sel:BYTE_0 src1_sel:DWORD
	s_or_b64 s[36:37], s[38:39], s[36:37]
	s_andn2_b64 exec, exec, s[36:37]
	s_cbranch_execnz .LBB3309_48
; %bb.51:
	s_or_b64 exec, exec, s[36:37]
.LBB3309_52:
	s_or_b64 exec, exec, s[34:35]
	v_and_b32_e32 v34, 63, v27
	v_mov_b32_e32 v33, 2
	v_cmp_ne_u32_e32 vcc, 63, v34
	v_cmp_eq_u16_sdwa s[34:35], v15, v33 src0_sel:BYTE_0 src1_sel:DWORD
	v_lshlrev_b64 v[12:13], v27, -1
	v_addc_co_u32_e32 v16, vcc, 0, v27, vcc
	v_and_b32_e32 v9, s35, v13
	v_lshlrev_b32_e32 v35, 2, v16
	v_or_b32_e32 v9, 0x80000000, v9
	ds_bpermute_b32 v16, v35, v14
	v_and_b32_e32 v11, s34, v12
	v_ffbl_b32_e32 v9, v9
	v_add_u32_e32 v9, 32, v9
	v_ffbl_b32_e32 v11, v11
	v_min_u32_e32 v9, v11, v9
	v_cmp_lt_u32_e32 vcc, v34, v9
	s_waitcnt lgkmcnt(0)
	v_cndmask_b32_e32 v11, 0, v16, vcc
	v_cmp_gt_u32_e32 vcc, 62, v34
	v_add_u32_e32 v11, v11, v14
	v_cndmask_b32_e64 v14, 0, 1, vcc
	v_lshlrev_b32_e32 v14, 1, v14
	v_add_lshl_u32 v36, v14, v27, 2
	ds_bpermute_b32 v14, v36, v11
	v_add_u32_e32 v37, 2, v34
	v_cmp_le_u32_e32 vcc, v37, v9
	v_add_u32_e32 v39, 4, v34
	v_add_u32_e32 v41, 8, v34
	s_waitcnt lgkmcnt(0)
	v_cndmask_b32_e32 v14, 0, v14, vcc
	v_cmp_gt_u32_e32 vcc, 60, v34
	v_add_u32_e32 v11, v11, v14
	v_cndmask_b32_e64 v14, 0, 1, vcc
	v_lshlrev_b32_e32 v14, 2, v14
	v_add_lshl_u32 v38, v14, v27, 2
	ds_bpermute_b32 v14, v38, v11
	v_cmp_le_u32_e32 vcc, v39, v9
	v_add_u32_e32 v43, 16, v34
	v_add_u32_e32 v45, 32, v34
	s_waitcnt lgkmcnt(0)
	v_cndmask_b32_e32 v14, 0, v14, vcc
	v_cmp_gt_u32_e32 vcc, 56, v34
	v_add_u32_e32 v11, v11, v14
	v_cndmask_b32_e64 v14, 0, 1, vcc
	v_lshlrev_b32_e32 v14, 3, v14
	v_add_lshl_u32 v40, v14, v27, 2
	ds_bpermute_b32 v14, v40, v11
	v_cmp_le_u32_e32 vcc, v41, v9
	s_waitcnt lgkmcnt(0)
	v_cndmask_b32_e32 v14, 0, v14, vcc
	v_cmp_gt_u32_e32 vcc, 48, v34
	v_add_u32_e32 v11, v11, v14
	v_cndmask_b32_e64 v14, 0, 1, vcc
	v_lshlrev_b32_e32 v14, 4, v14
	v_add_lshl_u32 v42, v14, v27, 2
	ds_bpermute_b32 v14, v42, v11
	v_cmp_le_u32_e32 vcc, v43, v9
	;; [unrolled: 9-line block ×3, first 2 shown]
	s_waitcnt lgkmcnt(0)
	v_cndmask_b32_e32 v9, 0, v14, vcc
	v_add_u32_e32 v14, v11, v9
	v_mov_b32_e32 v11, 0
	s_branch .LBB3309_54
.LBB3309_53:                            ;   in Loop: Header=BB3309_54 Depth=1
	s_or_b64 exec, exec, s[34:35]
	v_cmp_eq_u16_sdwa s[34:35], v15, v33 src0_sel:BYTE_0 src1_sel:DWORD
	v_and_b32_e32 v16, s35, v13
	v_or_b32_e32 v16, 0x80000000, v16
	ds_bpermute_b32 v46, v35, v14
	v_and_b32_e32 v17, s34, v12
	v_ffbl_b32_e32 v16, v16
	v_add_u32_e32 v16, 32, v16
	v_ffbl_b32_e32 v17, v17
	v_min_u32_e32 v16, v17, v16
	v_cmp_lt_u32_e32 vcc, v34, v16
	s_waitcnt lgkmcnt(0)
	v_cndmask_b32_e32 v17, 0, v46, vcc
	v_add_u32_e32 v14, v17, v14
	ds_bpermute_b32 v17, v36, v14
	v_cmp_le_u32_e32 vcc, v37, v16
	v_subrev_u32_e32 v10, 64, v10
	s_waitcnt lgkmcnt(0)
	v_cndmask_b32_e32 v17, 0, v17, vcc
	v_add_u32_e32 v14, v14, v17
	ds_bpermute_b32 v17, v38, v14
	v_cmp_le_u32_e32 vcc, v39, v16
	s_waitcnt lgkmcnt(0)
	v_cndmask_b32_e32 v17, 0, v17, vcc
	v_add_u32_e32 v14, v14, v17
	ds_bpermute_b32 v17, v40, v14
	v_cmp_le_u32_e32 vcc, v41, v16
	;; [unrolled: 5-line block ×4, first 2 shown]
	s_waitcnt lgkmcnt(0)
	v_cndmask_b32_e32 v16, 0, v17, vcc
	v_add3_u32 v14, v16, v9, v14
.LBB3309_54:                            ; =>This Loop Header: Depth=1
                                        ;     Child Loop BB3309_57 Depth 2
                                        ;       Child Loop BB3309_58 Depth 3
	v_cmp_ne_u16_sdwa s[34:35], v15, v33 src0_sel:BYTE_0 src1_sel:DWORD
	v_cndmask_b32_e64 v9, 0, 1, s[34:35]
	;;#ASMSTART
	;;#ASMEND
	v_cmp_ne_u32_e32 vcc, 0, v9
	s_cmp_lg_u64 vcc, exec
	v_mov_b32_e32 v9, v14
	s_cbranch_scc1 .LBB3309_61
; %bb.55:                               ;   in Loop: Header=BB3309_54 Depth=1
	v_lshlrev_b64 v[14:15], 3, v[10:11]
	v_mov_b32_e32 v17, s29
	v_add_co_u32_e32 v16, vcc, s28, v14
	v_addc_co_u32_e32 v17, vcc, v17, v15, vcc
	global_load_dwordx2 v[14:15], v[16:17], off glc
	s_waitcnt vmcnt(0)
	v_cmp_eq_u16_sdwa s[36:37], v15, v11 src0_sel:BYTE_0 src1_sel:DWORD
	s_and_saveexec_b64 s[34:35], s[36:37]
	s_cbranch_execz .LBB3309_53
; %bb.56:                               ;   in Loop: Header=BB3309_54 Depth=1
	s_mov_b32 s7, 1
	s_mov_b64 s[36:37], 0
.LBB3309_57:                            ;   Parent Loop BB3309_54 Depth=1
                                        ; =>  This Loop Header: Depth=2
                                        ;       Child Loop BB3309_58 Depth 3
	s_max_u32 s38, s7, 1
.LBB3309_58:                            ;   Parent Loop BB3309_54 Depth=1
                                        ;     Parent Loop BB3309_57 Depth=2
                                        ; =>    This Inner Loop Header: Depth=3
	s_add_i32 s38, s38, -1
	s_cmp_eq_u32 s38, 0
	s_sleep 1
	s_cbranch_scc0 .LBB3309_58
; %bb.59:                               ;   in Loop: Header=BB3309_57 Depth=2
	global_load_dwordx2 v[14:15], v[16:17], off glc
	s_cmp_lt_u32 s7, 32
	s_cselect_b64 s[38:39], -1, 0
	s_cmp_lg_u64 s[38:39], 0
	s_addc_u32 s7, s7, 0
	s_waitcnt vmcnt(0)
	v_cmp_ne_u16_sdwa s[38:39], v15, v11 src0_sel:BYTE_0 src1_sel:DWORD
	s_or_b64 s[36:37], s[38:39], s[36:37]
	s_andn2_b64 exec, exec, s[36:37]
	s_cbranch_execnz .LBB3309_57
; %bb.60:                               ;   in Loop: Header=BB3309_54 Depth=1
	s_or_b64 exec, exec, s[36:37]
	s_branch .LBB3309_53
.LBB3309_61:                            ;   in Loop: Header=BB3309_54 Depth=1
                                        ; implicit-def: $vgpr14
                                        ; implicit-def: $vgpr15
	s_cbranch_execz .LBB3309_54
; %bb.62:
	s_and_saveexec_b64 s[34:35], s[16:17]
	s_cbranch_execz .LBB3309_64
; %bb.63:
	s_add_i32 s6, s6, 64
	s_mov_b32 s7, 0
	s_lshl_b64 s[6:7], s[6:7], 3
	s_add_u32 s6, s28, s6
	v_add_u32_e32 v10, v9, v8
	v_mov_b32_e32 v11, 2
	s_addc_u32 s7, s29, s7
	v_mov_b32_e32 v12, 0
	global_store_dwordx2 v12, v[10:11], s[6:7]
	ds_write_b64 v12, v[8:9] offset:7168
.LBB3309_64:
	s_or_b64 exec, exec, s[34:35]
	v_cmp_eq_u32_e32 vcc, 0, v0
	s_and_b64 exec, exec, vcc
	s_cbranch_execz .LBB3309_66
; %bb.65:
	v_mov_b32_e32 v8, 0
	ds_write_b32 v8, v9 offset:12
.LBB3309_66:
	s_or_b64 exec, exec, s[30:31]
	v_mov_b32_e32 v8, 0
	s_waitcnt lgkmcnt(0)
	s_barrier
	ds_read_b32 v9, v8 offset:12
	v_cndmask_b32_e64 v10, v32, v31, s[16:17]
	v_cmp_ne_u32_e32 vcc, 0, v0
	v_cndmask_b32_e32 v10, 0, v10, vcc
	s_waitcnt lgkmcnt(0)
	v_add_u32_e32 v17, v9, v10
	v_add_u32_e32 v16, v17, v26
	s_barrier
	ds_read_b64 v[8:9], v8 offset:7168
	v_add_u32_e32 v15, v16, v25
	v_add_u32_e32 v13, v15, v24
	;; [unrolled: 1-line block ×5, first 2 shown]
	s_waitcnt lgkmcnt(0)
	v_mov_b32_e32 v10, v9
	s_load_dwordx2 s[4:5], s[4:5], 0x30
	s_branch .LBB3309_77
.LBB3309_67:
                                        ; implicit-def: $vgpr10
                                        ; implicit-def: $vgpr8
                                        ; implicit-def: $vgpr11
                                        ; implicit-def: $vgpr12
                                        ; implicit-def: $vgpr14
                                        ; implicit-def: $vgpr13
                                        ; implicit-def: $vgpr15
                                        ; implicit-def: $vgpr16
                                        ; implicit-def: $vgpr17
	s_load_dwordx2 s[4:5], s[4:5], 0x30
	s_cbranch_execz .LBB3309_77
; %bb.68:
	v_mov_b32_dpp v8, v30 row_shr:1 row_mask:0xf bank_mask:0xf
	v_cndmask_b32_e64 v8, v8, 0, s[14:15]
	v_add_u32_e32 v8, v8, v30
	s_nop 1
	v_mov_b32_dpp v9, v8 row_shr:2 row_mask:0xf bank_mask:0xf
	v_cndmask_b32_e64 v9, 0, v9, s[12:13]
	v_add_u32_e32 v8, v8, v9
	s_nop 1
	v_mov_b32_dpp v9, v8 row_shr:4 row_mask:0xf bank_mask:0xf
	v_cndmask_b32_e64 v9, 0, v9, s[10:11]
	v_add_u32_e32 v8, v8, v9
	s_nop 1
	v_mov_b32_dpp v9, v8 row_shr:8 row_mask:0xf bank_mask:0xf
	v_cndmask_b32_e64 v9, 0, v9, s[8:9]
	v_add_u32_e32 v8, v8, v9
	s_nop 1
	v_mov_b32_dpp v9, v8 row_bcast:15 row_mask:0xf bank_mask:0xf
	v_cndmask_b32_e64 v9, v9, 0, s[18:19]
	v_add_u32_e32 v8, v8, v9
	s_nop 1
	v_mov_b32_dpp v9, v8 row_bcast:31 row_mask:0xf bank_mask:0xf
	v_cndmask_b32_e64 v9, 0, v9, s[0:1]
	v_add_u32_e32 v8, v8, v9
	s_and_saveexec_b64 s[0:1], s[2:3]
	s_cbranch_execz .LBB3309_70
; %bb.69:
	v_lshlrev_b32_e32 v9, 2, v29
	ds_write_b32 v9, v8
.LBB3309_70:
	s_or_b64 exec, exec, s[0:1]
	v_cmp_gt_u32_e32 vcc, 4, v0
	s_waitcnt lgkmcnt(0)
	s_barrier
	s_and_saveexec_b64 s[0:1], vcc
	s_cbranch_execz .LBB3309_72
; %bb.71:
	v_mad_i32_i24 v9, v0, -3, v28
	ds_read_b32 v10, v9
	v_and_b32_e32 v11, 3, v27
	v_cmp_ne_u32_e32 vcc, 0, v11
	s_waitcnt lgkmcnt(0)
	v_mov_b32_dpp v12, v10 row_shr:1 row_mask:0xf bank_mask:0xf
	v_cndmask_b32_e32 v12, 0, v12, vcc
	v_add_u32_e32 v10, v12, v10
	v_cmp_lt_u32_e32 vcc, 1, v11
	s_nop 0
	v_mov_b32_dpp v12, v10 row_shr:2 row_mask:0xf bank_mask:0xf
	v_cndmask_b32_e32 v11, 0, v12, vcc
	v_add_u32_e32 v10, v10, v11
	ds_write_b32 v9, v10
.LBB3309_72:
	s_or_b64 exec, exec, s[0:1]
	v_cmp_lt_u32_e32 vcc, 63, v0
	v_mov_b32_e32 v9, 0
	v_mov_b32_e32 v10, 0
	s_waitcnt lgkmcnt(0)
	s_barrier
	s_and_saveexec_b64 s[0:1], vcc
	s_cbranch_execz .LBB3309_74
; %bb.73:
	v_lshl_add_u32 v10, v29, 2, -4
	ds_read_b32 v10, v10
.LBB3309_74:
	s_or_b64 exec, exec, s[0:1]
	v_add_u32_e32 v11, -1, v27
	v_and_b32_e32 v12, 64, v27
	v_cmp_lt_i32_e32 vcc, v11, v12
	v_cndmask_b32_e32 v11, v11, v27, vcc
	s_waitcnt lgkmcnt(0)
	v_add_u32_e32 v8, v10, v8
	v_lshlrev_b32_e32 v11, 2, v11
	ds_bpermute_b32 v11, v11, v8
	ds_read_b32 v8, v9 offset:12
	v_cmp_eq_u32_e32 vcc, 0, v0
	s_and_saveexec_b64 s[0:1], vcc
	s_cbranch_execz .LBB3309_76
; %bb.75:
	v_mov_b32_e32 v12, 0
	v_mov_b32_e32 v9, 2
	s_waitcnt lgkmcnt(0)
	global_store_dwordx2 v12, v[8:9], s[28:29] offset:512
.LBB3309_76:
	s_or_b64 exec, exec, s[0:1]
	v_cmp_eq_u32_e64 s[0:1], 0, v27
	s_waitcnt lgkmcnt(1)
	v_cndmask_b32_e64 v9, v11, v10, s[0:1]
	v_cndmask_b32_e64 v17, v9, 0, vcc
	v_add_u32_e32 v16, v17, v26
	v_add_u32_e32 v15, v16, v25
	;; [unrolled: 1-line block ×5, first 2 shown]
	v_mov_b32_e32 v10, 0
	v_add_u32_e32 v11, v12, v21
	s_waitcnt lgkmcnt(0)
	s_barrier
.LBB3309_77:
	v_add_u32_e32 v9, v8, v19
	v_sub_u32_e32 v17, v17, v10
	v_sub_u32_e32 v19, v9, v17
	v_cmp_eq_u32_e32 vcc, 1, v26
	v_cndmask_b32_e32 v17, v19, v17, vcc
	v_lshlrev_b32_e32 v17, 2, v17
	ds_write_b32 v17, v6
	v_sub_u32_e32 v6, v16, v10
	v_sub_u32_e32 v16, v9, v6
	v_add_u32_e32 v16, 1, v16
	v_cmp_eq_u32_e32 vcc, 1, v25
	v_cndmask_b32_e32 v6, v16, v6, vcc
	v_lshlrev_b32_e32 v6, 2, v6
	ds_write_b32 v6, v7
	v_sub_u32_e32 v6, v15, v10
	v_sub_u32_e32 v7, v9, v6
	v_add_u32_e32 v7, 2, v7
	v_cmp_eq_u32_e32 vcc, 1, v24
	v_cndmask_b32_e32 v6, v7, v6, vcc
	v_lshlrev_b32_e32 v6, 2, v6
	ds_write_b32 v6, v4
	v_sub_u32_e32 v4, v13, v10
	v_sub_u32_e32 v6, v9, v4
	v_add_u32_e32 v6, 3, v6
	v_cmp_eq_u32_e32 vcc, 1, v23
	v_cndmask_b32_e32 v4, v6, v4, vcc
	v_lshlrev_b32_e32 v4, 2, v4
	ds_write_b32 v4, v5
	v_sub_u32_e32 v4, v14, v10
	v_sub_u32_e32 v5, v9, v4
	v_add_u32_e32 v5, 4, v5
	v_cmp_eq_u32_e32 vcc, 1, v22
	v_cndmask_b32_e32 v4, v5, v4, vcc
	v_lshlrev_b32_e32 v4, 2, v4
	ds_write_b32 v4, v2
	v_sub_u32_e32 v2, v12, v10
	v_sub_u32_e32 v4, v9, v2
	v_add_u32_e32 v4, 5, v4
	v_cmp_eq_u32_e32 vcc, 1, v21
	v_cndmask_b32_e32 v2, v4, v2, vcc
	v_lshlrev_b32_e32 v2, 2, v2
	ds_write_b32 v2, v3
	v_sub_u32_e32 v2, v11, v10
	v_sub_u32_e32 v3, v9, v2
	v_add_u32_e32 v3, 6, v3
	v_cmp_eq_u32_e32 vcc, 1, v20
	v_cndmask_b32_e32 v2, v3, v2, vcc
	v_lshlrev_b32_e32 v2, 2, v2
	ds_write_b32 v2, v18
	s_waitcnt lgkmcnt(0)
	s_barrier
	ds_read2st64_b32 v[12:13], v1 offset1:4
	ds_read2st64_b32 v[6:7], v1 offset0:8 offset1:12
	ds_read2st64_b32 v[2:3], v1 offset0:16 offset1:20
	ds_read_b32 v9, v1 offset:6144
	v_or_b32_e32 v19, 0x100, v0
	v_or_b32_e32 v18, 0x200, v0
	;; [unrolled: 1-line block ×5, first 2 shown]
	s_andn2_b64 vcc, exec, s[26:27]
	v_or_b32_e32 v14, 0x600, v0
	s_cbranch_vccnz .LBB3309_86
; %bb.78:
	s_lshl_b64 s[0:1], s[22:23], 2
	v_mov_b32_e32 v11, 0
	s_add_u32 s0, s4, s0
	s_addc_u32 s1, s5, s1
	v_lshlrev_b64 v[4:5], 2, v[10:11]
	v_mov_b32_e32 v11, s1
	v_add_co_u32_e32 v4, vcc, s0, v4
	v_addc_co_u32_e32 v5, vcc, v11, v5, vcc
	v_cmp_gt_u32_e32 vcc, v8, v0
	s_and_saveexec_b64 s[0:1], vcc
	s_cbranch_execnz .LBB3309_100
; %bb.79:
	s_or_b64 exec, exec, s[0:1]
	v_cmp_lt_u32_e32 vcc, v19, v8
	s_and_saveexec_b64 s[0:1], vcc
	s_cbranch_execnz .LBB3309_101
.LBB3309_80:
	s_or_b64 exec, exec, s[0:1]
	v_cmp_lt_u32_e32 vcc, v18, v8
	s_and_saveexec_b64 s[0:1], vcc
	s_cbranch_execnz .LBB3309_102
.LBB3309_81:
	s_or_b64 exec, exec, s[0:1]
	v_cmp_lt_u32_e32 vcc, v17, v8
	s_and_saveexec_b64 s[0:1], vcc
	s_cbranch_execnz .LBB3309_103
.LBB3309_82:
	s_or_b64 exec, exec, s[0:1]
	v_cmp_lt_u32_e32 vcc, v16, v8
	s_and_saveexec_b64 s[0:1], vcc
	s_cbranch_execnz .LBB3309_104
.LBB3309_83:
	s_or_b64 exec, exec, s[0:1]
	v_cmp_lt_u32_e32 vcc, v15, v8
	s_and_saveexec_b64 s[0:1], vcc
	s_cbranch_execz .LBB3309_85
.LBB3309_84:
	v_lshlrev_b32_e32 v11, 2, v15
	v_readfirstlane_b32 s2, v4
	v_readfirstlane_b32 s3, v5
	s_waitcnt lgkmcnt(1)
	s_nop 3
	global_store_dword v11, v3, s[2:3]
.LBB3309_85:
	s_or_b64 exec, exec, s[0:1]
	v_cmp_lt_u32_e64 s[0:1], v14, v8
	s_branch .LBB3309_95
.LBB3309_86:
	s_mov_b64 s[0:1], 0
                                        ; implicit-def: $vgpr4_vgpr5
	s_cbranch_execz .LBB3309_95
; %bb.87:
	s_lshl_b64 s[0:1], s[22:23], 2
	v_mov_b32_e32 v11, 0
	s_add_u32 s0, s4, s0
	s_addc_u32 s1, s5, s1
	v_lshlrev_b64 v[4:5], 2, v[10:11]
	v_mov_b32_e32 v11, s1
	v_add_co_u32_e32 v4, vcc, s0, v4
	v_min_u32_e32 v20, s33, v8
	v_addc_co_u32_e32 v5, vcc, v11, v5, vcc
	v_cmp_gt_u32_e32 vcc, v20, v0
	s_and_saveexec_b64 s[0:1], vcc
	s_cbranch_execnz .LBB3309_105
; %bb.88:
	s_or_b64 exec, exec, s[0:1]
	v_cmp_lt_u32_e32 vcc, v19, v20
	s_and_saveexec_b64 s[0:1], vcc
	s_cbranch_execnz .LBB3309_106
.LBB3309_89:
	s_or_b64 exec, exec, s[0:1]
	v_cmp_lt_u32_e32 vcc, v18, v20
	s_and_saveexec_b64 s[0:1], vcc
	s_cbranch_execnz .LBB3309_107
.LBB3309_90:
	s_or_b64 exec, exec, s[0:1]
	v_cmp_lt_u32_e32 vcc, v17, v20
	s_and_saveexec_b64 s[0:1], vcc
	s_cbranch_execnz .LBB3309_108
.LBB3309_91:
	s_or_b64 exec, exec, s[0:1]
	v_cmp_lt_u32_e32 vcc, v16, v20
	s_and_saveexec_b64 s[0:1], vcc
	s_cbranch_execnz .LBB3309_109
.LBB3309_92:
	s_or_b64 exec, exec, s[0:1]
	v_cmp_lt_u32_e32 vcc, v15, v20
	s_and_saveexec_b64 s[0:1], vcc
	s_cbranch_execz .LBB3309_94
.LBB3309_93:
	v_lshlrev_b32_e32 v1, 2, v15
	v_readfirstlane_b32 s2, v4
	v_readfirstlane_b32 s3, v5
	s_waitcnt lgkmcnt(1)
	s_nop 3
	global_store_dword v1, v3, s[2:3]
.LBB3309_94:
	s_or_b64 exec, exec, s[0:1]
	v_cmp_lt_u32_e64 s[0:1], v14, v20
.LBB3309_95:
	s_and_saveexec_b64 s[2:3], s[0:1]
	s_cbranch_execz .LBB3309_97
; %bb.96:
	v_lshlrev_b32_e32 v1, 2, v14
	v_readfirstlane_b32 s0, v4
	v_readfirstlane_b32 s1, v5
	s_waitcnt lgkmcnt(0)
	s_nop 3
	global_store_dword v1, v9, s[0:1]
.LBB3309_97:
	s_or_b64 exec, exec, s[2:3]
	v_cmp_eq_u32_e32 vcc, 0, v0
	s_and_b64 s[0:1], vcc, s[24:25]
	s_and_saveexec_b64 s[2:3], s[0:1]
	s_cbranch_execz .LBB3309_99
; %bb.98:
	v_mov_b32_e32 v0, s23
	v_add_co_u32_e32 v1, vcc, s22, v8
	s_waitcnt lgkmcnt(1)
	v_addc_co_u32_e32 v3, vcc, 0, v0, vcc
	v_add_co_u32_e32 v0, vcc, v1, v10
	v_mov_b32_e32 v2, 0
	v_addc_co_u32_e32 v1, vcc, 0, v3, vcc
	global_store_dwordx2 v2, v[0:1], s[20:21]
.LBB3309_99:
	s_endpgm
.LBB3309_100:
	v_readfirstlane_b32 s2, v4
	v_readfirstlane_b32 s3, v5
	s_waitcnt lgkmcnt(3)
	s_nop 3
	global_store_dword v1, v12, s[2:3]
	s_or_b64 exec, exec, s[0:1]
	v_cmp_lt_u32_e32 vcc, v19, v8
	s_and_saveexec_b64 s[0:1], vcc
	s_cbranch_execz .LBB3309_80
.LBB3309_101:
	v_readfirstlane_b32 s2, v4
	v_readfirstlane_b32 s3, v5
	s_waitcnt lgkmcnt(3)
	s_nop 3
	global_store_dword v1, v13, s[2:3] offset:1024
	s_or_b64 exec, exec, s[0:1]
	v_cmp_lt_u32_e32 vcc, v18, v8
	s_and_saveexec_b64 s[0:1], vcc
	s_cbranch_execz .LBB3309_81
.LBB3309_102:
	v_readfirstlane_b32 s2, v4
	v_readfirstlane_b32 s3, v5
	s_waitcnt lgkmcnt(2)
	s_nop 3
	global_store_dword v1, v6, s[2:3] offset:2048
	s_or_b64 exec, exec, s[0:1]
	v_cmp_lt_u32_e32 vcc, v17, v8
	s_and_saveexec_b64 s[0:1], vcc
	s_cbranch_execz .LBB3309_82
.LBB3309_103:
	v_readfirstlane_b32 s2, v4
	v_readfirstlane_b32 s3, v5
	s_waitcnt lgkmcnt(2)
	s_nop 3
	global_store_dword v1, v7, s[2:3] offset:3072
	s_or_b64 exec, exec, s[0:1]
	v_cmp_lt_u32_e32 vcc, v16, v8
	s_and_saveexec_b64 s[0:1], vcc
	s_cbranch_execz .LBB3309_83
.LBB3309_104:
	v_lshlrev_b32_e32 v11, 2, v16
	v_readfirstlane_b32 s2, v4
	v_readfirstlane_b32 s3, v5
	s_waitcnt lgkmcnt(1)
	s_nop 3
	global_store_dword v11, v2, s[2:3]
	s_or_b64 exec, exec, s[0:1]
	v_cmp_lt_u32_e32 vcc, v15, v8
	s_and_saveexec_b64 s[0:1], vcc
	s_cbranch_execnz .LBB3309_84
	s_branch .LBB3309_85
.LBB3309_105:
	v_readfirstlane_b32 s2, v4
	v_readfirstlane_b32 s3, v5
	s_waitcnt lgkmcnt(3)
	s_nop 3
	global_store_dword v1, v12, s[2:3]
	s_or_b64 exec, exec, s[0:1]
	v_cmp_lt_u32_e32 vcc, v19, v20
	s_and_saveexec_b64 s[0:1], vcc
	s_cbranch_execz .LBB3309_89
.LBB3309_106:
	v_readfirstlane_b32 s2, v4
	v_readfirstlane_b32 s3, v5
	s_waitcnt lgkmcnt(3)
	s_nop 3
	global_store_dword v1, v13, s[2:3] offset:1024
	s_or_b64 exec, exec, s[0:1]
	v_cmp_lt_u32_e32 vcc, v18, v20
	s_and_saveexec_b64 s[0:1], vcc
	s_cbranch_execz .LBB3309_90
.LBB3309_107:
	v_readfirstlane_b32 s2, v4
	v_readfirstlane_b32 s3, v5
	s_waitcnt lgkmcnt(2)
	s_nop 3
	global_store_dword v1, v6, s[2:3] offset:2048
	s_or_b64 exec, exec, s[0:1]
	v_cmp_lt_u32_e32 vcc, v17, v20
	s_and_saveexec_b64 s[0:1], vcc
	s_cbranch_execz .LBB3309_91
.LBB3309_108:
	v_readfirstlane_b32 s2, v4
	v_readfirstlane_b32 s3, v5
	s_waitcnt lgkmcnt(2)
	s_nop 3
	global_store_dword v1, v7, s[2:3] offset:3072
	s_or_b64 exec, exec, s[0:1]
	v_cmp_lt_u32_e32 vcc, v16, v20
	s_and_saveexec_b64 s[0:1], vcc
	s_cbranch_execz .LBB3309_92
.LBB3309_109:
	v_lshlrev_b32_e32 v1, 2, v16
	v_readfirstlane_b32 s2, v4
	v_readfirstlane_b32 s3, v5
	s_waitcnt lgkmcnt(1)
	s_nop 3
	global_store_dword v1, v2, s[2:3]
	s_or_b64 exec, exec, s[0:1]
	v_cmp_lt_u32_e32 vcc, v15, v20
	s_and_saveexec_b64 s[0:1], vcc
	s_cbranch_execnz .LBB3309_93
	s_branch .LBB3309_94
	.section	.rodata,"a",@progbits
	.p2align	6, 0x0
	.amdhsa_kernel _ZN7rocprim17ROCPRIM_400000_NS6detail17trampoline_kernelINS0_14default_configENS1_25partition_config_selectorILNS1_17partition_subalgoE1EiNS0_10empty_typeEbEEZZNS1_14partition_implILS5_1ELb0ES3_jN6thrust23THRUST_200600_302600_NS6detail15normal_iteratorINSA_10device_ptrIiEEEEPS6_NSA_18transform_iteratorI7is_evenIiESF_NSA_11use_defaultESK_EENS0_5tupleIJSF_NSA_16discard_iteratorISK_EEEEENSM_IJSG_SG_EEES6_PlJS6_EEE10hipError_tPvRmT3_T4_T5_T6_T7_T9_mT8_P12ihipStream_tbDpT10_ENKUlT_T0_E_clISt17integral_constantIbLb1EES1A_IbLb0EEEEDaS16_S17_EUlS16_E_NS1_11comp_targetILNS1_3genE4ELNS1_11target_archE910ELNS1_3gpuE8ELNS1_3repE0EEENS1_30default_config_static_selectorELNS0_4arch9wavefront6targetE1EEEvT1_
		.amdhsa_group_segment_fixed_size 7176
		.amdhsa_private_segment_fixed_size 0
		.amdhsa_kernarg_size 136
		.amdhsa_user_sgpr_count 6
		.amdhsa_user_sgpr_private_segment_buffer 1
		.amdhsa_user_sgpr_dispatch_ptr 0
		.amdhsa_user_sgpr_queue_ptr 0
		.amdhsa_user_sgpr_kernarg_segment_ptr 1
		.amdhsa_user_sgpr_dispatch_id 0
		.amdhsa_user_sgpr_flat_scratch_init 0
		.amdhsa_user_sgpr_kernarg_preload_length 0
		.amdhsa_user_sgpr_kernarg_preload_offset 0
		.amdhsa_user_sgpr_private_segment_size 0
		.amdhsa_uses_dynamic_stack 0
		.amdhsa_system_sgpr_private_segment_wavefront_offset 0
		.amdhsa_system_sgpr_workgroup_id_x 1
		.amdhsa_system_sgpr_workgroup_id_y 0
		.amdhsa_system_sgpr_workgroup_id_z 0
		.amdhsa_system_sgpr_workgroup_info 0
		.amdhsa_system_vgpr_workitem_id 0
		.amdhsa_next_free_vgpr 47
		.amdhsa_next_free_sgpr 40
		.amdhsa_accum_offset 48
		.amdhsa_reserve_vcc 1
		.amdhsa_reserve_flat_scratch 0
		.amdhsa_float_round_mode_32 0
		.amdhsa_float_round_mode_16_64 0
		.amdhsa_float_denorm_mode_32 3
		.amdhsa_float_denorm_mode_16_64 3
		.amdhsa_dx10_clamp 1
		.amdhsa_ieee_mode 1
		.amdhsa_fp16_overflow 0
		.amdhsa_tg_split 0
		.amdhsa_exception_fp_ieee_invalid_op 0
		.amdhsa_exception_fp_denorm_src 0
		.amdhsa_exception_fp_ieee_div_zero 0
		.amdhsa_exception_fp_ieee_overflow 0
		.amdhsa_exception_fp_ieee_underflow 0
		.amdhsa_exception_fp_ieee_inexact 0
		.amdhsa_exception_int_div_zero 0
	.end_amdhsa_kernel
	.section	.text._ZN7rocprim17ROCPRIM_400000_NS6detail17trampoline_kernelINS0_14default_configENS1_25partition_config_selectorILNS1_17partition_subalgoE1EiNS0_10empty_typeEbEEZZNS1_14partition_implILS5_1ELb0ES3_jN6thrust23THRUST_200600_302600_NS6detail15normal_iteratorINSA_10device_ptrIiEEEEPS6_NSA_18transform_iteratorI7is_evenIiESF_NSA_11use_defaultESK_EENS0_5tupleIJSF_NSA_16discard_iteratorISK_EEEEENSM_IJSG_SG_EEES6_PlJS6_EEE10hipError_tPvRmT3_T4_T5_T6_T7_T9_mT8_P12ihipStream_tbDpT10_ENKUlT_T0_E_clISt17integral_constantIbLb1EES1A_IbLb0EEEEDaS16_S17_EUlS16_E_NS1_11comp_targetILNS1_3genE4ELNS1_11target_archE910ELNS1_3gpuE8ELNS1_3repE0EEENS1_30default_config_static_selectorELNS0_4arch9wavefront6targetE1EEEvT1_,"axG",@progbits,_ZN7rocprim17ROCPRIM_400000_NS6detail17trampoline_kernelINS0_14default_configENS1_25partition_config_selectorILNS1_17partition_subalgoE1EiNS0_10empty_typeEbEEZZNS1_14partition_implILS5_1ELb0ES3_jN6thrust23THRUST_200600_302600_NS6detail15normal_iteratorINSA_10device_ptrIiEEEEPS6_NSA_18transform_iteratorI7is_evenIiESF_NSA_11use_defaultESK_EENS0_5tupleIJSF_NSA_16discard_iteratorISK_EEEEENSM_IJSG_SG_EEES6_PlJS6_EEE10hipError_tPvRmT3_T4_T5_T6_T7_T9_mT8_P12ihipStream_tbDpT10_ENKUlT_T0_E_clISt17integral_constantIbLb1EES1A_IbLb0EEEEDaS16_S17_EUlS16_E_NS1_11comp_targetILNS1_3genE4ELNS1_11target_archE910ELNS1_3gpuE8ELNS1_3repE0EEENS1_30default_config_static_selectorELNS0_4arch9wavefront6targetE1EEEvT1_,comdat
.Lfunc_end3309:
	.size	_ZN7rocprim17ROCPRIM_400000_NS6detail17trampoline_kernelINS0_14default_configENS1_25partition_config_selectorILNS1_17partition_subalgoE1EiNS0_10empty_typeEbEEZZNS1_14partition_implILS5_1ELb0ES3_jN6thrust23THRUST_200600_302600_NS6detail15normal_iteratorINSA_10device_ptrIiEEEEPS6_NSA_18transform_iteratorI7is_evenIiESF_NSA_11use_defaultESK_EENS0_5tupleIJSF_NSA_16discard_iteratorISK_EEEEENSM_IJSG_SG_EEES6_PlJS6_EEE10hipError_tPvRmT3_T4_T5_T6_T7_T9_mT8_P12ihipStream_tbDpT10_ENKUlT_T0_E_clISt17integral_constantIbLb1EES1A_IbLb0EEEEDaS16_S17_EUlS16_E_NS1_11comp_targetILNS1_3genE4ELNS1_11target_archE910ELNS1_3gpuE8ELNS1_3repE0EEENS1_30default_config_static_selectorELNS0_4arch9wavefront6targetE1EEEvT1_, .Lfunc_end3309-_ZN7rocprim17ROCPRIM_400000_NS6detail17trampoline_kernelINS0_14default_configENS1_25partition_config_selectorILNS1_17partition_subalgoE1EiNS0_10empty_typeEbEEZZNS1_14partition_implILS5_1ELb0ES3_jN6thrust23THRUST_200600_302600_NS6detail15normal_iteratorINSA_10device_ptrIiEEEEPS6_NSA_18transform_iteratorI7is_evenIiESF_NSA_11use_defaultESK_EENS0_5tupleIJSF_NSA_16discard_iteratorISK_EEEEENSM_IJSG_SG_EEES6_PlJS6_EEE10hipError_tPvRmT3_T4_T5_T6_T7_T9_mT8_P12ihipStream_tbDpT10_ENKUlT_T0_E_clISt17integral_constantIbLb1EES1A_IbLb0EEEEDaS16_S17_EUlS16_E_NS1_11comp_targetILNS1_3genE4ELNS1_11target_archE910ELNS1_3gpuE8ELNS1_3repE0EEENS1_30default_config_static_selectorELNS0_4arch9wavefront6targetE1EEEvT1_
                                        ; -- End function
	.section	.AMDGPU.csdata,"",@progbits
; Kernel info:
; codeLenInByte = 4788
; NumSgprs: 44
; NumVgprs: 47
; NumAgprs: 0
; TotalNumVgprs: 47
; ScratchSize: 0
; MemoryBound: 0
; FloatMode: 240
; IeeeMode: 1
; LDSByteSize: 7176 bytes/workgroup (compile time only)
; SGPRBlocks: 5
; VGPRBlocks: 5
; NumSGPRsForWavesPerEU: 44
; NumVGPRsForWavesPerEU: 47
; AccumOffset: 48
; Occupancy: 8
; WaveLimiterHint : 1
; COMPUTE_PGM_RSRC2:SCRATCH_EN: 0
; COMPUTE_PGM_RSRC2:USER_SGPR: 6
; COMPUTE_PGM_RSRC2:TRAP_HANDLER: 0
; COMPUTE_PGM_RSRC2:TGID_X_EN: 1
; COMPUTE_PGM_RSRC2:TGID_Y_EN: 0
; COMPUTE_PGM_RSRC2:TGID_Z_EN: 0
; COMPUTE_PGM_RSRC2:TIDIG_COMP_CNT: 0
; COMPUTE_PGM_RSRC3_GFX90A:ACCUM_OFFSET: 11
; COMPUTE_PGM_RSRC3_GFX90A:TG_SPLIT: 0
	.section	.text._ZN7rocprim17ROCPRIM_400000_NS6detail17trampoline_kernelINS0_14default_configENS1_25partition_config_selectorILNS1_17partition_subalgoE1EiNS0_10empty_typeEbEEZZNS1_14partition_implILS5_1ELb0ES3_jN6thrust23THRUST_200600_302600_NS6detail15normal_iteratorINSA_10device_ptrIiEEEEPS6_NSA_18transform_iteratorI7is_evenIiESF_NSA_11use_defaultESK_EENS0_5tupleIJSF_NSA_16discard_iteratorISK_EEEEENSM_IJSG_SG_EEES6_PlJS6_EEE10hipError_tPvRmT3_T4_T5_T6_T7_T9_mT8_P12ihipStream_tbDpT10_ENKUlT_T0_E_clISt17integral_constantIbLb1EES1A_IbLb0EEEEDaS16_S17_EUlS16_E_NS1_11comp_targetILNS1_3genE3ELNS1_11target_archE908ELNS1_3gpuE7ELNS1_3repE0EEENS1_30default_config_static_selectorELNS0_4arch9wavefront6targetE1EEEvT1_,"axG",@progbits,_ZN7rocprim17ROCPRIM_400000_NS6detail17trampoline_kernelINS0_14default_configENS1_25partition_config_selectorILNS1_17partition_subalgoE1EiNS0_10empty_typeEbEEZZNS1_14partition_implILS5_1ELb0ES3_jN6thrust23THRUST_200600_302600_NS6detail15normal_iteratorINSA_10device_ptrIiEEEEPS6_NSA_18transform_iteratorI7is_evenIiESF_NSA_11use_defaultESK_EENS0_5tupleIJSF_NSA_16discard_iteratorISK_EEEEENSM_IJSG_SG_EEES6_PlJS6_EEE10hipError_tPvRmT3_T4_T5_T6_T7_T9_mT8_P12ihipStream_tbDpT10_ENKUlT_T0_E_clISt17integral_constantIbLb1EES1A_IbLb0EEEEDaS16_S17_EUlS16_E_NS1_11comp_targetILNS1_3genE3ELNS1_11target_archE908ELNS1_3gpuE7ELNS1_3repE0EEENS1_30default_config_static_selectorELNS0_4arch9wavefront6targetE1EEEvT1_,comdat
	.protected	_ZN7rocprim17ROCPRIM_400000_NS6detail17trampoline_kernelINS0_14default_configENS1_25partition_config_selectorILNS1_17partition_subalgoE1EiNS0_10empty_typeEbEEZZNS1_14partition_implILS5_1ELb0ES3_jN6thrust23THRUST_200600_302600_NS6detail15normal_iteratorINSA_10device_ptrIiEEEEPS6_NSA_18transform_iteratorI7is_evenIiESF_NSA_11use_defaultESK_EENS0_5tupleIJSF_NSA_16discard_iteratorISK_EEEEENSM_IJSG_SG_EEES6_PlJS6_EEE10hipError_tPvRmT3_T4_T5_T6_T7_T9_mT8_P12ihipStream_tbDpT10_ENKUlT_T0_E_clISt17integral_constantIbLb1EES1A_IbLb0EEEEDaS16_S17_EUlS16_E_NS1_11comp_targetILNS1_3genE3ELNS1_11target_archE908ELNS1_3gpuE7ELNS1_3repE0EEENS1_30default_config_static_selectorELNS0_4arch9wavefront6targetE1EEEvT1_ ; -- Begin function _ZN7rocprim17ROCPRIM_400000_NS6detail17trampoline_kernelINS0_14default_configENS1_25partition_config_selectorILNS1_17partition_subalgoE1EiNS0_10empty_typeEbEEZZNS1_14partition_implILS5_1ELb0ES3_jN6thrust23THRUST_200600_302600_NS6detail15normal_iteratorINSA_10device_ptrIiEEEEPS6_NSA_18transform_iteratorI7is_evenIiESF_NSA_11use_defaultESK_EENS0_5tupleIJSF_NSA_16discard_iteratorISK_EEEEENSM_IJSG_SG_EEES6_PlJS6_EEE10hipError_tPvRmT3_T4_T5_T6_T7_T9_mT8_P12ihipStream_tbDpT10_ENKUlT_T0_E_clISt17integral_constantIbLb1EES1A_IbLb0EEEEDaS16_S17_EUlS16_E_NS1_11comp_targetILNS1_3genE3ELNS1_11target_archE908ELNS1_3gpuE7ELNS1_3repE0EEENS1_30default_config_static_selectorELNS0_4arch9wavefront6targetE1EEEvT1_
	.globl	_ZN7rocprim17ROCPRIM_400000_NS6detail17trampoline_kernelINS0_14default_configENS1_25partition_config_selectorILNS1_17partition_subalgoE1EiNS0_10empty_typeEbEEZZNS1_14partition_implILS5_1ELb0ES3_jN6thrust23THRUST_200600_302600_NS6detail15normal_iteratorINSA_10device_ptrIiEEEEPS6_NSA_18transform_iteratorI7is_evenIiESF_NSA_11use_defaultESK_EENS0_5tupleIJSF_NSA_16discard_iteratorISK_EEEEENSM_IJSG_SG_EEES6_PlJS6_EEE10hipError_tPvRmT3_T4_T5_T6_T7_T9_mT8_P12ihipStream_tbDpT10_ENKUlT_T0_E_clISt17integral_constantIbLb1EES1A_IbLb0EEEEDaS16_S17_EUlS16_E_NS1_11comp_targetILNS1_3genE3ELNS1_11target_archE908ELNS1_3gpuE7ELNS1_3repE0EEENS1_30default_config_static_selectorELNS0_4arch9wavefront6targetE1EEEvT1_
	.p2align	8
	.type	_ZN7rocprim17ROCPRIM_400000_NS6detail17trampoline_kernelINS0_14default_configENS1_25partition_config_selectorILNS1_17partition_subalgoE1EiNS0_10empty_typeEbEEZZNS1_14partition_implILS5_1ELb0ES3_jN6thrust23THRUST_200600_302600_NS6detail15normal_iteratorINSA_10device_ptrIiEEEEPS6_NSA_18transform_iteratorI7is_evenIiESF_NSA_11use_defaultESK_EENS0_5tupleIJSF_NSA_16discard_iteratorISK_EEEEENSM_IJSG_SG_EEES6_PlJS6_EEE10hipError_tPvRmT3_T4_T5_T6_T7_T9_mT8_P12ihipStream_tbDpT10_ENKUlT_T0_E_clISt17integral_constantIbLb1EES1A_IbLb0EEEEDaS16_S17_EUlS16_E_NS1_11comp_targetILNS1_3genE3ELNS1_11target_archE908ELNS1_3gpuE7ELNS1_3repE0EEENS1_30default_config_static_selectorELNS0_4arch9wavefront6targetE1EEEvT1_,@function
_ZN7rocprim17ROCPRIM_400000_NS6detail17trampoline_kernelINS0_14default_configENS1_25partition_config_selectorILNS1_17partition_subalgoE1EiNS0_10empty_typeEbEEZZNS1_14partition_implILS5_1ELb0ES3_jN6thrust23THRUST_200600_302600_NS6detail15normal_iteratorINSA_10device_ptrIiEEEEPS6_NSA_18transform_iteratorI7is_evenIiESF_NSA_11use_defaultESK_EENS0_5tupleIJSF_NSA_16discard_iteratorISK_EEEEENSM_IJSG_SG_EEES6_PlJS6_EEE10hipError_tPvRmT3_T4_T5_T6_T7_T9_mT8_P12ihipStream_tbDpT10_ENKUlT_T0_E_clISt17integral_constantIbLb1EES1A_IbLb0EEEEDaS16_S17_EUlS16_E_NS1_11comp_targetILNS1_3genE3ELNS1_11target_archE908ELNS1_3gpuE7ELNS1_3repE0EEENS1_30default_config_static_selectorELNS0_4arch9wavefront6targetE1EEEvT1_: ; @_ZN7rocprim17ROCPRIM_400000_NS6detail17trampoline_kernelINS0_14default_configENS1_25partition_config_selectorILNS1_17partition_subalgoE1EiNS0_10empty_typeEbEEZZNS1_14partition_implILS5_1ELb0ES3_jN6thrust23THRUST_200600_302600_NS6detail15normal_iteratorINSA_10device_ptrIiEEEEPS6_NSA_18transform_iteratorI7is_evenIiESF_NSA_11use_defaultESK_EENS0_5tupleIJSF_NSA_16discard_iteratorISK_EEEEENSM_IJSG_SG_EEES6_PlJS6_EEE10hipError_tPvRmT3_T4_T5_T6_T7_T9_mT8_P12ihipStream_tbDpT10_ENKUlT_T0_E_clISt17integral_constantIbLb1EES1A_IbLb0EEEEDaS16_S17_EUlS16_E_NS1_11comp_targetILNS1_3genE3ELNS1_11target_archE908ELNS1_3gpuE7ELNS1_3repE0EEENS1_30default_config_static_selectorELNS0_4arch9wavefront6targetE1EEEvT1_
; %bb.0:
	.section	.rodata,"a",@progbits
	.p2align	6, 0x0
	.amdhsa_kernel _ZN7rocprim17ROCPRIM_400000_NS6detail17trampoline_kernelINS0_14default_configENS1_25partition_config_selectorILNS1_17partition_subalgoE1EiNS0_10empty_typeEbEEZZNS1_14partition_implILS5_1ELb0ES3_jN6thrust23THRUST_200600_302600_NS6detail15normal_iteratorINSA_10device_ptrIiEEEEPS6_NSA_18transform_iteratorI7is_evenIiESF_NSA_11use_defaultESK_EENS0_5tupleIJSF_NSA_16discard_iteratorISK_EEEEENSM_IJSG_SG_EEES6_PlJS6_EEE10hipError_tPvRmT3_T4_T5_T6_T7_T9_mT8_P12ihipStream_tbDpT10_ENKUlT_T0_E_clISt17integral_constantIbLb1EES1A_IbLb0EEEEDaS16_S17_EUlS16_E_NS1_11comp_targetILNS1_3genE3ELNS1_11target_archE908ELNS1_3gpuE7ELNS1_3repE0EEENS1_30default_config_static_selectorELNS0_4arch9wavefront6targetE1EEEvT1_
		.amdhsa_group_segment_fixed_size 0
		.amdhsa_private_segment_fixed_size 0
		.amdhsa_kernarg_size 136
		.amdhsa_user_sgpr_count 6
		.amdhsa_user_sgpr_private_segment_buffer 1
		.amdhsa_user_sgpr_dispatch_ptr 0
		.amdhsa_user_sgpr_queue_ptr 0
		.amdhsa_user_sgpr_kernarg_segment_ptr 1
		.amdhsa_user_sgpr_dispatch_id 0
		.amdhsa_user_sgpr_flat_scratch_init 0
		.amdhsa_user_sgpr_kernarg_preload_length 0
		.amdhsa_user_sgpr_kernarg_preload_offset 0
		.amdhsa_user_sgpr_private_segment_size 0
		.amdhsa_uses_dynamic_stack 0
		.amdhsa_system_sgpr_private_segment_wavefront_offset 0
		.amdhsa_system_sgpr_workgroup_id_x 1
		.amdhsa_system_sgpr_workgroup_id_y 0
		.amdhsa_system_sgpr_workgroup_id_z 0
		.amdhsa_system_sgpr_workgroup_info 0
		.amdhsa_system_vgpr_workitem_id 0
		.amdhsa_next_free_vgpr 1
		.amdhsa_next_free_sgpr 0
		.amdhsa_accum_offset 4
		.amdhsa_reserve_vcc 0
		.amdhsa_reserve_flat_scratch 0
		.amdhsa_float_round_mode_32 0
		.amdhsa_float_round_mode_16_64 0
		.amdhsa_float_denorm_mode_32 3
		.amdhsa_float_denorm_mode_16_64 3
		.amdhsa_dx10_clamp 1
		.amdhsa_ieee_mode 1
		.amdhsa_fp16_overflow 0
		.amdhsa_tg_split 0
		.amdhsa_exception_fp_ieee_invalid_op 0
		.amdhsa_exception_fp_denorm_src 0
		.amdhsa_exception_fp_ieee_div_zero 0
		.amdhsa_exception_fp_ieee_overflow 0
		.amdhsa_exception_fp_ieee_underflow 0
		.amdhsa_exception_fp_ieee_inexact 0
		.amdhsa_exception_int_div_zero 0
	.end_amdhsa_kernel
	.section	.text._ZN7rocprim17ROCPRIM_400000_NS6detail17trampoline_kernelINS0_14default_configENS1_25partition_config_selectorILNS1_17partition_subalgoE1EiNS0_10empty_typeEbEEZZNS1_14partition_implILS5_1ELb0ES3_jN6thrust23THRUST_200600_302600_NS6detail15normal_iteratorINSA_10device_ptrIiEEEEPS6_NSA_18transform_iteratorI7is_evenIiESF_NSA_11use_defaultESK_EENS0_5tupleIJSF_NSA_16discard_iteratorISK_EEEEENSM_IJSG_SG_EEES6_PlJS6_EEE10hipError_tPvRmT3_T4_T5_T6_T7_T9_mT8_P12ihipStream_tbDpT10_ENKUlT_T0_E_clISt17integral_constantIbLb1EES1A_IbLb0EEEEDaS16_S17_EUlS16_E_NS1_11comp_targetILNS1_3genE3ELNS1_11target_archE908ELNS1_3gpuE7ELNS1_3repE0EEENS1_30default_config_static_selectorELNS0_4arch9wavefront6targetE1EEEvT1_,"axG",@progbits,_ZN7rocprim17ROCPRIM_400000_NS6detail17trampoline_kernelINS0_14default_configENS1_25partition_config_selectorILNS1_17partition_subalgoE1EiNS0_10empty_typeEbEEZZNS1_14partition_implILS5_1ELb0ES3_jN6thrust23THRUST_200600_302600_NS6detail15normal_iteratorINSA_10device_ptrIiEEEEPS6_NSA_18transform_iteratorI7is_evenIiESF_NSA_11use_defaultESK_EENS0_5tupleIJSF_NSA_16discard_iteratorISK_EEEEENSM_IJSG_SG_EEES6_PlJS6_EEE10hipError_tPvRmT3_T4_T5_T6_T7_T9_mT8_P12ihipStream_tbDpT10_ENKUlT_T0_E_clISt17integral_constantIbLb1EES1A_IbLb0EEEEDaS16_S17_EUlS16_E_NS1_11comp_targetILNS1_3genE3ELNS1_11target_archE908ELNS1_3gpuE7ELNS1_3repE0EEENS1_30default_config_static_selectorELNS0_4arch9wavefront6targetE1EEEvT1_,comdat
.Lfunc_end3310:
	.size	_ZN7rocprim17ROCPRIM_400000_NS6detail17trampoline_kernelINS0_14default_configENS1_25partition_config_selectorILNS1_17partition_subalgoE1EiNS0_10empty_typeEbEEZZNS1_14partition_implILS5_1ELb0ES3_jN6thrust23THRUST_200600_302600_NS6detail15normal_iteratorINSA_10device_ptrIiEEEEPS6_NSA_18transform_iteratorI7is_evenIiESF_NSA_11use_defaultESK_EENS0_5tupleIJSF_NSA_16discard_iteratorISK_EEEEENSM_IJSG_SG_EEES6_PlJS6_EEE10hipError_tPvRmT3_T4_T5_T6_T7_T9_mT8_P12ihipStream_tbDpT10_ENKUlT_T0_E_clISt17integral_constantIbLb1EES1A_IbLb0EEEEDaS16_S17_EUlS16_E_NS1_11comp_targetILNS1_3genE3ELNS1_11target_archE908ELNS1_3gpuE7ELNS1_3repE0EEENS1_30default_config_static_selectorELNS0_4arch9wavefront6targetE1EEEvT1_, .Lfunc_end3310-_ZN7rocprim17ROCPRIM_400000_NS6detail17trampoline_kernelINS0_14default_configENS1_25partition_config_selectorILNS1_17partition_subalgoE1EiNS0_10empty_typeEbEEZZNS1_14partition_implILS5_1ELb0ES3_jN6thrust23THRUST_200600_302600_NS6detail15normal_iteratorINSA_10device_ptrIiEEEEPS6_NSA_18transform_iteratorI7is_evenIiESF_NSA_11use_defaultESK_EENS0_5tupleIJSF_NSA_16discard_iteratorISK_EEEEENSM_IJSG_SG_EEES6_PlJS6_EEE10hipError_tPvRmT3_T4_T5_T6_T7_T9_mT8_P12ihipStream_tbDpT10_ENKUlT_T0_E_clISt17integral_constantIbLb1EES1A_IbLb0EEEEDaS16_S17_EUlS16_E_NS1_11comp_targetILNS1_3genE3ELNS1_11target_archE908ELNS1_3gpuE7ELNS1_3repE0EEENS1_30default_config_static_selectorELNS0_4arch9wavefront6targetE1EEEvT1_
                                        ; -- End function
	.section	.AMDGPU.csdata,"",@progbits
; Kernel info:
; codeLenInByte = 0
; NumSgprs: 4
; NumVgprs: 0
; NumAgprs: 0
; TotalNumVgprs: 0
; ScratchSize: 0
; MemoryBound: 0
; FloatMode: 240
; IeeeMode: 1
; LDSByteSize: 0 bytes/workgroup (compile time only)
; SGPRBlocks: 0
; VGPRBlocks: 0
; NumSGPRsForWavesPerEU: 4
; NumVGPRsForWavesPerEU: 1
; AccumOffset: 4
; Occupancy: 8
; WaveLimiterHint : 0
; COMPUTE_PGM_RSRC2:SCRATCH_EN: 0
; COMPUTE_PGM_RSRC2:USER_SGPR: 6
; COMPUTE_PGM_RSRC2:TRAP_HANDLER: 0
; COMPUTE_PGM_RSRC2:TGID_X_EN: 1
; COMPUTE_PGM_RSRC2:TGID_Y_EN: 0
; COMPUTE_PGM_RSRC2:TGID_Z_EN: 0
; COMPUTE_PGM_RSRC2:TIDIG_COMP_CNT: 0
; COMPUTE_PGM_RSRC3_GFX90A:ACCUM_OFFSET: 0
; COMPUTE_PGM_RSRC3_GFX90A:TG_SPLIT: 0
	.section	.text._ZN7rocprim17ROCPRIM_400000_NS6detail17trampoline_kernelINS0_14default_configENS1_25partition_config_selectorILNS1_17partition_subalgoE1EiNS0_10empty_typeEbEEZZNS1_14partition_implILS5_1ELb0ES3_jN6thrust23THRUST_200600_302600_NS6detail15normal_iteratorINSA_10device_ptrIiEEEEPS6_NSA_18transform_iteratorI7is_evenIiESF_NSA_11use_defaultESK_EENS0_5tupleIJSF_NSA_16discard_iteratorISK_EEEEENSM_IJSG_SG_EEES6_PlJS6_EEE10hipError_tPvRmT3_T4_T5_T6_T7_T9_mT8_P12ihipStream_tbDpT10_ENKUlT_T0_E_clISt17integral_constantIbLb1EES1A_IbLb0EEEEDaS16_S17_EUlS16_E_NS1_11comp_targetILNS1_3genE2ELNS1_11target_archE906ELNS1_3gpuE6ELNS1_3repE0EEENS1_30default_config_static_selectorELNS0_4arch9wavefront6targetE1EEEvT1_,"axG",@progbits,_ZN7rocprim17ROCPRIM_400000_NS6detail17trampoline_kernelINS0_14default_configENS1_25partition_config_selectorILNS1_17partition_subalgoE1EiNS0_10empty_typeEbEEZZNS1_14partition_implILS5_1ELb0ES3_jN6thrust23THRUST_200600_302600_NS6detail15normal_iteratorINSA_10device_ptrIiEEEEPS6_NSA_18transform_iteratorI7is_evenIiESF_NSA_11use_defaultESK_EENS0_5tupleIJSF_NSA_16discard_iteratorISK_EEEEENSM_IJSG_SG_EEES6_PlJS6_EEE10hipError_tPvRmT3_T4_T5_T6_T7_T9_mT8_P12ihipStream_tbDpT10_ENKUlT_T0_E_clISt17integral_constantIbLb1EES1A_IbLb0EEEEDaS16_S17_EUlS16_E_NS1_11comp_targetILNS1_3genE2ELNS1_11target_archE906ELNS1_3gpuE6ELNS1_3repE0EEENS1_30default_config_static_selectorELNS0_4arch9wavefront6targetE1EEEvT1_,comdat
	.protected	_ZN7rocprim17ROCPRIM_400000_NS6detail17trampoline_kernelINS0_14default_configENS1_25partition_config_selectorILNS1_17partition_subalgoE1EiNS0_10empty_typeEbEEZZNS1_14partition_implILS5_1ELb0ES3_jN6thrust23THRUST_200600_302600_NS6detail15normal_iteratorINSA_10device_ptrIiEEEEPS6_NSA_18transform_iteratorI7is_evenIiESF_NSA_11use_defaultESK_EENS0_5tupleIJSF_NSA_16discard_iteratorISK_EEEEENSM_IJSG_SG_EEES6_PlJS6_EEE10hipError_tPvRmT3_T4_T5_T6_T7_T9_mT8_P12ihipStream_tbDpT10_ENKUlT_T0_E_clISt17integral_constantIbLb1EES1A_IbLb0EEEEDaS16_S17_EUlS16_E_NS1_11comp_targetILNS1_3genE2ELNS1_11target_archE906ELNS1_3gpuE6ELNS1_3repE0EEENS1_30default_config_static_selectorELNS0_4arch9wavefront6targetE1EEEvT1_ ; -- Begin function _ZN7rocprim17ROCPRIM_400000_NS6detail17trampoline_kernelINS0_14default_configENS1_25partition_config_selectorILNS1_17partition_subalgoE1EiNS0_10empty_typeEbEEZZNS1_14partition_implILS5_1ELb0ES3_jN6thrust23THRUST_200600_302600_NS6detail15normal_iteratorINSA_10device_ptrIiEEEEPS6_NSA_18transform_iteratorI7is_evenIiESF_NSA_11use_defaultESK_EENS0_5tupleIJSF_NSA_16discard_iteratorISK_EEEEENSM_IJSG_SG_EEES6_PlJS6_EEE10hipError_tPvRmT3_T4_T5_T6_T7_T9_mT8_P12ihipStream_tbDpT10_ENKUlT_T0_E_clISt17integral_constantIbLb1EES1A_IbLb0EEEEDaS16_S17_EUlS16_E_NS1_11comp_targetILNS1_3genE2ELNS1_11target_archE906ELNS1_3gpuE6ELNS1_3repE0EEENS1_30default_config_static_selectorELNS0_4arch9wavefront6targetE1EEEvT1_
	.globl	_ZN7rocprim17ROCPRIM_400000_NS6detail17trampoline_kernelINS0_14default_configENS1_25partition_config_selectorILNS1_17partition_subalgoE1EiNS0_10empty_typeEbEEZZNS1_14partition_implILS5_1ELb0ES3_jN6thrust23THRUST_200600_302600_NS6detail15normal_iteratorINSA_10device_ptrIiEEEEPS6_NSA_18transform_iteratorI7is_evenIiESF_NSA_11use_defaultESK_EENS0_5tupleIJSF_NSA_16discard_iteratorISK_EEEEENSM_IJSG_SG_EEES6_PlJS6_EEE10hipError_tPvRmT3_T4_T5_T6_T7_T9_mT8_P12ihipStream_tbDpT10_ENKUlT_T0_E_clISt17integral_constantIbLb1EES1A_IbLb0EEEEDaS16_S17_EUlS16_E_NS1_11comp_targetILNS1_3genE2ELNS1_11target_archE906ELNS1_3gpuE6ELNS1_3repE0EEENS1_30default_config_static_selectorELNS0_4arch9wavefront6targetE1EEEvT1_
	.p2align	8
	.type	_ZN7rocprim17ROCPRIM_400000_NS6detail17trampoline_kernelINS0_14default_configENS1_25partition_config_selectorILNS1_17partition_subalgoE1EiNS0_10empty_typeEbEEZZNS1_14partition_implILS5_1ELb0ES3_jN6thrust23THRUST_200600_302600_NS6detail15normal_iteratorINSA_10device_ptrIiEEEEPS6_NSA_18transform_iteratorI7is_evenIiESF_NSA_11use_defaultESK_EENS0_5tupleIJSF_NSA_16discard_iteratorISK_EEEEENSM_IJSG_SG_EEES6_PlJS6_EEE10hipError_tPvRmT3_T4_T5_T6_T7_T9_mT8_P12ihipStream_tbDpT10_ENKUlT_T0_E_clISt17integral_constantIbLb1EES1A_IbLb0EEEEDaS16_S17_EUlS16_E_NS1_11comp_targetILNS1_3genE2ELNS1_11target_archE906ELNS1_3gpuE6ELNS1_3repE0EEENS1_30default_config_static_selectorELNS0_4arch9wavefront6targetE1EEEvT1_,@function
_ZN7rocprim17ROCPRIM_400000_NS6detail17trampoline_kernelINS0_14default_configENS1_25partition_config_selectorILNS1_17partition_subalgoE1EiNS0_10empty_typeEbEEZZNS1_14partition_implILS5_1ELb0ES3_jN6thrust23THRUST_200600_302600_NS6detail15normal_iteratorINSA_10device_ptrIiEEEEPS6_NSA_18transform_iteratorI7is_evenIiESF_NSA_11use_defaultESK_EENS0_5tupleIJSF_NSA_16discard_iteratorISK_EEEEENSM_IJSG_SG_EEES6_PlJS6_EEE10hipError_tPvRmT3_T4_T5_T6_T7_T9_mT8_P12ihipStream_tbDpT10_ENKUlT_T0_E_clISt17integral_constantIbLb1EES1A_IbLb0EEEEDaS16_S17_EUlS16_E_NS1_11comp_targetILNS1_3genE2ELNS1_11target_archE906ELNS1_3gpuE6ELNS1_3repE0EEENS1_30default_config_static_selectorELNS0_4arch9wavefront6targetE1EEEvT1_: ; @_ZN7rocprim17ROCPRIM_400000_NS6detail17trampoline_kernelINS0_14default_configENS1_25partition_config_selectorILNS1_17partition_subalgoE1EiNS0_10empty_typeEbEEZZNS1_14partition_implILS5_1ELb0ES3_jN6thrust23THRUST_200600_302600_NS6detail15normal_iteratorINSA_10device_ptrIiEEEEPS6_NSA_18transform_iteratorI7is_evenIiESF_NSA_11use_defaultESK_EENS0_5tupleIJSF_NSA_16discard_iteratorISK_EEEEENSM_IJSG_SG_EEES6_PlJS6_EEE10hipError_tPvRmT3_T4_T5_T6_T7_T9_mT8_P12ihipStream_tbDpT10_ENKUlT_T0_E_clISt17integral_constantIbLb1EES1A_IbLb0EEEEDaS16_S17_EUlS16_E_NS1_11comp_targetILNS1_3genE2ELNS1_11target_archE906ELNS1_3gpuE6ELNS1_3repE0EEENS1_30default_config_static_selectorELNS0_4arch9wavefront6targetE1EEEvT1_
; %bb.0:
	.section	.rodata,"a",@progbits
	.p2align	6, 0x0
	.amdhsa_kernel _ZN7rocprim17ROCPRIM_400000_NS6detail17trampoline_kernelINS0_14default_configENS1_25partition_config_selectorILNS1_17partition_subalgoE1EiNS0_10empty_typeEbEEZZNS1_14partition_implILS5_1ELb0ES3_jN6thrust23THRUST_200600_302600_NS6detail15normal_iteratorINSA_10device_ptrIiEEEEPS6_NSA_18transform_iteratorI7is_evenIiESF_NSA_11use_defaultESK_EENS0_5tupleIJSF_NSA_16discard_iteratorISK_EEEEENSM_IJSG_SG_EEES6_PlJS6_EEE10hipError_tPvRmT3_T4_T5_T6_T7_T9_mT8_P12ihipStream_tbDpT10_ENKUlT_T0_E_clISt17integral_constantIbLb1EES1A_IbLb0EEEEDaS16_S17_EUlS16_E_NS1_11comp_targetILNS1_3genE2ELNS1_11target_archE906ELNS1_3gpuE6ELNS1_3repE0EEENS1_30default_config_static_selectorELNS0_4arch9wavefront6targetE1EEEvT1_
		.amdhsa_group_segment_fixed_size 0
		.amdhsa_private_segment_fixed_size 0
		.amdhsa_kernarg_size 136
		.amdhsa_user_sgpr_count 6
		.amdhsa_user_sgpr_private_segment_buffer 1
		.amdhsa_user_sgpr_dispatch_ptr 0
		.amdhsa_user_sgpr_queue_ptr 0
		.amdhsa_user_sgpr_kernarg_segment_ptr 1
		.amdhsa_user_sgpr_dispatch_id 0
		.amdhsa_user_sgpr_flat_scratch_init 0
		.amdhsa_user_sgpr_kernarg_preload_length 0
		.amdhsa_user_sgpr_kernarg_preload_offset 0
		.amdhsa_user_sgpr_private_segment_size 0
		.amdhsa_uses_dynamic_stack 0
		.amdhsa_system_sgpr_private_segment_wavefront_offset 0
		.amdhsa_system_sgpr_workgroup_id_x 1
		.amdhsa_system_sgpr_workgroup_id_y 0
		.amdhsa_system_sgpr_workgroup_id_z 0
		.amdhsa_system_sgpr_workgroup_info 0
		.amdhsa_system_vgpr_workitem_id 0
		.amdhsa_next_free_vgpr 1
		.amdhsa_next_free_sgpr 0
		.amdhsa_accum_offset 4
		.amdhsa_reserve_vcc 0
		.amdhsa_reserve_flat_scratch 0
		.amdhsa_float_round_mode_32 0
		.amdhsa_float_round_mode_16_64 0
		.amdhsa_float_denorm_mode_32 3
		.amdhsa_float_denorm_mode_16_64 3
		.amdhsa_dx10_clamp 1
		.amdhsa_ieee_mode 1
		.amdhsa_fp16_overflow 0
		.amdhsa_tg_split 0
		.amdhsa_exception_fp_ieee_invalid_op 0
		.amdhsa_exception_fp_denorm_src 0
		.amdhsa_exception_fp_ieee_div_zero 0
		.amdhsa_exception_fp_ieee_overflow 0
		.amdhsa_exception_fp_ieee_underflow 0
		.amdhsa_exception_fp_ieee_inexact 0
		.amdhsa_exception_int_div_zero 0
	.end_amdhsa_kernel
	.section	.text._ZN7rocprim17ROCPRIM_400000_NS6detail17trampoline_kernelINS0_14default_configENS1_25partition_config_selectorILNS1_17partition_subalgoE1EiNS0_10empty_typeEbEEZZNS1_14partition_implILS5_1ELb0ES3_jN6thrust23THRUST_200600_302600_NS6detail15normal_iteratorINSA_10device_ptrIiEEEEPS6_NSA_18transform_iteratorI7is_evenIiESF_NSA_11use_defaultESK_EENS0_5tupleIJSF_NSA_16discard_iteratorISK_EEEEENSM_IJSG_SG_EEES6_PlJS6_EEE10hipError_tPvRmT3_T4_T5_T6_T7_T9_mT8_P12ihipStream_tbDpT10_ENKUlT_T0_E_clISt17integral_constantIbLb1EES1A_IbLb0EEEEDaS16_S17_EUlS16_E_NS1_11comp_targetILNS1_3genE2ELNS1_11target_archE906ELNS1_3gpuE6ELNS1_3repE0EEENS1_30default_config_static_selectorELNS0_4arch9wavefront6targetE1EEEvT1_,"axG",@progbits,_ZN7rocprim17ROCPRIM_400000_NS6detail17trampoline_kernelINS0_14default_configENS1_25partition_config_selectorILNS1_17partition_subalgoE1EiNS0_10empty_typeEbEEZZNS1_14partition_implILS5_1ELb0ES3_jN6thrust23THRUST_200600_302600_NS6detail15normal_iteratorINSA_10device_ptrIiEEEEPS6_NSA_18transform_iteratorI7is_evenIiESF_NSA_11use_defaultESK_EENS0_5tupleIJSF_NSA_16discard_iteratorISK_EEEEENSM_IJSG_SG_EEES6_PlJS6_EEE10hipError_tPvRmT3_T4_T5_T6_T7_T9_mT8_P12ihipStream_tbDpT10_ENKUlT_T0_E_clISt17integral_constantIbLb1EES1A_IbLb0EEEEDaS16_S17_EUlS16_E_NS1_11comp_targetILNS1_3genE2ELNS1_11target_archE906ELNS1_3gpuE6ELNS1_3repE0EEENS1_30default_config_static_selectorELNS0_4arch9wavefront6targetE1EEEvT1_,comdat
.Lfunc_end3311:
	.size	_ZN7rocprim17ROCPRIM_400000_NS6detail17trampoline_kernelINS0_14default_configENS1_25partition_config_selectorILNS1_17partition_subalgoE1EiNS0_10empty_typeEbEEZZNS1_14partition_implILS5_1ELb0ES3_jN6thrust23THRUST_200600_302600_NS6detail15normal_iteratorINSA_10device_ptrIiEEEEPS6_NSA_18transform_iteratorI7is_evenIiESF_NSA_11use_defaultESK_EENS0_5tupleIJSF_NSA_16discard_iteratorISK_EEEEENSM_IJSG_SG_EEES6_PlJS6_EEE10hipError_tPvRmT3_T4_T5_T6_T7_T9_mT8_P12ihipStream_tbDpT10_ENKUlT_T0_E_clISt17integral_constantIbLb1EES1A_IbLb0EEEEDaS16_S17_EUlS16_E_NS1_11comp_targetILNS1_3genE2ELNS1_11target_archE906ELNS1_3gpuE6ELNS1_3repE0EEENS1_30default_config_static_selectorELNS0_4arch9wavefront6targetE1EEEvT1_, .Lfunc_end3311-_ZN7rocprim17ROCPRIM_400000_NS6detail17trampoline_kernelINS0_14default_configENS1_25partition_config_selectorILNS1_17partition_subalgoE1EiNS0_10empty_typeEbEEZZNS1_14partition_implILS5_1ELb0ES3_jN6thrust23THRUST_200600_302600_NS6detail15normal_iteratorINSA_10device_ptrIiEEEEPS6_NSA_18transform_iteratorI7is_evenIiESF_NSA_11use_defaultESK_EENS0_5tupleIJSF_NSA_16discard_iteratorISK_EEEEENSM_IJSG_SG_EEES6_PlJS6_EEE10hipError_tPvRmT3_T4_T5_T6_T7_T9_mT8_P12ihipStream_tbDpT10_ENKUlT_T0_E_clISt17integral_constantIbLb1EES1A_IbLb0EEEEDaS16_S17_EUlS16_E_NS1_11comp_targetILNS1_3genE2ELNS1_11target_archE906ELNS1_3gpuE6ELNS1_3repE0EEENS1_30default_config_static_selectorELNS0_4arch9wavefront6targetE1EEEvT1_
                                        ; -- End function
	.section	.AMDGPU.csdata,"",@progbits
; Kernel info:
; codeLenInByte = 0
; NumSgprs: 4
; NumVgprs: 0
; NumAgprs: 0
; TotalNumVgprs: 0
; ScratchSize: 0
; MemoryBound: 0
; FloatMode: 240
; IeeeMode: 1
; LDSByteSize: 0 bytes/workgroup (compile time only)
; SGPRBlocks: 0
; VGPRBlocks: 0
; NumSGPRsForWavesPerEU: 4
; NumVGPRsForWavesPerEU: 1
; AccumOffset: 4
; Occupancy: 8
; WaveLimiterHint : 0
; COMPUTE_PGM_RSRC2:SCRATCH_EN: 0
; COMPUTE_PGM_RSRC2:USER_SGPR: 6
; COMPUTE_PGM_RSRC2:TRAP_HANDLER: 0
; COMPUTE_PGM_RSRC2:TGID_X_EN: 1
; COMPUTE_PGM_RSRC2:TGID_Y_EN: 0
; COMPUTE_PGM_RSRC2:TGID_Z_EN: 0
; COMPUTE_PGM_RSRC2:TIDIG_COMP_CNT: 0
; COMPUTE_PGM_RSRC3_GFX90A:ACCUM_OFFSET: 0
; COMPUTE_PGM_RSRC3_GFX90A:TG_SPLIT: 0
	.section	.text._ZN7rocprim17ROCPRIM_400000_NS6detail17trampoline_kernelINS0_14default_configENS1_25partition_config_selectorILNS1_17partition_subalgoE1EiNS0_10empty_typeEbEEZZNS1_14partition_implILS5_1ELb0ES3_jN6thrust23THRUST_200600_302600_NS6detail15normal_iteratorINSA_10device_ptrIiEEEEPS6_NSA_18transform_iteratorI7is_evenIiESF_NSA_11use_defaultESK_EENS0_5tupleIJSF_NSA_16discard_iteratorISK_EEEEENSM_IJSG_SG_EEES6_PlJS6_EEE10hipError_tPvRmT3_T4_T5_T6_T7_T9_mT8_P12ihipStream_tbDpT10_ENKUlT_T0_E_clISt17integral_constantIbLb1EES1A_IbLb0EEEEDaS16_S17_EUlS16_E_NS1_11comp_targetILNS1_3genE10ELNS1_11target_archE1200ELNS1_3gpuE4ELNS1_3repE0EEENS1_30default_config_static_selectorELNS0_4arch9wavefront6targetE1EEEvT1_,"axG",@progbits,_ZN7rocprim17ROCPRIM_400000_NS6detail17trampoline_kernelINS0_14default_configENS1_25partition_config_selectorILNS1_17partition_subalgoE1EiNS0_10empty_typeEbEEZZNS1_14partition_implILS5_1ELb0ES3_jN6thrust23THRUST_200600_302600_NS6detail15normal_iteratorINSA_10device_ptrIiEEEEPS6_NSA_18transform_iteratorI7is_evenIiESF_NSA_11use_defaultESK_EENS0_5tupleIJSF_NSA_16discard_iteratorISK_EEEEENSM_IJSG_SG_EEES6_PlJS6_EEE10hipError_tPvRmT3_T4_T5_T6_T7_T9_mT8_P12ihipStream_tbDpT10_ENKUlT_T0_E_clISt17integral_constantIbLb1EES1A_IbLb0EEEEDaS16_S17_EUlS16_E_NS1_11comp_targetILNS1_3genE10ELNS1_11target_archE1200ELNS1_3gpuE4ELNS1_3repE0EEENS1_30default_config_static_selectorELNS0_4arch9wavefront6targetE1EEEvT1_,comdat
	.protected	_ZN7rocprim17ROCPRIM_400000_NS6detail17trampoline_kernelINS0_14default_configENS1_25partition_config_selectorILNS1_17partition_subalgoE1EiNS0_10empty_typeEbEEZZNS1_14partition_implILS5_1ELb0ES3_jN6thrust23THRUST_200600_302600_NS6detail15normal_iteratorINSA_10device_ptrIiEEEEPS6_NSA_18transform_iteratorI7is_evenIiESF_NSA_11use_defaultESK_EENS0_5tupleIJSF_NSA_16discard_iteratorISK_EEEEENSM_IJSG_SG_EEES6_PlJS6_EEE10hipError_tPvRmT3_T4_T5_T6_T7_T9_mT8_P12ihipStream_tbDpT10_ENKUlT_T0_E_clISt17integral_constantIbLb1EES1A_IbLb0EEEEDaS16_S17_EUlS16_E_NS1_11comp_targetILNS1_3genE10ELNS1_11target_archE1200ELNS1_3gpuE4ELNS1_3repE0EEENS1_30default_config_static_selectorELNS0_4arch9wavefront6targetE1EEEvT1_ ; -- Begin function _ZN7rocprim17ROCPRIM_400000_NS6detail17trampoline_kernelINS0_14default_configENS1_25partition_config_selectorILNS1_17partition_subalgoE1EiNS0_10empty_typeEbEEZZNS1_14partition_implILS5_1ELb0ES3_jN6thrust23THRUST_200600_302600_NS6detail15normal_iteratorINSA_10device_ptrIiEEEEPS6_NSA_18transform_iteratorI7is_evenIiESF_NSA_11use_defaultESK_EENS0_5tupleIJSF_NSA_16discard_iteratorISK_EEEEENSM_IJSG_SG_EEES6_PlJS6_EEE10hipError_tPvRmT3_T4_T5_T6_T7_T9_mT8_P12ihipStream_tbDpT10_ENKUlT_T0_E_clISt17integral_constantIbLb1EES1A_IbLb0EEEEDaS16_S17_EUlS16_E_NS1_11comp_targetILNS1_3genE10ELNS1_11target_archE1200ELNS1_3gpuE4ELNS1_3repE0EEENS1_30default_config_static_selectorELNS0_4arch9wavefront6targetE1EEEvT1_
	.globl	_ZN7rocprim17ROCPRIM_400000_NS6detail17trampoline_kernelINS0_14default_configENS1_25partition_config_selectorILNS1_17partition_subalgoE1EiNS0_10empty_typeEbEEZZNS1_14partition_implILS5_1ELb0ES3_jN6thrust23THRUST_200600_302600_NS6detail15normal_iteratorINSA_10device_ptrIiEEEEPS6_NSA_18transform_iteratorI7is_evenIiESF_NSA_11use_defaultESK_EENS0_5tupleIJSF_NSA_16discard_iteratorISK_EEEEENSM_IJSG_SG_EEES6_PlJS6_EEE10hipError_tPvRmT3_T4_T5_T6_T7_T9_mT8_P12ihipStream_tbDpT10_ENKUlT_T0_E_clISt17integral_constantIbLb1EES1A_IbLb0EEEEDaS16_S17_EUlS16_E_NS1_11comp_targetILNS1_3genE10ELNS1_11target_archE1200ELNS1_3gpuE4ELNS1_3repE0EEENS1_30default_config_static_selectorELNS0_4arch9wavefront6targetE1EEEvT1_
	.p2align	8
	.type	_ZN7rocprim17ROCPRIM_400000_NS6detail17trampoline_kernelINS0_14default_configENS1_25partition_config_selectorILNS1_17partition_subalgoE1EiNS0_10empty_typeEbEEZZNS1_14partition_implILS5_1ELb0ES3_jN6thrust23THRUST_200600_302600_NS6detail15normal_iteratorINSA_10device_ptrIiEEEEPS6_NSA_18transform_iteratorI7is_evenIiESF_NSA_11use_defaultESK_EENS0_5tupleIJSF_NSA_16discard_iteratorISK_EEEEENSM_IJSG_SG_EEES6_PlJS6_EEE10hipError_tPvRmT3_T4_T5_T6_T7_T9_mT8_P12ihipStream_tbDpT10_ENKUlT_T0_E_clISt17integral_constantIbLb1EES1A_IbLb0EEEEDaS16_S17_EUlS16_E_NS1_11comp_targetILNS1_3genE10ELNS1_11target_archE1200ELNS1_3gpuE4ELNS1_3repE0EEENS1_30default_config_static_selectorELNS0_4arch9wavefront6targetE1EEEvT1_,@function
_ZN7rocprim17ROCPRIM_400000_NS6detail17trampoline_kernelINS0_14default_configENS1_25partition_config_selectorILNS1_17partition_subalgoE1EiNS0_10empty_typeEbEEZZNS1_14partition_implILS5_1ELb0ES3_jN6thrust23THRUST_200600_302600_NS6detail15normal_iteratorINSA_10device_ptrIiEEEEPS6_NSA_18transform_iteratorI7is_evenIiESF_NSA_11use_defaultESK_EENS0_5tupleIJSF_NSA_16discard_iteratorISK_EEEEENSM_IJSG_SG_EEES6_PlJS6_EEE10hipError_tPvRmT3_T4_T5_T6_T7_T9_mT8_P12ihipStream_tbDpT10_ENKUlT_T0_E_clISt17integral_constantIbLb1EES1A_IbLb0EEEEDaS16_S17_EUlS16_E_NS1_11comp_targetILNS1_3genE10ELNS1_11target_archE1200ELNS1_3gpuE4ELNS1_3repE0EEENS1_30default_config_static_selectorELNS0_4arch9wavefront6targetE1EEEvT1_: ; @_ZN7rocprim17ROCPRIM_400000_NS6detail17trampoline_kernelINS0_14default_configENS1_25partition_config_selectorILNS1_17partition_subalgoE1EiNS0_10empty_typeEbEEZZNS1_14partition_implILS5_1ELb0ES3_jN6thrust23THRUST_200600_302600_NS6detail15normal_iteratorINSA_10device_ptrIiEEEEPS6_NSA_18transform_iteratorI7is_evenIiESF_NSA_11use_defaultESK_EENS0_5tupleIJSF_NSA_16discard_iteratorISK_EEEEENSM_IJSG_SG_EEES6_PlJS6_EEE10hipError_tPvRmT3_T4_T5_T6_T7_T9_mT8_P12ihipStream_tbDpT10_ENKUlT_T0_E_clISt17integral_constantIbLb1EES1A_IbLb0EEEEDaS16_S17_EUlS16_E_NS1_11comp_targetILNS1_3genE10ELNS1_11target_archE1200ELNS1_3gpuE4ELNS1_3repE0EEENS1_30default_config_static_selectorELNS0_4arch9wavefront6targetE1EEEvT1_
; %bb.0:
	.section	.rodata,"a",@progbits
	.p2align	6, 0x0
	.amdhsa_kernel _ZN7rocprim17ROCPRIM_400000_NS6detail17trampoline_kernelINS0_14default_configENS1_25partition_config_selectorILNS1_17partition_subalgoE1EiNS0_10empty_typeEbEEZZNS1_14partition_implILS5_1ELb0ES3_jN6thrust23THRUST_200600_302600_NS6detail15normal_iteratorINSA_10device_ptrIiEEEEPS6_NSA_18transform_iteratorI7is_evenIiESF_NSA_11use_defaultESK_EENS0_5tupleIJSF_NSA_16discard_iteratorISK_EEEEENSM_IJSG_SG_EEES6_PlJS6_EEE10hipError_tPvRmT3_T4_T5_T6_T7_T9_mT8_P12ihipStream_tbDpT10_ENKUlT_T0_E_clISt17integral_constantIbLb1EES1A_IbLb0EEEEDaS16_S17_EUlS16_E_NS1_11comp_targetILNS1_3genE10ELNS1_11target_archE1200ELNS1_3gpuE4ELNS1_3repE0EEENS1_30default_config_static_selectorELNS0_4arch9wavefront6targetE1EEEvT1_
		.amdhsa_group_segment_fixed_size 0
		.amdhsa_private_segment_fixed_size 0
		.amdhsa_kernarg_size 136
		.amdhsa_user_sgpr_count 6
		.amdhsa_user_sgpr_private_segment_buffer 1
		.amdhsa_user_sgpr_dispatch_ptr 0
		.amdhsa_user_sgpr_queue_ptr 0
		.amdhsa_user_sgpr_kernarg_segment_ptr 1
		.amdhsa_user_sgpr_dispatch_id 0
		.amdhsa_user_sgpr_flat_scratch_init 0
		.amdhsa_user_sgpr_kernarg_preload_length 0
		.amdhsa_user_sgpr_kernarg_preload_offset 0
		.amdhsa_user_sgpr_private_segment_size 0
		.amdhsa_uses_dynamic_stack 0
		.amdhsa_system_sgpr_private_segment_wavefront_offset 0
		.amdhsa_system_sgpr_workgroup_id_x 1
		.amdhsa_system_sgpr_workgroup_id_y 0
		.amdhsa_system_sgpr_workgroup_id_z 0
		.amdhsa_system_sgpr_workgroup_info 0
		.amdhsa_system_vgpr_workitem_id 0
		.amdhsa_next_free_vgpr 1
		.amdhsa_next_free_sgpr 0
		.amdhsa_accum_offset 4
		.amdhsa_reserve_vcc 0
		.amdhsa_reserve_flat_scratch 0
		.amdhsa_float_round_mode_32 0
		.amdhsa_float_round_mode_16_64 0
		.amdhsa_float_denorm_mode_32 3
		.amdhsa_float_denorm_mode_16_64 3
		.amdhsa_dx10_clamp 1
		.amdhsa_ieee_mode 1
		.amdhsa_fp16_overflow 0
		.amdhsa_tg_split 0
		.amdhsa_exception_fp_ieee_invalid_op 0
		.amdhsa_exception_fp_denorm_src 0
		.amdhsa_exception_fp_ieee_div_zero 0
		.amdhsa_exception_fp_ieee_overflow 0
		.amdhsa_exception_fp_ieee_underflow 0
		.amdhsa_exception_fp_ieee_inexact 0
		.amdhsa_exception_int_div_zero 0
	.end_amdhsa_kernel
	.section	.text._ZN7rocprim17ROCPRIM_400000_NS6detail17trampoline_kernelINS0_14default_configENS1_25partition_config_selectorILNS1_17partition_subalgoE1EiNS0_10empty_typeEbEEZZNS1_14partition_implILS5_1ELb0ES3_jN6thrust23THRUST_200600_302600_NS6detail15normal_iteratorINSA_10device_ptrIiEEEEPS6_NSA_18transform_iteratorI7is_evenIiESF_NSA_11use_defaultESK_EENS0_5tupleIJSF_NSA_16discard_iteratorISK_EEEEENSM_IJSG_SG_EEES6_PlJS6_EEE10hipError_tPvRmT3_T4_T5_T6_T7_T9_mT8_P12ihipStream_tbDpT10_ENKUlT_T0_E_clISt17integral_constantIbLb1EES1A_IbLb0EEEEDaS16_S17_EUlS16_E_NS1_11comp_targetILNS1_3genE10ELNS1_11target_archE1200ELNS1_3gpuE4ELNS1_3repE0EEENS1_30default_config_static_selectorELNS0_4arch9wavefront6targetE1EEEvT1_,"axG",@progbits,_ZN7rocprim17ROCPRIM_400000_NS6detail17trampoline_kernelINS0_14default_configENS1_25partition_config_selectorILNS1_17partition_subalgoE1EiNS0_10empty_typeEbEEZZNS1_14partition_implILS5_1ELb0ES3_jN6thrust23THRUST_200600_302600_NS6detail15normal_iteratorINSA_10device_ptrIiEEEEPS6_NSA_18transform_iteratorI7is_evenIiESF_NSA_11use_defaultESK_EENS0_5tupleIJSF_NSA_16discard_iteratorISK_EEEEENSM_IJSG_SG_EEES6_PlJS6_EEE10hipError_tPvRmT3_T4_T5_T6_T7_T9_mT8_P12ihipStream_tbDpT10_ENKUlT_T0_E_clISt17integral_constantIbLb1EES1A_IbLb0EEEEDaS16_S17_EUlS16_E_NS1_11comp_targetILNS1_3genE10ELNS1_11target_archE1200ELNS1_3gpuE4ELNS1_3repE0EEENS1_30default_config_static_selectorELNS0_4arch9wavefront6targetE1EEEvT1_,comdat
.Lfunc_end3312:
	.size	_ZN7rocprim17ROCPRIM_400000_NS6detail17trampoline_kernelINS0_14default_configENS1_25partition_config_selectorILNS1_17partition_subalgoE1EiNS0_10empty_typeEbEEZZNS1_14partition_implILS5_1ELb0ES3_jN6thrust23THRUST_200600_302600_NS6detail15normal_iteratorINSA_10device_ptrIiEEEEPS6_NSA_18transform_iteratorI7is_evenIiESF_NSA_11use_defaultESK_EENS0_5tupleIJSF_NSA_16discard_iteratorISK_EEEEENSM_IJSG_SG_EEES6_PlJS6_EEE10hipError_tPvRmT3_T4_T5_T6_T7_T9_mT8_P12ihipStream_tbDpT10_ENKUlT_T0_E_clISt17integral_constantIbLb1EES1A_IbLb0EEEEDaS16_S17_EUlS16_E_NS1_11comp_targetILNS1_3genE10ELNS1_11target_archE1200ELNS1_3gpuE4ELNS1_3repE0EEENS1_30default_config_static_selectorELNS0_4arch9wavefront6targetE1EEEvT1_, .Lfunc_end3312-_ZN7rocprim17ROCPRIM_400000_NS6detail17trampoline_kernelINS0_14default_configENS1_25partition_config_selectorILNS1_17partition_subalgoE1EiNS0_10empty_typeEbEEZZNS1_14partition_implILS5_1ELb0ES3_jN6thrust23THRUST_200600_302600_NS6detail15normal_iteratorINSA_10device_ptrIiEEEEPS6_NSA_18transform_iteratorI7is_evenIiESF_NSA_11use_defaultESK_EENS0_5tupleIJSF_NSA_16discard_iteratorISK_EEEEENSM_IJSG_SG_EEES6_PlJS6_EEE10hipError_tPvRmT3_T4_T5_T6_T7_T9_mT8_P12ihipStream_tbDpT10_ENKUlT_T0_E_clISt17integral_constantIbLb1EES1A_IbLb0EEEEDaS16_S17_EUlS16_E_NS1_11comp_targetILNS1_3genE10ELNS1_11target_archE1200ELNS1_3gpuE4ELNS1_3repE0EEENS1_30default_config_static_selectorELNS0_4arch9wavefront6targetE1EEEvT1_
                                        ; -- End function
	.section	.AMDGPU.csdata,"",@progbits
; Kernel info:
; codeLenInByte = 0
; NumSgprs: 4
; NumVgprs: 0
; NumAgprs: 0
; TotalNumVgprs: 0
; ScratchSize: 0
; MemoryBound: 0
; FloatMode: 240
; IeeeMode: 1
; LDSByteSize: 0 bytes/workgroup (compile time only)
; SGPRBlocks: 0
; VGPRBlocks: 0
; NumSGPRsForWavesPerEU: 4
; NumVGPRsForWavesPerEU: 1
; AccumOffset: 4
; Occupancy: 8
; WaveLimiterHint : 0
; COMPUTE_PGM_RSRC2:SCRATCH_EN: 0
; COMPUTE_PGM_RSRC2:USER_SGPR: 6
; COMPUTE_PGM_RSRC2:TRAP_HANDLER: 0
; COMPUTE_PGM_RSRC2:TGID_X_EN: 1
; COMPUTE_PGM_RSRC2:TGID_Y_EN: 0
; COMPUTE_PGM_RSRC2:TGID_Z_EN: 0
; COMPUTE_PGM_RSRC2:TIDIG_COMP_CNT: 0
; COMPUTE_PGM_RSRC3_GFX90A:ACCUM_OFFSET: 0
; COMPUTE_PGM_RSRC3_GFX90A:TG_SPLIT: 0
	.section	.text._ZN7rocprim17ROCPRIM_400000_NS6detail17trampoline_kernelINS0_14default_configENS1_25partition_config_selectorILNS1_17partition_subalgoE1EiNS0_10empty_typeEbEEZZNS1_14partition_implILS5_1ELb0ES3_jN6thrust23THRUST_200600_302600_NS6detail15normal_iteratorINSA_10device_ptrIiEEEEPS6_NSA_18transform_iteratorI7is_evenIiESF_NSA_11use_defaultESK_EENS0_5tupleIJSF_NSA_16discard_iteratorISK_EEEEENSM_IJSG_SG_EEES6_PlJS6_EEE10hipError_tPvRmT3_T4_T5_T6_T7_T9_mT8_P12ihipStream_tbDpT10_ENKUlT_T0_E_clISt17integral_constantIbLb1EES1A_IbLb0EEEEDaS16_S17_EUlS16_E_NS1_11comp_targetILNS1_3genE9ELNS1_11target_archE1100ELNS1_3gpuE3ELNS1_3repE0EEENS1_30default_config_static_selectorELNS0_4arch9wavefront6targetE1EEEvT1_,"axG",@progbits,_ZN7rocprim17ROCPRIM_400000_NS6detail17trampoline_kernelINS0_14default_configENS1_25partition_config_selectorILNS1_17partition_subalgoE1EiNS0_10empty_typeEbEEZZNS1_14partition_implILS5_1ELb0ES3_jN6thrust23THRUST_200600_302600_NS6detail15normal_iteratorINSA_10device_ptrIiEEEEPS6_NSA_18transform_iteratorI7is_evenIiESF_NSA_11use_defaultESK_EENS0_5tupleIJSF_NSA_16discard_iteratorISK_EEEEENSM_IJSG_SG_EEES6_PlJS6_EEE10hipError_tPvRmT3_T4_T5_T6_T7_T9_mT8_P12ihipStream_tbDpT10_ENKUlT_T0_E_clISt17integral_constantIbLb1EES1A_IbLb0EEEEDaS16_S17_EUlS16_E_NS1_11comp_targetILNS1_3genE9ELNS1_11target_archE1100ELNS1_3gpuE3ELNS1_3repE0EEENS1_30default_config_static_selectorELNS0_4arch9wavefront6targetE1EEEvT1_,comdat
	.protected	_ZN7rocprim17ROCPRIM_400000_NS6detail17trampoline_kernelINS0_14default_configENS1_25partition_config_selectorILNS1_17partition_subalgoE1EiNS0_10empty_typeEbEEZZNS1_14partition_implILS5_1ELb0ES3_jN6thrust23THRUST_200600_302600_NS6detail15normal_iteratorINSA_10device_ptrIiEEEEPS6_NSA_18transform_iteratorI7is_evenIiESF_NSA_11use_defaultESK_EENS0_5tupleIJSF_NSA_16discard_iteratorISK_EEEEENSM_IJSG_SG_EEES6_PlJS6_EEE10hipError_tPvRmT3_T4_T5_T6_T7_T9_mT8_P12ihipStream_tbDpT10_ENKUlT_T0_E_clISt17integral_constantIbLb1EES1A_IbLb0EEEEDaS16_S17_EUlS16_E_NS1_11comp_targetILNS1_3genE9ELNS1_11target_archE1100ELNS1_3gpuE3ELNS1_3repE0EEENS1_30default_config_static_selectorELNS0_4arch9wavefront6targetE1EEEvT1_ ; -- Begin function _ZN7rocprim17ROCPRIM_400000_NS6detail17trampoline_kernelINS0_14default_configENS1_25partition_config_selectorILNS1_17partition_subalgoE1EiNS0_10empty_typeEbEEZZNS1_14partition_implILS5_1ELb0ES3_jN6thrust23THRUST_200600_302600_NS6detail15normal_iteratorINSA_10device_ptrIiEEEEPS6_NSA_18transform_iteratorI7is_evenIiESF_NSA_11use_defaultESK_EENS0_5tupleIJSF_NSA_16discard_iteratorISK_EEEEENSM_IJSG_SG_EEES6_PlJS6_EEE10hipError_tPvRmT3_T4_T5_T6_T7_T9_mT8_P12ihipStream_tbDpT10_ENKUlT_T0_E_clISt17integral_constantIbLb1EES1A_IbLb0EEEEDaS16_S17_EUlS16_E_NS1_11comp_targetILNS1_3genE9ELNS1_11target_archE1100ELNS1_3gpuE3ELNS1_3repE0EEENS1_30default_config_static_selectorELNS0_4arch9wavefront6targetE1EEEvT1_
	.globl	_ZN7rocprim17ROCPRIM_400000_NS6detail17trampoline_kernelINS0_14default_configENS1_25partition_config_selectorILNS1_17partition_subalgoE1EiNS0_10empty_typeEbEEZZNS1_14partition_implILS5_1ELb0ES3_jN6thrust23THRUST_200600_302600_NS6detail15normal_iteratorINSA_10device_ptrIiEEEEPS6_NSA_18transform_iteratorI7is_evenIiESF_NSA_11use_defaultESK_EENS0_5tupleIJSF_NSA_16discard_iteratorISK_EEEEENSM_IJSG_SG_EEES6_PlJS6_EEE10hipError_tPvRmT3_T4_T5_T6_T7_T9_mT8_P12ihipStream_tbDpT10_ENKUlT_T0_E_clISt17integral_constantIbLb1EES1A_IbLb0EEEEDaS16_S17_EUlS16_E_NS1_11comp_targetILNS1_3genE9ELNS1_11target_archE1100ELNS1_3gpuE3ELNS1_3repE0EEENS1_30default_config_static_selectorELNS0_4arch9wavefront6targetE1EEEvT1_
	.p2align	8
	.type	_ZN7rocprim17ROCPRIM_400000_NS6detail17trampoline_kernelINS0_14default_configENS1_25partition_config_selectorILNS1_17partition_subalgoE1EiNS0_10empty_typeEbEEZZNS1_14partition_implILS5_1ELb0ES3_jN6thrust23THRUST_200600_302600_NS6detail15normal_iteratorINSA_10device_ptrIiEEEEPS6_NSA_18transform_iteratorI7is_evenIiESF_NSA_11use_defaultESK_EENS0_5tupleIJSF_NSA_16discard_iteratorISK_EEEEENSM_IJSG_SG_EEES6_PlJS6_EEE10hipError_tPvRmT3_T4_T5_T6_T7_T9_mT8_P12ihipStream_tbDpT10_ENKUlT_T0_E_clISt17integral_constantIbLb1EES1A_IbLb0EEEEDaS16_S17_EUlS16_E_NS1_11comp_targetILNS1_3genE9ELNS1_11target_archE1100ELNS1_3gpuE3ELNS1_3repE0EEENS1_30default_config_static_selectorELNS0_4arch9wavefront6targetE1EEEvT1_,@function
_ZN7rocprim17ROCPRIM_400000_NS6detail17trampoline_kernelINS0_14default_configENS1_25partition_config_selectorILNS1_17partition_subalgoE1EiNS0_10empty_typeEbEEZZNS1_14partition_implILS5_1ELb0ES3_jN6thrust23THRUST_200600_302600_NS6detail15normal_iteratorINSA_10device_ptrIiEEEEPS6_NSA_18transform_iteratorI7is_evenIiESF_NSA_11use_defaultESK_EENS0_5tupleIJSF_NSA_16discard_iteratorISK_EEEEENSM_IJSG_SG_EEES6_PlJS6_EEE10hipError_tPvRmT3_T4_T5_T6_T7_T9_mT8_P12ihipStream_tbDpT10_ENKUlT_T0_E_clISt17integral_constantIbLb1EES1A_IbLb0EEEEDaS16_S17_EUlS16_E_NS1_11comp_targetILNS1_3genE9ELNS1_11target_archE1100ELNS1_3gpuE3ELNS1_3repE0EEENS1_30default_config_static_selectorELNS0_4arch9wavefront6targetE1EEEvT1_: ; @_ZN7rocprim17ROCPRIM_400000_NS6detail17trampoline_kernelINS0_14default_configENS1_25partition_config_selectorILNS1_17partition_subalgoE1EiNS0_10empty_typeEbEEZZNS1_14partition_implILS5_1ELb0ES3_jN6thrust23THRUST_200600_302600_NS6detail15normal_iteratorINSA_10device_ptrIiEEEEPS6_NSA_18transform_iteratorI7is_evenIiESF_NSA_11use_defaultESK_EENS0_5tupleIJSF_NSA_16discard_iteratorISK_EEEEENSM_IJSG_SG_EEES6_PlJS6_EEE10hipError_tPvRmT3_T4_T5_T6_T7_T9_mT8_P12ihipStream_tbDpT10_ENKUlT_T0_E_clISt17integral_constantIbLb1EES1A_IbLb0EEEEDaS16_S17_EUlS16_E_NS1_11comp_targetILNS1_3genE9ELNS1_11target_archE1100ELNS1_3gpuE3ELNS1_3repE0EEENS1_30default_config_static_selectorELNS0_4arch9wavefront6targetE1EEEvT1_
; %bb.0:
	.section	.rodata,"a",@progbits
	.p2align	6, 0x0
	.amdhsa_kernel _ZN7rocprim17ROCPRIM_400000_NS6detail17trampoline_kernelINS0_14default_configENS1_25partition_config_selectorILNS1_17partition_subalgoE1EiNS0_10empty_typeEbEEZZNS1_14partition_implILS5_1ELb0ES3_jN6thrust23THRUST_200600_302600_NS6detail15normal_iteratorINSA_10device_ptrIiEEEEPS6_NSA_18transform_iteratorI7is_evenIiESF_NSA_11use_defaultESK_EENS0_5tupleIJSF_NSA_16discard_iteratorISK_EEEEENSM_IJSG_SG_EEES6_PlJS6_EEE10hipError_tPvRmT3_T4_T5_T6_T7_T9_mT8_P12ihipStream_tbDpT10_ENKUlT_T0_E_clISt17integral_constantIbLb1EES1A_IbLb0EEEEDaS16_S17_EUlS16_E_NS1_11comp_targetILNS1_3genE9ELNS1_11target_archE1100ELNS1_3gpuE3ELNS1_3repE0EEENS1_30default_config_static_selectorELNS0_4arch9wavefront6targetE1EEEvT1_
		.amdhsa_group_segment_fixed_size 0
		.amdhsa_private_segment_fixed_size 0
		.amdhsa_kernarg_size 136
		.amdhsa_user_sgpr_count 6
		.amdhsa_user_sgpr_private_segment_buffer 1
		.amdhsa_user_sgpr_dispatch_ptr 0
		.amdhsa_user_sgpr_queue_ptr 0
		.amdhsa_user_sgpr_kernarg_segment_ptr 1
		.amdhsa_user_sgpr_dispatch_id 0
		.amdhsa_user_sgpr_flat_scratch_init 0
		.amdhsa_user_sgpr_kernarg_preload_length 0
		.amdhsa_user_sgpr_kernarg_preload_offset 0
		.amdhsa_user_sgpr_private_segment_size 0
		.amdhsa_uses_dynamic_stack 0
		.amdhsa_system_sgpr_private_segment_wavefront_offset 0
		.amdhsa_system_sgpr_workgroup_id_x 1
		.amdhsa_system_sgpr_workgroup_id_y 0
		.amdhsa_system_sgpr_workgroup_id_z 0
		.amdhsa_system_sgpr_workgroup_info 0
		.amdhsa_system_vgpr_workitem_id 0
		.amdhsa_next_free_vgpr 1
		.amdhsa_next_free_sgpr 0
		.amdhsa_accum_offset 4
		.amdhsa_reserve_vcc 0
		.amdhsa_reserve_flat_scratch 0
		.amdhsa_float_round_mode_32 0
		.amdhsa_float_round_mode_16_64 0
		.amdhsa_float_denorm_mode_32 3
		.amdhsa_float_denorm_mode_16_64 3
		.amdhsa_dx10_clamp 1
		.amdhsa_ieee_mode 1
		.amdhsa_fp16_overflow 0
		.amdhsa_tg_split 0
		.amdhsa_exception_fp_ieee_invalid_op 0
		.amdhsa_exception_fp_denorm_src 0
		.amdhsa_exception_fp_ieee_div_zero 0
		.amdhsa_exception_fp_ieee_overflow 0
		.amdhsa_exception_fp_ieee_underflow 0
		.amdhsa_exception_fp_ieee_inexact 0
		.amdhsa_exception_int_div_zero 0
	.end_amdhsa_kernel
	.section	.text._ZN7rocprim17ROCPRIM_400000_NS6detail17trampoline_kernelINS0_14default_configENS1_25partition_config_selectorILNS1_17partition_subalgoE1EiNS0_10empty_typeEbEEZZNS1_14partition_implILS5_1ELb0ES3_jN6thrust23THRUST_200600_302600_NS6detail15normal_iteratorINSA_10device_ptrIiEEEEPS6_NSA_18transform_iteratorI7is_evenIiESF_NSA_11use_defaultESK_EENS0_5tupleIJSF_NSA_16discard_iteratorISK_EEEEENSM_IJSG_SG_EEES6_PlJS6_EEE10hipError_tPvRmT3_T4_T5_T6_T7_T9_mT8_P12ihipStream_tbDpT10_ENKUlT_T0_E_clISt17integral_constantIbLb1EES1A_IbLb0EEEEDaS16_S17_EUlS16_E_NS1_11comp_targetILNS1_3genE9ELNS1_11target_archE1100ELNS1_3gpuE3ELNS1_3repE0EEENS1_30default_config_static_selectorELNS0_4arch9wavefront6targetE1EEEvT1_,"axG",@progbits,_ZN7rocprim17ROCPRIM_400000_NS6detail17trampoline_kernelINS0_14default_configENS1_25partition_config_selectorILNS1_17partition_subalgoE1EiNS0_10empty_typeEbEEZZNS1_14partition_implILS5_1ELb0ES3_jN6thrust23THRUST_200600_302600_NS6detail15normal_iteratorINSA_10device_ptrIiEEEEPS6_NSA_18transform_iteratorI7is_evenIiESF_NSA_11use_defaultESK_EENS0_5tupleIJSF_NSA_16discard_iteratorISK_EEEEENSM_IJSG_SG_EEES6_PlJS6_EEE10hipError_tPvRmT3_T4_T5_T6_T7_T9_mT8_P12ihipStream_tbDpT10_ENKUlT_T0_E_clISt17integral_constantIbLb1EES1A_IbLb0EEEEDaS16_S17_EUlS16_E_NS1_11comp_targetILNS1_3genE9ELNS1_11target_archE1100ELNS1_3gpuE3ELNS1_3repE0EEENS1_30default_config_static_selectorELNS0_4arch9wavefront6targetE1EEEvT1_,comdat
.Lfunc_end3313:
	.size	_ZN7rocprim17ROCPRIM_400000_NS6detail17trampoline_kernelINS0_14default_configENS1_25partition_config_selectorILNS1_17partition_subalgoE1EiNS0_10empty_typeEbEEZZNS1_14partition_implILS5_1ELb0ES3_jN6thrust23THRUST_200600_302600_NS6detail15normal_iteratorINSA_10device_ptrIiEEEEPS6_NSA_18transform_iteratorI7is_evenIiESF_NSA_11use_defaultESK_EENS0_5tupleIJSF_NSA_16discard_iteratorISK_EEEEENSM_IJSG_SG_EEES6_PlJS6_EEE10hipError_tPvRmT3_T4_T5_T6_T7_T9_mT8_P12ihipStream_tbDpT10_ENKUlT_T0_E_clISt17integral_constantIbLb1EES1A_IbLb0EEEEDaS16_S17_EUlS16_E_NS1_11comp_targetILNS1_3genE9ELNS1_11target_archE1100ELNS1_3gpuE3ELNS1_3repE0EEENS1_30default_config_static_selectorELNS0_4arch9wavefront6targetE1EEEvT1_, .Lfunc_end3313-_ZN7rocprim17ROCPRIM_400000_NS6detail17trampoline_kernelINS0_14default_configENS1_25partition_config_selectorILNS1_17partition_subalgoE1EiNS0_10empty_typeEbEEZZNS1_14partition_implILS5_1ELb0ES3_jN6thrust23THRUST_200600_302600_NS6detail15normal_iteratorINSA_10device_ptrIiEEEEPS6_NSA_18transform_iteratorI7is_evenIiESF_NSA_11use_defaultESK_EENS0_5tupleIJSF_NSA_16discard_iteratorISK_EEEEENSM_IJSG_SG_EEES6_PlJS6_EEE10hipError_tPvRmT3_T4_T5_T6_T7_T9_mT8_P12ihipStream_tbDpT10_ENKUlT_T0_E_clISt17integral_constantIbLb1EES1A_IbLb0EEEEDaS16_S17_EUlS16_E_NS1_11comp_targetILNS1_3genE9ELNS1_11target_archE1100ELNS1_3gpuE3ELNS1_3repE0EEENS1_30default_config_static_selectorELNS0_4arch9wavefront6targetE1EEEvT1_
                                        ; -- End function
	.section	.AMDGPU.csdata,"",@progbits
; Kernel info:
; codeLenInByte = 0
; NumSgprs: 4
; NumVgprs: 0
; NumAgprs: 0
; TotalNumVgprs: 0
; ScratchSize: 0
; MemoryBound: 0
; FloatMode: 240
; IeeeMode: 1
; LDSByteSize: 0 bytes/workgroup (compile time only)
; SGPRBlocks: 0
; VGPRBlocks: 0
; NumSGPRsForWavesPerEU: 4
; NumVGPRsForWavesPerEU: 1
; AccumOffset: 4
; Occupancy: 8
; WaveLimiterHint : 0
; COMPUTE_PGM_RSRC2:SCRATCH_EN: 0
; COMPUTE_PGM_RSRC2:USER_SGPR: 6
; COMPUTE_PGM_RSRC2:TRAP_HANDLER: 0
; COMPUTE_PGM_RSRC2:TGID_X_EN: 1
; COMPUTE_PGM_RSRC2:TGID_Y_EN: 0
; COMPUTE_PGM_RSRC2:TGID_Z_EN: 0
; COMPUTE_PGM_RSRC2:TIDIG_COMP_CNT: 0
; COMPUTE_PGM_RSRC3_GFX90A:ACCUM_OFFSET: 0
; COMPUTE_PGM_RSRC3_GFX90A:TG_SPLIT: 0
	.section	.text._ZN7rocprim17ROCPRIM_400000_NS6detail17trampoline_kernelINS0_14default_configENS1_25partition_config_selectorILNS1_17partition_subalgoE1EiNS0_10empty_typeEbEEZZNS1_14partition_implILS5_1ELb0ES3_jN6thrust23THRUST_200600_302600_NS6detail15normal_iteratorINSA_10device_ptrIiEEEEPS6_NSA_18transform_iteratorI7is_evenIiESF_NSA_11use_defaultESK_EENS0_5tupleIJSF_NSA_16discard_iteratorISK_EEEEENSM_IJSG_SG_EEES6_PlJS6_EEE10hipError_tPvRmT3_T4_T5_T6_T7_T9_mT8_P12ihipStream_tbDpT10_ENKUlT_T0_E_clISt17integral_constantIbLb1EES1A_IbLb0EEEEDaS16_S17_EUlS16_E_NS1_11comp_targetILNS1_3genE8ELNS1_11target_archE1030ELNS1_3gpuE2ELNS1_3repE0EEENS1_30default_config_static_selectorELNS0_4arch9wavefront6targetE1EEEvT1_,"axG",@progbits,_ZN7rocprim17ROCPRIM_400000_NS6detail17trampoline_kernelINS0_14default_configENS1_25partition_config_selectorILNS1_17partition_subalgoE1EiNS0_10empty_typeEbEEZZNS1_14partition_implILS5_1ELb0ES3_jN6thrust23THRUST_200600_302600_NS6detail15normal_iteratorINSA_10device_ptrIiEEEEPS6_NSA_18transform_iteratorI7is_evenIiESF_NSA_11use_defaultESK_EENS0_5tupleIJSF_NSA_16discard_iteratorISK_EEEEENSM_IJSG_SG_EEES6_PlJS6_EEE10hipError_tPvRmT3_T4_T5_T6_T7_T9_mT8_P12ihipStream_tbDpT10_ENKUlT_T0_E_clISt17integral_constantIbLb1EES1A_IbLb0EEEEDaS16_S17_EUlS16_E_NS1_11comp_targetILNS1_3genE8ELNS1_11target_archE1030ELNS1_3gpuE2ELNS1_3repE0EEENS1_30default_config_static_selectorELNS0_4arch9wavefront6targetE1EEEvT1_,comdat
	.protected	_ZN7rocprim17ROCPRIM_400000_NS6detail17trampoline_kernelINS0_14default_configENS1_25partition_config_selectorILNS1_17partition_subalgoE1EiNS0_10empty_typeEbEEZZNS1_14partition_implILS5_1ELb0ES3_jN6thrust23THRUST_200600_302600_NS6detail15normal_iteratorINSA_10device_ptrIiEEEEPS6_NSA_18transform_iteratorI7is_evenIiESF_NSA_11use_defaultESK_EENS0_5tupleIJSF_NSA_16discard_iteratorISK_EEEEENSM_IJSG_SG_EEES6_PlJS6_EEE10hipError_tPvRmT3_T4_T5_T6_T7_T9_mT8_P12ihipStream_tbDpT10_ENKUlT_T0_E_clISt17integral_constantIbLb1EES1A_IbLb0EEEEDaS16_S17_EUlS16_E_NS1_11comp_targetILNS1_3genE8ELNS1_11target_archE1030ELNS1_3gpuE2ELNS1_3repE0EEENS1_30default_config_static_selectorELNS0_4arch9wavefront6targetE1EEEvT1_ ; -- Begin function _ZN7rocprim17ROCPRIM_400000_NS6detail17trampoline_kernelINS0_14default_configENS1_25partition_config_selectorILNS1_17partition_subalgoE1EiNS0_10empty_typeEbEEZZNS1_14partition_implILS5_1ELb0ES3_jN6thrust23THRUST_200600_302600_NS6detail15normal_iteratorINSA_10device_ptrIiEEEEPS6_NSA_18transform_iteratorI7is_evenIiESF_NSA_11use_defaultESK_EENS0_5tupleIJSF_NSA_16discard_iteratorISK_EEEEENSM_IJSG_SG_EEES6_PlJS6_EEE10hipError_tPvRmT3_T4_T5_T6_T7_T9_mT8_P12ihipStream_tbDpT10_ENKUlT_T0_E_clISt17integral_constantIbLb1EES1A_IbLb0EEEEDaS16_S17_EUlS16_E_NS1_11comp_targetILNS1_3genE8ELNS1_11target_archE1030ELNS1_3gpuE2ELNS1_3repE0EEENS1_30default_config_static_selectorELNS0_4arch9wavefront6targetE1EEEvT1_
	.globl	_ZN7rocprim17ROCPRIM_400000_NS6detail17trampoline_kernelINS0_14default_configENS1_25partition_config_selectorILNS1_17partition_subalgoE1EiNS0_10empty_typeEbEEZZNS1_14partition_implILS5_1ELb0ES3_jN6thrust23THRUST_200600_302600_NS6detail15normal_iteratorINSA_10device_ptrIiEEEEPS6_NSA_18transform_iteratorI7is_evenIiESF_NSA_11use_defaultESK_EENS0_5tupleIJSF_NSA_16discard_iteratorISK_EEEEENSM_IJSG_SG_EEES6_PlJS6_EEE10hipError_tPvRmT3_T4_T5_T6_T7_T9_mT8_P12ihipStream_tbDpT10_ENKUlT_T0_E_clISt17integral_constantIbLb1EES1A_IbLb0EEEEDaS16_S17_EUlS16_E_NS1_11comp_targetILNS1_3genE8ELNS1_11target_archE1030ELNS1_3gpuE2ELNS1_3repE0EEENS1_30default_config_static_selectorELNS0_4arch9wavefront6targetE1EEEvT1_
	.p2align	8
	.type	_ZN7rocprim17ROCPRIM_400000_NS6detail17trampoline_kernelINS0_14default_configENS1_25partition_config_selectorILNS1_17partition_subalgoE1EiNS0_10empty_typeEbEEZZNS1_14partition_implILS5_1ELb0ES3_jN6thrust23THRUST_200600_302600_NS6detail15normal_iteratorINSA_10device_ptrIiEEEEPS6_NSA_18transform_iteratorI7is_evenIiESF_NSA_11use_defaultESK_EENS0_5tupleIJSF_NSA_16discard_iteratorISK_EEEEENSM_IJSG_SG_EEES6_PlJS6_EEE10hipError_tPvRmT3_T4_T5_T6_T7_T9_mT8_P12ihipStream_tbDpT10_ENKUlT_T0_E_clISt17integral_constantIbLb1EES1A_IbLb0EEEEDaS16_S17_EUlS16_E_NS1_11comp_targetILNS1_3genE8ELNS1_11target_archE1030ELNS1_3gpuE2ELNS1_3repE0EEENS1_30default_config_static_selectorELNS0_4arch9wavefront6targetE1EEEvT1_,@function
_ZN7rocprim17ROCPRIM_400000_NS6detail17trampoline_kernelINS0_14default_configENS1_25partition_config_selectorILNS1_17partition_subalgoE1EiNS0_10empty_typeEbEEZZNS1_14partition_implILS5_1ELb0ES3_jN6thrust23THRUST_200600_302600_NS6detail15normal_iteratorINSA_10device_ptrIiEEEEPS6_NSA_18transform_iteratorI7is_evenIiESF_NSA_11use_defaultESK_EENS0_5tupleIJSF_NSA_16discard_iteratorISK_EEEEENSM_IJSG_SG_EEES6_PlJS6_EEE10hipError_tPvRmT3_T4_T5_T6_T7_T9_mT8_P12ihipStream_tbDpT10_ENKUlT_T0_E_clISt17integral_constantIbLb1EES1A_IbLb0EEEEDaS16_S17_EUlS16_E_NS1_11comp_targetILNS1_3genE8ELNS1_11target_archE1030ELNS1_3gpuE2ELNS1_3repE0EEENS1_30default_config_static_selectorELNS0_4arch9wavefront6targetE1EEEvT1_: ; @_ZN7rocprim17ROCPRIM_400000_NS6detail17trampoline_kernelINS0_14default_configENS1_25partition_config_selectorILNS1_17partition_subalgoE1EiNS0_10empty_typeEbEEZZNS1_14partition_implILS5_1ELb0ES3_jN6thrust23THRUST_200600_302600_NS6detail15normal_iteratorINSA_10device_ptrIiEEEEPS6_NSA_18transform_iteratorI7is_evenIiESF_NSA_11use_defaultESK_EENS0_5tupleIJSF_NSA_16discard_iteratorISK_EEEEENSM_IJSG_SG_EEES6_PlJS6_EEE10hipError_tPvRmT3_T4_T5_T6_T7_T9_mT8_P12ihipStream_tbDpT10_ENKUlT_T0_E_clISt17integral_constantIbLb1EES1A_IbLb0EEEEDaS16_S17_EUlS16_E_NS1_11comp_targetILNS1_3genE8ELNS1_11target_archE1030ELNS1_3gpuE2ELNS1_3repE0EEENS1_30default_config_static_selectorELNS0_4arch9wavefront6targetE1EEEvT1_
; %bb.0:
	.section	.rodata,"a",@progbits
	.p2align	6, 0x0
	.amdhsa_kernel _ZN7rocprim17ROCPRIM_400000_NS6detail17trampoline_kernelINS0_14default_configENS1_25partition_config_selectorILNS1_17partition_subalgoE1EiNS0_10empty_typeEbEEZZNS1_14partition_implILS5_1ELb0ES3_jN6thrust23THRUST_200600_302600_NS6detail15normal_iteratorINSA_10device_ptrIiEEEEPS6_NSA_18transform_iteratorI7is_evenIiESF_NSA_11use_defaultESK_EENS0_5tupleIJSF_NSA_16discard_iteratorISK_EEEEENSM_IJSG_SG_EEES6_PlJS6_EEE10hipError_tPvRmT3_T4_T5_T6_T7_T9_mT8_P12ihipStream_tbDpT10_ENKUlT_T0_E_clISt17integral_constantIbLb1EES1A_IbLb0EEEEDaS16_S17_EUlS16_E_NS1_11comp_targetILNS1_3genE8ELNS1_11target_archE1030ELNS1_3gpuE2ELNS1_3repE0EEENS1_30default_config_static_selectorELNS0_4arch9wavefront6targetE1EEEvT1_
		.amdhsa_group_segment_fixed_size 0
		.amdhsa_private_segment_fixed_size 0
		.amdhsa_kernarg_size 136
		.amdhsa_user_sgpr_count 6
		.amdhsa_user_sgpr_private_segment_buffer 1
		.amdhsa_user_sgpr_dispatch_ptr 0
		.amdhsa_user_sgpr_queue_ptr 0
		.amdhsa_user_sgpr_kernarg_segment_ptr 1
		.amdhsa_user_sgpr_dispatch_id 0
		.amdhsa_user_sgpr_flat_scratch_init 0
		.amdhsa_user_sgpr_kernarg_preload_length 0
		.amdhsa_user_sgpr_kernarg_preload_offset 0
		.amdhsa_user_sgpr_private_segment_size 0
		.amdhsa_uses_dynamic_stack 0
		.amdhsa_system_sgpr_private_segment_wavefront_offset 0
		.amdhsa_system_sgpr_workgroup_id_x 1
		.amdhsa_system_sgpr_workgroup_id_y 0
		.amdhsa_system_sgpr_workgroup_id_z 0
		.amdhsa_system_sgpr_workgroup_info 0
		.amdhsa_system_vgpr_workitem_id 0
		.amdhsa_next_free_vgpr 1
		.amdhsa_next_free_sgpr 0
		.amdhsa_accum_offset 4
		.amdhsa_reserve_vcc 0
		.amdhsa_reserve_flat_scratch 0
		.amdhsa_float_round_mode_32 0
		.amdhsa_float_round_mode_16_64 0
		.amdhsa_float_denorm_mode_32 3
		.amdhsa_float_denorm_mode_16_64 3
		.amdhsa_dx10_clamp 1
		.amdhsa_ieee_mode 1
		.amdhsa_fp16_overflow 0
		.amdhsa_tg_split 0
		.amdhsa_exception_fp_ieee_invalid_op 0
		.amdhsa_exception_fp_denorm_src 0
		.amdhsa_exception_fp_ieee_div_zero 0
		.amdhsa_exception_fp_ieee_overflow 0
		.amdhsa_exception_fp_ieee_underflow 0
		.amdhsa_exception_fp_ieee_inexact 0
		.amdhsa_exception_int_div_zero 0
	.end_amdhsa_kernel
	.section	.text._ZN7rocprim17ROCPRIM_400000_NS6detail17trampoline_kernelINS0_14default_configENS1_25partition_config_selectorILNS1_17partition_subalgoE1EiNS0_10empty_typeEbEEZZNS1_14partition_implILS5_1ELb0ES3_jN6thrust23THRUST_200600_302600_NS6detail15normal_iteratorINSA_10device_ptrIiEEEEPS6_NSA_18transform_iteratorI7is_evenIiESF_NSA_11use_defaultESK_EENS0_5tupleIJSF_NSA_16discard_iteratorISK_EEEEENSM_IJSG_SG_EEES6_PlJS6_EEE10hipError_tPvRmT3_T4_T5_T6_T7_T9_mT8_P12ihipStream_tbDpT10_ENKUlT_T0_E_clISt17integral_constantIbLb1EES1A_IbLb0EEEEDaS16_S17_EUlS16_E_NS1_11comp_targetILNS1_3genE8ELNS1_11target_archE1030ELNS1_3gpuE2ELNS1_3repE0EEENS1_30default_config_static_selectorELNS0_4arch9wavefront6targetE1EEEvT1_,"axG",@progbits,_ZN7rocprim17ROCPRIM_400000_NS6detail17trampoline_kernelINS0_14default_configENS1_25partition_config_selectorILNS1_17partition_subalgoE1EiNS0_10empty_typeEbEEZZNS1_14partition_implILS5_1ELb0ES3_jN6thrust23THRUST_200600_302600_NS6detail15normal_iteratorINSA_10device_ptrIiEEEEPS6_NSA_18transform_iteratorI7is_evenIiESF_NSA_11use_defaultESK_EENS0_5tupleIJSF_NSA_16discard_iteratorISK_EEEEENSM_IJSG_SG_EEES6_PlJS6_EEE10hipError_tPvRmT3_T4_T5_T6_T7_T9_mT8_P12ihipStream_tbDpT10_ENKUlT_T0_E_clISt17integral_constantIbLb1EES1A_IbLb0EEEEDaS16_S17_EUlS16_E_NS1_11comp_targetILNS1_3genE8ELNS1_11target_archE1030ELNS1_3gpuE2ELNS1_3repE0EEENS1_30default_config_static_selectorELNS0_4arch9wavefront6targetE1EEEvT1_,comdat
.Lfunc_end3314:
	.size	_ZN7rocprim17ROCPRIM_400000_NS6detail17trampoline_kernelINS0_14default_configENS1_25partition_config_selectorILNS1_17partition_subalgoE1EiNS0_10empty_typeEbEEZZNS1_14partition_implILS5_1ELb0ES3_jN6thrust23THRUST_200600_302600_NS6detail15normal_iteratorINSA_10device_ptrIiEEEEPS6_NSA_18transform_iteratorI7is_evenIiESF_NSA_11use_defaultESK_EENS0_5tupleIJSF_NSA_16discard_iteratorISK_EEEEENSM_IJSG_SG_EEES6_PlJS6_EEE10hipError_tPvRmT3_T4_T5_T6_T7_T9_mT8_P12ihipStream_tbDpT10_ENKUlT_T0_E_clISt17integral_constantIbLb1EES1A_IbLb0EEEEDaS16_S17_EUlS16_E_NS1_11comp_targetILNS1_3genE8ELNS1_11target_archE1030ELNS1_3gpuE2ELNS1_3repE0EEENS1_30default_config_static_selectorELNS0_4arch9wavefront6targetE1EEEvT1_, .Lfunc_end3314-_ZN7rocprim17ROCPRIM_400000_NS6detail17trampoline_kernelINS0_14default_configENS1_25partition_config_selectorILNS1_17partition_subalgoE1EiNS0_10empty_typeEbEEZZNS1_14partition_implILS5_1ELb0ES3_jN6thrust23THRUST_200600_302600_NS6detail15normal_iteratorINSA_10device_ptrIiEEEEPS6_NSA_18transform_iteratorI7is_evenIiESF_NSA_11use_defaultESK_EENS0_5tupleIJSF_NSA_16discard_iteratorISK_EEEEENSM_IJSG_SG_EEES6_PlJS6_EEE10hipError_tPvRmT3_T4_T5_T6_T7_T9_mT8_P12ihipStream_tbDpT10_ENKUlT_T0_E_clISt17integral_constantIbLb1EES1A_IbLb0EEEEDaS16_S17_EUlS16_E_NS1_11comp_targetILNS1_3genE8ELNS1_11target_archE1030ELNS1_3gpuE2ELNS1_3repE0EEENS1_30default_config_static_selectorELNS0_4arch9wavefront6targetE1EEEvT1_
                                        ; -- End function
	.section	.AMDGPU.csdata,"",@progbits
; Kernel info:
; codeLenInByte = 0
; NumSgprs: 4
; NumVgprs: 0
; NumAgprs: 0
; TotalNumVgprs: 0
; ScratchSize: 0
; MemoryBound: 0
; FloatMode: 240
; IeeeMode: 1
; LDSByteSize: 0 bytes/workgroup (compile time only)
; SGPRBlocks: 0
; VGPRBlocks: 0
; NumSGPRsForWavesPerEU: 4
; NumVGPRsForWavesPerEU: 1
; AccumOffset: 4
; Occupancy: 8
; WaveLimiterHint : 0
; COMPUTE_PGM_RSRC2:SCRATCH_EN: 0
; COMPUTE_PGM_RSRC2:USER_SGPR: 6
; COMPUTE_PGM_RSRC2:TRAP_HANDLER: 0
; COMPUTE_PGM_RSRC2:TGID_X_EN: 1
; COMPUTE_PGM_RSRC2:TGID_Y_EN: 0
; COMPUTE_PGM_RSRC2:TGID_Z_EN: 0
; COMPUTE_PGM_RSRC2:TIDIG_COMP_CNT: 0
; COMPUTE_PGM_RSRC3_GFX90A:ACCUM_OFFSET: 0
; COMPUTE_PGM_RSRC3_GFX90A:TG_SPLIT: 0
	.section	.text._ZN7rocprim17ROCPRIM_400000_NS6detail17trampoline_kernelINS0_14default_configENS1_25partition_config_selectorILNS1_17partition_subalgoE1EiNS0_10empty_typeEbEEZZNS1_14partition_implILS5_1ELb0ES3_jN6thrust23THRUST_200600_302600_NS6detail15normal_iteratorINSA_10device_ptrIiEEEEPS6_NSA_18transform_iteratorI7is_evenIiESF_NSA_11use_defaultESK_EENS0_5tupleIJSF_NSA_16discard_iteratorISK_EEEEENSM_IJSG_SG_EEES6_PlJS6_EEE10hipError_tPvRmT3_T4_T5_T6_T7_T9_mT8_P12ihipStream_tbDpT10_ENKUlT_T0_E_clISt17integral_constantIbLb0EES1A_IbLb1EEEEDaS16_S17_EUlS16_E_NS1_11comp_targetILNS1_3genE0ELNS1_11target_archE4294967295ELNS1_3gpuE0ELNS1_3repE0EEENS1_30default_config_static_selectorELNS0_4arch9wavefront6targetE1EEEvT1_,"axG",@progbits,_ZN7rocprim17ROCPRIM_400000_NS6detail17trampoline_kernelINS0_14default_configENS1_25partition_config_selectorILNS1_17partition_subalgoE1EiNS0_10empty_typeEbEEZZNS1_14partition_implILS5_1ELb0ES3_jN6thrust23THRUST_200600_302600_NS6detail15normal_iteratorINSA_10device_ptrIiEEEEPS6_NSA_18transform_iteratorI7is_evenIiESF_NSA_11use_defaultESK_EENS0_5tupleIJSF_NSA_16discard_iteratorISK_EEEEENSM_IJSG_SG_EEES6_PlJS6_EEE10hipError_tPvRmT3_T4_T5_T6_T7_T9_mT8_P12ihipStream_tbDpT10_ENKUlT_T0_E_clISt17integral_constantIbLb0EES1A_IbLb1EEEEDaS16_S17_EUlS16_E_NS1_11comp_targetILNS1_3genE0ELNS1_11target_archE4294967295ELNS1_3gpuE0ELNS1_3repE0EEENS1_30default_config_static_selectorELNS0_4arch9wavefront6targetE1EEEvT1_,comdat
	.protected	_ZN7rocprim17ROCPRIM_400000_NS6detail17trampoline_kernelINS0_14default_configENS1_25partition_config_selectorILNS1_17partition_subalgoE1EiNS0_10empty_typeEbEEZZNS1_14partition_implILS5_1ELb0ES3_jN6thrust23THRUST_200600_302600_NS6detail15normal_iteratorINSA_10device_ptrIiEEEEPS6_NSA_18transform_iteratorI7is_evenIiESF_NSA_11use_defaultESK_EENS0_5tupleIJSF_NSA_16discard_iteratorISK_EEEEENSM_IJSG_SG_EEES6_PlJS6_EEE10hipError_tPvRmT3_T4_T5_T6_T7_T9_mT8_P12ihipStream_tbDpT10_ENKUlT_T0_E_clISt17integral_constantIbLb0EES1A_IbLb1EEEEDaS16_S17_EUlS16_E_NS1_11comp_targetILNS1_3genE0ELNS1_11target_archE4294967295ELNS1_3gpuE0ELNS1_3repE0EEENS1_30default_config_static_selectorELNS0_4arch9wavefront6targetE1EEEvT1_ ; -- Begin function _ZN7rocprim17ROCPRIM_400000_NS6detail17trampoline_kernelINS0_14default_configENS1_25partition_config_selectorILNS1_17partition_subalgoE1EiNS0_10empty_typeEbEEZZNS1_14partition_implILS5_1ELb0ES3_jN6thrust23THRUST_200600_302600_NS6detail15normal_iteratorINSA_10device_ptrIiEEEEPS6_NSA_18transform_iteratorI7is_evenIiESF_NSA_11use_defaultESK_EENS0_5tupleIJSF_NSA_16discard_iteratorISK_EEEEENSM_IJSG_SG_EEES6_PlJS6_EEE10hipError_tPvRmT3_T4_T5_T6_T7_T9_mT8_P12ihipStream_tbDpT10_ENKUlT_T0_E_clISt17integral_constantIbLb0EES1A_IbLb1EEEEDaS16_S17_EUlS16_E_NS1_11comp_targetILNS1_3genE0ELNS1_11target_archE4294967295ELNS1_3gpuE0ELNS1_3repE0EEENS1_30default_config_static_selectorELNS0_4arch9wavefront6targetE1EEEvT1_
	.globl	_ZN7rocprim17ROCPRIM_400000_NS6detail17trampoline_kernelINS0_14default_configENS1_25partition_config_selectorILNS1_17partition_subalgoE1EiNS0_10empty_typeEbEEZZNS1_14partition_implILS5_1ELb0ES3_jN6thrust23THRUST_200600_302600_NS6detail15normal_iteratorINSA_10device_ptrIiEEEEPS6_NSA_18transform_iteratorI7is_evenIiESF_NSA_11use_defaultESK_EENS0_5tupleIJSF_NSA_16discard_iteratorISK_EEEEENSM_IJSG_SG_EEES6_PlJS6_EEE10hipError_tPvRmT3_T4_T5_T6_T7_T9_mT8_P12ihipStream_tbDpT10_ENKUlT_T0_E_clISt17integral_constantIbLb0EES1A_IbLb1EEEEDaS16_S17_EUlS16_E_NS1_11comp_targetILNS1_3genE0ELNS1_11target_archE4294967295ELNS1_3gpuE0ELNS1_3repE0EEENS1_30default_config_static_selectorELNS0_4arch9wavefront6targetE1EEEvT1_
	.p2align	8
	.type	_ZN7rocprim17ROCPRIM_400000_NS6detail17trampoline_kernelINS0_14default_configENS1_25partition_config_selectorILNS1_17partition_subalgoE1EiNS0_10empty_typeEbEEZZNS1_14partition_implILS5_1ELb0ES3_jN6thrust23THRUST_200600_302600_NS6detail15normal_iteratorINSA_10device_ptrIiEEEEPS6_NSA_18transform_iteratorI7is_evenIiESF_NSA_11use_defaultESK_EENS0_5tupleIJSF_NSA_16discard_iteratorISK_EEEEENSM_IJSG_SG_EEES6_PlJS6_EEE10hipError_tPvRmT3_T4_T5_T6_T7_T9_mT8_P12ihipStream_tbDpT10_ENKUlT_T0_E_clISt17integral_constantIbLb0EES1A_IbLb1EEEEDaS16_S17_EUlS16_E_NS1_11comp_targetILNS1_3genE0ELNS1_11target_archE4294967295ELNS1_3gpuE0ELNS1_3repE0EEENS1_30default_config_static_selectorELNS0_4arch9wavefront6targetE1EEEvT1_,@function
_ZN7rocprim17ROCPRIM_400000_NS6detail17trampoline_kernelINS0_14default_configENS1_25partition_config_selectorILNS1_17partition_subalgoE1EiNS0_10empty_typeEbEEZZNS1_14partition_implILS5_1ELb0ES3_jN6thrust23THRUST_200600_302600_NS6detail15normal_iteratorINSA_10device_ptrIiEEEEPS6_NSA_18transform_iteratorI7is_evenIiESF_NSA_11use_defaultESK_EENS0_5tupleIJSF_NSA_16discard_iteratorISK_EEEEENSM_IJSG_SG_EEES6_PlJS6_EEE10hipError_tPvRmT3_T4_T5_T6_T7_T9_mT8_P12ihipStream_tbDpT10_ENKUlT_T0_E_clISt17integral_constantIbLb0EES1A_IbLb1EEEEDaS16_S17_EUlS16_E_NS1_11comp_targetILNS1_3genE0ELNS1_11target_archE4294967295ELNS1_3gpuE0ELNS1_3repE0EEENS1_30default_config_static_selectorELNS0_4arch9wavefront6targetE1EEEvT1_: ; @_ZN7rocprim17ROCPRIM_400000_NS6detail17trampoline_kernelINS0_14default_configENS1_25partition_config_selectorILNS1_17partition_subalgoE1EiNS0_10empty_typeEbEEZZNS1_14partition_implILS5_1ELb0ES3_jN6thrust23THRUST_200600_302600_NS6detail15normal_iteratorINSA_10device_ptrIiEEEEPS6_NSA_18transform_iteratorI7is_evenIiESF_NSA_11use_defaultESK_EENS0_5tupleIJSF_NSA_16discard_iteratorISK_EEEEENSM_IJSG_SG_EEES6_PlJS6_EEE10hipError_tPvRmT3_T4_T5_T6_T7_T9_mT8_P12ihipStream_tbDpT10_ENKUlT_T0_E_clISt17integral_constantIbLb0EES1A_IbLb1EEEEDaS16_S17_EUlS16_E_NS1_11comp_targetILNS1_3genE0ELNS1_11target_archE4294967295ELNS1_3gpuE0ELNS1_3repE0EEENS1_30default_config_static_selectorELNS0_4arch9wavefront6targetE1EEEvT1_
; %bb.0:
	.section	.rodata,"a",@progbits
	.p2align	6, 0x0
	.amdhsa_kernel _ZN7rocprim17ROCPRIM_400000_NS6detail17trampoline_kernelINS0_14default_configENS1_25partition_config_selectorILNS1_17partition_subalgoE1EiNS0_10empty_typeEbEEZZNS1_14partition_implILS5_1ELb0ES3_jN6thrust23THRUST_200600_302600_NS6detail15normal_iteratorINSA_10device_ptrIiEEEEPS6_NSA_18transform_iteratorI7is_evenIiESF_NSA_11use_defaultESK_EENS0_5tupleIJSF_NSA_16discard_iteratorISK_EEEEENSM_IJSG_SG_EEES6_PlJS6_EEE10hipError_tPvRmT3_T4_T5_T6_T7_T9_mT8_P12ihipStream_tbDpT10_ENKUlT_T0_E_clISt17integral_constantIbLb0EES1A_IbLb1EEEEDaS16_S17_EUlS16_E_NS1_11comp_targetILNS1_3genE0ELNS1_11target_archE4294967295ELNS1_3gpuE0ELNS1_3repE0EEENS1_30default_config_static_selectorELNS0_4arch9wavefront6targetE1EEEvT1_
		.amdhsa_group_segment_fixed_size 0
		.amdhsa_private_segment_fixed_size 0
		.amdhsa_kernarg_size 152
		.amdhsa_user_sgpr_count 6
		.amdhsa_user_sgpr_private_segment_buffer 1
		.amdhsa_user_sgpr_dispatch_ptr 0
		.amdhsa_user_sgpr_queue_ptr 0
		.amdhsa_user_sgpr_kernarg_segment_ptr 1
		.amdhsa_user_sgpr_dispatch_id 0
		.amdhsa_user_sgpr_flat_scratch_init 0
		.amdhsa_user_sgpr_kernarg_preload_length 0
		.amdhsa_user_sgpr_kernarg_preload_offset 0
		.amdhsa_user_sgpr_private_segment_size 0
		.amdhsa_uses_dynamic_stack 0
		.amdhsa_system_sgpr_private_segment_wavefront_offset 0
		.amdhsa_system_sgpr_workgroup_id_x 1
		.amdhsa_system_sgpr_workgroup_id_y 0
		.amdhsa_system_sgpr_workgroup_id_z 0
		.amdhsa_system_sgpr_workgroup_info 0
		.amdhsa_system_vgpr_workitem_id 0
		.amdhsa_next_free_vgpr 1
		.amdhsa_next_free_sgpr 0
		.amdhsa_accum_offset 4
		.amdhsa_reserve_vcc 0
		.amdhsa_reserve_flat_scratch 0
		.amdhsa_float_round_mode_32 0
		.amdhsa_float_round_mode_16_64 0
		.amdhsa_float_denorm_mode_32 3
		.amdhsa_float_denorm_mode_16_64 3
		.amdhsa_dx10_clamp 1
		.amdhsa_ieee_mode 1
		.amdhsa_fp16_overflow 0
		.amdhsa_tg_split 0
		.amdhsa_exception_fp_ieee_invalid_op 0
		.amdhsa_exception_fp_denorm_src 0
		.amdhsa_exception_fp_ieee_div_zero 0
		.amdhsa_exception_fp_ieee_overflow 0
		.amdhsa_exception_fp_ieee_underflow 0
		.amdhsa_exception_fp_ieee_inexact 0
		.amdhsa_exception_int_div_zero 0
	.end_amdhsa_kernel
	.section	.text._ZN7rocprim17ROCPRIM_400000_NS6detail17trampoline_kernelINS0_14default_configENS1_25partition_config_selectorILNS1_17partition_subalgoE1EiNS0_10empty_typeEbEEZZNS1_14partition_implILS5_1ELb0ES3_jN6thrust23THRUST_200600_302600_NS6detail15normal_iteratorINSA_10device_ptrIiEEEEPS6_NSA_18transform_iteratorI7is_evenIiESF_NSA_11use_defaultESK_EENS0_5tupleIJSF_NSA_16discard_iteratorISK_EEEEENSM_IJSG_SG_EEES6_PlJS6_EEE10hipError_tPvRmT3_T4_T5_T6_T7_T9_mT8_P12ihipStream_tbDpT10_ENKUlT_T0_E_clISt17integral_constantIbLb0EES1A_IbLb1EEEEDaS16_S17_EUlS16_E_NS1_11comp_targetILNS1_3genE0ELNS1_11target_archE4294967295ELNS1_3gpuE0ELNS1_3repE0EEENS1_30default_config_static_selectorELNS0_4arch9wavefront6targetE1EEEvT1_,"axG",@progbits,_ZN7rocprim17ROCPRIM_400000_NS6detail17trampoline_kernelINS0_14default_configENS1_25partition_config_selectorILNS1_17partition_subalgoE1EiNS0_10empty_typeEbEEZZNS1_14partition_implILS5_1ELb0ES3_jN6thrust23THRUST_200600_302600_NS6detail15normal_iteratorINSA_10device_ptrIiEEEEPS6_NSA_18transform_iteratorI7is_evenIiESF_NSA_11use_defaultESK_EENS0_5tupleIJSF_NSA_16discard_iteratorISK_EEEEENSM_IJSG_SG_EEES6_PlJS6_EEE10hipError_tPvRmT3_T4_T5_T6_T7_T9_mT8_P12ihipStream_tbDpT10_ENKUlT_T0_E_clISt17integral_constantIbLb0EES1A_IbLb1EEEEDaS16_S17_EUlS16_E_NS1_11comp_targetILNS1_3genE0ELNS1_11target_archE4294967295ELNS1_3gpuE0ELNS1_3repE0EEENS1_30default_config_static_selectorELNS0_4arch9wavefront6targetE1EEEvT1_,comdat
.Lfunc_end3315:
	.size	_ZN7rocprim17ROCPRIM_400000_NS6detail17trampoline_kernelINS0_14default_configENS1_25partition_config_selectorILNS1_17partition_subalgoE1EiNS0_10empty_typeEbEEZZNS1_14partition_implILS5_1ELb0ES3_jN6thrust23THRUST_200600_302600_NS6detail15normal_iteratorINSA_10device_ptrIiEEEEPS6_NSA_18transform_iteratorI7is_evenIiESF_NSA_11use_defaultESK_EENS0_5tupleIJSF_NSA_16discard_iteratorISK_EEEEENSM_IJSG_SG_EEES6_PlJS6_EEE10hipError_tPvRmT3_T4_T5_T6_T7_T9_mT8_P12ihipStream_tbDpT10_ENKUlT_T0_E_clISt17integral_constantIbLb0EES1A_IbLb1EEEEDaS16_S17_EUlS16_E_NS1_11comp_targetILNS1_3genE0ELNS1_11target_archE4294967295ELNS1_3gpuE0ELNS1_3repE0EEENS1_30default_config_static_selectorELNS0_4arch9wavefront6targetE1EEEvT1_, .Lfunc_end3315-_ZN7rocprim17ROCPRIM_400000_NS6detail17trampoline_kernelINS0_14default_configENS1_25partition_config_selectorILNS1_17partition_subalgoE1EiNS0_10empty_typeEbEEZZNS1_14partition_implILS5_1ELb0ES3_jN6thrust23THRUST_200600_302600_NS6detail15normal_iteratorINSA_10device_ptrIiEEEEPS6_NSA_18transform_iteratorI7is_evenIiESF_NSA_11use_defaultESK_EENS0_5tupleIJSF_NSA_16discard_iteratorISK_EEEEENSM_IJSG_SG_EEES6_PlJS6_EEE10hipError_tPvRmT3_T4_T5_T6_T7_T9_mT8_P12ihipStream_tbDpT10_ENKUlT_T0_E_clISt17integral_constantIbLb0EES1A_IbLb1EEEEDaS16_S17_EUlS16_E_NS1_11comp_targetILNS1_3genE0ELNS1_11target_archE4294967295ELNS1_3gpuE0ELNS1_3repE0EEENS1_30default_config_static_selectorELNS0_4arch9wavefront6targetE1EEEvT1_
                                        ; -- End function
	.section	.AMDGPU.csdata,"",@progbits
; Kernel info:
; codeLenInByte = 0
; NumSgprs: 4
; NumVgprs: 0
; NumAgprs: 0
; TotalNumVgprs: 0
; ScratchSize: 0
; MemoryBound: 0
; FloatMode: 240
; IeeeMode: 1
; LDSByteSize: 0 bytes/workgroup (compile time only)
; SGPRBlocks: 0
; VGPRBlocks: 0
; NumSGPRsForWavesPerEU: 4
; NumVGPRsForWavesPerEU: 1
; AccumOffset: 4
; Occupancy: 8
; WaveLimiterHint : 0
; COMPUTE_PGM_RSRC2:SCRATCH_EN: 0
; COMPUTE_PGM_RSRC2:USER_SGPR: 6
; COMPUTE_PGM_RSRC2:TRAP_HANDLER: 0
; COMPUTE_PGM_RSRC2:TGID_X_EN: 1
; COMPUTE_PGM_RSRC2:TGID_Y_EN: 0
; COMPUTE_PGM_RSRC2:TGID_Z_EN: 0
; COMPUTE_PGM_RSRC2:TIDIG_COMP_CNT: 0
; COMPUTE_PGM_RSRC3_GFX90A:ACCUM_OFFSET: 0
; COMPUTE_PGM_RSRC3_GFX90A:TG_SPLIT: 0
	.section	.text._ZN7rocprim17ROCPRIM_400000_NS6detail17trampoline_kernelINS0_14default_configENS1_25partition_config_selectorILNS1_17partition_subalgoE1EiNS0_10empty_typeEbEEZZNS1_14partition_implILS5_1ELb0ES3_jN6thrust23THRUST_200600_302600_NS6detail15normal_iteratorINSA_10device_ptrIiEEEEPS6_NSA_18transform_iteratorI7is_evenIiESF_NSA_11use_defaultESK_EENS0_5tupleIJSF_NSA_16discard_iteratorISK_EEEEENSM_IJSG_SG_EEES6_PlJS6_EEE10hipError_tPvRmT3_T4_T5_T6_T7_T9_mT8_P12ihipStream_tbDpT10_ENKUlT_T0_E_clISt17integral_constantIbLb0EES1A_IbLb1EEEEDaS16_S17_EUlS16_E_NS1_11comp_targetILNS1_3genE5ELNS1_11target_archE942ELNS1_3gpuE9ELNS1_3repE0EEENS1_30default_config_static_selectorELNS0_4arch9wavefront6targetE1EEEvT1_,"axG",@progbits,_ZN7rocprim17ROCPRIM_400000_NS6detail17trampoline_kernelINS0_14default_configENS1_25partition_config_selectorILNS1_17partition_subalgoE1EiNS0_10empty_typeEbEEZZNS1_14partition_implILS5_1ELb0ES3_jN6thrust23THRUST_200600_302600_NS6detail15normal_iteratorINSA_10device_ptrIiEEEEPS6_NSA_18transform_iteratorI7is_evenIiESF_NSA_11use_defaultESK_EENS0_5tupleIJSF_NSA_16discard_iteratorISK_EEEEENSM_IJSG_SG_EEES6_PlJS6_EEE10hipError_tPvRmT3_T4_T5_T6_T7_T9_mT8_P12ihipStream_tbDpT10_ENKUlT_T0_E_clISt17integral_constantIbLb0EES1A_IbLb1EEEEDaS16_S17_EUlS16_E_NS1_11comp_targetILNS1_3genE5ELNS1_11target_archE942ELNS1_3gpuE9ELNS1_3repE0EEENS1_30default_config_static_selectorELNS0_4arch9wavefront6targetE1EEEvT1_,comdat
	.protected	_ZN7rocprim17ROCPRIM_400000_NS6detail17trampoline_kernelINS0_14default_configENS1_25partition_config_selectorILNS1_17partition_subalgoE1EiNS0_10empty_typeEbEEZZNS1_14partition_implILS5_1ELb0ES3_jN6thrust23THRUST_200600_302600_NS6detail15normal_iteratorINSA_10device_ptrIiEEEEPS6_NSA_18transform_iteratorI7is_evenIiESF_NSA_11use_defaultESK_EENS0_5tupleIJSF_NSA_16discard_iteratorISK_EEEEENSM_IJSG_SG_EEES6_PlJS6_EEE10hipError_tPvRmT3_T4_T5_T6_T7_T9_mT8_P12ihipStream_tbDpT10_ENKUlT_T0_E_clISt17integral_constantIbLb0EES1A_IbLb1EEEEDaS16_S17_EUlS16_E_NS1_11comp_targetILNS1_3genE5ELNS1_11target_archE942ELNS1_3gpuE9ELNS1_3repE0EEENS1_30default_config_static_selectorELNS0_4arch9wavefront6targetE1EEEvT1_ ; -- Begin function _ZN7rocprim17ROCPRIM_400000_NS6detail17trampoline_kernelINS0_14default_configENS1_25partition_config_selectorILNS1_17partition_subalgoE1EiNS0_10empty_typeEbEEZZNS1_14partition_implILS5_1ELb0ES3_jN6thrust23THRUST_200600_302600_NS6detail15normal_iteratorINSA_10device_ptrIiEEEEPS6_NSA_18transform_iteratorI7is_evenIiESF_NSA_11use_defaultESK_EENS0_5tupleIJSF_NSA_16discard_iteratorISK_EEEEENSM_IJSG_SG_EEES6_PlJS6_EEE10hipError_tPvRmT3_T4_T5_T6_T7_T9_mT8_P12ihipStream_tbDpT10_ENKUlT_T0_E_clISt17integral_constantIbLb0EES1A_IbLb1EEEEDaS16_S17_EUlS16_E_NS1_11comp_targetILNS1_3genE5ELNS1_11target_archE942ELNS1_3gpuE9ELNS1_3repE0EEENS1_30default_config_static_selectorELNS0_4arch9wavefront6targetE1EEEvT1_
	.globl	_ZN7rocprim17ROCPRIM_400000_NS6detail17trampoline_kernelINS0_14default_configENS1_25partition_config_selectorILNS1_17partition_subalgoE1EiNS0_10empty_typeEbEEZZNS1_14partition_implILS5_1ELb0ES3_jN6thrust23THRUST_200600_302600_NS6detail15normal_iteratorINSA_10device_ptrIiEEEEPS6_NSA_18transform_iteratorI7is_evenIiESF_NSA_11use_defaultESK_EENS0_5tupleIJSF_NSA_16discard_iteratorISK_EEEEENSM_IJSG_SG_EEES6_PlJS6_EEE10hipError_tPvRmT3_T4_T5_T6_T7_T9_mT8_P12ihipStream_tbDpT10_ENKUlT_T0_E_clISt17integral_constantIbLb0EES1A_IbLb1EEEEDaS16_S17_EUlS16_E_NS1_11comp_targetILNS1_3genE5ELNS1_11target_archE942ELNS1_3gpuE9ELNS1_3repE0EEENS1_30default_config_static_selectorELNS0_4arch9wavefront6targetE1EEEvT1_
	.p2align	8
	.type	_ZN7rocprim17ROCPRIM_400000_NS6detail17trampoline_kernelINS0_14default_configENS1_25partition_config_selectorILNS1_17partition_subalgoE1EiNS0_10empty_typeEbEEZZNS1_14partition_implILS5_1ELb0ES3_jN6thrust23THRUST_200600_302600_NS6detail15normal_iteratorINSA_10device_ptrIiEEEEPS6_NSA_18transform_iteratorI7is_evenIiESF_NSA_11use_defaultESK_EENS0_5tupleIJSF_NSA_16discard_iteratorISK_EEEEENSM_IJSG_SG_EEES6_PlJS6_EEE10hipError_tPvRmT3_T4_T5_T6_T7_T9_mT8_P12ihipStream_tbDpT10_ENKUlT_T0_E_clISt17integral_constantIbLb0EES1A_IbLb1EEEEDaS16_S17_EUlS16_E_NS1_11comp_targetILNS1_3genE5ELNS1_11target_archE942ELNS1_3gpuE9ELNS1_3repE0EEENS1_30default_config_static_selectorELNS0_4arch9wavefront6targetE1EEEvT1_,@function
_ZN7rocprim17ROCPRIM_400000_NS6detail17trampoline_kernelINS0_14default_configENS1_25partition_config_selectorILNS1_17partition_subalgoE1EiNS0_10empty_typeEbEEZZNS1_14partition_implILS5_1ELb0ES3_jN6thrust23THRUST_200600_302600_NS6detail15normal_iteratorINSA_10device_ptrIiEEEEPS6_NSA_18transform_iteratorI7is_evenIiESF_NSA_11use_defaultESK_EENS0_5tupleIJSF_NSA_16discard_iteratorISK_EEEEENSM_IJSG_SG_EEES6_PlJS6_EEE10hipError_tPvRmT3_T4_T5_T6_T7_T9_mT8_P12ihipStream_tbDpT10_ENKUlT_T0_E_clISt17integral_constantIbLb0EES1A_IbLb1EEEEDaS16_S17_EUlS16_E_NS1_11comp_targetILNS1_3genE5ELNS1_11target_archE942ELNS1_3gpuE9ELNS1_3repE0EEENS1_30default_config_static_selectorELNS0_4arch9wavefront6targetE1EEEvT1_: ; @_ZN7rocprim17ROCPRIM_400000_NS6detail17trampoline_kernelINS0_14default_configENS1_25partition_config_selectorILNS1_17partition_subalgoE1EiNS0_10empty_typeEbEEZZNS1_14partition_implILS5_1ELb0ES3_jN6thrust23THRUST_200600_302600_NS6detail15normal_iteratorINSA_10device_ptrIiEEEEPS6_NSA_18transform_iteratorI7is_evenIiESF_NSA_11use_defaultESK_EENS0_5tupleIJSF_NSA_16discard_iteratorISK_EEEEENSM_IJSG_SG_EEES6_PlJS6_EEE10hipError_tPvRmT3_T4_T5_T6_T7_T9_mT8_P12ihipStream_tbDpT10_ENKUlT_T0_E_clISt17integral_constantIbLb0EES1A_IbLb1EEEEDaS16_S17_EUlS16_E_NS1_11comp_targetILNS1_3genE5ELNS1_11target_archE942ELNS1_3gpuE9ELNS1_3repE0EEENS1_30default_config_static_selectorELNS0_4arch9wavefront6targetE1EEEvT1_
; %bb.0:
	.section	.rodata,"a",@progbits
	.p2align	6, 0x0
	.amdhsa_kernel _ZN7rocprim17ROCPRIM_400000_NS6detail17trampoline_kernelINS0_14default_configENS1_25partition_config_selectorILNS1_17partition_subalgoE1EiNS0_10empty_typeEbEEZZNS1_14partition_implILS5_1ELb0ES3_jN6thrust23THRUST_200600_302600_NS6detail15normal_iteratorINSA_10device_ptrIiEEEEPS6_NSA_18transform_iteratorI7is_evenIiESF_NSA_11use_defaultESK_EENS0_5tupleIJSF_NSA_16discard_iteratorISK_EEEEENSM_IJSG_SG_EEES6_PlJS6_EEE10hipError_tPvRmT3_T4_T5_T6_T7_T9_mT8_P12ihipStream_tbDpT10_ENKUlT_T0_E_clISt17integral_constantIbLb0EES1A_IbLb1EEEEDaS16_S17_EUlS16_E_NS1_11comp_targetILNS1_3genE5ELNS1_11target_archE942ELNS1_3gpuE9ELNS1_3repE0EEENS1_30default_config_static_selectorELNS0_4arch9wavefront6targetE1EEEvT1_
		.amdhsa_group_segment_fixed_size 0
		.amdhsa_private_segment_fixed_size 0
		.amdhsa_kernarg_size 152
		.amdhsa_user_sgpr_count 6
		.amdhsa_user_sgpr_private_segment_buffer 1
		.amdhsa_user_sgpr_dispatch_ptr 0
		.amdhsa_user_sgpr_queue_ptr 0
		.amdhsa_user_sgpr_kernarg_segment_ptr 1
		.amdhsa_user_sgpr_dispatch_id 0
		.amdhsa_user_sgpr_flat_scratch_init 0
		.amdhsa_user_sgpr_kernarg_preload_length 0
		.amdhsa_user_sgpr_kernarg_preload_offset 0
		.amdhsa_user_sgpr_private_segment_size 0
		.amdhsa_uses_dynamic_stack 0
		.amdhsa_system_sgpr_private_segment_wavefront_offset 0
		.amdhsa_system_sgpr_workgroup_id_x 1
		.amdhsa_system_sgpr_workgroup_id_y 0
		.amdhsa_system_sgpr_workgroup_id_z 0
		.amdhsa_system_sgpr_workgroup_info 0
		.amdhsa_system_vgpr_workitem_id 0
		.amdhsa_next_free_vgpr 1
		.amdhsa_next_free_sgpr 0
		.amdhsa_accum_offset 4
		.amdhsa_reserve_vcc 0
		.amdhsa_reserve_flat_scratch 0
		.amdhsa_float_round_mode_32 0
		.amdhsa_float_round_mode_16_64 0
		.amdhsa_float_denorm_mode_32 3
		.amdhsa_float_denorm_mode_16_64 3
		.amdhsa_dx10_clamp 1
		.amdhsa_ieee_mode 1
		.amdhsa_fp16_overflow 0
		.amdhsa_tg_split 0
		.amdhsa_exception_fp_ieee_invalid_op 0
		.amdhsa_exception_fp_denorm_src 0
		.amdhsa_exception_fp_ieee_div_zero 0
		.amdhsa_exception_fp_ieee_overflow 0
		.amdhsa_exception_fp_ieee_underflow 0
		.amdhsa_exception_fp_ieee_inexact 0
		.amdhsa_exception_int_div_zero 0
	.end_amdhsa_kernel
	.section	.text._ZN7rocprim17ROCPRIM_400000_NS6detail17trampoline_kernelINS0_14default_configENS1_25partition_config_selectorILNS1_17partition_subalgoE1EiNS0_10empty_typeEbEEZZNS1_14partition_implILS5_1ELb0ES3_jN6thrust23THRUST_200600_302600_NS6detail15normal_iteratorINSA_10device_ptrIiEEEEPS6_NSA_18transform_iteratorI7is_evenIiESF_NSA_11use_defaultESK_EENS0_5tupleIJSF_NSA_16discard_iteratorISK_EEEEENSM_IJSG_SG_EEES6_PlJS6_EEE10hipError_tPvRmT3_T4_T5_T6_T7_T9_mT8_P12ihipStream_tbDpT10_ENKUlT_T0_E_clISt17integral_constantIbLb0EES1A_IbLb1EEEEDaS16_S17_EUlS16_E_NS1_11comp_targetILNS1_3genE5ELNS1_11target_archE942ELNS1_3gpuE9ELNS1_3repE0EEENS1_30default_config_static_selectorELNS0_4arch9wavefront6targetE1EEEvT1_,"axG",@progbits,_ZN7rocprim17ROCPRIM_400000_NS6detail17trampoline_kernelINS0_14default_configENS1_25partition_config_selectorILNS1_17partition_subalgoE1EiNS0_10empty_typeEbEEZZNS1_14partition_implILS5_1ELb0ES3_jN6thrust23THRUST_200600_302600_NS6detail15normal_iteratorINSA_10device_ptrIiEEEEPS6_NSA_18transform_iteratorI7is_evenIiESF_NSA_11use_defaultESK_EENS0_5tupleIJSF_NSA_16discard_iteratorISK_EEEEENSM_IJSG_SG_EEES6_PlJS6_EEE10hipError_tPvRmT3_T4_T5_T6_T7_T9_mT8_P12ihipStream_tbDpT10_ENKUlT_T0_E_clISt17integral_constantIbLb0EES1A_IbLb1EEEEDaS16_S17_EUlS16_E_NS1_11comp_targetILNS1_3genE5ELNS1_11target_archE942ELNS1_3gpuE9ELNS1_3repE0EEENS1_30default_config_static_selectorELNS0_4arch9wavefront6targetE1EEEvT1_,comdat
.Lfunc_end3316:
	.size	_ZN7rocprim17ROCPRIM_400000_NS6detail17trampoline_kernelINS0_14default_configENS1_25partition_config_selectorILNS1_17partition_subalgoE1EiNS0_10empty_typeEbEEZZNS1_14partition_implILS5_1ELb0ES3_jN6thrust23THRUST_200600_302600_NS6detail15normal_iteratorINSA_10device_ptrIiEEEEPS6_NSA_18transform_iteratorI7is_evenIiESF_NSA_11use_defaultESK_EENS0_5tupleIJSF_NSA_16discard_iteratorISK_EEEEENSM_IJSG_SG_EEES6_PlJS6_EEE10hipError_tPvRmT3_T4_T5_T6_T7_T9_mT8_P12ihipStream_tbDpT10_ENKUlT_T0_E_clISt17integral_constantIbLb0EES1A_IbLb1EEEEDaS16_S17_EUlS16_E_NS1_11comp_targetILNS1_3genE5ELNS1_11target_archE942ELNS1_3gpuE9ELNS1_3repE0EEENS1_30default_config_static_selectorELNS0_4arch9wavefront6targetE1EEEvT1_, .Lfunc_end3316-_ZN7rocprim17ROCPRIM_400000_NS6detail17trampoline_kernelINS0_14default_configENS1_25partition_config_selectorILNS1_17partition_subalgoE1EiNS0_10empty_typeEbEEZZNS1_14partition_implILS5_1ELb0ES3_jN6thrust23THRUST_200600_302600_NS6detail15normal_iteratorINSA_10device_ptrIiEEEEPS6_NSA_18transform_iteratorI7is_evenIiESF_NSA_11use_defaultESK_EENS0_5tupleIJSF_NSA_16discard_iteratorISK_EEEEENSM_IJSG_SG_EEES6_PlJS6_EEE10hipError_tPvRmT3_T4_T5_T6_T7_T9_mT8_P12ihipStream_tbDpT10_ENKUlT_T0_E_clISt17integral_constantIbLb0EES1A_IbLb1EEEEDaS16_S17_EUlS16_E_NS1_11comp_targetILNS1_3genE5ELNS1_11target_archE942ELNS1_3gpuE9ELNS1_3repE0EEENS1_30default_config_static_selectorELNS0_4arch9wavefront6targetE1EEEvT1_
                                        ; -- End function
	.section	.AMDGPU.csdata,"",@progbits
; Kernel info:
; codeLenInByte = 0
; NumSgprs: 4
; NumVgprs: 0
; NumAgprs: 0
; TotalNumVgprs: 0
; ScratchSize: 0
; MemoryBound: 0
; FloatMode: 240
; IeeeMode: 1
; LDSByteSize: 0 bytes/workgroup (compile time only)
; SGPRBlocks: 0
; VGPRBlocks: 0
; NumSGPRsForWavesPerEU: 4
; NumVGPRsForWavesPerEU: 1
; AccumOffset: 4
; Occupancy: 8
; WaveLimiterHint : 0
; COMPUTE_PGM_RSRC2:SCRATCH_EN: 0
; COMPUTE_PGM_RSRC2:USER_SGPR: 6
; COMPUTE_PGM_RSRC2:TRAP_HANDLER: 0
; COMPUTE_PGM_RSRC2:TGID_X_EN: 1
; COMPUTE_PGM_RSRC2:TGID_Y_EN: 0
; COMPUTE_PGM_RSRC2:TGID_Z_EN: 0
; COMPUTE_PGM_RSRC2:TIDIG_COMP_CNT: 0
; COMPUTE_PGM_RSRC3_GFX90A:ACCUM_OFFSET: 0
; COMPUTE_PGM_RSRC3_GFX90A:TG_SPLIT: 0
	.section	.text._ZN7rocprim17ROCPRIM_400000_NS6detail17trampoline_kernelINS0_14default_configENS1_25partition_config_selectorILNS1_17partition_subalgoE1EiNS0_10empty_typeEbEEZZNS1_14partition_implILS5_1ELb0ES3_jN6thrust23THRUST_200600_302600_NS6detail15normal_iteratorINSA_10device_ptrIiEEEEPS6_NSA_18transform_iteratorI7is_evenIiESF_NSA_11use_defaultESK_EENS0_5tupleIJSF_NSA_16discard_iteratorISK_EEEEENSM_IJSG_SG_EEES6_PlJS6_EEE10hipError_tPvRmT3_T4_T5_T6_T7_T9_mT8_P12ihipStream_tbDpT10_ENKUlT_T0_E_clISt17integral_constantIbLb0EES1A_IbLb1EEEEDaS16_S17_EUlS16_E_NS1_11comp_targetILNS1_3genE4ELNS1_11target_archE910ELNS1_3gpuE8ELNS1_3repE0EEENS1_30default_config_static_selectorELNS0_4arch9wavefront6targetE1EEEvT1_,"axG",@progbits,_ZN7rocprim17ROCPRIM_400000_NS6detail17trampoline_kernelINS0_14default_configENS1_25partition_config_selectorILNS1_17partition_subalgoE1EiNS0_10empty_typeEbEEZZNS1_14partition_implILS5_1ELb0ES3_jN6thrust23THRUST_200600_302600_NS6detail15normal_iteratorINSA_10device_ptrIiEEEEPS6_NSA_18transform_iteratorI7is_evenIiESF_NSA_11use_defaultESK_EENS0_5tupleIJSF_NSA_16discard_iteratorISK_EEEEENSM_IJSG_SG_EEES6_PlJS6_EEE10hipError_tPvRmT3_T4_T5_T6_T7_T9_mT8_P12ihipStream_tbDpT10_ENKUlT_T0_E_clISt17integral_constantIbLb0EES1A_IbLb1EEEEDaS16_S17_EUlS16_E_NS1_11comp_targetILNS1_3genE4ELNS1_11target_archE910ELNS1_3gpuE8ELNS1_3repE0EEENS1_30default_config_static_selectorELNS0_4arch9wavefront6targetE1EEEvT1_,comdat
	.protected	_ZN7rocprim17ROCPRIM_400000_NS6detail17trampoline_kernelINS0_14default_configENS1_25partition_config_selectorILNS1_17partition_subalgoE1EiNS0_10empty_typeEbEEZZNS1_14partition_implILS5_1ELb0ES3_jN6thrust23THRUST_200600_302600_NS6detail15normal_iteratorINSA_10device_ptrIiEEEEPS6_NSA_18transform_iteratorI7is_evenIiESF_NSA_11use_defaultESK_EENS0_5tupleIJSF_NSA_16discard_iteratorISK_EEEEENSM_IJSG_SG_EEES6_PlJS6_EEE10hipError_tPvRmT3_T4_T5_T6_T7_T9_mT8_P12ihipStream_tbDpT10_ENKUlT_T0_E_clISt17integral_constantIbLb0EES1A_IbLb1EEEEDaS16_S17_EUlS16_E_NS1_11comp_targetILNS1_3genE4ELNS1_11target_archE910ELNS1_3gpuE8ELNS1_3repE0EEENS1_30default_config_static_selectorELNS0_4arch9wavefront6targetE1EEEvT1_ ; -- Begin function _ZN7rocprim17ROCPRIM_400000_NS6detail17trampoline_kernelINS0_14default_configENS1_25partition_config_selectorILNS1_17partition_subalgoE1EiNS0_10empty_typeEbEEZZNS1_14partition_implILS5_1ELb0ES3_jN6thrust23THRUST_200600_302600_NS6detail15normal_iteratorINSA_10device_ptrIiEEEEPS6_NSA_18transform_iteratorI7is_evenIiESF_NSA_11use_defaultESK_EENS0_5tupleIJSF_NSA_16discard_iteratorISK_EEEEENSM_IJSG_SG_EEES6_PlJS6_EEE10hipError_tPvRmT3_T4_T5_T6_T7_T9_mT8_P12ihipStream_tbDpT10_ENKUlT_T0_E_clISt17integral_constantIbLb0EES1A_IbLb1EEEEDaS16_S17_EUlS16_E_NS1_11comp_targetILNS1_3genE4ELNS1_11target_archE910ELNS1_3gpuE8ELNS1_3repE0EEENS1_30default_config_static_selectorELNS0_4arch9wavefront6targetE1EEEvT1_
	.globl	_ZN7rocprim17ROCPRIM_400000_NS6detail17trampoline_kernelINS0_14default_configENS1_25partition_config_selectorILNS1_17partition_subalgoE1EiNS0_10empty_typeEbEEZZNS1_14partition_implILS5_1ELb0ES3_jN6thrust23THRUST_200600_302600_NS6detail15normal_iteratorINSA_10device_ptrIiEEEEPS6_NSA_18transform_iteratorI7is_evenIiESF_NSA_11use_defaultESK_EENS0_5tupleIJSF_NSA_16discard_iteratorISK_EEEEENSM_IJSG_SG_EEES6_PlJS6_EEE10hipError_tPvRmT3_T4_T5_T6_T7_T9_mT8_P12ihipStream_tbDpT10_ENKUlT_T0_E_clISt17integral_constantIbLb0EES1A_IbLb1EEEEDaS16_S17_EUlS16_E_NS1_11comp_targetILNS1_3genE4ELNS1_11target_archE910ELNS1_3gpuE8ELNS1_3repE0EEENS1_30default_config_static_selectorELNS0_4arch9wavefront6targetE1EEEvT1_
	.p2align	8
	.type	_ZN7rocprim17ROCPRIM_400000_NS6detail17trampoline_kernelINS0_14default_configENS1_25partition_config_selectorILNS1_17partition_subalgoE1EiNS0_10empty_typeEbEEZZNS1_14partition_implILS5_1ELb0ES3_jN6thrust23THRUST_200600_302600_NS6detail15normal_iteratorINSA_10device_ptrIiEEEEPS6_NSA_18transform_iteratorI7is_evenIiESF_NSA_11use_defaultESK_EENS0_5tupleIJSF_NSA_16discard_iteratorISK_EEEEENSM_IJSG_SG_EEES6_PlJS6_EEE10hipError_tPvRmT3_T4_T5_T6_T7_T9_mT8_P12ihipStream_tbDpT10_ENKUlT_T0_E_clISt17integral_constantIbLb0EES1A_IbLb1EEEEDaS16_S17_EUlS16_E_NS1_11comp_targetILNS1_3genE4ELNS1_11target_archE910ELNS1_3gpuE8ELNS1_3repE0EEENS1_30default_config_static_selectorELNS0_4arch9wavefront6targetE1EEEvT1_,@function
_ZN7rocprim17ROCPRIM_400000_NS6detail17trampoline_kernelINS0_14default_configENS1_25partition_config_selectorILNS1_17partition_subalgoE1EiNS0_10empty_typeEbEEZZNS1_14partition_implILS5_1ELb0ES3_jN6thrust23THRUST_200600_302600_NS6detail15normal_iteratorINSA_10device_ptrIiEEEEPS6_NSA_18transform_iteratorI7is_evenIiESF_NSA_11use_defaultESK_EENS0_5tupleIJSF_NSA_16discard_iteratorISK_EEEEENSM_IJSG_SG_EEES6_PlJS6_EEE10hipError_tPvRmT3_T4_T5_T6_T7_T9_mT8_P12ihipStream_tbDpT10_ENKUlT_T0_E_clISt17integral_constantIbLb0EES1A_IbLb1EEEEDaS16_S17_EUlS16_E_NS1_11comp_targetILNS1_3genE4ELNS1_11target_archE910ELNS1_3gpuE8ELNS1_3repE0EEENS1_30default_config_static_selectorELNS0_4arch9wavefront6targetE1EEEvT1_: ; @_ZN7rocprim17ROCPRIM_400000_NS6detail17trampoline_kernelINS0_14default_configENS1_25partition_config_selectorILNS1_17partition_subalgoE1EiNS0_10empty_typeEbEEZZNS1_14partition_implILS5_1ELb0ES3_jN6thrust23THRUST_200600_302600_NS6detail15normal_iteratorINSA_10device_ptrIiEEEEPS6_NSA_18transform_iteratorI7is_evenIiESF_NSA_11use_defaultESK_EENS0_5tupleIJSF_NSA_16discard_iteratorISK_EEEEENSM_IJSG_SG_EEES6_PlJS6_EEE10hipError_tPvRmT3_T4_T5_T6_T7_T9_mT8_P12ihipStream_tbDpT10_ENKUlT_T0_E_clISt17integral_constantIbLb0EES1A_IbLb1EEEEDaS16_S17_EUlS16_E_NS1_11comp_targetILNS1_3genE4ELNS1_11target_archE910ELNS1_3gpuE8ELNS1_3repE0EEENS1_30default_config_static_selectorELNS0_4arch9wavefront6targetE1EEEvT1_
; %bb.0:
	s_load_dwordx2 s[6:7], s[4:5], 0x20
	s_load_dwordx2 s[24:25], s[4:5], 0x30
	;; [unrolled: 1-line block ×3, first 2 shown]
	s_load_dwordx4 s[20:23], s[4:5], 0x58
	s_load_dwordx2 s[26:27], s[4:5], 0x78
	v_cmp_eq_u32_e64 s[0:1], 0, v0
	s_and_saveexec_b64 s[8:9], s[0:1]
	s_cbranch_execz .LBB3317_4
; %bb.1:
	s_mov_b64 s[12:13], exec
	v_mbcnt_lo_u32_b32 v1, s12, 0
	v_mbcnt_hi_u32_b32 v1, s13, v1
	v_cmp_eq_u32_e32 vcc, 0, v1
                                        ; implicit-def: $vgpr2
	s_and_saveexec_b64 s[10:11], vcc
	s_cbranch_execz .LBB3317_3
; %bb.2:
	s_load_dwordx2 s[14:15], s[4:5], 0x88
	s_bcnt1_i32_b64 s12, s[12:13]
	v_mov_b32_e32 v2, 0
	v_mov_b32_e32 v3, s12
	s_waitcnt lgkmcnt(0)
	global_atomic_add v2, v2, v3, s[14:15] glc
.LBB3317_3:
	s_or_b64 exec, exec, s[10:11]
	s_waitcnt vmcnt(0)
	v_readfirstlane_b32 s10, v2
	v_add_u32_e32 v1, s10, v1
	v_mov_b32_e32 v2, 0
	ds_write_b32 v2, v1
.LBB3317_4:
	s_or_b64 exec, exec, s[8:9]
	v_mov_b32_e32 v1, 0
	s_load_dwordx4 s[8:11], s[4:5], 0x8
	s_load_dword s12, s[4:5], 0x80
	s_waitcnt lgkmcnt(0)
	s_barrier
	ds_read_b32 v4, v1
	s_waitcnt lgkmcnt(0)
	s_barrier
	global_load_dwordx2 v[10:11], v1, s[22:23]
	s_lshl_b64 s[4:5], s[10:11], 2
	v_mov_b32_e32 v3, s3
	s_add_u32 s13, s8, s4
	s_mul_i32 s3, s12, 0x700
	s_addc_u32 s14, s9, s5
	s_add_i32 s9, s3, s10
	s_sub_i32 s33, s2, s9
	s_add_i32 s15, s12, -1
	s_addk_i32 s33, 0x700
	v_mov_b32_e32 v2, s2
	s_add_u32 s2, s10, s3
	v_readfirstlane_b32 s36, v4
	s_addc_u32 s3, s11, 0
	s_cmp_eq_u32 s36, s15
	s_cselect_b64 s[18:19], -1, 0
	s_cmp_lg_u32 s36, s15
	s_mul_i32 s8, s36, 0x700
	s_mov_b32 s9, 0
	v_cmp_lt_u64_e32 vcc, s[2:3], v[2:3]
	s_cselect_b64 s[2:3], -1, 0
	s_or_b64 s[22:23], vcc, s[2:3]
	s_lshl_b64 s[8:9], s[8:9], 2
	s_add_u32 s12, s13, s8
	s_addc_u32 s13, s14, s9
	s_mov_b64 s[2:3], -1
	s_and_b64 vcc, exec, s[22:23]
	v_lshlrev_b32_e32 v1, 2, v0
	s_cbranch_vccz .LBB3317_6
; %bb.5:
	v_mov_b32_e32 v3, s13
	v_add_co_u32_e32 v2, vcc, s12, v1
	v_addc_co_u32_e32 v3, vcc, 0, v3, vcc
	v_add_co_u32_e32 v4, vcc, 0x1000, v2
	v_addc_co_u32_e32 v5, vcc, 0, v3, vcc
	flat_load_dword v6, v[2:3]
	flat_load_dword v7, v[2:3] offset:1024
	flat_load_dword v8, v[2:3] offset:2048
	;; [unrolled: 1-line block ×3, first 2 shown]
	flat_load_dword v12, v[4:5]
	flat_load_dword v13, v[4:5] offset:1024
	flat_load_dword v14, v[4:5] offset:2048
	s_mov_b64 s[2:3], 0
	s_waitcnt vmcnt(0) lgkmcnt(0)
	ds_write2st64_b32 v1, v6, v7 offset1:4
	ds_write2st64_b32 v1, v8, v9 offset0:8 offset1:12
	ds_write2st64_b32 v1, v12, v13 offset0:16 offset1:20
	ds_write_b32 v1, v14 offset:6144
	s_waitcnt lgkmcnt(0)
	s_barrier
.LBB3317_6:
	s_andn2_b64 vcc, exec, s[2:3]
	v_cmp_gt_u32_e64 s[2:3], s33, v0
	s_cbranch_vccnz .LBB3317_22
; %bb.7:
                                        ; implicit-def: $vgpr2_vgpr3_vgpr4_vgpr5_vgpr6_vgpr7_vgpr8
	s_and_saveexec_b64 s[10:11], s[2:3]
	s_cbranch_execz .LBB3317_9
; %bb.8:
	v_mov_b32_e32 v3, s13
	v_add_co_u32_e32 v2, vcc, s12, v1
	v_addc_co_u32_e32 v3, vcc, 0, v3, vcc
	flat_load_dword v2, v[2:3]
.LBB3317_9:
	s_or_b64 exec, exec, s[10:11]
	v_or_b32_e32 v9, 0x100, v0
	v_cmp_gt_u32_e32 vcc, s33, v9
	s_and_saveexec_b64 s[2:3], vcc
	s_cbranch_execz .LBB3317_11
; %bb.10:
	v_mov_b32_e32 v3, s13
	v_add_co_u32_e32 v12, vcc, s12, v1
	v_addc_co_u32_e32 v13, vcc, 0, v3, vcc
	flat_load_dword v3, v[12:13] offset:1024
.LBB3317_11:
	s_or_b64 exec, exec, s[2:3]
	v_or_b32_e32 v9, 0x200, v0
	v_cmp_gt_u32_e32 vcc, s33, v9
	s_and_saveexec_b64 s[2:3], vcc
	s_cbranch_execz .LBB3317_13
; %bb.12:
	v_mov_b32_e32 v4, s13
	v_add_co_u32_e32 v12, vcc, s12, v1
	v_addc_co_u32_e32 v13, vcc, 0, v4, vcc
	flat_load_dword v4, v[12:13] offset:2048
.LBB3317_13:
	;; [unrolled: 11-line block ×3, first 2 shown]
	s_or_b64 exec, exec, s[2:3]
	v_or_b32_e32 v9, 0x400, v0
	v_cmp_gt_u32_e32 vcc, s33, v9
	s_and_saveexec_b64 s[2:3], vcc
	s_cbranch_execz .LBB3317_17
; %bb.16:
	v_lshlrev_b32_e32 v6, 2, v9
	v_mov_b32_e32 v9, s13
	v_add_co_u32_e32 v12, vcc, s12, v6
	v_addc_co_u32_e32 v13, vcc, 0, v9, vcc
	flat_load_dword v6, v[12:13]
.LBB3317_17:
	s_or_b64 exec, exec, s[2:3]
	v_or_b32_e32 v9, 0x500, v0
	v_cmp_gt_u32_e32 vcc, s33, v9
	s_and_saveexec_b64 s[2:3], vcc
	s_cbranch_execz .LBB3317_19
; %bb.18:
	v_lshlrev_b32_e32 v7, 2, v9
	v_mov_b32_e32 v9, s13
	v_add_co_u32_e32 v12, vcc, s12, v7
	v_addc_co_u32_e32 v13, vcc, 0, v9, vcc
	flat_load_dword v7, v[12:13]
.LBB3317_19:
	;; [unrolled: 12-line block ×3, first 2 shown]
	s_or_b64 exec, exec, s[2:3]
	s_waitcnt vmcnt(0) lgkmcnt(0)
	ds_write2st64_b32 v1, v2, v3 offset1:4
	ds_write2st64_b32 v1, v4, v5 offset0:8 offset1:12
	ds_write2st64_b32 v1, v6, v7 offset0:16 offset1:20
	ds_write_b32 v1, v8 offset:6144
	s_waitcnt lgkmcnt(0)
	s_barrier
.LBB3317_22:
	v_mul_u32_u24_e32 v21, 7, v0
	v_lshlrev_b32_e32 v8, 2, v21
	ds_read2_b32 v[6:7], v8 offset1:1
	ds_read2_b32 v[4:5], v8 offset0:2 offset1:3
	ds_read2_b32 v[2:3], v8 offset0:4 offset1:5
	ds_read_b32 v20, v8 offset:24
	s_add_u32 s2, s6, s4
	s_addc_u32 s3, s7, s5
	s_add_u32 s2, s2, s8
	s_addc_u32 s3, s3, s9
	s_mov_b64 s[4:5], -1
	s_and_b64 vcc, exec, s[22:23]
	s_waitcnt lgkmcnt(0)
	s_barrier
	s_cbranch_vccz .LBB3317_24
; %bb.23:
	v_mov_b32_e32 v9, s3
	v_add_co_u32_e32 v12, vcc, s2, v1
	v_addc_co_u32_e32 v9, vcc, 0, v9, vcc
	s_movk_i32 s4, 0x1000
	v_add_co_u32_e32 v12, vcc, s4, v12
	global_load_dword v14, v1, s[2:3]
	global_load_dword v15, v1, s[2:3] offset:1024
	global_load_dword v16, v1, s[2:3] offset:2048
	;; [unrolled: 1-line block ×3, first 2 shown]
	v_addc_co_u32_e32 v13, vcc, 0, v9, vcc
	global_load_dword v9, v[12:13], off
	global_load_dword v18, v[12:13], off offset:1024
	global_load_dword v19, v[12:13], off offset:2048
	s_mov_b64 s[4:5], 0
	s_waitcnt vmcnt(6)
	v_xor_b32_e32 v12, -1, v14
	s_waitcnt vmcnt(5)
	v_xor_b32_e32 v13, -1, v15
	;; [unrolled: 2-line block ×4, first 2 shown]
	v_and_b32_e32 v12, 1, v12
	v_and_b32_e32 v13, 1, v13
	s_waitcnt vmcnt(2)
	v_xor_b32_e32 v9, -1, v9
	v_and_b32_e32 v14, 1, v14
	v_and_b32_e32 v15, 1, v15
	ds_write_b8 v0, v12
	ds_write_b8 v0, v13 offset:256
	ds_write_b8 v0, v14 offset:512
	ds_write_b8 v0, v15 offset:768
	s_waitcnt vmcnt(1)
	v_xor_b32_e32 v12, -1, v18
	s_waitcnt vmcnt(0)
	v_xor_b32_e32 v13, -1, v19
	v_and_b32_e32 v9, 1, v9
	v_and_b32_e32 v12, 1, v12
	;; [unrolled: 1-line block ×3, first 2 shown]
	ds_write_b8 v0, v9 offset:1024
	ds_write_b8 v0, v12 offset:1280
	;; [unrolled: 1-line block ×3, first 2 shown]
	s_waitcnt lgkmcnt(0)
	s_barrier
.LBB3317_24:
	s_andn2_b64 vcc, exec, s[4:5]
	s_cbranch_vccnz .LBB3317_40
; %bb.25:
	v_cmp_gt_u32_e32 vcc, s33, v0
	v_mov_b32_e32 v9, 0
	v_mov_b32_e32 v12, 0
	s_and_saveexec_b64 s[4:5], vcc
	s_cbranch_execz .LBB3317_27
; %bb.26:
	global_load_dword v12, v1, s[2:3]
	s_waitcnt vmcnt(0)
	v_xor_b32_e32 v12, -1, v12
	v_and_b32_e32 v12, 1, v12
.LBB3317_27:
	s_or_b64 exec, exec, s[4:5]
	v_or_b32_e32 v13, 0x100, v0
	v_cmp_gt_u32_e32 vcc, s33, v13
	s_and_saveexec_b64 s[4:5], vcc
	s_cbranch_execz .LBB3317_29
; %bb.28:
	global_load_dword v9, v1, s[2:3] offset:1024
	s_waitcnt vmcnt(0)
	v_xor_b32_e32 v9, -1, v9
	v_and_b32_e32 v9, 1, v9
.LBB3317_29:
	s_or_b64 exec, exec, s[4:5]
	v_or_b32_e32 v13, 0x200, v0
	v_cmp_gt_u32_e32 vcc, s33, v13
	v_mov_b32_e32 v13, 0
	v_mov_b32_e32 v14, 0
	s_and_saveexec_b64 s[4:5], vcc
	s_cbranch_execz .LBB3317_31
; %bb.30:
	global_load_dword v14, v1, s[2:3] offset:2048
	s_waitcnt vmcnt(0)
	v_xor_b32_e32 v14, -1, v14
	v_and_b32_e32 v14, 1, v14
.LBB3317_31:
	s_or_b64 exec, exec, s[4:5]
	v_or_b32_e32 v15, 0x300, v0
	v_cmp_gt_u32_e32 vcc, s33, v15
	s_and_saveexec_b64 s[4:5], vcc
	s_cbranch_execz .LBB3317_33
; %bb.32:
	global_load_dword v13, v1, s[2:3] offset:3072
	s_waitcnt vmcnt(0)
	v_xor_b32_e32 v13, -1, v13
	v_and_b32_e32 v13, 1, v13
.LBB3317_33:
	s_or_b64 exec, exec, s[4:5]
	v_or_b32_e32 v17, 0x400, v0
	v_cmp_gt_u32_e32 vcc, s33, v17
	v_mov_b32_e32 v15, 0
	v_mov_b32_e32 v16, 0
	s_and_saveexec_b64 s[4:5], vcc
	s_cbranch_execz .LBB3317_35
; %bb.34:
	v_lshlrev_b32_e32 v16, 2, v17
	global_load_dword v16, v16, s[2:3]
	s_waitcnt vmcnt(0)
	v_xor_b32_e32 v16, -1, v16
	v_and_b32_e32 v16, 1, v16
.LBB3317_35:
	s_or_b64 exec, exec, s[4:5]
	v_or_b32_e32 v17, 0x500, v0
	v_cmp_gt_u32_e32 vcc, s33, v17
	s_and_saveexec_b64 s[4:5], vcc
	s_cbranch_execz .LBB3317_37
; %bb.36:
	v_lshlrev_b32_e32 v15, 2, v17
	global_load_dword v15, v15, s[2:3]
	s_waitcnt vmcnt(0)
	v_xor_b32_e32 v15, -1, v15
	v_and_b32_e32 v15, 1, v15
.LBB3317_37:
	s_or_b64 exec, exec, s[4:5]
	v_or_b32_e32 v18, 0x600, v0
	v_cmp_gt_u32_e32 vcc, s33, v18
	v_mov_b32_e32 v17, 0
	s_and_saveexec_b64 s[4:5], vcc
	s_cbranch_execz .LBB3317_39
; %bb.38:
	v_lshlrev_b32_e32 v17, 2, v18
	global_load_dword v17, v17, s[2:3]
	s_waitcnt vmcnt(0)
	v_xor_b32_e32 v17, -1, v17
	v_and_b32_e32 v17, 1, v17
.LBB3317_39:
	s_or_b64 exec, exec, s[4:5]
	ds_write_b8 v0, v12
	ds_write_b8 v0, v9 offset:256
	ds_write_b8 v0, v14 offset:512
	;; [unrolled: 1-line block ×6, first 2 shown]
	s_waitcnt lgkmcnt(0)
	s_barrier
.LBB3317_40:
	s_movk_i32 s2, 0xffeb
	v_mad_i32_i24 v30, v0, s2, v8
	ds_read_u8 v8, v30
	ds_read_u8 v9, v30 offset:1
	ds_read_u8 v12, v30 offset:2
	;; [unrolled: 1-line block ×6, first 2 shown]
	s_waitcnt lgkmcnt(6)
	v_and_b32_e32 v28, 1, v8
	s_waitcnt lgkmcnt(5)
	v_and_b32_e32 v27, 1, v9
	;; [unrolled: 2-line block ×5, first 2 shown]
	v_add3_u32 v8, v27, v28, v26
	s_waitcnt lgkmcnt(1)
	v_and_b32_e32 v23, 1, v15
	s_waitcnt lgkmcnt(0)
	v_and_b32_e32 v22, 1, v16
	v_add3_u32 v8, v8, v25, v24
	v_add3_u32 v32, v8, v23, v22
	v_mbcnt_lo_u32_b32 v8, -1, 0
	v_mbcnt_hi_u32_b32 v29, -1, v8
	v_and_b32_e32 v8, 15, v29
	v_cmp_eq_u32_e64 s[14:15], 0, v8
	v_cmp_lt_u32_e64 s[12:13], 1, v8
	v_cmp_lt_u32_e64 s[10:11], 3, v8
	;; [unrolled: 1-line block ×3, first 2 shown]
	v_and_b32_e32 v8, 16, v29
	v_cmp_eq_u32_e64 s[6:7], 0, v8
	v_or_b32_e32 v8, 63, v0
	s_cmp_lg_u32 s36, 0
	v_cmp_lt_u32_e64 s[2:3], 31, v29
	v_lshrrev_b32_e32 v31, 6, v0
	v_cmp_eq_u32_e64 s[4:5], v8, v0
	s_barrier
	s_cbranch_scc0 .LBB3317_67
; %bb.41:
	v_mov_b32_dpp v8, v32 row_shr:1 row_mask:0xf bank_mask:0xf
	v_cndmask_b32_e64 v8, v8, 0, s[14:15]
	v_add_u32_e32 v8, v8, v32
	s_nop 1
	v_mov_b32_dpp v9, v8 row_shr:2 row_mask:0xf bank_mask:0xf
	v_cndmask_b32_e64 v9, 0, v9, s[12:13]
	v_add_u32_e32 v8, v8, v9
	s_nop 1
	v_mov_b32_dpp v9, v8 row_shr:4 row_mask:0xf bank_mask:0xf
	v_cndmask_b32_e64 v9, 0, v9, s[10:11]
	v_add_u32_e32 v8, v8, v9
	s_nop 1
	v_mov_b32_dpp v9, v8 row_shr:8 row_mask:0xf bank_mask:0xf
	v_cndmask_b32_e64 v9, 0, v9, s[8:9]
	v_add_u32_e32 v8, v8, v9
	s_nop 1
	v_mov_b32_dpp v9, v8 row_bcast:15 row_mask:0xf bank_mask:0xf
	v_cndmask_b32_e64 v9, v9, 0, s[6:7]
	v_add_u32_e32 v8, v8, v9
	s_nop 1
	v_mov_b32_dpp v9, v8 row_bcast:31 row_mask:0xf bank_mask:0xf
	v_cndmask_b32_e64 v9, 0, v9, s[2:3]
	v_add_u32_e32 v8, v8, v9
	s_and_saveexec_b64 s[16:17], s[4:5]
	s_cbranch_execz .LBB3317_43
; %bb.42:
	v_lshlrev_b32_e32 v9, 2, v31
	ds_write_b32 v9, v8
.LBB3317_43:
	s_or_b64 exec, exec, s[16:17]
	v_cmp_gt_u32_e32 vcc, 4, v0
	s_waitcnt lgkmcnt(0)
	s_barrier
	s_and_saveexec_b64 s[16:17], vcc
	s_cbranch_execz .LBB3317_45
; %bb.44:
	ds_read_b32 v9, v1
	v_and_b32_e32 v12, 3, v29
	v_cmp_ne_u32_e32 vcc, 0, v12
	s_waitcnt lgkmcnt(0)
	v_mov_b32_dpp v13, v9 row_shr:1 row_mask:0xf bank_mask:0xf
	v_cndmask_b32_e32 v13, 0, v13, vcc
	v_add_u32_e32 v9, v13, v9
	v_cmp_lt_u32_e32 vcc, 1, v12
	s_nop 0
	v_mov_b32_dpp v13, v9 row_shr:2 row_mask:0xf bank_mask:0xf
	v_cndmask_b32_e32 v12, 0, v13, vcc
	v_add_u32_e32 v9, v9, v12
	ds_write_b32 v1, v9
.LBB3317_45:
	s_or_b64 exec, exec, s[16:17]
	v_cmp_gt_u32_e32 vcc, 64, v0
	v_cmp_lt_u32_e64 s[16:17], 63, v0
	s_waitcnt lgkmcnt(0)
	s_barrier
	s_waitcnt lgkmcnt(0)
                                        ; implicit-def: $vgpr33
	s_and_saveexec_b64 s[28:29], s[16:17]
	s_cbranch_execz .LBB3317_47
; %bb.46:
	v_lshl_add_u32 v9, v31, 2, -4
	ds_read_b32 v33, v9
	s_waitcnt lgkmcnt(0)
	v_add_u32_e32 v8, v33, v8
.LBB3317_47:
	s_or_b64 exec, exec, s[28:29]
	v_add_u32_e32 v9, -1, v29
	v_and_b32_e32 v12, 64, v29
	v_cmp_lt_i32_e64 s[16:17], v9, v12
	v_cndmask_b32_e64 v9, v9, v29, s[16:17]
	v_lshlrev_b32_e32 v9, 2, v9
	ds_bpermute_b32 v34, v9, v8
	v_cmp_eq_u32_e64 s[16:17], 0, v29
	s_and_saveexec_b64 s[28:29], vcc
	s_cbranch_execz .LBB3317_66
; %bb.48:
	v_mov_b32_e32 v17, 0
	ds_read_b32 v8, v17 offset:12
	s_and_saveexec_b64 s[30:31], s[16:17]
	s_cbranch_execz .LBB3317_50
; %bb.49:
	s_add_i32 s34, s36, 64
	s_mov_b32 s35, 0
	s_lshl_b64 s[34:35], s[34:35], 3
	s_add_u32 s34, s26, s34
	v_mov_b32_e32 v9, 1
	s_addc_u32 s35, s27, s35
	s_waitcnt lgkmcnt(0)
	global_store_dwordx2 v17, v[8:9], s[34:35]
.LBB3317_50:
	s_or_b64 exec, exec, s[30:31]
	v_xad_u32 v12, v29, -1, s36
	v_add_u32_e32 v16, 64, v12
	v_lshlrev_b64 v[14:15], 3, v[16:17]
	v_mov_b32_e32 v9, s27
	v_add_co_u32_e32 v18, vcc, s26, v14
	v_addc_co_u32_e32 v19, vcc, v9, v15, vcc
	global_load_dwordx2 v[14:15], v[18:19], off glc
	s_waitcnt vmcnt(0)
	v_cmp_eq_u16_sdwa s[34:35], v15, v17 src0_sel:BYTE_0 src1_sel:DWORD
	s_and_saveexec_b64 s[30:31], s[34:35]
	s_cbranch_execz .LBB3317_54
; %bb.51:
	s_mov_b64 s[34:35], 0
	v_mov_b32_e32 v9, 0
.LBB3317_52:                            ; =>This Inner Loop Header: Depth=1
	global_load_dwordx2 v[14:15], v[18:19], off glc
	s_waitcnt vmcnt(0)
	v_cmp_ne_u16_sdwa s[38:39], v15, v9 src0_sel:BYTE_0 src1_sel:DWORD
	s_or_b64 s[34:35], s[38:39], s[34:35]
	s_andn2_b64 exec, exec, s[34:35]
	s_cbranch_execnz .LBB3317_52
; %bb.53:
	s_or_b64 exec, exec, s[34:35]
.LBB3317_54:
	s_or_b64 exec, exec, s[30:31]
	v_and_b32_e32 v36, 63, v29
	v_mov_b32_e32 v35, 2
	v_cmp_ne_u32_e32 vcc, 63, v36
	v_cmp_eq_u16_sdwa s[30:31], v15, v35 src0_sel:BYTE_0 src1_sel:DWORD
	v_lshlrev_b64 v[16:17], v29, -1
	v_addc_co_u32_e32 v18, vcc, 0, v29, vcc
	v_and_b32_e32 v9, s31, v17
	v_lshlrev_b32_e32 v37, 2, v18
	v_or_b32_e32 v9, 0x80000000, v9
	ds_bpermute_b32 v18, v37, v14
	v_and_b32_e32 v13, s30, v16
	v_ffbl_b32_e32 v9, v9
	v_add_u32_e32 v9, 32, v9
	v_ffbl_b32_e32 v13, v13
	v_min_u32_e32 v9, v13, v9
	v_cmp_lt_u32_e32 vcc, v36, v9
	s_waitcnt lgkmcnt(0)
	v_cndmask_b32_e32 v13, 0, v18, vcc
	v_cmp_gt_u32_e32 vcc, 62, v36
	v_add_u32_e32 v13, v13, v14
	v_cndmask_b32_e64 v14, 0, 1, vcc
	v_lshlrev_b32_e32 v14, 1, v14
	v_add_lshl_u32 v38, v14, v29, 2
	ds_bpermute_b32 v14, v38, v13
	v_add_u32_e32 v39, 2, v36
	v_cmp_le_u32_e32 vcc, v39, v9
	v_add_u32_e32 v41, 4, v36
	v_add_u32_e32 v43, 8, v36
	s_waitcnt lgkmcnt(0)
	v_cndmask_b32_e32 v14, 0, v14, vcc
	v_cmp_gt_u32_e32 vcc, 60, v36
	v_add_u32_e32 v13, v13, v14
	v_cndmask_b32_e64 v14, 0, 1, vcc
	v_lshlrev_b32_e32 v14, 2, v14
	v_add_lshl_u32 v40, v14, v29, 2
	ds_bpermute_b32 v14, v40, v13
	v_cmp_le_u32_e32 vcc, v41, v9
	v_add_u32_e32 v45, 16, v36
	v_add_u32_e32 v47, 32, v36
	s_waitcnt lgkmcnt(0)
	v_cndmask_b32_e32 v14, 0, v14, vcc
	v_cmp_gt_u32_e32 vcc, 56, v36
	v_add_u32_e32 v13, v13, v14
	v_cndmask_b32_e64 v14, 0, 1, vcc
	v_lshlrev_b32_e32 v14, 3, v14
	v_add_lshl_u32 v42, v14, v29, 2
	ds_bpermute_b32 v14, v42, v13
	v_cmp_le_u32_e32 vcc, v43, v9
	s_waitcnt lgkmcnt(0)
	v_cndmask_b32_e32 v14, 0, v14, vcc
	v_cmp_gt_u32_e32 vcc, 48, v36
	v_add_u32_e32 v13, v13, v14
	v_cndmask_b32_e64 v14, 0, 1, vcc
	v_lshlrev_b32_e32 v14, 4, v14
	v_add_lshl_u32 v44, v14, v29, 2
	ds_bpermute_b32 v14, v44, v13
	v_cmp_le_u32_e32 vcc, v45, v9
	;; [unrolled: 9-line block ×3, first 2 shown]
	s_waitcnt lgkmcnt(0)
	v_cndmask_b32_e32 v9, 0, v14, vcc
	v_add_u32_e32 v14, v13, v9
	v_mov_b32_e32 v13, 0
	s_branch .LBB3317_56
.LBB3317_55:                            ;   in Loop: Header=BB3317_56 Depth=1
	s_or_b64 exec, exec, s[30:31]
	v_cmp_eq_u16_sdwa s[30:31], v15, v35 src0_sel:BYTE_0 src1_sel:DWORD
	v_and_b32_e32 v18, s31, v17
	v_or_b32_e32 v18, 0x80000000, v18
	ds_bpermute_b32 v48, v37, v14
	v_and_b32_e32 v19, s30, v16
	v_ffbl_b32_e32 v18, v18
	v_add_u32_e32 v18, 32, v18
	v_ffbl_b32_e32 v19, v19
	v_min_u32_e32 v18, v19, v18
	v_cmp_lt_u32_e32 vcc, v36, v18
	s_waitcnt lgkmcnt(0)
	v_cndmask_b32_e32 v19, 0, v48, vcc
	v_add_u32_e32 v14, v19, v14
	ds_bpermute_b32 v19, v38, v14
	v_cmp_le_u32_e32 vcc, v39, v18
	v_subrev_u32_e32 v12, 64, v12
	s_waitcnt lgkmcnt(0)
	v_cndmask_b32_e32 v19, 0, v19, vcc
	v_add_u32_e32 v14, v14, v19
	ds_bpermute_b32 v19, v40, v14
	v_cmp_le_u32_e32 vcc, v41, v18
	s_waitcnt lgkmcnt(0)
	v_cndmask_b32_e32 v19, 0, v19, vcc
	v_add_u32_e32 v14, v14, v19
	ds_bpermute_b32 v19, v42, v14
	v_cmp_le_u32_e32 vcc, v43, v18
	;; [unrolled: 5-line block ×4, first 2 shown]
	s_waitcnt lgkmcnt(0)
	v_cndmask_b32_e32 v18, 0, v19, vcc
	v_add3_u32 v14, v18, v9, v14
.LBB3317_56:                            ; =>This Loop Header: Depth=1
                                        ;     Child Loop BB3317_59 Depth 2
	v_cmp_ne_u16_sdwa s[30:31], v15, v35 src0_sel:BYTE_0 src1_sel:DWORD
	v_cndmask_b32_e64 v9, 0, 1, s[30:31]
	;;#ASMSTART
	;;#ASMEND
	v_cmp_ne_u32_e32 vcc, 0, v9
	s_cmp_lg_u64 vcc, exec
	v_mov_b32_e32 v9, v14
	s_cbranch_scc1 .LBB3317_61
; %bb.57:                               ;   in Loop: Header=BB3317_56 Depth=1
	v_lshlrev_b64 v[14:15], 3, v[12:13]
	v_mov_b32_e32 v19, s27
	v_add_co_u32_e32 v18, vcc, s26, v14
	v_addc_co_u32_e32 v19, vcc, v19, v15, vcc
	global_load_dwordx2 v[14:15], v[18:19], off glc
	s_waitcnt vmcnt(0)
	v_cmp_eq_u16_sdwa s[34:35], v15, v13 src0_sel:BYTE_0 src1_sel:DWORD
	s_and_saveexec_b64 s[30:31], s[34:35]
	s_cbranch_execz .LBB3317_55
; %bb.58:                               ;   in Loop: Header=BB3317_56 Depth=1
	s_mov_b64 s[34:35], 0
.LBB3317_59:                            ;   Parent Loop BB3317_56 Depth=1
                                        ; =>  This Inner Loop Header: Depth=2
	global_load_dwordx2 v[14:15], v[18:19], off glc
	s_waitcnt vmcnt(0)
	v_cmp_ne_u16_sdwa s[38:39], v15, v13 src0_sel:BYTE_0 src1_sel:DWORD
	s_or_b64 s[34:35], s[38:39], s[34:35]
	s_andn2_b64 exec, exec, s[34:35]
	s_cbranch_execnz .LBB3317_59
; %bb.60:                               ;   in Loop: Header=BB3317_56 Depth=1
	s_or_b64 exec, exec, s[34:35]
	s_branch .LBB3317_55
.LBB3317_61:                            ;   in Loop: Header=BB3317_56 Depth=1
                                        ; implicit-def: $vgpr14
                                        ; implicit-def: $vgpr15
	s_cbranch_execz .LBB3317_56
; %bb.62:
	s_and_saveexec_b64 s[30:31], s[16:17]
	s_cbranch_execz .LBB3317_64
; %bb.63:
	s_add_i32 s34, s36, 64
	s_mov_b32 s35, 0
	s_lshl_b64 s[34:35], s[34:35], 3
	s_add_u32 s34, s26, s34
	v_add_u32_e32 v12, v9, v8
	v_mov_b32_e32 v13, 2
	s_addc_u32 s35, s27, s35
	v_mov_b32_e32 v14, 0
	global_store_dwordx2 v14, v[12:13], s[34:35]
	ds_write_b64 v14, v[8:9] offset:7168
.LBB3317_64:
	s_or_b64 exec, exec, s[30:31]
	s_and_b64 exec, exec, s[0:1]
	s_cbranch_execz .LBB3317_66
; %bb.65:
	v_mov_b32_e32 v8, 0
	ds_write_b32 v8, v9 offset:12
.LBB3317_66:
	s_or_b64 exec, exec, s[28:29]
	v_mov_b32_e32 v8, 0
	s_waitcnt lgkmcnt(0)
	s_barrier
	ds_read_b32 v9, v8 offset:12
	v_cndmask_b32_e64 v12, v34, v33, s[16:17]
	v_cndmask_b32_e64 v12, v12, 0, s[0:1]
	s_waitcnt lgkmcnt(0)
	s_barrier
	v_add_u32_e32 v19, v9, v12
	v_add_u32_e32 v18, v19, v28
	ds_read_b64 v[8:9], v8 offset:7168
	v_add_u32_e32 v17, v18, v27
	v_add_u32_e32 v15, v17, v26
	;; [unrolled: 1-line block ×5, first 2 shown]
	s_waitcnt lgkmcnt(0)
	v_mov_b32_e32 v12, v9
	s_branch .LBB3317_77
.LBB3317_67:
                                        ; implicit-def: $vgpr12
                                        ; implicit-def: $vgpr8
                                        ; implicit-def: $vgpr13
                                        ; implicit-def: $vgpr14
                                        ; implicit-def: $vgpr16
                                        ; implicit-def: $vgpr15
                                        ; implicit-def: $vgpr17
                                        ; implicit-def: $vgpr18
                                        ; implicit-def: $vgpr19
	s_cbranch_execz .LBB3317_77
; %bb.68:
	s_nop 0
	v_mov_b32_dpp v8, v32 row_shr:1 row_mask:0xf bank_mask:0xf
	v_cndmask_b32_e64 v8, v8, 0, s[14:15]
	v_add_u32_e32 v8, v8, v32
	s_nop 1
	v_mov_b32_dpp v9, v8 row_shr:2 row_mask:0xf bank_mask:0xf
	v_cndmask_b32_e64 v9, 0, v9, s[12:13]
	v_add_u32_e32 v8, v8, v9
	;; [unrolled: 4-line block ×4, first 2 shown]
	s_nop 1
	v_mov_b32_dpp v9, v8 row_bcast:15 row_mask:0xf bank_mask:0xf
	v_cndmask_b32_e64 v9, v9, 0, s[6:7]
	v_add_u32_e32 v8, v8, v9
	s_nop 1
	v_mov_b32_dpp v9, v8 row_bcast:31 row_mask:0xf bank_mask:0xf
	v_cndmask_b32_e64 v9, 0, v9, s[2:3]
	v_add_u32_e32 v8, v8, v9
	s_and_saveexec_b64 s[2:3], s[4:5]
	s_cbranch_execz .LBB3317_70
; %bb.69:
	v_lshlrev_b32_e32 v9, 2, v31
	ds_write_b32 v9, v8
.LBB3317_70:
	s_or_b64 exec, exec, s[2:3]
	v_cmp_gt_u32_e32 vcc, 4, v0
	s_waitcnt lgkmcnt(0)
	s_barrier
	s_and_saveexec_b64 s[2:3], vcc
	s_cbranch_execz .LBB3317_72
; %bb.71:
	v_mad_i32_i24 v9, v0, -3, v30
	ds_read_b32 v12, v9
	v_and_b32_e32 v13, 3, v29
	v_cmp_ne_u32_e32 vcc, 0, v13
	s_waitcnt lgkmcnt(0)
	v_mov_b32_dpp v14, v12 row_shr:1 row_mask:0xf bank_mask:0xf
	v_cndmask_b32_e32 v14, 0, v14, vcc
	v_add_u32_e32 v12, v14, v12
	v_cmp_lt_u32_e32 vcc, 1, v13
	s_nop 0
	v_mov_b32_dpp v14, v12 row_shr:2 row_mask:0xf bank_mask:0xf
	v_cndmask_b32_e32 v13, 0, v14, vcc
	v_add_u32_e32 v12, v12, v13
	ds_write_b32 v9, v12
.LBB3317_72:
	s_or_b64 exec, exec, s[2:3]
	v_cmp_lt_u32_e32 vcc, 63, v0
	v_mov_b32_e32 v9, 0
	v_mov_b32_e32 v12, 0
	s_waitcnt lgkmcnt(0)
	s_barrier
	s_and_saveexec_b64 s[2:3], vcc
	s_cbranch_execz .LBB3317_74
; %bb.73:
	v_lshl_add_u32 v12, v31, 2, -4
	ds_read_b32 v12, v12
.LBB3317_74:
	s_or_b64 exec, exec, s[2:3]
	v_add_u32_e32 v13, -1, v29
	v_and_b32_e32 v14, 64, v29
	v_cmp_lt_i32_e32 vcc, v13, v14
	v_cndmask_b32_e32 v13, v13, v29, vcc
	s_waitcnt lgkmcnt(0)
	v_add_u32_e32 v8, v12, v8
	v_lshlrev_b32_e32 v13, 2, v13
	ds_bpermute_b32 v13, v13, v8
	ds_read_b32 v8, v9 offset:12
	s_and_saveexec_b64 s[2:3], s[0:1]
	s_cbranch_execz .LBB3317_76
; %bb.75:
	v_mov_b32_e32 v14, 0
	v_mov_b32_e32 v9, 2
	s_waitcnt lgkmcnt(0)
	global_store_dwordx2 v14, v[8:9], s[26:27] offset:512
.LBB3317_76:
	s_or_b64 exec, exec, s[2:3]
	v_cmp_eq_u32_e32 vcc, 0, v29
	s_waitcnt lgkmcnt(1)
	v_cndmask_b32_e32 v9, v13, v12, vcc
	v_cndmask_b32_e64 v19, v9, 0, s[0:1]
	v_add_u32_e32 v18, v19, v28
	v_add_u32_e32 v17, v18, v27
	;; [unrolled: 1-line block ×5, first 2 shown]
	v_mov_b32_e32 v12, 0
	v_add_u32_e32 v13, v14, v23
	s_waitcnt lgkmcnt(0)
	s_barrier
.LBB3317_77:
	v_add_u32_e32 v9, v8, v21
	v_sub_u32_e32 v19, v19, v12
	v_sub_u32_e32 v21, v9, v19
	v_cmp_eq_u32_e32 vcc, 1, v28
	v_cndmask_b32_e32 v19, v21, v19, vcc
	v_lshlrev_b32_e32 v19, 2, v19
	ds_write_b32 v19, v6
	v_sub_u32_e32 v6, v18, v12
	v_sub_u32_e32 v18, v9, v6
	v_add_u32_e32 v18, 1, v18
	v_cmp_eq_u32_e32 vcc, 1, v27
	v_cndmask_b32_e32 v6, v18, v6, vcc
	v_lshlrev_b32_e32 v6, 2, v6
	ds_write_b32 v6, v7
	v_sub_u32_e32 v6, v17, v12
	v_sub_u32_e32 v7, v9, v6
	v_add_u32_e32 v7, 2, v7
	;; [unrolled: 7-line block ×6, first 2 shown]
	v_cmp_eq_u32_e32 vcc, 1, v22
	v_cndmask_b32_e32 v2, v3, v2, vcc
	v_lshlrev_b32_e32 v2, 2, v2
	ds_write_b32 v2, v20
	s_waitcnt lgkmcnt(0)
	s_barrier
	ds_read2st64_b32 v[14:15], v1 offset1:4
	ds_read2st64_b32 v[6:7], v1 offset0:8 offset1:12
	ds_read2st64_b32 v[2:3], v1 offset0:16 offset1:20
	ds_read_b32 v9, v1 offset:6144
	v_or_b32_e32 v23, 0x100, v0
	v_or_b32_e32 v22, 0x200, v0
	;; [unrolled: 1-line block ×6, first 2 shown]
	s_andn2_b64 vcc, exec, s[22:23]
	s_waitcnt vmcnt(0)
	v_lshlrev_b64 v[16:17], 2, v[10:11]
	s_cbranch_vccnz .LBB3317_86
; %bb.78:
	v_mov_b32_e32 v13, 0
	v_mov_b32_e32 v4, s25
	v_add_co_u32_e32 v24, vcc, s24, v16
	v_addc_co_u32_e32 v25, vcc, v4, v17, vcc
	v_lshlrev_b64 v[4:5], 2, v[12:13]
	v_add_co_u32_e32 v4, vcc, v24, v4
	v_addc_co_u32_e32 v5, vcc, v25, v5, vcc
	v_cmp_gt_u32_e32 vcc, v8, v0
	s_and_saveexec_b64 s[2:3], vcc
	s_cbranch_execnz .LBB3317_100
; %bb.79:
	s_or_b64 exec, exec, s[2:3]
	v_cmp_lt_u32_e32 vcc, v23, v8
	s_and_saveexec_b64 s[2:3], vcc
	s_cbranch_execnz .LBB3317_101
.LBB3317_80:
	s_or_b64 exec, exec, s[2:3]
	v_cmp_lt_u32_e32 vcc, v22, v8
	s_and_saveexec_b64 s[2:3], vcc
	s_cbranch_execnz .LBB3317_102
.LBB3317_81:
	s_or_b64 exec, exec, s[2:3]
	v_cmp_lt_u32_e32 vcc, v21, v8
	s_and_saveexec_b64 s[2:3], vcc
	s_cbranch_execnz .LBB3317_103
.LBB3317_82:
	s_or_b64 exec, exec, s[2:3]
	v_cmp_lt_u32_e32 vcc, v20, v8
	s_and_saveexec_b64 s[2:3], vcc
	s_cbranch_execnz .LBB3317_104
.LBB3317_83:
	s_or_b64 exec, exec, s[2:3]
	v_cmp_lt_u32_e32 vcc, v19, v8
	s_and_saveexec_b64 s[2:3], vcc
	s_cbranch_execz .LBB3317_85
.LBB3317_84:
	v_lshlrev_b32_e32 v13, 2, v19
	v_readfirstlane_b32 s4, v4
	v_readfirstlane_b32 s5, v5
	s_waitcnt lgkmcnt(1)
	s_nop 3
	global_store_dword v13, v3, s[4:5]
.LBB3317_85:
	s_or_b64 exec, exec, s[2:3]
	v_cmp_lt_u32_e64 s[2:3], v18, v8
	s_branch .LBB3317_95
.LBB3317_86:
	s_mov_b64 s[2:3], 0
                                        ; implicit-def: $vgpr4_vgpr5
	s_cbranch_execz .LBB3317_95
; %bb.87:
	v_mov_b32_e32 v13, 0
	v_mov_b32_e32 v4, s25
	v_add_co_u32_e32 v16, vcc, s24, v16
	v_addc_co_u32_e32 v17, vcc, v4, v17, vcc
	v_lshlrev_b64 v[4:5], 2, v[12:13]
	v_add_co_u32_e32 v4, vcc, v16, v4
	v_min_u32_e32 v24, s33, v8
	v_addc_co_u32_e32 v5, vcc, v17, v5, vcc
	v_cmp_gt_u32_e32 vcc, v24, v0
	s_and_saveexec_b64 s[2:3], vcc
	s_cbranch_execnz .LBB3317_105
; %bb.88:
	s_or_b64 exec, exec, s[2:3]
	v_cmp_lt_u32_e32 vcc, v23, v24
	s_and_saveexec_b64 s[2:3], vcc
	s_cbranch_execnz .LBB3317_106
.LBB3317_89:
	s_or_b64 exec, exec, s[2:3]
	v_cmp_lt_u32_e32 vcc, v22, v24
	s_and_saveexec_b64 s[2:3], vcc
	s_cbranch_execnz .LBB3317_107
.LBB3317_90:
	s_or_b64 exec, exec, s[2:3]
	v_cmp_lt_u32_e32 vcc, v21, v24
	s_and_saveexec_b64 s[2:3], vcc
	s_cbranch_execnz .LBB3317_108
.LBB3317_91:
	s_or_b64 exec, exec, s[2:3]
	v_cmp_lt_u32_e32 vcc, v20, v24
	s_and_saveexec_b64 s[2:3], vcc
	s_cbranch_execnz .LBB3317_109
.LBB3317_92:
	s_or_b64 exec, exec, s[2:3]
	v_cmp_lt_u32_e32 vcc, v19, v24
	s_and_saveexec_b64 s[2:3], vcc
	s_cbranch_execz .LBB3317_94
.LBB3317_93:
	v_lshlrev_b32_e32 v0, 2, v19
	v_readfirstlane_b32 s4, v4
	v_readfirstlane_b32 s5, v5
	s_waitcnt lgkmcnt(1)
	s_nop 3
	global_store_dword v0, v3, s[4:5]
.LBB3317_94:
	s_or_b64 exec, exec, s[2:3]
	v_cmp_lt_u32_e64 s[2:3], v18, v24
.LBB3317_95:
	s_and_saveexec_b64 s[4:5], s[2:3]
	s_cbranch_execnz .LBB3317_98
; %bb.96:
	s_or_b64 exec, exec, s[4:5]
	s_and_b64 s[0:1], s[0:1], s[18:19]
	s_and_saveexec_b64 s[2:3], s[0:1]
	s_cbranch_execnz .LBB3317_99
.LBB3317_97:
	s_endpgm
.LBB3317_98:
	v_lshlrev_b32_e32 v0, 2, v18
	v_readfirstlane_b32 s2, v4
	v_readfirstlane_b32 s3, v5
	s_waitcnt lgkmcnt(0)
	s_nop 3
	global_store_dword v0, v9, s[2:3]
	s_or_b64 exec, exec, s[4:5]
	s_and_b64 s[0:1], s[0:1], s[18:19]
	s_and_saveexec_b64 s[2:3], s[0:1]
	s_cbranch_execz .LBB3317_97
.LBB3317_99:
	v_add_co_u32_e32 v0, vcc, v10, v8
	v_addc_co_u32_e32 v1, vcc, 0, v11, vcc
	v_add_co_u32_e32 v0, vcc, v0, v12
	s_waitcnt lgkmcnt(1)
	v_mov_b32_e32 v2, 0
	v_addc_co_u32_e32 v1, vcc, 0, v1, vcc
	global_store_dwordx2 v2, v[0:1], s[20:21]
	s_endpgm
.LBB3317_100:
	v_readfirstlane_b32 s4, v4
	v_readfirstlane_b32 s5, v5
	s_waitcnt lgkmcnt(3)
	s_nop 3
	global_store_dword v1, v14, s[4:5]
	s_or_b64 exec, exec, s[2:3]
	v_cmp_lt_u32_e32 vcc, v23, v8
	s_and_saveexec_b64 s[2:3], vcc
	s_cbranch_execz .LBB3317_80
.LBB3317_101:
	v_readfirstlane_b32 s4, v4
	v_readfirstlane_b32 s5, v5
	s_waitcnt lgkmcnt(3)
	s_nop 3
	global_store_dword v1, v15, s[4:5] offset:1024
	s_or_b64 exec, exec, s[2:3]
	v_cmp_lt_u32_e32 vcc, v22, v8
	s_and_saveexec_b64 s[2:3], vcc
	s_cbranch_execz .LBB3317_81
.LBB3317_102:
	v_readfirstlane_b32 s4, v4
	v_readfirstlane_b32 s5, v5
	s_waitcnt lgkmcnt(2)
	s_nop 3
	global_store_dword v1, v6, s[4:5] offset:2048
	s_or_b64 exec, exec, s[2:3]
	v_cmp_lt_u32_e32 vcc, v21, v8
	s_and_saveexec_b64 s[2:3], vcc
	s_cbranch_execz .LBB3317_82
.LBB3317_103:
	v_readfirstlane_b32 s4, v4
	v_readfirstlane_b32 s5, v5
	s_waitcnt lgkmcnt(2)
	s_nop 3
	global_store_dword v1, v7, s[4:5] offset:3072
	s_or_b64 exec, exec, s[2:3]
	v_cmp_lt_u32_e32 vcc, v20, v8
	s_and_saveexec_b64 s[2:3], vcc
	s_cbranch_execz .LBB3317_83
.LBB3317_104:
	v_lshlrev_b32_e32 v13, 2, v20
	v_readfirstlane_b32 s4, v4
	v_readfirstlane_b32 s5, v5
	s_waitcnt lgkmcnt(1)
	s_nop 3
	global_store_dword v13, v2, s[4:5]
	s_or_b64 exec, exec, s[2:3]
	v_cmp_lt_u32_e32 vcc, v19, v8
	s_and_saveexec_b64 s[2:3], vcc
	s_cbranch_execnz .LBB3317_84
	s_branch .LBB3317_85
.LBB3317_105:
	v_readfirstlane_b32 s4, v4
	v_readfirstlane_b32 s5, v5
	s_waitcnt lgkmcnt(3)
	s_nop 3
	global_store_dword v1, v14, s[4:5]
	s_or_b64 exec, exec, s[2:3]
	v_cmp_lt_u32_e32 vcc, v23, v24
	s_and_saveexec_b64 s[2:3], vcc
	s_cbranch_execz .LBB3317_89
.LBB3317_106:
	v_readfirstlane_b32 s4, v4
	v_readfirstlane_b32 s5, v5
	s_waitcnt lgkmcnt(3)
	s_nop 3
	global_store_dword v1, v15, s[4:5] offset:1024
	s_or_b64 exec, exec, s[2:3]
	v_cmp_lt_u32_e32 vcc, v22, v24
	s_and_saveexec_b64 s[2:3], vcc
	s_cbranch_execz .LBB3317_90
.LBB3317_107:
	v_readfirstlane_b32 s4, v4
	v_readfirstlane_b32 s5, v5
	s_waitcnt lgkmcnt(2)
	s_nop 3
	global_store_dword v1, v6, s[4:5] offset:2048
	s_or_b64 exec, exec, s[2:3]
	v_cmp_lt_u32_e32 vcc, v21, v24
	s_and_saveexec_b64 s[2:3], vcc
	s_cbranch_execz .LBB3317_91
.LBB3317_108:
	v_readfirstlane_b32 s4, v4
	v_readfirstlane_b32 s5, v5
	s_waitcnt lgkmcnt(2)
	s_nop 3
	global_store_dword v1, v7, s[4:5] offset:3072
	s_or_b64 exec, exec, s[2:3]
	v_cmp_lt_u32_e32 vcc, v20, v24
	s_and_saveexec_b64 s[2:3], vcc
	s_cbranch_execz .LBB3317_92
.LBB3317_109:
	v_lshlrev_b32_e32 v0, 2, v20
	v_readfirstlane_b32 s4, v4
	v_readfirstlane_b32 s5, v5
	s_waitcnt lgkmcnt(1)
	s_nop 3
	global_store_dword v0, v2, s[4:5]
	s_or_b64 exec, exec, s[2:3]
	v_cmp_lt_u32_e32 vcc, v19, v24
	s_and_saveexec_b64 s[2:3], vcc
	s_cbranch_execnz .LBB3317_93
	s_branch .LBB3317_94
	.section	.rodata,"a",@progbits
	.p2align	6, 0x0
	.amdhsa_kernel _ZN7rocprim17ROCPRIM_400000_NS6detail17trampoline_kernelINS0_14default_configENS1_25partition_config_selectorILNS1_17partition_subalgoE1EiNS0_10empty_typeEbEEZZNS1_14partition_implILS5_1ELb0ES3_jN6thrust23THRUST_200600_302600_NS6detail15normal_iteratorINSA_10device_ptrIiEEEEPS6_NSA_18transform_iteratorI7is_evenIiESF_NSA_11use_defaultESK_EENS0_5tupleIJSF_NSA_16discard_iteratorISK_EEEEENSM_IJSG_SG_EEES6_PlJS6_EEE10hipError_tPvRmT3_T4_T5_T6_T7_T9_mT8_P12ihipStream_tbDpT10_ENKUlT_T0_E_clISt17integral_constantIbLb0EES1A_IbLb1EEEEDaS16_S17_EUlS16_E_NS1_11comp_targetILNS1_3genE4ELNS1_11target_archE910ELNS1_3gpuE8ELNS1_3repE0EEENS1_30default_config_static_selectorELNS0_4arch9wavefront6targetE1EEEvT1_
		.amdhsa_group_segment_fixed_size 7176
		.amdhsa_private_segment_fixed_size 0
		.amdhsa_kernarg_size 152
		.amdhsa_user_sgpr_count 6
		.amdhsa_user_sgpr_private_segment_buffer 1
		.amdhsa_user_sgpr_dispatch_ptr 0
		.amdhsa_user_sgpr_queue_ptr 0
		.amdhsa_user_sgpr_kernarg_segment_ptr 1
		.amdhsa_user_sgpr_dispatch_id 0
		.amdhsa_user_sgpr_flat_scratch_init 0
		.amdhsa_user_sgpr_kernarg_preload_length 0
		.amdhsa_user_sgpr_kernarg_preload_offset 0
		.amdhsa_user_sgpr_private_segment_size 0
		.amdhsa_uses_dynamic_stack 0
		.amdhsa_system_sgpr_private_segment_wavefront_offset 0
		.amdhsa_system_sgpr_workgroup_id_x 1
		.amdhsa_system_sgpr_workgroup_id_y 0
		.amdhsa_system_sgpr_workgroup_id_z 0
		.amdhsa_system_sgpr_workgroup_info 0
		.amdhsa_system_vgpr_workitem_id 0
		.amdhsa_next_free_vgpr 49
		.amdhsa_next_free_sgpr 40
		.amdhsa_accum_offset 52
		.amdhsa_reserve_vcc 1
		.amdhsa_reserve_flat_scratch 0
		.amdhsa_float_round_mode_32 0
		.amdhsa_float_round_mode_16_64 0
		.amdhsa_float_denorm_mode_32 3
		.amdhsa_float_denorm_mode_16_64 3
		.amdhsa_dx10_clamp 1
		.amdhsa_ieee_mode 1
		.amdhsa_fp16_overflow 0
		.amdhsa_tg_split 0
		.amdhsa_exception_fp_ieee_invalid_op 0
		.amdhsa_exception_fp_denorm_src 0
		.amdhsa_exception_fp_ieee_div_zero 0
		.amdhsa_exception_fp_ieee_overflow 0
		.amdhsa_exception_fp_ieee_underflow 0
		.amdhsa_exception_fp_ieee_inexact 0
		.amdhsa_exception_int_div_zero 0
	.end_amdhsa_kernel
	.section	.text._ZN7rocprim17ROCPRIM_400000_NS6detail17trampoline_kernelINS0_14default_configENS1_25partition_config_selectorILNS1_17partition_subalgoE1EiNS0_10empty_typeEbEEZZNS1_14partition_implILS5_1ELb0ES3_jN6thrust23THRUST_200600_302600_NS6detail15normal_iteratorINSA_10device_ptrIiEEEEPS6_NSA_18transform_iteratorI7is_evenIiESF_NSA_11use_defaultESK_EENS0_5tupleIJSF_NSA_16discard_iteratorISK_EEEEENSM_IJSG_SG_EEES6_PlJS6_EEE10hipError_tPvRmT3_T4_T5_T6_T7_T9_mT8_P12ihipStream_tbDpT10_ENKUlT_T0_E_clISt17integral_constantIbLb0EES1A_IbLb1EEEEDaS16_S17_EUlS16_E_NS1_11comp_targetILNS1_3genE4ELNS1_11target_archE910ELNS1_3gpuE8ELNS1_3repE0EEENS1_30default_config_static_selectorELNS0_4arch9wavefront6targetE1EEEvT1_,"axG",@progbits,_ZN7rocprim17ROCPRIM_400000_NS6detail17trampoline_kernelINS0_14default_configENS1_25partition_config_selectorILNS1_17partition_subalgoE1EiNS0_10empty_typeEbEEZZNS1_14partition_implILS5_1ELb0ES3_jN6thrust23THRUST_200600_302600_NS6detail15normal_iteratorINSA_10device_ptrIiEEEEPS6_NSA_18transform_iteratorI7is_evenIiESF_NSA_11use_defaultESK_EENS0_5tupleIJSF_NSA_16discard_iteratorISK_EEEEENSM_IJSG_SG_EEES6_PlJS6_EEE10hipError_tPvRmT3_T4_T5_T6_T7_T9_mT8_P12ihipStream_tbDpT10_ENKUlT_T0_E_clISt17integral_constantIbLb0EES1A_IbLb1EEEEDaS16_S17_EUlS16_E_NS1_11comp_targetILNS1_3genE4ELNS1_11target_archE910ELNS1_3gpuE8ELNS1_3repE0EEENS1_30default_config_static_selectorELNS0_4arch9wavefront6targetE1EEEvT1_,comdat
.Lfunc_end3317:
	.size	_ZN7rocprim17ROCPRIM_400000_NS6detail17trampoline_kernelINS0_14default_configENS1_25partition_config_selectorILNS1_17partition_subalgoE1EiNS0_10empty_typeEbEEZZNS1_14partition_implILS5_1ELb0ES3_jN6thrust23THRUST_200600_302600_NS6detail15normal_iteratorINSA_10device_ptrIiEEEEPS6_NSA_18transform_iteratorI7is_evenIiESF_NSA_11use_defaultESK_EENS0_5tupleIJSF_NSA_16discard_iteratorISK_EEEEENSM_IJSG_SG_EEES6_PlJS6_EEE10hipError_tPvRmT3_T4_T5_T6_T7_T9_mT8_P12ihipStream_tbDpT10_ENKUlT_T0_E_clISt17integral_constantIbLb0EES1A_IbLb1EEEEDaS16_S17_EUlS16_E_NS1_11comp_targetILNS1_3genE4ELNS1_11target_archE910ELNS1_3gpuE8ELNS1_3repE0EEENS1_30default_config_static_selectorELNS0_4arch9wavefront6targetE1EEEvT1_, .Lfunc_end3317-_ZN7rocprim17ROCPRIM_400000_NS6detail17trampoline_kernelINS0_14default_configENS1_25partition_config_selectorILNS1_17partition_subalgoE1EiNS0_10empty_typeEbEEZZNS1_14partition_implILS5_1ELb0ES3_jN6thrust23THRUST_200600_302600_NS6detail15normal_iteratorINSA_10device_ptrIiEEEEPS6_NSA_18transform_iteratorI7is_evenIiESF_NSA_11use_defaultESK_EENS0_5tupleIJSF_NSA_16discard_iteratorISK_EEEEENSM_IJSG_SG_EEES6_PlJS6_EEE10hipError_tPvRmT3_T4_T5_T6_T7_T9_mT8_P12ihipStream_tbDpT10_ENKUlT_T0_E_clISt17integral_constantIbLb0EES1A_IbLb1EEEEDaS16_S17_EUlS16_E_NS1_11comp_targetILNS1_3genE4ELNS1_11target_archE910ELNS1_3gpuE8ELNS1_3repE0EEENS1_30default_config_static_selectorELNS0_4arch9wavefront6targetE1EEEvT1_
                                        ; -- End function
	.section	.AMDGPU.csdata,"",@progbits
; Kernel info:
; codeLenInByte = 4836
; NumSgprs: 44
; NumVgprs: 49
; NumAgprs: 0
; TotalNumVgprs: 49
; ScratchSize: 0
; MemoryBound: 0
; FloatMode: 240
; IeeeMode: 1
; LDSByteSize: 7176 bytes/workgroup (compile time only)
; SGPRBlocks: 5
; VGPRBlocks: 6
; NumSGPRsForWavesPerEU: 44
; NumVGPRsForWavesPerEU: 49
; AccumOffset: 52
; Occupancy: 8
; WaveLimiterHint : 1
; COMPUTE_PGM_RSRC2:SCRATCH_EN: 0
; COMPUTE_PGM_RSRC2:USER_SGPR: 6
; COMPUTE_PGM_RSRC2:TRAP_HANDLER: 0
; COMPUTE_PGM_RSRC2:TGID_X_EN: 1
; COMPUTE_PGM_RSRC2:TGID_Y_EN: 0
; COMPUTE_PGM_RSRC2:TGID_Z_EN: 0
; COMPUTE_PGM_RSRC2:TIDIG_COMP_CNT: 0
; COMPUTE_PGM_RSRC3_GFX90A:ACCUM_OFFSET: 12
; COMPUTE_PGM_RSRC3_GFX90A:TG_SPLIT: 0
	.section	.text._ZN7rocprim17ROCPRIM_400000_NS6detail17trampoline_kernelINS0_14default_configENS1_25partition_config_selectorILNS1_17partition_subalgoE1EiNS0_10empty_typeEbEEZZNS1_14partition_implILS5_1ELb0ES3_jN6thrust23THRUST_200600_302600_NS6detail15normal_iteratorINSA_10device_ptrIiEEEEPS6_NSA_18transform_iteratorI7is_evenIiESF_NSA_11use_defaultESK_EENS0_5tupleIJSF_NSA_16discard_iteratorISK_EEEEENSM_IJSG_SG_EEES6_PlJS6_EEE10hipError_tPvRmT3_T4_T5_T6_T7_T9_mT8_P12ihipStream_tbDpT10_ENKUlT_T0_E_clISt17integral_constantIbLb0EES1A_IbLb1EEEEDaS16_S17_EUlS16_E_NS1_11comp_targetILNS1_3genE3ELNS1_11target_archE908ELNS1_3gpuE7ELNS1_3repE0EEENS1_30default_config_static_selectorELNS0_4arch9wavefront6targetE1EEEvT1_,"axG",@progbits,_ZN7rocprim17ROCPRIM_400000_NS6detail17trampoline_kernelINS0_14default_configENS1_25partition_config_selectorILNS1_17partition_subalgoE1EiNS0_10empty_typeEbEEZZNS1_14partition_implILS5_1ELb0ES3_jN6thrust23THRUST_200600_302600_NS6detail15normal_iteratorINSA_10device_ptrIiEEEEPS6_NSA_18transform_iteratorI7is_evenIiESF_NSA_11use_defaultESK_EENS0_5tupleIJSF_NSA_16discard_iteratorISK_EEEEENSM_IJSG_SG_EEES6_PlJS6_EEE10hipError_tPvRmT3_T4_T5_T6_T7_T9_mT8_P12ihipStream_tbDpT10_ENKUlT_T0_E_clISt17integral_constantIbLb0EES1A_IbLb1EEEEDaS16_S17_EUlS16_E_NS1_11comp_targetILNS1_3genE3ELNS1_11target_archE908ELNS1_3gpuE7ELNS1_3repE0EEENS1_30default_config_static_selectorELNS0_4arch9wavefront6targetE1EEEvT1_,comdat
	.protected	_ZN7rocprim17ROCPRIM_400000_NS6detail17trampoline_kernelINS0_14default_configENS1_25partition_config_selectorILNS1_17partition_subalgoE1EiNS0_10empty_typeEbEEZZNS1_14partition_implILS5_1ELb0ES3_jN6thrust23THRUST_200600_302600_NS6detail15normal_iteratorINSA_10device_ptrIiEEEEPS6_NSA_18transform_iteratorI7is_evenIiESF_NSA_11use_defaultESK_EENS0_5tupleIJSF_NSA_16discard_iteratorISK_EEEEENSM_IJSG_SG_EEES6_PlJS6_EEE10hipError_tPvRmT3_T4_T5_T6_T7_T9_mT8_P12ihipStream_tbDpT10_ENKUlT_T0_E_clISt17integral_constantIbLb0EES1A_IbLb1EEEEDaS16_S17_EUlS16_E_NS1_11comp_targetILNS1_3genE3ELNS1_11target_archE908ELNS1_3gpuE7ELNS1_3repE0EEENS1_30default_config_static_selectorELNS0_4arch9wavefront6targetE1EEEvT1_ ; -- Begin function _ZN7rocprim17ROCPRIM_400000_NS6detail17trampoline_kernelINS0_14default_configENS1_25partition_config_selectorILNS1_17partition_subalgoE1EiNS0_10empty_typeEbEEZZNS1_14partition_implILS5_1ELb0ES3_jN6thrust23THRUST_200600_302600_NS6detail15normal_iteratorINSA_10device_ptrIiEEEEPS6_NSA_18transform_iteratorI7is_evenIiESF_NSA_11use_defaultESK_EENS0_5tupleIJSF_NSA_16discard_iteratorISK_EEEEENSM_IJSG_SG_EEES6_PlJS6_EEE10hipError_tPvRmT3_T4_T5_T6_T7_T9_mT8_P12ihipStream_tbDpT10_ENKUlT_T0_E_clISt17integral_constantIbLb0EES1A_IbLb1EEEEDaS16_S17_EUlS16_E_NS1_11comp_targetILNS1_3genE3ELNS1_11target_archE908ELNS1_3gpuE7ELNS1_3repE0EEENS1_30default_config_static_selectorELNS0_4arch9wavefront6targetE1EEEvT1_
	.globl	_ZN7rocprim17ROCPRIM_400000_NS6detail17trampoline_kernelINS0_14default_configENS1_25partition_config_selectorILNS1_17partition_subalgoE1EiNS0_10empty_typeEbEEZZNS1_14partition_implILS5_1ELb0ES3_jN6thrust23THRUST_200600_302600_NS6detail15normal_iteratorINSA_10device_ptrIiEEEEPS6_NSA_18transform_iteratorI7is_evenIiESF_NSA_11use_defaultESK_EENS0_5tupleIJSF_NSA_16discard_iteratorISK_EEEEENSM_IJSG_SG_EEES6_PlJS6_EEE10hipError_tPvRmT3_T4_T5_T6_T7_T9_mT8_P12ihipStream_tbDpT10_ENKUlT_T0_E_clISt17integral_constantIbLb0EES1A_IbLb1EEEEDaS16_S17_EUlS16_E_NS1_11comp_targetILNS1_3genE3ELNS1_11target_archE908ELNS1_3gpuE7ELNS1_3repE0EEENS1_30default_config_static_selectorELNS0_4arch9wavefront6targetE1EEEvT1_
	.p2align	8
	.type	_ZN7rocprim17ROCPRIM_400000_NS6detail17trampoline_kernelINS0_14default_configENS1_25partition_config_selectorILNS1_17partition_subalgoE1EiNS0_10empty_typeEbEEZZNS1_14partition_implILS5_1ELb0ES3_jN6thrust23THRUST_200600_302600_NS6detail15normal_iteratorINSA_10device_ptrIiEEEEPS6_NSA_18transform_iteratorI7is_evenIiESF_NSA_11use_defaultESK_EENS0_5tupleIJSF_NSA_16discard_iteratorISK_EEEEENSM_IJSG_SG_EEES6_PlJS6_EEE10hipError_tPvRmT3_T4_T5_T6_T7_T9_mT8_P12ihipStream_tbDpT10_ENKUlT_T0_E_clISt17integral_constantIbLb0EES1A_IbLb1EEEEDaS16_S17_EUlS16_E_NS1_11comp_targetILNS1_3genE3ELNS1_11target_archE908ELNS1_3gpuE7ELNS1_3repE0EEENS1_30default_config_static_selectorELNS0_4arch9wavefront6targetE1EEEvT1_,@function
_ZN7rocprim17ROCPRIM_400000_NS6detail17trampoline_kernelINS0_14default_configENS1_25partition_config_selectorILNS1_17partition_subalgoE1EiNS0_10empty_typeEbEEZZNS1_14partition_implILS5_1ELb0ES3_jN6thrust23THRUST_200600_302600_NS6detail15normal_iteratorINSA_10device_ptrIiEEEEPS6_NSA_18transform_iteratorI7is_evenIiESF_NSA_11use_defaultESK_EENS0_5tupleIJSF_NSA_16discard_iteratorISK_EEEEENSM_IJSG_SG_EEES6_PlJS6_EEE10hipError_tPvRmT3_T4_T5_T6_T7_T9_mT8_P12ihipStream_tbDpT10_ENKUlT_T0_E_clISt17integral_constantIbLb0EES1A_IbLb1EEEEDaS16_S17_EUlS16_E_NS1_11comp_targetILNS1_3genE3ELNS1_11target_archE908ELNS1_3gpuE7ELNS1_3repE0EEENS1_30default_config_static_selectorELNS0_4arch9wavefront6targetE1EEEvT1_: ; @_ZN7rocprim17ROCPRIM_400000_NS6detail17trampoline_kernelINS0_14default_configENS1_25partition_config_selectorILNS1_17partition_subalgoE1EiNS0_10empty_typeEbEEZZNS1_14partition_implILS5_1ELb0ES3_jN6thrust23THRUST_200600_302600_NS6detail15normal_iteratorINSA_10device_ptrIiEEEEPS6_NSA_18transform_iteratorI7is_evenIiESF_NSA_11use_defaultESK_EENS0_5tupleIJSF_NSA_16discard_iteratorISK_EEEEENSM_IJSG_SG_EEES6_PlJS6_EEE10hipError_tPvRmT3_T4_T5_T6_T7_T9_mT8_P12ihipStream_tbDpT10_ENKUlT_T0_E_clISt17integral_constantIbLb0EES1A_IbLb1EEEEDaS16_S17_EUlS16_E_NS1_11comp_targetILNS1_3genE3ELNS1_11target_archE908ELNS1_3gpuE7ELNS1_3repE0EEENS1_30default_config_static_selectorELNS0_4arch9wavefront6targetE1EEEvT1_
; %bb.0:
	.section	.rodata,"a",@progbits
	.p2align	6, 0x0
	.amdhsa_kernel _ZN7rocprim17ROCPRIM_400000_NS6detail17trampoline_kernelINS0_14default_configENS1_25partition_config_selectorILNS1_17partition_subalgoE1EiNS0_10empty_typeEbEEZZNS1_14partition_implILS5_1ELb0ES3_jN6thrust23THRUST_200600_302600_NS6detail15normal_iteratorINSA_10device_ptrIiEEEEPS6_NSA_18transform_iteratorI7is_evenIiESF_NSA_11use_defaultESK_EENS0_5tupleIJSF_NSA_16discard_iteratorISK_EEEEENSM_IJSG_SG_EEES6_PlJS6_EEE10hipError_tPvRmT3_T4_T5_T6_T7_T9_mT8_P12ihipStream_tbDpT10_ENKUlT_T0_E_clISt17integral_constantIbLb0EES1A_IbLb1EEEEDaS16_S17_EUlS16_E_NS1_11comp_targetILNS1_3genE3ELNS1_11target_archE908ELNS1_3gpuE7ELNS1_3repE0EEENS1_30default_config_static_selectorELNS0_4arch9wavefront6targetE1EEEvT1_
		.amdhsa_group_segment_fixed_size 0
		.amdhsa_private_segment_fixed_size 0
		.amdhsa_kernarg_size 152
		.amdhsa_user_sgpr_count 6
		.amdhsa_user_sgpr_private_segment_buffer 1
		.amdhsa_user_sgpr_dispatch_ptr 0
		.amdhsa_user_sgpr_queue_ptr 0
		.amdhsa_user_sgpr_kernarg_segment_ptr 1
		.amdhsa_user_sgpr_dispatch_id 0
		.amdhsa_user_sgpr_flat_scratch_init 0
		.amdhsa_user_sgpr_kernarg_preload_length 0
		.amdhsa_user_sgpr_kernarg_preload_offset 0
		.amdhsa_user_sgpr_private_segment_size 0
		.amdhsa_uses_dynamic_stack 0
		.amdhsa_system_sgpr_private_segment_wavefront_offset 0
		.amdhsa_system_sgpr_workgroup_id_x 1
		.amdhsa_system_sgpr_workgroup_id_y 0
		.amdhsa_system_sgpr_workgroup_id_z 0
		.amdhsa_system_sgpr_workgroup_info 0
		.amdhsa_system_vgpr_workitem_id 0
		.amdhsa_next_free_vgpr 1
		.amdhsa_next_free_sgpr 0
		.amdhsa_accum_offset 4
		.amdhsa_reserve_vcc 0
		.amdhsa_reserve_flat_scratch 0
		.amdhsa_float_round_mode_32 0
		.amdhsa_float_round_mode_16_64 0
		.amdhsa_float_denorm_mode_32 3
		.amdhsa_float_denorm_mode_16_64 3
		.amdhsa_dx10_clamp 1
		.amdhsa_ieee_mode 1
		.amdhsa_fp16_overflow 0
		.amdhsa_tg_split 0
		.amdhsa_exception_fp_ieee_invalid_op 0
		.amdhsa_exception_fp_denorm_src 0
		.amdhsa_exception_fp_ieee_div_zero 0
		.amdhsa_exception_fp_ieee_overflow 0
		.amdhsa_exception_fp_ieee_underflow 0
		.amdhsa_exception_fp_ieee_inexact 0
		.amdhsa_exception_int_div_zero 0
	.end_amdhsa_kernel
	.section	.text._ZN7rocprim17ROCPRIM_400000_NS6detail17trampoline_kernelINS0_14default_configENS1_25partition_config_selectorILNS1_17partition_subalgoE1EiNS0_10empty_typeEbEEZZNS1_14partition_implILS5_1ELb0ES3_jN6thrust23THRUST_200600_302600_NS6detail15normal_iteratorINSA_10device_ptrIiEEEEPS6_NSA_18transform_iteratorI7is_evenIiESF_NSA_11use_defaultESK_EENS0_5tupleIJSF_NSA_16discard_iteratorISK_EEEEENSM_IJSG_SG_EEES6_PlJS6_EEE10hipError_tPvRmT3_T4_T5_T6_T7_T9_mT8_P12ihipStream_tbDpT10_ENKUlT_T0_E_clISt17integral_constantIbLb0EES1A_IbLb1EEEEDaS16_S17_EUlS16_E_NS1_11comp_targetILNS1_3genE3ELNS1_11target_archE908ELNS1_3gpuE7ELNS1_3repE0EEENS1_30default_config_static_selectorELNS0_4arch9wavefront6targetE1EEEvT1_,"axG",@progbits,_ZN7rocprim17ROCPRIM_400000_NS6detail17trampoline_kernelINS0_14default_configENS1_25partition_config_selectorILNS1_17partition_subalgoE1EiNS0_10empty_typeEbEEZZNS1_14partition_implILS5_1ELb0ES3_jN6thrust23THRUST_200600_302600_NS6detail15normal_iteratorINSA_10device_ptrIiEEEEPS6_NSA_18transform_iteratorI7is_evenIiESF_NSA_11use_defaultESK_EENS0_5tupleIJSF_NSA_16discard_iteratorISK_EEEEENSM_IJSG_SG_EEES6_PlJS6_EEE10hipError_tPvRmT3_T4_T5_T6_T7_T9_mT8_P12ihipStream_tbDpT10_ENKUlT_T0_E_clISt17integral_constantIbLb0EES1A_IbLb1EEEEDaS16_S17_EUlS16_E_NS1_11comp_targetILNS1_3genE3ELNS1_11target_archE908ELNS1_3gpuE7ELNS1_3repE0EEENS1_30default_config_static_selectorELNS0_4arch9wavefront6targetE1EEEvT1_,comdat
.Lfunc_end3318:
	.size	_ZN7rocprim17ROCPRIM_400000_NS6detail17trampoline_kernelINS0_14default_configENS1_25partition_config_selectorILNS1_17partition_subalgoE1EiNS0_10empty_typeEbEEZZNS1_14partition_implILS5_1ELb0ES3_jN6thrust23THRUST_200600_302600_NS6detail15normal_iteratorINSA_10device_ptrIiEEEEPS6_NSA_18transform_iteratorI7is_evenIiESF_NSA_11use_defaultESK_EENS0_5tupleIJSF_NSA_16discard_iteratorISK_EEEEENSM_IJSG_SG_EEES6_PlJS6_EEE10hipError_tPvRmT3_T4_T5_T6_T7_T9_mT8_P12ihipStream_tbDpT10_ENKUlT_T0_E_clISt17integral_constantIbLb0EES1A_IbLb1EEEEDaS16_S17_EUlS16_E_NS1_11comp_targetILNS1_3genE3ELNS1_11target_archE908ELNS1_3gpuE7ELNS1_3repE0EEENS1_30default_config_static_selectorELNS0_4arch9wavefront6targetE1EEEvT1_, .Lfunc_end3318-_ZN7rocprim17ROCPRIM_400000_NS6detail17trampoline_kernelINS0_14default_configENS1_25partition_config_selectorILNS1_17partition_subalgoE1EiNS0_10empty_typeEbEEZZNS1_14partition_implILS5_1ELb0ES3_jN6thrust23THRUST_200600_302600_NS6detail15normal_iteratorINSA_10device_ptrIiEEEEPS6_NSA_18transform_iteratorI7is_evenIiESF_NSA_11use_defaultESK_EENS0_5tupleIJSF_NSA_16discard_iteratorISK_EEEEENSM_IJSG_SG_EEES6_PlJS6_EEE10hipError_tPvRmT3_T4_T5_T6_T7_T9_mT8_P12ihipStream_tbDpT10_ENKUlT_T0_E_clISt17integral_constantIbLb0EES1A_IbLb1EEEEDaS16_S17_EUlS16_E_NS1_11comp_targetILNS1_3genE3ELNS1_11target_archE908ELNS1_3gpuE7ELNS1_3repE0EEENS1_30default_config_static_selectorELNS0_4arch9wavefront6targetE1EEEvT1_
                                        ; -- End function
	.section	.AMDGPU.csdata,"",@progbits
; Kernel info:
; codeLenInByte = 0
; NumSgprs: 4
; NumVgprs: 0
; NumAgprs: 0
; TotalNumVgprs: 0
; ScratchSize: 0
; MemoryBound: 0
; FloatMode: 240
; IeeeMode: 1
; LDSByteSize: 0 bytes/workgroup (compile time only)
; SGPRBlocks: 0
; VGPRBlocks: 0
; NumSGPRsForWavesPerEU: 4
; NumVGPRsForWavesPerEU: 1
; AccumOffset: 4
; Occupancy: 8
; WaveLimiterHint : 0
; COMPUTE_PGM_RSRC2:SCRATCH_EN: 0
; COMPUTE_PGM_RSRC2:USER_SGPR: 6
; COMPUTE_PGM_RSRC2:TRAP_HANDLER: 0
; COMPUTE_PGM_RSRC2:TGID_X_EN: 1
; COMPUTE_PGM_RSRC2:TGID_Y_EN: 0
; COMPUTE_PGM_RSRC2:TGID_Z_EN: 0
; COMPUTE_PGM_RSRC2:TIDIG_COMP_CNT: 0
; COMPUTE_PGM_RSRC3_GFX90A:ACCUM_OFFSET: 0
; COMPUTE_PGM_RSRC3_GFX90A:TG_SPLIT: 0
	.section	.text._ZN7rocprim17ROCPRIM_400000_NS6detail17trampoline_kernelINS0_14default_configENS1_25partition_config_selectorILNS1_17partition_subalgoE1EiNS0_10empty_typeEbEEZZNS1_14partition_implILS5_1ELb0ES3_jN6thrust23THRUST_200600_302600_NS6detail15normal_iteratorINSA_10device_ptrIiEEEEPS6_NSA_18transform_iteratorI7is_evenIiESF_NSA_11use_defaultESK_EENS0_5tupleIJSF_NSA_16discard_iteratorISK_EEEEENSM_IJSG_SG_EEES6_PlJS6_EEE10hipError_tPvRmT3_T4_T5_T6_T7_T9_mT8_P12ihipStream_tbDpT10_ENKUlT_T0_E_clISt17integral_constantIbLb0EES1A_IbLb1EEEEDaS16_S17_EUlS16_E_NS1_11comp_targetILNS1_3genE2ELNS1_11target_archE906ELNS1_3gpuE6ELNS1_3repE0EEENS1_30default_config_static_selectorELNS0_4arch9wavefront6targetE1EEEvT1_,"axG",@progbits,_ZN7rocprim17ROCPRIM_400000_NS6detail17trampoline_kernelINS0_14default_configENS1_25partition_config_selectorILNS1_17partition_subalgoE1EiNS0_10empty_typeEbEEZZNS1_14partition_implILS5_1ELb0ES3_jN6thrust23THRUST_200600_302600_NS6detail15normal_iteratorINSA_10device_ptrIiEEEEPS6_NSA_18transform_iteratorI7is_evenIiESF_NSA_11use_defaultESK_EENS0_5tupleIJSF_NSA_16discard_iteratorISK_EEEEENSM_IJSG_SG_EEES6_PlJS6_EEE10hipError_tPvRmT3_T4_T5_T6_T7_T9_mT8_P12ihipStream_tbDpT10_ENKUlT_T0_E_clISt17integral_constantIbLb0EES1A_IbLb1EEEEDaS16_S17_EUlS16_E_NS1_11comp_targetILNS1_3genE2ELNS1_11target_archE906ELNS1_3gpuE6ELNS1_3repE0EEENS1_30default_config_static_selectorELNS0_4arch9wavefront6targetE1EEEvT1_,comdat
	.protected	_ZN7rocprim17ROCPRIM_400000_NS6detail17trampoline_kernelINS0_14default_configENS1_25partition_config_selectorILNS1_17partition_subalgoE1EiNS0_10empty_typeEbEEZZNS1_14partition_implILS5_1ELb0ES3_jN6thrust23THRUST_200600_302600_NS6detail15normal_iteratorINSA_10device_ptrIiEEEEPS6_NSA_18transform_iteratorI7is_evenIiESF_NSA_11use_defaultESK_EENS0_5tupleIJSF_NSA_16discard_iteratorISK_EEEEENSM_IJSG_SG_EEES6_PlJS6_EEE10hipError_tPvRmT3_T4_T5_T6_T7_T9_mT8_P12ihipStream_tbDpT10_ENKUlT_T0_E_clISt17integral_constantIbLb0EES1A_IbLb1EEEEDaS16_S17_EUlS16_E_NS1_11comp_targetILNS1_3genE2ELNS1_11target_archE906ELNS1_3gpuE6ELNS1_3repE0EEENS1_30default_config_static_selectorELNS0_4arch9wavefront6targetE1EEEvT1_ ; -- Begin function _ZN7rocprim17ROCPRIM_400000_NS6detail17trampoline_kernelINS0_14default_configENS1_25partition_config_selectorILNS1_17partition_subalgoE1EiNS0_10empty_typeEbEEZZNS1_14partition_implILS5_1ELb0ES3_jN6thrust23THRUST_200600_302600_NS6detail15normal_iteratorINSA_10device_ptrIiEEEEPS6_NSA_18transform_iteratorI7is_evenIiESF_NSA_11use_defaultESK_EENS0_5tupleIJSF_NSA_16discard_iteratorISK_EEEEENSM_IJSG_SG_EEES6_PlJS6_EEE10hipError_tPvRmT3_T4_T5_T6_T7_T9_mT8_P12ihipStream_tbDpT10_ENKUlT_T0_E_clISt17integral_constantIbLb0EES1A_IbLb1EEEEDaS16_S17_EUlS16_E_NS1_11comp_targetILNS1_3genE2ELNS1_11target_archE906ELNS1_3gpuE6ELNS1_3repE0EEENS1_30default_config_static_selectorELNS0_4arch9wavefront6targetE1EEEvT1_
	.globl	_ZN7rocprim17ROCPRIM_400000_NS6detail17trampoline_kernelINS0_14default_configENS1_25partition_config_selectorILNS1_17partition_subalgoE1EiNS0_10empty_typeEbEEZZNS1_14partition_implILS5_1ELb0ES3_jN6thrust23THRUST_200600_302600_NS6detail15normal_iteratorINSA_10device_ptrIiEEEEPS6_NSA_18transform_iteratorI7is_evenIiESF_NSA_11use_defaultESK_EENS0_5tupleIJSF_NSA_16discard_iteratorISK_EEEEENSM_IJSG_SG_EEES6_PlJS6_EEE10hipError_tPvRmT3_T4_T5_T6_T7_T9_mT8_P12ihipStream_tbDpT10_ENKUlT_T0_E_clISt17integral_constantIbLb0EES1A_IbLb1EEEEDaS16_S17_EUlS16_E_NS1_11comp_targetILNS1_3genE2ELNS1_11target_archE906ELNS1_3gpuE6ELNS1_3repE0EEENS1_30default_config_static_selectorELNS0_4arch9wavefront6targetE1EEEvT1_
	.p2align	8
	.type	_ZN7rocprim17ROCPRIM_400000_NS6detail17trampoline_kernelINS0_14default_configENS1_25partition_config_selectorILNS1_17partition_subalgoE1EiNS0_10empty_typeEbEEZZNS1_14partition_implILS5_1ELb0ES3_jN6thrust23THRUST_200600_302600_NS6detail15normal_iteratorINSA_10device_ptrIiEEEEPS6_NSA_18transform_iteratorI7is_evenIiESF_NSA_11use_defaultESK_EENS0_5tupleIJSF_NSA_16discard_iteratorISK_EEEEENSM_IJSG_SG_EEES6_PlJS6_EEE10hipError_tPvRmT3_T4_T5_T6_T7_T9_mT8_P12ihipStream_tbDpT10_ENKUlT_T0_E_clISt17integral_constantIbLb0EES1A_IbLb1EEEEDaS16_S17_EUlS16_E_NS1_11comp_targetILNS1_3genE2ELNS1_11target_archE906ELNS1_3gpuE6ELNS1_3repE0EEENS1_30default_config_static_selectorELNS0_4arch9wavefront6targetE1EEEvT1_,@function
_ZN7rocprim17ROCPRIM_400000_NS6detail17trampoline_kernelINS0_14default_configENS1_25partition_config_selectorILNS1_17partition_subalgoE1EiNS0_10empty_typeEbEEZZNS1_14partition_implILS5_1ELb0ES3_jN6thrust23THRUST_200600_302600_NS6detail15normal_iteratorINSA_10device_ptrIiEEEEPS6_NSA_18transform_iteratorI7is_evenIiESF_NSA_11use_defaultESK_EENS0_5tupleIJSF_NSA_16discard_iteratorISK_EEEEENSM_IJSG_SG_EEES6_PlJS6_EEE10hipError_tPvRmT3_T4_T5_T6_T7_T9_mT8_P12ihipStream_tbDpT10_ENKUlT_T0_E_clISt17integral_constantIbLb0EES1A_IbLb1EEEEDaS16_S17_EUlS16_E_NS1_11comp_targetILNS1_3genE2ELNS1_11target_archE906ELNS1_3gpuE6ELNS1_3repE0EEENS1_30default_config_static_selectorELNS0_4arch9wavefront6targetE1EEEvT1_: ; @_ZN7rocprim17ROCPRIM_400000_NS6detail17trampoline_kernelINS0_14default_configENS1_25partition_config_selectorILNS1_17partition_subalgoE1EiNS0_10empty_typeEbEEZZNS1_14partition_implILS5_1ELb0ES3_jN6thrust23THRUST_200600_302600_NS6detail15normal_iteratorINSA_10device_ptrIiEEEEPS6_NSA_18transform_iteratorI7is_evenIiESF_NSA_11use_defaultESK_EENS0_5tupleIJSF_NSA_16discard_iteratorISK_EEEEENSM_IJSG_SG_EEES6_PlJS6_EEE10hipError_tPvRmT3_T4_T5_T6_T7_T9_mT8_P12ihipStream_tbDpT10_ENKUlT_T0_E_clISt17integral_constantIbLb0EES1A_IbLb1EEEEDaS16_S17_EUlS16_E_NS1_11comp_targetILNS1_3genE2ELNS1_11target_archE906ELNS1_3gpuE6ELNS1_3repE0EEENS1_30default_config_static_selectorELNS0_4arch9wavefront6targetE1EEEvT1_
; %bb.0:
	.section	.rodata,"a",@progbits
	.p2align	6, 0x0
	.amdhsa_kernel _ZN7rocprim17ROCPRIM_400000_NS6detail17trampoline_kernelINS0_14default_configENS1_25partition_config_selectorILNS1_17partition_subalgoE1EiNS0_10empty_typeEbEEZZNS1_14partition_implILS5_1ELb0ES3_jN6thrust23THRUST_200600_302600_NS6detail15normal_iteratorINSA_10device_ptrIiEEEEPS6_NSA_18transform_iteratorI7is_evenIiESF_NSA_11use_defaultESK_EENS0_5tupleIJSF_NSA_16discard_iteratorISK_EEEEENSM_IJSG_SG_EEES6_PlJS6_EEE10hipError_tPvRmT3_T4_T5_T6_T7_T9_mT8_P12ihipStream_tbDpT10_ENKUlT_T0_E_clISt17integral_constantIbLb0EES1A_IbLb1EEEEDaS16_S17_EUlS16_E_NS1_11comp_targetILNS1_3genE2ELNS1_11target_archE906ELNS1_3gpuE6ELNS1_3repE0EEENS1_30default_config_static_selectorELNS0_4arch9wavefront6targetE1EEEvT1_
		.amdhsa_group_segment_fixed_size 0
		.amdhsa_private_segment_fixed_size 0
		.amdhsa_kernarg_size 152
		.amdhsa_user_sgpr_count 6
		.amdhsa_user_sgpr_private_segment_buffer 1
		.amdhsa_user_sgpr_dispatch_ptr 0
		.amdhsa_user_sgpr_queue_ptr 0
		.amdhsa_user_sgpr_kernarg_segment_ptr 1
		.amdhsa_user_sgpr_dispatch_id 0
		.amdhsa_user_sgpr_flat_scratch_init 0
		.amdhsa_user_sgpr_kernarg_preload_length 0
		.amdhsa_user_sgpr_kernarg_preload_offset 0
		.amdhsa_user_sgpr_private_segment_size 0
		.amdhsa_uses_dynamic_stack 0
		.amdhsa_system_sgpr_private_segment_wavefront_offset 0
		.amdhsa_system_sgpr_workgroup_id_x 1
		.amdhsa_system_sgpr_workgroup_id_y 0
		.amdhsa_system_sgpr_workgroup_id_z 0
		.amdhsa_system_sgpr_workgroup_info 0
		.amdhsa_system_vgpr_workitem_id 0
		.amdhsa_next_free_vgpr 1
		.amdhsa_next_free_sgpr 0
		.amdhsa_accum_offset 4
		.amdhsa_reserve_vcc 0
		.amdhsa_reserve_flat_scratch 0
		.amdhsa_float_round_mode_32 0
		.amdhsa_float_round_mode_16_64 0
		.amdhsa_float_denorm_mode_32 3
		.amdhsa_float_denorm_mode_16_64 3
		.amdhsa_dx10_clamp 1
		.amdhsa_ieee_mode 1
		.amdhsa_fp16_overflow 0
		.amdhsa_tg_split 0
		.amdhsa_exception_fp_ieee_invalid_op 0
		.amdhsa_exception_fp_denorm_src 0
		.amdhsa_exception_fp_ieee_div_zero 0
		.amdhsa_exception_fp_ieee_overflow 0
		.amdhsa_exception_fp_ieee_underflow 0
		.amdhsa_exception_fp_ieee_inexact 0
		.amdhsa_exception_int_div_zero 0
	.end_amdhsa_kernel
	.section	.text._ZN7rocprim17ROCPRIM_400000_NS6detail17trampoline_kernelINS0_14default_configENS1_25partition_config_selectorILNS1_17partition_subalgoE1EiNS0_10empty_typeEbEEZZNS1_14partition_implILS5_1ELb0ES3_jN6thrust23THRUST_200600_302600_NS6detail15normal_iteratorINSA_10device_ptrIiEEEEPS6_NSA_18transform_iteratorI7is_evenIiESF_NSA_11use_defaultESK_EENS0_5tupleIJSF_NSA_16discard_iteratorISK_EEEEENSM_IJSG_SG_EEES6_PlJS6_EEE10hipError_tPvRmT3_T4_T5_T6_T7_T9_mT8_P12ihipStream_tbDpT10_ENKUlT_T0_E_clISt17integral_constantIbLb0EES1A_IbLb1EEEEDaS16_S17_EUlS16_E_NS1_11comp_targetILNS1_3genE2ELNS1_11target_archE906ELNS1_3gpuE6ELNS1_3repE0EEENS1_30default_config_static_selectorELNS0_4arch9wavefront6targetE1EEEvT1_,"axG",@progbits,_ZN7rocprim17ROCPRIM_400000_NS6detail17trampoline_kernelINS0_14default_configENS1_25partition_config_selectorILNS1_17partition_subalgoE1EiNS0_10empty_typeEbEEZZNS1_14partition_implILS5_1ELb0ES3_jN6thrust23THRUST_200600_302600_NS6detail15normal_iteratorINSA_10device_ptrIiEEEEPS6_NSA_18transform_iteratorI7is_evenIiESF_NSA_11use_defaultESK_EENS0_5tupleIJSF_NSA_16discard_iteratorISK_EEEEENSM_IJSG_SG_EEES6_PlJS6_EEE10hipError_tPvRmT3_T4_T5_T6_T7_T9_mT8_P12ihipStream_tbDpT10_ENKUlT_T0_E_clISt17integral_constantIbLb0EES1A_IbLb1EEEEDaS16_S17_EUlS16_E_NS1_11comp_targetILNS1_3genE2ELNS1_11target_archE906ELNS1_3gpuE6ELNS1_3repE0EEENS1_30default_config_static_selectorELNS0_4arch9wavefront6targetE1EEEvT1_,comdat
.Lfunc_end3319:
	.size	_ZN7rocprim17ROCPRIM_400000_NS6detail17trampoline_kernelINS0_14default_configENS1_25partition_config_selectorILNS1_17partition_subalgoE1EiNS0_10empty_typeEbEEZZNS1_14partition_implILS5_1ELb0ES3_jN6thrust23THRUST_200600_302600_NS6detail15normal_iteratorINSA_10device_ptrIiEEEEPS6_NSA_18transform_iteratorI7is_evenIiESF_NSA_11use_defaultESK_EENS0_5tupleIJSF_NSA_16discard_iteratorISK_EEEEENSM_IJSG_SG_EEES6_PlJS6_EEE10hipError_tPvRmT3_T4_T5_T6_T7_T9_mT8_P12ihipStream_tbDpT10_ENKUlT_T0_E_clISt17integral_constantIbLb0EES1A_IbLb1EEEEDaS16_S17_EUlS16_E_NS1_11comp_targetILNS1_3genE2ELNS1_11target_archE906ELNS1_3gpuE6ELNS1_3repE0EEENS1_30default_config_static_selectorELNS0_4arch9wavefront6targetE1EEEvT1_, .Lfunc_end3319-_ZN7rocprim17ROCPRIM_400000_NS6detail17trampoline_kernelINS0_14default_configENS1_25partition_config_selectorILNS1_17partition_subalgoE1EiNS0_10empty_typeEbEEZZNS1_14partition_implILS5_1ELb0ES3_jN6thrust23THRUST_200600_302600_NS6detail15normal_iteratorINSA_10device_ptrIiEEEEPS6_NSA_18transform_iteratorI7is_evenIiESF_NSA_11use_defaultESK_EENS0_5tupleIJSF_NSA_16discard_iteratorISK_EEEEENSM_IJSG_SG_EEES6_PlJS6_EEE10hipError_tPvRmT3_T4_T5_T6_T7_T9_mT8_P12ihipStream_tbDpT10_ENKUlT_T0_E_clISt17integral_constantIbLb0EES1A_IbLb1EEEEDaS16_S17_EUlS16_E_NS1_11comp_targetILNS1_3genE2ELNS1_11target_archE906ELNS1_3gpuE6ELNS1_3repE0EEENS1_30default_config_static_selectorELNS0_4arch9wavefront6targetE1EEEvT1_
                                        ; -- End function
	.section	.AMDGPU.csdata,"",@progbits
; Kernel info:
; codeLenInByte = 0
; NumSgprs: 4
; NumVgprs: 0
; NumAgprs: 0
; TotalNumVgprs: 0
; ScratchSize: 0
; MemoryBound: 0
; FloatMode: 240
; IeeeMode: 1
; LDSByteSize: 0 bytes/workgroup (compile time only)
; SGPRBlocks: 0
; VGPRBlocks: 0
; NumSGPRsForWavesPerEU: 4
; NumVGPRsForWavesPerEU: 1
; AccumOffset: 4
; Occupancy: 8
; WaveLimiterHint : 0
; COMPUTE_PGM_RSRC2:SCRATCH_EN: 0
; COMPUTE_PGM_RSRC2:USER_SGPR: 6
; COMPUTE_PGM_RSRC2:TRAP_HANDLER: 0
; COMPUTE_PGM_RSRC2:TGID_X_EN: 1
; COMPUTE_PGM_RSRC2:TGID_Y_EN: 0
; COMPUTE_PGM_RSRC2:TGID_Z_EN: 0
; COMPUTE_PGM_RSRC2:TIDIG_COMP_CNT: 0
; COMPUTE_PGM_RSRC3_GFX90A:ACCUM_OFFSET: 0
; COMPUTE_PGM_RSRC3_GFX90A:TG_SPLIT: 0
	.section	.text._ZN7rocprim17ROCPRIM_400000_NS6detail17trampoline_kernelINS0_14default_configENS1_25partition_config_selectorILNS1_17partition_subalgoE1EiNS0_10empty_typeEbEEZZNS1_14partition_implILS5_1ELb0ES3_jN6thrust23THRUST_200600_302600_NS6detail15normal_iteratorINSA_10device_ptrIiEEEEPS6_NSA_18transform_iteratorI7is_evenIiESF_NSA_11use_defaultESK_EENS0_5tupleIJSF_NSA_16discard_iteratorISK_EEEEENSM_IJSG_SG_EEES6_PlJS6_EEE10hipError_tPvRmT3_T4_T5_T6_T7_T9_mT8_P12ihipStream_tbDpT10_ENKUlT_T0_E_clISt17integral_constantIbLb0EES1A_IbLb1EEEEDaS16_S17_EUlS16_E_NS1_11comp_targetILNS1_3genE10ELNS1_11target_archE1200ELNS1_3gpuE4ELNS1_3repE0EEENS1_30default_config_static_selectorELNS0_4arch9wavefront6targetE1EEEvT1_,"axG",@progbits,_ZN7rocprim17ROCPRIM_400000_NS6detail17trampoline_kernelINS0_14default_configENS1_25partition_config_selectorILNS1_17partition_subalgoE1EiNS0_10empty_typeEbEEZZNS1_14partition_implILS5_1ELb0ES3_jN6thrust23THRUST_200600_302600_NS6detail15normal_iteratorINSA_10device_ptrIiEEEEPS6_NSA_18transform_iteratorI7is_evenIiESF_NSA_11use_defaultESK_EENS0_5tupleIJSF_NSA_16discard_iteratorISK_EEEEENSM_IJSG_SG_EEES6_PlJS6_EEE10hipError_tPvRmT3_T4_T5_T6_T7_T9_mT8_P12ihipStream_tbDpT10_ENKUlT_T0_E_clISt17integral_constantIbLb0EES1A_IbLb1EEEEDaS16_S17_EUlS16_E_NS1_11comp_targetILNS1_3genE10ELNS1_11target_archE1200ELNS1_3gpuE4ELNS1_3repE0EEENS1_30default_config_static_selectorELNS0_4arch9wavefront6targetE1EEEvT1_,comdat
	.protected	_ZN7rocprim17ROCPRIM_400000_NS6detail17trampoline_kernelINS0_14default_configENS1_25partition_config_selectorILNS1_17partition_subalgoE1EiNS0_10empty_typeEbEEZZNS1_14partition_implILS5_1ELb0ES3_jN6thrust23THRUST_200600_302600_NS6detail15normal_iteratorINSA_10device_ptrIiEEEEPS6_NSA_18transform_iteratorI7is_evenIiESF_NSA_11use_defaultESK_EENS0_5tupleIJSF_NSA_16discard_iteratorISK_EEEEENSM_IJSG_SG_EEES6_PlJS6_EEE10hipError_tPvRmT3_T4_T5_T6_T7_T9_mT8_P12ihipStream_tbDpT10_ENKUlT_T0_E_clISt17integral_constantIbLb0EES1A_IbLb1EEEEDaS16_S17_EUlS16_E_NS1_11comp_targetILNS1_3genE10ELNS1_11target_archE1200ELNS1_3gpuE4ELNS1_3repE0EEENS1_30default_config_static_selectorELNS0_4arch9wavefront6targetE1EEEvT1_ ; -- Begin function _ZN7rocprim17ROCPRIM_400000_NS6detail17trampoline_kernelINS0_14default_configENS1_25partition_config_selectorILNS1_17partition_subalgoE1EiNS0_10empty_typeEbEEZZNS1_14partition_implILS5_1ELb0ES3_jN6thrust23THRUST_200600_302600_NS6detail15normal_iteratorINSA_10device_ptrIiEEEEPS6_NSA_18transform_iteratorI7is_evenIiESF_NSA_11use_defaultESK_EENS0_5tupleIJSF_NSA_16discard_iteratorISK_EEEEENSM_IJSG_SG_EEES6_PlJS6_EEE10hipError_tPvRmT3_T4_T5_T6_T7_T9_mT8_P12ihipStream_tbDpT10_ENKUlT_T0_E_clISt17integral_constantIbLb0EES1A_IbLb1EEEEDaS16_S17_EUlS16_E_NS1_11comp_targetILNS1_3genE10ELNS1_11target_archE1200ELNS1_3gpuE4ELNS1_3repE0EEENS1_30default_config_static_selectorELNS0_4arch9wavefront6targetE1EEEvT1_
	.globl	_ZN7rocprim17ROCPRIM_400000_NS6detail17trampoline_kernelINS0_14default_configENS1_25partition_config_selectorILNS1_17partition_subalgoE1EiNS0_10empty_typeEbEEZZNS1_14partition_implILS5_1ELb0ES3_jN6thrust23THRUST_200600_302600_NS6detail15normal_iteratorINSA_10device_ptrIiEEEEPS6_NSA_18transform_iteratorI7is_evenIiESF_NSA_11use_defaultESK_EENS0_5tupleIJSF_NSA_16discard_iteratorISK_EEEEENSM_IJSG_SG_EEES6_PlJS6_EEE10hipError_tPvRmT3_T4_T5_T6_T7_T9_mT8_P12ihipStream_tbDpT10_ENKUlT_T0_E_clISt17integral_constantIbLb0EES1A_IbLb1EEEEDaS16_S17_EUlS16_E_NS1_11comp_targetILNS1_3genE10ELNS1_11target_archE1200ELNS1_3gpuE4ELNS1_3repE0EEENS1_30default_config_static_selectorELNS0_4arch9wavefront6targetE1EEEvT1_
	.p2align	8
	.type	_ZN7rocprim17ROCPRIM_400000_NS6detail17trampoline_kernelINS0_14default_configENS1_25partition_config_selectorILNS1_17partition_subalgoE1EiNS0_10empty_typeEbEEZZNS1_14partition_implILS5_1ELb0ES3_jN6thrust23THRUST_200600_302600_NS6detail15normal_iteratorINSA_10device_ptrIiEEEEPS6_NSA_18transform_iteratorI7is_evenIiESF_NSA_11use_defaultESK_EENS0_5tupleIJSF_NSA_16discard_iteratorISK_EEEEENSM_IJSG_SG_EEES6_PlJS6_EEE10hipError_tPvRmT3_T4_T5_T6_T7_T9_mT8_P12ihipStream_tbDpT10_ENKUlT_T0_E_clISt17integral_constantIbLb0EES1A_IbLb1EEEEDaS16_S17_EUlS16_E_NS1_11comp_targetILNS1_3genE10ELNS1_11target_archE1200ELNS1_3gpuE4ELNS1_3repE0EEENS1_30default_config_static_selectorELNS0_4arch9wavefront6targetE1EEEvT1_,@function
_ZN7rocprim17ROCPRIM_400000_NS6detail17trampoline_kernelINS0_14default_configENS1_25partition_config_selectorILNS1_17partition_subalgoE1EiNS0_10empty_typeEbEEZZNS1_14partition_implILS5_1ELb0ES3_jN6thrust23THRUST_200600_302600_NS6detail15normal_iteratorINSA_10device_ptrIiEEEEPS6_NSA_18transform_iteratorI7is_evenIiESF_NSA_11use_defaultESK_EENS0_5tupleIJSF_NSA_16discard_iteratorISK_EEEEENSM_IJSG_SG_EEES6_PlJS6_EEE10hipError_tPvRmT3_T4_T5_T6_T7_T9_mT8_P12ihipStream_tbDpT10_ENKUlT_T0_E_clISt17integral_constantIbLb0EES1A_IbLb1EEEEDaS16_S17_EUlS16_E_NS1_11comp_targetILNS1_3genE10ELNS1_11target_archE1200ELNS1_3gpuE4ELNS1_3repE0EEENS1_30default_config_static_selectorELNS0_4arch9wavefront6targetE1EEEvT1_: ; @_ZN7rocprim17ROCPRIM_400000_NS6detail17trampoline_kernelINS0_14default_configENS1_25partition_config_selectorILNS1_17partition_subalgoE1EiNS0_10empty_typeEbEEZZNS1_14partition_implILS5_1ELb0ES3_jN6thrust23THRUST_200600_302600_NS6detail15normal_iteratorINSA_10device_ptrIiEEEEPS6_NSA_18transform_iteratorI7is_evenIiESF_NSA_11use_defaultESK_EENS0_5tupleIJSF_NSA_16discard_iteratorISK_EEEEENSM_IJSG_SG_EEES6_PlJS6_EEE10hipError_tPvRmT3_T4_T5_T6_T7_T9_mT8_P12ihipStream_tbDpT10_ENKUlT_T0_E_clISt17integral_constantIbLb0EES1A_IbLb1EEEEDaS16_S17_EUlS16_E_NS1_11comp_targetILNS1_3genE10ELNS1_11target_archE1200ELNS1_3gpuE4ELNS1_3repE0EEENS1_30default_config_static_selectorELNS0_4arch9wavefront6targetE1EEEvT1_
; %bb.0:
	.section	.rodata,"a",@progbits
	.p2align	6, 0x0
	.amdhsa_kernel _ZN7rocprim17ROCPRIM_400000_NS6detail17trampoline_kernelINS0_14default_configENS1_25partition_config_selectorILNS1_17partition_subalgoE1EiNS0_10empty_typeEbEEZZNS1_14partition_implILS5_1ELb0ES3_jN6thrust23THRUST_200600_302600_NS6detail15normal_iteratorINSA_10device_ptrIiEEEEPS6_NSA_18transform_iteratorI7is_evenIiESF_NSA_11use_defaultESK_EENS0_5tupleIJSF_NSA_16discard_iteratorISK_EEEEENSM_IJSG_SG_EEES6_PlJS6_EEE10hipError_tPvRmT3_T4_T5_T6_T7_T9_mT8_P12ihipStream_tbDpT10_ENKUlT_T0_E_clISt17integral_constantIbLb0EES1A_IbLb1EEEEDaS16_S17_EUlS16_E_NS1_11comp_targetILNS1_3genE10ELNS1_11target_archE1200ELNS1_3gpuE4ELNS1_3repE0EEENS1_30default_config_static_selectorELNS0_4arch9wavefront6targetE1EEEvT1_
		.amdhsa_group_segment_fixed_size 0
		.amdhsa_private_segment_fixed_size 0
		.amdhsa_kernarg_size 152
		.amdhsa_user_sgpr_count 6
		.amdhsa_user_sgpr_private_segment_buffer 1
		.amdhsa_user_sgpr_dispatch_ptr 0
		.amdhsa_user_sgpr_queue_ptr 0
		.amdhsa_user_sgpr_kernarg_segment_ptr 1
		.amdhsa_user_sgpr_dispatch_id 0
		.amdhsa_user_sgpr_flat_scratch_init 0
		.amdhsa_user_sgpr_kernarg_preload_length 0
		.amdhsa_user_sgpr_kernarg_preload_offset 0
		.amdhsa_user_sgpr_private_segment_size 0
		.amdhsa_uses_dynamic_stack 0
		.amdhsa_system_sgpr_private_segment_wavefront_offset 0
		.amdhsa_system_sgpr_workgroup_id_x 1
		.amdhsa_system_sgpr_workgroup_id_y 0
		.amdhsa_system_sgpr_workgroup_id_z 0
		.amdhsa_system_sgpr_workgroup_info 0
		.amdhsa_system_vgpr_workitem_id 0
		.amdhsa_next_free_vgpr 1
		.amdhsa_next_free_sgpr 0
		.amdhsa_accum_offset 4
		.amdhsa_reserve_vcc 0
		.amdhsa_reserve_flat_scratch 0
		.amdhsa_float_round_mode_32 0
		.amdhsa_float_round_mode_16_64 0
		.amdhsa_float_denorm_mode_32 3
		.amdhsa_float_denorm_mode_16_64 3
		.amdhsa_dx10_clamp 1
		.amdhsa_ieee_mode 1
		.amdhsa_fp16_overflow 0
		.amdhsa_tg_split 0
		.amdhsa_exception_fp_ieee_invalid_op 0
		.amdhsa_exception_fp_denorm_src 0
		.amdhsa_exception_fp_ieee_div_zero 0
		.amdhsa_exception_fp_ieee_overflow 0
		.amdhsa_exception_fp_ieee_underflow 0
		.amdhsa_exception_fp_ieee_inexact 0
		.amdhsa_exception_int_div_zero 0
	.end_amdhsa_kernel
	.section	.text._ZN7rocprim17ROCPRIM_400000_NS6detail17trampoline_kernelINS0_14default_configENS1_25partition_config_selectorILNS1_17partition_subalgoE1EiNS0_10empty_typeEbEEZZNS1_14partition_implILS5_1ELb0ES3_jN6thrust23THRUST_200600_302600_NS6detail15normal_iteratorINSA_10device_ptrIiEEEEPS6_NSA_18transform_iteratorI7is_evenIiESF_NSA_11use_defaultESK_EENS0_5tupleIJSF_NSA_16discard_iteratorISK_EEEEENSM_IJSG_SG_EEES6_PlJS6_EEE10hipError_tPvRmT3_T4_T5_T6_T7_T9_mT8_P12ihipStream_tbDpT10_ENKUlT_T0_E_clISt17integral_constantIbLb0EES1A_IbLb1EEEEDaS16_S17_EUlS16_E_NS1_11comp_targetILNS1_3genE10ELNS1_11target_archE1200ELNS1_3gpuE4ELNS1_3repE0EEENS1_30default_config_static_selectorELNS0_4arch9wavefront6targetE1EEEvT1_,"axG",@progbits,_ZN7rocprim17ROCPRIM_400000_NS6detail17trampoline_kernelINS0_14default_configENS1_25partition_config_selectorILNS1_17partition_subalgoE1EiNS0_10empty_typeEbEEZZNS1_14partition_implILS5_1ELb0ES3_jN6thrust23THRUST_200600_302600_NS6detail15normal_iteratorINSA_10device_ptrIiEEEEPS6_NSA_18transform_iteratorI7is_evenIiESF_NSA_11use_defaultESK_EENS0_5tupleIJSF_NSA_16discard_iteratorISK_EEEEENSM_IJSG_SG_EEES6_PlJS6_EEE10hipError_tPvRmT3_T4_T5_T6_T7_T9_mT8_P12ihipStream_tbDpT10_ENKUlT_T0_E_clISt17integral_constantIbLb0EES1A_IbLb1EEEEDaS16_S17_EUlS16_E_NS1_11comp_targetILNS1_3genE10ELNS1_11target_archE1200ELNS1_3gpuE4ELNS1_3repE0EEENS1_30default_config_static_selectorELNS0_4arch9wavefront6targetE1EEEvT1_,comdat
.Lfunc_end3320:
	.size	_ZN7rocprim17ROCPRIM_400000_NS6detail17trampoline_kernelINS0_14default_configENS1_25partition_config_selectorILNS1_17partition_subalgoE1EiNS0_10empty_typeEbEEZZNS1_14partition_implILS5_1ELb0ES3_jN6thrust23THRUST_200600_302600_NS6detail15normal_iteratorINSA_10device_ptrIiEEEEPS6_NSA_18transform_iteratorI7is_evenIiESF_NSA_11use_defaultESK_EENS0_5tupleIJSF_NSA_16discard_iteratorISK_EEEEENSM_IJSG_SG_EEES6_PlJS6_EEE10hipError_tPvRmT3_T4_T5_T6_T7_T9_mT8_P12ihipStream_tbDpT10_ENKUlT_T0_E_clISt17integral_constantIbLb0EES1A_IbLb1EEEEDaS16_S17_EUlS16_E_NS1_11comp_targetILNS1_3genE10ELNS1_11target_archE1200ELNS1_3gpuE4ELNS1_3repE0EEENS1_30default_config_static_selectorELNS0_4arch9wavefront6targetE1EEEvT1_, .Lfunc_end3320-_ZN7rocprim17ROCPRIM_400000_NS6detail17trampoline_kernelINS0_14default_configENS1_25partition_config_selectorILNS1_17partition_subalgoE1EiNS0_10empty_typeEbEEZZNS1_14partition_implILS5_1ELb0ES3_jN6thrust23THRUST_200600_302600_NS6detail15normal_iteratorINSA_10device_ptrIiEEEEPS6_NSA_18transform_iteratorI7is_evenIiESF_NSA_11use_defaultESK_EENS0_5tupleIJSF_NSA_16discard_iteratorISK_EEEEENSM_IJSG_SG_EEES6_PlJS6_EEE10hipError_tPvRmT3_T4_T5_T6_T7_T9_mT8_P12ihipStream_tbDpT10_ENKUlT_T0_E_clISt17integral_constantIbLb0EES1A_IbLb1EEEEDaS16_S17_EUlS16_E_NS1_11comp_targetILNS1_3genE10ELNS1_11target_archE1200ELNS1_3gpuE4ELNS1_3repE0EEENS1_30default_config_static_selectorELNS0_4arch9wavefront6targetE1EEEvT1_
                                        ; -- End function
	.section	.AMDGPU.csdata,"",@progbits
; Kernel info:
; codeLenInByte = 0
; NumSgprs: 4
; NumVgprs: 0
; NumAgprs: 0
; TotalNumVgprs: 0
; ScratchSize: 0
; MemoryBound: 0
; FloatMode: 240
; IeeeMode: 1
; LDSByteSize: 0 bytes/workgroup (compile time only)
; SGPRBlocks: 0
; VGPRBlocks: 0
; NumSGPRsForWavesPerEU: 4
; NumVGPRsForWavesPerEU: 1
; AccumOffset: 4
; Occupancy: 8
; WaveLimiterHint : 0
; COMPUTE_PGM_RSRC2:SCRATCH_EN: 0
; COMPUTE_PGM_RSRC2:USER_SGPR: 6
; COMPUTE_PGM_RSRC2:TRAP_HANDLER: 0
; COMPUTE_PGM_RSRC2:TGID_X_EN: 1
; COMPUTE_PGM_RSRC2:TGID_Y_EN: 0
; COMPUTE_PGM_RSRC2:TGID_Z_EN: 0
; COMPUTE_PGM_RSRC2:TIDIG_COMP_CNT: 0
; COMPUTE_PGM_RSRC3_GFX90A:ACCUM_OFFSET: 0
; COMPUTE_PGM_RSRC3_GFX90A:TG_SPLIT: 0
	.section	.text._ZN7rocprim17ROCPRIM_400000_NS6detail17trampoline_kernelINS0_14default_configENS1_25partition_config_selectorILNS1_17partition_subalgoE1EiNS0_10empty_typeEbEEZZNS1_14partition_implILS5_1ELb0ES3_jN6thrust23THRUST_200600_302600_NS6detail15normal_iteratorINSA_10device_ptrIiEEEEPS6_NSA_18transform_iteratorI7is_evenIiESF_NSA_11use_defaultESK_EENS0_5tupleIJSF_NSA_16discard_iteratorISK_EEEEENSM_IJSG_SG_EEES6_PlJS6_EEE10hipError_tPvRmT3_T4_T5_T6_T7_T9_mT8_P12ihipStream_tbDpT10_ENKUlT_T0_E_clISt17integral_constantIbLb0EES1A_IbLb1EEEEDaS16_S17_EUlS16_E_NS1_11comp_targetILNS1_3genE9ELNS1_11target_archE1100ELNS1_3gpuE3ELNS1_3repE0EEENS1_30default_config_static_selectorELNS0_4arch9wavefront6targetE1EEEvT1_,"axG",@progbits,_ZN7rocprim17ROCPRIM_400000_NS6detail17trampoline_kernelINS0_14default_configENS1_25partition_config_selectorILNS1_17partition_subalgoE1EiNS0_10empty_typeEbEEZZNS1_14partition_implILS5_1ELb0ES3_jN6thrust23THRUST_200600_302600_NS6detail15normal_iteratorINSA_10device_ptrIiEEEEPS6_NSA_18transform_iteratorI7is_evenIiESF_NSA_11use_defaultESK_EENS0_5tupleIJSF_NSA_16discard_iteratorISK_EEEEENSM_IJSG_SG_EEES6_PlJS6_EEE10hipError_tPvRmT3_T4_T5_T6_T7_T9_mT8_P12ihipStream_tbDpT10_ENKUlT_T0_E_clISt17integral_constantIbLb0EES1A_IbLb1EEEEDaS16_S17_EUlS16_E_NS1_11comp_targetILNS1_3genE9ELNS1_11target_archE1100ELNS1_3gpuE3ELNS1_3repE0EEENS1_30default_config_static_selectorELNS0_4arch9wavefront6targetE1EEEvT1_,comdat
	.protected	_ZN7rocprim17ROCPRIM_400000_NS6detail17trampoline_kernelINS0_14default_configENS1_25partition_config_selectorILNS1_17partition_subalgoE1EiNS0_10empty_typeEbEEZZNS1_14partition_implILS5_1ELb0ES3_jN6thrust23THRUST_200600_302600_NS6detail15normal_iteratorINSA_10device_ptrIiEEEEPS6_NSA_18transform_iteratorI7is_evenIiESF_NSA_11use_defaultESK_EENS0_5tupleIJSF_NSA_16discard_iteratorISK_EEEEENSM_IJSG_SG_EEES6_PlJS6_EEE10hipError_tPvRmT3_T4_T5_T6_T7_T9_mT8_P12ihipStream_tbDpT10_ENKUlT_T0_E_clISt17integral_constantIbLb0EES1A_IbLb1EEEEDaS16_S17_EUlS16_E_NS1_11comp_targetILNS1_3genE9ELNS1_11target_archE1100ELNS1_3gpuE3ELNS1_3repE0EEENS1_30default_config_static_selectorELNS0_4arch9wavefront6targetE1EEEvT1_ ; -- Begin function _ZN7rocprim17ROCPRIM_400000_NS6detail17trampoline_kernelINS0_14default_configENS1_25partition_config_selectorILNS1_17partition_subalgoE1EiNS0_10empty_typeEbEEZZNS1_14partition_implILS5_1ELb0ES3_jN6thrust23THRUST_200600_302600_NS6detail15normal_iteratorINSA_10device_ptrIiEEEEPS6_NSA_18transform_iteratorI7is_evenIiESF_NSA_11use_defaultESK_EENS0_5tupleIJSF_NSA_16discard_iteratorISK_EEEEENSM_IJSG_SG_EEES6_PlJS6_EEE10hipError_tPvRmT3_T4_T5_T6_T7_T9_mT8_P12ihipStream_tbDpT10_ENKUlT_T0_E_clISt17integral_constantIbLb0EES1A_IbLb1EEEEDaS16_S17_EUlS16_E_NS1_11comp_targetILNS1_3genE9ELNS1_11target_archE1100ELNS1_3gpuE3ELNS1_3repE0EEENS1_30default_config_static_selectorELNS0_4arch9wavefront6targetE1EEEvT1_
	.globl	_ZN7rocprim17ROCPRIM_400000_NS6detail17trampoline_kernelINS0_14default_configENS1_25partition_config_selectorILNS1_17partition_subalgoE1EiNS0_10empty_typeEbEEZZNS1_14partition_implILS5_1ELb0ES3_jN6thrust23THRUST_200600_302600_NS6detail15normal_iteratorINSA_10device_ptrIiEEEEPS6_NSA_18transform_iteratorI7is_evenIiESF_NSA_11use_defaultESK_EENS0_5tupleIJSF_NSA_16discard_iteratorISK_EEEEENSM_IJSG_SG_EEES6_PlJS6_EEE10hipError_tPvRmT3_T4_T5_T6_T7_T9_mT8_P12ihipStream_tbDpT10_ENKUlT_T0_E_clISt17integral_constantIbLb0EES1A_IbLb1EEEEDaS16_S17_EUlS16_E_NS1_11comp_targetILNS1_3genE9ELNS1_11target_archE1100ELNS1_3gpuE3ELNS1_3repE0EEENS1_30default_config_static_selectorELNS0_4arch9wavefront6targetE1EEEvT1_
	.p2align	8
	.type	_ZN7rocprim17ROCPRIM_400000_NS6detail17trampoline_kernelINS0_14default_configENS1_25partition_config_selectorILNS1_17partition_subalgoE1EiNS0_10empty_typeEbEEZZNS1_14partition_implILS5_1ELb0ES3_jN6thrust23THRUST_200600_302600_NS6detail15normal_iteratorINSA_10device_ptrIiEEEEPS6_NSA_18transform_iteratorI7is_evenIiESF_NSA_11use_defaultESK_EENS0_5tupleIJSF_NSA_16discard_iteratorISK_EEEEENSM_IJSG_SG_EEES6_PlJS6_EEE10hipError_tPvRmT3_T4_T5_T6_T7_T9_mT8_P12ihipStream_tbDpT10_ENKUlT_T0_E_clISt17integral_constantIbLb0EES1A_IbLb1EEEEDaS16_S17_EUlS16_E_NS1_11comp_targetILNS1_3genE9ELNS1_11target_archE1100ELNS1_3gpuE3ELNS1_3repE0EEENS1_30default_config_static_selectorELNS0_4arch9wavefront6targetE1EEEvT1_,@function
_ZN7rocprim17ROCPRIM_400000_NS6detail17trampoline_kernelINS0_14default_configENS1_25partition_config_selectorILNS1_17partition_subalgoE1EiNS0_10empty_typeEbEEZZNS1_14partition_implILS5_1ELb0ES3_jN6thrust23THRUST_200600_302600_NS6detail15normal_iteratorINSA_10device_ptrIiEEEEPS6_NSA_18transform_iteratorI7is_evenIiESF_NSA_11use_defaultESK_EENS0_5tupleIJSF_NSA_16discard_iteratorISK_EEEEENSM_IJSG_SG_EEES6_PlJS6_EEE10hipError_tPvRmT3_T4_T5_T6_T7_T9_mT8_P12ihipStream_tbDpT10_ENKUlT_T0_E_clISt17integral_constantIbLb0EES1A_IbLb1EEEEDaS16_S17_EUlS16_E_NS1_11comp_targetILNS1_3genE9ELNS1_11target_archE1100ELNS1_3gpuE3ELNS1_3repE0EEENS1_30default_config_static_selectorELNS0_4arch9wavefront6targetE1EEEvT1_: ; @_ZN7rocprim17ROCPRIM_400000_NS6detail17trampoline_kernelINS0_14default_configENS1_25partition_config_selectorILNS1_17partition_subalgoE1EiNS0_10empty_typeEbEEZZNS1_14partition_implILS5_1ELb0ES3_jN6thrust23THRUST_200600_302600_NS6detail15normal_iteratorINSA_10device_ptrIiEEEEPS6_NSA_18transform_iteratorI7is_evenIiESF_NSA_11use_defaultESK_EENS0_5tupleIJSF_NSA_16discard_iteratorISK_EEEEENSM_IJSG_SG_EEES6_PlJS6_EEE10hipError_tPvRmT3_T4_T5_T6_T7_T9_mT8_P12ihipStream_tbDpT10_ENKUlT_T0_E_clISt17integral_constantIbLb0EES1A_IbLb1EEEEDaS16_S17_EUlS16_E_NS1_11comp_targetILNS1_3genE9ELNS1_11target_archE1100ELNS1_3gpuE3ELNS1_3repE0EEENS1_30default_config_static_selectorELNS0_4arch9wavefront6targetE1EEEvT1_
; %bb.0:
	.section	.rodata,"a",@progbits
	.p2align	6, 0x0
	.amdhsa_kernel _ZN7rocprim17ROCPRIM_400000_NS6detail17trampoline_kernelINS0_14default_configENS1_25partition_config_selectorILNS1_17partition_subalgoE1EiNS0_10empty_typeEbEEZZNS1_14partition_implILS5_1ELb0ES3_jN6thrust23THRUST_200600_302600_NS6detail15normal_iteratorINSA_10device_ptrIiEEEEPS6_NSA_18transform_iteratorI7is_evenIiESF_NSA_11use_defaultESK_EENS0_5tupleIJSF_NSA_16discard_iteratorISK_EEEEENSM_IJSG_SG_EEES6_PlJS6_EEE10hipError_tPvRmT3_T4_T5_T6_T7_T9_mT8_P12ihipStream_tbDpT10_ENKUlT_T0_E_clISt17integral_constantIbLb0EES1A_IbLb1EEEEDaS16_S17_EUlS16_E_NS1_11comp_targetILNS1_3genE9ELNS1_11target_archE1100ELNS1_3gpuE3ELNS1_3repE0EEENS1_30default_config_static_selectorELNS0_4arch9wavefront6targetE1EEEvT1_
		.amdhsa_group_segment_fixed_size 0
		.amdhsa_private_segment_fixed_size 0
		.amdhsa_kernarg_size 152
		.amdhsa_user_sgpr_count 6
		.amdhsa_user_sgpr_private_segment_buffer 1
		.amdhsa_user_sgpr_dispatch_ptr 0
		.amdhsa_user_sgpr_queue_ptr 0
		.amdhsa_user_sgpr_kernarg_segment_ptr 1
		.amdhsa_user_sgpr_dispatch_id 0
		.amdhsa_user_sgpr_flat_scratch_init 0
		.amdhsa_user_sgpr_kernarg_preload_length 0
		.amdhsa_user_sgpr_kernarg_preload_offset 0
		.amdhsa_user_sgpr_private_segment_size 0
		.amdhsa_uses_dynamic_stack 0
		.amdhsa_system_sgpr_private_segment_wavefront_offset 0
		.amdhsa_system_sgpr_workgroup_id_x 1
		.amdhsa_system_sgpr_workgroup_id_y 0
		.amdhsa_system_sgpr_workgroup_id_z 0
		.amdhsa_system_sgpr_workgroup_info 0
		.amdhsa_system_vgpr_workitem_id 0
		.amdhsa_next_free_vgpr 1
		.amdhsa_next_free_sgpr 0
		.amdhsa_accum_offset 4
		.amdhsa_reserve_vcc 0
		.amdhsa_reserve_flat_scratch 0
		.amdhsa_float_round_mode_32 0
		.amdhsa_float_round_mode_16_64 0
		.amdhsa_float_denorm_mode_32 3
		.amdhsa_float_denorm_mode_16_64 3
		.amdhsa_dx10_clamp 1
		.amdhsa_ieee_mode 1
		.amdhsa_fp16_overflow 0
		.amdhsa_tg_split 0
		.amdhsa_exception_fp_ieee_invalid_op 0
		.amdhsa_exception_fp_denorm_src 0
		.amdhsa_exception_fp_ieee_div_zero 0
		.amdhsa_exception_fp_ieee_overflow 0
		.amdhsa_exception_fp_ieee_underflow 0
		.amdhsa_exception_fp_ieee_inexact 0
		.amdhsa_exception_int_div_zero 0
	.end_amdhsa_kernel
	.section	.text._ZN7rocprim17ROCPRIM_400000_NS6detail17trampoline_kernelINS0_14default_configENS1_25partition_config_selectorILNS1_17partition_subalgoE1EiNS0_10empty_typeEbEEZZNS1_14partition_implILS5_1ELb0ES3_jN6thrust23THRUST_200600_302600_NS6detail15normal_iteratorINSA_10device_ptrIiEEEEPS6_NSA_18transform_iteratorI7is_evenIiESF_NSA_11use_defaultESK_EENS0_5tupleIJSF_NSA_16discard_iteratorISK_EEEEENSM_IJSG_SG_EEES6_PlJS6_EEE10hipError_tPvRmT3_T4_T5_T6_T7_T9_mT8_P12ihipStream_tbDpT10_ENKUlT_T0_E_clISt17integral_constantIbLb0EES1A_IbLb1EEEEDaS16_S17_EUlS16_E_NS1_11comp_targetILNS1_3genE9ELNS1_11target_archE1100ELNS1_3gpuE3ELNS1_3repE0EEENS1_30default_config_static_selectorELNS0_4arch9wavefront6targetE1EEEvT1_,"axG",@progbits,_ZN7rocprim17ROCPRIM_400000_NS6detail17trampoline_kernelINS0_14default_configENS1_25partition_config_selectorILNS1_17partition_subalgoE1EiNS0_10empty_typeEbEEZZNS1_14partition_implILS5_1ELb0ES3_jN6thrust23THRUST_200600_302600_NS6detail15normal_iteratorINSA_10device_ptrIiEEEEPS6_NSA_18transform_iteratorI7is_evenIiESF_NSA_11use_defaultESK_EENS0_5tupleIJSF_NSA_16discard_iteratorISK_EEEEENSM_IJSG_SG_EEES6_PlJS6_EEE10hipError_tPvRmT3_T4_T5_T6_T7_T9_mT8_P12ihipStream_tbDpT10_ENKUlT_T0_E_clISt17integral_constantIbLb0EES1A_IbLb1EEEEDaS16_S17_EUlS16_E_NS1_11comp_targetILNS1_3genE9ELNS1_11target_archE1100ELNS1_3gpuE3ELNS1_3repE0EEENS1_30default_config_static_selectorELNS0_4arch9wavefront6targetE1EEEvT1_,comdat
.Lfunc_end3321:
	.size	_ZN7rocprim17ROCPRIM_400000_NS6detail17trampoline_kernelINS0_14default_configENS1_25partition_config_selectorILNS1_17partition_subalgoE1EiNS0_10empty_typeEbEEZZNS1_14partition_implILS5_1ELb0ES3_jN6thrust23THRUST_200600_302600_NS6detail15normal_iteratorINSA_10device_ptrIiEEEEPS6_NSA_18transform_iteratorI7is_evenIiESF_NSA_11use_defaultESK_EENS0_5tupleIJSF_NSA_16discard_iteratorISK_EEEEENSM_IJSG_SG_EEES6_PlJS6_EEE10hipError_tPvRmT3_T4_T5_T6_T7_T9_mT8_P12ihipStream_tbDpT10_ENKUlT_T0_E_clISt17integral_constantIbLb0EES1A_IbLb1EEEEDaS16_S17_EUlS16_E_NS1_11comp_targetILNS1_3genE9ELNS1_11target_archE1100ELNS1_3gpuE3ELNS1_3repE0EEENS1_30default_config_static_selectorELNS0_4arch9wavefront6targetE1EEEvT1_, .Lfunc_end3321-_ZN7rocprim17ROCPRIM_400000_NS6detail17trampoline_kernelINS0_14default_configENS1_25partition_config_selectorILNS1_17partition_subalgoE1EiNS0_10empty_typeEbEEZZNS1_14partition_implILS5_1ELb0ES3_jN6thrust23THRUST_200600_302600_NS6detail15normal_iteratorINSA_10device_ptrIiEEEEPS6_NSA_18transform_iteratorI7is_evenIiESF_NSA_11use_defaultESK_EENS0_5tupleIJSF_NSA_16discard_iteratorISK_EEEEENSM_IJSG_SG_EEES6_PlJS6_EEE10hipError_tPvRmT3_T4_T5_T6_T7_T9_mT8_P12ihipStream_tbDpT10_ENKUlT_T0_E_clISt17integral_constantIbLb0EES1A_IbLb1EEEEDaS16_S17_EUlS16_E_NS1_11comp_targetILNS1_3genE9ELNS1_11target_archE1100ELNS1_3gpuE3ELNS1_3repE0EEENS1_30default_config_static_selectorELNS0_4arch9wavefront6targetE1EEEvT1_
                                        ; -- End function
	.section	.AMDGPU.csdata,"",@progbits
; Kernel info:
; codeLenInByte = 0
; NumSgprs: 4
; NumVgprs: 0
; NumAgprs: 0
; TotalNumVgprs: 0
; ScratchSize: 0
; MemoryBound: 0
; FloatMode: 240
; IeeeMode: 1
; LDSByteSize: 0 bytes/workgroup (compile time only)
; SGPRBlocks: 0
; VGPRBlocks: 0
; NumSGPRsForWavesPerEU: 4
; NumVGPRsForWavesPerEU: 1
; AccumOffset: 4
; Occupancy: 8
; WaveLimiterHint : 0
; COMPUTE_PGM_RSRC2:SCRATCH_EN: 0
; COMPUTE_PGM_RSRC2:USER_SGPR: 6
; COMPUTE_PGM_RSRC2:TRAP_HANDLER: 0
; COMPUTE_PGM_RSRC2:TGID_X_EN: 1
; COMPUTE_PGM_RSRC2:TGID_Y_EN: 0
; COMPUTE_PGM_RSRC2:TGID_Z_EN: 0
; COMPUTE_PGM_RSRC2:TIDIG_COMP_CNT: 0
; COMPUTE_PGM_RSRC3_GFX90A:ACCUM_OFFSET: 0
; COMPUTE_PGM_RSRC3_GFX90A:TG_SPLIT: 0
	.section	.text._ZN7rocprim17ROCPRIM_400000_NS6detail17trampoline_kernelINS0_14default_configENS1_25partition_config_selectorILNS1_17partition_subalgoE1EiNS0_10empty_typeEbEEZZNS1_14partition_implILS5_1ELb0ES3_jN6thrust23THRUST_200600_302600_NS6detail15normal_iteratorINSA_10device_ptrIiEEEEPS6_NSA_18transform_iteratorI7is_evenIiESF_NSA_11use_defaultESK_EENS0_5tupleIJSF_NSA_16discard_iteratorISK_EEEEENSM_IJSG_SG_EEES6_PlJS6_EEE10hipError_tPvRmT3_T4_T5_T6_T7_T9_mT8_P12ihipStream_tbDpT10_ENKUlT_T0_E_clISt17integral_constantIbLb0EES1A_IbLb1EEEEDaS16_S17_EUlS16_E_NS1_11comp_targetILNS1_3genE8ELNS1_11target_archE1030ELNS1_3gpuE2ELNS1_3repE0EEENS1_30default_config_static_selectorELNS0_4arch9wavefront6targetE1EEEvT1_,"axG",@progbits,_ZN7rocprim17ROCPRIM_400000_NS6detail17trampoline_kernelINS0_14default_configENS1_25partition_config_selectorILNS1_17partition_subalgoE1EiNS0_10empty_typeEbEEZZNS1_14partition_implILS5_1ELb0ES3_jN6thrust23THRUST_200600_302600_NS6detail15normal_iteratorINSA_10device_ptrIiEEEEPS6_NSA_18transform_iteratorI7is_evenIiESF_NSA_11use_defaultESK_EENS0_5tupleIJSF_NSA_16discard_iteratorISK_EEEEENSM_IJSG_SG_EEES6_PlJS6_EEE10hipError_tPvRmT3_T4_T5_T6_T7_T9_mT8_P12ihipStream_tbDpT10_ENKUlT_T0_E_clISt17integral_constantIbLb0EES1A_IbLb1EEEEDaS16_S17_EUlS16_E_NS1_11comp_targetILNS1_3genE8ELNS1_11target_archE1030ELNS1_3gpuE2ELNS1_3repE0EEENS1_30default_config_static_selectorELNS0_4arch9wavefront6targetE1EEEvT1_,comdat
	.protected	_ZN7rocprim17ROCPRIM_400000_NS6detail17trampoline_kernelINS0_14default_configENS1_25partition_config_selectorILNS1_17partition_subalgoE1EiNS0_10empty_typeEbEEZZNS1_14partition_implILS5_1ELb0ES3_jN6thrust23THRUST_200600_302600_NS6detail15normal_iteratorINSA_10device_ptrIiEEEEPS6_NSA_18transform_iteratorI7is_evenIiESF_NSA_11use_defaultESK_EENS0_5tupleIJSF_NSA_16discard_iteratorISK_EEEEENSM_IJSG_SG_EEES6_PlJS6_EEE10hipError_tPvRmT3_T4_T5_T6_T7_T9_mT8_P12ihipStream_tbDpT10_ENKUlT_T0_E_clISt17integral_constantIbLb0EES1A_IbLb1EEEEDaS16_S17_EUlS16_E_NS1_11comp_targetILNS1_3genE8ELNS1_11target_archE1030ELNS1_3gpuE2ELNS1_3repE0EEENS1_30default_config_static_selectorELNS0_4arch9wavefront6targetE1EEEvT1_ ; -- Begin function _ZN7rocprim17ROCPRIM_400000_NS6detail17trampoline_kernelINS0_14default_configENS1_25partition_config_selectorILNS1_17partition_subalgoE1EiNS0_10empty_typeEbEEZZNS1_14partition_implILS5_1ELb0ES3_jN6thrust23THRUST_200600_302600_NS6detail15normal_iteratorINSA_10device_ptrIiEEEEPS6_NSA_18transform_iteratorI7is_evenIiESF_NSA_11use_defaultESK_EENS0_5tupleIJSF_NSA_16discard_iteratorISK_EEEEENSM_IJSG_SG_EEES6_PlJS6_EEE10hipError_tPvRmT3_T4_T5_T6_T7_T9_mT8_P12ihipStream_tbDpT10_ENKUlT_T0_E_clISt17integral_constantIbLb0EES1A_IbLb1EEEEDaS16_S17_EUlS16_E_NS1_11comp_targetILNS1_3genE8ELNS1_11target_archE1030ELNS1_3gpuE2ELNS1_3repE0EEENS1_30default_config_static_selectorELNS0_4arch9wavefront6targetE1EEEvT1_
	.globl	_ZN7rocprim17ROCPRIM_400000_NS6detail17trampoline_kernelINS0_14default_configENS1_25partition_config_selectorILNS1_17partition_subalgoE1EiNS0_10empty_typeEbEEZZNS1_14partition_implILS5_1ELb0ES3_jN6thrust23THRUST_200600_302600_NS6detail15normal_iteratorINSA_10device_ptrIiEEEEPS6_NSA_18transform_iteratorI7is_evenIiESF_NSA_11use_defaultESK_EENS0_5tupleIJSF_NSA_16discard_iteratorISK_EEEEENSM_IJSG_SG_EEES6_PlJS6_EEE10hipError_tPvRmT3_T4_T5_T6_T7_T9_mT8_P12ihipStream_tbDpT10_ENKUlT_T0_E_clISt17integral_constantIbLb0EES1A_IbLb1EEEEDaS16_S17_EUlS16_E_NS1_11comp_targetILNS1_3genE8ELNS1_11target_archE1030ELNS1_3gpuE2ELNS1_3repE0EEENS1_30default_config_static_selectorELNS0_4arch9wavefront6targetE1EEEvT1_
	.p2align	8
	.type	_ZN7rocprim17ROCPRIM_400000_NS6detail17trampoline_kernelINS0_14default_configENS1_25partition_config_selectorILNS1_17partition_subalgoE1EiNS0_10empty_typeEbEEZZNS1_14partition_implILS5_1ELb0ES3_jN6thrust23THRUST_200600_302600_NS6detail15normal_iteratorINSA_10device_ptrIiEEEEPS6_NSA_18transform_iteratorI7is_evenIiESF_NSA_11use_defaultESK_EENS0_5tupleIJSF_NSA_16discard_iteratorISK_EEEEENSM_IJSG_SG_EEES6_PlJS6_EEE10hipError_tPvRmT3_T4_T5_T6_T7_T9_mT8_P12ihipStream_tbDpT10_ENKUlT_T0_E_clISt17integral_constantIbLb0EES1A_IbLb1EEEEDaS16_S17_EUlS16_E_NS1_11comp_targetILNS1_3genE8ELNS1_11target_archE1030ELNS1_3gpuE2ELNS1_3repE0EEENS1_30default_config_static_selectorELNS0_4arch9wavefront6targetE1EEEvT1_,@function
_ZN7rocprim17ROCPRIM_400000_NS6detail17trampoline_kernelINS0_14default_configENS1_25partition_config_selectorILNS1_17partition_subalgoE1EiNS0_10empty_typeEbEEZZNS1_14partition_implILS5_1ELb0ES3_jN6thrust23THRUST_200600_302600_NS6detail15normal_iteratorINSA_10device_ptrIiEEEEPS6_NSA_18transform_iteratorI7is_evenIiESF_NSA_11use_defaultESK_EENS0_5tupleIJSF_NSA_16discard_iteratorISK_EEEEENSM_IJSG_SG_EEES6_PlJS6_EEE10hipError_tPvRmT3_T4_T5_T6_T7_T9_mT8_P12ihipStream_tbDpT10_ENKUlT_T0_E_clISt17integral_constantIbLb0EES1A_IbLb1EEEEDaS16_S17_EUlS16_E_NS1_11comp_targetILNS1_3genE8ELNS1_11target_archE1030ELNS1_3gpuE2ELNS1_3repE0EEENS1_30default_config_static_selectorELNS0_4arch9wavefront6targetE1EEEvT1_: ; @_ZN7rocprim17ROCPRIM_400000_NS6detail17trampoline_kernelINS0_14default_configENS1_25partition_config_selectorILNS1_17partition_subalgoE1EiNS0_10empty_typeEbEEZZNS1_14partition_implILS5_1ELb0ES3_jN6thrust23THRUST_200600_302600_NS6detail15normal_iteratorINSA_10device_ptrIiEEEEPS6_NSA_18transform_iteratorI7is_evenIiESF_NSA_11use_defaultESK_EENS0_5tupleIJSF_NSA_16discard_iteratorISK_EEEEENSM_IJSG_SG_EEES6_PlJS6_EEE10hipError_tPvRmT3_T4_T5_T6_T7_T9_mT8_P12ihipStream_tbDpT10_ENKUlT_T0_E_clISt17integral_constantIbLb0EES1A_IbLb1EEEEDaS16_S17_EUlS16_E_NS1_11comp_targetILNS1_3genE8ELNS1_11target_archE1030ELNS1_3gpuE2ELNS1_3repE0EEENS1_30default_config_static_selectorELNS0_4arch9wavefront6targetE1EEEvT1_
; %bb.0:
	.section	.rodata,"a",@progbits
	.p2align	6, 0x0
	.amdhsa_kernel _ZN7rocprim17ROCPRIM_400000_NS6detail17trampoline_kernelINS0_14default_configENS1_25partition_config_selectorILNS1_17partition_subalgoE1EiNS0_10empty_typeEbEEZZNS1_14partition_implILS5_1ELb0ES3_jN6thrust23THRUST_200600_302600_NS6detail15normal_iteratorINSA_10device_ptrIiEEEEPS6_NSA_18transform_iteratorI7is_evenIiESF_NSA_11use_defaultESK_EENS0_5tupleIJSF_NSA_16discard_iteratorISK_EEEEENSM_IJSG_SG_EEES6_PlJS6_EEE10hipError_tPvRmT3_T4_T5_T6_T7_T9_mT8_P12ihipStream_tbDpT10_ENKUlT_T0_E_clISt17integral_constantIbLb0EES1A_IbLb1EEEEDaS16_S17_EUlS16_E_NS1_11comp_targetILNS1_3genE8ELNS1_11target_archE1030ELNS1_3gpuE2ELNS1_3repE0EEENS1_30default_config_static_selectorELNS0_4arch9wavefront6targetE1EEEvT1_
		.amdhsa_group_segment_fixed_size 0
		.amdhsa_private_segment_fixed_size 0
		.amdhsa_kernarg_size 152
		.amdhsa_user_sgpr_count 6
		.amdhsa_user_sgpr_private_segment_buffer 1
		.amdhsa_user_sgpr_dispatch_ptr 0
		.amdhsa_user_sgpr_queue_ptr 0
		.amdhsa_user_sgpr_kernarg_segment_ptr 1
		.amdhsa_user_sgpr_dispatch_id 0
		.amdhsa_user_sgpr_flat_scratch_init 0
		.amdhsa_user_sgpr_kernarg_preload_length 0
		.amdhsa_user_sgpr_kernarg_preload_offset 0
		.amdhsa_user_sgpr_private_segment_size 0
		.amdhsa_uses_dynamic_stack 0
		.amdhsa_system_sgpr_private_segment_wavefront_offset 0
		.amdhsa_system_sgpr_workgroup_id_x 1
		.amdhsa_system_sgpr_workgroup_id_y 0
		.amdhsa_system_sgpr_workgroup_id_z 0
		.amdhsa_system_sgpr_workgroup_info 0
		.amdhsa_system_vgpr_workitem_id 0
		.amdhsa_next_free_vgpr 1
		.amdhsa_next_free_sgpr 0
		.amdhsa_accum_offset 4
		.amdhsa_reserve_vcc 0
		.amdhsa_reserve_flat_scratch 0
		.amdhsa_float_round_mode_32 0
		.amdhsa_float_round_mode_16_64 0
		.amdhsa_float_denorm_mode_32 3
		.amdhsa_float_denorm_mode_16_64 3
		.amdhsa_dx10_clamp 1
		.amdhsa_ieee_mode 1
		.amdhsa_fp16_overflow 0
		.amdhsa_tg_split 0
		.amdhsa_exception_fp_ieee_invalid_op 0
		.amdhsa_exception_fp_denorm_src 0
		.amdhsa_exception_fp_ieee_div_zero 0
		.amdhsa_exception_fp_ieee_overflow 0
		.amdhsa_exception_fp_ieee_underflow 0
		.amdhsa_exception_fp_ieee_inexact 0
		.amdhsa_exception_int_div_zero 0
	.end_amdhsa_kernel
	.section	.text._ZN7rocprim17ROCPRIM_400000_NS6detail17trampoline_kernelINS0_14default_configENS1_25partition_config_selectorILNS1_17partition_subalgoE1EiNS0_10empty_typeEbEEZZNS1_14partition_implILS5_1ELb0ES3_jN6thrust23THRUST_200600_302600_NS6detail15normal_iteratorINSA_10device_ptrIiEEEEPS6_NSA_18transform_iteratorI7is_evenIiESF_NSA_11use_defaultESK_EENS0_5tupleIJSF_NSA_16discard_iteratorISK_EEEEENSM_IJSG_SG_EEES6_PlJS6_EEE10hipError_tPvRmT3_T4_T5_T6_T7_T9_mT8_P12ihipStream_tbDpT10_ENKUlT_T0_E_clISt17integral_constantIbLb0EES1A_IbLb1EEEEDaS16_S17_EUlS16_E_NS1_11comp_targetILNS1_3genE8ELNS1_11target_archE1030ELNS1_3gpuE2ELNS1_3repE0EEENS1_30default_config_static_selectorELNS0_4arch9wavefront6targetE1EEEvT1_,"axG",@progbits,_ZN7rocprim17ROCPRIM_400000_NS6detail17trampoline_kernelINS0_14default_configENS1_25partition_config_selectorILNS1_17partition_subalgoE1EiNS0_10empty_typeEbEEZZNS1_14partition_implILS5_1ELb0ES3_jN6thrust23THRUST_200600_302600_NS6detail15normal_iteratorINSA_10device_ptrIiEEEEPS6_NSA_18transform_iteratorI7is_evenIiESF_NSA_11use_defaultESK_EENS0_5tupleIJSF_NSA_16discard_iteratorISK_EEEEENSM_IJSG_SG_EEES6_PlJS6_EEE10hipError_tPvRmT3_T4_T5_T6_T7_T9_mT8_P12ihipStream_tbDpT10_ENKUlT_T0_E_clISt17integral_constantIbLb0EES1A_IbLb1EEEEDaS16_S17_EUlS16_E_NS1_11comp_targetILNS1_3genE8ELNS1_11target_archE1030ELNS1_3gpuE2ELNS1_3repE0EEENS1_30default_config_static_selectorELNS0_4arch9wavefront6targetE1EEEvT1_,comdat
.Lfunc_end3322:
	.size	_ZN7rocprim17ROCPRIM_400000_NS6detail17trampoline_kernelINS0_14default_configENS1_25partition_config_selectorILNS1_17partition_subalgoE1EiNS0_10empty_typeEbEEZZNS1_14partition_implILS5_1ELb0ES3_jN6thrust23THRUST_200600_302600_NS6detail15normal_iteratorINSA_10device_ptrIiEEEEPS6_NSA_18transform_iteratorI7is_evenIiESF_NSA_11use_defaultESK_EENS0_5tupleIJSF_NSA_16discard_iteratorISK_EEEEENSM_IJSG_SG_EEES6_PlJS6_EEE10hipError_tPvRmT3_T4_T5_T6_T7_T9_mT8_P12ihipStream_tbDpT10_ENKUlT_T0_E_clISt17integral_constantIbLb0EES1A_IbLb1EEEEDaS16_S17_EUlS16_E_NS1_11comp_targetILNS1_3genE8ELNS1_11target_archE1030ELNS1_3gpuE2ELNS1_3repE0EEENS1_30default_config_static_selectorELNS0_4arch9wavefront6targetE1EEEvT1_, .Lfunc_end3322-_ZN7rocprim17ROCPRIM_400000_NS6detail17trampoline_kernelINS0_14default_configENS1_25partition_config_selectorILNS1_17partition_subalgoE1EiNS0_10empty_typeEbEEZZNS1_14partition_implILS5_1ELb0ES3_jN6thrust23THRUST_200600_302600_NS6detail15normal_iteratorINSA_10device_ptrIiEEEEPS6_NSA_18transform_iteratorI7is_evenIiESF_NSA_11use_defaultESK_EENS0_5tupleIJSF_NSA_16discard_iteratorISK_EEEEENSM_IJSG_SG_EEES6_PlJS6_EEE10hipError_tPvRmT3_T4_T5_T6_T7_T9_mT8_P12ihipStream_tbDpT10_ENKUlT_T0_E_clISt17integral_constantIbLb0EES1A_IbLb1EEEEDaS16_S17_EUlS16_E_NS1_11comp_targetILNS1_3genE8ELNS1_11target_archE1030ELNS1_3gpuE2ELNS1_3repE0EEENS1_30default_config_static_selectorELNS0_4arch9wavefront6targetE1EEEvT1_
                                        ; -- End function
	.section	.AMDGPU.csdata,"",@progbits
; Kernel info:
; codeLenInByte = 0
; NumSgprs: 4
; NumVgprs: 0
; NumAgprs: 0
; TotalNumVgprs: 0
; ScratchSize: 0
; MemoryBound: 0
; FloatMode: 240
; IeeeMode: 1
; LDSByteSize: 0 bytes/workgroup (compile time only)
; SGPRBlocks: 0
; VGPRBlocks: 0
; NumSGPRsForWavesPerEU: 4
; NumVGPRsForWavesPerEU: 1
; AccumOffset: 4
; Occupancy: 8
; WaveLimiterHint : 0
; COMPUTE_PGM_RSRC2:SCRATCH_EN: 0
; COMPUTE_PGM_RSRC2:USER_SGPR: 6
; COMPUTE_PGM_RSRC2:TRAP_HANDLER: 0
; COMPUTE_PGM_RSRC2:TGID_X_EN: 1
; COMPUTE_PGM_RSRC2:TGID_Y_EN: 0
; COMPUTE_PGM_RSRC2:TGID_Z_EN: 0
; COMPUTE_PGM_RSRC2:TIDIG_COMP_CNT: 0
; COMPUTE_PGM_RSRC3_GFX90A:ACCUM_OFFSET: 0
; COMPUTE_PGM_RSRC3_GFX90A:TG_SPLIT: 0
	.section	.text._ZN7rocprim17ROCPRIM_400000_NS6detail17trampoline_kernelINS0_14default_configENS1_25partition_config_selectorILNS1_17partition_subalgoE1EiNS0_10empty_typeEbEEZZNS1_14partition_implILS5_1ELb0ES3_jN6thrust23THRUST_200600_302600_NS6detail15normal_iteratorINSA_10device_ptrIiEEEEPS6_NSA_18transform_iteratorI7is_evenIiESF_NSA_11use_defaultESK_EENS0_5tupleIJNSA_16discard_iteratorISK_EESF_EEENSM_IJSG_SG_EEES6_PlJS6_EEE10hipError_tPvRmT3_T4_T5_T6_T7_T9_mT8_P12ihipStream_tbDpT10_ENKUlT_T0_E_clISt17integral_constantIbLb0EES1B_EEDaS16_S17_EUlS16_E_NS1_11comp_targetILNS1_3genE0ELNS1_11target_archE4294967295ELNS1_3gpuE0ELNS1_3repE0EEENS1_30default_config_static_selectorELNS0_4arch9wavefront6targetE1EEEvT1_,"axG",@progbits,_ZN7rocprim17ROCPRIM_400000_NS6detail17trampoline_kernelINS0_14default_configENS1_25partition_config_selectorILNS1_17partition_subalgoE1EiNS0_10empty_typeEbEEZZNS1_14partition_implILS5_1ELb0ES3_jN6thrust23THRUST_200600_302600_NS6detail15normal_iteratorINSA_10device_ptrIiEEEEPS6_NSA_18transform_iteratorI7is_evenIiESF_NSA_11use_defaultESK_EENS0_5tupleIJNSA_16discard_iteratorISK_EESF_EEENSM_IJSG_SG_EEES6_PlJS6_EEE10hipError_tPvRmT3_T4_T5_T6_T7_T9_mT8_P12ihipStream_tbDpT10_ENKUlT_T0_E_clISt17integral_constantIbLb0EES1B_EEDaS16_S17_EUlS16_E_NS1_11comp_targetILNS1_3genE0ELNS1_11target_archE4294967295ELNS1_3gpuE0ELNS1_3repE0EEENS1_30default_config_static_selectorELNS0_4arch9wavefront6targetE1EEEvT1_,comdat
	.protected	_ZN7rocprim17ROCPRIM_400000_NS6detail17trampoline_kernelINS0_14default_configENS1_25partition_config_selectorILNS1_17partition_subalgoE1EiNS0_10empty_typeEbEEZZNS1_14partition_implILS5_1ELb0ES3_jN6thrust23THRUST_200600_302600_NS6detail15normal_iteratorINSA_10device_ptrIiEEEEPS6_NSA_18transform_iteratorI7is_evenIiESF_NSA_11use_defaultESK_EENS0_5tupleIJNSA_16discard_iteratorISK_EESF_EEENSM_IJSG_SG_EEES6_PlJS6_EEE10hipError_tPvRmT3_T4_T5_T6_T7_T9_mT8_P12ihipStream_tbDpT10_ENKUlT_T0_E_clISt17integral_constantIbLb0EES1B_EEDaS16_S17_EUlS16_E_NS1_11comp_targetILNS1_3genE0ELNS1_11target_archE4294967295ELNS1_3gpuE0ELNS1_3repE0EEENS1_30default_config_static_selectorELNS0_4arch9wavefront6targetE1EEEvT1_ ; -- Begin function _ZN7rocprim17ROCPRIM_400000_NS6detail17trampoline_kernelINS0_14default_configENS1_25partition_config_selectorILNS1_17partition_subalgoE1EiNS0_10empty_typeEbEEZZNS1_14partition_implILS5_1ELb0ES3_jN6thrust23THRUST_200600_302600_NS6detail15normal_iteratorINSA_10device_ptrIiEEEEPS6_NSA_18transform_iteratorI7is_evenIiESF_NSA_11use_defaultESK_EENS0_5tupleIJNSA_16discard_iteratorISK_EESF_EEENSM_IJSG_SG_EEES6_PlJS6_EEE10hipError_tPvRmT3_T4_T5_T6_T7_T9_mT8_P12ihipStream_tbDpT10_ENKUlT_T0_E_clISt17integral_constantIbLb0EES1B_EEDaS16_S17_EUlS16_E_NS1_11comp_targetILNS1_3genE0ELNS1_11target_archE4294967295ELNS1_3gpuE0ELNS1_3repE0EEENS1_30default_config_static_selectorELNS0_4arch9wavefront6targetE1EEEvT1_
	.globl	_ZN7rocprim17ROCPRIM_400000_NS6detail17trampoline_kernelINS0_14default_configENS1_25partition_config_selectorILNS1_17partition_subalgoE1EiNS0_10empty_typeEbEEZZNS1_14partition_implILS5_1ELb0ES3_jN6thrust23THRUST_200600_302600_NS6detail15normal_iteratorINSA_10device_ptrIiEEEEPS6_NSA_18transform_iteratorI7is_evenIiESF_NSA_11use_defaultESK_EENS0_5tupleIJNSA_16discard_iteratorISK_EESF_EEENSM_IJSG_SG_EEES6_PlJS6_EEE10hipError_tPvRmT3_T4_T5_T6_T7_T9_mT8_P12ihipStream_tbDpT10_ENKUlT_T0_E_clISt17integral_constantIbLb0EES1B_EEDaS16_S17_EUlS16_E_NS1_11comp_targetILNS1_3genE0ELNS1_11target_archE4294967295ELNS1_3gpuE0ELNS1_3repE0EEENS1_30default_config_static_selectorELNS0_4arch9wavefront6targetE1EEEvT1_
	.p2align	8
	.type	_ZN7rocprim17ROCPRIM_400000_NS6detail17trampoline_kernelINS0_14default_configENS1_25partition_config_selectorILNS1_17partition_subalgoE1EiNS0_10empty_typeEbEEZZNS1_14partition_implILS5_1ELb0ES3_jN6thrust23THRUST_200600_302600_NS6detail15normal_iteratorINSA_10device_ptrIiEEEEPS6_NSA_18transform_iteratorI7is_evenIiESF_NSA_11use_defaultESK_EENS0_5tupleIJNSA_16discard_iteratorISK_EESF_EEENSM_IJSG_SG_EEES6_PlJS6_EEE10hipError_tPvRmT3_T4_T5_T6_T7_T9_mT8_P12ihipStream_tbDpT10_ENKUlT_T0_E_clISt17integral_constantIbLb0EES1B_EEDaS16_S17_EUlS16_E_NS1_11comp_targetILNS1_3genE0ELNS1_11target_archE4294967295ELNS1_3gpuE0ELNS1_3repE0EEENS1_30default_config_static_selectorELNS0_4arch9wavefront6targetE1EEEvT1_,@function
_ZN7rocprim17ROCPRIM_400000_NS6detail17trampoline_kernelINS0_14default_configENS1_25partition_config_selectorILNS1_17partition_subalgoE1EiNS0_10empty_typeEbEEZZNS1_14partition_implILS5_1ELb0ES3_jN6thrust23THRUST_200600_302600_NS6detail15normal_iteratorINSA_10device_ptrIiEEEEPS6_NSA_18transform_iteratorI7is_evenIiESF_NSA_11use_defaultESK_EENS0_5tupleIJNSA_16discard_iteratorISK_EESF_EEENSM_IJSG_SG_EEES6_PlJS6_EEE10hipError_tPvRmT3_T4_T5_T6_T7_T9_mT8_P12ihipStream_tbDpT10_ENKUlT_T0_E_clISt17integral_constantIbLb0EES1B_EEDaS16_S17_EUlS16_E_NS1_11comp_targetILNS1_3genE0ELNS1_11target_archE4294967295ELNS1_3gpuE0ELNS1_3repE0EEENS1_30default_config_static_selectorELNS0_4arch9wavefront6targetE1EEEvT1_: ; @_ZN7rocprim17ROCPRIM_400000_NS6detail17trampoline_kernelINS0_14default_configENS1_25partition_config_selectorILNS1_17partition_subalgoE1EiNS0_10empty_typeEbEEZZNS1_14partition_implILS5_1ELb0ES3_jN6thrust23THRUST_200600_302600_NS6detail15normal_iteratorINSA_10device_ptrIiEEEEPS6_NSA_18transform_iteratorI7is_evenIiESF_NSA_11use_defaultESK_EENS0_5tupleIJNSA_16discard_iteratorISK_EESF_EEENSM_IJSG_SG_EEES6_PlJS6_EEE10hipError_tPvRmT3_T4_T5_T6_T7_T9_mT8_P12ihipStream_tbDpT10_ENKUlT_T0_E_clISt17integral_constantIbLb0EES1B_EEDaS16_S17_EUlS16_E_NS1_11comp_targetILNS1_3genE0ELNS1_11target_archE4294967295ELNS1_3gpuE0ELNS1_3repE0EEENS1_30default_config_static_selectorELNS0_4arch9wavefront6targetE1EEEvT1_
; %bb.0:
	.section	.rodata,"a",@progbits
	.p2align	6, 0x0
	.amdhsa_kernel _ZN7rocprim17ROCPRIM_400000_NS6detail17trampoline_kernelINS0_14default_configENS1_25partition_config_selectorILNS1_17partition_subalgoE1EiNS0_10empty_typeEbEEZZNS1_14partition_implILS5_1ELb0ES3_jN6thrust23THRUST_200600_302600_NS6detail15normal_iteratorINSA_10device_ptrIiEEEEPS6_NSA_18transform_iteratorI7is_evenIiESF_NSA_11use_defaultESK_EENS0_5tupleIJNSA_16discard_iteratorISK_EESF_EEENSM_IJSG_SG_EEES6_PlJS6_EEE10hipError_tPvRmT3_T4_T5_T6_T7_T9_mT8_P12ihipStream_tbDpT10_ENKUlT_T0_E_clISt17integral_constantIbLb0EES1B_EEDaS16_S17_EUlS16_E_NS1_11comp_targetILNS1_3genE0ELNS1_11target_archE4294967295ELNS1_3gpuE0ELNS1_3repE0EEENS1_30default_config_static_selectorELNS0_4arch9wavefront6targetE1EEEvT1_
		.amdhsa_group_segment_fixed_size 0
		.amdhsa_private_segment_fixed_size 0
		.amdhsa_kernarg_size 136
		.amdhsa_user_sgpr_count 6
		.amdhsa_user_sgpr_private_segment_buffer 1
		.amdhsa_user_sgpr_dispatch_ptr 0
		.amdhsa_user_sgpr_queue_ptr 0
		.amdhsa_user_sgpr_kernarg_segment_ptr 1
		.amdhsa_user_sgpr_dispatch_id 0
		.amdhsa_user_sgpr_flat_scratch_init 0
		.amdhsa_user_sgpr_kernarg_preload_length 0
		.amdhsa_user_sgpr_kernarg_preload_offset 0
		.amdhsa_user_sgpr_private_segment_size 0
		.amdhsa_uses_dynamic_stack 0
		.amdhsa_system_sgpr_private_segment_wavefront_offset 0
		.amdhsa_system_sgpr_workgroup_id_x 1
		.amdhsa_system_sgpr_workgroup_id_y 0
		.amdhsa_system_sgpr_workgroup_id_z 0
		.amdhsa_system_sgpr_workgroup_info 0
		.amdhsa_system_vgpr_workitem_id 0
		.amdhsa_next_free_vgpr 1
		.amdhsa_next_free_sgpr 0
		.amdhsa_accum_offset 4
		.amdhsa_reserve_vcc 0
		.amdhsa_reserve_flat_scratch 0
		.amdhsa_float_round_mode_32 0
		.amdhsa_float_round_mode_16_64 0
		.amdhsa_float_denorm_mode_32 3
		.amdhsa_float_denorm_mode_16_64 3
		.amdhsa_dx10_clamp 1
		.amdhsa_ieee_mode 1
		.amdhsa_fp16_overflow 0
		.amdhsa_tg_split 0
		.amdhsa_exception_fp_ieee_invalid_op 0
		.amdhsa_exception_fp_denorm_src 0
		.amdhsa_exception_fp_ieee_div_zero 0
		.amdhsa_exception_fp_ieee_overflow 0
		.amdhsa_exception_fp_ieee_underflow 0
		.amdhsa_exception_fp_ieee_inexact 0
		.amdhsa_exception_int_div_zero 0
	.end_amdhsa_kernel
	.section	.text._ZN7rocprim17ROCPRIM_400000_NS6detail17trampoline_kernelINS0_14default_configENS1_25partition_config_selectorILNS1_17partition_subalgoE1EiNS0_10empty_typeEbEEZZNS1_14partition_implILS5_1ELb0ES3_jN6thrust23THRUST_200600_302600_NS6detail15normal_iteratorINSA_10device_ptrIiEEEEPS6_NSA_18transform_iteratorI7is_evenIiESF_NSA_11use_defaultESK_EENS0_5tupleIJNSA_16discard_iteratorISK_EESF_EEENSM_IJSG_SG_EEES6_PlJS6_EEE10hipError_tPvRmT3_T4_T5_T6_T7_T9_mT8_P12ihipStream_tbDpT10_ENKUlT_T0_E_clISt17integral_constantIbLb0EES1B_EEDaS16_S17_EUlS16_E_NS1_11comp_targetILNS1_3genE0ELNS1_11target_archE4294967295ELNS1_3gpuE0ELNS1_3repE0EEENS1_30default_config_static_selectorELNS0_4arch9wavefront6targetE1EEEvT1_,"axG",@progbits,_ZN7rocprim17ROCPRIM_400000_NS6detail17trampoline_kernelINS0_14default_configENS1_25partition_config_selectorILNS1_17partition_subalgoE1EiNS0_10empty_typeEbEEZZNS1_14partition_implILS5_1ELb0ES3_jN6thrust23THRUST_200600_302600_NS6detail15normal_iteratorINSA_10device_ptrIiEEEEPS6_NSA_18transform_iteratorI7is_evenIiESF_NSA_11use_defaultESK_EENS0_5tupleIJNSA_16discard_iteratorISK_EESF_EEENSM_IJSG_SG_EEES6_PlJS6_EEE10hipError_tPvRmT3_T4_T5_T6_T7_T9_mT8_P12ihipStream_tbDpT10_ENKUlT_T0_E_clISt17integral_constantIbLb0EES1B_EEDaS16_S17_EUlS16_E_NS1_11comp_targetILNS1_3genE0ELNS1_11target_archE4294967295ELNS1_3gpuE0ELNS1_3repE0EEENS1_30default_config_static_selectorELNS0_4arch9wavefront6targetE1EEEvT1_,comdat
.Lfunc_end3323:
	.size	_ZN7rocprim17ROCPRIM_400000_NS6detail17trampoline_kernelINS0_14default_configENS1_25partition_config_selectorILNS1_17partition_subalgoE1EiNS0_10empty_typeEbEEZZNS1_14partition_implILS5_1ELb0ES3_jN6thrust23THRUST_200600_302600_NS6detail15normal_iteratorINSA_10device_ptrIiEEEEPS6_NSA_18transform_iteratorI7is_evenIiESF_NSA_11use_defaultESK_EENS0_5tupleIJNSA_16discard_iteratorISK_EESF_EEENSM_IJSG_SG_EEES6_PlJS6_EEE10hipError_tPvRmT3_T4_T5_T6_T7_T9_mT8_P12ihipStream_tbDpT10_ENKUlT_T0_E_clISt17integral_constantIbLb0EES1B_EEDaS16_S17_EUlS16_E_NS1_11comp_targetILNS1_3genE0ELNS1_11target_archE4294967295ELNS1_3gpuE0ELNS1_3repE0EEENS1_30default_config_static_selectorELNS0_4arch9wavefront6targetE1EEEvT1_, .Lfunc_end3323-_ZN7rocprim17ROCPRIM_400000_NS6detail17trampoline_kernelINS0_14default_configENS1_25partition_config_selectorILNS1_17partition_subalgoE1EiNS0_10empty_typeEbEEZZNS1_14partition_implILS5_1ELb0ES3_jN6thrust23THRUST_200600_302600_NS6detail15normal_iteratorINSA_10device_ptrIiEEEEPS6_NSA_18transform_iteratorI7is_evenIiESF_NSA_11use_defaultESK_EENS0_5tupleIJNSA_16discard_iteratorISK_EESF_EEENSM_IJSG_SG_EEES6_PlJS6_EEE10hipError_tPvRmT3_T4_T5_T6_T7_T9_mT8_P12ihipStream_tbDpT10_ENKUlT_T0_E_clISt17integral_constantIbLb0EES1B_EEDaS16_S17_EUlS16_E_NS1_11comp_targetILNS1_3genE0ELNS1_11target_archE4294967295ELNS1_3gpuE0ELNS1_3repE0EEENS1_30default_config_static_selectorELNS0_4arch9wavefront6targetE1EEEvT1_
                                        ; -- End function
	.section	.AMDGPU.csdata,"",@progbits
; Kernel info:
; codeLenInByte = 0
; NumSgprs: 4
; NumVgprs: 0
; NumAgprs: 0
; TotalNumVgprs: 0
; ScratchSize: 0
; MemoryBound: 0
; FloatMode: 240
; IeeeMode: 1
; LDSByteSize: 0 bytes/workgroup (compile time only)
; SGPRBlocks: 0
; VGPRBlocks: 0
; NumSGPRsForWavesPerEU: 4
; NumVGPRsForWavesPerEU: 1
; AccumOffset: 4
; Occupancy: 8
; WaveLimiterHint : 0
; COMPUTE_PGM_RSRC2:SCRATCH_EN: 0
; COMPUTE_PGM_RSRC2:USER_SGPR: 6
; COMPUTE_PGM_RSRC2:TRAP_HANDLER: 0
; COMPUTE_PGM_RSRC2:TGID_X_EN: 1
; COMPUTE_PGM_RSRC2:TGID_Y_EN: 0
; COMPUTE_PGM_RSRC2:TGID_Z_EN: 0
; COMPUTE_PGM_RSRC2:TIDIG_COMP_CNT: 0
; COMPUTE_PGM_RSRC3_GFX90A:ACCUM_OFFSET: 0
; COMPUTE_PGM_RSRC3_GFX90A:TG_SPLIT: 0
	.section	.text._ZN7rocprim17ROCPRIM_400000_NS6detail17trampoline_kernelINS0_14default_configENS1_25partition_config_selectorILNS1_17partition_subalgoE1EiNS0_10empty_typeEbEEZZNS1_14partition_implILS5_1ELb0ES3_jN6thrust23THRUST_200600_302600_NS6detail15normal_iteratorINSA_10device_ptrIiEEEEPS6_NSA_18transform_iteratorI7is_evenIiESF_NSA_11use_defaultESK_EENS0_5tupleIJNSA_16discard_iteratorISK_EESF_EEENSM_IJSG_SG_EEES6_PlJS6_EEE10hipError_tPvRmT3_T4_T5_T6_T7_T9_mT8_P12ihipStream_tbDpT10_ENKUlT_T0_E_clISt17integral_constantIbLb0EES1B_EEDaS16_S17_EUlS16_E_NS1_11comp_targetILNS1_3genE5ELNS1_11target_archE942ELNS1_3gpuE9ELNS1_3repE0EEENS1_30default_config_static_selectorELNS0_4arch9wavefront6targetE1EEEvT1_,"axG",@progbits,_ZN7rocprim17ROCPRIM_400000_NS6detail17trampoline_kernelINS0_14default_configENS1_25partition_config_selectorILNS1_17partition_subalgoE1EiNS0_10empty_typeEbEEZZNS1_14partition_implILS5_1ELb0ES3_jN6thrust23THRUST_200600_302600_NS6detail15normal_iteratorINSA_10device_ptrIiEEEEPS6_NSA_18transform_iteratorI7is_evenIiESF_NSA_11use_defaultESK_EENS0_5tupleIJNSA_16discard_iteratorISK_EESF_EEENSM_IJSG_SG_EEES6_PlJS6_EEE10hipError_tPvRmT3_T4_T5_T6_T7_T9_mT8_P12ihipStream_tbDpT10_ENKUlT_T0_E_clISt17integral_constantIbLb0EES1B_EEDaS16_S17_EUlS16_E_NS1_11comp_targetILNS1_3genE5ELNS1_11target_archE942ELNS1_3gpuE9ELNS1_3repE0EEENS1_30default_config_static_selectorELNS0_4arch9wavefront6targetE1EEEvT1_,comdat
	.protected	_ZN7rocprim17ROCPRIM_400000_NS6detail17trampoline_kernelINS0_14default_configENS1_25partition_config_selectorILNS1_17partition_subalgoE1EiNS0_10empty_typeEbEEZZNS1_14partition_implILS5_1ELb0ES3_jN6thrust23THRUST_200600_302600_NS6detail15normal_iteratorINSA_10device_ptrIiEEEEPS6_NSA_18transform_iteratorI7is_evenIiESF_NSA_11use_defaultESK_EENS0_5tupleIJNSA_16discard_iteratorISK_EESF_EEENSM_IJSG_SG_EEES6_PlJS6_EEE10hipError_tPvRmT3_T4_T5_T6_T7_T9_mT8_P12ihipStream_tbDpT10_ENKUlT_T0_E_clISt17integral_constantIbLb0EES1B_EEDaS16_S17_EUlS16_E_NS1_11comp_targetILNS1_3genE5ELNS1_11target_archE942ELNS1_3gpuE9ELNS1_3repE0EEENS1_30default_config_static_selectorELNS0_4arch9wavefront6targetE1EEEvT1_ ; -- Begin function _ZN7rocprim17ROCPRIM_400000_NS6detail17trampoline_kernelINS0_14default_configENS1_25partition_config_selectorILNS1_17partition_subalgoE1EiNS0_10empty_typeEbEEZZNS1_14partition_implILS5_1ELb0ES3_jN6thrust23THRUST_200600_302600_NS6detail15normal_iteratorINSA_10device_ptrIiEEEEPS6_NSA_18transform_iteratorI7is_evenIiESF_NSA_11use_defaultESK_EENS0_5tupleIJNSA_16discard_iteratorISK_EESF_EEENSM_IJSG_SG_EEES6_PlJS6_EEE10hipError_tPvRmT3_T4_T5_T6_T7_T9_mT8_P12ihipStream_tbDpT10_ENKUlT_T0_E_clISt17integral_constantIbLb0EES1B_EEDaS16_S17_EUlS16_E_NS1_11comp_targetILNS1_3genE5ELNS1_11target_archE942ELNS1_3gpuE9ELNS1_3repE0EEENS1_30default_config_static_selectorELNS0_4arch9wavefront6targetE1EEEvT1_
	.globl	_ZN7rocprim17ROCPRIM_400000_NS6detail17trampoline_kernelINS0_14default_configENS1_25partition_config_selectorILNS1_17partition_subalgoE1EiNS0_10empty_typeEbEEZZNS1_14partition_implILS5_1ELb0ES3_jN6thrust23THRUST_200600_302600_NS6detail15normal_iteratorINSA_10device_ptrIiEEEEPS6_NSA_18transform_iteratorI7is_evenIiESF_NSA_11use_defaultESK_EENS0_5tupleIJNSA_16discard_iteratorISK_EESF_EEENSM_IJSG_SG_EEES6_PlJS6_EEE10hipError_tPvRmT3_T4_T5_T6_T7_T9_mT8_P12ihipStream_tbDpT10_ENKUlT_T0_E_clISt17integral_constantIbLb0EES1B_EEDaS16_S17_EUlS16_E_NS1_11comp_targetILNS1_3genE5ELNS1_11target_archE942ELNS1_3gpuE9ELNS1_3repE0EEENS1_30default_config_static_selectorELNS0_4arch9wavefront6targetE1EEEvT1_
	.p2align	8
	.type	_ZN7rocprim17ROCPRIM_400000_NS6detail17trampoline_kernelINS0_14default_configENS1_25partition_config_selectorILNS1_17partition_subalgoE1EiNS0_10empty_typeEbEEZZNS1_14partition_implILS5_1ELb0ES3_jN6thrust23THRUST_200600_302600_NS6detail15normal_iteratorINSA_10device_ptrIiEEEEPS6_NSA_18transform_iteratorI7is_evenIiESF_NSA_11use_defaultESK_EENS0_5tupleIJNSA_16discard_iteratorISK_EESF_EEENSM_IJSG_SG_EEES6_PlJS6_EEE10hipError_tPvRmT3_T4_T5_T6_T7_T9_mT8_P12ihipStream_tbDpT10_ENKUlT_T0_E_clISt17integral_constantIbLb0EES1B_EEDaS16_S17_EUlS16_E_NS1_11comp_targetILNS1_3genE5ELNS1_11target_archE942ELNS1_3gpuE9ELNS1_3repE0EEENS1_30default_config_static_selectorELNS0_4arch9wavefront6targetE1EEEvT1_,@function
_ZN7rocprim17ROCPRIM_400000_NS6detail17trampoline_kernelINS0_14default_configENS1_25partition_config_selectorILNS1_17partition_subalgoE1EiNS0_10empty_typeEbEEZZNS1_14partition_implILS5_1ELb0ES3_jN6thrust23THRUST_200600_302600_NS6detail15normal_iteratorINSA_10device_ptrIiEEEEPS6_NSA_18transform_iteratorI7is_evenIiESF_NSA_11use_defaultESK_EENS0_5tupleIJNSA_16discard_iteratorISK_EESF_EEENSM_IJSG_SG_EEES6_PlJS6_EEE10hipError_tPvRmT3_T4_T5_T6_T7_T9_mT8_P12ihipStream_tbDpT10_ENKUlT_T0_E_clISt17integral_constantIbLb0EES1B_EEDaS16_S17_EUlS16_E_NS1_11comp_targetILNS1_3genE5ELNS1_11target_archE942ELNS1_3gpuE9ELNS1_3repE0EEENS1_30default_config_static_selectorELNS0_4arch9wavefront6targetE1EEEvT1_: ; @_ZN7rocprim17ROCPRIM_400000_NS6detail17trampoline_kernelINS0_14default_configENS1_25partition_config_selectorILNS1_17partition_subalgoE1EiNS0_10empty_typeEbEEZZNS1_14partition_implILS5_1ELb0ES3_jN6thrust23THRUST_200600_302600_NS6detail15normal_iteratorINSA_10device_ptrIiEEEEPS6_NSA_18transform_iteratorI7is_evenIiESF_NSA_11use_defaultESK_EENS0_5tupleIJNSA_16discard_iteratorISK_EESF_EEENSM_IJSG_SG_EEES6_PlJS6_EEE10hipError_tPvRmT3_T4_T5_T6_T7_T9_mT8_P12ihipStream_tbDpT10_ENKUlT_T0_E_clISt17integral_constantIbLb0EES1B_EEDaS16_S17_EUlS16_E_NS1_11comp_targetILNS1_3genE5ELNS1_11target_archE942ELNS1_3gpuE9ELNS1_3repE0EEENS1_30default_config_static_selectorELNS0_4arch9wavefront6targetE1EEEvT1_
; %bb.0:
	.section	.rodata,"a",@progbits
	.p2align	6, 0x0
	.amdhsa_kernel _ZN7rocprim17ROCPRIM_400000_NS6detail17trampoline_kernelINS0_14default_configENS1_25partition_config_selectorILNS1_17partition_subalgoE1EiNS0_10empty_typeEbEEZZNS1_14partition_implILS5_1ELb0ES3_jN6thrust23THRUST_200600_302600_NS6detail15normal_iteratorINSA_10device_ptrIiEEEEPS6_NSA_18transform_iteratorI7is_evenIiESF_NSA_11use_defaultESK_EENS0_5tupleIJNSA_16discard_iteratorISK_EESF_EEENSM_IJSG_SG_EEES6_PlJS6_EEE10hipError_tPvRmT3_T4_T5_T6_T7_T9_mT8_P12ihipStream_tbDpT10_ENKUlT_T0_E_clISt17integral_constantIbLb0EES1B_EEDaS16_S17_EUlS16_E_NS1_11comp_targetILNS1_3genE5ELNS1_11target_archE942ELNS1_3gpuE9ELNS1_3repE0EEENS1_30default_config_static_selectorELNS0_4arch9wavefront6targetE1EEEvT1_
		.amdhsa_group_segment_fixed_size 0
		.amdhsa_private_segment_fixed_size 0
		.amdhsa_kernarg_size 136
		.amdhsa_user_sgpr_count 6
		.amdhsa_user_sgpr_private_segment_buffer 1
		.amdhsa_user_sgpr_dispatch_ptr 0
		.amdhsa_user_sgpr_queue_ptr 0
		.amdhsa_user_sgpr_kernarg_segment_ptr 1
		.amdhsa_user_sgpr_dispatch_id 0
		.amdhsa_user_sgpr_flat_scratch_init 0
		.amdhsa_user_sgpr_kernarg_preload_length 0
		.amdhsa_user_sgpr_kernarg_preload_offset 0
		.amdhsa_user_sgpr_private_segment_size 0
		.amdhsa_uses_dynamic_stack 0
		.amdhsa_system_sgpr_private_segment_wavefront_offset 0
		.amdhsa_system_sgpr_workgroup_id_x 1
		.amdhsa_system_sgpr_workgroup_id_y 0
		.amdhsa_system_sgpr_workgroup_id_z 0
		.amdhsa_system_sgpr_workgroup_info 0
		.amdhsa_system_vgpr_workitem_id 0
		.amdhsa_next_free_vgpr 1
		.amdhsa_next_free_sgpr 0
		.amdhsa_accum_offset 4
		.amdhsa_reserve_vcc 0
		.amdhsa_reserve_flat_scratch 0
		.amdhsa_float_round_mode_32 0
		.amdhsa_float_round_mode_16_64 0
		.amdhsa_float_denorm_mode_32 3
		.amdhsa_float_denorm_mode_16_64 3
		.amdhsa_dx10_clamp 1
		.amdhsa_ieee_mode 1
		.amdhsa_fp16_overflow 0
		.amdhsa_tg_split 0
		.amdhsa_exception_fp_ieee_invalid_op 0
		.amdhsa_exception_fp_denorm_src 0
		.amdhsa_exception_fp_ieee_div_zero 0
		.amdhsa_exception_fp_ieee_overflow 0
		.amdhsa_exception_fp_ieee_underflow 0
		.amdhsa_exception_fp_ieee_inexact 0
		.amdhsa_exception_int_div_zero 0
	.end_amdhsa_kernel
	.section	.text._ZN7rocprim17ROCPRIM_400000_NS6detail17trampoline_kernelINS0_14default_configENS1_25partition_config_selectorILNS1_17partition_subalgoE1EiNS0_10empty_typeEbEEZZNS1_14partition_implILS5_1ELb0ES3_jN6thrust23THRUST_200600_302600_NS6detail15normal_iteratorINSA_10device_ptrIiEEEEPS6_NSA_18transform_iteratorI7is_evenIiESF_NSA_11use_defaultESK_EENS0_5tupleIJNSA_16discard_iteratorISK_EESF_EEENSM_IJSG_SG_EEES6_PlJS6_EEE10hipError_tPvRmT3_T4_T5_T6_T7_T9_mT8_P12ihipStream_tbDpT10_ENKUlT_T0_E_clISt17integral_constantIbLb0EES1B_EEDaS16_S17_EUlS16_E_NS1_11comp_targetILNS1_3genE5ELNS1_11target_archE942ELNS1_3gpuE9ELNS1_3repE0EEENS1_30default_config_static_selectorELNS0_4arch9wavefront6targetE1EEEvT1_,"axG",@progbits,_ZN7rocprim17ROCPRIM_400000_NS6detail17trampoline_kernelINS0_14default_configENS1_25partition_config_selectorILNS1_17partition_subalgoE1EiNS0_10empty_typeEbEEZZNS1_14partition_implILS5_1ELb0ES3_jN6thrust23THRUST_200600_302600_NS6detail15normal_iteratorINSA_10device_ptrIiEEEEPS6_NSA_18transform_iteratorI7is_evenIiESF_NSA_11use_defaultESK_EENS0_5tupleIJNSA_16discard_iteratorISK_EESF_EEENSM_IJSG_SG_EEES6_PlJS6_EEE10hipError_tPvRmT3_T4_T5_T6_T7_T9_mT8_P12ihipStream_tbDpT10_ENKUlT_T0_E_clISt17integral_constantIbLb0EES1B_EEDaS16_S17_EUlS16_E_NS1_11comp_targetILNS1_3genE5ELNS1_11target_archE942ELNS1_3gpuE9ELNS1_3repE0EEENS1_30default_config_static_selectorELNS0_4arch9wavefront6targetE1EEEvT1_,comdat
.Lfunc_end3324:
	.size	_ZN7rocprim17ROCPRIM_400000_NS6detail17trampoline_kernelINS0_14default_configENS1_25partition_config_selectorILNS1_17partition_subalgoE1EiNS0_10empty_typeEbEEZZNS1_14partition_implILS5_1ELb0ES3_jN6thrust23THRUST_200600_302600_NS6detail15normal_iteratorINSA_10device_ptrIiEEEEPS6_NSA_18transform_iteratorI7is_evenIiESF_NSA_11use_defaultESK_EENS0_5tupleIJNSA_16discard_iteratorISK_EESF_EEENSM_IJSG_SG_EEES6_PlJS6_EEE10hipError_tPvRmT3_T4_T5_T6_T7_T9_mT8_P12ihipStream_tbDpT10_ENKUlT_T0_E_clISt17integral_constantIbLb0EES1B_EEDaS16_S17_EUlS16_E_NS1_11comp_targetILNS1_3genE5ELNS1_11target_archE942ELNS1_3gpuE9ELNS1_3repE0EEENS1_30default_config_static_selectorELNS0_4arch9wavefront6targetE1EEEvT1_, .Lfunc_end3324-_ZN7rocprim17ROCPRIM_400000_NS6detail17trampoline_kernelINS0_14default_configENS1_25partition_config_selectorILNS1_17partition_subalgoE1EiNS0_10empty_typeEbEEZZNS1_14partition_implILS5_1ELb0ES3_jN6thrust23THRUST_200600_302600_NS6detail15normal_iteratorINSA_10device_ptrIiEEEEPS6_NSA_18transform_iteratorI7is_evenIiESF_NSA_11use_defaultESK_EENS0_5tupleIJNSA_16discard_iteratorISK_EESF_EEENSM_IJSG_SG_EEES6_PlJS6_EEE10hipError_tPvRmT3_T4_T5_T6_T7_T9_mT8_P12ihipStream_tbDpT10_ENKUlT_T0_E_clISt17integral_constantIbLb0EES1B_EEDaS16_S17_EUlS16_E_NS1_11comp_targetILNS1_3genE5ELNS1_11target_archE942ELNS1_3gpuE9ELNS1_3repE0EEENS1_30default_config_static_selectorELNS0_4arch9wavefront6targetE1EEEvT1_
                                        ; -- End function
	.section	.AMDGPU.csdata,"",@progbits
; Kernel info:
; codeLenInByte = 0
; NumSgprs: 4
; NumVgprs: 0
; NumAgprs: 0
; TotalNumVgprs: 0
; ScratchSize: 0
; MemoryBound: 0
; FloatMode: 240
; IeeeMode: 1
; LDSByteSize: 0 bytes/workgroup (compile time only)
; SGPRBlocks: 0
; VGPRBlocks: 0
; NumSGPRsForWavesPerEU: 4
; NumVGPRsForWavesPerEU: 1
; AccumOffset: 4
; Occupancy: 8
; WaveLimiterHint : 0
; COMPUTE_PGM_RSRC2:SCRATCH_EN: 0
; COMPUTE_PGM_RSRC2:USER_SGPR: 6
; COMPUTE_PGM_RSRC2:TRAP_HANDLER: 0
; COMPUTE_PGM_RSRC2:TGID_X_EN: 1
; COMPUTE_PGM_RSRC2:TGID_Y_EN: 0
; COMPUTE_PGM_RSRC2:TGID_Z_EN: 0
; COMPUTE_PGM_RSRC2:TIDIG_COMP_CNT: 0
; COMPUTE_PGM_RSRC3_GFX90A:ACCUM_OFFSET: 0
; COMPUTE_PGM_RSRC3_GFX90A:TG_SPLIT: 0
	.section	.text._ZN7rocprim17ROCPRIM_400000_NS6detail17trampoline_kernelINS0_14default_configENS1_25partition_config_selectorILNS1_17partition_subalgoE1EiNS0_10empty_typeEbEEZZNS1_14partition_implILS5_1ELb0ES3_jN6thrust23THRUST_200600_302600_NS6detail15normal_iteratorINSA_10device_ptrIiEEEEPS6_NSA_18transform_iteratorI7is_evenIiESF_NSA_11use_defaultESK_EENS0_5tupleIJNSA_16discard_iteratorISK_EESF_EEENSM_IJSG_SG_EEES6_PlJS6_EEE10hipError_tPvRmT3_T4_T5_T6_T7_T9_mT8_P12ihipStream_tbDpT10_ENKUlT_T0_E_clISt17integral_constantIbLb0EES1B_EEDaS16_S17_EUlS16_E_NS1_11comp_targetILNS1_3genE4ELNS1_11target_archE910ELNS1_3gpuE8ELNS1_3repE0EEENS1_30default_config_static_selectorELNS0_4arch9wavefront6targetE1EEEvT1_,"axG",@progbits,_ZN7rocprim17ROCPRIM_400000_NS6detail17trampoline_kernelINS0_14default_configENS1_25partition_config_selectorILNS1_17partition_subalgoE1EiNS0_10empty_typeEbEEZZNS1_14partition_implILS5_1ELb0ES3_jN6thrust23THRUST_200600_302600_NS6detail15normal_iteratorINSA_10device_ptrIiEEEEPS6_NSA_18transform_iteratorI7is_evenIiESF_NSA_11use_defaultESK_EENS0_5tupleIJNSA_16discard_iteratorISK_EESF_EEENSM_IJSG_SG_EEES6_PlJS6_EEE10hipError_tPvRmT3_T4_T5_T6_T7_T9_mT8_P12ihipStream_tbDpT10_ENKUlT_T0_E_clISt17integral_constantIbLb0EES1B_EEDaS16_S17_EUlS16_E_NS1_11comp_targetILNS1_3genE4ELNS1_11target_archE910ELNS1_3gpuE8ELNS1_3repE0EEENS1_30default_config_static_selectorELNS0_4arch9wavefront6targetE1EEEvT1_,comdat
	.protected	_ZN7rocprim17ROCPRIM_400000_NS6detail17trampoline_kernelINS0_14default_configENS1_25partition_config_selectorILNS1_17partition_subalgoE1EiNS0_10empty_typeEbEEZZNS1_14partition_implILS5_1ELb0ES3_jN6thrust23THRUST_200600_302600_NS6detail15normal_iteratorINSA_10device_ptrIiEEEEPS6_NSA_18transform_iteratorI7is_evenIiESF_NSA_11use_defaultESK_EENS0_5tupleIJNSA_16discard_iteratorISK_EESF_EEENSM_IJSG_SG_EEES6_PlJS6_EEE10hipError_tPvRmT3_T4_T5_T6_T7_T9_mT8_P12ihipStream_tbDpT10_ENKUlT_T0_E_clISt17integral_constantIbLb0EES1B_EEDaS16_S17_EUlS16_E_NS1_11comp_targetILNS1_3genE4ELNS1_11target_archE910ELNS1_3gpuE8ELNS1_3repE0EEENS1_30default_config_static_selectorELNS0_4arch9wavefront6targetE1EEEvT1_ ; -- Begin function _ZN7rocprim17ROCPRIM_400000_NS6detail17trampoline_kernelINS0_14default_configENS1_25partition_config_selectorILNS1_17partition_subalgoE1EiNS0_10empty_typeEbEEZZNS1_14partition_implILS5_1ELb0ES3_jN6thrust23THRUST_200600_302600_NS6detail15normal_iteratorINSA_10device_ptrIiEEEEPS6_NSA_18transform_iteratorI7is_evenIiESF_NSA_11use_defaultESK_EENS0_5tupleIJNSA_16discard_iteratorISK_EESF_EEENSM_IJSG_SG_EEES6_PlJS6_EEE10hipError_tPvRmT3_T4_T5_T6_T7_T9_mT8_P12ihipStream_tbDpT10_ENKUlT_T0_E_clISt17integral_constantIbLb0EES1B_EEDaS16_S17_EUlS16_E_NS1_11comp_targetILNS1_3genE4ELNS1_11target_archE910ELNS1_3gpuE8ELNS1_3repE0EEENS1_30default_config_static_selectorELNS0_4arch9wavefront6targetE1EEEvT1_
	.globl	_ZN7rocprim17ROCPRIM_400000_NS6detail17trampoline_kernelINS0_14default_configENS1_25partition_config_selectorILNS1_17partition_subalgoE1EiNS0_10empty_typeEbEEZZNS1_14partition_implILS5_1ELb0ES3_jN6thrust23THRUST_200600_302600_NS6detail15normal_iteratorINSA_10device_ptrIiEEEEPS6_NSA_18transform_iteratorI7is_evenIiESF_NSA_11use_defaultESK_EENS0_5tupleIJNSA_16discard_iteratorISK_EESF_EEENSM_IJSG_SG_EEES6_PlJS6_EEE10hipError_tPvRmT3_T4_T5_T6_T7_T9_mT8_P12ihipStream_tbDpT10_ENKUlT_T0_E_clISt17integral_constantIbLb0EES1B_EEDaS16_S17_EUlS16_E_NS1_11comp_targetILNS1_3genE4ELNS1_11target_archE910ELNS1_3gpuE8ELNS1_3repE0EEENS1_30default_config_static_selectorELNS0_4arch9wavefront6targetE1EEEvT1_
	.p2align	8
	.type	_ZN7rocprim17ROCPRIM_400000_NS6detail17trampoline_kernelINS0_14default_configENS1_25partition_config_selectorILNS1_17partition_subalgoE1EiNS0_10empty_typeEbEEZZNS1_14partition_implILS5_1ELb0ES3_jN6thrust23THRUST_200600_302600_NS6detail15normal_iteratorINSA_10device_ptrIiEEEEPS6_NSA_18transform_iteratorI7is_evenIiESF_NSA_11use_defaultESK_EENS0_5tupleIJNSA_16discard_iteratorISK_EESF_EEENSM_IJSG_SG_EEES6_PlJS6_EEE10hipError_tPvRmT3_T4_T5_T6_T7_T9_mT8_P12ihipStream_tbDpT10_ENKUlT_T0_E_clISt17integral_constantIbLb0EES1B_EEDaS16_S17_EUlS16_E_NS1_11comp_targetILNS1_3genE4ELNS1_11target_archE910ELNS1_3gpuE8ELNS1_3repE0EEENS1_30default_config_static_selectorELNS0_4arch9wavefront6targetE1EEEvT1_,@function
_ZN7rocprim17ROCPRIM_400000_NS6detail17trampoline_kernelINS0_14default_configENS1_25partition_config_selectorILNS1_17partition_subalgoE1EiNS0_10empty_typeEbEEZZNS1_14partition_implILS5_1ELb0ES3_jN6thrust23THRUST_200600_302600_NS6detail15normal_iteratorINSA_10device_ptrIiEEEEPS6_NSA_18transform_iteratorI7is_evenIiESF_NSA_11use_defaultESK_EENS0_5tupleIJNSA_16discard_iteratorISK_EESF_EEENSM_IJSG_SG_EEES6_PlJS6_EEE10hipError_tPvRmT3_T4_T5_T6_T7_T9_mT8_P12ihipStream_tbDpT10_ENKUlT_T0_E_clISt17integral_constantIbLb0EES1B_EEDaS16_S17_EUlS16_E_NS1_11comp_targetILNS1_3genE4ELNS1_11target_archE910ELNS1_3gpuE8ELNS1_3repE0EEENS1_30default_config_static_selectorELNS0_4arch9wavefront6targetE1EEEvT1_: ; @_ZN7rocprim17ROCPRIM_400000_NS6detail17trampoline_kernelINS0_14default_configENS1_25partition_config_selectorILNS1_17partition_subalgoE1EiNS0_10empty_typeEbEEZZNS1_14partition_implILS5_1ELb0ES3_jN6thrust23THRUST_200600_302600_NS6detail15normal_iteratorINSA_10device_ptrIiEEEEPS6_NSA_18transform_iteratorI7is_evenIiESF_NSA_11use_defaultESK_EENS0_5tupleIJNSA_16discard_iteratorISK_EESF_EEENSM_IJSG_SG_EEES6_PlJS6_EEE10hipError_tPvRmT3_T4_T5_T6_T7_T9_mT8_P12ihipStream_tbDpT10_ENKUlT_T0_E_clISt17integral_constantIbLb0EES1B_EEDaS16_S17_EUlS16_E_NS1_11comp_targetILNS1_3genE4ELNS1_11target_archE910ELNS1_3gpuE8ELNS1_3repE0EEENS1_30default_config_static_selectorELNS0_4arch9wavefront6targetE1EEEvT1_
; %bb.0:
	s_load_dwordx2 s[0:1], s[4:5], 0x68
	s_load_dwordx4 s[24:27], s[4:5], 0x8
	s_load_dwordx2 s[2:3], s[4:5], 0x20
	s_load_dwordx4 s[20:23], s[4:5], 0x58
	s_mul_i32 s10, s6, 0x700
	s_waitcnt lgkmcnt(0)
	v_mov_b32_e32 v3, s1
	s_load_dword s1, s[4:5], 0x80
	s_lshl_b64 s[8:9], s[26:27], 2
	s_add_u32 s7, s24, s8
	s_addc_u32 s12, s25, s9
	v_mov_b32_e32 v2, s0
	s_waitcnt lgkmcnt(0)
	s_add_i32 s13, s1, -1
	s_mulk_i32 s1, 0x700
	s_add_i32 s11, s1, s26
	s_sub_i32 s33, s0, s11
	s_addk_i32 s33, 0x700
	s_add_u32 s0, s26, s1
	s_addc_u32 s1, s27, 0
	s_cmp_eq_u32 s6, s13
	s_load_dwordx2 s[28:29], s[22:23], 0x0
	s_cselect_b64 s[22:23], -1, 0
	s_cmp_lg_u32 s6, s13
	s_mov_b32 s11, 0
	v_cmp_lt_u64_e32 vcc, s[0:1], v[2:3]
	s_cselect_b64 s[0:1], -1, 0
	s_or_b64 s[24:25], s[0:1], vcc
	s_lshl_b64 s[30:31], s[10:11], 2
	s_add_u32 s7, s7, s30
	s_addc_u32 s12, s12, s31
	s_mov_b64 s[0:1], -1
	s_and_b64 vcc, exec, s[24:25]
	v_lshlrev_b32_e32 v18, 2, v0
	s_cbranch_vccz .LBB3325_2
; %bb.1:
	v_mov_b32_e32 v1, s12
	v_add_co_u32_e32 v2, vcc, s7, v18
	v_addc_co_u32_e32 v3, vcc, 0, v1, vcc
	v_add_co_u32_e32 v4, vcc, 0x1000, v2
	v_addc_co_u32_e32 v5, vcc, 0, v3, vcc
	flat_load_dword v1, v[2:3]
	flat_load_dword v6, v[2:3] offset:1024
	flat_load_dword v7, v[2:3] offset:2048
	;; [unrolled: 1-line block ×3, first 2 shown]
	flat_load_dword v9, v[4:5]
	flat_load_dword v10, v[4:5] offset:1024
	flat_load_dword v11, v[4:5] offset:2048
	s_mov_b64 s[0:1], 0
	s_waitcnt vmcnt(0) lgkmcnt(0)
	ds_write2st64_b32 v18, v1, v6 offset1:4
	ds_write2st64_b32 v18, v7, v8 offset0:8 offset1:12
	ds_write2st64_b32 v18, v9, v10 offset0:16 offset1:20
	ds_write_b32 v18, v11 offset:6144
	s_waitcnt lgkmcnt(0)
	s_barrier
.LBB3325_2:
	s_andn2_b64 vcc, exec, s[0:1]
	v_cmp_gt_u32_e64 s[0:1], s33, v0
	s_cbranch_vccnz .LBB3325_18
; %bb.3:
                                        ; implicit-def: $vgpr2_vgpr3_vgpr4_vgpr5_vgpr6_vgpr7_vgpr8
	s_and_saveexec_b64 s[10:11], s[0:1]
	s_cbranch_execz .LBB3325_5
; %bb.4:
	v_mov_b32_e32 v1, s12
	v_add_co_u32_e32 v2, vcc, s7, v18
	v_addc_co_u32_e32 v3, vcc, 0, v1, vcc
	flat_load_dword v2, v[2:3]
.LBB3325_5:
	s_or_b64 exec, exec, s[10:11]
	v_or_b32_e32 v1, 0x100, v0
	v_cmp_gt_u32_e32 vcc, s33, v1
	s_and_saveexec_b64 s[0:1], vcc
	s_cbranch_execz .LBB3325_7
; %bb.6:
	v_mov_b32_e32 v1, s12
	v_add_co_u32_e32 v10, vcc, s7, v18
	v_addc_co_u32_e32 v11, vcc, 0, v1, vcc
	flat_load_dword v3, v[10:11] offset:1024
.LBB3325_7:
	s_or_b64 exec, exec, s[0:1]
	v_or_b32_e32 v1, 0x200, v0
	v_cmp_gt_u32_e32 vcc, s33, v1
	s_and_saveexec_b64 s[0:1], vcc
	s_cbranch_execz .LBB3325_9
; %bb.8:
	v_mov_b32_e32 v1, s12
	v_add_co_u32_e32 v10, vcc, s7, v18
	v_addc_co_u32_e32 v11, vcc, 0, v1, vcc
	flat_load_dword v4, v[10:11] offset:2048
.LBB3325_9:
	;; [unrolled: 11-line block ×3, first 2 shown]
	s_or_b64 exec, exec, s[0:1]
	v_or_b32_e32 v1, 0x400, v0
	v_cmp_gt_u32_e32 vcc, s33, v1
	s_and_saveexec_b64 s[0:1], vcc
	s_cbranch_execz .LBB3325_13
; %bb.12:
	v_lshlrev_b32_e32 v1, 2, v1
	v_mov_b32_e32 v6, s12
	v_add_co_u32_e32 v10, vcc, s7, v1
	v_addc_co_u32_e32 v11, vcc, 0, v6, vcc
	flat_load_dword v6, v[10:11]
.LBB3325_13:
	s_or_b64 exec, exec, s[0:1]
	v_or_b32_e32 v1, 0x500, v0
	v_cmp_gt_u32_e32 vcc, s33, v1
	s_and_saveexec_b64 s[0:1], vcc
	s_cbranch_execz .LBB3325_15
; %bb.14:
	v_lshlrev_b32_e32 v1, 2, v1
	v_mov_b32_e32 v7, s12
	v_add_co_u32_e32 v10, vcc, s7, v1
	v_addc_co_u32_e32 v11, vcc, 0, v7, vcc
	flat_load_dword v7, v[10:11]
.LBB3325_15:
	;; [unrolled: 12-line block ×3, first 2 shown]
	s_or_b64 exec, exec, s[0:1]
	s_waitcnt vmcnt(0) lgkmcnt(0)
	ds_write2st64_b32 v18, v2, v3 offset1:4
	ds_write2st64_b32 v18, v4, v5 offset0:8 offset1:12
	ds_write2st64_b32 v18, v6, v7 offset0:16 offset1:20
	ds_write_b32 v18, v8 offset:6144
	s_waitcnt lgkmcnt(0)
	s_barrier
.LBB3325_18:
	v_mul_u32_u24_e32 v19, 7, v0
	v_lshlrev_b32_e32 v8, 2, v19
	s_waitcnt lgkmcnt(0)
	ds_read2_b32 v[6:7], v8 offset1:1
	ds_read2_b32 v[4:5], v8 offset0:2 offset1:3
	ds_read2_b32 v[2:3], v8 offset0:4 offset1:5
	ds_read_b32 v1, v8 offset:24
	s_add_u32 s0, s2, s8
	s_addc_u32 s1, s3, s9
	s_add_u32 s0, s0, s30
	s_addc_u32 s1, s1, s31
	s_mov_b64 s[2:3], -1
	s_and_b64 vcc, exec, s[24:25]
	s_waitcnt lgkmcnt(0)
	s_barrier
	s_cbranch_vccz .LBB3325_20
; %bb.19:
	v_mov_b32_e32 v9, s1
	v_add_co_u32_e32 v10, vcc, s0, v18
	v_addc_co_u32_e32 v9, vcc, 0, v9, vcc
	s_movk_i32 s2, 0x1000
	v_add_co_u32_e32 v10, vcc, s2, v10
	global_load_dword v12, v18, s[0:1]
	global_load_dword v13, v18, s[0:1] offset:1024
	global_load_dword v14, v18, s[0:1] offset:2048
	;; [unrolled: 1-line block ×3, first 2 shown]
	v_addc_co_u32_e32 v11, vcc, 0, v9, vcc
	global_load_dword v9, v[10:11], off
	global_load_dword v16, v[10:11], off offset:1024
	global_load_dword v17, v[10:11], off offset:2048
	s_mov_b64 s[2:3], 0
	s_waitcnt vmcnt(6)
	v_xor_b32_e32 v10, -1, v12
	s_waitcnt vmcnt(5)
	v_xor_b32_e32 v11, -1, v13
	;; [unrolled: 2-line block ×4, first 2 shown]
	v_and_b32_e32 v10, 1, v10
	v_and_b32_e32 v11, 1, v11
	s_waitcnt vmcnt(2)
	v_xor_b32_e32 v9, -1, v9
	v_and_b32_e32 v12, 1, v12
	v_and_b32_e32 v13, 1, v13
	ds_write_b8 v0, v10
	ds_write_b8 v0, v11 offset:256
	ds_write_b8 v0, v12 offset:512
	;; [unrolled: 1-line block ×3, first 2 shown]
	s_waitcnt vmcnt(1)
	v_xor_b32_e32 v10, -1, v16
	s_waitcnt vmcnt(0)
	v_xor_b32_e32 v11, -1, v17
	v_and_b32_e32 v9, 1, v9
	v_and_b32_e32 v10, 1, v10
	;; [unrolled: 1-line block ×3, first 2 shown]
	ds_write_b8 v0, v9 offset:1024
	ds_write_b8 v0, v10 offset:1280
	;; [unrolled: 1-line block ×3, first 2 shown]
	s_waitcnt lgkmcnt(0)
	s_barrier
.LBB3325_20:
	s_load_dwordx2 s[34:35], s[4:5], 0x78
	s_andn2_b64 vcc, exec, s[2:3]
	s_cbranch_vccnz .LBB3325_36
; %bb.21:
	v_cmp_gt_u32_e32 vcc, s33, v0
	v_mov_b32_e32 v9, 0
	v_mov_b32_e32 v10, 0
	s_and_saveexec_b64 s[2:3], vcc
	s_cbranch_execz .LBB3325_23
; %bb.22:
	global_load_dword v10, v18, s[0:1]
	s_waitcnt vmcnt(0)
	v_xor_b32_e32 v10, -1, v10
	v_and_b32_e32 v10, 1, v10
.LBB3325_23:
	s_or_b64 exec, exec, s[2:3]
	v_or_b32_e32 v11, 0x100, v0
	v_cmp_gt_u32_e32 vcc, s33, v11
	s_and_saveexec_b64 s[2:3], vcc
	s_cbranch_execz .LBB3325_25
; %bb.24:
	global_load_dword v9, v18, s[0:1] offset:1024
	s_waitcnt vmcnt(0)
	v_xor_b32_e32 v9, -1, v9
	v_and_b32_e32 v9, 1, v9
.LBB3325_25:
	s_or_b64 exec, exec, s[2:3]
	v_or_b32_e32 v11, 0x200, v0
	v_cmp_gt_u32_e32 vcc, s33, v11
	v_mov_b32_e32 v11, 0
	v_mov_b32_e32 v12, 0
	s_and_saveexec_b64 s[2:3], vcc
	s_cbranch_execz .LBB3325_27
; %bb.26:
	global_load_dword v12, v18, s[0:1] offset:2048
	s_waitcnt vmcnt(0)
	v_xor_b32_e32 v12, -1, v12
	v_and_b32_e32 v12, 1, v12
.LBB3325_27:
	s_or_b64 exec, exec, s[2:3]
	v_or_b32_e32 v13, 0x300, v0
	v_cmp_gt_u32_e32 vcc, s33, v13
	s_and_saveexec_b64 s[2:3], vcc
	s_cbranch_execz .LBB3325_29
; %bb.28:
	global_load_dword v11, v18, s[0:1] offset:3072
	s_waitcnt vmcnt(0)
	v_xor_b32_e32 v11, -1, v11
	v_and_b32_e32 v11, 1, v11
.LBB3325_29:
	s_or_b64 exec, exec, s[2:3]
	v_or_b32_e32 v15, 0x400, v0
	v_cmp_gt_u32_e32 vcc, s33, v15
	v_mov_b32_e32 v13, 0
	v_mov_b32_e32 v14, 0
	s_and_saveexec_b64 s[2:3], vcc
	s_cbranch_execz .LBB3325_31
; %bb.30:
	v_lshlrev_b32_e32 v14, 2, v15
	global_load_dword v14, v14, s[0:1]
	s_waitcnt vmcnt(0)
	v_xor_b32_e32 v14, -1, v14
	v_and_b32_e32 v14, 1, v14
.LBB3325_31:
	s_or_b64 exec, exec, s[2:3]
	v_or_b32_e32 v15, 0x500, v0
	v_cmp_gt_u32_e32 vcc, s33, v15
	s_and_saveexec_b64 s[2:3], vcc
	s_cbranch_execz .LBB3325_33
; %bb.32:
	v_lshlrev_b32_e32 v13, 2, v15
	global_load_dword v13, v13, s[0:1]
	s_waitcnt vmcnt(0)
	v_xor_b32_e32 v13, -1, v13
	v_and_b32_e32 v13, 1, v13
.LBB3325_33:
	s_or_b64 exec, exec, s[2:3]
	v_or_b32_e32 v16, 0x600, v0
	v_cmp_gt_u32_e32 vcc, s33, v16
	v_mov_b32_e32 v15, 0
	s_and_saveexec_b64 s[2:3], vcc
	s_cbranch_execz .LBB3325_35
; %bb.34:
	v_lshlrev_b32_e32 v15, 2, v16
	global_load_dword v15, v15, s[0:1]
	s_waitcnt vmcnt(0)
	v_xor_b32_e32 v15, -1, v15
	v_and_b32_e32 v15, 1, v15
.LBB3325_35:
	s_or_b64 exec, exec, s[2:3]
	ds_write_b8 v0, v10
	ds_write_b8 v0, v9 offset:256
	ds_write_b8 v0, v12 offset:512
	;; [unrolled: 1-line block ×6, first 2 shown]
	s_waitcnt lgkmcnt(0)
	s_barrier
.LBB3325_36:
	s_movk_i32 s0, 0xffeb
	v_mad_i32_i24 v28, v0, s0, v8
	s_waitcnt lgkmcnt(0)
	ds_read_u8 v8, v28
	ds_read_u8 v9, v28 offset:1
	ds_read_u8 v10, v28 offset:2
	;; [unrolled: 1-line block ×6, first 2 shown]
	s_waitcnt lgkmcnt(6)
	v_and_b32_e32 v26, 1, v8
	s_waitcnt lgkmcnt(5)
	v_and_b32_e32 v25, 1, v9
	;; [unrolled: 2-line block ×5, first 2 shown]
	v_add3_u32 v8, v25, v26, v24
	s_waitcnt lgkmcnt(1)
	v_and_b32_e32 v21, 1, v13
	s_waitcnt lgkmcnt(0)
	v_and_b32_e32 v20, 1, v14
	v_add3_u32 v8, v8, v23, v22
	v_add3_u32 v30, v8, v21, v20
	v_mbcnt_lo_u32_b32 v8, -1, 0
	v_mbcnt_hi_u32_b32 v27, -1, v8
	v_and_b32_e32 v8, 15, v27
	v_cmp_eq_u32_e64 s[14:15], 0, v8
	v_cmp_lt_u32_e64 s[12:13], 1, v8
	v_cmp_lt_u32_e64 s[10:11], 3, v8
	;; [unrolled: 1-line block ×3, first 2 shown]
	v_and_b32_e32 v8, 16, v27
	v_cmp_eq_u32_e64 s[18:19], 0, v8
	v_or_b32_e32 v8, 63, v0
	s_cmp_lg_u32 s6, 0
	v_cmp_lt_u32_e64 s[0:1], 31, v27
	v_lshrrev_b32_e32 v29, 6, v0
	v_cmp_eq_u32_e64 s[2:3], v8, v0
	s_barrier
	s_cbranch_scc0 .LBB3325_63
; %bb.37:
	v_mov_b32_dpp v8, v30 row_shr:1 row_mask:0xf bank_mask:0xf
	v_cndmask_b32_e64 v8, v8, 0, s[14:15]
	v_add_u32_e32 v8, v8, v30
	s_nop 1
	v_mov_b32_dpp v9, v8 row_shr:2 row_mask:0xf bank_mask:0xf
	v_cndmask_b32_e64 v9, 0, v9, s[12:13]
	v_add_u32_e32 v8, v8, v9
	s_nop 1
	;; [unrolled: 4-line block ×4, first 2 shown]
	v_mov_b32_dpp v9, v8 row_bcast:15 row_mask:0xf bank_mask:0xf
	v_cndmask_b32_e64 v9, v9, 0, s[18:19]
	v_add_u32_e32 v8, v8, v9
	s_nop 1
	v_mov_b32_dpp v9, v8 row_bcast:31 row_mask:0xf bank_mask:0xf
	v_cndmask_b32_e64 v9, 0, v9, s[0:1]
	v_add_u32_e32 v8, v8, v9
	s_and_saveexec_b64 s[16:17], s[2:3]
	s_cbranch_execz .LBB3325_39
; %bb.38:
	v_lshlrev_b32_e32 v9, 2, v29
	ds_write_b32 v9, v8
.LBB3325_39:
	s_or_b64 exec, exec, s[16:17]
	v_cmp_gt_u32_e32 vcc, 4, v0
	s_waitcnt lgkmcnt(0)
	s_barrier
	s_and_saveexec_b64 s[16:17], vcc
	s_cbranch_execz .LBB3325_41
; %bb.40:
	ds_read_b32 v9, v18
	v_and_b32_e32 v10, 3, v27
	v_cmp_ne_u32_e32 vcc, 0, v10
	s_waitcnt lgkmcnt(0)
	v_mov_b32_dpp v11, v9 row_shr:1 row_mask:0xf bank_mask:0xf
	v_cndmask_b32_e32 v11, 0, v11, vcc
	v_add_u32_e32 v9, v11, v9
	v_cmp_lt_u32_e32 vcc, 1, v10
	s_nop 0
	v_mov_b32_dpp v11, v9 row_shr:2 row_mask:0xf bank_mask:0xf
	v_cndmask_b32_e32 v10, 0, v11, vcc
	v_add_u32_e32 v9, v9, v10
	ds_write_b32 v18, v9
.LBB3325_41:
	s_or_b64 exec, exec, s[16:17]
	v_cmp_gt_u32_e32 vcc, 64, v0
	v_cmp_lt_u32_e64 s[16:17], 63, v0
	s_waitcnt lgkmcnt(0)
	s_barrier
	s_waitcnt lgkmcnt(0)
                                        ; implicit-def: $vgpr31
	s_and_saveexec_b64 s[36:37], s[16:17]
	s_cbranch_execz .LBB3325_43
; %bb.42:
	v_lshl_add_u32 v9, v29, 2, -4
	ds_read_b32 v31, v9
	s_waitcnt lgkmcnt(0)
	v_add_u32_e32 v8, v31, v8
.LBB3325_43:
	s_or_b64 exec, exec, s[36:37]
	v_add_u32_e32 v9, -1, v27
	v_and_b32_e32 v10, 64, v27
	v_cmp_lt_i32_e64 s[16:17], v9, v10
	v_cndmask_b32_e64 v9, v9, v27, s[16:17]
	v_lshlrev_b32_e32 v9, 2, v9
	ds_bpermute_b32 v32, v9, v8
	v_cmp_eq_u32_e64 s[16:17], 0, v27
	s_and_saveexec_b64 s[36:37], vcc
	s_cbranch_execz .LBB3325_62
; %bb.44:
	v_mov_b32_e32 v15, 0
	ds_read_b32 v8, v15 offset:12
	s_and_saveexec_b64 s[38:39], s[16:17]
	s_cbranch_execz .LBB3325_46
; %bb.45:
	s_add_i32 s40, s6, 64
	s_mov_b32 s41, 0
	s_lshl_b64 s[40:41], s[40:41], 3
	s_add_u32 s40, s34, s40
	v_mov_b32_e32 v9, 1
	s_addc_u32 s41, s35, s41
	s_waitcnt lgkmcnt(0)
	global_store_dwordx2 v15, v[8:9], s[40:41]
.LBB3325_46:
	s_or_b64 exec, exec, s[38:39]
	v_xad_u32 v10, v27, -1, s6
	v_add_u32_e32 v14, 64, v10
	v_lshlrev_b64 v[12:13], 3, v[14:15]
	v_mov_b32_e32 v9, s35
	v_add_co_u32_e32 v16, vcc, s34, v12
	v_addc_co_u32_e32 v17, vcc, v9, v13, vcc
	global_load_dwordx2 v[12:13], v[16:17], off glc
	s_waitcnt vmcnt(0)
	v_cmp_eq_u16_sdwa s[40:41], v13, v15 src0_sel:BYTE_0 src1_sel:DWORD
	s_and_saveexec_b64 s[38:39], s[40:41]
	s_cbranch_execz .LBB3325_50
; %bb.47:
	s_mov_b64 s[40:41], 0
	v_mov_b32_e32 v9, 0
.LBB3325_48:                            ; =>This Inner Loop Header: Depth=1
	global_load_dwordx2 v[12:13], v[16:17], off glc
	s_waitcnt vmcnt(0)
	v_cmp_ne_u16_sdwa s[42:43], v13, v9 src0_sel:BYTE_0 src1_sel:DWORD
	s_or_b64 s[40:41], s[42:43], s[40:41]
	s_andn2_b64 exec, exec, s[40:41]
	s_cbranch_execnz .LBB3325_48
; %bb.49:
	s_or_b64 exec, exec, s[40:41]
.LBB3325_50:
	s_or_b64 exec, exec, s[38:39]
	v_and_b32_e32 v34, 63, v27
	v_mov_b32_e32 v33, 2
	v_cmp_ne_u32_e32 vcc, 63, v34
	v_cmp_eq_u16_sdwa s[38:39], v13, v33 src0_sel:BYTE_0 src1_sel:DWORD
	v_lshlrev_b64 v[14:15], v27, -1
	v_addc_co_u32_e32 v16, vcc, 0, v27, vcc
	v_and_b32_e32 v9, s39, v15
	v_lshlrev_b32_e32 v35, 2, v16
	v_or_b32_e32 v9, 0x80000000, v9
	ds_bpermute_b32 v16, v35, v12
	v_and_b32_e32 v11, s38, v14
	v_ffbl_b32_e32 v9, v9
	v_add_u32_e32 v9, 32, v9
	v_ffbl_b32_e32 v11, v11
	v_min_u32_e32 v9, v11, v9
	v_cmp_lt_u32_e32 vcc, v34, v9
	s_waitcnt lgkmcnt(0)
	v_cndmask_b32_e32 v11, 0, v16, vcc
	v_cmp_gt_u32_e32 vcc, 62, v34
	v_add_u32_e32 v11, v11, v12
	v_cndmask_b32_e64 v12, 0, 1, vcc
	v_lshlrev_b32_e32 v12, 1, v12
	v_add_lshl_u32 v36, v12, v27, 2
	ds_bpermute_b32 v12, v36, v11
	v_add_u32_e32 v37, 2, v34
	v_cmp_le_u32_e32 vcc, v37, v9
	v_add_u32_e32 v39, 4, v34
	v_add_u32_e32 v41, 8, v34
	s_waitcnt lgkmcnt(0)
	v_cndmask_b32_e32 v12, 0, v12, vcc
	v_cmp_gt_u32_e32 vcc, 60, v34
	v_add_u32_e32 v11, v11, v12
	v_cndmask_b32_e64 v12, 0, 1, vcc
	v_lshlrev_b32_e32 v12, 2, v12
	v_add_lshl_u32 v38, v12, v27, 2
	ds_bpermute_b32 v12, v38, v11
	v_cmp_le_u32_e32 vcc, v39, v9
	v_add_u32_e32 v43, 16, v34
	v_add_u32_e32 v45, 32, v34
	s_waitcnt lgkmcnt(0)
	v_cndmask_b32_e32 v12, 0, v12, vcc
	v_cmp_gt_u32_e32 vcc, 56, v34
	v_add_u32_e32 v11, v11, v12
	v_cndmask_b32_e64 v12, 0, 1, vcc
	v_lshlrev_b32_e32 v12, 3, v12
	v_add_lshl_u32 v40, v12, v27, 2
	ds_bpermute_b32 v12, v40, v11
	v_cmp_le_u32_e32 vcc, v41, v9
	s_waitcnt lgkmcnt(0)
	v_cndmask_b32_e32 v12, 0, v12, vcc
	v_cmp_gt_u32_e32 vcc, 48, v34
	v_add_u32_e32 v11, v11, v12
	v_cndmask_b32_e64 v12, 0, 1, vcc
	v_lshlrev_b32_e32 v12, 4, v12
	v_add_lshl_u32 v42, v12, v27, 2
	ds_bpermute_b32 v12, v42, v11
	v_cmp_le_u32_e32 vcc, v43, v9
	s_waitcnt lgkmcnt(0)
	v_cndmask_b32_e32 v12, 0, v12, vcc
	v_cmp_gt_u32_e32 vcc, 32, v34
	v_add_u32_e32 v11, v11, v12
	v_cndmask_b32_e64 v12, 0, 1, vcc
	v_lshlrev_b32_e32 v12, 5, v12
	v_add_lshl_u32 v44, v12, v27, 2
	ds_bpermute_b32 v12, v44, v11
	v_cmp_le_u32_e32 vcc, v45, v9
	s_waitcnt lgkmcnt(0)
	v_cndmask_b32_e32 v9, 0, v12, vcc
	v_add_u32_e32 v12, v11, v9
	v_mov_b32_e32 v11, 0
	s_branch .LBB3325_52
.LBB3325_51:                            ;   in Loop: Header=BB3325_52 Depth=1
	s_or_b64 exec, exec, s[38:39]
	v_cmp_eq_u16_sdwa s[38:39], v13, v33 src0_sel:BYTE_0 src1_sel:DWORD
	v_and_b32_e32 v16, s39, v15
	v_or_b32_e32 v16, 0x80000000, v16
	ds_bpermute_b32 v46, v35, v12
	v_and_b32_e32 v17, s38, v14
	v_ffbl_b32_e32 v16, v16
	v_add_u32_e32 v16, 32, v16
	v_ffbl_b32_e32 v17, v17
	v_min_u32_e32 v16, v17, v16
	v_cmp_lt_u32_e32 vcc, v34, v16
	s_waitcnt lgkmcnt(0)
	v_cndmask_b32_e32 v17, 0, v46, vcc
	v_add_u32_e32 v12, v17, v12
	ds_bpermute_b32 v17, v36, v12
	v_cmp_le_u32_e32 vcc, v37, v16
	v_subrev_u32_e32 v10, 64, v10
	s_waitcnt lgkmcnt(0)
	v_cndmask_b32_e32 v17, 0, v17, vcc
	v_add_u32_e32 v12, v12, v17
	ds_bpermute_b32 v17, v38, v12
	v_cmp_le_u32_e32 vcc, v39, v16
	s_waitcnt lgkmcnt(0)
	v_cndmask_b32_e32 v17, 0, v17, vcc
	v_add_u32_e32 v12, v12, v17
	ds_bpermute_b32 v17, v40, v12
	v_cmp_le_u32_e32 vcc, v41, v16
	;; [unrolled: 5-line block ×4, first 2 shown]
	s_waitcnt lgkmcnt(0)
	v_cndmask_b32_e32 v16, 0, v17, vcc
	v_add3_u32 v12, v16, v9, v12
.LBB3325_52:                            ; =>This Loop Header: Depth=1
                                        ;     Child Loop BB3325_55 Depth 2
	v_cmp_ne_u16_sdwa s[38:39], v13, v33 src0_sel:BYTE_0 src1_sel:DWORD
	v_cndmask_b32_e64 v9, 0, 1, s[38:39]
	;;#ASMSTART
	;;#ASMEND
	v_cmp_ne_u32_e32 vcc, 0, v9
	s_cmp_lg_u64 vcc, exec
	v_mov_b32_e32 v9, v12
	s_cbranch_scc1 .LBB3325_57
; %bb.53:                               ;   in Loop: Header=BB3325_52 Depth=1
	v_lshlrev_b64 v[12:13], 3, v[10:11]
	v_mov_b32_e32 v17, s35
	v_add_co_u32_e32 v16, vcc, s34, v12
	v_addc_co_u32_e32 v17, vcc, v17, v13, vcc
	global_load_dwordx2 v[12:13], v[16:17], off glc
	s_waitcnt vmcnt(0)
	v_cmp_eq_u16_sdwa s[40:41], v13, v11 src0_sel:BYTE_0 src1_sel:DWORD
	s_and_saveexec_b64 s[38:39], s[40:41]
	s_cbranch_execz .LBB3325_51
; %bb.54:                               ;   in Loop: Header=BB3325_52 Depth=1
	s_mov_b64 s[40:41], 0
.LBB3325_55:                            ;   Parent Loop BB3325_52 Depth=1
                                        ; =>  This Inner Loop Header: Depth=2
	global_load_dwordx2 v[12:13], v[16:17], off glc
	s_waitcnt vmcnt(0)
	v_cmp_ne_u16_sdwa s[42:43], v13, v11 src0_sel:BYTE_0 src1_sel:DWORD
	s_or_b64 s[40:41], s[42:43], s[40:41]
	s_andn2_b64 exec, exec, s[40:41]
	s_cbranch_execnz .LBB3325_55
; %bb.56:                               ;   in Loop: Header=BB3325_52 Depth=1
	s_or_b64 exec, exec, s[40:41]
	s_branch .LBB3325_51
.LBB3325_57:                            ;   in Loop: Header=BB3325_52 Depth=1
                                        ; implicit-def: $vgpr12
                                        ; implicit-def: $vgpr13
	s_cbranch_execz .LBB3325_52
; %bb.58:
	s_and_saveexec_b64 s[38:39], s[16:17]
	s_cbranch_execz .LBB3325_60
; %bb.59:
	s_add_i32 s6, s6, 64
	s_mov_b32 s7, 0
	s_lshl_b64 s[6:7], s[6:7], 3
	s_add_u32 s6, s34, s6
	v_add_u32_e32 v10, v9, v8
	v_mov_b32_e32 v11, 2
	s_addc_u32 s7, s35, s7
	v_mov_b32_e32 v12, 0
	global_store_dwordx2 v12, v[10:11], s[6:7]
	ds_write_b64 v12, v[8:9] offset:7168
.LBB3325_60:
	s_or_b64 exec, exec, s[38:39]
	v_cmp_eq_u32_e32 vcc, 0, v0
	s_and_b64 exec, exec, vcc
	s_cbranch_execz .LBB3325_62
; %bb.61:
	v_mov_b32_e32 v8, 0
	ds_write_b32 v8, v9 offset:12
.LBB3325_62:
	s_or_b64 exec, exec, s[36:37]
	v_mov_b32_e32 v8, 0
	s_waitcnt lgkmcnt(0)
	s_barrier
	ds_read_b32 v9, v8 offset:12
	v_cndmask_b32_e64 v10, v32, v31, s[16:17]
	v_cmp_ne_u32_e32 vcc, 0, v0
	v_cndmask_b32_e32 v10, 0, v10, vcc
	s_waitcnt lgkmcnt(0)
	v_add_u32_e32 v16, v9, v10
	v_add_u32_e32 v15, v16, v26
	;; [unrolled: 1-line block ×3, first 2 shown]
	s_barrier
	ds_read_b64 v[8:9], v8 offset:7168
	v_add_u32_e32 v12, v14, v24
	v_add_u32_e32 v13, v12, v23
	;; [unrolled: 1-line block ×4, first 2 shown]
	s_load_dwordx2 s[4:5], s[4:5], 0x40
	s_branch .LBB3325_73
.LBB3325_63:
                                        ; implicit-def: $vgpr9
                                        ; implicit-def: $vgpr10
                                        ; implicit-def: $vgpr11
                                        ; implicit-def: $vgpr13
                                        ; implicit-def: $vgpr12
                                        ; implicit-def: $vgpr14
                                        ; implicit-def: $vgpr15
                                        ; implicit-def: $vgpr16
	s_load_dwordx2 s[4:5], s[4:5], 0x40
	s_cbranch_execz .LBB3325_73
; %bb.64:
	s_waitcnt lgkmcnt(0)
	v_mov_b32_dpp v8, v30 row_shr:1 row_mask:0xf bank_mask:0xf
	v_cndmask_b32_e64 v8, v8, 0, s[14:15]
	v_add_u32_e32 v8, v8, v30
	s_nop 1
	v_mov_b32_dpp v9, v8 row_shr:2 row_mask:0xf bank_mask:0xf
	v_cndmask_b32_e64 v9, 0, v9, s[12:13]
	v_add_u32_e32 v8, v8, v9
	s_nop 1
	;; [unrolled: 4-line block ×4, first 2 shown]
	v_mov_b32_dpp v9, v8 row_bcast:15 row_mask:0xf bank_mask:0xf
	v_cndmask_b32_e64 v9, v9, 0, s[18:19]
	v_add_u32_e32 v8, v8, v9
	s_nop 1
	v_mov_b32_dpp v9, v8 row_bcast:31 row_mask:0xf bank_mask:0xf
	v_cndmask_b32_e64 v9, 0, v9, s[0:1]
	v_add_u32_e32 v8, v8, v9
	s_and_saveexec_b64 s[0:1], s[2:3]
	s_cbranch_execz .LBB3325_66
; %bb.65:
	v_lshlrev_b32_e32 v9, 2, v29
	ds_write_b32 v9, v8
.LBB3325_66:
	s_or_b64 exec, exec, s[0:1]
	v_cmp_gt_u32_e32 vcc, 4, v0
	s_waitcnt lgkmcnt(0)
	s_barrier
	s_and_saveexec_b64 s[0:1], vcc
	s_cbranch_execz .LBB3325_68
; %bb.67:
	v_mad_i32_i24 v9, v0, -3, v28
	ds_read_b32 v10, v9
	v_and_b32_e32 v11, 3, v27
	v_cmp_ne_u32_e32 vcc, 0, v11
	s_waitcnt lgkmcnt(0)
	v_mov_b32_dpp v12, v10 row_shr:1 row_mask:0xf bank_mask:0xf
	v_cndmask_b32_e32 v12, 0, v12, vcc
	v_add_u32_e32 v10, v12, v10
	v_cmp_lt_u32_e32 vcc, 1, v11
	s_nop 0
	v_mov_b32_dpp v12, v10 row_shr:2 row_mask:0xf bank_mask:0xf
	v_cndmask_b32_e32 v11, 0, v12, vcc
	v_add_u32_e32 v10, v10, v11
	ds_write_b32 v9, v10
.LBB3325_68:
	s_or_b64 exec, exec, s[0:1]
	v_cmp_lt_u32_e32 vcc, 63, v0
	v_mov_b32_e32 v9, 0
	v_mov_b32_e32 v10, 0
	s_waitcnt lgkmcnt(0)
	s_barrier
	s_and_saveexec_b64 s[0:1], vcc
	s_cbranch_execz .LBB3325_70
; %bb.69:
	v_lshl_add_u32 v10, v29, 2, -4
	ds_read_b32 v10, v10
.LBB3325_70:
	s_or_b64 exec, exec, s[0:1]
	v_add_u32_e32 v11, -1, v27
	v_and_b32_e32 v12, 64, v27
	v_cmp_lt_i32_e32 vcc, v11, v12
	v_cndmask_b32_e32 v11, v11, v27, vcc
	s_waitcnt lgkmcnt(0)
	v_add_u32_e32 v8, v10, v8
	v_lshlrev_b32_e32 v11, 2, v11
	ds_bpermute_b32 v11, v11, v8
	ds_read_b32 v8, v9 offset:12
	v_cmp_eq_u32_e32 vcc, 0, v0
	s_and_saveexec_b64 s[0:1], vcc
	s_cbranch_execz .LBB3325_72
; %bb.71:
	v_mov_b32_e32 v12, 0
	v_mov_b32_e32 v9, 2
	s_waitcnt lgkmcnt(0)
	global_store_dwordx2 v12, v[8:9], s[34:35] offset:512
.LBB3325_72:
	s_or_b64 exec, exec, s[0:1]
	v_cmp_eq_u32_e64 s[0:1], 0, v27
	s_waitcnt lgkmcnt(1)
	v_cndmask_b32_e64 v10, v11, v10, s[0:1]
	v_cndmask_b32_e64 v16, v10, 0, vcc
	v_add_u32_e32 v15, v16, v26
	v_add_u32_e32 v14, v15, v25
	;; [unrolled: 1-line block ×5, first 2 shown]
	v_mov_b32_e32 v9, 0
	v_add_u32_e32 v10, v11, v21
	s_waitcnt lgkmcnt(0)
	s_barrier
.LBB3325_73:
	s_waitcnt lgkmcnt(0)
	v_add_u32_e32 v17, v8, v19
	v_sub_u32_e32 v16, v16, v9
	v_sub_u32_e32 v19, v17, v16
	v_cmp_eq_u32_e32 vcc, 1, v26
	v_cndmask_b32_e32 v16, v19, v16, vcc
	v_lshlrev_b32_e32 v16, 2, v16
	ds_write_b32 v16, v6
	v_sub_u32_e32 v6, v15, v9
	v_sub_u32_e32 v15, v17, v6
	v_add_u32_e32 v15, 1, v15
	v_cmp_eq_u32_e32 vcc, 1, v25
	v_cndmask_b32_e32 v6, v15, v6, vcc
	v_lshlrev_b32_e32 v6, 2, v6
	ds_write_b32 v6, v7
	v_sub_u32_e32 v6, v14, v9
	v_sub_u32_e32 v7, v17, v6
	v_add_u32_e32 v7, 2, v7
	;; [unrolled: 7-line block ×6, first 2 shown]
	v_cmp_eq_u32_e32 vcc, 1, v20
	v_cndmask_b32_e32 v2, v3, v2, vcc
	v_lshlrev_b32_e32 v2, 2, v2
	ds_write_b32 v2, v1
	v_mov_b32_e32 v1, s29
	v_add_co_u32_e32 v2, vcc, s28, v8
	v_addc_co_u32_e32 v1, vcc, 0, v1, vcc
	v_add_co_u32_e32 v2, vcc, v2, v9
	v_addc_co_u32_e32 v3, vcc, 0, v1, vcc
	v_mov_b32_e32 v1, s27
	v_sub_co_u32_e32 v22, vcc, s26, v2
	v_subb_co_u32_e32 v23, vcc, v1, v3, vcc
	v_lshlrev_b64 v[22:23], 2, v[22:23]
	s_waitcnt lgkmcnt(0)
	s_barrier
	ds_read2st64_b32 v[12:13], v18 offset1:4
	ds_read2st64_b32 v[10:11], v18 offset0:8 offset1:12
	ds_read2st64_b32 v[4:5], v18 offset0:16 offset1:20
	ds_read_b32 v7, v18 offset:6144
	v_mov_b32_e32 v1, s5
	v_add_co_u32_e32 v6, vcc, s4, v22
	v_addc_co_u32_e32 v1, vcc, v1, v23, vcc
	v_mov_b32_e32 v9, s31
	v_add_co_u32_e32 v6, vcc, s30, v6
	v_addc_co_u32_e32 v1, vcc, v1, v9, vcc
	v_or_b32_e32 v20, 0x100, v0
	v_or_b32_e32 v19, 0x200, v0
	;; [unrolled: 1-line block ×6, first 2 shown]
	s_andn2_b64 vcc, exec, s[24:25]
	v_cmp_le_u32_e64 s[0:1], v8, v0
	s_cbranch_vccnz .LBB3325_82
; %bb.74:
	s_and_saveexec_b64 s[2:3], s[0:1]
	s_cbranch_execnz .LBB3325_101
; %bb.75:
	s_or_b64 exec, exec, s[2:3]
	v_cmp_ge_u32_e32 vcc, v20, v8
	s_and_saveexec_b64 s[0:1], vcc
	s_cbranch_execnz .LBB3325_102
.LBB3325_76:
	s_or_b64 exec, exec, s[0:1]
	v_cmp_ge_u32_e32 vcc, v19, v8
	s_and_saveexec_b64 s[0:1], vcc
	s_cbranch_execnz .LBB3325_103
.LBB3325_77:
	s_or_b64 exec, exec, s[0:1]
	v_cmp_ge_u32_e32 vcc, v17, v8
	s_and_saveexec_b64 s[0:1], vcc
	s_cbranch_execnz .LBB3325_104
.LBB3325_78:
	s_or_b64 exec, exec, s[0:1]
	v_cmp_ge_u32_e32 vcc, v16, v8
	s_and_saveexec_b64 s[0:1], vcc
	s_cbranch_execnz .LBB3325_105
.LBB3325_79:
	s_or_b64 exec, exec, s[0:1]
	v_cmp_ge_u32_e32 vcc, v15, v8
	s_and_saveexec_b64 s[0:1], vcc
	s_cbranch_execz .LBB3325_81
.LBB3325_80:
	v_lshlrev_b32_e32 v9, 2, v15
	v_readfirstlane_b32 s2, v6
	v_readfirstlane_b32 s3, v1
	s_waitcnt lgkmcnt(1)
	s_nop 3
	global_store_dword v9, v5, s[2:3]
.LBB3325_81:
	s_or_b64 exec, exec, s[0:1]
	v_cmp_ge_u32_e64 s[0:1], v14, v8
	s_branch .LBB3325_96
.LBB3325_82:
	s_mov_b64 s[0:1], 0
	s_cbranch_execz .LBB3325_96
; %bb.83:
	v_cmp_gt_u32_e32 vcc, s33, v0
	v_cmp_le_u32_e64 s[0:1], v8, v0
	s_and_b64 s[2:3], vcc, s[0:1]
	s_and_saveexec_b64 s[0:1], s[2:3]
	s_cbranch_execz .LBB3325_85
; %bb.84:
	v_readfirstlane_b32 s2, v6
	v_readfirstlane_b32 s3, v1
	s_waitcnt lgkmcnt(3)
	s_nop 3
	global_store_dword v18, v12, s[2:3]
.LBB3325_85:
	s_or_b64 exec, exec, s[0:1]
	v_cmp_gt_u32_e32 vcc, s33, v20
	v_cmp_ge_u32_e64 s[0:1], v20, v8
	s_and_b64 s[2:3], vcc, s[0:1]
	s_and_saveexec_b64 s[0:1], s[2:3]
	s_cbranch_execz .LBB3325_87
; %bb.86:
	v_readfirstlane_b32 s2, v6
	v_readfirstlane_b32 s3, v1
	s_waitcnt lgkmcnt(3)
	s_nop 3
	global_store_dword v18, v13, s[2:3] offset:1024
.LBB3325_87:
	s_or_b64 exec, exec, s[0:1]
	v_cmp_gt_u32_e32 vcc, s33, v19
	v_cmp_ge_u32_e64 s[0:1], v19, v8
	s_and_b64 s[2:3], vcc, s[0:1]
	s_and_saveexec_b64 s[0:1], s[2:3]
	s_cbranch_execz .LBB3325_89
; %bb.88:
	v_readfirstlane_b32 s2, v6
	v_readfirstlane_b32 s3, v1
	s_waitcnt lgkmcnt(2)
	s_nop 3
	global_store_dword v18, v10, s[2:3] offset:2048
.LBB3325_89:
	;; [unrolled: 13-line block ×3, first 2 shown]
	s_or_b64 exec, exec, s[0:1]
	v_cmp_gt_u32_e32 vcc, s33, v16
	v_cmp_ge_u32_e64 s[0:1], v16, v8
	s_and_b64 s[2:3], vcc, s[0:1]
	s_and_saveexec_b64 s[0:1], s[2:3]
	s_cbranch_execz .LBB3325_93
; %bb.92:
	v_lshlrev_b32_e32 v9, 2, v16
	v_readfirstlane_b32 s2, v6
	v_readfirstlane_b32 s3, v1
	s_waitcnt lgkmcnt(1)
	s_nop 3
	global_store_dword v9, v4, s[2:3]
.LBB3325_93:
	s_or_b64 exec, exec, s[0:1]
	v_cmp_gt_u32_e32 vcc, s33, v15
	v_cmp_ge_u32_e64 s[0:1], v15, v8
	s_and_b64 s[2:3], vcc, s[0:1]
	s_and_saveexec_b64 s[0:1], s[2:3]
	s_cbranch_execz .LBB3325_95
; %bb.94:
	s_waitcnt lgkmcnt(1)
	v_lshlrev_b32_e32 v4, 2, v15
	v_readfirstlane_b32 s2, v6
	v_readfirstlane_b32 s3, v1
	s_nop 4
	global_store_dword v4, v5, s[2:3]
.LBB3325_95:
	s_or_b64 exec, exec, s[0:1]
	v_cmp_gt_u32_e32 vcc, s33, v14
	v_cmp_ge_u32_e64 s[0:1], v14, v8
	s_and_b64 s[0:1], vcc, s[0:1]
.LBB3325_96:
	s_and_saveexec_b64 s[2:3], s[0:1]
	s_cbranch_execz .LBB3325_98
; %bb.97:
	s_waitcnt lgkmcnt(1)
	v_lshlrev_b32_e32 v4, 2, v14
	v_readfirstlane_b32 s0, v6
	v_readfirstlane_b32 s1, v1
	s_waitcnt lgkmcnt(0)
	s_nop 3
	global_store_dword v4, v7, s[0:1]
.LBB3325_98:
	s_or_b64 exec, exec, s[2:3]
	v_cmp_eq_u32_e32 vcc, 0, v0
	s_and_b64 s[0:1], vcc, s[22:23]
	s_and_saveexec_b64 s[2:3], s[0:1]
	s_cbranch_execz .LBB3325_100
; %bb.99:
	v_mov_b32_e32 v0, 0
	global_store_dwordx2 v0, v[2:3], s[20:21]
.LBB3325_100:
	s_endpgm
.LBB3325_101:
	v_readfirstlane_b32 s0, v6
	v_readfirstlane_b32 s1, v1
	s_waitcnt lgkmcnt(3)
	s_nop 3
	global_store_dword v18, v12, s[0:1]
	s_or_b64 exec, exec, s[2:3]
	v_cmp_ge_u32_e32 vcc, v20, v8
	s_and_saveexec_b64 s[0:1], vcc
	s_cbranch_execz .LBB3325_76
.LBB3325_102:
	v_readfirstlane_b32 s2, v6
	v_readfirstlane_b32 s3, v1
	s_waitcnt lgkmcnt(3)
	s_nop 3
	global_store_dword v18, v13, s[2:3] offset:1024
	s_or_b64 exec, exec, s[0:1]
	v_cmp_ge_u32_e32 vcc, v19, v8
	s_and_saveexec_b64 s[0:1], vcc
	s_cbranch_execz .LBB3325_77
.LBB3325_103:
	v_readfirstlane_b32 s2, v6
	v_readfirstlane_b32 s3, v1
	s_waitcnt lgkmcnt(2)
	s_nop 3
	global_store_dword v18, v10, s[2:3] offset:2048
	s_or_b64 exec, exec, s[0:1]
	v_cmp_ge_u32_e32 vcc, v17, v8
	s_and_saveexec_b64 s[0:1], vcc
	s_cbranch_execz .LBB3325_78
.LBB3325_104:
	v_readfirstlane_b32 s2, v6
	v_readfirstlane_b32 s3, v1
	s_waitcnt lgkmcnt(2)
	s_nop 3
	global_store_dword v18, v11, s[2:3] offset:3072
	s_or_b64 exec, exec, s[0:1]
	v_cmp_ge_u32_e32 vcc, v16, v8
	s_and_saveexec_b64 s[0:1], vcc
	s_cbranch_execz .LBB3325_79
.LBB3325_105:
	v_lshlrev_b32_e32 v9, 2, v16
	v_readfirstlane_b32 s2, v6
	v_readfirstlane_b32 s3, v1
	s_waitcnt lgkmcnt(1)
	s_nop 3
	global_store_dword v9, v4, s[2:3]
	s_or_b64 exec, exec, s[0:1]
	v_cmp_ge_u32_e32 vcc, v15, v8
	s_and_saveexec_b64 s[0:1], vcc
	s_cbranch_execnz .LBB3325_80
	s_branch .LBB3325_81
	.section	.rodata,"a",@progbits
	.p2align	6, 0x0
	.amdhsa_kernel _ZN7rocprim17ROCPRIM_400000_NS6detail17trampoline_kernelINS0_14default_configENS1_25partition_config_selectorILNS1_17partition_subalgoE1EiNS0_10empty_typeEbEEZZNS1_14partition_implILS5_1ELb0ES3_jN6thrust23THRUST_200600_302600_NS6detail15normal_iteratorINSA_10device_ptrIiEEEEPS6_NSA_18transform_iteratorI7is_evenIiESF_NSA_11use_defaultESK_EENS0_5tupleIJNSA_16discard_iteratorISK_EESF_EEENSM_IJSG_SG_EEES6_PlJS6_EEE10hipError_tPvRmT3_T4_T5_T6_T7_T9_mT8_P12ihipStream_tbDpT10_ENKUlT_T0_E_clISt17integral_constantIbLb0EES1B_EEDaS16_S17_EUlS16_E_NS1_11comp_targetILNS1_3genE4ELNS1_11target_archE910ELNS1_3gpuE8ELNS1_3repE0EEENS1_30default_config_static_selectorELNS0_4arch9wavefront6targetE1EEEvT1_
		.amdhsa_group_segment_fixed_size 7176
		.amdhsa_private_segment_fixed_size 0
		.amdhsa_kernarg_size 136
		.amdhsa_user_sgpr_count 6
		.amdhsa_user_sgpr_private_segment_buffer 1
		.amdhsa_user_sgpr_dispatch_ptr 0
		.amdhsa_user_sgpr_queue_ptr 0
		.amdhsa_user_sgpr_kernarg_segment_ptr 1
		.amdhsa_user_sgpr_dispatch_id 0
		.amdhsa_user_sgpr_flat_scratch_init 0
		.amdhsa_user_sgpr_kernarg_preload_length 0
		.amdhsa_user_sgpr_kernarg_preload_offset 0
		.amdhsa_user_sgpr_private_segment_size 0
		.amdhsa_uses_dynamic_stack 0
		.amdhsa_system_sgpr_private_segment_wavefront_offset 0
		.amdhsa_system_sgpr_workgroup_id_x 1
		.amdhsa_system_sgpr_workgroup_id_y 0
		.amdhsa_system_sgpr_workgroup_id_z 0
		.amdhsa_system_sgpr_workgroup_info 0
		.amdhsa_system_vgpr_workitem_id 0
		.amdhsa_next_free_vgpr 47
		.amdhsa_next_free_sgpr 44
		.amdhsa_accum_offset 48
		.amdhsa_reserve_vcc 1
		.amdhsa_reserve_flat_scratch 0
		.amdhsa_float_round_mode_32 0
		.amdhsa_float_round_mode_16_64 0
		.amdhsa_float_denorm_mode_32 3
		.amdhsa_float_denorm_mode_16_64 3
		.amdhsa_dx10_clamp 1
		.amdhsa_ieee_mode 1
		.amdhsa_fp16_overflow 0
		.amdhsa_tg_split 0
		.amdhsa_exception_fp_ieee_invalid_op 0
		.amdhsa_exception_fp_denorm_src 0
		.amdhsa_exception_fp_ieee_div_zero 0
		.amdhsa_exception_fp_ieee_overflow 0
		.amdhsa_exception_fp_ieee_underflow 0
		.amdhsa_exception_fp_ieee_inexact 0
		.amdhsa_exception_int_div_zero 0
	.end_amdhsa_kernel
	.section	.text._ZN7rocprim17ROCPRIM_400000_NS6detail17trampoline_kernelINS0_14default_configENS1_25partition_config_selectorILNS1_17partition_subalgoE1EiNS0_10empty_typeEbEEZZNS1_14partition_implILS5_1ELb0ES3_jN6thrust23THRUST_200600_302600_NS6detail15normal_iteratorINSA_10device_ptrIiEEEEPS6_NSA_18transform_iteratorI7is_evenIiESF_NSA_11use_defaultESK_EENS0_5tupleIJNSA_16discard_iteratorISK_EESF_EEENSM_IJSG_SG_EEES6_PlJS6_EEE10hipError_tPvRmT3_T4_T5_T6_T7_T9_mT8_P12ihipStream_tbDpT10_ENKUlT_T0_E_clISt17integral_constantIbLb0EES1B_EEDaS16_S17_EUlS16_E_NS1_11comp_targetILNS1_3genE4ELNS1_11target_archE910ELNS1_3gpuE8ELNS1_3repE0EEENS1_30default_config_static_selectorELNS0_4arch9wavefront6targetE1EEEvT1_,"axG",@progbits,_ZN7rocprim17ROCPRIM_400000_NS6detail17trampoline_kernelINS0_14default_configENS1_25partition_config_selectorILNS1_17partition_subalgoE1EiNS0_10empty_typeEbEEZZNS1_14partition_implILS5_1ELb0ES3_jN6thrust23THRUST_200600_302600_NS6detail15normal_iteratorINSA_10device_ptrIiEEEEPS6_NSA_18transform_iteratorI7is_evenIiESF_NSA_11use_defaultESK_EENS0_5tupleIJNSA_16discard_iteratorISK_EESF_EEENSM_IJSG_SG_EEES6_PlJS6_EEE10hipError_tPvRmT3_T4_T5_T6_T7_T9_mT8_P12ihipStream_tbDpT10_ENKUlT_T0_E_clISt17integral_constantIbLb0EES1B_EEDaS16_S17_EUlS16_E_NS1_11comp_targetILNS1_3genE4ELNS1_11target_archE910ELNS1_3gpuE8ELNS1_3repE0EEENS1_30default_config_static_selectorELNS0_4arch9wavefront6targetE1EEEvT1_,comdat
.Lfunc_end3325:
	.size	_ZN7rocprim17ROCPRIM_400000_NS6detail17trampoline_kernelINS0_14default_configENS1_25partition_config_selectorILNS1_17partition_subalgoE1EiNS0_10empty_typeEbEEZZNS1_14partition_implILS5_1ELb0ES3_jN6thrust23THRUST_200600_302600_NS6detail15normal_iteratorINSA_10device_ptrIiEEEEPS6_NSA_18transform_iteratorI7is_evenIiESF_NSA_11use_defaultESK_EENS0_5tupleIJNSA_16discard_iteratorISK_EESF_EEENSM_IJSG_SG_EEES6_PlJS6_EEE10hipError_tPvRmT3_T4_T5_T6_T7_T9_mT8_P12ihipStream_tbDpT10_ENKUlT_T0_E_clISt17integral_constantIbLb0EES1B_EEDaS16_S17_EUlS16_E_NS1_11comp_targetILNS1_3genE4ELNS1_11target_archE910ELNS1_3gpuE8ELNS1_3repE0EEENS1_30default_config_static_selectorELNS0_4arch9wavefront6targetE1EEEvT1_, .Lfunc_end3325-_ZN7rocprim17ROCPRIM_400000_NS6detail17trampoline_kernelINS0_14default_configENS1_25partition_config_selectorILNS1_17partition_subalgoE1EiNS0_10empty_typeEbEEZZNS1_14partition_implILS5_1ELb0ES3_jN6thrust23THRUST_200600_302600_NS6detail15normal_iteratorINSA_10device_ptrIiEEEEPS6_NSA_18transform_iteratorI7is_evenIiESF_NSA_11use_defaultESK_EENS0_5tupleIJNSA_16discard_iteratorISK_EESF_EEENSM_IJSG_SG_EEES6_PlJS6_EEE10hipError_tPvRmT3_T4_T5_T6_T7_T9_mT8_P12ihipStream_tbDpT10_ENKUlT_T0_E_clISt17integral_constantIbLb0EES1B_EEDaS16_S17_EUlS16_E_NS1_11comp_targetILNS1_3genE4ELNS1_11target_archE910ELNS1_3gpuE8ELNS1_3repE0EEENS1_30default_config_static_selectorELNS0_4arch9wavefront6targetE1EEEvT1_
                                        ; -- End function
	.section	.AMDGPU.csdata,"",@progbits
; Kernel info:
; codeLenInByte = 4676
; NumSgprs: 48
; NumVgprs: 47
; NumAgprs: 0
; TotalNumVgprs: 47
; ScratchSize: 0
; MemoryBound: 0
; FloatMode: 240
; IeeeMode: 1
; LDSByteSize: 7176 bytes/workgroup (compile time only)
; SGPRBlocks: 5
; VGPRBlocks: 5
; NumSGPRsForWavesPerEU: 48
; NumVGPRsForWavesPerEU: 47
; AccumOffset: 48
; Occupancy: 8
; WaveLimiterHint : 1
; COMPUTE_PGM_RSRC2:SCRATCH_EN: 0
; COMPUTE_PGM_RSRC2:USER_SGPR: 6
; COMPUTE_PGM_RSRC2:TRAP_HANDLER: 0
; COMPUTE_PGM_RSRC2:TGID_X_EN: 1
; COMPUTE_PGM_RSRC2:TGID_Y_EN: 0
; COMPUTE_PGM_RSRC2:TGID_Z_EN: 0
; COMPUTE_PGM_RSRC2:TIDIG_COMP_CNT: 0
; COMPUTE_PGM_RSRC3_GFX90A:ACCUM_OFFSET: 11
; COMPUTE_PGM_RSRC3_GFX90A:TG_SPLIT: 0
	.section	.text._ZN7rocprim17ROCPRIM_400000_NS6detail17trampoline_kernelINS0_14default_configENS1_25partition_config_selectorILNS1_17partition_subalgoE1EiNS0_10empty_typeEbEEZZNS1_14partition_implILS5_1ELb0ES3_jN6thrust23THRUST_200600_302600_NS6detail15normal_iteratorINSA_10device_ptrIiEEEEPS6_NSA_18transform_iteratorI7is_evenIiESF_NSA_11use_defaultESK_EENS0_5tupleIJNSA_16discard_iteratorISK_EESF_EEENSM_IJSG_SG_EEES6_PlJS6_EEE10hipError_tPvRmT3_T4_T5_T6_T7_T9_mT8_P12ihipStream_tbDpT10_ENKUlT_T0_E_clISt17integral_constantIbLb0EES1B_EEDaS16_S17_EUlS16_E_NS1_11comp_targetILNS1_3genE3ELNS1_11target_archE908ELNS1_3gpuE7ELNS1_3repE0EEENS1_30default_config_static_selectorELNS0_4arch9wavefront6targetE1EEEvT1_,"axG",@progbits,_ZN7rocprim17ROCPRIM_400000_NS6detail17trampoline_kernelINS0_14default_configENS1_25partition_config_selectorILNS1_17partition_subalgoE1EiNS0_10empty_typeEbEEZZNS1_14partition_implILS5_1ELb0ES3_jN6thrust23THRUST_200600_302600_NS6detail15normal_iteratorINSA_10device_ptrIiEEEEPS6_NSA_18transform_iteratorI7is_evenIiESF_NSA_11use_defaultESK_EENS0_5tupleIJNSA_16discard_iteratorISK_EESF_EEENSM_IJSG_SG_EEES6_PlJS6_EEE10hipError_tPvRmT3_T4_T5_T6_T7_T9_mT8_P12ihipStream_tbDpT10_ENKUlT_T0_E_clISt17integral_constantIbLb0EES1B_EEDaS16_S17_EUlS16_E_NS1_11comp_targetILNS1_3genE3ELNS1_11target_archE908ELNS1_3gpuE7ELNS1_3repE0EEENS1_30default_config_static_selectorELNS0_4arch9wavefront6targetE1EEEvT1_,comdat
	.protected	_ZN7rocprim17ROCPRIM_400000_NS6detail17trampoline_kernelINS0_14default_configENS1_25partition_config_selectorILNS1_17partition_subalgoE1EiNS0_10empty_typeEbEEZZNS1_14partition_implILS5_1ELb0ES3_jN6thrust23THRUST_200600_302600_NS6detail15normal_iteratorINSA_10device_ptrIiEEEEPS6_NSA_18transform_iteratorI7is_evenIiESF_NSA_11use_defaultESK_EENS0_5tupleIJNSA_16discard_iteratorISK_EESF_EEENSM_IJSG_SG_EEES6_PlJS6_EEE10hipError_tPvRmT3_T4_T5_T6_T7_T9_mT8_P12ihipStream_tbDpT10_ENKUlT_T0_E_clISt17integral_constantIbLb0EES1B_EEDaS16_S17_EUlS16_E_NS1_11comp_targetILNS1_3genE3ELNS1_11target_archE908ELNS1_3gpuE7ELNS1_3repE0EEENS1_30default_config_static_selectorELNS0_4arch9wavefront6targetE1EEEvT1_ ; -- Begin function _ZN7rocprim17ROCPRIM_400000_NS6detail17trampoline_kernelINS0_14default_configENS1_25partition_config_selectorILNS1_17partition_subalgoE1EiNS0_10empty_typeEbEEZZNS1_14partition_implILS5_1ELb0ES3_jN6thrust23THRUST_200600_302600_NS6detail15normal_iteratorINSA_10device_ptrIiEEEEPS6_NSA_18transform_iteratorI7is_evenIiESF_NSA_11use_defaultESK_EENS0_5tupleIJNSA_16discard_iteratorISK_EESF_EEENSM_IJSG_SG_EEES6_PlJS6_EEE10hipError_tPvRmT3_T4_T5_T6_T7_T9_mT8_P12ihipStream_tbDpT10_ENKUlT_T0_E_clISt17integral_constantIbLb0EES1B_EEDaS16_S17_EUlS16_E_NS1_11comp_targetILNS1_3genE3ELNS1_11target_archE908ELNS1_3gpuE7ELNS1_3repE0EEENS1_30default_config_static_selectorELNS0_4arch9wavefront6targetE1EEEvT1_
	.globl	_ZN7rocprim17ROCPRIM_400000_NS6detail17trampoline_kernelINS0_14default_configENS1_25partition_config_selectorILNS1_17partition_subalgoE1EiNS0_10empty_typeEbEEZZNS1_14partition_implILS5_1ELb0ES3_jN6thrust23THRUST_200600_302600_NS6detail15normal_iteratorINSA_10device_ptrIiEEEEPS6_NSA_18transform_iteratorI7is_evenIiESF_NSA_11use_defaultESK_EENS0_5tupleIJNSA_16discard_iteratorISK_EESF_EEENSM_IJSG_SG_EEES6_PlJS6_EEE10hipError_tPvRmT3_T4_T5_T6_T7_T9_mT8_P12ihipStream_tbDpT10_ENKUlT_T0_E_clISt17integral_constantIbLb0EES1B_EEDaS16_S17_EUlS16_E_NS1_11comp_targetILNS1_3genE3ELNS1_11target_archE908ELNS1_3gpuE7ELNS1_3repE0EEENS1_30default_config_static_selectorELNS0_4arch9wavefront6targetE1EEEvT1_
	.p2align	8
	.type	_ZN7rocprim17ROCPRIM_400000_NS6detail17trampoline_kernelINS0_14default_configENS1_25partition_config_selectorILNS1_17partition_subalgoE1EiNS0_10empty_typeEbEEZZNS1_14partition_implILS5_1ELb0ES3_jN6thrust23THRUST_200600_302600_NS6detail15normal_iteratorINSA_10device_ptrIiEEEEPS6_NSA_18transform_iteratorI7is_evenIiESF_NSA_11use_defaultESK_EENS0_5tupleIJNSA_16discard_iteratorISK_EESF_EEENSM_IJSG_SG_EEES6_PlJS6_EEE10hipError_tPvRmT3_T4_T5_T6_T7_T9_mT8_P12ihipStream_tbDpT10_ENKUlT_T0_E_clISt17integral_constantIbLb0EES1B_EEDaS16_S17_EUlS16_E_NS1_11comp_targetILNS1_3genE3ELNS1_11target_archE908ELNS1_3gpuE7ELNS1_3repE0EEENS1_30default_config_static_selectorELNS0_4arch9wavefront6targetE1EEEvT1_,@function
_ZN7rocprim17ROCPRIM_400000_NS6detail17trampoline_kernelINS0_14default_configENS1_25partition_config_selectorILNS1_17partition_subalgoE1EiNS0_10empty_typeEbEEZZNS1_14partition_implILS5_1ELb0ES3_jN6thrust23THRUST_200600_302600_NS6detail15normal_iteratorINSA_10device_ptrIiEEEEPS6_NSA_18transform_iteratorI7is_evenIiESF_NSA_11use_defaultESK_EENS0_5tupleIJNSA_16discard_iteratorISK_EESF_EEENSM_IJSG_SG_EEES6_PlJS6_EEE10hipError_tPvRmT3_T4_T5_T6_T7_T9_mT8_P12ihipStream_tbDpT10_ENKUlT_T0_E_clISt17integral_constantIbLb0EES1B_EEDaS16_S17_EUlS16_E_NS1_11comp_targetILNS1_3genE3ELNS1_11target_archE908ELNS1_3gpuE7ELNS1_3repE0EEENS1_30default_config_static_selectorELNS0_4arch9wavefront6targetE1EEEvT1_: ; @_ZN7rocprim17ROCPRIM_400000_NS6detail17trampoline_kernelINS0_14default_configENS1_25partition_config_selectorILNS1_17partition_subalgoE1EiNS0_10empty_typeEbEEZZNS1_14partition_implILS5_1ELb0ES3_jN6thrust23THRUST_200600_302600_NS6detail15normal_iteratorINSA_10device_ptrIiEEEEPS6_NSA_18transform_iteratorI7is_evenIiESF_NSA_11use_defaultESK_EENS0_5tupleIJNSA_16discard_iteratorISK_EESF_EEENSM_IJSG_SG_EEES6_PlJS6_EEE10hipError_tPvRmT3_T4_T5_T6_T7_T9_mT8_P12ihipStream_tbDpT10_ENKUlT_T0_E_clISt17integral_constantIbLb0EES1B_EEDaS16_S17_EUlS16_E_NS1_11comp_targetILNS1_3genE3ELNS1_11target_archE908ELNS1_3gpuE7ELNS1_3repE0EEENS1_30default_config_static_selectorELNS0_4arch9wavefront6targetE1EEEvT1_
; %bb.0:
	.section	.rodata,"a",@progbits
	.p2align	6, 0x0
	.amdhsa_kernel _ZN7rocprim17ROCPRIM_400000_NS6detail17trampoline_kernelINS0_14default_configENS1_25partition_config_selectorILNS1_17partition_subalgoE1EiNS0_10empty_typeEbEEZZNS1_14partition_implILS5_1ELb0ES3_jN6thrust23THRUST_200600_302600_NS6detail15normal_iteratorINSA_10device_ptrIiEEEEPS6_NSA_18transform_iteratorI7is_evenIiESF_NSA_11use_defaultESK_EENS0_5tupleIJNSA_16discard_iteratorISK_EESF_EEENSM_IJSG_SG_EEES6_PlJS6_EEE10hipError_tPvRmT3_T4_T5_T6_T7_T9_mT8_P12ihipStream_tbDpT10_ENKUlT_T0_E_clISt17integral_constantIbLb0EES1B_EEDaS16_S17_EUlS16_E_NS1_11comp_targetILNS1_3genE3ELNS1_11target_archE908ELNS1_3gpuE7ELNS1_3repE0EEENS1_30default_config_static_selectorELNS0_4arch9wavefront6targetE1EEEvT1_
		.amdhsa_group_segment_fixed_size 0
		.amdhsa_private_segment_fixed_size 0
		.amdhsa_kernarg_size 136
		.amdhsa_user_sgpr_count 6
		.amdhsa_user_sgpr_private_segment_buffer 1
		.amdhsa_user_sgpr_dispatch_ptr 0
		.amdhsa_user_sgpr_queue_ptr 0
		.amdhsa_user_sgpr_kernarg_segment_ptr 1
		.amdhsa_user_sgpr_dispatch_id 0
		.amdhsa_user_sgpr_flat_scratch_init 0
		.amdhsa_user_sgpr_kernarg_preload_length 0
		.amdhsa_user_sgpr_kernarg_preload_offset 0
		.amdhsa_user_sgpr_private_segment_size 0
		.amdhsa_uses_dynamic_stack 0
		.amdhsa_system_sgpr_private_segment_wavefront_offset 0
		.amdhsa_system_sgpr_workgroup_id_x 1
		.amdhsa_system_sgpr_workgroup_id_y 0
		.amdhsa_system_sgpr_workgroup_id_z 0
		.amdhsa_system_sgpr_workgroup_info 0
		.amdhsa_system_vgpr_workitem_id 0
		.amdhsa_next_free_vgpr 1
		.amdhsa_next_free_sgpr 0
		.amdhsa_accum_offset 4
		.amdhsa_reserve_vcc 0
		.amdhsa_reserve_flat_scratch 0
		.amdhsa_float_round_mode_32 0
		.amdhsa_float_round_mode_16_64 0
		.amdhsa_float_denorm_mode_32 3
		.amdhsa_float_denorm_mode_16_64 3
		.amdhsa_dx10_clamp 1
		.amdhsa_ieee_mode 1
		.amdhsa_fp16_overflow 0
		.amdhsa_tg_split 0
		.amdhsa_exception_fp_ieee_invalid_op 0
		.amdhsa_exception_fp_denorm_src 0
		.amdhsa_exception_fp_ieee_div_zero 0
		.amdhsa_exception_fp_ieee_overflow 0
		.amdhsa_exception_fp_ieee_underflow 0
		.amdhsa_exception_fp_ieee_inexact 0
		.amdhsa_exception_int_div_zero 0
	.end_amdhsa_kernel
	.section	.text._ZN7rocprim17ROCPRIM_400000_NS6detail17trampoline_kernelINS0_14default_configENS1_25partition_config_selectorILNS1_17partition_subalgoE1EiNS0_10empty_typeEbEEZZNS1_14partition_implILS5_1ELb0ES3_jN6thrust23THRUST_200600_302600_NS6detail15normal_iteratorINSA_10device_ptrIiEEEEPS6_NSA_18transform_iteratorI7is_evenIiESF_NSA_11use_defaultESK_EENS0_5tupleIJNSA_16discard_iteratorISK_EESF_EEENSM_IJSG_SG_EEES6_PlJS6_EEE10hipError_tPvRmT3_T4_T5_T6_T7_T9_mT8_P12ihipStream_tbDpT10_ENKUlT_T0_E_clISt17integral_constantIbLb0EES1B_EEDaS16_S17_EUlS16_E_NS1_11comp_targetILNS1_3genE3ELNS1_11target_archE908ELNS1_3gpuE7ELNS1_3repE0EEENS1_30default_config_static_selectorELNS0_4arch9wavefront6targetE1EEEvT1_,"axG",@progbits,_ZN7rocprim17ROCPRIM_400000_NS6detail17trampoline_kernelINS0_14default_configENS1_25partition_config_selectorILNS1_17partition_subalgoE1EiNS0_10empty_typeEbEEZZNS1_14partition_implILS5_1ELb0ES3_jN6thrust23THRUST_200600_302600_NS6detail15normal_iteratorINSA_10device_ptrIiEEEEPS6_NSA_18transform_iteratorI7is_evenIiESF_NSA_11use_defaultESK_EENS0_5tupleIJNSA_16discard_iteratorISK_EESF_EEENSM_IJSG_SG_EEES6_PlJS6_EEE10hipError_tPvRmT3_T4_T5_T6_T7_T9_mT8_P12ihipStream_tbDpT10_ENKUlT_T0_E_clISt17integral_constantIbLb0EES1B_EEDaS16_S17_EUlS16_E_NS1_11comp_targetILNS1_3genE3ELNS1_11target_archE908ELNS1_3gpuE7ELNS1_3repE0EEENS1_30default_config_static_selectorELNS0_4arch9wavefront6targetE1EEEvT1_,comdat
.Lfunc_end3326:
	.size	_ZN7rocprim17ROCPRIM_400000_NS6detail17trampoline_kernelINS0_14default_configENS1_25partition_config_selectorILNS1_17partition_subalgoE1EiNS0_10empty_typeEbEEZZNS1_14partition_implILS5_1ELb0ES3_jN6thrust23THRUST_200600_302600_NS6detail15normal_iteratorINSA_10device_ptrIiEEEEPS6_NSA_18transform_iteratorI7is_evenIiESF_NSA_11use_defaultESK_EENS0_5tupleIJNSA_16discard_iteratorISK_EESF_EEENSM_IJSG_SG_EEES6_PlJS6_EEE10hipError_tPvRmT3_T4_T5_T6_T7_T9_mT8_P12ihipStream_tbDpT10_ENKUlT_T0_E_clISt17integral_constantIbLb0EES1B_EEDaS16_S17_EUlS16_E_NS1_11comp_targetILNS1_3genE3ELNS1_11target_archE908ELNS1_3gpuE7ELNS1_3repE0EEENS1_30default_config_static_selectorELNS0_4arch9wavefront6targetE1EEEvT1_, .Lfunc_end3326-_ZN7rocprim17ROCPRIM_400000_NS6detail17trampoline_kernelINS0_14default_configENS1_25partition_config_selectorILNS1_17partition_subalgoE1EiNS0_10empty_typeEbEEZZNS1_14partition_implILS5_1ELb0ES3_jN6thrust23THRUST_200600_302600_NS6detail15normal_iteratorINSA_10device_ptrIiEEEEPS6_NSA_18transform_iteratorI7is_evenIiESF_NSA_11use_defaultESK_EENS0_5tupleIJNSA_16discard_iteratorISK_EESF_EEENSM_IJSG_SG_EEES6_PlJS6_EEE10hipError_tPvRmT3_T4_T5_T6_T7_T9_mT8_P12ihipStream_tbDpT10_ENKUlT_T0_E_clISt17integral_constantIbLb0EES1B_EEDaS16_S17_EUlS16_E_NS1_11comp_targetILNS1_3genE3ELNS1_11target_archE908ELNS1_3gpuE7ELNS1_3repE0EEENS1_30default_config_static_selectorELNS0_4arch9wavefront6targetE1EEEvT1_
                                        ; -- End function
	.section	.AMDGPU.csdata,"",@progbits
; Kernel info:
; codeLenInByte = 0
; NumSgprs: 4
; NumVgprs: 0
; NumAgprs: 0
; TotalNumVgprs: 0
; ScratchSize: 0
; MemoryBound: 0
; FloatMode: 240
; IeeeMode: 1
; LDSByteSize: 0 bytes/workgroup (compile time only)
; SGPRBlocks: 0
; VGPRBlocks: 0
; NumSGPRsForWavesPerEU: 4
; NumVGPRsForWavesPerEU: 1
; AccumOffset: 4
; Occupancy: 8
; WaveLimiterHint : 0
; COMPUTE_PGM_RSRC2:SCRATCH_EN: 0
; COMPUTE_PGM_RSRC2:USER_SGPR: 6
; COMPUTE_PGM_RSRC2:TRAP_HANDLER: 0
; COMPUTE_PGM_RSRC2:TGID_X_EN: 1
; COMPUTE_PGM_RSRC2:TGID_Y_EN: 0
; COMPUTE_PGM_RSRC2:TGID_Z_EN: 0
; COMPUTE_PGM_RSRC2:TIDIG_COMP_CNT: 0
; COMPUTE_PGM_RSRC3_GFX90A:ACCUM_OFFSET: 0
; COMPUTE_PGM_RSRC3_GFX90A:TG_SPLIT: 0
	.section	.text._ZN7rocprim17ROCPRIM_400000_NS6detail17trampoline_kernelINS0_14default_configENS1_25partition_config_selectorILNS1_17partition_subalgoE1EiNS0_10empty_typeEbEEZZNS1_14partition_implILS5_1ELb0ES3_jN6thrust23THRUST_200600_302600_NS6detail15normal_iteratorINSA_10device_ptrIiEEEEPS6_NSA_18transform_iteratorI7is_evenIiESF_NSA_11use_defaultESK_EENS0_5tupleIJNSA_16discard_iteratorISK_EESF_EEENSM_IJSG_SG_EEES6_PlJS6_EEE10hipError_tPvRmT3_T4_T5_T6_T7_T9_mT8_P12ihipStream_tbDpT10_ENKUlT_T0_E_clISt17integral_constantIbLb0EES1B_EEDaS16_S17_EUlS16_E_NS1_11comp_targetILNS1_3genE2ELNS1_11target_archE906ELNS1_3gpuE6ELNS1_3repE0EEENS1_30default_config_static_selectorELNS0_4arch9wavefront6targetE1EEEvT1_,"axG",@progbits,_ZN7rocprim17ROCPRIM_400000_NS6detail17trampoline_kernelINS0_14default_configENS1_25partition_config_selectorILNS1_17partition_subalgoE1EiNS0_10empty_typeEbEEZZNS1_14partition_implILS5_1ELb0ES3_jN6thrust23THRUST_200600_302600_NS6detail15normal_iteratorINSA_10device_ptrIiEEEEPS6_NSA_18transform_iteratorI7is_evenIiESF_NSA_11use_defaultESK_EENS0_5tupleIJNSA_16discard_iteratorISK_EESF_EEENSM_IJSG_SG_EEES6_PlJS6_EEE10hipError_tPvRmT3_T4_T5_T6_T7_T9_mT8_P12ihipStream_tbDpT10_ENKUlT_T0_E_clISt17integral_constantIbLb0EES1B_EEDaS16_S17_EUlS16_E_NS1_11comp_targetILNS1_3genE2ELNS1_11target_archE906ELNS1_3gpuE6ELNS1_3repE0EEENS1_30default_config_static_selectorELNS0_4arch9wavefront6targetE1EEEvT1_,comdat
	.protected	_ZN7rocprim17ROCPRIM_400000_NS6detail17trampoline_kernelINS0_14default_configENS1_25partition_config_selectorILNS1_17partition_subalgoE1EiNS0_10empty_typeEbEEZZNS1_14partition_implILS5_1ELb0ES3_jN6thrust23THRUST_200600_302600_NS6detail15normal_iteratorINSA_10device_ptrIiEEEEPS6_NSA_18transform_iteratorI7is_evenIiESF_NSA_11use_defaultESK_EENS0_5tupleIJNSA_16discard_iteratorISK_EESF_EEENSM_IJSG_SG_EEES6_PlJS6_EEE10hipError_tPvRmT3_T4_T5_T6_T7_T9_mT8_P12ihipStream_tbDpT10_ENKUlT_T0_E_clISt17integral_constantIbLb0EES1B_EEDaS16_S17_EUlS16_E_NS1_11comp_targetILNS1_3genE2ELNS1_11target_archE906ELNS1_3gpuE6ELNS1_3repE0EEENS1_30default_config_static_selectorELNS0_4arch9wavefront6targetE1EEEvT1_ ; -- Begin function _ZN7rocprim17ROCPRIM_400000_NS6detail17trampoline_kernelINS0_14default_configENS1_25partition_config_selectorILNS1_17partition_subalgoE1EiNS0_10empty_typeEbEEZZNS1_14partition_implILS5_1ELb0ES3_jN6thrust23THRUST_200600_302600_NS6detail15normal_iteratorINSA_10device_ptrIiEEEEPS6_NSA_18transform_iteratorI7is_evenIiESF_NSA_11use_defaultESK_EENS0_5tupleIJNSA_16discard_iteratorISK_EESF_EEENSM_IJSG_SG_EEES6_PlJS6_EEE10hipError_tPvRmT3_T4_T5_T6_T7_T9_mT8_P12ihipStream_tbDpT10_ENKUlT_T0_E_clISt17integral_constantIbLb0EES1B_EEDaS16_S17_EUlS16_E_NS1_11comp_targetILNS1_3genE2ELNS1_11target_archE906ELNS1_3gpuE6ELNS1_3repE0EEENS1_30default_config_static_selectorELNS0_4arch9wavefront6targetE1EEEvT1_
	.globl	_ZN7rocprim17ROCPRIM_400000_NS6detail17trampoline_kernelINS0_14default_configENS1_25partition_config_selectorILNS1_17partition_subalgoE1EiNS0_10empty_typeEbEEZZNS1_14partition_implILS5_1ELb0ES3_jN6thrust23THRUST_200600_302600_NS6detail15normal_iteratorINSA_10device_ptrIiEEEEPS6_NSA_18transform_iteratorI7is_evenIiESF_NSA_11use_defaultESK_EENS0_5tupleIJNSA_16discard_iteratorISK_EESF_EEENSM_IJSG_SG_EEES6_PlJS6_EEE10hipError_tPvRmT3_T4_T5_T6_T7_T9_mT8_P12ihipStream_tbDpT10_ENKUlT_T0_E_clISt17integral_constantIbLb0EES1B_EEDaS16_S17_EUlS16_E_NS1_11comp_targetILNS1_3genE2ELNS1_11target_archE906ELNS1_3gpuE6ELNS1_3repE0EEENS1_30default_config_static_selectorELNS0_4arch9wavefront6targetE1EEEvT1_
	.p2align	8
	.type	_ZN7rocprim17ROCPRIM_400000_NS6detail17trampoline_kernelINS0_14default_configENS1_25partition_config_selectorILNS1_17partition_subalgoE1EiNS0_10empty_typeEbEEZZNS1_14partition_implILS5_1ELb0ES3_jN6thrust23THRUST_200600_302600_NS6detail15normal_iteratorINSA_10device_ptrIiEEEEPS6_NSA_18transform_iteratorI7is_evenIiESF_NSA_11use_defaultESK_EENS0_5tupleIJNSA_16discard_iteratorISK_EESF_EEENSM_IJSG_SG_EEES6_PlJS6_EEE10hipError_tPvRmT3_T4_T5_T6_T7_T9_mT8_P12ihipStream_tbDpT10_ENKUlT_T0_E_clISt17integral_constantIbLb0EES1B_EEDaS16_S17_EUlS16_E_NS1_11comp_targetILNS1_3genE2ELNS1_11target_archE906ELNS1_3gpuE6ELNS1_3repE0EEENS1_30default_config_static_selectorELNS0_4arch9wavefront6targetE1EEEvT1_,@function
_ZN7rocprim17ROCPRIM_400000_NS6detail17trampoline_kernelINS0_14default_configENS1_25partition_config_selectorILNS1_17partition_subalgoE1EiNS0_10empty_typeEbEEZZNS1_14partition_implILS5_1ELb0ES3_jN6thrust23THRUST_200600_302600_NS6detail15normal_iteratorINSA_10device_ptrIiEEEEPS6_NSA_18transform_iteratorI7is_evenIiESF_NSA_11use_defaultESK_EENS0_5tupleIJNSA_16discard_iteratorISK_EESF_EEENSM_IJSG_SG_EEES6_PlJS6_EEE10hipError_tPvRmT3_T4_T5_T6_T7_T9_mT8_P12ihipStream_tbDpT10_ENKUlT_T0_E_clISt17integral_constantIbLb0EES1B_EEDaS16_S17_EUlS16_E_NS1_11comp_targetILNS1_3genE2ELNS1_11target_archE906ELNS1_3gpuE6ELNS1_3repE0EEENS1_30default_config_static_selectorELNS0_4arch9wavefront6targetE1EEEvT1_: ; @_ZN7rocprim17ROCPRIM_400000_NS6detail17trampoline_kernelINS0_14default_configENS1_25partition_config_selectorILNS1_17partition_subalgoE1EiNS0_10empty_typeEbEEZZNS1_14partition_implILS5_1ELb0ES3_jN6thrust23THRUST_200600_302600_NS6detail15normal_iteratorINSA_10device_ptrIiEEEEPS6_NSA_18transform_iteratorI7is_evenIiESF_NSA_11use_defaultESK_EENS0_5tupleIJNSA_16discard_iteratorISK_EESF_EEENSM_IJSG_SG_EEES6_PlJS6_EEE10hipError_tPvRmT3_T4_T5_T6_T7_T9_mT8_P12ihipStream_tbDpT10_ENKUlT_T0_E_clISt17integral_constantIbLb0EES1B_EEDaS16_S17_EUlS16_E_NS1_11comp_targetILNS1_3genE2ELNS1_11target_archE906ELNS1_3gpuE6ELNS1_3repE0EEENS1_30default_config_static_selectorELNS0_4arch9wavefront6targetE1EEEvT1_
; %bb.0:
	.section	.rodata,"a",@progbits
	.p2align	6, 0x0
	.amdhsa_kernel _ZN7rocprim17ROCPRIM_400000_NS6detail17trampoline_kernelINS0_14default_configENS1_25partition_config_selectorILNS1_17partition_subalgoE1EiNS0_10empty_typeEbEEZZNS1_14partition_implILS5_1ELb0ES3_jN6thrust23THRUST_200600_302600_NS6detail15normal_iteratorINSA_10device_ptrIiEEEEPS6_NSA_18transform_iteratorI7is_evenIiESF_NSA_11use_defaultESK_EENS0_5tupleIJNSA_16discard_iteratorISK_EESF_EEENSM_IJSG_SG_EEES6_PlJS6_EEE10hipError_tPvRmT3_T4_T5_T6_T7_T9_mT8_P12ihipStream_tbDpT10_ENKUlT_T0_E_clISt17integral_constantIbLb0EES1B_EEDaS16_S17_EUlS16_E_NS1_11comp_targetILNS1_3genE2ELNS1_11target_archE906ELNS1_3gpuE6ELNS1_3repE0EEENS1_30default_config_static_selectorELNS0_4arch9wavefront6targetE1EEEvT1_
		.amdhsa_group_segment_fixed_size 0
		.amdhsa_private_segment_fixed_size 0
		.amdhsa_kernarg_size 136
		.amdhsa_user_sgpr_count 6
		.amdhsa_user_sgpr_private_segment_buffer 1
		.amdhsa_user_sgpr_dispatch_ptr 0
		.amdhsa_user_sgpr_queue_ptr 0
		.amdhsa_user_sgpr_kernarg_segment_ptr 1
		.amdhsa_user_sgpr_dispatch_id 0
		.amdhsa_user_sgpr_flat_scratch_init 0
		.amdhsa_user_sgpr_kernarg_preload_length 0
		.amdhsa_user_sgpr_kernarg_preload_offset 0
		.amdhsa_user_sgpr_private_segment_size 0
		.amdhsa_uses_dynamic_stack 0
		.amdhsa_system_sgpr_private_segment_wavefront_offset 0
		.amdhsa_system_sgpr_workgroup_id_x 1
		.amdhsa_system_sgpr_workgroup_id_y 0
		.amdhsa_system_sgpr_workgroup_id_z 0
		.amdhsa_system_sgpr_workgroup_info 0
		.amdhsa_system_vgpr_workitem_id 0
		.amdhsa_next_free_vgpr 1
		.amdhsa_next_free_sgpr 0
		.amdhsa_accum_offset 4
		.amdhsa_reserve_vcc 0
		.amdhsa_reserve_flat_scratch 0
		.amdhsa_float_round_mode_32 0
		.amdhsa_float_round_mode_16_64 0
		.amdhsa_float_denorm_mode_32 3
		.amdhsa_float_denorm_mode_16_64 3
		.amdhsa_dx10_clamp 1
		.amdhsa_ieee_mode 1
		.amdhsa_fp16_overflow 0
		.amdhsa_tg_split 0
		.amdhsa_exception_fp_ieee_invalid_op 0
		.amdhsa_exception_fp_denorm_src 0
		.amdhsa_exception_fp_ieee_div_zero 0
		.amdhsa_exception_fp_ieee_overflow 0
		.amdhsa_exception_fp_ieee_underflow 0
		.amdhsa_exception_fp_ieee_inexact 0
		.amdhsa_exception_int_div_zero 0
	.end_amdhsa_kernel
	.section	.text._ZN7rocprim17ROCPRIM_400000_NS6detail17trampoline_kernelINS0_14default_configENS1_25partition_config_selectorILNS1_17partition_subalgoE1EiNS0_10empty_typeEbEEZZNS1_14partition_implILS5_1ELb0ES3_jN6thrust23THRUST_200600_302600_NS6detail15normal_iteratorINSA_10device_ptrIiEEEEPS6_NSA_18transform_iteratorI7is_evenIiESF_NSA_11use_defaultESK_EENS0_5tupleIJNSA_16discard_iteratorISK_EESF_EEENSM_IJSG_SG_EEES6_PlJS6_EEE10hipError_tPvRmT3_T4_T5_T6_T7_T9_mT8_P12ihipStream_tbDpT10_ENKUlT_T0_E_clISt17integral_constantIbLb0EES1B_EEDaS16_S17_EUlS16_E_NS1_11comp_targetILNS1_3genE2ELNS1_11target_archE906ELNS1_3gpuE6ELNS1_3repE0EEENS1_30default_config_static_selectorELNS0_4arch9wavefront6targetE1EEEvT1_,"axG",@progbits,_ZN7rocprim17ROCPRIM_400000_NS6detail17trampoline_kernelINS0_14default_configENS1_25partition_config_selectorILNS1_17partition_subalgoE1EiNS0_10empty_typeEbEEZZNS1_14partition_implILS5_1ELb0ES3_jN6thrust23THRUST_200600_302600_NS6detail15normal_iteratorINSA_10device_ptrIiEEEEPS6_NSA_18transform_iteratorI7is_evenIiESF_NSA_11use_defaultESK_EENS0_5tupleIJNSA_16discard_iteratorISK_EESF_EEENSM_IJSG_SG_EEES6_PlJS6_EEE10hipError_tPvRmT3_T4_T5_T6_T7_T9_mT8_P12ihipStream_tbDpT10_ENKUlT_T0_E_clISt17integral_constantIbLb0EES1B_EEDaS16_S17_EUlS16_E_NS1_11comp_targetILNS1_3genE2ELNS1_11target_archE906ELNS1_3gpuE6ELNS1_3repE0EEENS1_30default_config_static_selectorELNS0_4arch9wavefront6targetE1EEEvT1_,comdat
.Lfunc_end3327:
	.size	_ZN7rocprim17ROCPRIM_400000_NS6detail17trampoline_kernelINS0_14default_configENS1_25partition_config_selectorILNS1_17partition_subalgoE1EiNS0_10empty_typeEbEEZZNS1_14partition_implILS5_1ELb0ES3_jN6thrust23THRUST_200600_302600_NS6detail15normal_iteratorINSA_10device_ptrIiEEEEPS6_NSA_18transform_iteratorI7is_evenIiESF_NSA_11use_defaultESK_EENS0_5tupleIJNSA_16discard_iteratorISK_EESF_EEENSM_IJSG_SG_EEES6_PlJS6_EEE10hipError_tPvRmT3_T4_T5_T6_T7_T9_mT8_P12ihipStream_tbDpT10_ENKUlT_T0_E_clISt17integral_constantIbLb0EES1B_EEDaS16_S17_EUlS16_E_NS1_11comp_targetILNS1_3genE2ELNS1_11target_archE906ELNS1_3gpuE6ELNS1_3repE0EEENS1_30default_config_static_selectorELNS0_4arch9wavefront6targetE1EEEvT1_, .Lfunc_end3327-_ZN7rocprim17ROCPRIM_400000_NS6detail17trampoline_kernelINS0_14default_configENS1_25partition_config_selectorILNS1_17partition_subalgoE1EiNS0_10empty_typeEbEEZZNS1_14partition_implILS5_1ELb0ES3_jN6thrust23THRUST_200600_302600_NS6detail15normal_iteratorINSA_10device_ptrIiEEEEPS6_NSA_18transform_iteratorI7is_evenIiESF_NSA_11use_defaultESK_EENS0_5tupleIJNSA_16discard_iteratorISK_EESF_EEENSM_IJSG_SG_EEES6_PlJS6_EEE10hipError_tPvRmT3_T4_T5_T6_T7_T9_mT8_P12ihipStream_tbDpT10_ENKUlT_T0_E_clISt17integral_constantIbLb0EES1B_EEDaS16_S17_EUlS16_E_NS1_11comp_targetILNS1_3genE2ELNS1_11target_archE906ELNS1_3gpuE6ELNS1_3repE0EEENS1_30default_config_static_selectorELNS0_4arch9wavefront6targetE1EEEvT1_
                                        ; -- End function
	.section	.AMDGPU.csdata,"",@progbits
; Kernel info:
; codeLenInByte = 0
; NumSgprs: 4
; NumVgprs: 0
; NumAgprs: 0
; TotalNumVgprs: 0
; ScratchSize: 0
; MemoryBound: 0
; FloatMode: 240
; IeeeMode: 1
; LDSByteSize: 0 bytes/workgroup (compile time only)
; SGPRBlocks: 0
; VGPRBlocks: 0
; NumSGPRsForWavesPerEU: 4
; NumVGPRsForWavesPerEU: 1
; AccumOffset: 4
; Occupancy: 8
; WaveLimiterHint : 0
; COMPUTE_PGM_RSRC2:SCRATCH_EN: 0
; COMPUTE_PGM_RSRC2:USER_SGPR: 6
; COMPUTE_PGM_RSRC2:TRAP_HANDLER: 0
; COMPUTE_PGM_RSRC2:TGID_X_EN: 1
; COMPUTE_PGM_RSRC2:TGID_Y_EN: 0
; COMPUTE_PGM_RSRC2:TGID_Z_EN: 0
; COMPUTE_PGM_RSRC2:TIDIG_COMP_CNT: 0
; COMPUTE_PGM_RSRC3_GFX90A:ACCUM_OFFSET: 0
; COMPUTE_PGM_RSRC3_GFX90A:TG_SPLIT: 0
	.section	.text._ZN7rocprim17ROCPRIM_400000_NS6detail17trampoline_kernelINS0_14default_configENS1_25partition_config_selectorILNS1_17partition_subalgoE1EiNS0_10empty_typeEbEEZZNS1_14partition_implILS5_1ELb0ES3_jN6thrust23THRUST_200600_302600_NS6detail15normal_iteratorINSA_10device_ptrIiEEEEPS6_NSA_18transform_iteratorI7is_evenIiESF_NSA_11use_defaultESK_EENS0_5tupleIJNSA_16discard_iteratorISK_EESF_EEENSM_IJSG_SG_EEES6_PlJS6_EEE10hipError_tPvRmT3_T4_T5_T6_T7_T9_mT8_P12ihipStream_tbDpT10_ENKUlT_T0_E_clISt17integral_constantIbLb0EES1B_EEDaS16_S17_EUlS16_E_NS1_11comp_targetILNS1_3genE10ELNS1_11target_archE1200ELNS1_3gpuE4ELNS1_3repE0EEENS1_30default_config_static_selectorELNS0_4arch9wavefront6targetE1EEEvT1_,"axG",@progbits,_ZN7rocprim17ROCPRIM_400000_NS6detail17trampoline_kernelINS0_14default_configENS1_25partition_config_selectorILNS1_17partition_subalgoE1EiNS0_10empty_typeEbEEZZNS1_14partition_implILS5_1ELb0ES3_jN6thrust23THRUST_200600_302600_NS6detail15normal_iteratorINSA_10device_ptrIiEEEEPS6_NSA_18transform_iteratorI7is_evenIiESF_NSA_11use_defaultESK_EENS0_5tupleIJNSA_16discard_iteratorISK_EESF_EEENSM_IJSG_SG_EEES6_PlJS6_EEE10hipError_tPvRmT3_T4_T5_T6_T7_T9_mT8_P12ihipStream_tbDpT10_ENKUlT_T0_E_clISt17integral_constantIbLb0EES1B_EEDaS16_S17_EUlS16_E_NS1_11comp_targetILNS1_3genE10ELNS1_11target_archE1200ELNS1_3gpuE4ELNS1_3repE0EEENS1_30default_config_static_selectorELNS0_4arch9wavefront6targetE1EEEvT1_,comdat
	.protected	_ZN7rocprim17ROCPRIM_400000_NS6detail17trampoline_kernelINS0_14default_configENS1_25partition_config_selectorILNS1_17partition_subalgoE1EiNS0_10empty_typeEbEEZZNS1_14partition_implILS5_1ELb0ES3_jN6thrust23THRUST_200600_302600_NS6detail15normal_iteratorINSA_10device_ptrIiEEEEPS6_NSA_18transform_iteratorI7is_evenIiESF_NSA_11use_defaultESK_EENS0_5tupleIJNSA_16discard_iteratorISK_EESF_EEENSM_IJSG_SG_EEES6_PlJS6_EEE10hipError_tPvRmT3_T4_T5_T6_T7_T9_mT8_P12ihipStream_tbDpT10_ENKUlT_T0_E_clISt17integral_constantIbLb0EES1B_EEDaS16_S17_EUlS16_E_NS1_11comp_targetILNS1_3genE10ELNS1_11target_archE1200ELNS1_3gpuE4ELNS1_3repE0EEENS1_30default_config_static_selectorELNS0_4arch9wavefront6targetE1EEEvT1_ ; -- Begin function _ZN7rocprim17ROCPRIM_400000_NS6detail17trampoline_kernelINS0_14default_configENS1_25partition_config_selectorILNS1_17partition_subalgoE1EiNS0_10empty_typeEbEEZZNS1_14partition_implILS5_1ELb0ES3_jN6thrust23THRUST_200600_302600_NS6detail15normal_iteratorINSA_10device_ptrIiEEEEPS6_NSA_18transform_iteratorI7is_evenIiESF_NSA_11use_defaultESK_EENS0_5tupleIJNSA_16discard_iteratorISK_EESF_EEENSM_IJSG_SG_EEES6_PlJS6_EEE10hipError_tPvRmT3_T4_T5_T6_T7_T9_mT8_P12ihipStream_tbDpT10_ENKUlT_T0_E_clISt17integral_constantIbLb0EES1B_EEDaS16_S17_EUlS16_E_NS1_11comp_targetILNS1_3genE10ELNS1_11target_archE1200ELNS1_3gpuE4ELNS1_3repE0EEENS1_30default_config_static_selectorELNS0_4arch9wavefront6targetE1EEEvT1_
	.globl	_ZN7rocprim17ROCPRIM_400000_NS6detail17trampoline_kernelINS0_14default_configENS1_25partition_config_selectorILNS1_17partition_subalgoE1EiNS0_10empty_typeEbEEZZNS1_14partition_implILS5_1ELb0ES3_jN6thrust23THRUST_200600_302600_NS6detail15normal_iteratorINSA_10device_ptrIiEEEEPS6_NSA_18transform_iteratorI7is_evenIiESF_NSA_11use_defaultESK_EENS0_5tupleIJNSA_16discard_iteratorISK_EESF_EEENSM_IJSG_SG_EEES6_PlJS6_EEE10hipError_tPvRmT3_T4_T5_T6_T7_T9_mT8_P12ihipStream_tbDpT10_ENKUlT_T0_E_clISt17integral_constantIbLb0EES1B_EEDaS16_S17_EUlS16_E_NS1_11comp_targetILNS1_3genE10ELNS1_11target_archE1200ELNS1_3gpuE4ELNS1_3repE0EEENS1_30default_config_static_selectorELNS0_4arch9wavefront6targetE1EEEvT1_
	.p2align	8
	.type	_ZN7rocprim17ROCPRIM_400000_NS6detail17trampoline_kernelINS0_14default_configENS1_25partition_config_selectorILNS1_17partition_subalgoE1EiNS0_10empty_typeEbEEZZNS1_14partition_implILS5_1ELb0ES3_jN6thrust23THRUST_200600_302600_NS6detail15normal_iteratorINSA_10device_ptrIiEEEEPS6_NSA_18transform_iteratorI7is_evenIiESF_NSA_11use_defaultESK_EENS0_5tupleIJNSA_16discard_iteratorISK_EESF_EEENSM_IJSG_SG_EEES6_PlJS6_EEE10hipError_tPvRmT3_T4_T5_T6_T7_T9_mT8_P12ihipStream_tbDpT10_ENKUlT_T0_E_clISt17integral_constantIbLb0EES1B_EEDaS16_S17_EUlS16_E_NS1_11comp_targetILNS1_3genE10ELNS1_11target_archE1200ELNS1_3gpuE4ELNS1_3repE0EEENS1_30default_config_static_selectorELNS0_4arch9wavefront6targetE1EEEvT1_,@function
_ZN7rocprim17ROCPRIM_400000_NS6detail17trampoline_kernelINS0_14default_configENS1_25partition_config_selectorILNS1_17partition_subalgoE1EiNS0_10empty_typeEbEEZZNS1_14partition_implILS5_1ELb0ES3_jN6thrust23THRUST_200600_302600_NS6detail15normal_iteratorINSA_10device_ptrIiEEEEPS6_NSA_18transform_iteratorI7is_evenIiESF_NSA_11use_defaultESK_EENS0_5tupleIJNSA_16discard_iteratorISK_EESF_EEENSM_IJSG_SG_EEES6_PlJS6_EEE10hipError_tPvRmT3_T4_T5_T6_T7_T9_mT8_P12ihipStream_tbDpT10_ENKUlT_T0_E_clISt17integral_constantIbLb0EES1B_EEDaS16_S17_EUlS16_E_NS1_11comp_targetILNS1_3genE10ELNS1_11target_archE1200ELNS1_3gpuE4ELNS1_3repE0EEENS1_30default_config_static_selectorELNS0_4arch9wavefront6targetE1EEEvT1_: ; @_ZN7rocprim17ROCPRIM_400000_NS6detail17trampoline_kernelINS0_14default_configENS1_25partition_config_selectorILNS1_17partition_subalgoE1EiNS0_10empty_typeEbEEZZNS1_14partition_implILS5_1ELb0ES3_jN6thrust23THRUST_200600_302600_NS6detail15normal_iteratorINSA_10device_ptrIiEEEEPS6_NSA_18transform_iteratorI7is_evenIiESF_NSA_11use_defaultESK_EENS0_5tupleIJNSA_16discard_iteratorISK_EESF_EEENSM_IJSG_SG_EEES6_PlJS6_EEE10hipError_tPvRmT3_T4_T5_T6_T7_T9_mT8_P12ihipStream_tbDpT10_ENKUlT_T0_E_clISt17integral_constantIbLb0EES1B_EEDaS16_S17_EUlS16_E_NS1_11comp_targetILNS1_3genE10ELNS1_11target_archE1200ELNS1_3gpuE4ELNS1_3repE0EEENS1_30default_config_static_selectorELNS0_4arch9wavefront6targetE1EEEvT1_
; %bb.0:
	.section	.rodata,"a",@progbits
	.p2align	6, 0x0
	.amdhsa_kernel _ZN7rocprim17ROCPRIM_400000_NS6detail17trampoline_kernelINS0_14default_configENS1_25partition_config_selectorILNS1_17partition_subalgoE1EiNS0_10empty_typeEbEEZZNS1_14partition_implILS5_1ELb0ES3_jN6thrust23THRUST_200600_302600_NS6detail15normal_iteratorINSA_10device_ptrIiEEEEPS6_NSA_18transform_iteratorI7is_evenIiESF_NSA_11use_defaultESK_EENS0_5tupleIJNSA_16discard_iteratorISK_EESF_EEENSM_IJSG_SG_EEES6_PlJS6_EEE10hipError_tPvRmT3_T4_T5_T6_T7_T9_mT8_P12ihipStream_tbDpT10_ENKUlT_T0_E_clISt17integral_constantIbLb0EES1B_EEDaS16_S17_EUlS16_E_NS1_11comp_targetILNS1_3genE10ELNS1_11target_archE1200ELNS1_3gpuE4ELNS1_3repE0EEENS1_30default_config_static_selectorELNS0_4arch9wavefront6targetE1EEEvT1_
		.amdhsa_group_segment_fixed_size 0
		.amdhsa_private_segment_fixed_size 0
		.amdhsa_kernarg_size 136
		.amdhsa_user_sgpr_count 6
		.amdhsa_user_sgpr_private_segment_buffer 1
		.amdhsa_user_sgpr_dispatch_ptr 0
		.amdhsa_user_sgpr_queue_ptr 0
		.amdhsa_user_sgpr_kernarg_segment_ptr 1
		.amdhsa_user_sgpr_dispatch_id 0
		.amdhsa_user_sgpr_flat_scratch_init 0
		.amdhsa_user_sgpr_kernarg_preload_length 0
		.amdhsa_user_sgpr_kernarg_preload_offset 0
		.amdhsa_user_sgpr_private_segment_size 0
		.amdhsa_uses_dynamic_stack 0
		.amdhsa_system_sgpr_private_segment_wavefront_offset 0
		.amdhsa_system_sgpr_workgroup_id_x 1
		.amdhsa_system_sgpr_workgroup_id_y 0
		.amdhsa_system_sgpr_workgroup_id_z 0
		.amdhsa_system_sgpr_workgroup_info 0
		.amdhsa_system_vgpr_workitem_id 0
		.amdhsa_next_free_vgpr 1
		.amdhsa_next_free_sgpr 0
		.amdhsa_accum_offset 4
		.amdhsa_reserve_vcc 0
		.amdhsa_reserve_flat_scratch 0
		.amdhsa_float_round_mode_32 0
		.amdhsa_float_round_mode_16_64 0
		.amdhsa_float_denorm_mode_32 3
		.amdhsa_float_denorm_mode_16_64 3
		.amdhsa_dx10_clamp 1
		.amdhsa_ieee_mode 1
		.amdhsa_fp16_overflow 0
		.amdhsa_tg_split 0
		.amdhsa_exception_fp_ieee_invalid_op 0
		.amdhsa_exception_fp_denorm_src 0
		.amdhsa_exception_fp_ieee_div_zero 0
		.amdhsa_exception_fp_ieee_overflow 0
		.amdhsa_exception_fp_ieee_underflow 0
		.amdhsa_exception_fp_ieee_inexact 0
		.amdhsa_exception_int_div_zero 0
	.end_amdhsa_kernel
	.section	.text._ZN7rocprim17ROCPRIM_400000_NS6detail17trampoline_kernelINS0_14default_configENS1_25partition_config_selectorILNS1_17partition_subalgoE1EiNS0_10empty_typeEbEEZZNS1_14partition_implILS5_1ELb0ES3_jN6thrust23THRUST_200600_302600_NS6detail15normal_iteratorINSA_10device_ptrIiEEEEPS6_NSA_18transform_iteratorI7is_evenIiESF_NSA_11use_defaultESK_EENS0_5tupleIJNSA_16discard_iteratorISK_EESF_EEENSM_IJSG_SG_EEES6_PlJS6_EEE10hipError_tPvRmT3_T4_T5_T6_T7_T9_mT8_P12ihipStream_tbDpT10_ENKUlT_T0_E_clISt17integral_constantIbLb0EES1B_EEDaS16_S17_EUlS16_E_NS1_11comp_targetILNS1_3genE10ELNS1_11target_archE1200ELNS1_3gpuE4ELNS1_3repE0EEENS1_30default_config_static_selectorELNS0_4arch9wavefront6targetE1EEEvT1_,"axG",@progbits,_ZN7rocprim17ROCPRIM_400000_NS6detail17trampoline_kernelINS0_14default_configENS1_25partition_config_selectorILNS1_17partition_subalgoE1EiNS0_10empty_typeEbEEZZNS1_14partition_implILS5_1ELb0ES3_jN6thrust23THRUST_200600_302600_NS6detail15normal_iteratorINSA_10device_ptrIiEEEEPS6_NSA_18transform_iteratorI7is_evenIiESF_NSA_11use_defaultESK_EENS0_5tupleIJNSA_16discard_iteratorISK_EESF_EEENSM_IJSG_SG_EEES6_PlJS6_EEE10hipError_tPvRmT3_T4_T5_T6_T7_T9_mT8_P12ihipStream_tbDpT10_ENKUlT_T0_E_clISt17integral_constantIbLb0EES1B_EEDaS16_S17_EUlS16_E_NS1_11comp_targetILNS1_3genE10ELNS1_11target_archE1200ELNS1_3gpuE4ELNS1_3repE0EEENS1_30default_config_static_selectorELNS0_4arch9wavefront6targetE1EEEvT1_,comdat
.Lfunc_end3328:
	.size	_ZN7rocprim17ROCPRIM_400000_NS6detail17trampoline_kernelINS0_14default_configENS1_25partition_config_selectorILNS1_17partition_subalgoE1EiNS0_10empty_typeEbEEZZNS1_14partition_implILS5_1ELb0ES3_jN6thrust23THRUST_200600_302600_NS6detail15normal_iteratorINSA_10device_ptrIiEEEEPS6_NSA_18transform_iteratorI7is_evenIiESF_NSA_11use_defaultESK_EENS0_5tupleIJNSA_16discard_iteratorISK_EESF_EEENSM_IJSG_SG_EEES6_PlJS6_EEE10hipError_tPvRmT3_T4_T5_T6_T7_T9_mT8_P12ihipStream_tbDpT10_ENKUlT_T0_E_clISt17integral_constantIbLb0EES1B_EEDaS16_S17_EUlS16_E_NS1_11comp_targetILNS1_3genE10ELNS1_11target_archE1200ELNS1_3gpuE4ELNS1_3repE0EEENS1_30default_config_static_selectorELNS0_4arch9wavefront6targetE1EEEvT1_, .Lfunc_end3328-_ZN7rocprim17ROCPRIM_400000_NS6detail17trampoline_kernelINS0_14default_configENS1_25partition_config_selectorILNS1_17partition_subalgoE1EiNS0_10empty_typeEbEEZZNS1_14partition_implILS5_1ELb0ES3_jN6thrust23THRUST_200600_302600_NS6detail15normal_iteratorINSA_10device_ptrIiEEEEPS6_NSA_18transform_iteratorI7is_evenIiESF_NSA_11use_defaultESK_EENS0_5tupleIJNSA_16discard_iteratorISK_EESF_EEENSM_IJSG_SG_EEES6_PlJS6_EEE10hipError_tPvRmT3_T4_T5_T6_T7_T9_mT8_P12ihipStream_tbDpT10_ENKUlT_T0_E_clISt17integral_constantIbLb0EES1B_EEDaS16_S17_EUlS16_E_NS1_11comp_targetILNS1_3genE10ELNS1_11target_archE1200ELNS1_3gpuE4ELNS1_3repE0EEENS1_30default_config_static_selectorELNS0_4arch9wavefront6targetE1EEEvT1_
                                        ; -- End function
	.section	.AMDGPU.csdata,"",@progbits
; Kernel info:
; codeLenInByte = 0
; NumSgprs: 4
; NumVgprs: 0
; NumAgprs: 0
; TotalNumVgprs: 0
; ScratchSize: 0
; MemoryBound: 0
; FloatMode: 240
; IeeeMode: 1
; LDSByteSize: 0 bytes/workgroup (compile time only)
; SGPRBlocks: 0
; VGPRBlocks: 0
; NumSGPRsForWavesPerEU: 4
; NumVGPRsForWavesPerEU: 1
; AccumOffset: 4
; Occupancy: 8
; WaveLimiterHint : 0
; COMPUTE_PGM_RSRC2:SCRATCH_EN: 0
; COMPUTE_PGM_RSRC2:USER_SGPR: 6
; COMPUTE_PGM_RSRC2:TRAP_HANDLER: 0
; COMPUTE_PGM_RSRC2:TGID_X_EN: 1
; COMPUTE_PGM_RSRC2:TGID_Y_EN: 0
; COMPUTE_PGM_RSRC2:TGID_Z_EN: 0
; COMPUTE_PGM_RSRC2:TIDIG_COMP_CNT: 0
; COMPUTE_PGM_RSRC3_GFX90A:ACCUM_OFFSET: 0
; COMPUTE_PGM_RSRC3_GFX90A:TG_SPLIT: 0
	.section	.text._ZN7rocprim17ROCPRIM_400000_NS6detail17trampoline_kernelINS0_14default_configENS1_25partition_config_selectorILNS1_17partition_subalgoE1EiNS0_10empty_typeEbEEZZNS1_14partition_implILS5_1ELb0ES3_jN6thrust23THRUST_200600_302600_NS6detail15normal_iteratorINSA_10device_ptrIiEEEEPS6_NSA_18transform_iteratorI7is_evenIiESF_NSA_11use_defaultESK_EENS0_5tupleIJNSA_16discard_iteratorISK_EESF_EEENSM_IJSG_SG_EEES6_PlJS6_EEE10hipError_tPvRmT3_T4_T5_T6_T7_T9_mT8_P12ihipStream_tbDpT10_ENKUlT_T0_E_clISt17integral_constantIbLb0EES1B_EEDaS16_S17_EUlS16_E_NS1_11comp_targetILNS1_3genE9ELNS1_11target_archE1100ELNS1_3gpuE3ELNS1_3repE0EEENS1_30default_config_static_selectorELNS0_4arch9wavefront6targetE1EEEvT1_,"axG",@progbits,_ZN7rocprim17ROCPRIM_400000_NS6detail17trampoline_kernelINS0_14default_configENS1_25partition_config_selectorILNS1_17partition_subalgoE1EiNS0_10empty_typeEbEEZZNS1_14partition_implILS5_1ELb0ES3_jN6thrust23THRUST_200600_302600_NS6detail15normal_iteratorINSA_10device_ptrIiEEEEPS6_NSA_18transform_iteratorI7is_evenIiESF_NSA_11use_defaultESK_EENS0_5tupleIJNSA_16discard_iteratorISK_EESF_EEENSM_IJSG_SG_EEES6_PlJS6_EEE10hipError_tPvRmT3_T4_T5_T6_T7_T9_mT8_P12ihipStream_tbDpT10_ENKUlT_T0_E_clISt17integral_constantIbLb0EES1B_EEDaS16_S17_EUlS16_E_NS1_11comp_targetILNS1_3genE9ELNS1_11target_archE1100ELNS1_3gpuE3ELNS1_3repE0EEENS1_30default_config_static_selectorELNS0_4arch9wavefront6targetE1EEEvT1_,comdat
	.protected	_ZN7rocprim17ROCPRIM_400000_NS6detail17trampoline_kernelINS0_14default_configENS1_25partition_config_selectorILNS1_17partition_subalgoE1EiNS0_10empty_typeEbEEZZNS1_14partition_implILS5_1ELb0ES3_jN6thrust23THRUST_200600_302600_NS6detail15normal_iteratorINSA_10device_ptrIiEEEEPS6_NSA_18transform_iteratorI7is_evenIiESF_NSA_11use_defaultESK_EENS0_5tupleIJNSA_16discard_iteratorISK_EESF_EEENSM_IJSG_SG_EEES6_PlJS6_EEE10hipError_tPvRmT3_T4_T5_T6_T7_T9_mT8_P12ihipStream_tbDpT10_ENKUlT_T0_E_clISt17integral_constantIbLb0EES1B_EEDaS16_S17_EUlS16_E_NS1_11comp_targetILNS1_3genE9ELNS1_11target_archE1100ELNS1_3gpuE3ELNS1_3repE0EEENS1_30default_config_static_selectorELNS0_4arch9wavefront6targetE1EEEvT1_ ; -- Begin function _ZN7rocprim17ROCPRIM_400000_NS6detail17trampoline_kernelINS0_14default_configENS1_25partition_config_selectorILNS1_17partition_subalgoE1EiNS0_10empty_typeEbEEZZNS1_14partition_implILS5_1ELb0ES3_jN6thrust23THRUST_200600_302600_NS6detail15normal_iteratorINSA_10device_ptrIiEEEEPS6_NSA_18transform_iteratorI7is_evenIiESF_NSA_11use_defaultESK_EENS0_5tupleIJNSA_16discard_iteratorISK_EESF_EEENSM_IJSG_SG_EEES6_PlJS6_EEE10hipError_tPvRmT3_T4_T5_T6_T7_T9_mT8_P12ihipStream_tbDpT10_ENKUlT_T0_E_clISt17integral_constantIbLb0EES1B_EEDaS16_S17_EUlS16_E_NS1_11comp_targetILNS1_3genE9ELNS1_11target_archE1100ELNS1_3gpuE3ELNS1_3repE0EEENS1_30default_config_static_selectorELNS0_4arch9wavefront6targetE1EEEvT1_
	.globl	_ZN7rocprim17ROCPRIM_400000_NS6detail17trampoline_kernelINS0_14default_configENS1_25partition_config_selectorILNS1_17partition_subalgoE1EiNS0_10empty_typeEbEEZZNS1_14partition_implILS5_1ELb0ES3_jN6thrust23THRUST_200600_302600_NS6detail15normal_iteratorINSA_10device_ptrIiEEEEPS6_NSA_18transform_iteratorI7is_evenIiESF_NSA_11use_defaultESK_EENS0_5tupleIJNSA_16discard_iteratorISK_EESF_EEENSM_IJSG_SG_EEES6_PlJS6_EEE10hipError_tPvRmT3_T4_T5_T6_T7_T9_mT8_P12ihipStream_tbDpT10_ENKUlT_T0_E_clISt17integral_constantIbLb0EES1B_EEDaS16_S17_EUlS16_E_NS1_11comp_targetILNS1_3genE9ELNS1_11target_archE1100ELNS1_3gpuE3ELNS1_3repE0EEENS1_30default_config_static_selectorELNS0_4arch9wavefront6targetE1EEEvT1_
	.p2align	8
	.type	_ZN7rocprim17ROCPRIM_400000_NS6detail17trampoline_kernelINS0_14default_configENS1_25partition_config_selectorILNS1_17partition_subalgoE1EiNS0_10empty_typeEbEEZZNS1_14partition_implILS5_1ELb0ES3_jN6thrust23THRUST_200600_302600_NS6detail15normal_iteratorINSA_10device_ptrIiEEEEPS6_NSA_18transform_iteratorI7is_evenIiESF_NSA_11use_defaultESK_EENS0_5tupleIJNSA_16discard_iteratorISK_EESF_EEENSM_IJSG_SG_EEES6_PlJS6_EEE10hipError_tPvRmT3_T4_T5_T6_T7_T9_mT8_P12ihipStream_tbDpT10_ENKUlT_T0_E_clISt17integral_constantIbLb0EES1B_EEDaS16_S17_EUlS16_E_NS1_11comp_targetILNS1_3genE9ELNS1_11target_archE1100ELNS1_3gpuE3ELNS1_3repE0EEENS1_30default_config_static_selectorELNS0_4arch9wavefront6targetE1EEEvT1_,@function
_ZN7rocprim17ROCPRIM_400000_NS6detail17trampoline_kernelINS0_14default_configENS1_25partition_config_selectorILNS1_17partition_subalgoE1EiNS0_10empty_typeEbEEZZNS1_14partition_implILS5_1ELb0ES3_jN6thrust23THRUST_200600_302600_NS6detail15normal_iteratorINSA_10device_ptrIiEEEEPS6_NSA_18transform_iteratorI7is_evenIiESF_NSA_11use_defaultESK_EENS0_5tupleIJNSA_16discard_iteratorISK_EESF_EEENSM_IJSG_SG_EEES6_PlJS6_EEE10hipError_tPvRmT3_T4_T5_T6_T7_T9_mT8_P12ihipStream_tbDpT10_ENKUlT_T0_E_clISt17integral_constantIbLb0EES1B_EEDaS16_S17_EUlS16_E_NS1_11comp_targetILNS1_3genE9ELNS1_11target_archE1100ELNS1_3gpuE3ELNS1_3repE0EEENS1_30default_config_static_selectorELNS0_4arch9wavefront6targetE1EEEvT1_: ; @_ZN7rocprim17ROCPRIM_400000_NS6detail17trampoline_kernelINS0_14default_configENS1_25partition_config_selectorILNS1_17partition_subalgoE1EiNS0_10empty_typeEbEEZZNS1_14partition_implILS5_1ELb0ES3_jN6thrust23THRUST_200600_302600_NS6detail15normal_iteratorINSA_10device_ptrIiEEEEPS6_NSA_18transform_iteratorI7is_evenIiESF_NSA_11use_defaultESK_EENS0_5tupleIJNSA_16discard_iteratorISK_EESF_EEENSM_IJSG_SG_EEES6_PlJS6_EEE10hipError_tPvRmT3_T4_T5_T6_T7_T9_mT8_P12ihipStream_tbDpT10_ENKUlT_T0_E_clISt17integral_constantIbLb0EES1B_EEDaS16_S17_EUlS16_E_NS1_11comp_targetILNS1_3genE9ELNS1_11target_archE1100ELNS1_3gpuE3ELNS1_3repE0EEENS1_30default_config_static_selectorELNS0_4arch9wavefront6targetE1EEEvT1_
; %bb.0:
	.section	.rodata,"a",@progbits
	.p2align	6, 0x0
	.amdhsa_kernel _ZN7rocprim17ROCPRIM_400000_NS6detail17trampoline_kernelINS0_14default_configENS1_25partition_config_selectorILNS1_17partition_subalgoE1EiNS0_10empty_typeEbEEZZNS1_14partition_implILS5_1ELb0ES3_jN6thrust23THRUST_200600_302600_NS6detail15normal_iteratorINSA_10device_ptrIiEEEEPS6_NSA_18transform_iteratorI7is_evenIiESF_NSA_11use_defaultESK_EENS0_5tupleIJNSA_16discard_iteratorISK_EESF_EEENSM_IJSG_SG_EEES6_PlJS6_EEE10hipError_tPvRmT3_T4_T5_T6_T7_T9_mT8_P12ihipStream_tbDpT10_ENKUlT_T0_E_clISt17integral_constantIbLb0EES1B_EEDaS16_S17_EUlS16_E_NS1_11comp_targetILNS1_3genE9ELNS1_11target_archE1100ELNS1_3gpuE3ELNS1_3repE0EEENS1_30default_config_static_selectorELNS0_4arch9wavefront6targetE1EEEvT1_
		.amdhsa_group_segment_fixed_size 0
		.amdhsa_private_segment_fixed_size 0
		.amdhsa_kernarg_size 136
		.amdhsa_user_sgpr_count 6
		.amdhsa_user_sgpr_private_segment_buffer 1
		.amdhsa_user_sgpr_dispatch_ptr 0
		.amdhsa_user_sgpr_queue_ptr 0
		.amdhsa_user_sgpr_kernarg_segment_ptr 1
		.amdhsa_user_sgpr_dispatch_id 0
		.amdhsa_user_sgpr_flat_scratch_init 0
		.amdhsa_user_sgpr_kernarg_preload_length 0
		.amdhsa_user_sgpr_kernarg_preload_offset 0
		.amdhsa_user_sgpr_private_segment_size 0
		.amdhsa_uses_dynamic_stack 0
		.amdhsa_system_sgpr_private_segment_wavefront_offset 0
		.amdhsa_system_sgpr_workgroup_id_x 1
		.amdhsa_system_sgpr_workgroup_id_y 0
		.amdhsa_system_sgpr_workgroup_id_z 0
		.amdhsa_system_sgpr_workgroup_info 0
		.amdhsa_system_vgpr_workitem_id 0
		.amdhsa_next_free_vgpr 1
		.amdhsa_next_free_sgpr 0
		.amdhsa_accum_offset 4
		.amdhsa_reserve_vcc 0
		.amdhsa_reserve_flat_scratch 0
		.amdhsa_float_round_mode_32 0
		.amdhsa_float_round_mode_16_64 0
		.amdhsa_float_denorm_mode_32 3
		.amdhsa_float_denorm_mode_16_64 3
		.amdhsa_dx10_clamp 1
		.amdhsa_ieee_mode 1
		.amdhsa_fp16_overflow 0
		.amdhsa_tg_split 0
		.amdhsa_exception_fp_ieee_invalid_op 0
		.amdhsa_exception_fp_denorm_src 0
		.amdhsa_exception_fp_ieee_div_zero 0
		.amdhsa_exception_fp_ieee_overflow 0
		.amdhsa_exception_fp_ieee_underflow 0
		.amdhsa_exception_fp_ieee_inexact 0
		.amdhsa_exception_int_div_zero 0
	.end_amdhsa_kernel
	.section	.text._ZN7rocprim17ROCPRIM_400000_NS6detail17trampoline_kernelINS0_14default_configENS1_25partition_config_selectorILNS1_17partition_subalgoE1EiNS0_10empty_typeEbEEZZNS1_14partition_implILS5_1ELb0ES3_jN6thrust23THRUST_200600_302600_NS6detail15normal_iteratorINSA_10device_ptrIiEEEEPS6_NSA_18transform_iteratorI7is_evenIiESF_NSA_11use_defaultESK_EENS0_5tupleIJNSA_16discard_iteratorISK_EESF_EEENSM_IJSG_SG_EEES6_PlJS6_EEE10hipError_tPvRmT3_T4_T5_T6_T7_T9_mT8_P12ihipStream_tbDpT10_ENKUlT_T0_E_clISt17integral_constantIbLb0EES1B_EEDaS16_S17_EUlS16_E_NS1_11comp_targetILNS1_3genE9ELNS1_11target_archE1100ELNS1_3gpuE3ELNS1_3repE0EEENS1_30default_config_static_selectorELNS0_4arch9wavefront6targetE1EEEvT1_,"axG",@progbits,_ZN7rocprim17ROCPRIM_400000_NS6detail17trampoline_kernelINS0_14default_configENS1_25partition_config_selectorILNS1_17partition_subalgoE1EiNS0_10empty_typeEbEEZZNS1_14partition_implILS5_1ELb0ES3_jN6thrust23THRUST_200600_302600_NS6detail15normal_iteratorINSA_10device_ptrIiEEEEPS6_NSA_18transform_iteratorI7is_evenIiESF_NSA_11use_defaultESK_EENS0_5tupleIJNSA_16discard_iteratorISK_EESF_EEENSM_IJSG_SG_EEES6_PlJS6_EEE10hipError_tPvRmT3_T4_T5_T6_T7_T9_mT8_P12ihipStream_tbDpT10_ENKUlT_T0_E_clISt17integral_constantIbLb0EES1B_EEDaS16_S17_EUlS16_E_NS1_11comp_targetILNS1_3genE9ELNS1_11target_archE1100ELNS1_3gpuE3ELNS1_3repE0EEENS1_30default_config_static_selectorELNS0_4arch9wavefront6targetE1EEEvT1_,comdat
.Lfunc_end3329:
	.size	_ZN7rocprim17ROCPRIM_400000_NS6detail17trampoline_kernelINS0_14default_configENS1_25partition_config_selectorILNS1_17partition_subalgoE1EiNS0_10empty_typeEbEEZZNS1_14partition_implILS5_1ELb0ES3_jN6thrust23THRUST_200600_302600_NS6detail15normal_iteratorINSA_10device_ptrIiEEEEPS6_NSA_18transform_iteratorI7is_evenIiESF_NSA_11use_defaultESK_EENS0_5tupleIJNSA_16discard_iteratorISK_EESF_EEENSM_IJSG_SG_EEES6_PlJS6_EEE10hipError_tPvRmT3_T4_T5_T6_T7_T9_mT8_P12ihipStream_tbDpT10_ENKUlT_T0_E_clISt17integral_constantIbLb0EES1B_EEDaS16_S17_EUlS16_E_NS1_11comp_targetILNS1_3genE9ELNS1_11target_archE1100ELNS1_3gpuE3ELNS1_3repE0EEENS1_30default_config_static_selectorELNS0_4arch9wavefront6targetE1EEEvT1_, .Lfunc_end3329-_ZN7rocprim17ROCPRIM_400000_NS6detail17trampoline_kernelINS0_14default_configENS1_25partition_config_selectorILNS1_17partition_subalgoE1EiNS0_10empty_typeEbEEZZNS1_14partition_implILS5_1ELb0ES3_jN6thrust23THRUST_200600_302600_NS6detail15normal_iteratorINSA_10device_ptrIiEEEEPS6_NSA_18transform_iteratorI7is_evenIiESF_NSA_11use_defaultESK_EENS0_5tupleIJNSA_16discard_iteratorISK_EESF_EEENSM_IJSG_SG_EEES6_PlJS6_EEE10hipError_tPvRmT3_T4_T5_T6_T7_T9_mT8_P12ihipStream_tbDpT10_ENKUlT_T0_E_clISt17integral_constantIbLb0EES1B_EEDaS16_S17_EUlS16_E_NS1_11comp_targetILNS1_3genE9ELNS1_11target_archE1100ELNS1_3gpuE3ELNS1_3repE0EEENS1_30default_config_static_selectorELNS0_4arch9wavefront6targetE1EEEvT1_
                                        ; -- End function
	.section	.AMDGPU.csdata,"",@progbits
; Kernel info:
; codeLenInByte = 0
; NumSgprs: 4
; NumVgprs: 0
; NumAgprs: 0
; TotalNumVgprs: 0
; ScratchSize: 0
; MemoryBound: 0
; FloatMode: 240
; IeeeMode: 1
; LDSByteSize: 0 bytes/workgroup (compile time only)
; SGPRBlocks: 0
; VGPRBlocks: 0
; NumSGPRsForWavesPerEU: 4
; NumVGPRsForWavesPerEU: 1
; AccumOffset: 4
; Occupancy: 8
; WaveLimiterHint : 0
; COMPUTE_PGM_RSRC2:SCRATCH_EN: 0
; COMPUTE_PGM_RSRC2:USER_SGPR: 6
; COMPUTE_PGM_RSRC2:TRAP_HANDLER: 0
; COMPUTE_PGM_RSRC2:TGID_X_EN: 1
; COMPUTE_PGM_RSRC2:TGID_Y_EN: 0
; COMPUTE_PGM_RSRC2:TGID_Z_EN: 0
; COMPUTE_PGM_RSRC2:TIDIG_COMP_CNT: 0
; COMPUTE_PGM_RSRC3_GFX90A:ACCUM_OFFSET: 0
; COMPUTE_PGM_RSRC3_GFX90A:TG_SPLIT: 0
	.section	.text._ZN7rocprim17ROCPRIM_400000_NS6detail17trampoline_kernelINS0_14default_configENS1_25partition_config_selectorILNS1_17partition_subalgoE1EiNS0_10empty_typeEbEEZZNS1_14partition_implILS5_1ELb0ES3_jN6thrust23THRUST_200600_302600_NS6detail15normal_iteratorINSA_10device_ptrIiEEEEPS6_NSA_18transform_iteratorI7is_evenIiESF_NSA_11use_defaultESK_EENS0_5tupleIJNSA_16discard_iteratorISK_EESF_EEENSM_IJSG_SG_EEES6_PlJS6_EEE10hipError_tPvRmT3_T4_T5_T6_T7_T9_mT8_P12ihipStream_tbDpT10_ENKUlT_T0_E_clISt17integral_constantIbLb0EES1B_EEDaS16_S17_EUlS16_E_NS1_11comp_targetILNS1_3genE8ELNS1_11target_archE1030ELNS1_3gpuE2ELNS1_3repE0EEENS1_30default_config_static_selectorELNS0_4arch9wavefront6targetE1EEEvT1_,"axG",@progbits,_ZN7rocprim17ROCPRIM_400000_NS6detail17trampoline_kernelINS0_14default_configENS1_25partition_config_selectorILNS1_17partition_subalgoE1EiNS0_10empty_typeEbEEZZNS1_14partition_implILS5_1ELb0ES3_jN6thrust23THRUST_200600_302600_NS6detail15normal_iteratorINSA_10device_ptrIiEEEEPS6_NSA_18transform_iteratorI7is_evenIiESF_NSA_11use_defaultESK_EENS0_5tupleIJNSA_16discard_iteratorISK_EESF_EEENSM_IJSG_SG_EEES6_PlJS6_EEE10hipError_tPvRmT3_T4_T5_T6_T7_T9_mT8_P12ihipStream_tbDpT10_ENKUlT_T0_E_clISt17integral_constantIbLb0EES1B_EEDaS16_S17_EUlS16_E_NS1_11comp_targetILNS1_3genE8ELNS1_11target_archE1030ELNS1_3gpuE2ELNS1_3repE0EEENS1_30default_config_static_selectorELNS0_4arch9wavefront6targetE1EEEvT1_,comdat
	.protected	_ZN7rocprim17ROCPRIM_400000_NS6detail17trampoline_kernelINS0_14default_configENS1_25partition_config_selectorILNS1_17partition_subalgoE1EiNS0_10empty_typeEbEEZZNS1_14partition_implILS5_1ELb0ES3_jN6thrust23THRUST_200600_302600_NS6detail15normal_iteratorINSA_10device_ptrIiEEEEPS6_NSA_18transform_iteratorI7is_evenIiESF_NSA_11use_defaultESK_EENS0_5tupleIJNSA_16discard_iteratorISK_EESF_EEENSM_IJSG_SG_EEES6_PlJS6_EEE10hipError_tPvRmT3_T4_T5_T6_T7_T9_mT8_P12ihipStream_tbDpT10_ENKUlT_T0_E_clISt17integral_constantIbLb0EES1B_EEDaS16_S17_EUlS16_E_NS1_11comp_targetILNS1_3genE8ELNS1_11target_archE1030ELNS1_3gpuE2ELNS1_3repE0EEENS1_30default_config_static_selectorELNS0_4arch9wavefront6targetE1EEEvT1_ ; -- Begin function _ZN7rocprim17ROCPRIM_400000_NS6detail17trampoline_kernelINS0_14default_configENS1_25partition_config_selectorILNS1_17partition_subalgoE1EiNS0_10empty_typeEbEEZZNS1_14partition_implILS5_1ELb0ES3_jN6thrust23THRUST_200600_302600_NS6detail15normal_iteratorINSA_10device_ptrIiEEEEPS6_NSA_18transform_iteratorI7is_evenIiESF_NSA_11use_defaultESK_EENS0_5tupleIJNSA_16discard_iteratorISK_EESF_EEENSM_IJSG_SG_EEES6_PlJS6_EEE10hipError_tPvRmT3_T4_T5_T6_T7_T9_mT8_P12ihipStream_tbDpT10_ENKUlT_T0_E_clISt17integral_constantIbLb0EES1B_EEDaS16_S17_EUlS16_E_NS1_11comp_targetILNS1_3genE8ELNS1_11target_archE1030ELNS1_3gpuE2ELNS1_3repE0EEENS1_30default_config_static_selectorELNS0_4arch9wavefront6targetE1EEEvT1_
	.globl	_ZN7rocprim17ROCPRIM_400000_NS6detail17trampoline_kernelINS0_14default_configENS1_25partition_config_selectorILNS1_17partition_subalgoE1EiNS0_10empty_typeEbEEZZNS1_14partition_implILS5_1ELb0ES3_jN6thrust23THRUST_200600_302600_NS6detail15normal_iteratorINSA_10device_ptrIiEEEEPS6_NSA_18transform_iteratorI7is_evenIiESF_NSA_11use_defaultESK_EENS0_5tupleIJNSA_16discard_iteratorISK_EESF_EEENSM_IJSG_SG_EEES6_PlJS6_EEE10hipError_tPvRmT3_T4_T5_T6_T7_T9_mT8_P12ihipStream_tbDpT10_ENKUlT_T0_E_clISt17integral_constantIbLb0EES1B_EEDaS16_S17_EUlS16_E_NS1_11comp_targetILNS1_3genE8ELNS1_11target_archE1030ELNS1_3gpuE2ELNS1_3repE0EEENS1_30default_config_static_selectorELNS0_4arch9wavefront6targetE1EEEvT1_
	.p2align	8
	.type	_ZN7rocprim17ROCPRIM_400000_NS6detail17trampoline_kernelINS0_14default_configENS1_25partition_config_selectorILNS1_17partition_subalgoE1EiNS0_10empty_typeEbEEZZNS1_14partition_implILS5_1ELb0ES3_jN6thrust23THRUST_200600_302600_NS6detail15normal_iteratorINSA_10device_ptrIiEEEEPS6_NSA_18transform_iteratorI7is_evenIiESF_NSA_11use_defaultESK_EENS0_5tupleIJNSA_16discard_iteratorISK_EESF_EEENSM_IJSG_SG_EEES6_PlJS6_EEE10hipError_tPvRmT3_T4_T5_T6_T7_T9_mT8_P12ihipStream_tbDpT10_ENKUlT_T0_E_clISt17integral_constantIbLb0EES1B_EEDaS16_S17_EUlS16_E_NS1_11comp_targetILNS1_3genE8ELNS1_11target_archE1030ELNS1_3gpuE2ELNS1_3repE0EEENS1_30default_config_static_selectorELNS0_4arch9wavefront6targetE1EEEvT1_,@function
_ZN7rocprim17ROCPRIM_400000_NS6detail17trampoline_kernelINS0_14default_configENS1_25partition_config_selectorILNS1_17partition_subalgoE1EiNS0_10empty_typeEbEEZZNS1_14partition_implILS5_1ELb0ES3_jN6thrust23THRUST_200600_302600_NS6detail15normal_iteratorINSA_10device_ptrIiEEEEPS6_NSA_18transform_iteratorI7is_evenIiESF_NSA_11use_defaultESK_EENS0_5tupleIJNSA_16discard_iteratorISK_EESF_EEENSM_IJSG_SG_EEES6_PlJS6_EEE10hipError_tPvRmT3_T4_T5_T6_T7_T9_mT8_P12ihipStream_tbDpT10_ENKUlT_T0_E_clISt17integral_constantIbLb0EES1B_EEDaS16_S17_EUlS16_E_NS1_11comp_targetILNS1_3genE8ELNS1_11target_archE1030ELNS1_3gpuE2ELNS1_3repE0EEENS1_30default_config_static_selectorELNS0_4arch9wavefront6targetE1EEEvT1_: ; @_ZN7rocprim17ROCPRIM_400000_NS6detail17trampoline_kernelINS0_14default_configENS1_25partition_config_selectorILNS1_17partition_subalgoE1EiNS0_10empty_typeEbEEZZNS1_14partition_implILS5_1ELb0ES3_jN6thrust23THRUST_200600_302600_NS6detail15normal_iteratorINSA_10device_ptrIiEEEEPS6_NSA_18transform_iteratorI7is_evenIiESF_NSA_11use_defaultESK_EENS0_5tupleIJNSA_16discard_iteratorISK_EESF_EEENSM_IJSG_SG_EEES6_PlJS6_EEE10hipError_tPvRmT3_T4_T5_T6_T7_T9_mT8_P12ihipStream_tbDpT10_ENKUlT_T0_E_clISt17integral_constantIbLb0EES1B_EEDaS16_S17_EUlS16_E_NS1_11comp_targetILNS1_3genE8ELNS1_11target_archE1030ELNS1_3gpuE2ELNS1_3repE0EEENS1_30default_config_static_selectorELNS0_4arch9wavefront6targetE1EEEvT1_
; %bb.0:
	.section	.rodata,"a",@progbits
	.p2align	6, 0x0
	.amdhsa_kernel _ZN7rocprim17ROCPRIM_400000_NS6detail17trampoline_kernelINS0_14default_configENS1_25partition_config_selectorILNS1_17partition_subalgoE1EiNS0_10empty_typeEbEEZZNS1_14partition_implILS5_1ELb0ES3_jN6thrust23THRUST_200600_302600_NS6detail15normal_iteratorINSA_10device_ptrIiEEEEPS6_NSA_18transform_iteratorI7is_evenIiESF_NSA_11use_defaultESK_EENS0_5tupleIJNSA_16discard_iteratorISK_EESF_EEENSM_IJSG_SG_EEES6_PlJS6_EEE10hipError_tPvRmT3_T4_T5_T6_T7_T9_mT8_P12ihipStream_tbDpT10_ENKUlT_T0_E_clISt17integral_constantIbLb0EES1B_EEDaS16_S17_EUlS16_E_NS1_11comp_targetILNS1_3genE8ELNS1_11target_archE1030ELNS1_3gpuE2ELNS1_3repE0EEENS1_30default_config_static_selectorELNS0_4arch9wavefront6targetE1EEEvT1_
		.amdhsa_group_segment_fixed_size 0
		.amdhsa_private_segment_fixed_size 0
		.amdhsa_kernarg_size 136
		.amdhsa_user_sgpr_count 6
		.amdhsa_user_sgpr_private_segment_buffer 1
		.amdhsa_user_sgpr_dispatch_ptr 0
		.amdhsa_user_sgpr_queue_ptr 0
		.amdhsa_user_sgpr_kernarg_segment_ptr 1
		.amdhsa_user_sgpr_dispatch_id 0
		.amdhsa_user_sgpr_flat_scratch_init 0
		.amdhsa_user_sgpr_kernarg_preload_length 0
		.amdhsa_user_sgpr_kernarg_preload_offset 0
		.amdhsa_user_sgpr_private_segment_size 0
		.amdhsa_uses_dynamic_stack 0
		.amdhsa_system_sgpr_private_segment_wavefront_offset 0
		.amdhsa_system_sgpr_workgroup_id_x 1
		.amdhsa_system_sgpr_workgroup_id_y 0
		.amdhsa_system_sgpr_workgroup_id_z 0
		.amdhsa_system_sgpr_workgroup_info 0
		.amdhsa_system_vgpr_workitem_id 0
		.amdhsa_next_free_vgpr 1
		.amdhsa_next_free_sgpr 0
		.amdhsa_accum_offset 4
		.amdhsa_reserve_vcc 0
		.amdhsa_reserve_flat_scratch 0
		.amdhsa_float_round_mode_32 0
		.amdhsa_float_round_mode_16_64 0
		.amdhsa_float_denorm_mode_32 3
		.amdhsa_float_denorm_mode_16_64 3
		.amdhsa_dx10_clamp 1
		.amdhsa_ieee_mode 1
		.amdhsa_fp16_overflow 0
		.amdhsa_tg_split 0
		.amdhsa_exception_fp_ieee_invalid_op 0
		.amdhsa_exception_fp_denorm_src 0
		.amdhsa_exception_fp_ieee_div_zero 0
		.amdhsa_exception_fp_ieee_overflow 0
		.amdhsa_exception_fp_ieee_underflow 0
		.amdhsa_exception_fp_ieee_inexact 0
		.amdhsa_exception_int_div_zero 0
	.end_amdhsa_kernel
	.section	.text._ZN7rocprim17ROCPRIM_400000_NS6detail17trampoline_kernelINS0_14default_configENS1_25partition_config_selectorILNS1_17partition_subalgoE1EiNS0_10empty_typeEbEEZZNS1_14partition_implILS5_1ELb0ES3_jN6thrust23THRUST_200600_302600_NS6detail15normal_iteratorINSA_10device_ptrIiEEEEPS6_NSA_18transform_iteratorI7is_evenIiESF_NSA_11use_defaultESK_EENS0_5tupleIJNSA_16discard_iteratorISK_EESF_EEENSM_IJSG_SG_EEES6_PlJS6_EEE10hipError_tPvRmT3_T4_T5_T6_T7_T9_mT8_P12ihipStream_tbDpT10_ENKUlT_T0_E_clISt17integral_constantIbLb0EES1B_EEDaS16_S17_EUlS16_E_NS1_11comp_targetILNS1_3genE8ELNS1_11target_archE1030ELNS1_3gpuE2ELNS1_3repE0EEENS1_30default_config_static_selectorELNS0_4arch9wavefront6targetE1EEEvT1_,"axG",@progbits,_ZN7rocprim17ROCPRIM_400000_NS6detail17trampoline_kernelINS0_14default_configENS1_25partition_config_selectorILNS1_17partition_subalgoE1EiNS0_10empty_typeEbEEZZNS1_14partition_implILS5_1ELb0ES3_jN6thrust23THRUST_200600_302600_NS6detail15normal_iteratorINSA_10device_ptrIiEEEEPS6_NSA_18transform_iteratorI7is_evenIiESF_NSA_11use_defaultESK_EENS0_5tupleIJNSA_16discard_iteratorISK_EESF_EEENSM_IJSG_SG_EEES6_PlJS6_EEE10hipError_tPvRmT3_T4_T5_T6_T7_T9_mT8_P12ihipStream_tbDpT10_ENKUlT_T0_E_clISt17integral_constantIbLb0EES1B_EEDaS16_S17_EUlS16_E_NS1_11comp_targetILNS1_3genE8ELNS1_11target_archE1030ELNS1_3gpuE2ELNS1_3repE0EEENS1_30default_config_static_selectorELNS0_4arch9wavefront6targetE1EEEvT1_,comdat
.Lfunc_end3330:
	.size	_ZN7rocprim17ROCPRIM_400000_NS6detail17trampoline_kernelINS0_14default_configENS1_25partition_config_selectorILNS1_17partition_subalgoE1EiNS0_10empty_typeEbEEZZNS1_14partition_implILS5_1ELb0ES3_jN6thrust23THRUST_200600_302600_NS6detail15normal_iteratorINSA_10device_ptrIiEEEEPS6_NSA_18transform_iteratorI7is_evenIiESF_NSA_11use_defaultESK_EENS0_5tupleIJNSA_16discard_iteratorISK_EESF_EEENSM_IJSG_SG_EEES6_PlJS6_EEE10hipError_tPvRmT3_T4_T5_T6_T7_T9_mT8_P12ihipStream_tbDpT10_ENKUlT_T0_E_clISt17integral_constantIbLb0EES1B_EEDaS16_S17_EUlS16_E_NS1_11comp_targetILNS1_3genE8ELNS1_11target_archE1030ELNS1_3gpuE2ELNS1_3repE0EEENS1_30default_config_static_selectorELNS0_4arch9wavefront6targetE1EEEvT1_, .Lfunc_end3330-_ZN7rocprim17ROCPRIM_400000_NS6detail17trampoline_kernelINS0_14default_configENS1_25partition_config_selectorILNS1_17partition_subalgoE1EiNS0_10empty_typeEbEEZZNS1_14partition_implILS5_1ELb0ES3_jN6thrust23THRUST_200600_302600_NS6detail15normal_iteratorINSA_10device_ptrIiEEEEPS6_NSA_18transform_iteratorI7is_evenIiESF_NSA_11use_defaultESK_EENS0_5tupleIJNSA_16discard_iteratorISK_EESF_EEENSM_IJSG_SG_EEES6_PlJS6_EEE10hipError_tPvRmT3_T4_T5_T6_T7_T9_mT8_P12ihipStream_tbDpT10_ENKUlT_T0_E_clISt17integral_constantIbLb0EES1B_EEDaS16_S17_EUlS16_E_NS1_11comp_targetILNS1_3genE8ELNS1_11target_archE1030ELNS1_3gpuE2ELNS1_3repE0EEENS1_30default_config_static_selectorELNS0_4arch9wavefront6targetE1EEEvT1_
                                        ; -- End function
	.section	.AMDGPU.csdata,"",@progbits
; Kernel info:
; codeLenInByte = 0
; NumSgprs: 4
; NumVgprs: 0
; NumAgprs: 0
; TotalNumVgprs: 0
; ScratchSize: 0
; MemoryBound: 0
; FloatMode: 240
; IeeeMode: 1
; LDSByteSize: 0 bytes/workgroup (compile time only)
; SGPRBlocks: 0
; VGPRBlocks: 0
; NumSGPRsForWavesPerEU: 4
; NumVGPRsForWavesPerEU: 1
; AccumOffset: 4
; Occupancy: 8
; WaveLimiterHint : 0
; COMPUTE_PGM_RSRC2:SCRATCH_EN: 0
; COMPUTE_PGM_RSRC2:USER_SGPR: 6
; COMPUTE_PGM_RSRC2:TRAP_HANDLER: 0
; COMPUTE_PGM_RSRC2:TGID_X_EN: 1
; COMPUTE_PGM_RSRC2:TGID_Y_EN: 0
; COMPUTE_PGM_RSRC2:TGID_Z_EN: 0
; COMPUTE_PGM_RSRC2:TIDIG_COMP_CNT: 0
; COMPUTE_PGM_RSRC3_GFX90A:ACCUM_OFFSET: 0
; COMPUTE_PGM_RSRC3_GFX90A:TG_SPLIT: 0
	.section	.text._ZN7rocprim17ROCPRIM_400000_NS6detail17trampoline_kernelINS0_14default_configENS1_25partition_config_selectorILNS1_17partition_subalgoE1EiNS0_10empty_typeEbEEZZNS1_14partition_implILS5_1ELb0ES3_jN6thrust23THRUST_200600_302600_NS6detail15normal_iteratorINSA_10device_ptrIiEEEEPS6_NSA_18transform_iteratorI7is_evenIiESF_NSA_11use_defaultESK_EENS0_5tupleIJNSA_16discard_iteratorISK_EESF_EEENSM_IJSG_SG_EEES6_PlJS6_EEE10hipError_tPvRmT3_T4_T5_T6_T7_T9_mT8_P12ihipStream_tbDpT10_ENKUlT_T0_E_clISt17integral_constantIbLb1EES1B_EEDaS16_S17_EUlS16_E_NS1_11comp_targetILNS1_3genE0ELNS1_11target_archE4294967295ELNS1_3gpuE0ELNS1_3repE0EEENS1_30default_config_static_selectorELNS0_4arch9wavefront6targetE1EEEvT1_,"axG",@progbits,_ZN7rocprim17ROCPRIM_400000_NS6detail17trampoline_kernelINS0_14default_configENS1_25partition_config_selectorILNS1_17partition_subalgoE1EiNS0_10empty_typeEbEEZZNS1_14partition_implILS5_1ELb0ES3_jN6thrust23THRUST_200600_302600_NS6detail15normal_iteratorINSA_10device_ptrIiEEEEPS6_NSA_18transform_iteratorI7is_evenIiESF_NSA_11use_defaultESK_EENS0_5tupleIJNSA_16discard_iteratorISK_EESF_EEENSM_IJSG_SG_EEES6_PlJS6_EEE10hipError_tPvRmT3_T4_T5_T6_T7_T9_mT8_P12ihipStream_tbDpT10_ENKUlT_T0_E_clISt17integral_constantIbLb1EES1B_EEDaS16_S17_EUlS16_E_NS1_11comp_targetILNS1_3genE0ELNS1_11target_archE4294967295ELNS1_3gpuE0ELNS1_3repE0EEENS1_30default_config_static_selectorELNS0_4arch9wavefront6targetE1EEEvT1_,comdat
	.protected	_ZN7rocprim17ROCPRIM_400000_NS6detail17trampoline_kernelINS0_14default_configENS1_25partition_config_selectorILNS1_17partition_subalgoE1EiNS0_10empty_typeEbEEZZNS1_14partition_implILS5_1ELb0ES3_jN6thrust23THRUST_200600_302600_NS6detail15normal_iteratorINSA_10device_ptrIiEEEEPS6_NSA_18transform_iteratorI7is_evenIiESF_NSA_11use_defaultESK_EENS0_5tupleIJNSA_16discard_iteratorISK_EESF_EEENSM_IJSG_SG_EEES6_PlJS6_EEE10hipError_tPvRmT3_T4_T5_T6_T7_T9_mT8_P12ihipStream_tbDpT10_ENKUlT_T0_E_clISt17integral_constantIbLb1EES1B_EEDaS16_S17_EUlS16_E_NS1_11comp_targetILNS1_3genE0ELNS1_11target_archE4294967295ELNS1_3gpuE0ELNS1_3repE0EEENS1_30default_config_static_selectorELNS0_4arch9wavefront6targetE1EEEvT1_ ; -- Begin function _ZN7rocprim17ROCPRIM_400000_NS6detail17trampoline_kernelINS0_14default_configENS1_25partition_config_selectorILNS1_17partition_subalgoE1EiNS0_10empty_typeEbEEZZNS1_14partition_implILS5_1ELb0ES3_jN6thrust23THRUST_200600_302600_NS6detail15normal_iteratorINSA_10device_ptrIiEEEEPS6_NSA_18transform_iteratorI7is_evenIiESF_NSA_11use_defaultESK_EENS0_5tupleIJNSA_16discard_iteratorISK_EESF_EEENSM_IJSG_SG_EEES6_PlJS6_EEE10hipError_tPvRmT3_T4_T5_T6_T7_T9_mT8_P12ihipStream_tbDpT10_ENKUlT_T0_E_clISt17integral_constantIbLb1EES1B_EEDaS16_S17_EUlS16_E_NS1_11comp_targetILNS1_3genE0ELNS1_11target_archE4294967295ELNS1_3gpuE0ELNS1_3repE0EEENS1_30default_config_static_selectorELNS0_4arch9wavefront6targetE1EEEvT1_
	.globl	_ZN7rocprim17ROCPRIM_400000_NS6detail17trampoline_kernelINS0_14default_configENS1_25partition_config_selectorILNS1_17partition_subalgoE1EiNS0_10empty_typeEbEEZZNS1_14partition_implILS5_1ELb0ES3_jN6thrust23THRUST_200600_302600_NS6detail15normal_iteratorINSA_10device_ptrIiEEEEPS6_NSA_18transform_iteratorI7is_evenIiESF_NSA_11use_defaultESK_EENS0_5tupleIJNSA_16discard_iteratorISK_EESF_EEENSM_IJSG_SG_EEES6_PlJS6_EEE10hipError_tPvRmT3_T4_T5_T6_T7_T9_mT8_P12ihipStream_tbDpT10_ENKUlT_T0_E_clISt17integral_constantIbLb1EES1B_EEDaS16_S17_EUlS16_E_NS1_11comp_targetILNS1_3genE0ELNS1_11target_archE4294967295ELNS1_3gpuE0ELNS1_3repE0EEENS1_30default_config_static_selectorELNS0_4arch9wavefront6targetE1EEEvT1_
	.p2align	8
	.type	_ZN7rocprim17ROCPRIM_400000_NS6detail17trampoline_kernelINS0_14default_configENS1_25partition_config_selectorILNS1_17partition_subalgoE1EiNS0_10empty_typeEbEEZZNS1_14partition_implILS5_1ELb0ES3_jN6thrust23THRUST_200600_302600_NS6detail15normal_iteratorINSA_10device_ptrIiEEEEPS6_NSA_18transform_iteratorI7is_evenIiESF_NSA_11use_defaultESK_EENS0_5tupleIJNSA_16discard_iteratorISK_EESF_EEENSM_IJSG_SG_EEES6_PlJS6_EEE10hipError_tPvRmT3_T4_T5_T6_T7_T9_mT8_P12ihipStream_tbDpT10_ENKUlT_T0_E_clISt17integral_constantIbLb1EES1B_EEDaS16_S17_EUlS16_E_NS1_11comp_targetILNS1_3genE0ELNS1_11target_archE4294967295ELNS1_3gpuE0ELNS1_3repE0EEENS1_30default_config_static_selectorELNS0_4arch9wavefront6targetE1EEEvT1_,@function
_ZN7rocprim17ROCPRIM_400000_NS6detail17trampoline_kernelINS0_14default_configENS1_25partition_config_selectorILNS1_17partition_subalgoE1EiNS0_10empty_typeEbEEZZNS1_14partition_implILS5_1ELb0ES3_jN6thrust23THRUST_200600_302600_NS6detail15normal_iteratorINSA_10device_ptrIiEEEEPS6_NSA_18transform_iteratorI7is_evenIiESF_NSA_11use_defaultESK_EENS0_5tupleIJNSA_16discard_iteratorISK_EESF_EEENSM_IJSG_SG_EEES6_PlJS6_EEE10hipError_tPvRmT3_T4_T5_T6_T7_T9_mT8_P12ihipStream_tbDpT10_ENKUlT_T0_E_clISt17integral_constantIbLb1EES1B_EEDaS16_S17_EUlS16_E_NS1_11comp_targetILNS1_3genE0ELNS1_11target_archE4294967295ELNS1_3gpuE0ELNS1_3repE0EEENS1_30default_config_static_selectorELNS0_4arch9wavefront6targetE1EEEvT1_: ; @_ZN7rocprim17ROCPRIM_400000_NS6detail17trampoline_kernelINS0_14default_configENS1_25partition_config_selectorILNS1_17partition_subalgoE1EiNS0_10empty_typeEbEEZZNS1_14partition_implILS5_1ELb0ES3_jN6thrust23THRUST_200600_302600_NS6detail15normal_iteratorINSA_10device_ptrIiEEEEPS6_NSA_18transform_iteratorI7is_evenIiESF_NSA_11use_defaultESK_EENS0_5tupleIJNSA_16discard_iteratorISK_EESF_EEENSM_IJSG_SG_EEES6_PlJS6_EEE10hipError_tPvRmT3_T4_T5_T6_T7_T9_mT8_P12ihipStream_tbDpT10_ENKUlT_T0_E_clISt17integral_constantIbLb1EES1B_EEDaS16_S17_EUlS16_E_NS1_11comp_targetILNS1_3genE0ELNS1_11target_archE4294967295ELNS1_3gpuE0ELNS1_3repE0EEENS1_30default_config_static_selectorELNS0_4arch9wavefront6targetE1EEEvT1_
; %bb.0:
	.section	.rodata,"a",@progbits
	.p2align	6, 0x0
	.amdhsa_kernel _ZN7rocprim17ROCPRIM_400000_NS6detail17trampoline_kernelINS0_14default_configENS1_25partition_config_selectorILNS1_17partition_subalgoE1EiNS0_10empty_typeEbEEZZNS1_14partition_implILS5_1ELb0ES3_jN6thrust23THRUST_200600_302600_NS6detail15normal_iteratorINSA_10device_ptrIiEEEEPS6_NSA_18transform_iteratorI7is_evenIiESF_NSA_11use_defaultESK_EENS0_5tupleIJNSA_16discard_iteratorISK_EESF_EEENSM_IJSG_SG_EEES6_PlJS6_EEE10hipError_tPvRmT3_T4_T5_T6_T7_T9_mT8_P12ihipStream_tbDpT10_ENKUlT_T0_E_clISt17integral_constantIbLb1EES1B_EEDaS16_S17_EUlS16_E_NS1_11comp_targetILNS1_3genE0ELNS1_11target_archE4294967295ELNS1_3gpuE0ELNS1_3repE0EEENS1_30default_config_static_selectorELNS0_4arch9wavefront6targetE1EEEvT1_
		.amdhsa_group_segment_fixed_size 0
		.amdhsa_private_segment_fixed_size 0
		.amdhsa_kernarg_size 152
		.amdhsa_user_sgpr_count 6
		.amdhsa_user_sgpr_private_segment_buffer 1
		.amdhsa_user_sgpr_dispatch_ptr 0
		.amdhsa_user_sgpr_queue_ptr 0
		.amdhsa_user_sgpr_kernarg_segment_ptr 1
		.amdhsa_user_sgpr_dispatch_id 0
		.amdhsa_user_sgpr_flat_scratch_init 0
		.amdhsa_user_sgpr_kernarg_preload_length 0
		.amdhsa_user_sgpr_kernarg_preload_offset 0
		.amdhsa_user_sgpr_private_segment_size 0
		.amdhsa_uses_dynamic_stack 0
		.amdhsa_system_sgpr_private_segment_wavefront_offset 0
		.amdhsa_system_sgpr_workgroup_id_x 1
		.amdhsa_system_sgpr_workgroup_id_y 0
		.amdhsa_system_sgpr_workgroup_id_z 0
		.amdhsa_system_sgpr_workgroup_info 0
		.amdhsa_system_vgpr_workitem_id 0
		.amdhsa_next_free_vgpr 1
		.amdhsa_next_free_sgpr 0
		.amdhsa_accum_offset 4
		.amdhsa_reserve_vcc 0
		.amdhsa_reserve_flat_scratch 0
		.amdhsa_float_round_mode_32 0
		.amdhsa_float_round_mode_16_64 0
		.amdhsa_float_denorm_mode_32 3
		.amdhsa_float_denorm_mode_16_64 3
		.amdhsa_dx10_clamp 1
		.amdhsa_ieee_mode 1
		.amdhsa_fp16_overflow 0
		.amdhsa_tg_split 0
		.amdhsa_exception_fp_ieee_invalid_op 0
		.amdhsa_exception_fp_denorm_src 0
		.amdhsa_exception_fp_ieee_div_zero 0
		.amdhsa_exception_fp_ieee_overflow 0
		.amdhsa_exception_fp_ieee_underflow 0
		.amdhsa_exception_fp_ieee_inexact 0
		.amdhsa_exception_int_div_zero 0
	.end_amdhsa_kernel
	.section	.text._ZN7rocprim17ROCPRIM_400000_NS6detail17trampoline_kernelINS0_14default_configENS1_25partition_config_selectorILNS1_17partition_subalgoE1EiNS0_10empty_typeEbEEZZNS1_14partition_implILS5_1ELb0ES3_jN6thrust23THRUST_200600_302600_NS6detail15normal_iteratorINSA_10device_ptrIiEEEEPS6_NSA_18transform_iteratorI7is_evenIiESF_NSA_11use_defaultESK_EENS0_5tupleIJNSA_16discard_iteratorISK_EESF_EEENSM_IJSG_SG_EEES6_PlJS6_EEE10hipError_tPvRmT3_T4_T5_T6_T7_T9_mT8_P12ihipStream_tbDpT10_ENKUlT_T0_E_clISt17integral_constantIbLb1EES1B_EEDaS16_S17_EUlS16_E_NS1_11comp_targetILNS1_3genE0ELNS1_11target_archE4294967295ELNS1_3gpuE0ELNS1_3repE0EEENS1_30default_config_static_selectorELNS0_4arch9wavefront6targetE1EEEvT1_,"axG",@progbits,_ZN7rocprim17ROCPRIM_400000_NS6detail17trampoline_kernelINS0_14default_configENS1_25partition_config_selectorILNS1_17partition_subalgoE1EiNS0_10empty_typeEbEEZZNS1_14partition_implILS5_1ELb0ES3_jN6thrust23THRUST_200600_302600_NS6detail15normal_iteratorINSA_10device_ptrIiEEEEPS6_NSA_18transform_iteratorI7is_evenIiESF_NSA_11use_defaultESK_EENS0_5tupleIJNSA_16discard_iteratorISK_EESF_EEENSM_IJSG_SG_EEES6_PlJS6_EEE10hipError_tPvRmT3_T4_T5_T6_T7_T9_mT8_P12ihipStream_tbDpT10_ENKUlT_T0_E_clISt17integral_constantIbLb1EES1B_EEDaS16_S17_EUlS16_E_NS1_11comp_targetILNS1_3genE0ELNS1_11target_archE4294967295ELNS1_3gpuE0ELNS1_3repE0EEENS1_30default_config_static_selectorELNS0_4arch9wavefront6targetE1EEEvT1_,comdat
.Lfunc_end3331:
	.size	_ZN7rocprim17ROCPRIM_400000_NS6detail17trampoline_kernelINS0_14default_configENS1_25partition_config_selectorILNS1_17partition_subalgoE1EiNS0_10empty_typeEbEEZZNS1_14partition_implILS5_1ELb0ES3_jN6thrust23THRUST_200600_302600_NS6detail15normal_iteratorINSA_10device_ptrIiEEEEPS6_NSA_18transform_iteratorI7is_evenIiESF_NSA_11use_defaultESK_EENS0_5tupleIJNSA_16discard_iteratorISK_EESF_EEENSM_IJSG_SG_EEES6_PlJS6_EEE10hipError_tPvRmT3_T4_T5_T6_T7_T9_mT8_P12ihipStream_tbDpT10_ENKUlT_T0_E_clISt17integral_constantIbLb1EES1B_EEDaS16_S17_EUlS16_E_NS1_11comp_targetILNS1_3genE0ELNS1_11target_archE4294967295ELNS1_3gpuE0ELNS1_3repE0EEENS1_30default_config_static_selectorELNS0_4arch9wavefront6targetE1EEEvT1_, .Lfunc_end3331-_ZN7rocprim17ROCPRIM_400000_NS6detail17trampoline_kernelINS0_14default_configENS1_25partition_config_selectorILNS1_17partition_subalgoE1EiNS0_10empty_typeEbEEZZNS1_14partition_implILS5_1ELb0ES3_jN6thrust23THRUST_200600_302600_NS6detail15normal_iteratorINSA_10device_ptrIiEEEEPS6_NSA_18transform_iteratorI7is_evenIiESF_NSA_11use_defaultESK_EENS0_5tupleIJNSA_16discard_iteratorISK_EESF_EEENSM_IJSG_SG_EEES6_PlJS6_EEE10hipError_tPvRmT3_T4_T5_T6_T7_T9_mT8_P12ihipStream_tbDpT10_ENKUlT_T0_E_clISt17integral_constantIbLb1EES1B_EEDaS16_S17_EUlS16_E_NS1_11comp_targetILNS1_3genE0ELNS1_11target_archE4294967295ELNS1_3gpuE0ELNS1_3repE0EEENS1_30default_config_static_selectorELNS0_4arch9wavefront6targetE1EEEvT1_
                                        ; -- End function
	.section	.AMDGPU.csdata,"",@progbits
; Kernel info:
; codeLenInByte = 0
; NumSgprs: 4
; NumVgprs: 0
; NumAgprs: 0
; TotalNumVgprs: 0
; ScratchSize: 0
; MemoryBound: 0
; FloatMode: 240
; IeeeMode: 1
; LDSByteSize: 0 bytes/workgroup (compile time only)
; SGPRBlocks: 0
; VGPRBlocks: 0
; NumSGPRsForWavesPerEU: 4
; NumVGPRsForWavesPerEU: 1
; AccumOffset: 4
; Occupancy: 8
; WaveLimiterHint : 0
; COMPUTE_PGM_RSRC2:SCRATCH_EN: 0
; COMPUTE_PGM_RSRC2:USER_SGPR: 6
; COMPUTE_PGM_RSRC2:TRAP_HANDLER: 0
; COMPUTE_PGM_RSRC2:TGID_X_EN: 1
; COMPUTE_PGM_RSRC2:TGID_Y_EN: 0
; COMPUTE_PGM_RSRC2:TGID_Z_EN: 0
; COMPUTE_PGM_RSRC2:TIDIG_COMP_CNT: 0
; COMPUTE_PGM_RSRC3_GFX90A:ACCUM_OFFSET: 0
; COMPUTE_PGM_RSRC3_GFX90A:TG_SPLIT: 0
	.section	.text._ZN7rocprim17ROCPRIM_400000_NS6detail17trampoline_kernelINS0_14default_configENS1_25partition_config_selectorILNS1_17partition_subalgoE1EiNS0_10empty_typeEbEEZZNS1_14partition_implILS5_1ELb0ES3_jN6thrust23THRUST_200600_302600_NS6detail15normal_iteratorINSA_10device_ptrIiEEEEPS6_NSA_18transform_iteratorI7is_evenIiESF_NSA_11use_defaultESK_EENS0_5tupleIJNSA_16discard_iteratorISK_EESF_EEENSM_IJSG_SG_EEES6_PlJS6_EEE10hipError_tPvRmT3_T4_T5_T6_T7_T9_mT8_P12ihipStream_tbDpT10_ENKUlT_T0_E_clISt17integral_constantIbLb1EES1B_EEDaS16_S17_EUlS16_E_NS1_11comp_targetILNS1_3genE5ELNS1_11target_archE942ELNS1_3gpuE9ELNS1_3repE0EEENS1_30default_config_static_selectorELNS0_4arch9wavefront6targetE1EEEvT1_,"axG",@progbits,_ZN7rocprim17ROCPRIM_400000_NS6detail17trampoline_kernelINS0_14default_configENS1_25partition_config_selectorILNS1_17partition_subalgoE1EiNS0_10empty_typeEbEEZZNS1_14partition_implILS5_1ELb0ES3_jN6thrust23THRUST_200600_302600_NS6detail15normal_iteratorINSA_10device_ptrIiEEEEPS6_NSA_18transform_iteratorI7is_evenIiESF_NSA_11use_defaultESK_EENS0_5tupleIJNSA_16discard_iteratorISK_EESF_EEENSM_IJSG_SG_EEES6_PlJS6_EEE10hipError_tPvRmT3_T4_T5_T6_T7_T9_mT8_P12ihipStream_tbDpT10_ENKUlT_T0_E_clISt17integral_constantIbLb1EES1B_EEDaS16_S17_EUlS16_E_NS1_11comp_targetILNS1_3genE5ELNS1_11target_archE942ELNS1_3gpuE9ELNS1_3repE0EEENS1_30default_config_static_selectorELNS0_4arch9wavefront6targetE1EEEvT1_,comdat
	.protected	_ZN7rocprim17ROCPRIM_400000_NS6detail17trampoline_kernelINS0_14default_configENS1_25partition_config_selectorILNS1_17partition_subalgoE1EiNS0_10empty_typeEbEEZZNS1_14partition_implILS5_1ELb0ES3_jN6thrust23THRUST_200600_302600_NS6detail15normal_iteratorINSA_10device_ptrIiEEEEPS6_NSA_18transform_iteratorI7is_evenIiESF_NSA_11use_defaultESK_EENS0_5tupleIJNSA_16discard_iteratorISK_EESF_EEENSM_IJSG_SG_EEES6_PlJS6_EEE10hipError_tPvRmT3_T4_T5_T6_T7_T9_mT8_P12ihipStream_tbDpT10_ENKUlT_T0_E_clISt17integral_constantIbLb1EES1B_EEDaS16_S17_EUlS16_E_NS1_11comp_targetILNS1_3genE5ELNS1_11target_archE942ELNS1_3gpuE9ELNS1_3repE0EEENS1_30default_config_static_selectorELNS0_4arch9wavefront6targetE1EEEvT1_ ; -- Begin function _ZN7rocprim17ROCPRIM_400000_NS6detail17trampoline_kernelINS0_14default_configENS1_25partition_config_selectorILNS1_17partition_subalgoE1EiNS0_10empty_typeEbEEZZNS1_14partition_implILS5_1ELb0ES3_jN6thrust23THRUST_200600_302600_NS6detail15normal_iteratorINSA_10device_ptrIiEEEEPS6_NSA_18transform_iteratorI7is_evenIiESF_NSA_11use_defaultESK_EENS0_5tupleIJNSA_16discard_iteratorISK_EESF_EEENSM_IJSG_SG_EEES6_PlJS6_EEE10hipError_tPvRmT3_T4_T5_T6_T7_T9_mT8_P12ihipStream_tbDpT10_ENKUlT_T0_E_clISt17integral_constantIbLb1EES1B_EEDaS16_S17_EUlS16_E_NS1_11comp_targetILNS1_3genE5ELNS1_11target_archE942ELNS1_3gpuE9ELNS1_3repE0EEENS1_30default_config_static_selectorELNS0_4arch9wavefront6targetE1EEEvT1_
	.globl	_ZN7rocprim17ROCPRIM_400000_NS6detail17trampoline_kernelINS0_14default_configENS1_25partition_config_selectorILNS1_17partition_subalgoE1EiNS0_10empty_typeEbEEZZNS1_14partition_implILS5_1ELb0ES3_jN6thrust23THRUST_200600_302600_NS6detail15normal_iteratorINSA_10device_ptrIiEEEEPS6_NSA_18transform_iteratorI7is_evenIiESF_NSA_11use_defaultESK_EENS0_5tupleIJNSA_16discard_iteratorISK_EESF_EEENSM_IJSG_SG_EEES6_PlJS6_EEE10hipError_tPvRmT3_T4_T5_T6_T7_T9_mT8_P12ihipStream_tbDpT10_ENKUlT_T0_E_clISt17integral_constantIbLb1EES1B_EEDaS16_S17_EUlS16_E_NS1_11comp_targetILNS1_3genE5ELNS1_11target_archE942ELNS1_3gpuE9ELNS1_3repE0EEENS1_30default_config_static_selectorELNS0_4arch9wavefront6targetE1EEEvT1_
	.p2align	8
	.type	_ZN7rocprim17ROCPRIM_400000_NS6detail17trampoline_kernelINS0_14default_configENS1_25partition_config_selectorILNS1_17partition_subalgoE1EiNS0_10empty_typeEbEEZZNS1_14partition_implILS5_1ELb0ES3_jN6thrust23THRUST_200600_302600_NS6detail15normal_iteratorINSA_10device_ptrIiEEEEPS6_NSA_18transform_iteratorI7is_evenIiESF_NSA_11use_defaultESK_EENS0_5tupleIJNSA_16discard_iteratorISK_EESF_EEENSM_IJSG_SG_EEES6_PlJS6_EEE10hipError_tPvRmT3_T4_T5_T6_T7_T9_mT8_P12ihipStream_tbDpT10_ENKUlT_T0_E_clISt17integral_constantIbLb1EES1B_EEDaS16_S17_EUlS16_E_NS1_11comp_targetILNS1_3genE5ELNS1_11target_archE942ELNS1_3gpuE9ELNS1_3repE0EEENS1_30default_config_static_selectorELNS0_4arch9wavefront6targetE1EEEvT1_,@function
_ZN7rocprim17ROCPRIM_400000_NS6detail17trampoline_kernelINS0_14default_configENS1_25partition_config_selectorILNS1_17partition_subalgoE1EiNS0_10empty_typeEbEEZZNS1_14partition_implILS5_1ELb0ES3_jN6thrust23THRUST_200600_302600_NS6detail15normal_iteratorINSA_10device_ptrIiEEEEPS6_NSA_18transform_iteratorI7is_evenIiESF_NSA_11use_defaultESK_EENS0_5tupleIJNSA_16discard_iteratorISK_EESF_EEENSM_IJSG_SG_EEES6_PlJS6_EEE10hipError_tPvRmT3_T4_T5_T6_T7_T9_mT8_P12ihipStream_tbDpT10_ENKUlT_T0_E_clISt17integral_constantIbLb1EES1B_EEDaS16_S17_EUlS16_E_NS1_11comp_targetILNS1_3genE5ELNS1_11target_archE942ELNS1_3gpuE9ELNS1_3repE0EEENS1_30default_config_static_selectorELNS0_4arch9wavefront6targetE1EEEvT1_: ; @_ZN7rocprim17ROCPRIM_400000_NS6detail17trampoline_kernelINS0_14default_configENS1_25partition_config_selectorILNS1_17partition_subalgoE1EiNS0_10empty_typeEbEEZZNS1_14partition_implILS5_1ELb0ES3_jN6thrust23THRUST_200600_302600_NS6detail15normal_iteratorINSA_10device_ptrIiEEEEPS6_NSA_18transform_iteratorI7is_evenIiESF_NSA_11use_defaultESK_EENS0_5tupleIJNSA_16discard_iteratorISK_EESF_EEENSM_IJSG_SG_EEES6_PlJS6_EEE10hipError_tPvRmT3_T4_T5_T6_T7_T9_mT8_P12ihipStream_tbDpT10_ENKUlT_T0_E_clISt17integral_constantIbLb1EES1B_EEDaS16_S17_EUlS16_E_NS1_11comp_targetILNS1_3genE5ELNS1_11target_archE942ELNS1_3gpuE9ELNS1_3repE0EEENS1_30default_config_static_selectorELNS0_4arch9wavefront6targetE1EEEvT1_
; %bb.0:
	.section	.rodata,"a",@progbits
	.p2align	6, 0x0
	.amdhsa_kernel _ZN7rocprim17ROCPRIM_400000_NS6detail17trampoline_kernelINS0_14default_configENS1_25partition_config_selectorILNS1_17partition_subalgoE1EiNS0_10empty_typeEbEEZZNS1_14partition_implILS5_1ELb0ES3_jN6thrust23THRUST_200600_302600_NS6detail15normal_iteratorINSA_10device_ptrIiEEEEPS6_NSA_18transform_iteratorI7is_evenIiESF_NSA_11use_defaultESK_EENS0_5tupleIJNSA_16discard_iteratorISK_EESF_EEENSM_IJSG_SG_EEES6_PlJS6_EEE10hipError_tPvRmT3_T4_T5_T6_T7_T9_mT8_P12ihipStream_tbDpT10_ENKUlT_T0_E_clISt17integral_constantIbLb1EES1B_EEDaS16_S17_EUlS16_E_NS1_11comp_targetILNS1_3genE5ELNS1_11target_archE942ELNS1_3gpuE9ELNS1_3repE0EEENS1_30default_config_static_selectorELNS0_4arch9wavefront6targetE1EEEvT1_
		.amdhsa_group_segment_fixed_size 0
		.amdhsa_private_segment_fixed_size 0
		.amdhsa_kernarg_size 152
		.amdhsa_user_sgpr_count 6
		.amdhsa_user_sgpr_private_segment_buffer 1
		.amdhsa_user_sgpr_dispatch_ptr 0
		.amdhsa_user_sgpr_queue_ptr 0
		.amdhsa_user_sgpr_kernarg_segment_ptr 1
		.amdhsa_user_sgpr_dispatch_id 0
		.amdhsa_user_sgpr_flat_scratch_init 0
		.amdhsa_user_sgpr_kernarg_preload_length 0
		.amdhsa_user_sgpr_kernarg_preload_offset 0
		.amdhsa_user_sgpr_private_segment_size 0
		.amdhsa_uses_dynamic_stack 0
		.amdhsa_system_sgpr_private_segment_wavefront_offset 0
		.amdhsa_system_sgpr_workgroup_id_x 1
		.amdhsa_system_sgpr_workgroup_id_y 0
		.amdhsa_system_sgpr_workgroup_id_z 0
		.amdhsa_system_sgpr_workgroup_info 0
		.amdhsa_system_vgpr_workitem_id 0
		.amdhsa_next_free_vgpr 1
		.amdhsa_next_free_sgpr 0
		.amdhsa_accum_offset 4
		.amdhsa_reserve_vcc 0
		.amdhsa_reserve_flat_scratch 0
		.amdhsa_float_round_mode_32 0
		.amdhsa_float_round_mode_16_64 0
		.amdhsa_float_denorm_mode_32 3
		.amdhsa_float_denorm_mode_16_64 3
		.amdhsa_dx10_clamp 1
		.amdhsa_ieee_mode 1
		.amdhsa_fp16_overflow 0
		.amdhsa_tg_split 0
		.amdhsa_exception_fp_ieee_invalid_op 0
		.amdhsa_exception_fp_denorm_src 0
		.amdhsa_exception_fp_ieee_div_zero 0
		.amdhsa_exception_fp_ieee_overflow 0
		.amdhsa_exception_fp_ieee_underflow 0
		.amdhsa_exception_fp_ieee_inexact 0
		.amdhsa_exception_int_div_zero 0
	.end_amdhsa_kernel
	.section	.text._ZN7rocprim17ROCPRIM_400000_NS6detail17trampoline_kernelINS0_14default_configENS1_25partition_config_selectorILNS1_17partition_subalgoE1EiNS0_10empty_typeEbEEZZNS1_14partition_implILS5_1ELb0ES3_jN6thrust23THRUST_200600_302600_NS6detail15normal_iteratorINSA_10device_ptrIiEEEEPS6_NSA_18transform_iteratorI7is_evenIiESF_NSA_11use_defaultESK_EENS0_5tupleIJNSA_16discard_iteratorISK_EESF_EEENSM_IJSG_SG_EEES6_PlJS6_EEE10hipError_tPvRmT3_T4_T5_T6_T7_T9_mT8_P12ihipStream_tbDpT10_ENKUlT_T0_E_clISt17integral_constantIbLb1EES1B_EEDaS16_S17_EUlS16_E_NS1_11comp_targetILNS1_3genE5ELNS1_11target_archE942ELNS1_3gpuE9ELNS1_3repE0EEENS1_30default_config_static_selectorELNS0_4arch9wavefront6targetE1EEEvT1_,"axG",@progbits,_ZN7rocprim17ROCPRIM_400000_NS6detail17trampoline_kernelINS0_14default_configENS1_25partition_config_selectorILNS1_17partition_subalgoE1EiNS0_10empty_typeEbEEZZNS1_14partition_implILS5_1ELb0ES3_jN6thrust23THRUST_200600_302600_NS6detail15normal_iteratorINSA_10device_ptrIiEEEEPS6_NSA_18transform_iteratorI7is_evenIiESF_NSA_11use_defaultESK_EENS0_5tupleIJNSA_16discard_iteratorISK_EESF_EEENSM_IJSG_SG_EEES6_PlJS6_EEE10hipError_tPvRmT3_T4_T5_T6_T7_T9_mT8_P12ihipStream_tbDpT10_ENKUlT_T0_E_clISt17integral_constantIbLb1EES1B_EEDaS16_S17_EUlS16_E_NS1_11comp_targetILNS1_3genE5ELNS1_11target_archE942ELNS1_3gpuE9ELNS1_3repE0EEENS1_30default_config_static_selectorELNS0_4arch9wavefront6targetE1EEEvT1_,comdat
.Lfunc_end3332:
	.size	_ZN7rocprim17ROCPRIM_400000_NS6detail17trampoline_kernelINS0_14default_configENS1_25partition_config_selectorILNS1_17partition_subalgoE1EiNS0_10empty_typeEbEEZZNS1_14partition_implILS5_1ELb0ES3_jN6thrust23THRUST_200600_302600_NS6detail15normal_iteratorINSA_10device_ptrIiEEEEPS6_NSA_18transform_iteratorI7is_evenIiESF_NSA_11use_defaultESK_EENS0_5tupleIJNSA_16discard_iteratorISK_EESF_EEENSM_IJSG_SG_EEES6_PlJS6_EEE10hipError_tPvRmT3_T4_T5_T6_T7_T9_mT8_P12ihipStream_tbDpT10_ENKUlT_T0_E_clISt17integral_constantIbLb1EES1B_EEDaS16_S17_EUlS16_E_NS1_11comp_targetILNS1_3genE5ELNS1_11target_archE942ELNS1_3gpuE9ELNS1_3repE0EEENS1_30default_config_static_selectorELNS0_4arch9wavefront6targetE1EEEvT1_, .Lfunc_end3332-_ZN7rocprim17ROCPRIM_400000_NS6detail17trampoline_kernelINS0_14default_configENS1_25partition_config_selectorILNS1_17partition_subalgoE1EiNS0_10empty_typeEbEEZZNS1_14partition_implILS5_1ELb0ES3_jN6thrust23THRUST_200600_302600_NS6detail15normal_iteratorINSA_10device_ptrIiEEEEPS6_NSA_18transform_iteratorI7is_evenIiESF_NSA_11use_defaultESK_EENS0_5tupleIJNSA_16discard_iteratorISK_EESF_EEENSM_IJSG_SG_EEES6_PlJS6_EEE10hipError_tPvRmT3_T4_T5_T6_T7_T9_mT8_P12ihipStream_tbDpT10_ENKUlT_T0_E_clISt17integral_constantIbLb1EES1B_EEDaS16_S17_EUlS16_E_NS1_11comp_targetILNS1_3genE5ELNS1_11target_archE942ELNS1_3gpuE9ELNS1_3repE0EEENS1_30default_config_static_selectorELNS0_4arch9wavefront6targetE1EEEvT1_
                                        ; -- End function
	.section	.AMDGPU.csdata,"",@progbits
; Kernel info:
; codeLenInByte = 0
; NumSgprs: 4
; NumVgprs: 0
; NumAgprs: 0
; TotalNumVgprs: 0
; ScratchSize: 0
; MemoryBound: 0
; FloatMode: 240
; IeeeMode: 1
; LDSByteSize: 0 bytes/workgroup (compile time only)
; SGPRBlocks: 0
; VGPRBlocks: 0
; NumSGPRsForWavesPerEU: 4
; NumVGPRsForWavesPerEU: 1
; AccumOffset: 4
; Occupancy: 8
; WaveLimiterHint : 0
; COMPUTE_PGM_RSRC2:SCRATCH_EN: 0
; COMPUTE_PGM_RSRC2:USER_SGPR: 6
; COMPUTE_PGM_RSRC2:TRAP_HANDLER: 0
; COMPUTE_PGM_RSRC2:TGID_X_EN: 1
; COMPUTE_PGM_RSRC2:TGID_Y_EN: 0
; COMPUTE_PGM_RSRC2:TGID_Z_EN: 0
; COMPUTE_PGM_RSRC2:TIDIG_COMP_CNT: 0
; COMPUTE_PGM_RSRC3_GFX90A:ACCUM_OFFSET: 0
; COMPUTE_PGM_RSRC3_GFX90A:TG_SPLIT: 0
	.section	.text._ZN7rocprim17ROCPRIM_400000_NS6detail17trampoline_kernelINS0_14default_configENS1_25partition_config_selectorILNS1_17partition_subalgoE1EiNS0_10empty_typeEbEEZZNS1_14partition_implILS5_1ELb0ES3_jN6thrust23THRUST_200600_302600_NS6detail15normal_iteratorINSA_10device_ptrIiEEEEPS6_NSA_18transform_iteratorI7is_evenIiESF_NSA_11use_defaultESK_EENS0_5tupleIJNSA_16discard_iteratorISK_EESF_EEENSM_IJSG_SG_EEES6_PlJS6_EEE10hipError_tPvRmT3_T4_T5_T6_T7_T9_mT8_P12ihipStream_tbDpT10_ENKUlT_T0_E_clISt17integral_constantIbLb1EES1B_EEDaS16_S17_EUlS16_E_NS1_11comp_targetILNS1_3genE4ELNS1_11target_archE910ELNS1_3gpuE8ELNS1_3repE0EEENS1_30default_config_static_selectorELNS0_4arch9wavefront6targetE1EEEvT1_,"axG",@progbits,_ZN7rocprim17ROCPRIM_400000_NS6detail17trampoline_kernelINS0_14default_configENS1_25partition_config_selectorILNS1_17partition_subalgoE1EiNS0_10empty_typeEbEEZZNS1_14partition_implILS5_1ELb0ES3_jN6thrust23THRUST_200600_302600_NS6detail15normal_iteratorINSA_10device_ptrIiEEEEPS6_NSA_18transform_iteratorI7is_evenIiESF_NSA_11use_defaultESK_EENS0_5tupleIJNSA_16discard_iteratorISK_EESF_EEENSM_IJSG_SG_EEES6_PlJS6_EEE10hipError_tPvRmT3_T4_T5_T6_T7_T9_mT8_P12ihipStream_tbDpT10_ENKUlT_T0_E_clISt17integral_constantIbLb1EES1B_EEDaS16_S17_EUlS16_E_NS1_11comp_targetILNS1_3genE4ELNS1_11target_archE910ELNS1_3gpuE8ELNS1_3repE0EEENS1_30default_config_static_selectorELNS0_4arch9wavefront6targetE1EEEvT1_,comdat
	.protected	_ZN7rocprim17ROCPRIM_400000_NS6detail17trampoline_kernelINS0_14default_configENS1_25partition_config_selectorILNS1_17partition_subalgoE1EiNS0_10empty_typeEbEEZZNS1_14partition_implILS5_1ELb0ES3_jN6thrust23THRUST_200600_302600_NS6detail15normal_iteratorINSA_10device_ptrIiEEEEPS6_NSA_18transform_iteratorI7is_evenIiESF_NSA_11use_defaultESK_EENS0_5tupleIJNSA_16discard_iteratorISK_EESF_EEENSM_IJSG_SG_EEES6_PlJS6_EEE10hipError_tPvRmT3_T4_T5_T6_T7_T9_mT8_P12ihipStream_tbDpT10_ENKUlT_T0_E_clISt17integral_constantIbLb1EES1B_EEDaS16_S17_EUlS16_E_NS1_11comp_targetILNS1_3genE4ELNS1_11target_archE910ELNS1_3gpuE8ELNS1_3repE0EEENS1_30default_config_static_selectorELNS0_4arch9wavefront6targetE1EEEvT1_ ; -- Begin function _ZN7rocprim17ROCPRIM_400000_NS6detail17trampoline_kernelINS0_14default_configENS1_25partition_config_selectorILNS1_17partition_subalgoE1EiNS0_10empty_typeEbEEZZNS1_14partition_implILS5_1ELb0ES3_jN6thrust23THRUST_200600_302600_NS6detail15normal_iteratorINSA_10device_ptrIiEEEEPS6_NSA_18transform_iteratorI7is_evenIiESF_NSA_11use_defaultESK_EENS0_5tupleIJNSA_16discard_iteratorISK_EESF_EEENSM_IJSG_SG_EEES6_PlJS6_EEE10hipError_tPvRmT3_T4_T5_T6_T7_T9_mT8_P12ihipStream_tbDpT10_ENKUlT_T0_E_clISt17integral_constantIbLb1EES1B_EEDaS16_S17_EUlS16_E_NS1_11comp_targetILNS1_3genE4ELNS1_11target_archE910ELNS1_3gpuE8ELNS1_3repE0EEENS1_30default_config_static_selectorELNS0_4arch9wavefront6targetE1EEEvT1_
	.globl	_ZN7rocprim17ROCPRIM_400000_NS6detail17trampoline_kernelINS0_14default_configENS1_25partition_config_selectorILNS1_17partition_subalgoE1EiNS0_10empty_typeEbEEZZNS1_14partition_implILS5_1ELb0ES3_jN6thrust23THRUST_200600_302600_NS6detail15normal_iteratorINSA_10device_ptrIiEEEEPS6_NSA_18transform_iteratorI7is_evenIiESF_NSA_11use_defaultESK_EENS0_5tupleIJNSA_16discard_iteratorISK_EESF_EEENSM_IJSG_SG_EEES6_PlJS6_EEE10hipError_tPvRmT3_T4_T5_T6_T7_T9_mT8_P12ihipStream_tbDpT10_ENKUlT_T0_E_clISt17integral_constantIbLb1EES1B_EEDaS16_S17_EUlS16_E_NS1_11comp_targetILNS1_3genE4ELNS1_11target_archE910ELNS1_3gpuE8ELNS1_3repE0EEENS1_30default_config_static_selectorELNS0_4arch9wavefront6targetE1EEEvT1_
	.p2align	8
	.type	_ZN7rocprim17ROCPRIM_400000_NS6detail17trampoline_kernelINS0_14default_configENS1_25partition_config_selectorILNS1_17partition_subalgoE1EiNS0_10empty_typeEbEEZZNS1_14partition_implILS5_1ELb0ES3_jN6thrust23THRUST_200600_302600_NS6detail15normal_iteratorINSA_10device_ptrIiEEEEPS6_NSA_18transform_iteratorI7is_evenIiESF_NSA_11use_defaultESK_EENS0_5tupleIJNSA_16discard_iteratorISK_EESF_EEENSM_IJSG_SG_EEES6_PlJS6_EEE10hipError_tPvRmT3_T4_T5_T6_T7_T9_mT8_P12ihipStream_tbDpT10_ENKUlT_T0_E_clISt17integral_constantIbLb1EES1B_EEDaS16_S17_EUlS16_E_NS1_11comp_targetILNS1_3genE4ELNS1_11target_archE910ELNS1_3gpuE8ELNS1_3repE0EEENS1_30default_config_static_selectorELNS0_4arch9wavefront6targetE1EEEvT1_,@function
_ZN7rocprim17ROCPRIM_400000_NS6detail17trampoline_kernelINS0_14default_configENS1_25partition_config_selectorILNS1_17partition_subalgoE1EiNS0_10empty_typeEbEEZZNS1_14partition_implILS5_1ELb0ES3_jN6thrust23THRUST_200600_302600_NS6detail15normal_iteratorINSA_10device_ptrIiEEEEPS6_NSA_18transform_iteratorI7is_evenIiESF_NSA_11use_defaultESK_EENS0_5tupleIJNSA_16discard_iteratorISK_EESF_EEENSM_IJSG_SG_EEES6_PlJS6_EEE10hipError_tPvRmT3_T4_T5_T6_T7_T9_mT8_P12ihipStream_tbDpT10_ENKUlT_T0_E_clISt17integral_constantIbLb1EES1B_EEDaS16_S17_EUlS16_E_NS1_11comp_targetILNS1_3genE4ELNS1_11target_archE910ELNS1_3gpuE8ELNS1_3repE0EEENS1_30default_config_static_selectorELNS0_4arch9wavefront6targetE1EEEvT1_: ; @_ZN7rocprim17ROCPRIM_400000_NS6detail17trampoline_kernelINS0_14default_configENS1_25partition_config_selectorILNS1_17partition_subalgoE1EiNS0_10empty_typeEbEEZZNS1_14partition_implILS5_1ELb0ES3_jN6thrust23THRUST_200600_302600_NS6detail15normal_iteratorINSA_10device_ptrIiEEEEPS6_NSA_18transform_iteratorI7is_evenIiESF_NSA_11use_defaultESK_EENS0_5tupleIJNSA_16discard_iteratorISK_EESF_EEENSM_IJSG_SG_EEES6_PlJS6_EEE10hipError_tPvRmT3_T4_T5_T6_T7_T9_mT8_P12ihipStream_tbDpT10_ENKUlT_T0_E_clISt17integral_constantIbLb1EES1B_EEDaS16_S17_EUlS16_E_NS1_11comp_targetILNS1_3genE4ELNS1_11target_archE910ELNS1_3gpuE8ELNS1_3repE0EEENS1_30default_config_static_selectorELNS0_4arch9wavefront6targetE1EEEvT1_
; %bb.0:
	s_load_dwordx2 s[6:7], s[4:5], 0x20
	s_load_dwordx2 s[24:25], s[4:5], 0x40
	;; [unrolled: 1-line block ×3, first 2 shown]
	s_load_dwordx4 s[20:23], s[4:5], 0x58
	s_load_dwordx2 s[28:29], s[4:5], 0x78
	v_cmp_eq_u32_e64 s[0:1], 0, v0
	s_and_saveexec_b64 s[8:9], s[0:1]
	s_cbranch_execz .LBB3333_4
; %bb.1:
	s_mov_b64 s[12:13], exec
	v_mbcnt_lo_u32_b32 v1, s12, 0
	v_mbcnt_hi_u32_b32 v1, s13, v1
	v_cmp_eq_u32_e32 vcc, 0, v1
                                        ; implicit-def: $vgpr2
	s_and_saveexec_b64 s[10:11], vcc
	s_cbranch_execz .LBB3333_3
; %bb.2:
	s_load_dwordx2 s[14:15], s[4:5], 0x88
	s_bcnt1_i32_b64 s12, s[12:13]
	v_mov_b32_e32 v2, 0
	v_mov_b32_e32 v3, s12
	s_waitcnt lgkmcnt(0)
	global_atomic_add v2, v2, v3, s[14:15] glc
.LBB3333_3:
	s_or_b64 exec, exec, s[10:11]
	s_waitcnt vmcnt(0)
	v_readfirstlane_b32 s10, v2
	v_add_u32_e32 v1, s10, v1
	v_mov_b32_e32 v2, 0
	ds_write_b32 v2, v1
.LBB3333_4:
	s_or_b64 exec, exec, s[8:9]
	v_mov_b32_e32 v3, 0
	s_load_dwordx4 s[16:19], s[4:5], 0x8
	s_load_dword s8, s[4:5], 0x80
	s_waitcnt lgkmcnt(0)
	s_barrier
	ds_read_b32 v1, v3
	s_waitcnt lgkmcnt(0)
	s_barrier
	global_load_dwordx2 v[10:11], v3, s[22:23]
	v_mov_b32_e32 v5, s3
	s_lshl_b64 s[4:5], s[18:19], 2
	s_movk_i32 s3, 0x700
	s_add_u32 s9, s16, s4
	v_mul_lo_u32 v2, v1, s3
	s_mul_i32 s3, s8, 0x700
	s_addc_u32 s10, s17, s5
	s_add_i32 s11, s8, -1
	s_add_i32 s8, s3, s18
	s_sub_i32 s33, s2, s8
	s_addk_i32 s33, 0x700
	v_mov_b32_e32 v4, s2
	s_add_u32 s2, s18, s3
	v_readfirstlane_b32 s38, v1
	s_addc_u32 s3, s19, 0
	s_cmp_eq_u32 s38, s11
	s_cselect_b64 s[22:23], -1, 0
	s_cmp_lg_u32 s38, s11
	v_cmp_lt_u64_e32 vcc, s[2:3], v[4:5]
	s_cselect_b64 s[2:3], -1, 0
	v_lshlrev_b64 v[12:13], 2, v[2:3]
	s_or_b64 s[26:27], vcc, s[2:3]
	v_mov_b32_e32 v2, s10
	v_add_co_u32_e32 v1, vcc, s9, v12
	v_addc_co_u32_e32 v9, vcc, v2, v13, vcc
	s_mov_b64 s[2:3], -1
	s_and_b64 vcc, exec, s[26:27]
	v_lshlrev_b32_e32 v22, 2, v0
	s_cbranch_vccz .LBB3333_6
; %bb.5:
	v_add_co_u32_e32 v2, vcc, v1, v22
	v_addc_co_u32_e32 v3, vcc, 0, v9, vcc
	v_add_co_u32_e32 v4, vcc, 0x1000, v2
	v_addc_co_u32_e32 v5, vcc, 0, v3, vcc
	flat_load_dword v6, v[2:3]
	flat_load_dword v7, v[2:3] offset:1024
	flat_load_dword v8, v[2:3] offset:2048
	;; [unrolled: 1-line block ×3, first 2 shown]
	flat_load_dword v15, v[4:5]
	flat_load_dword v16, v[4:5] offset:1024
	flat_load_dword v17, v[4:5] offset:2048
	s_mov_b64 s[2:3], 0
	s_waitcnt vmcnt(0) lgkmcnt(0)
	ds_write2st64_b32 v22, v6, v7 offset1:4
	ds_write2st64_b32 v22, v8, v14 offset0:8 offset1:12
	ds_write2st64_b32 v22, v15, v16 offset0:16 offset1:20
	ds_write_b32 v22, v17 offset:6144
	s_waitcnt lgkmcnt(0)
	s_barrier
.LBB3333_6:
	s_andn2_b64 vcc, exec, s[2:3]
	v_cmp_gt_u32_e64 s[2:3], s33, v0
	s_cbranch_vccnz .LBB3333_22
; %bb.7:
                                        ; implicit-def: $vgpr2_vgpr3_vgpr4_vgpr5_vgpr6_vgpr7_vgpr8
	s_and_saveexec_b64 s[8:9], s[2:3]
	s_cbranch_execz .LBB3333_9
; %bb.8:
	v_add_co_u32_e32 v2, vcc, v1, v22
	v_addc_co_u32_e32 v3, vcc, 0, v9, vcc
	flat_load_dword v2, v[2:3]
.LBB3333_9:
	s_or_b64 exec, exec, s[8:9]
	v_or_b32_e32 v14, 0x100, v0
	v_cmp_gt_u32_e32 vcc, s33, v14
	s_and_saveexec_b64 s[2:3], vcc
	s_cbranch_execz .LBB3333_11
; %bb.10:
	v_add_co_u32_e32 v14, vcc, v1, v22
	v_addc_co_u32_e32 v15, vcc, 0, v9, vcc
	flat_load_dword v3, v[14:15] offset:1024
.LBB3333_11:
	s_or_b64 exec, exec, s[2:3]
	v_or_b32_e32 v14, 0x200, v0
	v_cmp_gt_u32_e32 vcc, s33, v14
	s_and_saveexec_b64 s[2:3], vcc
	s_cbranch_execz .LBB3333_13
; %bb.12:
	v_add_co_u32_e32 v14, vcc, v1, v22
	v_addc_co_u32_e32 v15, vcc, 0, v9, vcc
	flat_load_dword v4, v[14:15] offset:2048
.LBB3333_13:
	;; [unrolled: 10-line block ×3, first 2 shown]
	s_or_b64 exec, exec, s[2:3]
	v_or_b32_e32 v14, 0x400, v0
	v_cmp_gt_u32_e32 vcc, s33, v14
	s_and_saveexec_b64 s[2:3], vcc
	s_cbranch_execz .LBB3333_17
; %bb.16:
	v_lshlrev_b32_e32 v6, 2, v14
	v_add_co_u32_e32 v14, vcc, v1, v6
	v_addc_co_u32_e32 v15, vcc, 0, v9, vcc
	flat_load_dword v6, v[14:15]
.LBB3333_17:
	s_or_b64 exec, exec, s[2:3]
	v_or_b32_e32 v14, 0x500, v0
	v_cmp_gt_u32_e32 vcc, s33, v14
	s_and_saveexec_b64 s[2:3], vcc
	s_cbranch_execz .LBB3333_19
; %bb.18:
	v_lshlrev_b32_e32 v7, 2, v14
	v_add_co_u32_e32 v14, vcc, v1, v7
	v_addc_co_u32_e32 v15, vcc, 0, v9, vcc
	flat_load_dword v7, v[14:15]
.LBB3333_19:
	;; [unrolled: 11-line block ×3, first 2 shown]
	s_or_b64 exec, exec, s[2:3]
	s_waitcnt vmcnt(0) lgkmcnt(0)
	ds_write2st64_b32 v22, v2, v3 offset1:4
	ds_write2st64_b32 v22, v4, v5 offset0:8 offset1:12
	ds_write2st64_b32 v22, v6, v7 offset0:16 offset1:20
	ds_write_b32 v22, v8 offset:6144
	s_waitcnt lgkmcnt(0)
	s_barrier
.LBB3333_22:
	v_mul_u32_u24_e32 v24, 7, v0
	v_lshlrev_b32_e32 v9, 2, v24
	ds_read2_b32 v[6:7], v9 offset1:1
	ds_read2_b32 v[4:5], v9 offset0:2 offset1:3
	ds_read2_b32 v[2:3], v9 offset0:4 offset1:5
	ds_read_b32 v23, v9 offset:24
	s_add_u32 s2, s6, s4
	s_addc_u32 s3, s7, s5
	v_mov_b32_e32 v1, s3
	v_add_co_u32_e32 v8, vcc, s2, v12
	v_addc_co_u32_e32 v1, vcc, v1, v13, vcc
	s_mov_b64 s[2:3], -1
	s_and_b64 vcc, exec, s[26:27]
	s_waitcnt lgkmcnt(0)
	s_barrier
	s_cbranch_vccz .LBB3333_24
; %bb.23:
	v_add_co_u32_e32 v14, vcc, v8, v22
	v_readfirstlane_b32 s2, v8
	v_readfirstlane_b32 s3, v1
	v_addc_co_u32_e32 v15, vcc, 0, v1, vcc
	s_nop 3
	global_load_dword v16, v22, s[2:3]
	global_load_dword v17, v22, s[2:3] offset:1024
	global_load_dword v18, v22, s[2:3] offset:2048
	;; [unrolled: 1-line block ×3, first 2 shown]
	s_movk_i32 s2, 0x1000
	v_add_co_u32_e32 v14, vcc, s2, v14
	v_addc_co_u32_e32 v15, vcc, 0, v15, vcc
	global_load_dword v20, v[14:15], off
	global_load_dword v21, v[14:15], off offset:1024
	global_load_dword v25, v[14:15], off offset:2048
	s_mov_b64 s[2:3], 0
	s_waitcnt vmcnt(6)
	v_xor_b32_e32 v14, -1, v16
	s_waitcnt vmcnt(5)
	v_xor_b32_e32 v15, -1, v17
	;; [unrolled: 2-line block ×4, first 2 shown]
	v_and_b32_e32 v14, 1, v14
	v_and_b32_e32 v15, 1, v15
	;; [unrolled: 1-line block ×3, first 2 shown]
	s_waitcnt vmcnt(2)
	v_xor_b32_e32 v18, -1, v20
	s_waitcnt vmcnt(1)
	v_xor_b32_e32 v19, -1, v21
	;; [unrolled: 2-line block ×3, first 2 shown]
	v_and_b32_e32 v17, 1, v17
	v_and_b32_e32 v18, 1, v18
	;; [unrolled: 1-line block ×4, first 2 shown]
	ds_write_b8 v0, v14
	ds_write_b8 v0, v15 offset:256
	ds_write_b8 v0, v16 offset:512
	ds_write_b8 v0, v17 offset:768
	ds_write_b8 v0, v18 offset:1024
	ds_write_b8 v0, v19 offset:1280
	ds_write_b8 v0, v20 offset:1536
	s_waitcnt lgkmcnt(0)
	s_barrier
.LBB3333_24:
	s_andn2_b64 vcc, exec, s[2:3]
	s_cbranch_vccnz .LBB3333_40
; %bb.25:
	v_cmp_gt_u32_e32 vcc, s33, v0
	v_mov_b32_e32 v14, 0
	v_mov_b32_e32 v15, 0
	s_and_saveexec_b64 s[2:3], vcc
	s_cbranch_execz .LBB3333_27
; %bb.26:
	v_readfirstlane_b32 s4, v8
	v_readfirstlane_b32 s5, v1
	s_nop 4
	global_load_dword v15, v22, s[4:5]
	s_waitcnt vmcnt(0)
	v_xor_b32_e32 v15, -1, v15
	v_and_b32_e32 v15, 1, v15
.LBB3333_27:
	s_or_b64 exec, exec, s[2:3]
	v_or_b32_e32 v16, 0x100, v0
	v_cmp_gt_u32_e32 vcc, s33, v16
	s_and_saveexec_b64 s[2:3], vcc
	s_cbranch_execz .LBB3333_29
; %bb.28:
	v_readfirstlane_b32 s4, v8
	v_readfirstlane_b32 s5, v1
	s_nop 4
	global_load_dword v14, v22, s[4:5] offset:1024
	s_waitcnt vmcnt(0)
	v_xor_b32_e32 v14, -1, v14
	v_and_b32_e32 v14, 1, v14
.LBB3333_29:
	s_or_b64 exec, exec, s[2:3]
	v_or_b32_e32 v16, 0x200, v0
	v_cmp_gt_u32_e32 vcc, s33, v16
	v_mov_b32_e32 v16, 0
	v_mov_b32_e32 v17, 0
	s_and_saveexec_b64 s[2:3], vcc
	s_cbranch_execz .LBB3333_31
; %bb.30:
	v_readfirstlane_b32 s4, v8
	v_readfirstlane_b32 s5, v1
	s_nop 4
	global_load_dword v17, v22, s[4:5] offset:2048
	s_waitcnt vmcnt(0)
	v_xor_b32_e32 v17, -1, v17
	v_and_b32_e32 v17, 1, v17
.LBB3333_31:
	s_or_b64 exec, exec, s[2:3]
	v_or_b32_e32 v18, 0x300, v0
	v_cmp_gt_u32_e32 vcc, s33, v18
	s_and_saveexec_b64 s[2:3], vcc
	s_cbranch_execz .LBB3333_33
; %bb.32:
	v_readfirstlane_b32 s4, v8
	v_readfirstlane_b32 s5, v1
	s_nop 4
	global_load_dword v16, v22, s[4:5] offset:3072
	s_waitcnt vmcnt(0)
	v_xor_b32_e32 v16, -1, v16
	v_and_b32_e32 v16, 1, v16
.LBB3333_33:
	s_or_b64 exec, exec, s[2:3]
	v_or_b32_e32 v20, 0x400, v0
	v_cmp_gt_u32_e32 vcc, s33, v20
	v_mov_b32_e32 v18, 0
	v_mov_b32_e32 v19, 0
	s_and_saveexec_b64 s[2:3], vcc
	s_cbranch_execz .LBB3333_35
; %bb.34:
	v_lshlrev_b32_e32 v19, 2, v20
	v_readfirstlane_b32 s4, v8
	v_readfirstlane_b32 s5, v1
	s_nop 4
	global_load_dword v19, v19, s[4:5]
	s_waitcnt vmcnt(0)
	v_xor_b32_e32 v19, -1, v19
	v_and_b32_e32 v19, 1, v19
.LBB3333_35:
	s_or_b64 exec, exec, s[2:3]
	v_or_b32_e32 v20, 0x500, v0
	v_cmp_gt_u32_e32 vcc, s33, v20
	s_and_saveexec_b64 s[2:3], vcc
	s_cbranch_execz .LBB3333_37
; %bb.36:
	v_lshlrev_b32_e32 v18, 2, v20
	v_readfirstlane_b32 s4, v8
	v_readfirstlane_b32 s5, v1
	s_nop 4
	global_load_dword v18, v18, s[4:5]
	s_waitcnt vmcnt(0)
	v_xor_b32_e32 v18, -1, v18
	v_and_b32_e32 v18, 1, v18
.LBB3333_37:
	s_or_b64 exec, exec, s[2:3]
	v_or_b32_e32 v21, 0x600, v0
	v_cmp_gt_u32_e32 vcc, s33, v21
	v_mov_b32_e32 v20, 0
	s_and_saveexec_b64 s[2:3], vcc
	s_cbranch_execz .LBB3333_39
; %bb.38:
	v_lshlrev_b32_e32 v20, 2, v21
	v_readfirstlane_b32 s4, v8
	v_readfirstlane_b32 s5, v1
	s_nop 4
	global_load_dword v1, v20, s[4:5]
	s_waitcnt vmcnt(0)
	v_xor_b32_e32 v1, -1, v1
	v_and_b32_e32 v20, 1, v1
.LBB3333_39:
	s_or_b64 exec, exec, s[2:3]
	ds_write_b8 v0, v15
	ds_write_b8 v0, v14 offset:256
	ds_write_b8 v0, v17 offset:512
	;; [unrolled: 1-line block ×6, first 2 shown]
	s_waitcnt lgkmcnt(0)
	s_barrier
.LBB3333_40:
	s_movk_i32 s2, 0xffeb
	v_mad_i32_i24 v32, v0, s2, v9
	ds_read_u8 v1, v32
	ds_read_u8 v8, v32 offset:1
	ds_read_u8 v9, v32 offset:2
	;; [unrolled: 1-line block ×6, first 2 shown]
	s_waitcnt lgkmcnt(6)
	v_and_b32_e32 v30, 1, v1
	s_waitcnt lgkmcnt(5)
	v_and_b32_e32 v29, 1, v8
	;; [unrolled: 2-line block ×5, first 2 shown]
	v_add3_u32 v8, v29, v30, v28
	s_waitcnt lgkmcnt(1)
	v_and_b32_e32 v25, 1, v16
	s_waitcnt lgkmcnt(0)
	v_and_b32_e32 v1, 1, v17
	v_add3_u32 v8, v8, v27, v26
	v_add3_u32 v34, v8, v25, v1
	v_mbcnt_lo_u32_b32 v8, -1, 0
	v_mbcnt_hi_u32_b32 v31, -1, v8
	v_and_b32_e32 v8, 15, v31
	v_cmp_eq_u32_e64 s[14:15], 0, v8
	v_cmp_lt_u32_e64 s[12:13], 1, v8
	v_cmp_lt_u32_e64 s[10:11], 3, v8
	;; [unrolled: 1-line block ×3, first 2 shown]
	v_and_b32_e32 v8, 16, v31
	v_cmp_eq_u32_e64 s[6:7], 0, v8
	v_or_b32_e32 v8, 63, v0
	s_cmp_lg_u32 s38, 0
	v_cmp_lt_u32_e64 s[2:3], 31, v31
	v_lshrrev_b32_e32 v33, 6, v0
	v_cmp_eq_u32_e64 s[4:5], v8, v0
	s_barrier
	s_cbranch_scc0 .LBB3333_71
; %bb.41:
	v_mov_b32_dpp v8, v34 row_shr:1 row_mask:0xf bank_mask:0xf
	v_cndmask_b32_e64 v8, v8, 0, s[14:15]
	v_add_u32_e32 v8, v8, v34
	s_nop 1
	v_mov_b32_dpp v9, v8 row_shr:2 row_mask:0xf bank_mask:0xf
	v_cndmask_b32_e64 v9, 0, v9, s[12:13]
	v_add_u32_e32 v8, v8, v9
	s_nop 1
	;; [unrolled: 4-line block ×4, first 2 shown]
	v_mov_b32_dpp v9, v8 row_bcast:15 row_mask:0xf bank_mask:0xf
	v_cndmask_b32_e64 v9, v9, 0, s[6:7]
	v_add_u32_e32 v8, v8, v9
	s_nop 1
	v_mov_b32_dpp v9, v8 row_bcast:31 row_mask:0xf bank_mask:0xf
	v_cndmask_b32_e64 v9, 0, v9, s[2:3]
	v_add_u32_e32 v8, v8, v9
	s_and_saveexec_b64 s[16:17], s[4:5]
	s_cbranch_execz .LBB3333_43
; %bb.42:
	v_lshlrev_b32_e32 v9, 2, v33
	ds_write_b32 v9, v8
.LBB3333_43:
	s_or_b64 exec, exec, s[16:17]
	v_cmp_gt_u32_e32 vcc, 4, v0
	s_waitcnt lgkmcnt(0)
	s_barrier
	s_and_saveexec_b64 s[16:17], vcc
	s_cbranch_execz .LBB3333_45
; %bb.44:
	ds_read_b32 v9, v22
	v_and_b32_e32 v14, 3, v31
	v_cmp_ne_u32_e32 vcc, 0, v14
	s_waitcnt lgkmcnt(0)
	v_mov_b32_dpp v15, v9 row_shr:1 row_mask:0xf bank_mask:0xf
	v_cndmask_b32_e32 v15, 0, v15, vcc
	v_add_u32_e32 v9, v15, v9
	v_cmp_lt_u32_e32 vcc, 1, v14
	s_nop 0
	v_mov_b32_dpp v15, v9 row_shr:2 row_mask:0xf bank_mask:0xf
	v_cndmask_b32_e32 v14, 0, v15, vcc
	v_add_u32_e32 v9, v9, v14
	ds_write_b32 v22, v9
.LBB3333_45:
	s_or_b64 exec, exec, s[16:17]
	v_cmp_gt_u32_e32 vcc, 64, v0
	v_cmp_lt_u32_e64 s[16:17], 63, v0
	s_waitcnt lgkmcnt(0)
	s_barrier
	s_waitcnt lgkmcnt(0)
                                        ; implicit-def: $vgpr35
	s_and_saveexec_b64 s[30:31], s[16:17]
	s_cbranch_execz .LBB3333_47
; %bb.46:
	v_lshl_add_u32 v9, v33, 2, -4
	ds_read_b32 v35, v9
	s_waitcnt lgkmcnt(0)
	v_add_u32_e32 v8, v35, v8
.LBB3333_47:
	s_or_b64 exec, exec, s[30:31]
	v_add_u32_e32 v9, -1, v31
	v_and_b32_e32 v14, 64, v31
	v_cmp_lt_i32_e64 s[16:17], v9, v14
	v_cndmask_b32_e64 v9, v9, v31, s[16:17]
	v_lshlrev_b32_e32 v9, 2, v9
	ds_bpermute_b32 v36, v9, v8
	v_cmp_eq_u32_e64 s[16:17], 0, v31
	s_and_saveexec_b64 s[30:31], vcc
	s_cbranch_execz .LBB3333_70
; %bb.48:
	v_mov_b32_e32 v21, 0
	ds_read_b32 v8, v21 offset:12
	s_and_saveexec_b64 s[34:35], s[16:17]
	s_cbranch_execz .LBB3333_50
; %bb.49:
	s_add_i32 s36, s38, 64
	s_mov_b32 s37, 0
	s_lshl_b64 s[36:37], s[36:37], 3
	s_add_u32 s36, s28, s36
	v_mov_b32_e32 v9, 1
	s_addc_u32 s37, s29, s37
	s_waitcnt lgkmcnt(0)
	global_store_dwordx2 v21, v[8:9], s[36:37]
.LBB3333_50:
	s_or_b64 exec, exec, s[34:35]
	v_xad_u32 v14, v31, -1, s38
	v_add_u32_e32 v20, 64, v14
	v_lshlrev_b64 v[16:17], 3, v[20:21]
	v_mov_b32_e32 v9, s29
	v_add_co_u32_e32 v16, vcc, s28, v16
	v_addc_co_u32_e32 v17, vcc, v9, v17, vcc
	global_load_dwordx2 v[18:19], v[16:17], off glc
	s_waitcnt vmcnt(0)
	v_cmp_eq_u16_sdwa s[36:37], v19, v21 src0_sel:BYTE_0 src1_sel:DWORD
	s_and_saveexec_b64 s[34:35], s[36:37]
	s_cbranch_execz .LBB3333_56
; %bb.51:
	s_mov_b32 s39, 1
	s_mov_b64 s[36:37], 0
	v_mov_b32_e32 v9, 0
.LBB3333_52:                            ; =>This Loop Header: Depth=1
                                        ;     Child Loop BB3333_53 Depth 2
	s_max_u32 s40, s39, 1
.LBB3333_53:                            ;   Parent Loop BB3333_52 Depth=1
                                        ; =>  This Inner Loop Header: Depth=2
	s_add_i32 s40, s40, -1
	s_cmp_eq_u32 s40, 0
	s_sleep 1
	s_cbranch_scc0 .LBB3333_53
; %bb.54:                               ;   in Loop: Header=BB3333_52 Depth=1
	global_load_dwordx2 v[18:19], v[16:17], off glc
	s_cmp_lt_u32 s39, 32
	s_cselect_b64 s[40:41], -1, 0
	s_cmp_lg_u64 s[40:41], 0
	s_addc_u32 s39, s39, 0
	s_waitcnt vmcnt(0)
	v_cmp_ne_u16_sdwa s[40:41], v19, v9 src0_sel:BYTE_0 src1_sel:DWORD
	s_or_b64 s[36:37], s[40:41], s[36:37]
	s_andn2_b64 exec, exec, s[36:37]
	s_cbranch_execnz .LBB3333_52
; %bb.55:
	s_or_b64 exec, exec, s[36:37]
.LBB3333_56:
	s_or_b64 exec, exec, s[34:35]
	v_and_b32_e32 v38, 63, v31
	v_mov_b32_e32 v37, 2
	v_cmp_ne_u32_e32 vcc, 63, v38
	v_cmp_eq_u16_sdwa s[34:35], v19, v37 src0_sel:BYTE_0 src1_sel:DWORD
	v_lshlrev_b64 v[16:17], v31, -1
	v_addc_co_u32_e32 v20, vcc, 0, v31, vcc
	v_and_b32_e32 v9, s35, v17
	v_lshlrev_b32_e32 v39, 2, v20
	v_or_b32_e32 v9, 0x80000000, v9
	ds_bpermute_b32 v20, v39, v18
	v_and_b32_e32 v15, s34, v16
	v_ffbl_b32_e32 v9, v9
	v_add_u32_e32 v9, 32, v9
	v_ffbl_b32_e32 v15, v15
	v_min_u32_e32 v9, v15, v9
	v_cmp_lt_u32_e32 vcc, v38, v9
	s_waitcnt lgkmcnt(0)
	v_cndmask_b32_e32 v15, 0, v20, vcc
	v_cmp_gt_u32_e32 vcc, 62, v38
	v_add_u32_e32 v15, v15, v18
	v_cndmask_b32_e64 v18, 0, 1, vcc
	v_lshlrev_b32_e32 v18, 1, v18
	v_add_lshl_u32 v40, v18, v31, 2
	ds_bpermute_b32 v18, v40, v15
	v_add_u32_e32 v41, 2, v38
	v_cmp_le_u32_e32 vcc, v41, v9
	v_add_u32_e32 v43, 4, v38
	v_add_u32_e32 v45, 8, v38
	s_waitcnt lgkmcnt(0)
	v_cndmask_b32_e32 v18, 0, v18, vcc
	v_cmp_gt_u32_e32 vcc, 60, v38
	v_add_u32_e32 v15, v15, v18
	v_cndmask_b32_e64 v18, 0, 1, vcc
	v_lshlrev_b32_e32 v18, 2, v18
	v_add_lshl_u32 v42, v18, v31, 2
	ds_bpermute_b32 v18, v42, v15
	v_cmp_le_u32_e32 vcc, v43, v9
	v_add_u32_e32 v47, 16, v38
	v_add_u32_e32 v49, 32, v38
	s_waitcnt lgkmcnt(0)
	v_cndmask_b32_e32 v18, 0, v18, vcc
	v_cmp_gt_u32_e32 vcc, 56, v38
	v_add_u32_e32 v15, v15, v18
	v_cndmask_b32_e64 v18, 0, 1, vcc
	v_lshlrev_b32_e32 v18, 3, v18
	v_add_lshl_u32 v44, v18, v31, 2
	ds_bpermute_b32 v18, v44, v15
	v_cmp_le_u32_e32 vcc, v45, v9
	s_waitcnt lgkmcnt(0)
	v_cndmask_b32_e32 v18, 0, v18, vcc
	v_cmp_gt_u32_e32 vcc, 48, v38
	v_add_u32_e32 v15, v15, v18
	v_cndmask_b32_e64 v18, 0, 1, vcc
	v_lshlrev_b32_e32 v18, 4, v18
	v_add_lshl_u32 v46, v18, v31, 2
	ds_bpermute_b32 v18, v46, v15
	v_cmp_le_u32_e32 vcc, v47, v9
	;; [unrolled: 9-line block ×3, first 2 shown]
	s_waitcnt lgkmcnt(0)
	v_cndmask_b32_e32 v9, 0, v18, vcc
	v_add_u32_e32 v18, v15, v9
	v_mov_b32_e32 v15, 0
	s_branch .LBB3333_58
.LBB3333_57:                            ;   in Loop: Header=BB3333_58 Depth=1
	s_or_b64 exec, exec, s[34:35]
	v_cmp_eq_u16_sdwa s[34:35], v19, v37 src0_sel:BYTE_0 src1_sel:DWORD
	v_and_b32_e32 v20, s35, v17
	v_or_b32_e32 v20, 0x80000000, v20
	ds_bpermute_b32 v50, v39, v18
	v_and_b32_e32 v21, s34, v16
	v_ffbl_b32_e32 v20, v20
	v_add_u32_e32 v20, 32, v20
	v_ffbl_b32_e32 v21, v21
	v_min_u32_e32 v20, v21, v20
	v_cmp_lt_u32_e32 vcc, v38, v20
	s_waitcnt lgkmcnt(0)
	v_cndmask_b32_e32 v21, 0, v50, vcc
	v_add_u32_e32 v18, v21, v18
	ds_bpermute_b32 v21, v40, v18
	v_cmp_le_u32_e32 vcc, v41, v20
	v_subrev_u32_e32 v14, 64, v14
	s_waitcnt lgkmcnt(0)
	v_cndmask_b32_e32 v21, 0, v21, vcc
	v_add_u32_e32 v18, v18, v21
	ds_bpermute_b32 v21, v42, v18
	v_cmp_le_u32_e32 vcc, v43, v20
	s_waitcnt lgkmcnt(0)
	v_cndmask_b32_e32 v21, 0, v21, vcc
	v_add_u32_e32 v18, v18, v21
	ds_bpermute_b32 v21, v44, v18
	v_cmp_le_u32_e32 vcc, v45, v20
	;; [unrolled: 5-line block ×4, first 2 shown]
	s_waitcnt lgkmcnt(0)
	v_cndmask_b32_e32 v20, 0, v21, vcc
	v_add3_u32 v18, v20, v9, v18
.LBB3333_58:                            ; =>This Loop Header: Depth=1
                                        ;     Child Loop BB3333_61 Depth 2
                                        ;       Child Loop BB3333_62 Depth 3
	v_cmp_ne_u16_sdwa s[34:35], v19, v37 src0_sel:BYTE_0 src1_sel:DWORD
	v_cndmask_b32_e64 v9, 0, 1, s[34:35]
	;;#ASMSTART
	;;#ASMEND
	v_cmp_ne_u32_e32 vcc, 0, v9
	s_cmp_lg_u64 vcc, exec
	v_mov_b32_e32 v9, v18
	s_cbranch_scc1 .LBB3333_65
; %bb.59:                               ;   in Loop: Header=BB3333_58 Depth=1
	v_lshlrev_b64 v[18:19], 3, v[14:15]
	v_mov_b32_e32 v21, s29
	v_add_co_u32_e32 v20, vcc, s28, v18
	v_addc_co_u32_e32 v21, vcc, v21, v19, vcc
	global_load_dwordx2 v[18:19], v[20:21], off glc
	s_waitcnt vmcnt(0)
	v_cmp_eq_u16_sdwa s[36:37], v19, v15 src0_sel:BYTE_0 src1_sel:DWORD
	s_and_saveexec_b64 s[34:35], s[36:37]
	s_cbranch_execz .LBB3333_57
; %bb.60:                               ;   in Loop: Header=BB3333_58 Depth=1
	s_mov_b32 s39, 1
	s_mov_b64 s[36:37], 0
.LBB3333_61:                            ;   Parent Loop BB3333_58 Depth=1
                                        ; =>  This Loop Header: Depth=2
                                        ;       Child Loop BB3333_62 Depth 3
	s_max_u32 s40, s39, 1
.LBB3333_62:                            ;   Parent Loop BB3333_58 Depth=1
                                        ;     Parent Loop BB3333_61 Depth=2
                                        ; =>    This Inner Loop Header: Depth=3
	s_add_i32 s40, s40, -1
	s_cmp_eq_u32 s40, 0
	s_sleep 1
	s_cbranch_scc0 .LBB3333_62
; %bb.63:                               ;   in Loop: Header=BB3333_61 Depth=2
	global_load_dwordx2 v[18:19], v[20:21], off glc
	s_cmp_lt_u32 s39, 32
	s_cselect_b64 s[40:41], -1, 0
	s_cmp_lg_u64 s[40:41], 0
	s_addc_u32 s39, s39, 0
	s_waitcnt vmcnt(0)
	v_cmp_ne_u16_sdwa s[40:41], v19, v15 src0_sel:BYTE_0 src1_sel:DWORD
	s_or_b64 s[36:37], s[40:41], s[36:37]
	s_andn2_b64 exec, exec, s[36:37]
	s_cbranch_execnz .LBB3333_61
; %bb.64:                               ;   in Loop: Header=BB3333_58 Depth=1
	s_or_b64 exec, exec, s[36:37]
	s_branch .LBB3333_57
.LBB3333_65:                            ;   in Loop: Header=BB3333_58 Depth=1
                                        ; implicit-def: $vgpr18
                                        ; implicit-def: $vgpr19
	s_cbranch_execz .LBB3333_58
; %bb.66:
	s_and_saveexec_b64 s[34:35], s[16:17]
	s_cbranch_execz .LBB3333_68
; %bb.67:
	s_add_i32 s36, s38, 64
	s_mov_b32 s37, 0
	s_lshl_b64 s[36:37], s[36:37], 3
	s_add_u32 s36, s28, s36
	v_add_u32_e32 v14, v9, v8
	v_mov_b32_e32 v15, 2
	s_addc_u32 s37, s29, s37
	v_mov_b32_e32 v16, 0
	global_store_dwordx2 v16, v[14:15], s[36:37]
	ds_write_b64 v16, v[8:9] offset:7168
.LBB3333_68:
	s_or_b64 exec, exec, s[34:35]
	s_and_b64 exec, exec, s[0:1]
	s_cbranch_execz .LBB3333_70
; %bb.69:
	v_mov_b32_e32 v8, 0
	ds_write_b32 v8, v9 offset:12
.LBB3333_70:
	s_or_b64 exec, exec, s[30:31]
	v_mov_b32_e32 v8, 0
	s_waitcnt lgkmcnt(0)
	s_barrier
	ds_read_b32 v9, v8 offset:12
	v_cndmask_b32_e64 v14, v36, v35, s[16:17]
	v_cndmask_b32_e64 v14, v14, 0, s[0:1]
	s_waitcnt lgkmcnt(0)
	s_barrier
	v_add_u32_e32 v20, v9, v14
	v_add_u32_e32 v19, v20, v30
	;; [unrolled: 1-line block ×3, first 2 shown]
	ds_read_b64 v[8:9], v8 offset:7168
	v_add_u32_e32 v16, v18, v28
	v_add_u32_e32 v17, v16, v27
	;; [unrolled: 1-line block ×4, first 2 shown]
	s_branch .LBB3333_81
.LBB3333_71:
                                        ; implicit-def: $vgpr9
                                        ; implicit-def: $vgpr14
                                        ; implicit-def: $vgpr15
                                        ; implicit-def: $vgpr17
                                        ; implicit-def: $vgpr16
                                        ; implicit-def: $vgpr18
                                        ; implicit-def: $vgpr19
                                        ; implicit-def: $vgpr20
	s_cbranch_execz .LBB3333_81
; %bb.72:
	s_waitcnt lgkmcnt(0)
	v_mov_b32_dpp v8, v34 row_shr:1 row_mask:0xf bank_mask:0xf
	v_cndmask_b32_e64 v8, v8, 0, s[14:15]
	v_add_u32_e32 v8, v8, v34
	s_nop 1
	v_mov_b32_dpp v9, v8 row_shr:2 row_mask:0xf bank_mask:0xf
	v_cndmask_b32_e64 v9, 0, v9, s[12:13]
	v_add_u32_e32 v8, v8, v9
	s_nop 1
	;; [unrolled: 4-line block ×4, first 2 shown]
	v_mov_b32_dpp v9, v8 row_bcast:15 row_mask:0xf bank_mask:0xf
	v_cndmask_b32_e64 v9, v9, 0, s[6:7]
	v_add_u32_e32 v8, v8, v9
	s_nop 1
	v_mov_b32_dpp v9, v8 row_bcast:31 row_mask:0xf bank_mask:0xf
	v_cndmask_b32_e64 v9, 0, v9, s[2:3]
	v_add_u32_e32 v8, v8, v9
	s_and_saveexec_b64 s[2:3], s[4:5]
	s_cbranch_execz .LBB3333_74
; %bb.73:
	v_lshlrev_b32_e32 v9, 2, v33
	ds_write_b32 v9, v8
.LBB3333_74:
	s_or_b64 exec, exec, s[2:3]
	v_cmp_gt_u32_e32 vcc, 4, v0
	s_waitcnt lgkmcnt(0)
	s_barrier
	s_and_saveexec_b64 s[2:3], vcc
	s_cbranch_execz .LBB3333_76
; %bb.75:
	v_mad_i32_i24 v9, v0, -3, v32
	ds_read_b32 v14, v9
	v_and_b32_e32 v15, 3, v31
	v_cmp_ne_u32_e32 vcc, 0, v15
	s_waitcnt lgkmcnt(0)
	v_mov_b32_dpp v16, v14 row_shr:1 row_mask:0xf bank_mask:0xf
	v_cndmask_b32_e32 v16, 0, v16, vcc
	v_add_u32_e32 v14, v16, v14
	v_cmp_lt_u32_e32 vcc, 1, v15
	s_nop 0
	v_mov_b32_dpp v16, v14 row_shr:2 row_mask:0xf bank_mask:0xf
	v_cndmask_b32_e32 v15, 0, v16, vcc
	v_add_u32_e32 v14, v14, v15
	ds_write_b32 v9, v14
.LBB3333_76:
	s_or_b64 exec, exec, s[2:3]
	v_cmp_lt_u32_e32 vcc, 63, v0
	v_mov_b32_e32 v9, 0
	v_mov_b32_e32 v14, 0
	s_waitcnt lgkmcnt(0)
	s_barrier
	s_and_saveexec_b64 s[2:3], vcc
	s_cbranch_execz .LBB3333_78
; %bb.77:
	v_lshl_add_u32 v14, v33, 2, -4
	ds_read_b32 v14, v14
.LBB3333_78:
	s_or_b64 exec, exec, s[2:3]
	v_add_u32_e32 v15, -1, v31
	v_and_b32_e32 v16, 64, v31
	v_cmp_lt_i32_e32 vcc, v15, v16
	v_cndmask_b32_e32 v15, v15, v31, vcc
	s_waitcnt lgkmcnt(0)
	v_add_u32_e32 v8, v14, v8
	v_lshlrev_b32_e32 v15, 2, v15
	ds_bpermute_b32 v15, v15, v8
	ds_read_b32 v8, v9 offset:12
	s_and_saveexec_b64 s[2:3], s[0:1]
	s_cbranch_execz .LBB3333_80
; %bb.79:
	v_mov_b32_e32 v16, 0
	v_mov_b32_e32 v9, 2
	s_waitcnt lgkmcnt(0)
	global_store_dwordx2 v16, v[8:9], s[28:29] offset:512
.LBB3333_80:
	s_or_b64 exec, exec, s[2:3]
	v_cmp_eq_u32_e32 vcc, 0, v31
	s_waitcnt lgkmcnt(1)
	v_cndmask_b32_e32 v14, v15, v14, vcc
	v_cndmask_b32_e64 v20, v14, 0, s[0:1]
	v_add_u32_e32 v19, v20, v30
	v_add_u32_e32 v18, v19, v29
	;; [unrolled: 1-line block ×5, first 2 shown]
	v_mov_b32_e32 v9, 0
	v_add_u32_e32 v14, v15, v25
	s_waitcnt lgkmcnt(0)
	s_barrier
.LBB3333_81:
	s_waitcnt lgkmcnt(0)
	v_add_u32_e32 v21, v8, v24
	v_sub_u32_e32 v20, v20, v9
	v_sub_u32_e32 v24, v21, v20
	v_cmp_eq_u32_e32 vcc, 1, v30
	v_cndmask_b32_e32 v20, v24, v20, vcc
	v_lshlrev_b32_e32 v20, 2, v20
	ds_write_b32 v20, v6
	v_sub_u32_e32 v6, v19, v9
	v_sub_u32_e32 v19, v21, v6
	v_add_u32_e32 v19, 1, v19
	v_cmp_eq_u32_e32 vcc, 1, v29
	v_cndmask_b32_e32 v6, v19, v6, vcc
	v_lshlrev_b32_e32 v6, 2, v6
	ds_write_b32 v6, v7
	v_sub_u32_e32 v6, v18, v9
	v_sub_u32_e32 v7, v21, v6
	v_add_u32_e32 v7, 2, v7
	;; [unrolled: 7-line block ×6, first 2 shown]
	v_cmp_eq_u32_e32 vcc, 1, v1
	v_cndmask_b32_e32 v1, v3, v2, vcc
	v_lshlrev_b32_e32 v1, 2, v1
	ds_write_b32 v1, v23
	s_waitcnt vmcnt(0)
	v_add_co_u32_e32 v1, vcc, v10, v8
	v_addc_co_u32_e32 v3, vcc, 0, v11, vcc
	v_add_co_u32_e32 v2, vcc, v1, v9
	v_addc_co_u32_e32 v3, vcc, 0, v3, vcc
	v_mov_b32_e32 v1, s19
	v_sub_co_u32_e32 v10, vcc, s18, v2
	v_subb_co_u32_e32 v11, vcc, v1, v3, vcc
	v_lshlrev_b64 v[10:11], 2, v[10:11]
	s_waitcnt lgkmcnt(0)
	s_barrier
	ds_read2st64_b32 v[16:17], v22 offset1:4
	ds_read2st64_b32 v[14:15], v22 offset0:8 offset1:12
	ds_read2st64_b32 v[4:5], v22 offset0:16 offset1:20
	ds_read_b32 v7, v22 offset:6144
	v_mov_b32_e32 v1, s25
	v_add_co_u32_e32 v6, vcc, s24, v10
	v_addc_co_u32_e32 v1, vcc, v1, v11, vcc
	v_add_co_u32_e32 v6, vcc, v6, v12
	v_addc_co_u32_e32 v1, vcc, v1, v13, vcc
	v_or_b32_e32 v24, 0x100, v0
	v_or_b32_e32 v23, 0x200, v0
	;; [unrolled: 1-line block ×6, first 2 shown]
	s_andn2_b64 vcc, exec, s[26:27]
	v_cmp_le_u32_e64 s[2:3], v8, v0
	s_cbranch_vccnz .LBB3333_90
; %bb.82:
	s_and_saveexec_b64 s[4:5], s[2:3]
	s_cbranch_execnz .LBB3333_109
; %bb.83:
	s_or_b64 exec, exec, s[4:5]
	v_cmp_ge_u32_e32 vcc, v24, v8
	s_and_saveexec_b64 s[2:3], vcc
	s_cbranch_execnz .LBB3333_110
.LBB3333_84:
	s_or_b64 exec, exec, s[2:3]
	v_cmp_ge_u32_e32 vcc, v23, v8
	s_and_saveexec_b64 s[2:3], vcc
	s_cbranch_execnz .LBB3333_111
.LBB3333_85:
	s_or_b64 exec, exec, s[2:3]
	v_cmp_ge_u32_e32 vcc, v21, v8
	s_and_saveexec_b64 s[2:3], vcc
	s_cbranch_execnz .LBB3333_112
.LBB3333_86:
	s_or_b64 exec, exec, s[2:3]
	v_cmp_ge_u32_e32 vcc, v20, v8
	s_and_saveexec_b64 s[2:3], vcc
	s_cbranch_execnz .LBB3333_113
.LBB3333_87:
	s_or_b64 exec, exec, s[2:3]
	v_cmp_ge_u32_e32 vcc, v19, v8
	s_and_saveexec_b64 s[2:3], vcc
	s_cbranch_execz .LBB3333_89
.LBB3333_88:
	v_lshlrev_b32_e32 v9, 2, v19
	v_readfirstlane_b32 s4, v6
	v_readfirstlane_b32 s5, v1
	s_waitcnt lgkmcnt(1)
	s_nop 3
	global_store_dword v9, v5, s[4:5]
.LBB3333_89:
	s_or_b64 exec, exec, s[2:3]
	v_cmp_ge_u32_e64 s[2:3], v18, v8
	s_branch .LBB3333_104
.LBB3333_90:
	s_mov_b64 s[2:3], 0
	s_cbranch_execz .LBB3333_104
; %bb.91:
	v_cmp_gt_u32_e32 vcc, s33, v0
	v_cmp_le_u32_e64 s[2:3], v8, v0
	s_and_b64 s[4:5], vcc, s[2:3]
	s_and_saveexec_b64 s[2:3], s[4:5]
	s_cbranch_execz .LBB3333_93
; %bb.92:
	v_readfirstlane_b32 s4, v6
	v_readfirstlane_b32 s5, v1
	s_waitcnt lgkmcnt(3)
	s_nop 3
	global_store_dword v22, v16, s[4:5]
.LBB3333_93:
	s_or_b64 exec, exec, s[2:3]
	v_cmp_gt_u32_e32 vcc, s33, v24
	v_cmp_ge_u32_e64 s[2:3], v24, v8
	s_and_b64 s[4:5], vcc, s[2:3]
	s_and_saveexec_b64 s[2:3], s[4:5]
	s_cbranch_execz .LBB3333_95
; %bb.94:
	v_readfirstlane_b32 s4, v6
	v_readfirstlane_b32 s5, v1
	s_waitcnt lgkmcnt(3)
	s_nop 3
	global_store_dword v22, v17, s[4:5] offset:1024
.LBB3333_95:
	s_or_b64 exec, exec, s[2:3]
	v_cmp_gt_u32_e32 vcc, s33, v23
	v_cmp_ge_u32_e64 s[2:3], v23, v8
	s_and_b64 s[4:5], vcc, s[2:3]
	s_and_saveexec_b64 s[2:3], s[4:5]
	s_cbranch_execz .LBB3333_97
; %bb.96:
	v_readfirstlane_b32 s4, v6
	v_readfirstlane_b32 s5, v1
	s_waitcnt lgkmcnt(2)
	s_nop 3
	global_store_dword v22, v14, s[4:5] offset:2048
.LBB3333_97:
	s_or_b64 exec, exec, s[2:3]
	v_cmp_gt_u32_e32 vcc, s33, v21
	v_cmp_ge_u32_e64 s[2:3], v21, v8
	s_and_b64 s[4:5], vcc, s[2:3]
	s_and_saveexec_b64 s[2:3], s[4:5]
	s_cbranch_execz .LBB3333_99
; %bb.98:
	v_readfirstlane_b32 s4, v6
	v_readfirstlane_b32 s5, v1
	s_waitcnt lgkmcnt(2)
	s_nop 3
	global_store_dword v22, v15, s[4:5] offset:3072
.LBB3333_99:
	s_or_b64 exec, exec, s[2:3]
	v_cmp_gt_u32_e32 vcc, s33, v20
	v_cmp_ge_u32_e64 s[2:3], v20, v8
	s_and_b64 s[4:5], vcc, s[2:3]
	s_and_saveexec_b64 s[2:3], s[4:5]
	s_cbranch_execz .LBB3333_101
; %bb.100:
	v_lshlrev_b32_e32 v0, 2, v20
	v_readfirstlane_b32 s4, v6
	v_readfirstlane_b32 s5, v1
	s_waitcnt lgkmcnt(1)
	s_nop 3
	global_store_dword v0, v4, s[4:5]
.LBB3333_101:
	s_or_b64 exec, exec, s[2:3]
	v_cmp_gt_u32_e32 vcc, s33, v19
	v_cmp_ge_u32_e64 s[2:3], v19, v8
	s_and_b64 s[4:5], vcc, s[2:3]
	s_and_saveexec_b64 s[2:3], s[4:5]
	s_cbranch_execz .LBB3333_103
; %bb.102:
	v_lshlrev_b32_e32 v0, 2, v19
	v_readfirstlane_b32 s4, v6
	v_readfirstlane_b32 s5, v1
	s_waitcnt lgkmcnt(1)
	s_nop 3
	global_store_dword v0, v5, s[4:5]
.LBB3333_103:
	s_or_b64 exec, exec, s[2:3]
	v_cmp_gt_u32_e32 vcc, s33, v18
	v_cmp_ge_u32_e64 s[2:3], v18, v8
	s_and_b64 s[2:3], vcc, s[2:3]
.LBB3333_104:
	s_and_saveexec_b64 s[4:5], s[2:3]
	s_cbranch_execnz .LBB3333_107
; %bb.105:
	s_or_b64 exec, exec, s[4:5]
	s_and_b64 s[0:1], s[0:1], s[22:23]
	s_and_saveexec_b64 s[2:3], s[0:1]
	s_cbranch_execnz .LBB3333_108
.LBB3333_106:
	s_endpgm
.LBB3333_107:
	v_lshlrev_b32_e32 v0, 2, v18
	v_readfirstlane_b32 s2, v6
	v_readfirstlane_b32 s3, v1
	s_waitcnt lgkmcnt(0)
	s_nop 3
	global_store_dword v0, v7, s[2:3]
	s_or_b64 exec, exec, s[4:5]
	s_and_b64 s[0:1], s[0:1], s[22:23]
	s_and_saveexec_b64 s[2:3], s[0:1]
	s_cbranch_execz .LBB3333_106
.LBB3333_108:
	v_mov_b32_e32 v0, 0
	global_store_dwordx2 v0, v[2:3], s[20:21]
	s_endpgm
.LBB3333_109:
	v_readfirstlane_b32 s2, v6
	v_readfirstlane_b32 s3, v1
	s_waitcnt lgkmcnt(3)
	s_nop 3
	global_store_dword v22, v16, s[2:3]
	s_or_b64 exec, exec, s[4:5]
	v_cmp_ge_u32_e32 vcc, v24, v8
	s_and_saveexec_b64 s[2:3], vcc
	s_cbranch_execz .LBB3333_84
.LBB3333_110:
	v_readfirstlane_b32 s4, v6
	v_readfirstlane_b32 s5, v1
	s_waitcnt lgkmcnt(3)
	s_nop 3
	global_store_dword v22, v17, s[4:5] offset:1024
	s_or_b64 exec, exec, s[2:3]
	v_cmp_ge_u32_e32 vcc, v23, v8
	s_and_saveexec_b64 s[2:3], vcc
	s_cbranch_execz .LBB3333_85
.LBB3333_111:
	v_readfirstlane_b32 s4, v6
	v_readfirstlane_b32 s5, v1
	s_waitcnt lgkmcnt(2)
	s_nop 3
	global_store_dword v22, v14, s[4:5] offset:2048
	s_or_b64 exec, exec, s[2:3]
	v_cmp_ge_u32_e32 vcc, v21, v8
	s_and_saveexec_b64 s[2:3], vcc
	s_cbranch_execz .LBB3333_86
.LBB3333_112:
	v_readfirstlane_b32 s4, v6
	v_readfirstlane_b32 s5, v1
	s_waitcnt lgkmcnt(2)
	s_nop 3
	global_store_dword v22, v15, s[4:5] offset:3072
	s_or_b64 exec, exec, s[2:3]
	v_cmp_ge_u32_e32 vcc, v20, v8
	s_and_saveexec_b64 s[2:3], vcc
	s_cbranch_execz .LBB3333_87
.LBB3333_113:
	v_lshlrev_b32_e32 v9, 2, v20
	v_readfirstlane_b32 s4, v6
	v_readfirstlane_b32 s5, v1
	s_waitcnt lgkmcnt(1)
	s_nop 3
	global_store_dword v9, v4, s[4:5]
	s_or_b64 exec, exec, s[2:3]
	v_cmp_ge_u32_e32 vcc, v19, v8
	s_and_saveexec_b64 s[2:3], vcc
	s_cbranch_execnz .LBB3333_88
	s_branch .LBB3333_89
	.section	.rodata,"a",@progbits
	.p2align	6, 0x0
	.amdhsa_kernel _ZN7rocprim17ROCPRIM_400000_NS6detail17trampoline_kernelINS0_14default_configENS1_25partition_config_selectorILNS1_17partition_subalgoE1EiNS0_10empty_typeEbEEZZNS1_14partition_implILS5_1ELb0ES3_jN6thrust23THRUST_200600_302600_NS6detail15normal_iteratorINSA_10device_ptrIiEEEEPS6_NSA_18transform_iteratorI7is_evenIiESF_NSA_11use_defaultESK_EENS0_5tupleIJNSA_16discard_iteratorISK_EESF_EEENSM_IJSG_SG_EEES6_PlJS6_EEE10hipError_tPvRmT3_T4_T5_T6_T7_T9_mT8_P12ihipStream_tbDpT10_ENKUlT_T0_E_clISt17integral_constantIbLb1EES1B_EEDaS16_S17_EUlS16_E_NS1_11comp_targetILNS1_3genE4ELNS1_11target_archE910ELNS1_3gpuE8ELNS1_3repE0EEENS1_30default_config_static_selectorELNS0_4arch9wavefront6targetE1EEEvT1_
		.amdhsa_group_segment_fixed_size 7176
		.amdhsa_private_segment_fixed_size 0
		.amdhsa_kernarg_size 152
		.amdhsa_user_sgpr_count 6
		.amdhsa_user_sgpr_private_segment_buffer 1
		.amdhsa_user_sgpr_dispatch_ptr 0
		.amdhsa_user_sgpr_queue_ptr 0
		.amdhsa_user_sgpr_kernarg_segment_ptr 1
		.amdhsa_user_sgpr_dispatch_id 0
		.amdhsa_user_sgpr_flat_scratch_init 0
		.amdhsa_user_sgpr_kernarg_preload_length 0
		.amdhsa_user_sgpr_kernarg_preload_offset 0
		.amdhsa_user_sgpr_private_segment_size 0
		.amdhsa_uses_dynamic_stack 0
		.amdhsa_system_sgpr_private_segment_wavefront_offset 0
		.amdhsa_system_sgpr_workgroup_id_x 1
		.amdhsa_system_sgpr_workgroup_id_y 0
		.amdhsa_system_sgpr_workgroup_id_z 0
		.amdhsa_system_sgpr_workgroup_info 0
		.amdhsa_system_vgpr_workitem_id 0
		.amdhsa_next_free_vgpr 51
		.amdhsa_next_free_sgpr 42
		.amdhsa_accum_offset 52
		.amdhsa_reserve_vcc 1
		.amdhsa_reserve_flat_scratch 0
		.amdhsa_float_round_mode_32 0
		.amdhsa_float_round_mode_16_64 0
		.amdhsa_float_denorm_mode_32 3
		.amdhsa_float_denorm_mode_16_64 3
		.amdhsa_dx10_clamp 1
		.amdhsa_ieee_mode 1
		.amdhsa_fp16_overflow 0
		.amdhsa_tg_split 0
		.amdhsa_exception_fp_ieee_invalid_op 0
		.amdhsa_exception_fp_denorm_src 0
		.amdhsa_exception_fp_ieee_div_zero 0
		.amdhsa_exception_fp_ieee_overflow 0
		.amdhsa_exception_fp_ieee_underflow 0
		.amdhsa_exception_fp_ieee_inexact 0
		.amdhsa_exception_int_div_zero 0
	.end_amdhsa_kernel
	.section	.text._ZN7rocprim17ROCPRIM_400000_NS6detail17trampoline_kernelINS0_14default_configENS1_25partition_config_selectorILNS1_17partition_subalgoE1EiNS0_10empty_typeEbEEZZNS1_14partition_implILS5_1ELb0ES3_jN6thrust23THRUST_200600_302600_NS6detail15normal_iteratorINSA_10device_ptrIiEEEEPS6_NSA_18transform_iteratorI7is_evenIiESF_NSA_11use_defaultESK_EENS0_5tupleIJNSA_16discard_iteratorISK_EESF_EEENSM_IJSG_SG_EEES6_PlJS6_EEE10hipError_tPvRmT3_T4_T5_T6_T7_T9_mT8_P12ihipStream_tbDpT10_ENKUlT_T0_E_clISt17integral_constantIbLb1EES1B_EEDaS16_S17_EUlS16_E_NS1_11comp_targetILNS1_3genE4ELNS1_11target_archE910ELNS1_3gpuE8ELNS1_3repE0EEENS1_30default_config_static_selectorELNS0_4arch9wavefront6targetE1EEEvT1_,"axG",@progbits,_ZN7rocprim17ROCPRIM_400000_NS6detail17trampoline_kernelINS0_14default_configENS1_25partition_config_selectorILNS1_17partition_subalgoE1EiNS0_10empty_typeEbEEZZNS1_14partition_implILS5_1ELb0ES3_jN6thrust23THRUST_200600_302600_NS6detail15normal_iteratorINSA_10device_ptrIiEEEEPS6_NSA_18transform_iteratorI7is_evenIiESF_NSA_11use_defaultESK_EENS0_5tupleIJNSA_16discard_iteratorISK_EESF_EEENSM_IJSG_SG_EEES6_PlJS6_EEE10hipError_tPvRmT3_T4_T5_T6_T7_T9_mT8_P12ihipStream_tbDpT10_ENKUlT_T0_E_clISt17integral_constantIbLb1EES1B_EEDaS16_S17_EUlS16_E_NS1_11comp_targetILNS1_3genE4ELNS1_11target_archE910ELNS1_3gpuE8ELNS1_3repE0EEENS1_30default_config_static_selectorELNS0_4arch9wavefront6targetE1EEEvT1_,comdat
.Lfunc_end3333:
	.size	_ZN7rocprim17ROCPRIM_400000_NS6detail17trampoline_kernelINS0_14default_configENS1_25partition_config_selectorILNS1_17partition_subalgoE1EiNS0_10empty_typeEbEEZZNS1_14partition_implILS5_1ELb0ES3_jN6thrust23THRUST_200600_302600_NS6detail15normal_iteratorINSA_10device_ptrIiEEEEPS6_NSA_18transform_iteratorI7is_evenIiESF_NSA_11use_defaultESK_EENS0_5tupleIJNSA_16discard_iteratorISK_EESF_EEENSM_IJSG_SG_EEES6_PlJS6_EEE10hipError_tPvRmT3_T4_T5_T6_T7_T9_mT8_P12ihipStream_tbDpT10_ENKUlT_T0_E_clISt17integral_constantIbLb1EES1B_EEDaS16_S17_EUlS16_E_NS1_11comp_targetILNS1_3genE4ELNS1_11target_archE910ELNS1_3gpuE8ELNS1_3repE0EEENS1_30default_config_static_selectorELNS0_4arch9wavefront6targetE1EEEvT1_, .Lfunc_end3333-_ZN7rocprim17ROCPRIM_400000_NS6detail17trampoline_kernelINS0_14default_configENS1_25partition_config_selectorILNS1_17partition_subalgoE1EiNS0_10empty_typeEbEEZZNS1_14partition_implILS5_1ELb0ES3_jN6thrust23THRUST_200600_302600_NS6detail15normal_iteratorINSA_10device_ptrIiEEEEPS6_NSA_18transform_iteratorI7is_evenIiESF_NSA_11use_defaultESK_EENS0_5tupleIJNSA_16discard_iteratorISK_EESF_EEENSM_IJSG_SG_EEES6_PlJS6_EEE10hipError_tPvRmT3_T4_T5_T6_T7_T9_mT8_P12ihipStream_tbDpT10_ENKUlT_T0_E_clISt17integral_constantIbLb1EES1B_EEDaS16_S17_EUlS16_E_NS1_11comp_targetILNS1_3genE4ELNS1_11target_archE910ELNS1_3gpuE8ELNS1_3repE0EEENS1_30default_config_static_selectorELNS0_4arch9wavefront6targetE1EEEvT1_
                                        ; -- End function
	.section	.AMDGPU.csdata,"",@progbits
; Kernel info:
; codeLenInByte = 4944
; NumSgprs: 46
; NumVgprs: 51
; NumAgprs: 0
; TotalNumVgprs: 51
; ScratchSize: 0
; MemoryBound: 0
; FloatMode: 240
; IeeeMode: 1
; LDSByteSize: 7176 bytes/workgroup (compile time only)
; SGPRBlocks: 5
; VGPRBlocks: 6
; NumSGPRsForWavesPerEU: 46
; NumVGPRsForWavesPerEU: 51
; AccumOffset: 52
; Occupancy: 8
; WaveLimiterHint : 1
; COMPUTE_PGM_RSRC2:SCRATCH_EN: 0
; COMPUTE_PGM_RSRC2:USER_SGPR: 6
; COMPUTE_PGM_RSRC2:TRAP_HANDLER: 0
; COMPUTE_PGM_RSRC2:TGID_X_EN: 1
; COMPUTE_PGM_RSRC2:TGID_Y_EN: 0
; COMPUTE_PGM_RSRC2:TGID_Z_EN: 0
; COMPUTE_PGM_RSRC2:TIDIG_COMP_CNT: 0
; COMPUTE_PGM_RSRC3_GFX90A:ACCUM_OFFSET: 12
; COMPUTE_PGM_RSRC3_GFX90A:TG_SPLIT: 0
	.section	.text._ZN7rocprim17ROCPRIM_400000_NS6detail17trampoline_kernelINS0_14default_configENS1_25partition_config_selectorILNS1_17partition_subalgoE1EiNS0_10empty_typeEbEEZZNS1_14partition_implILS5_1ELb0ES3_jN6thrust23THRUST_200600_302600_NS6detail15normal_iteratorINSA_10device_ptrIiEEEEPS6_NSA_18transform_iteratorI7is_evenIiESF_NSA_11use_defaultESK_EENS0_5tupleIJNSA_16discard_iteratorISK_EESF_EEENSM_IJSG_SG_EEES6_PlJS6_EEE10hipError_tPvRmT3_T4_T5_T6_T7_T9_mT8_P12ihipStream_tbDpT10_ENKUlT_T0_E_clISt17integral_constantIbLb1EES1B_EEDaS16_S17_EUlS16_E_NS1_11comp_targetILNS1_3genE3ELNS1_11target_archE908ELNS1_3gpuE7ELNS1_3repE0EEENS1_30default_config_static_selectorELNS0_4arch9wavefront6targetE1EEEvT1_,"axG",@progbits,_ZN7rocprim17ROCPRIM_400000_NS6detail17trampoline_kernelINS0_14default_configENS1_25partition_config_selectorILNS1_17partition_subalgoE1EiNS0_10empty_typeEbEEZZNS1_14partition_implILS5_1ELb0ES3_jN6thrust23THRUST_200600_302600_NS6detail15normal_iteratorINSA_10device_ptrIiEEEEPS6_NSA_18transform_iteratorI7is_evenIiESF_NSA_11use_defaultESK_EENS0_5tupleIJNSA_16discard_iteratorISK_EESF_EEENSM_IJSG_SG_EEES6_PlJS6_EEE10hipError_tPvRmT3_T4_T5_T6_T7_T9_mT8_P12ihipStream_tbDpT10_ENKUlT_T0_E_clISt17integral_constantIbLb1EES1B_EEDaS16_S17_EUlS16_E_NS1_11comp_targetILNS1_3genE3ELNS1_11target_archE908ELNS1_3gpuE7ELNS1_3repE0EEENS1_30default_config_static_selectorELNS0_4arch9wavefront6targetE1EEEvT1_,comdat
	.protected	_ZN7rocprim17ROCPRIM_400000_NS6detail17trampoline_kernelINS0_14default_configENS1_25partition_config_selectorILNS1_17partition_subalgoE1EiNS0_10empty_typeEbEEZZNS1_14partition_implILS5_1ELb0ES3_jN6thrust23THRUST_200600_302600_NS6detail15normal_iteratorINSA_10device_ptrIiEEEEPS6_NSA_18transform_iteratorI7is_evenIiESF_NSA_11use_defaultESK_EENS0_5tupleIJNSA_16discard_iteratorISK_EESF_EEENSM_IJSG_SG_EEES6_PlJS6_EEE10hipError_tPvRmT3_T4_T5_T6_T7_T9_mT8_P12ihipStream_tbDpT10_ENKUlT_T0_E_clISt17integral_constantIbLb1EES1B_EEDaS16_S17_EUlS16_E_NS1_11comp_targetILNS1_3genE3ELNS1_11target_archE908ELNS1_3gpuE7ELNS1_3repE0EEENS1_30default_config_static_selectorELNS0_4arch9wavefront6targetE1EEEvT1_ ; -- Begin function _ZN7rocprim17ROCPRIM_400000_NS6detail17trampoline_kernelINS0_14default_configENS1_25partition_config_selectorILNS1_17partition_subalgoE1EiNS0_10empty_typeEbEEZZNS1_14partition_implILS5_1ELb0ES3_jN6thrust23THRUST_200600_302600_NS6detail15normal_iteratorINSA_10device_ptrIiEEEEPS6_NSA_18transform_iteratorI7is_evenIiESF_NSA_11use_defaultESK_EENS0_5tupleIJNSA_16discard_iteratorISK_EESF_EEENSM_IJSG_SG_EEES6_PlJS6_EEE10hipError_tPvRmT3_T4_T5_T6_T7_T9_mT8_P12ihipStream_tbDpT10_ENKUlT_T0_E_clISt17integral_constantIbLb1EES1B_EEDaS16_S17_EUlS16_E_NS1_11comp_targetILNS1_3genE3ELNS1_11target_archE908ELNS1_3gpuE7ELNS1_3repE0EEENS1_30default_config_static_selectorELNS0_4arch9wavefront6targetE1EEEvT1_
	.globl	_ZN7rocprim17ROCPRIM_400000_NS6detail17trampoline_kernelINS0_14default_configENS1_25partition_config_selectorILNS1_17partition_subalgoE1EiNS0_10empty_typeEbEEZZNS1_14partition_implILS5_1ELb0ES3_jN6thrust23THRUST_200600_302600_NS6detail15normal_iteratorINSA_10device_ptrIiEEEEPS6_NSA_18transform_iteratorI7is_evenIiESF_NSA_11use_defaultESK_EENS0_5tupleIJNSA_16discard_iteratorISK_EESF_EEENSM_IJSG_SG_EEES6_PlJS6_EEE10hipError_tPvRmT3_T4_T5_T6_T7_T9_mT8_P12ihipStream_tbDpT10_ENKUlT_T0_E_clISt17integral_constantIbLb1EES1B_EEDaS16_S17_EUlS16_E_NS1_11comp_targetILNS1_3genE3ELNS1_11target_archE908ELNS1_3gpuE7ELNS1_3repE0EEENS1_30default_config_static_selectorELNS0_4arch9wavefront6targetE1EEEvT1_
	.p2align	8
	.type	_ZN7rocprim17ROCPRIM_400000_NS6detail17trampoline_kernelINS0_14default_configENS1_25partition_config_selectorILNS1_17partition_subalgoE1EiNS0_10empty_typeEbEEZZNS1_14partition_implILS5_1ELb0ES3_jN6thrust23THRUST_200600_302600_NS6detail15normal_iteratorINSA_10device_ptrIiEEEEPS6_NSA_18transform_iteratorI7is_evenIiESF_NSA_11use_defaultESK_EENS0_5tupleIJNSA_16discard_iteratorISK_EESF_EEENSM_IJSG_SG_EEES6_PlJS6_EEE10hipError_tPvRmT3_T4_T5_T6_T7_T9_mT8_P12ihipStream_tbDpT10_ENKUlT_T0_E_clISt17integral_constantIbLb1EES1B_EEDaS16_S17_EUlS16_E_NS1_11comp_targetILNS1_3genE3ELNS1_11target_archE908ELNS1_3gpuE7ELNS1_3repE0EEENS1_30default_config_static_selectorELNS0_4arch9wavefront6targetE1EEEvT1_,@function
_ZN7rocprim17ROCPRIM_400000_NS6detail17trampoline_kernelINS0_14default_configENS1_25partition_config_selectorILNS1_17partition_subalgoE1EiNS0_10empty_typeEbEEZZNS1_14partition_implILS5_1ELb0ES3_jN6thrust23THRUST_200600_302600_NS6detail15normal_iteratorINSA_10device_ptrIiEEEEPS6_NSA_18transform_iteratorI7is_evenIiESF_NSA_11use_defaultESK_EENS0_5tupleIJNSA_16discard_iteratorISK_EESF_EEENSM_IJSG_SG_EEES6_PlJS6_EEE10hipError_tPvRmT3_T4_T5_T6_T7_T9_mT8_P12ihipStream_tbDpT10_ENKUlT_T0_E_clISt17integral_constantIbLb1EES1B_EEDaS16_S17_EUlS16_E_NS1_11comp_targetILNS1_3genE3ELNS1_11target_archE908ELNS1_3gpuE7ELNS1_3repE0EEENS1_30default_config_static_selectorELNS0_4arch9wavefront6targetE1EEEvT1_: ; @_ZN7rocprim17ROCPRIM_400000_NS6detail17trampoline_kernelINS0_14default_configENS1_25partition_config_selectorILNS1_17partition_subalgoE1EiNS0_10empty_typeEbEEZZNS1_14partition_implILS5_1ELb0ES3_jN6thrust23THRUST_200600_302600_NS6detail15normal_iteratorINSA_10device_ptrIiEEEEPS6_NSA_18transform_iteratorI7is_evenIiESF_NSA_11use_defaultESK_EENS0_5tupleIJNSA_16discard_iteratorISK_EESF_EEENSM_IJSG_SG_EEES6_PlJS6_EEE10hipError_tPvRmT3_T4_T5_T6_T7_T9_mT8_P12ihipStream_tbDpT10_ENKUlT_T0_E_clISt17integral_constantIbLb1EES1B_EEDaS16_S17_EUlS16_E_NS1_11comp_targetILNS1_3genE3ELNS1_11target_archE908ELNS1_3gpuE7ELNS1_3repE0EEENS1_30default_config_static_selectorELNS0_4arch9wavefront6targetE1EEEvT1_
; %bb.0:
	.section	.rodata,"a",@progbits
	.p2align	6, 0x0
	.amdhsa_kernel _ZN7rocprim17ROCPRIM_400000_NS6detail17trampoline_kernelINS0_14default_configENS1_25partition_config_selectorILNS1_17partition_subalgoE1EiNS0_10empty_typeEbEEZZNS1_14partition_implILS5_1ELb0ES3_jN6thrust23THRUST_200600_302600_NS6detail15normal_iteratorINSA_10device_ptrIiEEEEPS6_NSA_18transform_iteratorI7is_evenIiESF_NSA_11use_defaultESK_EENS0_5tupleIJNSA_16discard_iteratorISK_EESF_EEENSM_IJSG_SG_EEES6_PlJS6_EEE10hipError_tPvRmT3_T4_T5_T6_T7_T9_mT8_P12ihipStream_tbDpT10_ENKUlT_T0_E_clISt17integral_constantIbLb1EES1B_EEDaS16_S17_EUlS16_E_NS1_11comp_targetILNS1_3genE3ELNS1_11target_archE908ELNS1_3gpuE7ELNS1_3repE0EEENS1_30default_config_static_selectorELNS0_4arch9wavefront6targetE1EEEvT1_
		.amdhsa_group_segment_fixed_size 0
		.amdhsa_private_segment_fixed_size 0
		.amdhsa_kernarg_size 152
		.amdhsa_user_sgpr_count 6
		.amdhsa_user_sgpr_private_segment_buffer 1
		.amdhsa_user_sgpr_dispatch_ptr 0
		.amdhsa_user_sgpr_queue_ptr 0
		.amdhsa_user_sgpr_kernarg_segment_ptr 1
		.amdhsa_user_sgpr_dispatch_id 0
		.amdhsa_user_sgpr_flat_scratch_init 0
		.amdhsa_user_sgpr_kernarg_preload_length 0
		.amdhsa_user_sgpr_kernarg_preload_offset 0
		.amdhsa_user_sgpr_private_segment_size 0
		.amdhsa_uses_dynamic_stack 0
		.amdhsa_system_sgpr_private_segment_wavefront_offset 0
		.amdhsa_system_sgpr_workgroup_id_x 1
		.amdhsa_system_sgpr_workgroup_id_y 0
		.amdhsa_system_sgpr_workgroup_id_z 0
		.amdhsa_system_sgpr_workgroup_info 0
		.amdhsa_system_vgpr_workitem_id 0
		.amdhsa_next_free_vgpr 1
		.amdhsa_next_free_sgpr 0
		.amdhsa_accum_offset 4
		.amdhsa_reserve_vcc 0
		.amdhsa_reserve_flat_scratch 0
		.amdhsa_float_round_mode_32 0
		.amdhsa_float_round_mode_16_64 0
		.amdhsa_float_denorm_mode_32 3
		.amdhsa_float_denorm_mode_16_64 3
		.amdhsa_dx10_clamp 1
		.amdhsa_ieee_mode 1
		.amdhsa_fp16_overflow 0
		.amdhsa_tg_split 0
		.amdhsa_exception_fp_ieee_invalid_op 0
		.amdhsa_exception_fp_denorm_src 0
		.amdhsa_exception_fp_ieee_div_zero 0
		.amdhsa_exception_fp_ieee_overflow 0
		.amdhsa_exception_fp_ieee_underflow 0
		.amdhsa_exception_fp_ieee_inexact 0
		.amdhsa_exception_int_div_zero 0
	.end_amdhsa_kernel
	.section	.text._ZN7rocprim17ROCPRIM_400000_NS6detail17trampoline_kernelINS0_14default_configENS1_25partition_config_selectorILNS1_17partition_subalgoE1EiNS0_10empty_typeEbEEZZNS1_14partition_implILS5_1ELb0ES3_jN6thrust23THRUST_200600_302600_NS6detail15normal_iteratorINSA_10device_ptrIiEEEEPS6_NSA_18transform_iteratorI7is_evenIiESF_NSA_11use_defaultESK_EENS0_5tupleIJNSA_16discard_iteratorISK_EESF_EEENSM_IJSG_SG_EEES6_PlJS6_EEE10hipError_tPvRmT3_T4_T5_T6_T7_T9_mT8_P12ihipStream_tbDpT10_ENKUlT_T0_E_clISt17integral_constantIbLb1EES1B_EEDaS16_S17_EUlS16_E_NS1_11comp_targetILNS1_3genE3ELNS1_11target_archE908ELNS1_3gpuE7ELNS1_3repE0EEENS1_30default_config_static_selectorELNS0_4arch9wavefront6targetE1EEEvT1_,"axG",@progbits,_ZN7rocprim17ROCPRIM_400000_NS6detail17trampoline_kernelINS0_14default_configENS1_25partition_config_selectorILNS1_17partition_subalgoE1EiNS0_10empty_typeEbEEZZNS1_14partition_implILS5_1ELb0ES3_jN6thrust23THRUST_200600_302600_NS6detail15normal_iteratorINSA_10device_ptrIiEEEEPS6_NSA_18transform_iteratorI7is_evenIiESF_NSA_11use_defaultESK_EENS0_5tupleIJNSA_16discard_iteratorISK_EESF_EEENSM_IJSG_SG_EEES6_PlJS6_EEE10hipError_tPvRmT3_T4_T5_T6_T7_T9_mT8_P12ihipStream_tbDpT10_ENKUlT_T0_E_clISt17integral_constantIbLb1EES1B_EEDaS16_S17_EUlS16_E_NS1_11comp_targetILNS1_3genE3ELNS1_11target_archE908ELNS1_3gpuE7ELNS1_3repE0EEENS1_30default_config_static_selectorELNS0_4arch9wavefront6targetE1EEEvT1_,comdat
.Lfunc_end3334:
	.size	_ZN7rocprim17ROCPRIM_400000_NS6detail17trampoline_kernelINS0_14default_configENS1_25partition_config_selectorILNS1_17partition_subalgoE1EiNS0_10empty_typeEbEEZZNS1_14partition_implILS5_1ELb0ES3_jN6thrust23THRUST_200600_302600_NS6detail15normal_iteratorINSA_10device_ptrIiEEEEPS6_NSA_18transform_iteratorI7is_evenIiESF_NSA_11use_defaultESK_EENS0_5tupleIJNSA_16discard_iteratorISK_EESF_EEENSM_IJSG_SG_EEES6_PlJS6_EEE10hipError_tPvRmT3_T4_T5_T6_T7_T9_mT8_P12ihipStream_tbDpT10_ENKUlT_T0_E_clISt17integral_constantIbLb1EES1B_EEDaS16_S17_EUlS16_E_NS1_11comp_targetILNS1_3genE3ELNS1_11target_archE908ELNS1_3gpuE7ELNS1_3repE0EEENS1_30default_config_static_selectorELNS0_4arch9wavefront6targetE1EEEvT1_, .Lfunc_end3334-_ZN7rocprim17ROCPRIM_400000_NS6detail17trampoline_kernelINS0_14default_configENS1_25partition_config_selectorILNS1_17partition_subalgoE1EiNS0_10empty_typeEbEEZZNS1_14partition_implILS5_1ELb0ES3_jN6thrust23THRUST_200600_302600_NS6detail15normal_iteratorINSA_10device_ptrIiEEEEPS6_NSA_18transform_iteratorI7is_evenIiESF_NSA_11use_defaultESK_EENS0_5tupleIJNSA_16discard_iteratorISK_EESF_EEENSM_IJSG_SG_EEES6_PlJS6_EEE10hipError_tPvRmT3_T4_T5_T6_T7_T9_mT8_P12ihipStream_tbDpT10_ENKUlT_T0_E_clISt17integral_constantIbLb1EES1B_EEDaS16_S17_EUlS16_E_NS1_11comp_targetILNS1_3genE3ELNS1_11target_archE908ELNS1_3gpuE7ELNS1_3repE0EEENS1_30default_config_static_selectorELNS0_4arch9wavefront6targetE1EEEvT1_
                                        ; -- End function
	.section	.AMDGPU.csdata,"",@progbits
; Kernel info:
; codeLenInByte = 0
; NumSgprs: 4
; NumVgprs: 0
; NumAgprs: 0
; TotalNumVgprs: 0
; ScratchSize: 0
; MemoryBound: 0
; FloatMode: 240
; IeeeMode: 1
; LDSByteSize: 0 bytes/workgroup (compile time only)
; SGPRBlocks: 0
; VGPRBlocks: 0
; NumSGPRsForWavesPerEU: 4
; NumVGPRsForWavesPerEU: 1
; AccumOffset: 4
; Occupancy: 8
; WaveLimiterHint : 0
; COMPUTE_PGM_RSRC2:SCRATCH_EN: 0
; COMPUTE_PGM_RSRC2:USER_SGPR: 6
; COMPUTE_PGM_RSRC2:TRAP_HANDLER: 0
; COMPUTE_PGM_RSRC2:TGID_X_EN: 1
; COMPUTE_PGM_RSRC2:TGID_Y_EN: 0
; COMPUTE_PGM_RSRC2:TGID_Z_EN: 0
; COMPUTE_PGM_RSRC2:TIDIG_COMP_CNT: 0
; COMPUTE_PGM_RSRC3_GFX90A:ACCUM_OFFSET: 0
; COMPUTE_PGM_RSRC3_GFX90A:TG_SPLIT: 0
	.section	.text._ZN7rocprim17ROCPRIM_400000_NS6detail17trampoline_kernelINS0_14default_configENS1_25partition_config_selectorILNS1_17partition_subalgoE1EiNS0_10empty_typeEbEEZZNS1_14partition_implILS5_1ELb0ES3_jN6thrust23THRUST_200600_302600_NS6detail15normal_iteratorINSA_10device_ptrIiEEEEPS6_NSA_18transform_iteratorI7is_evenIiESF_NSA_11use_defaultESK_EENS0_5tupleIJNSA_16discard_iteratorISK_EESF_EEENSM_IJSG_SG_EEES6_PlJS6_EEE10hipError_tPvRmT3_T4_T5_T6_T7_T9_mT8_P12ihipStream_tbDpT10_ENKUlT_T0_E_clISt17integral_constantIbLb1EES1B_EEDaS16_S17_EUlS16_E_NS1_11comp_targetILNS1_3genE2ELNS1_11target_archE906ELNS1_3gpuE6ELNS1_3repE0EEENS1_30default_config_static_selectorELNS0_4arch9wavefront6targetE1EEEvT1_,"axG",@progbits,_ZN7rocprim17ROCPRIM_400000_NS6detail17trampoline_kernelINS0_14default_configENS1_25partition_config_selectorILNS1_17partition_subalgoE1EiNS0_10empty_typeEbEEZZNS1_14partition_implILS5_1ELb0ES3_jN6thrust23THRUST_200600_302600_NS6detail15normal_iteratorINSA_10device_ptrIiEEEEPS6_NSA_18transform_iteratorI7is_evenIiESF_NSA_11use_defaultESK_EENS0_5tupleIJNSA_16discard_iteratorISK_EESF_EEENSM_IJSG_SG_EEES6_PlJS6_EEE10hipError_tPvRmT3_T4_T5_T6_T7_T9_mT8_P12ihipStream_tbDpT10_ENKUlT_T0_E_clISt17integral_constantIbLb1EES1B_EEDaS16_S17_EUlS16_E_NS1_11comp_targetILNS1_3genE2ELNS1_11target_archE906ELNS1_3gpuE6ELNS1_3repE0EEENS1_30default_config_static_selectorELNS0_4arch9wavefront6targetE1EEEvT1_,comdat
	.protected	_ZN7rocprim17ROCPRIM_400000_NS6detail17trampoline_kernelINS0_14default_configENS1_25partition_config_selectorILNS1_17partition_subalgoE1EiNS0_10empty_typeEbEEZZNS1_14partition_implILS5_1ELb0ES3_jN6thrust23THRUST_200600_302600_NS6detail15normal_iteratorINSA_10device_ptrIiEEEEPS6_NSA_18transform_iteratorI7is_evenIiESF_NSA_11use_defaultESK_EENS0_5tupleIJNSA_16discard_iteratorISK_EESF_EEENSM_IJSG_SG_EEES6_PlJS6_EEE10hipError_tPvRmT3_T4_T5_T6_T7_T9_mT8_P12ihipStream_tbDpT10_ENKUlT_T0_E_clISt17integral_constantIbLb1EES1B_EEDaS16_S17_EUlS16_E_NS1_11comp_targetILNS1_3genE2ELNS1_11target_archE906ELNS1_3gpuE6ELNS1_3repE0EEENS1_30default_config_static_selectorELNS0_4arch9wavefront6targetE1EEEvT1_ ; -- Begin function _ZN7rocprim17ROCPRIM_400000_NS6detail17trampoline_kernelINS0_14default_configENS1_25partition_config_selectorILNS1_17partition_subalgoE1EiNS0_10empty_typeEbEEZZNS1_14partition_implILS5_1ELb0ES3_jN6thrust23THRUST_200600_302600_NS6detail15normal_iteratorINSA_10device_ptrIiEEEEPS6_NSA_18transform_iteratorI7is_evenIiESF_NSA_11use_defaultESK_EENS0_5tupleIJNSA_16discard_iteratorISK_EESF_EEENSM_IJSG_SG_EEES6_PlJS6_EEE10hipError_tPvRmT3_T4_T5_T6_T7_T9_mT8_P12ihipStream_tbDpT10_ENKUlT_T0_E_clISt17integral_constantIbLb1EES1B_EEDaS16_S17_EUlS16_E_NS1_11comp_targetILNS1_3genE2ELNS1_11target_archE906ELNS1_3gpuE6ELNS1_3repE0EEENS1_30default_config_static_selectorELNS0_4arch9wavefront6targetE1EEEvT1_
	.globl	_ZN7rocprim17ROCPRIM_400000_NS6detail17trampoline_kernelINS0_14default_configENS1_25partition_config_selectorILNS1_17partition_subalgoE1EiNS0_10empty_typeEbEEZZNS1_14partition_implILS5_1ELb0ES3_jN6thrust23THRUST_200600_302600_NS6detail15normal_iteratorINSA_10device_ptrIiEEEEPS6_NSA_18transform_iteratorI7is_evenIiESF_NSA_11use_defaultESK_EENS0_5tupleIJNSA_16discard_iteratorISK_EESF_EEENSM_IJSG_SG_EEES6_PlJS6_EEE10hipError_tPvRmT3_T4_T5_T6_T7_T9_mT8_P12ihipStream_tbDpT10_ENKUlT_T0_E_clISt17integral_constantIbLb1EES1B_EEDaS16_S17_EUlS16_E_NS1_11comp_targetILNS1_3genE2ELNS1_11target_archE906ELNS1_3gpuE6ELNS1_3repE0EEENS1_30default_config_static_selectorELNS0_4arch9wavefront6targetE1EEEvT1_
	.p2align	8
	.type	_ZN7rocprim17ROCPRIM_400000_NS6detail17trampoline_kernelINS0_14default_configENS1_25partition_config_selectorILNS1_17partition_subalgoE1EiNS0_10empty_typeEbEEZZNS1_14partition_implILS5_1ELb0ES3_jN6thrust23THRUST_200600_302600_NS6detail15normal_iteratorINSA_10device_ptrIiEEEEPS6_NSA_18transform_iteratorI7is_evenIiESF_NSA_11use_defaultESK_EENS0_5tupleIJNSA_16discard_iteratorISK_EESF_EEENSM_IJSG_SG_EEES6_PlJS6_EEE10hipError_tPvRmT3_T4_T5_T6_T7_T9_mT8_P12ihipStream_tbDpT10_ENKUlT_T0_E_clISt17integral_constantIbLb1EES1B_EEDaS16_S17_EUlS16_E_NS1_11comp_targetILNS1_3genE2ELNS1_11target_archE906ELNS1_3gpuE6ELNS1_3repE0EEENS1_30default_config_static_selectorELNS0_4arch9wavefront6targetE1EEEvT1_,@function
_ZN7rocprim17ROCPRIM_400000_NS6detail17trampoline_kernelINS0_14default_configENS1_25partition_config_selectorILNS1_17partition_subalgoE1EiNS0_10empty_typeEbEEZZNS1_14partition_implILS5_1ELb0ES3_jN6thrust23THRUST_200600_302600_NS6detail15normal_iteratorINSA_10device_ptrIiEEEEPS6_NSA_18transform_iteratorI7is_evenIiESF_NSA_11use_defaultESK_EENS0_5tupleIJNSA_16discard_iteratorISK_EESF_EEENSM_IJSG_SG_EEES6_PlJS6_EEE10hipError_tPvRmT3_T4_T5_T6_T7_T9_mT8_P12ihipStream_tbDpT10_ENKUlT_T0_E_clISt17integral_constantIbLb1EES1B_EEDaS16_S17_EUlS16_E_NS1_11comp_targetILNS1_3genE2ELNS1_11target_archE906ELNS1_3gpuE6ELNS1_3repE0EEENS1_30default_config_static_selectorELNS0_4arch9wavefront6targetE1EEEvT1_: ; @_ZN7rocprim17ROCPRIM_400000_NS6detail17trampoline_kernelINS0_14default_configENS1_25partition_config_selectorILNS1_17partition_subalgoE1EiNS0_10empty_typeEbEEZZNS1_14partition_implILS5_1ELb0ES3_jN6thrust23THRUST_200600_302600_NS6detail15normal_iteratorINSA_10device_ptrIiEEEEPS6_NSA_18transform_iteratorI7is_evenIiESF_NSA_11use_defaultESK_EENS0_5tupleIJNSA_16discard_iteratorISK_EESF_EEENSM_IJSG_SG_EEES6_PlJS6_EEE10hipError_tPvRmT3_T4_T5_T6_T7_T9_mT8_P12ihipStream_tbDpT10_ENKUlT_T0_E_clISt17integral_constantIbLb1EES1B_EEDaS16_S17_EUlS16_E_NS1_11comp_targetILNS1_3genE2ELNS1_11target_archE906ELNS1_3gpuE6ELNS1_3repE0EEENS1_30default_config_static_selectorELNS0_4arch9wavefront6targetE1EEEvT1_
; %bb.0:
	.section	.rodata,"a",@progbits
	.p2align	6, 0x0
	.amdhsa_kernel _ZN7rocprim17ROCPRIM_400000_NS6detail17trampoline_kernelINS0_14default_configENS1_25partition_config_selectorILNS1_17partition_subalgoE1EiNS0_10empty_typeEbEEZZNS1_14partition_implILS5_1ELb0ES3_jN6thrust23THRUST_200600_302600_NS6detail15normal_iteratorINSA_10device_ptrIiEEEEPS6_NSA_18transform_iteratorI7is_evenIiESF_NSA_11use_defaultESK_EENS0_5tupleIJNSA_16discard_iteratorISK_EESF_EEENSM_IJSG_SG_EEES6_PlJS6_EEE10hipError_tPvRmT3_T4_T5_T6_T7_T9_mT8_P12ihipStream_tbDpT10_ENKUlT_T0_E_clISt17integral_constantIbLb1EES1B_EEDaS16_S17_EUlS16_E_NS1_11comp_targetILNS1_3genE2ELNS1_11target_archE906ELNS1_3gpuE6ELNS1_3repE0EEENS1_30default_config_static_selectorELNS0_4arch9wavefront6targetE1EEEvT1_
		.amdhsa_group_segment_fixed_size 0
		.amdhsa_private_segment_fixed_size 0
		.amdhsa_kernarg_size 152
		.amdhsa_user_sgpr_count 6
		.amdhsa_user_sgpr_private_segment_buffer 1
		.amdhsa_user_sgpr_dispatch_ptr 0
		.amdhsa_user_sgpr_queue_ptr 0
		.amdhsa_user_sgpr_kernarg_segment_ptr 1
		.amdhsa_user_sgpr_dispatch_id 0
		.amdhsa_user_sgpr_flat_scratch_init 0
		.amdhsa_user_sgpr_kernarg_preload_length 0
		.amdhsa_user_sgpr_kernarg_preload_offset 0
		.amdhsa_user_sgpr_private_segment_size 0
		.amdhsa_uses_dynamic_stack 0
		.amdhsa_system_sgpr_private_segment_wavefront_offset 0
		.amdhsa_system_sgpr_workgroup_id_x 1
		.amdhsa_system_sgpr_workgroup_id_y 0
		.amdhsa_system_sgpr_workgroup_id_z 0
		.amdhsa_system_sgpr_workgroup_info 0
		.amdhsa_system_vgpr_workitem_id 0
		.amdhsa_next_free_vgpr 1
		.amdhsa_next_free_sgpr 0
		.amdhsa_accum_offset 4
		.amdhsa_reserve_vcc 0
		.amdhsa_reserve_flat_scratch 0
		.amdhsa_float_round_mode_32 0
		.amdhsa_float_round_mode_16_64 0
		.amdhsa_float_denorm_mode_32 3
		.amdhsa_float_denorm_mode_16_64 3
		.amdhsa_dx10_clamp 1
		.amdhsa_ieee_mode 1
		.amdhsa_fp16_overflow 0
		.amdhsa_tg_split 0
		.amdhsa_exception_fp_ieee_invalid_op 0
		.amdhsa_exception_fp_denorm_src 0
		.amdhsa_exception_fp_ieee_div_zero 0
		.amdhsa_exception_fp_ieee_overflow 0
		.amdhsa_exception_fp_ieee_underflow 0
		.amdhsa_exception_fp_ieee_inexact 0
		.amdhsa_exception_int_div_zero 0
	.end_amdhsa_kernel
	.section	.text._ZN7rocprim17ROCPRIM_400000_NS6detail17trampoline_kernelINS0_14default_configENS1_25partition_config_selectorILNS1_17partition_subalgoE1EiNS0_10empty_typeEbEEZZNS1_14partition_implILS5_1ELb0ES3_jN6thrust23THRUST_200600_302600_NS6detail15normal_iteratorINSA_10device_ptrIiEEEEPS6_NSA_18transform_iteratorI7is_evenIiESF_NSA_11use_defaultESK_EENS0_5tupleIJNSA_16discard_iteratorISK_EESF_EEENSM_IJSG_SG_EEES6_PlJS6_EEE10hipError_tPvRmT3_T4_T5_T6_T7_T9_mT8_P12ihipStream_tbDpT10_ENKUlT_T0_E_clISt17integral_constantIbLb1EES1B_EEDaS16_S17_EUlS16_E_NS1_11comp_targetILNS1_3genE2ELNS1_11target_archE906ELNS1_3gpuE6ELNS1_3repE0EEENS1_30default_config_static_selectorELNS0_4arch9wavefront6targetE1EEEvT1_,"axG",@progbits,_ZN7rocprim17ROCPRIM_400000_NS6detail17trampoline_kernelINS0_14default_configENS1_25partition_config_selectorILNS1_17partition_subalgoE1EiNS0_10empty_typeEbEEZZNS1_14partition_implILS5_1ELb0ES3_jN6thrust23THRUST_200600_302600_NS6detail15normal_iteratorINSA_10device_ptrIiEEEEPS6_NSA_18transform_iteratorI7is_evenIiESF_NSA_11use_defaultESK_EENS0_5tupleIJNSA_16discard_iteratorISK_EESF_EEENSM_IJSG_SG_EEES6_PlJS6_EEE10hipError_tPvRmT3_T4_T5_T6_T7_T9_mT8_P12ihipStream_tbDpT10_ENKUlT_T0_E_clISt17integral_constantIbLb1EES1B_EEDaS16_S17_EUlS16_E_NS1_11comp_targetILNS1_3genE2ELNS1_11target_archE906ELNS1_3gpuE6ELNS1_3repE0EEENS1_30default_config_static_selectorELNS0_4arch9wavefront6targetE1EEEvT1_,comdat
.Lfunc_end3335:
	.size	_ZN7rocprim17ROCPRIM_400000_NS6detail17trampoline_kernelINS0_14default_configENS1_25partition_config_selectorILNS1_17partition_subalgoE1EiNS0_10empty_typeEbEEZZNS1_14partition_implILS5_1ELb0ES3_jN6thrust23THRUST_200600_302600_NS6detail15normal_iteratorINSA_10device_ptrIiEEEEPS6_NSA_18transform_iteratorI7is_evenIiESF_NSA_11use_defaultESK_EENS0_5tupleIJNSA_16discard_iteratorISK_EESF_EEENSM_IJSG_SG_EEES6_PlJS6_EEE10hipError_tPvRmT3_T4_T5_T6_T7_T9_mT8_P12ihipStream_tbDpT10_ENKUlT_T0_E_clISt17integral_constantIbLb1EES1B_EEDaS16_S17_EUlS16_E_NS1_11comp_targetILNS1_3genE2ELNS1_11target_archE906ELNS1_3gpuE6ELNS1_3repE0EEENS1_30default_config_static_selectorELNS0_4arch9wavefront6targetE1EEEvT1_, .Lfunc_end3335-_ZN7rocprim17ROCPRIM_400000_NS6detail17trampoline_kernelINS0_14default_configENS1_25partition_config_selectorILNS1_17partition_subalgoE1EiNS0_10empty_typeEbEEZZNS1_14partition_implILS5_1ELb0ES3_jN6thrust23THRUST_200600_302600_NS6detail15normal_iteratorINSA_10device_ptrIiEEEEPS6_NSA_18transform_iteratorI7is_evenIiESF_NSA_11use_defaultESK_EENS0_5tupleIJNSA_16discard_iteratorISK_EESF_EEENSM_IJSG_SG_EEES6_PlJS6_EEE10hipError_tPvRmT3_T4_T5_T6_T7_T9_mT8_P12ihipStream_tbDpT10_ENKUlT_T0_E_clISt17integral_constantIbLb1EES1B_EEDaS16_S17_EUlS16_E_NS1_11comp_targetILNS1_3genE2ELNS1_11target_archE906ELNS1_3gpuE6ELNS1_3repE0EEENS1_30default_config_static_selectorELNS0_4arch9wavefront6targetE1EEEvT1_
                                        ; -- End function
	.section	.AMDGPU.csdata,"",@progbits
; Kernel info:
; codeLenInByte = 0
; NumSgprs: 4
; NumVgprs: 0
; NumAgprs: 0
; TotalNumVgprs: 0
; ScratchSize: 0
; MemoryBound: 0
; FloatMode: 240
; IeeeMode: 1
; LDSByteSize: 0 bytes/workgroup (compile time only)
; SGPRBlocks: 0
; VGPRBlocks: 0
; NumSGPRsForWavesPerEU: 4
; NumVGPRsForWavesPerEU: 1
; AccumOffset: 4
; Occupancy: 8
; WaveLimiterHint : 0
; COMPUTE_PGM_RSRC2:SCRATCH_EN: 0
; COMPUTE_PGM_RSRC2:USER_SGPR: 6
; COMPUTE_PGM_RSRC2:TRAP_HANDLER: 0
; COMPUTE_PGM_RSRC2:TGID_X_EN: 1
; COMPUTE_PGM_RSRC2:TGID_Y_EN: 0
; COMPUTE_PGM_RSRC2:TGID_Z_EN: 0
; COMPUTE_PGM_RSRC2:TIDIG_COMP_CNT: 0
; COMPUTE_PGM_RSRC3_GFX90A:ACCUM_OFFSET: 0
; COMPUTE_PGM_RSRC3_GFX90A:TG_SPLIT: 0
	.section	.text._ZN7rocprim17ROCPRIM_400000_NS6detail17trampoline_kernelINS0_14default_configENS1_25partition_config_selectorILNS1_17partition_subalgoE1EiNS0_10empty_typeEbEEZZNS1_14partition_implILS5_1ELb0ES3_jN6thrust23THRUST_200600_302600_NS6detail15normal_iteratorINSA_10device_ptrIiEEEEPS6_NSA_18transform_iteratorI7is_evenIiESF_NSA_11use_defaultESK_EENS0_5tupleIJNSA_16discard_iteratorISK_EESF_EEENSM_IJSG_SG_EEES6_PlJS6_EEE10hipError_tPvRmT3_T4_T5_T6_T7_T9_mT8_P12ihipStream_tbDpT10_ENKUlT_T0_E_clISt17integral_constantIbLb1EES1B_EEDaS16_S17_EUlS16_E_NS1_11comp_targetILNS1_3genE10ELNS1_11target_archE1200ELNS1_3gpuE4ELNS1_3repE0EEENS1_30default_config_static_selectorELNS0_4arch9wavefront6targetE1EEEvT1_,"axG",@progbits,_ZN7rocprim17ROCPRIM_400000_NS6detail17trampoline_kernelINS0_14default_configENS1_25partition_config_selectorILNS1_17partition_subalgoE1EiNS0_10empty_typeEbEEZZNS1_14partition_implILS5_1ELb0ES3_jN6thrust23THRUST_200600_302600_NS6detail15normal_iteratorINSA_10device_ptrIiEEEEPS6_NSA_18transform_iteratorI7is_evenIiESF_NSA_11use_defaultESK_EENS0_5tupleIJNSA_16discard_iteratorISK_EESF_EEENSM_IJSG_SG_EEES6_PlJS6_EEE10hipError_tPvRmT3_T4_T5_T6_T7_T9_mT8_P12ihipStream_tbDpT10_ENKUlT_T0_E_clISt17integral_constantIbLb1EES1B_EEDaS16_S17_EUlS16_E_NS1_11comp_targetILNS1_3genE10ELNS1_11target_archE1200ELNS1_3gpuE4ELNS1_3repE0EEENS1_30default_config_static_selectorELNS0_4arch9wavefront6targetE1EEEvT1_,comdat
	.protected	_ZN7rocprim17ROCPRIM_400000_NS6detail17trampoline_kernelINS0_14default_configENS1_25partition_config_selectorILNS1_17partition_subalgoE1EiNS0_10empty_typeEbEEZZNS1_14partition_implILS5_1ELb0ES3_jN6thrust23THRUST_200600_302600_NS6detail15normal_iteratorINSA_10device_ptrIiEEEEPS6_NSA_18transform_iteratorI7is_evenIiESF_NSA_11use_defaultESK_EENS0_5tupleIJNSA_16discard_iteratorISK_EESF_EEENSM_IJSG_SG_EEES6_PlJS6_EEE10hipError_tPvRmT3_T4_T5_T6_T7_T9_mT8_P12ihipStream_tbDpT10_ENKUlT_T0_E_clISt17integral_constantIbLb1EES1B_EEDaS16_S17_EUlS16_E_NS1_11comp_targetILNS1_3genE10ELNS1_11target_archE1200ELNS1_3gpuE4ELNS1_3repE0EEENS1_30default_config_static_selectorELNS0_4arch9wavefront6targetE1EEEvT1_ ; -- Begin function _ZN7rocprim17ROCPRIM_400000_NS6detail17trampoline_kernelINS0_14default_configENS1_25partition_config_selectorILNS1_17partition_subalgoE1EiNS0_10empty_typeEbEEZZNS1_14partition_implILS5_1ELb0ES3_jN6thrust23THRUST_200600_302600_NS6detail15normal_iteratorINSA_10device_ptrIiEEEEPS6_NSA_18transform_iteratorI7is_evenIiESF_NSA_11use_defaultESK_EENS0_5tupleIJNSA_16discard_iteratorISK_EESF_EEENSM_IJSG_SG_EEES6_PlJS6_EEE10hipError_tPvRmT3_T4_T5_T6_T7_T9_mT8_P12ihipStream_tbDpT10_ENKUlT_T0_E_clISt17integral_constantIbLb1EES1B_EEDaS16_S17_EUlS16_E_NS1_11comp_targetILNS1_3genE10ELNS1_11target_archE1200ELNS1_3gpuE4ELNS1_3repE0EEENS1_30default_config_static_selectorELNS0_4arch9wavefront6targetE1EEEvT1_
	.globl	_ZN7rocprim17ROCPRIM_400000_NS6detail17trampoline_kernelINS0_14default_configENS1_25partition_config_selectorILNS1_17partition_subalgoE1EiNS0_10empty_typeEbEEZZNS1_14partition_implILS5_1ELb0ES3_jN6thrust23THRUST_200600_302600_NS6detail15normal_iteratorINSA_10device_ptrIiEEEEPS6_NSA_18transform_iteratorI7is_evenIiESF_NSA_11use_defaultESK_EENS0_5tupleIJNSA_16discard_iteratorISK_EESF_EEENSM_IJSG_SG_EEES6_PlJS6_EEE10hipError_tPvRmT3_T4_T5_T6_T7_T9_mT8_P12ihipStream_tbDpT10_ENKUlT_T0_E_clISt17integral_constantIbLb1EES1B_EEDaS16_S17_EUlS16_E_NS1_11comp_targetILNS1_3genE10ELNS1_11target_archE1200ELNS1_3gpuE4ELNS1_3repE0EEENS1_30default_config_static_selectorELNS0_4arch9wavefront6targetE1EEEvT1_
	.p2align	8
	.type	_ZN7rocprim17ROCPRIM_400000_NS6detail17trampoline_kernelINS0_14default_configENS1_25partition_config_selectorILNS1_17partition_subalgoE1EiNS0_10empty_typeEbEEZZNS1_14partition_implILS5_1ELb0ES3_jN6thrust23THRUST_200600_302600_NS6detail15normal_iteratorINSA_10device_ptrIiEEEEPS6_NSA_18transform_iteratorI7is_evenIiESF_NSA_11use_defaultESK_EENS0_5tupleIJNSA_16discard_iteratorISK_EESF_EEENSM_IJSG_SG_EEES6_PlJS6_EEE10hipError_tPvRmT3_T4_T5_T6_T7_T9_mT8_P12ihipStream_tbDpT10_ENKUlT_T0_E_clISt17integral_constantIbLb1EES1B_EEDaS16_S17_EUlS16_E_NS1_11comp_targetILNS1_3genE10ELNS1_11target_archE1200ELNS1_3gpuE4ELNS1_3repE0EEENS1_30default_config_static_selectorELNS0_4arch9wavefront6targetE1EEEvT1_,@function
_ZN7rocprim17ROCPRIM_400000_NS6detail17trampoline_kernelINS0_14default_configENS1_25partition_config_selectorILNS1_17partition_subalgoE1EiNS0_10empty_typeEbEEZZNS1_14partition_implILS5_1ELb0ES3_jN6thrust23THRUST_200600_302600_NS6detail15normal_iteratorINSA_10device_ptrIiEEEEPS6_NSA_18transform_iteratorI7is_evenIiESF_NSA_11use_defaultESK_EENS0_5tupleIJNSA_16discard_iteratorISK_EESF_EEENSM_IJSG_SG_EEES6_PlJS6_EEE10hipError_tPvRmT3_T4_T5_T6_T7_T9_mT8_P12ihipStream_tbDpT10_ENKUlT_T0_E_clISt17integral_constantIbLb1EES1B_EEDaS16_S17_EUlS16_E_NS1_11comp_targetILNS1_3genE10ELNS1_11target_archE1200ELNS1_3gpuE4ELNS1_3repE0EEENS1_30default_config_static_selectorELNS0_4arch9wavefront6targetE1EEEvT1_: ; @_ZN7rocprim17ROCPRIM_400000_NS6detail17trampoline_kernelINS0_14default_configENS1_25partition_config_selectorILNS1_17partition_subalgoE1EiNS0_10empty_typeEbEEZZNS1_14partition_implILS5_1ELb0ES3_jN6thrust23THRUST_200600_302600_NS6detail15normal_iteratorINSA_10device_ptrIiEEEEPS6_NSA_18transform_iteratorI7is_evenIiESF_NSA_11use_defaultESK_EENS0_5tupleIJNSA_16discard_iteratorISK_EESF_EEENSM_IJSG_SG_EEES6_PlJS6_EEE10hipError_tPvRmT3_T4_T5_T6_T7_T9_mT8_P12ihipStream_tbDpT10_ENKUlT_T0_E_clISt17integral_constantIbLb1EES1B_EEDaS16_S17_EUlS16_E_NS1_11comp_targetILNS1_3genE10ELNS1_11target_archE1200ELNS1_3gpuE4ELNS1_3repE0EEENS1_30default_config_static_selectorELNS0_4arch9wavefront6targetE1EEEvT1_
; %bb.0:
	.section	.rodata,"a",@progbits
	.p2align	6, 0x0
	.amdhsa_kernel _ZN7rocprim17ROCPRIM_400000_NS6detail17trampoline_kernelINS0_14default_configENS1_25partition_config_selectorILNS1_17partition_subalgoE1EiNS0_10empty_typeEbEEZZNS1_14partition_implILS5_1ELb0ES3_jN6thrust23THRUST_200600_302600_NS6detail15normal_iteratorINSA_10device_ptrIiEEEEPS6_NSA_18transform_iteratorI7is_evenIiESF_NSA_11use_defaultESK_EENS0_5tupleIJNSA_16discard_iteratorISK_EESF_EEENSM_IJSG_SG_EEES6_PlJS6_EEE10hipError_tPvRmT3_T4_T5_T6_T7_T9_mT8_P12ihipStream_tbDpT10_ENKUlT_T0_E_clISt17integral_constantIbLb1EES1B_EEDaS16_S17_EUlS16_E_NS1_11comp_targetILNS1_3genE10ELNS1_11target_archE1200ELNS1_3gpuE4ELNS1_3repE0EEENS1_30default_config_static_selectorELNS0_4arch9wavefront6targetE1EEEvT1_
		.amdhsa_group_segment_fixed_size 0
		.amdhsa_private_segment_fixed_size 0
		.amdhsa_kernarg_size 152
		.amdhsa_user_sgpr_count 6
		.amdhsa_user_sgpr_private_segment_buffer 1
		.amdhsa_user_sgpr_dispatch_ptr 0
		.amdhsa_user_sgpr_queue_ptr 0
		.amdhsa_user_sgpr_kernarg_segment_ptr 1
		.amdhsa_user_sgpr_dispatch_id 0
		.amdhsa_user_sgpr_flat_scratch_init 0
		.amdhsa_user_sgpr_kernarg_preload_length 0
		.amdhsa_user_sgpr_kernarg_preload_offset 0
		.amdhsa_user_sgpr_private_segment_size 0
		.amdhsa_uses_dynamic_stack 0
		.amdhsa_system_sgpr_private_segment_wavefront_offset 0
		.amdhsa_system_sgpr_workgroup_id_x 1
		.amdhsa_system_sgpr_workgroup_id_y 0
		.amdhsa_system_sgpr_workgroup_id_z 0
		.amdhsa_system_sgpr_workgroup_info 0
		.amdhsa_system_vgpr_workitem_id 0
		.amdhsa_next_free_vgpr 1
		.amdhsa_next_free_sgpr 0
		.amdhsa_accum_offset 4
		.amdhsa_reserve_vcc 0
		.amdhsa_reserve_flat_scratch 0
		.amdhsa_float_round_mode_32 0
		.amdhsa_float_round_mode_16_64 0
		.amdhsa_float_denorm_mode_32 3
		.amdhsa_float_denorm_mode_16_64 3
		.amdhsa_dx10_clamp 1
		.amdhsa_ieee_mode 1
		.amdhsa_fp16_overflow 0
		.amdhsa_tg_split 0
		.amdhsa_exception_fp_ieee_invalid_op 0
		.amdhsa_exception_fp_denorm_src 0
		.amdhsa_exception_fp_ieee_div_zero 0
		.amdhsa_exception_fp_ieee_overflow 0
		.amdhsa_exception_fp_ieee_underflow 0
		.amdhsa_exception_fp_ieee_inexact 0
		.amdhsa_exception_int_div_zero 0
	.end_amdhsa_kernel
	.section	.text._ZN7rocprim17ROCPRIM_400000_NS6detail17trampoline_kernelINS0_14default_configENS1_25partition_config_selectorILNS1_17partition_subalgoE1EiNS0_10empty_typeEbEEZZNS1_14partition_implILS5_1ELb0ES3_jN6thrust23THRUST_200600_302600_NS6detail15normal_iteratorINSA_10device_ptrIiEEEEPS6_NSA_18transform_iteratorI7is_evenIiESF_NSA_11use_defaultESK_EENS0_5tupleIJNSA_16discard_iteratorISK_EESF_EEENSM_IJSG_SG_EEES6_PlJS6_EEE10hipError_tPvRmT3_T4_T5_T6_T7_T9_mT8_P12ihipStream_tbDpT10_ENKUlT_T0_E_clISt17integral_constantIbLb1EES1B_EEDaS16_S17_EUlS16_E_NS1_11comp_targetILNS1_3genE10ELNS1_11target_archE1200ELNS1_3gpuE4ELNS1_3repE0EEENS1_30default_config_static_selectorELNS0_4arch9wavefront6targetE1EEEvT1_,"axG",@progbits,_ZN7rocprim17ROCPRIM_400000_NS6detail17trampoline_kernelINS0_14default_configENS1_25partition_config_selectorILNS1_17partition_subalgoE1EiNS0_10empty_typeEbEEZZNS1_14partition_implILS5_1ELb0ES3_jN6thrust23THRUST_200600_302600_NS6detail15normal_iteratorINSA_10device_ptrIiEEEEPS6_NSA_18transform_iteratorI7is_evenIiESF_NSA_11use_defaultESK_EENS0_5tupleIJNSA_16discard_iteratorISK_EESF_EEENSM_IJSG_SG_EEES6_PlJS6_EEE10hipError_tPvRmT3_T4_T5_T6_T7_T9_mT8_P12ihipStream_tbDpT10_ENKUlT_T0_E_clISt17integral_constantIbLb1EES1B_EEDaS16_S17_EUlS16_E_NS1_11comp_targetILNS1_3genE10ELNS1_11target_archE1200ELNS1_3gpuE4ELNS1_3repE0EEENS1_30default_config_static_selectorELNS0_4arch9wavefront6targetE1EEEvT1_,comdat
.Lfunc_end3336:
	.size	_ZN7rocprim17ROCPRIM_400000_NS6detail17trampoline_kernelINS0_14default_configENS1_25partition_config_selectorILNS1_17partition_subalgoE1EiNS0_10empty_typeEbEEZZNS1_14partition_implILS5_1ELb0ES3_jN6thrust23THRUST_200600_302600_NS6detail15normal_iteratorINSA_10device_ptrIiEEEEPS6_NSA_18transform_iteratorI7is_evenIiESF_NSA_11use_defaultESK_EENS0_5tupleIJNSA_16discard_iteratorISK_EESF_EEENSM_IJSG_SG_EEES6_PlJS6_EEE10hipError_tPvRmT3_T4_T5_T6_T7_T9_mT8_P12ihipStream_tbDpT10_ENKUlT_T0_E_clISt17integral_constantIbLb1EES1B_EEDaS16_S17_EUlS16_E_NS1_11comp_targetILNS1_3genE10ELNS1_11target_archE1200ELNS1_3gpuE4ELNS1_3repE0EEENS1_30default_config_static_selectorELNS0_4arch9wavefront6targetE1EEEvT1_, .Lfunc_end3336-_ZN7rocprim17ROCPRIM_400000_NS6detail17trampoline_kernelINS0_14default_configENS1_25partition_config_selectorILNS1_17partition_subalgoE1EiNS0_10empty_typeEbEEZZNS1_14partition_implILS5_1ELb0ES3_jN6thrust23THRUST_200600_302600_NS6detail15normal_iteratorINSA_10device_ptrIiEEEEPS6_NSA_18transform_iteratorI7is_evenIiESF_NSA_11use_defaultESK_EENS0_5tupleIJNSA_16discard_iteratorISK_EESF_EEENSM_IJSG_SG_EEES6_PlJS6_EEE10hipError_tPvRmT3_T4_T5_T6_T7_T9_mT8_P12ihipStream_tbDpT10_ENKUlT_T0_E_clISt17integral_constantIbLb1EES1B_EEDaS16_S17_EUlS16_E_NS1_11comp_targetILNS1_3genE10ELNS1_11target_archE1200ELNS1_3gpuE4ELNS1_3repE0EEENS1_30default_config_static_selectorELNS0_4arch9wavefront6targetE1EEEvT1_
                                        ; -- End function
	.section	.AMDGPU.csdata,"",@progbits
; Kernel info:
; codeLenInByte = 0
; NumSgprs: 4
; NumVgprs: 0
; NumAgprs: 0
; TotalNumVgprs: 0
; ScratchSize: 0
; MemoryBound: 0
; FloatMode: 240
; IeeeMode: 1
; LDSByteSize: 0 bytes/workgroup (compile time only)
; SGPRBlocks: 0
; VGPRBlocks: 0
; NumSGPRsForWavesPerEU: 4
; NumVGPRsForWavesPerEU: 1
; AccumOffset: 4
; Occupancy: 8
; WaveLimiterHint : 0
; COMPUTE_PGM_RSRC2:SCRATCH_EN: 0
; COMPUTE_PGM_RSRC2:USER_SGPR: 6
; COMPUTE_PGM_RSRC2:TRAP_HANDLER: 0
; COMPUTE_PGM_RSRC2:TGID_X_EN: 1
; COMPUTE_PGM_RSRC2:TGID_Y_EN: 0
; COMPUTE_PGM_RSRC2:TGID_Z_EN: 0
; COMPUTE_PGM_RSRC2:TIDIG_COMP_CNT: 0
; COMPUTE_PGM_RSRC3_GFX90A:ACCUM_OFFSET: 0
; COMPUTE_PGM_RSRC3_GFX90A:TG_SPLIT: 0
	.section	.text._ZN7rocprim17ROCPRIM_400000_NS6detail17trampoline_kernelINS0_14default_configENS1_25partition_config_selectorILNS1_17partition_subalgoE1EiNS0_10empty_typeEbEEZZNS1_14partition_implILS5_1ELb0ES3_jN6thrust23THRUST_200600_302600_NS6detail15normal_iteratorINSA_10device_ptrIiEEEEPS6_NSA_18transform_iteratorI7is_evenIiESF_NSA_11use_defaultESK_EENS0_5tupleIJNSA_16discard_iteratorISK_EESF_EEENSM_IJSG_SG_EEES6_PlJS6_EEE10hipError_tPvRmT3_T4_T5_T6_T7_T9_mT8_P12ihipStream_tbDpT10_ENKUlT_T0_E_clISt17integral_constantIbLb1EES1B_EEDaS16_S17_EUlS16_E_NS1_11comp_targetILNS1_3genE9ELNS1_11target_archE1100ELNS1_3gpuE3ELNS1_3repE0EEENS1_30default_config_static_selectorELNS0_4arch9wavefront6targetE1EEEvT1_,"axG",@progbits,_ZN7rocprim17ROCPRIM_400000_NS6detail17trampoline_kernelINS0_14default_configENS1_25partition_config_selectorILNS1_17partition_subalgoE1EiNS0_10empty_typeEbEEZZNS1_14partition_implILS5_1ELb0ES3_jN6thrust23THRUST_200600_302600_NS6detail15normal_iteratorINSA_10device_ptrIiEEEEPS6_NSA_18transform_iteratorI7is_evenIiESF_NSA_11use_defaultESK_EENS0_5tupleIJNSA_16discard_iteratorISK_EESF_EEENSM_IJSG_SG_EEES6_PlJS6_EEE10hipError_tPvRmT3_T4_T5_T6_T7_T9_mT8_P12ihipStream_tbDpT10_ENKUlT_T0_E_clISt17integral_constantIbLb1EES1B_EEDaS16_S17_EUlS16_E_NS1_11comp_targetILNS1_3genE9ELNS1_11target_archE1100ELNS1_3gpuE3ELNS1_3repE0EEENS1_30default_config_static_selectorELNS0_4arch9wavefront6targetE1EEEvT1_,comdat
	.protected	_ZN7rocprim17ROCPRIM_400000_NS6detail17trampoline_kernelINS0_14default_configENS1_25partition_config_selectorILNS1_17partition_subalgoE1EiNS0_10empty_typeEbEEZZNS1_14partition_implILS5_1ELb0ES3_jN6thrust23THRUST_200600_302600_NS6detail15normal_iteratorINSA_10device_ptrIiEEEEPS6_NSA_18transform_iteratorI7is_evenIiESF_NSA_11use_defaultESK_EENS0_5tupleIJNSA_16discard_iteratorISK_EESF_EEENSM_IJSG_SG_EEES6_PlJS6_EEE10hipError_tPvRmT3_T4_T5_T6_T7_T9_mT8_P12ihipStream_tbDpT10_ENKUlT_T0_E_clISt17integral_constantIbLb1EES1B_EEDaS16_S17_EUlS16_E_NS1_11comp_targetILNS1_3genE9ELNS1_11target_archE1100ELNS1_3gpuE3ELNS1_3repE0EEENS1_30default_config_static_selectorELNS0_4arch9wavefront6targetE1EEEvT1_ ; -- Begin function _ZN7rocprim17ROCPRIM_400000_NS6detail17trampoline_kernelINS0_14default_configENS1_25partition_config_selectorILNS1_17partition_subalgoE1EiNS0_10empty_typeEbEEZZNS1_14partition_implILS5_1ELb0ES3_jN6thrust23THRUST_200600_302600_NS6detail15normal_iteratorINSA_10device_ptrIiEEEEPS6_NSA_18transform_iteratorI7is_evenIiESF_NSA_11use_defaultESK_EENS0_5tupleIJNSA_16discard_iteratorISK_EESF_EEENSM_IJSG_SG_EEES6_PlJS6_EEE10hipError_tPvRmT3_T4_T5_T6_T7_T9_mT8_P12ihipStream_tbDpT10_ENKUlT_T0_E_clISt17integral_constantIbLb1EES1B_EEDaS16_S17_EUlS16_E_NS1_11comp_targetILNS1_3genE9ELNS1_11target_archE1100ELNS1_3gpuE3ELNS1_3repE0EEENS1_30default_config_static_selectorELNS0_4arch9wavefront6targetE1EEEvT1_
	.globl	_ZN7rocprim17ROCPRIM_400000_NS6detail17trampoline_kernelINS0_14default_configENS1_25partition_config_selectorILNS1_17partition_subalgoE1EiNS0_10empty_typeEbEEZZNS1_14partition_implILS5_1ELb0ES3_jN6thrust23THRUST_200600_302600_NS6detail15normal_iteratorINSA_10device_ptrIiEEEEPS6_NSA_18transform_iteratorI7is_evenIiESF_NSA_11use_defaultESK_EENS0_5tupleIJNSA_16discard_iteratorISK_EESF_EEENSM_IJSG_SG_EEES6_PlJS6_EEE10hipError_tPvRmT3_T4_T5_T6_T7_T9_mT8_P12ihipStream_tbDpT10_ENKUlT_T0_E_clISt17integral_constantIbLb1EES1B_EEDaS16_S17_EUlS16_E_NS1_11comp_targetILNS1_3genE9ELNS1_11target_archE1100ELNS1_3gpuE3ELNS1_3repE0EEENS1_30default_config_static_selectorELNS0_4arch9wavefront6targetE1EEEvT1_
	.p2align	8
	.type	_ZN7rocprim17ROCPRIM_400000_NS6detail17trampoline_kernelINS0_14default_configENS1_25partition_config_selectorILNS1_17partition_subalgoE1EiNS0_10empty_typeEbEEZZNS1_14partition_implILS5_1ELb0ES3_jN6thrust23THRUST_200600_302600_NS6detail15normal_iteratorINSA_10device_ptrIiEEEEPS6_NSA_18transform_iteratorI7is_evenIiESF_NSA_11use_defaultESK_EENS0_5tupleIJNSA_16discard_iteratorISK_EESF_EEENSM_IJSG_SG_EEES6_PlJS6_EEE10hipError_tPvRmT3_T4_T5_T6_T7_T9_mT8_P12ihipStream_tbDpT10_ENKUlT_T0_E_clISt17integral_constantIbLb1EES1B_EEDaS16_S17_EUlS16_E_NS1_11comp_targetILNS1_3genE9ELNS1_11target_archE1100ELNS1_3gpuE3ELNS1_3repE0EEENS1_30default_config_static_selectorELNS0_4arch9wavefront6targetE1EEEvT1_,@function
_ZN7rocprim17ROCPRIM_400000_NS6detail17trampoline_kernelINS0_14default_configENS1_25partition_config_selectorILNS1_17partition_subalgoE1EiNS0_10empty_typeEbEEZZNS1_14partition_implILS5_1ELb0ES3_jN6thrust23THRUST_200600_302600_NS6detail15normal_iteratorINSA_10device_ptrIiEEEEPS6_NSA_18transform_iteratorI7is_evenIiESF_NSA_11use_defaultESK_EENS0_5tupleIJNSA_16discard_iteratorISK_EESF_EEENSM_IJSG_SG_EEES6_PlJS6_EEE10hipError_tPvRmT3_T4_T5_T6_T7_T9_mT8_P12ihipStream_tbDpT10_ENKUlT_T0_E_clISt17integral_constantIbLb1EES1B_EEDaS16_S17_EUlS16_E_NS1_11comp_targetILNS1_3genE9ELNS1_11target_archE1100ELNS1_3gpuE3ELNS1_3repE0EEENS1_30default_config_static_selectorELNS0_4arch9wavefront6targetE1EEEvT1_: ; @_ZN7rocprim17ROCPRIM_400000_NS6detail17trampoline_kernelINS0_14default_configENS1_25partition_config_selectorILNS1_17partition_subalgoE1EiNS0_10empty_typeEbEEZZNS1_14partition_implILS5_1ELb0ES3_jN6thrust23THRUST_200600_302600_NS6detail15normal_iteratorINSA_10device_ptrIiEEEEPS6_NSA_18transform_iteratorI7is_evenIiESF_NSA_11use_defaultESK_EENS0_5tupleIJNSA_16discard_iteratorISK_EESF_EEENSM_IJSG_SG_EEES6_PlJS6_EEE10hipError_tPvRmT3_T4_T5_T6_T7_T9_mT8_P12ihipStream_tbDpT10_ENKUlT_T0_E_clISt17integral_constantIbLb1EES1B_EEDaS16_S17_EUlS16_E_NS1_11comp_targetILNS1_3genE9ELNS1_11target_archE1100ELNS1_3gpuE3ELNS1_3repE0EEENS1_30default_config_static_selectorELNS0_4arch9wavefront6targetE1EEEvT1_
; %bb.0:
	.section	.rodata,"a",@progbits
	.p2align	6, 0x0
	.amdhsa_kernel _ZN7rocprim17ROCPRIM_400000_NS6detail17trampoline_kernelINS0_14default_configENS1_25partition_config_selectorILNS1_17partition_subalgoE1EiNS0_10empty_typeEbEEZZNS1_14partition_implILS5_1ELb0ES3_jN6thrust23THRUST_200600_302600_NS6detail15normal_iteratorINSA_10device_ptrIiEEEEPS6_NSA_18transform_iteratorI7is_evenIiESF_NSA_11use_defaultESK_EENS0_5tupleIJNSA_16discard_iteratorISK_EESF_EEENSM_IJSG_SG_EEES6_PlJS6_EEE10hipError_tPvRmT3_T4_T5_T6_T7_T9_mT8_P12ihipStream_tbDpT10_ENKUlT_T0_E_clISt17integral_constantIbLb1EES1B_EEDaS16_S17_EUlS16_E_NS1_11comp_targetILNS1_3genE9ELNS1_11target_archE1100ELNS1_3gpuE3ELNS1_3repE0EEENS1_30default_config_static_selectorELNS0_4arch9wavefront6targetE1EEEvT1_
		.amdhsa_group_segment_fixed_size 0
		.amdhsa_private_segment_fixed_size 0
		.amdhsa_kernarg_size 152
		.amdhsa_user_sgpr_count 6
		.amdhsa_user_sgpr_private_segment_buffer 1
		.amdhsa_user_sgpr_dispatch_ptr 0
		.amdhsa_user_sgpr_queue_ptr 0
		.amdhsa_user_sgpr_kernarg_segment_ptr 1
		.amdhsa_user_sgpr_dispatch_id 0
		.amdhsa_user_sgpr_flat_scratch_init 0
		.amdhsa_user_sgpr_kernarg_preload_length 0
		.amdhsa_user_sgpr_kernarg_preload_offset 0
		.amdhsa_user_sgpr_private_segment_size 0
		.amdhsa_uses_dynamic_stack 0
		.amdhsa_system_sgpr_private_segment_wavefront_offset 0
		.amdhsa_system_sgpr_workgroup_id_x 1
		.amdhsa_system_sgpr_workgroup_id_y 0
		.amdhsa_system_sgpr_workgroup_id_z 0
		.amdhsa_system_sgpr_workgroup_info 0
		.amdhsa_system_vgpr_workitem_id 0
		.amdhsa_next_free_vgpr 1
		.amdhsa_next_free_sgpr 0
		.amdhsa_accum_offset 4
		.amdhsa_reserve_vcc 0
		.amdhsa_reserve_flat_scratch 0
		.amdhsa_float_round_mode_32 0
		.amdhsa_float_round_mode_16_64 0
		.amdhsa_float_denorm_mode_32 3
		.amdhsa_float_denorm_mode_16_64 3
		.amdhsa_dx10_clamp 1
		.amdhsa_ieee_mode 1
		.amdhsa_fp16_overflow 0
		.amdhsa_tg_split 0
		.amdhsa_exception_fp_ieee_invalid_op 0
		.amdhsa_exception_fp_denorm_src 0
		.amdhsa_exception_fp_ieee_div_zero 0
		.amdhsa_exception_fp_ieee_overflow 0
		.amdhsa_exception_fp_ieee_underflow 0
		.amdhsa_exception_fp_ieee_inexact 0
		.amdhsa_exception_int_div_zero 0
	.end_amdhsa_kernel
	.section	.text._ZN7rocprim17ROCPRIM_400000_NS6detail17trampoline_kernelINS0_14default_configENS1_25partition_config_selectorILNS1_17partition_subalgoE1EiNS0_10empty_typeEbEEZZNS1_14partition_implILS5_1ELb0ES3_jN6thrust23THRUST_200600_302600_NS6detail15normal_iteratorINSA_10device_ptrIiEEEEPS6_NSA_18transform_iteratorI7is_evenIiESF_NSA_11use_defaultESK_EENS0_5tupleIJNSA_16discard_iteratorISK_EESF_EEENSM_IJSG_SG_EEES6_PlJS6_EEE10hipError_tPvRmT3_T4_T5_T6_T7_T9_mT8_P12ihipStream_tbDpT10_ENKUlT_T0_E_clISt17integral_constantIbLb1EES1B_EEDaS16_S17_EUlS16_E_NS1_11comp_targetILNS1_3genE9ELNS1_11target_archE1100ELNS1_3gpuE3ELNS1_3repE0EEENS1_30default_config_static_selectorELNS0_4arch9wavefront6targetE1EEEvT1_,"axG",@progbits,_ZN7rocprim17ROCPRIM_400000_NS6detail17trampoline_kernelINS0_14default_configENS1_25partition_config_selectorILNS1_17partition_subalgoE1EiNS0_10empty_typeEbEEZZNS1_14partition_implILS5_1ELb0ES3_jN6thrust23THRUST_200600_302600_NS6detail15normal_iteratorINSA_10device_ptrIiEEEEPS6_NSA_18transform_iteratorI7is_evenIiESF_NSA_11use_defaultESK_EENS0_5tupleIJNSA_16discard_iteratorISK_EESF_EEENSM_IJSG_SG_EEES6_PlJS6_EEE10hipError_tPvRmT3_T4_T5_T6_T7_T9_mT8_P12ihipStream_tbDpT10_ENKUlT_T0_E_clISt17integral_constantIbLb1EES1B_EEDaS16_S17_EUlS16_E_NS1_11comp_targetILNS1_3genE9ELNS1_11target_archE1100ELNS1_3gpuE3ELNS1_3repE0EEENS1_30default_config_static_selectorELNS0_4arch9wavefront6targetE1EEEvT1_,comdat
.Lfunc_end3337:
	.size	_ZN7rocprim17ROCPRIM_400000_NS6detail17trampoline_kernelINS0_14default_configENS1_25partition_config_selectorILNS1_17partition_subalgoE1EiNS0_10empty_typeEbEEZZNS1_14partition_implILS5_1ELb0ES3_jN6thrust23THRUST_200600_302600_NS6detail15normal_iteratorINSA_10device_ptrIiEEEEPS6_NSA_18transform_iteratorI7is_evenIiESF_NSA_11use_defaultESK_EENS0_5tupleIJNSA_16discard_iteratorISK_EESF_EEENSM_IJSG_SG_EEES6_PlJS6_EEE10hipError_tPvRmT3_T4_T5_T6_T7_T9_mT8_P12ihipStream_tbDpT10_ENKUlT_T0_E_clISt17integral_constantIbLb1EES1B_EEDaS16_S17_EUlS16_E_NS1_11comp_targetILNS1_3genE9ELNS1_11target_archE1100ELNS1_3gpuE3ELNS1_3repE0EEENS1_30default_config_static_selectorELNS0_4arch9wavefront6targetE1EEEvT1_, .Lfunc_end3337-_ZN7rocprim17ROCPRIM_400000_NS6detail17trampoline_kernelINS0_14default_configENS1_25partition_config_selectorILNS1_17partition_subalgoE1EiNS0_10empty_typeEbEEZZNS1_14partition_implILS5_1ELb0ES3_jN6thrust23THRUST_200600_302600_NS6detail15normal_iteratorINSA_10device_ptrIiEEEEPS6_NSA_18transform_iteratorI7is_evenIiESF_NSA_11use_defaultESK_EENS0_5tupleIJNSA_16discard_iteratorISK_EESF_EEENSM_IJSG_SG_EEES6_PlJS6_EEE10hipError_tPvRmT3_T4_T5_T6_T7_T9_mT8_P12ihipStream_tbDpT10_ENKUlT_T0_E_clISt17integral_constantIbLb1EES1B_EEDaS16_S17_EUlS16_E_NS1_11comp_targetILNS1_3genE9ELNS1_11target_archE1100ELNS1_3gpuE3ELNS1_3repE0EEENS1_30default_config_static_selectorELNS0_4arch9wavefront6targetE1EEEvT1_
                                        ; -- End function
	.section	.AMDGPU.csdata,"",@progbits
; Kernel info:
; codeLenInByte = 0
; NumSgprs: 4
; NumVgprs: 0
; NumAgprs: 0
; TotalNumVgprs: 0
; ScratchSize: 0
; MemoryBound: 0
; FloatMode: 240
; IeeeMode: 1
; LDSByteSize: 0 bytes/workgroup (compile time only)
; SGPRBlocks: 0
; VGPRBlocks: 0
; NumSGPRsForWavesPerEU: 4
; NumVGPRsForWavesPerEU: 1
; AccumOffset: 4
; Occupancy: 8
; WaveLimiterHint : 0
; COMPUTE_PGM_RSRC2:SCRATCH_EN: 0
; COMPUTE_PGM_RSRC2:USER_SGPR: 6
; COMPUTE_PGM_RSRC2:TRAP_HANDLER: 0
; COMPUTE_PGM_RSRC2:TGID_X_EN: 1
; COMPUTE_PGM_RSRC2:TGID_Y_EN: 0
; COMPUTE_PGM_RSRC2:TGID_Z_EN: 0
; COMPUTE_PGM_RSRC2:TIDIG_COMP_CNT: 0
; COMPUTE_PGM_RSRC3_GFX90A:ACCUM_OFFSET: 0
; COMPUTE_PGM_RSRC3_GFX90A:TG_SPLIT: 0
	.section	.text._ZN7rocprim17ROCPRIM_400000_NS6detail17trampoline_kernelINS0_14default_configENS1_25partition_config_selectorILNS1_17partition_subalgoE1EiNS0_10empty_typeEbEEZZNS1_14partition_implILS5_1ELb0ES3_jN6thrust23THRUST_200600_302600_NS6detail15normal_iteratorINSA_10device_ptrIiEEEEPS6_NSA_18transform_iteratorI7is_evenIiESF_NSA_11use_defaultESK_EENS0_5tupleIJNSA_16discard_iteratorISK_EESF_EEENSM_IJSG_SG_EEES6_PlJS6_EEE10hipError_tPvRmT3_T4_T5_T6_T7_T9_mT8_P12ihipStream_tbDpT10_ENKUlT_T0_E_clISt17integral_constantIbLb1EES1B_EEDaS16_S17_EUlS16_E_NS1_11comp_targetILNS1_3genE8ELNS1_11target_archE1030ELNS1_3gpuE2ELNS1_3repE0EEENS1_30default_config_static_selectorELNS0_4arch9wavefront6targetE1EEEvT1_,"axG",@progbits,_ZN7rocprim17ROCPRIM_400000_NS6detail17trampoline_kernelINS0_14default_configENS1_25partition_config_selectorILNS1_17partition_subalgoE1EiNS0_10empty_typeEbEEZZNS1_14partition_implILS5_1ELb0ES3_jN6thrust23THRUST_200600_302600_NS6detail15normal_iteratorINSA_10device_ptrIiEEEEPS6_NSA_18transform_iteratorI7is_evenIiESF_NSA_11use_defaultESK_EENS0_5tupleIJNSA_16discard_iteratorISK_EESF_EEENSM_IJSG_SG_EEES6_PlJS6_EEE10hipError_tPvRmT3_T4_T5_T6_T7_T9_mT8_P12ihipStream_tbDpT10_ENKUlT_T0_E_clISt17integral_constantIbLb1EES1B_EEDaS16_S17_EUlS16_E_NS1_11comp_targetILNS1_3genE8ELNS1_11target_archE1030ELNS1_3gpuE2ELNS1_3repE0EEENS1_30default_config_static_selectorELNS0_4arch9wavefront6targetE1EEEvT1_,comdat
	.protected	_ZN7rocprim17ROCPRIM_400000_NS6detail17trampoline_kernelINS0_14default_configENS1_25partition_config_selectorILNS1_17partition_subalgoE1EiNS0_10empty_typeEbEEZZNS1_14partition_implILS5_1ELb0ES3_jN6thrust23THRUST_200600_302600_NS6detail15normal_iteratorINSA_10device_ptrIiEEEEPS6_NSA_18transform_iteratorI7is_evenIiESF_NSA_11use_defaultESK_EENS0_5tupleIJNSA_16discard_iteratorISK_EESF_EEENSM_IJSG_SG_EEES6_PlJS6_EEE10hipError_tPvRmT3_T4_T5_T6_T7_T9_mT8_P12ihipStream_tbDpT10_ENKUlT_T0_E_clISt17integral_constantIbLb1EES1B_EEDaS16_S17_EUlS16_E_NS1_11comp_targetILNS1_3genE8ELNS1_11target_archE1030ELNS1_3gpuE2ELNS1_3repE0EEENS1_30default_config_static_selectorELNS0_4arch9wavefront6targetE1EEEvT1_ ; -- Begin function _ZN7rocprim17ROCPRIM_400000_NS6detail17trampoline_kernelINS0_14default_configENS1_25partition_config_selectorILNS1_17partition_subalgoE1EiNS0_10empty_typeEbEEZZNS1_14partition_implILS5_1ELb0ES3_jN6thrust23THRUST_200600_302600_NS6detail15normal_iteratorINSA_10device_ptrIiEEEEPS6_NSA_18transform_iteratorI7is_evenIiESF_NSA_11use_defaultESK_EENS0_5tupleIJNSA_16discard_iteratorISK_EESF_EEENSM_IJSG_SG_EEES6_PlJS6_EEE10hipError_tPvRmT3_T4_T5_T6_T7_T9_mT8_P12ihipStream_tbDpT10_ENKUlT_T0_E_clISt17integral_constantIbLb1EES1B_EEDaS16_S17_EUlS16_E_NS1_11comp_targetILNS1_3genE8ELNS1_11target_archE1030ELNS1_3gpuE2ELNS1_3repE0EEENS1_30default_config_static_selectorELNS0_4arch9wavefront6targetE1EEEvT1_
	.globl	_ZN7rocprim17ROCPRIM_400000_NS6detail17trampoline_kernelINS0_14default_configENS1_25partition_config_selectorILNS1_17partition_subalgoE1EiNS0_10empty_typeEbEEZZNS1_14partition_implILS5_1ELb0ES3_jN6thrust23THRUST_200600_302600_NS6detail15normal_iteratorINSA_10device_ptrIiEEEEPS6_NSA_18transform_iteratorI7is_evenIiESF_NSA_11use_defaultESK_EENS0_5tupleIJNSA_16discard_iteratorISK_EESF_EEENSM_IJSG_SG_EEES6_PlJS6_EEE10hipError_tPvRmT3_T4_T5_T6_T7_T9_mT8_P12ihipStream_tbDpT10_ENKUlT_T0_E_clISt17integral_constantIbLb1EES1B_EEDaS16_S17_EUlS16_E_NS1_11comp_targetILNS1_3genE8ELNS1_11target_archE1030ELNS1_3gpuE2ELNS1_3repE0EEENS1_30default_config_static_selectorELNS0_4arch9wavefront6targetE1EEEvT1_
	.p2align	8
	.type	_ZN7rocprim17ROCPRIM_400000_NS6detail17trampoline_kernelINS0_14default_configENS1_25partition_config_selectorILNS1_17partition_subalgoE1EiNS0_10empty_typeEbEEZZNS1_14partition_implILS5_1ELb0ES3_jN6thrust23THRUST_200600_302600_NS6detail15normal_iteratorINSA_10device_ptrIiEEEEPS6_NSA_18transform_iteratorI7is_evenIiESF_NSA_11use_defaultESK_EENS0_5tupleIJNSA_16discard_iteratorISK_EESF_EEENSM_IJSG_SG_EEES6_PlJS6_EEE10hipError_tPvRmT3_T4_T5_T6_T7_T9_mT8_P12ihipStream_tbDpT10_ENKUlT_T0_E_clISt17integral_constantIbLb1EES1B_EEDaS16_S17_EUlS16_E_NS1_11comp_targetILNS1_3genE8ELNS1_11target_archE1030ELNS1_3gpuE2ELNS1_3repE0EEENS1_30default_config_static_selectorELNS0_4arch9wavefront6targetE1EEEvT1_,@function
_ZN7rocprim17ROCPRIM_400000_NS6detail17trampoline_kernelINS0_14default_configENS1_25partition_config_selectorILNS1_17partition_subalgoE1EiNS0_10empty_typeEbEEZZNS1_14partition_implILS5_1ELb0ES3_jN6thrust23THRUST_200600_302600_NS6detail15normal_iteratorINSA_10device_ptrIiEEEEPS6_NSA_18transform_iteratorI7is_evenIiESF_NSA_11use_defaultESK_EENS0_5tupleIJNSA_16discard_iteratorISK_EESF_EEENSM_IJSG_SG_EEES6_PlJS6_EEE10hipError_tPvRmT3_T4_T5_T6_T7_T9_mT8_P12ihipStream_tbDpT10_ENKUlT_T0_E_clISt17integral_constantIbLb1EES1B_EEDaS16_S17_EUlS16_E_NS1_11comp_targetILNS1_3genE8ELNS1_11target_archE1030ELNS1_3gpuE2ELNS1_3repE0EEENS1_30default_config_static_selectorELNS0_4arch9wavefront6targetE1EEEvT1_: ; @_ZN7rocprim17ROCPRIM_400000_NS6detail17trampoline_kernelINS0_14default_configENS1_25partition_config_selectorILNS1_17partition_subalgoE1EiNS0_10empty_typeEbEEZZNS1_14partition_implILS5_1ELb0ES3_jN6thrust23THRUST_200600_302600_NS6detail15normal_iteratorINSA_10device_ptrIiEEEEPS6_NSA_18transform_iteratorI7is_evenIiESF_NSA_11use_defaultESK_EENS0_5tupleIJNSA_16discard_iteratorISK_EESF_EEENSM_IJSG_SG_EEES6_PlJS6_EEE10hipError_tPvRmT3_T4_T5_T6_T7_T9_mT8_P12ihipStream_tbDpT10_ENKUlT_T0_E_clISt17integral_constantIbLb1EES1B_EEDaS16_S17_EUlS16_E_NS1_11comp_targetILNS1_3genE8ELNS1_11target_archE1030ELNS1_3gpuE2ELNS1_3repE0EEENS1_30default_config_static_selectorELNS0_4arch9wavefront6targetE1EEEvT1_
; %bb.0:
	.section	.rodata,"a",@progbits
	.p2align	6, 0x0
	.amdhsa_kernel _ZN7rocprim17ROCPRIM_400000_NS6detail17trampoline_kernelINS0_14default_configENS1_25partition_config_selectorILNS1_17partition_subalgoE1EiNS0_10empty_typeEbEEZZNS1_14partition_implILS5_1ELb0ES3_jN6thrust23THRUST_200600_302600_NS6detail15normal_iteratorINSA_10device_ptrIiEEEEPS6_NSA_18transform_iteratorI7is_evenIiESF_NSA_11use_defaultESK_EENS0_5tupleIJNSA_16discard_iteratorISK_EESF_EEENSM_IJSG_SG_EEES6_PlJS6_EEE10hipError_tPvRmT3_T4_T5_T6_T7_T9_mT8_P12ihipStream_tbDpT10_ENKUlT_T0_E_clISt17integral_constantIbLb1EES1B_EEDaS16_S17_EUlS16_E_NS1_11comp_targetILNS1_3genE8ELNS1_11target_archE1030ELNS1_3gpuE2ELNS1_3repE0EEENS1_30default_config_static_selectorELNS0_4arch9wavefront6targetE1EEEvT1_
		.amdhsa_group_segment_fixed_size 0
		.amdhsa_private_segment_fixed_size 0
		.amdhsa_kernarg_size 152
		.amdhsa_user_sgpr_count 6
		.amdhsa_user_sgpr_private_segment_buffer 1
		.amdhsa_user_sgpr_dispatch_ptr 0
		.amdhsa_user_sgpr_queue_ptr 0
		.amdhsa_user_sgpr_kernarg_segment_ptr 1
		.amdhsa_user_sgpr_dispatch_id 0
		.amdhsa_user_sgpr_flat_scratch_init 0
		.amdhsa_user_sgpr_kernarg_preload_length 0
		.amdhsa_user_sgpr_kernarg_preload_offset 0
		.amdhsa_user_sgpr_private_segment_size 0
		.amdhsa_uses_dynamic_stack 0
		.amdhsa_system_sgpr_private_segment_wavefront_offset 0
		.amdhsa_system_sgpr_workgroup_id_x 1
		.amdhsa_system_sgpr_workgroup_id_y 0
		.amdhsa_system_sgpr_workgroup_id_z 0
		.amdhsa_system_sgpr_workgroup_info 0
		.amdhsa_system_vgpr_workitem_id 0
		.amdhsa_next_free_vgpr 1
		.amdhsa_next_free_sgpr 0
		.amdhsa_accum_offset 4
		.amdhsa_reserve_vcc 0
		.amdhsa_reserve_flat_scratch 0
		.amdhsa_float_round_mode_32 0
		.amdhsa_float_round_mode_16_64 0
		.amdhsa_float_denorm_mode_32 3
		.amdhsa_float_denorm_mode_16_64 3
		.amdhsa_dx10_clamp 1
		.amdhsa_ieee_mode 1
		.amdhsa_fp16_overflow 0
		.amdhsa_tg_split 0
		.amdhsa_exception_fp_ieee_invalid_op 0
		.amdhsa_exception_fp_denorm_src 0
		.amdhsa_exception_fp_ieee_div_zero 0
		.amdhsa_exception_fp_ieee_overflow 0
		.amdhsa_exception_fp_ieee_underflow 0
		.amdhsa_exception_fp_ieee_inexact 0
		.amdhsa_exception_int_div_zero 0
	.end_amdhsa_kernel
	.section	.text._ZN7rocprim17ROCPRIM_400000_NS6detail17trampoline_kernelINS0_14default_configENS1_25partition_config_selectorILNS1_17partition_subalgoE1EiNS0_10empty_typeEbEEZZNS1_14partition_implILS5_1ELb0ES3_jN6thrust23THRUST_200600_302600_NS6detail15normal_iteratorINSA_10device_ptrIiEEEEPS6_NSA_18transform_iteratorI7is_evenIiESF_NSA_11use_defaultESK_EENS0_5tupleIJNSA_16discard_iteratorISK_EESF_EEENSM_IJSG_SG_EEES6_PlJS6_EEE10hipError_tPvRmT3_T4_T5_T6_T7_T9_mT8_P12ihipStream_tbDpT10_ENKUlT_T0_E_clISt17integral_constantIbLb1EES1B_EEDaS16_S17_EUlS16_E_NS1_11comp_targetILNS1_3genE8ELNS1_11target_archE1030ELNS1_3gpuE2ELNS1_3repE0EEENS1_30default_config_static_selectorELNS0_4arch9wavefront6targetE1EEEvT1_,"axG",@progbits,_ZN7rocprim17ROCPRIM_400000_NS6detail17trampoline_kernelINS0_14default_configENS1_25partition_config_selectorILNS1_17partition_subalgoE1EiNS0_10empty_typeEbEEZZNS1_14partition_implILS5_1ELb0ES3_jN6thrust23THRUST_200600_302600_NS6detail15normal_iteratorINSA_10device_ptrIiEEEEPS6_NSA_18transform_iteratorI7is_evenIiESF_NSA_11use_defaultESK_EENS0_5tupleIJNSA_16discard_iteratorISK_EESF_EEENSM_IJSG_SG_EEES6_PlJS6_EEE10hipError_tPvRmT3_T4_T5_T6_T7_T9_mT8_P12ihipStream_tbDpT10_ENKUlT_T0_E_clISt17integral_constantIbLb1EES1B_EEDaS16_S17_EUlS16_E_NS1_11comp_targetILNS1_3genE8ELNS1_11target_archE1030ELNS1_3gpuE2ELNS1_3repE0EEENS1_30default_config_static_selectorELNS0_4arch9wavefront6targetE1EEEvT1_,comdat
.Lfunc_end3338:
	.size	_ZN7rocprim17ROCPRIM_400000_NS6detail17trampoline_kernelINS0_14default_configENS1_25partition_config_selectorILNS1_17partition_subalgoE1EiNS0_10empty_typeEbEEZZNS1_14partition_implILS5_1ELb0ES3_jN6thrust23THRUST_200600_302600_NS6detail15normal_iteratorINSA_10device_ptrIiEEEEPS6_NSA_18transform_iteratorI7is_evenIiESF_NSA_11use_defaultESK_EENS0_5tupleIJNSA_16discard_iteratorISK_EESF_EEENSM_IJSG_SG_EEES6_PlJS6_EEE10hipError_tPvRmT3_T4_T5_T6_T7_T9_mT8_P12ihipStream_tbDpT10_ENKUlT_T0_E_clISt17integral_constantIbLb1EES1B_EEDaS16_S17_EUlS16_E_NS1_11comp_targetILNS1_3genE8ELNS1_11target_archE1030ELNS1_3gpuE2ELNS1_3repE0EEENS1_30default_config_static_selectorELNS0_4arch9wavefront6targetE1EEEvT1_, .Lfunc_end3338-_ZN7rocprim17ROCPRIM_400000_NS6detail17trampoline_kernelINS0_14default_configENS1_25partition_config_selectorILNS1_17partition_subalgoE1EiNS0_10empty_typeEbEEZZNS1_14partition_implILS5_1ELb0ES3_jN6thrust23THRUST_200600_302600_NS6detail15normal_iteratorINSA_10device_ptrIiEEEEPS6_NSA_18transform_iteratorI7is_evenIiESF_NSA_11use_defaultESK_EENS0_5tupleIJNSA_16discard_iteratorISK_EESF_EEENSM_IJSG_SG_EEES6_PlJS6_EEE10hipError_tPvRmT3_T4_T5_T6_T7_T9_mT8_P12ihipStream_tbDpT10_ENKUlT_T0_E_clISt17integral_constantIbLb1EES1B_EEDaS16_S17_EUlS16_E_NS1_11comp_targetILNS1_3genE8ELNS1_11target_archE1030ELNS1_3gpuE2ELNS1_3repE0EEENS1_30default_config_static_selectorELNS0_4arch9wavefront6targetE1EEEvT1_
                                        ; -- End function
	.section	.AMDGPU.csdata,"",@progbits
; Kernel info:
; codeLenInByte = 0
; NumSgprs: 4
; NumVgprs: 0
; NumAgprs: 0
; TotalNumVgprs: 0
; ScratchSize: 0
; MemoryBound: 0
; FloatMode: 240
; IeeeMode: 1
; LDSByteSize: 0 bytes/workgroup (compile time only)
; SGPRBlocks: 0
; VGPRBlocks: 0
; NumSGPRsForWavesPerEU: 4
; NumVGPRsForWavesPerEU: 1
; AccumOffset: 4
; Occupancy: 8
; WaveLimiterHint : 0
; COMPUTE_PGM_RSRC2:SCRATCH_EN: 0
; COMPUTE_PGM_RSRC2:USER_SGPR: 6
; COMPUTE_PGM_RSRC2:TRAP_HANDLER: 0
; COMPUTE_PGM_RSRC2:TGID_X_EN: 1
; COMPUTE_PGM_RSRC2:TGID_Y_EN: 0
; COMPUTE_PGM_RSRC2:TGID_Z_EN: 0
; COMPUTE_PGM_RSRC2:TIDIG_COMP_CNT: 0
; COMPUTE_PGM_RSRC3_GFX90A:ACCUM_OFFSET: 0
; COMPUTE_PGM_RSRC3_GFX90A:TG_SPLIT: 0
	.section	.text._ZN7rocprim17ROCPRIM_400000_NS6detail17trampoline_kernelINS0_14default_configENS1_25partition_config_selectorILNS1_17partition_subalgoE1EiNS0_10empty_typeEbEEZZNS1_14partition_implILS5_1ELb0ES3_jN6thrust23THRUST_200600_302600_NS6detail15normal_iteratorINSA_10device_ptrIiEEEEPS6_NSA_18transform_iteratorI7is_evenIiESF_NSA_11use_defaultESK_EENS0_5tupleIJNSA_16discard_iteratorISK_EESF_EEENSM_IJSG_SG_EEES6_PlJS6_EEE10hipError_tPvRmT3_T4_T5_T6_T7_T9_mT8_P12ihipStream_tbDpT10_ENKUlT_T0_E_clISt17integral_constantIbLb1EES1A_IbLb0EEEEDaS16_S17_EUlS16_E_NS1_11comp_targetILNS1_3genE0ELNS1_11target_archE4294967295ELNS1_3gpuE0ELNS1_3repE0EEENS1_30default_config_static_selectorELNS0_4arch9wavefront6targetE1EEEvT1_,"axG",@progbits,_ZN7rocprim17ROCPRIM_400000_NS6detail17trampoline_kernelINS0_14default_configENS1_25partition_config_selectorILNS1_17partition_subalgoE1EiNS0_10empty_typeEbEEZZNS1_14partition_implILS5_1ELb0ES3_jN6thrust23THRUST_200600_302600_NS6detail15normal_iteratorINSA_10device_ptrIiEEEEPS6_NSA_18transform_iteratorI7is_evenIiESF_NSA_11use_defaultESK_EENS0_5tupleIJNSA_16discard_iteratorISK_EESF_EEENSM_IJSG_SG_EEES6_PlJS6_EEE10hipError_tPvRmT3_T4_T5_T6_T7_T9_mT8_P12ihipStream_tbDpT10_ENKUlT_T0_E_clISt17integral_constantIbLb1EES1A_IbLb0EEEEDaS16_S17_EUlS16_E_NS1_11comp_targetILNS1_3genE0ELNS1_11target_archE4294967295ELNS1_3gpuE0ELNS1_3repE0EEENS1_30default_config_static_selectorELNS0_4arch9wavefront6targetE1EEEvT1_,comdat
	.protected	_ZN7rocprim17ROCPRIM_400000_NS6detail17trampoline_kernelINS0_14default_configENS1_25partition_config_selectorILNS1_17partition_subalgoE1EiNS0_10empty_typeEbEEZZNS1_14partition_implILS5_1ELb0ES3_jN6thrust23THRUST_200600_302600_NS6detail15normal_iteratorINSA_10device_ptrIiEEEEPS6_NSA_18transform_iteratorI7is_evenIiESF_NSA_11use_defaultESK_EENS0_5tupleIJNSA_16discard_iteratorISK_EESF_EEENSM_IJSG_SG_EEES6_PlJS6_EEE10hipError_tPvRmT3_T4_T5_T6_T7_T9_mT8_P12ihipStream_tbDpT10_ENKUlT_T0_E_clISt17integral_constantIbLb1EES1A_IbLb0EEEEDaS16_S17_EUlS16_E_NS1_11comp_targetILNS1_3genE0ELNS1_11target_archE4294967295ELNS1_3gpuE0ELNS1_3repE0EEENS1_30default_config_static_selectorELNS0_4arch9wavefront6targetE1EEEvT1_ ; -- Begin function _ZN7rocprim17ROCPRIM_400000_NS6detail17trampoline_kernelINS0_14default_configENS1_25partition_config_selectorILNS1_17partition_subalgoE1EiNS0_10empty_typeEbEEZZNS1_14partition_implILS5_1ELb0ES3_jN6thrust23THRUST_200600_302600_NS6detail15normal_iteratorINSA_10device_ptrIiEEEEPS6_NSA_18transform_iteratorI7is_evenIiESF_NSA_11use_defaultESK_EENS0_5tupleIJNSA_16discard_iteratorISK_EESF_EEENSM_IJSG_SG_EEES6_PlJS6_EEE10hipError_tPvRmT3_T4_T5_T6_T7_T9_mT8_P12ihipStream_tbDpT10_ENKUlT_T0_E_clISt17integral_constantIbLb1EES1A_IbLb0EEEEDaS16_S17_EUlS16_E_NS1_11comp_targetILNS1_3genE0ELNS1_11target_archE4294967295ELNS1_3gpuE0ELNS1_3repE0EEENS1_30default_config_static_selectorELNS0_4arch9wavefront6targetE1EEEvT1_
	.globl	_ZN7rocprim17ROCPRIM_400000_NS6detail17trampoline_kernelINS0_14default_configENS1_25partition_config_selectorILNS1_17partition_subalgoE1EiNS0_10empty_typeEbEEZZNS1_14partition_implILS5_1ELb0ES3_jN6thrust23THRUST_200600_302600_NS6detail15normal_iteratorINSA_10device_ptrIiEEEEPS6_NSA_18transform_iteratorI7is_evenIiESF_NSA_11use_defaultESK_EENS0_5tupleIJNSA_16discard_iteratorISK_EESF_EEENSM_IJSG_SG_EEES6_PlJS6_EEE10hipError_tPvRmT3_T4_T5_T6_T7_T9_mT8_P12ihipStream_tbDpT10_ENKUlT_T0_E_clISt17integral_constantIbLb1EES1A_IbLb0EEEEDaS16_S17_EUlS16_E_NS1_11comp_targetILNS1_3genE0ELNS1_11target_archE4294967295ELNS1_3gpuE0ELNS1_3repE0EEENS1_30default_config_static_selectorELNS0_4arch9wavefront6targetE1EEEvT1_
	.p2align	8
	.type	_ZN7rocprim17ROCPRIM_400000_NS6detail17trampoline_kernelINS0_14default_configENS1_25partition_config_selectorILNS1_17partition_subalgoE1EiNS0_10empty_typeEbEEZZNS1_14partition_implILS5_1ELb0ES3_jN6thrust23THRUST_200600_302600_NS6detail15normal_iteratorINSA_10device_ptrIiEEEEPS6_NSA_18transform_iteratorI7is_evenIiESF_NSA_11use_defaultESK_EENS0_5tupleIJNSA_16discard_iteratorISK_EESF_EEENSM_IJSG_SG_EEES6_PlJS6_EEE10hipError_tPvRmT3_T4_T5_T6_T7_T9_mT8_P12ihipStream_tbDpT10_ENKUlT_T0_E_clISt17integral_constantIbLb1EES1A_IbLb0EEEEDaS16_S17_EUlS16_E_NS1_11comp_targetILNS1_3genE0ELNS1_11target_archE4294967295ELNS1_3gpuE0ELNS1_3repE0EEENS1_30default_config_static_selectorELNS0_4arch9wavefront6targetE1EEEvT1_,@function
_ZN7rocprim17ROCPRIM_400000_NS6detail17trampoline_kernelINS0_14default_configENS1_25partition_config_selectorILNS1_17partition_subalgoE1EiNS0_10empty_typeEbEEZZNS1_14partition_implILS5_1ELb0ES3_jN6thrust23THRUST_200600_302600_NS6detail15normal_iteratorINSA_10device_ptrIiEEEEPS6_NSA_18transform_iteratorI7is_evenIiESF_NSA_11use_defaultESK_EENS0_5tupleIJNSA_16discard_iteratorISK_EESF_EEENSM_IJSG_SG_EEES6_PlJS6_EEE10hipError_tPvRmT3_T4_T5_T6_T7_T9_mT8_P12ihipStream_tbDpT10_ENKUlT_T0_E_clISt17integral_constantIbLb1EES1A_IbLb0EEEEDaS16_S17_EUlS16_E_NS1_11comp_targetILNS1_3genE0ELNS1_11target_archE4294967295ELNS1_3gpuE0ELNS1_3repE0EEENS1_30default_config_static_selectorELNS0_4arch9wavefront6targetE1EEEvT1_: ; @_ZN7rocprim17ROCPRIM_400000_NS6detail17trampoline_kernelINS0_14default_configENS1_25partition_config_selectorILNS1_17partition_subalgoE1EiNS0_10empty_typeEbEEZZNS1_14partition_implILS5_1ELb0ES3_jN6thrust23THRUST_200600_302600_NS6detail15normal_iteratorINSA_10device_ptrIiEEEEPS6_NSA_18transform_iteratorI7is_evenIiESF_NSA_11use_defaultESK_EENS0_5tupleIJNSA_16discard_iteratorISK_EESF_EEENSM_IJSG_SG_EEES6_PlJS6_EEE10hipError_tPvRmT3_T4_T5_T6_T7_T9_mT8_P12ihipStream_tbDpT10_ENKUlT_T0_E_clISt17integral_constantIbLb1EES1A_IbLb0EEEEDaS16_S17_EUlS16_E_NS1_11comp_targetILNS1_3genE0ELNS1_11target_archE4294967295ELNS1_3gpuE0ELNS1_3repE0EEENS1_30default_config_static_selectorELNS0_4arch9wavefront6targetE1EEEvT1_
; %bb.0:
	.section	.rodata,"a",@progbits
	.p2align	6, 0x0
	.amdhsa_kernel _ZN7rocprim17ROCPRIM_400000_NS6detail17trampoline_kernelINS0_14default_configENS1_25partition_config_selectorILNS1_17partition_subalgoE1EiNS0_10empty_typeEbEEZZNS1_14partition_implILS5_1ELb0ES3_jN6thrust23THRUST_200600_302600_NS6detail15normal_iteratorINSA_10device_ptrIiEEEEPS6_NSA_18transform_iteratorI7is_evenIiESF_NSA_11use_defaultESK_EENS0_5tupleIJNSA_16discard_iteratorISK_EESF_EEENSM_IJSG_SG_EEES6_PlJS6_EEE10hipError_tPvRmT3_T4_T5_T6_T7_T9_mT8_P12ihipStream_tbDpT10_ENKUlT_T0_E_clISt17integral_constantIbLb1EES1A_IbLb0EEEEDaS16_S17_EUlS16_E_NS1_11comp_targetILNS1_3genE0ELNS1_11target_archE4294967295ELNS1_3gpuE0ELNS1_3repE0EEENS1_30default_config_static_selectorELNS0_4arch9wavefront6targetE1EEEvT1_
		.amdhsa_group_segment_fixed_size 0
		.amdhsa_private_segment_fixed_size 0
		.amdhsa_kernarg_size 136
		.amdhsa_user_sgpr_count 6
		.amdhsa_user_sgpr_private_segment_buffer 1
		.amdhsa_user_sgpr_dispatch_ptr 0
		.amdhsa_user_sgpr_queue_ptr 0
		.amdhsa_user_sgpr_kernarg_segment_ptr 1
		.amdhsa_user_sgpr_dispatch_id 0
		.amdhsa_user_sgpr_flat_scratch_init 0
		.amdhsa_user_sgpr_kernarg_preload_length 0
		.amdhsa_user_sgpr_kernarg_preload_offset 0
		.amdhsa_user_sgpr_private_segment_size 0
		.amdhsa_uses_dynamic_stack 0
		.amdhsa_system_sgpr_private_segment_wavefront_offset 0
		.amdhsa_system_sgpr_workgroup_id_x 1
		.amdhsa_system_sgpr_workgroup_id_y 0
		.amdhsa_system_sgpr_workgroup_id_z 0
		.amdhsa_system_sgpr_workgroup_info 0
		.amdhsa_system_vgpr_workitem_id 0
		.amdhsa_next_free_vgpr 1
		.amdhsa_next_free_sgpr 0
		.amdhsa_accum_offset 4
		.amdhsa_reserve_vcc 0
		.amdhsa_reserve_flat_scratch 0
		.amdhsa_float_round_mode_32 0
		.amdhsa_float_round_mode_16_64 0
		.amdhsa_float_denorm_mode_32 3
		.amdhsa_float_denorm_mode_16_64 3
		.amdhsa_dx10_clamp 1
		.amdhsa_ieee_mode 1
		.amdhsa_fp16_overflow 0
		.amdhsa_tg_split 0
		.amdhsa_exception_fp_ieee_invalid_op 0
		.amdhsa_exception_fp_denorm_src 0
		.amdhsa_exception_fp_ieee_div_zero 0
		.amdhsa_exception_fp_ieee_overflow 0
		.amdhsa_exception_fp_ieee_underflow 0
		.amdhsa_exception_fp_ieee_inexact 0
		.amdhsa_exception_int_div_zero 0
	.end_amdhsa_kernel
	.section	.text._ZN7rocprim17ROCPRIM_400000_NS6detail17trampoline_kernelINS0_14default_configENS1_25partition_config_selectorILNS1_17partition_subalgoE1EiNS0_10empty_typeEbEEZZNS1_14partition_implILS5_1ELb0ES3_jN6thrust23THRUST_200600_302600_NS6detail15normal_iteratorINSA_10device_ptrIiEEEEPS6_NSA_18transform_iteratorI7is_evenIiESF_NSA_11use_defaultESK_EENS0_5tupleIJNSA_16discard_iteratorISK_EESF_EEENSM_IJSG_SG_EEES6_PlJS6_EEE10hipError_tPvRmT3_T4_T5_T6_T7_T9_mT8_P12ihipStream_tbDpT10_ENKUlT_T0_E_clISt17integral_constantIbLb1EES1A_IbLb0EEEEDaS16_S17_EUlS16_E_NS1_11comp_targetILNS1_3genE0ELNS1_11target_archE4294967295ELNS1_3gpuE0ELNS1_3repE0EEENS1_30default_config_static_selectorELNS0_4arch9wavefront6targetE1EEEvT1_,"axG",@progbits,_ZN7rocprim17ROCPRIM_400000_NS6detail17trampoline_kernelINS0_14default_configENS1_25partition_config_selectorILNS1_17partition_subalgoE1EiNS0_10empty_typeEbEEZZNS1_14partition_implILS5_1ELb0ES3_jN6thrust23THRUST_200600_302600_NS6detail15normal_iteratorINSA_10device_ptrIiEEEEPS6_NSA_18transform_iteratorI7is_evenIiESF_NSA_11use_defaultESK_EENS0_5tupleIJNSA_16discard_iteratorISK_EESF_EEENSM_IJSG_SG_EEES6_PlJS6_EEE10hipError_tPvRmT3_T4_T5_T6_T7_T9_mT8_P12ihipStream_tbDpT10_ENKUlT_T0_E_clISt17integral_constantIbLb1EES1A_IbLb0EEEEDaS16_S17_EUlS16_E_NS1_11comp_targetILNS1_3genE0ELNS1_11target_archE4294967295ELNS1_3gpuE0ELNS1_3repE0EEENS1_30default_config_static_selectorELNS0_4arch9wavefront6targetE1EEEvT1_,comdat
.Lfunc_end3339:
	.size	_ZN7rocprim17ROCPRIM_400000_NS6detail17trampoline_kernelINS0_14default_configENS1_25partition_config_selectorILNS1_17partition_subalgoE1EiNS0_10empty_typeEbEEZZNS1_14partition_implILS5_1ELb0ES3_jN6thrust23THRUST_200600_302600_NS6detail15normal_iteratorINSA_10device_ptrIiEEEEPS6_NSA_18transform_iteratorI7is_evenIiESF_NSA_11use_defaultESK_EENS0_5tupleIJNSA_16discard_iteratorISK_EESF_EEENSM_IJSG_SG_EEES6_PlJS6_EEE10hipError_tPvRmT3_T4_T5_T6_T7_T9_mT8_P12ihipStream_tbDpT10_ENKUlT_T0_E_clISt17integral_constantIbLb1EES1A_IbLb0EEEEDaS16_S17_EUlS16_E_NS1_11comp_targetILNS1_3genE0ELNS1_11target_archE4294967295ELNS1_3gpuE0ELNS1_3repE0EEENS1_30default_config_static_selectorELNS0_4arch9wavefront6targetE1EEEvT1_, .Lfunc_end3339-_ZN7rocprim17ROCPRIM_400000_NS6detail17trampoline_kernelINS0_14default_configENS1_25partition_config_selectorILNS1_17partition_subalgoE1EiNS0_10empty_typeEbEEZZNS1_14partition_implILS5_1ELb0ES3_jN6thrust23THRUST_200600_302600_NS6detail15normal_iteratorINSA_10device_ptrIiEEEEPS6_NSA_18transform_iteratorI7is_evenIiESF_NSA_11use_defaultESK_EENS0_5tupleIJNSA_16discard_iteratorISK_EESF_EEENSM_IJSG_SG_EEES6_PlJS6_EEE10hipError_tPvRmT3_T4_T5_T6_T7_T9_mT8_P12ihipStream_tbDpT10_ENKUlT_T0_E_clISt17integral_constantIbLb1EES1A_IbLb0EEEEDaS16_S17_EUlS16_E_NS1_11comp_targetILNS1_3genE0ELNS1_11target_archE4294967295ELNS1_3gpuE0ELNS1_3repE0EEENS1_30default_config_static_selectorELNS0_4arch9wavefront6targetE1EEEvT1_
                                        ; -- End function
	.section	.AMDGPU.csdata,"",@progbits
; Kernel info:
; codeLenInByte = 0
; NumSgprs: 4
; NumVgprs: 0
; NumAgprs: 0
; TotalNumVgprs: 0
; ScratchSize: 0
; MemoryBound: 0
; FloatMode: 240
; IeeeMode: 1
; LDSByteSize: 0 bytes/workgroup (compile time only)
; SGPRBlocks: 0
; VGPRBlocks: 0
; NumSGPRsForWavesPerEU: 4
; NumVGPRsForWavesPerEU: 1
; AccumOffset: 4
; Occupancy: 8
; WaveLimiterHint : 0
; COMPUTE_PGM_RSRC2:SCRATCH_EN: 0
; COMPUTE_PGM_RSRC2:USER_SGPR: 6
; COMPUTE_PGM_RSRC2:TRAP_HANDLER: 0
; COMPUTE_PGM_RSRC2:TGID_X_EN: 1
; COMPUTE_PGM_RSRC2:TGID_Y_EN: 0
; COMPUTE_PGM_RSRC2:TGID_Z_EN: 0
; COMPUTE_PGM_RSRC2:TIDIG_COMP_CNT: 0
; COMPUTE_PGM_RSRC3_GFX90A:ACCUM_OFFSET: 0
; COMPUTE_PGM_RSRC3_GFX90A:TG_SPLIT: 0
	.section	.text._ZN7rocprim17ROCPRIM_400000_NS6detail17trampoline_kernelINS0_14default_configENS1_25partition_config_selectorILNS1_17partition_subalgoE1EiNS0_10empty_typeEbEEZZNS1_14partition_implILS5_1ELb0ES3_jN6thrust23THRUST_200600_302600_NS6detail15normal_iteratorINSA_10device_ptrIiEEEEPS6_NSA_18transform_iteratorI7is_evenIiESF_NSA_11use_defaultESK_EENS0_5tupleIJNSA_16discard_iteratorISK_EESF_EEENSM_IJSG_SG_EEES6_PlJS6_EEE10hipError_tPvRmT3_T4_T5_T6_T7_T9_mT8_P12ihipStream_tbDpT10_ENKUlT_T0_E_clISt17integral_constantIbLb1EES1A_IbLb0EEEEDaS16_S17_EUlS16_E_NS1_11comp_targetILNS1_3genE5ELNS1_11target_archE942ELNS1_3gpuE9ELNS1_3repE0EEENS1_30default_config_static_selectorELNS0_4arch9wavefront6targetE1EEEvT1_,"axG",@progbits,_ZN7rocprim17ROCPRIM_400000_NS6detail17trampoline_kernelINS0_14default_configENS1_25partition_config_selectorILNS1_17partition_subalgoE1EiNS0_10empty_typeEbEEZZNS1_14partition_implILS5_1ELb0ES3_jN6thrust23THRUST_200600_302600_NS6detail15normal_iteratorINSA_10device_ptrIiEEEEPS6_NSA_18transform_iteratorI7is_evenIiESF_NSA_11use_defaultESK_EENS0_5tupleIJNSA_16discard_iteratorISK_EESF_EEENSM_IJSG_SG_EEES6_PlJS6_EEE10hipError_tPvRmT3_T4_T5_T6_T7_T9_mT8_P12ihipStream_tbDpT10_ENKUlT_T0_E_clISt17integral_constantIbLb1EES1A_IbLb0EEEEDaS16_S17_EUlS16_E_NS1_11comp_targetILNS1_3genE5ELNS1_11target_archE942ELNS1_3gpuE9ELNS1_3repE0EEENS1_30default_config_static_selectorELNS0_4arch9wavefront6targetE1EEEvT1_,comdat
	.protected	_ZN7rocprim17ROCPRIM_400000_NS6detail17trampoline_kernelINS0_14default_configENS1_25partition_config_selectorILNS1_17partition_subalgoE1EiNS0_10empty_typeEbEEZZNS1_14partition_implILS5_1ELb0ES3_jN6thrust23THRUST_200600_302600_NS6detail15normal_iteratorINSA_10device_ptrIiEEEEPS6_NSA_18transform_iteratorI7is_evenIiESF_NSA_11use_defaultESK_EENS0_5tupleIJNSA_16discard_iteratorISK_EESF_EEENSM_IJSG_SG_EEES6_PlJS6_EEE10hipError_tPvRmT3_T4_T5_T6_T7_T9_mT8_P12ihipStream_tbDpT10_ENKUlT_T0_E_clISt17integral_constantIbLb1EES1A_IbLb0EEEEDaS16_S17_EUlS16_E_NS1_11comp_targetILNS1_3genE5ELNS1_11target_archE942ELNS1_3gpuE9ELNS1_3repE0EEENS1_30default_config_static_selectorELNS0_4arch9wavefront6targetE1EEEvT1_ ; -- Begin function _ZN7rocprim17ROCPRIM_400000_NS6detail17trampoline_kernelINS0_14default_configENS1_25partition_config_selectorILNS1_17partition_subalgoE1EiNS0_10empty_typeEbEEZZNS1_14partition_implILS5_1ELb0ES3_jN6thrust23THRUST_200600_302600_NS6detail15normal_iteratorINSA_10device_ptrIiEEEEPS6_NSA_18transform_iteratorI7is_evenIiESF_NSA_11use_defaultESK_EENS0_5tupleIJNSA_16discard_iteratorISK_EESF_EEENSM_IJSG_SG_EEES6_PlJS6_EEE10hipError_tPvRmT3_T4_T5_T6_T7_T9_mT8_P12ihipStream_tbDpT10_ENKUlT_T0_E_clISt17integral_constantIbLb1EES1A_IbLb0EEEEDaS16_S17_EUlS16_E_NS1_11comp_targetILNS1_3genE5ELNS1_11target_archE942ELNS1_3gpuE9ELNS1_3repE0EEENS1_30default_config_static_selectorELNS0_4arch9wavefront6targetE1EEEvT1_
	.globl	_ZN7rocprim17ROCPRIM_400000_NS6detail17trampoline_kernelINS0_14default_configENS1_25partition_config_selectorILNS1_17partition_subalgoE1EiNS0_10empty_typeEbEEZZNS1_14partition_implILS5_1ELb0ES3_jN6thrust23THRUST_200600_302600_NS6detail15normal_iteratorINSA_10device_ptrIiEEEEPS6_NSA_18transform_iteratorI7is_evenIiESF_NSA_11use_defaultESK_EENS0_5tupleIJNSA_16discard_iteratorISK_EESF_EEENSM_IJSG_SG_EEES6_PlJS6_EEE10hipError_tPvRmT3_T4_T5_T6_T7_T9_mT8_P12ihipStream_tbDpT10_ENKUlT_T0_E_clISt17integral_constantIbLb1EES1A_IbLb0EEEEDaS16_S17_EUlS16_E_NS1_11comp_targetILNS1_3genE5ELNS1_11target_archE942ELNS1_3gpuE9ELNS1_3repE0EEENS1_30default_config_static_selectorELNS0_4arch9wavefront6targetE1EEEvT1_
	.p2align	8
	.type	_ZN7rocprim17ROCPRIM_400000_NS6detail17trampoline_kernelINS0_14default_configENS1_25partition_config_selectorILNS1_17partition_subalgoE1EiNS0_10empty_typeEbEEZZNS1_14partition_implILS5_1ELb0ES3_jN6thrust23THRUST_200600_302600_NS6detail15normal_iteratorINSA_10device_ptrIiEEEEPS6_NSA_18transform_iteratorI7is_evenIiESF_NSA_11use_defaultESK_EENS0_5tupleIJNSA_16discard_iteratorISK_EESF_EEENSM_IJSG_SG_EEES6_PlJS6_EEE10hipError_tPvRmT3_T4_T5_T6_T7_T9_mT8_P12ihipStream_tbDpT10_ENKUlT_T0_E_clISt17integral_constantIbLb1EES1A_IbLb0EEEEDaS16_S17_EUlS16_E_NS1_11comp_targetILNS1_3genE5ELNS1_11target_archE942ELNS1_3gpuE9ELNS1_3repE0EEENS1_30default_config_static_selectorELNS0_4arch9wavefront6targetE1EEEvT1_,@function
_ZN7rocprim17ROCPRIM_400000_NS6detail17trampoline_kernelINS0_14default_configENS1_25partition_config_selectorILNS1_17partition_subalgoE1EiNS0_10empty_typeEbEEZZNS1_14partition_implILS5_1ELb0ES3_jN6thrust23THRUST_200600_302600_NS6detail15normal_iteratorINSA_10device_ptrIiEEEEPS6_NSA_18transform_iteratorI7is_evenIiESF_NSA_11use_defaultESK_EENS0_5tupleIJNSA_16discard_iteratorISK_EESF_EEENSM_IJSG_SG_EEES6_PlJS6_EEE10hipError_tPvRmT3_T4_T5_T6_T7_T9_mT8_P12ihipStream_tbDpT10_ENKUlT_T0_E_clISt17integral_constantIbLb1EES1A_IbLb0EEEEDaS16_S17_EUlS16_E_NS1_11comp_targetILNS1_3genE5ELNS1_11target_archE942ELNS1_3gpuE9ELNS1_3repE0EEENS1_30default_config_static_selectorELNS0_4arch9wavefront6targetE1EEEvT1_: ; @_ZN7rocprim17ROCPRIM_400000_NS6detail17trampoline_kernelINS0_14default_configENS1_25partition_config_selectorILNS1_17partition_subalgoE1EiNS0_10empty_typeEbEEZZNS1_14partition_implILS5_1ELb0ES3_jN6thrust23THRUST_200600_302600_NS6detail15normal_iteratorINSA_10device_ptrIiEEEEPS6_NSA_18transform_iteratorI7is_evenIiESF_NSA_11use_defaultESK_EENS0_5tupleIJNSA_16discard_iteratorISK_EESF_EEENSM_IJSG_SG_EEES6_PlJS6_EEE10hipError_tPvRmT3_T4_T5_T6_T7_T9_mT8_P12ihipStream_tbDpT10_ENKUlT_T0_E_clISt17integral_constantIbLb1EES1A_IbLb0EEEEDaS16_S17_EUlS16_E_NS1_11comp_targetILNS1_3genE5ELNS1_11target_archE942ELNS1_3gpuE9ELNS1_3repE0EEENS1_30default_config_static_selectorELNS0_4arch9wavefront6targetE1EEEvT1_
; %bb.0:
	.section	.rodata,"a",@progbits
	.p2align	6, 0x0
	.amdhsa_kernel _ZN7rocprim17ROCPRIM_400000_NS6detail17trampoline_kernelINS0_14default_configENS1_25partition_config_selectorILNS1_17partition_subalgoE1EiNS0_10empty_typeEbEEZZNS1_14partition_implILS5_1ELb0ES3_jN6thrust23THRUST_200600_302600_NS6detail15normal_iteratorINSA_10device_ptrIiEEEEPS6_NSA_18transform_iteratorI7is_evenIiESF_NSA_11use_defaultESK_EENS0_5tupleIJNSA_16discard_iteratorISK_EESF_EEENSM_IJSG_SG_EEES6_PlJS6_EEE10hipError_tPvRmT3_T4_T5_T6_T7_T9_mT8_P12ihipStream_tbDpT10_ENKUlT_T0_E_clISt17integral_constantIbLb1EES1A_IbLb0EEEEDaS16_S17_EUlS16_E_NS1_11comp_targetILNS1_3genE5ELNS1_11target_archE942ELNS1_3gpuE9ELNS1_3repE0EEENS1_30default_config_static_selectorELNS0_4arch9wavefront6targetE1EEEvT1_
		.amdhsa_group_segment_fixed_size 0
		.amdhsa_private_segment_fixed_size 0
		.amdhsa_kernarg_size 136
		.amdhsa_user_sgpr_count 6
		.amdhsa_user_sgpr_private_segment_buffer 1
		.amdhsa_user_sgpr_dispatch_ptr 0
		.amdhsa_user_sgpr_queue_ptr 0
		.amdhsa_user_sgpr_kernarg_segment_ptr 1
		.amdhsa_user_sgpr_dispatch_id 0
		.amdhsa_user_sgpr_flat_scratch_init 0
		.amdhsa_user_sgpr_kernarg_preload_length 0
		.amdhsa_user_sgpr_kernarg_preload_offset 0
		.amdhsa_user_sgpr_private_segment_size 0
		.amdhsa_uses_dynamic_stack 0
		.amdhsa_system_sgpr_private_segment_wavefront_offset 0
		.amdhsa_system_sgpr_workgroup_id_x 1
		.amdhsa_system_sgpr_workgroup_id_y 0
		.amdhsa_system_sgpr_workgroup_id_z 0
		.amdhsa_system_sgpr_workgroup_info 0
		.amdhsa_system_vgpr_workitem_id 0
		.amdhsa_next_free_vgpr 1
		.amdhsa_next_free_sgpr 0
		.amdhsa_accum_offset 4
		.amdhsa_reserve_vcc 0
		.amdhsa_reserve_flat_scratch 0
		.amdhsa_float_round_mode_32 0
		.amdhsa_float_round_mode_16_64 0
		.amdhsa_float_denorm_mode_32 3
		.amdhsa_float_denorm_mode_16_64 3
		.amdhsa_dx10_clamp 1
		.amdhsa_ieee_mode 1
		.amdhsa_fp16_overflow 0
		.amdhsa_tg_split 0
		.amdhsa_exception_fp_ieee_invalid_op 0
		.amdhsa_exception_fp_denorm_src 0
		.amdhsa_exception_fp_ieee_div_zero 0
		.amdhsa_exception_fp_ieee_overflow 0
		.amdhsa_exception_fp_ieee_underflow 0
		.amdhsa_exception_fp_ieee_inexact 0
		.amdhsa_exception_int_div_zero 0
	.end_amdhsa_kernel
	.section	.text._ZN7rocprim17ROCPRIM_400000_NS6detail17trampoline_kernelINS0_14default_configENS1_25partition_config_selectorILNS1_17partition_subalgoE1EiNS0_10empty_typeEbEEZZNS1_14partition_implILS5_1ELb0ES3_jN6thrust23THRUST_200600_302600_NS6detail15normal_iteratorINSA_10device_ptrIiEEEEPS6_NSA_18transform_iteratorI7is_evenIiESF_NSA_11use_defaultESK_EENS0_5tupleIJNSA_16discard_iteratorISK_EESF_EEENSM_IJSG_SG_EEES6_PlJS6_EEE10hipError_tPvRmT3_T4_T5_T6_T7_T9_mT8_P12ihipStream_tbDpT10_ENKUlT_T0_E_clISt17integral_constantIbLb1EES1A_IbLb0EEEEDaS16_S17_EUlS16_E_NS1_11comp_targetILNS1_3genE5ELNS1_11target_archE942ELNS1_3gpuE9ELNS1_3repE0EEENS1_30default_config_static_selectorELNS0_4arch9wavefront6targetE1EEEvT1_,"axG",@progbits,_ZN7rocprim17ROCPRIM_400000_NS6detail17trampoline_kernelINS0_14default_configENS1_25partition_config_selectorILNS1_17partition_subalgoE1EiNS0_10empty_typeEbEEZZNS1_14partition_implILS5_1ELb0ES3_jN6thrust23THRUST_200600_302600_NS6detail15normal_iteratorINSA_10device_ptrIiEEEEPS6_NSA_18transform_iteratorI7is_evenIiESF_NSA_11use_defaultESK_EENS0_5tupleIJNSA_16discard_iteratorISK_EESF_EEENSM_IJSG_SG_EEES6_PlJS6_EEE10hipError_tPvRmT3_T4_T5_T6_T7_T9_mT8_P12ihipStream_tbDpT10_ENKUlT_T0_E_clISt17integral_constantIbLb1EES1A_IbLb0EEEEDaS16_S17_EUlS16_E_NS1_11comp_targetILNS1_3genE5ELNS1_11target_archE942ELNS1_3gpuE9ELNS1_3repE0EEENS1_30default_config_static_selectorELNS0_4arch9wavefront6targetE1EEEvT1_,comdat
.Lfunc_end3340:
	.size	_ZN7rocprim17ROCPRIM_400000_NS6detail17trampoline_kernelINS0_14default_configENS1_25partition_config_selectorILNS1_17partition_subalgoE1EiNS0_10empty_typeEbEEZZNS1_14partition_implILS5_1ELb0ES3_jN6thrust23THRUST_200600_302600_NS6detail15normal_iteratorINSA_10device_ptrIiEEEEPS6_NSA_18transform_iteratorI7is_evenIiESF_NSA_11use_defaultESK_EENS0_5tupleIJNSA_16discard_iteratorISK_EESF_EEENSM_IJSG_SG_EEES6_PlJS6_EEE10hipError_tPvRmT3_T4_T5_T6_T7_T9_mT8_P12ihipStream_tbDpT10_ENKUlT_T0_E_clISt17integral_constantIbLb1EES1A_IbLb0EEEEDaS16_S17_EUlS16_E_NS1_11comp_targetILNS1_3genE5ELNS1_11target_archE942ELNS1_3gpuE9ELNS1_3repE0EEENS1_30default_config_static_selectorELNS0_4arch9wavefront6targetE1EEEvT1_, .Lfunc_end3340-_ZN7rocprim17ROCPRIM_400000_NS6detail17trampoline_kernelINS0_14default_configENS1_25partition_config_selectorILNS1_17partition_subalgoE1EiNS0_10empty_typeEbEEZZNS1_14partition_implILS5_1ELb0ES3_jN6thrust23THRUST_200600_302600_NS6detail15normal_iteratorINSA_10device_ptrIiEEEEPS6_NSA_18transform_iteratorI7is_evenIiESF_NSA_11use_defaultESK_EENS0_5tupleIJNSA_16discard_iteratorISK_EESF_EEENSM_IJSG_SG_EEES6_PlJS6_EEE10hipError_tPvRmT3_T4_T5_T6_T7_T9_mT8_P12ihipStream_tbDpT10_ENKUlT_T0_E_clISt17integral_constantIbLb1EES1A_IbLb0EEEEDaS16_S17_EUlS16_E_NS1_11comp_targetILNS1_3genE5ELNS1_11target_archE942ELNS1_3gpuE9ELNS1_3repE0EEENS1_30default_config_static_selectorELNS0_4arch9wavefront6targetE1EEEvT1_
                                        ; -- End function
	.section	.AMDGPU.csdata,"",@progbits
; Kernel info:
; codeLenInByte = 0
; NumSgprs: 4
; NumVgprs: 0
; NumAgprs: 0
; TotalNumVgprs: 0
; ScratchSize: 0
; MemoryBound: 0
; FloatMode: 240
; IeeeMode: 1
; LDSByteSize: 0 bytes/workgroup (compile time only)
; SGPRBlocks: 0
; VGPRBlocks: 0
; NumSGPRsForWavesPerEU: 4
; NumVGPRsForWavesPerEU: 1
; AccumOffset: 4
; Occupancy: 8
; WaveLimiterHint : 0
; COMPUTE_PGM_RSRC2:SCRATCH_EN: 0
; COMPUTE_PGM_RSRC2:USER_SGPR: 6
; COMPUTE_PGM_RSRC2:TRAP_HANDLER: 0
; COMPUTE_PGM_RSRC2:TGID_X_EN: 1
; COMPUTE_PGM_RSRC2:TGID_Y_EN: 0
; COMPUTE_PGM_RSRC2:TGID_Z_EN: 0
; COMPUTE_PGM_RSRC2:TIDIG_COMP_CNT: 0
; COMPUTE_PGM_RSRC3_GFX90A:ACCUM_OFFSET: 0
; COMPUTE_PGM_RSRC3_GFX90A:TG_SPLIT: 0
	.section	.text._ZN7rocprim17ROCPRIM_400000_NS6detail17trampoline_kernelINS0_14default_configENS1_25partition_config_selectorILNS1_17partition_subalgoE1EiNS0_10empty_typeEbEEZZNS1_14partition_implILS5_1ELb0ES3_jN6thrust23THRUST_200600_302600_NS6detail15normal_iteratorINSA_10device_ptrIiEEEEPS6_NSA_18transform_iteratorI7is_evenIiESF_NSA_11use_defaultESK_EENS0_5tupleIJNSA_16discard_iteratorISK_EESF_EEENSM_IJSG_SG_EEES6_PlJS6_EEE10hipError_tPvRmT3_T4_T5_T6_T7_T9_mT8_P12ihipStream_tbDpT10_ENKUlT_T0_E_clISt17integral_constantIbLb1EES1A_IbLb0EEEEDaS16_S17_EUlS16_E_NS1_11comp_targetILNS1_3genE4ELNS1_11target_archE910ELNS1_3gpuE8ELNS1_3repE0EEENS1_30default_config_static_selectorELNS0_4arch9wavefront6targetE1EEEvT1_,"axG",@progbits,_ZN7rocprim17ROCPRIM_400000_NS6detail17trampoline_kernelINS0_14default_configENS1_25partition_config_selectorILNS1_17partition_subalgoE1EiNS0_10empty_typeEbEEZZNS1_14partition_implILS5_1ELb0ES3_jN6thrust23THRUST_200600_302600_NS6detail15normal_iteratorINSA_10device_ptrIiEEEEPS6_NSA_18transform_iteratorI7is_evenIiESF_NSA_11use_defaultESK_EENS0_5tupleIJNSA_16discard_iteratorISK_EESF_EEENSM_IJSG_SG_EEES6_PlJS6_EEE10hipError_tPvRmT3_T4_T5_T6_T7_T9_mT8_P12ihipStream_tbDpT10_ENKUlT_T0_E_clISt17integral_constantIbLb1EES1A_IbLb0EEEEDaS16_S17_EUlS16_E_NS1_11comp_targetILNS1_3genE4ELNS1_11target_archE910ELNS1_3gpuE8ELNS1_3repE0EEENS1_30default_config_static_selectorELNS0_4arch9wavefront6targetE1EEEvT1_,comdat
	.protected	_ZN7rocprim17ROCPRIM_400000_NS6detail17trampoline_kernelINS0_14default_configENS1_25partition_config_selectorILNS1_17partition_subalgoE1EiNS0_10empty_typeEbEEZZNS1_14partition_implILS5_1ELb0ES3_jN6thrust23THRUST_200600_302600_NS6detail15normal_iteratorINSA_10device_ptrIiEEEEPS6_NSA_18transform_iteratorI7is_evenIiESF_NSA_11use_defaultESK_EENS0_5tupleIJNSA_16discard_iteratorISK_EESF_EEENSM_IJSG_SG_EEES6_PlJS6_EEE10hipError_tPvRmT3_T4_T5_T6_T7_T9_mT8_P12ihipStream_tbDpT10_ENKUlT_T0_E_clISt17integral_constantIbLb1EES1A_IbLb0EEEEDaS16_S17_EUlS16_E_NS1_11comp_targetILNS1_3genE4ELNS1_11target_archE910ELNS1_3gpuE8ELNS1_3repE0EEENS1_30default_config_static_selectorELNS0_4arch9wavefront6targetE1EEEvT1_ ; -- Begin function _ZN7rocprim17ROCPRIM_400000_NS6detail17trampoline_kernelINS0_14default_configENS1_25partition_config_selectorILNS1_17partition_subalgoE1EiNS0_10empty_typeEbEEZZNS1_14partition_implILS5_1ELb0ES3_jN6thrust23THRUST_200600_302600_NS6detail15normal_iteratorINSA_10device_ptrIiEEEEPS6_NSA_18transform_iteratorI7is_evenIiESF_NSA_11use_defaultESK_EENS0_5tupleIJNSA_16discard_iteratorISK_EESF_EEENSM_IJSG_SG_EEES6_PlJS6_EEE10hipError_tPvRmT3_T4_T5_T6_T7_T9_mT8_P12ihipStream_tbDpT10_ENKUlT_T0_E_clISt17integral_constantIbLb1EES1A_IbLb0EEEEDaS16_S17_EUlS16_E_NS1_11comp_targetILNS1_3genE4ELNS1_11target_archE910ELNS1_3gpuE8ELNS1_3repE0EEENS1_30default_config_static_selectorELNS0_4arch9wavefront6targetE1EEEvT1_
	.globl	_ZN7rocprim17ROCPRIM_400000_NS6detail17trampoline_kernelINS0_14default_configENS1_25partition_config_selectorILNS1_17partition_subalgoE1EiNS0_10empty_typeEbEEZZNS1_14partition_implILS5_1ELb0ES3_jN6thrust23THRUST_200600_302600_NS6detail15normal_iteratorINSA_10device_ptrIiEEEEPS6_NSA_18transform_iteratorI7is_evenIiESF_NSA_11use_defaultESK_EENS0_5tupleIJNSA_16discard_iteratorISK_EESF_EEENSM_IJSG_SG_EEES6_PlJS6_EEE10hipError_tPvRmT3_T4_T5_T6_T7_T9_mT8_P12ihipStream_tbDpT10_ENKUlT_T0_E_clISt17integral_constantIbLb1EES1A_IbLb0EEEEDaS16_S17_EUlS16_E_NS1_11comp_targetILNS1_3genE4ELNS1_11target_archE910ELNS1_3gpuE8ELNS1_3repE0EEENS1_30default_config_static_selectorELNS0_4arch9wavefront6targetE1EEEvT1_
	.p2align	8
	.type	_ZN7rocprim17ROCPRIM_400000_NS6detail17trampoline_kernelINS0_14default_configENS1_25partition_config_selectorILNS1_17partition_subalgoE1EiNS0_10empty_typeEbEEZZNS1_14partition_implILS5_1ELb0ES3_jN6thrust23THRUST_200600_302600_NS6detail15normal_iteratorINSA_10device_ptrIiEEEEPS6_NSA_18transform_iteratorI7is_evenIiESF_NSA_11use_defaultESK_EENS0_5tupleIJNSA_16discard_iteratorISK_EESF_EEENSM_IJSG_SG_EEES6_PlJS6_EEE10hipError_tPvRmT3_T4_T5_T6_T7_T9_mT8_P12ihipStream_tbDpT10_ENKUlT_T0_E_clISt17integral_constantIbLb1EES1A_IbLb0EEEEDaS16_S17_EUlS16_E_NS1_11comp_targetILNS1_3genE4ELNS1_11target_archE910ELNS1_3gpuE8ELNS1_3repE0EEENS1_30default_config_static_selectorELNS0_4arch9wavefront6targetE1EEEvT1_,@function
_ZN7rocprim17ROCPRIM_400000_NS6detail17trampoline_kernelINS0_14default_configENS1_25partition_config_selectorILNS1_17partition_subalgoE1EiNS0_10empty_typeEbEEZZNS1_14partition_implILS5_1ELb0ES3_jN6thrust23THRUST_200600_302600_NS6detail15normal_iteratorINSA_10device_ptrIiEEEEPS6_NSA_18transform_iteratorI7is_evenIiESF_NSA_11use_defaultESK_EENS0_5tupleIJNSA_16discard_iteratorISK_EESF_EEENSM_IJSG_SG_EEES6_PlJS6_EEE10hipError_tPvRmT3_T4_T5_T6_T7_T9_mT8_P12ihipStream_tbDpT10_ENKUlT_T0_E_clISt17integral_constantIbLb1EES1A_IbLb0EEEEDaS16_S17_EUlS16_E_NS1_11comp_targetILNS1_3genE4ELNS1_11target_archE910ELNS1_3gpuE8ELNS1_3repE0EEENS1_30default_config_static_selectorELNS0_4arch9wavefront6targetE1EEEvT1_: ; @_ZN7rocprim17ROCPRIM_400000_NS6detail17trampoline_kernelINS0_14default_configENS1_25partition_config_selectorILNS1_17partition_subalgoE1EiNS0_10empty_typeEbEEZZNS1_14partition_implILS5_1ELb0ES3_jN6thrust23THRUST_200600_302600_NS6detail15normal_iteratorINSA_10device_ptrIiEEEEPS6_NSA_18transform_iteratorI7is_evenIiESF_NSA_11use_defaultESK_EENS0_5tupleIJNSA_16discard_iteratorISK_EESF_EEENSM_IJSG_SG_EEES6_PlJS6_EEE10hipError_tPvRmT3_T4_T5_T6_T7_T9_mT8_P12ihipStream_tbDpT10_ENKUlT_T0_E_clISt17integral_constantIbLb1EES1A_IbLb0EEEEDaS16_S17_EUlS16_E_NS1_11comp_targetILNS1_3genE4ELNS1_11target_archE910ELNS1_3gpuE8ELNS1_3repE0EEENS1_30default_config_static_selectorELNS0_4arch9wavefront6targetE1EEEvT1_
; %bb.0:
	s_load_dwordx2 s[0:1], s[4:5], 0x68
	s_load_dwordx4 s[24:27], s[4:5], 0x8
	s_load_dwordx2 s[2:3], s[4:5], 0x20
	s_load_dwordx4 s[20:23], s[4:5], 0x58
	s_mul_i32 s10, s6, 0x700
	s_waitcnt lgkmcnt(0)
	v_mov_b32_e32 v3, s1
	s_load_dword s1, s[4:5], 0x80
	s_lshl_b64 s[8:9], s[26:27], 2
	s_add_u32 s7, s24, s8
	s_addc_u32 s12, s25, s9
	v_mov_b32_e32 v2, s0
	s_waitcnt lgkmcnt(0)
	s_add_i32 s13, s1, -1
	s_mulk_i32 s1, 0x700
	s_add_i32 s11, s1, s26
	s_sub_i32 s33, s0, s11
	s_addk_i32 s33, 0x700
	s_add_u32 s0, s26, s1
	s_addc_u32 s1, s27, 0
	s_cmp_eq_u32 s6, s13
	s_load_dwordx2 s[28:29], s[22:23], 0x0
	s_cselect_b64 s[22:23], -1, 0
	s_cmp_lg_u32 s6, s13
	s_mov_b32 s11, 0
	v_cmp_lt_u64_e32 vcc, s[0:1], v[2:3]
	s_cselect_b64 s[0:1], -1, 0
	s_or_b64 s[24:25], s[0:1], vcc
	s_lshl_b64 s[30:31], s[10:11], 2
	s_add_u32 s7, s7, s30
	s_addc_u32 s12, s12, s31
	s_mov_b64 s[0:1], -1
	s_and_b64 vcc, exec, s[24:25]
	v_lshlrev_b32_e32 v18, 2, v0
	s_cbranch_vccz .LBB3341_2
; %bb.1:
	v_mov_b32_e32 v1, s12
	v_add_co_u32_e32 v2, vcc, s7, v18
	v_addc_co_u32_e32 v3, vcc, 0, v1, vcc
	v_add_co_u32_e32 v4, vcc, 0x1000, v2
	v_addc_co_u32_e32 v5, vcc, 0, v3, vcc
	flat_load_dword v1, v[2:3]
	flat_load_dword v6, v[2:3] offset:1024
	flat_load_dword v7, v[2:3] offset:2048
	flat_load_dword v8, v[2:3] offset:3072
	flat_load_dword v9, v[4:5]
	flat_load_dword v10, v[4:5] offset:1024
	flat_load_dword v11, v[4:5] offset:2048
	s_mov_b64 s[0:1], 0
	s_waitcnt vmcnt(0) lgkmcnt(0)
	ds_write2st64_b32 v18, v1, v6 offset1:4
	ds_write2st64_b32 v18, v7, v8 offset0:8 offset1:12
	ds_write2st64_b32 v18, v9, v10 offset0:16 offset1:20
	ds_write_b32 v18, v11 offset:6144
	s_waitcnt lgkmcnt(0)
	s_barrier
.LBB3341_2:
	s_andn2_b64 vcc, exec, s[0:1]
	v_cmp_gt_u32_e64 s[0:1], s33, v0
	s_cbranch_vccnz .LBB3341_18
; %bb.3:
                                        ; implicit-def: $vgpr2_vgpr3_vgpr4_vgpr5_vgpr6_vgpr7_vgpr8
	s_and_saveexec_b64 s[10:11], s[0:1]
	s_cbranch_execz .LBB3341_5
; %bb.4:
	v_mov_b32_e32 v1, s12
	v_add_co_u32_e32 v2, vcc, s7, v18
	v_addc_co_u32_e32 v3, vcc, 0, v1, vcc
	flat_load_dword v2, v[2:3]
.LBB3341_5:
	s_or_b64 exec, exec, s[10:11]
	v_or_b32_e32 v1, 0x100, v0
	v_cmp_gt_u32_e32 vcc, s33, v1
	s_and_saveexec_b64 s[0:1], vcc
	s_cbranch_execz .LBB3341_7
; %bb.6:
	v_mov_b32_e32 v1, s12
	v_add_co_u32_e32 v10, vcc, s7, v18
	v_addc_co_u32_e32 v11, vcc, 0, v1, vcc
	flat_load_dword v3, v[10:11] offset:1024
.LBB3341_7:
	s_or_b64 exec, exec, s[0:1]
	v_or_b32_e32 v1, 0x200, v0
	v_cmp_gt_u32_e32 vcc, s33, v1
	s_and_saveexec_b64 s[0:1], vcc
	s_cbranch_execz .LBB3341_9
; %bb.8:
	v_mov_b32_e32 v1, s12
	v_add_co_u32_e32 v10, vcc, s7, v18
	v_addc_co_u32_e32 v11, vcc, 0, v1, vcc
	flat_load_dword v4, v[10:11] offset:2048
.LBB3341_9:
	;; [unrolled: 11-line block ×3, first 2 shown]
	s_or_b64 exec, exec, s[0:1]
	v_or_b32_e32 v1, 0x400, v0
	v_cmp_gt_u32_e32 vcc, s33, v1
	s_and_saveexec_b64 s[0:1], vcc
	s_cbranch_execz .LBB3341_13
; %bb.12:
	v_lshlrev_b32_e32 v1, 2, v1
	v_mov_b32_e32 v6, s12
	v_add_co_u32_e32 v10, vcc, s7, v1
	v_addc_co_u32_e32 v11, vcc, 0, v6, vcc
	flat_load_dword v6, v[10:11]
.LBB3341_13:
	s_or_b64 exec, exec, s[0:1]
	v_or_b32_e32 v1, 0x500, v0
	v_cmp_gt_u32_e32 vcc, s33, v1
	s_and_saveexec_b64 s[0:1], vcc
	s_cbranch_execz .LBB3341_15
; %bb.14:
	v_lshlrev_b32_e32 v1, 2, v1
	v_mov_b32_e32 v7, s12
	v_add_co_u32_e32 v10, vcc, s7, v1
	v_addc_co_u32_e32 v11, vcc, 0, v7, vcc
	flat_load_dword v7, v[10:11]
.LBB3341_15:
	;; [unrolled: 12-line block ×3, first 2 shown]
	s_or_b64 exec, exec, s[0:1]
	s_waitcnt vmcnt(0) lgkmcnt(0)
	ds_write2st64_b32 v18, v2, v3 offset1:4
	ds_write2st64_b32 v18, v4, v5 offset0:8 offset1:12
	ds_write2st64_b32 v18, v6, v7 offset0:16 offset1:20
	ds_write_b32 v18, v8 offset:6144
	s_waitcnt lgkmcnt(0)
	s_barrier
.LBB3341_18:
	v_mul_u32_u24_e32 v19, 7, v0
	v_lshlrev_b32_e32 v8, 2, v19
	s_waitcnt lgkmcnt(0)
	ds_read2_b32 v[6:7], v8 offset1:1
	ds_read2_b32 v[4:5], v8 offset0:2 offset1:3
	ds_read2_b32 v[2:3], v8 offset0:4 offset1:5
	ds_read_b32 v1, v8 offset:24
	s_add_u32 s0, s2, s8
	s_addc_u32 s1, s3, s9
	s_add_u32 s0, s0, s30
	s_addc_u32 s1, s1, s31
	s_mov_b64 s[2:3], -1
	s_and_b64 vcc, exec, s[24:25]
	s_waitcnt lgkmcnt(0)
	s_barrier
	s_cbranch_vccz .LBB3341_20
; %bb.19:
	v_mov_b32_e32 v9, s1
	v_add_co_u32_e32 v10, vcc, s0, v18
	v_addc_co_u32_e32 v9, vcc, 0, v9, vcc
	s_movk_i32 s2, 0x1000
	v_add_co_u32_e32 v10, vcc, s2, v10
	global_load_dword v12, v18, s[0:1]
	global_load_dword v13, v18, s[0:1] offset:1024
	global_load_dword v14, v18, s[0:1] offset:2048
	;; [unrolled: 1-line block ×3, first 2 shown]
	v_addc_co_u32_e32 v11, vcc, 0, v9, vcc
	global_load_dword v9, v[10:11], off
	global_load_dword v16, v[10:11], off offset:1024
	global_load_dword v17, v[10:11], off offset:2048
	s_mov_b64 s[2:3], 0
	s_waitcnt vmcnt(6)
	v_xor_b32_e32 v10, -1, v12
	s_waitcnt vmcnt(5)
	v_xor_b32_e32 v11, -1, v13
	;; [unrolled: 2-line block ×4, first 2 shown]
	v_and_b32_e32 v10, 1, v10
	v_and_b32_e32 v11, 1, v11
	s_waitcnt vmcnt(2)
	v_xor_b32_e32 v9, -1, v9
	v_and_b32_e32 v12, 1, v12
	v_and_b32_e32 v13, 1, v13
	ds_write_b8 v0, v10
	ds_write_b8 v0, v11 offset:256
	ds_write_b8 v0, v12 offset:512
	;; [unrolled: 1-line block ×3, first 2 shown]
	s_waitcnt vmcnt(1)
	v_xor_b32_e32 v10, -1, v16
	s_waitcnt vmcnt(0)
	v_xor_b32_e32 v11, -1, v17
	v_and_b32_e32 v9, 1, v9
	v_and_b32_e32 v10, 1, v10
	;; [unrolled: 1-line block ×3, first 2 shown]
	ds_write_b8 v0, v9 offset:1024
	ds_write_b8 v0, v10 offset:1280
	;; [unrolled: 1-line block ×3, first 2 shown]
	s_waitcnt lgkmcnt(0)
	s_barrier
.LBB3341_20:
	s_load_dwordx2 s[34:35], s[4:5], 0x78
	s_andn2_b64 vcc, exec, s[2:3]
	s_cbranch_vccnz .LBB3341_36
; %bb.21:
	v_cmp_gt_u32_e32 vcc, s33, v0
	v_mov_b32_e32 v9, 0
	v_mov_b32_e32 v10, 0
	s_and_saveexec_b64 s[2:3], vcc
	s_cbranch_execz .LBB3341_23
; %bb.22:
	global_load_dword v10, v18, s[0:1]
	s_waitcnt vmcnt(0)
	v_xor_b32_e32 v10, -1, v10
	v_and_b32_e32 v10, 1, v10
.LBB3341_23:
	s_or_b64 exec, exec, s[2:3]
	v_or_b32_e32 v11, 0x100, v0
	v_cmp_gt_u32_e32 vcc, s33, v11
	s_and_saveexec_b64 s[2:3], vcc
	s_cbranch_execz .LBB3341_25
; %bb.24:
	global_load_dword v9, v18, s[0:1] offset:1024
	s_waitcnt vmcnt(0)
	v_xor_b32_e32 v9, -1, v9
	v_and_b32_e32 v9, 1, v9
.LBB3341_25:
	s_or_b64 exec, exec, s[2:3]
	v_or_b32_e32 v11, 0x200, v0
	v_cmp_gt_u32_e32 vcc, s33, v11
	v_mov_b32_e32 v11, 0
	v_mov_b32_e32 v12, 0
	s_and_saveexec_b64 s[2:3], vcc
	s_cbranch_execz .LBB3341_27
; %bb.26:
	global_load_dword v12, v18, s[0:1] offset:2048
	s_waitcnt vmcnt(0)
	v_xor_b32_e32 v12, -1, v12
	v_and_b32_e32 v12, 1, v12
.LBB3341_27:
	s_or_b64 exec, exec, s[2:3]
	v_or_b32_e32 v13, 0x300, v0
	v_cmp_gt_u32_e32 vcc, s33, v13
	s_and_saveexec_b64 s[2:3], vcc
	s_cbranch_execz .LBB3341_29
; %bb.28:
	global_load_dword v11, v18, s[0:1] offset:3072
	s_waitcnt vmcnt(0)
	v_xor_b32_e32 v11, -1, v11
	v_and_b32_e32 v11, 1, v11
.LBB3341_29:
	s_or_b64 exec, exec, s[2:3]
	v_or_b32_e32 v15, 0x400, v0
	v_cmp_gt_u32_e32 vcc, s33, v15
	v_mov_b32_e32 v13, 0
	v_mov_b32_e32 v14, 0
	s_and_saveexec_b64 s[2:3], vcc
	s_cbranch_execz .LBB3341_31
; %bb.30:
	v_lshlrev_b32_e32 v14, 2, v15
	global_load_dword v14, v14, s[0:1]
	s_waitcnt vmcnt(0)
	v_xor_b32_e32 v14, -1, v14
	v_and_b32_e32 v14, 1, v14
.LBB3341_31:
	s_or_b64 exec, exec, s[2:3]
	v_or_b32_e32 v15, 0x500, v0
	v_cmp_gt_u32_e32 vcc, s33, v15
	s_and_saveexec_b64 s[2:3], vcc
	s_cbranch_execz .LBB3341_33
; %bb.32:
	v_lshlrev_b32_e32 v13, 2, v15
	global_load_dword v13, v13, s[0:1]
	s_waitcnt vmcnt(0)
	v_xor_b32_e32 v13, -1, v13
	v_and_b32_e32 v13, 1, v13
.LBB3341_33:
	s_or_b64 exec, exec, s[2:3]
	v_or_b32_e32 v16, 0x600, v0
	v_cmp_gt_u32_e32 vcc, s33, v16
	v_mov_b32_e32 v15, 0
	s_and_saveexec_b64 s[2:3], vcc
	s_cbranch_execz .LBB3341_35
; %bb.34:
	v_lshlrev_b32_e32 v15, 2, v16
	global_load_dword v15, v15, s[0:1]
	s_waitcnt vmcnt(0)
	v_xor_b32_e32 v15, -1, v15
	v_and_b32_e32 v15, 1, v15
.LBB3341_35:
	s_or_b64 exec, exec, s[2:3]
	ds_write_b8 v0, v10
	ds_write_b8 v0, v9 offset:256
	ds_write_b8 v0, v12 offset:512
	;; [unrolled: 1-line block ×6, first 2 shown]
	s_waitcnt lgkmcnt(0)
	s_barrier
.LBB3341_36:
	s_movk_i32 s0, 0xffeb
	v_mad_i32_i24 v28, v0, s0, v8
	s_waitcnt lgkmcnt(0)
	ds_read_u8 v8, v28
	ds_read_u8 v9, v28 offset:1
	ds_read_u8 v10, v28 offset:2
	;; [unrolled: 1-line block ×6, first 2 shown]
	s_waitcnt lgkmcnt(6)
	v_and_b32_e32 v26, 1, v8
	s_waitcnt lgkmcnt(5)
	v_and_b32_e32 v25, 1, v9
	;; [unrolled: 2-line block ×5, first 2 shown]
	v_add3_u32 v8, v25, v26, v24
	s_waitcnt lgkmcnt(1)
	v_and_b32_e32 v21, 1, v13
	s_waitcnt lgkmcnt(0)
	v_and_b32_e32 v20, 1, v14
	v_add3_u32 v8, v8, v23, v22
	v_add3_u32 v30, v8, v21, v20
	v_mbcnt_lo_u32_b32 v8, -1, 0
	v_mbcnt_hi_u32_b32 v27, -1, v8
	v_and_b32_e32 v8, 15, v27
	v_cmp_eq_u32_e64 s[14:15], 0, v8
	v_cmp_lt_u32_e64 s[12:13], 1, v8
	v_cmp_lt_u32_e64 s[10:11], 3, v8
	;; [unrolled: 1-line block ×3, first 2 shown]
	v_and_b32_e32 v8, 16, v27
	v_cmp_eq_u32_e64 s[18:19], 0, v8
	v_or_b32_e32 v8, 63, v0
	s_cmp_lg_u32 s6, 0
	v_cmp_lt_u32_e64 s[0:1], 31, v27
	v_lshrrev_b32_e32 v29, 6, v0
	v_cmp_eq_u32_e64 s[2:3], v8, v0
	s_barrier
	s_cbranch_scc0 .LBB3341_67
; %bb.37:
	v_mov_b32_dpp v8, v30 row_shr:1 row_mask:0xf bank_mask:0xf
	v_cndmask_b32_e64 v8, v8, 0, s[14:15]
	v_add_u32_e32 v8, v8, v30
	s_nop 1
	v_mov_b32_dpp v9, v8 row_shr:2 row_mask:0xf bank_mask:0xf
	v_cndmask_b32_e64 v9, 0, v9, s[12:13]
	v_add_u32_e32 v8, v8, v9
	s_nop 1
	;; [unrolled: 4-line block ×4, first 2 shown]
	v_mov_b32_dpp v9, v8 row_bcast:15 row_mask:0xf bank_mask:0xf
	v_cndmask_b32_e64 v9, v9, 0, s[18:19]
	v_add_u32_e32 v8, v8, v9
	s_nop 1
	v_mov_b32_dpp v9, v8 row_bcast:31 row_mask:0xf bank_mask:0xf
	v_cndmask_b32_e64 v9, 0, v9, s[0:1]
	v_add_u32_e32 v8, v8, v9
	s_and_saveexec_b64 s[16:17], s[2:3]
	s_cbranch_execz .LBB3341_39
; %bb.38:
	v_lshlrev_b32_e32 v9, 2, v29
	ds_write_b32 v9, v8
.LBB3341_39:
	s_or_b64 exec, exec, s[16:17]
	v_cmp_gt_u32_e32 vcc, 4, v0
	s_waitcnt lgkmcnt(0)
	s_barrier
	s_and_saveexec_b64 s[16:17], vcc
	s_cbranch_execz .LBB3341_41
; %bb.40:
	ds_read_b32 v9, v18
	v_and_b32_e32 v10, 3, v27
	v_cmp_ne_u32_e32 vcc, 0, v10
	s_waitcnt lgkmcnt(0)
	v_mov_b32_dpp v11, v9 row_shr:1 row_mask:0xf bank_mask:0xf
	v_cndmask_b32_e32 v11, 0, v11, vcc
	v_add_u32_e32 v9, v11, v9
	v_cmp_lt_u32_e32 vcc, 1, v10
	s_nop 0
	v_mov_b32_dpp v11, v9 row_shr:2 row_mask:0xf bank_mask:0xf
	v_cndmask_b32_e32 v10, 0, v11, vcc
	v_add_u32_e32 v9, v9, v10
	ds_write_b32 v18, v9
.LBB3341_41:
	s_or_b64 exec, exec, s[16:17]
	v_cmp_gt_u32_e32 vcc, 64, v0
	v_cmp_lt_u32_e64 s[16:17], 63, v0
	s_waitcnt lgkmcnt(0)
	s_barrier
	s_waitcnt lgkmcnt(0)
                                        ; implicit-def: $vgpr31
	s_and_saveexec_b64 s[36:37], s[16:17]
	s_cbranch_execz .LBB3341_43
; %bb.42:
	v_lshl_add_u32 v9, v29, 2, -4
	ds_read_b32 v31, v9
	s_waitcnt lgkmcnt(0)
	v_add_u32_e32 v8, v31, v8
.LBB3341_43:
	s_or_b64 exec, exec, s[36:37]
	v_add_u32_e32 v9, -1, v27
	v_and_b32_e32 v10, 64, v27
	v_cmp_lt_i32_e64 s[16:17], v9, v10
	v_cndmask_b32_e64 v9, v9, v27, s[16:17]
	v_lshlrev_b32_e32 v9, 2, v9
	ds_bpermute_b32 v32, v9, v8
	v_cmp_eq_u32_e64 s[16:17], 0, v27
	s_and_saveexec_b64 s[36:37], vcc
	s_cbranch_execz .LBB3341_66
; %bb.44:
	v_mov_b32_e32 v17, 0
	ds_read_b32 v8, v17 offset:12
	s_and_saveexec_b64 s[38:39], s[16:17]
	s_cbranch_execz .LBB3341_46
; %bb.45:
	s_add_i32 s40, s6, 64
	s_mov_b32 s41, 0
	s_lshl_b64 s[40:41], s[40:41], 3
	s_add_u32 s40, s34, s40
	v_mov_b32_e32 v9, 1
	s_addc_u32 s41, s35, s41
	s_waitcnt lgkmcnt(0)
	global_store_dwordx2 v17, v[8:9], s[40:41]
.LBB3341_46:
	s_or_b64 exec, exec, s[38:39]
	v_xad_u32 v10, v27, -1, s6
	v_add_u32_e32 v16, 64, v10
	v_lshlrev_b64 v[12:13], 3, v[16:17]
	v_mov_b32_e32 v9, s35
	v_add_co_u32_e32 v12, vcc, s34, v12
	v_addc_co_u32_e32 v13, vcc, v9, v13, vcc
	global_load_dwordx2 v[14:15], v[12:13], off glc
	s_waitcnt vmcnt(0)
	v_cmp_eq_u16_sdwa s[40:41], v15, v17 src0_sel:BYTE_0 src1_sel:DWORD
	s_and_saveexec_b64 s[38:39], s[40:41]
	s_cbranch_execz .LBB3341_52
; %bb.47:
	s_mov_b32 s7, 1
	s_mov_b64 s[40:41], 0
	v_mov_b32_e32 v9, 0
.LBB3341_48:                            ; =>This Loop Header: Depth=1
                                        ;     Child Loop BB3341_49 Depth 2
	s_max_u32 s42, s7, 1
.LBB3341_49:                            ;   Parent Loop BB3341_48 Depth=1
                                        ; =>  This Inner Loop Header: Depth=2
	s_add_i32 s42, s42, -1
	s_cmp_eq_u32 s42, 0
	s_sleep 1
	s_cbranch_scc0 .LBB3341_49
; %bb.50:                               ;   in Loop: Header=BB3341_48 Depth=1
	global_load_dwordx2 v[14:15], v[12:13], off glc
	s_cmp_lt_u32 s7, 32
	s_cselect_b64 s[42:43], -1, 0
	s_cmp_lg_u64 s[42:43], 0
	s_addc_u32 s7, s7, 0
	s_waitcnt vmcnt(0)
	v_cmp_ne_u16_sdwa s[42:43], v15, v9 src0_sel:BYTE_0 src1_sel:DWORD
	s_or_b64 s[40:41], s[42:43], s[40:41]
	s_andn2_b64 exec, exec, s[40:41]
	s_cbranch_execnz .LBB3341_48
; %bb.51:
	s_or_b64 exec, exec, s[40:41]
.LBB3341_52:
	s_or_b64 exec, exec, s[38:39]
	v_and_b32_e32 v34, 63, v27
	v_mov_b32_e32 v33, 2
	v_cmp_ne_u32_e32 vcc, 63, v34
	v_cmp_eq_u16_sdwa s[38:39], v15, v33 src0_sel:BYTE_0 src1_sel:DWORD
	v_lshlrev_b64 v[12:13], v27, -1
	v_addc_co_u32_e32 v16, vcc, 0, v27, vcc
	v_and_b32_e32 v9, s39, v13
	v_lshlrev_b32_e32 v35, 2, v16
	v_or_b32_e32 v9, 0x80000000, v9
	ds_bpermute_b32 v16, v35, v14
	v_and_b32_e32 v11, s38, v12
	v_ffbl_b32_e32 v9, v9
	v_add_u32_e32 v9, 32, v9
	v_ffbl_b32_e32 v11, v11
	v_min_u32_e32 v9, v11, v9
	v_cmp_lt_u32_e32 vcc, v34, v9
	s_waitcnt lgkmcnt(0)
	v_cndmask_b32_e32 v11, 0, v16, vcc
	v_cmp_gt_u32_e32 vcc, 62, v34
	v_add_u32_e32 v11, v11, v14
	v_cndmask_b32_e64 v14, 0, 1, vcc
	v_lshlrev_b32_e32 v14, 1, v14
	v_add_lshl_u32 v36, v14, v27, 2
	ds_bpermute_b32 v14, v36, v11
	v_add_u32_e32 v37, 2, v34
	v_cmp_le_u32_e32 vcc, v37, v9
	v_add_u32_e32 v39, 4, v34
	v_add_u32_e32 v41, 8, v34
	s_waitcnt lgkmcnt(0)
	v_cndmask_b32_e32 v14, 0, v14, vcc
	v_cmp_gt_u32_e32 vcc, 60, v34
	v_add_u32_e32 v11, v11, v14
	v_cndmask_b32_e64 v14, 0, 1, vcc
	v_lshlrev_b32_e32 v14, 2, v14
	v_add_lshl_u32 v38, v14, v27, 2
	ds_bpermute_b32 v14, v38, v11
	v_cmp_le_u32_e32 vcc, v39, v9
	v_add_u32_e32 v43, 16, v34
	v_add_u32_e32 v45, 32, v34
	s_waitcnt lgkmcnt(0)
	v_cndmask_b32_e32 v14, 0, v14, vcc
	v_cmp_gt_u32_e32 vcc, 56, v34
	v_add_u32_e32 v11, v11, v14
	v_cndmask_b32_e64 v14, 0, 1, vcc
	v_lshlrev_b32_e32 v14, 3, v14
	v_add_lshl_u32 v40, v14, v27, 2
	ds_bpermute_b32 v14, v40, v11
	v_cmp_le_u32_e32 vcc, v41, v9
	s_waitcnt lgkmcnt(0)
	v_cndmask_b32_e32 v14, 0, v14, vcc
	v_cmp_gt_u32_e32 vcc, 48, v34
	v_add_u32_e32 v11, v11, v14
	v_cndmask_b32_e64 v14, 0, 1, vcc
	v_lshlrev_b32_e32 v14, 4, v14
	v_add_lshl_u32 v42, v14, v27, 2
	ds_bpermute_b32 v14, v42, v11
	v_cmp_le_u32_e32 vcc, v43, v9
	;; [unrolled: 9-line block ×3, first 2 shown]
	s_waitcnt lgkmcnt(0)
	v_cndmask_b32_e32 v9, 0, v14, vcc
	v_add_u32_e32 v14, v11, v9
	v_mov_b32_e32 v11, 0
	s_branch .LBB3341_54
.LBB3341_53:                            ;   in Loop: Header=BB3341_54 Depth=1
	s_or_b64 exec, exec, s[38:39]
	v_cmp_eq_u16_sdwa s[38:39], v15, v33 src0_sel:BYTE_0 src1_sel:DWORD
	v_and_b32_e32 v16, s39, v13
	v_or_b32_e32 v16, 0x80000000, v16
	ds_bpermute_b32 v46, v35, v14
	v_and_b32_e32 v17, s38, v12
	v_ffbl_b32_e32 v16, v16
	v_add_u32_e32 v16, 32, v16
	v_ffbl_b32_e32 v17, v17
	v_min_u32_e32 v16, v17, v16
	v_cmp_lt_u32_e32 vcc, v34, v16
	s_waitcnt lgkmcnt(0)
	v_cndmask_b32_e32 v17, 0, v46, vcc
	v_add_u32_e32 v14, v17, v14
	ds_bpermute_b32 v17, v36, v14
	v_cmp_le_u32_e32 vcc, v37, v16
	v_subrev_u32_e32 v10, 64, v10
	s_waitcnt lgkmcnt(0)
	v_cndmask_b32_e32 v17, 0, v17, vcc
	v_add_u32_e32 v14, v14, v17
	ds_bpermute_b32 v17, v38, v14
	v_cmp_le_u32_e32 vcc, v39, v16
	s_waitcnt lgkmcnt(0)
	v_cndmask_b32_e32 v17, 0, v17, vcc
	v_add_u32_e32 v14, v14, v17
	ds_bpermute_b32 v17, v40, v14
	v_cmp_le_u32_e32 vcc, v41, v16
	;; [unrolled: 5-line block ×4, first 2 shown]
	s_waitcnt lgkmcnt(0)
	v_cndmask_b32_e32 v16, 0, v17, vcc
	v_add3_u32 v14, v16, v9, v14
.LBB3341_54:                            ; =>This Loop Header: Depth=1
                                        ;     Child Loop BB3341_57 Depth 2
                                        ;       Child Loop BB3341_58 Depth 3
	v_cmp_ne_u16_sdwa s[38:39], v15, v33 src0_sel:BYTE_0 src1_sel:DWORD
	v_cndmask_b32_e64 v9, 0, 1, s[38:39]
	;;#ASMSTART
	;;#ASMEND
	v_cmp_ne_u32_e32 vcc, 0, v9
	s_cmp_lg_u64 vcc, exec
	v_mov_b32_e32 v9, v14
	s_cbranch_scc1 .LBB3341_61
; %bb.55:                               ;   in Loop: Header=BB3341_54 Depth=1
	v_lshlrev_b64 v[14:15], 3, v[10:11]
	v_mov_b32_e32 v17, s35
	v_add_co_u32_e32 v16, vcc, s34, v14
	v_addc_co_u32_e32 v17, vcc, v17, v15, vcc
	global_load_dwordx2 v[14:15], v[16:17], off glc
	s_waitcnt vmcnt(0)
	v_cmp_eq_u16_sdwa s[40:41], v15, v11 src0_sel:BYTE_0 src1_sel:DWORD
	s_and_saveexec_b64 s[38:39], s[40:41]
	s_cbranch_execz .LBB3341_53
; %bb.56:                               ;   in Loop: Header=BB3341_54 Depth=1
	s_mov_b32 s7, 1
	s_mov_b64 s[40:41], 0
.LBB3341_57:                            ;   Parent Loop BB3341_54 Depth=1
                                        ; =>  This Loop Header: Depth=2
                                        ;       Child Loop BB3341_58 Depth 3
	s_max_u32 s42, s7, 1
.LBB3341_58:                            ;   Parent Loop BB3341_54 Depth=1
                                        ;     Parent Loop BB3341_57 Depth=2
                                        ; =>    This Inner Loop Header: Depth=3
	s_add_i32 s42, s42, -1
	s_cmp_eq_u32 s42, 0
	s_sleep 1
	s_cbranch_scc0 .LBB3341_58
; %bb.59:                               ;   in Loop: Header=BB3341_57 Depth=2
	global_load_dwordx2 v[14:15], v[16:17], off glc
	s_cmp_lt_u32 s7, 32
	s_cselect_b64 s[42:43], -1, 0
	s_cmp_lg_u64 s[42:43], 0
	s_addc_u32 s7, s7, 0
	s_waitcnt vmcnt(0)
	v_cmp_ne_u16_sdwa s[42:43], v15, v11 src0_sel:BYTE_0 src1_sel:DWORD
	s_or_b64 s[40:41], s[42:43], s[40:41]
	s_andn2_b64 exec, exec, s[40:41]
	s_cbranch_execnz .LBB3341_57
; %bb.60:                               ;   in Loop: Header=BB3341_54 Depth=1
	s_or_b64 exec, exec, s[40:41]
	s_branch .LBB3341_53
.LBB3341_61:                            ;   in Loop: Header=BB3341_54 Depth=1
                                        ; implicit-def: $vgpr14
                                        ; implicit-def: $vgpr15
	s_cbranch_execz .LBB3341_54
; %bb.62:
	s_and_saveexec_b64 s[38:39], s[16:17]
	s_cbranch_execz .LBB3341_64
; %bb.63:
	s_add_i32 s6, s6, 64
	s_mov_b32 s7, 0
	s_lshl_b64 s[6:7], s[6:7], 3
	s_add_u32 s6, s34, s6
	v_add_u32_e32 v10, v9, v8
	v_mov_b32_e32 v11, 2
	s_addc_u32 s7, s35, s7
	v_mov_b32_e32 v12, 0
	global_store_dwordx2 v12, v[10:11], s[6:7]
	ds_write_b64 v12, v[8:9] offset:7168
.LBB3341_64:
	s_or_b64 exec, exec, s[38:39]
	v_cmp_eq_u32_e32 vcc, 0, v0
	s_and_b64 exec, exec, vcc
	s_cbranch_execz .LBB3341_66
; %bb.65:
	v_mov_b32_e32 v8, 0
	ds_write_b32 v8, v9 offset:12
.LBB3341_66:
	s_or_b64 exec, exec, s[36:37]
	v_mov_b32_e32 v8, 0
	s_waitcnt lgkmcnt(0)
	s_barrier
	ds_read_b32 v9, v8 offset:12
	v_cndmask_b32_e64 v10, v32, v31, s[16:17]
	v_cmp_ne_u32_e32 vcc, 0, v0
	v_cndmask_b32_e32 v10, 0, v10, vcc
	s_waitcnt lgkmcnt(0)
	v_add_u32_e32 v16, v9, v10
	v_add_u32_e32 v15, v16, v26
	;; [unrolled: 1-line block ×3, first 2 shown]
	s_barrier
	ds_read_b64 v[8:9], v8 offset:7168
	v_add_u32_e32 v12, v14, v24
	v_add_u32_e32 v13, v12, v23
	;; [unrolled: 1-line block ×4, first 2 shown]
	s_load_dwordx2 s[4:5], s[4:5], 0x40
	s_branch .LBB3341_77
.LBB3341_67:
                                        ; implicit-def: $vgpr9
                                        ; implicit-def: $vgpr10
                                        ; implicit-def: $vgpr11
                                        ; implicit-def: $vgpr13
                                        ; implicit-def: $vgpr12
                                        ; implicit-def: $vgpr14
                                        ; implicit-def: $vgpr15
                                        ; implicit-def: $vgpr16
	s_load_dwordx2 s[4:5], s[4:5], 0x40
	s_cbranch_execz .LBB3341_77
; %bb.68:
	s_waitcnt lgkmcnt(0)
	v_mov_b32_dpp v8, v30 row_shr:1 row_mask:0xf bank_mask:0xf
	v_cndmask_b32_e64 v8, v8, 0, s[14:15]
	v_add_u32_e32 v8, v8, v30
	s_nop 1
	v_mov_b32_dpp v9, v8 row_shr:2 row_mask:0xf bank_mask:0xf
	v_cndmask_b32_e64 v9, 0, v9, s[12:13]
	v_add_u32_e32 v8, v8, v9
	s_nop 1
	;; [unrolled: 4-line block ×4, first 2 shown]
	v_mov_b32_dpp v9, v8 row_bcast:15 row_mask:0xf bank_mask:0xf
	v_cndmask_b32_e64 v9, v9, 0, s[18:19]
	v_add_u32_e32 v8, v8, v9
	s_nop 1
	v_mov_b32_dpp v9, v8 row_bcast:31 row_mask:0xf bank_mask:0xf
	v_cndmask_b32_e64 v9, 0, v9, s[0:1]
	v_add_u32_e32 v8, v8, v9
	s_and_saveexec_b64 s[0:1], s[2:3]
	s_cbranch_execz .LBB3341_70
; %bb.69:
	v_lshlrev_b32_e32 v9, 2, v29
	ds_write_b32 v9, v8
.LBB3341_70:
	s_or_b64 exec, exec, s[0:1]
	v_cmp_gt_u32_e32 vcc, 4, v0
	s_waitcnt lgkmcnt(0)
	s_barrier
	s_and_saveexec_b64 s[0:1], vcc
	s_cbranch_execz .LBB3341_72
; %bb.71:
	v_mad_i32_i24 v9, v0, -3, v28
	ds_read_b32 v10, v9
	v_and_b32_e32 v11, 3, v27
	v_cmp_ne_u32_e32 vcc, 0, v11
	s_waitcnt lgkmcnt(0)
	v_mov_b32_dpp v12, v10 row_shr:1 row_mask:0xf bank_mask:0xf
	v_cndmask_b32_e32 v12, 0, v12, vcc
	v_add_u32_e32 v10, v12, v10
	v_cmp_lt_u32_e32 vcc, 1, v11
	s_nop 0
	v_mov_b32_dpp v12, v10 row_shr:2 row_mask:0xf bank_mask:0xf
	v_cndmask_b32_e32 v11, 0, v12, vcc
	v_add_u32_e32 v10, v10, v11
	ds_write_b32 v9, v10
.LBB3341_72:
	s_or_b64 exec, exec, s[0:1]
	v_cmp_lt_u32_e32 vcc, 63, v0
	v_mov_b32_e32 v9, 0
	v_mov_b32_e32 v10, 0
	s_waitcnt lgkmcnt(0)
	s_barrier
	s_and_saveexec_b64 s[0:1], vcc
	s_cbranch_execz .LBB3341_74
; %bb.73:
	v_lshl_add_u32 v10, v29, 2, -4
	ds_read_b32 v10, v10
.LBB3341_74:
	s_or_b64 exec, exec, s[0:1]
	v_add_u32_e32 v11, -1, v27
	v_and_b32_e32 v12, 64, v27
	v_cmp_lt_i32_e32 vcc, v11, v12
	v_cndmask_b32_e32 v11, v11, v27, vcc
	s_waitcnt lgkmcnt(0)
	v_add_u32_e32 v8, v10, v8
	v_lshlrev_b32_e32 v11, 2, v11
	ds_bpermute_b32 v11, v11, v8
	ds_read_b32 v8, v9 offset:12
	v_cmp_eq_u32_e32 vcc, 0, v0
	s_and_saveexec_b64 s[0:1], vcc
	s_cbranch_execz .LBB3341_76
; %bb.75:
	v_mov_b32_e32 v12, 0
	v_mov_b32_e32 v9, 2
	s_waitcnt lgkmcnt(0)
	global_store_dwordx2 v12, v[8:9], s[34:35] offset:512
.LBB3341_76:
	s_or_b64 exec, exec, s[0:1]
	v_cmp_eq_u32_e64 s[0:1], 0, v27
	s_waitcnt lgkmcnt(1)
	v_cndmask_b32_e64 v10, v11, v10, s[0:1]
	v_cndmask_b32_e64 v16, v10, 0, vcc
	v_add_u32_e32 v15, v16, v26
	v_add_u32_e32 v14, v15, v25
	;; [unrolled: 1-line block ×5, first 2 shown]
	v_mov_b32_e32 v9, 0
	v_add_u32_e32 v10, v11, v21
	s_waitcnt lgkmcnt(0)
	s_barrier
.LBB3341_77:
	s_waitcnt lgkmcnt(0)
	v_add_u32_e32 v17, v8, v19
	v_sub_u32_e32 v16, v16, v9
	v_sub_u32_e32 v19, v17, v16
	v_cmp_eq_u32_e32 vcc, 1, v26
	v_cndmask_b32_e32 v16, v19, v16, vcc
	v_lshlrev_b32_e32 v16, 2, v16
	ds_write_b32 v16, v6
	v_sub_u32_e32 v6, v15, v9
	v_sub_u32_e32 v15, v17, v6
	v_add_u32_e32 v15, 1, v15
	v_cmp_eq_u32_e32 vcc, 1, v25
	v_cndmask_b32_e32 v6, v15, v6, vcc
	v_lshlrev_b32_e32 v6, 2, v6
	ds_write_b32 v6, v7
	v_sub_u32_e32 v6, v14, v9
	v_sub_u32_e32 v7, v17, v6
	v_add_u32_e32 v7, 2, v7
	;; [unrolled: 7-line block ×6, first 2 shown]
	v_cmp_eq_u32_e32 vcc, 1, v20
	v_cndmask_b32_e32 v2, v3, v2, vcc
	v_lshlrev_b32_e32 v2, 2, v2
	ds_write_b32 v2, v1
	v_mov_b32_e32 v1, s29
	v_add_co_u32_e32 v2, vcc, s28, v8
	v_addc_co_u32_e32 v1, vcc, 0, v1, vcc
	v_add_co_u32_e32 v2, vcc, v2, v9
	v_addc_co_u32_e32 v3, vcc, 0, v1, vcc
	v_mov_b32_e32 v1, s27
	v_sub_co_u32_e32 v22, vcc, s26, v2
	v_subb_co_u32_e32 v23, vcc, v1, v3, vcc
	v_lshlrev_b64 v[22:23], 2, v[22:23]
	s_waitcnt lgkmcnt(0)
	s_barrier
	ds_read2st64_b32 v[12:13], v18 offset1:4
	ds_read2st64_b32 v[10:11], v18 offset0:8 offset1:12
	ds_read2st64_b32 v[4:5], v18 offset0:16 offset1:20
	ds_read_b32 v7, v18 offset:6144
	v_mov_b32_e32 v1, s5
	v_add_co_u32_e32 v6, vcc, s4, v22
	v_addc_co_u32_e32 v1, vcc, v1, v23, vcc
	v_mov_b32_e32 v9, s31
	v_add_co_u32_e32 v6, vcc, s30, v6
	v_addc_co_u32_e32 v1, vcc, v1, v9, vcc
	v_or_b32_e32 v20, 0x100, v0
	v_or_b32_e32 v19, 0x200, v0
	;; [unrolled: 1-line block ×6, first 2 shown]
	s_andn2_b64 vcc, exec, s[24:25]
	v_cmp_le_u32_e64 s[0:1], v8, v0
	s_cbranch_vccnz .LBB3341_86
; %bb.78:
	s_and_saveexec_b64 s[2:3], s[0:1]
	s_cbranch_execnz .LBB3341_105
; %bb.79:
	s_or_b64 exec, exec, s[2:3]
	v_cmp_ge_u32_e32 vcc, v20, v8
	s_and_saveexec_b64 s[0:1], vcc
	s_cbranch_execnz .LBB3341_106
.LBB3341_80:
	s_or_b64 exec, exec, s[0:1]
	v_cmp_ge_u32_e32 vcc, v19, v8
	s_and_saveexec_b64 s[0:1], vcc
	s_cbranch_execnz .LBB3341_107
.LBB3341_81:
	s_or_b64 exec, exec, s[0:1]
	v_cmp_ge_u32_e32 vcc, v17, v8
	s_and_saveexec_b64 s[0:1], vcc
	s_cbranch_execnz .LBB3341_108
.LBB3341_82:
	s_or_b64 exec, exec, s[0:1]
	v_cmp_ge_u32_e32 vcc, v16, v8
	s_and_saveexec_b64 s[0:1], vcc
	s_cbranch_execnz .LBB3341_109
.LBB3341_83:
	s_or_b64 exec, exec, s[0:1]
	v_cmp_ge_u32_e32 vcc, v15, v8
	s_and_saveexec_b64 s[0:1], vcc
	s_cbranch_execz .LBB3341_85
.LBB3341_84:
	v_lshlrev_b32_e32 v9, 2, v15
	v_readfirstlane_b32 s2, v6
	v_readfirstlane_b32 s3, v1
	s_waitcnt lgkmcnt(1)
	s_nop 3
	global_store_dword v9, v5, s[2:3]
.LBB3341_85:
	s_or_b64 exec, exec, s[0:1]
	v_cmp_ge_u32_e64 s[0:1], v14, v8
	s_branch .LBB3341_100
.LBB3341_86:
	s_mov_b64 s[0:1], 0
	s_cbranch_execz .LBB3341_100
; %bb.87:
	v_cmp_gt_u32_e32 vcc, s33, v0
	v_cmp_le_u32_e64 s[0:1], v8, v0
	s_and_b64 s[2:3], vcc, s[0:1]
	s_and_saveexec_b64 s[0:1], s[2:3]
	s_cbranch_execz .LBB3341_89
; %bb.88:
	v_readfirstlane_b32 s2, v6
	v_readfirstlane_b32 s3, v1
	s_waitcnt lgkmcnt(3)
	s_nop 3
	global_store_dword v18, v12, s[2:3]
.LBB3341_89:
	s_or_b64 exec, exec, s[0:1]
	v_cmp_gt_u32_e32 vcc, s33, v20
	v_cmp_ge_u32_e64 s[0:1], v20, v8
	s_and_b64 s[2:3], vcc, s[0:1]
	s_and_saveexec_b64 s[0:1], s[2:3]
	s_cbranch_execz .LBB3341_91
; %bb.90:
	v_readfirstlane_b32 s2, v6
	v_readfirstlane_b32 s3, v1
	s_waitcnt lgkmcnt(3)
	s_nop 3
	global_store_dword v18, v13, s[2:3] offset:1024
.LBB3341_91:
	s_or_b64 exec, exec, s[0:1]
	v_cmp_gt_u32_e32 vcc, s33, v19
	v_cmp_ge_u32_e64 s[0:1], v19, v8
	s_and_b64 s[2:3], vcc, s[0:1]
	s_and_saveexec_b64 s[0:1], s[2:3]
	s_cbranch_execz .LBB3341_93
; %bb.92:
	v_readfirstlane_b32 s2, v6
	v_readfirstlane_b32 s3, v1
	s_waitcnt lgkmcnt(2)
	s_nop 3
	global_store_dword v18, v10, s[2:3] offset:2048
.LBB3341_93:
	;; [unrolled: 13-line block ×3, first 2 shown]
	s_or_b64 exec, exec, s[0:1]
	v_cmp_gt_u32_e32 vcc, s33, v16
	v_cmp_ge_u32_e64 s[0:1], v16, v8
	s_and_b64 s[2:3], vcc, s[0:1]
	s_and_saveexec_b64 s[0:1], s[2:3]
	s_cbranch_execz .LBB3341_97
; %bb.96:
	v_lshlrev_b32_e32 v9, 2, v16
	v_readfirstlane_b32 s2, v6
	v_readfirstlane_b32 s3, v1
	s_waitcnt lgkmcnt(1)
	s_nop 3
	global_store_dword v9, v4, s[2:3]
.LBB3341_97:
	s_or_b64 exec, exec, s[0:1]
	v_cmp_gt_u32_e32 vcc, s33, v15
	v_cmp_ge_u32_e64 s[0:1], v15, v8
	s_and_b64 s[2:3], vcc, s[0:1]
	s_and_saveexec_b64 s[0:1], s[2:3]
	s_cbranch_execz .LBB3341_99
; %bb.98:
	s_waitcnt lgkmcnt(1)
	v_lshlrev_b32_e32 v4, 2, v15
	v_readfirstlane_b32 s2, v6
	v_readfirstlane_b32 s3, v1
	s_nop 4
	global_store_dword v4, v5, s[2:3]
.LBB3341_99:
	s_or_b64 exec, exec, s[0:1]
	v_cmp_gt_u32_e32 vcc, s33, v14
	v_cmp_ge_u32_e64 s[0:1], v14, v8
	s_and_b64 s[0:1], vcc, s[0:1]
.LBB3341_100:
	s_and_saveexec_b64 s[2:3], s[0:1]
	s_cbranch_execz .LBB3341_102
; %bb.101:
	s_waitcnt lgkmcnt(1)
	v_lshlrev_b32_e32 v4, 2, v14
	v_readfirstlane_b32 s0, v6
	v_readfirstlane_b32 s1, v1
	s_waitcnt lgkmcnt(0)
	s_nop 3
	global_store_dword v4, v7, s[0:1]
.LBB3341_102:
	s_or_b64 exec, exec, s[2:3]
	v_cmp_eq_u32_e32 vcc, 0, v0
	s_and_b64 s[0:1], vcc, s[22:23]
	s_and_saveexec_b64 s[2:3], s[0:1]
	s_cbranch_execz .LBB3341_104
; %bb.103:
	v_mov_b32_e32 v0, 0
	global_store_dwordx2 v0, v[2:3], s[20:21]
.LBB3341_104:
	s_endpgm
.LBB3341_105:
	v_readfirstlane_b32 s0, v6
	v_readfirstlane_b32 s1, v1
	s_waitcnt lgkmcnt(3)
	s_nop 3
	global_store_dword v18, v12, s[0:1]
	s_or_b64 exec, exec, s[2:3]
	v_cmp_ge_u32_e32 vcc, v20, v8
	s_and_saveexec_b64 s[0:1], vcc
	s_cbranch_execz .LBB3341_80
.LBB3341_106:
	v_readfirstlane_b32 s2, v6
	v_readfirstlane_b32 s3, v1
	s_waitcnt lgkmcnt(3)
	s_nop 3
	global_store_dword v18, v13, s[2:3] offset:1024
	s_or_b64 exec, exec, s[0:1]
	v_cmp_ge_u32_e32 vcc, v19, v8
	s_and_saveexec_b64 s[0:1], vcc
	s_cbranch_execz .LBB3341_81
.LBB3341_107:
	v_readfirstlane_b32 s2, v6
	v_readfirstlane_b32 s3, v1
	s_waitcnt lgkmcnt(2)
	s_nop 3
	global_store_dword v18, v10, s[2:3] offset:2048
	s_or_b64 exec, exec, s[0:1]
	v_cmp_ge_u32_e32 vcc, v17, v8
	s_and_saveexec_b64 s[0:1], vcc
	s_cbranch_execz .LBB3341_82
.LBB3341_108:
	v_readfirstlane_b32 s2, v6
	v_readfirstlane_b32 s3, v1
	s_waitcnt lgkmcnt(2)
	s_nop 3
	global_store_dword v18, v11, s[2:3] offset:3072
	s_or_b64 exec, exec, s[0:1]
	v_cmp_ge_u32_e32 vcc, v16, v8
	s_and_saveexec_b64 s[0:1], vcc
	s_cbranch_execz .LBB3341_83
.LBB3341_109:
	v_lshlrev_b32_e32 v9, 2, v16
	v_readfirstlane_b32 s2, v6
	v_readfirstlane_b32 s3, v1
	s_waitcnt lgkmcnt(1)
	s_nop 3
	global_store_dword v9, v4, s[2:3]
	s_or_b64 exec, exec, s[0:1]
	v_cmp_ge_u32_e32 vcc, v15, v8
	s_and_saveexec_b64 s[0:1], vcc
	s_cbranch_execnz .LBB3341_84
	s_branch .LBB3341_85
	.section	.rodata,"a",@progbits
	.p2align	6, 0x0
	.amdhsa_kernel _ZN7rocprim17ROCPRIM_400000_NS6detail17trampoline_kernelINS0_14default_configENS1_25partition_config_selectorILNS1_17partition_subalgoE1EiNS0_10empty_typeEbEEZZNS1_14partition_implILS5_1ELb0ES3_jN6thrust23THRUST_200600_302600_NS6detail15normal_iteratorINSA_10device_ptrIiEEEEPS6_NSA_18transform_iteratorI7is_evenIiESF_NSA_11use_defaultESK_EENS0_5tupleIJNSA_16discard_iteratorISK_EESF_EEENSM_IJSG_SG_EEES6_PlJS6_EEE10hipError_tPvRmT3_T4_T5_T6_T7_T9_mT8_P12ihipStream_tbDpT10_ENKUlT_T0_E_clISt17integral_constantIbLb1EES1A_IbLb0EEEEDaS16_S17_EUlS16_E_NS1_11comp_targetILNS1_3genE4ELNS1_11target_archE910ELNS1_3gpuE8ELNS1_3repE0EEENS1_30default_config_static_selectorELNS0_4arch9wavefront6targetE1EEEvT1_
		.amdhsa_group_segment_fixed_size 7176
		.amdhsa_private_segment_fixed_size 0
		.amdhsa_kernarg_size 136
		.amdhsa_user_sgpr_count 6
		.amdhsa_user_sgpr_private_segment_buffer 1
		.amdhsa_user_sgpr_dispatch_ptr 0
		.amdhsa_user_sgpr_queue_ptr 0
		.amdhsa_user_sgpr_kernarg_segment_ptr 1
		.amdhsa_user_sgpr_dispatch_id 0
		.amdhsa_user_sgpr_flat_scratch_init 0
		.amdhsa_user_sgpr_kernarg_preload_length 0
		.amdhsa_user_sgpr_kernarg_preload_offset 0
		.amdhsa_user_sgpr_private_segment_size 0
		.amdhsa_uses_dynamic_stack 0
		.amdhsa_system_sgpr_private_segment_wavefront_offset 0
		.amdhsa_system_sgpr_workgroup_id_x 1
		.amdhsa_system_sgpr_workgroup_id_y 0
		.amdhsa_system_sgpr_workgroup_id_z 0
		.amdhsa_system_sgpr_workgroup_info 0
		.amdhsa_system_vgpr_workitem_id 0
		.amdhsa_next_free_vgpr 47
		.amdhsa_next_free_sgpr 44
		.amdhsa_accum_offset 48
		.amdhsa_reserve_vcc 1
		.amdhsa_reserve_flat_scratch 0
		.amdhsa_float_round_mode_32 0
		.amdhsa_float_round_mode_16_64 0
		.amdhsa_float_denorm_mode_32 3
		.amdhsa_float_denorm_mode_16_64 3
		.amdhsa_dx10_clamp 1
		.amdhsa_ieee_mode 1
		.amdhsa_fp16_overflow 0
		.amdhsa_tg_split 0
		.amdhsa_exception_fp_ieee_invalid_op 0
		.amdhsa_exception_fp_denorm_src 0
		.amdhsa_exception_fp_ieee_div_zero 0
		.amdhsa_exception_fp_ieee_overflow 0
		.amdhsa_exception_fp_ieee_underflow 0
		.amdhsa_exception_fp_ieee_inexact 0
		.amdhsa_exception_int_div_zero 0
	.end_amdhsa_kernel
	.section	.text._ZN7rocprim17ROCPRIM_400000_NS6detail17trampoline_kernelINS0_14default_configENS1_25partition_config_selectorILNS1_17partition_subalgoE1EiNS0_10empty_typeEbEEZZNS1_14partition_implILS5_1ELb0ES3_jN6thrust23THRUST_200600_302600_NS6detail15normal_iteratorINSA_10device_ptrIiEEEEPS6_NSA_18transform_iteratorI7is_evenIiESF_NSA_11use_defaultESK_EENS0_5tupleIJNSA_16discard_iteratorISK_EESF_EEENSM_IJSG_SG_EEES6_PlJS6_EEE10hipError_tPvRmT3_T4_T5_T6_T7_T9_mT8_P12ihipStream_tbDpT10_ENKUlT_T0_E_clISt17integral_constantIbLb1EES1A_IbLb0EEEEDaS16_S17_EUlS16_E_NS1_11comp_targetILNS1_3genE4ELNS1_11target_archE910ELNS1_3gpuE8ELNS1_3repE0EEENS1_30default_config_static_selectorELNS0_4arch9wavefront6targetE1EEEvT1_,"axG",@progbits,_ZN7rocprim17ROCPRIM_400000_NS6detail17trampoline_kernelINS0_14default_configENS1_25partition_config_selectorILNS1_17partition_subalgoE1EiNS0_10empty_typeEbEEZZNS1_14partition_implILS5_1ELb0ES3_jN6thrust23THRUST_200600_302600_NS6detail15normal_iteratorINSA_10device_ptrIiEEEEPS6_NSA_18transform_iteratorI7is_evenIiESF_NSA_11use_defaultESK_EENS0_5tupleIJNSA_16discard_iteratorISK_EESF_EEENSM_IJSG_SG_EEES6_PlJS6_EEE10hipError_tPvRmT3_T4_T5_T6_T7_T9_mT8_P12ihipStream_tbDpT10_ENKUlT_T0_E_clISt17integral_constantIbLb1EES1A_IbLb0EEEEDaS16_S17_EUlS16_E_NS1_11comp_targetILNS1_3genE4ELNS1_11target_archE910ELNS1_3gpuE8ELNS1_3repE0EEENS1_30default_config_static_selectorELNS0_4arch9wavefront6targetE1EEEvT1_,comdat
.Lfunc_end3341:
	.size	_ZN7rocprim17ROCPRIM_400000_NS6detail17trampoline_kernelINS0_14default_configENS1_25partition_config_selectorILNS1_17partition_subalgoE1EiNS0_10empty_typeEbEEZZNS1_14partition_implILS5_1ELb0ES3_jN6thrust23THRUST_200600_302600_NS6detail15normal_iteratorINSA_10device_ptrIiEEEEPS6_NSA_18transform_iteratorI7is_evenIiESF_NSA_11use_defaultESK_EENS0_5tupleIJNSA_16discard_iteratorISK_EESF_EEENSM_IJSG_SG_EEES6_PlJS6_EEE10hipError_tPvRmT3_T4_T5_T6_T7_T9_mT8_P12ihipStream_tbDpT10_ENKUlT_T0_E_clISt17integral_constantIbLb1EES1A_IbLb0EEEEDaS16_S17_EUlS16_E_NS1_11comp_targetILNS1_3genE4ELNS1_11target_archE910ELNS1_3gpuE8ELNS1_3repE0EEENS1_30default_config_static_selectorELNS0_4arch9wavefront6targetE1EEEvT1_, .Lfunc_end3341-_ZN7rocprim17ROCPRIM_400000_NS6detail17trampoline_kernelINS0_14default_configENS1_25partition_config_selectorILNS1_17partition_subalgoE1EiNS0_10empty_typeEbEEZZNS1_14partition_implILS5_1ELb0ES3_jN6thrust23THRUST_200600_302600_NS6detail15normal_iteratorINSA_10device_ptrIiEEEEPS6_NSA_18transform_iteratorI7is_evenIiESF_NSA_11use_defaultESK_EENS0_5tupleIJNSA_16discard_iteratorISK_EESF_EEENSM_IJSG_SG_EEES6_PlJS6_EEE10hipError_tPvRmT3_T4_T5_T6_T7_T9_mT8_P12ihipStream_tbDpT10_ENKUlT_T0_E_clISt17integral_constantIbLb1EES1A_IbLb0EEEEDaS16_S17_EUlS16_E_NS1_11comp_targetILNS1_3genE4ELNS1_11target_archE910ELNS1_3gpuE8ELNS1_3repE0EEENS1_30default_config_static_selectorELNS0_4arch9wavefront6targetE1EEEvT1_
                                        ; -- End function
	.section	.AMDGPU.csdata,"",@progbits
; Kernel info:
; codeLenInByte = 4756
; NumSgprs: 48
; NumVgprs: 47
; NumAgprs: 0
; TotalNumVgprs: 47
; ScratchSize: 0
; MemoryBound: 0
; FloatMode: 240
; IeeeMode: 1
; LDSByteSize: 7176 bytes/workgroup (compile time only)
; SGPRBlocks: 5
; VGPRBlocks: 5
; NumSGPRsForWavesPerEU: 48
; NumVGPRsForWavesPerEU: 47
; AccumOffset: 48
; Occupancy: 8
; WaveLimiterHint : 1
; COMPUTE_PGM_RSRC2:SCRATCH_EN: 0
; COMPUTE_PGM_RSRC2:USER_SGPR: 6
; COMPUTE_PGM_RSRC2:TRAP_HANDLER: 0
; COMPUTE_PGM_RSRC2:TGID_X_EN: 1
; COMPUTE_PGM_RSRC2:TGID_Y_EN: 0
; COMPUTE_PGM_RSRC2:TGID_Z_EN: 0
; COMPUTE_PGM_RSRC2:TIDIG_COMP_CNT: 0
; COMPUTE_PGM_RSRC3_GFX90A:ACCUM_OFFSET: 11
; COMPUTE_PGM_RSRC3_GFX90A:TG_SPLIT: 0
	.section	.text._ZN7rocprim17ROCPRIM_400000_NS6detail17trampoline_kernelINS0_14default_configENS1_25partition_config_selectorILNS1_17partition_subalgoE1EiNS0_10empty_typeEbEEZZNS1_14partition_implILS5_1ELb0ES3_jN6thrust23THRUST_200600_302600_NS6detail15normal_iteratorINSA_10device_ptrIiEEEEPS6_NSA_18transform_iteratorI7is_evenIiESF_NSA_11use_defaultESK_EENS0_5tupleIJNSA_16discard_iteratorISK_EESF_EEENSM_IJSG_SG_EEES6_PlJS6_EEE10hipError_tPvRmT3_T4_T5_T6_T7_T9_mT8_P12ihipStream_tbDpT10_ENKUlT_T0_E_clISt17integral_constantIbLb1EES1A_IbLb0EEEEDaS16_S17_EUlS16_E_NS1_11comp_targetILNS1_3genE3ELNS1_11target_archE908ELNS1_3gpuE7ELNS1_3repE0EEENS1_30default_config_static_selectorELNS0_4arch9wavefront6targetE1EEEvT1_,"axG",@progbits,_ZN7rocprim17ROCPRIM_400000_NS6detail17trampoline_kernelINS0_14default_configENS1_25partition_config_selectorILNS1_17partition_subalgoE1EiNS0_10empty_typeEbEEZZNS1_14partition_implILS5_1ELb0ES3_jN6thrust23THRUST_200600_302600_NS6detail15normal_iteratorINSA_10device_ptrIiEEEEPS6_NSA_18transform_iteratorI7is_evenIiESF_NSA_11use_defaultESK_EENS0_5tupleIJNSA_16discard_iteratorISK_EESF_EEENSM_IJSG_SG_EEES6_PlJS6_EEE10hipError_tPvRmT3_T4_T5_T6_T7_T9_mT8_P12ihipStream_tbDpT10_ENKUlT_T0_E_clISt17integral_constantIbLb1EES1A_IbLb0EEEEDaS16_S17_EUlS16_E_NS1_11comp_targetILNS1_3genE3ELNS1_11target_archE908ELNS1_3gpuE7ELNS1_3repE0EEENS1_30default_config_static_selectorELNS0_4arch9wavefront6targetE1EEEvT1_,comdat
	.protected	_ZN7rocprim17ROCPRIM_400000_NS6detail17trampoline_kernelINS0_14default_configENS1_25partition_config_selectorILNS1_17partition_subalgoE1EiNS0_10empty_typeEbEEZZNS1_14partition_implILS5_1ELb0ES3_jN6thrust23THRUST_200600_302600_NS6detail15normal_iteratorINSA_10device_ptrIiEEEEPS6_NSA_18transform_iteratorI7is_evenIiESF_NSA_11use_defaultESK_EENS0_5tupleIJNSA_16discard_iteratorISK_EESF_EEENSM_IJSG_SG_EEES6_PlJS6_EEE10hipError_tPvRmT3_T4_T5_T6_T7_T9_mT8_P12ihipStream_tbDpT10_ENKUlT_T0_E_clISt17integral_constantIbLb1EES1A_IbLb0EEEEDaS16_S17_EUlS16_E_NS1_11comp_targetILNS1_3genE3ELNS1_11target_archE908ELNS1_3gpuE7ELNS1_3repE0EEENS1_30default_config_static_selectorELNS0_4arch9wavefront6targetE1EEEvT1_ ; -- Begin function _ZN7rocprim17ROCPRIM_400000_NS6detail17trampoline_kernelINS0_14default_configENS1_25partition_config_selectorILNS1_17partition_subalgoE1EiNS0_10empty_typeEbEEZZNS1_14partition_implILS5_1ELb0ES3_jN6thrust23THRUST_200600_302600_NS6detail15normal_iteratorINSA_10device_ptrIiEEEEPS6_NSA_18transform_iteratorI7is_evenIiESF_NSA_11use_defaultESK_EENS0_5tupleIJNSA_16discard_iteratorISK_EESF_EEENSM_IJSG_SG_EEES6_PlJS6_EEE10hipError_tPvRmT3_T4_T5_T6_T7_T9_mT8_P12ihipStream_tbDpT10_ENKUlT_T0_E_clISt17integral_constantIbLb1EES1A_IbLb0EEEEDaS16_S17_EUlS16_E_NS1_11comp_targetILNS1_3genE3ELNS1_11target_archE908ELNS1_3gpuE7ELNS1_3repE0EEENS1_30default_config_static_selectorELNS0_4arch9wavefront6targetE1EEEvT1_
	.globl	_ZN7rocprim17ROCPRIM_400000_NS6detail17trampoline_kernelINS0_14default_configENS1_25partition_config_selectorILNS1_17partition_subalgoE1EiNS0_10empty_typeEbEEZZNS1_14partition_implILS5_1ELb0ES3_jN6thrust23THRUST_200600_302600_NS6detail15normal_iteratorINSA_10device_ptrIiEEEEPS6_NSA_18transform_iteratorI7is_evenIiESF_NSA_11use_defaultESK_EENS0_5tupleIJNSA_16discard_iteratorISK_EESF_EEENSM_IJSG_SG_EEES6_PlJS6_EEE10hipError_tPvRmT3_T4_T5_T6_T7_T9_mT8_P12ihipStream_tbDpT10_ENKUlT_T0_E_clISt17integral_constantIbLb1EES1A_IbLb0EEEEDaS16_S17_EUlS16_E_NS1_11comp_targetILNS1_3genE3ELNS1_11target_archE908ELNS1_3gpuE7ELNS1_3repE0EEENS1_30default_config_static_selectorELNS0_4arch9wavefront6targetE1EEEvT1_
	.p2align	8
	.type	_ZN7rocprim17ROCPRIM_400000_NS6detail17trampoline_kernelINS0_14default_configENS1_25partition_config_selectorILNS1_17partition_subalgoE1EiNS0_10empty_typeEbEEZZNS1_14partition_implILS5_1ELb0ES3_jN6thrust23THRUST_200600_302600_NS6detail15normal_iteratorINSA_10device_ptrIiEEEEPS6_NSA_18transform_iteratorI7is_evenIiESF_NSA_11use_defaultESK_EENS0_5tupleIJNSA_16discard_iteratorISK_EESF_EEENSM_IJSG_SG_EEES6_PlJS6_EEE10hipError_tPvRmT3_T4_T5_T6_T7_T9_mT8_P12ihipStream_tbDpT10_ENKUlT_T0_E_clISt17integral_constantIbLb1EES1A_IbLb0EEEEDaS16_S17_EUlS16_E_NS1_11comp_targetILNS1_3genE3ELNS1_11target_archE908ELNS1_3gpuE7ELNS1_3repE0EEENS1_30default_config_static_selectorELNS0_4arch9wavefront6targetE1EEEvT1_,@function
_ZN7rocprim17ROCPRIM_400000_NS6detail17trampoline_kernelINS0_14default_configENS1_25partition_config_selectorILNS1_17partition_subalgoE1EiNS0_10empty_typeEbEEZZNS1_14partition_implILS5_1ELb0ES3_jN6thrust23THRUST_200600_302600_NS6detail15normal_iteratorINSA_10device_ptrIiEEEEPS6_NSA_18transform_iteratorI7is_evenIiESF_NSA_11use_defaultESK_EENS0_5tupleIJNSA_16discard_iteratorISK_EESF_EEENSM_IJSG_SG_EEES6_PlJS6_EEE10hipError_tPvRmT3_T4_T5_T6_T7_T9_mT8_P12ihipStream_tbDpT10_ENKUlT_T0_E_clISt17integral_constantIbLb1EES1A_IbLb0EEEEDaS16_S17_EUlS16_E_NS1_11comp_targetILNS1_3genE3ELNS1_11target_archE908ELNS1_3gpuE7ELNS1_3repE0EEENS1_30default_config_static_selectorELNS0_4arch9wavefront6targetE1EEEvT1_: ; @_ZN7rocprim17ROCPRIM_400000_NS6detail17trampoline_kernelINS0_14default_configENS1_25partition_config_selectorILNS1_17partition_subalgoE1EiNS0_10empty_typeEbEEZZNS1_14partition_implILS5_1ELb0ES3_jN6thrust23THRUST_200600_302600_NS6detail15normal_iteratorINSA_10device_ptrIiEEEEPS6_NSA_18transform_iteratorI7is_evenIiESF_NSA_11use_defaultESK_EENS0_5tupleIJNSA_16discard_iteratorISK_EESF_EEENSM_IJSG_SG_EEES6_PlJS6_EEE10hipError_tPvRmT3_T4_T5_T6_T7_T9_mT8_P12ihipStream_tbDpT10_ENKUlT_T0_E_clISt17integral_constantIbLb1EES1A_IbLb0EEEEDaS16_S17_EUlS16_E_NS1_11comp_targetILNS1_3genE3ELNS1_11target_archE908ELNS1_3gpuE7ELNS1_3repE0EEENS1_30default_config_static_selectorELNS0_4arch9wavefront6targetE1EEEvT1_
; %bb.0:
	.section	.rodata,"a",@progbits
	.p2align	6, 0x0
	.amdhsa_kernel _ZN7rocprim17ROCPRIM_400000_NS6detail17trampoline_kernelINS0_14default_configENS1_25partition_config_selectorILNS1_17partition_subalgoE1EiNS0_10empty_typeEbEEZZNS1_14partition_implILS5_1ELb0ES3_jN6thrust23THRUST_200600_302600_NS6detail15normal_iteratorINSA_10device_ptrIiEEEEPS6_NSA_18transform_iteratorI7is_evenIiESF_NSA_11use_defaultESK_EENS0_5tupleIJNSA_16discard_iteratorISK_EESF_EEENSM_IJSG_SG_EEES6_PlJS6_EEE10hipError_tPvRmT3_T4_T5_T6_T7_T9_mT8_P12ihipStream_tbDpT10_ENKUlT_T0_E_clISt17integral_constantIbLb1EES1A_IbLb0EEEEDaS16_S17_EUlS16_E_NS1_11comp_targetILNS1_3genE3ELNS1_11target_archE908ELNS1_3gpuE7ELNS1_3repE0EEENS1_30default_config_static_selectorELNS0_4arch9wavefront6targetE1EEEvT1_
		.amdhsa_group_segment_fixed_size 0
		.amdhsa_private_segment_fixed_size 0
		.amdhsa_kernarg_size 136
		.amdhsa_user_sgpr_count 6
		.amdhsa_user_sgpr_private_segment_buffer 1
		.amdhsa_user_sgpr_dispatch_ptr 0
		.amdhsa_user_sgpr_queue_ptr 0
		.amdhsa_user_sgpr_kernarg_segment_ptr 1
		.amdhsa_user_sgpr_dispatch_id 0
		.amdhsa_user_sgpr_flat_scratch_init 0
		.amdhsa_user_sgpr_kernarg_preload_length 0
		.amdhsa_user_sgpr_kernarg_preload_offset 0
		.amdhsa_user_sgpr_private_segment_size 0
		.amdhsa_uses_dynamic_stack 0
		.amdhsa_system_sgpr_private_segment_wavefront_offset 0
		.amdhsa_system_sgpr_workgroup_id_x 1
		.amdhsa_system_sgpr_workgroup_id_y 0
		.amdhsa_system_sgpr_workgroup_id_z 0
		.amdhsa_system_sgpr_workgroup_info 0
		.amdhsa_system_vgpr_workitem_id 0
		.amdhsa_next_free_vgpr 1
		.amdhsa_next_free_sgpr 0
		.amdhsa_accum_offset 4
		.amdhsa_reserve_vcc 0
		.amdhsa_reserve_flat_scratch 0
		.amdhsa_float_round_mode_32 0
		.amdhsa_float_round_mode_16_64 0
		.amdhsa_float_denorm_mode_32 3
		.amdhsa_float_denorm_mode_16_64 3
		.amdhsa_dx10_clamp 1
		.amdhsa_ieee_mode 1
		.amdhsa_fp16_overflow 0
		.amdhsa_tg_split 0
		.amdhsa_exception_fp_ieee_invalid_op 0
		.amdhsa_exception_fp_denorm_src 0
		.amdhsa_exception_fp_ieee_div_zero 0
		.amdhsa_exception_fp_ieee_overflow 0
		.amdhsa_exception_fp_ieee_underflow 0
		.amdhsa_exception_fp_ieee_inexact 0
		.amdhsa_exception_int_div_zero 0
	.end_amdhsa_kernel
	.section	.text._ZN7rocprim17ROCPRIM_400000_NS6detail17trampoline_kernelINS0_14default_configENS1_25partition_config_selectorILNS1_17partition_subalgoE1EiNS0_10empty_typeEbEEZZNS1_14partition_implILS5_1ELb0ES3_jN6thrust23THRUST_200600_302600_NS6detail15normal_iteratorINSA_10device_ptrIiEEEEPS6_NSA_18transform_iteratorI7is_evenIiESF_NSA_11use_defaultESK_EENS0_5tupleIJNSA_16discard_iteratorISK_EESF_EEENSM_IJSG_SG_EEES6_PlJS6_EEE10hipError_tPvRmT3_T4_T5_T6_T7_T9_mT8_P12ihipStream_tbDpT10_ENKUlT_T0_E_clISt17integral_constantIbLb1EES1A_IbLb0EEEEDaS16_S17_EUlS16_E_NS1_11comp_targetILNS1_3genE3ELNS1_11target_archE908ELNS1_3gpuE7ELNS1_3repE0EEENS1_30default_config_static_selectorELNS0_4arch9wavefront6targetE1EEEvT1_,"axG",@progbits,_ZN7rocprim17ROCPRIM_400000_NS6detail17trampoline_kernelINS0_14default_configENS1_25partition_config_selectorILNS1_17partition_subalgoE1EiNS0_10empty_typeEbEEZZNS1_14partition_implILS5_1ELb0ES3_jN6thrust23THRUST_200600_302600_NS6detail15normal_iteratorINSA_10device_ptrIiEEEEPS6_NSA_18transform_iteratorI7is_evenIiESF_NSA_11use_defaultESK_EENS0_5tupleIJNSA_16discard_iteratorISK_EESF_EEENSM_IJSG_SG_EEES6_PlJS6_EEE10hipError_tPvRmT3_T4_T5_T6_T7_T9_mT8_P12ihipStream_tbDpT10_ENKUlT_T0_E_clISt17integral_constantIbLb1EES1A_IbLb0EEEEDaS16_S17_EUlS16_E_NS1_11comp_targetILNS1_3genE3ELNS1_11target_archE908ELNS1_3gpuE7ELNS1_3repE0EEENS1_30default_config_static_selectorELNS0_4arch9wavefront6targetE1EEEvT1_,comdat
.Lfunc_end3342:
	.size	_ZN7rocprim17ROCPRIM_400000_NS6detail17trampoline_kernelINS0_14default_configENS1_25partition_config_selectorILNS1_17partition_subalgoE1EiNS0_10empty_typeEbEEZZNS1_14partition_implILS5_1ELb0ES3_jN6thrust23THRUST_200600_302600_NS6detail15normal_iteratorINSA_10device_ptrIiEEEEPS6_NSA_18transform_iteratorI7is_evenIiESF_NSA_11use_defaultESK_EENS0_5tupleIJNSA_16discard_iteratorISK_EESF_EEENSM_IJSG_SG_EEES6_PlJS6_EEE10hipError_tPvRmT3_T4_T5_T6_T7_T9_mT8_P12ihipStream_tbDpT10_ENKUlT_T0_E_clISt17integral_constantIbLb1EES1A_IbLb0EEEEDaS16_S17_EUlS16_E_NS1_11comp_targetILNS1_3genE3ELNS1_11target_archE908ELNS1_3gpuE7ELNS1_3repE0EEENS1_30default_config_static_selectorELNS0_4arch9wavefront6targetE1EEEvT1_, .Lfunc_end3342-_ZN7rocprim17ROCPRIM_400000_NS6detail17trampoline_kernelINS0_14default_configENS1_25partition_config_selectorILNS1_17partition_subalgoE1EiNS0_10empty_typeEbEEZZNS1_14partition_implILS5_1ELb0ES3_jN6thrust23THRUST_200600_302600_NS6detail15normal_iteratorINSA_10device_ptrIiEEEEPS6_NSA_18transform_iteratorI7is_evenIiESF_NSA_11use_defaultESK_EENS0_5tupleIJNSA_16discard_iteratorISK_EESF_EEENSM_IJSG_SG_EEES6_PlJS6_EEE10hipError_tPvRmT3_T4_T5_T6_T7_T9_mT8_P12ihipStream_tbDpT10_ENKUlT_T0_E_clISt17integral_constantIbLb1EES1A_IbLb0EEEEDaS16_S17_EUlS16_E_NS1_11comp_targetILNS1_3genE3ELNS1_11target_archE908ELNS1_3gpuE7ELNS1_3repE0EEENS1_30default_config_static_selectorELNS0_4arch9wavefront6targetE1EEEvT1_
                                        ; -- End function
	.section	.AMDGPU.csdata,"",@progbits
; Kernel info:
; codeLenInByte = 0
; NumSgprs: 4
; NumVgprs: 0
; NumAgprs: 0
; TotalNumVgprs: 0
; ScratchSize: 0
; MemoryBound: 0
; FloatMode: 240
; IeeeMode: 1
; LDSByteSize: 0 bytes/workgroup (compile time only)
; SGPRBlocks: 0
; VGPRBlocks: 0
; NumSGPRsForWavesPerEU: 4
; NumVGPRsForWavesPerEU: 1
; AccumOffset: 4
; Occupancy: 8
; WaveLimiterHint : 0
; COMPUTE_PGM_RSRC2:SCRATCH_EN: 0
; COMPUTE_PGM_RSRC2:USER_SGPR: 6
; COMPUTE_PGM_RSRC2:TRAP_HANDLER: 0
; COMPUTE_PGM_RSRC2:TGID_X_EN: 1
; COMPUTE_PGM_RSRC2:TGID_Y_EN: 0
; COMPUTE_PGM_RSRC2:TGID_Z_EN: 0
; COMPUTE_PGM_RSRC2:TIDIG_COMP_CNT: 0
; COMPUTE_PGM_RSRC3_GFX90A:ACCUM_OFFSET: 0
; COMPUTE_PGM_RSRC3_GFX90A:TG_SPLIT: 0
	.section	.text._ZN7rocprim17ROCPRIM_400000_NS6detail17trampoline_kernelINS0_14default_configENS1_25partition_config_selectorILNS1_17partition_subalgoE1EiNS0_10empty_typeEbEEZZNS1_14partition_implILS5_1ELb0ES3_jN6thrust23THRUST_200600_302600_NS6detail15normal_iteratorINSA_10device_ptrIiEEEEPS6_NSA_18transform_iteratorI7is_evenIiESF_NSA_11use_defaultESK_EENS0_5tupleIJNSA_16discard_iteratorISK_EESF_EEENSM_IJSG_SG_EEES6_PlJS6_EEE10hipError_tPvRmT3_T4_T5_T6_T7_T9_mT8_P12ihipStream_tbDpT10_ENKUlT_T0_E_clISt17integral_constantIbLb1EES1A_IbLb0EEEEDaS16_S17_EUlS16_E_NS1_11comp_targetILNS1_3genE2ELNS1_11target_archE906ELNS1_3gpuE6ELNS1_3repE0EEENS1_30default_config_static_selectorELNS0_4arch9wavefront6targetE1EEEvT1_,"axG",@progbits,_ZN7rocprim17ROCPRIM_400000_NS6detail17trampoline_kernelINS0_14default_configENS1_25partition_config_selectorILNS1_17partition_subalgoE1EiNS0_10empty_typeEbEEZZNS1_14partition_implILS5_1ELb0ES3_jN6thrust23THRUST_200600_302600_NS6detail15normal_iteratorINSA_10device_ptrIiEEEEPS6_NSA_18transform_iteratorI7is_evenIiESF_NSA_11use_defaultESK_EENS0_5tupleIJNSA_16discard_iteratorISK_EESF_EEENSM_IJSG_SG_EEES6_PlJS6_EEE10hipError_tPvRmT3_T4_T5_T6_T7_T9_mT8_P12ihipStream_tbDpT10_ENKUlT_T0_E_clISt17integral_constantIbLb1EES1A_IbLb0EEEEDaS16_S17_EUlS16_E_NS1_11comp_targetILNS1_3genE2ELNS1_11target_archE906ELNS1_3gpuE6ELNS1_3repE0EEENS1_30default_config_static_selectorELNS0_4arch9wavefront6targetE1EEEvT1_,comdat
	.protected	_ZN7rocprim17ROCPRIM_400000_NS6detail17trampoline_kernelINS0_14default_configENS1_25partition_config_selectorILNS1_17partition_subalgoE1EiNS0_10empty_typeEbEEZZNS1_14partition_implILS5_1ELb0ES3_jN6thrust23THRUST_200600_302600_NS6detail15normal_iteratorINSA_10device_ptrIiEEEEPS6_NSA_18transform_iteratorI7is_evenIiESF_NSA_11use_defaultESK_EENS0_5tupleIJNSA_16discard_iteratorISK_EESF_EEENSM_IJSG_SG_EEES6_PlJS6_EEE10hipError_tPvRmT3_T4_T5_T6_T7_T9_mT8_P12ihipStream_tbDpT10_ENKUlT_T0_E_clISt17integral_constantIbLb1EES1A_IbLb0EEEEDaS16_S17_EUlS16_E_NS1_11comp_targetILNS1_3genE2ELNS1_11target_archE906ELNS1_3gpuE6ELNS1_3repE0EEENS1_30default_config_static_selectorELNS0_4arch9wavefront6targetE1EEEvT1_ ; -- Begin function _ZN7rocprim17ROCPRIM_400000_NS6detail17trampoline_kernelINS0_14default_configENS1_25partition_config_selectorILNS1_17partition_subalgoE1EiNS0_10empty_typeEbEEZZNS1_14partition_implILS5_1ELb0ES3_jN6thrust23THRUST_200600_302600_NS6detail15normal_iteratorINSA_10device_ptrIiEEEEPS6_NSA_18transform_iteratorI7is_evenIiESF_NSA_11use_defaultESK_EENS0_5tupleIJNSA_16discard_iteratorISK_EESF_EEENSM_IJSG_SG_EEES6_PlJS6_EEE10hipError_tPvRmT3_T4_T5_T6_T7_T9_mT8_P12ihipStream_tbDpT10_ENKUlT_T0_E_clISt17integral_constantIbLb1EES1A_IbLb0EEEEDaS16_S17_EUlS16_E_NS1_11comp_targetILNS1_3genE2ELNS1_11target_archE906ELNS1_3gpuE6ELNS1_3repE0EEENS1_30default_config_static_selectorELNS0_4arch9wavefront6targetE1EEEvT1_
	.globl	_ZN7rocprim17ROCPRIM_400000_NS6detail17trampoline_kernelINS0_14default_configENS1_25partition_config_selectorILNS1_17partition_subalgoE1EiNS0_10empty_typeEbEEZZNS1_14partition_implILS5_1ELb0ES3_jN6thrust23THRUST_200600_302600_NS6detail15normal_iteratorINSA_10device_ptrIiEEEEPS6_NSA_18transform_iteratorI7is_evenIiESF_NSA_11use_defaultESK_EENS0_5tupleIJNSA_16discard_iteratorISK_EESF_EEENSM_IJSG_SG_EEES6_PlJS6_EEE10hipError_tPvRmT3_T4_T5_T6_T7_T9_mT8_P12ihipStream_tbDpT10_ENKUlT_T0_E_clISt17integral_constantIbLb1EES1A_IbLb0EEEEDaS16_S17_EUlS16_E_NS1_11comp_targetILNS1_3genE2ELNS1_11target_archE906ELNS1_3gpuE6ELNS1_3repE0EEENS1_30default_config_static_selectorELNS0_4arch9wavefront6targetE1EEEvT1_
	.p2align	8
	.type	_ZN7rocprim17ROCPRIM_400000_NS6detail17trampoline_kernelINS0_14default_configENS1_25partition_config_selectorILNS1_17partition_subalgoE1EiNS0_10empty_typeEbEEZZNS1_14partition_implILS5_1ELb0ES3_jN6thrust23THRUST_200600_302600_NS6detail15normal_iteratorINSA_10device_ptrIiEEEEPS6_NSA_18transform_iteratorI7is_evenIiESF_NSA_11use_defaultESK_EENS0_5tupleIJNSA_16discard_iteratorISK_EESF_EEENSM_IJSG_SG_EEES6_PlJS6_EEE10hipError_tPvRmT3_T4_T5_T6_T7_T9_mT8_P12ihipStream_tbDpT10_ENKUlT_T0_E_clISt17integral_constantIbLb1EES1A_IbLb0EEEEDaS16_S17_EUlS16_E_NS1_11comp_targetILNS1_3genE2ELNS1_11target_archE906ELNS1_3gpuE6ELNS1_3repE0EEENS1_30default_config_static_selectorELNS0_4arch9wavefront6targetE1EEEvT1_,@function
_ZN7rocprim17ROCPRIM_400000_NS6detail17trampoline_kernelINS0_14default_configENS1_25partition_config_selectorILNS1_17partition_subalgoE1EiNS0_10empty_typeEbEEZZNS1_14partition_implILS5_1ELb0ES3_jN6thrust23THRUST_200600_302600_NS6detail15normal_iteratorINSA_10device_ptrIiEEEEPS6_NSA_18transform_iteratorI7is_evenIiESF_NSA_11use_defaultESK_EENS0_5tupleIJNSA_16discard_iteratorISK_EESF_EEENSM_IJSG_SG_EEES6_PlJS6_EEE10hipError_tPvRmT3_T4_T5_T6_T7_T9_mT8_P12ihipStream_tbDpT10_ENKUlT_T0_E_clISt17integral_constantIbLb1EES1A_IbLb0EEEEDaS16_S17_EUlS16_E_NS1_11comp_targetILNS1_3genE2ELNS1_11target_archE906ELNS1_3gpuE6ELNS1_3repE0EEENS1_30default_config_static_selectorELNS0_4arch9wavefront6targetE1EEEvT1_: ; @_ZN7rocprim17ROCPRIM_400000_NS6detail17trampoline_kernelINS0_14default_configENS1_25partition_config_selectorILNS1_17partition_subalgoE1EiNS0_10empty_typeEbEEZZNS1_14partition_implILS5_1ELb0ES3_jN6thrust23THRUST_200600_302600_NS6detail15normal_iteratorINSA_10device_ptrIiEEEEPS6_NSA_18transform_iteratorI7is_evenIiESF_NSA_11use_defaultESK_EENS0_5tupleIJNSA_16discard_iteratorISK_EESF_EEENSM_IJSG_SG_EEES6_PlJS6_EEE10hipError_tPvRmT3_T4_T5_T6_T7_T9_mT8_P12ihipStream_tbDpT10_ENKUlT_T0_E_clISt17integral_constantIbLb1EES1A_IbLb0EEEEDaS16_S17_EUlS16_E_NS1_11comp_targetILNS1_3genE2ELNS1_11target_archE906ELNS1_3gpuE6ELNS1_3repE0EEENS1_30default_config_static_selectorELNS0_4arch9wavefront6targetE1EEEvT1_
; %bb.0:
	.section	.rodata,"a",@progbits
	.p2align	6, 0x0
	.amdhsa_kernel _ZN7rocprim17ROCPRIM_400000_NS6detail17trampoline_kernelINS0_14default_configENS1_25partition_config_selectorILNS1_17partition_subalgoE1EiNS0_10empty_typeEbEEZZNS1_14partition_implILS5_1ELb0ES3_jN6thrust23THRUST_200600_302600_NS6detail15normal_iteratorINSA_10device_ptrIiEEEEPS6_NSA_18transform_iteratorI7is_evenIiESF_NSA_11use_defaultESK_EENS0_5tupleIJNSA_16discard_iteratorISK_EESF_EEENSM_IJSG_SG_EEES6_PlJS6_EEE10hipError_tPvRmT3_T4_T5_T6_T7_T9_mT8_P12ihipStream_tbDpT10_ENKUlT_T0_E_clISt17integral_constantIbLb1EES1A_IbLb0EEEEDaS16_S17_EUlS16_E_NS1_11comp_targetILNS1_3genE2ELNS1_11target_archE906ELNS1_3gpuE6ELNS1_3repE0EEENS1_30default_config_static_selectorELNS0_4arch9wavefront6targetE1EEEvT1_
		.amdhsa_group_segment_fixed_size 0
		.amdhsa_private_segment_fixed_size 0
		.amdhsa_kernarg_size 136
		.amdhsa_user_sgpr_count 6
		.amdhsa_user_sgpr_private_segment_buffer 1
		.amdhsa_user_sgpr_dispatch_ptr 0
		.amdhsa_user_sgpr_queue_ptr 0
		.amdhsa_user_sgpr_kernarg_segment_ptr 1
		.amdhsa_user_sgpr_dispatch_id 0
		.amdhsa_user_sgpr_flat_scratch_init 0
		.amdhsa_user_sgpr_kernarg_preload_length 0
		.amdhsa_user_sgpr_kernarg_preload_offset 0
		.amdhsa_user_sgpr_private_segment_size 0
		.amdhsa_uses_dynamic_stack 0
		.amdhsa_system_sgpr_private_segment_wavefront_offset 0
		.amdhsa_system_sgpr_workgroup_id_x 1
		.amdhsa_system_sgpr_workgroup_id_y 0
		.amdhsa_system_sgpr_workgroup_id_z 0
		.amdhsa_system_sgpr_workgroup_info 0
		.amdhsa_system_vgpr_workitem_id 0
		.amdhsa_next_free_vgpr 1
		.amdhsa_next_free_sgpr 0
		.amdhsa_accum_offset 4
		.amdhsa_reserve_vcc 0
		.amdhsa_reserve_flat_scratch 0
		.amdhsa_float_round_mode_32 0
		.amdhsa_float_round_mode_16_64 0
		.amdhsa_float_denorm_mode_32 3
		.amdhsa_float_denorm_mode_16_64 3
		.amdhsa_dx10_clamp 1
		.amdhsa_ieee_mode 1
		.amdhsa_fp16_overflow 0
		.amdhsa_tg_split 0
		.amdhsa_exception_fp_ieee_invalid_op 0
		.amdhsa_exception_fp_denorm_src 0
		.amdhsa_exception_fp_ieee_div_zero 0
		.amdhsa_exception_fp_ieee_overflow 0
		.amdhsa_exception_fp_ieee_underflow 0
		.amdhsa_exception_fp_ieee_inexact 0
		.amdhsa_exception_int_div_zero 0
	.end_amdhsa_kernel
	.section	.text._ZN7rocprim17ROCPRIM_400000_NS6detail17trampoline_kernelINS0_14default_configENS1_25partition_config_selectorILNS1_17partition_subalgoE1EiNS0_10empty_typeEbEEZZNS1_14partition_implILS5_1ELb0ES3_jN6thrust23THRUST_200600_302600_NS6detail15normal_iteratorINSA_10device_ptrIiEEEEPS6_NSA_18transform_iteratorI7is_evenIiESF_NSA_11use_defaultESK_EENS0_5tupleIJNSA_16discard_iteratorISK_EESF_EEENSM_IJSG_SG_EEES6_PlJS6_EEE10hipError_tPvRmT3_T4_T5_T6_T7_T9_mT8_P12ihipStream_tbDpT10_ENKUlT_T0_E_clISt17integral_constantIbLb1EES1A_IbLb0EEEEDaS16_S17_EUlS16_E_NS1_11comp_targetILNS1_3genE2ELNS1_11target_archE906ELNS1_3gpuE6ELNS1_3repE0EEENS1_30default_config_static_selectorELNS0_4arch9wavefront6targetE1EEEvT1_,"axG",@progbits,_ZN7rocprim17ROCPRIM_400000_NS6detail17trampoline_kernelINS0_14default_configENS1_25partition_config_selectorILNS1_17partition_subalgoE1EiNS0_10empty_typeEbEEZZNS1_14partition_implILS5_1ELb0ES3_jN6thrust23THRUST_200600_302600_NS6detail15normal_iteratorINSA_10device_ptrIiEEEEPS6_NSA_18transform_iteratorI7is_evenIiESF_NSA_11use_defaultESK_EENS0_5tupleIJNSA_16discard_iteratorISK_EESF_EEENSM_IJSG_SG_EEES6_PlJS6_EEE10hipError_tPvRmT3_T4_T5_T6_T7_T9_mT8_P12ihipStream_tbDpT10_ENKUlT_T0_E_clISt17integral_constantIbLb1EES1A_IbLb0EEEEDaS16_S17_EUlS16_E_NS1_11comp_targetILNS1_3genE2ELNS1_11target_archE906ELNS1_3gpuE6ELNS1_3repE0EEENS1_30default_config_static_selectorELNS0_4arch9wavefront6targetE1EEEvT1_,comdat
.Lfunc_end3343:
	.size	_ZN7rocprim17ROCPRIM_400000_NS6detail17trampoline_kernelINS0_14default_configENS1_25partition_config_selectorILNS1_17partition_subalgoE1EiNS0_10empty_typeEbEEZZNS1_14partition_implILS5_1ELb0ES3_jN6thrust23THRUST_200600_302600_NS6detail15normal_iteratorINSA_10device_ptrIiEEEEPS6_NSA_18transform_iteratorI7is_evenIiESF_NSA_11use_defaultESK_EENS0_5tupleIJNSA_16discard_iteratorISK_EESF_EEENSM_IJSG_SG_EEES6_PlJS6_EEE10hipError_tPvRmT3_T4_T5_T6_T7_T9_mT8_P12ihipStream_tbDpT10_ENKUlT_T0_E_clISt17integral_constantIbLb1EES1A_IbLb0EEEEDaS16_S17_EUlS16_E_NS1_11comp_targetILNS1_3genE2ELNS1_11target_archE906ELNS1_3gpuE6ELNS1_3repE0EEENS1_30default_config_static_selectorELNS0_4arch9wavefront6targetE1EEEvT1_, .Lfunc_end3343-_ZN7rocprim17ROCPRIM_400000_NS6detail17trampoline_kernelINS0_14default_configENS1_25partition_config_selectorILNS1_17partition_subalgoE1EiNS0_10empty_typeEbEEZZNS1_14partition_implILS5_1ELb0ES3_jN6thrust23THRUST_200600_302600_NS6detail15normal_iteratorINSA_10device_ptrIiEEEEPS6_NSA_18transform_iteratorI7is_evenIiESF_NSA_11use_defaultESK_EENS0_5tupleIJNSA_16discard_iteratorISK_EESF_EEENSM_IJSG_SG_EEES6_PlJS6_EEE10hipError_tPvRmT3_T4_T5_T6_T7_T9_mT8_P12ihipStream_tbDpT10_ENKUlT_T0_E_clISt17integral_constantIbLb1EES1A_IbLb0EEEEDaS16_S17_EUlS16_E_NS1_11comp_targetILNS1_3genE2ELNS1_11target_archE906ELNS1_3gpuE6ELNS1_3repE0EEENS1_30default_config_static_selectorELNS0_4arch9wavefront6targetE1EEEvT1_
                                        ; -- End function
	.section	.AMDGPU.csdata,"",@progbits
; Kernel info:
; codeLenInByte = 0
; NumSgprs: 4
; NumVgprs: 0
; NumAgprs: 0
; TotalNumVgprs: 0
; ScratchSize: 0
; MemoryBound: 0
; FloatMode: 240
; IeeeMode: 1
; LDSByteSize: 0 bytes/workgroup (compile time only)
; SGPRBlocks: 0
; VGPRBlocks: 0
; NumSGPRsForWavesPerEU: 4
; NumVGPRsForWavesPerEU: 1
; AccumOffset: 4
; Occupancy: 8
; WaveLimiterHint : 0
; COMPUTE_PGM_RSRC2:SCRATCH_EN: 0
; COMPUTE_PGM_RSRC2:USER_SGPR: 6
; COMPUTE_PGM_RSRC2:TRAP_HANDLER: 0
; COMPUTE_PGM_RSRC2:TGID_X_EN: 1
; COMPUTE_PGM_RSRC2:TGID_Y_EN: 0
; COMPUTE_PGM_RSRC2:TGID_Z_EN: 0
; COMPUTE_PGM_RSRC2:TIDIG_COMP_CNT: 0
; COMPUTE_PGM_RSRC3_GFX90A:ACCUM_OFFSET: 0
; COMPUTE_PGM_RSRC3_GFX90A:TG_SPLIT: 0
	.section	.text._ZN7rocprim17ROCPRIM_400000_NS6detail17trampoline_kernelINS0_14default_configENS1_25partition_config_selectorILNS1_17partition_subalgoE1EiNS0_10empty_typeEbEEZZNS1_14partition_implILS5_1ELb0ES3_jN6thrust23THRUST_200600_302600_NS6detail15normal_iteratorINSA_10device_ptrIiEEEEPS6_NSA_18transform_iteratorI7is_evenIiESF_NSA_11use_defaultESK_EENS0_5tupleIJNSA_16discard_iteratorISK_EESF_EEENSM_IJSG_SG_EEES6_PlJS6_EEE10hipError_tPvRmT3_T4_T5_T6_T7_T9_mT8_P12ihipStream_tbDpT10_ENKUlT_T0_E_clISt17integral_constantIbLb1EES1A_IbLb0EEEEDaS16_S17_EUlS16_E_NS1_11comp_targetILNS1_3genE10ELNS1_11target_archE1200ELNS1_3gpuE4ELNS1_3repE0EEENS1_30default_config_static_selectorELNS0_4arch9wavefront6targetE1EEEvT1_,"axG",@progbits,_ZN7rocprim17ROCPRIM_400000_NS6detail17trampoline_kernelINS0_14default_configENS1_25partition_config_selectorILNS1_17partition_subalgoE1EiNS0_10empty_typeEbEEZZNS1_14partition_implILS5_1ELb0ES3_jN6thrust23THRUST_200600_302600_NS6detail15normal_iteratorINSA_10device_ptrIiEEEEPS6_NSA_18transform_iteratorI7is_evenIiESF_NSA_11use_defaultESK_EENS0_5tupleIJNSA_16discard_iteratorISK_EESF_EEENSM_IJSG_SG_EEES6_PlJS6_EEE10hipError_tPvRmT3_T4_T5_T6_T7_T9_mT8_P12ihipStream_tbDpT10_ENKUlT_T0_E_clISt17integral_constantIbLb1EES1A_IbLb0EEEEDaS16_S17_EUlS16_E_NS1_11comp_targetILNS1_3genE10ELNS1_11target_archE1200ELNS1_3gpuE4ELNS1_3repE0EEENS1_30default_config_static_selectorELNS0_4arch9wavefront6targetE1EEEvT1_,comdat
	.protected	_ZN7rocprim17ROCPRIM_400000_NS6detail17trampoline_kernelINS0_14default_configENS1_25partition_config_selectorILNS1_17partition_subalgoE1EiNS0_10empty_typeEbEEZZNS1_14partition_implILS5_1ELb0ES3_jN6thrust23THRUST_200600_302600_NS6detail15normal_iteratorINSA_10device_ptrIiEEEEPS6_NSA_18transform_iteratorI7is_evenIiESF_NSA_11use_defaultESK_EENS0_5tupleIJNSA_16discard_iteratorISK_EESF_EEENSM_IJSG_SG_EEES6_PlJS6_EEE10hipError_tPvRmT3_T4_T5_T6_T7_T9_mT8_P12ihipStream_tbDpT10_ENKUlT_T0_E_clISt17integral_constantIbLb1EES1A_IbLb0EEEEDaS16_S17_EUlS16_E_NS1_11comp_targetILNS1_3genE10ELNS1_11target_archE1200ELNS1_3gpuE4ELNS1_3repE0EEENS1_30default_config_static_selectorELNS0_4arch9wavefront6targetE1EEEvT1_ ; -- Begin function _ZN7rocprim17ROCPRIM_400000_NS6detail17trampoline_kernelINS0_14default_configENS1_25partition_config_selectorILNS1_17partition_subalgoE1EiNS0_10empty_typeEbEEZZNS1_14partition_implILS5_1ELb0ES3_jN6thrust23THRUST_200600_302600_NS6detail15normal_iteratorINSA_10device_ptrIiEEEEPS6_NSA_18transform_iteratorI7is_evenIiESF_NSA_11use_defaultESK_EENS0_5tupleIJNSA_16discard_iteratorISK_EESF_EEENSM_IJSG_SG_EEES6_PlJS6_EEE10hipError_tPvRmT3_T4_T5_T6_T7_T9_mT8_P12ihipStream_tbDpT10_ENKUlT_T0_E_clISt17integral_constantIbLb1EES1A_IbLb0EEEEDaS16_S17_EUlS16_E_NS1_11comp_targetILNS1_3genE10ELNS1_11target_archE1200ELNS1_3gpuE4ELNS1_3repE0EEENS1_30default_config_static_selectorELNS0_4arch9wavefront6targetE1EEEvT1_
	.globl	_ZN7rocprim17ROCPRIM_400000_NS6detail17trampoline_kernelINS0_14default_configENS1_25partition_config_selectorILNS1_17partition_subalgoE1EiNS0_10empty_typeEbEEZZNS1_14partition_implILS5_1ELb0ES3_jN6thrust23THRUST_200600_302600_NS6detail15normal_iteratorINSA_10device_ptrIiEEEEPS6_NSA_18transform_iteratorI7is_evenIiESF_NSA_11use_defaultESK_EENS0_5tupleIJNSA_16discard_iteratorISK_EESF_EEENSM_IJSG_SG_EEES6_PlJS6_EEE10hipError_tPvRmT3_T4_T5_T6_T7_T9_mT8_P12ihipStream_tbDpT10_ENKUlT_T0_E_clISt17integral_constantIbLb1EES1A_IbLb0EEEEDaS16_S17_EUlS16_E_NS1_11comp_targetILNS1_3genE10ELNS1_11target_archE1200ELNS1_3gpuE4ELNS1_3repE0EEENS1_30default_config_static_selectorELNS0_4arch9wavefront6targetE1EEEvT1_
	.p2align	8
	.type	_ZN7rocprim17ROCPRIM_400000_NS6detail17trampoline_kernelINS0_14default_configENS1_25partition_config_selectorILNS1_17partition_subalgoE1EiNS0_10empty_typeEbEEZZNS1_14partition_implILS5_1ELb0ES3_jN6thrust23THRUST_200600_302600_NS6detail15normal_iteratorINSA_10device_ptrIiEEEEPS6_NSA_18transform_iteratorI7is_evenIiESF_NSA_11use_defaultESK_EENS0_5tupleIJNSA_16discard_iteratorISK_EESF_EEENSM_IJSG_SG_EEES6_PlJS6_EEE10hipError_tPvRmT3_T4_T5_T6_T7_T9_mT8_P12ihipStream_tbDpT10_ENKUlT_T0_E_clISt17integral_constantIbLb1EES1A_IbLb0EEEEDaS16_S17_EUlS16_E_NS1_11comp_targetILNS1_3genE10ELNS1_11target_archE1200ELNS1_3gpuE4ELNS1_3repE0EEENS1_30default_config_static_selectorELNS0_4arch9wavefront6targetE1EEEvT1_,@function
_ZN7rocprim17ROCPRIM_400000_NS6detail17trampoline_kernelINS0_14default_configENS1_25partition_config_selectorILNS1_17partition_subalgoE1EiNS0_10empty_typeEbEEZZNS1_14partition_implILS5_1ELb0ES3_jN6thrust23THRUST_200600_302600_NS6detail15normal_iteratorINSA_10device_ptrIiEEEEPS6_NSA_18transform_iteratorI7is_evenIiESF_NSA_11use_defaultESK_EENS0_5tupleIJNSA_16discard_iteratorISK_EESF_EEENSM_IJSG_SG_EEES6_PlJS6_EEE10hipError_tPvRmT3_T4_T5_T6_T7_T9_mT8_P12ihipStream_tbDpT10_ENKUlT_T0_E_clISt17integral_constantIbLb1EES1A_IbLb0EEEEDaS16_S17_EUlS16_E_NS1_11comp_targetILNS1_3genE10ELNS1_11target_archE1200ELNS1_3gpuE4ELNS1_3repE0EEENS1_30default_config_static_selectorELNS0_4arch9wavefront6targetE1EEEvT1_: ; @_ZN7rocprim17ROCPRIM_400000_NS6detail17trampoline_kernelINS0_14default_configENS1_25partition_config_selectorILNS1_17partition_subalgoE1EiNS0_10empty_typeEbEEZZNS1_14partition_implILS5_1ELb0ES3_jN6thrust23THRUST_200600_302600_NS6detail15normal_iteratorINSA_10device_ptrIiEEEEPS6_NSA_18transform_iteratorI7is_evenIiESF_NSA_11use_defaultESK_EENS0_5tupleIJNSA_16discard_iteratorISK_EESF_EEENSM_IJSG_SG_EEES6_PlJS6_EEE10hipError_tPvRmT3_T4_T5_T6_T7_T9_mT8_P12ihipStream_tbDpT10_ENKUlT_T0_E_clISt17integral_constantIbLb1EES1A_IbLb0EEEEDaS16_S17_EUlS16_E_NS1_11comp_targetILNS1_3genE10ELNS1_11target_archE1200ELNS1_3gpuE4ELNS1_3repE0EEENS1_30default_config_static_selectorELNS0_4arch9wavefront6targetE1EEEvT1_
; %bb.0:
	.section	.rodata,"a",@progbits
	.p2align	6, 0x0
	.amdhsa_kernel _ZN7rocprim17ROCPRIM_400000_NS6detail17trampoline_kernelINS0_14default_configENS1_25partition_config_selectorILNS1_17partition_subalgoE1EiNS0_10empty_typeEbEEZZNS1_14partition_implILS5_1ELb0ES3_jN6thrust23THRUST_200600_302600_NS6detail15normal_iteratorINSA_10device_ptrIiEEEEPS6_NSA_18transform_iteratorI7is_evenIiESF_NSA_11use_defaultESK_EENS0_5tupleIJNSA_16discard_iteratorISK_EESF_EEENSM_IJSG_SG_EEES6_PlJS6_EEE10hipError_tPvRmT3_T4_T5_T6_T7_T9_mT8_P12ihipStream_tbDpT10_ENKUlT_T0_E_clISt17integral_constantIbLb1EES1A_IbLb0EEEEDaS16_S17_EUlS16_E_NS1_11comp_targetILNS1_3genE10ELNS1_11target_archE1200ELNS1_3gpuE4ELNS1_3repE0EEENS1_30default_config_static_selectorELNS0_4arch9wavefront6targetE1EEEvT1_
		.amdhsa_group_segment_fixed_size 0
		.amdhsa_private_segment_fixed_size 0
		.amdhsa_kernarg_size 136
		.amdhsa_user_sgpr_count 6
		.amdhsa_user_sgpr_private_segment_buffer 1
		.amdhsa_user_sgpr_dispatch_ptr 0
		.amdhsa_user_sgpr_queue_ptr 0
		.amdhsa_user_sgpr_kernarg_segment_ptr 1
		.amdhsa_user_sgpr_dispatch_id 0
		.amdhsa_user_sgpr_flat_scratch_init 0
		.amdhsa_user_sgpr_kernarg_preload_length 0
		.amdhsa_user_sgpr_kernarg_preload_offset 0
		.amdhsa_user_sgpr_private_segment_size 0
		.amdhsa_uses_dynamic_stack 0
		.amdhsa_system_sgpr_private_segment_wavefront_offset 0
		.amdhsa_system_sgpr_workgroup_id_x 1
		.amdhsa_system_sgpr_workgroup_id_y 0
		.amdhsa_system_sgpr_workgroup_id_z 0
		.amdhsa_system_sgpr_workgroup_info 0
		.amdhsa_system_vgpr_workitem_id 0
		.amdhsa_next_free_vgpr 1
		.amdhsa_next_free_sgpr 0
		.amdhsa_accum_offset 4
		.amdhsa_reserve_vcc 0
		.amdhsa_reserve_flat_scratch 0
		.amdhsa_float_round_mode_32 0
		.amdhsa_float_round_mode_16_64 0
		.amdhsa_float_denorm_mode_32 3
		.amdhsa_float_denorm_mode_16_64 3
		.amdhsa_dx10_clamp 1
		.amdhsa_ieee_mode 1
		.amdhsa_fp16_overflow 0
		.amdhsa_tg_split 0
		.amdhsa_exception_fp_ieee_invalid_op 0
		.amdhsa_exception_fp_denorm_src 0
		.amdhsa_exception_fp_ieee_div_zero 0
		.amdhsa_exception_fp_ieee_overflow 0
		.amdhsa_exception_fp_ieee_underflow 0
		.amdhsa_exception_fp_ieee_inexact 0
		.amdhsa_exception_int_div_zero 0
	.end_amdhsa_kernel
	.section	.text._ZN7rocprim17ROCPRIM_400000_NS6detail17trampoline_kernelINS0_14default_configENS1_25partition_config_selectorILNS1_17partition_subalgoE1EiNS0_10empty_typeEbEEZZNS1_14partition_implILS5_1ELb0ES3_jN6thrust23THRUST_200600_302600_NS6detail15normal_iteratorINSA_10device_ptrIiEEEEPS6_NSA_18transform_iteratorI7is_evenIiESF_NSA_11use_defaultESK_EENS0_5tupleIJNSA_16discard_iteratorISK_EESF_EEENSM_IJSG_SG_EEES6_PlJS6_EEE10hipError_tPvRmT3_T4_T5_T6_T7_T9_mT8_P12ihipStream_tbDpT10_ENKUlT_T0_E_clISt17integral_constantIbLb1EES1A_IbLb0EEEEDaS16_S17_EUlS16_E_NS1_11comp_targetILNS1_3genE10ELNS1_11target_archE1200ELNS1_3gpuE4ELNS1_3repE0EEENS1_30default_config_static_selectorELNS0_4arch9wavefront6targetE1EEEvT1_,"axG",@progbits,_ZN7rocprim17ROCPRIM_400000_NS6detail17trampoline_kernelINS0_14default_configENS1_25partition_config_selectorILNS1_17partition_subalgoE1EiNS0_10empty_typeEbEEZZNS1_14partition_implILS5_1ELb0ES3_jN6thrust23THRUST_200600_302600_NS6detail15normal_iteratorINSA_10device_ptrIiEEEEPS6_NSA_18transform_iteratorI7is_evenIiESF_NSA_11use_defaultESK_EENS0_5tupleIJNSA_16discard_iteratorISK_EESF_EEENSM_IJSG_SG_EEES6_PlJS6_EEE10hipError_tPvRmT3_T4_T5_T6_T7_T9_mT8_P12ihipStream_tbDpT10_ENKUlT_T0_E_clISt17integral_constantIbLb1EES1A_IbLb0EEEEDaS16_S17_EUlS16_E_NS1_11comp_targetILNS1_3genE10ELNS1_11target_archE1200ELNS1_3gpuE4ELNS1_3repE0EEENS1_30default_config_static_selectorELNS0_4arch9wavefront6targetE1EEEvT1_,comdat
.Lfunc_end3344:
	.size	_ZN7rocprim17ROCPRIM_400000_NS6detail17trampoline_kernelINS0_14default_configENS1_25partition_config_selectorILNS1_17partition_subalgoE1EiNS0_10empty_typeEbEEZZNS1_14partition_implILS5_1ELb0ES3_jN6thrust23THRUST_200600_302600_NS6detail15normal_iteratorINSA_10device_ptrIiEEEEPS6_NSA_18transform_iteratorI7is_evenIiESF_NSA_11use_defaultESK_EENS0_5tupleIJNSA_16discard_iteratorISK_EESF_EEENSM_IJSG_SG_EEES6_PlJS6_EEE10hipError_tPvRmT3_T4_T5_T6_T7_T9_mT8_P12ihipStream_tbDpT10_ENKUlT_T0_E_clISt17integral_constantIbLb1EES1A_IbLb0EEEEDaS16_S17_EUlS16_E_NS1_11comp_targetILNS1_3genE10ELNS1_11target_archE1200ELNS1_3gpuE4ELNS1_3repE0EEENS1_30default_config_static_selectorELNS0_4arch9wavefront6targetE1EEEvT1_, .Lfunc_end3344-_ZN7rocprim17ROCPRIM_400000_NS6detail17trampoline_kernelINS0_14default_configENS1_25partition_config_selectorILNS1_17partition_subalgoE1EiNS0_10empty_typeEbEEZZNS1_14partition_implILS5_1ELb0ES3_jN6thrust23THRUST_200600_302600_NS6detail15normal_iteratorINSA_10device_ptrIiEEEEPS6_NSA_18transform_iteratorI7is_evenIiESF_NSA_11use_defaultESK_EENS0_5tupleIJNSA_16discard_iteratorISK_EESF_EEENSM_IJSG_SG_EEES6_PlJS6_EEE10hipError_tPvRmT3_T4_T5_T6_T7_T9_mT8_P12ihipStream_tbDpT10_ENKUlT_T0_E_clISt17integral_constantIbLb1EES1A_IbLb0EEEEDaS16_S17_EUlS16_E_NS1_11comp_targetILNS1_3genE10ELNS1_11target_archE1200ELNS1_3gpuE4ELNS1_3repE0EEENS1_30default_config_static_selectorELNS0_4arch9wavefront6targetE1EEEvT1_
                                        ; -- End function
	.section	.AMDGPU.csdata,"",@progbits
; Kernel info:
; codeLenInByte = 0
; NumSgprs: 4
; NumVgprs: 0
; NumAgprs: 0
; TotalNumVgprs: 0
; ScratchSize: 0
; MemoryBound: 0
; FloatMode: 240
; IeeeMode: 1
; LDSByteSize: 0 bytes/workgroup (compile time only)
; SGPRBlocks: 0
; VGPRBlocks: 0
; NumSGPRsForWavesPerEU: 4
; NumVGPRsForWavesPerEU: 1
; AccumOffset: 4
; Occupancy: 8
; WaveLimiterHint : 0
; COMPUTE_PGM_RSRC2:SCRATCH_EN: 0
; COMPUTE_PGM_RSRC2:USER_SGPR: 6
; COMPUTE_PGM_RSRC2:TRAP_HANDLER: 0
; COMPUTE_PGM_RSRC2:TGID_X_EN: 1
; COMPUTE_PGM_RSRC2:TGID_Y_EN: 0
; COMPUTE_PGM_RSRC2:TGID_Z_EN: 0
; COMPUTE_PGM_RSRC2:TIDIG_COMP_CNT: 0
; COMPUTE_PGM_RSRC3_GFX90A:ACCUM_OFFSET: 0
; COMPUTE_PGM_RSRC3_GFX90A:TG_SPLIT: 0
	.section	.text._ZN7rocprim17ROCPRIM_400000_NS6detail17trampoline_kernelINS0_14default_configENS1_25partition_config_selectorILNS1_17partition_subalgoE1EiNS0_10empty_typeEbEEZZNS1_14partition_implILS5_1ELb0ES3_jN6thrust23THRUST_200600_302600_NS6detail15normal_iteratorINSA_10device_ptrIiEEEEPS6_NSA_18transform_iteratorI7is_evenIiESF_NSA_11use_defaultESK_EENS0_5tupleIJNSA_16discard_iteratorISK_EESF_EEENSM_IJSG_SG_EEES6_PlJS6_EEE10hipError_tPvRmT3_T4_T5_T6_T7_T9_mT8_P12ihipStream_tbDpT10_ENKUlT_T0_E_clISt17integral_constantIbLb1EES1A_IbLb0EEEEDaS16_S17_EUlS16_E_NS1_11comp_targetILNS1_3genE9ELNS1_11target_archE1100ELNS1_3gpuE3ELNS1_3repE0EEENS1_30default_config_static_selectorELNS0_4arch9wavefront6targetE1EEEvT1_,"axG",@progbits,_ZN7rocprim17ROCPRIM_400000_NS6detail17trampoline_kernelINS0_14default_configENS1_25partition_config_selectorILNS1_17partition_subalgoE1EiNS0_10empty_typeEbEEZZNS1_14partition_implILS5_1ELb0ES3_jN6thrust23THRUST_200600_302600_NS6detail15normal_iteratorINSA_10device_ptrIiEEEEPS6_NSA_18transform_iteratorI7is_evenIiESF_NSA_11use_defaultESK_EENS0_5tupleIJNSA_16discard_iteratorISK_EESF_EEENSM_IJSG_SG_EEES6_PlJS6_EEE10hipError_tPvRmT3_T4_T5_T6_T7_T9_mT8_P12ihipStream_tbDpT10_ENKUlT_T0_E_clISt17integral_constantIbLb1EES1A_IbLb0EEEEDaS16_S17_EUlS16_E_NS1_11comp_targetILNS1_3genE9ELNS1_11target_archE1100ELNS1_3gpuE3ELNS1_3repE0EEENS1_30default_config_static_selectorELNS0_4arch9wavefront6targetE1EEEvT1_,comdat
	.protected	_ZN7rocprim17ROCPRIM_400000_NS6detail17trampoline_kernelINS0_14default_configENS1_25partition_config_selectorILNS1_17partition_subalgoE1EiNS0_10empty_typeEbEEZZNS1_14partition_implILS5_1ELb0ES3_jN6thrust23THRUST_200600_302600_NS6detail15normal_iteratorINSA_10device_ptrIiEEEEPS6_NSA_18transform_iteratorI7is_evenIiESF_NSA_11use_defaultESK_EENS0_5tupleIJNSA_16discard_iteratorISK_EESF_EEENSM_IJSG_SG_EEES6_PlJS6_EEE10hipError_tPvRmT3_T4_T5_T6_T7_T9_mT8_P12ihipStream_tbDpT10_ENKUlT_T0_E_clISt17integral_constantIbLb1EES1A_IbLb0EEEEDaS16_S17_EUlS16_E_NS1_11comp_targetILNS1_3genE9ELNS1_11target_archE1100ELNS1_3gpuE3ELNS1_3repE0EEENS1_30default_config_static_selectorELNS0_4arch9wavefront6targetE1EEEvT1_ ; -- Begin function _ZN7rocprim17ROCPRIM_400000_NS6detail17trampoline_kernelINS0_14default_configENS1_25partition_config_selectorILNS1_17partition_subalgoE1EiNS0_10empty_typeEbEEZZNS1_14partition_implILS5_1ELb0ES3_jN6thrust23THRUST_200600_302600_NS6detail15normal_iteratorINSA_10device_ptrIiEEEEPS6_NSA_18transform_iteratorI7is_evenIiESF_NSA_11use_defaultESK_EENS0_5tupleIJNSA_16discard_iteratorISK_EESF_EEENSM_IJSG_SG_EEES6_PlJS6_EEE10hipError_tPvRmT3_T4_T5_T6_T7_T9_mT8_P12ihipStream_tbDpT10_ENKUlT_T0_E_clISt17integral_constantIbLb1EES1A_IbLb0EEEEDaS16_S17_EUlS16_E_NS1_11comp_targetILNS1_3genE9ELNS1_11target_archE1100ELNS1_3gpuE3ELNS1_3repE0EEENS1_30default_config_static_selectorELNS0_4arch9wavefront6targetE1EEEvT1_
	.globl	_ZN7rocprim17ROCPRIM_400000_NS6detail17trampoline_kernelINS0_14default_configENS1_25partition_config_selectorILNS1_17partition_subalgoE1EiNS0_10empty_typeEbEEZZNS1_14partition_implILS5_1ELb0ES3_jN6thrust23THRUST_200600_302600_NS6detail15normal_iteratorINSA_10device_ptrIiEEEEPS6_NSA_18transform_iteratorI7is_evenIiESF_NSA_11use_defaultESK_EENS0_5tupleIJNSA_16discard_iteratorISK_EESF_EEENSM_IJSG_SG_EEES6_PlJS6_EEE10hipError_tPvRmT3_T4_T5_T6_T7_T9_mT8_P12ihipStream_tbDpT10_ENKUlT_T0_E_clISt17integral_constantIbLb1EES1A_IbLb0EEEEDaS16_S17_EUlS16_E_NS1_11comp_targetILNS1_3genE9ELNS1_11target_archE1100ELNS1_3gpuE3ELNS1_3repE0EEENS1_30default_config_static_selectorELNS0_4arch9wavefront6targetE1EEEvT1_
	.p2align	8
	.type	_ZN7rocprim17ROCPRIM_400000_NS6detail17trampoline_kernelINS0_14default_configENS1_25partition_config_selectorILNS1_17partition_subalgoE1EiNS0_10empty_typeEbEEZZNS1_14partition_implILS5_1ELb0ES3_jN6thrust23THRUST_200600_302600_NS6detail15normal_iteratorINSA_10device_ptrIiEEEEPS6_NSA_18transform_iteratorI7is_evenIiESF_NSA_11use_defaultESK_EENS0_5tupleIJNSA_16discard_iteratorISK_EESF_EEENSM_IJSG_SG_EEES6_PlJS6_EEE10hipError_tPvRmT3_T4_T5_T6_T7_T9_mT8_P12ihipStream_tbDpT10_ENKUlT_T0_E_clISt17integral_constantIbLb1EES1A_IbLb0EEEEDaS16_S17_EUlS16_E_NS1_11comp_targetILNS1_3genE9ELNS1_11target_archE1100ELNS1_3gpuE3ELNS1_3repE0EEENS1_30default_config_static_selectorELNS0_4arch9wavefront6targetE1EEEvT1_,@function
_ZN7rocprim17ROCPRIM_400000_NS6detail17trampoline_kernelINS0_14default_configENS1_25partition_config_selectorILNS1_17partition_subalgoE1EiNS0_10empty_typeEbEEZZNS1_14partition_implILS5_1ELb0ES3_jN6thrust23THRUST_200600_302600_NS6detail15normal_iteratorINSA_10device_ptrIiEEEEPS6_NSA_18transform_iteratorI7is_evenIiESF_NSA_11use_defaultESK_EENS0_5tupleIJNSA_16discard_iteratorISK_EESF_EEENSM_IJSG_SG_EEES6_PlJS6_EEE10hipError_tPvRmT3_T4_T5_T6_T7_T9_mT8_P12ihipStream_tbDpT10_ENKUlT_T0_E_clISt17integral_constantIbLb1EES1A_IbLb0EEEEDaS16_S17_EUlS16_E_NS1_11comp_targetILNS1_3genE9ELNS1_11target_archE1100ELNS1_3gpuE3ELNS1_3repE0EEENS1_30default_config_static_selectorELNS0_4arch9wavefront6targetE1EEEvT1_: ; @_ZN7rocprim17ROCPRIM_400000_NS6detail17trampoline_kernelINS0_14default_configENS1_25partition_config_selectorILNS1_17partition_subalgoE1EiNS0_10empty_typeEbEEZZNS1_14partition_implILS5_1ELb0ES3_jN6thrust23THRUST_200600_302600_NS6detail15normal_iteratorINSA_10device_ptrIiEEEEPS6_NSA_18transform_iteratorI7is_evenIiESF_NSA_11use_defaultESK_EENS0_5tupleIJNSA_16discard_iteratorISK_EESF_EEENSM_IJSG_SG_EEES6_PlJS6_EEE10hipError_tPvRmT3_T4_T5_T6_T7_T9_mT8_P12ihipStream_tbDpT10_ENKUlT_T0_E_clISt17integral_constantIbLb1EES1A_IbLb0EEEEDaS16_S17_EUlS16_E_NS1_11comp_targetILNS1_3genE9ELNS1_11target_archE1100ELNS1_3gpuE3ELNS1_3repE0EEENS1_30default_config_static_selectorELNS0_4arch9wavefront6targetE1EEEvT1_
; %bb.0:
	.section	.rodata,"a",@progbits
	.p2align	6, 0x0
	.amdhsa_kernel _ZN7rocprim17ROCPRIM_400000_NS6detail17trampoline_kernelINS0_14default_configENS1_25partition_config_selectorILNS1_17partition_subalgoE1EiNS0_10empty_typeEbEEZZNS1_14partition_implILS5_1ELb0ES3_jN6thrust23THRUST_200600_302600_NS6detail15normal_iteratorINSA_10device_ptrIiEEEEPS6_NSA_18transform_iteratorI7is_evenIiESF_NSA_11use_defaultESK_EENS0_5tupleIJNSA_16discard_iteratorISK_EESF_EEENSM_IJSG_SG_EEES6_PlJS6_EEE10hipError_tPvRmT3_T4_T5_T6_T7_T9_mT8_P12ihipStream_tbDpT10_ENKUlT_T0_E_clISt17integral_constantIbLb1EES1A_IbLb0EEEEDaS16_S17_EUlS16_E_NS1_11comp_targetILNS1_3genE9ELNS1_11target_archE1100ELNS1_3gpuE3ELNS1_3repE0EEENS1_30default_config_static_selectorELNS0_4arch9wavefront6targetE1EEEvT1_
		.amdhsa_group_segment_fixed_size 0
		.amdhsa_private_segment_fixed_size 0
		.amdhsa_kernarg_size 136
		.amdhsa_user_sgpr_count 6
		.amdhsa_user_sgpr_private_segment_buffer 1
		.amdhsa_user_sgpr_dispatch_ptr 0
		.amdhsa_user_sgpr_queue_ptr 0
		.amdhsa_user_sgpr_kernarg_segment_ptr 1
		.amdhsa_user_sgpr_dispatch_id 0
		.amdhsa_user_sgpr_flat_scratch_init 0
		.amdhsa_user_sgpr_kernarg_preload_length 0
		.amdhsa_user_sgpr_kernarg_preload_offset 0
		.amdhsa_user_sgpr_private_segment_size 0
		.amdhsa_uses_dynamic_stack 0
		.amdhsa_system_sgpr_private_segment_wavefront_offset 0
		.amdhsa_system_sgpr_workgroup_id_x 1
		.amdhsa_system_sgpr_workgroup_id_y 0
		.amdhsa_system_sgpr_workgroup_id_z 0
		.amdhsa_system_sgpr_workgroup_info 0
		.amdhsa_system_vgpr_workitem_id 0
		.amdhsa_next_free_vgpr 1
		.amdhsa_next_free_sgpr 0
		.amdhsa_accum_offset 4
		.amdhsa_reserve_vcc 0
		.amdhsa_reserve_flat_scratch 0
		.amdhsa_float_round_mode_32 0
		.amdhsa_float_round_mode_16_64 0
		.amdhsa_float_denorm_mode_32 3
		.amdhsa_float_denorm_mode_16_64 3
		.amdhsa_dx10_clamp 1
		.amdhsa_ieee_mode 1
		.amdhsa_fp16_overflow 0
		.amdhsa_tg_split 0
		.amdhsa_exception_fp_ieee_invalid_op 0
		.amdhsa_exception_fp_denorm_src 0
		.amdhsa_exception_fp_ieee_div_zero 0
		.amdhsa_exception_fp_ieee_overflow 0
		.amdhsa_exception_fp_ieee_underflow 0
		.amdhsa_exception_fp_ieee_inexact 0
		.amdhsa_exception_int_div_zero 0
	.end_amdhsa_kernel
	.section	.text._ZN7rocprim17ROCPRIM_400000_NS6detail17trampoline_kernelINS0_14default_configENS1_25partition_config_selectorILNS1_17partition_subalgoE1EiNS0_10empty_typeEbEEZZNS1_14partition_implILS5_1ELb0ES3_jN6thrust23THRUST_200600_302600_NS6detail15normal_iteratorINSA_10device_ptrIiEEEEPS6_NSA_18transform_iteratorI7is_evenIiESF_NSA_11use_defaultESK_EENS0_5tupleIJNSA_16discard_iteratorISK_EESF_EEENSM_IJSG_SG_EEES6_PlJS6_EEE10hipError_tPvRmT3_T4_T5_T6_T7_T9_mT8_P12ihipStream_tbDpT10_ENKUlT_T0_E_clISt17integral_constantIbLb1EES1A_IbLb0EEEEDaS16_S17_EUlS16_E_NS1_11comp_targetILNS1_3genE9ELNS1_11target_archE1100ELNS1_3gpuE3ELNS1_3repE0EEENS1_30default_config_static_selectorELNS0_4arch9wavefront6targetE1EEEvT1_,"axG",@progbits,_ZN7rocprim17ROCPRIM_400000_NS6detail17trampoline_kernelINS0_14default_configENS1_25partition_config_selectorILNS1_17partition_subalgoE1EiNS0_10empty_typeEbEEZZNS1_14partition_implILS5_1ELb0ES3_jN6thrust23THRUST_200600_302600_NS6detail15normal_iteratorINSA_10device_ptrIiEEEEPS6_NSA_18transform_iteratorI7is_evenIiESF_NSA_11use_defaultESK_EENS0_5tupleIJNSA_16discard_iteratorISK_EESF_EEENSM_IJSG_SG_EEES6_PlJS6_EEE10hipError_tPvRmT3_T4_T5_T6_T7_T9_mT8_P12ihipStream_tbDpT10_ENKUlT_T0_E_clISt17integral_constantIbLb1EES1A_IbLb0EEEEDaS16_S17_EUlS16_E_NS1_11comp_targetILNS1_3genE9ELNS1_11target_archE1100ELNS1_3gpuE3ELNS1_3repE0EEENS1_30default_config_static_selectorELNS0_4arch9wavefront6targetE1EEEvT1_,comdat
.Lfunc_end3345:
	.size	_ZN7rocprim17ROCPRIM_400000_NS6detail17trampoline_kernelINS0_14default_configENS1_25partition_config_selectorILNS1_17partition_subalgoE1EiNS0_10empty_typeEbEEZZNS1_14partition_implILS5_1ELb0ES3_jN6thrust23THRUST_200600_302600_NS6detail15normal_iteratorINSA_10device_ptrIiEEEEPS6_NSA_18transform_iteratorI7is_evenIiESF_NSA_11use_defaultESK_EENS0_5tupleIJNSA_16discard_iteratorISK_EESF_EEENSM_IJSG_SG_EEES6_PlJS6_EEE10hipError_tPvRmT3_T4_T5_T6_T7_T9_mT8_P12ihipStream_tbDpT10_ENKUlT_T0_E_clISt17integral_constantIbLb1EES1A_IbLb0EEEEDaS16_S17_EUlS16_E_NS1_11comp_targetILNS1_3genE9ELNS1_11target_archE1100ELNS1_3gpuE3ELNS1_3repE0EEENS1_30default_config_static_selectorELNS0_4arch9wavefront6targetE1EEEvT1_, .Lfunc_end3345-_ZN7rocprim17ROCPRIM_400000_NS6detail17trampoline_kernelINS0_14default_configENS1_25partition_config_selectorILNS1_17partition_subalgoE1EiNS0_10empty_typeEbEEZZNS1_14partition_implILS5_1ELb0ES3_jN6thrust23THRUST_200600_302600_NS6detail15normal_iteratorINSA_10device_ptrIiEEEEPS6_NSA_18transform_iteratorI7is_evenIiESF_NSA_11use_defaultESK_EENS0_5tupleIJNSA_16discard_iteratorISK_EESF_EEENSM_IJSG_SG_EEES6_PlJS6_EEE10hipError_tPvRmT3_T4_T5_T6_T7_T9_mT8_P12ihipStream_tbDpT10_ENKUlT_T0_E_clISt17integral_constantIbLb1EES1A_IbLb0EEEEDaS16_S17_EUlS16_E_NS1_11comp_targetILNS1_3genE9ELNS1_11target_archE1100ELNS1_3gpuE3ELNS1_3repE0EEENS1_30default_config_static_selectorELNS0_4arch9wavefront6targetE1EEEvT1_
                                        ; -- End function
	.section	.AMDGPU.csdata,"",@progbits
; Kernel info:
; codeLenInByte = 0
; NumSgprs: 4
; NumVgprs: 0
; NumAgprs: 0
; TotalNumVgprs: 0
; ScratchSize: 0
; MemoryBound: 0
; FloatMode: 240
; IeeeMode: 1
; LDSByteSize: 0 bytes/workgroup (compile time only)
; SGPRBlocks: 0
; VGPRBlocks: 0
; NumSGPRsForWavesPerEU: 4
; NumVGPRsForWavesPerEU: 1
; AccumOffset: 4
; Occupancy: 8
; WaveLimiterHint : 0
; COMPUTE_PGM_RSRC2:SCRATCH_EN: 0
; COMPUTE_PGM_RSRC2:USER_SGPR: 6
; COMPUTE_PGM_RSRC2:TRAP_HANDLER: 0
; COMPUTE_PGM_RSRC2:TGID_X_EN: 1
; COMPUTE_PGM_RSRC2:TGID_Y_EN: 0
; COMPUTE_PGM_RSRC2:TGID_Z_EN: 0
; COMPUTE_PGM_RSRC2:TIDIG_COMP_CNT: 0
; COMPUTE_PGM_RSRC3_GFX90A:ACCUM_OFFSET: 0
; COMPUTE_PGM_RSRC3_GFX90A:TG_SPLIT: 0
	.section	.text._ZN7rocprim17ROCPRIM_400000_NS6detail17trampoline_kernelINS0_14default_configENS1_25partition_config_selectorILNS1_17partition_subalgoE1EiNS0_10empty_typeEbEEZZNS1_14partition_implILS5_1ELb0ES3_jN6thrust23THRUST_200600_302600_NS6detail15normal_iteratorINSA_10device_ptrIiEEEEPS6_NSA_18transform_iteratorI7is_evenIiESF_NSA_11use_defaultESK_EENS0_5tupleIJNSA_16discard_iteratorISK_EESF_EEENSM_IJSG_SG_EEES6_PlJS6_EEE10hipError_tPvRmT3_T4_T5_T6_T7_T9_mT8_P12ihipStream_tbDpT10_ENKUlT_T0_E_clISt17integral_constantIbLb1EES1A_IbLb0EEEEDaS16_S17_EUlS16_E_NS1_11comp_targetILNS1_3genE8ELNS1_11target_archE1030ELNS1_3gpuE2ELNS1_3repE0EEENS1_30default_config_static_selectorELNS0_4arch9wavefront6targetE1EEEvT1_,"axG",@progbits,_ZN7rocprim17ROCPRIM_400000_NS6detail17trampoline_kernelINS0_14default_configENS1_25partition_config_selectorILNS1_17partition_subalgoE1EiNS0_10empty_typeEbEEZZNS1_14partition_implILS5_1ELb0ES3_jN6thrust23THRUST_200600_302600_NS6detail15normal_iteratorINSA_10device_ptrIiEEEEPS6_NSA_18transform_iteratorI7is_evenIiESF_NSA_11use_defaultESK_EENS0_5tupleIJNSA_16discard_iteratorISK_EESF_EEENSM_IJSG_SG_EEES6_PlJS6_EEE10hipError_tPvRmT3_T4_T5_T6_T7_T9_mT8_P12ihipStream_tbDpT10_ENKUlT_T0_E_clISt17integral_constantIbLb1EES1A_IbLb0EEEEDaS16_S17_EUlS16_E_NS1_11comp_targetILNS1_3genE8ELNS1_11target_archE1030ELNS1_3gpuE2ELNS1_3repE0EEENS1_30default_config_static_selectorELNS0_4arch9wavefront6targetE1EEEvT1_,comdat
	.protected	_ZN7rocprim17ROCPRIM_400000_NS6detail17trampoline_kernelINS0_14default_configENS1_25partition_config_selectorILNS1_17partition_subalgoE1EiNS0_10empty_typeEbEEZZNS1_14partition_implILS5_1ELb0ES3_jN6thrust23THRUST_200600_302600_NS6detail15normal_iteratorINSA_10device_ptrIiEEEEPS6_NSA_18transform_iteratorI7is_evenIiESF_NSA_11use_defaultESK_EENS0_5tupleIJNSA_16discard_iteratorISK_EESF_EEENSM_IJSG_SG_EEES6_PlJS6_EEE10hipError_tPvRmT3_T4_T5_T6_T7_T9_mT8_P12ihipStream_tbDpT10_ENKUlT_T0_E_clISt17integral_constantIbLb1EES1A_IbLb0EEEEDaS16_S17_EUlS16_E_NS1_11comp_targetILNS1_3genE8ELNS1_11target_archE1030ELNS1_3gpuE2ELNS1_3repE0EEENS1_30default_config_static_selectorELNS0_4arch9wavefront6targetE1EEEvT1_ ; -- Begin function _ZN7rocprim17ROCPRIM_400000_NS6detail17trampoline_kernelINS0_14default_configENS1_25partition_config_selectorILNS1_17partition_subalgoE1EiNS0_10empty_typeEbEEZZNS1_14partition_implILS5_1ELb0ES3_jN6thrust23THRUST_200600_302600_NS6detail15normal_iteratorINSA_10device_ptrIiEEEEPS6_NSA_18transform_iteratorI7is_evenIiESF_NSA_11use_defaultESK_EENS0_5tupleIJNSA_16discard_iteratorISK_EESF_EEENSM_IJSG_SG_EEES6_PlJS6_EEE10hipError_tPvRmT3_T4_T5_T6_T7_T9_mT8_P12ihipStream_tbDpT10_ENKUlT_T0_E_clISt17integral_constantIbLb1EES1A_IbLb0EEEEDaS16_S17_EUlS16_E_NS1_11comp_targetILNS1_3genE8ELNS1_11target_archE1030ELNS1_3gpuE2ELNS1_3repE0EEENS1_30default_config_static_selectorELNS0_4arch9wavefront6targetE1EEEvT1_
	.globl	_ZN7rocprim17ROCPRIM_400000_NS6detail17trampoline_kernelINS0_14default_configENS1_25partition_config_selectorILNS1_17partition_subalgoE1EiNS0_10empty_typeEbEEZZNS1_14partition_implILS5_1ELb0ES3_jN6thrust23THRUST_200600_302600_NS6detail15normal_iteratorINSA_10device_ptrIiEEEEPS6_NSA_18transform_iteratorI7is_evenIiESF_NSA_11use_defaultESK_EENS0_5tupleIJNSA_16discard_iteratorISK_EESF_EEENSM_IJSG_SG_EEES6_PlJS6_EEE10hipError_tPvRmT3_T4_T5_T6_T7_T9_mT8_P12ihipStream_tbDpT10_ENKUlT_T0_E_clISt17integral_constantIbLb1EES1A_IbLb0EEEEDaS16_S17_EUlS16_E_NS1_11comp_targetILNS1_3genE8ELNS1_11target_archE1030ELNS1_3gpuE2ELNS1_3repE0EEENS1_30default_config_static_selectorELNS0_4arch9wavefront6targetE1EEEvT1_
	.p2align	8
	.type	_ZN7rocprim17ROCPRIM_400000_NS6detail17trampoline_kernelINS0_14default_configENS1_25partition_config_selectorILNS1_17partition_subalgoE1EiNS0_10empty_typeEbEEZZNS1_14partition_implILS5_1ELb0ES3_jN6thrust23THRUST_200600_302600_NS6detail15normal_iteratorINSA_10device_ptrIiEEEEPS6_NSA_18transform_iteratorI7is_evenIiESF_NSA_11use_defaultESK_EENS0_5tupleIJNSA_16discard_iteratorISK_EESF_EEENSM_IJSG_SG_EEES6_PlJS6_EEE10hipError_tPvRmT3_T4_T5_T6_T7_T9_mT8_P12ihipStream_tbDpT10_ENKUlT_T0_E_clISt17integral_constantIbLb1EES1A_IbLb0EEEEDaS16_S17_EUlS16_E_NS1_11comp_targetILNS1_3genE8ELNS1_11target_archE1030ELNS1_3gpuE2ELNS1_3repE0EEENS1_30default_config_static_selectorELNS0_4arch9wavefront6targetE1EEEvT1_,@function
_ZN7rocprim17ROCPRIM_400000_NS6detail17trampoline_kernelINS0_14default_configENS1_25partition_config_selectorILNS1_17partition_subalgoE1EiNS0_10empty_typeEbEEZZNS1_14partition_implILS5_1ELb0ES3_jN6thrust23THRUST_200600_302600_NS6detail15normal_iteratorINSA_10device_ptrIiEEEEPS6_NSA_18transform_iteratorI7is_evenIiESF_NSA_11use_defaultESK_EENS0_5tupleIJNSA_16discard_iteratorISK_EESF_EEENSM_IJSG_SG_EEES6_PlJS6_EEE10hipError_tPvRmT3_T4_T5_T6_T7_T9_mT8_P12ihipStream_tbDpT10_ENKUlT_T0_E_clISt17integral_constantIbLb1EES1A_IbLb0EEEEDaS16_S17_EUlS16_E_NS1_11comp_targetILNS1_3genE8ELNS1_11target_archE1030ELNS1_3gpuE2ELNS1_3repE0EEENS1_30default_config_static_selectorELNS0_4arch9wavefront6targetE1EEEvT1_: ; @_ZN7rocprim17ROCPRIM_400000_NS6detail17trampoline_kernelINS0_14default_configENS1_25partition_config_selectorILNS1_17partition_subalgoE1EiNS0_10empty_typeEbEEZZNS1_14partition_implILS5_1ELb0ES3_jN6thrust23THRUST_200600_302600_NS6detail15normal_iteratorINSA_10device_ptrIiEEEEPS6_NSA_18transform_iteratorI7is_evenIiESF_NSA_11use_defaultESK_EENS0_5tupleIJNSA_16discard_iteratorISK_EESF_EEENSM_IJSG_SG_EEES6_PlJS6_EEE10hipError_tPvRmT3_T4_T5_T6_T7_T9_mT8_P12ihipStream_tbDpT10_ENKUlT_T0_E_clISt17integral_constantIbLb1EES1A_IbLb0EEEEDaS16_S17_EUlS16_E_NS1_11comp_targetILNS1_3genE8ELNS1_11target_archE1030ELNS1_3gpuE2ELNS1_3repE0EEENS1_30default_config_static_selectorELNS0_4arch9wavefront6targetE1EEEvT1_
; %bb.0:
	.section	.rodata,"a",@progbits
	.p2align	6, 0x0
	.amdhsa_kernel _ZN7rocprim17ROCPRIM_400000_NS6detail17trampoline_kernelINS0_14default_configENS1_25partition_config_selectorILNS1_17partition_subalgoE1EiNS0_10empty_typeEbEEZZNS1_14partition_implILS5_1ELb0ES3_jN6thrust23THRUST_200600_302600_NS6detail15normal_iteratorINSA_10device_ptrIiEEEEPS6_NSA_18transform_iteratorI7is_evenIiESF_NSA_11use_defaultESK_EENS0_5tupleIJNSA_16discard_iteratorISK_EESF_EEENSM_IJSG_SG_EEES6_PlJS6_EEE10hipError_tPvRmT3_T4_T5_T6_T7_T9_mT8_P12ihipStream_tbDpT10_ENKUlT_T0_E_clISt17integral_constantIbLb1EES1A_IbLb0EEEEDaS16_S17_EUlS16_E_NS1_11comp_targetILNS1_3genE8ELNS1_11target_archE1030ELNS1_3gpuE2ELNS1_3repE0EEENS1_30default_config_static_selectorELNS0_4arch9wavefront6targetE1EEEvT1_
		.amdhsa_group_segment_fixed_size 0
		.amdhsa_private_segment_fixed_size 0
		.amdhsa_kernarg_size 136
		.amdhsa_user_sgpr_count 6
		.amdhsa_user_sgpr_private_segment_buffer 1
		.amdhsa_user_sgpr_dispatch_ptr 0
		.amdhsa_user_sgpr_queue_ptr 0
		.amdhsa_user_sgpr_kernarg_segment_ptr 1
		.amdhsa_user_sgpr_dispatch_id 0
		.amdhsa_user_sgpr_flat_scratch_init 0
		.amdhsa_user_sgpr_kernarg_preload_length 0
		.amdhsa_user_sgpr_kernarg_preload_offset 0
		.amdhsa_user_sgpr_private_segment_size 0
		.amdhsa_uses_dynamic_stack 0
		.amdhsa_system_sgpr_private_segment_wavefront_offset 0
		.amdhsa_system_sgpr_workgroup_id_x 1
		.amdhsa_system_sgpr_workgroup_id_y 0
		.amdhsa_system_sgpr_workgroup_id_z 0
		.amdhsa_system_sgpr_workgroup_info 0
		.amdhsa_system_vgpr_workitem_id 0
		.amdhsa_next_free_vgpr 1
		.amdhsa_next_free_sgpr 0
		.amdhsa_accum_offset 4
		.amdhsa_reserve_vcc 0
		.amdhsa_reserve_flat_scratch 0
		.amdhsa_float_round_mode_32 0
		.amdhsa_float_round_mode_16_64 0
		.amdhsa_float_denorm_mode_32 3
		.amdhsa_float_denorm_mode_16_64 3
		.amdhsa_dx10_clamp 1
		.amdhsa_ieee_mode 1
		.amdhsa_fp16_overflow 0
		.amdhsa_tg_split 0
		.amdhsa_exception_fp_ieee_invalid_op 0
		.amdhsa_exception_fp_denorm_src 0
		.amdhsa_exception_fp_ieee_div_zero 0
		.amdhsa_exception_fp_ieee_overflow 0
		.amdhsa_exception_fp_ieee_underflow 0
		.amdhsa_exception_fp_ieee_inexact 0
		.amdhsa_exception_int_div_zero 0
	.end_amdhsa_kernel
	.section	.text._ZN7rocprim17ROCPRIM_400000_NS6detail17trampoline_kernelINS0_14default_configENS1_25partition_config_selectorILNS1_17partition_subalgoE1EiNS0_10empty_typeEbEEZZNS1_14partition_implILS5_1ELb0ES3_jN6thrust23THRUST_200600_302600_NS6detail15normal_iteratorINSA_10device_ptrIiEEEEPS6_NSA_18transform_iteratorI7is_evenIiESF_NSA_11use_defaultESK_EENS0_5tupleIJNSA_16discard_iteratorISK_EESF_EEENSM_IJSG_SG_EEES6_PlJS6_EEE10hipError_tPvRmT3_T4_T5_T6_T7_T9_mT8_P12ihipStream_tbDpT10_ENKUlT_T0_E_clISt17integral_constantIbLb1EES1A_IbLb0EEEEDaS16_S17_EUlS16_E_NS1_11comp_targetILNS1_3genE8ELNS1_11target_archE1030ELNS1_3gpuE2ELNS1_3repE0EEENS1_30default_config_static_selectorELNS0_4arch9wavefront6targetE1EEEvT1_,"axG",@progbits,_ZN7rocprim17ROCPRIM_400000_NS6detail17trampoline_kernelINS0_14default_configENS1_25partition_config_selectorILNS1_17partition_subalgoE1EiNS0_10empty_typeEbEEZZNS1_14partition_implILS5_1ELb0ES3_jN6thrust23THRUST_200600_302600_NS6detail15normal_iteratorINSA_10device_ptrIiEEEEPS6_NSA_18transform_iteratorI7is_evenIiESF_NSA_11use_defaultESK_EENS0_5tupleIJNSA_16discard_iteratorISK_EESF_EEENSM_IJSG_SG_EEES6_PlJS6_EEE10hipError_tPvRmT3_T4_T5_T6_T7_T9_mT8_P12ihipStream_tbDpT10_ENKUlT_T0_E_clISt17integral_constantIbLb1EES1A_IbLb0EEEEDaS16_S17_EUlS16_E_NS1_11comp_targetILNS1_3genE8ELNS1_11target_archE1030ELNS1_3gpuE2ELNS1_3repE0EEENS1_30default_config_static_selectorELNS0_4arch9wavefront6targetE1EEEvT1_,comdat
.Lfunc_end3346:
	.size	_ZN7rocprim17ROCPRIM_400000_NS6detail17trampoline_kernelINS0_14default_configENS1_25partition_config_selectorILNS1_17partition_subalgoE1EiNS0_10empty_typeEbEEZZNS1_14partition_implILS5_1ELb0ES3_jN6thrust23THRUST_200600_302600_NS6detail15normal_iteratorINSA_10device_ptrIiEEEEPS6_NSA_18transform_iteratorI7is_evenIiESF_NSA_11use_defaultESK_EENS0_5tupleIJNSA_16discard_iteratorISK_EESF_EEENSM_IJSG_SG_EEES6_PlJS6_EEE10hipError_tPvRmT3_T4_T5_T6_T7_T9_mT8_P12ihipStream_tbDpT10_ENKUlT_T0_E_clISt17integral_constantIbLb1EES1A_IbLb0EEEEDaS16_S17_EUlS16_E_NS1_11comp_targetILNS1_3genE8ELNS1_11target_archE1030ELNS1_3gpuE2ELNS1_3repE0EEENS1_30default_config_static_selectorELNS0_4arch9wavefront6targetE1EEEvT1_, .Lfunc_end3346-_ZN7rocprim17ROCPRIM_400000_NS6detail17trampoline_kernelINS0_14default_configENS1_25partition_config_selectorILNS1_17partition_subalgoE1EiNS0_10empty_typeEbEEZZNS1_14partition_implILS5_1ELb0ES3_jN6thrust23THRUST_200600_302600_NS6detail15normal_iteratorINSA_10device_ptrIiEEEEPS6_NSA_18transform_iteratorI7is_evenIiESF_NSA_11use_defaultESK_EENS0_5tupleIJNSA_16discard_iteratorISK_EESF_EEENSM_IJSG_SG_EEES6_PlJS6_EEE10hipError_tPvRmT3_T4_T5_T6_T7_T9_mT8_P12ihipStream_tbDpT10_ENKUlT_T0_E_clISt17integral_constantIbLb1EES1A_IbLb0EEEEDaS16_S17_EUlS16_E_NS1_11comp_targetILNS1_3genE8ELNS1_11target_archE1030ELNS1_3gpuE2ELNS1_3repE0EEENS1_30default_config_static_selectorELNS0_4arch9wavefront6targetE1EEEvT1_
                                        ; -- End function
	.section	.AMDGPU.csdata,"",@progbits
; Kernel info:
; codeLenInByte = 0
; NumSgprs: 4
; NumVgprs: 0
; NumAgprs: 0
; TotalNumVgprs: 0
; ScratchSize: 0
; MemoryBound: 0
; FloatMode: 240
; IeeeMode: 1
; LDSByteSize: 0 bytes/workgroup (compile time only)
; SGPRBlocks: 0
; VGPRBlocks: 0
; NumSGPRsForWavesPerEU: 4
; NumVGPRsForWavesPerEU: 1
; AccumOffset: 4
; Occupancy: 8
; WaveLimiterHint : 0
; COMPUTE_PGM_RSRC2:SCRATCH_EN: 0
; COMPUTE_PGM_RSRC2:USER_SGPR: 6
; COMPUTE_PGM_RSRC2:TRAP_HANDLER: 0
; COMPUTE_PGM_RSRC2:TGID_X_EN: 1
; COMPUTE_PGM_RSRC2:TGID_Y_EN: 0
; COMPUTE_PGM_RSRC2:TGID_Z_EN: 0
; COMPUTE_PGM_RSRC2:TIDIG_COMP_CNT: 0
; COMPUTE_PGM_RSRC3_GFX90A:ACCUM_OFFSET: 0
; COMPUTE_PGM_RSRC3_GFX90A:TG_SPLIT: 0
	.section	.text._ZN7rocprim17ROCPRIM_400000_NS6detail17trampoline_kernelINS0_14default_configENS1_25partition_config_selectorILNS1_17partition_subalgoE1EiNS0_10empty_typeEbEEZZNS1_14partition_implILS5_1ELb0ES3_jN6thrust23THRUST_200600_302600_NS6detail15normal_iteratorINSA_10device_ptrIiEEEEPS6_NSA_18transform_iteratorI7is_evenIiESF_NSA_11use_defaultESK_EENS0_5tupleIJNSA_16discard_iteratorISK_EESF_EEENSM_IJSG_SG_EEES6_PlJS6_EEE10hipError_tPvRmT3_T4_T5_T6_T7_T9_mT8_P12ihipStream_tbDpT10_ENKUlT_T0_E_clISt17integral_constantIbLb0EES1A_IbLb1EEEEDaS16_S17_EUlS16_E_NS1_11comp_targetILNS1_3genE0ELNS1_11target_archE4294967295ELNS1_3gpuE0ELNS1_3repE0EEENS1_30default_config_static_selectorELNS0_4arch9wavefront6targetE1EEEvT1_,"axG",@progbits,_ZN7rocprim17ROCPRIM_400000_NS6detail17trampoline_kernelINS0_14default_configENS1_25partition_config_selectorILNS1_17partition_subalgoE1EiNS0_10empty_typeEbEEZZNS1_14partition_implILS5_1ELb0ES3_jN6thrust23THRUST_200600_302600_NS6detail15normal_iteratorINSA_10device_ptrIiEEEEPS6_NSA_18transform_iteratorI7is_evenIiESF_NSA_11use_defaultESK_EENS0_5tupleIJNSA_16discard_iteratorISK_EESF_EEENSM_IJSG_SG_EEES6_PlJS6_EEE10hipError_tPvRmT3_T4_T5_T6_T7_T9_mT8_P12ihipStream_tbDpT10_ENKUlT_T0_E_clISt17integral_constantIbLb0EES1A_IbLb1EEEEDaS16_S17_EUlS16_E_NS1_11comp_targetILNS1_3genE0ELNS1_11target_archE4294967295ELNS1_3gpuE0ELNS1_3repE0EEENS1_30default_config_static_selectorELNS0_4arch9wavefront6targetE1EEEvT1_,comdat
	.protected	_ZN7rocprim17ROCPRIM_400000_NS6detail17trampoline_kernelINS0_14default_configENS1_25partition_config_selectorILNS1_17partition_subalgoE1EiNS0_10empty_typeEbEEZZNS1_14partition_implILS5_1ELb0ES3_jN6thrust23THRUST_200600_302600_NS6detail15normal_iteratorINSA_10device_ptrIiEEEEPS6_NSA_18transform_iteratorI7is_evenIiESF_NSA_11use_defaultESK_EENS0_5tupleIJNSA_16discard_iteratorISK_EESF_EEENSM_IJSG_SG_EEES6_PlJS6_EEE10hipError_tPvRmT3_T4_T5_T6_T7_T9_mT8_P12ihipStream_tbDpT10_ENKUlT_T0_E_clISt17integral_constantIbLb0EES1A_IbLb1EEEEDaS16_S17_EUlS16_E_NS1_11comp_targetILNS1_3genE0ELNS1_11target_archE4294967295ELNS1_3gpuE0ELNS1_3repE0EEENS1_30default_config_static_selectorELNS0_4arch9wavefront6targetE1EEEvT1_ ; -- Begin function _ZN7rocprim17ROCPRIM_400000_NS6detail17trampoline_kernelINS0_14default_configENS1_25partition_config_selectorILNS1_17partition_subalgoE1EiNS0_10empty_typeEbEEZZNS1_14partition_implILS5_1ELb0ES3_jN6thrust23THRUST_200600_302600_NS6detail15normal_iteratorINSA_10device_ptrIiEEEEPS6_NSA_18transform_iteratorI7is_evenIiESF_NSA_11use_defaultESK_EENS0_5tupleIJNSA_16discard_iteratorISK_EESF_EEENSM_IJSG_SG_EEES6_PlJS6_EEE10hipError_tPvRmT3_T4_T5_T6_T7_T9_mT8_P12ihipStream_tbDpT10_ENKUlT_T0_E_clISt17integral_constantIbLb0EES1A_IbLb1EEEEDaS16_S17_EUlS16_E_NS1_11comp_targetILNS1_3genE0ELNS1_11target_archE4294967295ELNS1_3gpuE0ELNS1_3repE0EEENS1_30default_config_static_selectorELNS0_4arch9wavefront6targetE1EEEvT1_
	.globl	_ZN7rocprim17ROCPRIM_400000_NS6detail17trampoline_kernelINS0_14default_configENS1_25partition_config_selectorILNS1_17partition_subalgoE1EiNS0_10empty_typeEbEEZZNS1_14partition_implILS5_1ELb0ES3_jN6thrust23THRUST_200600_302600_NS6detail15normal_iteratorINSA_10device_ptrIiEEEEPS6_NSA_18transform_iteratorI7is_evenIiESF_NSA_11use_defaultESK_EENS0_5tupleIJNSA_16discard_iteratorISK_EESF_EEENSM_IJSG_SG_EEES6_PlJS6_EEE10hipError_tPvRmT3_T4_T5_T6_T7_T9_mT8_P12ihipStream_tbDpT10_ENKUlT_T0_E_clISt17integral_constantIbLb0EES1A_IbLb1EEEEDaS16_S17_EUlS16_E_NS1_11comp_targetILNS1_3genE0ELNS1_11target_archE4294967295ELNS1_3gpuE0ELNS1_3repE0EEENS1_30default_config_static_selectorELNS0_4arch9wavefront6targetE1EEEvT1_
	.p2align	8
	.type	_ZN7rocprim17ROCPRIM_400000_NS6detail17trampoline_kernelINS0_14default_configENS1_25partition_config_selectorILNS1_17partition_subalgoE1EiNS0_10empty_typeEbEEZZNS1_14partition_implILS5_1ELb0ES3_jN6thrust23THRUST_200600_302600_NS6detail15normal_iteratorINSA_10device_ptrIiEEEEPS6_NSA_18transform_iteratorI7is_evenIiESF_NSA_11use_defaultESK_EENS0_5tupleIJNSA_16discard_iteratorISK_EESF_EEENSM_IJSG_SG_EEES6_PlJS6_EEE10hipError_tPvRmT3_T4_T5_T6_T7_T9_mT8_P12ihipStream_tbDpT10_ENKUlT_T0_E_clISt17integral_constantIbLb0EES1A_IbLb1EEEEDaS16_S17_EUlS16_E_NS1_11comp_targetILNS1_3genE0ELNS1_11target_archE4294967295ELNS1_3gpuE0ELNS1_3repE0EEENS1_30default_config_static_selectorELNS0_4arch9wavefront6targetE1EEEvT1_,@function
_ZN7rocprim17ROCPRIM_400000_NS6detail17trampoline_kernelINS0_14default_configENS1_25partition_config_selectorILNS1_17partition_subalgoE1EiNS0_10empty_typeEbEEZZNS1_14partition_implILS5_1ELb0ES3_jN6thrust23THRUST_200600_302600_NS6detail15normal_iteratorINSA_10device_ptrIiEEEEPS6_NSA_18transform_iteratorI7is_evenIiESF_NSA_11use_defaultESK_EENS0_5tupleIJNSA_16discard_iteratorISK_EESF_EEENSM_IJSG_SG_EEES6_PlJS6_EEE10hipError_tPvRmT3_T4_T5_T6_T7_T9_mT8_P12ihipStream_tbDpT10_ENKUlT_T0_E_clISt17integral_constantIbLb0EES1A_IbLb1EEEEDaS16_S17_EUlS16_E_NS1_11comp_targetILNS1_3genE0ELNS1_11target_archE4294967295ELNS1_3gpuE0ELNS1_3repE0EEENS1_30default_config_static_selectorELNS0_4arch9wavefront6targetE1EEEvT1_: ; @_ZN7rocprim17ROCPRIM_400000_NS6detail17trampoline_kernelINS0_14default_configENS1_25partition_config_selectorILNS1_17partition_subalgoE1EiNS0_10empty_typeEbEEZZNS1_14partition_implILS5_1ELb0ES3_jN6thrust23THRUST_200600_302600_NS6detail15normal_iteratorINSA_10device_ptrIiEEEEPS6_NSA_18transform_iteratorI7is_evenIiESF_NSA_11use_defaultESK_EENS0_5tupleIJNSA_16discard_iteratorISK_EESF_EEENSM_IJSG_SG_EEES6_PlJS6_EEE10hipError_tPvRmT3_T4_T5_T6_T7_T9_mT8_P12ihipStream_tbDpT10_ENKUlT_T0_E_clISt17integral_constantIbLb0EES1A_IbLb1EEEEDaS16_S17_EUlS16_E_NS1_11comp_targetILNS1_3genE0ELNS1_11target_archE4294967295ELNS1_3gpuE0ELNS1_3repE0EEENS1_30default_config_static_selectorELNS0_4arch9wavefront6targetE1EEEvT1_
; %bb.0:
	.section	.rodata,"a",@progbits
	.p2align	6, 0x0
	.amdhsa_kernel _ZN7rocprim17ROCPRIM_400000_NS6detail17trampoline_kernelINS0_14default_configENS1_25partition_config_selectorILNS1_17partition_subalgoE1EiNS0_10empty_typeEbEEZZNS1_14partition_implILS5_1ELb0ES3_jN6thrust23THRUST_200600_302600_NS6detail15normal_iteratorINSA_10device_ptrIiEEEEPS6_NSA_18transform_iteratorI7is_evenIiESF_NSA_11use_defaultESK_EENS0_5tupleIJNSA_16discard_iteratorISK_EESF_EEENSM_IJSG_SG_EEES6_PlJS6_EEE10hipError_tPvRmT3_T4_T5_T6_T7_T9_mT8_P12ihipStream_tbDpT10_ENKUlT_T0_E_clISt17integral_constantIbLb0EES1A_IbLb1EEEEDaS16_S17_EUlS16_E_NS1_11comp_targetILNS1_3genE0ELNS1_11target_archE4294967295ELNS1_3gpuE0ELNS1_3repE0EEENS1_30default_config_static_selectorELNS0_4arch9wavefront6targetE1EEEvT1_
		.amdhsa_group_segment_fixed_size 0
		.amdhsa_private_segment_fixed_size 0
		.amdhsa_kernarg_size 152
		.amdhsa_user_sgpr_count 6
		.amdhsa_user_sgpr_private_segment_buffer 1
		.amdhsa_user_sgpr_dispatch_ptr 0
		.amdhsa_user_sgpr_queue_ptr 0
		.amdhsa_user_sgpr_kernarg_segment_ptr 1
		.amdhsa_user_sgpr_dispatch_id 0
		.amdhsa_user_sgpr_flat_scratch_init 0
		.amdhsa_user_sgpr_kernarg_preload_length 0
		.amdhsa_user_sgpr_kernarg_preload_offset 0
		.amdhsa_user_sgpr_private_segment_size 0
		.amdhsa_uses_dynamic_stack 0
		.amdhsa_system_sgpr_private_segment_wavefront_offset 0
		.amdhsa_system_sgpr_workgroup_id_x 1
		.amdhsa_system_sgpr_workgroup_id_y 0
		.amdhsa_system_sgpr_workgroup_id_z 0
		.amdhsa_system_sgpr_workgroup_info 0
		.amdhsa_system_vgpr_workitem_id 0
		.amdhsa_next_free_vgpr 1
		.amdhsa_next_free_sgpr 0
		.amdhsa_accum_offset 4
		.amdhsa_reserve_vcc 0
		.amdhsa_reserve_flat_scratch 0
		.amdhsa_float_round_mode_32 0
		.amdhsa_float_round_mode_16_64 0
		.amdhsa_float_denorm_mode_32 3
		.amdhsa_float_denorm_mode_16_64 3
		.amdhsa_dx10_clamp 1
		.amdhsa_ieee_mode 1
		.amdhsa_fp16_overflow 0
		.amdhsa_tg_split 0
		.amdhsa_exception_fp_ieee_invalid_op 0
		.amdhsa_exception_fp_denorm_src 0
		.amdhsa_exception_fp_ieee_div_zero 0
		.amdhsa_exception_fp_ieee_overflow 0
		.amdhsa_exception_fp_ieee_underflow 0
		.amdhsa_exception_fp_ieee_inexact 0
		.amdhsa_exception_int_div_zero 0
	.end_amdhsa_kernel
	.section	.text._ZN7rocprim17ROCPRIM_400000_NS6detail17trampoline_kernelINS0_14default_configENS1_25partition_config_selectorILNS1_17partition_subalgoE1EiNS0_10empty_typeEbEEZZNS1_14partition_implILS5_1ELb0ES3_jN6thrust23THRUST_200600_302600_NS6detail15normal_iteratorINSA_10device_ptrIiEEEEPS6_NSA_18transform_iteratorI7is_evenIiESF_NSA_11use_defaultESK_EENS0_5tupleIJNSA_16discard_iteratorISK_EESF_EEENSM_IJSG_SG_EEES6_PlJS6_EEE10hipError_tPvRmT3_T4_T5_T6_T7_T9_mT8_P12ihipStream_tbDpT10_ENKUlT_T0_E_clISt17integral_constantIbLb0EES1A_IbLb1EEEEDaS16_S17_EUlS16_E_NS1_11comp_targetILNS1_3genE0ELNS1_11target_archE4294967295ELNS1_3gpuE0ELNS1_3repE0EEENS1_30default_config_static_selectorELNS0_4arch9wavefront6targetE1EEEvT1_,"axG",@progbits,_ZN7rocprim17ROCPRIM_400000_NS6detail17trampoline_kernelINS0_14default_configENS1_25partition_config_selectorILNS1_17partition_subalgoE1EiNS0_10empty_typeEbEEZZNS1_14partition_implILS5_1ELb0ES3_jN6thrust23THRUST_200600_302600_NS6detail15normal_iteratorINSA_10device_ptrIiEEEEPS6_NSA_18transform_iteratorI7is_evenIiESF_NSA_11use_defaultESK_EENS0_5tupleIJNSA_16discard_iteratorISK_EESF_EEENSM_IJSG_SG_EEES6_PlJS6_EEE10hipError_tPvRmT3_T4_T5_T6_T7_T9_mT8_P12ihipStream_tbDpT10_ENKUlT_T0_E_clISt17integral_constantIbLb0EES1A_IbLb1EEEEDaS16_S17_EUlS16_E_NS1_11comp_targetILNS1_3genE0ELNS1_11target_archE4294967295ELNS1_3gpuE0ELNS1_3repE0EEENS1_30default_config_static_selectorELNS0_4arch9wavefront6targetE1EEEvT1_,comdat
.Lfunc_end3347:
	.size	_ZN7rocprim17ROCPRIM_400000_NS6detail17trampoline_kernelINS0_14default_configENS1_25partition_config_selectorILNS1_17partition_subalgoE1EiNS0_10empty_typeEbEEZZNS1_14partition_implILS5_1ELb0ES3_jN6thrust23THRUST_200600_302600_NS6detail15normal_iteratorINSA_10device_ptrIiEEEEPS6_NSA_18transform_iteratorI7is_evenIiESF_NSA_11use_defaultESK_EENS0_5tupleIJNSA_16discard_iteratorISK_EESF_EEENSM_IJSG_SG_EEES6_PlJS6_EEE10hipError_tPvRmT3_T4_T5_T6_T7_T9_mT8_P12ihipStream_tbDpT10_ENKUlT_T0_E_clISt17integral_constantIbLb0EES1A_IbLb1EEEEDaS16_S17_EUlS16_E_NS1_11comp_targetILNS1_3genE0ELNS1_11target_archE4294967295ELNS1_3gpuE0ELNS1_3repE0EEENS1_30default_config_static_selectorELNS0_4arch9wavefront6targetE1EEEvT1_, .Lfunc_end3347-_ZN7rocprim17ROCPRIM_400000_NS6detail17trampoline_kernelINS0_14default_configENS1_25partition_config_selectorILNS1_17partition_subalgoE1EiNS0_10empty_typeEbEEZZNS1_14partition_implILS5_1ELb0ES3_jN6thrust23THRUST_200600_302600_NS6detail15normal_iteratorINSA_10device_ptrIiEEEEPS6_NSA_18transform_iteratorI7is_evenIiESF_NSA_11use_defaultESK_EENS0_5tupleIJNSA_16discard_iteratorISK_EESF_EEENSM_IJSG_SG_EEES6_PlJS6_EEE10hipError_tPvRmT3_T4_T5_T6_T7_T9_mT8_P12ihipStream_tbDpT10_ENKUlT_T0_E_clISt17integral_constantIbLb0EES1A_IbLb1EEEEDaS16_S17_EUlS16_E_NS1_11comp_targetILNS1_3genE0ELNS1_11target_archE4294967295ELNS1_3gpuE0ELNS1_3repE0EEENS1_30default_config_static_selectorELNS0_4arch9wavefront6targetE1EEEvT1_
                                        ; -- End function
	.section	.AMDGPU.csdata,"",@progbits
; Kernel info:
; codeLenInByte = 0
; NumSgprs: 4
; NumVgprs: 0
; NumAgprs: 0
; TotalNumVgprs: 0
; ScratchSize: 0
; MemoryBound: 0
; FloatMode: 240
; IeeeMode: 1
; LDSByteSize: 0 bytes/workgroup (compile time only)
; SGPRBlocks: 0
; VGPRBlocks: 0
; NumSGPRsForWavesPerEU: 4
; NumVGPRsForWavesPerEU: 1
; AccumOffset: 4
; Occupancy: 8
; WaveLimiterHint : 0
; COMPUTE_PGM_RSRC2:SCRATCH_EN: 0
; COMPUTE_PGM_RSRC2:USER_SGPR: 6
; COMPUTE_PGM_RSRC2:TRAP_HANDLER: 0
; COMPUTE_PGM_RSRC2:TGID_X_EN: 1
; COMPUTE_PGM_RSRC2:TGID_Y_EN: 0
; COMPUTE_PGM_RSRC2:TGID_Z_EN: 0
; COMPUTE_PGM_RSRC2:TIDIG_COMP_CNT: 0
; COMPUTE_PGM_RSRC3_GFX90A:ACCUM_OFFSET: 0
; COMPUTE_PGM_RSRC3_GFX90A:TG_SPLIT: 0
	.section	.text._ZN7rocprim17ROCPRIM_400000_NS6detail17trampoline_kernelINS0_14default_configENS1_25partition_config_selectorILNS1_17partition_subalgoE1EiNS0_10empty_typeEbEEZZNS1_14partition_implILS5_1ELb0ES3_jN6thrust23THRUST_200600_302600_NS6detail15normal_iteratorINSA_10device_ptrIiEEEEPS6_NSA_18transform_iteratorI7is_evenIiESF_NSA_11use_defaultESK_EENS0_5tupleIJNSA_16discard_iteratorISK_EESF_EEENSM_IJSG_SG_EEES6_PlJS6_EEE10hipError_tPvRmT3_T4_T5_T6_T7_T9_mT8_P12ihipStream_tbDpT10_ENKUlT_T0_E_clISt17integral_constantIbLb0EES1A_IbLb1EEEEDaS16_S17_EUlS16_E_NS1_11comp_targetILNS1_3genE5ELNS1_11target_archE942ELNS1_3gpuE9ELNS1_3repE0EEENS1_30default_config_static_selectorELNS0_4arch9wavefront6targetE1EEEvT1_,"axG",@progbits,_ZN7rocprim17ROCPRIM_400000_NS6detail17trampoline_kernelINS0_14default_configENS1_25partition_config_selectorILNS1_17partition_subalgoE1EiNS0_10empty_typeEbEEZZNS1_14partition_implILS5_1ELb0ES3_jN6thrust23THRUST_200600_302600_NS6detail15normal_iteratorINSA_10device_ptrIiEEEEPS6_NSA_18transform_iteratorI7is_evenIiESF_NSA_11use_defaultESK_EENS0_5tupleIJNSA_16discard_iteratorISK_EESF_EEENSM_IJSG_SG_EEES6_PlJS6_EEE10hipError_tPvRmT3_T4_T5_T6_T7_T9_mT8_P12ihipStream_tbDpT10_ENKUlT_T0_E_clISt17integral_constantIbLb0EES1A_IbLb1EEEEDaS16_S17_EUlS16_E_NS1_11comp_targetILNS1_3genE5ELNS1_11target_archE942ELNS1_3gpuE9ELNS1_3repE0EEENS1_30default_config_static_selectorELNS0_4arch9wavefront6targetE1EEEvT1_,comdat
	.protected	_ZN7rocprim17ROCPRIM_400000_NS6detail17trampoline_kernelINS0_14default_configENS1_25partition_config_selectorILNS1_17partition_subalgoE1EiNS0_10empty_typeEbEEZZNS1_14partition_implILS5_1ELb0ES3_jN6thrust23THRUST_200600_302600_NS6detail15normal_iteratorINSA_10device_ptrIiEEEEPS6_NSA_18transform_iteratorI7is_evenIiESF_NSA_11use_defaultESK_EENS0_5tupleIJNSA_16discard_iteratorISK_EESF_EEENSM_IJSG_SG_EEES6_PlJS6_EEE10hipError_tPvRmT3_T4_T5_T6_T7_T9_mT8_P12ihipStream_tbDpT10_ENKUlT_T0_E_clISt17integral_constantIbLb0EES1A_IbLb1EEEEDaS16_S17_EUlS16_E_NS1_11comp_targetILNS1_3genE5ELNS1_11target_archE942ELNS1_3gpuE9ELNS1_3repE0EEENS1_30default_config_static_selectorELNS0_4arch9wavefront6targetE1EEEvT1_ ; -- Begin function _ZN7rocprim17ROCPRIM_400000_NS6detail17trampoline_kernelINS0_14default_configENS1_25partition_config_selectorILNS1_17partition_subalgoE1EiNS0_10empty_typeEbEEZZNS1_14partition_implILS5_1ELb0ES3_jN6thrust23THRUST_200600_302600_NS6detail15normal_iteratorINSA_10device_ptrIiEEEEPS6_NSA_18transform_iteratorI7is_evenIiESF_NSA_11use_defaultESK_EENS0_5tupleIJNSA_16discard_iteratorISK_EESF_EEENSM_IJSG_SG_EEES6_PlJS6_EEE10hipError_tPvRmT3_T4_T5_T6_T7_T9_mT8_P12ihipStream_tbDpT10_ENKUlT_T0_E_clISt17integral_constantIbLb0EES1A_IbLb1EEEEDaS16_S17_EUlS16_E_NS1_11comp_targetILNS1_3genE5ELNS1_11target_archE942ELNS1_3gpuE9ELNS1_3repE0EEENS1_30default_config_static_selectorELNS0_4arch9wavefront6targetE1EEEvT1_
	.globl	_ZN7rocprim17ROCPRIM_400000_NS6detail17trampoline_kernelINS0_14default_configENS1_25partition_config_selectorILNS1_17partition_subalgoE1EiNS0_10empty_typeEbEEZZNS1_14partition_implILS5_1ELb0ES3_jN6thrust23THRUST_200600_302600_NS6detail15normal_iteratorINSA_10device_ptrIiEEEEPS6_NSA_18transform_iteratorI7is_evenIiESF_NSA_11use_defaultESK_EENS0_5tupleIJNSA_16discard_iteratorISK_EESF_EEENSM_IJSG_SG_EEES6_PlJS6_EEE10hipError_tPvRmT3_T4_T5_T6_T7_T9_mT8_P12ihipStream_tbDpT10_ENKUlT_T0_E_clISt17integral_constantIbLb0EES1A_IbLb1EEEEDaS16_S17_EUlS16_E_NS1_11comp_targetILNS1_3genE5ELNS1_11target_archE942ELNS1_3gpuE9ELNS1_3repE0EEENS1_30default_config_static_selectorELNS0_4arch9wavefront6targetE1EEEvT1_
	.p2align	8
	.type	_ZN7rocprim17ROCPRIM_400000_NS6detail17trampoline_kernelINS0_14default_configENS1_25partition_config_selectorILNS1_17partition_subalgoE1EiNS0_10empty_typeEbEEZZNS1_14partition_implILS5_1ELb0ES3_jN6thrust23THRUST_200600_302600_NS6detail15normal_iteratorINSA_10device_ptrIiEEEEPS6_NSA_18transform_iteratorI7is_evenIiESF_NSA_11use_defaultESK_EENS0_5tupleIJNSA_16discard_iteratorISK_EESF_EEENSM_IJSG_SG_EEES6_PlJS6_EEE10hipError_tPvRmT3_T4_T5_T6_T7_T9_mT8_P12ihipStream_tbDpT10_ENKUlT_T0_E_clISt17integral_constantIbLb0EES1A_IbLb1EEEEDaS16_S17_EUlS16_E_NS1_11comp_targetILNS1_3genE5ELNS1_11target_archE942ELNS1_3gpuE9ELNS1_3repE0EEENS1_30default_config_static_selectorELNS0_4arch9wavefront6targetE1EEEvT1_,@function
_ZN7rocprim17ROCPRIM_400000_NS6detail17trampoline_kernelINS0_14default_configENS1_25partition_config_selectorILNS1_17partition_subalgoE1EiNS0_10empty_typeEbEEZZNS1_14partition_implILS5_1ELb0ES3_jN6thrust23THRUST_200600_302600_NS6detail15normal_iteratorINSA_10device_ptrIiEEEEPS6_NSA_18transform_iteratorI7is_evenIiESF_NSA_11use_defaultESK_EENS0_5tupleIJNSA_16discard_iteratorISK_EESF_EEENSM_IJSG_SG_EEES6_PlJS6_EEE10hipError_tPvRmT3_T4_T5_T6_T7_T9_mT8_P12ihipStream_tbDpT10_ENKUlT_T0_E_clISt17integral_constantIbLb0EES1A_IbLb1EEEEDaS16_S17_EUlS16_E_NS1_11comp_targetILNS1_3genE5ELNS1_11target_archE942ELNS1_3gpuE9ELNS1_3repE0EEENS1_30default_config_static_selectorELNS0_4arch9wavefront6targetE1EEEvT1_: ; @_ZN7rocprim17ROCPRIM_400000_NS6detail17trampoline_kernelINS0_14default_configENS1_25partition_config_selectorILNS1_17partition_subalgoE1EiNS0_10empty_typeEbEEZZNS1_14partition_implILS5_1ELb0ES3_jN6thrust23THRUST_200600_302600_NS6detail15normal_iteratorINSA_10device_ptrIiEEEEPS6_NSA_18transform_iteratorI7is_evenIiESF_NSA_11use_defaultESK_EENS0_5tupleIJNSA_16discard_iteratorISK_EESF_EEENSM_IJSG_SG_EEES6_PlJS6_EEE10hipError_tPvRmT3_T4_T5_T6_T7_T9_mT8_P12ihipStream_tbDpT10_ENKUlT_T0_E_clISt17integral_constantIbLb0EES1A_IbLb1EEEEDaS16_S17_EUlS16_E_NS1_11comp_targetILNS1_3genE5ELNS1_11target_archE942ELNS1_3gpuE9ELNS1_3repE0EEENS1_30default_config_static_selectorELNS0_4arch9wavefront6targetE1EEEvT1_
; %bb.0:
	.section	.rodata,"a",@progbits
	.p2align	6, 0x0
	.amdhsa_kernel _ZN7rocprim17ROCPRIM_400000_NS6detail17trampoline_kernelINS0_14default_configENS1_25partition_config_selectorILNS1_17partition_subalgoE1EiNS0_10empty_typeEbEEZZNS1_14partition_implILS5_1ELb0ES3_jN6thrust23THRUST_200600_302600_NS6detail15normal_iteratorINSA_10device_ptrIiEEEEPS6_NSA_18transform_iteratorI7is_evenIiESF_NSA_11use_defaultESK_EENS0_5tupleIJNSA_16discard_iteratorISK_EESF_EEENSM_IJSG_SG_EEES6_PlJS6_EEE10hipError_tPvRmT3_T4_T5_T6_T7_T9_mT8_P12ihipStream_tbDpT10_ENKUlT_T0_E_clISt17integral_constantIbLb0EES1A_IbLb1EEEEDaS16_S17_EUlS16_E_NS1_11comp_targetILNS1_3genE5ELNS1_11target_archE942ELNS1_3gpuE9ELNS1_3repE0EEENS1_30default_config_static_selectorELNS0_4arch9wavefront6targetE1EEEvT1_
		.amdhsa_group_segment_fixed_size 0
		.amdhsa_private_segment_fixed_size 0
		.amdhsa_kernarg_size 152
		.amdhsa_user_sgpr_count 6
		.amdhsa_user_sgpr_private_segment_buffer 1
		.amdhsa_user_sgpr_dispatch_ptr 0
		.amdhsa_user_sgpr_queue_ptr 0
		.amdhsa_user_sgpr_kernarg_segment_ptr 1
		.amdhsa_user_sgpr_dispatch_id 0
		.amdhsa_user_sgpr_flat_scratch_init 0
		.amdhsa_user_sgpr_kernarg_preload_length 0
		.amdhsa_user_sgpr_kernarg_preload_offset 0
		.amdhsa_user_sgpr_private_segment_size 0
		.amdhsa_uses_dynamic_stack 0
		.amdhsa_system_sgpr_private_segment_wavefront_offset 0
		.amdhsa_system_sgpr_workgroup_id_x 1
		.amdhsa_system_sgpr_workgroup_id_y 0
		.amdhsa_system_sgpr_workgroup_id_z 0
		.amdhsa_system_sgpr_workgroup_info 0
		.amdhsa_system_vgpr_workitem_id 0
		.amdhsa_next_free_vgpr 1
		.amdhsa_next_free_sgpr 0
		.amdhsa_accum_offset 4
		.amdhsa_reserve_vcc 0
		.amdhsa_reserve_flat_scratch 0
		.amdhsa_float_round_mode_32 0
		.amdhsa_float_round_mode_16_64 0
		.amdhsa_float_denorm_mode_32 3
		.amdhsa_float_denorm_mode_16_64 3
		.amdhsa_dx10_clamp 1
		.amdhsa_ieee_mode 1
		.amdhsa_fp16_overflow 0
		.amdhsa_tg_split 0
		.amdhsa_exception_fp_ieee_invalid_op 0
		.amdhsa_exception_fp_denorm_src 0
		.amdhsa_exception_fp_ieee_div_zero 0
		.amdhsa_exception_fp_ieee_overflow 0
		.amdhsa_exception_fp_ieee_underflow 0
		.amdhsa_exception_fp_ieee_inexact 0
		.amdhsa_exception_int_div_zero 0
	.end_amdhsa_kernel
	.section	.text._ZN7rocprim17ROCPRIM_400000_NS6detail17trampoline_kernelINS0_14default_configENS1_25partition_config_selectorILNS1_17partition_subalgoE1EiNS0_10empty_typeEbEEZZNS1_14partition_implILS5_1ELb0ES3_jN6thrust23THRUST_200600_302600_NS6detail15normal_iteratorINSA_10device_ptrIiEEEEPS6_NSA_18transform_iteratorI7is_evenIiESF_NSA_11use_defaultESK_EENS0_5tupleIJNSA_16discard_iteratorISK_EESF_EEENSM_IJSG_SG_EEES6_PlJS6_EEE10hipError_tPvRmT3_T4_T5_T6_T7_T9_mT8_P12ihipStream_tbDpT10_ENKUlT_T0_E_clISt17integral_constantIbLb0EES1A_IbLb1EEEEDaS16_S17_EUlS16_E_NS1_11comp_targetILNS1_3genE5ELNS1_11target_archE942ELNS1_3gpuE9ELNS1_3repE0EEENS1_30default_config_static_selectorELNS0_4arch9wavefront6targetE1EEEvT1_,"axG",@progbits,_ZN7rocprim17ROCPRIM_400000_NS6detail17trampoline_kernelINS0_14default_configENS1_25partition_config_selectorILNS1_17partition_subalgoE1EiNS0_10empty_typeEbEEZZNS1_14partition_implILS5_1ELb0ES3_jN6thrust23THRUST_200600_302600_NS6detail15normal_iteratorINSA_10device_ptrIiEEEEPS6_NSA_18transform_iteratorI7is_evenIiESF_NSA_11use_defaultESK_EENS0_5tupleIJNSA_16discard_iteratorISK_EESF_EEENSM_IJSG_SG_EEES6_PlJS6_EEE10hipError_tPvRmT3_T4_T5_T6_T7_T9_mT8_P12ihipStream_tbDpT10_ENKUlT_T0_E_clISt17integral_constantIbLb0EES1A_IbLb1EEEEDaS16_S17_EUlS16_E_NS1_11comp_targetILNS1_3genE5ELNS1_11target_archE942ELNS1_3gpuE9ELNS1_3repE0EEENS1_30default_config_static_selectorELNS0_4arch9wavefront6targetE1EEEvT1_,comdat
.Lfunc_end3348:
	.size	_ZN7rocprim17ROCPRIM_400000_NS6detail17trampoline_kernelINS0_14default_configENS1_25partition_config_selectorILNS1_17partition_subalgoE1EiNS0_10empty_typeEbEEZZNS1_14partition_implILS5_1ELb0ES3_jN6thrust23THRUST_200600_302600_NS6detail15normal_iteratorINSA_10device_ptrIiEEEEPS6_NSA_18transform_iteratorI7is_evenIiESF_NSA_11use_defaultESK_EENS0_5tupleIJNSA_16discard_iteratorISK_EESF_EEENSM_IJSG_SG_EEES6_PlJS6_EEE10hipError_tPvRmT3_T4_T5_T6_T7_T9_mT8_P12ihipStream_tbDpT10_ENKUlT_T0_E_clISt17integral_constantIbLb0EES1A_IbLb1EEEEDaS16_S17_EUlS16_E_NS1_11comp_targetILNS1_3genE5ELNS1_11target_archE942ELNS1_3gpuE9ELNS1_3repE0EEENS1_30default_config_static_selectorELNS0_4arch9wavefront6targetE1EEEvT1_, .Lfunc_end3348-_ZN7rocprim17ROCPRIM_400000_NS6detail17trampoline_kernelINS0_14default_configENS1_25partition_config_selectorILNS1_17partition_subalgoE1EiNS0_10empty_typeEbEEZZNS1_14partition_implILS5_1ELb0ES3_jN6thrust23THRUST_200600_302600_NS6detail15normal_iteratorINSA_10device_ptrIiEEEEPS6_NSA_18transform_iteratorI7is_evenIiESF_NSA_11use_defaultESK_EENS0_5tupleIJNSA_16discard_iteratorISK_EESF_EEENSM_IJSG_SG_EEES6_PlJS6_EEE10hipError_tPvRmT3_T4_T5_T6_T7_T9_mT8_P12ihipStream_tbDpT10_ENKUlT_T0_E_clISt17integral_constantIbLb0EES1A_IbLb1EEEEDaS16_S17_EUlS16_E_NS1_11comp_targetILNS1_3genE5ELNS1_11target_archE942ELNS1_3gpuE9ELNS1_3repE0EEENS1_30default_config_static_selectorELNS0_4arch9wavefront6targetE1EEEvT1_
                                        ; -- End function
	.section	.AMDGPU.csdata,"",@progbits
; Kernel info:
; codeLenInByte = 0
; NumSgprs: 4
; NumVgprs: 0
; NumAgprs: 0
; TotalNumVgprs: 0
; ScratchSize: 0
; MemoryBound: 0
; FloatMode: 240
; IeeeMode: 1
; LDSByteSize: 0 bytes/workgroup (compile time only)
; SGPRBlocks: 0
; VGPRBlocks: 0
; NumSGPRsForWavesPerEU: 4
; NumVGPRsForWavesPerEU: 1
; AccumOffset: 4
; Occupancy: 8
; WaveLimiterHint : 0
; COMPUTE_PGM_RSRC2:SCRATCH_EN: 0
; COMPUTE_PGM_RSRC2:USER_SGPR: 6
; COMPUTE_PGM_RSRC2:TRAP_HANDLER: 0
; COMPUTE_PGM_RSRC2:TGID_X_EN: 1
; COMPUTE_PGM_RSRC2:TGID_Y_EN: 0
; COMPUTE_PGM_RSRC2:TGID_Z_EN: 0
; COMPUTE_PGM_RSRC2:TIDIG_COMP_CNT: 0
; COMPUTE_PGM_RSRC3_GFX90A:ACCUM_OFFSET: 0
; COMPUTE_PGM_RSRC3_GFX90A:TG_SPLIT: 0
	.section	.text._ZN7rocprim17ROCPRIM_400000_NS6detail17trampoline_kernelINS0_14default_configENS1_25partition_config_selectorILNS1_17partition_subalgoE1EiNS0_10empty_typeEbEEZZNS1_14partition_implILS5_1ELb0ES3_jN6thrust23THRUST_200600_302600_NS6detail15normal_iteratorINSA_10device_ptrIiEEEEPS6_NSA_18transform_iteratorI7is_evenIiESF_NSA_11use_defaultESK_EENS0_5tupleIJNSA_16discard_iteratorISK_EESF_EEENSM_IJSG_SG_EEES6_PlJS6_EEE10hipError_tPvRmT3_T4_T5_T6_T7_T9_mT8_P12ihipStream_tbDpT10_ENKUlT_T0_E_clISt17integral_constantIbLb0EES1A_IbLb1EEEEDaS16_S17_EUlS16_E_NS1_11comp_targetILNS1_3genE4ELNS1_11target_archE910ELNS1_3gpuE8ELNS1_3repE0EEENS1_30default_config_static_selectorELNS0_4arch9wavefront6targetE1EEEvT1_,"axG",@progbits,_ZN7rocprim17ROCPRIM_400000_NS6detail17trampoline_kernelINS0_14default_configENS1_25partition_config_selectorILNS1_17partition_subalgoE1EiNS0_10empty_typeEbEEZZNS1_14partition_implILS5_1ELb0ES3_jN6thrust23THRUST_200600_302600_NS6detail15normal_iteratorINSA_10device_ptrIiEEEEPS6_NSA_18transform_iteratorI7is_evenIiESF_NSA_11use_defaultESK_EENS0_5tupleIJNSA_16discard_iteratorISK_EESF_EEENSM_IJSG_SG_EEES6_PlJS6_EEE10hipError_tPvRmT3_T4_T5_T6_T7_T9_mT8_P12ihipStream_tbDpT10_ENKUlT_T0_E_clISt17integral_constantIbLb0EES1A_IbLb1EEEEDaS16_S17_EUlS16_E_NS1_11comp_targetILNS1_3genE4ELNS1_11target_archE910ELNS1_3gpuE8ELNS1_3repE0EEENS1_30default_config_static_selectorELNS0_4arch9wavefront6targetE1EEEvT1_,comdat
	.protected	_ZN7rocprim17ROCPRIM_400000_NS6detail17trampoline_kernelINS0_14default_configENS1_25partition_config_selectorILNS1_17partition_subalgoE1EiNS0_10empty_typeEbEEZZNS1_14partition_implILS5_1ELb0ES3_jN6thrust23THRUST_200600_302600_NS6detail15normal_iteratorINSA_10device_ptrIiEEEEPS6_NSA_18transform_iteratorI7is_evenIiESF_NSA_11use_defaultESK_EENS0_5tupleIJNSA_16discard_iteratorISK_EESF_EEENSM_IJSG_SG_EEES6_PlJS6_EEE10hipError_tPvRmT3_T4_T5_T6_T7_T9_mT8_P12ihipStream_tbDpT10_ENKUlT_T0_E_clISt17integral_constantIbLb0EES1A_IbLb1EEEEDaS16_S17_EUlS16_E_NS1_11comp_targetILNS1_3genE4ELNS1_11target_archE910ELNS1_3gpuE8ELNS1_3repE0EEENS1_30default_config_static_selectorELNS0_4arch9wavefront6targetE1EEEvT1_ ; -- Begin function _ZN7rocprim17ROCPRIM_400000_NS6detail17trampoline_kernelINS0_14default_configENS1_25partition_config_selectorILNS1_17partition_subalgoE1EiNS0_10empty_typeEbEEZZNS1_14partition_implILS5_1ELb0ES3_jN6thrust23THRUST_200600_302600_NS6detail15normal_iteratorINSA_10device_ptrIiEEEEPS6_NSA_18transform_iteratorI7is_evenIiESF_NSA_11use_defaultESK_EENS0_5tupleIJNSA_16discard_iteratorISK_EESF_EEENSM_IJSG_SG_EEES6_PlJS6_EEE10hipError_tPvRmT3_T4_T5_T6_T7_T9_mT8_P12ihipStream_tbDpT10_ENKUlT_T0_E_clISt17integral_constantIbLb0EES1A_IbLb1EEEEDaS16_S17_EUlS16_E_NS1_11comp_targetILNS1_3genE4ELNS1_11target_archE910ELNS1_3gpuE8ELNS1_3repE0EEENS1_30default_config_static_selectorELNS0_4arch9wavefront6targetE1EEEvT1_
	.globl	_ZN7rocprim17ROCPRIM_400000_NS6detail17trampoline_kernelINS0_14default_configENS1_25partition_config_selectorILNS1_17partition_subalgoE1EiNS0_10empty_typeEbEEZZNS1_14partition_implILS5_1ELb0ES3_jN6thrust23THRUST_200600_302600_NS6detail15normal_iteratorINSA_10device_ptrIiEEEEPS6_NSA_18transform_iteratorI7is_evenIiESF_NSA_11use_defaultESK_EENS0_5tupleIJNSA_16discard_iteratorISK_EESF_EEENSM_IJSG_SG_EEES6_PlJS6_EEE10hipError_tPvRmT3_T4_T5_T6_T7_T9_mT8_P12ihipStream_tbDpT10_ENKUlT_T0_E_clISt17integral_constantIbLb0EES1A_IbLb1EEEEDaS16_S17_EUlS16_E_NS1_11comp_targetILNS1_3genE4ELNS1_11target_archE910ELNS1_3gpuE8ELNS1_3repE0EEENS1_30default_config_static_selectorELNS0_4arch9wavefront6targetE1EEEvT1_
	.p2align	8
	.type	_ZN7rocprim17ROCPRIM_400000_NS6detail17trampoline_kernelINS0_14default_configENS1_25partition_config_selectorILNS1_17partition_subalgoE1EiNS0_10empty_typeEbEEZZNS1_14partition_implILS5_1ELb0ES3_jN6thrust23THRUST_200600_302600_NS6detail15normal_iteratorINSA_10device_ptrIiEEEEPS6_NSA_18transform_iteratorI7is_evenIiESF_NSA_11use_defaultESK_EENS0_5tupleIJNSA_16discard_iteratorISK_EESF_EEENSM_IJSG_SG_EEES6_PlJS6_EEE10hipError_tPvRmT3_T4_T5_T6_T7_T9_mT8_P12ihipStream_tbDpT10_ENKUlT_T0_E_clISt17integral_constantIbLb0EES1A_IbLb1EEEEDaS16_S17_EUlS16_E_NS1_11comp_targetILNS1_3genE4ELNS1_11target_archE910ELNS1_3gpuE8ELNS1_3repE0EEENS1_30default_config_static_selectorELNS0_4arch9wavefront6targetE1EEEvT1_,@function
_ZN7rocprim17ROCPRIM_400000_NS6detail17trampoline_kernelINS0_14default_configENS1_25partition_config_selectorILNS1_17partition_subalgoE1EiNS0_10empty_typeEbEEZZNS1_14partition_implILS5_1ELb0ES3_jN6thrust23THRUST_200600_302600_NS6detail15normal_iteratorINSA_10device_ptrIiEEEEPS6_NSA_18transform_iteratorI7is_evenIiESF_NSA_11use_defaultESK_EENS0_5tupleIJNSA_16discard_iteratorISK_EESF_EEENSM_IJSG_SG_EEES6_PlJS6_EEE10hipError_tPvRmT3_T4_T5_T6_T7_T9_mT8_P12ihipStream_tbDpT10_ENKUlT_T0_E_clISt17integral_constantIbLb0EES1A_IbLb1EEEEDaS16_S17_EUlS16_E_NS1_11comp_targetILNS1_3genE4ELNS1_11target_archE910ELNS1_3gpuE8ELNS1_3repE0EEENS1_30default_config_static_selectorELNS0_4arch9wavefront6targetE1EEEvT1_: ; @_ZN7rocprim17ROCPRIM_400000_NS6detail17trampoline_kernelINS0_14default_configENS1_25partition_config_selectorILNS1_17partition_subalgoE1EiNS0_10empty_typeEbEEZZNS1_14partition_implILS5_1ELb0ES3_jN6thrust23THRUST_200600_302600_NS6detail15normal_iteratorINSA_10device_ptrIiEEEEPS6_NSA_18transform_iteratorI7is_evenIiESF_NSA_11use_defaultESK_EENS0_5tupleIJNSA_16discard_iteratorISK_EESF_EEENSM_IJSG_SG_EEES6_PlJS6_EEE10hipError_tPvRmT3_T4_T5_T6_T7_T9_mT8_P12ihipStream_tbDpT10_ENKUlT_T0_E_clISt17integral_constantIbLb0EES1A_IbLb1EEEEDaS16_S17_EUlS16_E_NS1_11comp_targetILNS1_3genE4ELNS1_11target_archE910ELNS1_3gpuE8ELNS1_3repE0EEENS1_30default_config_static_selectorELNS0_4arch9wavefront6targetE1EEEvT1_
; %bb.0:
	s_load_dwordx2 s[6:7], s[4:5], 0x20
	s_load_dwordx2 s[24:25], s[4:5], 0x40
	;; [unrolled: 1-line block ×3, first 2 shown]
	s_load_dwordx4 s[20:23], s[4:5], 0x58
	s_load_dwordx2 s[28:29], s[4:5], 0x78
	v_cmp_eq_u32_e64 s[0:1], 0, v0
	s_and_saveexec_b64 s[8:9], s[0:1]
	s_cbranch_execz .LBB3349_4
; %bb.1:
	s_mov_b64 s[12:13], exec
	v_mbcnt_lo_u32_b32 v1, s12, 0
	v_mbcnt_hi_u32_b32 v1, s13, v1
	v_cmp_eq_u32_e32 vcc, 0, v1
                                        ; implicit-def: $vgpr2
	s_and_saveexec_b64 s[10:11], vcc
	s_cbranch_execz .LBB3349_3
; %bb.2:
	s_load_dwordx2 s[14:15], s[4:5], 0x88
	s_bcnt1_i32_b64 s12, s[12:13]
	v_mov_b32_e32 v2, 0
	v_mov_b32_e32 v3, s12
	s_waitcnt lgkmcnt(0)
	global_atomic_add v2, v2, v3, s[14:15] glc
.LBB3349_3:
	s_or_b64 exec, exec, s[10:11]
	s_waitcnt vmcnt(0)
	v_readfirstlane_b32 s10, v2
	v_add_u32_e32 v1, s10, v1
	v_mov_b32_e32 v2, 0
	ds_write_b32 v2, v1
.LBB3349_4:
	s_or_b64 exec, exec, s[8:9]
	v_mov_b32_e32 v3, 0
	s_load_dwordx4 s[16:19], s[4:5], 0x8
	s_load_dword s8, s[4:5], 0x80
	s_waitcnt lgkmcnt(0)
	s_barrier
	ds_read_b32 v1, v3
	s_waitcnt lgkmcnt(0)
	s_barrier
	global_load_dwordx2 v[10:11], v3, s[22:23]
	v_mov_b32_e32 v5, s3
	s_lshl_b64 s[4:5], s[18:19], 2
	s_movk_i32 s3, 0x700
	s_add_u32 s9, s16, s4
	v_mul_lo_u32 v2, v1, s3
	s_mul_i32 s3, s8, 0x700
	s_addc_u32 s10, s17, s5
	s_add_i32 s11, s8, -1
	s_add_i32 s8, s3, s18
	s_sub_i32 s33, s2, s8
	s_addk_i32 s33, 0x700
	v_mov_b32_e32 v4, s2
	s_add_u32 s2, s18, s3
	v_readfirstlane_b32 s38, v1
	s_addc_u32 s3, s19, 0
	s_cmp_eq_u32 s38, s11
	s_cselect_b64 s[22:23], -1, 0
	s_cmp_lg_u32 s38, s11
	v_cmp_lt_u64_e32 vcc, s[2:3], v[4:5]
	s_cselect_b64 s[2:3], -1, 0
	v_lshlrev_b64 v[12:13], 2, v[2:3]
	s_or_b64 s[26:27], vcc, s[2:3]
	v_mov_b32_e32 v2, s10
	v_add_co_u32_e32 v1, vcc, s9, v12
	v_addc_co_u32_e32 v9, vcc, v2, v13, vcc
	s_mov_b64 s[2:3], -1
	s_and_b64 vcc, exec, s[26:27]
	v_lshlrev_b32_e32 v22, 2, v0
	s_cbranch_vccz .LBB3349_6
; %bb.5:
	v_add_co_u32_e32 v2, vcc, v1, v22
	v_addc_co_u32_e32 v3, vcc, 0, v9, vcc
	v_add_co_u32_e32 v4, vcc, 0x1000, v2
	v_addc_co_u32_e32 v5, vcc, 0, v3, vcc
	flat_load_dword v6, v[2:3]
	flat_load_dword v7, v[2:3] offset:1024
	flat_load_dword v8, v[2:3] offset:2048
	;; [unrolled: 1-line block ×3, first 2 shown]
	flat_load_dword v15, v[4:5]
	flat_load_dword v16, v[4:5] offset:1024
	flat_load_dword v17, v[4:5] offset:2048
	s_mov_b64 s[2:3], 0
	s_waitcnt vmcnt(0) lgkmcnt(0)
	ds_write2st64_b32 v22, v6, v7 offset1:4
	ds_write2st64_b32 v22, v8, v14 offset0:8 offset1:12
	ds_write2st64_b32 v22, v15, v16 offset0:16 offset1:20
	ds_write_b32 v22, v17 offset:6144
	s_waitcnt lgkmcnt(0)
	s_barrier
.LBB3349_6:
	s_andn2_b64 vcc, exec, s[2:3]
	v_cmp_gt_u32_e64 s[2:3], s33, v0
	s_cbranch_vccnz .LBB3349_22
; %bb.7:
                                        ; implicit-def: $vgpr2_vgpr3_vgpr4_vgpr5_vgpr6_vgpr7_vgpr8
	s_and_saveexec_b64 s[8:9], s[2:3]
	s_cbranch_execz .LBB3349_9
; %bb.8:
	v_add_co_u32_e32 v2, vcc, v1, v22
	v_addc_co_u32_e32 v3, vcc, 0, v9, vcc
	flat_load_dword v2, v[2:3]
.LBB3349_9:
	s_or_b64 exec, exec, s[8:9]
	v_or_b32_e32 v14, 0x100, v0
	v_cmp_gt_u32_e32 vcc, s33, v14
	s_and_saveexec_b64 s[2:3], vcc
	s_cbranch_execz .LBB3349_11
; %bb.10:
	v_add_co_u32_e32 v14, vcc, v1, v22
	v_addc_co_u32_e32 v15, vcc, 0, v9, vcc
	flat_load_dword v3, v[14:15] offset:1024
.LBB3349_11:
	s_or_b64 exec, exec, s[2:3]
	v_or_b32_e32 v14, 0x200, v0
	v_cmp_gt_u32_e32 vcc, s33, v14
	s_and_saveexec_b64 s[2:3], vcc
	s_cbranch_execz .LBB3349_13
; %bb.12:
	v_add_co_u32_e32 v14, vcc, v1, v22
	v_addc_co_u32_e32 v15, vcc, 0, v9, vcc
	flat_load_dword v4, v[14:15] offset:2048
.LBB3349_13:
	;; [unrolled: 10-line block ×3, first 2 shown]
	s_or_b64 exec, exec, s[2:3]
	v_or_b32_e32 v14, 0x400, v0
	v_cmp_gt_u32_e32 vcc, s33, v14
	s_and_saveexec_b64 s[2:3], vcc
	s_cbranch_execz .LBB3349_17
; %bb.16:
	v_lshlrev_b32_e32 v6, 2, v14
	v_add_co_u32_e32 v14, vcc, v1, v6
	v_addc_co_u32_e32 v15, vcc, 0, v9, vcc
	flat_load_dword v6, v[14:15]
.LBB3349_17:
	s_or_b64 exec, exec, s[2:3]
	v_or_b32_e32 v14, 0x500, v0
	v_cmp_gt_u32_e32 vcc, s33, v14
	s_and_saveexec_b64 s[2:3], vcc
	s_cbranch_execz .LBB3349_19
; %bb.18:
	v_lshlrev_b32_e32 v7, 2, v14
	v_add_co_u32_e32 v14, vcc, v1, v7
	v_addc_co_u32_e32 v15, vcc, 0, v9, vcc
	flat_load_dword v7, v[14:15]
.LBB3349_19:
	;; [unrolled: 11-line block ×3, first 2 shown]
	s_or_b64 exec, exec, s[2:3]
	s_waitcnt vmcnt(0) lgkmcnt(0)
	ds_write2st64_b32 v22, v2, v3 offset1:4
	ds_write2st64_b32 v22, v4, v5 offset0:8 offset1:12
	ds_write2st64_b32 v22, v6, v7 offset0:16 offset1:20
	ds_write_b32 v22, v8 offset:6144
	s_waitcnt lgkmcnt(0)
	s_barrier
.LBB3349_22:
	v_mul_u32_u24_e32 v24, 7, v0
	v_lshlrev_b32_e32 v9, 2, v24
	ds_read2_b32 v[6:7], v9 offset1:1
	ds_read2_b32 v[4:5], v9 offset0:2 offset1:3
	ds_read2_b32 v[2:3], v9 offset0:4 offset1:5
	ds_read_b32 v23, v9 offset:24
	s_add_u32 s2, s6, s4
	s_addc_u32 s3, s7, s5
	v_mov_b32_e32 v1, s3
	v_add_co_u32_e32 v8, vcc, s2, v12
	v_addc_co_u32_e32 v1, vcc, v1, v13, vcc
	s_mov_b64 s[2:3], -1
	s_and_b64 vcc, exec, s[26:27]
	s_waitcnt lgkmcnt(0)
	s_barrier
	s_cbranch_vccz .LBB3349_24
; %bb.23:
	v_add_co_u32_e32 v14, vcc, v8, v22
	v_readfirstlane_b32 s2, v8
	v_readfirstlane_b32 s3, v1
	v_addc_co_u32_e32 v15, vcc, 0, v1, vcc
	s_nop 3
	global_load_dword v16, v22, s[2:3]
	global_load_dword v17, v22, s[2:3] offset:1024
	global_load_dword v18, v22, s[2:3] offset:2048
	;; [unrolled: 1-line block ×3, first 2 shown]
	s_movk_i32 s2, 0x1000
	v_add_co_u32_e32 v14, vcc, s2, v14
	v_addc_co_u32_e32 v15, vcc, 0, v15, vcc
	global_load_dword v20, v[14:15], off
	global_load_dword v21, v[14:15], off offset:1024
	global_load_dword v25, v[14:15], off offset:2048
	s_mov_b64 s[2:3], 0
	s_waitcnt vmcnt(6)
	v_xor_b32_e32 v14, -1, v16
	s_waitcnt vmcnt(5)
	v_xor_b32_e32 v15, -1, v17
	;; [unrolled: 2-line block ×4, first 2 shown]
	v_and_b32_e32 v14, 1, v14
	v_and_b32_e32 v15, 1, v15
	v_and_b32_e32 v16, 1, v16
	s_waitcnt vmcnt(2)
	v_xor_b32_e32 v18, -1, v20
	s_waitcnt vmcnt(1)
	v_xor_b32_e32 v19, -1, v21
	;; [unrolled: 2-line block ×3, first 2 shown]
	v_and_b32_e32 v17, 1, v17
	v_and_b32_e32 v18, 1, v18
	;; [unrolled: 1-line block ×4, first 2 shown]
	ds_write_b8 v0, v14
	ds_write_b8 v0, v15 offset:256
	ds_write_b8 v0, v16 offset:512
	ds_write_b8 v0, v17 offset:768
	ds_write_b8 v0, v18 offset:1024
	ds_write_b8 v0, v19 offset:1280
	ds_write_b8 v0, v20 offset:1536
	s_waitcnt lgkmcnt(0)
	s_barrier
.LBB3349_24:
	s_andn2_b64 vcc, exec, s[2:3]
	s_cbranch_vccnz .LBB3349_40
; %bb.25:
	v_cmp_gt_u32_e32 vcc, s33, v0
	v_mov_b32_e32 v14, 0
	v_mov_b32_e32 v15, 0
	s_and_saveexec_b64 s[2:3], vcc
	s_cbranch_execz .LBB3349_27
; %bb.26:
	v_readfirstlane_b32 s4, v8
	v_readfirstlane_b32 s5, v1
	s_nop 4
	global_load_dword v15, v22, s[4:5]
	s_waitcnt vmcnt(0)
	v_xor_b32_e32 v15, -1, v15
	v_and_b32_e32 v15, 1, v15
.LBB3349_27:
	s_or_b64 exec, exec, s[2:3]
	v_or_b32_e32 v16, 0x100, v0
	v_cmp_gt_u32_e32 vcc, s33, v16
	s_and_saveexec_b64 s[2:3], vcc
	s_cbranch_execz .LBB3349_29
; %bb.28:
	v_readfirstlane_b32 s4, v8
	v_readfirstlane_b32 s5, v1
	s_nop 4
	global_load_dword v14, v22, s[4:5] offset:1024
	s_waitcnt vmcnt(0)
	v_xor_b32_e32 v14, -1, v14
	v_and_b32_e32 v14, 1, v14
.LBB3349_29:
	s_or_b64 exec, exec, s[2:3]
	v_or_b32_e32 v16, 0x200, v0
	v_cmp_gt_u32_e32 vcc, s33, v16
	v_mov_b32_e32 v16, 0
	v_mov_b32_e32 v17, 0
	s_and_saveexec_b64 s[2:3], vcc
	s_cbranch_execz .LBB3349_31
; %bb.30:
	v_readfirstlane_b32 s4, v8
	v_readfirstlane_b32 s5, v1
	s_nop 4
	global_load_dword v17, v22, s[4:5] offset:2048
	s_waitcnt vmcnt(0)
	v_xor_b32_e32 v17, -1, v17
	v_and_b32_e32 v17, 1, v17
.LBB3349_31:
	s_or_b64 exec, exec, s[2:3]
	v_or_b32_e32 v18, 0x300, v0
	v_cmp_gt_u32_e32 vcc, s33, v18
	s_and_saveexec_b64 s[2:3], vcc
	s_cbranch_execz .LBB3349_33
; %bb.32:
	v_readfirstlane_b32 s4, v8
	v_readfirstlane_b32 s5, v1
	s_nop 4
	global_load_dword v16, v22, s[4:5] offset:3072
	s_waitcnt vmcnt(0)
	v_xor_b32_e32 v16, -1, v16
	v_and_b32_e32 v16, 1, v16
.LBB3349_33:
	s_or_b64 exec, exec, s[2:3]
	v_or_b32_e32 v20, 0x400, v0
	v_cmp_gt_u32_e32 vcc, s33, v20
	v_mov_b32_e32 v18, 0
	v_mov_b32_e32 v19, 0
	s_and_saveexec_b64 s[2:3], vcc
	s_cbranch_execz .LBB3349_35
; %bb.34:
	v_lshlrev_b32_e32 v19, 2, v20
	v_readfirstlane_b32 s4, v8
	v_readfirstlane_b32 s5, v1
	s_nop 4
	global_load_dword v19, v19, s[4:5]
	s_waitcnt vmcnt(0)
	v_xor_b32_e32 v19, -1, v19
	v_and_b32_e32 v19, 1, v19
.LBB3349_35:
	s_or_b64 exec, exec, s[2:3]
	v_or_b32_e32 v20, 0x500, v0
	v_cmp_gt_u32_e32 vcc, s33, v20
	s_and_saveexec_b64 s[2:3], vcc
	s_cbranch_execz .LBB3349_37
; %bb.36:
	v_lshlrev_b32_e32 v18, 2, v20
	v_readfirstlane_b32 s4, v8
	v_readfirstlane_b32 s5, v1
	s_nop 4
	global_load_dword v18, v18, s[4:5]
	s_waitcnt vmcnt(0)
	v_xor_b32_e32 v18, -1, v18
	v_and_b32_e32 v18, 1, v18
.LBB3349_37:
	s_or_b64 exec, exec, s[2:3]
	v_or_b32_e32 v21, 0x600, v0
	v_cmp_gt_u32_e32 vcc, s33, v21
	v_mov_b32_e32 v20, 0
	s_and_saveexec_b64 s[2:3], vcc
	s_cbranch_execz .LBB3349_39
; %bb.38:
	v_lshlrev_b32_e32 v20, 2, v21
	v_readfirstlane_b32 s4, v8
	v_readfirstlane_b32 s5, v1
	s_nop 4
	global_load_dword v1, v20, s[4:5]
	s_waitcnt vmcnt(0)
	v_xor_b32_e32 v1, -1, v1
	v_and_b32_e32 v20, 1, v1
.LBB3349_39:
	s_or_b64 exec, exec, s[2:3]
	ds_write_b8 v0, v15
	ds_write_b8 v0, v14 offset:256
	ds_write_b8 v0, v17 offset:512
	;; [unrolled: 1-line block ×6, first 2 shown]
	s_waitcnt lgkmcnt(0)
	s_barrier
.LBB3349_40:
	s_movk_i32 s2, 0xffeb
	v_mad_i32_i24 v32, v0, s2, v9
	ds_read_u8 v1, v32
	ds_read_u8 v8, v32 offset:1
	ds_read_u8 v9, v32 offset:2
	;; [unrolled: 1-line block ×6, first 2 shown]
	s_waitcnt lgkmcnt(6)
	v_and_b32_e32 v30, 1, v1
	s_waitcnt lgkmcnt(5)
	v_and_b32_e32 v29, 1, v8
	;; [unrolled: 2-line block ×5, first 2 shown]
	v_add3_u32 v8, v29, v30, v28
	s_waitcnt lgkmcnt(1)
	v_and_b32_e32 v25, 1, v16
	s_waitcnt lgkmcnt(0)
	v_and_b32_e32 v1, 1, v17
	v_add3_u32 v8, v8, v27, v26
	v_add3_u32 v34, v8, v25, v1
	v_mbcnt_lo_u32_b32 v8, -1, 0
	v_mbcnt_hi_u32_b32 v31, -1, v8
	v_and_b32_e32 v8, 15, v31
	v_cmp_eq_u32_e64 s[14:15], 0, v8
	v_cmp_lt_u32_e64 s[12:13], 1, v8
	v_cmp_lt_u32_e64 s[10:11], 3, v8
	;; [unrolled: 1-line block ×3, first 2 shown]
	v_and_b32_e32 v8, 16, v31
	v_cmp_eq_u32_e64 s[6:7], 0, v8
	v_or_b32_e32 v8, 63, v0
	s_cmp_lg_u32 s38, 0
	v_cmp_lt_u32_e64 s[2:3], 31, v31
	v_lshrrev_b32_e32 v33, 6, v0
	v_cmp_eq_u32_e64 s[4:5], v8, v0
	s_barrier
	s_cbranch_scc0 .LBB3349_67
; %bb.41:
	v_mov_b32_dpp v8, v34 row_shr:1 row_mask:0xf bank_mask:0xf
	v_cndmask_b32_e64 v8, v8, 0, s[14:15]
	v_add_u32_e32 v8, v8, v34
	s_nop 1
	v_mov_b32_dpp v9, v8 row_shr:2 row_mask:0xf bank_mask:0xf
	v_cndmask_b32_e64 v9, 0, v9, s[12:13]
	v_add_u32_e32 v8, v8, v9
	s_nop 1
	;; [unrolled: 4-line block ×4, first 2 shown]
	v_mov_b32_dpp v9, v8 row_bcast:15 row_mask:0xf bank_mask:0xf
	v_cndmask_b32_e64 v9, v9, 0, s[6:7]
	v_add_u32_e32 v8, v8, v9
	s_nop 1
	v_mov_b32_dpp v9, v8 row_bcast:31 row_mask:0xf bank_mask:0xf
	v_cndmask_b32_e64 v9, 0, v9, s[2:3]
	v_add_u32_e32 v8, v8, v9
	s_and_saveexec_b64 s[16:17], s[4:5]
	s_cbranch_execz .LBB3349_43
; %bb.42:
	v_lshlrev_b32_e32 v9, 2, v33
	ds_write_b32 v9, v8
.LBB3349_43:
	s_or_b64 exec, exec, s[16:17]
	v_cmp_gt_u32_e32 vcc, 4, v0
	s_waitcnt lgkmcnt(0)
	s_barrier
	s_and_saveexec_b64 s[16:17], vcc
	s_cbranch_execz .LBB3349_45
; %bb.44:
	ds_read_b32 v9, v22
	v_and_b32_e32 v14, 3, v31
	v_cmp_ne_u32_e32 vcc, 0, v14
	s_waitcnt lgkmcnt(0)
	v_mov_b32_dpp v15, v9 row_shr:1 row_mask:0xf bank_mask:0xf
	v_cndmask_b32_e32 v15, 0, v15, vcc
	v_add_u32_e32 v9, v15, v9
	v_cmp_lt_u32_e32 vcc, 1, v14
	s_nop 0
	v_mov_b32_dpp v15, v9 row_shr:2 row_mask:0xf bank_mask:0xf
	v_cndmask_b32_e32 v14, 0, v15, vcc
	v_add_u32_e32 v9, v9, v14
	ds_write_b32 v22, v9
.LBB3349_45:
	s_or_b64 exec, exec, s[16:17]
	v_cmp_gt_u32_e32 vcc, 64, v0
	v_cmp_lt_u32_e64 s[16:17], 63, v0
	s_waitcnt lgkmcnt(0)
	s_barrier
	s_waitcnt lgkmcnt(0)
                                        ; implicit-def: $vgpr35
	s_and_saveexec_b64 s[30:31], s[16:17]
	s_cbranch_execz .LBB3349_47
; %bb.46:
	v_lshl_add_u32 v9, v33, 2, -4
	ds_read_b32 v35, v9
	s_waitcnt lgkmcnt(0)
	v_add_u32_e32 v8, v35, v8
.LBB3349_47:
	s_or_b64 exec, exec, s[30:31]
	v_add_u32_e32 v9, -1, v31
	v_and_b32_e32 v14, 64, v31
	v_cmp_lt_i32_e64 s[16:17], v9, v14
	v_cndmask_b32_e64 v9, v9, v31, s[16:17]
	v_lshlrev_b32_e32 v9, 2, v9
	ds_bpermute_b32 v36, v9, v8
	v_cmp_eq_u32_e64 s[16:17], 0, v31
	s_and_saveexec_b64 s[30:31], vcc
	s_cbranch_execz .LBB3349_66
; %bb.48:
	v_mov_b32_e32 v19, 0
	ds_read_b32 v8, v19 offset:12
	s_and_saveexec_b64 s[34:35], s[16:17]
	s_cbranch_execz .LBB3349_50
; %bb.49:
	s_add_i32 s36, s38, 64
	s_mov_b32 s37, 0
	s_lshl_b64 s[36:37], s[36:37], 3
	s_add_u32 s36, s28, s36
	v_mov_b32_e32 v9, 1
	s_addc_u32 s37, s29, s37
	s_waitcnt lgkmcnt(0)
	global_store_dwordx2 v19, v[8:9], s[36:37]
.LBB3349_50:
	s_or_b64 exec, exec, s[34:35]
	v_xad_u32 v14, v31, -1, s38
	v_add_u32_e32 v18, 64, v14
	v_lshlrev_b64 v[16:17], 3, v[18:19]
	v_mov_b32_e32 v9, s29
	v_add_co_u32_e32 v20, vcc, s28, v16
	v_addc_co_u32_e32 v21, vcc, v9, v17, vcc
	global_load_dwordx2 v[16:17], v[20:21], off glc
	s_waitcnt vmcnt(0)
	v_cmp_eq_u16_sdwa s[36:37], v17, v19 src0_sel:BYTE_0 src1_sel:DWORD
	s_and_saveexec_b64 s[34:35], s[36:37]
	s_cbranch_execz .LBB3349_54
; %bb.51:
	s_mov_b64 s[36:37], 0
	v_mov_b32_e32 v9, 0
.LBB3349_52:                            ; =>This Inner Loop Header: Depth=1
	global_load_dwordx2 v[16:17], v[20:21], off glc
	s_waitcnt vmcnt(0)
	v_cmp_ne_u16_sdwa s[40:41], v17, v9 src0_sel:BYTE_0 src1_sel:DWORD
	s_or_b64 s[36:37], s[40:41], s[36:37]
	s_andn2_b64 exec, exec, s[36:37]
	s_cbranch_execnz .LBB3349_52
; %bb.53:
	s_or_b64 exec, exec, s[36:37]
.LBB3349_54:
	s_or_b64 exec, exec, s[34:35]
	v_and_b32_e32 v38, 63, v31
	v_mov_b32_e32 v37, 2
	v_cmp_ne_u32_e32 vcc, 63, v38
	v_cmp_eq_u16_sdwa s[34:35], v17, v37 src0_sel:BYTE_0 src1_sel:DWORD
	v_lshlrev_b64 v[18:19], v31, -1
	v_addc_co_u32_e32 v20, vcc, 0, v31, vcc
	v_and_b32_e32 v9, s35, v19
	v_lshlrev_b32_e32 v39, 2, v20
	v_or_b32_e32 v9, 0x80000000, v9
	ds_bpermute_b32 v20, v39, v16
	v_and_b32_e32 v15, s34, v18
	v_ffbl_b32_e32 v9, v9
	v_add_u32_e32 v9, 32, v9
	v_ffbl_b32_e32 v15, v15
	v_min_u32_e32 v9, v15, v9
	v_cmp_lt_u32_e32 vcc, v38, v9
	s_waitcnt lgkmcnt(0)
	v_cndmask_b32_e32 v15, 0, v20, vcc
	v_cmp_gt_u32_e32 vcc, 62, v38
	v_add_u32_e32 v15, v15, v16
	v_cndmask_b32_e64 v16, 0, 1, vcc
	v_lshlrev_b32_e32 v16, 1, v16
	v_add_lshl_u32 v40, v16, v31, 2
	ds_bpermute_b32 v16, v40, v15
	v_add_u32_e32 v41, 2, v38
	v_cmp_le_u32_e32 vcc, v41, v9
	v_add_u32_e32 v43, 4, v38
	v_add_u32_e32 v45, 8, v38
	s_waitcnt lgkmcnt(0)
	v_cndmask_b32_e32 v16, 0, v16, vcc
	v_cmp_gt_u32_e32 vcc, 60, v38
	v_add_u32_e32 v15, v15, v16
	v_cndmask_b32_e64 v16, 0, 1, vcc
	v_lshlrev_b32_e32 v16, 2, v16
	v_add_lshl_u32 v42, v16, v31, 2
	ds_bpermute_b32 v16, v42, v15
	v_cmp_le_u32_e32 vcc, v43, v9
	v_add_u32_e32 v47, 16, v38
	v_add_u32_e32 v49, 32, v38
	s_waitcnt lgkmcnt(0)
	v_cndmask_b32_e32 v16, 0, v16, vcc
	v_cmp_gt_u32_e32 vcc, 56, v38
	v_add_u32_e32 v15, v15, v16
	v_cndmask_b32_e64 v16, 0, 1, vcc
	v_lshlrev_b32_e32 v16, 3, v16
	v_add_lshl_u32 v44, v16, v31, 2
	ds_bpermute_b32 v16, v44, v15
	v_cmp_le_u32_e32 vcc, v45, v9
	s_waitcnt lgkmcnt(0)
	v_cndmask_b32_e32 v16, 0, v16, vcc
	v_cmp_gt_u32_e32 vcc, 48, v38
	v_add_u32_e32 v15, v15, v16
	v_cndmask_b32_e64 v16, 0, 1, vcc
	v_lshlrev_b32_e32 v16, 4, v16
	v_add_lshl_u32 v46, v16, v31, 2
	ds_bpermute_b32 v16, v46, v15
	v_cmp_le_u32_e32 vcc, v47, v9
	;; [unrolled: 9-line block ×3, first 2 shown]
	s_waitcnt lgkmcnt(0)
	v_cndmask_b32_e32 v9, 0, v16, vcc
	v_add_u32_e32 v16, v15, v9
	v_mov_b32_e32 v15, 0
	s_branch .LBB3349_56
.LBB3349_55:                            ;   in Loop: Header=BB3349_56 Depth=1
	s_or_b64 exec, exec, s[34:35]
	v_cmp_eq_u16_sdwa s[34:35], v17, v37 src0_sel:BYTE_0 src1_sel:DWORD
	v_and_b32_e32 v20, s35, v19
	v_or_b32_e32 v20, 0x80000000, v20
	ds_bpermute_b32 v50, v39, v16
	v_and_b32_e32 v21, s34, v18
	v_ffbl_b32_e32 v20, v20
	v_add_u32_e32 v20, 32, v20
	v_ffbl_b32_e32 v21, v21
	v_min_u32_e32 v20, v21, v20
	v_cmp_lt_u32_e32 vcc, v38, v20
	s_waitcnt lgkmcnt(0)
	v_cndmask_b32_e32 v21, 0, v50, vcc
	v_add_u32_e32 v16, v21, v16
	ds_bpermute_b32 v21, v40, v16
	v_cmp_le_u32_e32 vcc, v41, v20
	v_subrev_u32_e32 v14, 64, v14
	s_waitcnt lgkmcnt(0)
	v_cndmask_b32_e32 v21, 0, v21, vcc
	v_add_u32_e32 v16, v16, v21
	ds_bpermute_b32 v21, v42, v16
	v_cmp_le_u32_e32 vcc, v43, v20
	s_waitcnt lgkmcnt(0)
	v_cndmask_b32_e32 v21, 0, v21, vcc
	v_add_u32_e32 v16, v16, v21
	ds_bpermute_b32 v21, v44, v16
	v_cmp_le_u32_e32 vcc, v45, v20
	;; [unrolled: 5-line block ×4, first 2 shown]
	s_waitcnt lgkmcnt(0)
	v_cndmask_b32_e32 v20, 0, v21, vcc
	v_add3_u32 v16, v20, v9, v16
.LBB3349_56:                            ; =>This Loop Header: Depth=1
                                        ;     Child Loop BB3349_59 Depth 2
	v_cmp_ne_u16_sdwa s[34:35], v17, v37 src0_sel:BYTE_0 src1_sel:DWORD
	v_cndmask_b32_e64 v9, 0, 1, s[34:35]
	;;#ASMSTART
	;;#ASMEND
	v_cmp_ne_u32_e32 vcc, 0, v9
	s_cmp_lg_u64 vcc, exec
	v_mov_b32_e32 v9, v16
	s_cbranch_scc1 .LBB3349_61
; %bb.57:                               ;   in Loop: Header=BB3349_56 Depth=1
	v_lshlrev_b64 v[16:17], 3, v[14:15]
	v_mov_b32_e32 v21, s29
	v_add_co_u32_e32 v20, vcc, s28, v16
	v_addc_co_u32_e32 v21, vcc, v21, v17, vcc
	global_load_dwordx2 v[16:17], v[20:21], off glc
	s_waitcnt vmcnt(0)
	v_cmp_eq_u16_sdwa s[36:37], v17, v15 src0_sel:BYTE_0 src1_sel:DWORD
	s_and_saveexec_b64 s[34:35], s[36:37]
	s_cbranch_execz .LBB3349_55
; %bb.58:                               ;   in Loop: Header=BB3349_56 Depth=1
	s_mov_b64 s[36:37], 0
.LBB3349_59:                            ;   Parent Loop BB3349_56 Depth=1
                                        ; =>  This Inner Loop Header: Depth=2
	global_load_dwordx2 v[16:17], v[20:21], off glc
	s_waitcnt vmcnt(0)
	v_cmp_ne_u16_sdwa s[40:41], v17, v15 src0_sel:BYTE_0 src1_sel:DWORD
	s_or_b64 s[36:37], s[40:41], s[36:37]
	s_andn2_b64 exec, exec, s[36:37]
	s_cbranch_execnz .LBB3349_59
; %bb.60:                               ;   in Loop: Header=BB3349_56 Depth=1
	s_or_b64 exec, exec, s[36:37]
	s_branch .LBB3349_55
.LBB3349_61:                            ;   in Loop: Header=BB3349_56 Depth=1
                                        ; implicit-def: $vgpr16
                                        ; implicit-def: $vgpr17
	s_cbranch_execz .LBB3349_56
; %bb.62:
	s_and_saveexec_b64 s[34:35], s[16:17]
	s_cbranch_execz .LBB3349_64
; %bb.63:
	s_add_i32 s36, s38, 64
	s_mov_b32 s37, 0
	s_lshl_b64 s[36:37], s[36:37], 3
	s_add_u32 s36, s28, s36
	v_add_u32_e32 v14, v9, v8
	v_mov_b32_e32 v15, 2
	s_addc_u32 s37, s29, s37
	v_mov_b32_e32 v16, 0
	global_store_dwordx2 v16, v[14:15], s[36:37]
	ds_write_b64 v16, v[8:9] offset:7168
.LBB3349_64:
	s_or_b64 exec, exec, s[34:35]
	s_and_b64 exec, exec, s[0:1]
	s_cbranch_execz .LBB3349_66
; %bb.65:
	v_mov_b32_e32 v8, 0
	ds_write_b32 v8, v9 offset:12
.LBB3349_66:
	s_or_b64 exec, exec, s[30:31]
	v_mov_b32_e32 v8, 0
	s_waitcnt lgkmcnt(0)
	s_barrier
	ds_read_b32 v9, v8 offset:12
	v_cndmask_b32_e64 v14, v36, v35, s[16:17]
	v_cndmask_b32_e64 v14, v14, 0, s[0:1]
	s_waitcnt lgkmcnt(0)
	s_barrier
	v_add_u32_e32 v20, v9, v14
	v_add_u32_e32 v19, v20, v30
	;; [unrolled: 1-line block ×3, first 2 shown]
	ds_read_b64 v[8:9], v8 offset:7168
	v_add_u32_e32 v16, v18, v28
	v_add_u32_e32 v17, v16, v27
	;; [unrolled: 1-line block ×4, first 2 shown]
	s_branch .LBB3349_77
.LBB3349_67:
                                        ; implicit-def: $vgpr9
                                        ; implicit-def: $vgpr14
                                        ; implicit-def: $vgpr15
                                        ; implicit-def: $vgpr17
                                        ; implicit-def: $vgpr16
                                        ; implicit-def: $vgpr18
                                        ; implicit-def: $vgpr19
                                        ; implicit-def: $vgpr20
	s_cbranch_execz .LBB3349_77
; %bb.68:
	s_waitcnt lgkmcnt(0)
	v_mov_b32_dpp v8, v34 row_shr:1 row_mask:0xf bank_mask:0xf
	v_cndmask_b32_e64 v8, v8, 0, s[14:15]
	v_add_u32_e32 v8, v8, v34
	s_nop 1
	v_mov_b32_dpp v9, v8 row_shr:2 row_mask:0xf bank_mask:0xf
	v_cndmask_b32_e64 v9, 0, v9, s[12:13]
	v_add_u32_e32 v8, v8, v9
	s_nop 1
	;; [unrolled: 4-line block ×4, first 2 shown]
	v_mov_b32_dpp v9, v8 row_bcast:15 row_mask:0xf bank_mask:0xf
	v_cndmask_b32_e64 v9, v9, 0, s[6:7]
	v_add_u32_e32 v8, v8, v9
	s_nop 1
	v_mov_b32_dpp v9, v8 row_bcast:31 row_mask:0xf bank_mask:0xf
	v_cndmask_b32_e64 v9, 0, v9, s[2:3]
	v_add_u32_e32 v8, v8, v9
	s_and_saveexec_b64 s[2:3], s[4:5]
	s_cbranch_execz .LBB3349_70
; %bb.69:
	v_lshlrev_b32_e32 v9, 2, v33
	ds_write_b32 v9, v8
.LBB3349_70:
	s_or_b64 exec, exec, s[2:3]
	v_cmp_gt_u32_e32 vcc, 4, v0
	s_waitcnt lgkmcnt(0)
	s_barrier
	s_and_saveexec_b64 s[2:3], vcc
	s_cbranch_execz .LBB3349_72
; %bb.71:
	v_mad_i32_i24 v9, v0, -3, v32
	ds_read_b32 v14, v9
	v_and_b32_e32 v15, 3, v31
	v_cmp_ne_u32_e32 vcc, 0, v15
	s_waitcnt lgkmcnt(0)
	v_mov_b32_dpp v16, v14 row_shr:1 row_mask:0xf bank_mask:0xf
	v_cndmask_b32_e32 v16, 0, v16, vcc
	v_add_u32_e32 v14, v16, v14
	v_cmp_lt_u32_e32 vcc, 1, v15
	s_nop 0
	v_mov_b32_dpp v16, v14 row_shr:2 row_mask:0xf bank_mask:0xf
	v_cndmask_b32_e32 v15, 0, v16, vcc
	v_add_u32_e32 v14, v14, v15
	ds_write_b32 v9, v14
.LBB3349_72:
	s_or_b64 exec, exec, s[2:3]
	v_cmp_lt_u32_e32 vcc, 63, v0
	v_mov_b32_e32 v9, 0
	v_mov_b32_e32 v14, 0
	s_waitcnt lgkmcnt(0)
	s_barrier
	s_and_saveexec_b64 s[2:3], vcc
	s_cbranch_execz .LBB3349_74
; %bb.73:
	v_lshl_add_u32 v14, v33, 2, -4
	ds_read_b32 v14, v14
.LBB3349_74:
	s_or_b64 exec, exec, s[2:3]
	v_add_u32_e32 v15, -1, v31
	v_and_b32_e32 v16, 64, v31
	v_cmp_lt_i32_e32 vcc, v15, v16
	v_cndmask_b32_e32 v15, v15, v31, vcc
	s_waitcnt lgkmcnt(0)
	v_add_u32_e32 v8, v14, v8
	v_lshlrev_b32_e32 v15, 2, v15
	ds_bpermute_b32 v15, v15, v8
	ds_read_b32 v8, v9 offset:12
	s_and_saveexec_b64 s[2:3], s[0:1]
	s_cbranch_execz .LBB3349_76
; %bb.75:
	v_mov_b32_e32 v16, 0
	v_mov_b32_e32 v9, 2
	s_waitcnt lgkmcnt(0)
	global_store_dwordx2 v16, v[8:9], s[28:29] offset:512
.LBB3349_76:
	s_or_b64 exec, exec, s[2:3]
	v_cmp_eq_u32_e32 vcc, 0, v31
	s_waitcnt lgkmcnt(1)
	v_cndmask_b32_e32 v14, v15, v14, vcc
	v_cndmask_b32_e64 v20, v14, 0, s[0:1]
	v_add_u32_e32 v19, v20, v30
	v_add_u32_e32 v18, v19, v29
	;; [unrolled: 1-line block ×5, first 2 shown]
	v_mov_b32_e32 v9, 0
	v_add_u32_e32 v14, v15, v25
	s_waitcnt lgkmcnt(0)
	s_barrier
.LBB3349_77:
	s_waitcnt lgkmcnt(0)
	v_add_u32_e32 v21, v8, v24
	v_sub_u32_e32 v20, v20, v9
	v_sub_u32_e32 v24, v21, v20
	v_cmp_eq_u32_e32 vcc, 1, v30
	v_cndmask_b32_e32 v20, v24, v20, vcc
	v_lshlrev_b32_e32 v20, 2, v20
	ds_write_b32 v20, v6
	v_sub_u32_e32 v6, v19, v9
	v_sub_u32_e32 v19, v21, v6
	v_add_u32_e32 v19, 1, v19
	v_cmp_eq_u32_e32 vcc, 1, v29
	v_cndmask_b32_e32 v6, v19, v6, vcc
	v_lshlrev_b32_e32 v6, 2, v6
	ds_write_b32 v6, v7
	v_sub_u32_e32 v6, v18, v9
	v_sub_u32_e32 v7, v21, v6
	v_add_u32_e32 v7, 2, v7
	;; [unrolled: 7-line block ×6, first 2 shown]
	v_cmp_eq_u32_e32 vcc, 1, v1
	v_cndmask_b32_e32 v1, v3, v2, vcc
	v_lshlrev_b32_e32 v1, 2, v1
	ds_write_b32 v1, v23
	s_waitcnt vmcnt(0)
	v_add_co_u32_e32 v1, vcc, v10, v8
	v_addc_co_u32_e32 v3, vcc, 0, v11, vcc
	v_add_co_u32_e32 v2, vcc, v1, v9
	v_addc_co_u32_e32 v3, vcc, 0, v3, vcc
	v_mov_b32_e32 v1, s19
	v_sub_co_u32_e32 v10, vcc, s18, v2
	v_subb_co_u32_e32 v11, vcc, v1, v3, vcc
	v_lshlrev_b64 v[10:11], 2, v[10:11]
	s_waitcnt lgkmcnt(0)
	s_barrier
	ds_read2st64_b32 v[16:17], v22 offset1:4
	ds_read2st64_b32 v[14:15], v22 offset0:8 offset1:12
	ds_read2st64_b32 v[4:5], v22 offset0:16 offset1:20
	ds_read_b32 v7, v22 offset:6144
	v_mov_b32_e32 v1, s25
	v_add_co_u32_e32 v6, vcc, s24, v10
	v_addc_co_u32_e32 v1, vcc, v1, v11, vcc
	v_add_co_u32_e32 v6, vcc, v6, v12
	v_addc_co_u32_e32 v1, vcc, v1, v13, vcc
	v_or_b32_e32 v24, 0x100, v0
	v_or_b32_e32 v23, 0x200, v0
	;; [unrolled: 1-line block ×6, first 2 shown]
	s_andn2_b64 vcc, exec, s[26:27]
	v_cmp_le_u32_e64 s[2:3], v8, v0
	s_cbranch_vccnz .LBB3349_86
; %bb.78:
	s_and_saveexec_b64 s[4:5], s[2:3]
	s_cbranch_execnz .LBB3349_105
; %bb.79:
	s_or_b64 exec, exec, s[4:5]
	v_cmp_ge_u32_e32 vcc, v24, v8
	s_and_saveexec_b64 s[2:3], vcc
	s_cbranch_execnz .LBB3349_106
.LBB3349_80:
	s_or_b64 exec, exec, s[2:3]
	v_cmp_ge_u32_e32 vcc, v23, v8
	s_and_saveexec_b64 s[2:3], vcc
	s_cbranch_execnz .LBB3349_107
.LBB3349_81:
	s_or_b64 exec, exec, s[2:3]
	v_cmp_ge_u32_e32 vcc, v21, v8
	s_and_saveexec_b64 s[2:3], vcc
	s_cbranch_execnz .LBB3349_108
.LBB3349_82:
	s_or_b64 exec, exec, s[2:3]
	v_cmp_ge_u32_e32 vcc, v20, v8
	s_and_saveexec_b64 s[2:3], vcc
	s_cbranch_execnz .LBB3349_109
.LBB3349_83:
	s_or_b64 exec, exec, s[2:3]
	v_cmp_ge_u32_e32 vcc, v19, v8
	s_and_saveexec_b64 s[2:3], vcc
	s_cbranch_execz .LBB3349_85
.LBB3349_84:
	v_lshlrev_b32_e32 v9, 2, v19
	v_readfirstlane_b32 s4, v6
	v_readfirstlane_b32 s5, v1
	s_waitcnt lgkmcnt(1)
	s_nop 3
	global_store_dword v9, v5, s[4:5]
.LBB3349_85:
	s_or_b64 exec, exec, s[2:3]
	v_cmp_ge_u32_e64 s[2:3], v18, v8
	s_branch .LBB3349_100
.LBB3349_86:
	s_mov_b64 s[2:3], 0
	s_cbranch_execz .LBB3349_100
; %bb.87:
	v_cmp_gt_u32_e32 vcc, s33, v0
	v_cmp_le_u32_e64 s[2:3], v8, v0
	s_and_b64 s[4:5], vcc, s[2:3]
	s_and_saveexec_b64 s[2:3], s[4:5]
	s_cbranch_execz .LBB3349_89
; %bb.88:
	v_readfirstlane_b32 s4, v6
	v_readfirstlane_b32 s5, v1
	s_waitcnt lgkmcnt(3)
	s_nop 3
	global_store_dword v22, v16, s[4:5]
.LBB3349_89:
	s_or_b64 exec, exec, s[2:3]
	v_cmp_gt_u32_e32 vcc, s33, v24
	v_cmp_ge_u32_e64 s[2:3], v24, v8
	s_and_b64 s[4:5], vcc, s[2:3]
	s_and_saveexec_b64 s[2:3], s[4:5]
	s_cbranch_execz .LBB3349_91
; %bb.90:
	v_readfirstlane_b32 s4, v6
	v_readfirstlane_b32 s5, v1
	s_waitcnt lgkmcnt(3)
	s_nop 3
	global_store_dword v22, v17, s[4:5] offset:1024
.LBB3349_91:
	s_or_b64 exec, exec, s[2:3]
	v_cmp_gt_u32_e32 vcc, s33, v23
	v_cmp_ge_u32_e64 s[2:3], v23, v8
	s_and_b64 s[4:5], vcc, s[2:3]
	s_and_saveexec_b64 s[2:3], s[4:5]
	s_cbranch_execz .LBB3349_93
; %bb.92:
	v_readfirstlane_b32 s4, v6
	v_readfirstlane_b32 s5, v1
	s_waitcnt lgkmcnt(2)
	s_nop 3
	global_store_dword v22, v14, s[4:5] offset:2048
.LBB3349_93:
	s_or_b64 exec, exec, s[2:3]
	v_cmp_gt_u32_e32 vcc, s33, v21
	v_cmp_ge_u32_e64 s[2:3], v21, v8
	s_and_b64 s[4:5], vcc, s[2:3]
	s_and_saveexec_b64 s[2:3], s[4:5]
	s_cbranch_execz .LBB3349_95
; %bb.94:
	v_readfirstlane_b32 s4, v6
	v_readfirstlane_b32 s5, v1
	s_waitcnt lgkmcnt(2)
	s_nop 3
	global_store_dword v22, v15, s[4:5] offset:3072
.LBB3349_95:
	s_or_b64 exec, exec, s[2:3]
	v_cmp_gt_u32_e32 vcc, s33, v20
	v_cmp_ge_u32_e64 s[2:3], v20, v8
	s_and_b64 s[4:5], vcc, s[2:3]
	s_and_saveexec_b64 s[2:3], s[4:5]
	s_cbranch_execz .LBB3349_97
; %bb.96:
	v_lshlrev_b32_e32 v0, 2, v20
	v_readfirstlane_b32 s4, v6
	v_readfirstlane_b32 s5, v1
	s_waitcnt lgkmcnt(1)
	s_nop 3
	global_store_dword v0, v4, s[4:5]
.LBB3349_97:
	s_or_b64 exec, exec, s[2:3]
	v_cmp_gt_u32_e32 vcc, s33, v19
	v_cmp_ge_u32_e64 s[2:3], v19, v8
	s_and_b64 s[4:5], vcc, s[2:3]
	s_and_saveexec_b64 s[2:3], s[4:5]
	s_cbranch_execz .LBB3349_99
; %bb.98:
	v_lshlrev_b32_e32 v0, 2, v19
	v_readfirstlane_b32 s4, v6
	v_readfirstlane_b32 s5, v1
	s_waitcnt lgkmcnt(1)
	s_nop 3
	global_store_dword v0, v5, s[4:5]
.LBB3349_99:
	s_or_b64 exec, exec, s[2:3]
	v_cmp_gt_u32_e32 vcc, s33, v18
	v_cmp_ge_u32_e64 s[2:3], v18, v8
	s_and_b64 s[2:3], vcc, s[2:3]
.LBB3349_100:
	s_and_saveexec_b64 s[4:5], s[2:3]
	s_cbranch_execnz .LBB3349_103
; %bb.101:
	s_or_b64 exec, exec, s[4:5]
	s_and_b64 s[0:1], s[0:1], s[22:23]
	s_and_saveexec_b64 s[2:3], s[0:1]
	s_cbranch_execnz .LBB3349_104
.LBB3349_102:
	s_endpgm
.LBB3349_103:
	v_lshlrev_b32_e32 v0, 2, v18
	v_readfirstlane_b32 s2, v6
	v_readfirstlane_b32 s3, v1
	s_waitcnt lgkmcnt(0)
	s_nop 3
	global_store_dword v0, v7, s[2:3]
	s_or_b64 exec, exec, s[4:5]
	s_and_b64 s[0:1], s[0:1], s[22:23]
	s_and_saveexec_b64 s[2:3], s[0:1]
	s_cbranch_execz .LBB3349_102
.LBB3349_104:
	v_mov_b32_e32 v0, 0
	global_store_dwordx2 v0, v[2:3], s[20:21]
	s_endpgm
.LBB3349_105:
	v_readfirstlane_b32 s2, v6
	v_readfirstlane_b32 s3, v1
	s_waitcnt lgkmcnt(3)
	s_nop 3
	global_store_dword v22, v16, s[2:3]
	s_or_b64 exec, exec, s[4:5]
	v_cmp_ge_u32_e32 vcc, v24, v8
	s_and_saveexec_b64 s[2:3], vcc
	s_cbranch_execz .LBB3349_80
.LBB3349_106:
	v_readfirstlane_b32 s4, v6
	v_readfirstlane_b32 s5, v1
	s_waitcnt lgkmcnt(3)
	s_nop 3
	global_store_dword v22, v17, s[4:5] offset:1024
	s_or_b64 exec, exec, s[2:3]
	v_cmp_ge_u32_e32 vcc, v23, v8
	s_and_saveexec_b64 s[2:3], vcc
	s_cbranch_execz .LBB3349_81
.LBB3349_107:
	v_readfirstlane_b32 s4, v6
	v_readfirstlane_b32 s5, v1
	s_waitcnt lgkmcnt(2)
	s_nop 3
	global_store_dword v22, v14, s[4:5] offset:2048
	s_or_b64 exec, exec, s[2:3]
	v_cmp_ge_u32_e32 vcc, v21, v8
	s_and_saveexec_b64 s[2:3], vcc
	s_cbranch_execz .LBB3349_82
.LBB3349_108:
	v_readfirstlane_b32 s4, v6
	v_readfirstlane_b32 s5, v1
	s_waitcnt lgkmcnt(2)
	s_nop 3
	global_store_dword v22, v15, s[4:5] offset:3072
	s_or_b64 exec, exec, s[2:3]
	v_cmp_ge_u32_e32 vcc, v20, v8
	s_and_saveexec_b64 s[2:3], vcc
	s_cbranch_execz .LBB3349_83
.LBB3349_109:
	v_lshlrev_b32_e32 v9, 2, v20
	v_readfirstlane_b32 s4, v6
	v_readfirstlane_b32 s5, v1
	s_waitcnt lgkmcnt(1)
	s_nop 3
	global_store_dword v9, v4, s[4:5]
	s_or_b64 exec, exec, s[2:3]
	v_cmp_ge_u32_e32 vcc, v19, v8
	s_and_saveexec_b64 s[2:3], vcc
	s_cbranch_execnz .LBB3349_84
	s_branch .LBB3349_85
	.section	.rodata,"a",@progbits
	.p2align	6, 0x0
	.amdhsa_kernel _ZN7rocprim17ROCPRIM_400000_NS6detail17trampoline_kernelINS0_14default_configENS1_25partition_config_selectorILNS1_17partition_subalgoE1EiNS0_10empty_typeEbEEZZNS1_14partition_implILS5_1ELb0ES3_jN6thrust23THRUST_200600_302600_NS6detail15normal_iteratorINSA_10device_ptrIiEEEEPS6_NSA_18transform_iteratorI7is_evenIiESF_NSA_11use_defaultESK_EENS0_5tupleIJNSA_16discard_iteratorISK_EESF_EEENSM_IJSG_SG_EEES6_PlJS6_EEE10hipError_tPvRmT3_T4_T5_T6_T7_T9_mT8_P12ihipStream_tbDpT10_ENKUlT_T0_E_clISt17integral_constantIbLb0EES1A_IbLb1EEEEDaS16_S17_EUlS16_E_NS1_11comp_targetILNS1_3genE4ELNS1_11target_archE910ELNS1_3gpuE8ELNS1_3repE0EEENS1_30default_config_static_selectorELNS0_4arch9wavefront6targetE1EEEvT1_
		.amdhsa_group_segment_fixed_size 7176
		.amdhsa_private_segment_fixed_size 0
		.amdhsa_kernarg_size 152
		.amdhsa_user_sgpr_count 6
		.amdhsa_user_sgpr_private_segment_buffer 1
		.amdhsa_user_sgpr_dispatch_ptr 0
		.amdhsa_user_sgpr_queue_ptr 0
		.amdhsa_user_sgpr_kernarg_segment_ptr 1
		.amdhsa_user_sgpr_dispatch_id 0
		.amdhsa_user_sgpr_flat_scratch_init 0
		.amdhsa_user_sgpr_kernarg_preload_length 0
		.amdhsa_user_sgpr_kernarg_preload_offset 0
		.amdhsa_user_sgpr_private_segment_size 0
		.amdhsa_uses_dynamic_stack 0
		.amdhsa_system_sgpr_private_segment_wavefront_offset 0
		.amdhsa_system_sgpr_workgroup_id_x 1
		.amdhsa_system_sgpr_workgroup_id_y 0
		.amdhsa_system_sgpr_workgroup_id_z 0
		.amdhsa_system_sgpr_workgroup_info 0
		.amdhsa_system_vgpr_workitem_id 0
		.amdhsa_next_free_vgpr 51
		.amdhsa_next_free_sgpr 42
		.amdhsa_accum_offset 52
		.amdhsa_reserve_vcc 1
		.amdhsa_reserve_flat_scratch 0
		.amdhsa_float_round_mode_32 0
		.amdhsa_float_round_mode_16_64 0
		.amdhsa_float_denorm_mode_32 3
		.amdhsa_float_denorm_mode_16_64 3
		.amdhsa_dx10_clamp 1
		.amdhsa_ieee_mode 1
		.amdhsa_fp16_overflow 0
		.amdhsa_tg_split 0
		.amdhsa_exception_fp_ieee_invalid_op 0
		.amdhsa_exception_fp_denorm_src 0
		.amdhsa_exception_fp_ieee_div_zero 0
		.amdhsa_exception_fp_ieee_overflow 0
		.amdhsa_exception_fp_ieee_underflow 0
		.amdhsa_exception_fp_ieee_inexact 0
		.amdhsa_exception_int_div_zero 0
	.end_amdhsa_kernel
	.section	.text._ZN7rocprim17ROCPRIM_400000_NS6detail17trampoline_kernelINS0_14default_configENS1_25partition_config_selectorILNS1_17partition_subalgoE1EiNS0_10empty_typeEbEEZZNS1_14partition_implILS5_1ELb0ES3_jN6thrust23THRUST_200600_302600_NS6detail15normal_iteratorINSA_10device_ptrIiEEEEPS6_NSA_18transform_iteratorI7is_evenIiESF_NSA_11use_defaultESK_EENS0_5tupleIJNSA_16discard_iteratorISK_EESF_EEENSM_IJSG_SG_EEES6_PlJS6_EEE10hipError_tPvRmT3_T4_T5_T6_T7_T9_mT8_P12ihipStream_tbDpT10_ENKUlT_T0_E_clISt17integral_constantIbLb0EES1A_IbLb1EEEEDaS16_S17_EUlS16_E_NS1_11comp_targetILNS1_3genE4ELNS1_11target_archE910ELNS1_3gpuE8ELNS1_3repE0EEENS1_30default_config_static_selectorELNS0_4arch9wavefront6targetE1EEEvT1_,"axG",@progbits,_ZN7rocprim17ROCPRIM_400000_NS6detail17trampoline_kernelINS0_14default_configENS1_25partition_config_selectorILNS1_17partition_subalgoE1EiNS0_10empty_typeEbEEZZNS1_14partition_implILS5_1ELb0ES3_jN6thrust23THRUST_200600_302600_NS6detail15normal_iteratorINSA_10device_ptrIiEEEEPS6_NSA_18transform_iteratorI7is_evenIiESF_NSA_11use_defaultESK_EENS0_5tupleIJNSA_16discard_iteratorISK_EESF_EEENSM_IJSG_SG_EEES6_PlJS6_EEE10hipError_tPvRmT3_T4_T5_T6_T7_T9_mT8_P12ihipStream_tbDpT10_ENKUlT_T0_E_clISt17integral_constantIbLb0EES1A_IbLb1EEEEDaS16_S17_EUlS16_E_NS1_11comp_targetILNS1_3genE4ELNS1_11target_archE910ELNS1_3gpuE8ELNS1_3repE0EEENS1_30default_config_static_selectorELNS0_4arch9wavefront6targetE1EEEvT1_,comdat
.Lfunc_end3349:
	.size	_ZN7rocprim17ROCPRIM_400000_NS6detail17trampoline_kernelINS0_14default_configENS1_25partition_config_selectorILNS1_17partition_subalgoE1EiNS0_10empty_typeEbEEZZNS1_14partition_implILS5_1ELb0ES3_jN6thrust23THRUST_200600_302600_NS6detail15normal_iteratorINSA_10device_ptrIiEEEEPS6_NSA_18transform_iteratorI7is_evenIiESF_NSA_11use_defaultESK_EENS0_5tupleIJNSA_16discard_iteratorISK_EESF_EEENSM_IJSG_SG_EEES6_PlJS6_EEE10hipError_tPvRmT3_T4_T5_T6_T7_T9_mT8_P12ihipStream_tbDpT10_ENKUlT_T0_E_clISt17integral_constantIbLb0EES1A_IbLb1EEEEDaS16_S17_EUlS16_E_NS1_11comp_targetILNS1_3genE4ELNS1_11target_archE910ELNS1_3gpuE8ELNS1_3repE0EEENS1_30default_config_static_selectorELNS0_4arch9wavefront6targetE1EEEvT1_, .Lfunc_end3349-_ZN7rocprim17ROCPRIM_400000_NS6detail17trampoline_kernelINS0_14default_configENS1_25partition_config_selectorILNS1_17partition_subalgoE1EiNS0_10empty_typeEbEEZZNS1_14partition_implILS5_1ELb0ES3_jN6thrust23THRUST_200600_302600_NS6detail15normal_iteratorINSA_10device_ptrIiEEEEPS6_NSA_18transform_iteratorI7is_evenIiESF_NSA_11use_defaultESK_EENS0_5tupleIJNSA_16discard_iteratorISK_EESF_EEENSM_IJSG_SG_EEES6_PlJS6_EEE10hipError_tPvRmT3_T4_T5_T6_T7_T9_mT8_P12ihipStream_tbDpT10_ENKUlT_T0_E_clISt17integral_constantIbLb0EES1A_IbLb1EEEEDaS16_S17_EUlS16_E_NS1_11comp_targetILNS1_3genE4ELNS1_11target_archE910ELNS1_3gpuE8ELNS1_3repE0EEENS1_30default_config_static_selectorELNS0_4arch9wavefront6targetE1EEEvT1_
                                        ; -- End function
	.section	.AMDGPU.csdata,"",@progbits
; Kernel info:
; codeLenInByte = 4864
; NumSgprs: 46
; NumVgprs: 51
; NumAgprs: 0
; TotalNumVgprs: 51
; ScratchSize: 0
; MemoryBound: 0
; FloatMode: 240
; IeeeMode: 1
; LDSByteSize: 7176 bytes/workgroup (compile time only)
; SGPRBlocks: 5
; VGPRBlocks: 6
; NumSGPRsForWavesPerEU: 46
; NumVGPRsForWavesPerEU: 51
; AccumOffset: 52
; Occupancy: 8
; WaveLimiterHint : 1
; COMPUTE_PGM_RSRC2:SCRATCH_EN: 0
; COMPUTE_PGM_RSRC2:USER_SGPR: 6
; COMPUTE_PGM_RSRC2:TRAP_HANDLER: 0
; COMPUTE_PGM_RSRC2:TGID_X_EN: 1
; COMPUTE_PGM_RSRC2:TGID_Y_EN: 0
; COMPUTE_PGM_RSRC2:TGID_Z_EN: 0
; COMPUTE_PGM_RSRC2:TIDIG_COMP_CNT: 0
; COMPUTE_PGM_RSRC3_GFX90A:ACCUM_OFFSET: 12
; COMPUTE_PGM_RSRC3_GFX90A:TG_SPLIT: 0
	.section	.text._ZN7rocprim17ROCPRIM_400000_NS6detail17trampoline_kernelINS0_14default_configENS1_25partition_config_selectorILNS1_17partition_subalgoE1EiNS0_10empty_typeEbEEZZNS1_14partition_implILS5_1ELb0ES3_jN6thrust23THRUST_200600_302600_NS6detail15normal_iteratorINSA_10device_ptrIiEEEEPS6_NSA_18transform_iteratorI7is_evenIiESF_NSA_11use_defaultESK_EENS0_5tupleIJNSA_16discard_iteratorISK_EESF_EEENSM_IJSG_SG_EEES6_PlJS6_EEE10hipError_tPvRmT3_T4_T5_T6_T7_T9_mT8_P12ihipStream_tbDpT10_ENKUlT_T0_E_clISt17integral_constantIbLb0EES1A_IbLb1EEEEDaS16_S17_EUlS16_E_NS1_11comp_targetILNS1_3genE3ELNS1_11target_archE908ELNS1_3gpuE7ELNS1_3repE0EEENS1_30default_config_static_selectorELNS0_4arch9wavefront6targetE1EEEvT1_,"axG",@progbits,_ZN7rocprim17ROCPRIM_400000_NS6detail17trampoline_kernelINS0_14default_configENS1_25partition_config_selectorILNS1_17partition_subalgoE1EiNS0_10empty_typeEbEEZZNS1_14partition_implILS5_1ELb0ES3_jN6thrust23THRUST_200600_302600_NS6detail15normal_iteratorINSA_10device_ptrIiEEEEPS6_NSA_18transform_iteratorI7is_evenIiESF_NSA_11use_defaultESK_EENS0_5tupleIJNSA_16discard_iteratorISK_EESF_EEENSM_IJSG_SG_EEES6_PlJS6_EEE10hipError_tPvRmT3_T4_T5_T6_T7_T9_mT8_P12ihipStream_tbDpT10_ENKUlT_T0_E_clISt17integral_constantIbLb0EES1A_IbLb1EEEEDaS16_S17_EUlS16_E_NS1_11comp_targetILNS1_3genE3ELNS1_11target_archE908ELNS1_3gpuE7ELNS1_3repE0EEENS1_30default_config_static_selectorELNS0_4arch9wavefront6targetE1EEEvT1_,comdat
	.protected	_ZN7rocprim17ROCPRIM_400000_NS6detail17trampoline_kernelINS0_14default_configENS1_25partition_config_selectorILNS1_17partition_subalgoE1EiNS0_10empty_typeEbEEZZNS1_14partition_implILS5_1ELb0ES3_jN6thrust23THRUST_200600_302600_NS6detail15normal_iteratorINSA_10device_ptrIiEEEEPS6_NSA_18transform_iteratorI7is_evenIiESF_NSA_11use_defaultESK_EENS0_5tupleIJNSA_16discard_iteratorISK_EESF_EEENSM_IJSG_SG_EEES6_PlJS6_EEE10hipError_tPvRmT3_T4_T5_T6_T7_T9_mT8_P12ihipStream_tbDpT10_ENKUlT_T0_E_clISt17integral_constantIbLb0EES1A_IbLb1EEEEDaS16_S17_EUlS16_E_NS1_11comp_targetILNS1_3genE3ELNS1_11target_archE908ELNS1_3gpuE7ELNS1_3repE0EEENS1_30default_config_static_selectorELNS0_4arch9wavefront6targetE1EEEvT1_ ; -- Begin function _ZN7rocprim17ROCPRIM_400000_NS6detail17trampoline_kernelINS0_14default_configENS1_25partition_config_selectorILNS1_17partition_subalgoE1EiNS0_10empty_typeEbEEZZNS1_14partition_implILS5_1ELb0ES3_jN6thrust23THRUST_200600_302600_NS6detail15normal_iteratorINSA_10device_ptrIiEEEEPS6_NSA_18transform_iteratorI7is_evenIiESF_NSA_11use_defaultESK_EENS0_5tupleIJNSA_16discard_iteratorISK_EESF_EEENSM_IJSG_SG_EEES6_PlJS6_EEE10hipError_tPvRmT3_T4_T5_T6_T7_T9_mT8_P12ihipStream_tbDpT10_ENKUlT_T0_E_clISt17integral_constantIbLb0EES1A_IbLb1EEEEDaS16_S17_EUlS16_E_NS1_11comp_targetILNS1_3genE3ELNS1_11target_archE908ELNS1_3gpuE7ELNS1_3repE0EEENS1_30default_config_static_selectorELNS0_4arch9wavefront6targetE1EEEvT1_
	.globl	_ZN7rocprim17ROCPRIM_400000_NS6detail17trampoline_kernelINS0_14default_configENS1_25partition_config_selectorILNS1_17partition_subalgoE1EiNS0_10empty_typeEbEEZZNS1_14partition_implILS5_1ELb0ES3_jN6thrust23THRUST_200600_302600_NS6detail15normal_iteratorINSA_10device_ptrIiEEEEPS6_NSA_18transform_iteratorI7is_evenIiESF_NSA_11use_defaultESK_EENS0_5tupleIJNSA_16discard_iteratorISK_EESF_EEENSM_IJSG_SG_EEES6_PlJS6_EEE10hipError_tPvRmT3_T4_T5_T6_T7_T9_mT8_P12ihipStream_tbDpT10_ENKUlT_T0_E_clISt17integral_constantIbLb0EES1A_IbLb1EEEEDaS16_S17_EUlS16_E_NS1_11comp_targetILNS1_3genE3ELNS1_11target_archE908ELNS1_3gpuE7ELNS1_3repE0EEENS1_30default_config_static_selectorELNS0_4arch9wavefront6targetE1EEEvT1_
	.p2align	8
	.type	_ZN7rocprim17ROCPRIM_400000_NS6detail17trampoline_kernelINS0_14default_configENS1_25partition_config_selectorILNS1_17partition_subalgoE1EiNS0_10empty_typeEbEEZZNS1_14partition_implILS5_1ELb0ES3_jN6thrust23THRUST_200600_302600_NS6detail15normal_iteratorINSA_10device_ptrIiEEEEPS6_NSA_18transform_iteratorI7is_evenIiESF_NSA_11use_defaultESK_EENS0_5tupleIJNSA_16discard_iteratorISK_EESF_EEENSM_IJSG_SG_EEES6_PlJS6_EEE10hipError_tPvRmT3_T4_T5_T6_T7_T9_mT8_P12ihipStream_tbDpT10_ENKUlT_T0_E_clISt17integral_constantIbLb0EES1A_IbLb1EEEEDaS16_S17_EUlS16_E_NS1_11comp_targetILNS1_3genE3ELNS1_11target_archE908ELNS1_3gpuE7ELNS1_3repE0EEENS1_30default_config_static_selectorELNS0_4arch9wavefront6targetE1EEEvT1_,@function
_ZN7rocprim17ROCPRIM_400000_NS6detail17trampoline_kernelINS0_14default_configENS1_25partition_config_selectorILNS1_17partition_subalgoE1EiNS0_10empty_typeEbEEZZNS1_14partition_implILS5_1ELb0ES3_jN6thrust23THRUST_200600_302600_NS6detail15normal_iteratorINSA_10device_ptrIiEEEEPS6_NSA_18transform_iteratorI7is_evenIiESF_NSA_11use_defaultESK_EENS0_5tupleIJNSA_16discard_iteratorISK_EESF_EEENSM_IJSG_SG_EEES6_PlJS6_EEE10hipError_tPvRmT3_T4_T5_T6_T7_T9_mT8_P12ihipStream_tbDpT10_ENKUlT_T0_E_clISt17integral_constantIbLb0EES1A_IbLb1EEEEDaS16_S17_EUlS16_E_NS1_11comp_targetILNS1_3genE3ELNS1_11target_archE908ELNS1_3gpuE7ELNS1_3repE0EEENS1_30default_config_static_selectorELNS0_4arch9wavefront6targetE1EEEvT1_: ; @_ZN7rocprim17ROCPRIM_400000_NS6detail17trampoline_kernelINS0_14default_configENS1_25partition_config_selectorILNS1_17partition_subalgoE1EiNS0_10empty_typeEbEEZZNS1_14partition_implILS5_1ELb0ES3_jN6thrust23THRUST_200600_302600_NS6detail15normal_iteratorINSA_10device_ptrIiEEEEPS6_NSA_18transform_iteratorI7is_evenIiESF_NSA_11use_defaultESK_EENS0_5tupleIJNSA_16discard_iteratorISK_EESF_EEENSM_IJSG_SG_EEES6_PlJS6_EEE10hipError_tPvRmT3_T4_T5_T6_T7_T9_mT8_P12ihipStream_tbDpT10_ENKUlT_T0_E_clISt17integral_constantIbLb0EES1A_IbLb1EEEEDaS16_S17_EUlS16_E_NS1_11comp_targetILNS1_3genE3ELNS1_11target_archE908ELNS1_3gpuE7ELNS1_3repE0EEENS1_30default_config_static_selectorELNS0_4arch9wavefront6targetE1EEEvT1_
; %bb.0:
	.section	.rodata,"a",@progbits
	.p2align	6, 0x0
	.amdhsa_kernel _ZN7rocprim17ROCPRIM_400000_NS6detail17trampoline_kernelINS0_14default_configENS1_25partition_config_selectorILNS1_17partition_subalgoE1EiNS0_10empty_typeEbEEZZNS1_14partition_implILS5_1ELb0ES3_jN6thrust23THRUST_200600_302600_NS6detail15normal_iteratorINSA_10device_ptrIiEEEEPS6_NSA_18transform_iteratorI7is_evenIiESF_NSA_11use_defaultESK_EENS0_5tupleIJNSA_16discard_iteratorISK_EESF_EEENSM_IJSG_SG_EEES6_PlJS6_EEE10hipError_tPvRmT3_T4_T5_T6_T7_T9_mT8_P12ihipStream_tbDpT10_ENKUlT_T0_E_clISt17integral_constantIbLb0EES1A_IbLb1EEEEDaS16_S17_EUlS16_E_NS1_11comp_targetILNS1_3genE3ELNS1_11target_archE908ELNS1_3gpuE7ELNS1_3repE0EEENS1_30default_config_static_selectorELNS0_4arch9wavefront6targetE1EEEvT1_
		.amdhsa_group_segment_fixed_size 0
		.amdhsa_private_segment_fixed_size 0
		.amdhsa_kernarg_size 152
		.amdhsa_user_sgpr_count 6
		.amdhsa_user_sgpr_private_segment_buffer 1
		.amdhsa_user_sgpr_dispatch_ptr 0
		.amdhsa_user_sgpr_queue_ptr 0
		.amdhsa_user_sgpr_kernarg_segment_ptr 1
		.amdhsa_user_sgpr_dispatch_id 0
		.amdhsa_user_sgpr_flat_scratch_init 0
		.amdhsa_user_sgpr_kernarg_preload_length 0
		.amdhsa_user_sgpr_kernarg_preload_offset 0
		.amdhsa_user_sgpr_private_segment_size 0
		.amdhsa_uses_dynamic_stack 0
		.amdhsa_system_sgpr_private_segment_wavefront_offset 0
		.amdhsa_system_sgpr_workgroup_id_x 1
		.amdhsa_system_sgpr_workgroup_id_y 0
		.amdhsa_system_sgpr_workgroup_id_z 0
		.amdhsa_system_sgpr_workgroup_info 0
		.amdhsa_system_vgpr_workitem_id 0
		.amdhsa_next_free_vgpr 1
		.amdhsa_next_free_sgpr 0
		.amdhsa_accum_offset 4
		.amdhsa_reserve_vcc 0
		.amdhsa_reserve_flat_scratch 0
		.amdhsa_float_round_mode_32 0
		.amdhsa_float_round_mode_16_64 0
		.amdhsa_float_denorm_mode_32 3
		.amdhsa_float_denorm_mode_16_64 3
		.amdhsa_dx10_clamp 1
		.amdhsa_ieee_mode 1
		.amdhsa_fp16_overflow 0
		.amdhsa_tg_split 0
		.amdhsa_exception_fp_ieee_invalid_op 0
		.amdhsa_exception_fp_denorm_src 0
		.amdhsa_exception_fp_ieee_div_zero 0
		.amdhsa_exception_fp_ieee_overflow 0
		.amdhsa_exception_fp_ieee_underflow 0
		.amdhsa_exception_fp_ieee_inexact 0
		.amdhsa_exception_int_div_zero 0
	.end_amdhsa_kernel
	.section	.text._ZN7rocprim17ROCPRIM_400000_NS6detail17trampoline_kernelINS0_14default_configENS1_25partition_config_selectorILNS1_17partition_subalgoE1EiNS0_10empty_typeEbEEZZNS1_14partition_implILS5_1ELb0ES3_jN6thrust23THRUST_200600_302600_NS6detail15normal_iteratorINSA_10device_ptrIiEEEEPS6_NSA_18transform_iteratorI7is_evenIiESF_NSA_11use_defaultESK_EENS0_5tupleIJNSA_16discard_iteratorISK_EESF_EEENSM_IJSG_SG_EEES6_PlJS6_EEE10hipError_tPvRmT3_T4_T5_T6_T7_T9_mT8_P12ihipStream_tbDpT10_ENKUlT_T0_E_clISt17integral_constantIbLb0EES1A_IbLb1EEEEDaS16_S17_EUlS16_E_NS1_11comp_targetILNS1_3genE3ELNS1_11target_archE908ELNS1_3gpuE7ELNS1_3repE0EEENS1_30default_config_static_selectorELNS0_4arch9wavefront6targetE1EEEvT1_,"axG",@progbits,_ZN7rocprim17ROCPRIM_400000_NS6detail17trampoline_kernelINS0_14default_configENS1_25partition_config_selectorILNS1_17partition_subalgoE1EiNS0_10empty_typeEbEEZZNS1_14partition_implILS5_1ELb0ES3_jN6thrust23THRUST_200600_302600_NS6detail15normal_iteratorINSA_10device_ptrIiEEEEPS6_NSA_18transform_iteratorI7is_evenIiESF_NSA_11use_defaultESK_EENS0_5tupleIJNSA_16discard_iteratorISK_EESF_EEENSM_IJSG_SG_EEES6_PlJS6_EEE10hipError_tPvRmT3_T4_T5_T6_T7_T9_mT8_P12ihipStream_tbDpT10_ENKUlT_T0_E_clISt17integral_constantIbLb0EES1A_IbLb1EEEEDaS16_S17_EUlS16_E_NS1_11comp_targetILNS1_3genE3ELNS1_11target_archE908ELNS1_3gpuE7ELNS1_3repE0EEENS1_30default_config_static_selectorELNS0_4arch9wavefront6targetE1EEEvT1_,comdat
.Lfunc_end3350:
	.size	_ZN7rocprim17ROCPRIM_400000_NS6detail17trampoline_kernelINS0_14default_configENS1_25partition_config_selectorILNS1_17partition_subalgoE1EiNS0_10empty_typeEbEEZZNS1_14partition_implILS5_1ELb0ES3_jN6thrust23THRUST_200600_302600_NS6detail15normal_iteratorINSA_10device_ptrIiEEEEPS6_NSA_18transform_iteratorI7is_evenIiESF_NSA_11use_defaultESK_EENS0_5tupleIJNSA_16discard_iteratorISK_EESF_EEENSM_IJSG_SG_EEES6_PlJS6_EEE10hipError_tPvRmT3_T4_T5_T6_T7_T9_mT8_P12ihipStream_tbDpT10_ENKUlT_T0_E_clISt17integral_constantIbLb0EES1A_IbLb1EEEEDaS16_S17_EUlS16_E_NS1_11comp_targetILNS1_3genE3ELNS1_11target_archE908ELNS1_3gpuE7ELNS1_3repE0EEENS1_30default_config_static_selectorELNS0_4arch9wavefront6targetE1EEEvT1_, .Lfunc_end3350-_ZN7rocprim17ROCPRIM_400000_NS6detail17trampoline_kernelINS0_14default_configENS1_25partition_config_selectorILNS1_17partition_subalgoE1EiNS0_10empty_typeEbEEZZNS1_14partition_implILS5_1ELb0ES3_jN6thrust23THRUST_200600_302600_NS6detail15normal_iteratorINSA_10device_ptrIiEEEEPS6_NSA_18transform_iteratorI7is_evenIiESF_NSA_11use_defaultESK_EENS0_5tupleIJNSA_16discard_iteratorISK_EESF_EEENSM_IJSG_SG_EEES6_PlJS6_EEE10hipError_tPvRmT3_T4_T5_T6_T7_T9_mT8_P12ihipStream_tbDpT10_ENKUlT_T0_E_clISt17integral_constantIbLb0EES1A_IbLb1EEEEDaS16_S17_EUlS16_E_NS1_11comp_targetILNS1_3genE3ELNS1_11target_archE908ELNS1_3gpuE7ELNS1_3repE0EEENS1_30default_config_static_selectorELNS0_4arch9wavefront6targetE1EEEvT1_
                                        ; -- End function
	.section	.AMDGPU.csdata,"",@progbits
; Kernel info:
; codeLenInByte = 0
; NumSgprs: 4
; NumVgprs: 0
; NumAgprs: 0
; TotalNumVgprs: 0
; ScratchSize: 0
; MemoryBound: 0
; FloatMode: 240
; IeeeMode: 1
; LDSByteSize: 0 bytes/workgroup (compile time only)
; SGPRBlocks: 0
; VGPRBlocks: 0
; NumSGPRsForWavesPerEU: 4
; NumVGPRsForWavesPerEU: 1
; AccumOffset: 4
; Occupancy: 8
; WaveLimiterHint : 0
; COMPUTE_PGM_RSRC2:SCRATCH_EN: 0
; COMPUTE_PGM_RSRC2:USER_SGPR: 6
; COMPUTE_PGM_RSRC2:TRAP_HANDLER: 0
; COMPUTE_PGM_RSRC2:TGID_X_EN: 1
; COMPUTE_PGM_RSRC2:TGID_Y_EN: 0
; COMPUTE_PGM_RSRC2:TGID_Z_EN: 0
; COMPUTE_PGM_RSRC2:TIDIG_COMP_CNT: 0
; COMPUTE_PGM_RSRC3_GFX90A:ACCUM_OFFSET: 0
; COMPUTE_PGM_RSRC3_GFX90A:TG_SPLIT: 0
	.section	.text._ZN7rocprim17ROCPRIM_400000_NS6detail17trampoline_kernelINS0_14default_configENS1_25partition_config_selectorILNS1_17partition_subalgoE1EiNS0_10empty_typeEbEEZZNS1_14partition_implILS5_1ELb0ES3_jN6thrust23THRUST_200600_302600_NS6detail15normal_iteratorINSA_10device_ptrIiEEEEPS6_NSA_18transform_iteratorI7is_evenIiESF_NSA_11use_defaultESK_EENS0_5tupleIJNSA_16discard_iteratorISK_EESF_EEENSM_IJSG_SG_EEES6_PlJS6_EEE10hipError_tPvRmT3_T4_T5_T6_T7_T9_mT8_P12ihipStream_tbDpT10_ENKUlT_T0_E_clISt17integral_constantIbLb0EES1A_IbLb1EEEEDaS16_S17_EUlS16_E_NS1_11comp_targetILNS1_3genE2ELNS1_11target_archE906ELNS1_3gpuE6ELNS1_3repE0EEENS1_30default_config_static_selectorELNS0_4arch9wavefront6targetE1EEEvT1_,"axG",@progbits,_ZN7rocprim17ROCPRIM_400000_NS6detail17trampoline_kernelINS0_14default_configENS1_25partition_config_selectorILNS1_17partition_subalgoE1EiNS0_10empty_typeEbEEZZNS1_14partition_implILS5_1ELb0ES3_jN6thrust23THRUST_200600_302600_NS6detail15normal_iteratorINSA_10device_ptrIiEEEEPS6_NSA_18transform_iteratorI7is_evenIiESF_NSA_11use_defaultESK_EENS0_5tupleIJNSA_16discard_iteratorISK_EESF_EEENSM_IJSG_SG_EEES6_PlJS6_EEE10hipError_tPvRmT3_T4_T5_T6_T7_T9_mT8_P12ihipStream_tbDpT10_ENKUlT_T0_E_clISt17integral_constantIbLb0EES1A_IbLb1EEEEDaS16_S17_EUlS16_E_NS1_11comp_targetILNS1_3genE2ELNS1_11target_archE906ELNS1_3gpuE6ELNS1_3repE0EEENS1_30default_config_static_selectorELNS0_4arch9wavefront6targetE1EEEvT1_,comdat
	.protected	_ZN7rocprim17ROCPRIM_400000_NS6detail17trampoline_kernelINS0_14default_configENS1_25partition_config_selectorILNS1_17partition_subalgoE1EiNS0_10empty_typeEbEEZZNS1_14partition_implILS5_1ELb0ES3_jN6thrust23THRUST_200600_302600_NS6detail15normal_iteratorINSA_10device_ptrIiEEEEPS6_NSA_18transform_iteratorI7is_evenIiESF_NSA_11use_defaultESK_EENS0_5tupleIJNSA_16discard_iteratorISK_EESF_EEENSM_IJSG_SG_EEES6_PlJS6_EEE10hipError_tPvRmT3_T4_T5_T6_T7_T9_mT8_P12ihipStream_tbDpT10_ENKUlT_T0_E_clISt17integral_constantIbLb0EES1A_IbLb1EEEEDaS16_S17_EUlS16_E_NS1_11comp_targetILNS1_3genE2ELNS1_11target_archE906ELNS1_3gpuE6ELNS1_3repE0EEENS1_30default_config_static_selectorELNS0_4arch9wavefront6targetE1EEEvT1_ ; -- Begin function _ZN7rocprim17ROCPRIM_400000_NS6detail17trampoline_kernelINS0_14default_configENS1_25partition_config_selectorILNS1_17partition_subalgoE1EiNS0_10empty_typeEbEEZZNS1_14partition_implILS5_1ELb0ES3_jN6thrust23THRUST_200600_302600_NS6detail15normal_iteratorINSA_10device_ptrIiEEEEPS6_NSA_18transform_iteratorI7is_evenIiESF_NSA_11use_defaultESK_EENS0_5tupleIJNSA_16discard_iteratorISK_EESF_EEENSM_IJSG_SG_EEES6_PlJS6_EEE10hipError_tPvRmT3_T4_T5_T6_T7_T9_mT8_P12ihipStream_tbDpT10_ENKUlT_T0_E_clISt17integral_constantIbLb0EES1A_IbLb1EEEEDaS16_S17_EUlS16_E_NS1_11comp_targetILNS1_3genE2ELNS1_11target_archE906ELNS1_3gpuE6ELNS1_3repE0EEENS1_30default_config_static_selectorELNS0_4arch9wavefront6targetE1EEEvT1_
	.globl	_ZN7rocprim17ROCPRIM_400000_NS6detail17trampoline_kernelINS0_14default_configENS1_25partition_config_selectorILNS1_17partition_subalgoE1EiNS0_10empty_typeEbEEZZNS1_14partition_implILS5_1ELb0ES3_jN6thrust23THRUST_200600_302600_NS6detail15normal_iteratorINSA_10device_ptrIiEEEEPS6_NSA_18transform_iteratorI7is_evenIiESF_NSA_11use_defaultESK_EENS0_5tupleIJNSA_16discard_iteratorISK_EESF_EEENSM_IJSG_SG_EEES6_PlJS6_EEE10hipError_tPvRmT3_T4_T5_T6_T7_T9_mT8_P12ihipStream_tbDpT10_ENKUlT_T0_E_clISt17integral_constantIbLb0EES1A_IbLb1EEEEDaS16_S17_EUlS16_E_NS1_11comp_targetILNS1_3genE2ELNS1_11target_archE906ELNS1_3gpuE6ELNS1_3repE0EEENS1_30default_config_static_selectorELNS0_4arch9wavefront6targetE1EEEvT1_
	.p2align	8
	.type	_ZN7rocprim17ROCPRIM_400000_NS6detail17trampoline_kernelINS0_14default_configENS1_25partition_config_selectorILNS1_17partition_subalgoE1EiNS0_10empty_typeEbEEZZNS1_14partition_implILS5_1ELb0ES3_jN6thrust23THRUST_200600_302600_NS6detail15normal_iteratorINSA_10device_ptrIiEEEEPS6_NSA_18transform_iteratorI7is_evenIiESF_NSA_11use_defaultESK_EENS0_5tupleIJNSA_16discard_iteratorISK_EESF_EEENSM_IJSG_SG_EEES6_PlJS6_EEE10hipError_tPvRmT3_T4_T5_T6_T7_T9_mT8_P12ihipStream_tbDpT10_ENKUlT_T0_E_clISt17integral_constantIbLb0EES1A_IbLb1EEEEDaS16_S17_EUlS16_E_NS1_11comp_targetILNS1_3genE2ELNS1_11target_archE906ELNS1_3gpuE6ELNS1_3repE0EEENS1_30default_config_static_selectorELNS0_4arch9wavefront6targetE1EEEvT1_,@function
_ZN7rocprim17ROCPRIM_400000_NS6detail17trampoline_kernelINS0_14default_configENS1_25partition_config_selectorILNS1_17partition_subalgoE1EiNS0_10empty_typeEbEEZZNS1_14partition_implILS5_1ELb0ES3_jN6thrust23THRUST_200600_302600_NS6detail15normal_iteratorINSA_10device_ptrIiEEEEPS6_NSA_18transform_iteratorI7is_evenIiESF_NSA_11use_defaultESK_EENS0_5tupleIJNSA_16discard_iteratorISK_EESF_EEENSM_IJSG_SG_EEES6_PlJS6_EEE10hipError_tPvRmT3_T4_T5_T6_T7_T9_mT8_P12ihipStream_tbDpT10_ENKUlT_T0_E_clISt17integral_constantIbLb0EES1A_IbLb1EEEEDaS16_S17_EUlS16_E_NS1_11comp_targetILNS1_3genE2ELNS1_11target_archE906ELNS1_3gpuE6ELNS1_3repE0EEENS1_30default_config_static_selectorELNS0_4arch9wavefront6targetE1EEEvT1_: ; @_ZN7rocprim17ROCPRIM_400000_NS6detail17trampoline_kernelINS0_14default_configENS1_25partition_config_selectorILNS1_17partition_subalgoE1EiNS0_10empty_typeEbEEZZNS1_14partition_implILS5_1ELb0ES3_jN6thrust23THRUST_200600_302600_NS6detail15normal_iteratorINSA_10device_ptrIiEEEEPS6_NSA_18transform_iteratorI7is_evenIiESF_NSA_11use_defaultESK_EENS0_5tupleIJNSA_16discard_iteratorISK_EESF_EEENSM_IJSG_SG_EEES6_PlJS6_EEE10hipError_tPvRmT3_T4_T5_T6_T7_T9_mT8_P12ihipStream_tbDpT10_ENKUlT_T0_E_clISt17integral_constantIbLb0EES1A_IbLb1EEEEDaS16_S17_EUlS16_E_NS1_11comp_targetILNS1_3genE2ELNS1_11target_archE906ELNS1_3gpuE6ELNS1_3repE0EEENS1_30default_config_static_selectorELNS0_4arch9wavefront6targetE1EEEvT1_
; %bb.0:
	.section	.rodata,"a",@progbits
	.p2align	6, 0x0
	.amdhsa_kernel _ZN7rocprim17ROCPRIM_400000_NS6detail17trampoline_kernelINS0_14default_configENS1_25partition_config_selectorILNS1_17partition_subalgoE1EiNS0_10empty_typeEbEEZZNS1_14partition_implILS5_1ELb0ES3_jN6thrust23THRUST_200600_302600_NS6detail15normal_iteratorINSA_10device_ptrIiEEEEPS6_NSA_18transform_iteratorI7is_evenIiESF_NSA_11use_defaultESK_EENS0_5tupleIJNSA_16discard_iteratorISK_EESF_EEENSM_IJSG_SG_EEES6_PlJS6_EEE10hipError_tPvRmT3_T4_T5_T6_T7_T9_mT8_P12ihipStream_tbDpT10_ENKUlT_T0_E_clISt17integral_constantIbLb0EES1A_IbLb1EEEEDaS16_S17_EUlS16_E_NS1_11comp_targetILNS1_3genE2ELNS1_11target_archE906ELNS1_3gpuE6ELNS1_3repE0EEENS1_30default_config_static_selectorELNS0_4arch9wavefront6targetE1EEEvT1_
		.amdhsa_group_segment_fixed_size 0
		.amdhsa_private_segment_fixed_size 0
		.amdhsa_kernarg_size 152
		.amdhsa_user_sgpr_count 6
		.amdhsa_user_sgpr_private_segment_buffer 1
		.amdhsa_user_sgpr_dispatch_ptr 0
		.amdhsa_user_sgpr_queue_ptr 0
		.amdhsa_user_sgpr_kernarg_segment_ptr 1
		.amdhsa_user_sgpr_dispatch_id 0
		.amdhsa_user_sgpr_flat_scratch_init 0
		.amdhsa_user_sgpr_kernarg_preload_length 0
		.amdhsa_user_sgpr_kernarg_preload_offset 0
		.amdhsa_user_sgpr_private_segment_size 0
		.amdhsa_uses_dynamic_stack 0
		.amdhsa_system_sgpr_private_segment_wavefront_offset 0
		.amdhsa_system_sgpr_workgroup_id_x 1
		.amdhsa_system_sgpr_workgroup_id_y 0
		.amdhsa_system_sgpr_workgroup_id_z 0
		.amdhsa_system_sgpr_workgroup_info 0
		.amdhsa_system_vgpr_workitem_id 0
		.amdhsa_next_free_vgpr 1
		.amdhsa_next_free_sgpr 0
		.amdhsa_accum_offset 4
		.amdhsa_reserve_vcc 0
		.amdhsa_reserve_flat_scratch 0
		.amdhsa_float_round_mode_32 0
		.amdhsa_float_round_mode_16_64 0
		.amdhsa_float_denorm_mode_32 3
		.amdhsa_float_denorm_mode_16_64 3
		.amdhsa_dx10_clamp 1
		.amdhsa_ieee_mode 1
		.amdhsa_fp16_overflow 0
		.amdhsa_tg_split 0
		.amdhsa_exception_fp_ieee_invalid_op 0
		.amdhsa_exception_fp_denorm_src 0
		.amdhsa_exception_fp_ieee_div_zero 0
		.amdhsa_exception_fp_ieee_overflow 0
		.amdhsa_exception_fp_ieee_underflow 0
		.amdhsa_exception_fp_ieee_inexact 0
		.amdhsa_exception_int_div_zero 0
	.end_amdhsa_kernel
	.section	.text._ZN7rocprim17ROCPRIM_400000_NS6detail17trampoline_kernelINS0_14default_configENS1_25partition_config_selectorILNS1_17partition_subalgoE1EiNS0_10empty_typeEbEEZZNS1_14partition_implILS5_1ELb0ES3_jN6thrust23THRUST_200600_302600_NS6detail15normal_iteratorINSA_10device_ptrIiEEEEPS6_NSA_18transform_iteratorI7is_evenIiESF_NSA_11use_defaultESK_EENS0_5tupleIJNSA_16discard_iteratorISK_EESF_EEENSM_IJSG_SG_EEES6_PlJS6_EEE10hipError_tPvRmT3_T4_T5_T6_T7_T9_mT8_P12ihipStream_tbDpT10_ENKUlT_T0_E_clISt17integral_constantIbLb0EES1A_IbLb1EEEEDaS16_S17_EUlS16_E_NS1_11comp_targetILNS1_3genE2ELNS1_11target_archE906ELNS1_3gpuE6ELNS1_3repE0EEENS1_30default_config_static_selectorELNS0_4arch9wavefront6targetE1EEEvT1_,"axG",@progbits,_ZN7rocprim17ROCPRIM_400000_NS6detail17trampoline_kernelINS0_14default_configENS1_25partition_config_selectorILNS1_17partition_subalgoE1EiNS0_10empty_typeEbEEZZNS1_14partition_implILS5_1ELb0ES3_jN6thrust23THRUST_200600_302600_NS6detail15normal_iteratorINSA_10device_ptrIiEEEEPS6_NSA_18transform_iteratorI7is_evenIiESF_NSA_11use_defaultESK_EENS0_5tupleIJNSA_16discard_iteratorISK_EESF_EEENSM_IJSG_SG_EEES6_PlJS6_EEE10hipError_tPvRmT3_T4_T5_T6_T7_T9_mT8_P12ihipStream_tbDpT10_ENKUlT_T0_E_clISt17integral_constantIbLb0EES1A_IbLb1EEEEDaS16_S17_EUlS16_E_NS1_11comp_targetILNS1_3genE2ELNS1_11target_archE906ELNS1_3gpuE6ELNS1_3repE0EEENS1_30default_config_static_selectorELNS0_4arch9wavefront6targetE1EEEvT1_,comdat
.Lfunc_end3351:
	.size	_ZN7rocprim17ROCPRIM_400000_NS6detail17trampoline_kernelINS0_14default_configENS1_25partition_config_selectorILNS1_17partition_subalgoE1EiNS0_10empty_typeEbEEZZNS1_14partition_implILS5_1ELb0ES3_jN6thrust23THRUST_200600_302600_NS6detail15normal_iteratorINSA_10device_ptrIiEEEEPS6_NSA_18transform_iteratorI7is_evenIiESF_NSA_11use_defaultESK_EENS0_5tupleIJNSA_16discard_iteratorISK_EESF_EEENSM_IJSG_SG_EEES6_PlJS6_EEE10hipError_tPvRmT3_T4_T5_T6_T7_T9_mT8_P12ihipStream_tbDpT10_ENKUlT_T0_E_clISt17integral_constantIbLb0EES1A_IbLb1EEEEDaS16_S17_EUlS16_E_NS1_11comp_targetILNS1_3genE2ELNS1_11target_archE906ELNS1_3gpuE6ELNS1_3repE0EEENS1_30default_config_static_selectorELNS0_4arch9wavefront6targetE1EEEvT1_, .Lfunc_end3351-_ZN7rocprim17ROCPRIM_400000_NS6detail17trampoline_kernelINS0_14default_configENS1_25partition_config_selectorILNS1_17partition_subalgoE1EiNS0_10empty_typeEbEEZZNS1_14partition_implILS5_1ELb0ES3_jN6thrust23THRUST_200600_302600_NS6detail15normal_iteratorINSA_10device_ptrIiEEEEPS6_NSA_18transform_iteratorI7is_evenIiESF_NSA_11use_defaultESK_EENS0_5tupleIJNSA_16discard_iteratorISK_EESF_EEENSM_IJSG_SG_EEES6_PlJS6_EEE10hipError_tPvRmT3_T4_T5_T6_T7_T9_mT8_P12ihipStream_tbDpT10_ENKUlT_T0_E_clISt17integral_constantIbLb0EES1A_IbLb1EEEEDaS16_S17_EUlS16_E_NS1_11comp_targetILNS1_3genE2ELNS1_11target_archE906ELNS1_3gpuE6ELNS1_3repE0EEENS1_30default_config_static_selectorELNS0_4arch9wavefront6targetE1EEEvT1_
                                        ; -- End function
	.section	.AMDGPU.csdata,"",@progbits
; Kernel info:
; codeLenInByte = 0
; NumSgprs: 4
; NumVgprs: 0
; NumAgprs: 0
; TotalNumVgprs: 0
; ScratchSize: 0
; MemoryBound: 0
; FloatMode: 240
; IeeeMode: 1
; LDSByteSize: 0 bytes/workgroup (compile time only)
; SGPRBlocks: 0
; VGPRBlocks: 0
; NumSGPRsForWavesPerEU: 4
; NumVGPRsForWavesPerEU: 1
; AccumOffset: 4
; Occupancy: 8
; WaveLimiterHint : 0
; COMPUTE_PGM_RSRC2:SCRATCH_EN: 0
; COMPUTE_PGM_RSRC2:USER_SGPR: 6
; COMPUTE_PGM_RSRC2:TRAP_HANDLER: 0
; COMPUTE_PGM_RSRC2:TGID_X_EN: 1
; COMPUTE_PGM_RSRC2:TGID_Y_EN: 0
; COMPUTE_PGM_RSRC2:TGID_Z_EN: 0
; COMPUTE_PGM_RSRC2:TIDIG_COMP_CNT: 0
; COMPUTE_PGM_RSRC3_GFX90A:ACCUM_OFFSET: 0
; COMPUTE_PGM_RSRC3_GFX90A:TG_SPLIT: 0
	.section	.text._ZN7rocprim17ROCPRIM_400000_NS6detail17trampoline_kernelINS0_14default_configENS1_25partition_config_selectorILNS1_17partition_subalgoE1EiNS0_10empty_typeEbEEZZNS1_14partition_implILS5_1ELb0ES3_jN6thrust23THRUST_200600_302600_NS6detail15normal_iteratorINSA_10device_ptrIiEEEEPS6_NSA_18transform_iteratorI7is_evenIiESF_NSA_11use_defaultESK_EENS0_5tupleIJNSA_16discard_iteratorISK_EESF_EEENSM_IJSG_SG_EEES6_PlJS6_EEE10hipError_tPvRmT3_T4_T5_T6_T7_T9_mT8_P12ihipStream_tbDpT10_ENKUlT_T0_E_clISt17integral_constantIbLb0EES1A_IbLb1EEEEDaS16_S17_EUlS16_E_NS1_11comp_targetILNS1_3genE10ELNS1_11target_archE1200ELNS1_3gpuE4ELNS1_3repE0EEENS1_30default_config_static_selectorELNS0_4arch9wavefront6targetE1EEEvT1_,"axG",@progbits,_ZN7rocprim17ROCPRIM_400000_NS6detail17trampoline_kernelINS0_14default_configENS1_25partition_config_selectorILNS1_17partition_subalgoE1EiNS0_10empty_typeEbEEZZNS1_14partition_implILS5_1ELb0ES3_jN6thrust23THRUST_200600_302600_NS6detail15normal_iteratorINSA_10device_ptrIiEEEEPS6_NSA_18transform_iteratorI7is_evenIiESF_NSA_11use_defaultESK_EENS0_5tupleIJNSA_16discard_iteratorISK_EESF_EEENSM_IJSG_SG_EEES6_PlJS6_EEE10hipError_tPvRmT3_T4_T5_T6_T7_T9_mT8_P12ihipStream_tbDpT10_ENKUlT_T0_E_clISt17integral_constantIbLb0EES1A_IbLb1EEEEDaS16_S17_EUlS16_E_NS1_11comp_targetILNS1_3genE10ELNS1_11target_archE1200ELNS1_3gpuE4ELNS1_3repE0EEENS1_30default_config_static_selectorELNS0_4arch9wavefront6targetE1EEEvT1_,comdat
	.protected	_ZN7rocprim17ROCPRIM_400000_NS6detail17trampoline_kernelINS0_14default_configENS1_25partition_config_selectorILNS1_17partition_subalgoE1EiNS0_10empty_typeEbEEZZNS1_14partition_implILS5_1ELb0ES3_jN6thrust23THRUST_200600_302600_NS6detail15normal_iteratorINSA_10device_ptrIiEEEEPS6_NSA_18transform_iteratorI7is_evenIiESF_NSA_11use_defaultESK_EENS0_5tupleIJNSA_16discard_iteratorISK_EESF_EEENSM_IJSG_SG_EEES6_PlJS6_EEE10hipError_tPvRmT3_T4_T5_T6_T7_T9_mT8_P12ihipStream_tbDpT10_ENKUlT_T0_E_clISt17integral_constantIbLb0EES1A_IbLb1EEEEDaS16_S17_EUlS16_E_NS1_11comp_targetILNS1_3genE10ELNS1_11target_archE1200ELNS1_3gpuE4ELNS1_3repE0EEENS1_30default_config_static_selectorELNS0_4arch9wavefront6targetE1EEEvT1_ ; -- Begin function _ZN7rocprim17ROCPRIM_400000_NS6detail17trampoline_kernelINS0_14default_configENS1_25partition_config_selectorILNS1_17partition_subalgoE1EiNS0_10empty_typeEbEEZZNS1_14partition_implILS5_1ELb0ES3_jN6thrust23THRUST_200600_302600_NS6detail15normal_iteratorINSA_10device_ptrIiEEEEPS6_NSA_18transform_iteratorI7is_evenIiESF_NSA_11use_defaultESK_EENS0_5tupleIJNSA_16discard_iteratorISK_EESF_EEENSM_IJSG_SG_EEES6_PlJS6_EEE10hipError_tPvRmT3_T4_T5_T6_T7_T9_mT8_P12ihipStream_tbDpT10_ENKUlT_T0_E_clISt17integral_constantIbLb0EES1A_IbLb1EEEEDaS16_S17_EUlS16_E_NS1_11comp_targetILNS1_3genE10ELNS1_11target_archE1200ELNS1_3gpuE4ELNS1_3repE0EEENS1_30default_config_static_selectorELNS0_4arch9wavefront6targetE1EEEvT1_
	.globl	_ZN7rocprim17ROCPRIM_400000_NS6detail17trampoline_kernelINS0_14default_configENS1_25partition_config_selectorILNS1_17partition_subalgoE1EiNS0_10empty_typeEbEEZZNS1_14partition_implILS5_1ELb0ES3_jN6thrust23THRUST_200600_302600_NS6detail15normal_iteratorINSA_10device_ptrIiEEEEPS6_NSA_18transform_iteratorI7is_evenIiESF_NSA_11use_defaultESK_EENS0_5tupleIJNSA_16discard_iteratorISK_EESF_EEENSM_IJSG_SG_EEES6_PlJS6_EEE10hipError_tPvRmT3_T4_T5_T6_T7_T9_mT8_P12ihipStream_tbDpT10_ENKUlT_T0_E_clISt17integral_constantIbLb0EES1A_IbLb1EEEEDaS16_S17_EUlS16_E_NS1_11comp_targetILNS1_3genE10ELNS1_11target_archE1200ELNS1_3gpuE4ELNS1_3repE0EEENS1_30default_config_static_selectorELNS0_4arch9wavefront6targetE1EEEvT1_
	.p2align	8
	.type	_ZN7rocprim17ROCPRIM_400000_NS6detail17trampoline_kernelINS0_14default_configENS1_25partition_config_selectorILNS1_17partition_subalgoE1EiNS0_10empty_typeEbEEZZNS1_14partition_implILS5_1ELb0ES3_jN6thrust23THRUST_200600_302600_NS6detail15normal_iteratorINSA_10device_ptrIiEEEEPS6_NSA_18transform_iteratorI7is_evenIiESF_NSA_11use_defaultESK_EENS0_5tupleIJNSA_16discard_iteratorISK_EESF_EEENSM_IJSG_SG_EEES6_PlJS6_EEE10hipError_tPvRmT3_T4_T5_T6_T7_T9_mT8_P12ihipStream_tbDpT10_ENKUlT_T0_E_clISt17integral_constantIbLb0EES1A_IbLb1EEEEDaS16_S17_EUlS16_E_NS1_11comp_targetILNS1_3genE10ELNS1_11target_archE1200ELNS1_3gpuE4ELNS1_3repE0EEENS1_30default_config_static_selectorELNS0_4arch9wavefront6targetE1EEEvT1_,@function
_ZN7rocprim17ROCPRIM_400000_NS6detail17trampoline_kernelINS0_14default_configENS1_25partition_config_selectorILNS1_17partition_subalgoE1EiNS0_10empty_typeEbEEZZNS1_14partition_implILS5_1ELb0ES3_jN6thrust23THRUST_200600_302600_NS6detail15normal_iteratorINSA_10device_ptrIiEEEEPS6_NSA_18transform_iteratorI7is_evenIiESF_NSA_11use_defaultESK_EENS0_5tupleIJNSA_16discard_iteratorISK_EESF_EEENSM_IJSG_SG_EEES6_PlJS6_EEE10hipError_tPvRmT3_T4_T5_T6_T7_T9_mT8_P12ihipStream_tbDpT10_ENKUlT_T0_E_clISt17integral_constantIbLb0EES1A_IbLb1EEEEDaS16_S17_EUlS16_E_NS1_11comp_targetILNS1_3genE10ELNS1_11target_archE1200ELNS1_3gpuE4ELNS1_3repE0EEENS1_30default_config_static_selectorELNS0_4arch9wavefront6targetE1EEEvT1_: ; @_ZN7rocprim17ROCPRIM_400000_NS6detail17trampoline_kernelINS0_14default_configENS1_25partition_config_selectorILNS1_17partition_subalgoE1EiNS0_10empty_typeEbEEZZNS1_14partition_implILS5_1ELb0ES3_jN6thrust23THRUST_200600_302600_NS6detail15normal_iteratorINSA_10device_ptrIiEEEEPS6_NSA_18transform_iteratorI7is_evenIiESF_NSA_11use_defaultESK_EENS0_5tupleIJNSA_16discard_iteratorISK_EESF_EEENSM_IJSG_SG_EEES6_PlJS6_EEE10hipError_tPvRmT3_T4_T5_T6_T7_T9_mT8_P12ihipStream_tbDpT10_ENKUlT_T0_E_clISt17integral_constantIbLb0EES1A_IbLb1EEEEDaS16_S17_EUlS16_E_NS1_11comp_targetILNS1_3genE10ELNS1_11target_archE1200ELNS1_3gpuE4ELNS1_3repE0EEENS1_30default_config_static_selectorELNS0_4arch9wavefront6targetE1EEEvT1_
; %bb.0:
	.section	.rodata,"a",@progbits
	.p2align	6, 0x0
	.amdhsa_kernel _ZN7rocprim17ROCPRIM_400000_NS6detail17trampoline_kernelINS0_14default_configENS1_25partition_config_selectorILNS1_17partition_subalgoE1EiNS0_10empty_typeEbEEZZNS1_14partition_implILS5_1ELb0ES3_jN6thrust23THRUST_200600_302600_NS6detail15normal_iteratorINSA_10device_ptrIiEEEEPS6_NSA_18transform_iteratorI7is_evenIiESF_NSA_11use_defaultESK_EENS0_5tupleIJNSA_16discard_iteratorISK_EESF_EEENSM_IJSG_SG_EEES6_PlJS6_EEE10hipError_tPvRmT3_T4_T5_T6_T7_T9_mT8_P12ihipStream_tbDpT10_ENKUlT_T0_E_clISt17integral_constantIbLb0EES1A_IbLb1EEEEDaS16_S17_EUlS16_E_NS1_11comp_targetILNS1_3genE10ELNS1_11target_archE1200ELNS1_3gpuE4ELNS1_3repE0EEENS1_30default_config_static_selectorELNS0_4arch9wavefront6targetE1EEEvT1_
		.amdhsa_group_segment_fixed_size 0
		.amdhsa_private_segment_fixed_size 0
		.amdhsa_kernarg_size 152
		.amdhsa_user_sgpr_count 6
		.amdhsa_user_sgpr_private_segment_buffer 1
		.amdhsa_user_sgpr_dispatch_ptr 0
		.amdhsa_user_sgpr_queue_ptr 0
		.amdhsa_user_sgpr_kernarg_segment_ptr 1
		.amdhsa_user_sgpr_dispatch_id 0
		.amdhsa_user_sgpr_flat_scratch_init 0
		.amdhsa_user_sgpr_kernarg_preload_length 0
		.amdhsa_user_sgpr_kernarg_preload_offset 0
		.amdhsa_user_sgpr_private_segment_size 0
		.amdhsa_uses_dynamic_stack 0
		.amdhsa_system_sgpr_private_segment_wavefront_offset 0
		.amdhsa_system_sgpr_workgroup_id_x 1
		.amdhsa_system_sgpr_workgroup_id_y 0
		.amdhsa_system_sgpr_workgroup_id_z 0
		.amdhsa_system_sgpr_workgroup_info 0
		.amdhsa_system_vgpr_workitem_id 0
		.amdhsa_next_free_vgpr 1
		.amdhsa_next_free_sgpr 0
		.amdhsa_accum_offset 4
		.amdhsa_reserve_vcc 0
		.amdhsa_reserve_flat_scratch 0
		.amdhsa_float_round_mode_32 0
		.amdhsa_float_round_mode_16_64 0
		.amdhsa_float_denorm_mode_32 3
		.amdhsa_float_denorm_mode_16_64 3
		.amdhsa_dx10_clamp 1
		.amdhsa_ieee_mode 1
		.amdhsa_fp16_overflow 0
		.amdhsa_tg_split 0
		.amdhsa_exception_fp_ieee_invalid_op 0
		.amdhsa_exception_fp_denorm_src 0
		.amdhsa_exception_fp_ieee_div_zero 0
		.amdhsa_exception_fp_ieee_overflow 0
		.amdhsa_exception_fp_ieee_underflow 0
		.amdhsa_exception_fp_ieee_inexact 0
		.amdhsa_exception_int_div_zero 0
	.end_amdhsa_kernel
	.section	.text._ZN7rocprim17ROCPRIM_400000_NS6detail17trampoline_kernelINS0_14default_configENS1_25partition_config_selectorILNS1_17partition_subalgoE1EiNS0_10empty_typeEbEEZZNS1_14partition_implILS5_1ELb0ES3_jN6thrust23THRUST_200600_302600_NS6detail15normal_iteratorINSA_10device_ptrIiEEEEPS6_NSA_18transform_iteratorI7is_evenIiESF_NSA_11use_defaultESK_EENS0_5tupleIJNSA_16discard_iteratorISK_EESF_EEENSM_IJSG_SG_EEES6_PlJS6_EEE10hipError_tPvRmT3_T4_T5_T6_T7_T9_mT8_P12ihipStream_tbDpT10_ENKUlT_T0_E_clISt17integral_constantIbLb0EES1A_IbLb1EEEEDaS16_S17_EUlS16_E_NS1_11comp_targetILNS1_3genE10ELNS1_11target_archE1200ELNS1_3gpuE4ELNS1_3repE0EEENS1_30default_config_static_selectorELNS0_4arch9wavefront6targetE1EEEvT1_,"axG",@progbits,_ZN7rocprim17ROCPRIM_400000_NS6detail17trampoline_kernelINS0_14default_configENS1_25partition_config_selectorILNS1_17partition_subalgoE1EiNS0_10empty_typeEbEEZZNS1_14partition_implILS5_1ELb0ES3_jN6thrust23THRUST_200600_302600_NS6detail15normal_iteratorINSA_10device_ptrIiEEEEPS6_NSA_18transform_iteratorI7is_evenIiESF_NSA_11use_defaultESK_EENS0_5tupleIJNSA_16discard_iteratorISK_EESF_EEENSM_IJSG_SG_EEES6_PlJS6_EEE10hipError_tPvRmT3_T4_T5_T6_T7_T9_mT8_P12ihipStream_tbDpT10_ENKUlT_T0_E_clISt17integral_constantIbLb0EES1A_IbLb1EEEEDaS16_S17_EUlS16_E_NS1_11comp_targetILNS1_3genE10ELNS1_11target_archE1200ELNS1_3gpuE4ELNS1_3repE0EEENS1_30default_config_static_selectorELNS0_4arch9wavefront6targetE1EEEvT1_,comdat
.Lfunc_end3352:
	.size	_ZN7rocprim17ROCPRIM_400000_NS6detail17trampoline_kernelINS0_14default_configENS1_25partition_config_selectorILNS1_17partition_subalgoE1EiNS0_10empty_typeEbEEZZNS1_14partition_implILS5_1ELb0ES3_jN6thrust23THRUST_200600_302600_NS6detail15normal_iteratorINSA_10device_ptrIiEEEEPS6_NSA_18transform_iteratorI7is_evenIiESF_NSA_11use_defaultESK_EENS0_5tupleIJNSA_16discard_iteratorISK_EESF_EEENSM_IJSG_SG_EEES6_PlJS6_EEE10hipError_tPvRmT3_T4_T5_T6_T7_T9_mT8_P12ihipStream_tbDpT10_ENKUlT_T0_E_clISt17integral_constantIbLb0EES1A_IbLb1EEEEDaS16_S17_EUlS16_E_NS1_11comp_targetILNS1_3genE10ELNS1_11target_archE1200ELNS1_3gpuE4ELNS1_3repE0EEENS1_30default_config_static_selectorELNS0_4arch9wavefront6targetE1EEEvT1_, .Lfunc_end3352-_ZN7rocprim17ROCPRIM_400000_NS6detail17trampoline_kernelINS0_14default_configENS1_25partition_config_selectorILNS1_17partition_subalgoE1EiNS0_10empty_typeEbEEZZNS1_14partition_implILS5_1ELb0ES3_jN6thrust23THRUST_200600_302600_NS6detail15normal_iteratorINSA_10device_ptrIiEEEEPS6_NSA_18transform_iteratorI7is_evenIiESF_NSA_11use_defaultESK_EENS0_5tupleIJNSA_16discard_iteratorISK_EESF_EEENSM_IJSG_SG_EEES6_PlJS6_EEE10hipError_tPvRmT3_T4_T5_T6_T7_T9_mT8_P12ihipStream_tbDpT10_ENKUlT_T0_E_clISt17integral_constantIbLb0EES1A_IbLb1EEEEDaS16_S17_EUlS16_E_NS1_11comp_targetILNS1_3genE10ELNS1_11target_archE1200ELNS1_3gpuE4ELNS1_3repE0EEENS1_30default_config_static_selectorELNS0_4arch9wavefront6targetE1EEEvT1_
                                        ; -- End function
	.section	.AMDGPU.csdata,"",@progbits
; Kernel info:
; codeLenInByte = 0
; NumSgprs: 4
; NumVgprs: 0
; NumAgprs: 0
; TotalNumVgprs: 0
; ScratchSize: 0
; MemoryBound: 0
; FloatMode: 240
; IeeeMode: 1
; LDSByteSize: 0 bytes/workgroup (compile time only)
; SGPRBlocks: 0
; VGPRBlocks: 0
; NumSGPRsForWavesPerEU: 4
; NumVGPRsForWavesPerEU: 1
; AccumOffset: 4
; Occupancy: 8
; WaveLimiterHint : 0
; COMPUTE_PGM_RSRC2:SCRATCH_EN: 0
; COMPUTE_PGM_RSRC2:USER_SGPR: 6
; COMPUTE_PGM_RSRC2:TRAP_HANDLER: 0
; COMPUTE_PGM_RSRC2:TGID_X_EN: 1
; COMPUTE_PGM_RSRC2:TGID_Y_EN: 0
; COMPUTE_PGM_RSRC2:TGID_Z_EN: 0
; COMPUTE_PGM_RSRC2:TIDIG_COMP_CNT: 0
; COMPUTE_PGM_RSRC3_GFX90A:ACCUM_OFFSET: 0
; COMPUTE_PGM_RSRC3_GFX90A:TG_SPLIT: 0
	.section	.text._ZN7rocprim17ROCPRIM_400000_NS6detail17trampoline_kernelINS0_14default_configENS1_25partition_config_selectorILNS1_17partition_subalgoE1EiNS0_10empty_typeEbEEZZNS1_14partition_implILS5_1ELb0ES3_jN6thrust23THRUST_200600_302600_NS6detail15normal_iteratorINSA_10device_ptrIiEEEEPS6_NSA_18transform_iteratorI7is_evenIiESF_NSA_11use_defaultESK_EENS0_5tupleIJNSA_16discard_iteratorISK_EESF_EEENSM_IJSG_SG_EEES6_PlJS6_EEE10hipError_tPvRmT3_T4_T5_T6_T7_T9_mT8_P12ihipStream_tbDpT10_ENKUlT_T0_E_clISt17integral_constantIbLb0EES1A_IbLb1EEEEDaS16_S17_EUlS16_E_NS1_11comp_targetILNS1_3genE9ELNS1_11target_archE1100ELNS1_3gpuE3ELNS1_3repE0EEENS1_30default_config_static_selectorELNS0_4arch9wavefront6targetE1EEEvT1_,"axG",@progbits,_ZN7rocprim17ROCPRIM_400000_NS6detail17trampoline_kernelINS0_14default_configENS1_25partition_config_selectorILNS1_17partition_subalgoE1EiNS0_10empty_typeEbEEZZNS1_14partition_implILS5_1ELb0ES3_jN6thrust23THRUST_200600_302600_NS6detail15normal_iteratorINSA_10device_ptrIiEEEEPS6_NSA_18transform_iteratorI7is_evenIiESF_NSA_11use_defaultESK_EENS0_5tupleIJNSA_16discard_iteratorISK_EESF_EEENSM_IJSG_SG_EEES6_PlJS6_EEE10hipError_tPvRmT3_T4_T5_T6_T7_T9_mT8_P12ihipStream_tbDpT10_ENKUlT_T0_E_clISt17integral_constantIbLb0EES1A_IbLb1EEEEDaS16_S17_EUlS16_E_NS1_11comp_targetILNS1_3genE9ELNS1_11target_archE1100ELNS1_3gpuE3ELNS1_3repE0EEENS1_30default_config_static_selectorELNS0_4arch9wavefront6targetE1EEEvT1_,comdat
	.protected	_ZN7rocprim17ROCPRIM_400000_NS6detail17trampoline_kernelINS0_14default_configENS1_25partition_config_selectorILNS1_17partition_subalgoE1EiNS0_10empty_typeEbEEZZNS1_14partition_implILS5_1ELb0ES3_jN6thrust23THRUST_200600_302600_NS6detail15normal_iteratorINSA_10device_ptrIiEEEEPS6_NSA_18transform_iteratorI7is_evenIiESF_NSA_11use_defaultESK_EENS0_5tupleIJNSA_16discard_iteratorISK_EESF_EEENSM_IJSG_SG_EEES6_PlJS6_EEE10hipError_tPvRmT3_T4_T5_T6_T7_T9_mT8_P12ihipStream_tbDpT10_ENKUlT_T0_E_clISt17integral_constantIbLb0EES1A_IbLb1EEEEDaS16_S17_EUlS16_E_NS1_11comp_targetILNS1_3genE9ELNS1_11target_archE1100ELNS1_3gpuE3ELNS1_3repE0EEENS1_30default_config_static_selectorELNS0_4arch9wavefront6targetE1EEEvT1_ ; -- Begin function _ZN7rocprim17ROCPRIM_400000_NS6detail17trampoline_kernelINS0_14default_configENS1_25partition_config_selectorILNS1_17partition_subalgoE1EiNS0_10empty_typeEbEEZZNS1_14partition_implILS5_1ELb0ES3_jN6thrust23THRUST_200600_302600_NS6detail15normal_iteratorINSA_10device_ptrIiEEEEPS6_NSA_18transform_iteratorI7is_evenIiESF_NSA_11use_defaultESK_EENS0_5tupleIJNSA_16discard_iteratorISK_EESF_EEENSM_IJSG_SG_EEES6_PlJS6_EEE10hipError_tPvRmT3_T4_T5_T6_T7_T9_mT8_P12ihipStream_tbDpT10_ENKUlT_T0_E_clISt17integral_constantIbLb0EES1A_IbLb1EEEEDaS16_S17_EUlS16_E_NS1_11comp_targetILNS1_3genE9ELNS1_11target_archE1100ELNS1_3gpuE3ELNS1_3repE0EEENS1_30default_config_static_selectorELNS0_4arch9wavefront6targetE1EEEvT1_
	.globl	_ZN7rocprim17ROCPRIM_400000_NS6detail17trampoline_kernelINS0_14default_configENS1_25partition_config_selectorILNS1_17partition_subalgoE1EiNS0_10empty_typeEbEEZZNS1_14partition_implILS5_1ELb0ES3_jN6thrust23THRUST_200600_302600_NS6detail15normal_iteratorINSA_10device_ptrIiEEEEPS6_NSA_18transform_iteratorI7is_evenIiESF_NSA_11use_defaultESK_EENS0_5tupleIJNSA_16discard_iteratorISK_EESF_EEENSM_IJSG_SG_EEES6_PlJS6_EEE10hipError_tPvRmT3_T4_T5_T6_T7_T9_mT8_P12ihipStream_tbDpT10_ENKUlT_T0_E_clISt17integral_constantIbLb0EES1A_IbLb1EEEEDaS16_S17_EUlS16_E_NS1_11comp_targetILNS1_3genE9ELNS1_11target_archE1100ELNS1_3gpuE3ELNS1_3repE0EEENS1_30default_config_static_selectorELNS0_4arch9wavefront6targetE1EEEvT1_
	.p2align	8
	.type	_ZN7rocprim17ROCPRIM_400000_NS6detail17trampoline_kernelINS0_14default_configENS1_25partition_config_selectorILNS1_17partition_subalgoE1EiNS0_10empty_typeEbEEZZNS1_14partition_implILS5_1ELb0ES3_jN6thrust23THRUST_200600_302600_NS6detail15normal_iteratorINSA_10device_ptrIiEEEEPS6_NSA_18transform_iteratorI7is_evenIiESF_NSA_11use_defaultESK_EENS0_5tupleIJNSA_16discard_iteratorISK_EESF_EEENSM_IJSG_SG_EEES6_PlJS6_EEE10hipError_tPvRmT3_T4_T5_T6_T7_T9_mT8_P12ihipStream_tbDpT10_ENKUlT_T0_E_clISt17integral_constantIbLb0EES1A_IbLb1EEEEDaS16_S17_EUlS16_E_NS1_11comp_targetILNS1_3genE9ELNS1_11target_archE1100ELNS1_3gpuE3ELNS1_3repE0EEENS1_30default_config_static_selectorELNS0_4arch9wavefront6targetE1EEEvT1_,@function
_ZN7rocprim17ROCPRIM_400000_NS6detail17trampoline_kernelINS0_14default_configENS1_25partition_config_selectorILNS1_17partition_subalgoE1EiNS0_10empty_typeEbEEZZNS1_14partition_implILS5_1ELb0ES3_jN6thrust23THRUST_200600_302600_NS6detail15normal_iteratorINSA_10device_ptrIiEEEEPS6_NSA_18transform_iteratorI7is_evenIiESF_NSA_11use_defaultESK_EENS0_5tupleIJNSA_16discard_iteratorISK_EESF_EEENSM_IJSG_SG_EEES6_PlJS6_EEE10hipError_tPvRmT3_T4_T5_T6_T7_T9_mT8_P12ihipStream_tbDpT10_ENKUlT_T0_E_clISt17integral_constantIbLb0EES1A_IbLb1EEEEDaS16_S17_EUlS16_E_NS1_11comp_targetILNS1_3genE9ELNS1_11target_archE1100ELNS1_3gpuE3ELNS1_3repE0EEENS1_30default_config_static_selectorELNS0_4arch9wavefront6targetE1EEEvT1_: ; @_ZN7rocprim17ROCPRIM_400000_NS6detail17trampoline_kernelINS0_14default_configENS1_25partition_config_selectorILNS1_17partition_subalgoE1EiNS0_10empty_typeEbEEZZNS1_14partition_implILS5_1ELb0ES3_jN6thrust23THRUST_200600_302600_NS6detail15normal_iteratorINSA_10device_ptrIiEEEEPS6_NSA_18transform_iteratorI7is_evenIiESF_NSA_11use_defaultESK_EENS0_5tupleIJNSA_16discard_iteratorISK_EESF_EEENSM_IJSG_SG_EEES6_PlJS6_EEE10hipError_tPvRmT3_T4_T5_T6_T7_T9_mT8_P12ihipStream_tbDpT10_ENKUlT_T0_E_clISt17integral_constantIbLb0EES1A_IbLb1EEEEDaS16_S17_EUlS16_E_NS1_11comp_targetILNS1_3genE9ELNS1_11target_archE1100ELNS1_3gpuE3ELNS1_3repE0EEENS1_30default_config_static_selectorELNS0_4arch9wavefront6targetE1EEEvT1_
; %bb.0:
	.section	.rodata,"a",@progbits
	.p2align	6, 0x0
	.amdhsa_kernel _ZN7rocprim17ROCPRIM_400000_NS6detail17trampoline_kernelINS0_14default_configENS1_25partition_config_selectorILNS1_17partition_subalgoE1EiNS0_10empty_typeEbEEZZNS1_14partition_implILS5_1ELb0ES3_jN6thrust23THRUST_200600_302600_NS6detail15normal_iteratorINSA_10device_ptrIiEEEEPS6_NSA_18transform_iteratorI7is_evenIiESF_NSA_11use_defaultESK_EENS0_5tupleIJNSA_16discard_iteratorISK_EESF_EEENSM_IJSG_SG_EEES6_PlJS6_EEE10hipError_tPvRmT3_T4_T5_T6_T7_T9_mT8_P12ihipStream_tbDpT10_ENKUlT_T0_E_clISt17integral_constantIbLb0EES1A_IbLb1EEEEDaS16_S17_EUlS16_E_NS1_11comp_targetILNS1_3genE9ELNS1_11target_archE1100ELNS1_3gpuE3ELNS1_3repE0EEENS1_30default_config_static_selectorELNS0_4arch9wavefront6targetE1EEEvT1_
		.amdhsa_group_segment_fixed_size 0
		.amdhsa_private_segment_fixed_size 0
		.amdhsa_kernarg_size 152
		.amdhsa_user_sgpr_count 6
		.amdhsa_user_sgpr_private_segment_buffer 1
		.amdhsa_user_sgpr_dispatch_ptr 0
		.amdhsa_user_sgpr_queue_ptr 0
		.amdhsa_user_sgpr_kernarg_segment_ptr 1
		.amdhsa_user_sgpr_dispatch_id 0
		.amdhsa_user_sgpr_flat_scratch_init 0
		.amdhsa_user_sgpr_kernarg_preload_length 0
		.amdhsa_user_sgpr_kernarg_preload_offset 0
		.amdhsa_user_sgpr_private_segment_size 0
		.amdhsa_uses_dynamic_stack 0
		.amdhsa_system_sgpr_private_segment_wavefront_offset 0
		.amdhsa_system_sgpr_workgroup_id_x 1
		.amdhsa_system_sgpr_workgroup_id_y 0
		.amdhsa_system_sgpr_workgroup_id_z 0
		.amdhsa_system_sgpr_workgroup_info 0
		.amdhsa_system_vgpr_workitem_id 0
		.amdhsa_next_free_vgpr 1
		.amdhsa_next_free_sgpr 0
		.amdhsa_accum_offset 4
		.amdhsa_reserve_vcc 0
		.amdhsa_reserve_flat_scratch 0
		.amdhsa_float_round_mode_32 0
		.amdhsa_float_round_mode_16_64 0
		.amdhsa_float_denorm_mode_32 3
		.amdhsa_float_denorm_mode_16_64 3
		.amdhsa_dx10_clamp 1
		.amdhsa_ieee_mode 1
		.amdhsa_fp16_overflow 0
		.amdhsa_tg_split 0
		.amdhsa_exception_fp_ieee_invalid_op 0
		.amdhsa_exception_fp_denorm_src 0
		.amdhsa_exception_fp_ieee_div_zero 0
		.amdhsa_exception_fp_ieee_overflow 0
		.amdhsa_exception_fp_ieee_underflow 0
		.amdhsa_exception_fp_ieee_inexact 0
		.amdhsa_exception_int_div_zero 0
	.end_amdhsa_kernel
	.section	.text._ZN7rocprim17ROCPRIM_400000_NS6detail17trampoline_kernelINS0_14default_configENS1_25partition_config_selectorILNS1_17partition_subalgoE1EiNS0_10empty_typeEbEEZZNS1_14partition_implILS5_1ELb0ES3_jN6thrust23THRUST_200600_302600_NS6detail15normal_iteratorINSA_10device_ptrIiEEEEPS6_NSA_18transform_iteratorI7is_evenIiESF_NSA_11use_defaultESK_EENS0_5tupleIJNSA_16discard_iteratorISK_EESF_EEENSM_IJSG_SG_EEES6_PlJS6_EEE10hipError_tPvRmT3_T4_T5_T6_T7_T9_mT8_P12ihipStream_tbDpT10_ENKUlT_T0_E_clISt17integral_constantIbLb0EES1A_IbLb1EEEEDaS16_S17_EUlS16_E_NS1_11comp_targetILNS1_3genE9ELNS1_11target_archE1100ELNS1_3gpuE3ELNS1_3repE0EEENS1_30default_config_static_selectorELNS0_4arch9wavefront6targetE1EEEvT1_,"axG",@progbits,_ZN7rocprim17ROCPRIM_400000_NS6detail17trampoline_kernelINS0_14default_configENS1_25partition_config_selectorILNS1_17partition_subalgoE1EiNS0_10empty_typeEbEEZZNS1_14partition_implILS5_1ELb0ES3_jN6thrust23THRUST_200600_302600_NS6detail15normal_iteratorINSA_10device_ptrIiEEEEPS6_NSA_18transform_iteratorI7is_evenIiESF_NSA_11use_defaultESK_EENS0_5tupleIJNSA_16discard_iteratorISK_EESF_EEENSM_IJSG_SG_EEES6_PlJS6_EEE10hipError_tPvRmT3_T4_T5_T6_T7_T9_mT8_P12ihipStream_tbDpT10_ENKUlT_T0_E_clISt17integral_constantIbLb0EES1A_IbLb1EEEEDaS16_S17_EUlS16_E_NS1_11comp_targetILNS1_3genE9ELNS1_11target_archE1100ELNS1_3gpuE3ELNS1_3repE0EEENS1_30default_config_static_selectorELNS0_4arch9wavefront6targetE1EEEvT1_,comdat
.Lfunc_end3353:
	.size	_ZN7rocprim17ROCPRIM_400000_NS6detail17trampoline_kernelINS0_14default_configENS1_25partition_config_selectorILNS1_17partition_subalgoE1EiNS0_10empty_typeEbEEZZNS1_14partition_implILS5_1ELb0ES3_jN6thrust23THRUST_200600_302600_NS6detail15normal_iteratorINSA_10device_ptrIiEEEEPS6_NSA_18transform_iteratorI7is_evenIiESF_NSA_11use_defaultESK_EENS0_5tupleIJNSA_16discard_iteratorISK_EESF_EEENSM_IJSG_SG_EEES6_PlJS6_EEE10hipError_tPvRmT3_T4_T5_T6_T7_T9_mT8_P12ihipStream_tbDpT10_ENKUlT_T0_E_clISt17integral_constantIbLb0EES1A_IbLb1EEEEDaS16_S17_EUlS16_E_NS1_11comp_targetILNS1_3genE9ELNS1_11target_archE1100ELNS1_3gpuE3ELNS1_3repE0EEENS1_30default_config_static_selectorELNS0_4arch9wavefront6targetE1EEEvT1_, .Lfunc_end3353-_ZN7rocprim17ROCPRIM_400000_NS6detail17trampoline_kernelINS0_14default_configENS1_25partition_config_selectorILNS1_17partition_subalgoE1EiNS0_10empty_typeEbEEZZNS1_14partition_implILS5_1ELb0ES3_jN6thrust23THRUST_200600_302600_NS6detail15normal_iteratorINSA_10device_ptrIiEEEEPS6_NSA_18transform_iteratorI7is_evenIiESF_NSA_11use_defaultESK_EENS0_5tupleIJNSA_16discard_iteratorISK_EESF_EEENSM_IJSG_SG_EEES6_PlJS6_EEE10hipError_tPvRmT3_T4_T5_T6_T7_T9_mT8_P12ihipStream_tbDpT10_ENKUlT_T0_E_clISt17integral_constantIbLb0EES1A_IbLb1EEEEDaS16_S17_EUlS16_E_NS1_11comp_targetILNS1_3genE9ELNS1_11target_archE1100ELNS1_3gpuE3ELNS1_3repE0EEENS1_30default_config_static_selectorELNS0_4arch9wavefront6targetE1EEEvT1_
                                        ; -- End function
	.section	.AMDGPU.csdata,"",@progbits
; Kernel info:
; codeLenInByte = 0
; NumSgprs: 4
; NumVgprs: 0
; NumAgprs: 0
; TotalNumVgprs: 0
; ScratchSize: 0
; MemoryBound: 0
; FloatMode: 240
; IeeeMode: 1
; LDSByteSize: 0 bytes/workgroup (compile time only)
; SGPRBlocks: 0
; VGPRBlocks: 0
; NumSGPRsForWavesPerEU: 4
; NumVGPRsForWavesPerEU: 1
; AccumOffset: 4
; Occupancy: 8
; WaveLimiterHint : 0
; COMPUTE_PGM_RSRC2:SCRATCH_EN: 0
; COMPUTE_PGM_RSRC2:USER_SGPR: 6
; COMPUTE_PGM_RSRC2:TRAP_HANDLER: 0
; COMPUTE_PGM_RSRC2:TGID_X_EN: 1
; COMPUTE_PGM_RSRC2:TGID_Y_EN: 0
; COMPUTE_PGM_RSRC2:TGID_Z_EN: 0
; COMPUTE_PGM_RSRC2:TIDIG_COMP_CNT: 0
; COMPUTE_PGM_RSRC3_GFX90A:ACCUM_OFFSET: 0
; COMPUTE_PGM_RSRC3_GFX90A:TG_SPLIT: 0
	.section	.text._ZN7rocprim17ROCPRIM_400000_NS6detail17trampoline_kernelINS0_14default_configENS1_25partition_config_selectorILNS1_17partition_subalgoE1EiNS0_10empty_typeEbEEZZNS1_14partition_implILS5_1ELb0ES3_jN6thrust23THRUST_200600_302600_NS6detail15normal_iteratorINSA_10device_ptrIiEEEEPS6_NSA_18transform_iteratorI7is_evenIiESF_NSA_11use_defaultESK_EENS0_5tupleIJNSA_16discard_iteratorISK_EESF_EEENSM_IJSG_SG_EEES6_PlJS6_EEE10hipError_tPvRmT3_T4_T5_T6_T7_T9_mT8_P12ihipStream_tbDpT10_ENKUlT_T0_E_clISt17integral_constantIbLb0EES1A_IbLb1EEEEDaS16_S17_EUlS16_E_NS1_11comp_targetILNS1_3genE8ELNS1_11target_archE1030ELNS1_3gpuE2ELNS1_3repE0EEENS1_30default_config_static_selectorELNS0_4arch9wavefront6targetE1EEEvT1_,"axG",@progbits,_ZN7rocprim17ROCPRIM_400000_NS6detail17trampoline_kernelINS0_14default_configENS1_25partition_config_selectorILNS1_17partition_subalgoE1EiNS0_10empty_typeEbEEZZNS1_14partition_implILS5_1ELb0ES3_jN6thrust23THRUST_200600_302600_NS6detail15normal_iteratorINSA_10device_ptrIiEEEEPS6_NSA_18transform_iteratorI7is_evenIiESF_NSA_11use_defaultESK_EENS0_5tupleIJNSA_16discard_iteratorISK_EESF_EEENSM_IJSG_SG_EEES6_PlJS6_EEE10hipError_tPvRmT3_T4_T5_T6_T7_T9_mT8_P12ihipStream_tbDpT10_ENKUlT_T0_E_clISt17integral_constantIbLb0EES1A_IbLb1EEEEDaS16_S17_EUlS16_E_NS1_11comp_targetILNS1_3genE8ELNS1_11target_archE1030ELNS1_3gpuE2ELNS1_3repE0EEENS1_30default_config_static_selectorELNS0_4arch9wavefront6targetE1EEEvT1_,comdat
	.protected	_ZN7rocprim17ROCPRIM_400000_NS6detail17trampoline_kernelINS0_14default_configENS1_25partition_config_selectorILNS1_17partition_subalgoE1EiNS0_10empty_typeEbEEZZNS1_14partition_implILS5_1ELb0ES3_jN6thrust23THRUST_200600_302600_NS6detail15normal_iteratorINSA_10device_ptrIiEEEEPS6_NSA_18transform_iteratorI7is_evenIiESF_NSA_11use_defaultESK_EENS0_5tupleIJNSA_16discard_iteratorISK_EESF_EEENSM_IJSG_SG_EEES6_PlJS6_EEE10hipError_tPvRmT3_T4_T5_T6_T7_T9_mT8_P12ihipStream_tbDpT10_ENKUlT_T0_E_clISt17integral_constantIbLb0EES1A_IbLb1EEEEDaS16_S17_EUlS16_E_NS1_11comp_targetILNS1_3genE8ELNS1_11target_archE1030ELNS1_3gpuE2ELNS1_3repE0EEENS1_30default_config_static_selectorELNS0_4arch9wavefront6targetE1EEEvT1_ ; -- Begin function _ZN7rocprim17ROCPRIM_400000_NS6detail17trampoline_kernelINS0_14default_configENS1_25partition_config_selectorILNS1_17partition_subalgoE1EiNS0_10empty_typeEbEEZZNS1_14partition_implILS5_1ELb0ES3_jN6thrust23THRUST_200600_302600_NS6detail15normal_iteratorINSA_10device_ptrIiEEEEPS6_NSA_18transform_iteratorI7is_evenIiESF_NSA_11use_defaultESK_EENS0_5tupleIJNSA_16discard_iteratorISK_EESF_EEENSM_IJSG_SG_EEES6_PlJS6_EEE10hipError_tPvRmT3_T4_T5_T6_T7_T9_mT8_P12ihipStream_tbDpT10_ENKUlT_T0_E_clISt17integral_constantIbLb0EES1A_IbLb1EEEEDaS16_S17_EUlS16_E_NS1_11comp_targetILNS1_3genE8ELNS1_11target_archE1030ELNS1_3gpuE2ELNS1_3repE0EEENS1_30default_config_static_selectorELNS0_4arch9wavefront6targetE1EEEvT1_
	.globl	_ZN7rocprim17ROCPRIM_400000_NS6detail17trampoline_kernelINS0_14default_configENS1_25partition_config_selectorILNS1_17partition_subalgoE1EiNS0_10empty_typeEbEEZZNS1_14partition_implILS5_1ELb0ES3_jN6thrust23THRUST_200600_302600_NS6detail15normal_iteratorINSA_10device_ptrIiEEEEPS6_NSA_18transform_iteratorI7is_evenIiESF_NSA_11use_defaultESK_EENS0_5tupleIJNSA_16discard_iteratorISK_EESF_EEENSM_IJSG_SG_EEES6_PlJS6_EEE10hipError_tPvRmT3_T4_T5_T6_T7_T9_mT8_P12ihipStream_tbDpT10_ENKUlT_T0_E_clISt17integral_constantIbLb0EES1A_IbLb1EEEEDaS16_S17_EUlS16_E_NS1_11comp_targetILNS1_3genE8ELNS1_11target_archE1030ELNS1_3gpuE2ELNS1_3repE0EEENS1_30default_config_static_selectorELNS0_4arch9wavefront6targetE1EEEvT1_
	.p2align	8
	.type	_ZN7rocprim17ROCPRIM_400000_NS6detail17trampoline_kernelINS0_14default_configENS1_25partition_config_selectorILNS1_17partition_subalgoE1EiNS0_10empty_typeEbEEZZNS1_14partition_implILS5_1ELb0ES3_jN6thrust23THRUST_200600_302600_NS6detail15normal_iteratorINSA_10device_ptrIiEEEEPS6_NSA_18transform_iteratorI7is_evenIiESF_NSA_11use_defaultESK_EENS0_5tupleIJNSA_16discard_iteratorISK_EESF_EEENSM_IJSG_SG_EEES6_PlJS6_EEE10hipError_tPvRmT3_T4_T5_T6_T7_T9_mT8_P12ihipStream_tbDpT10_ENKUlT_T0_E_clISt17integral_constantIbLb0EES1A_IbLb1EEEEDaS16_S17_EUlS16_E_NS1_11comp_targetILNS1_3genE8ELNS1_11target_archE1030ELNS1_3gpuE2ELNS1_3repE0EEENS1_30default_config_static_selectorELNS0_4arch9wavefront6targetE1EEEvT1_,@function
_ZN7rocprim17ROCPRIM_400000_NS6detail17trampoline_kernelINS0_14default_configENS1_25partition_config_selectorILNS1_17partition_subalgoE1EiNS0_10empty_typeEbEEZZNS1_14partition_implILS5_1ELb0ES3_jN6thrust23THRUST_200600_302600_NS6detail15normal_iteratorINSA_10device_ptrIiEEEEPS6_NSA_18transform_iteratorI7is_evenIiESF_NSA_11use_defaultESK_EENS0_5tupleIJNSA_16discard_iteratorISK_EESF_EEENSM_IJSG_SG_EEES6_PlJS6_EEE10hipError_tPvRmT3_T4_T5_T6_T7_T9_mT8_P12ihipStream_tbDpT10_ENKUlT_T0_E_clISt17integral_constantIbLb0EES1A_IbLb1EEEEDaS16_S17_EUlS16_E_NS1_11comp_targetILNS1_3genE8ELNS1_11target_archE1030ELNS1_3gpuE2ELNS1_3repE0EEENS1_30default_config_static_selectorELNS0_4arch9wavefront6targetE1EEEvT1_: ; @_ZN7rocprim17ROCPRIM_400000_NS6detail17trampoline_kernelINS0_14default_configENS1_25partition_config_selectorILNS1_17partition_subalgoE1EiNS0_10empty_typeEbEEZZNS1_14partition_implILS5_1ELb0ES3_jN6thrust23THRUST_200600_302600_NS6detail15normal_iteratorINSA_10device_ptrIiEEEEPS6_NSA_18transform_iteratorI7is_evenIiESF_NSA_11use_defaultESK_EENS0_5tupleIJNSA_16discard_iteratorISK_EESF_EEENSM_IJSG_SG_EEES6_PlJS6_EEE10hipError_tPvRmT3_T4_T5_T6_T7_T9_mT8_P12ihipStream_tbDpT10_ENKUlT_T0_E_clISt17integral_constantIbLb0EES1A_IbLb1EEEEDaS16_S17_EUlS16_E_NS1_11comp_targetILNS1_3genE8ELNS1_11target_archE1030ELNS1_3gpuE2ELNS1_3repE0EEENS1_30default_config_static_selectorELNS0_4arch9wavefront6targetE1EEEvT1_
; %bb.0:
	.section	.rodata,"a",@progbits
	.p2align	6, 0x0
	.amdhsa_kernel _ZN7rocprim17ROCPRIM_400000_NS6detail17trampoline_kernelINS0_14default_configENS1_25partition_config_selectorILNS1_17partition_subalgoE1EiNS0_10empty_typeEbEEZZNS1_14partition_implILS5_1ELb0ES3_jN6thrust23THRUST_200600_302600_NS6detail15normal_iteratorINSA_10device_ptrIiEEEEPS6_NSA_18transform_iteratorI7is_evenIiESF_NSA_11use_defaultESK_EENS0_5tupleIJNSA_16discard_iteratorISK_EESF_EEENSM_IJSG_SG_EEES6_PlJS6_EEE10hipError_tPvRmT3_T4_T5_T6_T7_T9_mT8_P12ihipStream_tbDpT10_ENKUlT_T0_E_clISt17integral_constantIbLb0EES1A_IbLb1EEEEDaS16_S17_EUlS16_E_NS1_11comp_targetILNS1_3genE8ELNS1_11target_archE1030ELNS1_3gpuE2ELNS1_3repE0EEENS1_30default_config_static_selectorELNS0_4arch9wavefront6targetE1EEEvT1_
		.amdhsa_group_segment_fixed_size 0
		.amdhsa_private_segment_fixed_size 0
		.amdhsa_kernarg_size 152
		.amdhsa_user_sgpr_count 6
		.amdhsa_user_sgpr_private_segment_buffer 1
		.amdhsa_user_sgpr_dispatch_ptr 0
		.amdhsa_user_sgpr_queue_ptr 0
		.amdhsa_user_sgpr_kernarg_segment_ptr 1
		.amdhsa_user_sgpr_dispatch_id 0
		.amdhsa_user_sgpr_flat_scratch_init 0
		.amdhsa_user_sgpr_kernarg_preload_length 0
		.amdhsa_user_sgpr_kernarg_preload_offset 0
		.amdhsa_user_sgpr_private_segment_size 0
		.amdhsa_uses_dynamic_stack 0
		.amdhsa_system_sgpr_private_segment_wavefront_offset 0
		.amdhsa_system_sgpr_workgroup_id_x 1
		.amdhsa_system_sgpr_workgroup_id_y 0
		.amdhsa_system_sgpr_workgroup_id_z 0
		.amdhsa_system_sgpr_workgroup_info 0
		.amdhsa_system_vgpr_workitem_id 0
		.amdhsa_next_free_vgpr 1
		.amdhsa_next_free_sgpr 0
		.amdhsa_accum_offset 4
		.amdhsa_reserve_vcc 0
		.amdhsa_reserve_flat_scratch 0
		.amdhsa_float_round_mode_32 0
		.amdhsa_float_round_mode_16_64 0
		.amdhsa_float_denorm_mode_32 3
		.amdhsa_float_denorm_mode_16_64 3
		.amdhsa_dx10_clamp 1
		.amdhsa_ieee_mode 1
		.amdhsa_fp16_overflow 0
		.amdhsa_tg_split 0
		.amdhsa_exception_fp_ieee_invalid_op 0
		.amdhsa_exception_fp_denorm_src 0
		.amdhsa_exception_fp_ieee_div_zero 0
		.amdhsa_exception_fp_ieee_overflow 0
		.amdhsa_exception_fp_ieee_underflow 0
		.amdhsa_exception_fp_ieee_inexact 0
		.amdhsa_exception_int_div_zero 0
	.end_amdhsa_kernel
	.section	.text._ZN7rocprim17ROCPRIM_400000_NS6detail17trampoline_kernelINS0_14default_configENS1_25partition_config_selectorILNS1_17partition_subalgoE1EiNS0_10empty_typeEbEEZZNS1_14partition_implILS5_1ELb0ES3_jN6thrust23THRUST_200600_302600_NS6detail15normal_iteratorINSA_10device_ptrIiEEEEPS6_NSA_18transform_iteratorI7is_evenIiESF_NSA_11use_defaultESK_EENS0_5tupleIJNSA_16discard_iteratorISK_EESF_EEENSM_IJSG_SG_EEES6_PlJS6_EEE10hipError_tPvRmT3_T4_T5_T6_T7_T9_mT8_P12ihipStream_tbDpT10_ENKUlT_T0_E_clISt17integral_constantIbLb0EES1A_IbLb1EEEEDaS16_S17_EUlS16_E_NS1_11comp_targetILNS1_3genE8ELNS1_11target_archE1030ELNS1_3gpuE2ELNS1_3repE0EEENS1_30default_config_static_selectorELNS0_4arch9wavefront6targetE1EEEvT1_,"axG",@progbits,_ZN7rocprim17ROCPRIM_400000_NS6detail17trampoline_kernelINS0_14default_configENS1_25partition_config_selectorILNS1_17partition_subalgoE1EiNS0_10empty_typeEbEEZZNS1_14partition_implILS5_1ELb0ES3_jN6thrust23THRUST_200600_302600_NS6detail15normal_iteratorINSA_10device_ptrIiEEEEPS6_NSA_18transform_iteratorI7is_evenIiESF_NSA_11use_defaultESK_EENS0_5tupleIJNSA_16discard_iteratorISK_EESF_EEENSM_IJSG_SG_EEES6_PlJS6_EEE10hipError_tPvRmT3_T4_T5_T6_T7_T9_mT8_P12ihipStream_tbDpT10_ENKUlT_T0_E_clISt17integral_constantIbLb0EES1A_IbLb1EEEEDaS16_S17_EUlS16_E_NS1_11comp_targetILNS1_3genE8ELNS1_11target_archE1030ELNS1_3gpuE2ELNS1_3repE0EEENS1_30default_config_static_selectorELNS0_4arch9wavefront6targetE1EEEvT1_,comdat
.Lfunc_end3354:
	.size	_ZN7rocprim17ROCPRIM_400000_NS6detail17trampoline_kernelINS0_14default_configENS1_25partition_config_selectorILNS1_17partition_subalgoE1EiNS0_10empty_typeEbEEZZNS1_14partition_implILS5_1ELb0ES3_jN6thrust23THRUST_200600_302600_NS6detail15normal_iteratorINSA_10device_ptrIiEEEEPS6_NSA_18transform_iteratorI7is_evenIiESF_NSA_11use_defaultESK_EENS0_5tupleIJNSA_16discard_iteratorISK_EESF_EEENSM_IJSG_SG_EEES6_PlJS6_EEE10hipError_tPvRmT3_T4_T5_T6_T7_T9_mT8_P12ihipStream_tbDpT10_ENKUlT_T0_E_clISt17integral_constantIbLb0EES1A_IbLb1EEEEDaS16_S17_EUlS16_E_NS1_11comp_targetILNS1_3genE8ELNS1_11target_archE1030ELNS1_3gpuE2ELNS1_3repE0EEENS1_30default_config_static_selectorELNS0_4arch9wavefront6targetE1EEEvT1_, .Lfunc_end3354-_ZN7rocprim17ROCPRIM_400000_NS6detail17trampoline_kernelINS0_14default_configENS1_25partition_config_selectorILNS1_17partition_subalgoE1EiNS0_10empty_typeEbEEZZNS1_14partition_implILS5_1ELb0ES3_jN6thrust23THRUST_200600_302600_NS6detail15normal_iteratorINSA_10device_ptrIiEEEEPS6_NSA_18transform_iteratorI7is_evenIiESF_NSA_11use_defaultESK_EENS0_5tupleIJNSA_16discard_iteratorISK_EESF_EEENSM_IJSG_SG_EEES6_PlJS6_EEE10hipError_tPvRmT3_T4_T5_T6_T7_T9_mT8_P12ihipStream_tbDpT10_ENKUlT_T0_E_clISt17integral_constantIbLb0EES1A_IbLb1EEEEDaS16_S17_EUlS16_E_NS1_11comp_targetILNS1_3genE8ELNS1_11target_archE1030ELNS1_3gpuE2ELNS1_3repE0EEENS1_30default_config_static_selectorELNS0_4arch9wavefront6targetE1EEEvT1_
                                        ; -- End function
	.section	.AMDGPU.csdata,"",@progbits
; Kernel info:
; codeLenInByte = 0
; NumSgprs: 4
; NumVgprs: 0
; NumAgprs: 0
; TotalNumVgprs: 0
; ScratchSize: 0
; MemoryBound: 0
; FloatMode: 240
; IeeeMode: 1
; LDSByteSize: 0 bytes/workgroup (compile time only)
; SGPRBlocks: 0
; VGPRBlocks: 0
; NumSGPRsForWavesPerEU: 4
; NumVGPRsForWavesPerEU: 1
; AccumOffset: 4
; Occupancy: 8
; WaveLimiterHint : 0
; COMPUTE_PGM_RSRC2:SCRATCH_EN: 0
; COMPUTE_PGM_RSRC2:USER_SGPR: 6
; COMPUTE_PGM_RSRC2:TRAP_HANDLER: 0
; COMPUTE_PGM_RSRC2:TGID_X_EN: 1
; COMPUTE_PGM_RSRC2:TGID_Y_EN: 0
; COMPUTE_PGM_RSRC2:TGID_Z_EN: 0
; COMPUTE_PGM_RSRC2:TIDIG_COMP_CNT: 0
; COMPUTE_PGM_RSRC3_GFX90A:ACCUM_OFFSET: 0
; COMPUTE_PGM_RSRC3_GFX90A:TG_SPLIT: 0
	.section	.text._ZN7rocprim17ROCPRIM_400000_NS6detail17trampoline_kernelINS0_14default_configENS1_25partition_config_selectorILNS1_17partition_subalgoE1EsNS0_10empty_typeEbEEZZNS1_14partition_implILS5_1ELb0ES3_jN6thrust23THRUST_200600_302600_NS6detail15normal_iteratorINSA_10device_ptrIsEEEEPS6_NSA_18transform_iteratorI7is_evenIsESF_NSA_11use_defaultESK_EENS0_5tupleIJNSA_16discard_iteratorISK_EESO_EEENSM_IJSG_SG_EEES6_PlJS6_EEE10hipError_tPvRmT3_T4_T5_T6_T7_T9_mT8_P12ihipStream_tbDpT10_ENKUlT_T0_E_clISt17integral_constantIbLb0EES1B_EEDaS16_S17_EUlS16_E_NS1_11comp_targetILNS1_3genE0ELNS1_11target_archE4294967295ELNS1_3gpuE0ELNS1_3repE0EEENS1_30default_config_static_selectorELNS0_4arch9wavefront6targetE1EEEvT1_,"axG",@progbits,_ZN7rocprim17ROCPRIM_400000_NS6detail17trampoline_kernelINS0_14default_configENS1_25partition_config_selectorILNS1_17partition_subalgoE1EsNS0_10empty_typeEbEEZZNS1_14partition_implILS5_1ELb0ES3_jN6thrust23THRUST_200600_302600_NS6detail15normal_iteratorINSA_10device_ptrIsEEEEPS6_NSA_18transform_iteratorI7is_evenIsESF_NSA_11use_defaultESK_EENS0_5tupleIJNSA_16discard_iteratorISK_EESO_EEENSM_IJSG_SG_EEES6_PlJS6_EEE10hipError_tPvRmT3_T4_T5_T6_T7_T9_mT8_P12ihipStream_tbDpT10_ENKUlT_T0_E_clISt17integral_constantIbLb0EES1B_EEDaS16_S17_EUlS16_E_NS1_11comp_targetILNS1_3genE0ELNS1_11target_archE4294967295ELNS1_3gpuE0ELNS1_3repE0EEENS1_30default_config_static_selectorELNS0_4arch9wavefront6targetE1EEEvT1_,comdat
	.protected	_ZN7rocprim17ROCPRIM_400000_NS6detail17trampoline_kernelINS0_14default_configENS1_25partition_config_selectorILNS1_17partition_subalgoE1EsNS0_10empty_typeEbEEZZNS1_14partition_implILS5_1ELb0ES3_jN6thrust23THRUST_200600_302600_NS6detail15normal_iteratorINSA_10device_ptrIsEEEEPS6_NSA_18transform_iteratorI7is_evenIsESF_NSA_11use_defaultESK_EENS0_5tupleIJNSA_16discard_iteratorISK_EESO_EEENSM_IJSG_SG_EEES6_PlJS6_EEE10hipError_tPvRmT3_T4_T5_T6_T7_T9_mT8_P12ihipStream_tbDpT10_ENKUlT_T0_E_clISt17integral_constantIbLb0EES1B_EEDaS16_S17_EUlS16_E_NS1_11comp_targetILNS1_3genE0ELNS1_11target_archE4294967295ELNS1_3gpuE0ELNS1_3repE0EEENS1_30default_config_static_selectorELNS0_4arch9wavefront6targetE1EEEvT1_ ; -- Begin function _ZN7rocprim17ROCPRIM_400000_NS6detail17trampoline_kernelINS0_14default_configENS1_25partition_config_selectorILNS1_17partition_subalgoE1EsNS0_10empty_typeEbEEZZNS1_14partition_implILS5_1ELb0ES3_jN6thrust23THRUST_200600_302600_NS6detail15normal_iteratorINSA_10device_ptrIsEEEEPS6_NSA_18transform_iteratorI7is_evenIsESF_NSA_11use_defaultESK_EENS0_5tupleIJNSA_16discard_iteratorISK_EESO_EEENSM_IJSG_SG_EEES6_PlJS6_EEE10hipError_tPvRmT3_T4_T5_T6_T7_T9_mT8_P12ihipStream_tbDpT10_ENKUlT_T0_E_clISt17integral_constantIbLb0EES1B_EEDaS16_S17_EUlS16_E_NS1_11comp_targetILNS1_3genE0ELNS1_11target_archE4294967295ELNS1_3gpuE0ELNS1_3repE0EEENS1_30default_config_static_selectorELNS0_4arch9wavefront6targetE1EEEvT1_
	.globl	_ZN7rocprim17ROCPRIM_400000_NS6detail17trampoline_kernelINS0_14default_configENS1_25partition_config_selectorILNS1_17partition_subalgoE1EsNS0_10empty_typeEbEEZZNS1_14partition_implILS5_1ELb0ES3_jN6thrust23THRUST_200600_302600_NS6detail15normal_iteratorINSA_10device_ptrIsEEEEPS6_NSA_18transform_iteratorI7is_evenIsESF_NSA_11use_defaultESK_EENS0_5tupleIJNSA_16discard_iteratorISK_EESO_EEENSM_IJSG_SG_EEES6_PlJS6_EEE10hipError_tPvRmT3_T4_T5_T6_T7_T9_mT8_P12ihipStream_tbDpT10_ENKUlT_T0_E_clISt17integral_constantIbLb0EES1B_EEDaS16_S17_EUlS16_E_NS1_11comp_targetILNS1_3genE0ELNS1_11target_archE4294967295ELNS1_3gpuE0ELNS1_3repE0EEENS1_30default_config_static_selectorELNS0_4arch9wavefront6targetE1EEEvT1_
	.p2align	8
	.type	_ZN7rocprim17ROCPRIM_400000_NS6detail17trampoline_kernelINS0_14default_configENS1_25partition_config_selectorILNS1_17partition_subalgoE1EsNS0_10empty_typeEbEEZZNS1_14partition_implILS5_1ELb0ES3_jN6thrust23THRUST_200600_302600_NS6detail15normal_iteratorINSA_10device_ptrIsEEEEPS6_NSA_18transform_iteratorI7is_evenIsESF_NSA_11use_defaultESK_EENS0_5tupleIJNSA_16discard_iteratorISK_EESO_EEENSM_IJSG_SG_EEES6_PlJS6_EEE10hipError_tPvRmT3_T4_T5_T6_T7_T9_mT8_P12ihipStream_tbDpT10_ENKUlT_T0_E_clISt17integral_constantIbLb0EES1B_EEDaS16_S17_EUlS16_E_NS1_11comp_targetILNS1_3genE0ELNS1_11target_archE4294967295ELNS1_3gpuE0ELNS1_3repE0EEENS1_30default_config_static_selectorELNS0_4arch9wavefront6targetE1EEEvT1_,@function
_ZN7rocprim17ROCPRIM_400000_NS6detail17trampoline_kernelINS0_14default_configENS1_25partition_config_selectorILNS1_17partition_subalgoE1EsNS0_10empty_typeEbEEZZNS1_14partition_implILS5_1ELb0ES3_jN6thrust23THRUST_200600_302600_NS6detail15normal_iteratorINSA_10device_ptrIsEEEEPS6_NSA_18transform_iteratorI7is_evenIsESF_NSA_11use_defaultESK_EENS0_5tupleIJNSA_16discard_iteratorISK_EESO_EEENSM_IJSG_SG_EEES6_PlJS6_EEE10hipError_tPvRmT3_T4_T5_T6_T7_T9_mT8_P12ihipStream_tbDpT10_ENKUlT_T0_E_clISt17integral_constantIbLb0EES1B_EEDaS16_S17_EUlS16_E_NS1_11comp_targetILNS1_3genE0ELNS1_11target_archE4294967295ELNS1_3gpuE0ELNS1_3repE0EEENS1_30default_config_static_selectorELNS0_4arch9wavefront6targetE1EEEvT1_: ; @_ZN7rocprim17ROCPRIM_400000_NS6detail17trampoline_kernelINS0_14default_configENS1_25partition_config_selectorILNS1_17partition_subalgoE1EsNS0_10empty_typeEbEEZZNS1_14partition_implILS5_1ELb0ES3_jN6thrust23THRUST_200600_302600_NS6detail15normal_iteratorINSA_10device_ptrIsEEEEPS6_NSA_18transform_iteratorI7is_evenIsESF_NSA_11use_defaultESK_EENS0_5tupleIJNSA_16discard_iteratorISK_EESO_EEENSM_IJSG_SG_EEES6_PlJS6_EEE10hipError_tPvRmT3_T4_T5_T6_T7_T9_mT8_P12ihipStream_tbDpT10_ENKUlT_T0_E_clISt17integral_constantIbLb0EES1B_EEDaS16_S17_EUlS16_E_NS1_11comp_targetILNS1_3genE0ELNS1_11target_archE4294967295ELNS1_3gpuE0ELNS1_3repE0EEENS1_30default_config_static_selectorELNS0_4arch9wavefront6targetE1EEEvT1_
; %bb.0:
	.section	.rodata,"a",@progbits
	.p2align	6, 0x0
	.amdhsa_kernel _ZN7rocprim17ROCPRIM_400000_NS6detail17trampoline_kernelINS0_14default_configENS1_25partition_config_selectorILNS1_17partition_subalgoE1EsNS0_10empty_typeEbEEZZNS1_14partition_implILS5_1ELb0ES3_jN6thrust23THRUST_200600_302600_NS6detail15normal_iteratorINSA_10device_ptrIsEEEEPS6_NSA_18transform_iteratorI7is_evenIsESF_NSA_11use_defaultESK_EENS0_5tupleIJNSA_16discard_iteratorISK_EESO_EEENSM_IJSG_SG_EEES6_PlJS6_EEE10hipError_tPvRmT3_T4_T5_T6_T7_T9_mT8_P12ihipStream_tbDpT10_ENKUlT_T0_E_clISt17integral_constantIbLb0EES1B_EEDaS16_S17_EUlS16_E_NS1_11comp_targetILNS1_3genE0ELNS1_11target_archE4294967295ELNS1_3gpuE0ELNS1_3repE0EEENS1_30default_config_static_selectorELNS0_4arch9wavefront6targetE1EEEvT1_
		.amdhsa_group_segment_fixed_size 0
		.amdhsa_private_segment_fixed_size 0
		.amdhsa_kernarg_size 144
		.amdhsa_user_sgpr_count 6
		.amdhsa_user_sgpr_private_segment_buffer 1
		.amdhsa_user_sgpr_dispatch_ptr 0
		.amdhsa_user_sgpr_queue_ptr 0
		.amdhsa_user_sgpr_kernarg_segment_ptr 1
		.amdhsa_user_sgpr_dispatch_id 0
		.amdhsa_user_sgpr_flat_scratch_init 0
		.amdhsa_user_sgpr_kernarg_preload_length 0
		.amdhsa_user_sgpr_kernarg_preload_offset 0
		.amdhsa_user_sgpr_private_segment_size 0
		.amdhsa_uses_dynamic_stack 0
		.amdhsa_system_sgpr_private_segment_wavefront_offset 0
		.amdhsa_system_sgpr_workgroup_id_x 1
		.amdhsa_system_sgpr_workgroup_id_y 0
		.amdhsa_system_sgpr_workgroup_id_z 0
		.amdhsa_system_sgpr_workgroup_info 0
		.amdhsa_system_vgpr_workitem_id 0
		.amdhsa_next_free_vgpr 1
		.amdhsa_next_free_sgpr 0
		.amdhsa_accum_offset 4
		.amdhsa_reserve_vcc 0
		.amdhsa_reserve_flat_scratch 0
		.amdhsa_float_round_mode_32 0
		.amdhsa_float_round_mode_16_64 0
		.amdhsa_float_denorm_mode_32 3
		.amdhsa_float_denorm_mode_16_64 3
		.amdhsa_dx10_clamp 1
		.amdhsa_ieee_mode 1
		.amdhsa_fp16_overflow 0
		.amdhsa_tg_split 0
		.amdhsa_exception_fp_ieee_invalid_op 0
		.amdhsa_exception_fp_denorm_src 0
		.amdhsa_exception_fp_ieee_div_zero 0
		.amdhsa_exception_fp_ieee_overflow 0
		.amdhsa_exception_fp_ieee_underflow 0
		.amdhsa_exception_fp_ieee_inexact 0
		.amdhsa_exception_int_div_zero 0
	.end_amdhsa_kernel
	.section	.text._ZN7rocprim17ROCPRIM_400000_NS6detail17trampoline_kernelINS0_14default_configENS1_25partition_config_selectorILNS1_17partition_subalgoE1EsNS0_10empty_typeEbEEZZNS1_14partition_implILS5_1ELb0ES3_jN6thrust23THRUST_200600_302600_NS6detail15normal_iteratorINSA_10device_ptrIsEEEEPS6_NSA_18transform_iteratorI7is_evenIsESF_NSA_11use_defaultESK_EENS0_5tupleIJNSA_16discard_iteratorISK_EESO_EEENSM_IJSG_SG_EEES6_PlJS6_EEE10hipError_tPvRmT3_T4_T5_T6_T7_T9_mT8_P12ihipStream_tbDpT10_ENKUlT_T0_E_clISt17integral_constantIbLb0EES1B_EEDaS16_S17_EUlS16_E_NS1_11comp_targetILNS1_3genE0ELNS1_11target_archE4294967295ELNS1_3gpuE0ELNS1_3repE0EEENS1_30default_config_static_selectorELNS0_4arch9wavefront6targetE1EEEvT1_,"axG",@progbits,_ZN7rocprim17ROCPRIM_400000_NS6detail17trampoline_kernelINS0_14default_configENS1_25partition_config_selectorILNS1_17partition_subalgoE1EsNS0_10empty_typeEbEEZZNS1_14partition_implILS5_1ELb0ES3_jN6thrust23THRUST_200600_302600_NS6detail15normal_iteratorINSA_10device_ptrIsEEEEPS6_NSA_18transform_iteratorI7is_evenIsESF_NSA_11use_defaultESK_EENS0_5tupleIJNSA_16discard_iteratorISK_EESO_EEENSM_IJSG_SG_EEES6_PlJS6_EEE10hipError_tPvRmT3_T4_T5_T6_T7_T9_mT8_P12ihipStream_tbDpT10_ENKUlT_T0_E_clISt17integral_constantIbLb0EES1B_EEDaS16_S17_EUlS16_E_NS1_11comp_targetILNS1_3genE0ELNS1_11target_archE4294967295ELNS1_3gpuE0ELNS1_3repE0EEENS1_30default_config_static_selectorELNS0_4arch9wavefront6targetE1EEEvT1_,comdat
.Lfunc_end3355:
	.size	_ZN7rocprim17ROCPRIM_400000_NS6detail17trampoline_kernelINS0_14default_configENS1_25partition_config_selectorILNS1_17partition_subalgoE1EsNS0_10empty_typeEbEEZZNS1_14partition_implILS5_1ELb0ES3_jN6thrust23THRUST_200600_302600_NS6detail15normal_iteratorINSA_10device_ptrIsEEEEPS6_NSA_18transform_iteratorI7is_evenIsESF_NSA_11use_defaultESK_EENS0_5tupleIJNSA_16discard_iteratorISK_EESO_EEENSM_IJSG_SG_EEES6_PlJS6_EEE10hipError_tPvRmT3_T4_T5_T6_T7_T9_mT8_P12ihipStream_tbDpT10_ENKUlT_T0_E_clISt17integral_constantIbLb0EES1B_EEDaS16_S17_EUlS16_E_NS1_11comp_targetILNS1_3genE0ELNS1_11target_archE4294967295ELNS1_3gpuE0ELNS1_3repE0EEENS1_30default_config_static_selectorELNS0_4arch9wavefront6targetE1EEEvT1_, .Lfunc_end3355-_ZN7rocprim17ROCPRIM_400000_NS6detail17trampoline_kernelINS0_14default_configENS1_25partition_config_selectorILNS1_17partition_subalgoE1EsNS0_10empty_typeEbEEZZNS1_14partition_implILS5_1ELb0ES3_jN6thrust23THRUST_200600_302600_NS6detail15normal_iteratorINSA_10device_ptrIsEEEEPS6_NSA_18transform_iteratorI7is_evenIsESF_NSA_11use_defaultESK_EENS0_5tupleIJNSA_16discard_iteratorISK_EESO_EEENSM_IJSG_SG_EEES6_PlJS6_EEE10hipError_tPvRmT3_T4_T5_T6_T7_T9_mT8_P12ihipStream_tbDpT10_ENKUlT_T0_E_clISt17integral_constantIbLb0EES1B_EEDaS16_S17_EUlS16_E_NS1_11comp_targetILNS1_3genE0ELNS1_11target_archE4294967295ELNS1_3gpuE0ELNS1_3repE0EEENS1_30default_config_static_selectorELNS0_4arch9wavefront6targetE1EEEvT1_
                                        ; -- End function
	.section	.AMDGPU.csdata,"",@progbits
; Kernel info:
; codeLenInByte = 0
; NumSgprs: 4
; NumVgprs: 0
; NumAgprs: 0
; TotalNumVgprs: 0
; ScratchSize: 0
; MemoryBound: 0
; FloatMode: 240
; IeeeMode: 1
; LDSByteSize: 0 bytes/workgroup (compile time only)
; SGPRBlocks: 0
; VGPRBlocks: 0
; NumSGPRsForWavesPerEU: 4
; NumVGPRsForWavesPerEU: 1
; AccumOffset: 4
; Occupancy: 8
; WaveLimiterHint : 0
; COMPUTE_PGM_RSRC2:SCRATCH_EN: 0
; COMPUTE_PGM_RSRC2:USER_SGPR: 6
; COMPUTE_PGM_RSRC2:TRAP_HANDLER: 0
; COMPUTE_PGM_RSRC2:TGID_X_EN: 1
; COMPUTE_PGM_RSRC2:TGID_Y_EN: 0
; COMPUTE_PGM_RSRC2:TGID_Z_EN: 0
; COMPUTE_PGM_RSRC2:TIDIG_COMP_CNT: 0
; COMPUTE_PGM_RSRC3_GFX90A:ACCUM_OFFSET: 0
; COMPUTE_PGM_RSRC3_GFX90A:TG_SPLIT: 0
	.section	.text._ZN7rocprim17ROCPRIM_400000_NS6detail17trampoline_kernelINS0_14default_configENS1_25partition_config_selectorILNS1_17partition_subalgoE1EsNS0_10empty_typeEbEEZZNS1_14partition_implILS5_1ELb0ES3_jN6thrust23THRUST_200600_302600_NS6detail15normal_iteratorINSA_10device_ptrIsEEEEPS6_NSA_18transform_iteratorI7is_evenIsESF_NSA_11use_defaultESK_EENS0_5tupleIJNSA_16discard_iteratorISK_EESO_EEENSM_IJSG_SG_EEES6_PlJS6_EEE10hipError_tPvRmT3_T4_T5_T6_T7_T9_mT8_P12ihipStream_tbDpT10_ENKUlT_T0_E_clISt17integral_constantIbLb0EES1B_EEDaS16_S17_EUlS16_E_NS1_11comp_targetILNS1_3genE5ELNS1_11target_archE942ELNS1_3gpuE9ELNS1_3repE0EEENS1_30default_config_static_selectorELNS0_4arch9wavefront6targetE1EEEvT1_,"axG",@progbits,_ZN7rocprim17ROCPRIM_400000_NS6detail17trampoline_kernelINS0_14default_configENS1_25partition_config_selectorILNS1_17partition_subalgoE1EsNS0_10empty_typeEbEEZZNS1_14partition_implILS5_1ELb0ES3_jN6thrust23THRUST_200600_302600_NS6detail15normal_iteratorINSA_10device_ptrIsEEEEPS6_NSA_18transform_iteratorI7is_evenIsESF_NSA_11use_defaultESK_EENS0_5tupleIJNSA_16discard_iteratorISK_EESO_EEENSM_IJSG_SG_EEES6_PlJS6_EEE10hipError_tPvRmT3_T4_T5_T6_T7_T9_mT8_P12ihipStream_tbDpT10_ENKUlT_T0_E_clISt17integral_constantIbLb0EES1B_EEDaS16_S17_EUlS16_E_NS1_11comp_targetILNS1_3genE5ELNS1_11target_archE942ELNS1_3gpuE9ELNS1_3repE0EEENS1_30default_config_static_selectorELNS0_4arch9wavefront6targetE1EEEvT1_,comdat
	.protected	_ZN7rocprim17ROCPRIM_400000_NS6detail17trampoline_kernelINS0_14default_configENS1_25partition_config_selectorILNS1_17partition_subalgoE1EsNS0_10empty_typeEbEEZZNS1_14partition_implILS5_1ELb0ES3_jN6thrust23THRUST_200600_302600_NS6detail15normal_iteratorINSA_10device_ptrIsEEEEPS6_NSA_18transform_iteratorI7is_evenIsESF_NSA_11use_defaultESK_EENS0_5tupleIJNSA_16discard_iteratorISK_EESO_EEENSM_IJSG_SG_EEES6_PlJS6_EEE10hipError_tPvRmT3_T4_T5_T6_T7_T9_mT8_P12ihipStream_tbDpT10_ENKUlT_T0_E_clISt17integral_constantIbLb0EES1B_EEDaS16_S17_EUlS16_E_NS1_11comp_targetILNS1_3genE5ELNS1_11target_archE942ELNS1_3gpuE9ELNS1_3repE0EEENS1_30default_config_static_selectorELNS0_4arch9wavefront6targetE1EEEvT1_ ; -- Begin function _ZN7rocprim17ROCPRIM_400000_NS6detail17trampoline_kernelINS0_14default_configENS1_25partition_config_selectorILNS1_17partition_subalgoE1EsNS0_10empty_typeEbEEZZNS1_14partition_implILS5_1ELb0ES3_jN6thrust23THRUST_200600_302600_NS6detail15normal_iteratorINSA_10device_ptrIsEEEEPS6_NSA_18transform_iteratorI7is_evenIsESF_NSA_11use_defaultESK_EENS0_5tupleIJNSA_16discard_iteratorISK_EESO_EEENSM_IJSG_SG_EEES6_PlJS6_EEE10hipError_tPvRmT3_T4_T5_T6_T7_T9_mT8_P12ihipStream_tbDpT10_ENKUlT_T0_E_clISt17integral_constantIbLb0EES1B_EEDaS16_S17_EUlS16_E_NS1_11comp_targetILNS1_3genE5ELNS1_11target_archE942ELNS1_3gpuE9ELNS1_3repE0EEENS1_30default_config_static_selectorELNS0_4arch9wavefront6targetE1EEEvT1_
	.globl	_ZN7rocprim17ROCPRIM_400000_NS6detail17trampoline_kernelINS0_14default_configENS1_25partition_config_selectorILNS1_17partition_subalgoE1EsNS0_10empty_typeEbEEZZNS1_14partition_implILS5_1ELb0ES3_jN6thrust23THRUST_200600_302600_NS6detail15normal_iteratorINSA_10device_ptrIsEEEEPS6_NSA_18transform_iteratorI7is_evenIsESF_NSA_11use_defaultESK_EENS0_5tupleIJNSA_16discard_iteratorISK_EESO_EEENSM_IJSG_SG_EEES6_PlJS6_EEE10hipError_tPvRmT3_T4_T5_T6_T7_T9_mT8_P12ihipStream_tbDpT10_ENKUlT_T0_E_clISt17integral_constantIbLb0EES1B_EEDaS16_S17_EUlS16_E_NS1_11comp_targetILNS1_3genE5ELNS1_11target_archE942ELNS1_3gpuE9ELNS1_3repE0EEENS1_30default_config_static_selectorELNS0_4arch9wavefront6targetE1EEEvT1_
	.p2align	8
	.type	_ZN7rocprim17ROCPRIM_400000_NS6detail17trampoline_kernelINS0_14default_configENS1_25partition_config_selectorILNS1_17partition_subalgoE1EsNS0_10empty_typeEbEEZZNS1_14partition_implILS5_1ELb0ES3_jN6thrust23THRUST_200600_302600_NS6detail15normal_iteratorINSA_10device_ptrIsEEEEPS6_NSA_18transform_iteratorI7is_evenIsESF_NSA_11use_defaultESK_EENS0_5tupleIJNSA_16discard_iteratorISK_EESO_EEENSM_IJSG_SG_EEES6_PlJS6_EEE10hipError_tPvRmT3_T4_T5_T6_T7_T9_mT8_P12ihipStream_tbDpT10_ENKUlT_T0_E_clISt17integral_constantIbLb0EES1B_EEDaS16_S17_EUlS16_E_NS1_11comp_targetILNS1_3genE5ELNS1_11target_archE942ELNS1_3gpuE9ELNS1_3repE0EEENS1_30default_config_static_selectorELNS0_4arch9wavefront6targetE1EEEvT1_,@function
_ZN7rocprim17ROCPRIM_400000_NS6detail17trampoline_kernelINS0_14default_configENS1_25partition_config_selectorILNS1_17partition_subalgoE1EsNS0_10empty_typeEbEEZZNS1_14partition_implILS5_1ELb0ES3_jN6thrust23THRUST_200600_302600_NS6detail15normal_iteratorINSA_10device_ptrIsEEEEPS6_NSA_18transform_iteratorI7is_evenIsESF_NSA_11use_defaultESK_EENS0_5tupleIJNSA_16discard_iteratorISK_EESO_EEENSM_IJSG_SG_EEES6_PlJS6_EEE10hipError_tPvRmT3_T4_T5_T6_T7_T9_mT8_P12ihipStream_tbDpT10_ENKUlT_T0_E_clISt17integral_constantIbLb0EES1B_EEDaS16_S17_EUlS16_E_NS1_11comp_targetILNS1_3genE5ELNS1_11target_archE942ELNS1_3gpuE9ELNS1_3repE0EEENS1_30default_config_static_selectorELNS0_4arch9wavefront6targetE1EEEvT1_: ; @_ZN7rocprim17ROCPRIM_400000_NS6detail17trampoline_kernelINS0_14default_configENS1_25partition_config_selectorILNS1_17partition_subalgoE1EsNS0_10empty_typeEbEEZZNS1_14partition_implILS5_1ELb0ES3_jN6thrust23THRUST_200600_302600_NS6detail15normal_iteratorINSA_10device_ptrIsEEEEPS6_NSA_18transform_iteratorI7is_evenIsESF_NSA_11use_defaultESK_EENS0_5tupleIJNSA_16discard_iteratorISK_EESO_EEENSM_IJSG_SG_EEES6_PlJS6_EEE10hipError_tPvRmT3_T4_T5_T6_T7_T9_mT8_P12ihipStream_tbDpT10_ENKUlT_T0_E_clISt17integral_constantIbLb0EES1B_EEDaS16_S17_EUlS16_E_NS1_11comp_targetILNS1_3genE5ELNS1_11target_archE942ELNS1_3gpuE9ELNS1_3repE0EEENS1_30default_config_static_selectorELNS0_4arch9wavefront6targetE1EEEvT1_
; %bb.0:
	.section	.rodata,"a",@progbits
	.p2align	6, 0x0
	.amdhsa_kernel _ZN7rocprim17ROCPRIM_400000_NS6detail17trampoline_kernelINS0_14default_configENS1_25partition_config_selectorILNS1_17partition_subalgoE1EsNS0_10empty_typeEbEEZZNS1_14partition_implILS5_1ELb0ES3_jN6thrust23THRUST_200600_302600_NS6detail15normal_iteratorINSA_10device_ptrIsEEEEPS6_NSA_18transform_iteratorI7is_evenIsESF_NSA_11use_defaultESK_EENS0_5tupleIJNSA_16discard_iteratorISK_EESO_EEENSM_IJSG_SG_EEES6_PlJS6_EEE10hipError_tPvRmT3_T4_T5_T6_T7_T9_mT8_P12ihipStream_tbDpT10_ENKUlT_T0_E_clISt17integral_constantIbLb0EES1B_EEDaS16_S17_EUlS16_E_NS1_11comp_targetILNS1_3genE5ELNS1_11target_archE942ELNS1_3gpuE9ELNS1_3repE0EEENS1_30default_config_static_selectorELNS0_4arch9wavefront6targetE1EEEvT1_
		.amdhsa_group_segment_fixed_size 0
		.amdhsa_private_segment_fixed_size 0
		.amdhsa_kernarg_size 144
		.amdhsa_user_sgpr_count 6
		.amdhsa_user_sgpr_private_segment_buffer 1
		.amdhsa_user_sgpr_dispatch_ptr 0
		.amdhsa_user_sgpr_queue_ptr 0
		.amdhsa_user_sgpr_kernarg_segment_ptr 1
		.amdhsa_user_sgpr_dispatch_id 0
		.amdhsa_user_sgpr_flat_scratch_init 0
		.amdhsa_user_sgpr_kernarg_preload_length 0
		.amdhsa_user_sgpr_kernarg_preload_offset 0
		.amdhsa_user_sgpr_private_segment_size 0
		.amdhsa_uses_dynamic_stack 0
		.amdhsa_system_sgpr_private_segment_wavefront_offset 0
		.amdhsa_system_sgpr_workgroup_id_x 1
		.amdhsa_system_sgpr_workgroup_id_y 0
		.amdhsa_system_sgpr_workgroup_id_z 0
		.amdhsa_system_sgpr_workgroup_info 0
		.amdhsa_system_vgpr_workitem_id 0
		.amdhsa_next_free_vgpr 1
		.amdhsa_next_free_sgpr 0
		.amdhsa_accum_offset 4
		.amdhsa_reserve_vcc 0
		.amdhsa_reserve_flat_scratch 0
		.amdhsa_float_round_mode_32 0
		.amdhsa_float_round_mode_16_64 0
		.amdhsa_float_denorm_mode_32 3
		.amdhsa_float_denorm_mode_16_64 3
		.amdhsa_dx10_clamp 1
		.amdhsa_ieee_mode 1
		.amdhsa_fp16_overflow 0
		.amdhsa_tg_split 0
		.amdhsa_exception_fp_ieee_invalid_op 0
		.amdhsa_exception_fp_denorm_src 0
		.amdhsa_exception_fp_ieee_div_zero 0
		.amdhsa_exception_fp_ieee_overflow 0
		.amdhsa_exception_fp_ieee_underflow 0
		.amdhsa_exception_fp_ieee_inexact 0
		.amdhsa_exception_int_div_zero 0
	.end_amdhsa_kernel
	.section	.text._ZN7rocprim17ROCPRIM_400000_NS6detail17trampoline_kernelINS0_14default_configENS1_25partition_config_selectorILNS1_17partition_subalgoE1EsNS0_10empty_typeEbEEZZNS1_14partition_implILS5_1ELb0ES3_jN6thrust23THRUST_200600_302600_NS6detail15normal_iteratorINSA_10device_ptrIsEEEEPS6_NSA_18transform_iteratorI7is_evenIsESF_NSA_11use_defaultESK_EENS0_5tupleIJNSA_16discard_iteratorISK_EESO_EEENSM_IJSG_SG_EEES6_PlJS6_EEE10hipError_tPvRmT3_T4_T5_T6_T7_T9_mT8_P12ihipStream_tbDpT10_ENKUlT_T0_E_clISt17integral_constantIbLb0EES1B_EEDaS16_S17_EUlS16_E_NS1_11comp_targetILNS1_3genE5ELNS1_11target_archE942ELNS1_3gpuE9ELNS1_3repE0EEENS1_30default_config_static_selectorELNS0_4arch9wavefront6targetE1EEEvT1_,"axG",@progbits,_ZN7rocprim17ROCPRIM_400000_NS6detail17trampoline_kernelINS0_14default_configENS1_25partition_config_selectorILNS1_17partition_subalgoE1EsNS0_10empty_typeEbEEZZNS1_14partition_implILS5_1ELb0ES3_jN6thrust23THRUST_200600_302600_NS6detail15normal_iteratorINSA_10device_ptrIsEEEEPS6_NSA_18transform_iteratorI7is_evenIsESF_NSA_11use_defaultESK_EENS0_5tupleIJNSA_16discard_iteratorISK_EESO_EEENSM_IJSG_SG_EEES6_PlJS6_EEE10hipError_tPvRmT3_T4_T5_T6_T7_T9_mT8_P12ihipStream_tbDpT10_ENKUlT_T0_E_clISt17integral_constantIbLb0EES1B_EEDaS16_S17_EUlS16_E_NS1_11comp_targetILNS1_3genE5ELNS1_11target_archE942ELNS1_3gpuE9ELNS1_3repE0EEENS1_30default_config_static_selectorELNS0_4arch9wavefront6targetE1EEEvT1_,comdat
.Lfunc_end3356:
	.size	_ZN7rocprim17ROCPRIM_400000_NS6detail17trampoline_kernelINS0_14default_configENS1_25partition_config_selectorILNS1_17partition_subalgoE1EsNS0_10empty_typeEbEEZZNS1_14partition_implILS5_1ELb0ES3_jN6thrust23THRUST_200600_302600_NS6detail15normal_iteratorINSA_10device_ptrIsEEEEPS6_NSA_18transform_iteratorI7is_evenIsESF_NSA_11use_defaultESK_EENS0_5tupleIJNSA_16discard_iteratorISK_EESO_EEENSM_IJSG_SG_EEES6_PlJS6_EEE10hipError_tPvRmT3_T4_T5_T6_T7_T9_mT8_P12ihipStream_tbDpT10_ENKUlT_T0_E_clISt17integral_constantIbLb0EES1B_EEDaS16_S17_EUlS16_E_NS1_11comp_targetILNS1_3genE5ELNS1_11target_archE942ELNS1_3gpuE9ELNS1_3repE0EEENS1_30default_config_static_selectorELNS0_4arch9wavefront6targetE1EEEvT1_, .Lfunc_end3356-_ZN7rocprim17ROCPRIM_400000_NS6detail17trampoline_kernelINS0_14default_configENS1_25partition_config_selectorILNS1_17partition_subalgoE1EsNS0_10empty_typeEbEEZZNS1_14partition_implILS5_1ELb0ES3_jN6thrust23THRUST_200600_302600_NS6detail15normal_iteratorINSA_10device_ptrIsEEEEPS6_NSA_18transform_iteratorI7is_evenIsESF_NSA_11use_defaultESK_EENS0_5tupleIJNSA_16discard_iteratorISK_EESO_EEENSM_IJSG_SG_EEES6_PlJS6_EEE10hipError_tPvRmT3_T4_T5_T6_T7_T9_mT8_P12ihipStream_tbDpT10_ENKUlT_T0_E_clISt17integral_constantIbLb0EES1B_EEDaS16_S17_EUlS16_E_NS1_11comp_targetILNS1_3genE5ELNS1_11target_archE942ELNS1_3gpuE9ELNS1_3repE0EEENS1_30default_config_static_selectorELNS0_4arch9wavefront6targetE1EEEvT1_
                                        ; -- End function
	.section	.AMDGPU.csdata,"",@progbits
; Kernel info:
; codeLenInByte = 0
; NumSgprs: 4
; NumVgprs: 0
; NumAgprs: 0
; TotalNumVgprs: 0
; ScratchSize: 0
; MemoryBound: 0
; FloatMode: 240
; IeeeMode: 1
; LDSByteSize: 0 bytes/workgroup (compile time only)
; SGPRBlocks: 0
; VGPRBlocks: 0
; NumSGPRsForWavesPerEU: 4
; NumVGPRsForWavesPerEU: 1
; AccumOffset: 4
; Occupancy: 8
; WaveLimiterHint : 0
; COMPUTE_PGM_RSRC2:SCRATCH_EN: 0
; COMPUTE_PGM_RSRC2:USER_SGPR: 6
; COMPUTE_PGM_RSRC2:TRAP_HANDLER: 0
; COMPUTE_PGM_RSRC2:TGID_X_EN: 1
; COMPUTE_PGM_RSRC2:TGID_Y_EN: 0
; COMPUTE_PGM_RSRC2:TGID_Z_EN: 0
; COMPUTE_PGM_RSRC2:TIDIG_COMP_CNT: 0
; COMPUTE_PGM_RSRC3_GFX90A:ACCUM_OFFSET: 0
; COMPUTE_PGM_RSRC3_GFX90A:TG_SPLIT: 0
	.section	.text._ZN7rocprim17ROCPRIM_400000_NS6detail17trampoline_kernelINS0_14default_configENS1_25partition_config_selectorILNS1_17partition_subalgoE1EsNS0_10empty_typeEbEEZZNS1_14partition_implILS5_1ELb0ES3_jN6thrust23THRUST_200600_302600_NS6detail15normal_iteratorINSA_10device_ptrIsEEEEPS6_NSA_18transform_iteratorI7is_evenIsESF_NSA_11use_defaultESK_EENS0_5tupleIJNSA_16discard_iteratorISK_EESO_EEENSM_IJSG_SG_EEES6_PlJS6_EEE10hipError_tPvRmT3_T4_T5_T6_T7_T9_mT8_P12ihipStream_tbDpT10_ENKUlT_T0_E_clISt17integral_constantIbLb0EES1B_EEDaS16_S17_EUlS16_E_NS1_11comp_targetILNS1_3genE4ELNS1_11target_archE910ELNS1_3gpuE8ELNS1_3repE0EEENS1_30default_config_static_selectorELNS0_4arch9wavefront6targetE1EEEvT1_,"axG",@progbits,_ZN7rocprim17ROCPRIM_400000_NS6detail17trampoline_kernelINS0_14default_configENS1_25partition_config_selectorILNS1_17partition_subalgoE1EsNS0_10empty_typeEbEEZZNS1_14partition_implILS5_1ELb0ES3_jN6thrust23THRUST_200600_302600_NS6detail15normal_iteratorINSA_10device_ptrIsEEEEPS6_NSA_18transform_iteratorI7is_evenIsESF_NSA_11use_defaultESK_EENS0_5tupleIJNSA_16discard_iteratorISK_EESO_EEENSM_IJSG_SG_EEES6_PlJS6_EEE10hipError_tPvRmT3_T4_T5_T6_T7_T9_mT8_P12ihipStream_tbDpT10_ENKUlT_T0_E_clISt17integral_constantIbLb0EES1B_EEDaS16_S17_EUlS16_E_NS1_11comp_targetILNS1_3genE4ELNS1_11target_archE910ELNS1_3gpuE8ELNS1_3repE0EEENS1_30default_config_static_selectorELNS0_4arch9wavefront6targetE1EEEvT1_,comdat
	.protected	_ZN7rocprim17ROCPRIM_400000_NS6detail17trampoline_kernelINS0_14default_configENS1_25partition_config_selectorILNS1_17partition_subalgoE1EsNS0_10empty_typeEbEEZZNS1_14partition_implILS5_1ELb0ES3_jN6thrust23THRUST_200600_302600_NS6detail15normal_iteratorINSA_10device_ptrIsEEEEPS6_NSA_18transform_iteratorI7is_evenIsESF_NSA_11use_defaultESK_EENS0_5tupleIJNSA_16discard_iteratorISK_EESO_EEENSM_IJSG_SG_EEES6_PlJS6_EEE10hipError_tPvRmT3_T4_T5_T6_T7_T9_mT8_P12ihipStream_tbDpT10_ENKUlT_T0_E_clISt17integral_constantIbLb0EES1B_EEDaS16_S17_EUlS16_E_NS1_11comp_targetILNS1_3genE4ELNS1_11target_archE910ELNS1_3gpuE8ELNS1_3repE0EEENS1_30default_config_static_selectorELNS0_4arch9wavefront6targetE1EEEvT1_ ; -- Begin function _ZN7rocprim17ROCPRIM_400000_NS6detail17trampoline_kernelINS0_14default_configENS1_25partition_config_selectorILNS1_17partition_subalgoE1EsNS0_10empty_typeEbEEZZNS1_14partition_implILS5_1ELb0ES3_jN6thrust23THRUST_200600_302600_NS6detail15normal_iteratorINSA_10device_ptrIsEEEEPS6_NSA_18transform_iteratorI7is_evenIsESF_NSA_11use_defaultESK_EENS0_5tupleIJNSA_16discard_iteratorISK_EESO_EEENSM_IJSG_SG_EEES6_PlJS6_EEE10hipError_tPvRmT3_T4_T5_T6_T7_T9_mT8_P12ihipStream_tbDpT10_ENKUlT_T0_E_clISt17integral_constantIbLb0EES1B_EEDaS16_S17_EUlS16_E_NS1_11comp_targetILNS1_3genE4ELNS1_11target_archE910ELNS1_3gpuE8ELNS1_3repE0EEENS1_30default_config_static_selectorELNS0_4arch9wavefront6targetE1EEEvT1_
	.globl	_ZN7rocprim17ROCPRIM_400000_NS6detail17trampoline_kernelINS0_14default_configENS1_25partition_config_selectorILNS1_17partition_subalgoE1EsNS0_10empty_typeEbEEZZNS1_14partition_implILS5_1ELb0ES3_jN6thrust23THRUST_200600_302600_NS6detail15normal_iteratorINSA_10device_ptrIsEEEEPS6_NSA_18transform_iteratorI7is_evenIsESF_NSA_11use_defaultESK_EENS0_5tupleIJNSA_16discard_iteratorISK_EESO_EEENSM_IJSG_SG_EEES6_PlJS6_EEE10hipError_tPvRmT3_T4_T5_T6_T7_T9_mT8_P12ihipStream_tbDpT10_ENKUlT_T0_E_clISt17integral_constantIbLb0EES1B_EEDaS16_S17_EUlS16_E_NS1_11comp_targetILNS1_3genE4ELNS1_11target_archE910ELNS1_3gpuE8ELNS1_3repE0EEENS1_30default_config_static_selectorELNS0_4arch9wavefront6targetE1EEEvT1_
	.p2align	8
	.type	_ZN7rocprim17ROCPRIM_400000_NS6detail17trampoline_kernelINS0_14default_configENS1_25partition_config_selectorILNS1_17partition_subalgoE1EsNS0_10empty_typeEbEEZZNS1_14partition_implILS5_1ELb0ES3_jN6thrust23THRUST_200600_302600_NS6detail15normal_iteratorINSA_10device_ptrIsEEEEPS6_NSA_18transform_iteratorI7is_evenIsESF_NSA_11use_defaultESK_EENS0_5tupleIJNSA_16discard_iteratorISK_EESO_EEENSM_IJSG_SG_EEES6_PlJS6_EEE10hipError_tPvRmT3_T4_T5_T6_T7_T9_mT8_P12ihipStream_tbDpT10_ENKUlT_T0_E_clISt17integral_constantIbLb0EES1B_EEDaS16_S17_EUlS16_E_NS1_11comp_targetILNS1_3genE4ELNS1_11target_archE910ELNS1_3gpuE8ELNS1_3repE0EEENS1_30default_config_static_selectorELNS0_4arch9wavefront6targetE1EEEvT1_,@function
_ZN7rocprim17ROCPRIM_400000_NS6detail17trampoline_kernelINS0_14default_configENS1_25partition_config_selectorILNS1_17partition_subalgoE1EsNS0_10empty_typeEbEEZZNS1_14partition_implILS5_1ELb0ES3_jN6thrust23THRUST_200600_302600_NS6detail15normal_iteratorINSA_10device_ptrIsEEEEPS6_NSA_18transform_iteratorI7is_evenIsESF_NSA_11use_defaultESK_EENS0_5tupleIJNSA_16discard_iteratorISK_EESO_EEENSM_IJSG_SG_EEES6_PlJS6_EEE10hipError_tPvRmT3_T4_T5_T6_T7_T9_mT8_P12ihipStream_tbDpT10_ENKUlT_T0_E_clISt17integral_constantIbLb0EES1B_EEDaS16_S17_EUlS16_E_NS1_11comp_targetILNS1_3genE4ELNS1_11target_archE910ELNS1_3gpuE8ELNS1_3repE0EEENS1_30default_config_static_selectorELNS0_4arch9wavefront6targetE1EEEvT1_: ; @_ZN7rocprim17ROCPRIM_400000_NS6detail17trampoline_kernelINS0_14default_configENS1_25partition_config_selectorILNS1_17partition_subalgoE1EsNS0_10empty_typeEbEEZZNS1_14partition_implILS5_1ELb0ES3_jN6thrust23THRUST_200600_302600_NS6detail15normal_iteratorINSA_10device_ptrIsEEEEPS6_NSA_18transform_iteratorI7is_evenIsESF_NSA_11use_defaultESK_EENS0_5tupleIJNSA_16discard_iteratorISK_EESO_EEENSM_IJSG_SG_EEES6_PlJS6_EEE10hipError_tPvRmT3_T4_T5_T6_T7_T9_mT8_P12ihipStream_tbDpT10_ENKUlT_T0_E_clISt17integral_constantIbLb0EES1B_EEDaS16_S17_EUlS16_E_NS1_11comp_targetILNS1_3genE4ELNS1_11target_archE910ELNS1_3gpuE8ELNS1_3repE0EEENS1_30default_config_static_selectorELNS0_4arch9wavefront6targetE1EEEvT1_
; %bb.0:
	s_load_dwordx2 s[0:1], s[4:5], 0x70
	s_load_dwordx4 s[12:15], s[4:5], 0x8
	s_load_dwordx2 s[2:3], s[4:5], 0x20
	s_load_dwordx4 s[20:23], s[4:5], 0x60
	v_lshlrev_b32_e32 v12, 1, v0
	s_waitcnt lgkmcnt(0)
	v_mov_b32_e32 v3, s1
	s_load_dword s1, s[4:5], 0x88
	s_lshl_b64 s[8:9], s[14:15], 1
	s_add_u32 s16, s12, s8
	s_addc_u32 s17, s13, s9
	v_mov_b32_e32 v2, s0
	s_waitcnt lgkmcnt(0)
	s_add_i32 s10, s1, -1
	s_mulk_i32 s1, 0x1400
	s_add_i32 s7, s1, s14
	s_sub_i32 s7, s0, s7
	s_addk_i32 s7, 0x1400
	s_add_u32 s0, s14, s1
	s_addc_u32 s1, s15, 0
	s_cmp_eq_u32 s6, s10
	s_load_dwordx2 s[18:19], s[22:23], 0x0
	s_cselect_b64 s[22:23], -1, 0
	s_cmp_lg_u32 s6, s10
	s_mul_i32 s12, s6, 0x1400
	s_mov_b32 s13, 0
	v_cmp_lt_u64_e32 vcc, s[0:1], v[2:3]
	s_cselect_b64 s[0:1], -1, 0
	s_or_b64 s[10:11], s[0:1], vcc
	s_lshl_b64 s[12:13], s[12:13], 1
	s_add_u32 s16, s16, s12
	s_addc_u32 s17, s17, s13
	s_mov_b64 s[0:1], -1
	s_and_b64 vcc, exec, s[10:11]
	s_cbranch_vccz .LBB3357_2
; %bb.1:
	v_mov_b32_e32 v1, s17
	v_add_co_u32_e32 v2, vcc, s16, v12
	v_addc_co_u32_e32 v3, vcc, 0, v1, vcc
	v_add_co_u32_e32 v4, vcc, 0x1000, v2
	v_addc_co_u32_e32 v5, vcc, 0, v3, vcc
	flat_load_ushort v1, v[2:3]
	flat_load_ushort v6, v[2:3] offset:512
	flat_load_ushort v7, v[2:3] offset:1024
	;; [unrolled: 1-line block ×7, first 2 shown]
	v_add_co_u32_e32 v2, vcc, 0x2000, v2
	v_addc_co_u32_e32 v3, vcc, 0, v3, vcc
	flat_load_ushort v14, v[4:5]
	flat_load_ushort v15, v[4:5] offset:512
	flat_load_ushort v16, v[4:5] offset:1024
	;; [unrolled: 1-line block ×7, first 2 shown]
	s_nop 0
	flat_load_ushort v4, v[2:3]
	flat_load_ushort v5, v[2:3] offset:512
	flat_load_ushort v22, v[2:3] offset:1024
	;; [unrolled: 1-line block ×3, first 2 shown]
	s_mov_b64 s[0:1], 0
	s_waitcnt vmcnt(0) lgkmcnt(0)
	ds_write_b16 v12, v1
	ds_write_b16 v12, v6 offset:512
	ds_write_b16 v12, v7 offset:1024
	;; [unrolled: 1-line block ×19, first 2 shown]
	s_waitcnt lgkmcnt(0)
	s_barrier
.LBB3357_2:
	s_andn2_b64 vcc, exec, s[0:1]
	v_cmp_gt_u32_e64 s[0:1], s7, v0
	s_cbranch_vccnz .LBB3357_44
; %bb.3:
                                        ; implicit-def: $vgpr1
	s_and_saveexec_b64 s[14:15], s[0:1]
	s_cbranch_execz .LBB3357_5
; %bb.4:
	v_mov_b32_e32 v1, s17
	v_add_co_u32_e32 v2, vcc, s16, v12
	v_addc_co_u32_e32 v3, vcc, 0, v1, vcc
	flat_load_ushort v1, v[2:3]
.LBB3357_5:
	s_or_b64 exec, exec, s[14:15]
	v_or_b32_e32 v2, 0x100, v0
	v_cmp_gt_u32_e32 vcc, s7, v2
                                        ; implicit-def: $vgpr2
	s_and_saveexec_b64 s[0:1], vcc
	s_cbranch_execz .LBB3357_7
; %bb.6:
	v_mov_b32_e32 v3, s17
	v_add_co_u32_e32 v2, vcc, s16, v12
	v_addc_co_u32_e32 v3, vcc, 0, v3, vcc
	flat_load_ushort v2, v[2:3] offset:512
.LBB3357_7:
	s_or_b64 exec, exec, s[0:1]
	v_or_b32_e32 v3, 0x200, v0
	v_cmp_gt_u32_e32 vcc, s7, v3
                                        ; implicit-def: $vgpr3
	s_and_saveexec_b64 s[0:1], vcc
	s_cbranch_execz .LBB3357_9
; %bb.8:
	v_mov_b32_e32 v3, s17
	v_add_co_u32_e32 v4, vcc, s16, v12
	v_addc_co_u32_e32 v5, vcc, 0, v3, vcc
	flat_load_ushort v3, v[4:5] offset:1024
.LBB3357_9:
	s_or_b64 exec, exec, s[0:1]
	v_or_b32_e32 v4, 0x300, v0
	v_cmp_gt_u32_e32 vcc, s7, v4
                                        ; implicit-def: $vgpr4
	s_and_saveexec_b64 s[0:1], vcc
	s_cbranch_execz .LBB3357_11
; %bb.10:
	v_mov_b32_e32 v5, s17
	v_add_co_u32_e32 v4, vcc, s16, v12
	v_addc_co_u32_e32 v5, vcc, 0, v5, vcc
	flat_load_ushort v4, v[4:5] offset:1536
.LBB3357_11:
	s_or_b64 exec, exec, s[0:1]
	v_or_b32_e32 v5, 0x400, v0
	v_cmp_gt_u32_e32 vcc, s7, v5
                                        ; implicit-def: $vgpr5
	s_and_saveexec_b64 s[0:1], vcc
	s_cbranch_execz .LBB3357_13
; %bb.12:
	v_mov_b32_e32 v5, s17
	v_add_co_u32_e32 v6, vcc, s16, v12
	v_addc_co_u32_e32 v7, vcc, 0, v5, vcc
	flat_load_ushort v5, v[6:7] offset:2048
.LBB3357_13:
	s_or_b64 exec, exec, s[0:1]
	v_or_b32_e32 v6, 0x500, v0
	v_cmp_gt_u32_e32 vcc, s7, v6
                                        ; implicit-def: $vgpr6
	s_and_saveexec_b64 s[0:1], vcc
	s_cbranch_execz .LBB3357_15
; %bb.14:
	v_mov_b32_e32 v7, s17
	v_add_co_u32_e32 v6, vcc, s16, v12
	v_addc_co_u32_e32 v7, vcc, 0, v7, vcc
	flat_load_ushort v6, v[6:7] offset:2560
.LBB3357_15:
	s_or_b64 exec, exec, s[0:1]
	v_or_b32_e32 v7, 0x600, v0
	v_cmp_gt_u32_e32 vcc, s7, v7
                                        ; implicit-def: $vgpr7
	s_and_saveexec_b64 s[0:1], vcc
	s_cbranch_execz .LBB3357_17
; %bb.16:
	v_mov_b32_e32 v7, s17
	v_add_co_u32_e32 v8, vcc, s16, v12
	v_addc_co_u32_e32 v9, vcc, 0, v7, vcc
	flat_load_ushort v7, v[8:9] offset:3072
.LBB3357_17:
	s_or_b64 exec, exec, s[0:1]
	v_or_b32_e32 v8, 0x700, v0
	v_cmp_gt_u32_e32 vcc, s7, v8
                                        ; implicit-def: $vgpr8
	s_and_saveexec_b64 s[0:1], vcc
	s_cbranch_execz .LBB3357_19
; %bb.18:
	v_mov_b32_e32 v9, s17
	v_add_co_u32_e32 v8, vcc, s16, v12
	v_addc_co_u32_e32 v9, vcc, 0, v9, vcc
	flat_load_ushort v8, v[8:9] offset:3584
.LBB3357_19:
	s_or_b64 exec, exec, s[0:1]
	v_or_b32_e32 v10, 0x800, v0
	v_cmp_gt_u32_e32 vcc, s7, v10
                                        ; implicit-def: $vgpr9
	s_and_saveexec_b64 s[0:1], vcc
	s_cbranch_execz .LBB3357_21
; %bb.20:
	v_lshlrev_b32_e32 v9, 1, v10
	v_mov_b32_e32 v11, s17
	v_add_co_u32_e32 v10, vcc, s16, v9
	v_addc_co_u32_e32 v11, vcc, 0, v11, vcc
	flat_load_ushort v9, v[10:11]
.LBB3357_21:
	s_or_b64 exec, exec, s[0:1]
	v_or_b32_e32 v11, 0x900, v0
	v_cmp_gt_u32_e32 vcc, s7, v11
                                        ; implicit-def: $vgpr10
	s_and_saveexec_b64 s[0:1], vcc
	s_cbranch_execz .LBB3357_23
; %bb.22:
	v_lshlrev_b32_e32 v10, 1, v11
	v_mov_b32_e32 v11, s17
	v_add_co_u32_e32 v10, vcc, s16, v10
	v_addc_co_u32_e32 v11, vcc, 0, v11, vcc
	flat_load_ushort v10, v[10:11]
.LBB3357_23:
	s_or_b64 exec, exec, s[0:1]
	v_or_b32_e32 v13, 0xa00, v0
	v_cmp_gt_u32_e32 vcc, s7, v13
                                        ; implicit-def: $vgpr11
	s_and_saveexec_b64 s[0:1], vcc
	s_cbranch_execz .LBB3357_25
; %bb.24:
	v_lshlrev_b32_e32 v11, 1, v13
	v_mov_b32_e32 v13, s17
	v_add_co_u32_e32 v14, vcc, s16, v11
	v_addc_co_u32_e32 v15, vcc, 0, v13, vcc
	flat_load_ushort v11, v[14:15]
.LBB3357_25:
	s_or_b64 exec, exec, s[0:1]
	v_or_b32_e32 v14, 0xb00, v0
	v_cmp_gt_u32_e32 vcc, s7, v14
                                        ; implicit-def: $vgpr13
	s_and_saveexec_b64 s[0:1], vcc
	s_cbranch_execz .LBB3357_27
; %bb.26:
	v_lshlrev_b32_e32 v13, 1, v14
	v_mov_b32_e32 v15, s17
	v_add_co_u32_e32 v14, vcc, s16, v13
	v_addc_co_u32_e32 v15, vcc, 0, v15, vcc
	flat_load_ushort v13, v[14:15]
.LBB3357_27:
	s_or_b64 exec, exec, s[0:1]
	v_or_b32_e32 v15, 0xc00, v0
	v_cmp_gt_u32_e32 vcc, s7, v15
                                        ; implicit-def: $vgpr14
	s_and_saveexec_b64 s[0:1], vcc
	s_cbranch_execz .LBB3357_29
; %bb.28:
	v_lshlrev_b32_e32 v14, 1, v15
	v_mov_b32_e32 v15, s17
	v_add_co_u32_e32 v14, vcc, s16, v14
	v_addc_co_u32_e32 v15, vcc, 0, v15, vcc
	flat_load_ushort v14, v[14:15]
.LBB3357_29:
	s_or_b64 exec, exec, s[0:1]
	v_or_b32_e32 v16, 0xd00, v0
	v_cmp_gt_u32_e32 vcc, s7, v16
                                        ; implicit-def: $vgpr15
	s_and_saveexec_b64 s[0:1], vcc
	s_cbranch_execz .LBB3357_31
; %bb.30:
	v_lshlrev_b32_e32 v15, 1, v16
	v_mov_b32_e32 v17, s17
	v_add_co_u32_e32 v16, vcc, s16, v15
	v_addc_co_u32_e32 v17, vcc, 0, v17, vcc
	flat_load_ushort v15, v[16:17]
.LBB3357_31:
	s_or_b64 exec, exec, s[0:1]
	v_or_b32_e32 v17, 0xe00, v0
	v_cmp_gt_u32_e32 vcc, s7, v17
                                        ; implicit-def: $vgpr16
	s_and_saveexec_b64 s[0:1], vcc
	s_cbranch_execz .LBB3357_33
; %bb.32:
	v_lshlrev_b32_e32 v16, 1, v17
	v_mov_b32_e32 v17, s17
	v_add_co_u32_e32 v16, vcc, s16, v16
	v_addc_co_u32_e32 v17, vcc, 0, v17, vcc
	flat_load_ushort v16, v[16:17]
.LBB3357_33:
	s_or_b64 exec, exec, s[0:1]
	v_or_b32_e32 v18, 0xf00, v0
	v_cmp_gt_u32_e32 vcc, s7, v18
                                        ; implicit-def: $vgpr17
	s_and_saveexec_b64 s[0:1], vcc
	s_cbranch_execz .LBB3357_35
; %bb.34:
	v_lshlrev_b32_e32 v17, 1, v18
	v_mov_b32_e32 v19, s17
	v_add_co_u32_e32 v18, vcc, s16, v17
	v_addc_co_u32_e32 v19, vcc, 0, v19, vcc
	flat_load_ushort v17, v[18:19]
.LBB3357_35:
	s_or_b64 exec, exec, s[0:1]
	v_or_b32_e32 v19, 0x1000, v0
	v_cmp_gt_u32_e32 vcc, s7, v19
                                        ; implicit-def: $vgpr18
	s_and_saveexec_b64 s[0:1], vcc
	s_cbranch_execz .LBB3357_37
; %bb.36:
	v_lshlrev_b32_e32 v18, 1, v19
	v_mov_b32_e32 v19, s17
	v_add_co_u32_e32 v18, vcc, s16, v18
	v_addc_co_u32_e32 v19, vcc, 0, v19, vcc
	flat_load_ushort v18, v[18:19]
.LBB3357_37:
	s_or_b64 exec, exec, s[0:1]
	v_or_b32_e32 v20, 0x1100, v0
	v_cmp_gt_u32_e32 vcc, s7, v20
                                        ; implicit-def: $vgpr19
	s_and_saveexec_b64 s[0:1], vcc
	s_cbranch_execz .LBB3357_39
; %bb.38:
	v_lshlrev_b32_e32 v19, 1, v20
	v_mov_b32_e32 v21, s17
	v_add_co_u32_e32 v20, vcc, s16, v19
	v_addc_co_u32_e32 v21, vcc, 0, v21, vcc
	flat_load_ushort v19, v[20:21]
.LBB3357_39:
	s_or_b64 exec, exec, s[0:1]
	v_or_b32_e32 v21, 0x1200, v0
	v_cmp_gt_u32_e32 vcc, s7, v21
                                        ; implicit-def: $vgpr20
	s_and_saveexec_b64 s[0:1], vcc
	s_cbranch_execz .LBB3357_41
; %bb.40:
	v_lshlrev_b32_e32 v20, 1, v21
	v_mov_b32_e32 v21, s17
	v_add_co_u32_e32 v20, vcc, s16, v20
	v_addc_co_u32_e32 v21, vcc, 0, v21, vcc
	flat_load_ushort v20, v[20:21]
.LBB3357_41:
	s_or_b64 exec, exec, s[0:1]
	v_or_b32_e32 v22, 0x1300, v0
	v_cmp_gt_u32_e32 vcc, s7, v22
                                        ; implicit-def: $vgpr21
	s_and_saveexec_b64 s[0:1], vcc
	s_cbranch_execz .LBB3357_43
; %bb.42:
	v_lshlrev_b32_e32 v21, 1, v22
	v_mov_b32_e32 v23, s17
	v_add_co_u32_e32 v22, vcc, s16, v21
	v_addc_co_u32_e32 v23, vcc, 0, v23, vcc
	flat_load_ushort v21, v[22:23]
.LBB3357_43:
	s_or_b64 exec, exec, s[0:1]
	s_waitcnt vmcnt(0) lgkmcnt(0)
	ds_write_b16 v12, v1
	ds_write_b16 v12, v2 offset:512
	ds_write_b16 v12, v3 offset:1024
	;; [unrolled: 1-line block ×19, first 2 shown]
	s_waitcnt lgkmcnt(0)
	s_barrier
.LBB3357_44:
	v_mul_u32_u24_e32 v1, 20, v0
	v_lshlrev_b32_e32 v6, 1, v1
	s_waitcnt lgkmcnt(0)
	ds_read_b64 v[10:11], v6 offset:32
	ds_read2_b64 v[2:5], v6 offset0:2 offset1:3
	ds_read2_b64 v[6:9], v6 offset1:1
	s_add_u32 s0, s2, s8
	s_addc_u32 s1, s3, s9
	s_add_u32 s0, s0, s12
	s_addc_u32 s1, s1, s13
	s_mov_b64 s[2:3], -1
	s_and_b64 vcc, exec, s[10:11]
	s_waitcnt lgkmcnt(0)
	s_barrier
	s_cbranch_vccz .LBB3357_46
; %bb.45:
	v_mov_b32_e32 v14, s1
	v_add_co_u32_e32 v16, vcc, s0, v12
	s_movk_i32 s2, 0x1000
	v_addc_co_u32_e32 v17, vcc, 0, v14, vcc
	v_add_co_u32_e32 v14, vcc, s2, v16
	s_movk_i32 s3, 0x2000
	v_addc_co_u32_e32 v15, vcc, 0, v17, vcc
	global_load_ubyte v13, v12, s[0:1]
	global_load_ubyte v18, v12, s[0:1] offset:512
	global_load_ubyte v19, v12, s[0:1] offset:1024
	;; [unrolled: 1-line block ×7, first 2 shown]
	v_add_co_u32_e32 v16, vcc, s3, v16
	v_addc_co_u32_e32 v17, vcc, 0, v17, vcc
	global_load_ubyte v25, v[16:17], off offset:-4096
	global_load_ubyte v26, v[14:15], off offset:512
	global_load_ubyte v27, v[14:15], off offset:1024
	;; [unrolled: 1-line block ×7, first 2 shown]
	global_load_ubyte v33, v[16:17], off
	global_load_ubyte v34, v[16:17], off offset:512
	global_load_ubyte v35, v[16:17], off offset:1024
	;; [unrolled: 1-line block ×3, first 2 shown]
	s_mov_b64 s[2:3], 0
	s_waitcnt vmcnt(19)
	v_xor_b32_e32 v13, -1, v13
	s_waitcnt vmcnt(18)
	v_xor_b32_e32 v14, -1, v18
	;; [unrolled: 2-line block ×8, first 2 shown]
	v_and_b32_e32 v13, 1, v13
	v_and_b32_e32 v14, 1, v14
	;; [unrolled: 1-line block ×8, first 2 shown]
	ds_write_b8 v0, v13
	ds_write_b8 v0, v14 offset:256
	ds_write_b8 v0, v15 offset:512
	;; [unrolled: 1-line block ×7, first 2 shown]
	s_waitcnt vmcnt(11)
	v_xor_b32_e32 v13, -1, v25
	s_waitcnt vmcnt(10)
	v_xor_b32_e32 v14, -1, v26
	;; [unrolled: 2-line block ×12, first 2 shown]
	v_and_b32_e32 v13, 1, v13
	v_and_b32_e32 v14, 1, v14
	;; [unrolled: 1-line block ×12, first 2 shown]
	ds_write_b8 v0, v13 offset:2048
	ds_write_b8 v0, v14 offset:2304
	;; [unrolled: 1-line block ×12, first 2 shown]
	s_waitcnt lgkmcnt(0)
	s_barrier
.LBB3357_46:
	s_load_dwordx2 s[24:25], s[4:5], 0x80
	s_andn2_b64 vcc, exec, s[2:3]
	s_cbranch_vccnz .LBB3357_88
; %bb.47:
	v_cmp_gt_u32_e32 vcc, s7, v0
	v_mov_b32_e32 v13, 0
	v_mov_b32_e32 v14, 0
	s_and_saveexec_b64 s[2:3], vcc
	s_cbranch_execz .LBB3357_49
; %bb.48:
	global_load_ubyte v14, v12, s[0:1]
	s_waitcnt vmcnt(0)
	v_xor_b32_e32 v14, -1, v14
	v_and_b32_e32 v14, 1, v14
.LBB3357_49:
	s_or_b64 exec, exec, s[2:3]
	v_or_b32_e32 v15, 0x100, v0
	v_cmp_gt_u32_e32 vcc, s7, v15
	s_and_saveexec_b64 s[2:3], vcc
	s_cbranch_execz .LBB3357_51
; %bb.50:
	global_load_ubyte v13, v12, s[0:1] offset:512
	s_waitcnt vmcnt(0)
	v_xor_b32_e32 v13, -1, v13
	v_and_b32_e32 v13, 1, v13
.LBB3357_51:
	s_or_b64 exec, exec, s[2:3]
	v_or_b32_e32 v15, 0x200, v0
	v_cmp_gt_u32_e32 vcc, s7, v15
	v_mov_b32_e32 v15, 0
	v_mov_b32_e32 v16, 0
	s_and_saveexec_b64 s[2:3], vcc
	s_cbranch_execz .LBB3357_53
; %bb.52:
	global_load_ubyte v16, v12, s[0:1] offset:1024
	s_waitcnt vmcnt(0)
	v_xor_b32_e32 v16, -1, v16
	v_and_b32_e32 v16, 1, v16
.LBB3357_53:
	s_or_b64 exec, exec, s[2:3]
	v_or_b32_e32 v17, 0x300, v0
	v_cmp_gt_u32_e32 vcc, s7, v17
	s_and_saveexec_b64 s[2:3], vcc
	s_cbranch_execz .LBB3357_55
; %bb.54:
	global_load_ubyte v15, v12, s[0:1] offset:1536
	s_waitcnt vmcnt(0)
	v_xor_b32_e32 v15, -1, v15
	v_and_b32_e32 v15, 1, v15
.LBB3357_55:
	s_or_b64 exec, exec, s[2:3]
	v_or_b32_e32 v17, 0x400, v0
	v_cmp_gt_u32_e32 vcc, s7, v17
	v_mov_b32_e32 v17, 0
	v_mov_b32_e32 v18, 0
	s_and_saveexec_b64 s[2:3], vcc
	s_cbranch_execz .LBB3357_57
; %bb.56:
	global_load_ubyte v18, v12, s[0:1] offset:2048
	s_waitcnt vmcnt(0)
	v_xor_b32_e32 v18, -1, v18
	v_and_b32_e32 v18, 1, v18
.LBB3357_57:
	;; [unrolled: 24-line block ×3, first 2 shown]
	s_or_b64 exec, exec, s[2:3]
	v_or_b32_e32 v21, 0x700, v0
	v_cmp_gt_u32_e32 vcc, s7, v21
	s_and_saveexec_b64 s[2:3], vcc
	s_cbranch_execz .LBB3357_63
; %bb.62:
	global_load_ubyte v12, v12, s[0:1] offset:3584
	s_waitcnt vmcnt(0)
	v_xor_b32_e32 v12, -1, v12
	v_and_b32_e32 v19, 1, v12
.LBB3357_63:
	s_or_b64 exec, exec, s[2:3]
	v_or_b32_e32 v22, 0x800, v0
	v_cmp_gt_u32_e32 vcc, s7, v22
	v_mov_b32_e32 v12, 0
	v_mov_b32_e32 v21, 0
	s_and_saveexec_b64 s[2:3], vcc
	s_cbranch_execz .LBB3357_65
; %bb.64:
	v_lshlrev_b32_e32 v21, 1, v22
	global_load_ubyte v21, v21, s[0:1]
	s_waitcnt vmcnt(0)
	v_xor_b32_e32 v21, -1, v21
	v_and_b32_e32 v21, 1, v21
.LBB3357_65:
	s_or_b64 exec, exec, s[2:3]
	v_or_b32_e32 v22, 0x900, v0
	v_cmp_gt_u32_e32 vcc, s7, v22
	s_and_saveexec_b64 s[2:3], vcc
	s_cbranch_execz .LBB3357_67
; %bb.66:
	v_lshlrev_b32_e32 v12, 1, v22
	global_load_ubyte v12, v12, s[0:1]
	s_waitcnt vmcnt(0)
	v_xor_b32_e32 v12, -1, v12
	v_and_b32_e32 v12, 1, v12
.LBB3357_67:
	s_or_b64 exec, exec, s[2:3]
	v_or_b32_e32 v24, 0xa00, v0
	v_cmp_gt_u32_e32 vcc, s7, v24
	v_mov_b32_e32 v22, 0
	v_mov_b32_e32 v23, 0
	s_and_saveexec_b64 s[2:3], vcc
	s_cbranch_execz .LBB3357_69
; %bb.68:
	v_lshlrev_b32_e32 v23, 1, v24
	global_load_ubyte v23, v23, s[0:1]
	s_waitcnt vmcnt(0)
	v_xor_b32_e32 v23, -1, v23
	v_and_b32_e32 v23, 1, v23
.LBB3357_69:
	s_or_b64 exec, exec, s[2:3]
	v_or_b32_e32 v24, 0xb00, v0
	v_cmp_gt_u32_e32 vcc, s7, v24
	s_and_saveexec_b64 s[2:3], vcc
	s_cbranch_execz .LBB3357_71
; %bb.70:
	v_lshlrev_b32_e32 v22, 1, v24
	global_load_ubyte v22, v22, s[0:1]
	s_waitcnt vmcnt(0)
	v_xor_b32_e32 v22, -1, v22
	v_and_b32_e32 v22, 1, v22
.LBB3357_71:
	;; [unrolled: 26-line block ×6, first 2 shown]
	s_or_b64 exec, exec, s[2:3]
	ds_write_b8 v0, v14
	ds_write_b8 v0, v13 offset:256
	ds_write_b8 v0, v16 offset:512
	;; [unrolled: 1-line block ×19, first 2 shown]
	s_waitcnt lgkmcnt(0)
	s_barrier
.LBB3357_88:
	s_waitcnt lgkmcnt(0)
	ds_read2_b32 v[14:15], v1 offset1:1
	ds_read2_b32 v[12:13], v1 offset0:2 offset1:3
	ds_read_b32 v27, v1 offset:16
	s_cmp_lg_u32 s6, 0
	v_lshrrev_b32_e32 v46, 6, v0
	s_waitcnt lgkmcnt(2)
	v_lshrrev_b32_e32 v32, 24, v14
	v_bfe_u32 v44, v14, 16, 8
	v_add_u32_sdwa v16, v14, v14 dst_sel:DWORD dst_unused:UNUSED_PAD src0_sel:BYTE_1 src1_sel:BYTE_0
	v_and_b32_e32 v41, 0xff, v15
	v_bfe_u32 v42, v15, 8, 8
	v_add3_u32 v16, v16, v44, v32
	v_lshrrev_b32_e32 v31, 24, v15
	v_bfe_u32 v43, v15, 16, 8
	v_add3_u32 v16, v16, v41, v42
	s_waitcnt lgkmcnt(1)
	v_and_b32_e32 v38, 0xff, v12
	v_bfe_u32 v39, v12, 8, 8
	v_add3_u32 v16, v16, v43, v31
	v_lshrrev_b32_e32 v30, 24, v12
	v_bfe_u32 v40, v12, 16, 8
	v_add3_u32 v16, v16, v38, v39
	v_and_b32_e32 v35, 0xff, v13
	v_bfe_u32 v36, v13, 8, 8
	v_add3_u32 v16, v16, v40, v30
	v_lshrrev_b32_e32 v29, 24, v13
	v_bfe_u32 v37, v13, 16, 8
	v_add3_u32 v16, v16, v35, v36
	s_waitcnt lgkmcnt(0)
	v_and_b32_e32 v33, 0xff, v27
	v_bfe_u32 v34, v27, 8, 8
	v_add3_u32 v16, v16, v37, v29
	v_lshrrev_b32_e32 v26, 24, v27
	v_bfe_u32 v28, v27, 16, 8
	v_add3_u32 v16, v16, v33, v34
	v_add3_u32 v47, v16, v28, v26
	v_mbcnt_lo_u32_b32 v16, -1, 0
	v_mbcnt_hi_u32_b32 v45, -1, v16
	v_and_b32_e32 v16, 15, v45
	v_cmp_eq_u32_e64 s[12:13], 0, v16
	v_cmp_lt_u32_e64 s[10:11], 1, v16
	v_cmp_lt_u32_e64 s[8:9], 3, v16
	;; [unrolled: 1-line block ×3, first 2 shown]
	v_and_b32_e32 v16, 16, v45
	v_cmp_eq_u32_e64 s[4:5], 0, v16
	v_or_b32_e32 v16, 63, v0
	v_cmp_lt_u32_e64 s[0:1], 31, v45
	v_cmp_eq_u32_e64 s[2:3], v16, v0
	s_barrier
	s_cbranch_scc0 .LBB3357_115
; %bb.89:
	v_mov_b32_dpp v16, v47 row_shr:1 row_mask:0xf bank_mask:0xf
	v_cndmask_b32_e64 v16, v16, 0, s[12:13]
	v_add_u32_e32 v16, v16, v47
	s_nop 1
	v_mov_b32_dpp v17, v16 row_shr:2 row_mask:0xf bank_mask:0xf
	v_cndmask_b32_e64 v17, 0, v17, s[10:11]
	v_add_u32_e32 v16, v16, v17
	s_nop 1
	;; [unrolled: 4-line block ×4, first 2 shown]
	v_mov_b32_dpp v17, v16 row_bcast:15 row_mask:0xf bank_mask:0xf
	v_cndmask_b32_e64 v17, v17, 0, s[4:5]
	v_add_u32_e32 v16, v16, v17
	s_nop 1
	v_mov_b32_dpp v17, v16 row_bcast:31 row_mask:0xf bank_mask:0xf
	v_cndmask_b32_e64 v17, 0, v17, s[0:1]
	v_add_u32_e32 v16, v16, v17
	s_and_saveexec_b64 s[14:15], s[2:3]
	s_cbranch_execz .LBB3357_91
; %bb.90:
	v_lshlrev_b32_e32 v17, 2, v46
	ds_write_b32 v17, v16
.LBB3357_91:
	s_or_b64 exec, exec, s[14:15]
	v_cmp_gt_u32_e32 vcc, 4, v0
	s_waitcnt lgkmcnt(0)
	s_barrier
	s_and_saveexec_b64 s[14:15], vcc
	s_cbranch_execz .LBB3357_93
; %bb.92:
	v_lshlrev_b32_e32 v17, 2, v0
	ds_read_b32 v18, v17
	v_and_b32_e32 v19, 3, v45
	v_cmp_ne_u32_e32 vcc, 0, v19
	s_waitcnt lgkmcnt(0)
	v_mov_b32_dpp v20, v18 row_shr:1 row_mask:0xf bank_mask:0xf
	v_cndmask_b32_e32 v20, 0, v20, vcc
	v_add_u32_e32 v18, v20, v18
	v_cmp_lt_u32_e32 vcc, 1, v19
	s_nop 0
	v_mov_b32_dpp v20, v18 row_shr:2 row_mask:0xf bank_mask:0xf
	v_cndmask_b32_e32 v19, 0, v20, vcc
	v_add_u32_e32 v18, v18, v19
	ds_write_b32 v17, v18
.LBB3357_93:
	s_or_b64 exec, exec, s[14:15]
	v_cmp_gt_u32_e32 vcc, 64, v0
	v_cmp_lt_u32_e64 s[14:15], 63, v0
	s_waitcnt lgkmcnt(0)
	s_barrier
	s_waitcnt lgkmcnt(0)
                                        ; implicit-def: $vgpr48
	s_and_saveexec_b64 s[26:27], s[14:15]
	s_cbranch_execz .LBB3357_95
; %bb.94:
	v_lshl_add_u32 v17, v46, 2, -4
	ds_read_b32 v48, v17
	s_waitcnt lgkmcnt(0)
	v_add_u32_e32 v16, v48, v16
.LBB3357_95:
	s_or_b64 exec, exec, s[26:27]
	v_add_u32_e32 v17, -1, v45
	v_and_b32_e32 v18, 64, v45
	v_cmp_lt_i32_e64 s[14:15], v17, v18
	v_cndmask_b32_e64 v17, v17, v45, s[14:15]
	v_lshlrev_b32_e32 v17, 2, v17
	ds_bpermute_b32 v49, v17, v16
	v_cmp_eq_u32_e64 s[14:15], 0, v45
	s_and_saveexec_b64 s[26:27], vcc
	s_cbranch_execz .LBB3357_114
; %bb.96:
	v_mov_b32_e32 v23, 0
	ds_read_b32 v16, v23 offset:12
	s_and_saveexec_b64 s[28:29], s[14:15]
	s_cbranch_execz .LBB3357_98
; %bb.97:
	s_add_i32 s30, s6, 64
	s_mov_b32 s31, 0
	s_lshl_b64 s[30:31], s[30:31], 3
	s_add_u32 s30, s24, s30
	v_mov_b32_e32 v17, 1
	s_addc_u32 s31, s25, s31
	s_waitcnt lgkmcnt(0)
	global_store_dwordx2 v23, v[16:17], s[30:31]
.LBB3357_98:
	s_or_b64 exec, exec, s[28:29]
	v_xad_u32 v18, v45, -1, s6
	v_add_u32_e32 v22, 64, v18
	v_lshlrev_b64 v[20:21], 3, v[22:23]
	v_mov_b32_e32 v17, s25
	v_add_co_u32_e32 v24, vcc, s24, v20
	v_addc_co_u32_e32 v25, vcc, v17, v21, vcc
	global_load_dwordx2 v[20:21], v[24:25], off glc
	s_waitcnt vmcnt(0)
	v_cmp_eq_u16_sdwa s[30:31], v21, v23 src0_sel:BYTE_0 src1_sel:DWORD
	s_and_saveexec_b64 s[28:29], s[30:31]
	s_cbranch_execz .LBB3357_102
; %bb.99:
	s_mov_b64 s[30:31], 0
	v_mov_b32_e32 v17, 0
.LBB3357_100:                           ; =>This Inner Loop Header: Depth=1
	global_load_dwordx2 v[20:21], v[24:25], off glc
	s_waitcnt vmcnt(0)
	v_cmp_ne_u16_sdwa s[34:35], v21, v17 src0_sel:BYTE_0 src1_sel:DWORD
	s_or_b64 s[30:31], s[34:35], s[30:31]
	s_andn2_b64 exec, exec, s[30:31]
	s_cbranch_execnz .LBB3357_100
; %bb.101:
	s_or_b64 exec, exec, s[30:31]
.LBB3357_102:
	s_or_b64 exec, exec, s[28:29]
	v_and_b32_e32 v51, 63, v45
	v_mov_b32_e32 v50, 2
	v_cmp_ne_u32_e32 vcc, 63, v51
	v_cmp_eq_u16_sdwa s[28:29], v21, v50 src0_sel:BYTE_0 src1_sel:DWORD
	v_lshlrev_b64 v[22:23], v45, -1
	v_addc_co_u32_e32 v24, vcc, 0, v45, vcc
	v_and_b32_e32 v17, s29, v23
	v_lshlrev_b32_e32 v52, 2, v24
	v_or_b32_e32 v17, 0x80000000, v17
	ds_bpermute_b32 v24, v52, v20
	v_and_b32_e32 v19, s28, v22
	v_ffbl_b32_e32 v17, v17
	v_add_u32_e32 v17, 32, v17
	v_ffbl_b32_e32 v19, v19
	v_min_u32_e32 v17, v19, v17
	v_cmp_lt_u32_e32 vcc, v51, v17
	s_waitcnt lgkmcnt(0)
	v_cndmask_b32_e32 v19, 0, v24, vcc
	v_cmp_gt_u32_e32 vcc, 62, v51
	v_add_u32_e32 v19, v19, v20
	v_cndmask_b32_e64 v20, 0, 1, vcc
	v_lshlrev_b32_e32 v20, 1, v20
	v_add_lshl_u32 v53, v20, v45, 2
	ds_bpermute_b32 v20, v53, v19
	v_add_u32_e32 v54, 2, v51
	v_cmp_le_u32_e32 vcc, v54, v17
	v_add_u32_e32 v56, 4, v51
	v_add_u32_e32 v58, 8, v51
	s_waitcnt lgkmcnt(0)
	v_cndmask_b32_e32 v20, 0, v20, vcc
	v_cmp_gt_u32_e32 vcc, 60, v51
	v_add_u32_e32 v19, v19, v20
	v_cndmask_b32_e64 v20, 0, 1, vcc
	v_lshlrev_b32_e32 v20, 2, v20
	v_add_lshl_u32 v55, v20, v45, 2
	ds_bpermute_b32 v20, v55, v19
	v_cmp_le_u32_e32 vcc, v56, v17
	v_add_u32_e32 v60, 16, v51
	v_add_u32_e32 v62, 32, v51
	s_waitcnt lgkmcnt(0)
	v_cndmask_b32_e32 v20, 0, v20, vcc
	v_cmp_gt_u32_e32 vcc, 56, v51
	v_add_u32_e32 v19, v19, v20
	v_cndmask_b32_e64 v20, 0, 1, vcc
	v_lshlrev_b32_e32 v20, 3, v20
	v_add_lshl_u32 v57, v20, v45, 2
	ds_bpermute_b32 v20, v57, v19
	v_cmp_le_u32_e32 vcc, v58, v17
	s_waitcnt lgkmcnt(0)
	v_cndmask_b32_e32 v20, 0, v20, vcc
	v_cmp_gt_u32_e32 vcc, 48, v51
	v_add_u32_e32 v19, v19, v20
	v_cndmask_b32_e64 v20, 0, 1, vcc
	v_lshlrev_b32_e32 v20, 4, v20
	v_add_lshl_u32 v59, v20, v45, 2
	ds_bpermute_b32 v20, v59, v19
	v_cmp_le_u32_e32 vcc, v60, v17
	;; [unrolled: 9-line block ×3, first 2 shown]
	s_waitcnt lgkmcnt(0)
	v_cndmask_b32_e32 v17, 0, v20, vcc
	v_add_u32_e32 v20, v19, v17
	v_mov_b32_e32 v19, 0
	s_branch .LBB3357_104
.LBB3357_103:                           ;   in Loop: Header=BB3357_104 Depth=1
	s_or_b64 exec, exec, s[28:29]
	v_cmp_eq_u16_sdwa s[28:29], v21, v50 src0_sel:BYTE_0 src1_sel:DWORD
	v_and_b32_e32 v24, s29, v23
	v_or_b32_e32 v24, 0x80000000, v24
	ds_bpermute_b32 v63, v52, v20
	v_and_b32_e32 v25, s28, v22
	v_ffbl_b32_e32 v24, v24
	v_add_u32_e32 v24, 32, v24
	v_ffbl_b32_e32 v25, v25
	v_min_u32_e32 v24, v25, v24
	v_cmp_lt_u32_e32 vcc, v51, v24
	s_waitcnt lgkmcnt(0)
	v_cndmask_b32_e32 v25, 0, v63, vcc
	v_add_u32_e32 v20, v25, v20
	ds_bpermute_b32 v25, v53, v20
	v_cmp_le_u32_e32 vcc, v54, v24
	v_subrev_u32_e32 v18, 64, v18
	s_waitcnt lgkmcnt(0)
	v_cndmask_b32_e32 v25, 0, v25, vcc
	v_add_u32_e32 v20, v20, v25
	ds_bpermute_b32 v25, v55, v20
	v_cmp_le_u32_e32 vcc, v56, v24
	s_waitcnt lgkmcnt(0)
	v_cndmask_b32_e32 v25, 0, v25, vcc
	v_add_u32_e32 v20, v20, v25
	ds_bpermute_b32 v25, v57, v20
	v_cmp_le_u32_e32 vcc, v58, v24
	s_waitcnt lgkmcnt(0)
	v_cndmask_b32_e32 v25, 0, v25, vcc
	v_add_u32_e32 v20, v20, v25
	ds_bpermute_b32 v25, v59, v20
	v_cmp_le_u32_e32 vcc, v60, v24
	s_waitcnt lgkmcnt(0)
	v_cndmask_b32_e32 v25, 0, v25, vcc
	v_add_u32_e32 v20, v20, v25
	ds_bpermute_b32 v25, v61, v20
	v_cmp_le_u32_e32 vcc, v62, v24
	s_waitcnt lgkmcnt(0)
	v_cndmask_b32_e32 v24, 0, v25, vcc
	v_add3_u32 v20, v24, v17, v20
.LBB3357_104:                           ; =>This Loop Header: Depth=1
                                        ;     Child Loop BB3357_107 Depth 2
	v_cmp_ne_u16_sdwa s[28:29], v21, v50 src0_sel:BYTE_0 src1_sel:DWORD
	v_cndmask_b32_e64 v17, 0, 1, s[28:29]
	;;#ASMSTART
	;;#ASMEND
	v_cmp_ne_u32_e32 vcc, 0, v17
	s_cmp_lg_u64 vcc, exec
	v_mov_b32_e32 v17, v20
	s_cbranch_scc1 .LBB3357_109
; %bb.105:                              ;   in Loop: Header=BB3357_104 Depth=1
	v_lshlrev_b64 v[20:21], 3, v[18:19]
	v_mov_b32_e32 v25, s25
	v_add_co_u32_e32 v24, vcc, s24, v20
	v_addc_co_u32_e32 v25, vcc, v25, v21, vcc
	global_load_dwordx2 v[20:21], v[24:25], off glc
	s_waitcnt vmcnt(0)
	v_cmp_eq_u16_sdwa s[30:31], v21, v19 src0_sel:BYTE_0 src1_sel:DWORD
	s_and_saveexec_b64 s[28:29], s[30:31]
	s_cbranch_execz .LBB3357_103
; %bb.106:                              ;   in Loop: Header=BB3357_104 Depth=1
	s_mov_b64 s[30:31], 0
.LBB3357_107:                           ;   Parent Loop BB3357_104 Depth=1
                                        ; =>  This Inner Loop Header: Depth=2
	global_load_dwordx2 v[20:21], v[24:25], off glc
	s_waitcnt vmcnt(0)
	v_cmp_ne_u16_sdwa s[34:35], v21, v19 src0_sel:BYTE_0 src1_sel:DWORD
	s_or_b64 s[30:31], s[34:35], s[30:31]
	s_andn2_b64 exec, exec, s[30:31]
	s_cbranch_execnz .LBB3357_107
; %bb.108:                              ;   in Loop: Header=BB3357_104 Depth=1
	s_or_b64 exec, exec, s[30:31]
	s_branch .LBB3357_103
.LBB3357_109:                           ;   in Loop: Header=BB3357_104 Depth=1
                                        ; implicit-def: $vgpr20
                                        ; implicit-def: $vgpr21
	s_cbranch_execz .LBB3357_104
; %bb.110:
	s_and_saveexec_b64 s[28:29], s[14:15]
	s_cbranch_execz .LBB3357_112
; %bb.111:
	s_add_i32 s6, s6, 64
	s_mov_b32 s7, 0
	s_lshl_b64 s[6:7], s[6:7], 3
	s_add_u32 s6, s24, s6
	v_add_u32_e32 v18, v17, v16
	v_mov_b32_e32 v19, 2
	s_addc_u32 s7, s25, s7
	v_mov_b32_e32 v20, 0
	global_store_dwordx2 v20, v[18:19], s[6:7]
	ds_write_b64 v20, v[16:17] offset:10240
.LBB3357_112:
	s_or_b64 exec, exec, s[28:29]
	v_cmp_eq_u32_e32 vcc, 0, v0
	s_and_b64 exec, exec, vcc
	s_cbranch_execz .LBB3357_114
; %bb.113:
	v_mov_b32_e32 v16, 0
	ds_write_b32 v16, v17 offset:12
.LBB3357_114:
	s_or_b64 exec, exec, s[26:27]
	v_mov_b32_e32 v16, 0
	s_waitcnt lgkmcnt(0)
	s_barrier
	ds_read_b32 v19, v16 offset:12
	s_waitcnt lgkmcnt(0)
	s_barrier
	ds_read_b64 v[16:17], v16 offset:10240
	v_cndmask_b32_e64 v18, v49, v48, s[14:15]
	v_cmp_ne_u32_e32 vcc, 0, v0
	v_cndmask_b32_e32 v18, 0, v18, vcc
	v_add_u32_e32 v22, v19, v18
	s_branch .LBB3357_125
.LBB3357_115:
                                        ; implicit-def: $vgpr17
                                        ; implicit-def: $vgpr22
	s_cbranch_execz .LBB3357_125
; %bb.116:
	s_waitcnt lgkmcnt(0)
	v_mov_b32_dpp v16, v47 row_shr:1 row_mask:0xf bank_mask:0xf
	v_cndmask_b32_e64 v16, v16, 0, s[12:13]
	v_add_u32_e32 v16, v16, v47
	s_nop 1
	v_mov_b32_dpp v17, v16 row_shr:2 row_mask:0xf bank_mask:0xf
	v_cndmask_b32_e64 v17, 0, v17, s[10:11]
	v_add_u32_e32 v16, v16, v17
	s_nop 1
	;; [unrolled: 4-line block ×4, first 2 shown]
	v_mov_b32_dpp v17, v16 row_bcast:15 row_mask:0xf bank_mask:0xf
	v_cndmask_b32_e64 v17, v17, 0, s[4:5]
	v_add_u32_e32 v16, v16, v17
	s_nop 1
	v_mov_b32_dpp v17, v16 row_bcast:31 row_mask:0xf bank_mask:0xf
	v_cndmask_b32_e64 v17, 0, v17, s[0:1]
	v_add_u32_e32 v16, v16, v17
	s_and_saveexec_b64 s[0:1], s[2:3]
	s_cbranch_execz .LBB3357_118
; %bb.117:
	v_lshlrev_b32_e32 v17, 2, v46
	ds_write_b32 v17, v16
.LBB3357_118:
	s_or_b64 exec, exec, s[0:1]
	v_cmp_gt_u32_e32 vcc, 4, v0
	s_waitcnt lgkmcnt(0)
	s_barrier
	s_and_saveexec_b64 s[0:1], vcc
	s_cbranch_execz .LBB3357_120
; %bb.119:
	v_lshlrev_b32_e32 v17, 2, v0
	ds_read_b32 v18, v17
	v_and_b32_e32 v19, 3, v45
	v_cmp_ne_u32_e32 vcc, 0, v19
	s_waitcnt lgkmcnt(0)
	v_mov_b32_dpp v20, v18 row_shr:1 row_mask:0xf bank_mask:0xf
	v_cndmask_b32_e32 v20, 0, v20, vcc
	v_add_u32_e32 v18, v20, v18
	v_cmp_lt_u32_e32 vcc, 1, v19
	s_nop 0
	v_mov_b32_dpp v20, v18 row_shr:2 row_mask:0xf bank_mask:0xf
	v_cndmask_b32_e32 v19, 0, v20, vcc
	v_add_u32_e32 v18, v18, v19
	ds_write_b32 v17, v18
.LBB3357_120:
	s_or_b64 exec, exec, s[0:1]
	v_cmp_lt_u32_e32 vcc, 63, v0
	v_mov_b32_e32 v17, 0
	v_mov_b32_e32 v18, 0
	s_waitcnt lgkmcnt(0)
	s_barrier
	s_and_saveexec_b64 s[0:1], vcc
	s_cbranch_execz .LBB3357_122
; %bb.121:
	v_lshl_add_u32 v18, v46, 2, -4
	ds_read_b32 v18, v18
.LBB3357_122:
	s_or_b64 exec, exec, s[0:1]
	v_add_u32_e32 v19, -1, v45
	v_and_b32_e32 v20, 64, v45
	v_cmp_lt_i32_e32 vcc, v19, v20
	v_cndmask_b32_e32 v19, v19, v45, vcc
	s_waitcnt lgkmcnt(0)
	v_add_u32_e32 v16, v18, v16
	v_lshlrev_b32_e32 v19, 2, v19
	ds_bpermute_b32 v19, v19, v16
	ds_read_b32 v16, v17 offset:12
	v_cmp_eq_u32_e32 vcc, 0, v0
	s_and_saveexec_b64 s[0:1], vcc
	s_cbranch_execz .LBB3357_124
; %bb.123:
	v_mov_b32_e32 v20, 0
	v_mov_b32_e32 v17, 2
	s_waitcnt lgkmcnt(0)
	global_store_dwordx2 v20, v[16:17], s[24:25] offset:512
.LBB3357_124:
	s_or_b64 exec, exec, s[0:1]
	v_cmp_eq_u32_e64 s[0:1], 0, v45
	s_waitcnt lgkmcnt(1)
	v_cndmask_b32_e64 v18, v19, v18, s[0:1]
	v_mov_b32_e32 v17, 0
	v_cndmask_b32_e64 v22, v18, 0, vcc
	s_waitcnt lgkmcnt(0)
	s_barrier
.LBB3357_125:
	v_add_u32_sdwa v24, v22, v14 dst_sel:DWORD dst_unused:UNUSED_PAD src0_sel:DWORD src1_sel:BYTE_0
	s_waitcnt lgkmcnt(0)
	v_add_u32_e32 v1, v16, v1
	v_sub_u32_e32 v22, v22, v17
	v_and_b32_e32 v50, 1, v14
	v_sub_u32_e32 v49, v1, v22
	v_cmp_eq_u32_e32 vcc, 1, v50
	v_cndmask_b32_e32 v22, v49, v22, vcc
	v_lshlrev_b32_e32 v22, 1, v22
	v_lshrrev_b32_e32 v23, 8, v14
	ds_write_b16 v22, v6
	v_sub_u32_e32 v22, v24, v17
	v_add_u32_sdwa v25, v24, v14 dst_sel:DWORD dst_unused:UNUSED_PAD src0_sel:DWORD src1_sel:BYTE_1
	v_sub_u32_e32 v24, v1, v22
	v_and_b32_e32 v23, 1, v23
	v_add_u32_e32 v24, 1, v24
	v_cmp_eq_u32_e32 vcc, 1, v23
	v_cndmask_b32_e32 v22, v24, v22, vcc
	v_lshlrev_b32_e32 v22, 1, v22
	ds_write_b16_d16_hi v22, v6
	v_sub_u32_e32 v6, v25, v17
	v_mov_b32_e32 v23, 1
	v_sub_u32_e32 v22, v1, v6
	v_and_b32_sdwa v14, v23, v14 dst_sel:DWORD dst_unused:UNUSED_PAD src0_sel:DWORD src1_sel:WORD_1
	v_add_u32_e32 v22, 2, v22
	v_cmp_eq_u32_e32 vcc, 1, v14
	v_cndmask_b32_e32 v6, v22, v6, vcc
	v_add_u32_e32 v44, v25, v44
	v_lshlrev_b32_e32 v6, 1, v6
	ds_write_b16 v6, v7
	v_sub_u32_e32 v6, v44, v17
	v_sub_u32_e32 v14, v1, v6
	v_and_b32_e32 v22, 1, v32
	v_add_u32_e32 v14, 3, v14
	v_cmp_eq_u32_e32 vcc, 1, v22
	v_cndmask_b32_e32 v6, v14, v6, vcc
	v_add_u32_e32 v45, v44, v32
	v_lshlrev_b32_e32 v6, 1, v6
	ds_write_b16_d16_hi v6, v7
	v_sub_u32_e32 v6, v45, v17
	v_sub_u32_e32 v7, v1, v6
	v_and_b32_e32 v14, 1, v15
	v_add_u32_e32 v7, 4, v7
	v_cmp_eq_u32_e32 vcc, 1, v14
	v_cndmask_b32_e32 v6, v7, v6, vcc
	v_add_u32_e32 v41, v45, v41
	v_lshlrev_b32_e32 v6, 1, v6
	v_lshrrev_b32_e32 v21, 8, v15
	ds_write_b16 v6, v8
	v_sub_u32_e32 v6, v41, v17
	v_sub_u32_e32 v7, v1, v6
	v_and_b32_e32 v14, 1, v21
	v_add_u32_e32 v7, 5, v7
	v_cmp_eq_u32_e32 vcc, 1, v14
	v_cndmask_b32_e32 v6, v7, v6, vcc
	v_add_u32_e32 v42, v41, v42
	v_lshlrev_b32_e32 v6, 1, v6
	ds_write_b16_d16_hi v6, v8
	v_sub_u32_e32 v6, v42, v17
	v_sub_u32_e32 v7, v1, v6
	v_and_b32_sdwa v8, v23, v15 dst_sel:DWORD dst_unused:UNUSED_PAD src0_sel:DWORD src1_sel:WORD_1
	v_add_u32_e32 v7, 6, v7
	v_cmp_eq_u32_e32 vcc, 1, v8
	v_cndmask_b32_e32 v6, v7, v6, vcc
	v_add_u32_e32 v43, v42, v43
	v_lshlrev_b32_e32 v6, 1, v6
	ds_write_b16 v6, v9
	v_sub_u32_e32 v6, v43, v17
	v_sub_u32_e32 v7, v1, v6
	v_and_b32_e32 v8, 1, v31
	v_add_u32_e32 v7, 7, v7
	v_cmp_eq_u32_e32 vcc, 1, v8
	v_cndmask_b32_e32 v6, v7, v6, vcc
	v_add_u32_e32 v46, v43, v31
	v_lshlrev_b32_e32 v6, 1, v6
	ds_write_b16_d16_hi v6, v9
	v_sub_u32_e32 v6, v46, v17
	v_sub_u32_e32 v7, v1, v6
	v_and_b32_e32 v8, 1, v12
	v_add_u32_e32 v7, 8, v7
	v_cmp_eq_u32_e32 vcc, 1, v8
	v_cndmask_b32_e32 v6, v7, v6, vcc
	v_add_u32_e32 v38, v46, v38
	v_lshlrev_b32_e32 v6, 1, v6
	v_lshrrev_b32_e32 v20, 8, v12
	ds_write_b16 v6, v2
	v_sub_u32_e32 v6, v38, v17
	v_sub_u32_e32 v7, v1, v6
	v_and_b32_e32 v8, 1, v20
	v_add_u32_e32 v7, 9, v7
	v_cmp_eq_u32_e32 vcc, 1, v8
	v_cndmask_b32_e32 v6, v7, v6, vcc
	v_add_u32_e32 v39, v38, v39
	v_lshlrev_b32_e32 v6, 1, v6
	ds_write_b16_d16_hi v6, v2
	v_sub_u32_e32 v2, v39, v17
	;; [unrolled: 37-line block ×4, first 2 shown]
	v_sub_u32_e32 v3, v1, v2
	v_and_b32_sdwa v4, v23, v27 dst_sel:DWORD dst_unused:UNUSED_PAD src0_sel:DWORD src1_sel:WORD_1
	v_add_u32_e32 v3, 18, v3
	v_cmp_eq_u32_e32 vcc, 1, v4
	v_cndmask_b32_e32 v2, v3, v2, vcc
	v_lshlrev_b32_e32 v2, 1, v2
	ds_write_b16 v2, v11
	v_sub_u32_e32 v2, v28, v17
	v_add_u32_e32 v2, v34, v2
	v_sub_u32_e32 v1, v1, v2
	v_and_b32_e32 v3, 1, v26
	v_add_u32_e32 v1, 19, v1
	v_cmp_eq_u32_e32 vcc, 1, v3
	v_cndmask_b32_e32 v1, v1, v2, vcc
	v_cmp_eq_u32_e32 vcc, 0, v0
	v_lshlrev_b32_e32 v1, 1, v1
	s_and_b64 s[0:1], vcc, s[22:23]
	ds_write_b16_d16_hi v1, v11
	s_waitcnt lgkmcnt(0)
	s_barrier
	s_and_saveexec_b64 s[2:3], s[0:1]
	s_cbranch_execz .LBB3357_127
; %bb.126:
	v_mov_b32_e32 v0, s19
	v_add_co_u32_e32 v1, vcc, s18, v16
	v_addc_co_u32_e32 v3, vcc, 0, v0, vcc
	v_add_co_u32_e32 v0, vcc, v1, v17
	v_mov_b32_e32 v2, 0
	v_addc_co_u32_e32 v1, vcc, 0, v3, vcc
	global_store_dwordx2 v2, v[0:1], s[20:21]
.LBB3357_127:
	s_endpgm
	.section	.rodata,"a",@progbits
	.p2align	6, 0x0
	.amdhsa_kernel _ZN7rocprim17ROCPRIM_400000_NS6detail17trampoline_kernelINS0_14default_configENS1_25partition_config_selectorILNS1_17partition_subalgoE1EsNS0_10empty_typeEbEEZZNS1_14partition_implILS5_1ELb0ES3_jN6thrust23THRUST_200600_302600_NS6detail15normal_iteratorINSA_10device_ptrIsEEEEPS6_NSA_18transform_iteratorI7is_evenIsESF_NSA_11use_defaultESK_EENS0_5tupleIJNSA_16discard_iteratorISK_EESO_EEENSM_IJSG_SG_EEES6_PlJS6_EEE10hipError_tPvRmT3_T4_T5_T6_T7_T9_mT8_P12ihipStream_tbDpT10_ENKUlT_T0_E_clISt17integral_constantIbLb0EES1B_EEDaS16_S17_EUlS16_E_NS1_11comp_targetILNS1_3genE4ELNS1_11target_archE910ELNS1_3gpuE8ELNS1_3repE0EEENS1_30default_config_static_selectorELNS0_4arch9wavefront6targetE1EEEvT1_
		.amdhsa_group_segment_fixed_size 10248
		.amdhsa_private_segment_fixed_size 0
		.amdhsa_kernarg_size 144
		.amdhsa_user_sgpr_count 6
		.amdhsa_user_sgpr_private_segment_buffer 1
		.amdhsa_user_sgpr_dispatch_ptr 0
		.amdhsa_user_sgpr_queue_ptr 0
		.amdhsa_user_sgpr_kernarg_segment_ptr 1
		.amdhsa_user_sgpr_dispatch_id 0
		.amdhsa_user_sgpr_flat_scratch_init 0
		.amdhsa_user_sgpr_kernarg_preload_length 0
		.amdhsa_user_sgpr_kernarg_preload_offset 0
		.amdhsa_user_sgpr_private_segment_size 0
		.amdhsa_uses_dynamic_stack 0
		.amdhsa_system_sgpr_private_segment_wavefront_offset 0
		.amdhsa_system_sgpr_workgroup_id_x 1
		.amdhsa_system_sgpr_workgroup_id_y 0
		.amdhsa_system_sgpr_workgroup_id_z 0
		.amdhsa_system_sgpr_workgroup_info 0
		.amdhsa_system_vgpr_workitem_id 0
		.amdhsa_next_free_vgpr 64
		.amdhsa_next_free_sgpr 36
		.amdhsa_accum_offset 64
		.amdhsa_reserve_vcc 1
		.amdhsa_reserve_flat_scratch 0
		.amdhsa_float_round_mode_32 0
		.amdhsa_float_round_mode_16_64 0
		.amdhsa_float_denorm_mode_32 3
		.amdhsa_float_denorm_mode_16_64 3
		.amdhsa_dx10_clamp 1
		.amdhsa_ieee_mode 1
		.amdhsa_fp16_overflow 0
		.amdhsa_tg_split 0
		.amdhsa_exception_fp_ieee_invalid_op 0
		.amdhsa_exception_fp_denorm_src 0
		.amdhsa_exception_fp_ieee_div_zero 0
		.amdhsa_exception_fp_ieee_overflow 0
		.amdhsa_exception_fp_ieee_underflow 0
		.amdhsa_exception_fp_ieee_inexact 0
		.amdhsa_exception_int_div_zero 0
	.end_amdhsa_kernel
	.section	.text._ZN7rocprim17ROCPRIM_400000_NS6detail17trampoline_kernelINS0_14default_configENS1_25partition_config_selectorILNS1_17partition_subalgoE1EsNS0_10empty_typeEbEEZZNS1_14partition_implILS5_1ELb0ES3_jN6thrust23THRUST_200600_302600_NS6detail15normal_iteratorINSA_10device_ptrIsEEEEPS6_NSA_18transform_iteratorI7is_evenIsESF_NSA_11use_defaultESK_EENS0_5tupleIJNSA_16discard_iteratorISK_EESO_EEENSM_IJSG_SG_EEES6_PlJS6_EEE10hipError_tPvRmT3_T4_T5_T6_T7_T9_mT8_P12ihipStream_tbDpT10_ENKUlT_T0_E_clISt17integral_constantIbLb0EES1B_EEDaS16_S17_EUlS16_E_NS1_11comp_targetILNS1_3genE4ELNS1_11target_archE910ELNS1_3gpuE8ELNS1_3repE0EEENS1_30default_config_static_selectorELNS0_4arch9wavefront6targetE1EEEvT1_,"axG",@progbits,_ZN7rocprim17ROCPRIM_400000_NS6detail17trampoline_kernelINS0_14default_configENS1_25partition_config_selectorILNS1_17partition_subalgoE1EsNS0_10empty_typeEbEEZZNS1_14partition_implILS5_1ELb0ES3_jN6thrust23THRUST_200600_302600_NS6detail15normal_iteratorINSA_10device_ptrIsEEEEPS6_NSA_18transform_iteratorI7is_evenIsESF_NSA_11use_defaultESK_EENS0_5tupleIJNSA_16discard_iteratorISK_EESO_EEENSM_IJSG_SG_EEES6_PlJS6_EEE10hipError_tPvRmT3_T4_T5_T6_T7_T9_mT8_P12ihipStream_tbDpT10_ENKUlT_T0_E_clISt17integral_constantIbLb0EES1B_EEDaS16_S17_EUlS16_E_NS1_11comp_targetILNS1_3genE4ELNS1_11target_archE910ELNS1_3gpuE8ELNS1_3repE0EEENS1_30default_config_static_selectorELNS0_4arch9wavefront6targetE1EEEvT1_,comdat
.Lfunc_end3357:
	.size	_ZN7rocprim17ROCPRIM_400000_NS6detail17trampoline_kernelINS0_14default_configENS1_25partition_config_selectorILNS1_17partition_subalgoE1EsNS0_10empty_typeEbEEZZNS1_14partition_implILS5_1ELb0ES3_jN6thrust23THRUST_200600_302600_NS6detail15normal_iteratorINSA_10device_ptrIsEEEEPS6_NSA_18transform_iteratorI7is_evenIsESF_NSA_11use_defaultESK_EENS0_5tupleIJNSA_16discard_iteratorISK_EESO_EEENSM_IJSG_SG_EEES6_PlJS6_EEE10hipError_tPvRmT3_T4_T5_T6_T7_T9_mT8_P12ihipStream_tbDpT10_ENKUlT_T0_E_clISt17integral_constantIbLb0EES1B_EEDaS16_S17_EUlS16_E_NS1_11comp_targetILNS1_3genE4ELNS1_11target_archE910ELNS1_3gpuE8ELNS1_3repE0EEENS1_30default_config_static_selectorELNS0_4arch9wavefront6targetE1EEEvT1_, .Lfunc_end3357-_ZN7rocprim17ROCPRIM_400000_NS6detail17trampoline_kernelINS0_14default_configENS1_25partition_config_selectorILNS1_17partition_subalgoE1EsNS0_10empty_typeEbEEZZNS1_14partition_implILS5_1ELb0ES3_jN6thrust23THRUST_200600_302600_NS6detail15normal_iteratorINSA_10device_ptrIsEEEEPS6_NSA_18transform_iteratorI7is_evenIsESF_NSA_11use_defaultESK_EENS0_5tupleIJNSA_16discard_iteratorISK_EESO_EEENSM_IJSG_SG_EEES6_PlJS6_EEE10hipError_tPvRmT3_T4_T5_T6_T7_T9_mT8_P12ihipStream_tbDpT10_ENKUlT_T0_E_clISt17integral_constantIbLb0EES1B_EEDaS16_S17_EUlS16_E_NS1_11comp_targetILNS1_3genE4ELNS1_11target_archE910ELNS1_3gpuE8ELNS1_3repE0EEENS1_30default_config_static_selectorELNS0_4arch9wavefront6targetE1EEEvT1_
                                        ; -- End function
	.section	.AMDGPU.csdata,"",@progbits
; Kernel info:
; codeLenInByte = 6576
; NumSgprs: 40
; NumVgprs: 64
; NumAgprs: 0
; TotalNumVgprs: 64
; ScratchSize: 0
; MemoryBound: 0
; FloatMode: 240
; IeeeMode: 1
; LDSByteSize: 10248 bytes/workgroup (compile time only)
; SGPRBlocks: 4
; VGPRBlocks: 7
; NumSGPRsForWavesPerEU: 40
; NumVGPRsForWavesPerEU: 64
; AccumOffset: 64
; Occupancy: 6
; WaveLimiterHint : 1
; COMPUTE_PGM_RSRC2:SCRATCH_EN: 0
; COMPUTE_PGM_RSRC2:USER_SGPR: 6
; COMPUTE_PGM_RSRC2:TRAP_HANDLER: 0
; COMPUTE_PGM_RSRC2:TGID_X_EN: 1
; COMPUTE_PGM_RSRC2:TGID_Y_EN: 0
; COMPUTE_PGM_RSRC2:TGID_Z_EN: 0
; COMPUTE_PGM_RSRC2:TIDIG_COMP_CNT: 0
; COMPUTE_PGM_RSRC3_GFX90A:ACCUM_OFFSET: 15
; COMPUTE_PGM_RSRC3_GFX90A:TG_SPLIT: 0
	.section	.text._ZN7rocprim17ROCPRIM_400000_NS6detail17trampoline_kernelINS0_14default_configENS1_25partition_config_selectorILNS1_17partition_subalgoE1EsNS0_10empty_typeEbEEZZNS1_14partition_implILS5_1ELb0ES3_jN6thrust23THRUST_200600_302600_NS6detail15normal_iteratorINSA_10device_ptrIsEEEEPS6_NSA_18transform_iteratorI7is_evenIsESF_NSA_11use_defaultESK_EENS0_5tupleIJNSA_16discard_iteratorISK_EESO_EEENSM_IJSG_SG_EEES6_PlJS6_EEE10hipError_tPvRmT3_T4_T5_T6_T7_T9_mT8_P12ihipStream_tbDpT10_ENKUlT_T0_E_clISt17integral_constantIbLb0EES1B_EEDaS16_S17_EUlS16_E_NS1_11comp_targetILNS1_3genE3ELNS1_11target_archE908ELNS1_3gpuE7ELNS1_3repE0EEENS1_30default_config_static_selectorELNS0_4arch9wavefront6targetE1EEEvT1_,"axG",@progbits,_ZN7rocprim17ROCPRIM_400000_NS6detail17trampoline_kernelINS0_14default_configENS1_25partition_config_selectorILNS1_17partition_subalgoE1EsNS0_10empty_typeEbEEZZNS1_14partition_implILS5_1ELb0ES3_jN6thrust23THRUST_200600_302600_NS6detail15normal_iteratorINSA_10device_ptrIsEEEEPS6_NSA_18transform_iteratorI7is_evenIsESF_NSA_11use_defaultESK_EENS0_5tupleIJNSA_16discard_iteratorISK_EESO_EEENSM_IJSG_SG_EEES6_PlJS6_EEE10hipError_tPvRmT3_T4_T5_T6_T7_T9_mT8_P12ihipStream_tbDpT10_ENKUlT_T0_E_clISt17integral_constantIbLb0EES1B_EEDaS16_S17_EUlS16_E_NS1_11comp_targetILNS1_3genE3ELNS1_11target_archE908ELNS1_3gpuE7ELNS1_3repE0EEENS1_30default_config_static_selectorELNS0_4arch9wavefront6targetE1EEEvT1_,comdat
	.protected	_ZN7rocprim17ROCPRIM_400000_NS6detail17trampoline_kernelINS0_14default_configENS1_25partition_config_selectorILNS1_17partition_subalgoE1EsNS0_10empty_typeEbEEZZNS1_14partition_implILS5_1ELb0ES3_jN6thrust23THRUST_200600_302600_NS6detail15normal_iteratorINSA_10device_ptrIsEEEEPS6_NSA_18transform_iteratorI7is_evenIsESF_NSA_11use_defaultESK_EENS0_5tupleIJNSA_16discard_iteratorISK_EESO_EEENSM_IJSG_SG_EEES6_PlJS6_EEE10hipError_tPvRmT3_T4_T5_T6_T7_T9_mT8_P12ihipStream_tbDpT10_ENKUlT_T0_E_clISt17integral_constantIbLb0EES1B_EEDaS16_S17_EUlS16_E_NS1_11comp_targetILNS1_3genE3ELNS1_11target_archE908ELNS1_3gpuE7ELNS1_3repE0EEENS1_30default_config_static_selectorELNS0_4arch9wavefront6targetE1EEEvT1_ ; -- Begin function _ZN7rocprim17ROCPRIM_400000_NS6detail17trampoline_kernelINS0_14default_configENS1_25partition_config_selectorILNS1_17partition_subalgoE1EsNS0_10empty_typeEbEEZZNS1_14partition_implILS5_1ELb0ES3_jN6thrust23THRUST_200600_302600_NS6detail15normal_iteratorINSA_10device_ptrIsEEEEPS6_NSA_18transform_iteratorI7is_evenIsESF_NSA_11use_defaultESK_EENS0_5tupleIJNSA_16discard_iteratorISK_EESO_EEENSM_IJSG_SG_EEES6_PlJS6_EEE10hipError_tPvRmT3_T4_T5_T6_T7_T9_mT8_P12ihipStream_tbDpT10_ENKUlT_T0_E_clISt17integral_constantIbLb0EES1B_EEDaS16_S17_EUlS16_E_NS1_11comp_targetILNS1_3genE3ELNS1_11target_archE908ELNS1_3gpuE7ELNS1_3repE0EEENS1_30default_config_static_selectorELNS0_4arch9wavefront6targetE1EEEvT1_
	.globl	_ZN7rocprim17ROCPRIM_400000_NS6detail17trampoline_kernelINS0_14default_configENS1_25partition_config_selectorILNS1_17partition_subalgoE1EsNS0_10empty_typeEbEEZZNS1_14partition_implILS5_1ELb0ES3_jN6thrust23THRUST_200600_302600_NS6detail15normal_iteratorINSA_10device_ptrIsEEEEPS6_NSA_18transform_iteratorI7is_evenIsESF_NSA_11use_defaultESK_EENS0_5tupleIJNSA_16discard_iteratorISK_EESO_EEENSM_IJSG_SG_EEES6_PlJS6_EEE10hipError_tPvRmT3_T4_T5_T6_T7_T9_mT8_P12ihipStream_tbDpT10_ENKUlT_T0_E_clISt17integral_constantIbLb0EES1B_EEDaS16_S17_EUlS16_E_NS1_11comp_targetILNS1_3genE3ELNS1_11target_archE908ELNS1_3gpuE7ELNS1_3repE0EEENS1_30default_config_static_selectorELNS0_4arch9wavefront6targetE1EEEvT1_
	.p2align	8
	.type	_ZN7rocprim17ROCPRIM_400000_NS6detail17trampoline_kernelINS0_14default_configENS1_25partition_config_selectorILNS1_17partition_subalgoE1EsNS0_10empty_typeEbEEZZNS1_14partition_implILS5_1ELb0ES3_jN6thrust23THRUST_200600_302600_NS6detail15normal_iteratorINSA_10device_ptrIsEEEEPS6_NSA_18transform_iteratorI7is_evenIsESF_NSA_11use_defaultESK_EENS0_5tupleIJNSA_16discard_iteratorISK_EESO_EEENSM_IJSG_SG_EEES6_PlJS6_EEE10hipError_tPvRmT3_T4_T5_T6_T7_T9_mT8_P12ihipStream_tbDpT10_ENKUlT_T0_E_clISt17integral_constantIbLb0EES1B_EEDaS16_S17_EUlS16_E_NS1_11comp_targetILNS1_3genE3ELNS1_11target_archE908ELNS1_3gpuE7ELNS1_3repE0EEENS1_30default_config_static_selectorELNS0_4arch9wavefront6targetE1EEEvT1_,@function
_ZN7rocprim17ROCPRIM_400000_NS6detail17trampoline_kernelINS0_14default_configENS1_25partition_config_selectorILNS1_17partition_subalgoE1EsNS0_10empty_typeEbEEZZNS1_14partition_implILS5_1ELb0ES3_jN6thrust23THRUST_200600_302600_NS6detail15normal_iteratorINSA_10device_ptrIsEEEEPS6_NSA_18transform_iteratorI7is_evenIsESF_NSA_11use_defaultESK_EENS0_5tupleIJNSA_16discard_iteratorISK_EESO_EEENSM_IJSG_SG_EEES6_PlJS6_EEE10hipError_tPvRmT3_T4_T5_T6_T7_T9_mT8_P12ihipStream_tbDpT10_ENKUlT_T0_E_clISt17integral_constantIbLb0EES1B_EEDaS16_S17_EUlS16_E_NS1_11comp_targetILNS1_3genE3ELNS1_11target_archE908ELNS1_3gpuE7ELNS1_3repE0EEENS1_30default_config_static_selectorELNS0_4arch9wavefront6targetE1EEEvT1_: ; @_ZN7rocprim17ROCPRIM_400000_NS6detail17trampoline_kernelINS0_14default_configENS1_25partition_config_selectorILNS1_17partition_subalgoE1EsNS0_10empty_typeEbEEZZNS1_14partition_implILS5_1ELb0ES3_jN6thrust23THRUST_200600_302600_NS6detail15normal_iteratorINSA_10device_ptrIsEEEEPS6_NSA_18transform_iteratorI7is_evenIsESF_NSA_11use_defaultESK_EENS0_5tupleIJNSA_16discard_iteratorISK_EESO_EEENSM_IJSG_SG_EEES6_PlJS6_EEE10hipError_tPvRmT3_T4_T5_T6_T7_T9_mT8_P12ihipStream_tbDpT10_ENKUlT_T0_E_clISt17integral_constantIbLb0EES1B_EEDaS16_S17_EUlS16_E_NS1_11comp_targetILNS1_3genE3ELNS1_11target_archE908ELNS1_3gpuE7ELNS1_3repE0EEENS1_30default_config_static_selectorELNS0_4arch9wavefront6targetE1EEEvT1_
; %bb.0:
	.section	.rodata,"a",@progbits
	.p2align	6, 0x0
	.amdhsa_kernel _ZN7rocprim17ROCPRIM_400000_NS6detail17trampoline_kernelINS0_14default_configENS1_25partition_config_selectorILNS1_17partition_subalgoE1EsNS0_10empty_typeEbEEZZNS1_14partition_implILS5_1ELb0ES3_jN6thrust23THRUST_200600_302600_NS6detail15normal_iteratorINSA_10device_ptrIsEEEEPS6_NSA_18transform_iteratorI7is_evenIsESF_NSA_11use_defaultESK_EENS0_5tupleIJNSA_16discard_iteratorISK_EESO_EEENSM_IJSG_SG_EEES6_PlJS6_EEE10hipError_tPvRmT3_T4_T5_T6_T7_T9_mT8_P12ihipStream_tbDpT10_ENKUlT_T0_E_clISt17integral_constantIbLb0EES1B_EEDaS16_S17_EUlS16_E_NS1_11comp_targetILNS1_3genE3ELNS1_11target_archE908ELNS1_3gpuE7ELNS1_3repE0EEENS1_30default_config_static_selectorELNS0_4arch9wavefront6targetE1EEEvT1_
		.amdhsa_group_segment_fixed_size 0
		.amdhsa_private_segment_fixed_size 0
		.amdhsa_kernarg_size 144
		.amdhsa_user_sgpr_count 6
		.amdhsa_user_sgpr_private_segment_buffer 1
		.amdhsa_user_sgpr_dispatch_ptr 0
		.amdhsa_user_sgpr_queue_ptr 0
		.amdhsa_user_sgpr_kernarg_segment_ptr 1
		.amdhsa_user_sgpr_dispatch_id 0
		.amdhsa_user_sgpr_flat_scratch_init 0
		.amdhsa_user_sgpr_kernarg_preload_length 0
		.amdhsa_user_sgpr_kernarg_preload_offset 0
		.amdhsa_user_sgpr_private_segment_size 0
		.amdhsa_uses_dynamic_stack 0
		.amdhsa_system_sgpr_private_segment_wavefront_offset 0
		.amdhsa_system_sgpr_workgroup_id_x 1
		.amdhsa_system_sgpr_workgroup_id_y 0
		.amdhsa_system_sgpr_workgroup_id_z 0
		.amdhsa_system_sgpr_workgroup_info 0
		.amdhsa_system_vgpr_workitem_id 0
		.amdhsa_next_free_vgpr 1
		.amdhsa_next_free_sgpr 0
		.amdhsa_accum_offset 4
		.amdhsa_reserve_vcc 0
		.amdhsa_reserve_flat_scratch 0
		.amdhsa_float_round_mode_32 0
		.amdhsa_float_round_mode_16_64 0
		.amdhsa_float_denorm_mode_32 3
		.amdhsa_float_denorm_mode_16_64 3
		.amdhsa_dx10_clamp 1
		.amdhsa_ieee_mode 1
		.amdhsa_fp16_overflow 0
		.amdhsa_tg_split 0
		.amdhsa_exception_fp_ieee_invalid_op 0
		.amdhsa_exception_fp_denorm_src 0
		.amdhsa_exception_fp_ieee_div_zero 0
		.amdhsa_exception_fp_ieee_overflow 0
		.amdhsa_exception_fp_ieee_underflow 0
		.amdhsa_exception_fp_ieee_inexact 0
		.amdhsa_exception_int_div_zero 0
	.end_amdhsa_kernel
	.section	.text._ZN7rocprim17ROCPRIM_400000_NS6detail17trampoline_kernelINS0_14default_configENS1_25partition_config_selectorILNS1_17partition_subalgoE1EsNS0_10empty_typeEbEEZZNS1_14partition_implILS5_1ELb0ES3_jN6thrust23THRUST_200600_302600_NS6detail15normal_iteratorINSA_10device_ptrIsEEEEPS6_NSA_18transform_iteratorI7is_evenIsESF_NSA_11use_defaultESK_EENS0_5tupleIJNSA_16discard_iteratorISK_EESO_EEENSM_IJSG_SG_EEES6_PlJS6_EEE10hipError_tPvRmT3_T4_T5_T6_T7_T9_mT8_P12ihipStream_tbDpT10_ENKUlT_T0_E_clISt17integral_constantIbLb0EES1B_EEDaS16_S17_EUlS16_E_NS1_11comp_targetILNS1_3genE3ELNS1_11target_archE908ELNS1_3gpuE7ELNS1_3repE0EEENS1_30default_config_static_selectorELNS0_4arch9wavefront6targetE1EEEvT1_,"axG",@progbits,_ZN7rocprim17ROCPRIM_400000_NS6detail17trampoline_kernelINS0_14default_configENS1_25partition_config_selectorILNS1_17partition_subalgoE1EsNS0_10empty_typeEbEEZZNS1_14partition_implILS5_1ELb0ES3_jN6thrust23THRUST_200600_302600_NS6detail15normal_iteratorINSA_10device_ptrIsEEEEPS6_NSA_18transform_iteratorI7is_evenIsESF_NSA_11use_defaultESK_EENS0_5tupleIJNSA_16discard_iteratorISK_EESO_EEENSM_IJSG_SG_EEES6_PlJS6_EEE10hipError_tPvRmT3_T4_T5_T6_T7_T9_mT8_P12ihipStream_tbDpT10_ENKUlT_T0_E_clISt17integral_constantIbLb0EES1B_EEDaS16_S17_EUlS16_E_NS1_11comp_targetILNS1_3genE3ELNS1_11target_archE908ELNS1_3gpuE7ELNS1_3repE0EEENS1_30default_config_static_selectorELNS0_4arch9wavefront6targetE1EEEvT1_,comdat
.Lfunc_end3358:
	.size	_ZN7rocprim17ROCPRIM_400000_NS6detail17trampoline_kernelINS0_14default_configENS1_25partition_config_selectorILNS1_17partition_subalgoE1EsNS0_10empty_typeEbEEZZNS1_14partition_implILS5_1ELb0ES3_jN6thrust23THRUST_200600_302600_NS6detail15normal_iteratorINSA_10device_ptrIsEEEEPS6_NSA_18transform_iteratorI7is_evenIsESF_NSA_11use_defaultESK_EENS0_5tupleIJNSA_16discard_iteratorISK_EESO_EEENSM_IJSG_SG_EEES6_PlJS6_EEE10hipError_tPvRmT3_T4_T5_T6_T7_T9_mT8_P12ihipStream_tbDpT10_ENKUlT_T0_E_clISt17integral_constantIbLb0EES1B_EEDaS16_S17_EUlS16_E_NS1_11comp_targetILNS1_3genE3ELNS1_11target_archE908ELNS1_3gpuE7ELNS1_3repE0EEENS1_30default_config_static_selectorELNS0_4arch9wavefront6targetE1EEEvT1_, .Lfunc_end3358-_ZN7rocprim17ROCPRIM_400000_NS6detail17trampoline_kernelINS0_14default_configENS1_25partition_config_selectorILNS1_17partition_subalgoE1EsNS0_10empty_typeEbEEZZNS1_14partition_implILS5_1ELb0ES3_jN6thrust23THRUST_200600_302600_NS6detail15normal_iteratorINSA_10device_ptrIsEEEEPS6_NSA_18transform_iteratorI7is_evenIsESF_NSA_11use_defaultESK_EENS0_5tupleIJNSA_16discard_iteratorISK_EESO_EEENSM_IJSG_SG_EEES6_PlJS6_EEE10hipError_tPvRmT3_T4_T5_T6_T7_T9_mT8_P12ihipStream_tbDpT10_ENKUlT_T0_E_clISt17integral_constantIbLb0EES1B_EEDaS16_S17_EUlS16_E_NS1_11comp_targetILNS1_3genE3ELNS1_11target_archE908ELNS1_3gpuE7ELNS1_3repE0EEENS1_30default_config_static_selectorELNS0_4arch9wavefront6targetE1EEEvT1_
                                        ; -- End function
	.section	.AMDGPU.csdata,"",@progbits
; Kernel info:
; codeLenInByte = 0
; NumSgprs: 4
; NumVgprs: 0
; NumAgprs: 0
; TotalNumVgprs: 0
; ScratchSize: 0
; MemoryBound: 0
; FloatMode: 240
; IeeeMode: 1
; LDSByteSize: 0 bytes/workgroup (compile time only)
; SGPRBlocks: 0
; VGPRBlocks: 0
; NumSGPRsForWavesPerEU: 4
; NumVGPRsForWavesPerEU: 1
; AccumOffset: 4
; Occupancy: 8
; WaveLimiterHint : 0
; COMPUTE_PGM_RSRC2:SCRATCH_EN: 0
; COMPUTE_PGM_RSRC2:USER_SGPR: 6
; COMPUTE_PGM_RSRC2:TRAP_HANDLER: 0
; COMPUTE_PGM_RSRC2:TGID_X_EN: 1
; COMPUTE_PGM_RSRC2:TGID_Y_EN: 0
; COMPUTE_PGM_RSRC2:TGID_Z_EN: 0
; COMPUTE_PGM_RSRC2:TIDIG_COMP_CNT: 0
; COMPUTE_PGM_RSRC3_GFX90A:ACCUM_OFFSET: 0
; COMPUTE_PGM_RSRC3_GFX90A:TG_SPLIT: 0
	.section	.text._ZN7rocprim17ROCPRIM_400000_NS6detail17trampoline_kernelINS0_14default_configENS1_25partition_config_selectorILNS1_17partition_subalgoE1EsNS0_10empty_typeEbEEZZNS1_14partition_implILS5_1ELb0ES3_jN6thrust23THRUST_200600_302600_NS6detail15normal_iteratorINSA_10device_ptrIsEEEEPS6_NSA_18transform_iteratorI7is_evenIsESF_NSA_11use_defaultESK_EENS0_5tupleIJNSA_16discard_iteratorISK_EESO_EEENSM_IJSG_SG_EEES6_PlJS6_EEE10hipError_tPvRmT3_T4_T5_T6_T7_T9_mT8_P12ihipStream_tbDpT10_ENKUlT_T0_E_clISt17integral_constantIbLb0EES1B_EEDaS16_S17_EUlS16_E_NS1_11comp_targetILNS1_3genE2ELNS1_11target_archE906ELNS1_3gpuE6ELNS1_3repE0EEENS1_30default_config_static_selectorELNS0_4arch9wavefront6targetE1EEEvT1_,"axG",@progbits,_ZN7rocprim17ROCPRIM_400000_NS6detail17trampoline_kernelINS0_14default_configENS1_25partition_config_selectorILNS1_17partition_subalgoE1EsNS0_10empty_typeEbEEZZNS1_14partition_implILS5_1ELb0ES3_jN6thrust23THRUST_200600_302600_NS6detail15normal_iteratorINSA_10device_ptrIsEEEEPS6_NSA_18transform_iteratorI7is_evenIsESF_NSA_11use_defaultESK_EENS0_5tupleIJNSA_16discard_iteratorISK_EESO_EEENSM_IJSG_SG_EEES6_PlJS6_EEE10hipError_tPvRmT3_T4_T5_T6_T7_T9_mT8_P12ihipStream_tbDpT10_ENKUlT_T0_E_clISt17integral_constantIbLb0EES1B_EEDaS16_S17_EUlS16_E_NS1_11comp_targetILNS1_3genE2ELNS1_11target_archE906ELNS1_3gpuE6ELNS1_3repE0EEENS1_30default_config_static_selectorELNS0_4arch9wavefront6targetE1EEEvT1_,comdat
	.protected	_ZN7rocprim17ROCPRIM_400000_NS6detail17trampoline_kernelINS0_14default_configENS1_25partition_config_selectorILNS1_17partition_subalgoE1EsNS0_10empty_typeEbEEZZNS1_14partition_implILS5_1ELb0ES3_jN6thrust23THRUST_200600_302600_NS6detail15normal_iteratorINSA_10device_ptrIsEEEEPS6_NSA_18transform_iteratorI7is_evenIsESF_NSA_11use_defaultESK_EENS0_5tupleIJNSA_16discard_iteratorISK_EESO_EEENSM_IJSG_SG_EEES6_PlJS6_EEE10hipError_tPvRmT3_T4_T5_T6_T7_T9_mT8_P12ihipStream_tbDpT10_ENKUlT_T0_E_clISt17integral_constantIbLb0EES1B_EEDaS16_S17_EUlS16_E_NS1_11comp_targetILNS1_3genE2ELNS1_11target_archE906ELNS1_3gpuE6ELNS1_3repE0EEENS1_30default_config_static_selectorELNS0_4arch9wavefront6targetE1EEEvT1_ ; -- Begin function _ZN7rocprim17ROCPRIM_400000_NS6detail17trampoline_kernelINS0_14default_configENS1_25partition_config_selectorILNS1_17partition_subalgoE1EsNS0_10empty_typeEbEEZZNS1_14partition_implILS5_1ELb0ES3_jN6thrust23THRUST_200600_302600_NS6detail15normal_iteratorINSA_10device_ptrIsEEEEPS6_NSA_18transform_iteratorI7is_evenIsESF_NSA_11use_defaultESK_EENS0_5tupleIJNSA_16discard_iteratorISK_EESO_EEENSM_IJSG_SG_EEES6_PlJS6_EEE10hipError_tPvRmT3_T4_T5_T6_T7_T9_mT8_P12ihipStream_tbDpT10_ENKUlT_T0_E_clISt17integral_constantIbLb0EES1B_EEDaS16_S17_EUlS16_E_NS1_11comp_targetILNS1_3genE2ELNS1_11target_archE906ELNS1_3gpuE6ELNS1_3repE0EEENS1_30default_config_static_selectorELNS0_4arch9wavefront6targetE1EEEvT1_
	.globl	_ZN7rocprim17ROCPRIM_400000_NS6detail17trampoline_kernelINS0_14default_configENS1_25partition_config_selectorILNS1_17partition_subalgoE1EsNS0_10empty_typeEbEEZZNS1_14partition_implILS5_1ELb0ES3_jN6thrust23THRUST_200600_302600_NS6detail15normal_iteratorINSA_10device_ptrIsEEEEPS6_NSA_18transform_iteratorI7is_evenIsESF_NSA_11use_defaultESK_EENS0_5tupleIJNSA_16discard_iteratorISK_EESO_EEENSM_IJSG_SG_EEES6_PlJS6_EEE10hipError_tPvRmT3_T4_T5_T6_T7_T9_mT8_P12ihipStream_tbDpT10_ENKUlT_T0_E_clISt17integral_constantIbLb0EES1B_EEDaS16_S17_EUlS16_E_NS1_11comp_targetILNS1_3genE2ELNS1_11target_archE906ELNS1_3gpuE6ELNS1_3repE0EEENS1_30default_config_static_selectorELNS0_4arch9wavefront6targetE1EEEvT1_
	.p2align	8
	.type	_ZN7rocprim17ROCPRIM_400000_NS6detail17trampoline_kernelINS0_14default_configENS1_25partition_config_selectorILNS1_17partition_subalgoE1EsNS0_10empty_typeEbEEZZNS1_14partition_implILS5_1ELb0ES3_jN6thrust23THRUST_200600_302600_NS6detail15normal_iteratorINSA_10device_ptrIsEEEEPS6_NSA_18transform_iteratorI7is_evenIsESF_NSA_11use_defaultESK_EENS0_5tupleIJNSA_16discard_iteratorISK_EESO_EEENSM_IJSG_SG_EEES6_PlJS6_EEE10hipError_tPvRmT3_T4_T5_T6_T7_T9_mT8_P12ihipStream_tbDpT10_ENKUlT_T0_E_clISt17integral_constantIbLb0EES1B_EEDaS16_S17_EUlS16_E_NS1_11comp_targetILNS1_3genE2ELNS1_11target_archE906ELNS1_3gpuE6ELNS1_3repE0EEENS1_30default_config_static_selectorELNS0_4arch9wavefront6targetE1EEEvT1_,@function
_ZN7rocprim17ROCPRIM_400000_NS6detail17trampoline_kernelINS0_14default_configENS1_25partition_config_selectorILNS1_17partition_subalgoE1EsNS0_10empty_typeEbEEZZNS1_14partition_implILS5_1ELb0ES3_jN6thrust23THRUST_200600_302600_NS6detail15normal_iteratorINSA_10device_ptrIsEEEEPS6_NSA_18transform_iteratorI7is_evenIsESF_NSA_11use_defaultESK_EENS0_5tupleIJNSA_16discard_iteratorISK_EESO_EEENSM_IJSG_SG_EEES6_PlJS6_EEE10hipError_tPvRmT3_T4_T5_T6_T7_T9_mT8_P12ihipStream_tbDpT10_ENKUlT_T0_E_clISt17integral_constantIbLb0EES1B_EEDaS16_S17_EUlS16_E_NS1_11comp_targetILNS1_3genE2ELNS1_11target_archE906ELNS1_3gpuE6ELNS1_3repE0EEENS1_30default_config_static_selectorELNS0_4arch9wavefront6targetE1EEEvT1_: ; @_ZN7rocprim17ROCPRIM_400000_NS6detail17trampoline_kernelINS0_14default_configENS1_25partition_config_selectorILNS1_17partition_subalgoE1EsNS0_10empty_typeEbEEZZNS1_14partition_implILS5_1ELb0ES3_jN6thrust23THRUST_200600_302600_NS6detail15normal_iteratorINSA_10device_ptrIsEEEEPS6_NSA_18transform_iteratorI7is_evenIsESF_NSA_11use_defaultESK_EENS0_5tupleIJNSA_16discard_iteratorISK_EESO_EEENSM_IJSG_SG_EEES6_PlJS6_EEE10hipError_tPvRmT3_T4_T5_T6_T7_T9_mT8_P12ihipStream_tbDpT10_ENKUlT_T0_E_clISt17integral_constantIbLb0EES1B_EEDaS16_S17_EUlS16_E_NS1_11comp_targetILNS1_3genE2ELNS1_11target_archE906ELNS1_3gpuE6ELNS1_3repE0EEENS1_30default_config_static_selectorELNS0_4arch9wavefront6targetE1EEEvT1_
; %bb.0:
	.section	.rodata,"a",@progbits
	.p2align	6, 0x0
	.amdhsa_kernel _ZN7rocprim17ROCPRIM_400000_NS6detail17trampoline_kernelINS0_14default_configENS1_25partition_config_selectorILNS1_17partition_subalgoE1EsNS0_10empty_typeEbEEZZNS1_14partition_implILS5_1ELb0ES3_jN6thrust23THRUST_200600_302600_NS6detail15normal_iteratorINSA_10device_ptrIsEEEEPS6_NSA_18transform_iteratorI7is_evenIsESF_NSA_11use_defaultESK_EENS0_5tupleIJNSA_16discard_iteratorISK_EESO_EEENSM_IJSG_SG_EEES6_PlJS6_EEE10hipError_tPvRmT3_T4_T5_T6_T7_T9_mT8_P12ihipStream_tbDpT10_ENKUlT_T0_E_clISt17integral_constantIbLb0EES1B_EEDaS16_S17_EUlS16_E_NS1_11comp_targetILNS1_3genE2ELNS1_11target_archE906ELNS1_3gpuE6ELNS1_3repE0EEENS1_30default_config_static_selectorELNS0_4arch9wavefront6targetE1EEEvT1_
		.amdhsa_group_segment_fixed_size 0
		.amdhsa_private_segment_fixed_size 0
		.amdhsa_kernarg_size 144
		.amdhsa_user_sgpr_count 6
		.amdhsa_user_sgpr_private_segment_buffer 1
		.amdhsa_user_sgpr_dispatch_ptr 0
		.amdhsa_user_sgpr_queue_ptr 0
		.amdhsa_user_sgpr_kernarg_segment_ptr 1
		.amdhsa_user_sgpr_dispatch_id 0
		.amdhsa_user_sgpr_flat_scratch_init 0
		.amdhsa_user_sgpr_kernarg_preload_length 0
		.amdhsa_user_sgpr_kernarg_preload_offset 0
		.amdhsa_user_sgpr_private_segment_size 0
		.amdhsa_uses_dynamic_stack 0
		.amdhsa_system_sgpr_private_segment_wavefront_offset 0
		.amdhsa_system_sgpr_workgroup_id_x 1
		.amdhsa_system_sgpr_workgroup_id_y 0
		.amdhsa_system_sgpr_workgroup_id_z 0
		.amdhsa_system_sgpr_workgroup_info 0
		.amdhsa_system_vgpr_workitem_id 0
		.amdhsa_next_free_vgpr 1
		.amdhsa_next_free_sgpr 0
		.amdhsa_accum_offset 4
		.amdhsa_reserve_vcc 0
		.amdhsa_reserve_flat_scratch 0
		.amdhsa_float_round_mode_32 0
		.amdhsa_float_round_mode_16_64 0
		.amdhsa_float_denorm_mode_32 3
		.amdhsa_float_denorm_mode_16_64 3
		.amdhsa_dx10_clamp 1
		.amdhsa_ieee_mode 1
		.amdhsa_fp16_overflow 0
		.amdhsa_tg_split 0
		.amdhsa_exception_fp_ieee_invalid_op 0
		.amdhsa_exception_fp_denorm_src 0
		.amdhsa_exception_fp_ieee_div_zero 0
		.amdhsa_exception_fp_ieee_overflow 0
		.amdhsa_exception_fp_ieee_underflow 0
		.amdhsa_exception_fp_ieee_inexact 0
		.amdhsa_exception_int_div_zero 0
	.end_amdhsa_kernel
	.section	.text._ZN7rocprim17ROCPRIM_400000_NS6detail17trampoline_kernelINS0_14default_configENS1_25partition_config_selectorILNS1_17partition_subalgoE1EsNS0_10empty_typeEbEEZZNS1_14partition_implILS5_1ELb0ES3_jN6thrust23THRUST_200600_302600_NS6detail15normal_iteratorINSA_10device_ptrIsEEEEPS6_NSA_18transform_iteratorI7is_evenIsESF_NSA_11use_defaultESK_EENS0_5tupleIJNSA_16discard_iteratorISK_EESO_EEENSM_IJSG_SG_EEES6_PlJS6_EEE10hipError_tPvRmT3_T4_T5_T6_T7_T9_mT8_P12ihipStream_tbDpT10_ENKUlT_T0_E_clISt17integral_constantIbLb0EES1B_EEDaS16_S17_EUlS16_E_NS1_11comp_targetILNS1_3genE2ELNS1_11target_archE906ELNS1_3gpuE6ELNS1_3repE0EEENS1_30default_config_static_selectorELNS0_4arch9wavefront6targetE1EEEvT1_,"axG",@progbits,_ZN7rocprim17ROCPRIM_400000_NS6detail17trampoline_kernelINS0_14default_configENS1_25partition_config_selectorILNS1_17partition_subalgoE1EsNS0_10empty_typeEbEEZZNS1_14partition_implILS5_1ELb0ES3_jN6thrust23THRUST_200600_302600_NS6detail15normal_iteratorINSA_10device_ptrIsEEEEPS6_NSA_18transform_iteratorI7is_evenIsESF_NSA_11use_defaultESK_EENS0_5tupleIJNSA_16discard_iteratorISK_EESO_EEENSM_IJSG_SG_EEES6_PlJS6_EEE10hipError_tPvRmT3_T4_T5_T6_T7_T9_mT8_P12ihipStream_tbDpT10_ENKUlT_T0_E_clISt17integral_constantIbLb0EES1B_EEDaS16_S17_EUlS16_E_NS1_11comp_targetILNS1_3genE2ELNS1_11target_archE906ELNS1_3gpuE6ELNS1_3repE0EEENS1_30default_config_static_selectorELNS0_4arch9wavefront6targetE1EEEvT1_,comdat
.Lfunc_end3359:
	.size	_ZN7rocprim17ROCPRIM_400000_NS6detail17trampoline_kernelINS0_14default_configENS1_25partition_config_selectorILNS1_17partition_subalgoE1EsNS0_10empty_typeEbEEZZNS1_14partition_implILS5_1ELb0ES3_jN6thrust23THRUST_200600_302600_NS6detail15normal_iteratorINSA_10device_ptrIsEEEEPS6_NSA_18transform_iteratorI7is_evenIsESF_NSA_11use_defaultESK_EENS0_5tupleIJNSA_16discard_iteratorISK_EESO_EEENSM_IJSG_SG_EEES6_PlJS6_EEE10hipError_tPvRmT3_T4_T5_T6_T7_T9_mT8_P12ihipStream_tbDpT10_ENKUlT_T0_E_clISt17integral_constantIbLb0EES1B_EEDaS16_S17_EUlS16_E_NS1_11comp_targetILNS1_3genE2ELNS1_11target_archE906ELNS1_3gpuE6ELNS1_3repE0EEENS1_30default_config_static_selectorELNS0_4arch9wavefront6targetE1EEEvT1_, .Lfunc_end3359-_ZN7rocprim17ROCPRIM_400000_NS6detail17trampoline_kernelINS0_14default_configENS1_25partition_config_selectorILNS1_17partition_subalgoE1EsNS0_10empty_typeEbEEZZNS1_14partition_implILS5_1ELb0ES3_jN6thrust23THRUST_200600_302600_NS6detail15normal_iteratorINSA_10device_ptrIsEEEEPS6_NSA_18transform_iteratorI7is_evenIsESF_NSA_11use_defaultESK_EENS0_5tupleIJNSA_16discard_iteratorISK_EESO_EEENSM_IJSG_SG_EEES6_PlJS6_EEE10hipError_tPvRmT3_T4_T5_T6_T7_T9_mT8_P12ihipStream_tbDpT10_ENKUlT_T0_E_clISt17integral_constantIbLb0EES1B_EEDaS16_S17_EUlS16_E_NS1_11comp_targetILNS1_3genE2ELNS1_11target_archE906ELNS1_3gpuE6ELNS1_3repE0EEENS1_30default_config_static_selectorELNS0_4arch9wavefront6targetE1EEEvT1_
                                        ; -- End function
	.section	.AMDGPU.csdata,"",@progbits
; Kernel info:
; codeLenInByte = 0
; NumSgprs: 4
; NumVgprs: 0
; NumAgprs: 0
; TotalNumVgprs: 0
; ScratchSize: 0
; MemoryBound: 0
; FloatMode: 240
; IeeeMode: 1
; LDSByteSize: 0 bytes/workgroup (compile time only)
; SGPRBlocks: 0
; VGPRBlocks: 0
; NumSGPRsForWavesPerEU: 4
; NumVGPRsForWavesPerEU: 1
; AccumOffset: 4
; Occupancy: 8
; WaveLimiterHint : 0
; COMPUTE_PGM_RSRC2:SCRATCH_EN: 0
; COMPUTE_PGM_RSRC2:USER_SGPR: 6
; COMPUTE_PGM_RSRC2:TRAP_HANDLER: 0
; COMPUTE_PGM_RSRC2:TGID_X_EN: 1
; COMPUTE_PGM_RSRC2:TGID_Y_EN: 0
; COMPUTE_PGM_RSRC2:TGID_Z_EN: 0
; COMPUTE_PGM_RSRC2:TIDIG_COMP_CNT: 0
; COMPUTE_PGM_RSRC3_GFX90A:ACCUM_OFFSET: 0
; COMPUTE_PGM_RSRC3_GFX90A:TG_SPLIT: 0
	.section	.text._ZN7rocprim17ROCPRIM_400000_NS6detail17trampoline_kernelINS0_14default_configENS1_25partition_config_selectorILNS1_17partition_subalgoE1EsNS0_10empty_typeEbEEZZNS1_14partition_implILS5_1ELb0ES3_jN6thrust23THRUST_200600_302600_NS6detail15normal_iteratorINSA_10device_ptrIsEEEEPS6_NSA_18transform_iteratorI7is_evenIsESF_NSA_11use_defaultESK_EENS0_5tupleIJNSA_16discard_iteratorISK_EESO_EEENSM_IJSG_SG_EEES6_PlJS6_EEE10hipError_tPvRmT3_T4_T5_T6_T7_T9_mT8_P12ihipStream_tbDpT10_ENKUlT_T0_E_clISt17integral_constantIbLb0EES1B_EEDaS16_S17_EUlS16_E_NS1_11comp_targetILNS1_3genE10ELNS1_11target_archE1200ELNS1_3gpuE4ELNS1_3repE0EEENS1_30default_config_static_selectorELNS0_4arch9wavefront6targetE1EEEvT1_,"axG",@progbits,_ZN7rocprim17ROCPRIM_400000_NS6detail17trampoline_kernelINS0_14default_configENS1_25partition_config_selectorILNS1_17partition_subalgoE1EsNS0_10empty_typeEbEEZZNS1_14partition_implILS5_1ELb0ES3_jN6thrust23THRUST_200600_302600_NS6detail15normal_iteratorINSA_10device_ptrIsEEEEPS6_NSA_18transform_iteratorI7is_evenIsESF_NSA_11use_defaultESK_EENS0_5tupleIJNSA_16discard_iteratorISK_EESO_EEENSM_IJSG_SG_EEES6_PlJS6_EEE10hipError_tPvRmT3_T4_T5_T6_T7_T9_mT8_P12ihipStream_tbDpT10_ENKUlT_T0_E_clISt17integral_constantIbLb0EES1B_EEDaS16_S17_EUlS16_E_NS1_11comp_targetILNS1_3genE10ELNS1_11target_archE1200ELNS1_3gpuE4ELNS1_3repE0EEENS1_30default_config_static_selectorELNS0_4arch9wavefront6targetE1EEEvT1_,comdat
	.protected	_ZN7rocprim17ROCPRIM_400000_NS6detail17trampoline_kernelINS0_14default_configENS1_25partition_config_selectorILNS1_17partition_subalgoE1EsNS0_10empty_typeEbEEZZNS1_14partition_implILS5_1ELb0ES3_jN6thrust23THRUST_200600_302600_NS6detail15normal_iteratorINSA_10device_ptrIsEEEEPS6_NSA_18transform_iteratorI7is_evenIsESF_NSA_11use_defaultESK_EENS0_5tupleIJNSA_16discard_iteratorISK_EESO_EEENSM_IJSG_SG_EEES6_PlJS6_EEE10hipError_tPvRmT3_T4_T5_T6_T7_T9_mT8_P12ihipStream_tbDpT10_ENKUlT_T0_E_clISt17integral_constantIbLb0EES1B_EEDaS16_S17_EUlS16_E_NS1_11comp_targetILNS1_3genE10ELNS1_11target_archE1200ELNS1_3gpuE4ELNS1_3repE0EEENS1_30default_config_static_selectorELNS0_4arch9wavefront6targetE1EEEvT1_ ; -- Begin function _ZN7rocprim17ROCPRIM_400000_NS6detail17trampoline_kernelINS0_14default_configENS1_25partition_config_selectorILNS1_17partition_subalgoE1EsNS0_10empty_typeEbEEZZNS1_14partition_implILS5_1ELb0ES3_jN6thrust23THRUST_200600_302600_NS6detail15normal_iteratorINSA_10device_ptrIsEEEEPS6_NSA_18transform_iteratorI7is_evenIsESF_NSA_11use_defaultESK_EENS0_5tupleIJNSA_16discard_iteratorISK_EESO_EEENSM_IJSG_SG_EEES6_PlJS6_EEE10hipError_tPvRmT3_T4_T5_T6_T7_T9_mT8_P12ihipStream_tbDpT10_ENKUlT_T0_E_clISt17integral_constantIbLb0EES1B_EEDaS16_S17_EUlS16_E_NS1_11comp_targetILNS1_3genE10ELNS1_11target_archE1200ELNS1_3gpuE4ELNS1_3repE0EEENS1_30default_config_static_selectorELNS0_4arch9wavefront6targetE1EEEvT1_
	.globl	_ZN7rocprim17ROCPRIM_400000_NS6detail17trampoline_kernelINS0_14default_configENS1_25partition_config_selectorILNS1_17partition_subalgoE1EsNS0_10empty_typeEbEEZZNS1_14partition_implILS5_1ELb0ES3_jN6thrust23THRUST_200600_302600_NS6detail15normal_iteratorINSA_10device_ptrIsEEEEPS6_NSA_18transform_iteratorI7is_evenIsESF_NSA_11use_defaultESK_EENS0_5tupleIJNSA_16discard_iteratorISK_EESO_EEENSM_IJSG_SG_EEES6_PlJS6_EEE10hipError_tPvRmT3_T4_T5_T6_T7_T9_mT8_P12ihipStream_tbDpT10_ENKUlT_T0_E_clISt17integral_constantIbLb0EES1B_EEDaS16_S17_EUlS16_E_NS1_11comp_targetILNS1_3genE10ELNS1_11target_archE1200ELNS1_3gpuE4ELNS1_3repE0EEENS1_30default_config_static_selectorELNS0_4arch9wavefront6targetE1EEEvT1_
	.p2align	8
	.type	_ZN7rocprim17ROCPRIM_400000_NS6detail17trampoline_kernelINS0_14default_configENS1_25partition_config_selectorILNS1_17partition_subalgoE1EsNS0_10empty_typeEbEEZZNS1_14partition_implILS5_1ELb0ES3_jN6thrust23THRUST_200600_302600_NS6detail15normal_iteratorINSA_10device_ptrIsEEEEPS6_NSA_18transform_iteratorI7is_evenIsESF_NSA_11use_defaultESK_EENS0_5tupleIJNSA_16discard_iteratorISK_EESO_EEENSM_IJSG_SG_EEES6_PlJS6_EEE10hipError_tPvRmT3_T4_T5_T6_T7_T9_mT8_P12ihipStream_tbDpT10_ENKUlT_T0_E_clISt17integral_constantIbLb0EES1B_EEDaS16_S17_EUlS16_E_NS1_11comp_targetILNS1_3genE10ELNS1_11target_archE1200ELNS1_3gpuE4ELNS1_3repE0EEENS1_30default_config_static_selectorELNS0_4arch9wavefront6targetE1EEEvT1_,@function
_ZN7rocprim17ROCPRIM_400000_NS6detail17trampoline_kernelINS0_14default_configENS1_25partition_config_selectorILNS1_17partition_subalgoE1EsNS0_10empty_typeEbEEZZNS1_14partition_implILS5_1ELb0ES3_jN6thrust23THRUST_200600_302600_NS6detail15normal_iteratorINSA_10device_ptrIsEEEEPS6_NSA_18transform_iteratorI7is_evenIsESF_NSA_11use_defaultESK_EENS0_5tupleIJNSA_16discard_iteratorISK_EESO_EEENSM_IJSG_SG_EEES6_PlJS6_EEE10hipError_tPvRmT3_T4_T5_T6_T7_T9_mT8_P12ihipStream_tbDpT10_ENKUlT_T0_E_clISt17integral_constantIbLb0EES1B_EEDaS16_S17_EUlS16_E_NS1_11comp_targetILNS1_3genE10ELNS1_11target_archE1200ELNS1_3gpuE4ELNS1_3repE0EEENS1_30default_config_static_selectorELNS0_4arch9wavefront6targetE1EEEvT1_: ; @_ZN7rocprim17ROCPRIM_400000_NS6detail17trampoline_kernelINS0_14default_configENS1_25partition_config_selectorILNS1_17partition_subalgoE1EsNS0_10empty_typeEbEEZZNS1_14partition_implILS5_1ELb0ES3_jN6thrust23THRUST_200600_302600_NS6detail15normal_iteratorINSA_10device_ptrIsEEEEPS6_NSA_18transform_iteratorI7is_evenIsESF_NSA_11use_defaultESK_EENS0_5tupleIJNSA_16discard_iteratorISK_EESO_EEENSM_IJSG_SG_EEES6_PlJS6_EEE10hipError_tPvRmT3_T4_T5_T6_T7_T9_mT8_P12ihipStream_tbDpT10_ENKUlT_T0_E_clISt17integral_constantIbLb0EES1B_EEDaS16_S17_EUlS16_E_NS1_11comp_targetILNS1_3genE10ELNS1_11target_archE1200ELNS1_3gpuE4ELNS1_3repE0EEENS1_30default_config_static_selectorELNS0_4arch9wavefront6targetE1EEEvT1_
; %bb.0:
	.section	.rodata,"a",@progbits
	.p2align	6, 0x0
	.amdhsa_kernel _ZN7rocprim17ROCPRIM_400000_NS6detail17trampoline_kernelINS0_14default_configENS1_25partition_config_selectorILNS1_17partition_subalgoE1EsNS0_10empty_typeEbEEZZNS1_14partition_implILS5_1ELb0ES3_jN6thrust23THRUST_200600_302600_NS6detail15normal_iteratorINSA_10device_ptrIsEEEEPS6_NSA_18transform_iteratorI7is_evenIsESF_NSA_11use_defaultESK_EENS0_5tupleIJNSA_16discard_iteratorISK_EESO_EEENSM_IJSG_SG_EEES6_PlJS6_EEE10hipError_tPvRmT3_T4_T5_T6_T7_T9_mT8_P12ihipStream_tbDpT10_ENKUlT_T0_E_clISt17integral_constantIbLb0EES1B_EEDaS16_S17_EUlS16_E_NS1_11comp_targetILNS1_3genE10ELNS1_11target_archE1200ELNS1_3gpuE4ELNS1_3repE0EEENS1_30default_config_static_selectorELNS0_4arch9wavefront6targetE1EEEvT1_
		.amdhsa_group_segment_fixed_size 0
		.amdhsa_private_segment_fixed_size 0
		.amdhsa_kernarg_size 144
		.amdhsa_user_sgpr_count 6
		.amdhsa_user_sgpr_private_segment_buffer 1
		.amdhsa_user_sgpr_dispatch_ptr 0
		.amdhsa_user_sgpr_queue_ptr 0
		.amdhsa_user_sgpr_kernarg_segment_ptr 1
		.amdhsa_user_sgpr_dispatch_id 0
		.amdhsa_user_sgpr_flat_scratch_init 0
		.amdhsa_user_sgpr_kernarg_preload_length 0
		.amdhsa_user_sgpr_kernarg_preload_offset 0
		.amdhsa_user_sgpr_private_segment_size 0
		.amdhsa_uses_dynamic_stack 0
		.amdhsa_system_sgpr_private_segment_wavefront_offset 0
		.amdhsa_system_sgpr_workgroup_id_x 1
		.amdhsa_system_sgpr_workgroup_id_y 0
		.amdhsa_system_sgpr_workgroup_id_z 0
		.amdhsa_system_sgpr_workgroup_info 0
		.amdhsa_system_vgpr_workitem_id 0
		.amdhsa_next_free_vgpr 1
		.amdhsa_next_free_sgpr 0
		.amdhsa_accum_offset 4
		.amdhsa_reserve_vcc 0
		.amdhsa_reserve_flat_scratch 0
		.amdhsa_float_round_mode_32 0
		.amdhsa_float_round_mode_16_64 0
		.amdhsa_float_denorm_mode_32 3
		.amdhsa_float_denorm_mode_16_64 3
		.amdhsa_dx10_clamp 1
		.amdhsa_ieee_mode 1
		.amdhsa_fp16_overflow 0
		.amdhsa_tg_split 0
		.amdhsa_exception_fp_ieee_invalid_op 0
		.amdhsa_exception_fp_denorm_src 0
		.amdhsa_exception_fp_ieee_div_zero 0
		.amdhsa_exception_fp_ieee_overflow 0
		.amdhsa_exception_fp_ieee_underflow 0
		.amdhsa_exception_fp_ieee_inexact 0
		.amdhsa_exception_int_div_zero 0
	.end_amdhsa_kernel
	.section	.text._ZN7rocprim17ROCPRIM_400000_NS6detail17trampoline_kernelINS0_14default_configENS1_25partition_config_selectorILNS1_17partition_subalgoE1EsNS0_10empty_typeEbEEZZNS1_14partition_implILS5_1ELb0ES3_jN6thrust23THRUST_200600_302600_NS6detail15normal_iteratorINSA_10device_ptrIsEEEEPS6_NSA_18transform_iteratorI7is_evenIsESF_NSA_11use_defaultESK_EENS0_5tupleIJNSA_16discard_iteratorISK_EESO_EEENSM_IJSG_SG_EEES6_PlJS6_EEE10hipError_tPvRmT3_T4_T5_T6_T7_T9_mT8_P12ihipStream_tbDpT10_ENKUlT_T0_E_clISt17integral_constantIbLb0EES1B_EEDaS16_S17_EUlS16_E_NS1_11comp_targetILNS1_3genE10ELNS1_11target_archE1200ELNS1_3gpuE4ELNS1_3repE0EEENS1_30default_config_static_selectorELNS0_4arch9wavefront6targetE1EEEvT1_,"axG",@progbits,_ZN7rocprim17ROCPRIM_400000_NS6detail17trampoline_kernelINS0_14default_configENS1_25partition_config_selectorILNS1_17partition_subalgoE1EsNS0_10empty_typeEbEEZZNS1_14partition_implILS5_1ELb0ES3_jN6thrust23THRUST_200600_302600_NS6detail15normal_iteratorINSA_10device_ptrIsEEEEPS6_NSA_18transform_iteratorI7is_evenIsESF_NSA_11use_defaultESK_EENS0_5tupleIJNSA_16discard_iteratorISK_EESO_EEENSM_IJSG_SG_EEES6_PlJS6_EEE10hipError_tPvRmT3_T4_T5_T6_T7_T9_mT8_P12ihipStream_tbDpT10_ENKUlT_T0_E_clISt17integral_constantIbLb0EES1B_EEDaS16_S17_EUlS16_E_NS1_11comp_targetILNS1_3genE10ELNS1_11target_archE1200ELNS1_3gpuE4ELNS1_3repE0EEENS1_30default_config_static_selectorELNS0_4arch9wavefront6targetE1EEEvT1_,comdat
.Lfunc_end3360:
	.size	_ZN7rocprim17ROCPRIM_400000_NS6detail17trampoline_kernelINS0_14default_configENS1_25partition_config_selectorILNS1_17partition_subalgoE1EsNS0_10empty_typeEbEEZZNS1_14partition_implILS5_1ELb0ES3_jN6thrust23THRUST_200600_302600_NS6detail15normal_iteratorINSA_10device_ptrIsEEEEPS6_NSA_18transform_iteratorI7is_evenIsESF_NSA_11use_defaultESK_EENS0_5tupleIJNSA_16discard_iteratorISK_EESO_EEENSM_IJSG_SG_EEES6_PlJS6_EEE10hipError_tPvRmT3_T4_T5_T6_T7_T9_mT8_P12ihipStream_tbDpT10_ENKUlT_T0_E_clISt17integral_constantIbLb0EES1B_EEDaS16_S17_EUlS16_E_NS1_11comp_targetILNS1_3genE10ELNS1_11target_archE1200ELNS1_3gpuE4ELNS1_3repE0EEENS1_30default_config_static_selectorELNS0_4arch9wavefront6targetE1EEEvT1_, .Lfunc_end3360-_ZN7rocprim17ROCPRIM_400000_NS6detail17trampoline_kernelINS0_14default_configENS1_25partition_config_selectorILNS1_17partition_subalgoE1EsNS0_10empty_typeEbEEZZNS1_14partition_implILS5_1ELb0ES3_jN6thrust23THRUST_200600_302600_NS6detail15normal_iteratorINSA_10device_ptrIsEEEEPS6_NSA_18transform_iteratorI7is_evenIsESF_NSA_11use_defaultESK_EENS0_5tupleIJNSA_16discard_iteratorISK_EESO_EEENSM_IJSG_SG_EEES6_PlJS6_EEE10hipError_tPvRmT3_T4_T5_T6_T7_T9_mT8_P12ihipStream_tbDpT10_ENKUlT_T0_E_clISt17integral_constantIbLb0EES1B_EEDaS16_S17_EUlS16_E_NS1_11comp_targetILNS1_3genE10ELNS1_11target_archE1200ELNS1_3gpuE4ELNS1_3repE0EEENS1_30default_config_static_selectorELNS0_4arch9wavefront6targetE1EEEvT1_
                                        ; -- End function
	.section	.AMDGPU.csdata,"",@progbits
; Kernel info:
; codeLenInByte = 0
; NumSgprs: 4
; NumVgprs: 0
; NumAgprs: 0
; TotalNumVgprs: 0
; ScratchSize: 0
; MemoryBound: 0
; FloatMode: 240
; IeeeMode: 1
; LDSByteSize: 0 bytes/workgroup (compile time only)
; SGPRBlocks: 0
; VGPRBlocks: 0
; NumSGPRsForWavesPerEU: 4
; NumVGPRsForWavesPerEU: 1
; AccumOffset: 4
; Occupancy: 8
; WaveLimiterHint : 0
; COMPUTE_PGM_RSRC2:SCRATCH_EN: 0
; COMPUTE_PGM_RSRC2:USER_SGPR: 6
; COMPUTE_PGM_RSRC2:TRAP_HANDLER: 0
; COMPUTE_PGM_RSRC2:TGID_X_EN: 1
; COMPUTE_PGM_RSRC2:TGID_Y_EN: 0
; COMPUTE_PGM_RSRC2:TGID_Z_EN: 0
; COMPUTE_PGM_RSRC2:TIDIG_COMP_CNT: 0
; COMPUTE_PGM_RSRC3_GFX90A:ACCUM_OFFSET: 0
; COMPUTE_PGM_RSRC3_GFX90A:TG_SPLIT: 0
	.section	.text._ZN7rocprim17ROCPRIM_400000_NS6detail17trampoline_kernelINS0_14default_configENS1_25partition_config_selectorILNS1_17partition_subalgoE1EsNS0_10empty_typeEbEEZZNS1_14partition_implILS5_1ELb0ES3_jN6thrust23THRUST_200600_302600_NS6detail15normal_iteratorINSA_10device_ptrIsEEEEPS6_NSA_18transform_iteratorI7is_evenIsESF_NSA_11use_defaultESK_EENS0_5tupleIJNSA_16discard_iteratorISK_EESO_EEENSM_IJSG_SG_EEES6_PlJS6_EEE10hipError_tPvRmT3_T4_T5_T6_T7_T9_mT8_P12ihipStream_tbDpT10_ENKUlT_T0_E_clISt17integral_constantIbLb0EES1B_EEDaS16_S17_EUlS16_E_NS1_11comp_targetILNS1_3genE9ELNS1_11target_archE1100ELNS1_3gpuE3ELNS1_3repE0EEENS1_30default_config_static_selectorELNS0_4arch9wavefront6targetE1EEEvT1_,"axG",@progbits,_ZN7rocprim17ROCPRIM_400000_NS6detail17trampoline_kernelINS0_14default_configENS1_25partition_config_selectorILNS1_17partition_subalgoE1EsNS0_10empty_typeEbEEZZNS1_14partition_implILS5_1ELb0ES3_jN6thrust23THRUST_200600_302600_NS6detail15normal_iteratorINSA_10device_ptrIsEEEEPS6_NSA_18transform_iteratorI7is_evenIsESF_NSA_11use_defaultESK_EENS0_5tupleIJNSA_16discard_iteratorISK_EESO_EEENSM_IJSG_SG_EEES6_PlJS6_EEE10hipError_tPvRmT3_T4_T5_T6_T7_T9_mT8_P12ihipStream_tbDpT10_ENKUlT_T0_E_clISt17integral_constantIbLb0EES1B_EEDaS16_S17_EUlS16_E_NS1_11comp_targetILNS1_3genE9ELNS1_11target_archE1100ELNS1_3gpuE3ELNS1_3repE0EEENS1_30default_config_static_selectorELNS0_4arch9wavefront6targetE1EEEvT1_,comdat
	.protected	_ZN7rocprim17ROCPRIM_400000_NS6detail17trampoline_kernelINS0_14default_configENS1_25partition_config_selectorILNS1_17partition_subalgoE1EsNS0_10empty_typeEbEEZZNS1_14partition_implILS5_1ELb0ES3_jN6thrust23THRUST_200600_302600_NS6detail15normal_iteratorINSA_10device_ptrIsEEEEPS6_NSA_18transform_iteratorI7is_evenIsESF_NSA_11use_defaultESK_EENS0_5tupleIJNSA_16discard_iteratorISK_EESO_EEENSM_IJSG_SG_EEES6_PlJS6_EEE10hipError_tPvRmT3_T4_T5_T6_T7_T9_mT8_P12ihipStream_tbDpT10_ENKUlT_T0_E_clISt17integral_constantIbLb0EES1B_EEDaS16_S17_EUlS16_E_NS1_11comp_targetILNS1_3genE9ELNS1_11target_archE1100ELNS1_3gpuE3ELNS1_3repE0EEENS1_30default_config_static_selectorELNS0_4arch9wavefront6targetE1EEEvT1_ ; -- Begin function _ZN7rocprim17ROCPRIM_400000_NS6detail17trampoline_kernelINS0_14default_configENS1_25partition_config_selectorILNS1_17partition_subalgoE1EsNS0_10empty_typeEbEEZZNS1_14partition_implILS5_1ELb0ES3_jN6thrust23THRUST_200600_302600_NS6detail15normal_iteratorINSA_10device_ptrIsEEEEPS6_NSA_18transform_iteratorI7is_evenIsESF_NSA_11use_defaultESK_EENS0_5tupleIJNSA_16discard_iteratorISK_EESO_EEENSM_IJSG_SG_EEES6_PlJS6_EEE10hipError_tPvRmT3_T4_T5_T6_T7_T9_mT8_P12ihipStream_tbDpT10_ENKUlT_T0_E_clISt17integral_constantIbLb0EES1B_EEDaS16_S17_EUlS16_E_NS1_11comp_targetILNS1_3genE9ELNS1_11target_archE1100ELNS1_3gpuE3ELNS1_3repE0EEENS1_30default_config_static_selectorELNS0_4arch9wavefront6targetE1EEEvT1_
	.globl	_ZN7rocprim17ROCPRIM_400000_NS6detail17trampoline_kernelINS0_14default_configENS1_25partition_config_selectorILNS1_17partition_subalgoE1EsNS0_10empty_typeEbEEZZNS1_14partition_implILS5_1ELb0ES3_jN6thrust23THRUST_200600_302600_NS6detail15normal_iteratorINSA_10device_ptrIsEEEEPS6_NSA_18transform_iteratorI7is_evenIsESF_NSA_11use_defaultESK_EENS0_5tupleIJNSA_16discard_iteratorISK_EESO_EEENSM_IJSG_SG_EEES6_PlJS6_EEE10hipError_tPvRmT3_T4_T5_T6_T7_T9_mT8_P12ihipStream_tbDpT10_ENKUlT_T0_E_clISt17integral_constantIbLb0EES1B_EEDaS16_S17_EUlS16_E_NS1_11comp_targetILNS1_3genE9ELNS1_11target_archE1100ELNS1_3gpuE3ELNS1_3repE0EEENS1_30default_config_static_selectorELNS0_4arch9wavefront6targetE1EEEvT1_
	.p2align	8
	.type	_ZN7rocprim17ROCPRIM_400000_NS6detail17trampoline_kernelINS0_14default_configENS1_25partition_config_selectorILNS1_17partition_subalgoE1EsNS0_10empty_typeEbEEZZNS1_14partition_implILS5_1ELb0ES3_jN6thrust23THRUST_200600_302600_NS6detail15normal_iteratorINSA_10device_ptrIsEEEEPS6_NSA_18transform_iteratorI7is_evenIsESF_NSA_11use_defaultESK_EENS0_5tupleIJNSA_16discard_iteratorISK_EESO_EEENSM_IJSG_SG_EEES6_PlJS6_EEE10hipError_tPvRmT3_T4_T5_T6_T7_T9_mT8_P12ihipStream_tbDpT10_ENKUlT_T0_E_clISt17integral_constantIbLb0EES1B_EEDaS16_S17_EUlS16_E_NS1_11comp_targetILNS1_3genE9ELNS1_11target_archE1100ELNS1_3gpuE3ELNS1_3repE0EEENS1_30default_config_static_selectorELNS0_4arch9wavefront6targetE1EEEvT1_,@function
_ZN7rocprim17ROCPRIM_400000_NS6detail17trampoline_kernelINS0_14default_configENS1_25partition_config_selectorILNS1_17partition_subalgoE1EsNS0_10empty_typeEbEEZZNS1_14partition_implILS5_1ELb0ES3_jN6thrust23THRUST_200600_302600_NS6detail15normal_iteratorINSA_10device_ptrIsEEEEPS6_NSA_18transform_iteratorI7is_evenIsESF_NSA_11use_defaultESK_EENS0_5tupleIJNSA_16discard_iteratorISK_EESO_EEENSM_IJSG_SG_EEES6_PlJS6_EEE10hipError_tPvRmT3_T4_T5_T6_T7_T9_mT8_P12ihipStream_tbDpT10_ENKUlT_T0_E_clISt17integral_constantIbLb0EES1B_EEDaS16_S17_EUlS16_E_NS1_11comp_targetILNS1_3genE9ELNS1_11target_archE1100ELNS1_3gpuE3ELNS1_3repE0EEENS1_30default_config_static_selectorELNS0_4arch9wavefront6targetE1EEEvT1_: ; @_ZN7rocprim17ROCPRIM_400000_NS6detail17trampoline_kernelINS0_14default_configENS1_25partition_config_selectorILNS1_17partition_subalgoE1EsNS0_10empty_typeEbEEZZNS1_14partition_implILS5_1ELb0ES3_jN6thrust23THRUST_200600_302600_NS6detail15normal_iteratorINSA_10device_ptrIsEEEEPS6_NSA_18transform_iteratorI7is_evenIsESF_NSA_11use_defaultESK_EENS0_5tupleIJNSA_16discard_iteratorISK_EESO_EEENSM_IJSG_SG_EEES6_PlJS6_EEE10hipError_tPvRmT3_T4_T5_T6_T7_T9_mT8_P12ihipStream_tbDpT10_ENKUlT_T0_E_clISt17integral_constantIbLb0EES1B_EEDaS16_S17_EUlS16_E_NS1_11comp_targetILNS1_3genE9ELNS1_11target_archE1100ELNS1_3gpuE3ELNS1_3repE0EEENS1_30default_config_static_selectorELNS0_4arch9wavefront6targetE1EEEvT1_
; %bb.0:
	.section	.rodata,"a",@progbits
	.p2align	6, 0x0
	.amdhsa_kernel _ZN7rocprim17ROCPRIM_400000_NS6detail17trampoline_kernelINS0_14default_configENS1_25partition_config_selectorILNS1_17partition_subalgoE1EsNS0_10empty_typeEbEEZZNS1_14partition_implILS5_1ELb0ES3_jN6thrust23THRUST_200600_302600_NS6detail15normal_iteratorINSA_10device_ptrIsEEEEPS6_NSA_18transform_iteratorI7is_evenIsESF_NSA_11use_defaultESK_EENS0_5tupleIJNSA_16discard_iteratorISK_EESO_EEENSM_IJSG_SG_EEES6_PlJS6_EEE10hipError_tPvRmT3_T4_T5_T6_T7_T9_mT8_P12ihipStream_tbDpT10_ENKUlT_T0_E_clISt17integral_constantIbLb0EES1B_EEDaS16_S17_EUlS16_E_NS1_11comp_targetILNS1_3genE9ELNS1_11target_archE1100ELNS1_3gpuE3ELNS1_3repE0EEENS1_30default_config_static_selectorELNS0_4arch9wavefront6targetE1EEEvT1_
		.amdhsa_group_segment_fixed_size 0
		.amdhsa_private_segment_fixed_size 0
		.amdhsa_kernarg_size 144
		.amdhsa_user_sgpr_count 6
		.amdhsa_user_sgpr_private_segment_buffer 1
		.amdhsa_user_sgpr_dispatch_ptr 0
		.amdhsa_user_sgpr_queue_ptr 0
		.amdhsa_user_sgpr_kernarg_segment_ptr 1
		.amdhsa_user_sgpr_dispatch_id 0
		.amdhsa_user_sgpr_flat_scratch_init 0
		.amdhsa_user_sgpr_kernarg_preload_length 0
		.amdhsa_user_sgpr_kernarg_preload_offset 0
		.amdhsa_user_sgpr_private_segment_size 0
		.amdhsa_uses_dynamic_stack 0
		.amdhsa_system_sgpr_private_segment_wavefront_offset 0
		.amdhsa_system_sgpr_workgroup_id_x 1
		.amdhsa_system_sgpr_workgroup_id_y 0
		.amdhsa_system_sgpr_workgroup_id_z 0
		.amdhsa_system_sgpr_workgroup_info 0
		.amdhsa_system_vgpr_workitem_id 0
		.amdhsa_next_free_vgpr 1
		.amdhsa_next_free_sgpr 0
		.amdhsa_accum_offset 4
		.amdhsa_reserve_vcc 0
		.amdhsa_reserve_flat_scratch 0
		.amdhsa_float_round_mode_32 0
		.amdhsa_float_round_mode_16_64 0
		.amdhsa_float_denorm_mode_32 3
		.amdhsa_float_denorm_mode_16_64 3
		.amdhsa_dx10_clamp 1
		.amdhsa_ieee_mode 1
		.amdhsa_fp16_overflow 0
		.amdhsa_tg_split 0
		.amdhsa_exception_fp_ieee_invalid_op 0
		.amdhsa_exception_fp_denorm_src 0
		.amdhsa_exception_fp_ieee_div_zero 0
		.amdhsa_exception_fp_ieee_overflow 0
		.amdhsa_exception_fp_ieee_underflow 0
		.amdhsa_exception_fp_ieee_inexact 0
		.amdhsa_exception_int_div_zero 0
	.end_amdhsa_kernel
	.section	.text._ZN7rocprim17ROCPRIM_400000_NS6detail17trampoline_kernelINS0_14default_configENS1_25partition_config_selectorILNS1_17partition_subalgoE1EsNS0_10empty_typeEbEEZZNS1_14partition_implILS5_1ELb0ES3_jN6thrust23THRUST_200600_302600_NS6detail15normal_iteratorINSA_10device_ptrIsEEEEPS6_NSA_18transform_iteratorI7is_evenIsESF_NSA_11use_defaultESK_EENS0_5tupleIJNSA_16discard_iteratorISK_EESO_EEENSM_IJSG_SG_EEES6_PlJS6_EEE10hipError_tPvRmT3_T4_T5_T6_T7_T9_mT8_P12ihipStream_tbDpT10_ENKUlT_T0_E_clISt17integral_constantIbLb0EES1B_EEDaS16_S17_EUlS16_E_NS1_11comp_targetILNS1_3genE9ELNS1_11target_archE1100ELNS1_3gpuE3ELNS1_3repE0EEENS1_30default_config_static_selectorELNS0_4arch9wavefront6targetE1EEEvT1_,"axG",@progbits,_ZN7rocprim17ROCPRIM_400000_NS6detail17trampoline_kernelINS0_14default_configENS1_25partition_config_selectorILNS1_17partition_subalgoE1EsNS0_10empty_typeEbEEZZNS1_14partition_implILS5_1ELb0ES3_jN6thrust23THRUST_200600_302600_NS6detail15normal_iteratorINSA_10device_ptrIsEEEEPS6_NSA_18transform_iteratorI7is_evenIsESF_NSA_11use_defaultESK_EENS0_5tupleIJNSA_16discard_iteratorISK_EESO_EEENSM_IJSG_SG_EEES6_PlJS6_EEE10hipError_tPvRmT3_T4_T5_T6_T7_T9_mT8_P12ihipStream_tbDpT10_ENKUlT_T0_E_clISt17integral_constantIbLb0EES1B_EEDaS16_S17_EUlS16_E_NS1_11comp_targetILNS1_3genE9ELNS1_11target_archE1100ELNS1_3gpuE3ELNS1_3repE0EEENS1_30default_config_static_selectorELNS0_4arch9wavefront6targetE1EEEvT1_,comdat
.Lfunc_end3361:
	.size	_ZN7rocprim17ROCPRIM_400000_NS6detail17trampoline_kernelINS0_14default_configENS1_25partition_config_selectorILNS1_17partition_subalgoE1EsNS0_10empty_typeEbEEZZNS1_14partition_implILS5_1ELb0ES3_jN6thrust23THRUST_200600_302600_NS6detail15normal_iteratorINSA_10device_ptrIsEEEEPS6_NSA_18transform_iteratorI7is_evenIsESF_NSA_11use_defaultESK_EENS0_5tupleIJNSA_16discard_iteratorISK_EESO_EEENSM_IJSG_SG_EEES6_PlJS6_EEE10hipError_tPvRmT3_T4_T5_T6_T7_T9_mT8_P12ihipStream_tbDpT10_ENKUlT_T0_E_clISt17integral_constantIbLb0EES1B_EEDaS16_S17_EUlS16_E_NS1_11comp_targetILNS1_3genE9ELNS1_11target_archE1100ELNS1_3gpuE3ELNS1_3repE0EEENS1_30default_config_static_selectorELNS0_4arch9wavefront6targetE1EEEvT1_, .Lfunc_end3361-_ZN7rocprim17ROCPRIM_400000_NS6detail17trampoline_kernelINS0_14default_configENS1_25partition_config_selectorILNS1_17partition_subalgoE1EsNS0_10empty_typeEbEEZZNS1_14partition_implILS5_1ELb0ES3_jN6thrust23THRUST_200600_302600_NS6detail15normal_iteratorINSA_10device_ptrIsEEEEPS6_NSA_18transform_iteratorI7is_evenIsESF_NSA_11use_defaultESK_EENS0_5tupleIJNSA_16discard_iteratorISK_EESO_EEENSM_IJSG_SG_EEES6_PlJS6_EEE10hipError_tPvRmT3_T4_T5_T6_T7_T9_mT8_P12ihipStream_tbDpT10_ENKUlT_T0_E_clISt17integral_constantIbLb0EES1B_EEDaS16_S17_EUlS16_E_NS1_11comp_targetILNS1_3genE9ELNS1_11target_archE1100ELNS1_3gpuE3ELNS1_3repE0EEENS1_30default_config_static_selectorELNS0_4arch9wavefront6targetE1EEEvT1_
                                        ; -- End function
	.section	.AMDGPU.csdata,"",@progbits
; Kernel info:
; codeLenInByte = 0
; NumSgprs: 4
; NumVgprs: 0
; NumAgprs: 0
; TotalNumVgprs: 0
; ScratchSize: 0
; MemoryBound: 0
; FloatMode: 240
; IeeeMode: 1
; LDSByteSize: 0 bytes/workgroup (compile time only)
; SGPRBlocks: 0
; VGPRBlocks: 0
; NumSGPRsForWavesPerEU: 4
; NumVGPRsForWavesPerEU: 1
; AccumOffset: 4
; Occupancy: 8
; WaveLimiterHint : 0
; COMPUTE_PGM_RSRC2:SCRATCH_EN: 0
; COMPUTE_PGM_RSRC2:USER_SGPR: 6
; COMPUTE_PGM_RSRC2:TRAP_HANDLER: 0
; COMPUTE_PGM_RSRC2:TGID_X_EN: 1
; COMPUTE_PGM_RSRC2:TGID_Y_EN: 0
; COMPUTE_PGM_RSRC2:TGID_Z_EN: 0
; COMPUTE_PGM_RSRC2:TIDIG_COMP_CNT: 0
; COMPUTE_PGM_RSRC3_GFX90A:ACCUM_OFFSET: 0
; COMPUTE_PGM_RSRC3_GFX90A:TG_SPLIT: 0
	.section	.text._ZN7rocprim17ROCPRIM_400000_NS6detail17trampoline_kernelINS0_14default_configENS1_25partition_config_selectorILNS1_17partition_subalgoE1EsNS0_10empty_typeEbEEZZNS1_14partition_implILS5_1ELb0ES3_jN6thrust23THRUST_200600_302600_NS6detail15normal_iteratorINSA_10device_ptrIsEEEEPS6_NSA_18transform_iteratorI7is_evenIsESF_NSA_11use_defaultESK_EENS0_5tupleIJNSA_16discard_iteratorISK_EESO_EEENSM_IJSG_SG_EEES6_PlJS6_EEE10hipError_tPvRmT3_T4_T5_T6_T7_T9_mT8_P12ihipStream_tbDpT10_ENKUlT_T0_E_clISt17integral_constantIbLb0EES1B_EEDaS16_S17_EUlS16_E_NS1_11comp_targetILNS1_3genE8ELNS1_11target_archE1030ELNS1_3gpuE2ELNS1_3repE0EEENS1_30default_config_static_selectorELNS0_4arch9wavefront6targetE1EEEvT1_,"axG",@progbits,_ZN7rocprim17ROCPRIM_400000_NS6detail17trampoline_kernelINS0_14default_configENS1_25partition_config_selectorILNS1_17partition_subalgoE1EsNS0_10empty_typeEbEEZZNS1_14partition_implILS5_1ELb0ES3_jN6thrust23THRUST_200600_302600_NS6detail15normal_iteratorINSA_10device_ptrIsEEEEPS6_NSA_18transform_iteratorI7is_evenIsESF_NSA_11use_defaultESK_EENS0_5tupleIJNSA_16discard_iteratorISK_EESO_EEENSM_IJSG_SG_EEES6_PlJS6_EEE10hipError_tPvRmT3_T4_T5_T6_T7_T9_mT8_P12ihipStream_tbDpT10_ENKUlT_T0_E_clISt17integral_constantIbLb0EES1B_EEDaS16_S17_EUlS16_E_NS1_11comp_targetILNS1_3genE8ELNS1_11target_archE1030ELNS1_3gpuE2ELNS1_3repE0EEENS1_30default_config_static_selectorELNS0_4arch9wavefront6targetE1EEEvT1_,comdat
	.protected	_ZN7rocprim17ROCPRIM_400000_NS6detail17trampoline_kernelINS0_14default_configENS1_25partition_config_selectorILNS1_17partition_subalgoE1EsNS0_10empty_typeEbEEZZNS1_14partition_implILS5_1ELb0ES3_jN6thrust23THRUST_200600_302600_NS6detail15normal_iteratorINSA_10device_ptrIsEEEEPS6_NSA_18transform_iteratorI7is_evenIsESF_NSA_11use_defaultESK_EENS0_5tupleIJNSA_16discard_iteratorISK_EESO_EEENSM_IJSG_SG_EEES6_PlJS6_EEE10hipError_tPvRmT3_T4_T5_T6_T7_T9_mT8_P12ihipStream_tbDpT10_ENKUlT_T0_E_clISt17integral_constantIbLb0EES1B_EEDaS16_S17_EUlS16_E_NS1_11comp_targetILNS1_3genE8ELNS1_11target_archE1030ELNS1_3gpuE2ELNS1_3repE0EEENS1_30default_config_static_selectorELNS0_4arch9wavefront6targetE1EEEvT1_ ; -- Begin function _ZN7rocprim17ROCPRIM_400000_NS6detail17trampoline_kernelINS0_14default_configENS1_25partition_config_selectorILNS1_17partition_subalgoE1EsNS0_10empty_typeEbEEZZNS1_14partition_implILS5_1ELb0ES3_jN6thrust23THRUST_200600_302600_NS6detail15normal_iteratorINSA_10device_ptrIsEEEEPS6_NSA_18transform_iteratorI7is_evenIsESF_NSA_11use_defaultESK_EENS0_5tupleIJNSA_16discard_iteratorISK_EESO_EEENSM_IJSG_SG_EEES6_PlJS6_EEE10hipError_tPvRmT3_T4_T5_T6_T7_T9_mT8_P12ihipStream_tbDpT10_ENKUlT_T0_E_clISt17integral_constantIbLb0EES1B_EEDaS16_S17_EUlS16_E_NS1_11comp_targetILNS1_3genE8ELNS1_11target_archE1030ELNS1_3gpuE2ELNS1_3repE0EEENS1_30default_config_static_selectorELNS0_4arch9wavefront6targetE1EEEvT1_
	.globl	_ZN7rocprim17ROCPRIM_400000_NS6detail17trampoline_kernelINS0_14default_configENS1_25partition_config_selectorILNS1_17partition_subalgoE1EsNS0_10empty_typeEbEEZZNS1_14partition_implILS5_1ELb0ES3_jN6thrust23THRUST_200600_302600_NS6detail15normal_iteratorINSA_10device_ptrIsEEEEPS6_NSA_18transform_iteratorI7is_evenIsESF_NSA_11use_defaultESK_EENS0_5tupleIJNSA_16discard_iteratorISK_EESO_EEENSM_IJSG_SG_EEES6_PlJS6_EEE10hipError_tPvRmT3_T4_T5_T6_T7_T9_mT8_P12ihipStream_tbDpT10_ENKUlT_T0_E_clISt17integral_constantIbLb0EES1B_EEDaS16_S17_EUlS16_E_NS1_11comp_targetILNS1_3genE8ELNS1_11target_archE1030ELNS1_3gpuE2ELNS1_3repE0EEENS1_30default_config_static_selectorELNS0_4arch9wavefront6targetE1EEEvT1_
	.p2align	8
	.type	_ZN7rocprim17ROCPRIM_400000_NS6detail17trampoline_kernelINS0_14default_configENS1_25partition_config_selectorILNS1_17partition_subalgoE1EsNS0_10empty_typeEbEEZZNS1_14partition_implILS5_1ELb0ES3_jN6thrust23THRUST_200600_302600_NS6detail15normal_iteratorINSA_10device_ptrIsEEEEPS6_NSA_18transform_iteratorI7is_evenIsESF_NSA_11use_defaultESK_EENS0_5tupleIJNSA_16discard_iteratorISK_EESO_EEENSM_IJSG_SG_EEES6_PlJS6_EEE10hipError_tPvRmT3_T4_T5_T6_T7_T9_mT8_P12ihipStream_tbDpT10_ENKUlT_T0_E_clISt17integral_constantIbLb0EES1B_EEDaS16_S17_EUlS16_E_NS1_11comp_targetILNS1_3genE8ELNS1_11target_archE1030ELNS1_3gpuE2ELNS1_3repE0EEENS1_30default_config_static_selectorELNS0_4arch9wavefront6targetE1EEEvT1_,@function
_ZN7rocprim17ROCPRIM_400000_NS6detail17trampoline_kernelINS0_14default_configENS1_25partition_config_selectorILNS1_17partition_subalgoE1EsNS0_10empty_typeEbEEZZNS1_14partition_implILS5_1ELb0ES3_jN6thrust23THRUST_200600_302600_NS6detail15normal_iteratorINSA_10device_ptrIsEEEEPS6_NSA_18transform_iteratorI7is_evenIsESF_NSA_11use_defaultESK_EENS0_5tupleIJNSA_16discard_iteratorISK_EESO_EEENSM_IJSG_SG_EEES6_PlJS6_EEE10hipError_tPvRmT3_T4_T5_T6_T7_T9_mT8_P12ihipStream_tbDpT10_ENKUlT_T0_E_clISt17integral_constantIbLb0EES1B_EEDaS16_S17_EUlS16_E_NS1_11comp_targetILNS1_3genE8ELNS1_11target_archE1030ELNS1_3gpuE2ELNS1_3repE0EEENS1_30default_config_static_selectorELNS0_4arch9wavefront6targetE1EEEvT1_: ; @_ZN7rocprim17ROCPRIM_400000_NS6detail17trampoline_kernelINS0_14default_configENS1_25partition_config_selectorILNS1_17partition_subalgoE1EsNS0_10empty_typeEbEEZZNS1_14partition_implILS5_1ELb0ES3_jN6thrust23THRUST_200600_302600_NS6detail15normal_iteratorINSA_10device_ptrIsEEEEPS6_NSA_18transform_iteratorI7is_evenIsESF_NSA_11use_defaultESK_EENS0_5tupleIJNSA_16discard_iteratorISK_EESO_EEENSM_IJSG_SG_EEES6_PlJS6_EEE10hipError_tPvRmT3_T4_T5_T6_T7_T9_mT8_P12ihipStream_tbDpT10_ENKUlT_T0_E_clISt17integral_constantIbLb0EES1B_EEDaS16_S17_EUlS16_E_NS1_11comp_targetILNS1_3genE8ELNS1_11target_archE1030ELNS1_3gpuE2ELNS1_3repE0EEENS1_30default_config_static_selectorELNS0_4arch9wavefront6targetE1EEEvT1_
; %bb.0:
	.section	.rodata,"a",@progbits
	.p2align	6, 0x0
	.amdhsa_kernel _ZN7rocprim17ROCPRIM_400000_NS6detail17trampoline_kernelINS0_14default_configENS1_25partition_config_selectorILNS1_17partition_subalgoE1EsNS0_10empty_typeEbEEZZNS1_14partition_implILS5_1ELb0ES3_jN6thrust23THRUST_200600_302600_NS6detail15normal_iteratorINSA_10device_ptrIsEEEEPS6_NSA_18transform_iteratorI7is_evenIsESF_NSA_11use_defaultESK_EENS0_5tupleIJNSA_16discard_iteratorISK_EESO_EEENSM_IJSG_SG_EEES6_PlJS6_EEE10hipError_tPvRmT3_T4_T5_T6_T7_T9_mT8_P12ihipStream_tbDpT10_ENKUlT_T0_E_clISt17integral_constantIbLb0EES1B_EEDaS16_S17_EUlS16_E_NS1_11comp_targetILNS1_3genE8ELNS1_11target_archE1030ELNS1_3gpuE2ELNS1_3repE0EEENS1_30default_config_static_selectorELNS0_4arch9wavefront6targetE1EEEvT1_
		.amdhsa_group_segment_fixed_size 0
		.amdhsa_private_segment_fixed_size 0
		.amdhsa_kernarg_size 144
		.amdhsa_user_sgpr_count 6
		.amdhsa_user_sgpr_private_segment_buffer 1
		.amdhsa_user_sgpr_dispatch_ptr 0
		.amdhsa_user_sgpr_queue_ptr 0
		.amdhsa_user_sgpr_kernarg_segment_ptr 1
		.amdhsa_user_sgpr_dispatch_id 0
		.amdhsa_user_sgpr_flat_scratch_init 0
		.amdhsa_user_sgpr_kernarg_preload_length 0
		.amdhsa_user_sgpr_kernarg_preload_offset 0
		.amdhsa_user_sgpr_private_segment_size 0
		.amdhsa_uses_dynamic_stack 0
		.amdhsa_system_sgpr_private_segment_wavefront_offset 0
		.amdhsa_system_sgpr_workgroup_id_x 1
		.amdhsa_system_sgpr_workgroup_id_y 0
		.amdhsa_system_sgpr_workgroup_id_z 0
		.amdhsa_system_sgpr_workgroup_info 0
		.amdhsa_system_vgpr_workitem_id 0
		.amdhsa_next_free_vgpr 1
		.amdhsa_next_free_sgpr 0
		.amdhsa_accum_offset 4
		.amdhsa_reserve_vcc 0
		.amdhsa_reserve_flat_scratch 0
		.amdhsa_float_round_mode_32 0
		.amdhsa_float_round_mode_16_64 0
		.amdhsa_float_denorm_mode_32 3
		.amdhsa_float_denorm_mode_16_64 3
		.amdhsa_dx10_clamp 1
		.amdhsa_ieee_mode 1
		.amdhsa_fp16_overflow 0
		.amdhsa_tg_split 0
		.amdhsa_exception_fp_ieee_invalid_op 0
		.amdhsa_exception_fp_denorm_src 0
		.amdhsa_exception_fp_ieee_div_zero 0
		.amdhsa_exception_fp_ieee_overflow 0
		.amdhsa_exception_fp_ieee_underflow 0
		.amdhsa_exception_fp_ieee_inexact 0
		.amdhsa_exception_int_div_zero 0
	.end_amdhsa_kernel
	.section	.text._ZN7rocprim17ROCPRIM_400000_NS6detail17trampoline_kernelINS0_14default_configENS1_25partition_config_selectorILNS1_17partition_subalgoE1EsNS0_10empty_typeEbEEZZNS1_14partition_implILS5_1ELb0ES3_jN6thrust23THRUST_200600_302600_NS6detail15normal_iteratorINSA_10device_ptrIsEEEEPS6_NSA_18transform_iteratorI7is_evenIsESF_NSA_11use_defaultESK_EENS0_5tupleIJNSA_16discard_iteratorISK_EESO_EEENSM_IJSG_SG_EEES6_PlJS6_EEE10hipError_tPvRmT3_T4_T5_T6_T7_T9_mT8_P12ihipStream_tbDpT10_ENKUlT_T0_E_clISt17integral_constantIbLb0EES1B_EEDaS16_S17_EUlS16_E_NS1_11comp_targetILNS1_3genE8ELNS1_11target_archE1030ELNS1_3gpuE2ELNS1_3repE0EEENS1_30default_config_static_selectorELNS0_4arch9wavefront6targetE1EEEvT1_,"axG",@progbits,_ZN7rocprim17ROCPRIM_400000_NS6detail17trampoline_kernelINS0_14default_configENS1_25partition_config_selectorILNS1_17partition_subalgoE1EsNS0_10empty_typeEbEEZZNS1_14partition_implILS5_1ELb0ES3_jN6thrust23THRUST_200600_302600_NS6detail15normal_iteratorINSA_10device_ptrIsEEEEPS6_NSA_18transform_iteratorI7is_evenIsESF_NSA_11use_defaultESK_EENS0_5tupleIJNSA_16discard_iteratorISK_EESO_EEENSM_IJSG_SG_EEES6_PlJS6_EEE10hipError_tPvRmT3_T4_T5_T6_T7_T9_mT8_P12ihipStream_tbDpT10_ENKUlT_T0_E_clISt17integral_constantIbLb0EES1B_EEDaS16_S17_EUlS16_E_NS1_11comp_targetILNS1_3genE8ELNS1_11target_archE1030ELNS1_3gpuE2ELNS1_3repE0EEENS1_30default_config_static_selectorELNS0_4arch9wavefront6targetE1EEEvT1_,comdat
.Lfunc_end3362:
	.size	_ZN7rocprim17ROCPRIM_400000_NS6detail17trampoline_kernelINS0_14default_configENS1_25partition_config_selectorILNS1_17partition_subalgoE1EsNS0_10empty_typeEbEEZZNS1_14partition_implILS5_1ELb0ES3_jN6thrust23THRUST_200600_302600_NS6detail15normal_iteratorINSA_10device_ptrIsEEEEPS6_NSA_18transform_iteratorI7is_evenIsESF_NSA_11use_defaultESK_EENS0_5tupleIJNSA_16discard_iteratorISK_EESO_EEENSM_IJSG_SG_EEES6_PlJS6_EEE10hipError_tPvRmT3_T4_T5_T6_T7_T9_mT8_P12ihipStream_tbDpT10_ENKUlT_T0_E_clISt17integral_constantIbLb0EES1B_EEDaS16_S17_EUlS16_E_NS1_11comp_targetILNS1_3genE8ELNS1_11target_archE1030ELNS1_3gpuE2ELNS1_3repE0EEENS1_30default_config_static_selectorELNS0_4arch9wavefront6targetE1EEEvT1_, .Lfunc_end3362-_ZN7rocprim17ROCPRIM_400000_NS6detail17trampoline_kernelINS0_14default_configENS1_25partition_config_selectorILNS1_17partition_subalgoE1EsNS0_10empty_typeEbEEZZNS1_14partition_implILS5_1ELb0ES3_jN6thrust23THRUST_200600_302600_NS6detail15normal_iteratorINSA_10device_ptrIsEEEEPS6_NSA_18transform_iteratorI7is_evenIsESF_NSA_11use_defaultESK_EENS0_5tupleIJNSA_16discard_iteratorISK_EESO_EEENSM_IJSG_SG_EEES6_PlJS6_EEE10hipError_tPvRmT3_T4_T5_T6_T7_T9_mT8_P12ihipStream_tbDpT10_ENKUlT_T0_E_clISt17integral_constantIbLb0EES1B_EEDaS16_S17_EUlS16_E_NS1_11comp_targetILNS1_3genE8ELNS1_11target_archE1030ELNS1_3gpuE2ELNS1_3repE0EEENS1_30default_config_static_selectorELNS0_4arch9wavefront6targetE1EEEvT1_
                                        ; -- End function
	.section	.AMDGPU.csdata,"",@progbits
; Kernel info:
; codeLenInByte = 0
; NumSgprs: 4
; NumVgprs: 0
; NumAgprs: 0
; TotalNumVgprs: 0
; ScratchSize: 0
; MemoryBound: 0
; FloatMode: 240
; IeeeMode: 1
; LDSByteSize: 0 bytes/workgroup (compile time only)
; SGPRBlocks: 0
; VGPRBlocks: 0
; NumSGPRsForWavesPerEU: 4
; NumVGPRsForWavesPerEU: 1
; AccumOffset: 4
; Occupancy: 8
; WaveLimiterHint : 0
; COMPUTE_PGM_RSRC2:SCRATCH_EN: 0
; COMPUTE_PGM_RSRC2:USER_SGPR: 6
; COMPUTE_PGM_RSRC2:TRAP_HANDLER: 0
; COMPUTE_PGM_RSRC2:TGID_X_EN: 1
; COMPUTE_PGM_RSRC2:TGID_Y_EN: 0
; COMPUTE_PGM_RSRC2:TGID_Z_EN: 0
; COMPUTE_PGM_RSRC2:TIDIG_COMP_CNT: 0
; COMPUTE_PGM_RSRC3_GFX90A:ACCUM_OFFSET: 0
; COMPUTE_PGM_RSRC3_GFX90A:TG_SPLIT: 0
	.section	.text._ZN7rocprim17ROCPRIM_400000_NS6detail17trampoline_kernelINS0_14default_configENS1_25partition_config_selectorILNS1_17partition_subalgoE1EsNS0_10empty_typeEbEEZZNS1_14partition_implILS5_1ELb0ES3_jN6thrust23THRUST_200600_302600_NS6detail15normal_iteratorINSA_10device_ptrIsEEEEPS6_NSA_18transform_iteratorI7is_evenIsESF_NSA_11use_defaultESK_EENS0_5tupleIJNSA_16discard_iteratorISK_EESO_EEENSM_IJSG_SG_EEES6_PlJS6_EEE10hipError_tPvRmT3_T4_T5_T6_T7_T9_mT8_P12ihipStream_tbDpT10_ENKUlT_T0_E_clISt17integral_constantIbLb1EES1B_EEDaS16_S17_EUlS16_E_NS1_11comp_targetILNS1_3genE0ELNS1_11target_archE4294967295ELNS1_3gpuE0ELNS1_3repE0EEENS1_30default_config_static_selectorELNS0_4arch9wavefront6targetE1EEEvT1_,"axG",@progbits,_ZN7rocprim17ROCPRIM_400000_NS6detail17trampoline_kernelINS0_14default_configENS1_25partition_config_selectorILNS1_17partition_subalgoE1EsNS0_10empty_typeEbEEZZNS1_14partition_implILS5_1ELb0ES3_jN6thrust23THRUST_200600_302600_NS6detail15normal_iteratorINSA_10device_ptrIsEEEEPS6_NSA_18transform_iteratorI7is_evenIsESF_NSA_11use_defaultESK_EENS0_5tupleIJNSA_16discard_iteratorISK_EESO_EEENSM_IJSG_SG_EEES6_PlJS6_EEE10hipError_tPvRmT3_T4_T5_T6_T7_T9_mT8_P12ihipStream_tbDpT10_ENKUlT_T0_E_clISt17integral_constantIbLb1EES1B_EEDaS16_S17_EUlS16_E_NS1_11comp_targetILNS1_3genE0ELNS1_11target_archE4294967295ELNS1_3gpuE0ELNS1_3repE0EEENS1_30default_config_static_selectorELNS0_4arch9wavefront6targetE1EEEvT1_,comdat
	.protected	_ZN7rocprim17ROCPRIM_400000_NS6detail17trampoline_kernelINS0_14default_configENS1_25partition_config_selectorILNS1_17partition_subalgoE1EsNS0_10empty_typeEbEEZZNS1_14partition_implILS5_1ELb0ES3_jN6thrust23THRUST_200600_302600_NS6detail15normal_iteratorINSA_10device_ptrIsEEEEPS6_NSA_18transform_iteratorI7is_evenIsESF_NSA_11use_defaultESK_EENS0_5tupleIJNSA_16discard_iteratorISK_EESO_EEENSM_IJSG_SG_EEES6_PlJS6_EEE10hipError_tPvRmT3_T4_T5_T6_T7_T9_mT8_P12ihipStream_tbDpT10_ENKUlT_T0_E_clISt17integral_constantIbLb1EES1B_EEDaS16_S17_EUlS16_E_NS1_11comp_targetILNS1_3genE0ELNS1_11target_archE4294967295ELNS1_3gpuE0ELNS1_3repE0EEENS1_30default_config_static_selectorELNS0_4arch9wavefront6targetE1EEEvT1_ ; -- Begin function _ZN7rocprim17ROCPRIM_400000_NS6detail17trampoline_kernelINS0_14default_configENS1_25partition_config_selectorILNS1_17partition_subalgoE1EsNS0_10empty_typeEbEEZZNS1_14partition_implILS5_1ELb0ES3_jN6thrust23THRUST_200600_302600_NS6detail15normal_iteratorINSA_10device_ptrIsEEEEPS6_NSA_18transform_iteratorI7is_evenIsESF_NSA_11use_defaultESK_EENS0_5tupleIJNSA_16discard_iteratorISK_EESO_EEENSM_IJSG_SG_EEES6_PlJS6_EEE10hipError_tPvRmT3_T4_T5_T6_T7_T9_mT8_P12ihipStream_tbDpT10_ENKUlT_T0_E_clISt17integral_constantIbLb1EES1B_EEDaS16_S17_EUlS16_E_NS1_11comp_targetILNS1_3genE0ELNS1_11target_archE4294967295ELNS1_3gpuE0ELNS1_3repE0EEENS1_30default_config_static_selectorELNS0_4arch9wavefront6targetE1EEEvT1_
	.globl	_ZN7rocprim17ROCPRIM_400000_NS6detail17trampoline_kernelINS0_14default_configENS1_25partition_config_selectorILNS1_17partition_subalgoE1EsNS0_10empty_typeEbEEZZNS1_14partition_implILS5_1ELb0ES3_jN6thrust23THRUST_200600_302600_NS6detail15normal_iteratorINSA_10device_ptrIsEEEEPS6_NSA_18transform_iteratorI7is_evenIsESF_NSA_11use_defaultESK_EENS0_5tupleIJNSA_16discard_iteratorISK_EESO_EEENSM_IJSG_SG_EEES6_PlJS6_EEE10hipError_tPvRmT3_T4_T5_T6_T7_T9_mT8_P12ihipStream_tbDpT10_ENKUlT_T0_E_clISt17integral_constantIbLb1EES1B_EEDaS16_S17_EUlS16_E_NS1_11comp_targetILNS1_3genE0ELNS1_11target_archE4294967295ELNS1_3gpuE0ELNS1_3repE0EEENS1_30default_config_static_selectorELNS0_4arch9wavefront6targetE1EEEvT1_
	.p2align	8
	.type	_ZN7rocprim17ROCPRIM_400000_NS6detail17trampoline_kernelINS0_14default_configENS1_25partition_config_selectorILNS1_17partition_subalgoE1EsNS0_10empty_typeEbEEZZNS1_14partition_implILS5_1ELb0ES3_jN6thrust23THRUST_200600_302600_NS6detail15normal_iteratorINSA_10device_ptrIsEEEEPS6_NSA_18transform_iteratorI7is_evenIsESF_NSA_11use_defaultESK_EENS0_5tupleIJNSA_16discard_iteratorISK_EESO_EEENSM_IJSG_SG_EEES6_PlJS6_EEE10hipError_tPvRmT3_T4_T5_T6_T7_T9_mT8_P12ihipStream_tbDpT10_ENKUlT_T0_E_clISt17integral_constantIbLb1EES1B_EEDaS16_S17_EUlS16_E_NS1_11comp_targetILNS1_3genE0ELNS1_11target_archE4294967295ELNS1_3gpuE0ELNS1_3repE0EEENS1_30default_config_static_selectorELNS0_4arch9wavefront6targetE1EEEvT1_,@function
_ZN7rocprim17ROCPRIM_400000_NS6detail17trampoline_kernelINS0_14default_configENS1_25partition_config_selectorILNS1_17partition_subalgoE1EsNS0_10empty_typeEbEEZZNS1_14partition_implILS5_1ELb0ES3_jN6thrust23THRUST_200600_302600_NS6detail15normal_iteratorINSA_10device_ptrIsEEEEPS6_NSA_18transform_iteratorI7is_evenIsESF_NSA_11use_defaultESK_EENS0_5tupleIJNSA_16discard_iteratorISK_EESO_EEENSM_IJSG_SG_EEES6_PlJS6_EEE10hipError_tPvRmT3_T4_T5_T6_T7_T9_mT8_P12ihipStream_tbDpT10_ENKUlT_T0_E_clISt17integral_constantIbLb1EES1B_EEDaS16_S17_EUlS16_E_NS1_11comp_targetILNS1_3genE0ELNS1_11target_archE4294967295ELNS1_3gpuE0ELNS1_3repE0EEENS1_30default_config_static_selectorELNS0_4arch9wavefront6targetE1EEEvT1_: ; @_ZN7rocprim17ROCPRIM_400000_NS6detail17trampoline_kernelINS0_14default_configENS1_25partition_config_selectorILNS1_17partition_subalgoE1EsNS0_10empty_typeEbEEZZNS1_14partition_implILS5_1ELb0ES3_jN6thrust23THRUST_200600_302600_NS6detail15normal_iteratorINSA_10device_ptrIsEEEEPS6_NSA_18transform_iteratorI7is_evenIsESF_NSA_11use_defaultESK_EENS0_5tupleIJNSA_16discard_iteratorISK_EESO_EEENSM_IJSG_SG_EEES6_PlJS6_EEE10hipError_tPvRmT3_T4_T5_T6_T7_T9_mT8_P12ihipStream_tbDpT10_ENKUlT_T0_E_clISt17integral_constantIbLb1EES1B_EEDaS16_S17_EUlS16_E_NS1_11comp_targetILNS1_3genE0ELNS1_11target_archE4294967295ELNS1_3gpuE0ELNS1_3repE0EEENS1_30default_config_static_selectorELNS0_4arch9wavefront6targetE1EEEvT1_
; %bb.0:
	.section	.rodata,"a",@progbits
	.p2align	6, 0x0
	.amdhsa_kernel _ZN7rocprim17ROCPRIM_400000_NS6detail17trampoline_kernelINS0_14default_configENS1_25partition_config_selectorILNS1_17partition_subalgoE1EsNS0_10empty_typeEbEEZZNS1_14partition_implILS5_1ELb0ES3_jN6thrust23THRUST_200600_302600_NS6detail15normal_iteratorINSA_10device_ptrIsEEEEPS6_NSA_18transform_iteratorI7is_evenIsESF_NSA_11use_defaultESK_EENS0_5tupleIJNSA_16discard_iteratorISK_EESO_EEENSM_IJSG_SG_EEES6_PlJS6_EEE10hipError_tPvRmT3_T4_T5_T6_T7_T9_mT8_P12ihipStream_tbDpT10_ENKUlT_T0_E_clISt17integral_constantIbLb1EES1B_EEDaS16_S17_EUlS16_E_NS1_11comp_targetILNS1_3genE0ELNS1_11target_archE4294967295ELNS1_3gpuE0ELNS1_3repE0EEENS1_30default_config_static_selectorELNS0_4arch9wavefront6targetE1EEEvT1_
		.amdhsa_group_segment_fixed_size 0
		.amdhsa_private_segment_fixed_size 0
		.amdhsa_kernarg_size 160
		.amdhsa_user_sgpr_count 6
		.amdhsa_user_sgpr_private_segment_buffer 1
		.amdhsa_user_sgpr_dispatch_ptr 0
		.amdhsa_user_sgpr_queue_ptr 0
		.amdhsa_user_sgpr_kernarg_segment_ptr 1
		.amdhsa_user_sgpr_dispatch_id 0
		.amdhsa_user_sgpr_flat_scratch_init 0
		.amdhsa_user_sgpr_kernarg_preload_length 0
		.amdhsa_user_sgpr_kernarg_preload_offset 0
		.amdhsa_user_sgpr_private_segment_size 0
		.amdhsa_uses_dynamic_stack 0
		.amdhsa_system_sgpr_private_segment_wavefront_offset 0
		.amdhsa_system_sgpr_workgroup_id_x 1
		.amdhsa_system_sgpr_workgroup_id_y 0
		.amdhsa_system_sgpr_workgroup_id_z 0
		.amdhsa_system_sgpr_workgroup_info 0
		.amdhsa_system_vgpr_workitem_id 0
		.amdhsa_next_free_vgpr 1
		.amdhsa_next_free_sgpr 0
		.amdhsa_accum_offset 4
		.amdhsa_reserve_vcc 0
		.amdhsa_reserve_flat_scratch 0
		.amdhsa_float_round_mode_32 0
		.amdhsa_float_round_mode_16_64 0
		.amdhsa_float_denorm_mode_32 3
		.amdhsa_float_denorm_mode_16_64 3
		.amdhsa_dx10_clamp 1
		.amdhsa_ieee_mode 1
		.amdhsa_fp16_overflow 0
		.amdhsa_tg_split 0
		.amdhsa_exception_fp_ieee_invalid_op 0
		.amdhsa_exception_fp_denorm_src 0
		.amdhsa_exception_fp_ieee_div_zero 0
		.amdhsa_exception_fp_ieee_overflow 0
		.amdhsa_exception_fp_ieee_underflow 0
		.amdhsa_exception_fp_ieee_inexact 0
		.amdhsa_exception_int_div_zero 0
	.end_amdhsa_kernel
	.section	.text._ZN7rocprim17ROCPRIM_400000_NS6detail17trampoline_kernelINS0_14default_configENS1_25partition_config_selectorILNS1_17partition_subalgoE1EsNS0_10empty_typeEbEEZZNS1_14partition_implILS5_1ELb0ES3_jN6thrust23THRUST_200600_302600_NS6detail15normal_iteratorINSA_10device_ptrIsEEEEPS6_NSA_18transform_iteratorI7is_evenIsESF_NSA_11use_defaultESK_EENS0_5tupleIJNSA_16discard_iteratorISK_EESO_EEENSM_IJSG_SG_EEES6_PlJS6_EEE10hipError_tPvRmT3_T4_T5_T6_T7_T9_mT8_P12ihipStream_tbDpT10_ENKUlT_T0_E_clISt17integral_constantIbLb1EES1B_EEDaS16_S17_EUlS16_E_NS1_11comp_targetILNS1_3genE0ELNS1_11target_archE4294967295ELNS1_3gpuE0ELNS1_3repE0EEENS1_30default_config_static_selectorELNS0_4arch9wavefront6targetE1EEEvT1_,"axG",@progbits,_ZN7rocprim17ROCPRIM_400000_NS6detail17trampoline_kernelINS0_14default_configENS1_25partition_config_selectorILNS1_17partition_subalgoE1EsNS0_10empty_typeEbEEZZNS1_14partition_implILS5_1ELb0ES3_jN6thrust23THRUST_200600_302600_NS6detail15normal_iteratorINSA_10device_ptrIsEEEEPS6_NSA_18transform_iteratorI7is_evenIsESF_NSA_11use_defaultESK_EENS0_5tupleIJNSA_16discard_iteratorISK_EESO_EEENSM_IJSG_SG_EEES6_PlJS6_EEE10hipError_tPvRmT3_T4_T5_T6_T7_T9_mT8_P12ihipStream_tbDpT10_ENKUlT_T0_E_clISt17integral_constantIbLb1EES1B_EEDaS16_S17_EUlS16_E_NS1_11comp_targetILNS1_3genE0ELNS1_11target_archE4294967295ELNS1_3gpuE0ELNS1_3repE0EEENS1_30default_config_static_selectorELNS0_4arch9wavefront6targetE1EEEvT1_,comdat
.Lfunc_end3363:
	.size	_ZN7rocprim17ROCPRIM_400000_NS6detail17trampoline_kernelINS0_14default_configENS1_25partition_config_selectorILNS1_17partition_subalgoE1EsNS0_10empty_typeEbEEZZNS1_14partition_implILS5_1ELb0ES3_jN6thrust23THRUST_200600_302600_NS6detail15normal_iteratorINSA_10device_ptrIsEEEEPS6_NSA_18transform_iteratorI7is_evenIsESF_NSA_11use_defaultESK_EENS0_5tupleIJNSA_16discard_iteratorISK_EESO_EEENSM_IJSG_SG_EEES6_PlJS6_EEE10hipError_tPvRmT3_T4_T5_T6_T7_T9_mT8_P12ihipStream_tbDpT10_ENKUlT_T0_E_clISt17integral_constantIbLb1EES1B_EEDaS16_S17_EUlS16_E_NS1_11comp_targetILNS1_3genE0ELNS1_11target_archE4294967295ELNS1_3gpuE0ELNS1_3repE0EEENS1_30default_config_static_selectorELNS0_4arch9wavefront6targetE1EEEvT1_, .Lfunc_end3363-_ZN7rocprim17ROCPRIM_400000_NS6detail17trampoline_kernelINS0_14default_configENS1_25partition_config_selectorILNS1_17partition_subalgoE1EsNS0_10empty_typeEbEEZZNS1_14partition_implILS5_1ELb0ES3_jN6thrust23THRUST_200600_302600_NS6detail15normal_iteratorINSA_10device_ptrIsEEEEPS6_NSA_18transform_iteratorI7is_evenIsESF_NSA_11use_defaultESK_EENS0_5tupleIJNSA_16discard_iteratorISK_EESO_EEENSM_IJSG_SG_EEES6_PlJS6_EEE10hipError_tPvRmT3_T4_T5_T6_T7_T9_mT8_P12ihipStream_tbDpT10_ENKUlT_T0_E_clISt17integral_constantIbLb1EES1B_EEDaS16_S17_EUlS16_E_NS1_11comp_targetILNS1_3genE0ELNS1_11target_archE4294967295ELNS1_3gpuE0ELNS1_3repE0EEENS1_30default_config_static_selectorELNS0_4arch9wavefront6targetE1EEEvT1_
                                        ; -- End function
	.section	.AMDGPU.csdata,"",@progbits
; Kernel info:
; codeLenInByte = 0
; NumSgprs: 4
; NumVgprs: 0
; NumAgprs: 0
; TotalNumVgprs: 0
; ScratchSize: 0
; MemoryBound: 0
; FloatMode: 240
; IeeeMode: 1
; LDSByteSize: 0 bytes/workgroup (compile time only)
; SGPRBlocks: 0
; VGPRBlocks: 0
; NumSGPRsForWavesPerEU: 4
; NumVGPRsForWavesPerEU: 1
; AccumOffset: 4
; Occupancy: 8
; WaveLimiterHint : 0
; COMPUTE_PGM_RSRC2:SCRATCH_EN: 0
; COMPUTE_PGM_RSRC2:USER_SGPR: 6
; COMPUTE_PGM_RSRC2:TRAP_HANDLER: 0
; COMPUTE_PGM_RSRC2:TGID_X_EN: 1
; COMPUTE_PGM_RSRC2:TGID_Y_EN: 0
; COMPUTE_PGM_RSRC2:TGID_Z_EN: 0
; COMPUTE_PGM_RSRC2:TIDIG_COMP_CNT: 0
; COMPUTE_PGM_RSRC3_GFX90A:ACCUM_OFFSET: 0
; COMPUTE_PGM_RSRC3_GFX90A:TG_SPLIT: 0
	.section	.text._ZN7rocprim17ROCPRIM_400000_NS6detail17trampoline_kernelINS0_14default_configENS1_25partition_config_selectorILNS1_17partition_subalgoE1EsNS0_10empty_typeEbEEZZNS1_14partition_implILS5_1ELb0ES3_jN6thrust23THRUST_200600_302600_NS6detail15normal_iteratorINSA_10device_ptrIsEEEEPS6_NSA_18transform_iteratorI7is_evenIsESF_NSA_11use_defaultESK_EENS0_5tupleIJNSA_16discard_iteratorISK_EESO_EEENSM_IJSG_SG_EEES6_PlJS6_EEE10hipError_tPvRmT3_T4_T5_T6_T7_T9_mT8_P12ihipStream_tbDpT10_ENKUlT_T0_E_clISt17integral_constantIbLb1EES1B_EEDaS16_S17_EUlS16_E_NS1_11comp_targetILNS1_3genE5ELNS1_11target_archE942ELNS1_3gpuE9ELNS1_3repE0EEENS1_30default_config_static_selectorELNS0_4arch9wavefront6targetE1EEEvT1_,"axG",@progbits,_ZN7rocprim17ROCPRIM_400000_NS6detail17trampoline_kernelINS0_14default_configENS1_25partition_config_selectorILNS1_17partition_subalgoE1EsNS0_10empty_typeEbEEZZNS1_14partition_implILS5_1ELb0ES3_jN6thrust23THRUST_200600_302600_NS6detail15normal_iteratorINSA_10device_ptrIsEEEEPS6_NSA_18transform_iteratorI7is_evenIsESF_NSA_11use_defaultESK_EENS0_5tupleIJNSA_16discard_iteratorISK_EESO_EEENSM_IJSG_SG_EEES6_PlJS6_EEE10hipError_tPvRmT3_T4_T5_T6_T7_T9_mT8_P12ihipStream_tbDpT10_ENKUlT_T0_E_clISt17integral_constantIbLb1EES1B_EEDaS16_S17_EUlS16_E_NS1_11comp_targetILNS1_3genE5ELNS1_11target_archE942ELNS1_3gpuE9ELNS1_3repE0EEENS1_30default_config_static_selectorELNS0_4arch9wavefront6targetE1EEEvT1_,comdat
	.protected	_ZN7rocprim17ROCPRIM_400000_NS6detail17trampoline_kernelINS0_14default_configENS1_25partition_config_selectorILNS1_17partition_subalgoE1EsNS0_10empty_typeEbEEZZNS1_14partition_implILS5_1ELb0ES3_jN6thrust23THRUST_200600_302600_NS6detail15normal_iteratorINSA_10device_ptrIsEEEEPS6_NSA_18transform_iteratorI7is_evenIsESF_NSA_11use_defaultESK_EENS0_5tupleIJNSA_16discard_iteratorISK_EESO_EEENSM_IJSG_SG_EEES6_PlJS6_EEE10hipError_tPvRmT3_T4_T5_T6_T7_T9_mT8_P12ihipStream_tbDpT10_ENKUlT_T0_E_clISt17integral_constantIbLb1EES1B_EEDaS16_S17_EUlS16_E_NS1_11comp_targetILNS1_3genE5ELNS1_11target_archE942ELNS1_3gpuE9ELNS1_3repE0EEENS1_30default_config_static_selectorELNS0_4arch9wavefront6targetE1EEEvT1_ ; -- Begin function _ZN7rocprim17ROCPRIM_400000_NS6detail17trampoline_kernelINS0_14default_configENS1_25partition_config_selectorILNS1_17partition_subalgoE1EsNS0_10empty_typeEbEEZZNS1_14partition_implILS5_1ELb0ES3_jN6thrust23THRUST_200600_302600_NS6detail15normal_iteratorINSA_10device_ptrIsEEEEPS6_NSA_18transform_iteratorI7is_evenIsESF_NSA_11use_defaultESK_EENS0_5tupleIJNSA_16discard_iteratorISK_EESO_EEENSM_IJSG_SG_EEES6_PlJS6_EEE10hipError_tPvRmT3_T4_T5_T6_T7_T9_mT8_P12ihipStream_tbDpT10_ENKUlT_T0_E_clISt17integral_constantIbLb1EES1B_EEDaS16_S17_EUlS16_E_NS1_11comp_targetILNS1_3genE5ELNS1_11target_archE942ELNS1_3gpuE9ELNS1_3repE0EEENS1_30default_config_static_selectorELNS0_4arch9wavefront6targetE1EEEvT1_
	.globl	_ZN7rocprim17ROCPRIM_400000_NS6detail17trampoline_kernelINS0_14default_configENS1_25partition_config_selectorILNS1_17partition_subalgoE1EsNS0_10empty_typeEbEEZZNS1_14partition_implILS5_1ELb0ES3_jN6thrust23THRUST_200600_302600_NS6detail15normal_iteratorINSA_10device_ptrIsEEEEPS6_NSA_18transform_iteratorI7is_evenIsESF_NSA_11use_defaultESK_EENS0_5tupleIJNSA_16discard_iteratorISK_EESO_EEENSM_IJSG_SG_EEES6_PlJS6_EEE10hipError_tPvRmT3_T4_T5_T6_T7_T9_mT8_P12ihipStream_tbDpT10_ENKUlT_T0_E_clISt17integral_constantIbLb1EES1B_EEDaS16_S17_EUlS16_E_NS1_11comp_targetILNS1_3genE5ELNS1_11target_archE942ELNS1_3gpuE9ELNS1_3repE0EEENS1_30default_config_static_selectorELNS0_4arch9wavefront6targetE1EEEvT1_
	.p2align	8
	.type	_ZN7rocprim17ROCPRIM_400000_NS6detail17trampoline_kernelINS0_14default_configENS1_25partition_config_selectorILNS1_17partition_subalgoE1EsNS0_10empty_typeEbEEZZNS1_14partition_implILS5_1ELb0ES3_jN6thrust23THRUST_200600_302600_NS6detail15normal_iteratorINSA_10device_ptrIsEEEEPS6_NSA_18transform_iteratorI7is_evenIsESF_NSA_11use_defaultESK_EENS0_5tupleIJNSA_16discard_iteratorISK_EESO_EEENSM_IJSG_SG_EEES6_PlJS6_EEE10hipError_tPvRmT3_T4_T5_T6_T7_T9_mT8_P12ihipStream_tbDpT10_ENKUlT_T0_E_clISt17integral_constantIbLb1EES1B_EEDaS16_S17_EUlS16_E_NS1_11comp_targetILNS1_3genE5ELNS1_11target_archE942ELNS1_3gpuE9ELNS1_3repE0EEENS1_30default_config_static_selectorELNS0_4arch9wavefront6targetE1EEEvT1_,@function
_ZN7rocprim17ROCPRIM_400000_NS6detail17trampoline_kernelINS0_14default_configENS1_25partition_config_selectorILNS1_17partition_subalgoE1EsNS0_10empty_typeEbEEZZNS1_14partition_implILS5_1ELb0ES3_jN6thrust23THRUST_200600_302600_NS6detail15normal_iteratorINSA_10device_ptrIsEEEEPS6_NSA_18transform_iteratorI7is_evenIsESF_NSA_11use_defaultESK_EENS0_5tupleIJNSA_16discard_iteratorISK_EESO_EEENSM_IJSG_SG_EEES6_PlJS6_EEE10hipError_tPvRmT3_T4_T5_T6_T7_T9_mT8_P12ihipStream_tbDpT10_ENKUlT_T0_E_clISt17integral_constantIbLb1EES1B_EEDaS16_S17_EUlS16_E_NS1_11comp_targetILNS1_3genE5ELNS1_11target_archE942ELNS1_3gpuE9ELNS1_3repE0EEENS1_30default_config_static_selectorELNS0_4arch9wavefront6targetE1EEEvT1_: ; @_ZN7rocprim17ROCPRIM_400000_NS6detail17trampoline_kernelINS0_14default_configENS1_25partition_config_selectorILNS1_17partition_subalgoE1EsNS0_10empty_typeEbEEZZNS1_14partition_implILS5_1ELb0ES3_jN6thrust23THRUST_200600_302600_NS6detail15normal_iteratorINSA_10device_ptrIsEEEEPS6_NSA_18transform_iteratorI7is_evenIsESF_NSA_11use_defaultESK_EENS0_5tupleIJNSA_16discard_iteratorISK_EESO_EEENSM_IJSG_SG_EEES6_PlJS6_EEE10hipError_tPvRmT3_T4_T5_T6_T7_T9_mT8_P12ihipStream_tbDpT10_ENKUlT_T0_E_clISt17integral_constantIbLb1EES1B_EEDaS16_S17_EUlS16_E_NS1_11comp_targetILNS1_3genE5ELNS1_11target_archE942ELNS1_3gpuE9ELNS1_3repE0EEENS1_30default_config_static_selectorELNS0_4arch9wavefront6targetE1EEEvT1_
; %bb.0:
	.section	.rodata,"a",@progbits
	.p2align	6, 0x0
	.amdhsa_kernel _ZN7rocprim17ROCPRIM_400000_NS6detail17trampoline_kernelINS0_14default_configENS1_25partition_config_selectorILNS1_17partition_subalgoE1EsNS0_10empty_typeEbEEZZNS1_14partition_implILS5_1ELb0ES3_jN6thrust23THRUST_200600_302600_NS6detail15normal_iteratorINSA_10device_ptrIsEEEEPS6_NSA_18transform_iteratorI7is_evenIsESF_NSA_11use_defaultESK_EENS0_5tupleIJNSA_16discard_iteratorISK_EESO_EEENSM_IJSG_SG_EEES6_PlJS6_EEE10hipError_tPvRmT3_T4_T5_T6_T7_T9_mT8_P12ihipStream_tbDpT10_ENKUlT_T0_E_clISt17integral_constantIbLb1EES1B_EEDaS16_S17_EUlS16_E_NS1_11comp_targetILNS1_3genE5ELNS1_11target_archE942ELNS1_3gpuE9ELNS1_3repE0EEENS1_30default_config_static_selectorELNS0_4arch9wavefront6targetE1EEEvT1_
		.amdhsa_group_segment_fixed_size 0
		.amdhsa_private_segment_fixed_size 0
		.amdhsa_kernarg_size 160
		.amdhsa_user_sgpr_count 6
		.amdhsa_user_sgpr_private_segment_buffer 1
		.amdhsa_user_sgpr_dispatch_ptr 0
		.amdhsa_user_sgpr_queue_ptr 0
		.amdhsa_user_sgpr_kernarg_segment_ptr 1
		.amdhsa_user_sgpr_dispatch_id 0
		.amdhsa_user_sgpr_flat_scratch_init 0
		.amdhsa_user_sgpr_kernarg_preload_length 0
		.amdhsa_user_sgpr_kernarg_preload_offset 0
		.amdhsa_user_sgpr_private_segment_size 0
		.amdhsa_uses_dynamic_stack 0
		.amdhsa_system_sgpr_private_segment_wavefront_offset 0
		.amdhsa_system_sgpr_workgroup_id_x 1
		.amdhsa_system_sgpr_workgroup_id_y 0
		.amdhsa_system_sgpr_workgroup_id_z 0
		.amdhsa_system_sgpr_workgroup_info 0
		.amdhsa_system_vgpr_workitem_id 0
		.amdhsa_next_free_vgpr 1
		.amdhsa_next_free_sgpr 0
		.amdhsa_accum_offset 4
		.amdhsa_reserve_vcc 0
		.amdhsa_reserve_flat_scratch 0
		.amdhsa_float_round_mode_32 0
		.amdhsa_float_round_mode_16_64 0
		.amdhsa_float_denorm_mode_32 3
		.amdhsa_float_denorm_mode_16_64 3
		.amdhsa_dx10_clamp 1
		.amdhsa_ieee_mode 1
		.amdhsa_fp16_overflow 0
		.amdhsa_tg_split 0
		.amdhsa_exception_fp_ieee_invalid_op 0
		.amdhsa_exception_fp_denorm_src 0
		.amdhsa_exception_fp_ieee_div_zero 0
		.amdhsa_exception_fp_ieee_overflow 0
		.amdhsa_exception_fp_ieee_underflow 0
		.amdhsa_exception_fp_ieee_inexact 0
		.amdhsa_exception_int_div_zero 0
	.end_amdhsa_kernel
	.section	.text._ZN7rocprim17ROCPRIM_400000_NS6detail17trampoline_kernelINS0_14default_configENS1_25partition_config_selectorILNS1_17partition_subalgoE1EsNS0_10empty_typeEbEEZZNS1_14partition_implILS5_1ELb0ES3_jN6thrust23THRUST_200600_302600_NS6detail15normal_iteratorINSA_10device_ptrIsEEEEPS6_NSA_18transform_iteratorI7is_evenIsESF_NSA_11use_defaultESK_EENS0_5tupleIJNSA_16discard_iteratorISK_EESO_EEENSM_IJSG_SG_EEES6_PlJS6_EEE10hipError_tPvRmT3_T4_T5_T6_T7_T9_mT8_P12ihipStream_tbDpT10_ENKUlT_T0_E_clISt17integral_constantIbLb1EES1B_EEDaS16_S17_EUlS16_E_NS1_11comp_targetILNS1_3genE5ELNS1_11target_archE942ELNS1_3gpuE9ELNS1_3repE0EEENS1_30default_config_static_selectorELNS0_4arch9wavefront6targetE1EEEvT1_,"axG",@progbits,_ZN7rocprim17ROCPRIM_400000_NS6detail17trampoline_kernelINS0_14default_configENS1_25partition_config_selectorILNS1_17partition_subalgoE1EsNS0_10empty_typeEbEEZZNS1_14partition_implILS5_1ELb0ES3_jN6thrust23THRUST_200600_302600_NS6detail15normal_iteratorINSA_10device_ptrIsEEEEPS6_NSA_18transform_iteratorI7is_evenIsESF_NSA_11use_defaultESK_EENS0_5tupleIJNSA_16discard_iteratorISK_EESO_EEENSM_IJSG_SG_EEES6_PlJS6_EEE10hipError_tPvRmT3_T4_T5_T6_T7_T9_mT8_P12ihipStream_tbDpT10_ENKUlT_T0_E_clISt17integral_constantIbLb1EES1B_EEDaS16_S17_EUlS16_E_NS1_11comp_targetILNS1_3genE5ELNS1_11target_archE942ELNS1_3gpuE9ELNS1_3repE0EEENS1_30default_config_static_selectorELNS0_4arch9wavefront6targetE1EEEvT1_,comdat
.Lfunc_end3364:
	.size	_ZN7rocprim17ROCPRIM_400000_NS6detail17trampoline_kernelINS0_14default_configENS1_25partition_config_selectorILNS1_17partition_subalgoE1EsNS0_10empty_typeEbEEZZNS1_14partition_implILS5_1ELb0ES3_jN6thrust23THRUST_200600_302600_NS6detail15normal_iteratorINSA_10device_ptrIsEEEEPS6_NSA_18transform_iteratorI7is_evenIsESF_NSA_11use_defaultESK_EENS0_5tupleIJNSA_16discard_iteratorISK_EESO_EEENSM_IJSG_SG_EEES6_PlJS6_EEE10hipError_tPvRmT3_T4_T5_T6_T7_T9_mT8_P12ihipStream_tbDpT10_ENKUlT_T0_E_clISt17integral_constantIbLb1EES1B_EEDaS16_S17_EUlS16_E_NS1_11comp_targetILNS1_3genE5ELNS1_11target_archE942ELNS1_3gpuE9ELNS1_3repE0EEENS1_30default_config_static_selectorELNS0_4arch9wavefront6targetE1EEEvT1_, .Lfunc_end3364-_ZN7rocprim17ROCPRIM_400000_NS6detail17trampoline_kernelINS0_14default_configENS1_25partition_config_selectorILNS1_17partition_subalgoE1EsNS0_10empty_typeEbEEZZNS1_14partition_implILS5_1ELb0ES3_jN6thrust23THRUST_200600_302600_NS6detail15normal_iteratorINSA_10device_ptrIsEEEEPS6_NSA_18transform_iteratorI7is_evenIsESF_NSA_11use_defaultESK_EENS0_5tupleIJNSA_16discard_iteratorISK_EESO_EEENSM_IJSG_SG_EEES6_PlJS6_EEE10hipError_tPvRmT3_T4_T5_T6_T7_T9_mT8_P12ihipStream_tbDpT10_ENKUlT_T0_E_clISt17integral_constantIbLb1EES1B_EEDaS16_S17_EUlS16_E_NS1_11comp_targetILNS1_3genE5ELNS1_11target_archE942ELNS1_3gpuE9ELNS1_3repE0EEENS1_30default_config_static_selectorELNS0_4arch9wavefront6targetE1EEEvT1_
                                        ; -- End function
	.section	.AMDGPU.csdata,"",@progbits
; Kernel info:
; codeLenInByte = 0
; NumSgprs: 4
; NumVgprs: 0
; NumAgprs: 0
; TotalNumVgprs: 0
; ScratchSize: 0
; MemoryBound: 0
; FloatMode: 240
; IeeeMode: 1
; LDSByteSize: 0 bytes/workgroup (compile time only)
; SGPRBlocks: 0
; VGPRBlocks: 0
; NumSGPRsForWavesPerEU: 4
; NumVGPRsForWavesPerEU: 1
; AccumOffset: 4
; Occupancy: 8
; WaveLimiterHint : 0
; COMPUTE_PGM_RSRC2:SCRATCH_EN: 0
; COMPUTE_PGM_RSRC2:USER_SGPR: 6
; COMPUTE_PGM_RSRC2:TRAP_HANDLER: 0
; COMPUTE_PGM_RSRC2:TGID_X_EN: 1
; COMPUTE_PGM_RSRC2:TGID_Y_EN: 0
; COMPUTE_PGM_RSRC2:TGID_Z_EN: 0
; COMPUTE_PGM_RSRC2:TIDIG_COMP_CNT: 0
; COMPUTE_PGM_RSRC3_GFX90A:ACCUM_OFFSET: 0
; COMPUTE_PGM_RSRC3_GFX90A:TG_SPLIT: 0
	.section	.text._ZN7rocprim17ROCPRIM_400000_NS6detail17trampoline_kernelINS0_14default_configENS1_25partition_config_selectorILNS1_17partition_subalgoE1EsNS0_10empty_typeEbEEZZNS1_14partition_implILS5_1ELb0ES3_jN6thrust23THRUST_200600_302600_NS6detail15normal_iteratorINSA_10device_ptrIsEEEEPS6_NSA_18transform_iteratorI7is_evenIsESF_NSA_11use_defaultESK_EENS0_5tupleIJNSA_16discard_iteratorISK_EESO_EEENSM_IJSG_SG_EEES6_PlJS6_EEE10hipError_tPvRmT3_T4_T5_T6_T7_T9_mT8_P12ihipStream_tbDpT10_ENKUlT_T0_E_clISt17integral_constantIbLb1EES1B_EEDaS16_S17_EUlS16_E_NS1_11comp_targetILNS1_3genE4ELNS1_11target_archE910ELNS1_3gpuE8ELNS1_3repE0EEENS1_30default_config_static_selectorELNS0_4arch9wavefront6targetE1EEEvT1_,"axG",@progbits,_ZN7rocprim17ROCPRIM_400000_NS6detail17trampoline_kernelINS0_14default_configENS1_25partition_config_selectorILNS1_17partition_subalgoE1EsNS0_10empty_typeEbEEZZNS1_14partition_implILS5_1ELb0ES3_jN6thrust23THRUST_200600_302600_NS6detail15normal_iteratorINSA_10device_ptrIsEEEEPS6_NSA_18transform_iteratorI7is_evenIsESF_NSA_11use_defaultESK_EENS0_5tupleIJNSA_16discard_iteratorISK_EESO_EEENSM_IJSG_SG_EEES6_PlJS6_EEE10hipError_tPvRmT3_T4_T5_T6_T7_T9_mT8_P12ihipStream_tbDpT10_ENKUlT_T0_E_clISt17integral_constantIbLb1EES1B_EEDaS16_S17_EUlS16_E_NS1_11comp_targetILNS1_3genE4ELNS1_11target_archE910ELNS1_3gpuE8ELNS1_3repE0EEENS1_30default_config_static_selectorELNS0_4arch9wavefront6targetE1EEEvT1_,comdat
	.protected	_ZN7rocprim17ROCPRIM_400000_NS6detail17trampoline_kernelINS0_14default_configENS1_25partition_config_selectorILNS1_17partition_subalgoE1EsNS0_10empty_typeEbEEZZNS1_14partition_implILS5_1ELb0ES3_jN6thrust23THRUST_200600_302600_NS6detail15normal_iteratorINSA_10device_ptrIsEEEEPS6_NSA_18transform_iteratorI7is_evenIsESF_NSA_11use_defaultESK_EENS0_5tupleIJNSA_16discard_iteratorISK_EESO_EEENSM_IJSG_SG_EEES6_PlJS6_EEE10hipError_tPvRmT3_T4_T5_T6_T7_T9_mT8_P12ihipStream_tbDpT10_ENKUlT_T0_E_clISt17integral_constantIbLb1EES1B_EEDaS16_S17_EUlS16_E_NS1_11comp_targetILNS1_3genE4ELNS1_11target_archE910ELNS1_3gpuE8ELNS1_3repE0EEENS1_30default_config_static_selectorELNS0_4arch9wavefront6targetE1EEEvT1_ ; -- Begin function _ZN7rocprim17ROCPRIM_400000_NS6detail17trampoline_kernelINS0_14default_configENS1_25partition_config_selectorILNS1_17partition_subalgoE1EsNS0_10empty_typeEbEEZZNS1_14partition_implILS5_1ELb0ES3_jN6thrust23THRUST_200600_302600_NS6detail15normal_iteratorINSA_10device_ptrIsEEEEPS6_NSA_18transform_iteratorI7is_evenIsESF_NSA_11use_defaultESK_EENS0_5tupleIJNSA_16discard_iteratorISK_EESO_EEENSM_IJSG_SG_EEES6_PlJS6_EEE10hipError_tPvRmT3_T4_T5_T6_T7_T9_mT8_P12ihipStream_tbDpT10_ENKUlT_T0_E_clISt17integral_constantIbLb1EES1B_EEDaS16_S17_EUlS16_E_NS1_11comp_targetILNS1_3genE4ELNS1_11target_archE910ELNS1_3gpuE8ELNS1_3repE0EEENS1_30default_config_static_selectorELNS0_4arch9wavefront6targetE1EEEvT1_
	.globl	_ZN7rocprim17ROCPRIM_400000_NS6detail17trampoline_kernelINS0_14default_configENS1_25partition_config_selectorILNS1_17partition_subalgoE1EsNS0_10empty_typeEbEEZZNS1_14partition_implILS5_1ELb0ES3_jN6thrust23THRUST_200600_302600_NS6detail15normal_iteratorINSA_10device_ptrIsEEEEPS6_NSA_18transform_iteratorI7is_evenIsESF_NSA_11use_defaultESK_EENS0_5tupleIJNSA_16discard_iteratorISK_EESO_EEENSM_IJSG_SG_EEES6_PlJS6_EEE10hipError_tPvRmT3_T4_T5_T6_T7_T9_mT8_P12ihipStream_tbDpT10_ENKUlT_T0_E_clISt17integral_constantIbLb1EES1B_EEDaS16_S17_EUlS16_E_NS1_11comp_targetILNS1_3genE4ELNS1_11target_archE910ELNS1_3gpuE8ELNS1_3repE0EEENS1_30default_config_static_selectorELNS0_4arch9wavefront6targetE1EEEvT1_
	.p2align	8
	.type	_ZN7rocprim17ROCPRIM_400000_NS6detail17trampoline_kernelINS0_14default_configENS1_25partition_config_selectorILNS1_17partition_subalgoE1EsNS0_10empty_typeEbEEZZNS1_14partition_implILS5_1ELb0ES3_jN6thrust23THRUST_200600_302600_NS6detail15normal_iteratorINSA_10device_ptrIsEEEEPS6_NSA_18transform_iteratorI7is_evenIsESF_NSA_11use_defaultESK_EENS0_5tupleIJNSA_16discard_iteratorISK_EESO_EEENSM_IJSG_SG_EEES6_PlJS6_EEE10hipError_tPvRmT3_T4_T5_T6_T7_T9_mT8_P12ihipStream_tbDpT10_ENKUlT_T0_E_clISt17integral_constantIbLb1EES1B_EEDaS16_S17_EUlS16_E_NS1_11comp_targetILNS1_3genE4ELNS1_11target_archE910ELNS1_3gpuE8ELNS1_3repE0EEENS1_30default_config_static_selectorELNS0_4arch9wavefront6targetE1EEEvT1_,@function
_ZN7rocprim17ROCPRIM_400000_NS6detail17trampoline_kernelINS0_14default_configENS1_25partition_config_selectorILNS1_17partition_subalgoE1EsNS0_10empty_typeEbEEZZNS1_14partition_implILS5_1ELb0ES3_jN6thrust23THRUST_200600_302600_NS6detail15normal_iteratorINSA_10device_ptrIsEEEEPS6_NSA_18transform_iteratorI7is_evenIsESF_NSA_11use_defaultESK_EENS0_5tupleIJNSA_16discard_iteratorISK_EESO_EEENSM_IJSG_SG_EEES6_PlJS6_EEE10hipError_tPvRmT3_T4_T5_T6_T7_T9_mT8_P12ihipStream_tbDpT10_ENKUlT_T0_E_clISt17integral_constantIbLb1EES1B_EEDaS16_S17_EUlS16_E_NS1_11comp_targetILNS1_3genE4ELNS1_11target_archE910ELNS1_3gpuE8ELNS1_3repE0EEENS1_30default_config_static_selectorELNS0_4arch9wavefront6targetE1EEEvT1_: ; @_ZN7rocprim17ROCPRIM_400000_NS6detail17trampoline_kernelINS0_14default_configENS1_25partition_config_selectorILNS1_17partition_subalgoE1EsNS0_10empty_typeEbEEZZNS1_14partition_implILS5_1ELb0ES3_jN6thrust23THRUST_200600_302600_NS6detail15normal_iteratorINSA_10device_ptrIsEEEEPS6_NSA_18transform_iteratorI7is_evenIsESF_NSA_11use_defaultESK_EENS0_5tupleIJNSA_16discard_iteratorISK_EESO_EEENSM_IJSG_SG_EEES6_PlJS6_EEE10hipError_tPvRmT3_T4_T5_T6_T7_T9_mT8_P12ihipStream_tbDpT10_ENKUlT_T0_E_clISt17integral_constantIbLb1EES1B_EEDaS16_S17_EUlS16_E_NS1_11comp_targetILNS1_3genE4ELNS1_11target_archE910ELNS1_3gpuE8ELNS1_3repE0EEENS1_30default_config_static_selectorELNS0_4arch9wavefront6targetE1EEEvT1_
; %bb.0:
	s_load_dwordx2 s[6:7], s[4:5], 0x20
	s_load_dwordx4 s[20:23], s[4:5], 0x60
	s_load_dwordx2 s[2:3], s[4:5], 0x70
	s_load_dwordx2 s[24:25], s[4:5], 0x80
	v_cmp_eq_u32_e64 s[0:1], 0, v0
	s_and_saveexec_b64 s[8:9], s[0:1]
	s_cbranch_execz .LBB3365_4
; %bb.1:
	s_mov_b64 s[12:13], exec
	v_mbcnt_lo_u32_b32 v1, s12, 0
	v_mbcnt_hi_u32_b32 v1, s13, v1
	v_cmp_eq_u32_e32 vcc, 0, v1
                                        ; implicit-def: $vgpr2
	s_and_saveexec_b64 s[10:11], vcc
	s_cbranch_execz .LBB3365_3
; %bb.2:
	s_load_dwordx2 s[14:15], s[4:5], 0x90
	s_bcnt1_i32_b64 s12, s[12:13]
	v_mov_b32_e32 v2, 0
	v_mov_b32_e32 v3, s12
	s_waitcnt lgkmcnt(0)
	global_atomic_add v2, v2, v3, s[14:15] glc
.LBB3365_3:
	s_or_b64 exec, exec, s[10:11]
	s_waitcnt vmcnt(0)
	v_readfirstlane_b32 s10, v2
	v_add_u32_e32 v1, s10, v1
	v_mov_b32_e32 v2, 0
	ds_write_b32 v2, v1
.LBB3365_4:
	s_or_b64 exec, exec, s[8:9]
	v_mov_b32_e32 v1, 0
	s_load_dwordx4 s[8:11], s[4:5], 0x8
	s_load_dword s12, s[4:5], 0x88
	s_waitcnt lgkmcnt(0)
	s_barrier
	ds_read_b32 v4, v1
	s_waitcnt lgkmcnt(0)
	s_barrier
	global_load_dwordx2 v[10:11], v1, s[22:23]
	s_lshl_b64 s[4:5], s[10:11], 1
	v_mov_b32_e32 v3, s3
	s_add_u32 s13, s8, s4
	s_mul_i32 s3, s12, 0x1400
	s_addc_u32 s22, s9, s5
	s_add_i32 s9, s3, s10
	s_sub_i32 s14, s2, s9
	s_add_i32 s8, s12, -1
	s_addk_i32 s14, 0x1400
	v_mov_b32_e32 v2, s2
	s_add_u32 s2, s10, s3
	v_readfirstlane_b32 s30, v4
	s_addc_u32 s3, s11, 0
	s_cmp_eq_u32 s30, s8
	s_cselect_b64 s[18:19], -1, 0
	s_cmp_lg_u32 s30, s8
	s_mul_i32 s16, s30, 0x1400
	s_mov_b32 s17, 0
	v_cmp_lt_u64_e32 vcc, s[2:3], v[2:3]
	s_cselect_b64 s[2:3], -1, 0
	s_or_b64 s[8:9], vcc, s[2:3]
	s_lshl_b64 s[10:11], s[16:17], 1
	s_add_u32 s15, s13, s10
	s_addc_u32 s16, s22, s11
	s_mov_b64 s[2:3], -1
	s_and_b64 vcc, exec, s[8:9]
	s_cbranch_vccz .LBB3365_6
; %bb.5:
	v_lshlrev_b32_e32 v1, 1, v0
	v_mov_b32_e32 v3, s16
	v_add_co_u32_e32 v2, vcc, s15, v1
	v_addc_co_u32_e32 v3, vcc, 0, v3, vcc
	v_add_co_u32_e32 v4, vcc, 0x1000, v2
	v_addc_co_u32_e32 v5, vcc, 0, v3, vcc
	flat_load_ushort v6, v[2:3]
	flat_load_ushort v7, v[2:3] offset:512
	flat_load_ushort v8, v[2:3] offset:1024
	;; [unrolled: 1-line block ×7, first 2 shown]
	v_add_co_u32_e32 v2, vcc, 0x2000, v2
	v_addc_co_u32_e32 v3, vcc, 0, v3, vcc
	flat_load_ushort v16, v[4:5]
	flat_load_ushort v17, v[4:5] offset:512
	flat_load_ushort v18, v[4:5] offset:1024
	;; [unrolled: 1-line block ×7, first 2 shown]
	s_nop 0
	flat_load_ushort v4, v[2:3]
	flat_load_ushort v5, v[2:3] offset:512
	flat_load_ushort v24, v[2:3] offset:1024
	;; [unrolled: 1-line block ×3, first 2 shown]
	s_mov_b64 s[2:3], 0
	s_waitcnt vmcnt(0) lgkmcnt(0)
	ds_write_b16 v1, v6
	ds_write_b16 v1, v7 offset:512
	ds_write_b16 v1, v8 offset:1024
	;; [unrolled: 1-line block ×19, first 2 shown]
	s_waitcnt lgkmcnt(0)
	s_barrier
.LBB3365_6:
	s_andn2_b64 vcc, exec, s[2:3]
	v_cmp_gt_u32_e64 s[2:3], s14, v0
	s_cbranch_vccnz .LBB3365_48
; %bb.7:
                                        ; implicit-def: $vgpr1
	s_and_saveexec_b64 s[12:13], s[2:3]
	s_cbranch_execz .LBB3365_9
; %bb.8:
	v_lshlrev_b32_e32 v1, 1, v0
	v_mov_b32_e32 v3, s16
	v_add_co_u32_e32 v2, vcc, s15, v1
	v_addc_co_u32_e32 v3, vcc, 0, v3, vcc
	flat_load_ushort v1, v[2:3]
.LBB3365_9:
	s_or_b64 exec, exec, s[12:13]
	v_or_b32_e32 v2, 0x100, v0
	v_cmp_gt_u32_e32 vcc, s14, v2
                                        ; implicit-def: $vgpr2
	s_and_saveexec_b64 s[2:3], vcc
	s_cbranch_execz .LBB3365_11
; %bb.10:
	v_lshlrev_b32_e32 v2, 1, v0
	v_mov_b32_e32 v3, s16
	v_add_co_u32_e32 v2, vcc, s15, v2
	v_addc_co_u32_e32 v3, vcc, 0, v3, vcc
	flat_load_ushort v2, v[2:3] offset:512
.LBB3365_11:
	s_or_b64 exec, exec, s[2:3]
	v_or_b32_e32 v3, 0x200, v0
	v_cmp_gt_u32_e32 vcc, s14, v3
                                        ; implicit-def: $vgpr3
	s_and_saveexec_b64 s[2:3], vcc
	s_cbranch_execz .LBB3365_13
; %bb.12:
	v_lshlrev_b32_e32 v3, 1, v0
	v_mov_b32_e32 v5, s16
	v_add_co_u32_e32 v4, vcc, s15, v3
	v_addc_co_u32_e32 v5, vcc, 0, v5, vcc
	flat_load_ushort v3, v[4:5] offset:1024
.LBB3365_13:
	s_or_b64 exec, exec, s[2:3]
	v_or_b32_e32 v4, 0x300, v0
	v_cmp_gt_u32_e32 vcc, s14, v4
                                        ; implicit-def: $vgpr4
	s_and_saveexec_b64 s[2:3], vcc
	s_cbranch_execz .LBB3365_15
; %bb.14:
	v_lshlrev_b32_e32 v4, 1, v0
	v_mov_b32_e32 v5, s16
	v_add_co_u32_e32 v4, vcc, s15, v4
	v_addc_co_u32_e32 v5, vcc, 0, v5, vcc
	flat_load_ushort v4, v[4:5] offset:1536
.LBB3365_15:
	s_or_b64 exec, exec, s[2:3]
	v_or_b32_e32 v5, 0x400, v0
	v_cmp_gt_u32_e32 vcc, s14, v5
                                        ; implicit-def: $vgpr5
	s_and_saveexec_b64 s[2:3], vcc
	s_cbranch_execz .LBB3365_17
; %bb.16:
	v_lshlrev_b32_e32 v5, 1, v0
	v_mov_b32_e32 v7, s16
	v_add_co_u32_e32 v6, vcc, s15, v5
	v_addc_co_u32_e32 v7, vcc, 0, v7, vcc
	flat_load_ushort v5, v[6:7] offset:2048
.LBB3365_17:
	s_or_b64 exec, exec, s[2:3]
	v_or_b32_e32 v6, 0x500, v0
	v_cmp_gt_u32_e32 vcc, s14, v6
                                        ; implicit-def: $vgpr6
	s_and_saveexec_b64 s[2:3], vcc
	s_cbranch_execz .LBB3365_19
; %bb.18:
	v_lshlrev_b32_e32 v6, 1, v0
	v_mov_b32_e32 v7, s16
	v_add_co_u32_e32 v6, vcc, s15, v6
	v_addc_co_u32_e32 v7, vcc, 0, v7, vcc
	flat_load_ushort v6, v[6:7] offset:2560
.LBB3365_19:
	s_or_b64 exec, exec, s[2:3]
	v_or_b32_e32 v7, 0x600, v0
	v_cmp_gt_u32_e32 vcc, s14, v7
                                        ; implicit-def: $vgpr7
	s_and_saveexec_b64 s[2:3], vcc
	s_cbranch_execz .LBB3365_21
; %bb.20:
	v_lshlrev_b32_e32 v7, 1, v0
	v_mov_b32_e32 v9, s16
	v_add_co_u32_e32 v8, vcc, s15, v7
	v_addc_co_u32_e32 v9, vcc, 0, v9, vcc
	flat_load_ushort v7, v[8:9] offset:3072
.LBB3365_21:
	s_or_b64 exec, exec, s[2:3]
	v_or_b32_e32 v8, 0x700, v0
	v_cmp_gt_u32_e32 vcc, s14, v8
                                        ; implicit-def: $vgpr8
	s_and_saveexec_b64 s[2:3], vcc
	s_cbranch_execz .LBB3365_23
; %bb.22:
	v_lshlrev_b32_e32 v8, 1, v0
	v_mov_b32_e32 v9, s16
	v_add_co_u32_e32 v8, vcc, s15, v8
	v_addc_co_u32_e32 v9, vcc, 0, v9, vcc
	flat_load_ushort v8, v[8:9] offset:3584
.LBB3365_23:
	s_or_b64 exec, exec, s[2:3]
	v_or_b32_e32 v12, 0x800, v0
	v_cmp_gt_u32_e32 vcc, s14, v12
                                        ; implicit-def: $vgpr9
	s_and_saveexec_b64 s[2:3], vcc
	s_cbranch_execz .LBB3365_25
; %bb.24:
	v_lshlrev_b32_e32 v9, 1, v12
	v_mov_b32_e32 v13, s16
	v_add_co_u32_e32 v12, vcc, s15, v9
	v_addc_co_u32_e32 v13, vcc, 0, v13, vcc
	flat_load_ushort v9, v[12:13]
.LBB3365_25:
	s_or_b64 exec, exec, s[2:3]
	v_or_b32_e32 v13, 0x900, v0
	v_cmp_gt_u32_e32 vcc, s14, v13
                                        ; implicit-def: $vgpr12
	s_and_saveexec_b64 s[2:3], vcc
	s_cbranch_execz .LBB3365_27
; %bb.26:
	v_lshlrev_b32_e32 v12, 1, v13
	v_mov_b32_e32 v13, s16
	v_add_co_u32_e32 v12, vcc, s15, v12
	v_addc_co_u32_e32 v13, vcc, 0, v13, vcc
	flat_load_ushort v12, v[12:13]
.LBB3365_27:
	s_or_b64 exec, exec, s[2:3]
	v_or_b32_e32 v14, 0xa00, v0
	v_cmp_gt_u32_e32 vcc, s14, v14
                                        ; implicit-def: $vgpr13
	s_and_saveexec_b64 s[2:3], vcc
	s_cbranch_execz .LBB3365_29
; %bb.28:
	v_lshlrev_b32_e32 v13, 1, v14
	v_mov_b32_e32 v15, s16
	v_add_co_u32_e32 v14, vcc, s15, v13
	v_addc_co_u32_e32 v15, vcc, 0, v15, vcc
	flat_load_ushort v13, v[14:15]
.LBB3365_29:
	s_or_b64 exec, exec, s[2:3]
	v_or_b32_e32 v15, 0xb00, v0
	v_cmp_gt_u32_e32 vcc, s14, v15
                                        ; implicit-def: $vgpr14
	s_and_saveexec_b64 s[2:3], vcc
	s_cbranch_execz .LBB3365_31
; %bb.30:
	v_lshlrev_b32_e32 v14, 1, v15
	v_mov_b32_e32 v15, s16
	v_add_co_u32_e32 v14, vcc, s15, v14
	v_addc_co_u32_e32 v15, vcc, 0, v15, vcc
	flat_load_ushort v14, v[14:15]
.LBB3365_31:
	s_or_b64 exec, exec, s[2:3]
	v_or_b32_e32 v16, 0xc00, v0
	v_cmp_gt_u32_e32 vcc, s14, v16
                                        ; implicit-def: $vgpr15
	s_and_saveexec_b64 s[2:3], vcc
	s_cbranch_execz .LBB3365_33
; %bb.32:
	v_lshlrev_b32_e32 v15, 1, v16
	v_mov_b32_e32 v17, s16
	v_add_co_u32_e32 v16, vcc, s15, v15
	v_addc_co_u32_e32 v17, vcc, 0, v17, vcc
	flat_load_ushort v15, v[16:17]
.LBB3365_33:
	s_or_b64 exec, exec, s[2:3]
	v_or_b32_e32 v17, 0xd00, v0
	v_cmp_gt_u32_e32 vcc, s14, v17
                                        ; implicit-def: $vgpr16
	s_and_saveexec_b64 s[2:3], vcc
	s_cbranch_execz .LBB3365_35
; %bb.34:
	v_lshlrev_b32_e32 v16, 1, v17
	v_mov_b32_e32 v17, s16
	v_add_co_u32_e32 v16, vcc, s15, v16
	v_addc_co_u32_e32 v17, vcc, 0, v17, vcc
	flat_load_ushort v16, v[16:17]
.LBB3365_35:
	s_or_b64 exec, exec, s[2:3]
	v_or_b32_e32 v18, 0xe00, v0
	v_cmp_gt_u32_e32 vcc, s14, v18
                                        ; implicit-def: $vgpr17
	s_and_saveexec_b64 s[2:3], vcc
	s_cbranch_execz .LBB3365_37
; %bb.36:
	v_lshlrev_b32_e32 v17, 1, v18
	v_mov_b32_e32 v19, s16
	v_add_co_u32_e32 v18, vcc, s15, v17
	v_addc_co_u32_e32 v19, vcc, 0, v19, vcc
	flat_load_ushort v17, v[18:19]
.LBB3365_37:
	s_or_b64 exec, exec, s[2:3]
	v_or_b32_e32 v19, 0xf00, v0
	v_cmp_gt_u32_e32 vcc, s14, v19
                                        ; implicit-def: $vgpr18
	s_and_saveexec_b64 s[2:3], vcc
	s_cbranch_execz .LBB3365_39
; %bb.38:
	v_lshlrev_b32_e32 v18, 1, v19
	v_mov_b32_e32 v19, s16
	v_add_co_u32_e32 v18, vcc, s15, v18
	v_addc_co_u32_e32 v19, vcc, 0, v19, vcc
	flat_load_ushort v18, v[18:19]
.LBB3365_39:
	s_or_b64 exec, exec, s[2:3]
	v_or_b32_e32 v20, 0x1000, v0
	v_cmp_gt_u32_e32 vcc, s14, v20
                                        ; implicit-def: $vgpr19
	s_and_saveexec_b64 s[2:3], vcc
	s_cbranch_execz .LBB3365_41
; %bb.40:
	v_lshlrev_b32_e32 v19, 1, v20
	v_mov_b32_e32 v21, s16
	v_add_co_u32_e32 v20, vcc, s15, v19
	v_addc_co_u32_e32 v21, vcc, 0, v21, vcc
	flat_load_ushort v19, v[20:21]
.LBB3365_41:
	s_or_b64 exec, exec, s[2:3]
	v_or_b32_e32 v21, 0x1100, v0
	v_cmp_gt_u32_e32 vcc, s14, v21
                                        ; implicit-def: $vgpr20
	s_and_saveexec_b64 s[2:3], vcc
	s_cbranch_execz .LBB3365_43
; %bb.42:
	v_lshlrev_b32_e32 v20, 1, v21
	v_mov_b32_e32 v21, s16
	v_add_co_u32_e32 v20, vcc, s15, v20
	v_addc_co_u32_e32 v21, vcc, 0, v21, vcc
	flat_load_ushort v20, v[20:21]
.LBB3365_43:
	s_or_b64 exec, exec, s[2:3]
	v_or_b32_e32 v22, 0x1200, v0
	v_cmp_gt_u32_e32 vcc, s14, v22
                                        ; implicit-def: $vgpr21
	s_and_saveexec_b64 s[2:3], vcc
	s_cbranch_execz .LBB3365_45
; %bb.44:
	v_lshlrev_b32_e32 v21, 1, v22
	v_mov_b32_e32 v23, s16
	v_add_co_u32_e32 v22, vcc, s15, v21
	v_addc_co_u32_e32 v23, vcc, 0, v23, vcc
	flat_load_ushort v21, v[22:23]
.LBB3365_45:
	s_or_b64 exec, exec, s[2:3]
	v_or_b32_e32 v23, 0x1300, v0
	v_cmp_gt_u32_e32 vcc, s14, v23
                                        ; implicit-def: $vgpr22
	s_and_saveexec_b64 s[2:3], vcc
	s_cbranch_execz .LBB3365_47
; %bb.46:
	v_lshlrev_b32_e32 v22, 1, v23
	v_mov_b32_e32 v23, s16
	v_add_co_u32_e32 v22, vcc, s15, v22
	v_addc_co_u32_e32 v23, vcc, 0, v23, vcc
	flat_load_ushort v22, v[22:23]
.LBB3365_47:
	s_or_b64 exec, exec, s[2:3]
	v_lshlrev_b32_e32 v23, 1, v0
	s_waitcnt vmcnt(0) lgkmcnt(0)
	ds_write_b16 v23, v1
	ds_write_b16 v23, v2 offset:512
	ds_write_b16 v23, v3 offset:1024
	ds_write_b16 v23, v4 offset:1536
	ds_write_b16 v23, v5 offset:2048
	ds_write_b16 v23, v6 offset:2560
	ds_write_b16 v23, v7 offset:3072
	ds_write_b16 v23, v8 offset:3584
	ds_write_b16 v23, v9 offset:4096
	ds_write_b16 v23, v12 offset:4608
	ds_write_b16 v23, v13 offset:5120
	ds_write_b16 v23, v14 offset:5632
	ds_write_b16 v23, v15 offset:6144
	ds_write_b16 v23, v16 offset:6656
	ds_write_b16 v23, v17 offset:7168
	ds_write_b16 v23, v18 offset:7680
	ds_write_b16 v23, v19 offset:8192
	ds_write_b16 v23, v20 offset:8704
	ds_write_b16 v23, v21 offset:9216
	ds_write_b16 v23, v22 offset:9728
	s_waitcnt lgkmcnt(0)
	s_barrier
.LBB3365_48:
	v_mul_u32_u24_e32 v1, 20, v0
	v_lshlrev_b32_e32 v6, 1, v1
	ds_read_b64 v[12:13], v6 offset:32
	ds_read2_b64 v[2:5], v6 offset0:2 offset1:3
	ds_read2_b64 v[6:9], v6 offset1:1
	s_add_u32 s2, s6, s4
	s_addc_u32 s3, s7, s5
	s_add_u32 s2, s2, s10
	s_addc_u32 s3, s3, s11
	s_mov_b64 s[4:5], -1
	s_and_b64 vcc, exec, s[8:9]
	s_waitcnt lgkmcnt(0)
	s_barrier
	s_cbranch_vccz .LBB3365_50
; %bb.49:
	v_lshlrev_b32_e32 v14, 1, v0
	v_mov_b32_e32 v15, s3
	v_add_co_u32_e32 v16, vcc, s2, v14
	v_addc_co_u32_e32 v17, vcc, 0, v15, vcc
	s_movk_i32 s4, 0x1000
	global_load_ubyte v18, v14, s[2:3]
	global_load_ubyte v19, v14, s[2:3] offset:512
	global_load_ubyte v20, v14, s[2:3] offset:1024
	;; [unrolled: 1-line block ×7, first 2 shown]
	v_add_co_u32_e32 v14, vcc, s4, v16
	v_addc_co_u32_e32 v15, vcc, 0, v17, vcc
	s_movk_i32 s4, 0x2000
	v_add_co_u32_e32 v16, vcc, s4, v16
	v_addc_co_u32_e32 v17, vcc, 0, v17, vcc
	global_load_ubyte v26, v[16:17], off offset:-4096
	global_load_ubyte v27, v[14:15], off offset:512
	global_load_ubyte v28, v[14:15], off offset:1024
	;; [unrolled: 1-line block ×7, first 2 shown]
	global_load_ubyte v34, v[16:17], off
	global_load_ubyte v35, v[16:17], off offset:512
	global_load_ubyte v36, v[16:17], off offset:1024
	;; [unrolled: 1-line block ×3, first 2 shown]
	s_mov_b64 s[4:5], 0
	s_waitcnt vmcnt(19)
	v_xor_b32_e32 v14, -1, v18
	s_waitcnt vmcnt(18)
	v_xor_b32_e32 v15, -1, v19
	;; [unrolled: 2-line block ×8, first 2 shown]
	v_and_b32_e32 v14, 1, v14
	s_waitcnt vmcnt(11)
	v_xor_b32_e32 v22, -1, v26
	v_and_b32_e32 v15, 1, v15
	v_and_b32_e32 v16, 1, v16
	;; [unrolled: 1-line block ×7, first 2 shown]
	s_waitcnt vmcnt(10)
	v_xor_b32_e32 v23, -1, v27
	s_waitcnt vmcnt(9)
	v_xor_b32_e32 v24, -1, v28
	;; [unrolled: 2-line block ×11, first 2 shown]
	ds_write_b8 v0, v14
	ds_write_b8 v0, v15 offset:256
	ds_write_b8 v0, v16 offset:512
	;; [unrolled: 1-line block ×7, first 2 shown]
	v_and_b32_e32 v14, 1, v22
	v_and_b32_e32 v15, 1, v23
	;; [unrolled: 1-line block ×12, first 2 shown]
	ds_write_b8 v0, v14 offset:2048
	ds_write_b8 v0, v15 offset:2304
	;; [unrolled: 1-line block ×12, first 2 shown]
	s_waitcnt lgkmcnt(0)
	s_barrier
.LBB3365_50:
	s_andn2_b64 vcc, exec, s[4:5]
	s_cbranch_vccnz .LBB3365_92
; %bb.51:
	v_cmp_gt_u32_e32 vcc, s14, v0
	v_mov_b32_e32 v14, 0
	v_mov_b32_e32 v15, 0
	s_and_saveexec_b64 s[4:5], vcc
	s_cbranch_execz .LBB3365_53
; %bb.52:
	v_lshlrev_b32_e32 v15, 1, v0
	global_load_ubyte v15, v15, s[2:3]
	s_waitcnt vmcnt(0)
	v_xor_b32_e32 v15, -1, v15
	v_and_b32_e32 v15, 1, v15
.LBB3365_53:
	s_or_b64 exec, exec, s[4:5]
	v_or_b32_e32 v16, 0x100, v0
	v_cmp_gt_u32_e32 vcc, s14, v16
	s_and_saveexec_b64 s[4:5], vcc
	s_cbranch_execz .LBB3365_55
; %bb.54:
	v_lshlrev_b32_e32 v14, 1, v0
	global_load_ubyte v14, v14, s[2:3] offset:512
	s_waitcnt vmcnt(0)
	v_xor_b32_e32 v14, -1, v14
	v_and_b32_e32 v14, 1, v14
.LBB3365_55:
	s_or_b64 exec, exec, s[4:5]
	v_or_b32_e32 v16, 0x200, v0
	v_cmp_gt_u32_e32 vcc, s14, v16
	v_mov_b32_e32 v16, 0
	v_mov_b32_e32 v17, 0
	s_and_saveexec_b64 s[4:5], vcc
	s_cbranch_execz .LBB3365_57
; %bb.56:
	v_lshlrev_b32_e32 v17, 1, v0
	global_load_ubyte v17, v17, s[2:3] offset:1024
	s_waitcnt vmcnt(0)
	v_xor_b32_e32 v17, -1, v17
	v_and_b32_e32 v17, 1, v17
.LBB3365_57:
	s_or_b64 exec, exec, s[4:5]
	v_or_b32_e32 v18, 0x300, v0
	v_cmp_gt_u32_e32 vcc, s14, v18
	s_and_saveexec_b64 s[4:5], vcc
	s_cbranch_execz .LBB3365_59
; %bb.58:
	v_lshlrev_b32_e32 v16, 1, v0
	global_load_ubyte v16, v16, s[2:3] offset:1536
	s_waitcnt vmcnt(0)
	v_xor_b32_e32 v16, -1, v16
	v_and_b32_e32 v16, 1, v16
.LBB3365_59:
	s_or_b64 exec, exec, s[4:5]
	v_or_b32_e32 v18, 0x400, v0
	v_cmp_gt_u32_e32 vcc, s14, v18
	v_mov_b32_e32 v18, 0
	v_mov_b32_e32 v19, 0
	s_and_saveexec_b64 s[4:5], vcc
	s_cbranch_execz .LBB3365_61
; %bb.60:
	v_lshlrev_b32_e32 v19, 1, v0
	global_load_ubyte v19, v19, s[2:3] offset:2048
	s_waitcnt vmcnt(0)
	v_xor_b32_e32 v19, -1, v19
	v_and_b32_e32 v19, 1, v19
.LBB3365_61:
	;; [unrolled: 26-line block ×3, first 2 shown]
	s_or_b64 exec, exec, s[4:5]
	v_or_b32_e32 v22, 0x700, v0
	v_cmp_gt_u32_e32 vcc, s14, v22
	s_and_saveexec_b64 s[4:5], vcc
	s_cbranch_execz .LBB3365_67
; %bb.66:
	v_lshlrev_b32_e32 v20, 1, v0
	global_load_ubyte v20, v20, s[2:3] offset:3584
	s_waitcnt vmcnt(0)
	v_xor_b32_e32 v20, -1, v20
	v_and_b32_e32 v20, 1, v20
.LBB3365_67:
	s_or_b64 exec, exec, s[4:5]
	v_or_b32_e32 v24, 0x800, v0
	v_cmp_gt_u32_e32 vcc, s14, v24
	v_mov_b32_e32 v22, 0
	v_mov_b32_e32 v23, 0
	s_and_saveexec_b64 s[4:5], vcc
	s_cbranch_execz .LBB3365_69
; %bb.68:
	v_lshlrev_b32_e32 v23, 1, v24
	global_load_ubyte v23, v23, s[2:3]
	s_waitcnt vmcnt(0)
	v_xor_b32_e32 v23, -1, v23
	v_and_b32_e32 v23, 1, v23
.LBB3365_69:
	s_or_b64 exec, exec, s[4:5]
	v_or_b32_e32 v24, 0x900, v0
	v_cmp_gt_u32_e32 vcc, s14, v24
	s_and_saveexec_b64 s[4:5], vcc
	s_cbranch_execz .LBB3365_71
; %bb.70:
	v_lshlrev_b32_e32 v22, 1, v24
	global_load_ubyte v22, v22, s[2:3]
	s_waitcnt vmcnt(0)
	v_xor_b32_e32 v22, -1, v22
	v_and_b32_e32 v22, 1, v22
.LBB3365_71:
	s_or_b64 exec, exec, s[4:5]
	v_or_b32_e32 v26, 0xa00, v0
	v_cmp_gt_u32_e32 vcc, s14, v26
	v_mov_b32_e32 v24, 0
	v_mov_b32_e32 v25, 0
	s_and_saveexec_b64 s[4:5], vcc
	s_cbranch_execz .LBB3365_73
; %bb.72:
	v_lshlrev_b32_e32 v25, 1, v26
	global_load_ubyte v25, v25, s[2:3]
	s_waitcnt vmcnt(0)
	v_xor_b32_e32 v25, -1, v25
	v_and_b32_e32 v25, 1, v25
.LBB3365_73:
	s_or_b64 exec, exec, s[4:5]
	v_or_b32_e32 v26, 0xb00, v0
	v_cmp_gt_u32_e32 vcc, s14, v26
	s_and_saveexec_b64 s[4:5], vcc
	s_cbranch_execz .LBB3365_75
; %bb.74:
	v_lshlrev_b32_e32 v24, 1, v26
	global_load_ubyte v24, v24, s[2:3]
	s_waitcnt vmcnt(0)
	v_xor_b32_e32 v24, -1, v24
	v_and_b32_e32 v24, 1, v24
.LBB3365_75:
	;; [unrolled: 26-line block ×6, first 2 shown]
	s_or_b64 exec, exec, s[4:5]
	ds_write_b8 v0, v15
	ds_write_b8 v0, v14 offset:256
	ds_write_b8 v0, v17 offset:512
	;; [unrolled: 1-line block ×19, first 2 shown]
	s_waitcnt lgkmcnt(0)
	s_barrier
.LBB3365_92:
	ds_read2_b32 v[16:17], v1 offset1:1
	ds_read2_b32 v[14:15], v1 offset0:2 offset1:3
	ds_read_b32 v29, v1 offset:16
	s_cmp_lg_u32 s30, 0
	v_lshrrev_b32_e32 v48, 6, v0
	s_waitcnt lgkmcnt(2)
	v_lshrrev_b32_e32 v34, 24, v16
	v_bfe_u32 v46, v16, 16, 8
	v_add_u32_sdwa v18, v16, v16 dst_sel:DWORD dst_unused:UNUSED_PAD src0_sel:BYTE_1 src1_sel:BYTE_0
	v_and_b32_e32 v43, 0xff, v17
	v_bfe_u32 v44, v17, 8, 8
	v_add3_u32 v18, v18, v46, v34
	v_lshrrev_b32_e32 v33, 24, v17
	v_bfe_u32 v45, v17, 16, 8
	v_add3_u32 v18, v18, v43, v44
	s_waitcnt lgkmcnt(1)
	v_and_b32_e32 v40, 0xff, v14
	v_bfe_u32 v41, v14, 8, 8
	v_add3_u32 v18, v18, v45, v33
	v_lshrrev_b32_e32 v32, 24, v14
	v_bfe_u32 v42, v14, 16, 8
	v_add3_u32 v18, v18, v40, v41
	v_and_b32_e32 v37, 0xff, v15
	v_bfe_u32 v38, v15, 8, 8
	v_add3_u32 v18, v18, v42, v32
	v_lshrrev_b32_e32 v31, 24, v15
	v_bfe_u32 v39, v15, 16, 8
	v_add3_u32 v18, v18, v37, v38
	s_waitcnt lgkmcnt(0)
	v_and_b32_e32 v35, 0xff, v29
	v_bfe_u32 v36, v29, 8, 8
	v_add3_u32 v18, v18, v39, v31
	v_lshrrev_b32_e32 v28, 24, v29
	v_bfe_u32 v30, v29, 16, 8
	v_add3_u32 v18, v18, v35, v36
	v_add3_u32 v49, v18, v30, v28
	v_mbcnt_lo_u32_b32 v18, -1, 0
	v_mbcnt_hi_u32_b32 v47, -1, v18
	v_and_b32_e32 v18, 15, v47
	v_cmp_eq_u32_e64 s[14:15], 0, v18
	v_cmp_lt_u32_e64 s[12:13], 1, v18
	v_cmp_lt_u32_e64 s[10:11], 3, v18
	v_cmp_lt_u32_e64 s[8:9], 7, v18
	v_and_b32_e32 v18, 16, v47
	v_cmp_eq_u32_e64 s[6:7], 0, v18
	v_or_b32_e32 v18, 63, v0
	v_cmp_lt_u32_e64 s[2:3], 31, v47
	v_cmp_eq_u32_e64 s[4:5], v18, v0
	s_barrier
	s_cbranch_scc0 .LBB3365_123
; %bb.93:
	v_mov_b32_dpp v18, v49 row_shr:1 row_mask:0xf bank_mask:0xf
	v_cndmask_b32_e64 v18, v18, 0, s[14:15]
	v_add_u32_e32 v18, v18, v49
	s_nop 1
	v_mov_b32_dpp v19, v18 row_shr:2 row_mask:0xf bank_mask:0xf
	v_cndmask_b32_e64 v19, 0, v19, s[12:13]
	v_add_u32_e32 v18, v18, v19
	s_nop 1
	;; [unrolled: 4-line block ×4, first 2 shown]
	v_mov_b32_dpp v19, v18 row_bcast:15 row_mask:0xf bank_mask:0xf
	v_cndmask_b32_e64 v19, v19, 0, s[6:7]
	v_add_u32_e32 v18, v18, v19
	s_nop 1
	v_mov_b32_dpp v19, v18 row_bcast:31 row_mask:0xf bank_mask:0xf
	v_cndmask_b32_e64 v19, 0, v19, s[2:3]
	v_add_u32_e32 v18, v18, v19
	s_and_saveexec_b64 s[16:17], s[4:5]
	s_cbranch_execz .LBB3365_95
; %bb.94:
	v_lshlrev_b32_e32 v19, 2, v48
	ds_write_b32 v19, v18
.LBB3365_95:
	s_or_b64 exec, exec, s[16:17]
	v_cmp_gt_u32_e32 vcc, 4, v0
	s_waitcnt lgkmcnt(0)
	s_barrier
	s_and_saveexec_b64 s[16:17], vcc
	s_cbranch_execz .LBB3365_97
; %bb.96:
	v_lshlrev_b32_e32 v19, 2, v0
	ds_read_b32 v20, v19
	v_and_b32_e32 v21, 3, v47
	v_cmp_ne_u32_e32 vcc, 0, v21
	s_waitcnt lgkmcnt(0)
	v_mov_b32_dpp v22, v20 row_shr:1 row_mask:0xf bank_mask:0xf
	v_cndmask_b32_e32 v22, 0, v22, vcc
	v_add_u32_e32 v20, v22, v20
	v_cmp_lt_u32_e32 vcc, 1, v21
	s_nop 0
	v_mov_b32_dpp v22, v20 row_shr:2 row_mask:0xf bank_mask:0xf
	v_cndmask_b32_e32 v21, 0, v22, vcc
	v_add_u32_e32 v20, v20, v21
	ds_write_b32 v19, v20
.LBB3365_97:
	s_or_b64 exec, exec, s[16:17]
	v_cmp_gt_u32_e32 vcc, 64, v0
	v_cmp_lt_u32_e64 s[16:17], 63, v0
	s_waitcnt lgkmcnt(0)
	s_barrier
	s_waitcnt lgkmcnt(0)
                                        ; implicit-def: $vgpr50
	s_and_saveexec_b64 s[22:23], s[16:17]
	s_cbranch_execz .LBB3365_99
; %bb.98:
	v_lshl_add_u32 v19, v48, 2, -4
	ds_read_b32 v50, v19
	s_waitcnt lgkmcnt(0)
	v_add_u32_e32 v18, v50, v18
.LBB3365_99:
	s_or_b64 exec, exec, s[22:23]
	v_add_u32_e32 v19, -1, v47
	v_and_b32_e32 v20, 64, v47
	v_cmp_lt_i32_e64 s[16:17], v19, v20
	v_cndmask_b32_e64 v19, v19, v47, s[16:17]
	v_lshlrev_b32_e32 v19, 2, v19
	ds_bpermute_b32 v51, v19, v18
	v_cmp_eq_u32_e64 s[16:17], 0, v47
	s_and_saveexec_b64 s[22:23], vcc
	s_cbranch_execz .LBB3365_122
; %bb.100:
	v_mov_b32_e32 v27, 0
	ds_read_b32 v18, v27 offset:12
	s_and_saveexec_b64 s[26:27], s[16:17]
	s_cbranch_execz .LBB3365_102
; %bb.101:
	s_add_i32 s28, s30, 64
	s_mov_b32 s29, 0
	s_lshl_b64 s[28:29], s[28:29], 3
	s_add_u32 s28, s24, s28
	v_mov_b32_e32 v19, 1
	s_addc_u32 s29, s25, s29
	s_waitcnt lgkmcnt(0)
	global_store_dwordx2 v27, v[18:19], s[28:29]
.LBB3365_102:
	s_or_b64 exec, exec, s[26:27]
	v_xad_u32 v20, v47, -1, s30
	v_add_u32_e32 v26, 64, v20
	v_lshlrev_b64 v[22:23], 3, v[26:27]
	v_mov_b32_e32 v19, s25
	v_add_co_u32_e32 v22, vcc, s24, v22
	v_addc_co_u32_e32 v23, vcc, v19, v23, vcc
	global_load_dwordx2 v[24:25], v[22:23], off glc
	s_waitcnt vmcnt(0)
	v_cmp_eq_u16_sdwa s[28:29], v25, v27 src0_sel:BYTE_0 src1_sel:DWORD
	s_and_saveexec_b64 s[26:27], s[28:29]
	s_cbranch_execz .LBB3365_108
; %bb.103:
	s_mov_b32 s31, 1
	s_mov_b64 s[28:29], 0
	v_mov_b32_e32 v19, 0
.LBB3365_104:                           ; =>This Loop Header: Depth=1
                                        ;     Child Loop BB3365_105 Depth 2
	s_max_u32 s33, s31, 1
.LBB3365_105:                           ;   Parent Loop BB3365_104 Depth=1
                                        ; =>  This Inner Loop Header: Depth=2
	s_add_i32 s33, s33, -1
	s_cmp_eq_u32 s33, 0
	s_sleep 1
	s_cbranch_scc0 .LBB3365_105
; %bb.106:                              ;   in Loop: Header=BB3365_104 Depth=1
	global_load_dwordx2 v[24:25], v[22:23], off glc
	s_cmp_lt_u32 s31, 32
	s_cselect_b64 s[34:35], -1, 0
	s_cmp_lg_u64 s[34:35], 0
	s_addc_u32 s31, s31, 0
	s_waitcnt vmcnt(0)
	v_cmp_ne_u16_sdwa s[34:35], v25, v19 src0_sel:BYTE_0 src1_sel:DWORD
	s_or_b64 s[28:29], s[34:35], s[28:29]
	s_andn2_b64 exec, exec, s[28:29]
	s_cbranch_execnz .LBB3365_104
; %bb.107:
	s_or_b64 exec, exec, s[28:29]
.LBB3365_108:
	s_or_b64 exec, exec, s[26:27]
	v_and_b32_e32 v53, 63, v47
	v_mov_b32_e32 v52, 2
	v_cmp_ne_u32_e32 vcc, 63, v53
	v_cmp_eq_u16_sdwa s[26:27], v25, v52 src0_sel:BYTE_0 src1_sel:DWORD
	v_lshlrev_b64 v[22:23], v47, -1
	v_addc_co_u32_e32 v26, vcc, 0, v47, vcc
	v_and_b32_e32 v19, s27, v23
	v_lshlrev_b32_e32 v54, 2, v26
	v_or_b32_e32 v19, 0x80000000, v19
	ds_bpermute_b32 v26, v54, v24
	v_and_b32_e32 v21, s26, v22
	v_ffbl_b32_e32 v19, v19
	v_add_u32_e32 v19, 32, v19
	v_ffbl_b32_e32 v21, v21
	v_min_u32_e32 v19, v21, v19
	v_cmp_lt_u32_e32 vcc, v53, v19
	s_waitcnt lgkmcnt(0)
	v_cndmask_b32_e32 v21, 0, v26, vcc
	v_cmp_gt_u32_e32 vcc, 62, v53
	v_add_u32_e32 v21, v21, v24
	v_cndmask_b32_e64 v24, 0, 1, vcc
	v_lshlrev_b32_e32 v24, 1, v24
	v_add_lshl_u32 v55, v24, v47, 2
	ds_bpermute_b32 v24, v55, v21
	v_add_u32_e32 v56, 2, v53
	v_cmp_le_u32_e32 vcc, v56, v19
	v_add_u32_e32 v58, 4, v53
	v_add_u32_e32 v60, 8, v53
	s_waitcnt lgkmcnt(0)
	v_cndmask_b32_e32 v24, 0, v24, vcc
	v_cmp_gt_u32_e32 vcc, 60, v53
	v_add_u32_e32 v21, v21, v24
	v_cndmask_b32_e64 v24, 0, 1, vcc
	v_lshlrev_b32_e32 v24, 2, v24
	v_add_lshl_u32 v57, v24, v47, 2
	ds_bpermute_b32 v24, v57, v21
	v_cmp_le_u32_e32 vcc, v58, v19
	v_add_u32_e32 v62, 16, v53
	v_add_u32_e32 v64, 32, v53
	s_waitcnt lgkmcnt(0)
	v_cndmask_b32_e32 v24, 0, v24, vcc
	v_cmp_gt_u32_e32 vcc, 56, v53
	v_add_u32_e32 v21, v21, v24
	v_cndmask_b32_e64 v24, 0, 1, vcc
	v_lshlrev_b32_e32 v24, 3, v24
	v_add_lshl_u32 v59, v24, v47, 2
	ds_bpermute_b32 v24, v59, v21
	v_cmp_le_u32_e32 vcc, v60, v19
	s_waitcnt lgkmcnt(0)
	v_cndmask_b32_e32 v24, 0, v24, vcc
	v_cmp_gt_u32_e32 vcc, 48, v53
	v_add_u32_e32 v21, v21, v24
	v_cndmask_b32_e64 v24, 0, 1, vcc
	v_lshlrev_b32_e32 v24, 4, v24
	v_add_lshl_u32 v61, v24, v47, 2
	ds_bpermute_b32 v24, v61, v21
	v_cmp_le_u32_e32 vcc, v62, v19
	;; [unrolled: 9-line block ×3, first 2 shown]
	s_waitcnt lgkmcnt(0)
	v_cndmask_b32_e32 v19, 0, v24, vcc
	v_add_u32_e32 v24, v21, v19
	v_mov_b32_e32 v21, 0
	s_branch .LBB3365_110
.LBB3365_109:                           ;   in Loop: Header=BB3365_110 Depth=1
	s_or_b64 exec, exec, s[26:27]
	v_cmp_eq_u16_sdwa s[26:27], v25, v52 src0_sel:BYTE_0 src1_sel:DWORD
	v_and_b32_e32 v26, s27, v23
	v_or_b32_e32 v26, 0x80000000, v26
	ds_bpermute_b32 v65, v54, v24
	v_and_b32_e32 v27, s26, v22
	v_ffbl_b32_e32 v26, v26
	v_add_u32_e32 v26, 32, v26
	v_ffbl_b32_e32 v27, v27
	v_min_u32_e32 v26, v27, v26
	v_cmp_lt_u32_e32 vcc, v53, v26
	s_waitcnt lgkmcnt(0)
	v_cndmask_b32_e32 v27, 0, v65, vcc
	v_add_u32_e32 v24, v27, v24
	ds_bpermute_b32 v27, v55, v24
	v_cmp_le_u32_e32 vcc, v56, v26
	v_subrev_u32_e32 v20, 64, v20
	s_waitcnt lgkmcnt(0)
	v_cndmask_b32_e32 v27, 0, v27, vcc
	v_add_u32_e32 v24, v24, v27
	ds_bpermute_b32 v27, v57, v24
	v_cmp_le_u32_e32 vcc, v58, v26
	s_waitcnt lgkmcnt(0)
	v_cndmask_b32_e32 v27, 0, v27, vcc
	v_add_u32_e32 v24, v24, v27
	ds_bpermute_b32 v27, v59, v24
	v_cmp_le_u32_e32 vcc, v60, v26
	;; [unrolled: 5-line block ×4, first 2 shown]
	s_waitcnt lgkmcnt(0)
	v_cndmask_b32_e32 v26, 0, v27, vcc
	v_add3_u32 v24, v26, v19, v24
.LBB3365_110:                           ; =>This Loop Header: Depth=1
                                        ;     Child Loop BB3365_113 Depth 2
                                        ;       Child Loop BB3365_114 Depth 3
	v_cmp_ne_u16_sdwa s[26:27], v25, v52 src0_sel:BYTE_0 src1_sel:DWORD
	v_cndmask_b32_e64 v19, 0, 1, s[26:27]
	;;#ASMSTART
	;;#ASMEND
	v_cmp_ne_u32_e32 vcc, 0, v19
	s_cmp_lg_u64 vcc, exec
	v_mov_b32_e32 v19, v24
	s_cbranch_scc1 .LBB3365_117
; %bb.111:                              ;   in Loop: Header=BB3365_110 Depth=1
	v_lshlrev_b64 v[24:25], 3, v[20:21]
	v_mov_b32_e32 v27, s25
	v_add_co_u32_e32 v26, vcc, s24, v24
	v_addc_co_u32_e32 v27, vcc, v27, v25, vcc
	global_load_dwordx2 v[24:25], v[26:27], off glc
	s_waitcnt vmcnt(0)
	v_cmp_eq_u16_sdwa s[28:29], v25, v21 src0_sel:BYTE_0 src1_sel:DWORD
	s_and_saveexec_b64 s[26:27], s[28:29]
	s_cbranch_execz .LBB3365_109
; %bb.112:                              ;   in Loop: Header=BB3365_110 Depth=1
	s_mov_b32 s31, 1
	s_mov_b64 s[28:29], 0
.LBB3365_113:                           ;   Parent Loop BB3365_110 Depth=1
                                        ; =>  This Loop Header: Depth=2
                                        ;       Child Loop BB3365_114 Depth 3
	s_max_u32 s33, s31, 1
.LBB3365_114:                           ;   Parent Loop BB3365_110 Depth=1
                                        ;     Parent Loop BB3365_113 Depth=2
                                        ; =>    This Inner Loop Header: Depth=3
	s_add_i32 s33, s33, -1
	s_cmp_eq_u32 s33, 0
	s_sleep 1
	s_cbranch_scc0 .LBB3365_114
; %bb.115:                              ;   in Loop: Header=BB3365_113 Depth=2
	global_load_dwordx2 v[24:25], v[26:27], off glc
	s_cmp_lt_u32 s31, 32
	s_cselect_b64 s[34:35], -1, 0
	s_cmp_lg_u64 s[34:35], 0
	s_addc_u32 s31, s31, 0
	s_waitcnt vmcnt(0)
	v_cmp_ne_u16_sdwa s[34:35], v25, v21 src0_sel:BYTE_0 src1_sel:DWORD
	s_or_b64 s[28:29], s[34:35], s[28:29]
	s_andn2_b64 exec, exec, s[28:29]
	s_cbranch_execnz .LBB3365_113
; %bb.116:                              ;   in Loop: Header=BB3365_110 Depth=1
	s_or_b64 exec, exec, s[28:29]
	s_branch .LBB3365_109
.LBB3365_117:                           ;   in Loop: Header=BB3365_110 Depth=1
                                        ; implicit-def: $vgpr24
                                        ; implicit-def: $vgpr25
	s_cbranch_execz .LBB3365_110
; %bb.118:
	s_and_saveexec_b64 s[26:27], s[16:17]
	s_cbranch_execz .LBB3365_120
; %bb.119:
	s_add_i32 s28, s30, 64
	s_mov_b32 s29, 0
	s_lshl_b64 s[28:29], s[28:29], 3
	s_add_u32 s28, s24, s28
	v_add_u32_e32 v20, v19, v18
	v_mov_b32_e32 v21, 2
	s_addc_u32 s29, s25, s29
	v_mov_b32_e32 v22, 0
	global_store_dwordx2 v22, v[20:21], s[28:29]
	ds_write_b64 v22, v[18:19] offset:10240
.LBB3365_120:
	s_or_b64 exec, exec, s[26:27]
	s_and_b64 exec, exec, s[0:1]
	s_cbranch_execz .LBB3365_122
; %bb.121:
	v_mov_b32_e32 v18, 0
	ds_write_b32 v18, v19 offset:12
.LBB3365_122:
	s_or_b64 exec, exec, s[22:23]
	v_mov_b32_e32 v18, 0
	s_waitcnt lgkmcnt(0)
	s_barrier
	ds_read_b32 v20, v18 offset:12
	s_waitcnt lgkmcnt(0)
	s_barrier
	ds_read_b64 v[18:19], v18 offset:10240
	v_cndmask_b32_e64 v21, v51, v50, s[16:17]
	v_cndmask_b32_e64 v21, v21, 0, s[0:1]
	v_add_u32_e32 v23, v20, v21
	s_branch .LBB3365_133
.LBB3365_123:
                                        ; implicit-def: $vgpr19
                                        ; implicit-def: $vgpr23
	s_cbranch_execz .LBB3365_133
; %bb.124:
	s_waitcnt lgkmcnt(0)
	v_mov_b32_dpp v18, v49 row_shr:1 row_mask:0xf bank_mask:0xf
	v_cndmask_b32_e64 v18, v18, 0, s[14:15]
	v_add_u32_e32 v18, v18, v49
	s_nop 1
	v_mov_b32_dpp v19, v18 row_shr:2 row_mask:0xf bank_mask:0xf
	v_cndmask_b32_e64 v19, 0, v19, s[12:13]
	v_add_u32_e32 v18, v18, v19
	s_nop 1
	;; [unrolled: 4-line block ×4, first 2 shown]
	v_mov_b32_dpp v19, v18 row_bcast:15 row_mask:0xf bank_mask:0xf
	v_cndmask_b32_e64 v19, v19, 0, s[6:7]
	v_add_u32_e32 v18, v18, v19
	s_nop 1
	v_mov_b32_dpp v19, v18 row_bcast:31 row_mask:0xf bank_mask:0xf
	v_cndmask_b32_e64 v19, 0, v19, s[2:3]
	v_add_u32_e32 v18, v18, v19
	s_and_saveexec_b64 s[2:3], s[4:5]
	s_cbranch_execz .LBB3365_126
; %bb.125:
	v_lshlrev_b32_e32 v19, 2, v48
	ds_write_b32 v19, v18
.LBB3365_126:
	s_or_b64 exec, exec, s[2:3]
	v_cmp_gt_u32_e32 vcc, 4, v0
	s_waitcnt lgkmcnt(0)
	s_barrier
	s_and_saveexec_b64 s[2:3], vcc
	s_cbranch_execz .LBB3365_128
; %bb.127:
	v_lshlrev_b32_e32 v19, 2, v0
	ds_read_b32 v20, v19
	v_and_b32_e32 v21, 3, v47
	v_cmp_ne_u32_e32 vcc, 0, v21
	s_waitcnt lgkmcnt(0)
	v_mov_b32_dpp v22, v20 row_shr:1 row_mask:0xf bank_mask:0xf
	v_cndmask_b32_e32 v22, 0, v22, vcc
	v_add_u32_e32 v20, v22, v20
	v_cmp_lt_u32_e32 vcc, 1, v21
	s_nop 0
	v_mov_b32_dpp v22, v20 row_shr:2 row_mask:0xf bank_mask:0xf
	v_cndmask_b32_e32 v21, 0, v22, vcc
	v_add_u32_e32 v20, v20, v21
	ds_write_b32 v19, v20
.LBB3365_128:
	s_or_b64 exec, exec, s[2:3]
	v_cmp_lt_u32_e32 vcc, 63, v0
	v_mov_b32_e32 v19, 0
	v_mov_b32_e32 v0, 0
	s_waitcnt lgkmcnt(0)
	s_barrier
	s_and_saveexec_b64 s[2:3], vcc
	s_cbranch_execz .LBB3365_130
; %bb.129:
	v_lshl_add_u32 v0, v48, 2, -4
	ds_read_b32 v0, v0
.LBB3365_130:
	s_or_b64 exec, exec, s[2:3]
	v_add_u32_e32 v20, -1, v47
	v_and_b32_e32 v21, 64, v47
	v_cmp_lt_i32_e32 vcc, v20, v21
	v_cndmask_b32_e32 v20, v20, v47, vcc
	s_waitcnt lgkmcnt(0)
	v_add_u32_e32 v18, v0, v18
	v_lshlrev_b32_e32 v20, 2, v20
	ds_bpermute_b32 v20, v20, v18
	ds_read_b32 v18, v19 offset:12
	s_and_saveexec_b64 s[2:3], s[0:1]
	s_cbranch_execz .LBB3365_132
; %bb.131:
	v_mov_b32_e32 v21, 0
	v_mov_b32_e32 v19, 2
	s_waitcnt lgkmcnt(0)
	global_store_dwordx2 v21, v[18:19], s[24:25] offset:512
.LBB3365_132:
	s_or_b64 exec, exec, s[2:3]
	v_cmp_eq_u32_e32 vcc, 0, v47
	s_waitcnt lgkmcnt(1)
	v_cndmask_b32_e32 v0, v20, v0, vcc
	v_mov_b32_e32 v19, 0
	v_cndmask_b32_e64 v23, v0, 0, s[0:1]
	s_waitcnt lgkmcnt(0)
	s_barrier
.LBB3365_133:
	v_add_u32_sdwa v25, v23, v16 dst_sel:DWORD dst_unused:UNUSED_PAD src0_sel:DWORD src1_sel:BYTE_0
	s_waitcnt lgkmcnt(0)
	v_add_u32_e32 v1, v18, v1
	v_sub_u32_e32 v23, v23, v19
	v_and_b32_e32 v51, 1, v16
	v_sub_u32_e32 v50, v1, v23
	v_cmp_eq_u32_e32 vcc, 1, v51
	v_cndmask_b32_e32 v23, v50, v23, vcc
	v_lshlrev_b32_e32 v23, 1, v23
	v_lshrrev_b32_e32 v24, 8, v16
	ds_write_b16 v23, v6
	v_sub_u32_e32 v23, v25, v19
	v_add_u32_sdwa v26, v25, v16 dst_sel:DWORD dst_unused:UNUSED_PAD src0_sel:DWORD src1_sel:BYTE_1
	v_sub_u32_e32 v25, v1, v23
	v_and_b32_e32 v24, 1, v24
	v_add_u32_e32 v25, 1, v25
	v_cmp_eq_u32_e32 vcc, 1, v24
	v_cndmask_b32_e32 v23, v25, v23, vcc
	v_lshlrev_b32_e32 v23, 1, v23
	ds_write_b16_d16_hi v23, v6
	v_sub_u32_e32 v6, v26, v19
	v_mov_b32_e32 v24, 1
	v_sub_u32_e32 v23, v1, v6
	v_and_b32_sdwa v16, v24, v16 dst_sel:DWORD dst_unused:UNUSED_PAD src0_sel:DWORD src1_sel:WORD_1
	v_add_u32_e32 v23, 2, v23
	v_cmp_eq_u32_e32 vcc, 1, v16
	v_cndmask_b32_e32 v6, v23, v6, vcc
	v_add_u32_e32 v27, v26, v46
	v_lshlrev_b32_e32 v6, 1, v6
	ds_write_b16 v6, v7
	v_sub_u32_e32 v6, v27, v19
	v_sub_u32_e32 v16, v1, v6
	v_and_b32_e32 v23, 1, v34
	v_add_u32_e32 v16, 3, v16
	v_cmp_eq_u32_e32 vcc, 1, v23
	v_cndmask_b32_e32 v6, v16, v6, vcc
	v_add_u32_e32 v46, v27, v34
	v_lshlrev_b32_e32 v6, 1, v6
	ds_write_b16_d16_hi v6, v7
	v_sub_u32_e32 v6, v46, v19
	v_sub_u32_e32 v7, v1, v6
	v_and_b32_e32 v16, 1, v17
	v_add_u32_e32 v7, 4, v7
	v_cmp_eq_u32_e32 vcc, 1, v16
	v_cndmask_b32_e32 v6, v7, v6, vcc
	v_add_u32_e32 v43, v46, v43
	v_lshlrev_b32_e32 v6, 1, v6
	v_lshrrev_b32_e32 v22, 8, v17
	ds_write_b16 v6, v8
	v_sub_u32_e32 v6, v43, v19
	v_sub_u32_e32 v7, v1, v6
	v_and_b32_e32 v16, 1, v22
	v_add_u32_e32 v7, 5, v7
	v_cmp_eq_u32_e32 vcc, 1, v16
	v_cndmask_b32_e32 v6, v7, v6, vcc
	v_add_u32_e32 v44, v43, v44
	v_lshlrev_b32_e32 v6, 1, v6
	ds_write_b16_d16_hi v6, v8
	v_sub_u32_e32 v6, v44, v19
	v_sub_u32_e32 v7, v1, v6
	v_and_b32_sdwa v8, v24, v17 dst_sel:DWORD dst_unused:UNUSED_PAD src0_sel:DWORD src1_sel:WORD_1
	v_add_u32_e32 v7, 6, v7
	v_cmp_eq_u32_e32 vcc, 1, v8
	v_cndmask_b32_e32 v6, v7, v6, vcc
	v_add_u32_e32 v45, v44, v45
	v_lshlrev_b32_e32 v6, 1, v6
	ds_write_b16 v6, v9
	v_sub_u32_e32 v6, v45, v19
	v_sub_u32_e32 v7, v1, v6
	v_and_b32_e32 v8, 1, v33
	v_add_u32_e32 v7, 7, v7
	v_cmp_eq_u32_e32 vcc, 1, v8
	v_cndmask_b32_e32 v6, v7, v6, vcc
	v_add_u32_e32 v47, v45, v33
	v_lshlrev_b32_e32 v6, 1, v6
	ds_write_b16_d16_hi v6, v9
	v_sub_u32_e32 v6, v47, v19
	v_sub_u32_e32 v7, v1, v6
	v_and_b32_e32 v8, 1, v14
	v_add_u32_e32 v7, 8, v7
	v_cmp_eq_u32_e32 vcc, 1, v8
	v_cndmask_b32_e32 v6, v7, v6, vcc
	v_add_u32_e32 v40, v47, v40
	v_lshlrev_b32_e32 v6, 1, v6
	v_lshrrev_b32_e32 v21, 8, v14
	ds_write_b16 v6, v2
	v_sub_u32_e32 v6, v40, v19
	v_sub_u32_e32 v7, v1, v6
	v_and_b32_e32 v8, 1, v21
	v_add_u32_e32 v7, 9, v7
	v_cmp_eq_u32_e32 vcc, 1, v8
	v_cndmask_b32_e32 v6, v7, v6, vcc
	v_add_u32_e32 v41, v40, v41
	v_lshlrev_b32_e32 v6, 1, v6
	ds_write_b16_d16_hi v6, v2
	v_sub_u32_e32 v2, v41, v19
	;; [unrolled: 37-line block ×4, first 2 shown]
	v_sub_u32_e32 v2, v1, v0
	v_and_b32_sdwa v3, v24, v29 dst_sel:DWORD dst_unused:UNUSED_PAD src0_sel:DWORD src1_sel:WORD_1
	v_add_u32_e32 v2, 18, v2
	v_cmp_eq_u32_e32 vcc, 1, v3
	v_cndmask_b32_e32 v0, v2, v0, vcc
	v_lshlrev_b32_e32 v0, 1, v0
	ds_write_b16 v0, v13
	v_sub_u32_e32 v0, v30, v19
	v_add_u32_e32 v0, v36, v0
	v_sub_u32_e32 v1, v1, v0
	v_and_b32_e32 v2, 1, v28
	v_add_u32_e32 v1, 19, v1
	v_cmp_eq_u32_e32 vcc, 1, v2
	v_cndmask_b32_e32 v0, v1, v0, vcc
	v_lshlrev_b32_e32 v0, 1, v0
	s_and_b64 s[0:1], s[0:1], s[18:19]
	ds_write_b16_d16_hi v0, v13
	s_waitcnt lgkmcnt(0)
	s_barrier
	s_and_saveexec_b64 s[2:3], s[0:1]
	s_cbranch_execz .LBB3365_135
; %bb.134:
	s_waitcnt vmcnt(0)
	v_add_co_u32_e32 v0, vcc, v10, v18
	v_addc_co_u32_e32 v1, vcc, 0, v11, vcc
	v_add_co_u32_e32 v0, vcc, v0, v19
	v_mov_b32_e32 v2, 0
	v_addc_co_u32_e32 v1, vcc, 0, v1, vcc
	global_store_dwordx2 v2, v[0:1], s[20:21]
.LBB3365_135:
	s_endpgm
	.section	.rodata,"a",@progbits
	.p2align	6, 0x0
	.amdhsa_kernel _ZN7rocprim17ROCPRIM_400000_NS6detail17trampoline_kernelINS0_14default_configENS1_25partition_config_selectorILNS1_17partition_subalgoE1EsNS0_10empty_typeEbEEZZNS1_14partition_implILS5_1ELb0ES3_jN6thrust23THRUST_200600_302600_NS6detail15normal_iteratorINSA_10device_ptrIsEEEEPS6_NSA_18transform_iteratorI7is_evenIsESF_NSA_11use_defaultESK_EENS0_5tupleIJNSA_16discard_iteratorISK_EESO_EEENSM_IJSG_SG_EEES6_PlJS6_EEE10hipError_tPvRmT3_T4_T5_T6_T7_T9_mT8_P12ihipStream_tbDpT10_ENKUlT_T0_E_clISt17integral_constantIbLb1EES1B_EEDaS16_S17_EUlS16_E_NS1_11comp_targetILNS1_3genE4ELNS1_11target_archE910ELNS1_3gpuE8ELNS1_3repE0EEENS1_30default_config_static_selectorELNS0_4arch9wavefront6targetE1EEEvT1_
		.amdhsa_group_segment_fixed_size 10248
		.amdhsa_private_segment_fixed_size 0
		.amdhsa_kernarg_size 160
		.amdhsa_user_sgpr_count 6
		.amdhsa_user_sgpr_private_segment_buffer 1
		.amdhsa_user_sgpr_dispatch_ptr 0
		.amdhsa_user_sgpr_queue_ptr 0
		.amdhsa_user_sgpr_kernarg_segment_ptr 1
		.amdhsa_user_sgpr_dispatch_id 0
		.amdhsa_user_sgpr_flat_scratch_init 0
		.amdhsa_user_sgpr_kernarg_preload_length 0
		.amdhsa_user_sgpr_kernarg_preload_offset 0
		.amdhsa_user_sgpr_private_segment_size 0
		.amdhsa_uses_dynamic_stack 0
		.amdhsa_system_sgpr_private_segment_wavefront_offset 0
		.amdhsa_system_sgpr_workgroup_id_x 1
		.amdhsa_system_sgpr_workgroup_id_y 0
		.amdhsa_system_sgpr_workgroup_id_z 0
		.amdhsa_system_sgpr_workgroup_info 0
		.amdhsa_system_vgpr_workitem_id 0
		.amdhsa_next_free_vgpr 66
		.amdhsa_next_free_sgpr 36
		.amdhsa_accum_offset 68
		.amdhsa_reserve_vcc 1
		.amdhsa_reserve_flat_scratch 0
		.amdhsa_float_round_mode_32 0
		.amdhsa_float_round_mode_16_64 0
		.amdhsa_float_denorm_mode_32 3
		.amdhsa_float_denorm_mode_16_64 3
		.amdhsa_dx10_clamp 1
		.amdhsa_ieee_mode 1
		.amdhsa_fp16_overflow 0
		.amdhsa_tg_split 0
		.amdhsa_exception_fp_ieee_invalid_op 0
		.amdhsa_exception_fp_denorm_src 0
		.amdhsa_exception_fp_ieee_div_zero 0
		.amdhsa_exception_fp_ieee_overflow 0
		.amdhsa_exception_fp_ieee_underflow 0
		.amdhsa_exception_fp_ieee_inexact 0
		.amdhsa_exception_int_div_zero 0
	.end_amdhsa_kernel
	.section	.text._ZN7rocprim17ROCPRIM_400000_NS6detail17trampoline_kernelINS0_14default_configENS1_25partition_config_selectorILNS1_17partition_subalgoE1EsNS0_10empty_typeEbEEZZNS1_14partition_implILS5_1ELb0ES3_jN6thrust23THRUST_200600_302600_NS6detail15normal_iteratorINSA_10device_ptrIsEEEEPS6_NSA_18transform_iteratorI7is_evenIsESF_NSA_11use_defaultESK_EENS0_5tupleIJNSA_16discard_iteratorISK_EESO_EEENSM_IJSG_SG_EEES6_PlJS6_EEE10hipError_tPvRmT3_T4_T5_T6_T7_T9_mT8_P12ihipStream_tbDpT10_ENKUlT_T0_E_clISt17integral_constantIbLb1EES1B_EEDaS16_S17_EUlS16_E_NS1_11comp_targetILNS1_3genE4ELNS1_11target_archE910ELNS1_3gpuE8ELNS1_3repE0EEENS1_30default_config_static_selectorELNS0_4arch9wavefront6targetE1EEEvT1_,"axG",@progbits,_ZN7rocprim17ROCPRIM_400000_NS6detail17trampoline_kernelINS0_14default_configENS1_25partition_config_selectorILNS1_17partition_subalgoE1EsNS0_10empty_typeEbEEZZNS1_14partition_implILS5_1ELb0ES3_jN6thrust23THRUST_200600_302600_NS6detail15normal_iteratorINSA_10device_ptrIsEEEEPS6_NSA_18transform_iteratorI7is_evenIsESF_NSA_11use_defaultESK_EENS0_5tupleIJNSA_16discard_iteratorISK_EESO_EEENSM_IJSG_SG_EEES6_PlJS6_EEE10hipError_tPvRmT3_T4_T5_T6_T7_T9_mT8_P12ihipStream_tbDpT10_ENKUlT_T0_E_clISt17integral_constantIbLb1EES1B_EEDaS16_S17_EUlS16_E_NS1_11comp_targetILNS1_3genE4ELNS1_11target_archE910ELNS1_3gpuE8ELNS1_3repE0EEENS1_30default_config_static_selectorELNS0_4arch9wavefront6targetE1EEEvT1_,comdat
.Lfunc_end3365:
	.size	_ZN7rocprim17ROCPRIM_400000_NS6detail17trampoline_kernelINS0_14default_configENS1_25partition_config_selectorILNS1_17partition_subalgoE1EsNS0_10empty_typeEbEEZZNS1_14partition_implILS5_1ELb0ES3_jN6thrust23THRUST_200600_302600_NS6detail15normal_iteratorINSA_10device_ptrIsEEEEPS6_NSA_18transform_iteratorI7is_evenIsESF_NSA_11use_defaultESK_EENS0_5tupleIJNSA_16discard_iteratorISK_EESO_EEENSM_IJSG_SG_EEES6_PlJS6_EEE10hipError_tPvRmT3_T4_T5_T6_T7_T9_mT8_P12ihipStream_tbDpT10_ENKUlT_T0_E_clISt17integral_constantIbLb1EES1B_EEDaS16_S17_EUlS16_E_NS1_11comp_targetILNS1_3genE4ELNS1_11target_archE910ELNS1_3gpuE8ELNS1_3repE0EEENS1_30default_config_static_selectorELNS0_4arch9wavefront6targetE1EEEvT1_, .Lfunc_end3365-_ZN7rocprim17ROCPRIM_400000_NS6detail17trampoline_kernelINS0_14default_configENS1_25partition_config_selectorILNS1_17partition_subalgoE1EsNS0_10empty_typeEbEEZZNS1_14partition_implILS5_1ELb0ES3_jN6thrust23THRUST_200600_302600_NS6detail15normal_iteratorINSA_10device_ptrIsEEEEPS6_NSA_18transform_iteratorI7is_evenIsESF_NSA_11use_defaultESK_EENS0_5tupleIJNSA_16discard_iteratorISK_EESO_EEENSM_IJSG_SG_EEES6_PlJS6_EEE10hipError_tPvRmT3_T4_T5_T6_T7_T9_mT8_P12ihipStream_tbDpT10_ENKUlT_T0_E_clISt17integral_constantIbLb1EES1B_EEDaS16_S17_EUlS16_E_NS1_11comp_targetILNS1_3genE4ELNS1_11target_archE910ELNS1_3gpuE8ELNS1_3repE0EEENS1_30default_config_static_selectorELNS0_4arch9wavefront6targetE1EEEvT1_
                                        ; -- End function
	.section	.AMDGPU.csdata,"",@progbits
; Kernel info:
; codeLenInByte = 6840
; NumSgprs: 40
; NumVgprs: 66
; NumAgprs: 0
; TotalNumVgprs: 66
; ScratchSize: 0
; MemoryBound: 0
; FloatMode: 240
; IeeeMode: 1
; LDSByteSize: 10248 bytes/workgroup (compile time only)
; SGPRBlocks: 4
; VGPRBlocks: 8
; NumSGPRsForWavesPerEU: 40
; NumVGPRsForWavesPerEU: 66
; AccumOffset: 68
; Occupancy: 6
; WaveLimiterHint : 1
; COMPUTE_PGM_RSRC2:SCRATCH_EN: 0
; COMPUTE_PGM_RSRC2:USER_SGPR: 6
; COMPUTE_PGM_RSRC2:TRAP_HANDLER: 0
; COMPUTE_PGM_RSRC2:TGID_X_EN: 1
; COMPUTE_PGM_RSRC2:TGID_Y_EN: 0
; COMPUTE_PGM_RSRC2:TGID_Z_EN: 0
; COMPUTE_PGM_RSRC2:TIDIG_COMP_CNT: 0
; COMPUTE_PGM_RSRC3_GFX90A:ACCUM_OFFSET: 16
; COMPUTE_PGM_RSRC3_GFX90A:TG_SPLIT: 0
	.section	.text._ZN7rocprim17ROCPRIM_400000_NS6detail17trampoline_kernelINS0_14default_configENS1_25partition_config_selectorILNS1_17partition_subalgoE1EsNS0_10empty_typeEbEEZZNS1_14partition_implILS5_1ELb0ES3_jN6thrust23THRUST_200600_302600_NS6detail15normal_iteratorINSA_10device_ptrIsEEEEPS6_NSA_18transform_iteratorI7is_evenIsESF_NSA_11use_defaultESK_EENS0_5tupleIJNSA_16discard_iteratorISK_EESO_EEENSM_IJSG_SG_EEES6_PlJS6_EEE10hipError_tPvRmT3_T4_T5_T6_T7_T9_mT8_P12ihipStream_tbDpT10_ENKUlT_T0_E_clISt17integral_constantIbLb1EES1B_EEDaS16_S17_EUlS16_E_NS1_11comp_targetILNS1_3genE3ELNS1_11target_archE908ELNS1_3gpuE7ELNS1_3repE0EEENS1_30default_config_static_selectorELNS0_4arch9wavefront6targetE1EEEvT1_,"axG",@progbits,_ZN7rocprim17ROCPRIM_400000_NS6detail17trampoline_kernelINS0_14default_configENS1_25partition_config_selectorILNS1_17partition_subalgoE1EsNS0_10empty_typeEbEEZZNS1_14partition_implILS5_1ELb0ES3_jN6thrust23THRUST_200600_302600_NS6detail15normal_iteratorINSA_10device_ptrIsEEEEPS6_NSA_18transform_iteratorI7is_evenIsESF_NSA_11use_defaultESK_EENS0_5tupleIJNSA_16discard_iteratorISK_EESO_EEENSM_IJSG_SG_EEES6_PlJS6_EEE10hipError_tPvRmT3_T4_T5_T6_T7_T9_mT8_P12ihipStream_tbDpT10_ENKUlT_T0_E_clISt17integral_constantIbLb1EES1B_EEDaS16_S17_EUlS16_E_NS1_11comp_targetILNS1_3genE3ELNS1_11target_archE908ELNS1_3gpuE7ELNS1_3repE0EEENS1_30default_config_static_selectorELNS0_4arch9wavefront6targetE1EEEvT1_,comdat
	.protected	_ZN7rocprim17ROCPRIM_400000_NS6detail17trampoline_kernelINS0_14default_configENS1_25partition_config_selectorILNS1_17partition_subalgoE1EsNS0_10empty_typeEbEEZZNS1_14partition_implILS5_1ELb0ES3_jN6thrust23THRUST_200600_302600_NS6detail15normal_iteratorINSA_10device_ptrIsEEEEPS6_NSA_18transform_iteratorI7is_evenIsESF_NSA_11use_defaultESK_EENS0_5tupleIJNSA_16discard_iteratorISK_EESO_EEENSM_IJSG_SG_EEES6_PlJS6_EEE10hipError_tPvRmT3_T4_T5_T6_T7_T9_mT8_P12ihipStream_tbDpT10_ENKUlT_T0_E_clISt17integral_constantIbLb1EES1B_EEDaS16_S17_EUlS16_E_NS1_11comp_targetILNS1_3genE3ELNS1_11target_archE908ELNS1_3gpuE7ELNS1_3repE0EEENS1_30default_config_static_selectorELNS0_4arch9wavefront6targetE1EEEvT1_ ; -- Begin function _ZN7rocprim17ROCPRIM_400000_NS6detail17trampoline_kernelINS0_14default_configENS1_25partition_config_selectorILNS1_17partition_subalgoE1EsNS0_10empty_typeEbEEZZNS1_14partition_implILS5_1ELb0ES3_jN6thrust23THRUST_200600_302600_NS6detail15normal_iteratorINSA_10device_ptrIsEEEEPS6_NSA_18transform_iteratorI7is_evenIsESF_NSA_11use_defaultESK_EENS0_5tupleIJNSA_16discard_iteratorISK_EESO_EEENSM_IJSG_SG_EEES6_PlJS6_EEE10hipError_tPvRmT3_T4_T5_T6_T7_T9_mT8_P12ihipStream_tbDpT10_ENKUlT_T0_E_clISt17integral_constantIbLb1EES1B_EEDaS16_S17_EUlS16_E_NS1_11comp_targetILNS1_3genE3ELNS1_11target_archE908ELNS1_3gpuE7ELNS1_3repE0EEENS1_30default_config_static_selectorELNS0_4arch9wavefront6targetE1EEEvT1_
	.globl	_ZN7rocprim17ROCPRIM_400000_NS6detail17trampoline_kernelINS0_14default_configENS1_25partition_config_selectorILNS1_17partition_subalgoE1EsNS0_10empty_typeEbEEZZNS1_14partition_implILS5_1ELb0ES3_jN6thrust23THRUST_200600_302600_NS6detail15normal_iteratorINSA_10device_ptrIsEEEEPS6_NSA_18transform_iteratorI7is_evenIsESF_NSA_11use_defaultESK_EENS0_5tupleIJNSA_16discard_iteratorISK_EESO_EEENSM_IJSG_SG_EEES6_PlJS6_EEE10hipError_tPvRmT3_T4_T5_T6_T7_T9_mT8_P12ihipStream_tbDpT10_ENKUlT_T0_E_clISt17integral_constantIbLb1EES1B_EEDaS16_S17_EUlS16_E_NS1_11comp_targetILNS1_3genE3ELNS1_11target_archE908ELNS1_3gpuE7ELNS1_3repE0EEENS1_30default_config_static_selectorELNS0_4arch9wavefront6targetE1EEEvT1_
	.p2align	8
	.type	_ZN7rocprim17ROCPRIM_400000_NS6detail17trampoline_kernelINS0_14default_configENS1_25partition_config_selectorILNS1_17partition_subalgoE1EsNS0_10empty_typeEbEEZZNS1_14partition_implILS5_1ELb0ES3_jN6thrust23THRUST_200600_302600_NS6detail15normal_iteratorINSA_10device_ptrIsEEEEPS6_NSA_18transform_iteratorI7is_evenIsESF_NSA_11use_defaultESK_EENS0_5tupleIJNSA_16discard_iteratorISK_EESO_EEENSM_IJSG_SG_EEES6_PlJS6_EEE10hipError_tPvRmT3_T4_T5_T6_T7_T9_mT8_P12ihipStream_tbDpT10_ENKUlT_T0_E_clISt17integral_constantIbLb1EES1B_EEDaS16_S17_EUlS16_E_NS1_11comp_targetILNS1_3genE3ELNS1_11target_archE908ELNS1_3gpuE7ELNS1_3repE0EEENS1_30default_config_static_selectorELNS0_4arch9wavefront6targetE1EEEvT1_,@function
_ZN7rocprim17ROCPRIM_400000_NS6detail17trampoline_kernelINS0_14default_configENS1_25partition_config_selectorILNS1_17partition_subalgoE1EsNS0_10empty_typeEbEEZZNS1_14partition_implILS5_1ELb0ES3_jN6thrust23THRUST_200600_302600_NS6detail15normal_iteratorINSA_10device_ptrIsEEEEPS6_NSA_18transform_iteratorI7is_evenIsESF_NSA_11use_defaultESK_EENS0_5tupleIJNSA_16discard_iteratorISK_EESO_EEENSM_IJSG_SG_EEES6_PlJS6_EEE10hipError_tPvRmT3_T4_T5_T6_T7_T9_mT8_P12ihipStream_tbDpT10_ENKUlT_T0_E_clISt17integral_constantIbLb1EES1B_EEDaS16_S17_EUlS16_E_NS1_11comp_targetILNS1_3genE3ELNS1_11target_archE908ELNS1_3gpuE7ELNS1_3repE0EEENS1_30default_config_static_selectorELNS0_4arch9wavefront6targetE1EEEvT1_: ; @_ZN7rocprim17ROCPRIM_400000_NS6detail17trampoline_kernelINS0_14default_configENS1_25partition_config_selectorILNS1_17partition_subalgoE1EsNS0_10empty_typeEbEEZZNS1_14partition_implILS5_1ELb0ES3_jN6thrust23THRUST_200600_302600_NS6detail15normal_iteratorINSA_10device_ptrIsEEEEPS6_NSA_18transform_iteratorI7is_evenIsESF_NSA_11use_defaultESK_EENS0_5tupleIJNSA_16discard_iteratorISK_EESO_EEENSM_IJSG_SG_EEES6_PlJS6_EEE10hipError_tPvRmT3_T4_T5_T6_T7_T9_mT8_P12ihipStream_tbDpT10_ENKUlT_T0_E_clISt17integral_constantIbLb1EES1B_EEDaS16_S17_EUlS16_E_NS1_11comp_targetILNS1_3genE3ELNS1_11target_archE908ELNS1_3gpuE7ELNS1_3repE0EEENS1_30default_config_static_selectorELNS0_4arch9wavefront6targetE1EEEvT1_
; %bb.0:
	.section	.rodata,"a",@progbits
	.p2align	6, 0x0
	.amdhsa_kernel _ZN7rocprim17ROCPRIM_400000_NS6detail17trampoline_kernelINS0_14default_configENS1_25partition_config_selectorILNS1_17partition_subalgoE1EsNS0_10empty_typeEbEEZZNS1_14partition_implILS5_1ELb0ES3_jN6thrust23THRUST_200600_302600_NS6detail15normal_iteratorINSA_10device_ptrIsEEEEPS6_NSA_18transform_iteratorI7is_evenIsESF_NSA_11use_defaultESK_EENS0_5tupleIJNSA_16discard_iteratorISK_EESO_EEENSM_IJSG_SG_EEES6_PlJS6_EEE10hipError_tPvRmT3_T4_T5_T6_T7_T9_mT8_P12ihipStream_tbDpT10_ENKUlT_T0_E_clISt17integral_constantIbLb1EES1B_EEDaS16_S17_EUlS16_E_NS1_11comp_targetILNS1_3genE3ELNS1_11target_archE908ELNS1_3gpuE7ELNS1_3repE0EEENS1_30default_config_static_selectorELNS0_4arch9wavefront6targetE1EEEvT1_
		.amdhsa_group_segment_fixed_size 0
		.amdhsa_private_segment_fixed_size 0
		.amdhsa_kernarg_size 160
		.amdhsa_user_sgpr_count 6
		.amdhsa_user_sgpr_private_segment_buffer 1
		.amdhsa_user_sgpr_dispatch_ptr 0
		.amdhsa_user_sgpr_queue_ptr 0
		.amdhsa_user_sgpr_kernarg_segment_ptr 1
		.amdhsa_user_sgpr_dispatch_id 0
		.amdhsa_user_sgpr_flat_scratch_init 0
		.amdhsa_user_sgpr_kernarg_preload_length 0
		.amdhsa_user_sgpr_kernarg_preload_offset 0
		.amdhsa_user_sgpr_private_segment_size 0
		.amdhsa_uses_dynamic_stack 0
		.amdhsa_system_sgpr_private_segment_wavefront_offset 0
		.amdhsa_system_sgpr_workgroup_id_x 1
		.amdhsa_system_sgpr_workgroup_id_y 0
		.amdhsa_system_sgpr_workgroup_id_z 0
		.amdhsa_system_sgpr_workgroup_info 0
		.amdhsa_system_vgpr_workitem_id 0
		.amdhsa_next_free_vgpr 1
		.amdhsa_next_free_sgpr 0
		.amdhsa_accum_offset 4
		.amdhsa_reserve_vcc 0
		.amdhsa_reserve_flat_scratch 0
		.amdhsa_float_round_mode_32 0
		.amdhsa_float_round_mode_16_64 0
		.amdhsa_float_denorm_mode_32 3
		.amdhsa_float_denorm_mode_16_64 3
		.amdhsa_dx10_clamp 1
		.amdhsa_ieee_mode 1
		.amdhsa_fp16_overflow 0
		.amdhsa_tg_split 0
		.amdhsa_exception_fp_ieee_invalid_op 0
		.amdhsa_exception_fp_denorm_src 0
		.amdhsa_exception_fp_ieee_div_zero 0
		.amdhsa_exception_fp_ieee_overflow 0
		.amdhsa_exception_fp_ieee_underflow 0
		.amdhsa_exception_fp_ieee_inexact 0
		.amdhsa_exception_int_div_zero 0
	.end_amdhsa_kernel
	.section	.text._ZN7rocprim17ROCPRIM_400000_NS6detail17trampoline_kernelINS0_14default_configENS1_25partition_config_selectorILNS1_17partition_subalgoE1EsNS0_10empty_typeEbEEZZNS1_14partition_implILS5_1ELb0ES3_jN6thrust23THRUST_200600_302600_NS6detail15normal_iteratorINSA_10device_ptrIsEEEEPS6_NSA_18transform_iteratorI7is_evenIsESF_NSA_11use_defaultESK_EENS0_5tupleIJNSA_16discard_iteratorISK_EESO_EEENSM_IJSG_SG_EEES6_PlJS6_EEE10hipError_tPvRmT3_T4_T5_T6_T7_T9_mT8_P12ihipStream_tbDpT10_ENKUlT_T0_E_clISt17integral_constantIbLb1EES1B_EEDaS16_S17_EUlS16_E_NS1_11comp_targetILNS1_3genE3ELNS1_11target_archE908ELNS1_3gpuE7ELNS1_3repE0EEENS1_30default_config_static_selectorELNS0_4arch9wavefront6targetE1EEEvT1_,"axG",@progbits,_ZN7rocprim17ROCPRIM_400000_NS6detail17trampoline_kernelINS0_14default_configENS1_25partition_config_selectorILNS1_17partition_subalgoE1EsNS0_10empty_typeEbEEZZNS1_14partition_implILS5_1ELb0ES3_jN6thrust23THRUST_200600_302600_NS6detail15normal_iteratorINSA_10device_ptrIsEEEEPS6_NSA_18transform_iteratorI7is_evenIsESF_NSA_11use_defaultESK_EENS0_5tupleIJNSA_16discard_iteratorISK_EESO_EEENSM_IJSG_SG_EEES6_PlJS6_EEE10hipError_tPvRmT3_T4_T5_T6_T7_T9_mT8_P12ihipStream_tbDpT10_ENKUlT_T0_E_clISt17integral_constantIbLb1EES1B_EEDaS16_S17_EUlS16_E_NS1_11comp_targetILNS1_3genE3ELNS1_11target_archE908ELNS1_3gpuE7ELNS1_3repE0EEENS1_30default_config_static_selectorELNS0_4arch9wavefront6targetE1EEEvT1_,comdat
.Lfunc_end3366:
	.size	_ZN7rocprim17ROCPRIM_400000_NS6detail17trampoline_kernelINS0_14default_configENS1_25partition_config_selectorILNS1_17partition_subalgoE1EsNS0_10empty_typeEbEEZZNS1_14partition_implILS5_1ELb0ES3_jN6thrust23THRUST_200600_302600_NS6detail15normal_iteratorINSA_10device_ptrIsEEEEPS6_NSA_18transform_iteratorI7is_evenIsESF_NSA_11use_defaultESK_EENS0_5tupleIJNSA_16discard_iteratorISK_EESO_EEENSM_IJSG_SG_EEES6_PlJS6_EEE10hipError_tPvRmT3_T4_T5_T6_T7_T9_mT8_P12ihipStream_tbDpT10_ENKUlT_T0_E_clISt17integral_constantIbLb1EES1B_EEDaS16_S17_EUlS16_E_NS1_11comp_targetILNS1_3genE3ELNS1_11target_archE908ELNS1_3gpuE7ELNS1_3repE0EEENS1_30default_config_static_selectorELNS0_4arch9wavefront6targetE1EEEvT1_, .Lfunc_end3366-_ZN7rocprim17ROCPRIM_400000_NS6detail17trampoline_kernelINS0_14default_configENS1_25partition_config_selectorILNS1_17partition_subalgoE1EsNS0_10empty_typeEbEEZZNS1_14partition_implILS5_1ELb0ES3_jN6thrust23THRUST_200600_302600_NS6detail15normal_iteratorINSA_10device_ptrIsEEEEPS6_NSA_18transform_iteratorI7is_evenIsESF_NSA_11use_defaultESK_EENS0_5tupleIJNSA_16discard_iteratorISK_EESO_EEENSM_IJSG_SG_EEES6_PlJS6_EEE10hipError_tPvRmT3_T4_T5_T6_T7_T9_mT8_P12ihipStream_tbDpT10_ENKUlT_T0_E_clISt17integral_constantIbLb1EES1B_EEDaS16_S17_EUlS16_E_NS1_11comp_targetILNS1_3genE3ELNS1_11target_archE908ELNS1_3gpuE7ELNS1_3repE0EEENS1_30default_config_static_selectorELNS0_4arch9wavefront6targetE1EEEvT1_
                                        ; -- End function
	.section	.AMDGPU.csdata,"",@progbits
; Kernel info:
; codeLenInByte = 0
; NumSgprs: 4
; NumVgprs: 0
; NumAgprs: 0
; TotalNumVgprs: 0
; ScratchSize: 0
; MemoryBound: 0
; FloatMode: 240
; IeeeMode: 1
; LDSByteSize: 0 bytes/workgroup (compile time only)
; SGPRBlocks: 0
; VGPRBlocks: 0
; NumSGPRsForWavesPerEU: 4
; NumVGPRsForWavesPerEU: 1
; AccumOffset: 4
; Occupancy: 8
; WaveLimiterHint : 0
; COMPUTE_PGM_RSRC2:SCRATCH_EN: 0
; COMPUTE_PGM_RSRC2:USER_SGPR: 6
; COMPUTE_PGM_RSRC2:TRAP_HANDLER: 0
; COMPUTE_PGM_RSRC2:TGID_X_EN: 1
; COMPUTE_PGM_RSRC2:TGID_Y_EN: 0
; COMPUTE_PGM_RSRC2:TGID_Z_EN: 0
; COMPUTE_PGM_RSRC2:TIDIG_COMP_CNT: 0
; COMPUTE_PGM_RSRC3_GFX90A:ACCUM_OFFSET: 0
; COMPUTE_PGM_RSRC3_GFX90A:TG_SPLIT: 0
	.section	.text._ZN7rocprim17ROCPRIM_400000_NS6detail17trampoline_kernelINS0_14default_configENS1_25partition_config_selectorILNS1_17partition_subalgoE1EsNS0_10empty_typeEbEEZZNS1_14partition_implILS5_1ELb0ES3_jN6thrust23THRUST_200600_302600_NS6detail15normal_iteratorINSA_10device_ptrIsEEEEPS6_NSA_18transform_iteratorI7is_evenIsESF_NSA_11use_defaultESK_EENS0_5tupleIJNSA_16discard_iteratorISK_EESO_EEENSM_IJSG_SG_EEES6_PlJS6_EEE10hipError_tPvRmT3_T4_T5_T6_T7_T9_mT8_P12ihipStream_tbDpT10_ENKUlT_T0_E_clISt17integral_constantIbLb1EES1B_EEDaS16_S17_EUlS16_E_NS1_11comp_targetILNS1_3genE2ELNS1_11target_archE906ELNS1_3gpuE6ELNS1_3repE0EEENS1_30default_config_static_selectorELNS0_4arch9wavefront6targetE1EEEvT1_,"axG",@progbits,_ZN7rocprim17ROCPRIM_400000_NS6detail17trampoline_kernelINS0_14default_configENS1_25partition_config_selectorILNS1_17partition_subalgoE1EsNS0_10empty_typeEbEEZZNS1_14partition_implILS5_1ELb0ES3_jN6thrust23THRUST_200600_302600_NS6detail15normal_iteratorINSA_10device_ptrIsEEEEPS6_NSA_18transform_iteratorI7is_evenIsESF_NSA_11use_defaultESK_EENS0_5tupleIJNSA_16discard_iteratorISK_EESO_EEENSM_IJSG_SG_EEES6_PlJS6_EEE10hipError_tPvRmT3_T4_T5_T6_T7_T9_mT8_P12ihipStream_tbDpT10_ENKUlT_T0_E_clISt17integral_constantIbLb1EES1B_EEDaS16_S17_EUlS16_E_NS1_11comp_targetILNS1_3genE2ELNS1_11target_archE906ELNS1_3gpuE6ELNS1_3repE0EEENS1_30default_config_static_selectorELNS0_4arch9wavefront6targetE1EEEvT1_,comdat
	.protected	_ZN7rocprim17ROCPRIM_400000_NS6detail17trampoline_kernelINS0_14default_configENS1_25partition_config_selectorILNS1_17partition_subalgoE1EsNS0_10empty_typeEbEEZZNS1_14partition_implILS5_1ELb0ES3_jN6thrust23THRUST_200600_302600_NS6detail15normal_iteratorINSA_10device_ptrIsEEEEPS6_NSA_18transform_iteratorI7is_evenIsESF_NSA_11use_defaultESK_EENS0_5tupleIJNSA_16discard_iteratorISK_EESO_EEENSM_IJSG_SG_EEES6_PlJS6_EEE10hipError_tPvRmT3_T4_T5_T6_T7_T9_mT8_P12ihipStream_tbDpT10_ENKUlT_T0_E_clISt17integral_constantIbLb1EES1B_EEDaS16_S17_EUlS16_E_NS1_11comp_targetILNS1_3genE2ELNS1_11target_archE906ELNS1_3gpuE6ELNS1_3repE0EEENS1_30default_config_static_selectorELNS0_4arch9wavefront6targetE1EEEvT1_ ; -- Begin function _ZN7rocprim17ROCPRIM_400000_NS6detail17trampoline_kernelINS0_14default_configENS1_25partition_config_selectorILNS1_17partition_subalgoE1EsNS0_10empty_typeEbEEZZNS1_14partition_implILS5_1ELb0ES3_jN6thrust23THRUST_200600_302600_NS6detail15normal_iteratorINSA_10device_ptrIsEEEEPS6_NSA_18transform_iteratorI7is_evenIsESF_NSA_11use_defaultESK_EENS0_5tupleIJNSA_16discard_iteratorISK_EESO_EEENSM_IJSG_SG_EEES6_PlJS6_EEE10hipError_tPvRmT3_T4_T5_T6_T7_T9_mT8_P12ihipStream_tbDpT10_ENKUlT_T0_E_clISt17integral_constantIbLb1EES1B_EEDaS16_S17_EUlS16_E_NS1_11comp_targetILNS1_3genE2ELNS1_11target_archE906ELNS1_3gpuE6ELNS1_3repE0EEENS1_30default_config_static_selectorELNS0_4arch9wavefront6targetE1EEEvT1_
	.globl	_ZN7rocprim17ROCPRIM_400000_NS6detail17trampoline_kernelINS0_14default_configENS1_25partition_config_selectorILNS1_17partition_subalgoE1EsNS0_10empty_typeEbEEZZNS1_14partition_implILS5_1ELb0ES3_jN6thrust23THRUST_200600_302600_NS6detail15normal_iteratorINSA_10device_ptrIsEEEEPS6_NSA_18transform_iteratorI7is_evenIsESF_NSA_11use_defaultESK_EENS0_5tupleIJNSA_16discard_iteratorISK_EESO_EEENSM_IJSG_SG_EEES6_PlJS6_EEE10hipError_tPvRmT3_T4_T5_T6_T7_T9_mT8_P12ihipStream_tbDpT10_ENKUlT_T0_E_clISt17integral_constantIbLb1EES1B_EEDaS16_S17_EUlS16_E_NS1_11comp_targetILNS1_3genE2ELNS1_11target_archE906ELNS1_3gpuE6ELNS1_3repE0EEENS1_30default_config_static_selectorELNS0_4arch9wavefront6targetE1EEEvT1_
	.p2align	8
	.type	_ZN7rocprim17ROCPRIM_400000_NS6detail17trampoline_kernelINS0_14default_configENS1_25partition_config_selectorILNS1_17partition_subalgoE1EsNS0_10empty_typeEbEEZZNS1_14partition_implILS5_1ELb0ES3_jN6thrust23THRUST_200600_302600_NS6detail15normal_iteratorINSA_10device_ptrIsEEEEPS6_NSA_18transform_iteratorI7is_evenIsESF_NSA_11use_defaultESK_EENS0_5tupleIJNSA_16discard_iteratorISK_EESO_EEENSM_IJSG_SG_EEES6_PlJS6_EEE10hipError_tPvRmT3_T4_T5_T6_T7_T9_mT8_P12ihipStream_tbDpT10_ENKUlT_T0_E_clISt17integral_constantIbLb1EES1B_EEDaS16_S17_EUlS16_E_NS1_11comp_targetILNS1_3genE2ELNS1_11target_archE906ELNS1_3gpuE6ELNS1_3repE0EEENS1_30default_config_static_selectorELNS0_4arch9wavefront6targetE1EEEvT1_,@function
_ZN7rocprim17ROCPRIM_400000_NS6detail17trampoline_kernelINS0_14default_configENS1_25partition_config_selectorILNS1_17partition_subalgoE1EsNS0_10empty_typeEbEEZZNS1_14partition_implILS5_1ELb0ES3_jN6thrust23THRUST_200600_302600_NS6detail15normal_iteratorINSA_10device_ptrIsEEEEPS6_NSA_18transform_iteratorI7is_evenIsESF_NSA_11use_defaultESK_EENS0_5tupleIJNSA_16discard_iteratorISK_EESO_EEENSM_IJSG_SG_EEES6_PlJS6_EEE10hipError_tPvRmT3_T4_T5_T6_T7_T9_mT8_P12ihipStream_tbDpT10_ENKUlT_T0_E_clISt17integral_constantIbLb1EES1B_EEDaS16_S17_EUlS16_E_NS1_11comp_targetILNS1_3genE2ELNS1_11target_archE906ELNS1_3gpuE6ELNS1_3repE0EEENS1_30default_config_static_selectorELNS0_4arch9wavefront6targetE1EEEvT1_: ; @_ZN7rocprim17ROCPRIM_400000_NS6detail17trampoline_kernelINS0_14default_configENS1_25partition_config_selectorILNS1_17partition_subalgoE1EsNS0_10empty_typeEbEEZZNS1_14partition_implILS5_1ELb0ES3_jN6thrust23THRUST_200600_302600_NS6detail15normal_iteratorINSA_10device_ptrIsEEEEPS6_NSA_18transform_iteratorI7is_evenIsESF_NSA_11use_defaultESK_EENS0_5tupleIJNSA_16discard_iteratorISK_EESO_EEENSM_IJSG_SG_EEES6_PlJS6_EEE10hipError_tPvRmT3_T4_T5_T6_T7_T9_mT8_P12ihipStream_tbDpT10_ENKUlT_T0_E_clISt17integral_constantIbLb1EES1B_EEDaS16_S17_EUlS16_E_NS1_11comp_targetILNS1_3genE2ELNS1_11target_archE906ELNS1_3gpuE6ELNS1_3repE0EEENS1_30default_config_static_selectorELNS0_4arch9wavefront6targetE1EEEvT1_
; %bb.0:
	.section	.rodata,"a",@progbits
	.p2align	6, 0x0
	.amdhsa_kernel _ZN7rocprim17ROCPRIM_400000_NS6detail17trampoline_kernelINS0_14default_configENS1_25partition_config_selectorILNS1_17partition_subalgoE1EsNS0_10empty_typeEbEEZZNS1_14partition_implILS5_1ELb0ES3_jN6thrust23THRUST_200600_302600_NS6detail15normal_iteratorINSA_10device_ptrIsEEEEPS6_NSA_18transform_iteratorI7is_evenIsESF_NSA_11use_defaultESK_EENS0_5tupleIJNSA_16discard_iteratorISK_EESO_EEENSM_IJSG_SG_EEES6_PlJS6_EEE10hipError_tPvRmT3_T4_T5_T6_T7_T9_mT8_P12ihipStream_tbDpT10_ENKUlT_T0_E_clISt17integral_constantIbLb1EES1B_EEDaS16_S17_EUlS16_E_NS1_11comp_targetILNS1_3genE2ELNS1_11target_archE906ELNS1_3gpuE6ELNS1_3repE0EEENS1_30default_config_static_selectorELNS0_4arch9wavefront6targetE1EEEvT1_
		.amdhsa_group_segment_fixed_size 0
		.amdhsa_private_segment_fixed_size 0
		.amdhsa_kernarg_size 160
		.amdhsa_user_sgpr_count 6
		.amdhsa_user_sgpr_private_segment_buffer 1
		.amdhsa_user_sgpr_dispatch_ptr 0
		.amdhsa_user_sgpr_queue_ptr 0
		.amdhsa_user_sgpr_kernarg_segment_ptr 1
		.amdhsa_user_sgpr_dispatch_id 0
		.amdhsa_user_sgpr_flat_scratch_init 0
		.amdhsa_user_sgpr_kernarg_preload_length 0
		.amdhsa_user_sgpr_kernarg_preload_offset 0
		.amdhsa_user_sgpr_private_segment_size 0
		.amdhsa_uses_dynamic_stack 0
		.amdhsa_system_sgpr_private_segment_wavefront_offset 0
		.amdhsa_system_sgpr_workgroup_id_x 1
		.amdhsa_system_sgpr_workgroup_id_y 0
		.amdhsa_system_sgpr_workgroup_id_z 0
		.amdhsa_system_sgpr_workgroup_info 0
		.amdhsa_system_vgpr_workitem_id 0
		.amdhsa_next_free_vgpr 1
		.amdhsa_next_free_sgpr 0
		.amdhsa_accum_offset 4
		.amdhsa_reserve_vcc 0
		.amdhsa_reserve_flat_scratch 0
		.amdhsa_float_round_mode_32 0
		.amdhsa_float_round_mode_16_64 0
		.amdhsa_float_denorm_mode_32 3
		.amdhsa_float_denorm_mode_16_64 3
		.amdhsa_dx10_clamp 1
		.amdhsa_ieee_mode 1
		.amdhsa_fp16_overflow 0
		.amdhsa_tg_split 0
		.amdhsa_exception_fp_ieee_invalid_op 0
		.amdhsa_exception_fp_denorm_src 0
		.amdhsa_exception_fp_ieee_div_zero 0
		.amdhsa_exception_fp_ieee_overflow 0
		.amdhsa_exception_fp_ieee_underflow 0
		.amdhsa_exception_fp_ieee_inexact 0
		.amdhsa_exception_int_div_zero 0
	.end_amdhsa_kernel
	.section	.text._ZN7rocprim17ROCPRIM_400000_NS6detail17trampoline_kernelINS0_14default_configENS1_25partition_config_selectorILNS1_17partition_subalgoE1EsNS0_10empty_typeEbEEZZNS1_14partition_implILS5_1ELb0ES3_jN6thrust23THRUST_200600_302600_NS6detail15normal_iteratorINSA_10device_ptrIsEEEEPS6_NSA_18transform_iteratorI7is_evenIsESF_NSA_11use_defaultESK_EENS0_5tupleIJNSA_16discard_iteratorISK_EESO_EEENSM_IJSG_SG_EEES6_PlJS6_EEE10hipError_tPvRmT3_T4_T5_T6_T7_T9_mT8_P12ihipStream_tbDpT10_ENKUlT_T0_E_clISt17integral_constantIbLb1EES1B_EEDaS16_S17_EUlS16_E_NS1_11comp_targetILNS1_3genE2ELNS1_11target_archE906ELNS1_3gpuE6ELNS1_3repE0EEENS1_30default_config_static_selectorELNS0_4arch9wavefront6targetE1EEEvT1_,"axG",@progbits,_ZN7rocprim17ROCPRIM_400000_NS6detail17trampoline_kernelINS0_14default_configENS1_25partition_config_selectorILNS1_17partition_subalgoE1EsNS0_10empty_typeEbEEZZNS1_14partition_implILS5_1ELb0ES3_jN6thrust23THRUST_200600_302600_NS6detail15normal_iteratorINSA_10device_ptrIsEEEEPS6_NSA_18transform_iteratorI7is_evenIsESF_NSA_11use_defaultESK_EENS0_5tupleIJNSA_16discard_iteratorISK_EESO_EEENSM_IJSG_SG_EEES6_PlJS6_EEE10hipError_tPvRmT3_T4_T5_T6_T7_T9_mT8_P12ihipStream_tbDpT10_ENKUlT_T0_E_clISt17integral_constantIbLb1EES1B_EEDaS16_S17_EUlS16_E_NS1_11comp_targetILNS1_3genE2ELNS1_11target_archE906ELNS1_3gpuE6ELNS1_3repE0EEENS1_30default_config_static_selectorELNS0_4arch9wavefront6targetE1EEEvT1_,comdat
.Lfunc_end3367:
	.size	_ZN7rocprim17ROCPRIM_400000_NS6detail17trampoline_kernelINS0_14default_configENS1_25partition_config_selectorILNS1_17partition_subalgoE1EsNS0_10empty_typeEbEEZZNS1_14partition_implILS5_1ELb0ES3_jN6thrust23THRUST_200600_302600_NS6detail15normal_iteratorINSA_10device_ptrIsEEEEPS6_NSA_18transform_iteratorI7is_evenIsESF_NSA_11use_defaultESK_EENS0_5tupleIJNSA_16discard_iteratorISK_EESO_EEENSM_IJSG_SG_EEES6_PlJS6_EEE10hipError_tPvRmT3_T4_T5_T6_T7_T9_mT8_P12ihipStream_tbDpT10_ENKUlT_T0_E_clISt17integral_constantIbLb1EES1B_EEDaS16_S17_EUlS16_E_NS1_11comp_targetILNS1_3genE2ELNS1_11target_archE906ELNS1_3gpuE6ELNS1_3repE0EEENS1_30default_config_static_selectorELNS0_4arch9wavefront6targetE1EEEvT1_, .Lfunc_end3367-_ZN7rocprim17ROCPRIM_400000_NS6detail17trampoline_kernelINS0_14default_configENS1_25partition_config_selectorILNS1_17partition_subalgoE1EsNS0_10empty_typeEbEEZZNS1_14partition_implILS5_1ELb0ES3_jN6thrust23THRUST_200600_302600_NS6detail15normal_iteratorINSA_10device_ptrIsEEEEPS6_NSA_18transform_iteratorI7is_evenIsESF_NSA_11use_defaultESK_EENS0_5tupleIJNSA_16discard_iteratorISK_EESO_EEENSM_IJSG_SG_EEES6_PlJS6_EEE10hipError_tPvRmT3_T4_T5_T6_T7_T9_mT8_P12ihipStream_tbDpT10_ENKUlT_T0_E_clISt17integral_constantIbLb1EES1B_EEDaS16_S17_EUlS16_E_NS1_11comp_targetILNS1_3genE2ELNS1_11target_archE906ELNS1_3gpuE6ELNS1_3repE0EEENS1_30default_config_static_selectorELNS0_4arch9wavefront6targetE1EEEvT1_
                                        ; -- End function
	.section	.AMDGPU.csdata,"",@progbits
; Kernel info:
; codeLenInByte = 0
; NumSgprs: 4
; NumVgprs: 0
; NumAgprs: 0
; TotalNumVgprs: 0
; ScratchSize: 0
; MemoryBound: 0
; FloatMode: 240
; IeeeMode: 1
; LDSByteSize: 0 bytes/workgroup (compile time only)
; SGPRBlocks: 0
; VGPRBlocks: 0
; NumSGPRsForWavesPerEU: 4
; NumVGPRsForWavesPerEU: 1
; AccumOffset: 4
; Occupancy: 8
; WaveLimiterHint : 0
; COMPUTE_PGM_RSRC2:SCRATCH_EN: 0
; COMPUTE_PGM_RSRC2:USER_SGPR: 6
; COMPUTE_PGM_RSRC2:TRAP_HANDLER: 0
; COMPUTE_PGM_RSRC2:TGID_X_EN: 1
; COMPUTE_PGM_RSRC2:TGID_Y_EN: 0
; COMPUTE_PGM_RSRC2:TGID_Z_EN: 0
; COMPUTE_PGM_RSRC2:TIDIG_COMP_CNT: 0
; COMPUTE_PGM_RSRC3_GFX90A:ACCUM_OFFSET: 0
; COMPUTE_PGM_RSRC3_GFX90A:TG_SPLIT: 0
	.section	.text._ZN7rocprim17ROCPRIM_400000_NS6detail17trampoline_kernelINS0_14default_configENS1_25partition_config_selectorILNS1_17partition_subalgoE1EsNS0_10empty_typeEbEEZZNS1_14partition_implILS5_1ELb0ES3_jN6thrust23THRUST_200600_302600_NS6detail15normal_iteratorINSA_10device_ptrIsEEEEPS6_NSA_18transform_iteratorI7is_evenIsESF_NSA_11use_defaultESK_EENS0_5tupleIJNSA_16discard_iteratorISK_EESO_EEENSM_IJSG_SG_EEES6_PlJS6_EEE10hipError_tPvRmT3_T4_T5_T6_T7_T9_mT8_P12ihipStream_tbDpT10_ENKUlT_T0_E_clISt17integral_constantIbLb1EES1B_EEDaS16_S17_EUlS16_E_NS1_11comp_targetILNS1_3genE10ELNS1_11target_archE1200ELNS1_3gpuE4ELNS1_3repE0EEENS1_30default_config_static_selectorELNS0_4arch9wavefront6targetE1EEEvT1_,"axG",@progbits,_ZN7rocprim17ROCPRIM_400000_NS6detail17trampoline_kernelINS0_14default_configENS1_25partition_config_selectorILNS1_17partition_subalgoE1EsNS0_10empty_typeEbEEZZNS1_14partition_implILS5_1ELb0ES3_jN6thrust23THRUST_200600_302600_NS6detail15normal_iteratorINSA_10device_ptrIsEEEEPS6_NSA_18transform_iteratorI7is_evenIsESF_NSA_11use_defaultESK_EENS0_5tupleIJNSA_16discard_iteratorISK_EESO_EEENSM_IJSG_SG_EEES6_PlJS6_EEE10hipError_tPvRmT3_T4_T5_T6_T7_T9_mT8_P12ihipStream_tbDpT10_ENKUlT_T0_E_clISt17integral_constantIbLb1EES1B_EEDaS16_S17_EUlS16_E_NS1_11comp_targetILNS1_3genE10ELNS1_11target_archE1200ELNS1_3gpuE4ELNS1_3repE0EEENS1_30default_config_static_selectorELNS0_4arch9wavefront6targetE1EEEvT1_,comdat
	.protected	_ZN7rocprim17ROCPRIM_400000_NS6detail17trampoline_kernelINS0_14default_configENS1_25partition_config_selectorILNS1_17partition_subalgoE1EsNS0_10empty_typeEbEEZZNS1_14partition_implILS5_1ELb0ES3_jN6thrust23THRUST_200600_302600_NS6detail15normal_iteratorINSA_10device_ptrIsEEEEPS6_NSA_18transform_iteratorI7is_evenIsESF_NSA_11use_defaultESK_EENS0_5tupleIJNSA_16discard_iteratorISK_EESO_EEENSM_IJSG_SG_EEES6_PlJS6_EEE10hipError_tPvRmT3_T4_T5_T6_T7_T9_mT8_P12ihipStream_tbDpT10_ENKUlT_T0_E_clISt17integral_constantIbLb1EES1B_EEDaS16_S17_EUlS16_E_NS1_11comp_targetILNS1_3genE10ELNS1_11target_archE1200ELNS1_3gpuE4ELNS1_3repE0EEENS1_30default_config_static_selectorELNS0_4arch9wavefront6targetE1EEEvT1_ ; -- Begin function _ZN7rocprim17ROCPRIM_400000_NS6detail17trampoline_kernelINS0_14default_configENS1_25partition_config_selectorILNS1_17partition_subalgoE1EsNS0_10empty_typeEbEEZZNS1_14partition_implILS5_1ELb0ES3_jN6thrust23THRUST_200600_302600_NS6detail15normal_iteratorINSA_10device_ptrIsEEEEPS6_NSA_18transform_iteratorI7is_evenIsESF_NSA_11use_defaultESK_EENS0_5tupleIJNSA_16discard_iteratorISK_EESO_EEENSM_IJSG_SG_EEES6_PlJS6_EEE10hipError_tPvRmT3_T4_T5_T6_T7_T9_mT8_P12ihipStream_tbDpT10_ENKUlT_T0_E_clISt17integral_constantIbLb1EES1B_EEDaS16_S17_EUlS16_E_NS1_11comp_targetILNS1_3genE10ELNS1_11target_archE1200ELNS1_3gpuE4ELNS1_3repE0EEENS1_30default_config_static_selectorELNS0_4arch9wavefront6targetE1EEEvT1_
	.globl	_ZN7rocprim17ROCPRIM_400000_NS6detail17trampoline_kernelINS0_14default_configENS1_25partition_config_selectorILNS1_17partition_subalgoE1EsNS0_10empty_typeEbEEZZNS1_14partition_implILS5_1ELb0ES3_jN6thrust23THRUST_200600_302600_NS6detail15normal_iteratorINSA_10device_ptrIsEEEEPS6_NSA_18transform_iteratorI7is_evenIsESF_NSA_11use_defaultESK_EENS0_5tupleIJNSA_16discard_iteratorISK_EESO_EEENSM_IJSG_SG_EEES6_PlJS6_EEE10hipError_tPvRmT3_T4_T5_T6_T7_T9_mT8_P12ihipStream_tbDpT10_ENKUlT_T0_E_clISt17integral_constantIbLb1EES1B_EEDaS16_S17_EUlS16_E_NS1_11comp_targetILNS1_3genE10ELNS1_11target_archE1200ELNS1_3gpuE4ELNS1_3repE0EEENS1_30default_config_static_selectorELNS0_4arch9wavefront6targetE1EEEvT1_
	.p2align	8
	.type	_ZN7rocprim17ROCPRIM_400000_NS6detail17trampoline_kernelINS0_14default_configENS1_25partition_config_selectorILNS1_17partition_subalgoE1EsNS0_10empty_typeEbEEZZNS1_14partition_implILS5_1ELb0ES3_jN6thrust23THRUST_200600_302600_NS6detail15normal_iteratorINSA_10device_ptrIsEEEEPS6_NSA_18transform_iteratorI7is_evenIsESF_NSA_11use_defaultESK_EENS0_5tupleIJNSA_16discard_iteratorISK_EESO_EEENSM_IJSG_SG_EEES6_PlJS6_EEE10hipError_tPvRmT3_T4_T5_T6_T7_T9_mT8_P12ihipStream_tbDpT10_ENKUlT_T0_E_clISt17integral_constantIbLb1EES1B_EEDaS16_S17_EUlS16_E_NS1_11comp_targetILNS1_3genE10ELNS1_11target_archE1200ELNS1_3gpuE4ELNS1_3repE0EEENS1_30default_config_static_selectorELNS0_4arch9wavefront6targetE1EEEvT1_,@function
_ZN7rocprim17ROCPRIM_400000_NS6detail17trampoline_kernelINS0_14default_configENS1_25partition_config_selectorILNS1_17partition_subalgoE1EsNS0_10empty_typeEbEEZZNS1_14partition_implILS5_1ELb0ES3_jN6thrust23THRUST_200600_302600_NS6detail15normal_iteratorINSA_10device_ptrIsEEEEPS6_NSA_18transform_iteratorI7is_evenIsESF_NSA_11use_defaultESK_EENS0_5tupleIJNSA_16discard_iteratorISK_EESO_EEENSM_IJSG_SG_EEES6_PlJS6_EEE10hipError_tPvRmT3_T4_T5_T6_T7_T9_mT8_P12ihipStream_tbDpT10_ENKUlT_T0_E_clISt17integral_constantIbLb1EES1B_EEDaS16_S17_EUlS16_E_NS1_11comp_targetILNS1_3genE10ELNS1_11target_archE1200ELNS1_3gpuE4ELNS1_3repE0EEENS1_30default_config_static_selectorELNS0_4arch9wavefront6targetE1EEEvT1_: ; @_ZN7rocprim17ROCPRIM_400000_NS6detail17trampoline_kernelINS0_14default_configENS1_25partition_config_selectorILNS1_17partition_subalgoE1EsNS0_10empty_typeEbEEZZNS1_14partition_implILS5_1ELb0ES3_jN6thrust23THRUST_200600_302600_NS6detail15normal_iteratorINSA_10device_ptrIsEEEEPS6_NSA_18transform_iteratorI7is_evenIsESF_NSA_11use_defaultESK_EENS0_5tupleIJNSA_16discard_iteratorISK_EESO_EEENSM_IJSG_SG_EEES6_PlJS6_EEE10hipError_tPvRmT3_T4_T5_T6_T7_T9_mT8_P12ihipStream_tbDpT10_ENKUlT_T0_E_clISt17integral_constantIbLb1EES1B_EEDaS16_S17_EUlS16_E_NS1_11comp_targetILNS1_3genE10ELNS1_11target_archE1200ELNS1_3gpuE4ELNS1_3repE0EEENS1_30default_config_static_selectorELNS0_4arch9wavefront6targetE1EEEvT1_
; %bb.0:
	.section	.rodata,"a",@progbits
	.p2align	6, 0x0
	.amdhsa_kernel _ZN7rocprim17ROCPRIM_400000_NS6detail17trampoline_kernelINS0_14default_configENS1_25partition_config_selectorILNS1_17partition_subalgoE1EsNS0_10empty_typeEbEEZZNS1_14partition_implILS5_1ELb0ES3_jN6thrust23THRUST_200600_302600_NS6detail15normal_iteratorINSA_10device_ptrIsEEEEPS6_NSA_18transform_iteratorI7is_evenIsESF_NSA_11use_defaultESK_EENS0_5tupleIJNSA_16discard_iteratorISK_EESO_EEENSM_IJSG_SG_EEES6_PlJS6_EEE10hipError_tPvRmT3_T4_T5_T6_T7_T9_mT8_P12ihipStream_tbDpT10_ENKUlT_T0_E_clISt17integral_constantIbLb1EES1B_EEDaS16_S17_EUlS16_E_NS1_11comp_targetILNS1_3genE10ELNS1_11target_archE1200ELNS1_3gpuE4ELNS1_3repE0EEENS1_30default_config_static_selectorELNS0_4arch9wavefront6targetE1EEEvT1_
		.amdhsa_group_segment_fixed_size 0
		.amdhsa_private_segment_fixed_size 0
		.amdhsa_kernarg_size 160
		.amdhsa_user_sgpr_count 6
		.amdhsa_user_sgpr_private_segment_buffer 1
		.amdhsa_user_sgpr_dispatch_ptr 0
		.amdhsa_user_sgpr_queue_ptr 0
		.amdhsa_user_sgpr_kernarg_segment_ptr 1
		.amdhsa_user_sgpr_dispatch_id 0
		.amdhsa_user_sgpr_flat_scratch_init 0
		.amdhsa_user_sgpr_kernarg_preload_length 0
		.amdhsa_user_sgpr_kernarg_preload_offset 0
		.amdhsa_user_sgpr_private_segment_size 0
		.amdhsa_uses_dynamic_stack 0
		.amdhsa_system_sgpr_private_segment_wavefront_offset 0
		.amdhsa_system_sgpr_workgroup_id_x 1
		.amdhsa_system_sgpr_workgroup_id_y 0
		.amdhsa_system_sgpr_workgroup_id_z 0
		.amdhsa_system_sgpr_workgroup_info 0
		.amdhsa_system_vgpr_workitem_id 0
		.amdhsa_next_free_vgpr 1
		.amdhsa_next_free_sgpr 0
		.amdhsa_accum_offset 4
		.amdhsa_reserve_vcc 0
		.amdhsa_reserve_flat_scratch 0
		.amdhsa_float_round_mode_32 0
		.amdhsa_float_round_mode_16_64 0
		.amdhsa_float_denorm_mode_32 3
		.amdhsa_float_denorm_mode_16_64 3
		.amdhsa_dx10_clamp 1
		.amdhsa_ieee_mode 1
		.amdhsa_fp16_overflow 0
		.amdhsa_tg_split 0
		.amdhsa_exception_fp_ieee_invalid_op 0
		.amdhsa_exception_fp_denorm_src 0
		.amdhsa_exception_fp_ieee_div_zero 0
		.amdhsa_exception_fp_ieee_overflow 0
		.amdhsa_exception_fp_ieee_underflow 0
		.amdhsa_exception_fp_ieee_inexact 0
		.amdhsa_exception_int_div_zero 0
	.end_amdhsa_kernel
	.section	.text._ZN7rocprim17ROCPRIM_400000_NS6detail17trampoline_kernelINS0_14default_configENS1_25partition_config_selectorILNS1_17partition_subalgoE1EsNS0_10empty_typeEbEEZZNS1_14partition_implILS5_1ELb0ES3_jN6thrust23THRUST_200600_302600_NS6detail15normal_iteratorINSA_10device_ptrIsEEEEPS6_NSA_18transform_iteratorI7is_evenIsESF_NSA_11use_defaultESK_EENS0_5tupleIJNSA_16discard_iteratorISK_EESO_EEENSM_IJSG_SG_EEES6_PlJS6_EEE10hipError_tPvRmT3_T4_T5_T6_T7_T9_mT8_P12ihipStream_tbDpT10_ENKUlT_T0_E_clISt17integral_constantIbLb1EES1B_EEDaS16_S17_EUlS16_E_NS1_11comp_targetILNS1_3genE10ELNS1_11target_archE1200ELNS1_3gpuE4ELNS1_3repE0EEENS1_30default_config_static_selectorELNS0_4arch9wavefront6targetE1EEEvT1_,"axG",@progbits,_ZN7rocprim17ROCPRIM_400000_NS6detail17trampoline_kernelINS0_14default_configENS1_25partition_config_selectorILNS1_17partition_subalgoE1EsNS0_10empty_typeEbEEZZNS1_14partition_implILS5_1ELb0ES3_jN6thrust23THRUST_200600_302600_NS6detail15normal_iteratorINSA_10device_ptrIsEEEEPS6_NSA_18transform_iteratorI7is_evenIsESF_NSA_11use_defaultESK_EENS0_5tupleIJNSA_16discard_iteratorISK_EESO_EEENSM_IJSG_SG_EEES6_PlJS6_EEE10hipError_tPvRmT3_T4_T5_T6_T7_T9_mT8_P12ihipStream_tbDpT10_ENKUlT_T0_E_clISt17integral_constantIbLb1EES1B_EEDaS16_S17_EUlS16_E_NS1_11comp_targetILNS1_3genE10ELNS1_11target_archE1200ELNS1_3gpuE4ELNS1_3repE0EEENS1_30default_config_static_selectorELNS0_4arch9wavefront6targetE1EEEvT1_,comdat
.Lfunc_end3368:
	.size	_ZN7rocprim17ROCPRIM_400000_NS6detail17trampoline_kernelINS0_14default_configENS1_25partition_config_selectorILNS1_17partition_subalgoE1EsNS0_10empty_typeEbEEZZNS1_14partition_implILS5_1ELb0ES3_jN6thrust23THRUST_200600_302600_NS6detail15normal_iteratorINSA_10device_ptrIsEEEEPS6_NSA_18transform_iteratorI7is_evenIsESF_NSA_11use_defaultESK_EENS0_5tupleIJNSA_16discard_iteratorISK_EESO_EEENSM_IJSG_SG_EEES6_PlJS6_EEE10hipError_tPvRmT3_T4_T5_T6_T7_T9_mT8_P12ihipStream_tbDpT10_ENKUlT_T0_E_clISt17integral_constantIbLb1EES1B_EEDaS16_S17_EUlS16_E_NS1_11comp_targetILNS1_3genE10ELNS1_11target_archE1200ELNS1_3gpuE4ELNS1_3repE0EEENS1_30default_config_static_selectorELNS0_4arch9wavefront6targetE1EEEvT1_, .Lfunc_end3368-_ZN7rocprim17ROCPRIM_400000_NS6detail17trampoline_kernelINS0_14default_configENS1_25partition_config_selectorILNS1_17partition_subalgoE1EsNS0_10empty_typeEbEEZZNS1_14partition_implILS5_1ELb0ES3_jN6thrust23THRUST_200600_302600_NS6detail15normal_iteratorINSA_10device_ptrIsEEEEPS6_NSA_18transform_iteratorI7is_evenIsESF_NSA_11use_defaultESK_EENS0_5tupleIJNSA_16discard_iteratorISK_EESO_EEENSM_IJSG_SG_EEES6_PlJS6_EEE10hipError_tPvRmT3_T4_T5_T6_T7_T9_mT8_P12ihipStream_tbDpT10_ENKUlT_T0_E_clISt17integral_constantIbLb1EES1B_EEDaS16_S17_EUlS16_E_NS1_11comp_targetILNS1_3genE10ELNS1_11target_archE1200ELNS1_3gpuE4ELNS1_3repE0EEENS1_30default_config_static_selectorELNS0_4arch9wavefront6targetE1EEEvT1_
                                        ; -- End function
	.section	.AMDGPU.csdata,"",@progbits
; Kernel info:
; codeLenInByte = 0
; NumSgprs: 4
; NumVgprs: 0
; NumAgprs: 0
; TotalNumVgprs: 0
; ScratchSize: 0
; MemoryBound: 0
; FloatMode: 240
; IeeeMode: 1
; LDSByteSize: 0 bytes/workgroup (compile time only)
; SGPRBlocks: 0
; VGPRBlocks: 0
; NumSGPRsForWavesPerEU: 4
; NumVGPRsForWavesPerEU: 1
; AccumOffset: 4
; Occupancy: 8
; WaveLimiterHint : 0
; COMPUTE_PGM_RSRC2:SCRATCH_EN: 0
; COMPUTE_PGM_RSRC2:USER_SGPR: 6
; COMPUTE_PGM_RSRC2:TRAP_HANDLER: 0
; COMPUTE_PGM_RSRC2:TGID_X_EN: 1
; COMPUTE_PGM_RSRC2:TGID_Y_EN: 0
; COMPUTE_PGM_RSRC2:TGID_Z_EN: 0
; COMPUTE_PGM_RSRC2:TIDIG_COMP_CNT: 0
; COMPUTE_PGM_RSRC3_GFX90A:ACCUM_OFFSET: 0
; COMPUTE_PGM_RSRC3_GFX90A:TG_SPLIT: 0
	.section	.text._ZN7rocprim17ROCPRIM_400000_NS6detail17trampoline_kernelINS0_14default_configENS1_25partition_config_selectorILNS1_17partition_subalgoE1EsNS0_10empty_typeEbEEZZNS1_14partition_implILS5_1ELb0ES3_jN6thrust23THRUST_200600_302600_NS6detail15normal_iteratorINSA_10device_ptrIsEEEEPS6_NSA_18transform_iteratorI7is_evenIsESF_NSA_11use_defaultESK_EENS0_5tupleIJNSA_16discard_iteratorISK_EESO_EEENSM_IJSG_SG_EEES6_PlJS6_EEE10hipError_tPvRmT3_T4_T5_T6_T7_T9_mT8_P12ihipStream_tbDpT10_ENKUlT_T0_E_clISt17integral_constantIbLb1EES1B_EEDaS16_S17_EUlS16_E_NS1_11comp_targetILNS1_3genE9ELNS1_11target_archE1100ELNS1_3gpuE3ELNS1_3repE0EEENS1_30default_config_static_selectorELNS0_4arch9wavefront6targetE1EEEvT1_,"axG",@progbits,_ZN7rocprim17ROCPRIM_400000_NS6detail17trampoline_kernelINS0_14default_configENS1_25partition_config_selectorILNS1_17partition_subalgoE1EsNS0_10empty_typeEbEEZZNS1_14partition_implILS5_1ELb0ES3_jN6thrust23THRUST_200600_302600_NS6detail15normal_iteratorINSA_10device_ptrIsEEEEPS6_NSA_18transform_iteratorI7is_evenIsESF_NSA_11use_defaultESK_EENS0_5tupleIJNSA_16discard_iteratorISK_EESO_EEENSM_IJSG_SG_EEES6_PlJS6_EEE10hipError_tPvRmT3_T4_T5_T6_T7_T9_mT8_P12ihipStream_tbDpT10_ENKUlT_T0_E_clISt17integral_constantIbLb1EES1B_EEDaS16_S17_EUlS16_E_NS1_11comp_targetILNS1_3genE9ELNS1_11target_archE1100ELNS1_3gpuE3ELNS1_3repE0EEENS1_30default_config_static_selectorELNS0_4arch9wavefront6targetE1EEEvT1_,comdat
	.protected	_ZN7rocprim17ROCPRIM_400000_NS6detail17trampoline_kernelINS0_14default_configENS1_25partition_config_selectorILNS1_17partition_subalgoE1EsNS0_10empty_typeEbEEZZNS1_14partition_implILS5_1ELb0ES3_jN6thrust23THRUST_200600_302600_NS6detail15normal_iteratorINSA_10device_ptrIsEEEEPS6_NSA_18transform_iteratorI7is_evenIsESF_NSA_11use_defaultESK_EENS0_5tupleIJNSA_16discard_iteratorISK_EESO_EEENSM_IJSG_SG_EEES6_PlJS6_EEE10hipError_tPvRmT3_T4_T5_T6_T7_T9_mT8_P12ihipStream_tbDpT10_ENKUlT_T0_E_clISt17integral_constantIbLb1EES1B_EEDaS16_S17_EUlS16_E_NS1_11comp_targetILNS1_3genE9ELNS1_11target_archE1100ELNS1_3gpuE3ELNS1_3repE0EEENS1_30default_config_static_selectorELNS0_4arch9wavefront6targetE1EEEvT1_ ; -- Begin function _ZN7rocprim17ROCPRIM_400000_NS6detail17trampoline_kernelINS0_14default_configENS1_25partition_config_selectorILNS1_17partition_subalgoE1EsNS0_10empty_typeEbEEZZNS1_14partition_implILS5_1ELb0ES3_jN6thrust23THRUST_200600_302600_NS6detail15normal_iteratorINSA_10device_ptrIsEEEEPS6_NSA_18transform_iteratorI7is_evenIsESF_NSA_11use_defaultESK_EENS0_5tupleIJNSA_16discard_iteratorISK_EESO_EEENSM_IJSG_SG_EEES6_PlJS6_EEE10hipError_tPvRmT3_T4_T5_T6_T7_T9_mT8_P12ihipStream_tbDpT10_ENKUlT_T0_E_clISt17integral_constantIbLb1EES1B_EEDaS16_S17_EUlS16_E_NS1_11comp_targetILNS1_3genE9ELNS1_11target_archE1100ELNS1_3gpuE3ELNS1_3repE0EEENS1_30default_config_static_selectorELNS0_4arch9wavefront6targetE1EEEvT1_
	.globl	_ZN7rocprim17ROCPRIM_400000_NS6detail17trampoline_kernelINS0_14default_configENS1_25partition_config_selectorILNS1_17partition_subalgoE1EsNS0_10empty_typeEbEEZZNS1_14partition_implILS5_1ELb0ES3_jN6thrust23THRUST_200600_302600_NS6detail15normal_iteratorINSA_10device_ptrIsEEEEPS6_NSA_18transform_iteratorI7is_evenIsESF_NSA_11use_defaultESK_EENS0_5tupleIJNSA_16discard_iteratorISK_EESO_EEENSM_IJSG_SG_EEES6_PlJS6_EEE10hipError_tPvRmT3_T4_T5_T6_T7_T9_mT8_P12ihipStream_tbDpT10_ENKUlT_T0_E_clISt17integral_constantIbLb1EES1B_EEDaS16_S17_EUlS16_E_NS1_11comp_targetILNS1_3genE9ELNS1_11target_archE1100ELNS1_3gpuE3ELNS1_3repE0EEENS1_30default_config_static_selectorELNS0_4arch9wavefront6targetE1EEEvT1_
	.p2align	8
	.type	_ZN7rocprim17ROCPRIM_400000_NS6detail17trampoline_kernelINS0_14default_configENS1_25partition_config_selectorILNS1_17partition_subalgoE1EsNS0_10empty_typeEbEEZZNS1_14partition_implILS5_1ELb0ES3_jN6thrust23THRUST_200600_302600_NS6detail15normal_iteratorINSA_10device_ptrIsEEEEPS6_NSA_18transform_iteratorI7is_evenIsESF_NSA_11use_defaultESK_EENS0_5tupleIJNSA_16discard_iteratorISK_EESO_EEENSM_IJSG_SG_EEES6_PlJS6_EEE10hipError_tPvRmT3_T4_T5_T6_T7_T9_mT8_P12ihipStream_tbDpT10_ENKUlT_T0_E_clISt17integral_constantIbLb1EES1B_EEDaS16_S17_EUlS16_E_NS1_11comp_targetILNS1_3genE9ELNS1_11target_archE1100ELNS1_3gpuE3ELNS1_3repE0EEENS1_30default_config_static_selectorELNS0_4arch9wavefront6targetE1EEEvT1_,@function
_ZN7rocprim17ROCPRIM_400000_NS6detail17trampoline_kernelINS0_14default_configENS1_25partition_config_selectorILNS1_17partition_subalgoE1EsNS0_10empty_typeEbEEZZNS1_14partition_implILS5_1ELb0ES3_jN6thrust23THRUST_200600_302600_NS6detail15normal_iteratorINSA_10device_ptrIsEEEEPS6_NSA_18transform_iteratorI7is_evenIsESF_NSA_11use_defaultESK_EENS0_5tupleIJNSA_16discard_iteratorISK_EESO_EEENSM_IJSG_SG_EEES6_PlJS6_EEE10hipError_tPvRmT3_T4_T5_T6_T7_T9_mT8_P12ihipStream_tbDpT10_ENKUlT_T0_E_clISt17integral_constantIbLb1EES1B_EEDaS16_S17_EUlS16_E_NS1_11comp_targetILNS1_3genE9ELNS1_11target_archE1100ELNS1_3gpuE3ELNS1_3repE0EEENS1_30default_config_static_selectorELNS0_4arch9wavefront6targetE1EEEvT1_: ; @_ZN7rocprim17ROCPRIM_400000_NS6detail17trampoline_kernelINS0_14default_configENS1_25partition_config_selectorILNS1_17partition_subalgoE1EsNS0_10empty_typeEbEEZZNS1_14partition_implILS5_1ELb0ES3_jN6thrust23THRUST_200600_302600_NS6detail15normal_iteratorINSA_10device_ptrIsEEEEPS6_NSA_18transform_iteratorI7is_evenIsESF_NSA_11use_defaultESK_EENS0_5tupleIJNSA_16discard_iteratorISK_EESO_EEENSM_IJSG_SG_EEES6_PlJS6_EEE10hipError_tPvRmT3_T4_T5_T6_T7_T9_mT8_P12ihipStream_tbDpT10_ENKUlT_T0_E_clISt17integral_constantIbLb1EES1B_EEDaS16_S17_EUlS16_E_NS1_11comp_targetILNS1_3genE9ELNS1_11target_archE1100ELNS1_3gpuE3ELNS1_3repE0EEENS1_30default_config_static_selectorELNS0_4arch9wavefront6targetE1EEEvT1_
; %bb.0:
	.section	.rodata,"a",@progbits
	.p2align	6, 0x0
	.amdhsa_kernel _ZN7rocprim17ROCPRIM_400000_NS6detail17trampoline_kernelINS0_14default_configENS1_25partition_config_selectorILNS1_17partition_subalgoE1EsNS0_10empty_typeEbEEZZNS1_14partition_implILS5_1ELb0ES3_jN6thrust23THRUST_200600_302600_NS6detail15normal_iteratorINSA_10device_ptrIsEEEEPS6_NSA_18transform_iteratorI7is_evenIsESF_NSA_11use_defaultESK_EENS0_5tupleIJNSA_16discard_iteratorISK_EESO_EEENSM_IJSG_SG_EEES6_PlJS6_EEE10hipError_tPvRmT3_T4_T5_T6_T7_T9_mT8_P12ihipStream_tbDpT10_ENKUlT_T0_E_clISt17integral_constantIbLb1EES1B_EEDaS16_S17_EUlS16_E_NS1_11comp_targetILNS1_3genE9ELNS1_11target_archE1100ELNS1_3gpuE3ELNS1_3repE0EEENS1_30default_config_static_selectorELNS0_4arch9wavefront6targetE1EEEvT1_
		.amdhsa_group_segment_fixed_size 0
		.amdhsa_private_segment_fixed_size 0
		.amdhsa_kernarg_size 160
		.amdhsa_user_sgpr_count 6
		.amdhsa_user_sgpr_private_segment_buffer 1
		.amdhsa_user_sgpr_dispatch_ptr 0
		.amdhsa_user_sgpr_queue_ptr 0
		.amdhsa_user_sgpr_kernarg_segment_ptr 1
		.amdhsa_user_sgpr_dispatch_id 0
		.amdhsa_user_sgpr_flat_scratch_init 0
		.amdhsa_user_sgpr_kernarg_preload_length 0
		.amdhsa_user_sgpr_kernarg_preload_offset 0
		.amdhsa_user_sgpr_private_segment_size 0
		.amdhsa_uses_dynamic_stack 0
		.amdhsa_system_sgpr_private_segment_wavefront_offset 0
		.amdhsa_system_sgpr_workgroup_id_x 1
		.amdhsa_system_sgpr_workgroup_id_y 0
		.amdhsa_system_sgpr_workgroup_id_z 0
		.amdhsa_system_sgpr_workgroup_info 0
		.amdhsa_system_vgpr_workitem_id 0
		.amdhsa_next_free_vgpr 1
		.amdhsa_next_free_sgpr 0
		.amdhsa_accum_offset 4
		.amdhsa_reserve_vcc 0
		.amdhsa_reserve_flat_scratch 0
		.amdhsa_float_round_mode_32 0
		.amdhsa_float_round_mode_16_64 0
		.amdhsa_float_denorm_mode_32 3
		.amdhsa_float_denorm_mode_16_64 3
		.amdhsa_dx10_clamp 1
		.amdhsa_ieee_mode 1
		.amdhsa_fp16_overflow 0
		.amdhsa_tg_split 0
		.amdhsa_exception_fp_ieee_invalid_op 0
		.amdhsa_exception_fp_denorm_src 0
		.amdhsa_exception_fp_ieee_div_zero 0
		.amdhsa_exception_fp_ieee_overflow 0
		.amdhsa_exception_fp_ieee_underflow 0
		.amdhsa_exception_fp_ieee_inexact 0
		.amdhsa_exception_int_div_zero 0
	.end_amdhsa_kernel
	.section	.text._ZN7rocprim17ROCPRIM_400000_NS6detail17trampoline_kernelINS0_14default_configENS1_25partition_config_selectorILNS1_17partition_subalgoE1EsNS0_10empty_typeEbEEZZNS1_14partition_implILS5_1ELb0ES3_jN6thrust23THRUST_200600_302600_NS6detail15normal_iteratorINSA_10device_ptrIsEEEEPS6_NSA_18transform_iteratorI7is_evenIsESF_NSA_11use_defaultESK_EENS0_5tupleIJNSA_16discard_iteratorISK_EESO_EEENSM_IJSG_SG_EEES6_PlJS6_EEE10hipError_tPvRmT3_T4_T5_T6_T7_T9_mT8_P12ihipStream_tbDpT10_ENKUlT_T0_E_clISt17integral_constantIbLb1EES1B_EEDaS16_S17_EUlS16_E_NS1_11comp_targetILNS1_3genE9ELNS1_11target_archE1100ELNS1_3gpuE3ELNS1_3repE0EEENS1_30default_config_static_selectorELNS0_4arch9wavefront6targetE1EEEvT1_,"axG",@progbits,_ZN7rocprim17ROCPRIM_400000_NS6detail17trampoline_kernelINS0_14default_configENS1_25partition_config_selectorILNS1_17partition_subalgoE1EsNS0_10empty_typeEbEEZZNS1_14partition_implILS5_1ELb0ES3_jN6thrust23THRUST_200600_302600_NS6detail15normal_iteratorINSA_10device_ptrIsEEEEPS6_NSA_18transform_iteratorI7is_evenIsESF_NSA_11use_defaultESK_EENS0_5tupleIJNSA_16discard_iteratorISK_EESO_EEENSM_IJSG_SG_EEES6_PlJS6_EEE10hipError_tPvRmT3_T4_T5_T6_T7_T9_mT8_P12ihipStream_tbDpT10_ENKUlT_T0_E_clISt17integral_constantIbLb1EES1B_EEDaS16_S17_EUlS16_E_NS1_11comp_targetILNS1_3genE9ELNS1_11target_archE1100ELNS1_3gpuE3ELNS1_3repE0EEENS1_30default_config_static_selectorELNS0_4arch9wavefront6targetE1EEEvT1_,comdat
.Lfunc_end3369:
	.size	_ZN7rocprim17ROCPRIM_400000_NS6detail17trampoline_kernelINS0_14default_configENS1_25partition_config_selectorILNS1_17partition_subalgoE1EsNS0_10empty_typeEbEEZZNS1_14partition_implILS5_1ELb0ES3_jN6thrust23THRUST_200600_302600_NS6detail15normal_iteratorINSA_10device_ptrIsEEEEPS6_NSA_18transform_iteratorI7is_evenIsESF_NSA_11use_defaultESK_EENS0_5tupleIJNSA_16discard_iteratorISK_EESO_EEENSM_IJSG_SG_EEES6_PlJS6_EEE10hipError_tPvRmT3_T4_T5_T6_T7_T9_mT8_P12ihipStream_tbDpT10_ENKUlT_T0_E_clISt17integral_constantIbLb1EES1B_EEDaS16_S17_EUlS16_E_NS1_11comp_targetILNS1_3genE9ELNS1_11target_archE1100ELNS1_3gpuE3ELNS1_3repE0EEENS1_30default_config_static_selectorELNS0_4arch9wavefront6targetE1EEEvT1_, .Lfunc_end3369-_ZN7rocprim17ROCPRIM_400000_NS6detail17trampoline_kernelINS0_14default_configENS1_25partition_config_selectorILNS1_17partition_subalgoE1EsNS0_10empty_typeEbEEZZNS1_14partition_implILS5_1ELb0ES3_jN6thrust23THRUST_200600_302600_NS6detail15normal_iteratorINSA_10device_ptrIsEEEEPS6_NSA_18transform_iteratorI7is_evenIsESF_NSA_11use_defaultESK_EENS0_5tupleIJNSA_16discard_iteratorISK_EESO_EEENSM_IJSG_SG_EEES6_PlJS6_EEE10hipError_tPvRmT3_T4_T5_T6_T7_T9_mT8_P12ihipStream_tbDpT10_ENKUlT_T0_E_clISt17integral_constantIbLb1EES1B_EEDaS16_S17_EUlS16_E_NS1_11comp_targetILNS1_3genE9ELNS1_11target_archE1100ELNS1_3gpuE3ELNS1_3repE0EEENS1_30default_config_static_selectorELNS0_4arch9wavefront6targetE1EEEvT1_
                                        ; -- End function
	.section	.AMDGPU.csdata,"",@progbits
; Kernel info:
; codeLenInByte = 0
; NumSgprs: 4
; NumVgprs: 0
; NumAgprs: 0
; TotalNumVgprs: 0
; ScratchSize: 0
; MemoryBound: 0
; FloatMode: 240
; IeeeMode: 1
; LDSByteSize: 0 bytes/workgroup (compile time only)
; SGPRBlocks: 0
; VGPRBlocks: 0
; NumSGPRsForWavesPerEU: 4
; NumVGPRsForWavesPerEU: 1
; AccumOffset: 4
; Occupancy: 8
; WaveLimiterHint : 0
; COMPUTE_PGM_RSRC2:SCRATCH_EN: 0
; COMPUTE_PGM_RSRC2:USER_SGPR: 6
; COMPUTE_PGM_RSRC2:TRAP_HANDLER: 0
; COMPUTE_PGM_RSRC2:TGID_X_EN: 1
; COMPUTE_PGM_RSRC2:TGID_Y_EN: 0
; COMPUTE_PGM_RSRC2:TGID_Z_EN: 0
; COMPUTE_PGM_RSRC2:TIDIG_COMP_CNT: 0
; COMPUTE_PGM_RSRC3_GFX90A:ACCUM_OFFSET: 0
; COMPUTE_PGM_RSRC3_GFX90A:TG_SPLIT: 0
	.section	.text._ZN7rocprim17ROCPRIM_400000_NS6detail17trampoline_kernelINS0_14default_configENS1_25partition_config_selectorILNS1_17partition_subalgoE1EsNS0_10empty_typeEbEEZZNS1_14partition_implILS5_1ELb0ES3_jN6thrust23THRUST_200600_302600_NS6detail15normal_iteratorINSA_10device_ptrIsEEEEPS6_NSA_18transform_iteratorI7is_evenIsESF_NSA_11use_defaultESK_EENS0_5tupleIJNSA_16discard_iteratorISK_EESO_EEENSM_IJSG_SG_EEES6_PlJS6_EEE10hipError_tPvRmT3_T4_T5_T6_T7_T9_mT8_P12ihipStream_tbDpT10_ENKUlT_T0_E_clISt17integral_constantIbLb1EES1B_EEDaS16_S17_EUlS16_E_NS1_11comp_targetILNS1_3genE8ELNS1_11target_archE1030ELNS1_3gpuE2ELNS1_3repE0EEENS1_30default_config_static_selectorELNS0_4arch9wavefront6targetE1EEEvT1_,"axG",@progbits,_ZN7rocprim17ROCPRIM_400000_NS6detail17trampoline_kernelINS0_14default_configENS1_25partition_config_selectorILNS1_17partition_subalgoE1EsNS0_10empty_typeEbEEZZNS1_14partition_implILS5_1ELb0ES3_jN6thrust23THRUST_200600_302600_NS6detail15normal_iteratorINSA_10device_ptrIsEEEEPS6_NSA_18transform_iteratorI7is_evenIsESF_NSA_11use_defaultESK_EENS0_5tupleIJNSA_16discard_iteratorISK_EESO_EEENSM_IJSG_SG_EEES6_PlJS6_EEE10hipError_tPvRmT3_T4_T5_T6_T7_T9_mT8_P12ihipStream_tbDpT10_ENKUlT_T0_E_clISt17integral_constantIbLb1EES1B_EEDaS16_S17_EUlS16_E_NS1_11comp_targetILNS1_3genE8ELNS1_11target_archE1030ELNS1_3gpuE2ELNS1_3repE0EEENS1_30default_config_static_selectorELNS0_4arch9wavefront6targetE1EEEvT1_,comdat
	.protected	_ZN7rocprim17ROCPRIM_400000_NS6detail17trampoline_kernelINS0_14default_configENS1_25partition_config_selectorILNS1_17partition_subalgoE1EsNS0_10empty_typeEbEEZZNS1_14partition_implILS5_1ELb0ES3_jN6thrust23THRUST_200600_302600_NS6detail15normal_iteratorINSA_10device_ptrIsEEEEPS6_NSA_18transform_iteratorI7is_evenIsESF_NSA_11use_defaultESK_EENS0_5tupleIJNSA_16discard_iteratorISK_EESO_EEENSM_IJSG_SG_EEES6_PlJS6_EEE10hipError_tPvRmT3_T4_T5_T6_T7_T9_mT8_P12ihipStream_tbDpT10_ENKUlT_T0_E_clISt17integral_constantIbLb1EES1B_EEDaS16_S17_EUlS16_E_NS1_11comp_targetILNS1_3genE8ELNS1_11target_archE1030ELNS1_3gpuE2ELNS1_3repE0EEENS1_30default_config_static_selectorELNS0_4arch9wavefront6targetE1EEEvT1_ ; -- Begin function _ZN7rocprim17ROCPRIM_400000_NS6detail17trampoline_kernelINS0_14default_configENS1_25partition_config_selectorILNS1_17partition_subalgoE1EsNS0_10empty_typeEbEEZZNS1_14partition_implILS5_1ELb0ES3_jN6thrust23THRUST_200600_302600_NS6detail15normal_iteratorINSA_10device_ptrIsEEEEPS6_NSA_18transform_iteratorI7is_evenIsESF_NSA_11use_defaultESK_EENS0_5tupleIJNSA_16discard_iteratorISK_EESO_EEENSM_IJSG_SG_EEES6_PlJS6_EEE10hipError_tPvRmT3_T4_T5_T6_T7_T9_mT8_P12ihipStream_tbDpT10_ENKUlT_T0_E_clISt17integral_constantIbLb1EES1B_EEDaS16_S17_EUlS16_E_NS1_11comp_targetILNS1_3genE8ELNS1_11target_archE1030ELNS1_3gpuE2ELNS1_3repE0EEENS1_30default_config_static_selectorELNS0_4arch9wavefront6targetE1EEEvT1_
	.globl	_ZN7rocprim17ROCPRIM_400000_NS6detail17trampoline_kernelINS0_14default_configENS1_25partition_config_selectorILNS1_17partition_subalgoE1EsNS0_10empty_typeEbEEZZNS1_14partition_implILS5_1ELb0ES3_jN6thrust23THRUST_200600_302600_NS6detail15normal_iteratorINSA_10device_ptrIsEEEEPS6_NSA_18transform_iteratorI7is_evenIsESF_NSA_11use_defaultESK_EENS0_5tupleIJNSA_16discard_iteratorISK_EESO_EEENSM_IJSG_SG_EEES6_PlJS6_EEE10hipError_tPvRmT3_T4_T5_T6_T7_T9_mT8_P12ihipStream_tbDpT10_ENKUlT_T0_E_clISt17integral_constantIbLb1EES1B_EEDaS16_S17_EUlS16_E_NS1_11comp_targetILNS1_3genE8ELNS1_11target_archE1030ELNS1_3gpuE2ELNS1_3repE0EEENS1_30default_config_static_selectorELNS0_4arch9wavefront6targetE1EEEvT1_
	.p2align	8
	.type	_ZN7rocprim17ROCPRIM_400000_NS6detail17trampoline_kernelINS0_14default_configENS1_25partition_config_selectorILNS1_17partition_subalgoE1EsNS0_10empty_typeEbEEZZNS1_14partition_implILS5_1ELb0ES3_jN6thrust23THRUST_200600_302600_NS6detail15normal_iteratorINSA_10device_ptrIsEEEEPS6_NSA_18transform_iteratorI7is_evenIsESF_NSA_11use_defaultESK_EENS0_5tupleIJNSA_16discard_iteratorISK_EESO_EEENSM_IJSG_SG_EEES6_PlJS6_EEE10hipError_tPvRmT3_T4_T5_T6_T7_T9_mT8_P12ihipStream_tbDpT10_ENKUlT_T0_E_clISt17integral_constantIbLb1EES1B_EEDaS16_S17_EUlS16_E_NS1_11comp_targetILNS1_3genE8ELNS1_11target_archE1030ELNS1_3gpuE2ELNS1_3repE0EEENS1_30default_config_static_selectorELNS0_4arch9wavefront6targetE1EEEvT1_,@function
_ZN7rocprim17ROCPRIM_400000_NS6detail17trampoline_kernelINS0_14default_configENS1_25partition_config_selectorILNS1_17partition_subalgoE1EsNS0_10empty_typeEbEEZZNS1_14partition_implILS5_1ELb0ES3_jN6thrust23THRUST_200600_302600_NS6detail15normal_iteratorINSA_10device_ptrIsEEEEPS6_NSA_18transform_iteratorI7is_evenIsESF_NSA_11use_defaultESK_EENS0_5tupleIJNSA_16discard_iteratorISK_EESO_EEENSM_IJSG_SG_EEES6_PlJS6_EEE10hipError_tPvRmT3_T4_T5_T6_T7_T9_mT8_P12ihipStream_tbDpT10_ENKUlT_T0_E_clISt17integral_constantIbLb1EES1B_EEDaS16_S17_EUlS16_E_NS1_11comp_targetILNS1_3genE8ELNS1_11target_archE1030ELNS1_3gpuE2ELNS1_3repE0EEENS1_30default_config_static_selectorELNS0_4arch9wavefront6targetE1EEEvT1_: ; @_ZN7rocprim17ROCPRIM_400000_NS6detail17trampoline_kernelINS0_14default_configENS1_25partition_config_selectorILNS1_17partition_subalgoE1EsNS0_10empty_typeEbEEZZNS1_14partition_implILS5_1ELb0ES3_jN6thrust23THRUST_200600_302600_NS6detail15normal_iteratorINSA_10device_ptrIsEEEEPS6_NSA_18transform_iteratorI7is_evenIsESF_NSA_11use_defaultESK_EENS0_5tupleIJNSA_16discard_iteratorISK_EESO_EEENSM_IJSG_SG_EEES6_PlJS6_EEE10hipError_tPvRmT3_T4_T5_T6_T7_T9_mT8_P12ihipStream_tbDpT10_ENKUlT_T0_E_clISt17integral_constantIbLb1EES1B_EEDaS16_S17_EUlS16_E_NS1_11comp_targetILNS1_3genE8ELNS1_11target_archE1030ELNS1_3gpuE2ELNS1_3repE0EEENS1_30default_config_static_selectorELNS0_4arch9wavefront6targetE1EEEvT1_
; %bb.0:
	.section	.rodata,"a",@progbits
	.p2align	6, 0x0
	.amdhsa_kernel _ZN7rocprim17ROCPRIM_400000_NS6detail17trampoline_kernelINS0_14default_configENS1_25partition_config_selectorILNS1_17partition_subalgoE1EsNS0_10empty_typeEbEEZZNS1_14partition_implILS5_1ELb0ES3_jN6thrust23THRUST_200600_302600_NS6detail15normal_iteratorINSA_10device_ptrIsEEEEPS6_NSA_18transform_iteratorI7is_evenIsESF_NSA_11use_defaultESK_EENS0_5tupleIJNSA_16discard_iteratorISK_EESO_EEENSM_IJSG_SG_EEES6_PlJS6_EEE10hipError_tPvRmT3_T4_T5_T6_T7_T9_mT8_P12ihipStream_tbDpT10_ENKUlT_T0_E_clISt17integral_constantIbLb1EES1B_EEDaS16_S17_EUlS16_E_NS1_11comp_targetILNS1_3genE8ELNS1_11target_archE1030ELNS1_3gpuE2ELNS1_3repE0EEENS1_30default_config_static_selectorELNS0_4arch9wavefront6targetE1EEEvT1_
		.amdhsa_group_segment_fixed_size 0
		.amdhsa_private_segment_fixed_size 0
		.amdhsa_kernarg_size 160
		.amdhsa_user_sgpr_count 6
		.amdhsa_user_sgpr_private_segment_buffer 1
		.amdhsa_user_sgpr_dispatch_ptr 0
		.amdhsa_user_sgpr_queue_ptr 0
		.amdhsa_user_sgpr_kernarg_segment_ptr 1
		.amdhsa_user_sgpr_dispatch_id 0
		.amdhsa_user_sgpr_flat_scratch_init 0
		.amdhsa_user_sgpr_kernarg_preload_length 0
		.amdhsa_user_sgpr_kernarg_preload_offset 0
		.amdhsa_user_sgpr_private_segment_size 0
		.amdhsa_uses_dynamic_stack 0
		.amdhsa_system_sgpr_private_segment_wavefront_offset 0
		.amdhsa_system_sgpr_workgroup_id_x 1
		.amdhsa_system_sgpr_workgroup_id_y 0
		.amdhsa_system_sgpr_workgroup_id_z 0
		.amdhsa_system_sgpr_workgroup_info 0
		.amdhsa_system_vgpr_workitem_id 0
		.amdhsa_next_free_vgpr 1
		.amdhsa_next_free_sgpr 0
		.amdhsa_accum_offset 4
		.amdhsa_reserve_vcc 0
		.amdhsa_reserve_flat_scratch 0
		.amdhsa_float_round_mode_32 0
		.amdhsa_float_round_mode_16_64 0
		.amdhsa_float_denorm_mode_32 3
		.amdhsa_float_denorm_mode_16_64 3
		.amdhsa_dx10_clamp 1
		.amdhsa_ieee_mode 1
		.amdhsa_fp16_overflow 0
		.amdhsa_tg_split 0
		.amdhsa_exception_fp_ieee_invalid_op 0
		.amdhsa_exception_fp_denorm_src 0
		.amdhsa_exception_fp_ieee_div_zero 0
		.amdhsa_exception_fp_ieee_overflow 0
		.amdhsa_exception_fp_ieee_underflow 0
		.amdhsa_exception_fp_ieee_inexact 0
		.amdhsa_exception_int_div_zero 0
	.end_amdhsa_kernel
	.section	.text._ZN7rocprim17ROCPRIM_400000_NS6detail17trampoline_kernelINS0_14default_configENS1_25partition_config_selectorILNS1_17partition_subalgoE1EsNS0_10empty_typeEbEEZZNS1_14partition_implILS5_1ELb0ES3_jN6thrust23THRUST_200600_302600_NS6detail15normal_iteratorINSA_10device_ptrIsEEEEPS6_NSA_18transform_iteratorI7is_evenIsESF_NSA_11use_defaultESK_EENS0_5tupleIJNSA_16discard_iteratorISK_EESO_EEENSM_IJSG_SG_EEES6_PlJS6_EEE10hipError_tPvRmT3_T4_T5_T6_T7_T9_mT8_P12ihipStream_tbDpT10_ENKUlT_T0_E_clISt17integral_constantIbLb1EES1B_EEDaS16_S17_EUlS16_E_NS1_11comp_targetILNS1_3genE8ELNS1_11target_archE1030ELNS1_3gpuE2ELNS1_3repE0EEENS1_30default_config_static_selectorELNS0_4arch9wavefront6targetE1EEEvT1_,"axG",@progbits,_ZN7rocprim17ROCPRIM_400000_NS6detail17trampoline_kernelINS0_14default_configENS1_25partition_config_selectorILNS1_17partition_subalgoE1EsNS0_10empty_typeEbEEZZNS1_14partition_implILS5_1ELb0ES3_jN6thrust23THRUST_200600_302600_NS6detail15normal_iteratorINSA_10device_ptrIsEEEEPS6_NSA_18transform_iteratorI7is_evenIsESF_NSA_11use_defaultESK_EENS0_5tupleIJNSA_16discard_iteratorISK_EESO_EEENSM_IJSG_SG_EEES6_PlJS6_EEE10hipError_tPvRmT3_T4_T5_T6_T7_T9_mT8_P12ihipStream_tbDpT10_ENKUlT_T0_E_clISt17integral_constantIbLb1EES1B_EEDaS16_S17_EUlS16_E_NS1_11comp_targetILNS1_3genE8ELNS1_11target_archE1030ELNS1_3gpuE2ELNS1_3repE0EEENS1_30default_config_static_selectorELNS0_4arch9wavefront6targetE1EEEvT1_,comdat
.Lfunc_end3370:
	.size	_ZN7rocprim17ROCPRIM_400000_NS6detail17trampoline_kernelINS0_14default_configENS1_25partition_config_selectorILNS1_17partition_subalgoE1EsNS0_10empty_typeEbEEZZNS1_14partition_implILS5_1ELb0ES3_jN6thrust23THRUST_200600_302600_NS6detail15normal_iteratorINSA_10device_ptrIsEEEEPS6_NSA_18transform_iteratorI7is_evenIsESF_NSA_11use_defaultESK_EENS0_5tupleIJNSA_16discard_iteratorISK_EESO_EEENSM_IJSG_SG_EEES6_PlJS6_EEE10hipError_tPvRmT3_T4_T5_T6_T7_T9_mT8_P12ihipStream_tbDpT10_ENKUlT_T0_E_clISt17integral_constantIbLb1EES1B_EEDaS16_S17_EUlS16_E_NS1_11comp_targetILNS1_3genE8ELNS1_11target_archE1030ELNS1_3gpuE2ELNS1_3repE0EEENS1_30default_config_static_selectorELNS0_4arch9wavefront6targetE1EEEvT1_, .Lfunc_end3370-_ZN7rocprim17ROCPRIM_400000_NS6detail17trampoline_kernelINS0_14default_configENS1_25partition_config_selectorILNS1_17partition_subalgoE1EsNS0_10empty_typeEbEEZZNS1_14partition_implILS5_1ELb0ES3_jN6thrust23THRUST_200600_302600_NS6detail15normal_iteratorINSA_10device_ptrIsEEEEPS6_NSA_18transform_iteratorI7is_evenIsESF_NSA_11use_defaultESK_EENS0_5tupleIJNSA_16discard_iteratorISK_EESO_EEENSM_IJSG_SG_EEES6_PlJS6_EEE10hipError_tPvRmT3_T4_T5_T6_T7_T9_mT8_P12ihipStream_tbDpT10_ENKUlT_T0_E_clISt17integral_constantIbLb1EES1B_EEDaS16_S17_EUlS16_E_NS1_11comp_targetILNS1_3genE8ELNS1_11target_archE1030ELNS1_3gpuE2ELNS1_3repE0EEENS1_30default_config_static_selectorELNS0_4arch9wavefront6targetE1EEEvT1_
                                        ; -- End function
	.section	.AMDGPU.csdata,"",@progbits
; Kernel info:
; codeLenInByte = 0
; NumSgprs: 4
; NumVgprs: 0
; NumAgprs: 0
; TotalNumVgprs: 0
; ScratchSize: 0
; MemoryBound: 0
; FloatMode: 240
; IeeeMode: 1
; LDSByteSize: 0 bytes/workgroup (compile time only)
; SGPRBlocks: 0
; VGPRBlocks: 0
; NumSGPRsForWavesPerEU: 4
; NumVGPRsForWavesPerEU: 1
; AccumOffset: 4
; Occupancy: 8
; WaveLimiterHint : 0
; COMPUTE_PGM_RSRC2:SCRATCH_EN: 0
; COMPUTE_PGM_RSRC2:USER_SGPR: 6
; COMPUTE_PGM_RSRC2:TRAP_HANDLER: 0
; COMPUTE_PGM_RSRC2:TGID_X_EN: 1
; COMPUTE_PGM_RSRC2:TGID_Y_EN: 0
; COMPUTE_PGM_RSRC2:TGID_Z_EN: 0
; COMPUTE_PGM_RSRC2:TIDIG_COMP_CNT: 0
; COMPUTE_PGM_RSRC3_GFX90A:ACCUM_OFFSET: 0
; COMPUTE_PGM_RSRC3_GFX90A:TG_SPLIT: 0
	.section	.text._ZN7rocprim17ROCPRIM_400000_NS6detail17trampoline_kernelINS0_14default_configENS1_25partition_config_selectorILNS1_17partition_subalgoE1EsNS0_10empty_typeEbEEZZNS1_14partition_implILS5_1ELb0ES3_jN6thrust23THRUST_200600_302600_NS6detail15normal_iteratorINSA_10device_ptrIsEEEEPS6_NSA_18transform_iteratorI7is_evenIsESF_NSA_11use_defaultESK_EENS0_5tupleIJNSA_16discard_iteratorISK_EESO_EEENSM_IJSG_SG_EEES6_PlJS6_EEE10hipError_tPvRmT3_T4_T5_T6_T7_T9_mT8_P12ihipStream_tbDpT10_ENKUlT_T0_E_clISt17integral_constantIbLb1EES1A_IbLb0EEEEDaS16_S17_EUlS16_E_NS1_11comp_targetILNS1_3genE0ELNS1_11target_archE4294967295ELNS1_3gpuE0ELNS1_3repE0EEENS1_30default_config_static_selectorELNS0_4arch9wavefront6targetE1EEEvT1_,"axG",@progbits,_ZN7rocprim17ROCPRIM_400000_NS6detail17trampoline_kernelINS0_14default_configENS1_25partition_config_selectorILNS1_17partition_subalgoE1EsNS0_10empty_typeEbEEZZNS1_14partition_implILS5_1ELb0ES3_jN6thrust23THRUST_200600_302600_NS6detail15normal_iteratorINSA_10device_ptrIsEEEEPS6_NSA_18transform_iteratorI7is_evenIsESF_NSA_11use_defaultESK_EENS0_5tupleIJNSA_16discard_iteratorISK_EESO_EEENSM_IJSG_SG_EEES6_PlJS6_EEE10hipError_tPvRmT3_T4_T5_T6_T7_T9_mT8_P12ihipStream_tbDpT10_ENKUlT_T0_E_clISt17integral_constantIbLb1EES1A_IbLb0EEEEDaS16_S17_EUlS16_E_NS1_11comp_targetILNS1_3genE0ELNS1_11target_archE4294967295ELNS1_3gpuE0ELNS1_3repE0EEENS1_30default_config_static_selectorELNS0_4arch9wavefront6targetE1EEEvT1_,comdat
	.protected	_ZN7rocprim17ROCPRIM_400000_NS6detail17trampoline_kernelINS0_14default_configENS1_25partition_config_selectorILNS1_17partition_subalgoE1EsNS0_10empty_typeEbEEZZNS1_14partition_implILS5_1ELb0ES3_jN6thrust23THRUST_200600_302600_NS6detail15normal_iteratorINSA_10device_ptrIsEEEEPS6_NSA_18transform_iteratorI7is_evenIsESF_NSA_11use_defaultESK_EENS0_5tupleIJNSA_16discard_iteratorISK_EESO_EEENSM_IJSG_SG_EEES6_PlJS6_EEE10hipError_tPvRmT3_T4_T5_T6_T7_T9_mT8_P12ihipStream_tbDpT10_ENKUlT_T0_E_clISt17integral_constantIbLb1EES1A_IbLb0EEEEDaS16_S17_EUlS16_E_NS1_11comp_targetILNS1_3genE0ELNS1_11target_archE4294967295ELNS1_3gpuE0ELNS1_3repE0EEENS1_30default_config_static_selectorELNS0_4arch9wavefront6targetE1EEEvT1_ ; -- Begin function _ZN7rocprim17ROCPRIM_400000_NS6detail17trampoline_kernelINS0_14default_configENS1_25partition_config_selectorILNS1_17partition_subalgoE1EsNS0_10empty_typeEbEEZZNS1_14partition_implILS5_1ELb0ES3_jN6thrust23THRUST_200600_302600_NS6detail15normal_iteratorINSA_10device_ptrIsEEEEPS6_NSA_18transform_iteratorI7is_evenIsESF_NSA_11use_defaultESK_EENS0_5tupleIJNSA_16discard_iteratorISK_EESO_EEENSM_IJSG_SG_EEES6_PlJS6_EEE10hipError_tPvRmT3_T4_T5_T6_T7_T9_mT8_P12ihipStream_tbDpT10_ENKUlT_T0_E_clISt17integral_constantIbLb1EES1A_IbLb0EEEEDaS16_S17_EUlS16_E_NS1_11comp_targetILNS1_3genE0ELNS1_11target_archE4294967295ELNS1_3gpuE0ELNS1_3repE0EEENS1_30default_config_static_selectorELNS0_4arch9wavefront6targetE1EEEvT1_
	.globl	_ZN7rocprim17ROCPRIM_400000_NS6detail17trampoline_kernelINS0_14default_configENS1_25partition_config_selectorILNS1_17partition_subalgoE1EsNS0_10empty_typeEbEEZZNS1_14partition_implILS5_1ELb0ES3_jN6thrust23THRUST_200600_302600_NS6detail15normal_iteratorINSA_10device_ptrIsEEEEPS6_NSA_18transform_iteratorI7is_evenIsESF_NSA_11use_defaultESK_EENS0_5tupleIJNSA_16discard_iteratorISK_EESO_EEENSM_IJSG_SG_EEES6_PlJS6_EEE10hipError_tPvRmT3_T4_T5_T6_T7_T9_mT8_P12ihipStream_tbDpT10_ENKUlT_T0_E_clISt17integral_constantIbLb1EES1A_IbLb0EEEEDaS16_S17_EUlS16_E_NS1_11comp_targetILNS1_3genE0ELNS1_11target_archE4294967295ELNS1_3gpuE0ELNS1_3repE0EEENS1_30default_config_static_selectorELNS0_4arch9wavefront6targetE1EEEvT1_
	.p2align	8
	.type	_ZN7rocprim17ROCPRIM_400000_NS6detail17trampoline_kernelINS0_14default_configENS1_25partition_config_selectorILNS1_17partition_subalgoE1EsNS0_10empty_typeEbEEZZNS1_14partition_implILS5_1ELb0ES3_jN6thrust23THRUST_200600_302600_NS6detail15normal_iteratorINSA_10device_ptrIsEEEEPS6_NSA_18transform_iteratorI7is_evenIsESF_NSA_11use_defaultESK_EENS0_5tupleIJNSA_16discard_iteratorISK_EESO_EEENSM_IJSG_SG_EEES6_PlJS6_EEE10hipError_tPvRmT3_T4_T5_T6_T7_T9_mT8_P12ihipStream_tbDpT10_ENKUlT_T0_E_clISt17integral_constantIbLb1EES1A_IbLb0EEEEDaS16_S17_EUlS16_E_NS1_11comp_targetILNS1_3genE0ELNS1_11target_archE4294967295ELNS1_3gpuE0ELNS1_3repE0EEENS1_30default_config_static_selectorELNS0_4arch9wavefront6targetE1EEEvT1_,@function
_ZN7rocprim17ROCPRIM_400000_NS6detail17trampoline_kernelINS0_14default_configENS1_25partition_config_selectorILNS1_17partition_subalgoE1EsNS0_10empty_typeEbEEZZNS1_14partition_implILS5_1ELb0ES3_jN6thrust23THRUST_200600_302600_NS6detail15normal_iteratorINSA_10device_ptrIsEEEEPS6_NSA_18transform_iteratorI7is_evenIsESF_NSA_11use_defaultESK_EENS0_5tupleIJNSA_16discard_iteratorISK_EESO_EEENSM_IJSG_SG_EEES6_PlJS6_EEE10hipError_tPvRmT3_T4_T5_T6_T7_T9_mT8_P12ihipStream_tbDpT10_ENKUlT_T0_E_clISt17integral_constantIbLb1EES1A_IbLb0EEEEDaS16_S17_EUlS16_E_NS1_11comp_targetILNS1_3genE0ELNS1_11target_archE4294967295ELNS1_3gpuE0ELNS1_3repE0EEENS1_30default_config_static_selectorELNS0_4arch9wavefront6targetE1EEEvT1_: ; @_ZN7rocprim17ROCPRIM_400000_NS6detail17trampoline_kernelINS0_14default_configENS1_25partition_config_selectorILNS1_17partition_subalgoE1EsNS0_10empty_typeEbEEZZNS1_14partition_implILS5_1ELb0ES3_jN6thrust23THRUST_200600_302600_NS6detail15normal_iteratorINSA_10device_ptrIsEEEEPS6_NSA_18transform_iteratorI7is_evenIsESF_NSA_11use_defaultESK_EENS0_5tupleIJNSA_16discard_iteratorISK_EESO_EEENSM_IJSG_SG_EEES6_PlJS6_EEE10hipError_tPvRmT3_T4_T5_T6_T7_T9_mT8_P12ihipStream_tbDpT10_ENKUlT_T0_E_clISt17integral_constantIbLb1EES1A_IbLb0EEEEDaS16_S17_EUlS16_E_NS1_11comp_targetILNS1_3genE0ELNS1_11target_archE4294967295ELNS1_3gpuE0ELNS1_3repE0EEENS1_30default_config_static_selectorELNS0_4arch9wavefront6targetE1EEEvT1_
; %bb.0:
	.section	.rodata,"a",@progbits
	.p2align	6, 0x0
	.amdhsa_kernel _ZN7rocprim17ROCPRIM_400000_NS6detail17trampoline_kernelINS0_14default_configENS1_25partition_config_selectorILNS1_17partition_subalgoE1EsNS0_10empty_typeEbEEZZNS1_14partition_implILS5_1ELb0ES3_jN6thrust23THRUST_200600_302600_NS6detail15normal_iteratorINSA_10device_ptrIsEEEEPS6_NSA_18transform_iteratorI7is_evenIsESF_NSA_11use_defaultESK_EENS0_5tupleIJNSA_16discard_iteratorISK_EESO_EEENSM_IJSG_SG_EEES6_PlJS6_EEE10hipError_tPvRmT3_T4_T5_T6_T7_T9_mT8_P12ihipStream_tbDpT10_ENKUlT_T0_E_clISt17integral_constantIbLb1EES1A_IbLb0EEEEDaS16_S17_EUlS16_E_NS1_11comp_targetILNS1_3genE0ELNS1_11target_archE4294967295ELNS1_3gpuE0ELNS1_3repE0EEENS1_30default_config_static_selectorELNS0_4arch9wavefront6targetE1EEEvT1_
		.amdhsa_group_segment_fixed_size 0
		.amdhsa_private_segment_fixed_size 0
		.amdhsa_kernarg_size 144
		.amdhsa_user_sgpr_count 6
		.amdhsa_user_sgpr_private_segment_buffer 1
		.amdhsa_user_sgpr_dispatch_ptr 0
		.amdhsa_user_sgpr_queue_ptr 0
		.amdhsa_user_sgpr_kernarg_segment_ptr 1
		.amdhsa_user_sgpr_dispatch_id 0
		.amdhsa_user_sgpr_flat_scratch_init 0
		.amdhsa_user_sgpr_kernarg_preload_length 0
		.amdhsa_user_sgpr_kernarg_preload_offset 0
		.amdhsa_user_sgpr_private_segment_size 0
		.amdhsa_uses_dynamic_stack 0
		.amdhsa_system_sgpr_private_segment_wavefront_offset 0
		.amdhsa_system_sgpr_workgroup_id_x 1
		.amdhsa_system_sgpr_workgroup_id_y 0
		.amdhsa_system_sgpr_workgroup_id_z 0
		.amdhsa_system_sgpr_workgroup_info 0
		.amdhsa_system_vgpr_workitem_id 0
		.amdhsa_next_free_vgpr 1
		.amdhsa_next_free_sgpr 0
		.amdhsa_accum_offset 4
		.amdhsa_reserve_vcc 0
		.amdhsa_reserve_flat_scratch 0
		.amdhsa_float_round_mode_32 0
		.amdhsa_float_round_mode_16_64 0
		.amdhsa_float_denorm_mode_32 3
		.amdhsa_float_denorm_mode_16_64 3
		.amdhsa_dx10_clamp 1
		.amdhsa_ieee_mode 1
		.amdhsa_fp16_overflow 0
		.amdhsa_tg_split 0
		.amdhsa_exception_fp_ieee_invalid_op 0
		.amdhsa_exception_fp_denorm_src 0
		.amdhsa_exception_fp_ieee_div_zero 0
		.amdhsa_exception_fp_ieee_overflow 0
		.amdhsa_exception_fp_ieee_underflow 0
		.amdhsa_exception_fp_ieee_inexact 0
		.amdhsa_exception_int_div_zero 0
	.end_amdhsa_kernel
	.section	.text._ZN7rocprim17ROCPRIM_400000_NS6detail17trampoline_kernelINS0_14default_configENS1_25partition_config_selectorILNS1_17partition_subalgoE1EsNS0_10empty_typeEbEEZZNS1_14partition_implILS5_1ELb0ES3_jN6thrust23THRUST_200600_302600_NS6detail15normal_iteratorINSA_10device_ptrIsEEEEPS6_NSA_18transform_iteratorI7is_evenIsESF_NSA_11use_defaultESK_EENS0_5tupleIJNSA_16discard_iteratorISK_EESO_EEENSM_IJSG_SG_EEES6_PlJS6_EEE10hipError_tPvRmT3_T4_T5_T6_T7_T9_mT8_P12ihipStream_tbDpT10_ENKUlT_T0_E_clISt17integral_constantIbLb1EES1A_IbLb0EEEEDaS16_S17_EUlS16_E_NS1_11comp_targetILNS1_3genE0ELNS1_11target_archE4294967295ELNS1_3gpuE0ELNS1_3repE0EEENS1_30default_config_static_selectorELNS0_4arch9wavefront6targetE1EEEvT1_,"axG",@progbits,_ZN7rocprim17ROCPRIM_400000_NS6detail17trampoline_kernelINS0_14default_configENS1_25partition_config_selectorILNS1_17partition_subalgoE1EsNS0_10empty_typeEbEEZZNS1_14partition_implILS5_1ELb0ES3_jN6thrust23THRUST_200600_302600_NS6detail15normal_iteratorINSA_10device_ptrIsEEEEPS6_NSA_18transform_iteratorI7is_evenIsESF_NSA_11use_defaultESK_EENS0_5tupleIJNSA_16discard_iteratorISK_EESO_EEENSM_IJSG_SG_EEES6_PlJS6_EEE10hipError_tPvRmT3_T4_T5_T6_T7_T9_mT8_P12ihipStream_tbDpT10_ENKUlT_T0_E_clISt17integral_constantIbLb1EES1A_IbLb0EEEEDaS16_S17_EUlS16_E_NS1_11comp_targetILNS1_3genE0ELNS1_11target_archE4294967295ELNS1_3gpuE0ELNS1_3repE0EEENS1_30default_config_static_selectorELNS0_4arch9wavefront6targetE1EEEvT1_,comdat
.Lfunc_end3371:
	.size	_ZN7rocprim17ROCPRIM_400000_NS6detail17trampoline_kernelINS0_14default_configENS1_25partition_config_selectorILNS1_17partition_subalgoE1EsNS0_10empty_typeEbEEZZNS1_14partition_implILS5_1ELb0ES3_jN6thrust23THRUST_200600_302600_NS6detail15normal_iteratorINSA_10device_ptrIsEEEEPS6_NSA_18transform_iteratorI7is_evenIsESF_NSA_11use_defaultESK_EENS0_5tupleIJNSA_16discard_iteratorISK_EESO_EEENSM_IJSG_SG_EEES6_PlJS6_EEE10hipError_tPvRmT3_T4_T5_T6_T7_T9_mT8_P12ihipStream_tbDpT10_ENKUlT_T0_E_clISt17integral_constantIbLb1EES1A_IbLb0EEEEDaS16_S17_EUlS16_E_NS1_11comp_targetILNS1_3genE0ELNS1_11target_archE4294967295ELNS1_3gpuE0ELNS1_3repE0EEENS1_30default_config_static_selectorELNS0_4arch9wavefront6targetE1EEEvT1_, .Lfunc_end3371-_ZN7rocprim17ROCPRIM_400000_NS6detail17trampoline_kernelINS0_14default_configENS1_25partition_config_selectorILNS1_17partition_subalgoE1EsNS0_10empty_typeEbEEZZNS1_14partition_implILS5_1ELb0ES3_jN6thrust23THRUST_200600_302600_NS6detail15normal_iteratorINSA_10device_ptrIsEEEEPS6_NSA_18transform_iteratorI7is_evenIsESF_NSA_11use_defaultESK_EENS0_5tupleIJNSA_16discard_iteratorISK_EESO_EEENSM_IJSG_SG_EEES6_PlJS6_EEE10hipError_tPvRmT3_T4_T5_T6_T7_T9_mT8_P12ihipStream_tbDpT10_ENKUlT_T0_E_clISt17integral_constantIbLb1EES1A_IbLb0EEEEDaS16_S17_EUlS16_E_NS1_11comp_targetILNS1_3genE0ELNS1_11target_archE4294967295ELNS1_3gpuE0ELNS1_3repE0EEENS1_30default_config_static_selectorELNS0_4arch9wavefront6targetE1EEEvT1_
                                        ; -- End function
	.section	.AMDGPU.csdata,"",@progbits
; Kernel info:
; codeLenInByte = 0
; NumSgprs: 4
; NumVgprs: 0
; NumAgprs: 0
; TotalNumVgprs: 0
; ScratchSize: 0
; MemoryBound: 0
; FloatMode: 240
; IeeeMode: 1
; LDSByteSize: 0 bytes/workgroup (compile time only)
; SGPRBlocks: 0
; VGPRBlocks: 0
; NumSGPRsForWavesPerEU: 4
; NumVGPRsForWavesPerEU: 1
; AccumOffset: 4
; Occupancy: 8
; WaveLimiterHint : 0
; COMPUTE_PGM_RSRC2:SCRATCH_EN: 0
; COMPUTE_PGM_RSRC2:USER_SGPR: 6
; COMPUTE_PGM_RSRC2:TRAP_HANDLER: 0
; COMPUTE_PGM_RSRC2:TGID_X_EN: 1
; COMPUTE_PGM_RSRC2:TGID_Y_EN: 0
; COMPUTE_PGM_RSRC2:TGID_Z_EN: 0
; COMPUTE_PGM_RSRC2:TIDIG_COMP_CNT: 0
; COMPUTE_PGM_RSRC3_GFX90A:ACCUM_OFFSET: 0
; COMPUTE_PGM_RSRC3_GFX90A:TG_SPLIT: 0
	.section	.text._ZN7rocprim17ROCPRIM_400000_NS6detail17trampoline_kernelINS0_14default_configENS1_25partition_config_selectorILNS1_17partition_subalgoE1EsNS0_10empty_typeEbEEZZNS1_14partition_implILS5_1ELb0ES3_jN6thrust23THRUST_200600_302600_NS6detail15normal_iteratorINSA_10device_ptrIsEEEEPS6_NSA_18transform_iteratorI7is_evenIsESF_NSA_11use_defaultESK_EENS0_5tupleIJNSA_16discard_iteratorISK_EESO_EEENSM_IJSG_SG_EEES6_PlJS6_EEE10hipError_tPvRmT3_T4_T5_T6_T7_T9_mT8_P12ihipStream_tbDpT10_ENKUlT_T0_E_clISt17integral_constantIbLb1EES1A_IbLb0EEEEDaS16_S17_EUlS16_E_NS1_11comp_targetILNS1_3genE5ELNS1_11target_archE942ELNS1_3gpuE9ELNS1_3repE0EEENS1_30default_config_static_selectorELNS0_4arch9wavefront6targetE1EEEvT1_,"axG",@progbits,_ZN7rocprim17ROCPRIM_400000_NS6detail17trampoline_kernelINS0_14default_configENS1_25partition_config_selectorILNS1_17partition_subalgoE1EsNS0_10empty_typeEbEEZZNS1_14partition_implILS5_1ELb0ES3_jN6thrust23THRUST_200600_302600_NS6detail15normal_iteratorINSA_10device_ptrIsEEEEPS6_NSA_18transform_iteratorI7is_evenIsESF_NSA_11use_defaultESK_EENS0_5tupleIJNSA_16discard_iteratorISK_EESO_EEENSM_IJSG_SG_EEES6_PlJS6_EEE10hipError_tPvRmT3_T4_T5_T6_T7_T9_mT8_P12ihipStream_tbDpT10_ENKUlT_T0_E_clISt17integral_constantIbLb1EES1A_IbLb0EEEEDaS16_S17_EUlS16_E_NS1_11comp_targetILNS1_3genE5ELNS1_11target_archE942ELNS1_3gpuE9ELNS1_3repE0EEENS1_30default_config_static_selectorELNS0_4arch9wavefront6targetE1EEEvT1_,comdat
	.protected	_ZN7rocprim17ROCPRIM_400000_NS6detail17trampoline_kernelINS0_14default_configENS1_25partition_config_selectorILNS1_17partition_subalgoE1EsNS0_10empty_typeEbEEZZNS1_14partition_implILS5_1ELb0ES3_jN6thrust23THRUST_200600_302600_NS6detail15normal_iteratorINSA_10device_ptrIsEEEEPS6_NSA_18transform_iteratorI7is_evenIsESF_NSA_11use_defaultESK_EENS0_5tupleIJNSA_16discard_iteratorISK_EESO_EEENSM_IJSG_SG_EEES6_PlJS6_EEE10hipError_tPvRmT3_T4_T5_T6_T7_T9_mT8_P12ihipStream_tbDpT10_ENKUlT_T0_E_clISt17integral_constantIbLb1EES1A_IbLb0EEEEDaS16_S17_EUlS16_E_NS1_11comp_targetILNS1_3genE5ELNS1_11target_archE942ELNS1_3gpuE9ELNS1_3repE0EEENS1_30default_config_static_selectorELNS0_4arch9wavefront6targetE1EEEvT1_ ; -- Begin function _ZN7rocprim17ROCPRIM_400000_NS6detail17trampoline_kernelINS0_14default_configENS1_25partition_config_selectorILNS1_17partition_subalgoE1EsNS0_10empty_typeEbEEZZNS1_14partition_implILS5_1ELb0ES3_jN6thrust23THRUST_200600_302600_NS6detail15normal_iteratorINSA_10device_ptrIsEEEEPS6_NSA_18transform_iteratorI7is_evenIsESF_NSA_11use_defaultESK_EENS0_5tupleIJNSA_16discard_iteratorISK_EESO_EEENSM_IJSG_SG_EEES6_PlJS6_EEE10hipError_tPvRmT3_T4_T5_T6_T7_T9_mT8_P12ihipStream_tbDpT10_ENKUlT_T0_E_clISt17integral_constantIbLb1EES1A_IbLb0EEEEDaS16_S17_EUlS16_E_NS1_11comp_targetILNS1_3genE5ELNS1_11target_archE942ELNS1_3gpuE9ELNS1_3repE0EEENS1_30default_config_static_selectorELNS0_4arch9wavefront6targetE1EEEvT1_
	.globl	_ZN7rocprim17ROCPRIM_400000_NS6detail17trampoline_kernelINS0_14default_configENS1_25partition_config_selectorILNS1_17partition_subalgoE1EsNS0_10empty_typeEbEEZZNS1_14partition_implILS5_1ELb0ES3_jN6thrust23THRUST_200600_302600_NS6detail15normal_iteratorINSA_10device_ptrIsEEEEPS6_NSA_18transform_iteratorI7is_evenIsESF_NSA_11use_defaultESK_EENS0_5tupleIJNSA_16discard_iteratorISK_EESO_EEENSM_IJSG_SG_EEES6_PlJS6_EEE10hipError_tPvRmT3_T4_T5_T6_T7_T9_mT8_P12ihipStream_tbDpT10_ENKUlT_T0_E_clISt17integral_constantIbLb1EES1A_IbLb0EEEEDaS16_S17_EUlS16_E_NS1_11comp_targetILNS1_3genE5ELNS1_11target_archE942ELNS1_3gpuE9ELNS1_3repE0EEENS1_30default_config_static_selectorELNS0_4arch9wavefront6targetE1EEEvT1_
	.p2align	8
	.type	_ZN7rocprim17ROCPRIM_400000_NS6detail17trampoline_kernelINS0_14default_configENS1_25partition_config_selectorILNS1_17partition_subalgoE1EsNS0_10empty_typeEbEEZZNS1_14partition_implILS5_1ELb0ES3_jN6thrust23THRUST_200600_302600_NS6detail15normal_iteratorINSA_10device_ptrIsEEEEPS6_NSA_18transform_iteratorI7is_evenIsESF_NSA_11use_defaultESK_EENS0_5tupleIJNSA_16discard_iteratorISK_EESO_EEENSM_IJSG_SG_EEES6_PlJS6_EEE10hipError_tPvRmT3_T4_T5_T6_T7_T9_mT8_P12ihipStream_tbDpT10_ENKUlT_T0_E_clISt17integral_constantIbLb1EES1A_IbLb0EEEEDaS16_S17_EUlS16_E_NS1_11comp_targetILNS1_3genE5ELNS1_11target_archE942ELNS1_3gpuE9ELNS1_3repE0EEENS1_30default_config_static_selectorELNS0_4arch9wavefront6targetE1EEEvT1_,@function
_ZN7rocprim17ROCPRIM_400000_NS6detail17trampoline_kernelINS0_14default_configENS1_25partition_config_selectorILNS1_17partition_subalgoE1EsNS0_10empty_typeEbEEZZNS1_14partition_implILS5_1ELb0ES3_jN6thrust23THRUST_200600_302600_NS6detail15normal_iteratorINSA_10device_ptrIsEEEEPS6_NSA_18transform_iteratorI7is_evenIsESF_NSA_11use_defaultESK_EENS0_5tupleIJNSA_16discard_iteratorISK_EESO_EEENSM_IJSG_SG_EEES6_PlJS6_EEE10hipError_tPvRmT3_T4_T5_T6_T7_T9_mT8_P12ihipStream_tbDpT10_ENKUlT_T0_E_clISt17integral_constantIbLb1EES1A_IbLb0EEEEDaS16_S17_EUlS16_E_NS1_11comp_targetILNS1_3genE5ELNS1_11target_archE942ELNS1_3gpuE9ELNS1_3repE0EEENS1_30default_config_static_selectorELNS0_4arch9wavefront6targetE1EEEvT1_: ; @_ZN7rocprim17ROCPRIM_400000_NS6detail17trampoline_kernelINS0_14default_configENS1_25partition_config_selectorILNS1_17partition_subalgoE1EsNS0_10empty_typeEbEEZZNS1_14partition_implILS5_1ELb0ES3_jN6thrust23THRUST_200600_302600_NS6detail15normal_iteratorINSA_10device_ptrIsEEEEPS6_NSA_18transform_iteratorI7is_evenIsESF_NSA_11use_defaultESK_EENS0_5tupleIJNSA_16discard_iteratorISK_EESO_EEENSM_IJSG_SG_EEES6_PlJS6_EEE10hipError_tPvRmT3_T4_T5_T6_T7_T9_mT8_P12ihipStream_tbDpT10_ENKUlT_T0_E_clISt17integral_constantIbLb1EES1A_IbLb0EEEEDaS16_S17_EUlS16_E_NS1_11comp_targetILNS1_3genE5ELNS1_11target_archE942ELNS1_3gpuE9ELNS1_3repE0EEENS1_30default_config_static_selectorELNS0_4arch9wavefront6targetE1EEEvT1_
; %bb.0:
	.section	.rodata,"a",@progbits
	.p2align	6, 0x0
	.amdhsa_kernel _ZN7rocprim17ROCPRIM_400000_NS6detail17trampoline_kernelINS0_14default_configENS1_25partition_config_selectorILNS1_17partition_subalgoE1EsNS0_10empty_typeEbEEZZNS1_14partition_implILS5_1ELb0ES3_jN6thrust23THRUST_200600_302600_NS6detail15normal_iteratorINSA_10device_ptrIsEEEEPS6_NSA_18transform_iteratorI7is_evenIsESF_NSA_11use_defaultESK_EENS0_5tupleIJNSA_16discard_iteratorISK_EESO_EEENSM_IJSG_SG_EEES6_PlJS6_EEE10hipError_tPvRmT3_T4_T5_T6_T7_T9_mT8_P12ihipStream_tbDpT10_ENKUlT_T0_E_clISt17integral_constantIbLb1EES1A_IbLb0EEEEDaS16_S17_EUlS16_E_NS1_11comp_targetILNS1_3genE5ELNS1_11target_archE942ELNS1_3gpuE9ELNS1_3repE0EEENS1_30default_config_static_selectorELNS0_4arch9wavefront6targetE1EEEvT1_
		.amdhsa_group_segment_fixed_size 0
		.amdhsa_private_segment_fixed_size 0
		.amdhsa_kernarg_size 144
		.amdhsa_user_sgpr_count 6
		.amdhsa_user_sgpr_private_segment_buffer 1
		.amdhsa_user_sgpr_dispatch_ptr 0
		.amdhsa_user_sgpr_queue_ptr 0
		.amdhsa_user_sgpr_kernarg_segment_ptr 1
		.amdhsa_user_sgpr_dispatch_id 0
		.amdhsa_user_sgpr_flat_scratch_init 0
		.amdhsa_user_sgpr_kernarg_preload_length 0
		.amdhsa_user_sgpr_kernarg_preload_offset 0
		.amdhsa_user_sgpr_private_segment_size 0
		.amdhsa_uses_dynamic_stack 0
		.amdhsa_system_sgpr_private_segment_wavefront_offset 0
		.amdhsa_system_sgpr_workgroup_id_x 1
		.amdhsa_system_sgpr_workgroup_id_y 0
		.amdhsa_system_sgpr_workgroup_id_z 0
		.amdhsa_system_sgpr_workgroup_info 0
		.amdhsa_system_vgpr_workitem_id 0
		.amdhsa_next_free_vgpr 1
		.amdhsa_next_free_sgpr 0
		.amdhsa_accum_offset 4
		.amdhsa_reserve_vcc 0
		.amdhsa_reserve_flat_scratch 0
		.amdhsa_float_round_mode_32 0
		.amdhsa_float_round_mode_16_64 0
		.amdhsa_float_denorm_mode_32 3
		.amdhsa_float_denorm_mode_16_64 3
		.amdhsa_dx10_clamp 1
		.amdhsa_ieee_mode 1
		.amdhsa_fp16_overflow 0
		.amdhsa_tg_split 0
		.amdhsa_exception_fp_ieee_invalid_op 0
		.amdhsa_exception_fp_denorm_src 0
		.amdhsa_exception_fp_ieee_div_zero 0
		.amdhsa_exception_fp_ieee_overflow 0
		.amdhsa_exception_fp_ieee_underflow 0
		.amdhsa_exception_fp_ieee_inexact 0
		.amdhsa_exception_int_div_zero 0
	.end_amdhsa_kernel
	.section	.text._ZN7rocprim17ROCPRIM_400000_NS6detail17trampoline_kernelINS0_14default_configENS1_25partition_config_selectorILNS1_17partition_subalgoE1EsNS0_10empty_typeEbEEZZNS1_14partition_implILS5_1ELb0ES3_jN6thrust23THRUST_200600_302600_NS6detail15normal_iteratorINSA_10device_ptrIsEEEEPS6_NSA_18transform_iteratorI7is_evenIsESF_NSA_11use_defaultESK_EENS0_5tupleIJNSA_16discard_iteratorISK_EESO_EEENSM_IJSG_SG_EEES6_PlJS6_EEE10hipError_tPvRmT3_T4_T5_T6_T7_T9_mT8_P12ihipStream_tbDpT10_ENKUlT_T0_E_clISt17integral_constantIbLb1EES1A_IbLb0EEEEDaS16_S17_EUlS16_E_NS1_11comp_targetILNS1_3genE5ELNS1_11target_archE942ELNS1_3gpuE9ELNS1_3repE0EEENS1_30default_config_static_selectorELNS0_4arch9wavefront6targetE1EEEvT1_,"axG",@progbits,_ZN7rocprim17ROCPRIM_400000_NS6detail17trampoline_kernelINS0_14default_configENS1_25partition_config_selectorILNS1_17partition_subalgoE1EsNS0_10empty_typeEbEEZZNS1_14partition_implILS5_1ELb0ES3_jN6thrust23THRUST_200600_302600_NS6detail15normal_iteratorINSA_10device_ptrIsEEEEPS6_NSA_18transform_iteratorI7is_evenIsESF_NSA_11use_defaultESK_EENS0_5tupleIJNSA_16discard_iteratorISK_EESO_EEENSM_IJSG_SG_EEES6_PlJS6_EEE10hipError_tPvRmT3_T4_T5_T6_T7_T9_mT8_P12ihipStream_tbDpT10_ENKUlT_T0_E_clISt17integral_constantIbLb1EES1A_IbLb0EEEEDaS16_S17_EUlS16_E_NS1_11comp_targetILNS1_3genE5ELNS1_11target_archE942ELNS1_3gpuE9ELNS1_3repE0EEENS1_30default_config_static_selectorELNS0_4arch9wavefront6targetE1EEEvT1_,comdat
.Lfunc_end3372:
	.size	_ZN7rocprim17ROCPRIM_400000_NS6detail17trampoline_kernelINS0_14default_configENS1_25partition_config_selectorILNS1_17partition_subalgoE1EsNS0_10empty_typeEbEEZZNS1_14partition_implILS5_1ELb0ES3_jN6thrust23THRUST_200600_302600_NS6detail15normal_iteratorINSA_10device_ptrIsEEEEPS6_NSA_18transform_iteratorI7is_evenIsESF_NSA_11use_defaultESK_EENS0_5tupleIJNSA_16discard_iteratorISK_EESO_EEENSM_IJSG_SG_EEES6_PlJS6_EEE10hipError_tPvRmT3_T4_T5_T6_T7_T9_mT8_P12ihipStream_tbDpT10_ENKUlT_T0_E_clISt17integral_constantIbLb1EES1A_IbLb0EEEEDaS16_S17_EUlS16_E_NS1_11comp_targetILNS1_3genE5ELNS1_11target_archE942ELNS1_3gpuE9ELNS1_3repE0EEENS1_30default_config_static_selectorELNS0_4arch9wavefront6targetE1EEEvT1_, .Lfunc_end3372-_ZN7rocprim17ROCPRIM_400000_NS6detail17trampoline_kernelINS0_14default_configENS1_25partition_config_selectorILNS1_17partition_subalgoE1EsNS0_10empty_typeEbEEZZNS1_14partition_implILS5_1ELb0ES3_jN6thrust23THRUST_200600_302600_NS6detail15normal_iteratorINSA_10device_ptrIsEEEEPS6_NSA_18transform_iteratorI7is_evenIsESF_NSA_11use_defaultESK_EENS0_5tupleIJNSA_16discard_iteratorISK_EESO_EEENSM_IJSG_SG_EEES6_PlJS6_EEE10hipError_tPvRmT3_T4_T5_T6_T7_T9_mT8_P12ihipStream_tbDpT10_ENKUlT_T0_E_clISt17integral_constantIbLb1EES1A_IbLb0EEEEDaS16_S17_EUlS16_E_NS1_11comp_targetILNS1_3genE5ELNS1_11target_archE942ELNS1_3gpuE9ELNS1_3repE0EEENS1_30default_config_static_selectorELNS0_4arch9wavefront6targetE1EEEvT1_
                                        ; -- End function
	.section	.AMDGPU.csdata,"",@progbits
; Kernel info:
; codeLenInByte = 0
; NumSgprs: 4
; NumVgprs: 0
; NumAgprs: 0
; TotalNumVgprs: 0
; ScratchSize: 0
; MemoryBound: 0
; FloatMode: 240
; IeeeMode: 1
; LDSByteSize: 0 bytes/workgroup (compile time only)
; SGPRBlocks: 0
; VGPRBlocks: 0
; NumSGPRsForWavesPerEU: 4
; NumVGPRsForWavesPerEU: 1
; AccumOffset: 4
; Occupancy: 8
; WaveLimiterHint : 0
; COMPUTE_PGM_RSRC2:SCRATCH_EN: 0
; COMPUTE_PGM_RSRC2:USER_SGPR: 6
; COMPUTE_PGM_RSRC2:TRAP_HANDLER: 0
; COMPUTE_PGM_RSRC2:TGID_X_EN: 1
; COMPUTE_PGM_RSRC2:TGID_Y_EN: 0
; COMPUTE_PGM_RSRC2:TGID_Z_EN: 0
; COMPUTE_PGM_RSRC2:TIDIG_COMP_CNT: 0
; COMPUTE_PGM_RSRC3_GFX90A:ACCUM_OFFSET: 0
; COMPUTE_PGM_RSRC3_GFX90A:TG_SPLIT: 0
	.section	.text._ZN7rocprim17ROCPRIM_400000_NS6detail17trampoline_kernelINS0_14default_configENS1_25partition_config_selectorILNS1_17partition_subalgoE1EsNS0_10empty_typeEbEEZZNS1_14partition_implILS5_1ELb0ES3_jN6thrust23THRUST_200600_302600_NS6detail15normal_iteratorINSA_10device_ptrIsEEEEPS6_NSA_18transform_iteratorI7is_evenIsESF_NSA_11use_defaultESK_EENS0_5tupleIJNSA_16discard_iteratorISK_EESO_EEENSM_IJSG_SG_EEES6_PlJS6_EEE10hipError_tPvRmT3_T4_T5_T6_T7_T9_mT8_P12ihipStream_tbDpT10_ENKUlT_T0_E_clISt17integral_constantIbLb1EES1A_IbLb0EEEEDaS16_S17_EUlS16_E_NS1_11comp_targetILNS1_3genE4ELNS1_11target_archE910ELNS1_3gpuE8ELNS1_3repE0EEENS1_30default_config_static_selectorELNS0_4arch9wavefront6targetE1EEEvT1_,"axG",@progbits,_ZN7rocprim17ROCPRIM_400000_NS6detail17trampoline_kernelINS0_14default_configENS1_25partition_config_selectorILNS1_17partition_subalgoE1EsNS0_10empty_typeEbEEZZNS1_14partition_implILS5_1ELb0ES3_jN6thrust23THRUST_200600_302600_NS6detail15normal_iteratorINSA_10device_ptrIsEEEEPS6_NSA_18transform_iteratorI7is_evenIsESF_NSA_11use_defaultESK_EENS0_5tupleIJNSA_16discard_iteratorISK_EESO_EEENSM_IJSG_SG_EEES6_PlJS6_EEE10hipError_tPvRmT3_T4_T5_T6_T7_T9_mT8_P12ihipStream_tbDpT10_ENKUlT_T0_E_clISt17integral_constantIbLb1EES1A_IbLb0EEEEDaS16_S17_EUlS16_E_NS1_11comp_targetILNS1_3genE4ELNS1_11target_archE910ELNS1_3gpuE8ELNS1_3repE0EEENS1_30default_config_static_selectorELNS0_4arch9wavefront6targetE1EEEvT1_,comdat
	.protected	_ZN7rocprim17ROCPRIM_400000_NS6detail17trampoline_kernelINS0_14default_configENS1_25partition_config_selectorILNS1_17partition_subalgoE1EsNS0_10empty_typeEbEEZZNS1_14partition_implILS5_1ELb0ES3_jN6thrust23THRUST_200600_302600_NS6detail15normal_iteratorINSA_10device_ptrIsEEEEPS6_NSA_18transform_iteratorI7is_evenIsESF_NSA_11use_defaultESK_EENS0_5tupleIJNSA_16discard_iteratorISK_EESO_EEENSM_IJSG_SG_EEES6_PlJS6_EEE10hipError_tPvRmT3_T4_T5_T6_T7_T9_mT8_P12ihipStream_tbDpT10_ENKUlT_T0_E_clISt17integral_constantIbLb1EES1A_IbLb0EEEEDaS16_S17_EUlS16_E_NS1_11comp_targetILNS1_3genE4ELNS1_11target_archE910ELNS1_3gpuE8ELNS1_3repE0EEENS1_30default_config_static_selectorELNS0_4arch9wavefront6targetE1EEEvT1_ ; -- Begin function _ZN7rocprim17ROCPRIM_400000_NS6detail17trampoline_kernelINS0_14default_configENS1_25partition_config_selectorILNS1_17partition_subalgoE1EsNS0_10empty_typeEbEEZZNS1_14partition_implILS5_1ELb0ES3_jN6thrust23THRUST_200600_302600_NS6detail15normal_iteratorINSA_10device_ptrIsEEEEPS6_NSA_18transform_iteratorI7is_evenIsESF_NSA_11use_defaultESK_EENS0_5tupleIJNSA_16discard_iteratorISK_EESO_EEENSM_IJSG_SG_EEES6_PlJS6_EEE10hipError_tPvRmT3_T4_T5_T6_T7_T9_mT8_P12ihipStream_tbDpT10_ENKUlT_T0_E_clISt17integral_constantIbLb1EES1A_IbLb0EEEEDaS16_S17_EUlS16_E_NS1_11comp_targetILNS1_3genE4ELNS1_11target_archE910ELNS1_3gpuE8ELNS1_3repE0EEENS1_30default_config_static_selectorELNS0_4arch9wavefront6targetE1EEEvT1_
	.globl	_ZN7rocprim17ROCPRIM_400000_NS6detail17trampoline_kernelINS0_14default_configENS1_25partition_config_selectorILNS1_17partition_subalgoE1EsNS0_10empty_typeEbEEZZNS1_14partition_implILS5_1ELb0ES3_jN6thrust23THRUST_200600_302600_NS6detail15normal_iteratorINSA_10device_ptrIsEEEEPS6_NSA_18transform_iteratorI7is_evenIsESF_NSA_11use_defaultESK_EENS0_5tupleIJNSA_16discard_iteratorISK_EESO_EEENSM_IJSG_SG_EEES6_PlJS6_EEE10hipError_tPvRmT3_T4_T5_T6_T7_T9_mT8_P12ihipStream_tbDpT10_ENKUlT_T0_E_clISt17integral_constantIbLb1EES1A_IbLb0EEEEDaS16_S17_EUlS16_E_NS1_11comp_targetILNS1_3genE4ELNS1_11target_archE910ELNS1_3gpuE8ELNS1_3repE0EEENS1_30default_config_static_selectorELNS0_4arch9wavefront6targetE1EEEvT1_
	.p2align	8
	.type	_ZN7rocprim17ROCPRIM_400000_NS6detail17trampoline_kernelINS0_14default_configENS1_25partition_config_selectorILNS1_17partition_subalgoE1EsNS0_10empty_typeEbEEZZNS1_14partition_implILS5_1ELb0ES3_jN6thrust23THRUST_200600_302600_NS6detail15normal_iteratorINSA_10device_ptrIsEEEEPS6_NSA_18transform_iteratorI7is_evenIsESF_NSA_11use_defaultESK_EENS0_5tupleIJNSA_16discard_iteratorISK_EESO_EEENSM_IJSG_SG_EEES6_PlJS6_EEE10hipError_tPvRmT3_T4_T5_T6_T7_T9_mT8_P12ihipStream_tbDpT10_ENKUlT_T0_E_clISt17integral_constantIbLb1EES1A_IbLb0EEEEDaS16_S17_EUlS16_E_NS1_11comp_targetILNS1_3genE4ELNS1_11target_archE910ELNS1_3gpuE8ELNS1_3repE0EEENS1_30default_config_static_selectorELNS0_4arch9wavefront6targetE1EEEvT1_,@function
_ZN7rocprim17ROCPRIM_400000_NS6detail17trampoline_kernelINS0_14default_configENS1_25partition_config_selectorILNS1_17partition_subalgoE1EsNS0_10empty_typeEbEEZZNS1_14partition_implILS5_1ELb0ES3_jN6thrust23THRUST_200600_302600_NS6detail15normal_iteratorINSA_10device_ptrIsEEEEPS6_NSA_18transform_iteratorI7is_evenIsESF_NSA_11use_defaultESK_EENS0_5tupleIJNSA_16discard_iteratorISK_EESO_EEENSM_IJSG_SG_EEES6_PlJS6_EEE10hipError_tPvRmT3_T4_T5_T6_T7_T9_mT8_P12ihipStream_tbDpT10_ENKUlT_T0_E_clISt17integral_constantIbLb1EES1A_IbLb0EEEEDaS16_S17_EUlS16_E_NS1_11comp_targetILNS1_3genE4ELNS1_11target_archE910ELNS1_3gpuE8ELNS1_3repE0EEENS1_30default_config_static_selectorELNS0_4arch9wavefront6targetE1EEEvT1_: ; @_ZN7rocprim17ROCPRIM_400000_NS6detail17trampoline_kernelINS0_14default_configENS1_25partition_config_selectorILNS1_17partition_subalgoE1EsNS0_10empty_typeEbEEZZNS1_14partition_implILS5_1ELb0ES3_jN6thrust23THRUST_200600_302600_NS6detail15normal_iteratorINSA_10device_ptrIsEEEEPS6_NSA_18transform_iteratorI7is_evenIsESF_NSA_11use_defaultESK_EENS0_5tupleIJNSA_16discard_iteratorISK_EESO_EEENSM_IJSG_SG_EEES6_PlJS6_EEE10hipError_tPvRmT3_T4_T5_T6_T7_T9_mT8_P12ihipStream_tbDpT10_ENKUlT_T0_E_clISt17integral_constantIbLb1EES1A_IbLb0EEEEDaS16_S17_EUlS16_E_NS1_11comp_targetILNS1_3genE4ELNS1_11target_archE910ELNS1_3gpuE8ELNS1_3repE0EEENS1_30default_config_static_selectorELNS0_4arch9wavefront6targetE1EEEvT1_
; %bb.0:
	s_load_dwordx2 s[0:1], s[4:5], 0x70
	s_load_dwordx4 s[12:15], s[4:5], 0x8
	s_load_dwordx2 s[2:3], s[4:5], 0x20
	s_load_dwordx4 s[20:23], s[4:5], 0x60
	s_waitcnt lgkmcnt(0)
	v_mov_b32_e32 v3, s1
	s_load_dword s1, s[4:5], 0x88
	s_lshl_b64 s[8:9], s[14:15], 1
	s_add_u32 s16, s12, s8
	s_addc_u32 s17, s13, s9
	v_mov_b32_e32 v2, s0
	s_waitcnt lgkmcnt(0)
	s_add_i32 s10, s1, -1
	s_mulk_i32 s1, 0x1400
	s_add_i32 s7, s1, s14
	s_sub_i32 s7, s0, s7
	s_addk_i32 s7, 0x1400
	s_add_u32 s0, s14, s1
	s_addc_u32 s1, s15, 0
	s_cmp_eq_u32 s6, s10
	s_load_dwordx2 s[18:19], s[22:23], 0x0
	s_cselect_b64 s[22:23], -1, 0
	s_cmp_lg_u32 s6, s10
	s_mul_i32 s12, s6, 0x1400
	s_mov_b32 s13, 0
	v_cmp_lt_u64_e32 vcc, s[0:1], v[2:3]
	s_cselect_b64 s[0:1], -1, 0
	s_or_b64 s[10:11], s[0:1], vcc
	s_lshl_b64 s[12:13], s[12:13], 1
	s_add_u32 s16, s16, s12
	s_addc_u32 s17, s17, s13
	s_mov_b64 s[0:1], -1
	s_and_b64 vcc, exec, s[10:11]
	s_cbranch_vccz .LBB3373_2
; %bb.1:
	v_lshlrev_b32_e32 v1, 1, v0
	v_mov_b32_e32 v3, s17
	v_add_co_u32_e32 v2, vcc, s16, v1
	v_addc_co_u32_e32 v3, vcc, 0, v3, vcc
	v_add_co_u32_e32 v4, vcc, 0x1000, v2
	v_addc_co_u32_e32 v5, vcc, 0, v3, vcc
	flat_load_ushort v6, v[2:3]
	flat_load_ushort v7, v[2:3] offset:512
	flat_load_ushort v8, v[2:3] offset:1024
	;; [unrolled: 1-line block ×7, first 2 shown]
	v_add_co_u32_e32 v2, vcc, 0x2000, v2
	v_addc_co_u32_e32 v3, vcc, 0, v3, vcc
	flat_load_ushort v14, v[4:5]
	flat_load_ushort v15, v[4:5] offset:512
	flat_load_ushort v16, v[4:5] offset:1024
	;; [unrolled: 1-line block ×7, first 2 shown]
	s_nop 0
	flat_load_ushort v4, v[2:3]
	flat_load_ushort v5, v[2:3] offset:512
	flat_load_ushort v22, v[2:3] offset:1024
	;; [unrolled: 1-line block ×3, first 2 shown]
	s_mov_b64 s[0:1], 0
	s_waitcnt vmcnt(0) lgkmcnt(0)
	ds_write_b16 v1, v6
	ds_write_b16 v1, v7 offset:512
	ds_write_b16 v1, v8 offset:1024
	;; [unrolled: 1-line block ×19, first 2 shown]
	s_waitcnt lgkmcnt(0)
	s_barrier
.LBB3373_2:
	s_andn2_b64 vcc, exec, s[0:1]
	v_cmp_gt_u32_e64 s[0:1], s7, v0
	s_cbranch_vccnz .LBB3373_44
; %bb.3:
                                        ; implicit-def: $vgpr1
	s_and_saveexec_b64 s[14:15], s[0:1]
	s_cbranch_execz .LBB3373_5
; %bb.4:
	v_lshlrev_b32_e32 v1, 1, v0
	v_mov_b32_e32 v3, s17
	v_add_co_u32_e32 v2, vcc, s16, v1
	v_addc_co_u32_e32 v3, vcc, 0, v3, vcc
	flat_load_ushort v1, v[2:3]
.LBB3373_5:
	s_or_b64 exec, exec, s[14:15]
	v_or_b32_e32 v2, 0x100, v0
	v_cmp_gt_u32_e32 vcc, s7, v2
                                        ; implicit-def: $vgpr2
	s_and_saveexec_b64 s[0:1], vcc
	s_cbranch_execz .LBB3373_7
; %bb.6:
	v_lshlrev_b32_e32 v2, 1, v0
	v_mov_b32_e32 v3, s17
	v_add_co_u32_e32 v2, vcc, s16, v2
	v_addc_co_u32_e32 v3, vcc, 0, v3, vcc
	flat_load_ushort v2, v[2:3] offset:512
.LBB3373_7:
	s_or_b64 exec, exec, s[0:1]
	v_or_b32_e32 v3, 0x200, v0
	v_cmp_gt_u32_e32 vcc, s7, v3
                                        ; implicit-def: $vgpr3
	s_and_saveexec_b64 s[0:1], vcc
	s_cbranch_execz .LBB3373_9
; %bb.8:
	v_lshlrev_b32_e32 v3, 1, v0
	v_mov_b32_e32 v5, s17
	v_add_co_u32_e32 v4, vcc, s16, v3
	v_addc_co_u32_e32 v5, vcc, 0, v5, vcc
	flat_load_ushort v3, v[4:5] offset:1024
.LBB3373_9:
	s_or_b64 exec, exec, s[0:1]
	v_or_b32_e32 v4, 0x300, v0
	v_cmp_gt_u32_e32 vcc, s7, v4
                                        ; implicit-def: $vgpr4
	s_and_saveexec_b64 s[0:1], vcc
	s_cbranch_execz .LBB3373_11
; %bb.10:
	v_lshlrev_b32_e32 v4, 1, v0
	v_mov_b32_e32 v5, s17
	v_add_co_u32_e32 v4, vcc, s16, v4
	v_addc_co_u32_e32 v5, vcc, 0, v5, vcc
	flat_load_ushort v4, v[4:5] offset:1536
.LBB3373_11:
	s_or_b64 exec, exec, s[0:1]
	v_or_b32_e32 v5, 0x400, v0
	v_cmp_gt_u32_e32 vcc, s7, v5
                                        ; implicit-def: $vgpr5
	s_and_saveexec_b64 s[0:1], vcc
	s_cbranch_execz .LBB3373_13
; %bb.12:
	v_lshlrev_b32_e32 v5, 1, v0
	v_mov_b32_e32 v7, s17
	v_add_co_u32_e32 v6, vcc, s16, v5
	v_addc_co_u32_e32 v7, vcc, 0, v7, vcc
	flat_load_ushort v5, v[6:7] offset:2048
.LBB3373_13:
	s_or_b64 exec, exec, s[0:1]
	v_or_b32_e32 v6, 0x500, v0
	v_cmp_gt_u32_e32 vcc, s7, v6
                                        ; implicit-def: $vgpr6
	s_and_saveexec_b64 s[0:1], vcc
	s_cbranch_execz .LBB3373_15
; %bb.14:
	v_lshlrev_b32_e32 v6, 1, v0
	v_mov_b32_e32 v7, s17
	v_add_co_u32_e32 v6, vcc, s16, v6
	v_addc_co_u32_e32 v7, vcc, 0, v7, vcc
	flat_load_ushort v6, v[6:7] offset:2560
.LBB3373_15:
	s_or_b64 exec, exec, s[0:1]
	v_or_b32_e32 v7, 0x600, v0
	v_cmp_gt_u32_e32 vcc, s7, v7
                                        ; implicit-def: $vgpr7
	s_and_saveexec_b64 s[0:1], vcc
	s_cbranch_execz .LBB3373_17
; %bb.16:
	v_lshlrev_b32_e32 v7, 1, v0
	v_mov_b32_e32 v9, s17
	v_add_co_u32_e32 v8, vcc, s16, v7
	v_addc_co_u32_e32 v9, vcc, 0, v9, vcc
	flat_load_ushort v7, v[8:9] offset:3072
.LBB3373_17:
	s_or_b64 exec, exec, s[0:1]
	v_or_b32_e32 v8, 0x700, v0
	v_cmp_gt_u32_e32 vcc, s7, v8
                                        ; implicit-def: $vgpr8
	s_and_saveexec_b64 s[0:1], vcc
	s_cbranch_execz .LBB3373_19
; %bb.18:
	v_lshlrev_b32_e32 v8, 1, v0
	v_mov_b32_e32 v9, s17
	v_add_co_u32_e32 v8, vcc, s16, v8
	v_addc_co_u32_e32 v9, vcc, 0, v9, vcc
	flat_load_ushort v8, v[8:9] offset:3584
.LBB3373_19:
	s_or_b64 exec, exec, s[0:1]
	v_or_b32_e32 v10, 0x800, v0
	v_cmp_gt_u32_e32 vcc, s7, v10
                                        ; implicit-def: $vgpr9
	s_and_saveexec_b64 s[0:1], vcc
	s_cbranch_execz .LBB3373_21
; %bb.20:
	v_lshlrev_b32_e32 v9, 1, v10
	v_mov_b32_e32 v11, s17
	v_add_co_u32_e32 v10, vcc, s16, v9
	v_addc_co_u32_e32 v11, vcc, 0, v11, vcc
	flat_load_ushort v9, v[10:11]
.LBB3373_21:
	s_or_b64 exec, exec, s[0:1]
	v_or_b32_e32 v11, 0x900, v0
	v_cmp_gt_u32_e32 vcc, s7, v11
                                        ; implicit-def: $vgpr10
	s_and_saveexec_b64 s[0:1], vcc
	s_cbranch_execz .LBB3373_23
; %bb.22:
	v_lshlrev_b32_e32 v10, 1, v11
	v_mov_b32_e32 v11, s17
	v_add_co_u32_e32 v10, vcc, s16, v10
	v_addc_co_u32_e32 v11, vcc, 0, v11, vcc
	flat_load_ushort v10, v[10:11]
.LBB3373_23:
	s_or_b64 exec, exec, s[0:1]
	v_or_b32_e32 v12, 0xa00, v0
	v_cmp_gt_u32_e32 vcc, s7, v12
                                        ; implicit-def: $vgpr11
	s_and_saveexec_b64 s[0:1], vcc
	s_cbranch_execz .LBB3373_25
; %bb.24:
	v_lshlrev_b32_e32 v11, 1, v12
	v_mov_b32_e32 v13, s17
	v_add_co_u32_e32 v12, vcc, s16, v11
	v_addc_co_u32_e32 v13, vcc, 0, v13, vcc
	flat_load_ushort v11, v[12:13]
.LBB3373_25:
	s_or_b64 exec, exec, s[0:1]
	v_or_b32_e32 v13, 0xb00, v0
	v_cmp_gt_u32_e32 vcc, s7, v13
                                        ; implicit-def: $vgpr12
	s_and_saveexec_b64 s[0:1], vcc
	s_cbranch_execz .LBB3373_27
; %bb.26:
	v_lshlrev_b32_e32 v12, 1, v13
	v_mov_b32_e32 v13, s17
	v_add_co_u32_e32 v12, vcc, s16, v12
	v_addc_co_u32_e32 v13, vcc, 0, v13, vcc
	flat_load_ushort v12, v[12:13]
.LBB3373_27:
	s_or_b64 exec, exec, s[0:1]
	v_or_b32_e32 v14, 0xc00, v0
	v_cmp_gt_u32_e32 vcc, s7, v14
                                        ; implicit-def: $vgpr13
	s_and_saveexec_b64 s[0:1], vcc
	s_cbranch_execz .LBB3373_29
; %bb.28:
	v_lshlrev_b32_e32 v13, 1, v14
	v_mov_b32_e32 v15, s17
	v_add_co_u32_e32 v14, vcc, s16, v13
	v_addc_co_u32_e32 v15, vcc, 0, v15, vcc
	flat_load_ushort v13, v[14:15]
.LBB3373_29:
	s_or_b64 exec, exec, s[0:1]
	v_or_b32_e32 v15, 0xd00, v0
	v_cmp_gt_u32_e32 vcc, s7, v15
                                        ; implicit-def: $vgpr14
	s_and_saveexec_b64 s[0:1], vcc
	s_cbranch_execz .LBB3373_31
; %bb.30:
	v_lshlrev_b32_e32 v14, 1, v15
	v_mov_b32_e32 v15, s17
	v_add_co_u32_e32 v14, vcc, s16, v14
	v_addc_co_u32_e32 v15, vcc, 0, v15, vcc
	flat_load_ushort v14, v[14:15]
.LBB3373_31:
	s_or_b64 exec, exec, s[0:1]
	v_or_b32_e32 v16, 0xe00, v0
	v_cmp_gt_u32_e32 vcc, s7, v16
                                        ; implicit-def: $vgpr15
	s_and_saveexec_b64 s[0:1], vcc
	s_cbranch_execz .LBB3373_33
; %bb.32:
	v_lshlrev_b32_e32 v15, 1, v16
	v_mov_b32_e32 v17, s17
	v_add_co_u32_e32 v16, vcc, s16, v15
	v_addc_co_u32_e32 v17, vcc, 0, v17, vcc
	flat_load_ushort v15, v[16:17]
.LBB3373_33:
	s_or_b64 exec, exec, s[0:1]
	v_or_b32_e32 v17, 0xf00, v0
	v_cmp_gt_u32_e32 vcc, s7, v17
                                        ; implicit-def: $vgpr16
	s_and_saveexec_b64 s[0:1], vcc
	s_cbranch_execz .LBB3373_35
; %bb.34:
	v_lshlrev_b32_e32 v16, 1, v17
	v_mov_b32_e32 v17, s17
	v_add_co_u32_e32 v16, vcc, s16, v16
	v_addc_co_u32_e32 v17, vcc, 0, v17, vcc
	flat_load_ushort v16, v[16:17]
.LBB3373_35:
	s_or_b64 exec, exec, s[0:1]
	v_or_b32_e32 v18, 0x1000, v0
	v_cmp_gt_u32_e32 vcc, s7, v18
                                        ; implicit-def: $vgpr17
	s_and_saveexec_b64 s[0:1], vcc
	s_cbranch_execz .LBB3373_37
; %bb.36:
	v_lshlrev_b32_e32 v17, 1, v18
	v_mov_b32_e32 v19, s17
	v_add_co_u32_e32 v18, vcc, s16, v17
	v_addc_co_u32_e32 v19, vcc, 0, v19, vcc
	flat_load_ushort v17, v[18:19]
.LBB3373_37:
	s_or_b64 exec, exec, s[0:1]
	v_or_b32_e32 v19, 0x1100, v0
	v_cmp_gt_u32_e32 vcc, s7, v19
                                        ; implicit-def: $vgpr18
	s_and_saveexec_b64 s[0:1], vcc
	s_cbranch_execz .LBB3373_39
; %bb.38:
	v_lshlrev_b32_e32 v18, 1, v19
	v_mov_b32_e32 v19, s17
	v_add_co_u32_e32 v18, vcc, s16, v18
	v_addc_co_u32_e32 v19, vcc, 0, v19, vcc
	flat_load_ushort v18, v[18:19]
.LBB3373_39:
	s_or_b64 exec, exec, s[0:1]
	v_or_b32_e32 v20, 0x1200, v0
	v_cmp_gt_u32_e32 vcc, s7, v20
                                        ; implicit-def: $vgpr19
	s_and_saveexec_b64 s[0:1], vcc
	s_cbranch_execz .LBB3373_41
; %bb.40:
	v_lshlrev_b32_e32 v19, 1, v20
	v_mov_b32_e32 v21, s17
	v_add_co_u32_e32 v20, vcc, s16, v19
	v_addc_co_u32_e32 v21, vcc, 0, v21, vcc
	flat_load_ushort v19, v[20:21]
.LBB3373_41:
	s_or_b64 exec, exec, s[0:1]
	v_or_b32_e32 v21, 0x1300, v0
	v_cmp_gt_u32_e32 vcc, s7, v21
                                        ; implicit-def: $vgpr20
	s_and_saveexec_b64 s[0:1], vcc
	s_cbranch_execz .LBB3373_43
; %bb.42:
	v_lshlrev_b32_e32 v20, 1, v21
	v_mov_b32_e32 v21, s17
	v_add_co_u32_e32 v20, vcc, s16, v20
	v_addc_co_u32_e32 v21, vcc, 0, v21, vcc
	flat_load_ushort v20, v[20:21]
.LBB3373_43:
	s_or_b64 exec, exec, s[0:1]
	v_lshlrev_b32_e32 v21, 1, v0
	s_waitcnt vmcnt(0) lgkmcnt(0)
	ds_write_b16 v21, v1
	ds_write_b16 v21, v2 offset:512
	ds_write_b16 v21, v3 offset:1024
	;; [unrolled: 1-line block ×19, first 2 shown]
	s_waitcnt lgkmcnt(0)
	s_barrier
.LBB3373_44:
	v_mul_u32_u24_e32 v1, 20, v0
	v_lshlrev_b32_e32 v6, 1, v1
	s_waitcnt lgkmcnt(0)
	ds_read_b64 v[10:11], v6 offset:32
	ds_read2_b64 v[2:5], v6 offset0:2 offset1:3
	ds_read2_b64 v[6:9], v6 offset1:1
	s_add_u32 s0, s2, s8
	s_addc_u32 s1, s3, s9
	s_add_u32 s0, s0, s12
	s_addc_u32 s1, s1, s13
	s_mov_b64 s[2:3], -1
	s_and_b64 vcc, exec, s[10:11]
	s_waitcnt lgkmcnt(0)
	s_barrier
	s_cbranch_vccz .LBB3373_46
; %bb.45:
	v_lshlrev_b32_e32 v12, 1, v0
	v_mov_b32_e32 v13, s1
	v_add_co_u32_e32 v14, vcc, s0, v12
	v_addc_co_u32_e32 v15, vcc, 0, v13, vcc
	s_movk_i32 s2, 0x1000
	global_load_ubyte v16, v12, s[0:1]
	global_load_ubyte v17, v12, s[0:1] offset:512
	global_load_ubyte v18, v12, s[0:1] offset:1024
	;; [unrolled: 1-line block ×7, first 2 shown]
	v_add_co_u32_e32 v12, vcc, s2, v14
	v_addc_co_u32_e32 v13, vcc, 0, v15, vcc
	s_movk_i32 s2, 0x2000
	v_add_co_u32_e32 v14, vcc, s2, v14
	v_addc_co_u32_e32 v15, vcc, 0, v15, vcc
	global_load_ubyte v24, v[14:15], off offset:-4096
	global_load_ubyte v25, v[12:13], off offset:512
	global_load_ubyte v26, v[12:13], off offset:1024
	;; [unrolled: 1-line block ×7, first 2 shown]
	global_load_ubyte v32, v[14:15], off
	global_load_ubyte v33, v[14:15], off offset:512
	global_load_ubyte v34, v[14:15], off offset:1024
	global_load_ubyte v35, v[14:15], off offset:1536
	s_mov_b64 s[2:3], 0
	s_waitcnt vmcnt(19)
	v_xor_b32_e32 v12, -1, v16
	s_waitcnt vmcnt(18)
	v_xor_b32_e32 v13, -1, v17
	;; [unrolled: 2-line block ×8, first 2 shown]
	v_and_b32_e32 v12, 1, v12
	s_waitcnt vmcnt(11)
	v_xor_b32_e32 v20, -1, v24
	v_and_b32_e32 v13, 1, v13
	v_and_b32_e32 v14, 1, v14
	v_and_b32_e32 v15, 1, v15
	v_and_b32_e32 v16, 1, v16
	v_and_b32_e32 v17, 1, v17
	v_and_b32_e32 v18, 1, v18
	v_and_b32_e32 v19, 1, v19
	s_waitcnt vmcnt(10)
	v_xor_b32_e32 v21, -1, v25
	s_waitcnt vmcnt(9)
	v_xor_b32_e32 v22, -1, v26
	s_waitcnt vmcnt(8)
	v_xor_b32_e32 v23, -1, v27
	s_waitcnt vmcnt(7)
	v_xor_b32_e32 v24, -1, v28
	s_waitcnt vmcnt(6)
	v_xor_b32_e32 v25, -1, v29
	s_waitcnt vmcnt(5)
	v_xor_b32_e32 v26, -1, v30
	s_waitcnt vmcnt(4)
	v_xor_b32_e32 v27, -1, v31
	s_waitcnt vmcnt(3)
	v_xor_b32_e32 v28, -1, v32
	s_waitcnt vmcnt(2)
	v_xor_b32_e32 v29, -1, v33
	s_waitcnt vmcnt(1)
	v_xor_b32_e32 v30, -1, v34
	s_waitcnt vmcnt(0)
	v_xor_b32_e32 v31, -1, v35
	ds_write_b8 v0, v12
	ds_write_b8 v0, v13 offset:256
	ds_write_b8 v0, v14 offset:512
	;; [unrolled: 1-line block ×7, first 2 shown]
	v_and_b32_e32 v12, 1, v20
	v_and_b32_e32 v13, 1, v21
	;; [unrolled: 1-line block ×12, first 2 shown]
	ds_write_b8 v0, v12 offset:2048
	ds_write_b8 v0, v13 offset:2304
	;; [unrolled: 1-line block ×12, first 2 shown]
	s_waitcnt lgkmcnt(0)
	s_barrier
.LBB3373_46:
	s_load_dwordx2 s[24:25], s[4:5], 0x80
	s_andn2_b64 vcc, exec, s[2:3]
	s_cbranch_vccnz .LBB3373_88
; %bb.47:
	v_cmp_gt_u32_e32 vcc, s7, v0
	v_mov_b32_e32 v12, 0
	v_mov_b32_e32 v13, 0
	s_and_saveexec_b64 s[2:3], vcc
	s_cbranch_execz .LBB3373_49
; %bb.48:
	v_lshlrev_b32_e32 v13, 1, v0
	global_load_ubyte v13, v13, s[0:1]
	s_waitcnt vmcnt(0)
	v_xor_b32_e32 v13, -1, v13
	v_and_b32_e32 v13, 1, v13
.LBB3373_49:
	s_or_b64 exec, exec, s[2:3]
	v_or_b32_e32 v14, 0x100, v0
	v_cmp_gt_u32_e32 vcc, s7, v14
	s_and_saveexec_b64 s[2:3], vcc
	s_cbranch_execz .LBB3373_51
; %bb.50:
	v_lshlrev_b32_e32 v12, 1, v0
	global_load_ubyte v12, v12, s[0:1] offset:512
	s_waitcnt vmcnt(0)
	v_xor_b32_e32 v12, -1, v12
	v_and_b32_e32 v12, 1, v12
.LBB3373_51:
	s_or_b64 exec, exec, s[2:3]
	v_or_b32_e32 v14, 0x200, v0
	v_cmp_gt_u32_e32 vcc, s7, v14
	v_mov_b32_e32 v14, 0
	v_mov_b32_e32 v15, 0
	s_and_saveexec_b64 s[2:3], vcc
	s_cbranch_execz .LBB3373_53
; %bb.52:
	v_lshlrev_b32_e32 v15, 1, v0
	global_load_ubyte v15, v15, s[0:1] offset:1024
	s_waitcnt vmcnt(0)
	v_xor_b32_e32 v15, -1, v15
	v_and_b32_e32 v15, 1, v15
.LBB3373_53:
	s_or_b64 exec, exec, s[2:3]
	v_or_b32_e32 v16, 0x300, v0
	v_cmp_gt_u32_e32 vcc, s7, v16
	s_and_saveexec_b64 s[2:3], vcc
	s_cbranch_execz .LBB3373_55
; %bb.54:
	v_lshlrev_b32_e32 v14, 1, v0
	global_load_ubyte v14, v14, s[0:1] offset:1536
	s_waitcnt vmcnt(0)
	v_xor_b32_e32 v14, -1, v14
	v_and_b32_e32 v14, 1, v14
.LBB3373_55:
	s_or_b64 exec, exec, s[2:3]
	v_or_b32_e32 v16, 0x400, v0
	v_cmp_gt_u32_e32 vcc, s7, v16
	v_mov_b32_e32 v16, 0
	v_mov_b32_e32 v17, 0
	s_and_saveexec_b64 s[2:3], vcc
	s_cbranch_execz .LBB3373_57
; %bb.56:
	v_lshlrev_b32_e32 v17, 1, v0
	global_load_ubyte v17, v17, s[0:1] offset:2048
	s_waitcnt vmcnt(0)
	v_xor_b32_e32 v17, -1, v17
	v_and_b32_e32 v17, 1, v17
.LBB3373_57:
	;; [unrolled: 26-line block ×3, first 2 shown]
	s_or_b64 exec, exec, s[2:3]
	v_or_b32_e32 v20, 0x700, v0
	v_cmp_gt_u32_e32 vcc, s7, v20
	s_and_saveexec_b64 s[2:3], vcc
	s_cbranch_execz .LBB3373_63
; %bb.62:
	v_lshlrev_b32_e32 v18, 1, v0
	global_load_ubyte v18, v18, s[0:1] offset:3584
	s_waitcnt vmcnt(0)
	v_xor_b32_e32 v18, -1, v18
	v_and_b32_e32 v18, 1, v18
.LBB3373_63:
	s_or_b64 exec, exec, s[2:3]
	v_or_b32_e32 v22, 0x800, v0
	v_cmp_gt_u32_e32 vcc, s7, v22
	v_mov_b32_e32 v20, 0
	v_mov_b32_e32 v21, 0
	s_and_saveexec_b64 s[2:3], vcc
	s_cbranch_execz .LBB3373_65
; %bb.64:
	v_lshlrev_b32_e32 v21, 1, v22
	global_load_ubyte v21, v21, s[0:1]
	s_waitcnt vmcnt(0)
	v_xor_b32_e32 v21, -1, v21
	v_and_b32_e32 v21, 1, v21
.LBB3373_65:
	s_or_b64 exec, exec, s[2:3]
	v_or_b32_e32 v22, 0x900, v0
	v_cmp_gt_u32_e32 vcc, s7, v22
	s_and_saveexec_b64 s[2:3], vcc
	s_cbranch_execz .LBB3373_67
; %bb.66:
	v_lshlrev_b32_e32 v20, 1, v22
	global_load_ubyte v20, v20, s[0:1]
	s_waitcnt vmcnt(0)
	v_xor_b32_e32 v20, -1, v20
	v_and_b32_e32 v20, 1, v20
.LBB3373_67:
	s_or_b64 exec, exec, s[2:3]
	v_or_b32_e32 v24, 0xa00, v0
	v_cmp_gt_u32_e32 vcc, s7, v24
	v_mov_b32_e32 v22, 0
	v_mov_b32_e32 v23, 0
	s_and_saveexec_b64 s[2:3], vcc
	s_cbranch_execz .LBB3373_69
; %bb.68:
	v_lshlrev_b32_e32 v23, 1, v24
	global_load_ubyte v23, v23, s[0:1]
	s_waitcnt vmcnt(0)
	v_xor_b32_e32 v23, -1, v23
	v_and_b32_e32 v23, 1, v23
.LBB3373_69:
	s_or_b64 exec, exec, s[2:3]
	v_or_b32_e32 v24, 0xb00, v0
	v_cmp_gt_u32_e32 vcc, s7, v24
	s_and_saveexec_b64 s[2:3], vcc
	s_cbranch_execz .LBB3373_71
; %bb.70:
	v_lshlrev_b32_e32 v22, 1, v24
	global_load_ubyte v22, v22, s[0:1]
	s_waitcnt vmcnt(0)
	v_xor_b32_e32 v22, -1, v22
	v_and_b32_e32 v22, 1, v22
.LBB3373_71:
	;; [unrolled: 26-line block ×6, first 2 shown]
	s_or_b64 exec, exec, s[2:3]
	ds_write_b8 v0, v13
	ds_write_b8 v0, v12 offset:256
	ds_write_b8 v0, v15 offset:512
	;; [unrolled: 1-line block ×19, first 2 shown]
	s_waitcnt lgkmcnt(0)
	s_barrier
.LBB3373_88:
	s_waitcnt lgkmcnt(0)
	ds_read2_b32 v[14:15], v1 offset1:1
	ds_read2_b32 v[12:13], v1 offset0:2 offset1:3
	ds_read_b32 v27, v1 offset:16
	s_cmp_lg_u32 s6, 0
	v_lshrrev_b32_e32 v46, 6, v0
	s_waitcnt lgkmcnt(2)
	v_lshrrev_b32_e32 v32, 24, v14
	v_bfe_u32 v44, v14, 16, 8
	v_add_u32_sdwa v16, v14, v14 dst_sel:DWORD dst_unused:UNUSED_PAD src0_sel:BYTE_1 src1_sel:BYTE_0
	v_and_b32_e32 v41, 0xff, v15
	v_bfe_u32 v42, v15, 8, 8
	v_add3_u32 v16, v16, v44, v32
	v_lshrrev_b32_e32 v31, 24, v15
	v_bfe_u32 v43, v15, 16, 8
	v_add3_u32 v16, v16, v41, v42
	s_waitcnt lgkmcnt(1)
	v_and_b32_e32 v38, 0xff, v12
	v_bfe_u32 v39, v12, 8, 8
	v_add3_u32 v16, v16, v43, v31
	v_lshrrev_b32_e32 v30, 24, v12
	v_bfe_u32 v40, v12, 16, 8
	v_add3_u32 v16, v16, v38, v39
	v_and_b32_e32 v35, 0xff, v13
	v_bfe_u32 v36, v13, 8, 8
	v_add3_u32 v16, v16, v40, v30
	v_lshrrev_b32_e32 v29, 24, v13
	v_bfe_u32 v37, v13, 16, 8
	v_add3_u32 v16, v16, v35, v36
	s_waitcnt lgkmcnt(0)
	v_and_b32_e32 v33, 0xff, v27
	v_bfe_u32 v34, v27, 8, 8
	v_add3_u32 v16, v16, v37, v29
	v_lshrrev_b32_e32 v26, 24, v27
	v_bfe_u32 v28, v27, 16, 8
	v_add3_u32 v16, v16, v33, v34
	v_add3_u32 v47, v16, v28, v26
	v_mbcnt_lo_u32_b32 v16, -1, 0
	v_mbcnt_hi_u32_b32 v45, -1, v16
	v_and_b32_e32 v16, 15, v45
	v_cmp_eq_u32_e64 s[12:13], 0, v16
	v_cmp_lt_u32_e64 s[10:11], 1, v16
	v_cmp_lt_u32_e64 s[8:9], 3, v16
	;; [unrolled: 1-line block ×3, first 2 shown]
	v_and_b32_e32 v16, 16, v45
	v_cmp_eq_u32_e64 s[4:5], 0, v16
	v_or_b32_e32 v16, 63, v0
	v_cmp_lt_u32_e64 s[0:1], 31, v45
	v_cmp_eq_u32_e64 s[2:3], v16, v0
	s_barrier
	s_cbranch_scc0 .LBB3373_119
; %bb.89:
	v_mov_b32_dpp v16, v47 row_shr:1 row_mask:0xf bank_mask:0xf
	v_cndmask_b32_e64 v16, v16, 0, s[12:13]
	v_add_u32_e32 v16, v16, v47
	s_nop 1
	v_mov_b32_dpp v17, v16 row_shr:2 row_mask:0xf bank_mask:0xf
	v_cndmask_b32_e64 v17, 0, v17, s[10:11]
	v_add_u32_e32 v16, v16, v17
	s_nop 1
	;; [unrolled: 4-line block ×4, first 2 shown]
	v_mov_b32_dpp v17, v16 row_bcast:15 row_mask:0xf bank_mask:0xf
	v_cndmask_b32_e64 v17, v17, 0, s[4:5]
	v_add_u32_e32 v16, v16, v17
	s_nop 1
	v_mov_b32_dpp v17, v16 row_bcast:31 row_mask:0xf bank_mask:0xf
	v_cndmask_b32_e64 v17, 0, v17, s[0:1]
	v_add_u32_e32 v16, v16, v17
	s_and_saveexec_b64 s[14:15], s[2:3]
	s_cbranch_execz .LBB3373_91
; %bb.90:
	v_lshlrev_b32_e32 v17, 2, v46
	ds_write_b32 v17, v16
.LBB3373_91:
	s_or_b64 exec, exec, s[14:15]
	v_cmp_gt_u32_e32 vcc, 4, v0
	s_waitcnt lgkmcnt(0)
	s_barrier
	s_and_saveexec_b64 s[14:15], vcc
	s_cbranch_execz .LBB3373_93
; %bb.92:
	v_lshlrev_b32_e32 v17, 2, v0
	ds_read_b32 v18, v17
	v_and_b32_e32 v19, 3, v45
	v_cmp_ne_u32_e32 vcc, 0, v19
	s_waitcnt lgkmcnt(0)
	v_mov_b32_dpp v20, v18 row_shr:1 row_mask:0xf bank_mask:0xf
	v_cndmask_b32_e32 v20, 0, v20, vcc
	v_add_u32_e32 v18, v20, v18
	v_cmp_lt_u32_e32 vcc, 1, v19
	s_nop 0
	v_mov_b32_dpp v20, v18 row_shr:2 row_mask:0xf bank_mask:0xf
	v_cndmask_b32_e32 v19, 0, v20, vcc
	v_add_u32_e32 v18, v18, v19
	ds_write_b32 v17, v18
.LBB3373_93:
	s_or_b64 exec, exec, s[14:15]
	v_cmp_gt_u32_e32 vcc, 64, v0
	v_cmp_lt_u32_e64 s[14:15], 63, v0
	s_waitcnt lgkmcnt(0)
	s_barrier
	s_waitcnt lgkmcnt(0)
                                        ; implicit-def: $vgpr48
	s_and_saveexec_b64 s[26:27], s[14:15]
	s_cbranch_execz .LBB3373_95
; %bb.94:
	v_lshl_add_u32 v17, v46, 2, -4
	ds_read_b32 v48, v17
	s_waitcnt lgkmcnt(0)
	v_add_u32_e32 v16, v48, v16
.LBB3373_95:
	s_or_b64 exec, exec, s[26:27]
	v_add_u32_e32 v17, -1, v45
	v_and_b32_e32 v18, 64, v45
	v_cmp_lt_i32_e64 s[14:15], v17, v18
	v_cndmask_b32_e64 v17, v17, v45, s[14:15]
	v_lshlrev_b32_e32 v17, 2, v17
	ds_bpermute_b32 v49, v17, v16
	v_cmp_eq_u32_e64 s[14:15], 0, v45
	s_and_saveexec_b64 s[26:27], vcc
	s_cbranch_execz .LBB3373_118
; %bb.96:
	v_mov_b32_e32 v25, 0
	ds_read_b32 v16, v25 offset:12
	s_and_saveexec_b64 s[28:29], s[14:15]
	s_cbranch_execz .LBB3373_98
; %bb.97:
	s_add_i32 s30, s6, 64
	s_mov_b32 s31, 0
	s_lshl_b64 s[30:31], s[30:31], 3
	s_add_u32 s30, s24, s30
	v_mov_b32_e32 v17, 1
	s_addc_u32 s31, s25, s31
	s_waitcnt lgkmcnt(0)
	global_store_dwordx2 v25, v[16:17], s[30:31]
.LBB3373_98:
	s_or_b64 exec, exec, s[28:29]
	v_xad_u32 v18, v45, -1, s6
	v_add_u32_e32 v24, 64, v18
	v_lshlrev_b64 v[20:21], 3, v[24:25]
	v_mov_b32_e32 v17, s25
	v_add_co_u32_e32 v20, vcc, s24, v20
	v_addc_co_u32_e32 v21, vcc, v17, v21, vcc
	global_load_dwordx2 v[22:23], v[20:21], off glc
	s_waitcnt vmcnt(0)
	v_cmp_eq_u16_sdwa s[30:31], v23, v25 src0_sel:BYTE_0 src1_sel:DWORD
	s_and_saveexec_b64 s[28:29], s[30:31]
	s_cbranch_execz .LBB3373_104
; %bb.99:
	s_mov_b32 s7, 1
	s_mov_b64 s[30:31], 0
	v_mov_b32_e32 v17, 0
.LBB3373_100:                           ; =>This Loop Header: Depth=1
                                        ;     Child Loop BB3373_101 Depth 2
	s_max_u32 s33, s7, 1
.LBB3373_101:                           ;   Parent Loop BB3373_100 Depth=1
                                        ; =>  This Inner Loop Header: Depth=2
	s_add_i32 s33, s33, -1
	s_cmp_eq_u32 s33, 0
	s_sleep 1
	s_cbranch_scc0 .LBB3373_101
; %bb.102:                              ;   in Loop: Header=BB3373_100 Depth=1
	global_load_dwordx2 v[22:23], v[20:21], off glc
	s_cmp_lt_u32 s7, 32
	s_cselect_b64 s[34:35], -1, 0
	s_cmp_lg_u64 s[34:35], 0
	s_addc_u32 s7, s7, 0
	s_waitcnt vmcnt(0)
	v_cmp_ne_u16_sdwa s[34:35], v23, v17 src0_sel:BYTE_0 src1_sel:DWORD
	s_or_b64 s[30:31], s[34:35], s[30:31]
	s_andn2_b64 exec, exec, s[30:31]
	s_cbranch_execnz .LBB3373_100
; %bb.103:
	s_or_b64 exec, exec, s[30:31]
.LBB3373_104:
	s_or_b64 exec, exec, s[28:29]
	v_and_b32_e32 v51, 63, v45
	v_mov_b32_e32 v50, 2
	v_cmp_ne_u32_e32 vcc, 63, v51
	v_cmp_eq_u16_sdwa s[28:29], v23, v50 src0_sel:BYTE_0 src1_sel:DWORD
	v_lshlrev_b64 v[20:21], v45, -1
	v_addc_co_u32_e32 v24, vcc, 0, v45, vcc
	v_and_b32_e32 v17, s29, v21
	v_lshlrev_b32_e32 v52, 2, v24
	v_or_b32_e32 v17, 0x80000000, v17
	ds_bpermute_b32 v24, v52, v22
	v_and_b32_e32 v19, s28, v20
	v_ffbl_b32_e32 v17, v17
	v_add_u32_e32 v17, 32, v17
	v_ffbl_b32_e32 v19, v19
	v_min_u32_e32 v17, v19, v17
	v_cmp_lt_u32_e32 vcc, v51, v17
	s_waitcnt lgkmcnt(0)
	v_cndmask_b32_e32 v19, 0, v24, vcc
	v_cmp_gt_u32_e32 vcc, 62, v51
	v_add_u32_e32 v19, v19, v22
	v_cndmask_b32_e64 v22, 0, 1, vcc
	v_lshlrev_b32_e32 v22, 1, v22
	v_add_lshl_u32 v53, v22, v45, 2
	ds_bpermute_b32 v22, v53, v19
	v_add_u32_e32 v54, 2, v51
	v_cmp_le_u32_e32 vcc, v54, v17
	v_add_u32_e32 v56, 4, v51
	v_add_u32_e32 v58, 8, v51
	s_waitcnt lgkmcnt(0)
	v_cndmask_b32_e32 v22, 0, v22, vcc
	v_cmp_gt_u32_e32 vcc, 60, v51
	v_add_u32_e32 v19, v19, v22
	v_cndmask_b32_e64 v22, 0, 1, vcc
	v_lshlrev_b32_e32 v22, 2, v22
	v_add_lshl_u32 v55, v22, v45, 2
	ds_bpermute_b32 v22, v55, v19
	v_cmp_le_u32_e32 vcc, v56, v17
	v_add_u32_e32 v60, 16, v51
	v_add_u32_e32 v62, 32, v51
	s_waitcnt lgkmcnt(0)
	v_cndmask_b32_e32 v22, 0, v22, vcc
	v_cmp_gt_u32_e32 vcc, 56, v51
	v_add_u32_e32 v19, v19, v22
	v_cndmask_b32_e64 v22, 0, 1, vcc
	v_lshlrev_b32_e32 v22, 3, v22
	v_add_lshl_u32 v57, v22, v45, 2
	ds_bpermute_b32 v22, v57, v19
	v_cmp_le_u32_e32 vcc, v58, v17
	s_waitcnt lgkmcnt(0)
	v_cndmask_b32_e32 v22, 0, v22, vcc
	v_cmp_gt_u32_e32 vcc, 48, v51
	v_add_u32_e32 v19, v19, v22
	v_cndmask_b32_e64 v22, 0, 1, vcc
	v_lshlrev_b32_e32 v22, 4, v22
	v_add_lshl_u32 v59, v22, v45, 2
	ds_bpermute_b32 v22, v59, v19
	v_cmp_le_u32_e32 vcc, v60, v17
	s_waitcnt lgkmcnt(0)
	v_cndmask_b32_e32 v22, 0, v22, vcc
	v_cmp_gt_u32_e32 vcc, 32, v51
	v_add_u32_e32 v19, v19, v22
	v_cndmask_b32_e64 v22, 0, 1, vcc
	v_lshlrev_b32_e32 v22, 5, v22
	v_add_lshl_u32 v61, v22, v45, 2
	ds_bpermute_b32 v22, v61, v19
	v_cmp_le_u32_e32 vcc, v62, v17
	s_waitcnt lgkmcnt(0)
	v_cndmask_b32_e32 v17, 0, v22, vcc
	v_add_u32_e32 v22, v19, v17
	v_mov_b32_e32 v19, 0
	s_branch .LBB3373_106
.LBB3373_105:                           ;   in Loop: Header=BB3373_106 Depth=1
	s_or_b64 exec, exec, s[28:29]
	v_cmp_eq_u16_sdwa s[28:29], v23, v50 src0_sel:BYTE_0 src1_sel:DWORD
	v_and_b32_e32 v24, s29, v21
	v_or_b32_e32 v24, 0x80000000, v24
	ds_bpermute_b32 v63, v52, v22
	v_and_b32_e32 v25, s28, v20
	v_ffbl_b32_e32 v24, v24
	v_add_u32_e32 v24, 32, v24
	v_ffbl_b32_e32 v25, v25
	v_min_u32_e32 v24, v25, v24
	v_cmp_lt_u32_e32 vcc, v51, v24
	s_waitcnt lgkmcnt(0)
	v_cndmask_b32_e32 v25, 0, v63, vcc
	v_add_u32_e32 v22, v25, v22
	ds_bpermute_b32 v25, v53, v22
	v_cmp_le_u32_e32 vcc, v54, v24
	v_subrev_u32_e32 v18, 64, v18
	s_waitcnt lgkmcnt(0)
	v_cndmask_b32_e32 v25, 0, v25, vcc
	v_add_u32_e32 v22, v22, v25
	ds_bpermute_b32 v25, v55, v22
	v_cmp_le_u32_e32 vcc, v56, v24
	s_waitcnt lgkmcnt(0)
	v_cndmask_b32_e32 v25, 0, v25, vcc
	v_add_u32_e32 v22, v22, v25
	ds_bpermute_b32 v25, v57, v22
	v_cmp_le_u32_e32 vcc, v58, v24
	s_waitcnt lgkmcnt(0)
	v_cndmask_b32_e32 v25, 0, v25, vcc
	v_add_u32_e32 v22, v22, v25
	ds_bpermute_b32 v25, v59, v22
	v_cmp_le_u32_e32 vcc, v60, v24
	s_waitcnt lgkmcnt(0)
	v_cndmask_b32_e32 v25, 0, v25, vcc
	v_add_u32_e32 v22, v22, v25
	ds_bpermute_b32 v25, v61, v22
	v_cmp_le_u32_e32 vcc, v62, v24
	s_waitcnt lgkmcnt(0)
	v_cndmask_b32_e32 v24, 0, v25, vcc
	v_add3_u32 v22, v24, v17, v22
.LBB3373_106:                           ; =>This Loop Header: Depth=1
                                        ;     Child Loop BB3373_109 Depth 2
                                        ;       Child Loop BB3373_110 Depth 3
	v_cmp_ne_u16_sdwa s[28:29], v23, v50 src0_sel:BYTE_0 src1_sel:DWORD
	v_cndmask_b32_e64 v17, 0, 1, s[28:29]
	;;#ASMSTART
	;;#ASMEND
	v_cmp_ne_u32_e32 vcc, 0, v17
	s_cmp_lg_u64 vcc, exec
	v_mov_b32_e32 v17, v22
	s_cbranch_scc1 .LBB3373_113
; %bb.107:                              ;   in Loop: Header=BB3373_106 Depth=1
	v_lshlrev_b64 v[22:23], 3, v[18:19]
	v_mov_b32_e32 v25, s25
	v_add_co_u32_e32 v24, vcc, s24, v22
	v_addc_co_u32_e32 v25, vcc, v25, v23, vcc
	global_load_dwordx2 v[22:23], v[24:25], off glc
	s_waitcnt vmcnt(0)
	v_cmp_eq_u16_sdwa s[30:31], v23, v19 src0_sel:BYTE_0 src1_sel:DWORD
	s_and_saveexec_b64 s[28:29], s[30:31]
	s_cbranch_execz .LBB3373_105
; %bb.108:                              ;   in Loop: Header=BB3373_106 Depth=1
	s_mov_b32 s7, 1
	s_mov_b64 s[30:31], 0
.LBB3373_109:                           ;   Parent Loop BB3373_106 Depth=1
                                        ; =>  This Loop Header: Depth=2
                                        ;       Child Loop BB3373_110 Depth 3
	s_max_u32 s33, s7, 1
.LBB3373_110:                           ;   Parent Loop BB3373_106 Depth=1
                                        ;     Parent Loop BB3373_109 Depth=2
                                        ; =>    This Inner Loop Header: Depth=3
	s_add_i32 s33, s33, -1
	s_cmp_eq_u32 s33, 0
	s_sleep 1
	s_cbranch_scc0 .LBB3373_110
; %bb.111:                              ;   in Loop: Header=BB3373_109 Depth=2
	global_load_dwordx2 v[22:23], v[24:25], off glc
	s_cmp_lt_u32 s7, 32
	s_cselect_b64 s[34:35], -1, 0
	s_cmp_lg_u64 s[34:35], 0
	s_addc_u32 s7, s7, 0
	s_waitcnt vmcnt(0)
	v_cmp_ne_u16_sdwa s[34:35], v23, v19 src0_sel:BYTE_0 src1_sel:DWORD
	s_or_b64 s[30:31], s[34:35], s[30:31]
	s_andn2_b64 exec, exec, s[30:31]
	s_cbranch_execnz .LBB3373_109
; %bb.112:                              ;   in Loop: Header=BB3373_106 Depth=1
	s_or_b64 exec, exec, s[30:31]
	s_branch .LBB3373_105
.LBB3373_113:                           ;   in Loop: Header=BB3373_106 Depth=1
                                        ; implicit-def: $vgpr22
                                        ; implicit-def: $vgpr23
	s_cbranch_execz .LBB3373_106
; %bb.114:
	s_and_saveexec_b64 s[28:29], s[14:15]
	s_cbranch_execz .LBB3373_116
; %bb.115:
	s_add_i32 s6, s6, 64
	s_mov_b32 s7, 0
	s_lshl_b64 s[6:7], s[6:7], 3
	s_add_u32 s6, s24, s6
	v_add_u32_e32 v18, v17, v16
	v_mov_b32_e32 v19, 2
	s_addc_u32 s7, s25, s7
	v_mov_b32_e32 v20, 0
	global_store_dwordx2 v20, v[18:19], s[6:7]
	ds_write_b64 v20, v[16:17] offset:10240
.LBB3373_116:
	s_or_b64 exec, exec, s[28:29]
	v_cmp_eq_u32_e32 vcc, 0, v0
	s_and_b64 exec, exec, vcc
	s_cbranch_execz .LBB3373_118
; %bb.117:
	v_mov_b32_e32 v16, 0
	ds_write_b32 v16, v17 offset:12
.LBB3373_118:
	s_or_b64 exec, exec, s[26:27]
	v_mov_b32_e32 v16, 0
	s_waitcnt lgkmcnt(0)
	s_barrier
	ds_read_b32 v19, v16 offset:12
	s_waitcnt lgkmcnt(0)
	s_barrier
	ds_read_b64 v[16:17], v16 offset:10240
	v_cndmask_b32_e64 v18, v49, v48, s[14:15]
	v_cmp_ne_u32_e32 vcc, 0, v0
	v_cndmask_b32_e32 v18, 0, v18, vcc
	v_add_u32_e32 v22, v19, v18
	s_branch .LBB3373_129
.LBB3373_119:
                                        ; implicit-def: $vgpr17
                                        ; implicit-def: $vgpr22
	s_cbranch_execz .LBB3373_129
; %bb.120:
	s_waitcnt lgkmcnt(0)
	v_mov_b32_dpp v16, v47 row_shr:1 row_mask:0xf bank_mask:0xf
	v_cndmask_b32_e64 v16, v16, 0, s[12:13]
	v_add_u32_e32 v16, v16, v47
	s_nop 1
	v_mov_b32_dpp v17, v16 row_shr:2 row_mask:0xf bank_mask:0xf
	v_cndmask_b32_e64 v17, 0, v17, s[10:11]
	v_add_u32_e32 v16, v16, v17
	s_nop 1
	;; [unrolled: 4-line block ×4, first 2 shown]
	v_mov_b32_dpp v17, v16 row_bcast:15 row_mask:0xf bank_mask:0xf
	v_cndmask_b32_e64 v17, v17, 0, s[4:5]
	v_add_u32_e32 v16, v16, v17
	s_nop 1
	v_mov_b32_dpp v17, v16 row_bcast:31 row_mask:0xf bank_mask:0xf
	v_cndmask_b32_e64 v17, 0, v17, s[0:1]
	v_add_u32_e32 v16, v16, v17
	s_and_saveexec_b64 s[0:1], s[2:3]
	s_cbranch_execz .LBB3373_122
; %bb.121:
	v_lshlrev_b32_e32 v17, 2, v46
	ds_write_b32 v17, v16
.LBB3373_122:
	s_or_b64 exec, exec, s[0:1]
	v_cmp_gt_u32_e32 vcc, 4, v0
	s_waitcnt lgkmcnt(0)
	s_barrier
	s_and_saveexec_b64 s[0:1], vcc
	s_cbranch_execz .LBB3373_124
; %bb.123:
	v_lshlrev_b32_e32 v17, 2, v0
	ds_read_b32 v18, v17
	v_and_b32_e32 v19, 3, v45
	v_cmp_ne_u32_e32 vcc, 0, v19
	s_waitcnt lgkmcnt(0)
	v_mov_b32_dpp v20, v18 row_shr:1 row_mask:0xf bank_mask:0xf
	v_cndmask_b32_e32 v20, 0, v20, vcc
	v_add_u32_e32 v18, v20, v18
	v_cmp_lt_u32_e32 vcc, 1, v19
	s_nop 0
	v_mov_b32_dpp v20, v18 row_shr:2 row_mask:0xf bank_mask:0xf
	v_cndmask_b32_e32 v19, 0, v20, vcc
	v_add_u32_e32 v18, v18, v19
	ds_write_b32 v17, v18
.LBB3373_124:
	s_or_b64 exec, exec, s[0:1]
	v_cmp_lt_u32_e32 vcc, 63, v0
	v_mov_b32_e32 v17, 0
	v_mov_b32_e32 v18, 0
	s_waitcnt lgkmcnt(0)
	s_barrier
	s_and_saveexec_b64 s[0:1], vcc
	s_cbranch_execz .LBB3373_126
; %bb.125:
	v_lshl_add_u32 v18, v46, 2, -4
	ds_read_b32 v18, v18
.LBB3373_126:
	s_or_b64 exec, exec, s[0:1]
	v_add_u32_e32 v19, -1, v45
	v_and_b32_e32 v20, 64, v45
	v_cmp_lt_i32_e32 vcc, v19, v20
	v_cndmask_b32_e32 v19, v19, v45, vcc
	s_waitcnt lgkmcnt(0)
	v_add_u32_e32 v16, v18, v16
	v_lshlrev_b32_e32 v19, 2, v19
	ds_bpermute_b32 v19, v19, v16
	ds_read_b32 v16, v17 offset:12
	v_cmp_eq_u32_e32 vcc, 0, v0
	s_and_saveexec_b64 s[0:1], vcc
	s_cbranch_execz .LBB3373_128
; %bb.127:
	v_mov_b32_e32 v20, 0
	v_mov_b32_e32 v17, 2
	s_waitcnt lgkmcnt(0)
	global_store_dwordx2 v20, v[16:17], s[24:25] offset:512
.LBB3373_128:
	s_or_b64 exec, exec, s[0:1]
	v_cmp_eq_u32_e64 s[0:1], 0, v45
	s_waitcnt lgkmcnt(1)
	v_cndmask_b32_e64 v18, v19, v18, s[0:1]
	v_mov_b32_e32 v17, 0
	v_cndmask_b32_e64 v22, v18, 0, vcc
	s_waitcnt lgkmcnt(0)
	s_barrier
.LBB3373_129:
	v_add_u32_sdwa v24, v22, v14 dst_sel:DWORD dst_unused:UNUSED_PAD src0_sel:DWORD src1_sel:BYTE_0
	s_waitcnt lgkmcnt(0)
	v_add_u32_e32 v1, v16, v1
	v_sub_u32_e32 v22, v22, v17
	v_and_b32_e32 v50, 1, v14
	v_sub_u32_e32 v49, v1, v22
	v_cmp_eq_u32_e32 vcc, 1, v50
	v_cndmask_b32_e32 v22, v49, v22, vcc
	v_lshlrev_b32_e32 v22, 1, v22
	v_lshrrev_b32_e32 v23, 8, v14
	ds_write_b16 v22, v6
	v_sub_u32_e32 v22, v24, v17
	v_add_u32_sdwa v25, v24, v14 dst_sel:DWORD dst_unused:UNUSED_PAD src0_sel:DWORD src1_sel:BYTE_1
	v_sub_u32_e32 v24, v1, v22
	v_and_b32_e32 v23, 1, v23
	v_add_u32_e32 v24, 1, v24
	v_cmp_eq_u32_e32 vcc, 1, v23
	v_cndmask_b32_e32 v22, v24, v22, vcc
	v_lshlrev_b32_e32 v22, 1, v22
	ds_write_b16_d16_hi v22, v6
	v_sub_u32_e32 v6, v25, v17
	v_mov_b32_e32 v23, 1
	v_sub_u32_e32 v22, v1, v6
	v_and_b32_sdwa v14, v23, v14 dst_sel:DWORD dst_unused:UNUSED_PAD src0_sel:DWORD src1_sel:WORD_1
	v_add_u32_e32 v22, 2, v22
	v_cmp_eq_u32_e32 vcc, 1, v14
	v_cndmask_b32_e32 v6, v22, v6, vcc
	v_add_u32_e32 v44, v25, v44
	v_lshlrev_b32_e32 v6, 1, v6
	ds_write_b16 v6, v7
	v_sub_u32_e32 v6, v44, v17
	v_sub_u32_e32 v14, v1, v6
	v_and_b32_e32 v22, 1, v32
	v_add_u32_e32 v14, 3, v14
	v_cmp_eq_u32_e32 vcc, 1, v22
	v_cndmask_b32_e32 v6, v14, v6, vcc
	v_add_u32_e32 v45, v44, v32
	v_lshlrev_b32_e32 v6, 1, v6
	ds_write_b16_d16_hi v6, v7
	v_sub_u32_e32 v6, v45, v17
	v_sub_u32_e32 v7, v1, v6
	v_and_b32_e32 v14, 1, v15
	v_add_u32_e32 v7, 4, v7
	v_cmp_eq_u32_e32 vcc, 1, v14
	v_cndmask_b32_e32 v6, v7, v6, vcc
	v_add_u32_e32 v41, v45, v41
	v_lshlrev_b32_e32 v6, 1, v6
	v_lshrrev_b32_e32 v21, 8, v15
	ds_write_b16 v6, v8
	v_sub_u32_e32 v6, v41, v17
	v_sub_u32_e32 v7, v1, v6
	v_and_b32_e32 v14, 1, v21
	v_add_u32_e32 v7, 5, v7
	v_cmp_eq_u32_e32 vcc, 1, v14
	v_cndmask_b32_e32 v6, v7, v6, vcc
	v_add_u32_e32 v42, v41, v42
	v_lshlrev_b32_e32 v6, 1, v6
	ds_write_b16_d16_hi v6, v8
	v_sub_u32_e32 v6, v42, v17
	v_sub_u32_e32 v7, v1, v6
	v_and_b32_sdwa v8, v23, v15 dst_sel:DWORD dst_unused:UNUSED_PAD src0_sel:DWORD src1_sel:WORD_1
	v_add_u32_e32 v7, 6, v7
	v_cmp_eq_u32_e32 vcc, 1, v8
	v_cndmask_b32_e32 v6, v7, v6, vcc
	v_add_u32_e32 v43, v42, v43
	v_lshlrev_b32_e32 v6, 1, v6
	ds_write_b16 v6, v9
	v_sub_u32_e32 v6, v43, v17
	v_sub_u32_e32 v7, v1, v6
	v_and_b32_e32 v8, 1, v31
	v_add_u32_e32 v7, 7, v7
	v_cmp_eq_u32_e32 vcc, 1, v8
	v_cndmask_b32_e32 v6, v7, v6, vcc
	v_add_u32_e32 v46, v43, v31
	v_lshlrev_b32_e32 v6, 1, v6
	ds_write_b16_d16_hi v6, v9
	v_sub_u32_e32 v6, v46, v17
	v_sub_u32_e32 v7, v1, v6
	v_and_b32_e32 v8, 1, v12
	v_add_u32_e32 v7, 8, v7
	v_cmp_eq_u32_e32 vcc, 1, v8
	v_cndmask_b32_e32 v6, v7, v6, vcc
	v_add_u32_e32 v38, v46, v38
	v_lshlrev_b32_e32 v6, 1, v6
	v_lshrrev_b32_e32 v20, 8, v12
	ds_write_b16 v6, v2
	v_sub_u32_e32 v6, v38, v17
	v_sub_u32_e32 v7, v1, v6
	v_and_b32_e32 v8, 1, v20
	v_add_u32_e32 v7, 9, v7
	v_cmp_eq_u32_e32 vcc, 1, v8
	v_cndmask_b32_e32 v6, v7, v6, vcc
	v_add_u32_e32 v39, v38, v39
	v_lshlrev_b32_e32 v6, 1, v6
	ds_write_b16_d16_hi v6, v2
	v_sub_u32_e32 v2, v39, v17
	;; [unrolled: 37-line block ×4, first 2 shown]
	v_sub_u32_e32 v3, v1, v2
	v_and_b32_sdwa v4, v23, v27 dst_sel:DWORD dst_unused:UNUSED_PAD src0_sel:DWORD src1_sel:WORD_1
	v_add_u32_e32 v3, 18, v3
	v_cmp_eq_u32_e32 vcc, 1, v4
	v_cndmask_b32_e32 v2, v3, v2, vcc
	v_lshlrev_b32_e32 v2, 1, v2
	ds_write_b16 v2, v11
	v_sub_u32_e32 v2, v28, v17
	v_add_u32_e32 v2, v34, v2
	v_sub_u32_e32 v1, v1, v2
	v_and_b32_e32 v3, 1, v26
	v_add_u32_e32 v1, 19, v1
	v_cmp_eq_u32_e32 vcc, 1, v3
	v_cndmask_b32_e32 v1, v1, v2, vcc
	v_cmp_eq_u32_e32 vcc, 0, v0
	v_lshlrev_b32_e32 v1, 1, v1
	s_and_b64 s[0:1], vcc, s[22:23]
	ds_write_b16_d16_hi v1, v11
	s_waitcnt lgkmcnt(0)
	s_barrier
	s_and_saveexec_b64 s[2:3], s[0:1]
	s_cbranch_execz .LBB3373_131
; %bb.130:
	v_mov_b32_e32 v0, s19
	v_add_co_u32_e32 v1, vcc, s18, v16
	v_addc_co_u32_e32 v3, vcc, 0, v0, vcc
	v_add_co_u32_e32 v0, vcc, v1, v17
	v_mov_b32_e32 v2, 0
	v_addc_co_u32_e32 v1, vcc, 0, v3, vcc
	global_store_dwordx2 v2, v[0:1], s[20:21]
.LBB3373_131:
	s_endpgm
	.section	.rodata,"a",@progbits
	.p2align	6, 0x0
	.amdhsa_kernel _ZN7rocprim17ROCPRIM_400000_NS6detail17trampoline_kernelINS0_14default_configENS1_25partition_config_selectorILNS1_17partition_subalgoE1EsNS0_10empty_typeEbEEZZNS1_14partition_implILS5_1ELb0ES3_jN6thrust23THRUST_200600_302600_NS6detail15normal_iteratorINSA_10device_ptrIsEEEEPS6_NSA_18transform_iteratorI7is_evenIsESF_NSA_11use_defaultESK_EENS0_5tupleIJNSA_16discard_iteratorISK_EESO_EEENSM_IJSG_SG_EEES6_PlJS6_EEE10hipError_tPvRmT3_T4_T5_T6_T7_T9_mT8_P12ihipStream_tbDpT10_ENKUlT_T0_E_clISt17integral_constantIbLb1EES1A_IbLb0EEEEDaS16_S17_EUlS16_E_NS1_11comp_targetILNS1_3genE4ELNS1_11target_archE910ELNS1_3gpuE8ELNS1_3repE0EEENS1_30default_config_static_selectorELNS0_4arch9wavefront6targetE1EEEvT1_
		.amdhsa_group_segment_fixed_size 10248
		.amdhsa_private_segment_fixed_size 0
		.amdhsa_kernarg_size 144
		.amdhsa_user_sgpr_count 6
		.amdhsa_user_sgpr_private_segment_buffer 1
		.amdhsa_user_sgpr_dispatch_ptr 0
		.amdhsa_user_sgpr_queue_ptr 0
		.amdhsa_user_sgpr_kernarg_segment_ptr 1
		.amdhsa_user_sgpr_dispatch_id 0
		.amdhsa_user_sgpr_flat_scratch_init 0
		.amdhsa_user_sgpr_kernarg_preload_length 0
		.amdhsa_user_sgpr_kernarg_preload_offset 0
		.amdhsa_user_sgpr_private_segment_size 0
		.amdhsa_uses_dynamic_stack 0
		.amdhsa_system_sgpr_private_segment_wavefront_offset 0
		.amdhsa_system_sgpr_workgroup_id_x 1
		.amdhsa_system_sgpr_workgroup_id_y 0
		.amdhsa_system_sgpr_workgroup_id_z 0
		.amdhsa_system_sgpr_workgroup_info 0
		.amdhsa_system_vgpr_workitem_id 0
		.amdhsa_next_free_vgpr 64
		.amdhsa_next_free_sgpr 36
		.amdhsa_accum_offset 64
		.amdhsa_reserve_vcc 1
		.amdhsa_reserve_flat_scratch 0
		.amdhsa_float_round_mode_32 0
		.amdhsa_float_round_mode_16_64 0
		.amdhsa_float_denorm_mode_32 3
		.amdhsa_float_denorm_mode_16_64 3
		.amdhsa_dx10_clamp 1
		.amdhsa_ieee_mode 1
		.amdhsa_fp16_overflow 0
		.amdhsa_tg_split 0
		.amdhsa_exception_fp_ieee_invalid_op 0
		.amdhsa_exception_fp_denorm_src 0
		.amdhsa_exception_fp_ieee_div_zero 0
		.amdhsa_exception_fp_ieee_overflow 0
		.amdhsa_exception_fp_ieee_underflow 0
		.amdhsa_exception_fp_ieee_inexact 0
		.amdhsa_exception_int_div_zero 0
	.end_amdhsa_kernel
	.section	.text._ZN7rocprim17ROCPRIM_400000_NS6detail17trampoline_kernelINS0_14default_configENS1_25partition_config_selectorILNS1_17partition_subalgoE1EsNS0_10empty_typeEbEEZZNS1_14partition_implILS5_1ELb0ES3_jN6thrust23THRUST_200600_302600_NS6detail15normal_iteratorINSA_10device_ptrIsEEEEPS6_NSA_18transform_iteratorI7is_evenIsESF_NSA_11use_defaultESK_EENS0_5tupleIJNSA_16discard_iteratorISK_EESO_EEENSM_IJSG_SG_EEES6_PlJS6_EEE10hipError_tPvRmT3_T4_T5_T6_T7_T9_mT8_P12ihipStream_tbDpT10_ENKUlT_T0_E_clISt17integral_constantIbLb1EES1A_IbLb0EEEEDaS16_S17_EUlS16_E_NS1_11comp_targetILNS1_3genE4ELNS1_11target_archE910ELNS1_3gpuE8ELNS1_3repE0EEENS1_30default_config_static_selectorELNS0_4arch9wavefront6targetE1EEEvT1_,"axG",@progbits,_ZN7rocprim17ROCPRIM_400000_NS6detail17trampoline_kernelINS0_14default_configENS1_25partition_config_selectorILNS1_17partition_subalgoE1EsNS0_10empty_typeEbEEZZNS1_14partition_implILS5_1ELb0ES3_jN6thrust23THRUST_200600_302600_NS6detail15normal_iteratorINSA_10device_ptrIsEEEEPS6_NSA_18transform_iteratorI7is_evenIsESF_NSA_11use_defaultESK_EENS0_5tupleIJNSA_16discard_iteratorISK_EESO_EEENSM_IJSG_SG_EEES6_PlJS6_EEE10hipError_tPvRmT3_T4_T5_T6_T7_T9_mT8_P12ihipStream_tbDpT10_ENKUlT_T0_E_clISt17integral_constantIbLb1EES1A_IbLb0EEEEDaS16_S17_EUlS16_E_NS1_11comp_targetILNS1_3genE4ELNS1_11target_archE910ELNS1_3gpuE8ELNS1_3repE0EEENS1_30default_config_static_selectorELNS0_4arch9wavefront6targetE1EEEvT1_,comdat
.Lfunc_end3373:
	.size	_ZN7rocprim17ROCPRIM_400000_NS6detail17trampoline_kernelINS0_14default_configENS1_25partition_config_selectorILNS1_17partition_subalgoE1EsNS0_10empty_typeEbEEZZNS1_14partition_implILS5_1ELb0ES3_jN6thrust23THRUST_200600_302600_NS6detail15normal_iteratorINSA_10device_ptrIsEEEEPS6_NSA_18transform_iteratorI7is_evenIsESF_NSA_11use_defaultESK_EENS0_5tupleIJNSA_16discard_iteratorISK_EESO_EEENSM_IJSG_SG_EEES6_PlJS6_EEE10hipError_tPvRmT3_T4_T5_T6_T7_T9_mT8_P12ihipStream_tbDpT10_ENKUlT_T0_E_clISt17integral_constantIbLb1EES1A_IbLb0EEEEDaS16_S17_EUlS16_E_NS1_11comp_targetILNS1_3genE4ELNS1_11target_archE910ELNS1_3gpuE8ELNS1_3repE0EEENS1_30default_config_static_selectorELNS0_4arch9wavefront6targetE1EEEvT1_, .Lfunc_end3373-_ZN7rocprim17ROCPRIM_400000_NS6detail17trampoline_kernelINS0_14default_configENS1_25partition_config_selectorILNS1_17partition_subalgoE1EsNS0_10empty_typeEbEEZZNS1_14partition_implILS5_1ELb0ES3_jN6thrust23THRUST_200600_302600_NS6detail15normal_iteratorINSA_10device_ptrIsEEEEPS6_NSA_18transform_iteratorI7is_evenIsESF_NSA_11use_defaultESK_EENS0_5tupleIJNSA_16discard_iteratorISK_EESO_EEENSM_IJSG_SG_EEES6_PlJS6_EEE10hipError_tPvRmT3_T4_T5_T6_T7_T9_mT8_P12ihipStream_tbDpT10_ENKUlT_T0_E_clISt17integral_constantIbLb1EES1A_IbLb0EEEEDaS16_S17_EUlS16_E_NS1_11comp_targetILNS1_3genE4ELNS1_11target_archE910ELNS1_3gpuE8ELNS1_3repE0EEENS1_30default_config_static_selectorELNS0_4arch9wavefront6targetE1EEEvT1_
                                        ; -- End function
	.section	.AMDGPU.csdata,"",@progbits
; Kernel info:
; codeLenInByte = 6728
; NumSgprs: 40
; NumVgprs: 64
; NumAgprs: 0
; TotalNumVgprs: 64
; ScratchSize: 0
; MemoryBound: 0
; FloatMode: 240
; IeeeMode: 1
; LDSByteSize: 10248 bytes/workgroup (compile time only)
; SGPRBlocks: 4
; VGPRBlocks: 7
; NumSGPRsForWavesPerEU: 40
; NumVGPRsForWavesPerEU: 64
; AccumOffset: 64
; Occupancy: 6
; WaveLimiterHint : 1
; COMPUTE_PGM_RSRC2:SCRATCH_EN: 0
; COMPUTE_PGM_RSRC2:USER_SGPR: 6
; COMPUTE_PGM_RSRC2:TRAP_HANDLER: 0
; COMPUTE_PGM_RSRC2:TGID_X_EN: 1
; COMPUTE_PGM_RSRC2:TGID_Y_EN: 0
; COMPUTE_PGM_RSRC2:TGID_Z_EN: 0
; COMPUTE_PGM_RSRC2:TIDIG_COMP_CNT: 0
; COMPUTE_PGM_RSRC3_GFX90A:ACCUM_OFFSET: 15
; COMPUTE_PGM_RSRC3_GFX90A:TG_SPLIT: 0
	.section	.text._ZN7rocprim17ROCPRIM_400000_NS6detail17trampoline_kernelINS0_14default_configENS1_25partition_config_selectorILNS1_17partition_subalgoE1EsNS0_10empty_typeEbEEZZNS1_14partition_implILS5_1ELb0ES3_jN6thrust23THRUST_200600_302600_NS6detail15normal_iteratorINSA_10device_ptrIsEEEEPS6_NSA_18transform_iteratorI7is_evenIsESF_NSA_11use_defaultESK_EENS0_5tupleIJNSA_16discard_iteratorISK_EESO_EEENSM_IJSG_SG_EEES6_PlJS6_EEE10hipError_tPvRmT3_T4_T5_T6_T7_T9_mT8_P12ihipStream_tbDpT10_ENKUlT_T0_E_clISt17integral_constantIbLb1EES1A_IbLb0EEEEDaS16_S17_EUlS16_E_NS1_11comp_targetILNS1_3genE3ELNS1_11target_archE908ELNS1_3gpuE7ELNS1_3repE0EEENS1_30default_config_static_selectorELNS0_4arch9wavefront6targetE1EEEvT1_,"axG",@progbits,_ZN7rocprim17ROCPRIM_400000_NS6detail17trampoline_kernelINS0_14default_configENS1_25partition_config_selectorILNS1_17partition_subalgoE1EsNS0_10empty_typeEbEEZZNS1_14partition_implILS5_1ELb0ES3_jN6thrust23THRUST_200600_302600_NS6detail15normal_iteratorINSA_10device_ptrIsEEEEPS6_NSA_18transform_iteratorI7is_evenIsESF_NSA_11use_defaultESK_EENS0_5tupleIJNSA_16discard_iteratorISK_EESO_EEENSM_IJSG_SG_EEES6_PlJS6_EEE10hipError_tPvRmT3_T4_T5_T6_T7_T9_mT8_P12ihipStream_tbDpT10_ENKUlT_T0_E_clISt17integral_constantIbLb1EES1A_IbLb0EEEEDaS16_S17_EUlS16_E_NS1_11comp_targetILNS1_3genE3ELNS1_11target_archE908ELNS1_3gpuE7ELNS1_3repE0EEENS1_30default_config_static_selectorELNS0_4arch9wavefront6targetE1EEEvT1_,comdat
	.protected	_ZN7rocprim17ROCPRIM_400000_NS6detail17trampoline_kernelINS0_14default_configENS1_25partition_config_selectorILNS1_17partition_subalgoE1EsNS0_10empty_typeEbEEZZNS1_14partition_implILS5_1ELb0ES3_jN6thrust23THRUST_200600_302600_NS6detail15normal_iteratorINSA_10device_ptrIsEEEEPS6_NSA_18transform_iteratorI7is_evenIsESF_NSA_11use_defaultESK_EENS0_5tupleIJNSA_16discard_iteratorISK_EESO_EEENSM_IJSG_SG_EEES6_PlJS6_EEE10hipError_tPvRmT3_T4_T5_T6_T7_T9_mT8_P12ihipStream_tbDpT10_ENKUlT_T0_E_clISt17integral_constantIbLb1EES1A_IbLb0EEEEDaS16_S17_EUlS16_E_NS1_11comp_targetILNS1_3genE3ELNS1_11target_archE908ELNS1_3gpuE7ELNS1_3repE0EEENS1_30default_config_static_selectorELNS0_4arch9wavefront6targetE1EEEvT1_ ; -- Begin function _ZN7rocprim17ROCPRIM_400000_NS6detail17trampoline_kernelINS0_14default_configENS1_25partition_config_selectorILNS1_17partition_subalgoE1EsNS0_10empty_typeEbEEZZNS1_14partition_implILS5_1ELb0ES3_jN6thrust23THRUST_200600_302600_NS6detail15normal_iteratorINSA_10device_ptrIsEEEEPS6_NSA_18transform_iteratorI7is_evenIsESF_NSA_11use_defaultESK_EENS0_5tupleIJNSA_16discard_iteratorISK_EESO_EEENSM_IJSG_SG_EEES6_PlJS6_EEE10hipError_tPvRmT3_T4_T5_T6_T7_T9_mT8_P12ihipStream_tbDpT10_ENKUlT_T0_E_clISt17integral_constantIbLb1EES1A_IbLb0EEEEDaS16_S17_EUlS16_E_NS1_11comp_targetILNS1_3genE3ELNS1_11target_archE908ELNS1_3gpuE7ELNS1_3repE0EEENS1_30default_config_static_selectorELNS0_4arch9wavefront6targetE1EEEvT1_
	.globl	_ZN7rocprim17ROCPRIM_400000_NS6detail17trampoline_kernelINS0_14default_configENS1_25partition_config_selectorILNS1_17partition_subalgoE1EsNS0_10empty_typeEbEEZZNS1_14partition_implILS5_1ELb0ES3_jN6thrust23THRUST_200600_302600_NS6detail15normal_iteratorINSA_10device_ptrIsEEEEPS6_NSA_18transform_iteratorI7is_evenIsESF_NSA_11use_defaultESK_EENS0_5tupleIJNSA_16discard_iteratorISK_EESO_EEENSM_IJSG_SG_EEES6_PlJS6_EEE10hipError_tPvRmT3_T4_T5_T6_T7_T9_mT8_P12ihipStream_tbDpT10_ENKUlT_T0_E_clISt17integral_constantIbLb1EES1A_IbLb0EEEEDaS16_S17_EUlS16_E_NS1_11comp_targetILNS1_3genE3ELNS1_11target_archE908ELNS1_3gpuE7ELNS1_3repE0EEENS1_30default_config_static_selectorELNS0_4arch9wavefront6targetE1EEEvT1_
	.p2align	8
	.type	_ZN7rocprim17ROCPRIM_400000_NS6detail17trampoline_kernelINS0_14default_configENS1_25partition_config_selectorILNS1_17partition_subalgoE1EsNS0_10empty_typeEbEEZZNS1_14partition_implILS5_1ELb0ES3_jN6thrust23THRUST_200600_302600_NS6detail15normal_iteratorINSA_10device_ptrIsEEEEPS6_NSA_18transform_iteratorI7is_evenIsESF_NSA_11use_defaultESK_EENS0_5tupleIJNSA_16discard_iteratorISK_EESO_EEENSM_IJSG_SG_EEES6_PlJS6_EEE10hipError_tPvRmT3_T4_T5_T6_T7_T9_mT8_P12ihipStream_tbDpT10_ENKUlT_T0_E_clISt17integral_constantIbLb1EES1A_IbLb0EEEEDaS16_S17_EUlS16_E_NS1_11comp_targetILNS1_3genE3ELNS1_11target_archE908ELNS1_3gpuE7ELNS1_3repE0EEENS1_30default_config_static_selectorELNS0_4arch9wavefront6targetE1EEEvT1_,@function
_ZN7rocprim17ROCPRIM_400000_NS6detail17trampoline_kernelINS0_14default_configENS1_25partition_config_selectorILNS1_17partition_subalgoE1EsNS0_10empty_typeEbEEZZNS1_14partition_implILS5_1ELb0ES3_jN6thrust23THRUST_200600_302600_NS6detail15normal_iteratorINSA_10device_ptrIsEEEEPS6_NSA_18transform_iteratorI7is_evenIsESF_NSA_11use_defaultESK_EENS0_5tupleIJNSA_16discard_iteratorISK_EESO_EEENSM_IJSG_SG_EEES6_PlJS6_EEE10hipError_tPvRmT3_T4_T5_T6_T7_T9_mT8_P12ihipStream_tbDpT10_ENKUlT_T0_E_clISt17integral_constantIbLb1EES1A_IbLb0EEEEDaS16_S17_EUlS16_E_NS1_11comp_targetILNS1_3genE3ELNS1_11target_archE908ELNS1_3gpuE7ELNS1_3repE0EEENS1_30default_config_static_selectorELNS0_4arch9wavefront6targetE1EEEvT1_: ; @_ZN7rocprim17ROCPRIM_400000_NS6detail17trampoline_kernelINS0_14default_configENS1_25partition_config_selectorILNS1_17partition_subalgoE1EsNS0_10empty_typeEbEEZZNS1_14partition_implILS5_1ELb0ES3_jN6thrust23THRUST_200600_302600_NS6detail15normal_iteratorINSA_10device_ptrIsEEEEPS6_NSA_18transform_iteratorI7is_evenIsESF_NSA_11use_defaultESK_EENS0_5tupleIJNSA_16discard_iteratorISK_EESO_EEENSM_IJSG_SG_EEES6_PlJS6_EEE10hipError_tPvRmT3_T4_T5_T6_T7_T9_mT8_P12ihipStream_tbDpT10_ENKUlT_T0_E_clISt17integral_constantIbLb1EES1A_IbLb0EEEEDaS16_S17_EUlS16_E_NS1_11comp_targetILNS1_3genE3ELNS1_11target_archE908ELNS1_3gpuE7ELNS1_3repE0EEENS1_30default_config_static_selectorELNS0_4arch9wavefront6targetE1EEEvT1_
; %bb.0:
	.section	.rodata,"a",@progbits
	.p2align	6, 0x0
	.amdhsa_kernel _ZN7rocprim17ROCPRIM_400000_NS6detail17trampoline_kernelINS0_14default_configENS1_25partition_config_selectorILNS1_17partition_subalgoE1EsNS0_10empty_typeEbEEZZNS1_14partition_implILS5_1ELb0ES3_jN6thrust23THRUST_200600_302600_NS6detail15normal_iteratorINSA_10device_ptrIsEEEEPS6_NSA_18transform_iteratorI7is_evenIsESF_NSA_11use_defaultESK_EENS0_5tupleIJNSA_16discard_iteratorISK_EESO_EEENSM_IJSG_SG_EEES6_PlJS6_EEE10hipError_tPvRmT3_T4_T5_T6_T7_T9_mT8_P12ihipStream_tbDpT10_ENKUlT_T0_E_clISt17integral_constantIbLb1EES1A_IbLb0EEEEDaS16_S17_EUlS16_E_NS1_11comp_targetILNS1_3genE3ELNS1_11target_archE908ELNS1_3gpuE7ELNS1_3repE0EEENS1_30default_config_static_selectorELNS0_4arch9wavefront6targetE1EEEvT1_
		.amdhsa_group_segment_fixed_size 0
		.amdhsa_private_segment_fixed_size 0
		.amdhsa_kernarg_size 144
		.amdhsa_user_sgpr_count 6
		.amdhsa_user_sgpr_private_segment_buffer 1
		.amdhsa_user_sgpr_dispatch_ptr 0
		.amdhsa_user_sgpr_queue_ptr 0
		.amdhsa_user_sgpr_kernarg_segment_ptr 1
		.amdhsa_user_sgpr_dispatch_id 0
		.amdhsa_user_sgpr_flat_scratch_init 0
		.amdhsa_user_sgpr_kernarg_preload_length 0
		.amdhsa_user_sgpr_kernarg_preload_offset 0
		.amdhsa_user_sgpr_private_segment_size 0
		.amdhsa_uses_dynamic_stack 0
		.amdhsa_system_sgpr_private_segment_wavefront_offset 0
		.amdhsa_system_sgpr_workgroup_id_x 1
		.amdhsa_system_sgpr_workgroup_id_y 0
		.amdhsa_system_sgpr_workgroup_id_z 0
		.amdhsa_system_sgpr_workgroup_info 0
		.amdhsa_system_vgpr_workitem_id 0
		.amdhsa_next_free_vgpr 1
		.amdhsa_next_free_sgpr 0
		.amdhsa_accum_offset 4
		.amdhsa_reserve_vcc 0
		.amdhsa_reserve_flat_scratch 0
		.amdhsa_float_round_mode_32 0
		.amdhsa_float_round_mode_16_64 0
		.amdhsa_float_denorm_mode_32 3
		.amdhsa_float_denorm_mode_16_64 3
		.amdhsa_dx10_clamp 1
		.amdhsa_ieee_mode 1
		.amdhsa_fp16_overflow 0
		.amdhsa_tg_split 0
		.amdhsa_exception_fp_ieee_invalid_op 0
		.amdhsa_exception_fp_denorm_src 0
		.amdhsa_exception_fp_ieee_div_zero 0
		.amdhsa_exception_fp_ieee_overflow 0
		.amdhsa_exception_fp_ieee_underflow 0
		.amdhsa_exception_fp_ieee_inexact 0
		.amdhsa_exception_int_div_zero 0
	.end_amdhsa_kernel
	.section	.text._ZN7rocprim17ROCPRIM_400000_NS6detail17trampoline_kernelINS0_14default_configENS1_25partition_config_selectorILNS1_17partition_subalgoE1EsNS0_10empty_typeEbEEZZNS1_14partition_implILS5_1ELb0ES3_jN6thrust23THRUST_200600_302600_NS6detail15normal_iteratorINSA_10device_ptrIsEEEEPS6_NSA_18transform_iteratorI7is_evenIsESF_NSA_11use_defaultESK_EENS0_5tupleIJNSA_16discard_iteratorISK_EESO_EEENSM_IJSG_SG_EEES6_PlJS6_EEE10hipError_tPvRmT3_T4_T5_T6_T7_T9_mT8_P12ihipStream_tbDpT10_ENKUlT_T0_E_clISt17integral_constantIbLb1EES1A_IbLb0EEEEDaS16_S17_EUlS16_E_NS1_11comp_targetILNS1_3genE3ELNS1_11target_archE908ELNS1_3gpuE7ELNS1_3repE0EEENS1_30default_config_static_selectorELNS0_4arch9wavefront6targetE1EEEvT1_,"axG",@progbits,_ZN7rocprim17ROCPRIM_400000_NS6detail17trampoline_kernelINS0_14default_configENS1_25partition_config_selectorILNS1_17partition_subalgoE1EsNS0_10empty_typeEbEEZZNS1_14partition_implILS5_1ELb0ES3_jN6thrust23THRUST_200600_302600_NS6detail15normal_iteratorINSA_10device_ptrIsEEEEPS6_NSA_18transform_iteratorI7is_evenIsESF_NSA_11use_defaultESK_EENS0_5tupleIJNSA_16discard_iteratorISK_EESO_EEENSM_IJSG_SG_EEES6_PlJS6_EEE10hipError_tPvRmT3_T4_T5_T6_T7_T9_mT8_P12ihipStream_tbDpT10_ENKUlT_T0_E_clISt17integral_constantIbLb1EES1A_IbLb0EEEEDaS16_S17_EUlS16_E_NS1_11comp_targetILNS1_3genE3ELNS1_11target_archE908ELNS1_3gpuE7ELNS1_3repE0EEENS1_30default_config_static_selectorELNS0_4arch9wavefront6targetE1EEEvT1_,comdat
.Lfunc_end3374:
	.size	_ZN7rocprim17ROCPRIM_400000_NS6detail17trampoline_kernelINS0_14default_configENS1_25partition_config_selectorILNS1_17partition_subalgoE1EsNS0_10empty_typeEbEEZZNS1_14partition_implILS5_1ELb0ES3_jN6thrust23THRUST_200600_302600_NS6detail15normal_iteratorINSA_10device_ptrIsEEEEPS6_NSA_18transform_iteratorI7is_evenIsESF_NSA_11use_defaultESK_EENS0_5tupleIJNSA_16discard_iteratorISK_EESO_EEENSM_IJSG_SG_EEES6_PlJS6_EEE10hipError_tPvRmT3_T4_T5_T6_T7_T9_mT8_P12ihipStream_tbDpT10_ENKUlT_T0_E_clISt17integral_constantIbLb1EES1A_IbLb0EEEEDaS16_S17_EUlS16_E_NS1_11comp_targetILNS1_3genE3ELNS1_11target_archE908ELNS1_3gpuE7ELNS1_3repE0EEENS1_30default_config_static_selectorELNS0_4arch9wavefront6targetE1EEEvT1_, .Lfunc_end3374-_ZN7rocprim17ROCPRIM_400000_NS6detail17trampoline_kernelINS0_14default_configENS1_25partition_config_selectorILNS1_17partition_subalgoE1EsNS0_10empty_typeEbEEZZNS1_14partition_implILS5_1ELb0ES3_jN6thrust23THRUST_200600_302600_NS6detail15normal_iteratorINSA_10device_ptrIsEEEEPS6_NSA_18transform_iteratorI7is_evenIsESF_NSA_11use_defaultESK_EENS0_5tupleIJNSA_16discard_iteratorISK_EESO_EEENSM_IJSG_SG_EEES6_PlJS6_EEE10hipError_tPvRmT3_T4_T5_T6_T7_T9_mT8_P12ihipStream_tbDpT10_ENKUlT_T0_E_clISt17integral_constantIbLb1EES1A_IbLb0EEEEDaS16_S17_EUlS16_E_NS1_11comp_targetILNS1_3genE3ELNS1_11target_archE908ELNS1_3gpuE7ELNS1_3repE0EEENS1_30default_config_static_selectorELNS0_4arch9wavefront6targetE1EEEvT1_
                                        ; -- End function
	.section	.AMDGPU.csdata,"",@progbits
; Kernel info:
; codeLenInByte = 0
; NumSgprs: 4
; NumVgprs: 0
; NumAgprs: 0
; TotalNumVgprs: 0
; ScratchSize: 0
; MemoryBound: 0
; FloatMode: 240
; IeeeMode: 1
; LDSByteSize: 0 bytes/workgroup (compile time only)
; SGPRBlocks: 0
; VGPRBlocks: 0
; NumSGPRsForWavesPerEU: 4
; NumVGPRsForWavesPerEU: 1
; AccumOffset: 4
; Occupancy: 8
; WaveLimiterHint : 0
; COMPUTE_PGM_RSRC2:SCRATCH_EN: 0
; COMPUTE_PGM_RSRC2:USER_SGPR: 6
; COMPUTE_PGM_RSRC2:TRAP_HANDLER: 0
; COMPUTE_PGM_RSRC2:TGID_X_EN: 1
; COMPUTE_PGM_RSRC2:TGID_Y_EN: 0
; COMPUTE_PGM_RSRC2:TGID_Z_EN: 0
; COMPUTE_PGM_RSRC2:TIDIG_COMP_CNT: 0
; COMPUTE_PGM_RSRC3_GFX90A:ACCUM_OFFSET: 0
; COMPUTE_PGM_RSRC3_GFX90A:TG_SPLIT: 0
	.section	.text._ZN7rocprim17ROCPRIM_400000_NS6detail17trampoline_kernelINS0_14default_configENS1_25partition_config_selectorILNS1_17partition_subalgoE1EsNS0_10empty_typeEbEEZZNS1_14partition_implILS5_1ELb0ES3_jN6thrust23THRUST_200600_302600_NS6detail15normal_iteratorINSA_10device_ptrIsEEEEPS6_NSA_18transform_iteratorI7is_evenIsESF_NSA_11use_defaultESK_EENS0_5tupleIJNSA_16discard_iteratorISK_EESO_EEENSM_IJSG_SG_EEES6_PlJS6_EEE10hipError_tPvRmT3_T4_T5_T6_T7_T9_mT8_P12ihipStream_tbDpT10_ENKUlT_T0_E_clISt17integral_constantIbLb1EES1A_IbLb0EEEEDaS16_S17_EUlS16_E_NS1_11comp_targetILNS1_3genE2ELNS1_11target_archE906ELNS1_3gpuE6ELNS1_3repE0EEENS1_30default_config_static_selectorELNS0_4arch9wavefront6targetE1EEEvT1_,"axG",@progbits,_ZN7rocprim17ROCPRIM_400000_NS6detail17trampoline_kernelINS0_14default_configENS1_25partition_config_selectorILNS1_17partition_subalgoE1EsNS0_10empty_typeEbEEZZNS1_14partition_implILS5_1ELb0ES3_jN6thrust23THRUST_200600_302600_NS6detail15normal_iteratorINSA_10device_ptrIsEEEEPS6_NSA_18transform_iteratorI7is_evenIsESF_NSA_11use_defaultESK_EENS0_5tupleIJNSA_16discard_iteratorISK_EESO_EEENSM_IJSG_SG_EEES6_PlJS6_EEE10hipError_tPvRmT3_T4_T5_T6_T7_T9_mT8_P12ihipStream_tbDpT10_ENKUlT_T0_E_clISt17integral_constantIbLb1EES1A_IbLb0EEEEDaS16_S17_EUlS16_E_NS1_11comp_targetILNS1_3genE2ELNS1_11target_archE906ELNS1_3gpuE6ELNS1_3repE0EEENS1_30default_config_static_selectorELNS0_4arch9wavefront6targetE1EEEvT1_,comdat
	.protected	_ZN7rocprim17ROCPRIM_400000_NS6detail17trampoline_kernelINS0_14default_configENS1_25partition_config_selectorILNS1_17partition_subalgoE1EsNS0_10empty_typeEbEEZZNS1_14partition_implILS5_1ELb0ES3_jN6thrust23THRUST_200600_302600_NS6detail15normal_iteratorINSA_10device_ptrIsEEEEPS6_NSA_18transform_iteratorI7is_evenIsESF_NSA_11use_defaultESK_EENS0_5tupleIJNSA_16discard_iteratorISK_EESO_EEENSM_IJSG_SG_EEES6_PlJS6_EEE10hipError_tPvRmT3_T4_T5_T6_T7_T9_mT8_P12ihipStream_tbDpT10_ENKUlT_T0_E_clISt17integral_constantIbLb1EES1A_IbLb0EEEEDaS16_S17_EUlS16_E_NS1_11comp_targetILNS1_3genE2ELNS1_11target_archE906ELNS1_3gpuE6ELNS1_3repE0EEENS1_30default_config_static_selectorELNS0_4arch9wavefront6targetE1EEEvT1_ ; -- Begin function _ZN7rocprim17ROCPRIM_400000_NS6detail17trampoline_kernelINS0_14default_configENS1_25partition_config_selectorILNS1_17partition_subalgoE1EsNS0_10empty_typeEbEEZZNS1_14partition_implILS5_1ELb0ES3_jN6thrust23THRUST_200600_302600_NS6detail15normal_iteratorINSA_10device_ptrIsEEEEPS6_NSA_18transform_iteratorI7is_evenIsESF_NSA_11use_defaultESK_EENS0_5tupleIJNSA_16discard_iteratorISK_EESO_EEENSM_IJSG_SG_EEES6_PlJS6_EEE10hipError_tPvRmT3_T4_T5_T6_T7_T9_mT8_P12ihipStream_tbDpT10_ENKUlT_T0_E_clISt17integral_constantIbLb1EES1A_IbLb0EEEEDaS16_S17_EUlS16_E_NS1_11comp_targetILNS1_3genE2ELNS1_11target_archE906ELNS1_3gpuE6ELNS1_3repE0EEENS1_30default_config_static_selectorELNS0_4arch9wavefront6targetE1EEEvT1_
	.globl	_ZN7rocprim17ROCPRIM_400000_NS6detail17trampoline_kernelINS0_14default_configENS1_25partition_config_selectorILNS1_17partition_subalgoE1EsNS0_10empty_typeEbEEZZNS1_14partition_implILS5_1ELb0ES3_jN6thrust23THRUST_200600_302600_NS6detail15normal_iteratorINSA_10device_ptrIsEEEEPS6_NSA_18transform_iteratorI7is_evenIsESF_NSA_11use_defaultESK_EENS0_5tupleIJNSA_16discard_iteratorISK_EESO_EEENSM_IJSG_SG_EEES6_PlJS6_EEE10hipError_tPvRmT3_T4_T5_T6_T7_T9_mT8_P12ihipStream_tbDpT10_ENKUlT_T0_E_clISt17integral_constantIbLb1EES1A_IbLb0EEEEDaS16_S17_EUlS16_E_NS1_11comp_targetILNS1_3genE2ELNS1_11target_archE906ELNS1_3gpuE6ELNS1_3repE0EEENS1_30default_config_static_selectorELNS0_4arch9wavefront6targetE1EEEvT1_
	.p2align	8
	.type	_ZN7rocprim17ROCPRIM_400000_NS6detail17trampoline_kernelINS0_14default_configENS1_25partition_config_selectorILNS1_17partition_subalgoE1EsNS0_10empty_typeEbEEZZNS1_14partition_implILS5_1ELb0ES3_jN6thrust23THRUST_200600_302600_NS6detail15normal_iteratorINSA_10device_ptrIsEEEEPS6_NSA_18transform_iteratorI7is_evenIsESF_NSA_11use_defaultESK_EENS0_5tupleIJNSA_16discard_iteratorISK_EESO_EEENSM_IJSG_SG_EEES6_PlJS6_EEE10hipError_tPvRmT3_T4_T5_T6_T7_T9_mT8_P12ihipStream_tbDpT10_ENKUlT_T0_E_clISt17integral_constantIbLb1EES1A_IbLb0EEEEDaS16_S17_EUlS16_E_NS1_11comp_targetILNS1_3genE2ELNS1_11target_archE906ELNS1_3gpuE6ELNS1_3repE0EEENS1_30default_config_static_selectorELNS0_4arch9wavefront6targetE1EEEvT1_,@function
_ZN7rocprim17ROCPRIM_400000_NS6detail17trampoline_kernelINS0_14default_configENS1_25partition_config_selectorILNS1_17partition_subalgoE1EsNS0_10empty_typeEbEEZZNS1_14partition_implILS5_1ELb0ES3_jN6thrust23THRUST_200600_302600_NS6detail15normal_iteratorINSA_10device_ptrIsEEEEPS6_NSA_18transform_iteratorI7is_evenIsESF_NSA_11use_defaultESK_EENS0_5tupleIJNSA_16discard_iteratorISK_EESO_EEENSM_IJSG_SG_EEES6_PlJS6_EEE10hipError_tPvRmT3_T4_T5_T6_T7_T9_mT8_P12ihipStream_tbDpT10_ENKUlT_T0_E_clISt17integral_constantIbLb1EES1A_IbLb0EEEEDaS16_S17_EUlS16_E_NS1_11comp_targetILNS1_3genE2ELNS1_11target_archE906ELNS1_3gpuE6ELNS1_3repE0EEENS1_30default_config_static_selectorELNS0_4arch9wavefront6targetE1EEEvT1_: ; @_ZN7rocprim17ROCPRIM_400000_NS6detail17trampoline_kernelINS0_14default_configENS1_25partition_config_selectorILNS1_17partition_subalgoE1EsNS0_10empty_typeEbEEZZNS1_14partition_implILS5_1ELb0ES3_jN6thrust23THRUST_200600_302600_NS6detail15normal_iteratorINSA_10device_ptrIsEEEEPS6_NSA_18transform_iteratorI7is_evenIsESF_NSA_11use_defaultESK_EENS0_5tupleIJNSA_16discard_iteratorISK_EESO_EEENSM_IJSG_SG_EEES6_PlJS6_EEE10hipError_tPvRmT3_T4_T5_T6_T7_T9_mT8_P12ihipStream_tbDpT10_ENKUlT_T0_E_clISt17integral_constantIbLb1EES1A_IbLb0EEEEDaS16_S17_EUlS16_E_NS1_11comp_targetILNS1_3genE2ELNS1_11target_archE906ELNS1_3gpuE6ELNS1_3repE0EEENS1_30default_config_static_selectorELNS0_4arch9wavefront6targetE1EEEvT1_
; %bb.0:
	.section	.rodata,"a",@progbits
	.p2align	6, 0x0
	.amdhsa_kernel _ZN7rocprim17ROCPRIM_400000_NS6detail17trampoline_kernelINS0_14default_configENS1_25partition_config_selectorILNS1_17partition_subalgoE1EsNS0_10empty_typeEbEEZZNS1_14partition_implILS5_1ELb0ES3_jN6thrust23THRUST_200600_302600_NS6detail15normal_iteratorINSA_10device_ptrIsEEEEPS6_NSA_18transform_iteratorI7is_evenIsESF_NSA_11use_defaultESK_EENS0_5tupleIJNSA_16discard_iteratorISK_EESO_EEENSM_IJSG_SG_EEES6_PlJS6_EEE10hipError_tPvRmT3_T4_T5_T6_T7_T9_mT8_P12ihipStream_tbDpT10_ENKUlT_T0_E_clISt17integral_constantIbLb1EES1A_IbLb0EEEEDaS16_S17_EUlS16_E_NS1_11comp_targetILNS1_3genE2ELNS1_11target_archE906ELNS1_3gpuE6ELNS1_3repE0EEENS1_30default_config_static_selectorELNS0_4arch9wavefront6targetE1EEEvT1_
		.amdhsa_group_segment_fixed_size 0
		.amdhsa_private_segment_fixed_size 0
		.amdhsa_kernarg_size 144
		.amdhsa_user_sgpr_count 6
		.amdhsa_user_sgpr_private_segment_buffer 1
		.amdhsa_user_sgpr_dispatch_ptr 0
		.amdhsa_user_sgpr_queue_ptr 0
		.amdhsa_user_sgpr_kernarg_segment_ptr 1
		.amdhsa_user_sgpr_dispatch_id 0
		.amdhsa_user_sgpr_flat_scratch_init 0
		.amdhsa_user_sgpr_kernarg_preload_length 0
		.amdhsa_user_sgpr_kernarg_preload_offset 0
		.amdhsa_user_sgpr_private_segment_size 0
		.amdhsa_uses_dynamic_stack 0
		.amdhsa_system_sgpr_private_segment_wavefront_offset 0
		.amdhsa_system_sgpr_workgroup_id_x 1
		.amdhsa_system_sgpr_workgroup_id_y 0
		.amdhsa_system_sgpr_workgroup_id_z 0
		.amdhsa_system_sgpr_workgroup_info 0
		.amdhsa_system_vgpr_workitem_id 0
		.amdhsa_next_free_vgpr 1
		.amdhsa_next_free_sgpr 0
		.amdhsa_accum_offset 4
		.amdhsa_reserve_vcc 0
		.amdhsa_reserve_flat_scratch 0
		.amdhsa_float_round_mode_32 0
		.amdhsa_float_round_mode_16_64 0
		.amdhsa_float_denorm_mode_32 3
		.amdhsa_float_denorm_mode_16_64 3
		.amdhsa_dx10_clamp 1
		.amdhsa_ieee_mode 1
		.amdhsa_fp16_overflow 0
		.amdhsa_tg_split 0
		.amdhsa_exception_fp_ieee_invalid_op 0
		.amdhsa_exception_fp_denorm_src 0
		.amdhsa_exception_fp_ieee_div_zero 0
		.amdhsa_exception_fp_ieee_overflow 0
		.amdhsa_exception_fp_ieee_underflow 0
		.amdhsa_exception_fp_ieee_inexact 0
		.amdhsa_exception_int_div_zero 0
	.end_amdhsa_kernel
	.section	.text._ZN7rocprim17ROCPRIM_400000_NS6detail17trampoline_kernelINS0_14default_configENS1_25partition_config_selectorILNS1_17partition_subalgoE1EsNS0_10empty_typeEbEEZZNS1_14partition_implILS5_1ELb0ES3_jN6thrust23THRUST_200600_302600_NS6detail15normal_iteratorINSA_10device_ptrIsEEEEPS6_NSA_18transform_iteratorI7is_evenIsESF_NSA_11use_defaultESK_EENS0_5tupleIJNSA_16discard_iteratorISK_EESO_EEENSM_IJSG_SG_EEES6_PlJS6_EEE10hipError_tPvRmT3_T4_T5_T6_T7_T9_mT8_P12ihipStream_tbDpT10_ENKUlT_T0_E_clISt17integral_constantIbLb1EES1A_IbLb0EEEEDaS16_S17_EUlS16_E_NS1_11comp_targetILNS1_3genE2ELNS1_11target_archE906ELNS1_3gpuE6ELNS1_3repE0EEENS1_30default_config_static_selectorELNS0_4arch9wavefront6targetE1EEEvT1_,"axG",@progbits,_ZN7rocprim17ROCPRIM_400000_NS6detail17trampoline_kernelINS0_14default_configENS1_25partition_config_selectorILNS1_17partition_subalgoE1EsNS0_10empty_typeEbEEZZNS1_14partition_implILS5_1ELb0ES3_jN6thrust23THRUST_200600_302600_NS6detail15normal_iteratorINSA_10device_ptrIsEEEEPS6_NSA_18transform_iteratorI7is_evenIsESF_NSA_11use_defaultESK_EENS0_5tupleIJNSA_16discard_iteratorISK_EESO_EEENSM_IJSG_SG_EEES6_PlJS6_EEE10hipError_tPvRmT3_T4_T5_T6_T7_T9_mT8_P12ihipStream_tbDpT10_ENKUlT_T0_E_clISt17integral_constantIbLb1EES1A_IbLb0EEEEDaS16_S17_EUlS16_E_NS1_11comp_targetILNS1_3genE2ELNS1_11target_archE906ELNS1_3gpuE6ELNS1_3repE0EEENS1_30default_config_static_selectorELNS0_4arch9wavefront6targetE1EEEvT1_,comdat
.Lfunc_end3375:
	.size	_ZN7rocprim17ROCPRIM_400000_NS6detail17trampoline_kernelINS0_14default_configENS1_25partition_config_selectorILNS1_17partition_subalgoE1EsNS0_10empty_typeEbEEZZNS1_14partition_implILS5_1ELb0ES3_jN6thrust23THRUST_200600_302600_NS6detail15normal_iteratorINSA_10device_ptrIsEEEEPS6_NSA_18transform_iteratorI7is_evenIsESF_NSA_11use_defaultESK_EENS0_5tupleIJNSA_16discard_iteratorISK_EESO_EEENSM_IJSG_SG_EEES6_PlJS6_EEE10hipError_tPvRmT3_T4_T5_T6_T7_T9_mT8_P12ihipStream_tbDpT10_ENKUlT_T0_E_clISt17integral_constantIbLb1EES1A_IbLb0EEEEDaS16_S17_EUlS16_E_NS1_11comp_targetILNS1_3genE2ELNS1_11target_archE906ELNS1_3gpuE6ELNS1_3repE0EEENS1_30default_config_static_selectorELNS0_4arch9wavefront6targetE1EEEvT1_, .Lfunc_end3375-_ZN7rocprim17ROCPRIM_400000_NS6detail17trampoline_kernelINS0_14default_configENS1_25partition_config_selectorILNS1_17partition_subalgoE1EsNS0_10empty_typeEbEEZZNS1_14partition_implILS5_1ELb0ES3_jN6thrust23THRUST_200600_302600_NS6detail15normal_iteratorINSA_10device_ptrIsEEEEPS6_NSA_18transform_iteratorI7is_evenIsESF_NSA_11use_defaultESK_EENS0_5tupleIJNSA_16discard_iteratorISK_EESO_EEENSM_IJSG_SG_EEES6_PlJS6_EEE10hipError_tPvRmT3_T4_T5_T6_T7_T9_mT8_P12ihipStream_tbDpT10_ENKUlT_T0_E_clISt17integral_constantIbLb1EES1A_IbLb0EEEEDaS16_S17_EUlS16_E_NS1_11comp_targetILNS1_3genE2ELNS1_11target_archE906ELNS1_3gpuE6ELNS1_3repE0EEENS1_30default_config_static_selectorELNS0_4arch9wavefront6targetE1EEEvT1_
                                        ; -- End function
	.section	.AMDGPU.csdata,"",@progbits
; Kernel info:
; codeLenInByte = 0
; NumSgprs: 4
; NumVgprs: 0
; NumAgprs: 0
; TotalNumVgprs: 0
; ScratchSize: 0
; MemoryBound: 0
; FloatMode: 240
; IeeeMode: 1
; LDSByteSize: 0 bytes/workgroup (compile time only)
; SGPRBlocks: 0
; VGPRBlocks: 0
; NumSGPRsForWavesPerEU: 4
; NumVGPRsForWavesPerEU: 1
; AccumOffset: 4
; Occupancy: 8
; WaveLimiterHint : 0
; COMPUTE_PGM_RSRC2:SCRATCH_EN: 0
; COMPUTE_PGM_RSRC2:USER_SGPR: 6
; COMPUTE_PGM_RSRC2:TRAP_HANDLER: 0
; COMPUTE_PGM_RSRC2:TGID_X_EN: 1
; COMPUTE_PGM_RSRC2:TGID_Y_EN: 0
; COMPUTE_PGM_RSRC2:TGID_Z_EN: 0
; COMPUTE_PGM_RSRC2:TIDIG_COMP_CNT: 0
; COMPUTE_PGM_RSRC3_GFX90A:ACCUM_OFFSET: 0
; COMPUTE_PGM_RSRC3_GFX90A:TG_SPLIT: 0
	.section	.text._ZN7rocprim17ROCPRIM_400000_NS6detail17trampoline_kernelINS0_14default_configENS1_25partition_config_selectorILNS1_17partition_subalgoE1EsNS0_10empty_typeEbEEZZNS1_14partition_implILS5_1ELb0ES3_jN6thrust23THRUST_200600_302600_NS6detail15normal_iteratorINSA_10device_ptrIsEEEEPS6_NSA_18transform_iteratorI7is_evenIsESF_NSA_11use_defaultESK_EENS0_5tupleIJNSA_16discard_iteratorISK_EESO_EEENSM_IJSG_SG_EEES6_PlJS6_EEE10hipError_tPvRmT3_T4_T5_T6_T7_T9_mT8_P12ihipStream_tbDpT10_ENKUlT_T0_E_clISt17integral_constantIbLb1EES1A_IbLb0EEEEDaS16_S17_EUlS16_E_NS1_11comp_targetILNS1_3genE10ELNS1_11target_archE1200ELNS1_3gpuE4ELNS1_3repE0EEENS1_30default_config_static_selectorELNS0_4arch9wavefront6targetE1EEEvT1_,"axG",@progbits,_ZN7rocprim17ROCPRIM_400000_NS6detail17trampoline_kernelINS0_14default_configENS1_25partition_config_selectorILNS1_17partition_subalgoE1EsNS0_10empty_typeEbEEZZNS1_14partition_implILS5_1ELb0ES3_jN6thrust23THRUST_200600_302600_NS6detail15normal_iteratorINSA_10device_ptrIsEEEEPS6_NSA_18transform_iteratorI7is_evenIsESF_NSA_11use_defaultESK_EENS0_5tupleIJNSA_16discard_iteratorISK_EESO_EEENSM_IJSG_SG_EEES6_PlJS6_EEE10hipError_tPvRmT3_T4_T5_T6_T7_T9_mT8_P12ihipStream_tbDpT10_ENKUlT_T0_E_clISt17integral_constantIbLb1EES1A_IbLb0EEEEDaS16_S17_EUlS16_E_NS1_11comp_targetILNS1_3genE10ELNS1_11target_archE1200ELNS1_3gpuE4ELNS1_3repE0EEENS1_30default_config_static_selectorELNS0_4arch9wavefront6targetE1EEEvT1_,comdat
	.protected	_ZN7rocprim17ROCPRIM_400000_NS6detail17trampoline_kernelINS0_14default_configENS1_25partition_config_selectorILNS1_17partition_subalgoE1EsNS0_10empty_typeEbEEZZNS1_14partition_implILS5_1ELb0ES3_jN6thrust23THRUST_200600_302600_NS6detail15normal_iteratorINSA_10device_ptrIsEEEEPS6_NSA_18transform_iteratorI7is_evenIsESF_NSA_11use_defaultESK_EENS0_5tupleIJNSA_16discard_iteratorISK_EESO_EEENSM_IJSG_SG_EEES6_PlJS6_EEE10hipError_tPvRmT3_T4_T5_T6_T7_T9_mT8_P12ihipStream_tbDpT10_ENKUlT_T0_E_clISt17integral_constantIbLb1EES1A_IbLb0EEEEDaS16_S17_EUlS16_E_NS1_11comp_targetILNS1_3genE10ELNS1_11target_archE1200ELNS1_3gpuE4ELNS1_3repE0EEENS1_30default_config_static_selectorELNS0_4arch9wavefront6targetE1EEEvT1_ ; -- Begin function _ZN7rocprim17ROCPRIM_400000_NS6detail17trampoline_kernelINS0_14default_configENS1_25partition_config_selectorILNS1_17partition_subalgoE1EsNS0_10empty_typeEbEEZZNS1_14partition_implILS5_1ELb0ES3_jN6thrust23THRUST_200600_302600_NS6detail15normal_iteratorINSA_10device_ptrIsEEEEPS6_NSA_18transform_iteratorI7is_evenIsESF_NSA_11use_defaultESK_EENS0_5tupleIJNSA_16discard_iteratorISK_EESO_EEENSM_IJSG_SG_EEES6_PlJS6_EEE10hipError_tPvRmT3_T4_T5_T6_T7_T9_mT8_P12ihipStream_tbDpT10_ENKUlT_T0_E_clISt17integral_constantIbLb1EES1A_IbLb0EEEEDaS16_S17_EUlS16_E_NS1_11comp_targetILNS1_3genE10ELNS1_11target_archE1200ELNS1_3gpuE4ELNS1_3repE0EEENS1_30default_config_static_selectorELNS0_4arch9wavefront6targetE1EEEvT1_
	.globl	_ZN7rocprim17ROCPRIM_400000_NS6detail17trampoline_kernelINS0_14default_configENS1_25partition_config_selectorILNS1_17partition_subalgoE1EsNS0_10empty_typeEbEEZZNS1_14partition_implILS5_1ELb0ES3_jN6thrust23THRUST_200600_302600_NS6detail15normal_iteratorINSA_10device_ptrIsEEEEPS6_NSA_18transform_iteratorI7is_evenIsESF_NSA_11use_defaultESK_EENS0_5tupleIJNSA_16discard_iteratorISK_EESO_EEENSM_IJSG_SG_EEES6_PlJS6_EEE10hipError_tPvRmT3_T4_T5_T6_T7_T9_mT8_P12ihipStream_tbDpT10_ENKUlT_T0_E_clISt17integral_constantIbLb1EES1A_IbLb0EEEEDaS16_S17_EUlS16_E_NS1_11comp_targetILNS1_3genE10ELNS1_11target_archE1200ELNS1_3gpuE4ELNS1_3repE0EEENS1_30default_config_static_selectorELNS0_4arch9wavefront6targetE1EEEvT1_
	.p2align	8
	.type	_ZN7rocprim17ROCPRIM_400000_NS6detail17trampoline_kernelINS0_14default_configENS1_25partition_config_selectorILNS1_17partition_subalgoE1EsNS0_10empty_typeEbEEZZNS1_14partition_implILS5_1ELb0ES3_jN6thrust23THRUST_200600_302600_NS6detail15normal_iteratorINSA_10device_ptrIsEEEEPS6_NSA_18transform_iteratorI7is_evenIsESF_NSA_11use_defaultESK_EENS0_5tupleIJNSA_16discard_iteratorISK_EESO_EEENSM_IJSG_SG_EEES6_PlJS6_EEE10hipError_tPvRmT3_T4_T5_T6_T7_T9_mT8_P12ihipStream_tbDpT10_ENKUlT_T0_E_clISt17integral_constantIbLb1EES1A_IbLb0EEEEDaS16_S17_EUlS16_E_NS1_11comp_targetILNS1_3genE10ELNS1_11target_archE1200ELNS1_3gpuE4ELNS1_3repE0EEENS1_30default_config_static_selectorELNS0_4arch9wavefront6targetE1EEEvT1_,@function
_ZN7rocprim17ROCPRIM_400000_NS6detail17trampoline_kernelINS0_14default_configENS1_25partition_config_selectorILNS1_17partition_subalgoE1EsNS0_10empty_typeEbEEZZNS1_14partition_implILS5_1ELb0ES3_jN6thrust23THRUST_200600_302600_NS6detail15normal_iteratorINSA_10device_ptrIsEEEEPS6_NSA_18transform_iteratorI7is_evenIsESF_NSA_11use_defaultESK_EENS0_5tupleIJNSA_16discard_iteratorISK_EESO_EEENSM_IJSG_SG_EEES6_PlJS6_EEE10hipError_tPvRmT3_T4_T5_T6_T7_T9_mT8_P12ihipStream_tbDpT10_ENKUlT_T0_E_clISt17integral_constantIbLb1EES1A_IbLb0EEEEDaS16_S17_EUlS16_E_NS1_11comp_targetILNS1_3genE10ELNS1_11target_archE1200ELNS1_3gpuE4ELNS1_3repE0EEENS1_30default_config_static_selectorELNS0_4arch9wavefront6targetE1EEEvT1_: ; @_ZN7rocprim17ROCPRIM_400000_NS6detail17trampoline_kernelINS0_14default_configENS1_25partition_config_selectorILNS1_17partition_subalgoE1EsNS0_10empty_typeEbEEZZNS1_14partition_implILS5_1ELb0ES3_jN6thrust23THRUST_200600_302600_NS6detail15normal_iteratorINSA_10device_ptrIsEEEEPS6_NSA_18transform_iteratorI7is_evenIsESF_NSA_11use_defaultESK_EENS0_5tupleIJNSA_16discard_iteratorISK_EESO_EEENSM_IJSG_SG_EEES6_PlJS6_EEE10hipError_tPvRmT3_T4_T5_T6_T7_T9_mT8_P12ihipStream_tbDpT10_ENKUlT_T0_E_clISt17integral_constantIbLb1EES1A_IbLb0EEEEDaS16_S17_EUlS16_E_NS1_11comp_targetILNS1_3genE10ELNS1_11target_archE1200ELNS1_3gpuE4ELNS1_3repE0EEENS1_30default_config_static_selectorELNS0_4arch9wavefront6targetE1EEEvT1_
; %bb.0:
	.section	.rodata,"a",@progbits
	.p2align	6, 0x0
	.amdhsa_kernel _ZN7rocprim17ROCPRIM_400000_NS6detail17trampoline_kernelINS0_14default_configENS1_25partition_config_selectorILNS1_17partition_subalgoE1EsNS0_10empty_typeEbEEZZNS1_14partition_implILS5_1ELb0ES3_jN6thrust23THRUST_200600_302600_NS6detail15normal_iteratorINSA_10device_ptrIsEEEEPS6_NSA_18transform_iteratorI7is_evenIsESF_NSA_11use_defaultESK_EENS0_5tupleIJNSA_16discard_iteratorISK_EESO_EEENSM_IJSG_SG_EEES6_PlJS6_EEE10hipError_tPvRmT3_T4_T5_T6_T7_T9_mT8_P12ihipStream_tbDpT10_ENKUlT_T0_E_clISt17integral_constantIbLb1EES1A_IbLb0EEEEDaS16_S17_EUlS16_E_NS1_11comp_targetILNS1_3genE10ELNS1_11target_archE1200ELNS1_3gpuE4ELNS1_3repE0EEENS1_30default_config_static_selectorELNS0_4arch9wavefront6targetE1EEEvT1_
		.amdhsa_group_segment_fixed_size 0
		.amdhsa_private_segment_fixed_size 0
		.amdhsa_kernarg_size 144
		.amdhsa_user_sgpr_count 6
		.amdhsa_user_sgpr_private_segment_buffer 1
		.amdhsa_user_sgpr_dispatch_ptr 0
		.amdhsa_user_sgpr_queue_ptr 0
		.amdhsa_user_sgpr_kernarg_segment_ptr 1
		.amdhsa_user_sgpr_dispatch_id 0
		.amdhsa_user_sgpr_flat_scratch_init 0
		.amdhsa_user_sgpr_kernarg_preload_length 0
		.amdhsa_user_sgpr_kernarg_preload_offset 0
		.amdhsa_user_sgpr_private_segment_size 0
		.amdhsa_uses_dynamic_stack 0
		.amdhsa_system_sgpr_private_segment_wavefront_offset 0
		.amdhsa_system_sgpr_workgroup_id_x 1
		.amdhsa_system_sgpr_workgroup_id_y 0
		.amdhsa_system_sgpr_workgroup_id_z 0
		.amdhsa_system_sgpr_workgroup_info 0
		.amdhsa_system_vgpr_workitem_id 0
		.amdhsa_next_free_vgpr 1
		.amdhsa_next_free_sgpr 0
		.amdhsa_accum_offset 4
		.amdhsa_reserve_vcc 0
		.amdhsa_reserve_flat_scratch 0
		.amdhsa_float_round_mode_32 0
		.amdhsa_float_round_mode_16_64 0
		.amdhsa_float_denorm_mode_32 3
		.amdhsa_float_denorm_mode_16_64 3
		.amdhsa_dx10_clamp 1
		.amdhsa_ieee_mode 1
		.amdhsa_fp16_overflow 0
		.amdhsa_tg_split 0
		.amdhsa_exception_fp_ieee_invalid_op 0
		.amdhsa_exception_fp_denorm_src 0
		.amdhsa_exception_fp_ieee_div_zero 0
		.amdhsa_exception_fp_ieee_overflow 0
		.amdhsa_exception_fp_ieee_underflow 0
		.amdhsa_exception_fp_ieee_inexact 0
		.amdhsa_exception_int_div_zero 0
	.end_amdhsa_kernel
	.section	.text._ZN7rocprim17ROCPRIM_400000_NS6detail17trampoline_kernelINS0_14default_configENS1_25partition_config_selectorILNS1_17partition_subalgoE1EsNS0_10empty_typeEbEEZZNS1_14partition_implILS5_1ELb0ES3_jN6thrust23THRUST_200600_302600_NS6detail15normal_iteratorINSA_10device_ptrIsEEEEPS6_NSA_18transform_iteratorI7is_evenIsESF_NSA_11use_defaultESK_EENS0_5tupleIJNSA_16discard_iteratorISK_EESO_EEENSM_IJSG_SG_EEES6_PlJS6_EEE10hipError_tPvRmT3_T4_T5_T6_T7_T9_mT8_P12ihipStream_tbDpT10_ENKUlT_T0_E_clISt17integral_constantIbLb1EES1A_IbLb0EEEEDaS16_S17_EUlS16_E_NS1_11comp_targetILNS1_3genE10ELNS1_11target_archE1200ELNS1_3gpuE4ELNS1_3repE0EEENS1_30default_config_static_selectorELNS0_4arch9wavefront6targetE1EEEvT1_,"axG",@progbits,_ZN7rocprim17ROCPRIM_400000_NS6detail17trampoline_kernelINS0_14default_configENS1_25partition_config_selectorILNS1_17partition_subalgoE1EsNS0_10empty_typeEbEEZZNS1_14partition_implILS5_1ELb0ES3_jN6thrust23THRUST_200600_302600_NS6detail15normal_iteratorINSA_10device_ptrIsEEEEPS6_NSA_18transform_iteratorI7is_evenIsESF_NSA_11use_defaultESK_EENS0_5tupleIJNSA_16discard_iteratorISK_EESO_EEENSM_IJSG_SG_EEES6_PlJS6_EEE10hipError_tPvRmT3_T4_T5_T6_T7_T9_mT8_P12ihipStream_tbDpT10_ENKUlT_T0_E_clISt17integral_constantIbLb1EES1A_IbLb0EEEEDaS16_S17_EUlS16_E_NS1_11comp_targetILNS1_3genE10ELNS1_11target_archE1200ELNS1_3gpuE4ELNS1_3repE0EEENS1_30default_config_static_selectorELNS0_4arch9wavefront6targetE1EEEvT1_,comdat
.Lfunc_end3376:
	.size	_ZN7rocprim17ROCPRIM_400000_NS6detail17trampoline_kernelINS0_14default_configENS1_25partition_config_selectorILNS1_17partition_subalgoE1EsNS0_10empty_typeEbEEZZNS1_14partition_implILS5_1ELb0ES3_jN6thrust23THRUST_200600_302600_NS6detail15normal_iteratorINSA_10device_ptrIsEEEEPS6_NSA_18transform_iteratorI7is_evenIsESF_NSA_11use_defaultESK_EENS0_5tupleIJNSA_16discard_iteratorISK_EESO_EEENSM_IJSG_SG_EEES6_PlJS6_EEE10hipError_tPvRmT3_T4_T5_T6_T7_T9_mT8_P12ihipStream_tbDpT10_ENKUlT_T0_E_clISt17integral_constantIbLb1EES1A_IbLb0EEEEDaS16_S17_EUlS16_E_NS1_11comp_targetILNS1_3genE10ELNS1_11target_archE1200ELNS1_3gpuE4ELNS1_3repE0EEENS1_30default_config_static_selectorELNS0_4arch9wavefront6targetE1EEEvT1_, .Lfunc_end3376-_ZN7rocprim17ROCPRIM_400000_NS6detail17trampoline_kernelINS0_14default_configENS1_25partition_config_selectorILNS1_17partition_subalgoE1EsNS0_10empty_typeEbEEZZNS1_14partition_implILS5_1ELb0ES3_jN6thrust23THRUST_200600_302600_NS6detail15normal_iteratorINSA_10device_ptrIsEEEEPS6_NSA_18transform_iteratorI7is_evenIsESF_NSA_11use_defaultESK_EENS0_5tupleIJNSA_16discard_iteratorISK_EESO_EEENSM_IJSG_SG_EEES6_PlJS6_EEE10hipError_tPvRmT3_T4_T5_T6_T7_T9_mT8_P12ihipStream_tbDpT10_ENKUlT_T0_E_clISt17integral_constantIbLb1EES1A_IbLb0EEEEDaS16_S17_EUlS16_E_NS1_11comp_targetILNS1_3genE10ELNS1_11target_archE1200ELNS1_3gpuE4ELNS1_3repE0EEENS1_30default_config_static_selectorELNS0_4arch9wavefront6targetE1EEEvT1_
                                        ; -- End function
	.section	.AMDGPU.csdata,"",@progbits
; Kernel info:
; codeLenInByte = 0
; NumSgprs: 4
; NumVgprs: 0
; NumAgprs: 0
; TotalNumVgprs: 0
; ScratchSize: 0
; MemoryBound: 0
; FloatMode: 240
; IeeeMode: 1
; LDSByteSize: 0 bytes/workgroup (compile time only)
; SGPRBlocks: 0
; VGPRBlocks: 0
; NumSGPRsForWavesPerEU: 4
; NumVGPRsForWavesPerEU: 1
; AccumOffset: 4
; Occupancy: 8
; WaveLimiterHint : 0
; COMPUTE_PGM_RSRC2:SCRATCH_EN: 0
; COMPUTE_PGM_RSRC2:USER_SGPR: 6
; COMPUTE_PGM_RSRC2:TRAP_HANDLER: 0
; COMPUTE_PGM_RSRC2:TGID_X_EN: 1
; COMPUTE_PGM_RSRC2:TGID_Y_EN: 0
; COMPUTE_PGM_RSRC2:TGID_Z_EN: 0
; COMPUTE_PGM_RSRC2:TIDIG_COMP_CNT: 0
; COMPUTE_PGM_RSRC3_GFX90A:ACCUM_OFFSET: 0
; COMPUTE_PGM_RSRC3_GFX90A:TG_SPLIT: 0
	.section	.text._ZN7rocprim17ROCPRIM_400000_NS6detail17trampoline_kernelINS0_14default_configENS1_25partition_config_selectorILNS1_17partition_subalgoE1EsNS0_10empty_typeEbEEZZNS1_14partition_implILS5_1ELb0ES3_jN6thrust23THRUST_200600_302600_NS6detail15normal_iteratorINSA_10device_ptrIsEEEEPS6_NSA_18transform_iteratorI7is_evenIsESF_NSA_11use_defaultESK_EENS0_5tupleIJNSA_16discard_iteratorISK_EESO_EEENSM_IJSG_SG_EEES6_PlJS6_EEE10hipError_tPvRmT3_T4_T5_T6_T7_T9_mT8_P12ihipStream_tbDpT10_ENKUlT_T0_E_clISt17integral_constantIbLb1EES1A_IbLb0EEEEDaS16_S17_EUlS16_E_NS1_11comp_targetILNS1_3genE9ELNS1_11target_archE1100ELNS1_3gpuE3ELNS1_3repE0EEENS1_30default_config_static_selectorELNS0_4arch9wavefront6targetE1EEEvT1_,"axG",@progbits,_ZN7rocprim17ROCPRIM_400000_NS6detail17trampoline_kernelINS0_14default_configENS1_25partition_config_selectorILNS1_17partition_subalgoE1EsNS0_10empty_typeEbEEZZNS1_14partition_implILS5_1ELb0ES3_jN6thrust23THRUST_200600_302600_NS6detail15normal_iteratorINSA_10device_ptrIsEEEEPS6_NSA_18transform_iteratorI7is_evenIsESF_NSA_11use_defaultESK_EENS0_5tupleIJNSA_16discard_iteratorISK_EESO_EEENSM_IJSG_SG_EEES6_PlJS6_EEE10hipError_tPvRmT3_T4_T5_T6_T7_T9_mT8_P12ihipStream_tbDpT10_ENKUlT_T0_E_clISt17integral_constantIbLb1EES1A_IbLb0EEEEDaS16_S17_EUlS16_E_NS1_11comp_targetILNS1_3genE9ELNS1_11target_archE1100ELNS1_3gpuE3ELNS1_3repE0EEENS1_30default_config_static_selectorELNS0_4arch9wavefront6targetE1EEEvT1_,comdat
	.protected	_ZN7rocprim17ROCPRIM_400000_NS6detail17trampoline_kernelINS0_14default_configENS1_25partition_config_selectorILNS1_17partition_subalgoE1EsNS0_10empty_typeEbEEZZNS1_14partition_implILS5_1ELb0ES3_jN6thrust23THRUST_200600_302600_NS6detail15normal_iteratorINSA_10device_ptrIsEEEEPS6_NSA_18transform_iteratorI7is_evenIsESF_NSA_11use_defaultESK_EENS0_5tupleIJNSA_16discard_iteratorISK_EESO_EEENSM_IJSG_SG_EEES6_PlJS6_EEE10hipError_tPvRmT3_T4_T5_T6_T7_T9_mT8_P12ihipStream_tbDpT10_ENKUlT_T0_E_clISt17integral_constantIbLb1EES1A_IbLb0EEEEDaS16_S17_EUlS16_E_NS1_11comp_targetILNS1_3genE9ELNS1_11target_archE1100ELNS1_3gpuE3ELNS1_3repE0EEENS1_30default_config_static_selectorELNS0_4arch9wavefront6targetE1EEEvT1_ ; -- Begin function _ZN7rocprim17ROCPRIM_400000_NS6detail17trampoline_kernelINS0_14default_configENS1_25partition_config_selectorILNS1_17partition_subalgoE1EsNS0_10empty_typeEbEEZZNS1_14partition_implILS5_1ELb0ES3_jN6thrust23THRUST_200600_302600_NS6detail15normal_iteratorINSA_10device_ptrIsEEEEPS6_NSA_18transform_iteratorI7is_evenIsESF_NSA_11use_defaultESK_EENS0_5tupleIJNSA_16discard_iteratorISK_EESO_EEENSM_IJSG_SG_EEES6_PlJS6_EEE10hipError_tPvRmT3_T4_T5_T6_T7_T9_mT8_P12ihipStream_tbDpT10_ENKUlT_T0_E_clISt17integral_constantIbLb1EES1A_IbLb0EEEEDaS16_S17_EUlS16_E_NS1_11comp_targetILNS1_3genE9ELNS1_11target_archE1100ELNS1_3gpuE3ELNS1_3repE0EEENS1_30default_config_static_selectorELNS0_4arch9wavefront6targetE1EEEvT1_
	.globl	_ZN7rocprim17ROCPRIM_400000_NS6detail17trampoline_kernelINS0_14default_configENS1_25partition_config_selectorILNS1_17partition_subalgoE1EsNS0_10empty_typeEbEEZZNS1_14partition_implILS5_1ELb0ES3_jN6thrust23THRUST_200600_302600_NS6detail15normal_iteratorINSA_10device_ptrIsEEEEPS6_NSA_18transform_iteratorI7is_evenIsESF_NSA_11use_defaultESK_EENS0_5tupleIJNSA_16discard_iteratorISK_EESO_EEENSM_IJSG_SG_EEES6_PlJS6_EEE10hipError_tPvRmT3_T4_T5_T6_T7_T9_mT8_P12ihipStream_tbDpT10_ENKUlT_T0_E_clISt17integral_constantIbLb1EES1A_IbLb0EEEEDaS16_S17_EUlS16_E_NS1_11comp_targetILNS1_3genE9ELNS1_11target_archE1100ELNS1_3gpuE3ELNS1_3repE0EEENS1_30default_config_static_selectorELNS0_4arch9wavefront6targetE1EEEvT1_
	.p2align	8
	.type	_ZN7rocprim17ROCPRIM_400000_NS6detail17trampoline_kernelINS0_14default_configENS1_25partition_config_selectorILNS1_17partition_subalgoE1EsNS0_10empty_typeEbEEZZNS1_14partition_implILS5_1ELb0ES3_jN6thrust23THRUST_200600_302600_NS6detail15normal_iteratorINSA_10device_ptrIsEEEEPS6_NSA_18transform_iteratorI7is_evenIsESF_NSA_11use_defaultESK_EENS0_5tupleIJNSA_16discard_iteratorISK_EESO_EEENSM_IJSG_SG_EEES6_PlJS6_EEE10hipError_tPvRmT3_T4_T5_T6_T7_T9_mT8_P12ihipStream_tbDpT10_ENKUlT_T0_E_clISt17integral_constantIbLb1EES1A_IbLb0EEEEDaS16_S17_EUlS16_E_NS1_11comp_targetILNS1_3genE9ELNS1_11target_archE1100ELNS1_3gpuE3ELNS1_3repE0EEENS1_30default_config_static_selectorELNS0_4arch9wavefront6targetE1EEEvT1_,@function
_ZN7rocprim17ROCPRIM_400000_NS6detail17trampoline_kernelINS0_14default_configENS1_25partition_config_selectorILNS1_17partition_subalgoE1EsNS0_10empty_typeEbEEZZNS1_14partition_implILS5_1ELb0ES3_jN6thrust23THRUST_200600_302600_NS6detail15normal_iteratorINSA_10device_ptrIsEEEEPS6_NSA_18transform_iteratorI7is_evenIsESF_NSA_11use_defaultESK_EENS0_5tupleIJNSA_16discard_iteratorISK_EESO_EEENSM_IJSG_SG_EEES6_PlJS6_EEE10hipError_tPvRmT3_T4_T5_T6_T7_T9_mT8_P12ihipStream_tbDpT10_ENKUlT_T0_E_clISt17integral_constantIbLb1EES1A_IbLb0EEEEDaS16_S17_EUlS16_E_NS1_11comp_targetILNS1_3genE9ELNS1_11target_archE1100ELNS1_3gpuE3ELNS1_3repE0EEENS1_30default_config_static_selectorELNS0_4arch9wavefront6targetE1EEEvT1_: ; @_ZN7rocprim17ROCPRIM_400000_NS6detail17trampoline_kernelINS0_14default_configENS1_25partition_config_selectorILNS1_17partition_subalgoE1EsNS0_10empty_typeEbEEZZNS1_14partition_implILS5_1ELb0ES3_jN6thrust23THRUST_200600_302600_NS6detail15normal_iteratorINSA_10device_ptrIsEEEEPS6_NSA_18transform_iteratorI7is_evenIsESF_NSA_11use_defaultESK_EENS0_5tupleIJNSA_16discard_iteratorISK_EESO_EEENSM_IJSG_SG_EEES6_PlJS6_EEE10hipError_tPvRmT3_T4_T5_T6_T7_T9_mT8_P12ihipStream_tbDpT10_ENKUlT_T0_E_clISt17integral_constantIbLb1EES1A_IbLb0EEEEDaS16_S17_EUlS16_E_NS1_11comp_targetILNS1_3genE9ELNS1_11target_archE1100ELNS1_3gpuE3ELNS1_3repE0EEENS1_30default_config_static_selectorELNS0_4arch9wavefront6targetE1EEEvT1_
; %bb.0:
	.section	.rodata,"a",@progbits
	.p2align	6, 0x0
	.amdhsa_kernel _ZN7rocprim17ROCPRIM_400000_NS6detail17trampoline_kernelINS0_14default_configENS1_25partition_config_selectorILNS1_17partition_subalgoE1EsNS0_10empty_typeEbEEZZNS1_14partition_implILS5_1ELb0ES3_jN6thrust23THRUST_200600_302600_NS6detail15normal_iteratorINSA_10device_ptrIsEEEEPS6_NSA_18transform_iteratorI7is_evenIsESF_NSA_11use_defaultESK_EENS0_5tupleIJNSA_16discard_iteratorISK_EESO_EEENSM_IJSG_SG_EEES6_PlJS6_EEE10hipError_tPvRmT3_T4_T5_T6_T7_T9_mT8_P12ihipStream_tbDpT10_ENKUlT_T0_E_clISt17integral_constantIbLb1EES1A_IbLb0EEEEDaS16_S17_EUlS16_E_NS1_11comp_targetILNS1_3genE9ELNS1_11target_archE1100ELNS1_3gpuE3ELNS1_3repE0EEENS1_30default_config_static_selectorELNS0_4arch9wavefront6targetE1EEEvT1_
		.amdhsa_group_segment_fixed_size 0
		.amdhsa_private_segment_fixed_size 0
		.amdhsa_kernarg_size 144
		.amdhsa_user_sgpr_count 6
		.amdhsa_user_sgpr_private_segment_buffer 1
		.amdhsa_user_sgpr_dispatch_ptr 0
		.amdhsa_user_sgpr_queue_ptr 0
		.amdhsa_user_sgpr_kernarg_segment_ptr 1
		.amdhsa_user_sgpr_dispatch_id 0
		.amdhsa_user_sgpr_flat_scratch_init 0
		.amdhsa_user_sgpr_kernarg_preload_length 0
		.amdhsa_user_sgpr_kernarg_preload_offset 0
		.amdhsa_user_sgpr_private_segment_size 0
		.amdhsa_uses_dynamic_stack 0
		.amdhsa_system_sgpr_private_segment_wavefront_offset 0
		.amdhsa_system_sgpr_workgroup_id_x 1
		.amdhsa_system_sgpr_workgroup_id_y 0
		.amdhsa_system_sgpr_workgroup_id_z 0
		.amdhsa_system_sgpr_workgroup_info 0
		.amdhsa_system_vgpr_workitem_id 0
		.amdhsa_next_free_vgpr 1
		.amdhsa_next_free_sgpr 0
		.amdhsa_accum_offset 4
		.amdhsa_reserve_vcc 0
		.amdhsa_reserve_flat_scratch 0
		.amdhsa_float_round_mode_32 0
		.amdhsa_float_round_mode_16_64 0
		.amdhsa_float_denorm_mode_32 3
		.amdhsa_float_denorm_mode_16_64 3
		.amdhsa_dx10_clamp 1
		.amdhsa_ieee_mode 1
		.amdhsa_fp16_overflow 0
		.amdhsa_tg_split 0
		.amdhsa_exception_fp_ieee_invalid_op 0
		.amdhsa_exception_fp_denorm_src 0
		.amdhsa_exception_fp_ieee_div_zero 0
		.amdhsa_exception_fp_ieee_overflow 0
		.amdhsa_exception_fp_ieee_underflow 0
		.amdhsa_exception_fp_ieee_inexact 0
		.amdhsa_exception_int_div_zero 0
	.end_amdhsa_kernel
	.section	.text._ZN7rocprim17ROCPRIM_400000_NS6detail17trampoline_kernelINS0_14default_configENS1_25partition_config_selectorILNS1_17partition_subalgoE1EsNS0_10empty_typeEbEEZZNS1_14partition_implILS5_1ELb0ES3_jN6thrust23THRUST_200600_302600_NS6detail15normal_iteratorINSA_10device_ptrIsEEEEPS6_NSA_18transform_iteratorI7is_evenIsESF_NSA_11use_defaultESK_EENS0_5tupleIJNSA_16discard_iteratorISK_EESO_EEENSM_IJSG_SG_EEES6_PlJS6_EEE10hipError_tPvRmT3_T4_T5_T6_T7_T9_mT8_P12ihipStream_tbDpT10_ENKUlT_T0_E_clISt17integral_constantIbLb1EES1A_IbLb0EEEEDaS16_S17_EUlS16_E_NS1_11comp_targetILNS1_3genE9ELNS1_11target_archE1100ELNS1_3gpuE3ELNS1_3repE0EEENS1_30default_config_static_selectorELNS0_4arch9wavefront6targetE1EEEvT1_,"axG",@progbits,_ZN7rocprim17ROCPRIM_400000_NS6detail17trampoline_kernelINS0_14default_configENS1_25partition_config_selectorILNS1_17partition_subalgoE1EsNS0_10empty_typeEbEEZZNS1_14partition_implILS5_1ELb0ES3_jN6thrust23THRUST_200600_302600_NS6detail15normal_iteratorINSA_10device_ptrIsEEEEPS6_NSA_18transform_iteratorI7is_evenIsESF_NSA_11use_defaultESK_EENS0_5tupleIJNSA_16discard_iteratorISK_EESO_EEENSM_IJSG_SG_EEES6_PlJS6_EEE10hipError_tPvRmT3_T4_T5_T6_T7_T9_mT8_P12ihipStream_tbDpT10_ENKUlT_T0_E_clISt17integral_constantIbLb1EES1A_IbLb0EEEEDaS16_S17_EUlS16_E_NS1_11comp_targetILNS1_3genE9ELNS1_11target_archE1100ELNS1_3gpuE3ELNS1_3repE0EEENS1_30default_config_static_selectorELNS0_4arch9wavefront6targetE1EEEvT1_,comdat
.Lfunc_end3377:
	.size	_ZN7rocprim17ROCPRIM_400000_NS6detail17trampoline_kernelINS0_14default_configENS1_25partition_config_selectorILNS1_17partition_subalgoE1EsNS0_10empty_typeEbEEZZNS1_14partition_implILS5_1ELb0ES3_jN6thrust23THRUST_200600_302600_NS6detail15normal_iteratorINSA_10device_ptrIsEEEEPS6_NSA_18transform_iteratorI7is_evenIsESF_NSA_11use_defaultESK_EENS0_5tupleIJNSA_16discard_iteratorISK_EESO_EEENSM_IJSG_SG_EEES6_PlJS6_EEE10hipError_tPvRmT3_T4_T5_T6_T7_T9_mT8_P12ihipStream_tbDpT10_ENKUlT_T0_E_clISt17integral_constantIbLb1EES1A_IbLb0EEEEDaS16_S17_EUlS16_E_NS1_11comp_targetILNS1_3genE9ELNS1_11target_archE1100ELNS1_3gpuE3ELNS1_3repE0EEENS1_30default_config_static_selectorELNS0_4arch9wavefront6targetE1EEEvT1_, .Lfunc_end3377-_ZN7rocprim17ROCPRIM_400000_NS6detail17trampoline_kernelINS0_14default_configENS1_25partition_config_selectorILNS1_17partition_subalgoE1EsNS0_10empty_typeEbEEZZNS1_14partition_implILS5_1ELb0ES3_jN6thrust23THRUST_200600_302600_NS6detail15normal_iteratorINSA_10device_ptrIsEEEEPS6_NSA_18transform_iteratorI7is_evenIsESF_NSA_11use_defaultESK_EENS0_5tupleIJNSA_16discard_iteratorISK_EESO_EEENSM_IJSG_SG_EEES6_PlJS6_EEE10hipError_tPvRmT3_T4_T5_T6_T7_T9_mT8_P12ihipStream_tbDpT10_ENKUlT_T0_E_clISt17integral_constantIbLb1EES1A_IbLb0EEEEDaS16_S17_EUlS16_E_NS1_11comp_targetILNS1_3genE9ELNS1_11target_archE1100ELNS1_3gpuE3ELNS1_3repE0EEENS1_30default_config_static_selectorELNS0_4arch9wavefront6targetE1EEEvT1_
                                        ; -- End function
	.section	.AMDGPU.csdata,"",@progbits
; Kernel info:
; codeLenInByte = 0
; NumSgprs: 4
; NumVgprs: 0
; NumAgprs: 0
; TotalNumVgprs: 0
; ScratchSize: 0
; MemoryBound: 0
; FloatMode: 240
; IeeeMode: 1
; LDSByteSize: 0 bytes/workgroup (compile time only)
; SGPRBlocks: 0
; VGPRBlocks: 0
; NumSGPRsForWavesPerEU: 4
; NumVGPRsForWavesPerEU: 1
; AccumOffset: 4
; Occupancy: 8
; WaveLimiterHint : 0
; COMPUTE_PGM_RSRC2:SCRATCH_EN: 0
; COMPUTE_PGM_RSRC2:USER_SGPR: 6
; COMPUTE_PGM_RSRC2:TRAP_HANDLER: 0
; COMPUTE_PGM_RSRC2:TGID_X_EN: 1
; COMPUTE_PGM_RSRC2:TGID_Y_EN: 0
; COMPUTE_PGM_RSRC2:TGID_Z_EN: 0
; COMPUTE_PGM_RSRC2:TIDIG_COMP_CNT: 0
; COMPUTE_PGM_RSRC3_GFX90A:ACCUM_OFFSET: 0
; COMPUTE_PGM_RSRC3_GFX90A:TG_SPLIT: 0
	.section	.text._ZN7rocprim17ROCPRIM_400000_NS6detail17trampoline_kernelINS0_14default_configENS1_25partition_config_selectorILNS1_17partition_subalgoE1EsNS0_10empty_typeEbEEZZNS1_14partition_implILS5_1ELb0ES3_jN6thrust23THRUST_200600_302600_NS6detail15normal_iteratorINSA_10device_ptrIsEEEEPS6_NSA_18transform_iteratorI7is_evenIsESF_NSA_11use_defaultESK_EENS0_5tupleIJNSA_16discard_iteratorISK_EESO_EEENSM_IJSG_SG_EEES6_PlJS6_EEE10hipError_tPvRmT3_T4_T5_T6_T7_T9_mT8_P12ihipStream_tbDpT10_ENKUlT_T0_E_clISt17integral_constantIbLb1EES1A_IbLb0EEEEDaS16_S17_EUlS16_E_NS1_11comp_targetILNS1_3genE8ELNS1_11target_archE1030ELNS1_3gpuE2ELNS1_3repE0EEENS1_30default_config_static_selectorELNS0_4arch9wavefront6targetE1EEEvT1_,"axG",@progbits,_ZN7rocprim17ROCPRIM_400000_NS6detail17trampoline_kernelINS0_14default_configENS1_25partition_config_selectorILNS1_17partition_subalgoE1EsNS0_10empty_typeEbEEZZNS1_14partition_implILS5_1ELb0ES3_jN6thrust23THRUST_200600_302600_NS6detail15normal_iteratorINSA_10device_ptrIsEEEEPS6_NSA_18transform_iteratorI7is_evenIsESF_NSA_11use_defaultESK_EENS0_5tupleIJNSA_16discard_iteratorISK_EESO_EEENSM_IJSG_SG_EEES6_PlJS6_EEE10hipError_tPvRmT3_T4_T5_T6_T7_T9_mT8_P12ihipStream_tbDpT10_ENKUlT_T0_E_clISt17integral_constantIbLb1EES1A_IbLb0EEEEDaS16_S17_EUlS16_E_NS1_11comp_targetILNS1_3genE8ELNS1_11target_archE1030ELNS1_3gpuE2ELNS1_3repE0EEENS1_30default_config_static_selectorELNS0_4arch9wavefront6targetE1EEEvT1_,comdat
	.protected	_ZN7rocprim17ROCPRIM_400000_NS6detail17trampoline_kernelINS0_14default_configENS1_25partition_config_selectorILNS1_17partition_subalgoE1EsNS0_10empty_typeEbEEZZNS1_14partition_implILS5_1ELb0ES3_jN6thrust23THRUST_200600_302600_NS6detail15normal_iteratorINSA_10device_ptrIsEEEEPS6_NSA_18transform_iteratorI7is_evenIsESF_NSA_11use_defaultESK_EENS0_5tupleIJNSA_16discard_iteratorISK_EESO_EEENSM_IJSG_SG_EEES6_PlJS6_EEE10hipError_tPvRmT3_T4_T5_T6_T7_T9_mT8_P12ihipStream_tbDpT10_ENKUlT_T0_E_clISt17integral_constantIbLb1EES1A_IbLb0EEEEDaS16_S17_EUlS16_E_NS1_11comp_targetILNS1_3genE8ELNS1_11target_archE1030ELNS1_3gpuE2ELNS1_3repE0EEENS1_30default_config_static_selectorELNS0_4arch9wavefront6targetE1EEEvT1_ ; -- Begin function _ZN7rocprim17ROCPRIM_400000_NS6detail17trampoline_kernelINS0_14default_configENS1_25partition_config_selectorILNS1_17partition_subalgoE1EsNS0_10empty_typeEbEEZZNS1_14partition_implILS5_1ELb0ES3_jN6thrust23THRUST_200600_302600_NS6detail15normal_iteratorINSA_10device_ptrIsEEEEPS6_NSA_18transform_iteratorI7is_evenIsESF_NSA_11use_defaultESK_EENS0_5tupleIJNSA_16discard_iteratorISK_EESO_EEENSM_IJSG_SG_EEES6_PlJS6_EEE10hipError_tPvRmT3_T4_T5_T6_T7_T9_mT8_P12ihipStream_tbDpT10_ENKUlT_T0_E_clISt17integral_constantIbLb1EES1A_IbLb0EEEEDaS16_S17_EUlS16_E_NS1_11comp_targetILNS1_3genE8ELNS1_11target_archE1030ELNS1_3gpuE2ELNS1_3repE0EEENS1_30default_config_static_selectorELNS0_4arch9wavefront6targetE1EEEvT1_
	.globl	_ZN7rocprim17ROCPRIM_400000_NS6detail17trampoline_kernelINS0_14default_configENS1_25partition_config_selectorILNS1_17partition_subalgoE1EsNS0_10empty_typeEbEEZZNS1_14partition_implILS5_1ELb0ES3_jN6thrust23THRUST_200600_302600_NS6detail15normal_iteratorINSA_10device_ptrIsEEEEPS6_NSA_18transform_iteratorI7is_evenIsESF_NSA_11use_defaultESK_EENS0_5tupleIJNSA_16discard_iteratorISK_EESO_EEENSM_IJSG_SG_EEES6_PlJS6_EEE10hipError_tPvRmT3_T4_T5_T6_T7_T9_mT8_P12ihipStream_tbDpT10_ENKUlT_T0_E_clISt17integral_constantIbLb1EES1A_IbLb0EEEEDaS16_S17_EUlS16_E_NS1_11comp_targetILNS1_3genE8ELNS1_11target_archE1030ELNS1_3gpuE2ELNS1_3repE0EEENS1_30default_config_static_selectorELNS0_4arch9wavefront6targetE1EEEvT1_
	.p2align	8
	.type	_ZN7rocprim17ROCPRIM_400000_NS6detail17trampoline_kernelINS0_14default_configENS1_25partition_config_selectorILNS1_17partition_subalgoE1EsNS0_10empty_typeEbEEZZNS1_14partition_implILS5_1ELb0ES3_jN6thrust23THRUST_200600_302600_NS6detail15normal_iteratorINSA_10device_ptrIsEEEEPS6_NSA_18transform_iteratorI7is_evenIsESF_NSA_11use_defaultESK_EENS0_5tupleIJNSA_16discard_iteratorISK_EESO_EEENSM_IJSG_SG_EEES6_PlJS6_EEE10hipError_tPvRmT3_T4_T5_T6_T7_T9_mT8_P12ihipStream_tbDpT10_ENKUlT_T0_E_clISt17integral_constantIbLb1EES1A_IbLb0EEEEDaS16_S17_EUlS16_E_NS1_11comp_targetILNS1_3genE8ELNS1_11target_archE1030ELNS1_3gpuE2ELNS1_3repE0EEENS1_30default_config_static_selectorELNS0_4arch9wavefront6targetE1EEEvT1_,@function
_ZN7rocprim17ROCPRIM_400000_NS6detail17trampoline_kernelINS0_14default_configENS1_25partition_config_selectorILNS1_17partition_subalgoE1EsNS0_10empty_typeEbEEZZNS1_14partition_implILS5_1ELb0ES3_jN6thrust23THRUST_200600_302600_NS6detail15normal_iteratorINSA_10device_ptrIsEEEEPS6_NSA_18transform_iteratorI7is_evenIsESF_NSA_11use_defaultESK_EENS0_5tupleIJNSA_16discard_iteratorISK_EESO_EEENSM_IJSG_SG_EEES6_PlJS6_EEE10hipError_tPvRmT3_T4_T5_T6_T7_T9_mT8_P12ihipStream_tbDpT10_ENKUlT_T0_E_clISt17integral_constantIbLb1EES1A_IbLb0EEEEDaS16_S17_EUlS16_E_NS1_11comp_targetILNS1_3genE8ELNS1_11target_archE1030ELNS1_3gpuE2ELNS1_3repE0EEENS1_30default_config_static_selectorELNS0_4arch9wavefront6targetE1EEEvT1_: ; @_ZN7rocprim17ROCPRIM_400000_NS6detail17trampoline_kernelINS0_14default_configENS1_25partition_config_selectorILNS1_17partition_subalgoE1EsNS0_10empty_typeEbEEZZNS1_14partition_implILS5_1ELb0ES3_jN6thrust23THRUST_200600_302600_NS6detail15normal_iteratorINSA_10device_ptrIsEEEEPS6_NSA_18transform_iteratorI7is_evenIsESF_NSA_11use_defaultESK_EENS0_5tupleIJNSA_16discard_iteratorISK_EESO_EEENSM_IJSG_SG_EEES6_PlJS6_EEE10hipError_tPvRmT3_T4_T5_T6_T7_T9_mT8_P12ihipStream_tbDpT10_ENKUlT_T0_E_clISt17integral_constantIbLb1EES1A_IbLb0EEEEDaS16_S17_EUlS16_E_NS1_11comp_targetILNS1_3genE8ELNS1_11target_archE1030ELNS1_3gpuE2ELNS1_3repE0EEENS1_30default_config_static_selectorELNS0_4arch9wavefront6targetE1EEEvT1_
; %bb.0:
	.section	.rodata,"a",@progbits
	.p2align	6, 0x0
	.amdhsa_kernel _ZN7rocprim17ROCPRIM_400000_NS6detail17trampoline_kernelINS0_14default_configENS1_25partition_config_selectorILNS1_17partition_subalgoE1EsNS0_10empty_typeEbEEZZNS1_14partition_implILS5_1ELb0ES3_jN6thrust23THRUST_200600_302600_NS6detail15normal_iteratorINSA_10device_ptrIsEEEEPS6_NSA_18transform_iteratorI7is_evenIsESF_NSA_11use_defaultESK_EENS0_5tupleIJNSA_16discard_iteratorISK_EESO_EEENSM_IJSG_SG_EEES6_PlJS6_EEE10hipError_tPvRmT3_T4_T5_T6_T7_T9_mT8_P12ihipStream_tbDpT10_ENKUlT_T0_E_clISt17integral_constantIbLb1EES1A_IbLb0EEEEDaS16_S17_EUlS16_E_NS1_11comp_targetILNS1_3genE8ELNS1_11target_archE1030ELNS1_3gpuE2ELNS1_3repE0EEENS1_30default_config_static_selectorELNS0_4arch9wavefront6targetE1EEEvT1_
		.amdhsa_group_segment_fixed_size 0
		.amdhsa_private_segment_fixed_size 0
		.amdhsa_kernarg_size 144
		.amdhsa_user_sgpr_count 6
		.amdhsa_user_sgpr_private_segment_buffer 1
		.amdhsa_user_sgpr_dispatch_ptr 0
		.amdhsa_user_sgpr_queue_ptr 0
		.amdhsa_user_sgpr_kernarg_segment_ptr 1
		.amdhsa_user_sgpr_dispatch_id 0
		.amdhsa_user_sgpr_flat_scratch_init 0
		.amdhsa_user_sgpr_kernarg_preload_length 0
		.amdhsa_user_sgpr_kernarg_preload_offset 0
		.amdhsa_user_sgpr_private_segment_size 0
		.amdhsa_uses_dynamic_stack 0
		.amdhsa_system_sgpr_private_segment_wavefront_offset 0
		.amdhsa_system_sgpr_workgroup_id_x 1
		.amdhsa_system_sgpr_workgroup_id_y 0
		.amdhsa_system_sgpr_workgroup_id_z 0
		.amdhsa_system_sgpr_workgroup_info 0
		.amdhsa_system_vgpr_workitem_id 0
		.amdhsa_next_free_vgpr 1
		.amdhsa_next_free_sgpr 0
		.amdhsa_accum_offset 4
		.amdhsa_reserve_vcc 0
		.amdhsa_reserve_flat_scratch 0
		.amdhsa_float_round_mode_32 0
		.amdhsa_float_round_mode_16_64 0
		.amdhsa_float_denorm_mode_32 3
		.amdhsa_float_denorm_mode_16_64 3
		.amdhsa_dx10_clamp 1
		.amdhsa_ieee_mode 1
		.amdhsa_fp16_overflow 0
		.amdhsa_tg_split 0
		.amdhsa_exception_fp_ieee_invalid_op 0
		.amdhsa_exception_fp_denorm_src 0
		.amdhsa_exception_fp_ieee_div_zero 0
		.amdhsa_exception_fp_ieee_overflow 0
		.amdhsa_exception_fp_ieee_underflow 0
		.amdhsa_exception_fp_ieee_inexact 0
		.amdhsa_exception_int_div_zero 0
	.end_amdhsa_kernel
	.section	.text._ZN7rocprim17ROCPRIM_400000_NS6detail17trampoline_kernelINS0_14default_configENS1_25partition_config_selectorILNS1_17partition_subalgoE1EsNS0_10empty_typeEbEEZZNS1_14partition_implILS5_1ELb0ES3_jN6thrust23THRUST_200600_302600_NS6detail15normal_iteratorINSA_10device_ptrIsEEEEPS6_NSA_18transform_iteratorI7is_evenIsESF_NSA_11use_defaultESK_EENS0_5tupleIJNSA_16discard_iteratorISK_EESO_EEENSM_IJSG_SG_EEES6_PlJS6_EEE10hipError_tPvRmT3_T4_T5_T6_T7_T9_mT8_P12ihipStream_tbDpT10_ENKUlT_T0_E_clISt17integral_constantIbLb1EES1A_IbLb0EEEEDaS16_S17_EUlS16_E_NS1_11comp_targetILNS1_3genE8ELNS1_11target_archE1030ELNS1_3gpuE2ELNS1_3repE0EEENS1_30default_config_static_selectorELNS0_4arch9wavefront6targetE1EEEvT1_,"axG",@progbits,_ZN7rocprim17ROCPRIM_400000_NS6detail17trampoline_kernelINS0_14default_configENS1_25partition_config_selectorILNS1_17partition_subalgoE1EsNS0_10empty_typeEbEEZZNS1_14partition_implILS5_1ELb0ES3_jN6thrust23THRUST_200600_302600_NS6detail15normal_iteratorINSA_10device_ptrIsEEEEPS6_NSA_18transform_iteratorI7is_evenIsESF_NSA_11use_defaultESK_EENS0_5tupleIJNSA_16discard_iteratorISK_EESO_EEENSM_IJSG_SG_EEES6_PlJS6_EEE10hipError_tPvRmT3_T4_T5_T6_T7_T9_mT8_P12ihipStream_tbDpT10_ENKUlT_T0_E_clISt17integral_constantIbLb1EES1A_IbLb0EEEEDaS16_S17_EUlS16_E_NS1_11comp_targetILNS1_3genE8ELNS1_11target_archE1030ELNS1_3gpuE2ELNS1_3repE0EEENS1_30default_config_static_selectorELNS0_4arch9wavefront6targetE1EEEvT1_,comdat
.Lfunc_end3378:
	.size	_ZN7rocprim17ROCPRIM_400000_NS6detail17trampoline_kernelINS0_14default_configENS1_25partition_config_selectorILNS1_17partition_subalgoE1EsNS0_10empty_typeEbEEZZNS1_14partition_implILS5_1ELb0ES3_jN6thrust23THRUST_200600_302600_NS6detail15normal_iteratorINSA_10device_ptrIsEEEEPS6_NSA_18transform_iteratorI7is_evenIsESF_NSA_11use_defaultESK_EENS0_5tupleIJNSA_16discard_iteratorISK_EESO_EEENSM_IJSG_SG_EEES6_PlJS6_EEE10hipError_tPvRmT3_T4_T5_T6_T7_T9_mT8_P12ihipStream_tbDpT10_ENKUlT_T0_E_clISt17integral_constantIbLb1EES1A_IbLb0EEEEDaS16_S17_EUlS16_E_NS1_11comp_targetILNS1_3genE8ELNS1_11target_archE1030ELNS1_3gpuE2ELNS1_3repE0EEENS1_30default_config_static_selectorELNS0_4arch9wavefront6targetE1EEEvT1_, .Lfunc_end3378-_ZN7rocprim17ROCPRIM_400000_NS6detail17trampoline_kernelINS0_14default_configENS1_25partition_config_selectorILNS1_17partition_subalgoE1EsNS0_10empty_typeEbEEZZNS1_14partition_implILS5_1ELb0ES3_jN6thrust23THRUST_200600_302600_NS6detail15normal_iteratorINSA_10device_ptrIsEEEEPS6_NSA_18transform_iteratorI7is_evenIsESF_NSA_11use_defaultESK_EENS0_5tupleIJNSA_16discard_iteratorISK_EESO_EEENSM_IJSG_SG_EEES6_PlJS6_EEE10hipError_tPvRmT3_T4_T5_T6_T7_T9_mT8_P12ihipStream_tbDpT10_ENKUlT_T0_E_clISt17integral_constantIbLb1EES1A_IbLb0EEEEDaS16_S17_EUlS16_E_NS1_11comp_targetILNS1_3genE8ELNS1_11target_archE1030ELNS1_3gpuE2ELNS1_3repE0EEENS1_30default_config_static_selectorELNS0_4arch9wavefront6targetE1EEEvT1_
                                        ; -- End function
	.section	.AMDGPU.csdata,"",@progbits
; Kernel info:
; codeLenInByte = 0
; NumSgprs: 4
; NumVgprs: 0
; NumAgprs: 0
; TotalNumVgprs: 0
; ScratchSize: 0
; MemoryBound: 0
; FloatMode: 240
; IeeeMode: 1
; LDSByteSize: 0 bytes/workgroup (compile time only)
; SGPRBlocks: 0
; VGPRBlocks: 0
; NumSGPRsForWavesPerEU: 4
; NumVGPRsForWavesPerEU: 1
; AccumOffset: 4
; Occupancy: 8
; WaveLimiterHint : 0
; COMPUTE_PGM_RSRC2:SCRATCH_EN: 0
; COMPUTE_PGM_RSRC2:USER_SGPR: 6
; COMPUTE_PGM_RSRC2:TRAP_HANDLER: 0
; COMPUTE_PGM_RSRC2:TGID_X_EN: 1
; COMPUTE_PGM_RSRC2:TGID_Y_EN: 0
; COMPUTE_PGM_RSRC2:TGID_Z_EN: 0
; COMPUTE_PGM_RSRC2:TIDIG_COMP_CNT: 0
; COMPUTE_PGM_RSRC3_GFX90A:ACCUM_OFFSET: 0
; COMPUTE_PGM_RSRC3_GFX90A:TG_SPLIT: 0
	.section	.text._ZN7rocprim17ROCPRIM_400000_NS6detail17trampoline_kernelINS0_14default_configENS1_25partition_config_selectorILNS1_17partition_subalgoE1EsNS0_10empty_typeEbEEZZNS1_14partition_implILS5_1ELb0ES3_jN6thrust23THRUST_200600_302600_NS6detail15normal_iteratorINSA_10device_ptrIsEEEEPS6_NSA_18transform_iteratorI7is_evenIsESF_NSA_11use_defaultESK_EENS0_5tupleIJNSA_16discard_iteratorISK_EESO_EEENSM_IJSG_SG_EEES6_PlJS6_EEE10hipError_tPvRmT3_T4_T5_T6_T7_T9_mT8_P12ihipStream_tbDpT10_ENKUlT_T0_E_clISt17integral_constantIbLb0EES1A_IbLb1EEEEDaS16_S17_EUlS16_E_NS1_11comp_targetILNS1_3genE0ELNS1_11target_archE4294967295ELNS1_3gpuE0ELNS1_3repE0EEENS1_30default_config_static_selectorELNS0_4arch9wavefront6targetE1EEEvT1_,"axG",@progbits,_ZN7rocprim17ROCPRIM_400000_NS6detail17trampoline_kernelINS0_14default_configENS1_25partition_config_selectorILNS1_17partition_subalgoE1EsNS0_10empty_typeEbEEZZNS1_14partition_implILS5_1ELb0ES3_jN6thrust23THRUST_200600_302600_NS6detail15normal_iteratorINSA_10device_ptrIsEEEEPS6_NSA_18transform_iteratorI7is_evenIsESF_NSA_11use_defaultESK_EENS0_5tupleIJNSA_16discard_iteratorISK_EESO_EEENSM_IJSG_SG_EEES6_PlJS6_EEE10hipError_tPvRmT3_T4_T5_T6_T7_T9_mT8_P12ihipStream_tbDpT10_ENKUlT_T0_E_clISt17integral_constantIbLb0EES1A_IbLb1EEEEDaS16_S17_EUlS16_E_NS1_11comp_targetILNS1_3genE0ELNS1_11target_archE4294967295ELNS1_3gpuE0ELNS1_3repE0EEENS1_30default_config_static_selectorELNS0_4arch9wavefront6targetE1EEEvT1_,comdat
	.protected	_ZN7rocprim17ROCPRIM_400000_NS6detail17trampoline_kernelINS0_14default_configENS1_25partition_config_selectorILNS1_17partition_subalgoE1EsNS0_10empty_typeEbEEZZNS1_14partition_implILS5_1ELb0ES3_jN6thrust23THRUST_200600_302600_NS6detail15normal_iteratorINSA_10device_ptrIsEEEEPS6_NSA_18transform_iteratorI7is_evenIsESF_NSA_11use_defaultESK_EENS0_5tupleIJNSA_16discard_iteratorISK_EESO_EEENSM_IJSG_SG_EEES6_PlJS6_EEE10hipError_tPvRmT3_T4_T5_T6_T7_T9_mT8_P12ihipStream_tbDpT10_ENKUlT_T0_E_clISt17integral_constantIbLb0EES1A_IbLb1EEEEDaS16_S17_EUlS16_E_NS1_11comp_targetILNS1_3genE0ELNS1_11target_archE4294967295ELNS1_3gpuE0ELNS1_3repE0EEENS1_30default_config_static_selectorELNS0_4arch9wavefront6targetE1EEEvT1_ ; -- Begin function _ZN7rocprim17ROCPRIM_400000_NS6detail17trampoline_kernelINS0_14default_configENS1_25partition_config_selectorILNS1_17partition_subalgoE1EsNS0_10empty_typeEbEEZZNS1_14partition_implILS5_1ELb0ES3_jN6thrust23THRUST_200600_302600_NS6detail15normal_iteratorINSA_10device_ptrIsEEEEPS6_NSA_18transform_iteratorI7is_evenIsESF_NSA_11use_defaultESK_EENS0_5tupleIJNSA_16discard_iteratorISK_EESO_EEENSM_IJSG_SG_EEES6_PlJS6_EEE10hipError_tPvRmT3_T4_T5_T6_T7_T9_mT8_P12ihipStream_tbDpT10_ENKUlT_T0_E_clISt17integral_constantIbLb0EES1A_IbLb1EEEEDaS16_S17_EUlS16_E_NS1_11comp_targetILNS1_3genE0ELNS1_11target_archE4294967295ELNS1_3gpuE0ELNS1_3repE0EEENS1_30default_config_static_selectorELNS0_4arch9wavefront6targetE1EEEvT1_
	.globl	_ZN7rocprim17ROCPRIM_400000_NS6detail17trampoline_kernelINS0_14default_configENS1_25partition_config_selectorILNS1_17partition_subalgoE1EsNS0_10empty_typeEbEEZZNS1_14partition_implILS5_1ELb0ES3_jN6thrust23THRUST_200600_302600_NS6detail15normal_iteratorINSA_10device_ptrIsEEEEPS6_NSA_18transform_iteratorI7is_evenIsESF_NSA_11use_defaultESK_EENS0_5tupleIJNSA_16discard_iteratorISK_EESO_EEENSM_IJSG_SG_EEES6_PlJS6_EEE10hipError_tPvRmT3_T4_T5_T6_T7_T9_mT8_P12ihipStream_tbDpT10_ENKUlT_T0_E_clISt17integral_constantIbLb0EES1A_IbLb1EEEEDaS16_S17_EUlS16_E_NS1_11comp_targetILNS1_3genE0ELNS1_11target_archE4294967295ELNS1_3gpuE0ELNS1_3repE0EEENS1_30default_config_static_selectorELNS0_4arch9wavefront6targetE1EEEvT1_
	.p2align	8
	.type	_ZN7rocprim17ROCPRIM_400000_NS6detail17trampoline_kernelINS0_14default_configENS1_25partition_config_selectorILNS1_17partition_subalgoE1EsNS0_10empty_typeEbEEZZNS1_14partition_implILS5_1ELb0ES3_jN6thrust23THRUST_200600_302600_NS6detail15normal_iteratorINSA_10device_ptrIsEEEEPS6_NSA_18transform_iteratorI7is_evenIsESF_NSA_11use_defaultESK_EENS0_5tupleIJNSA_16discard_iteratorISK_EESO_EEENSM_IJSG_SG_EEES6_PlJS6_EEE10hipError_tPvRmT3_T4_T5_T6_T7_T9_mT8_P12ihipStream_tbDpT10_ENKUlT_T0_E_clISt17integral_constantIbLb0EES1A_IbLb1EEEEDaS16_S17_EUlS16_E_NS1_11comp_targetILNS1_3genE0ELNS1_11target_archE4294967295ELNS1_3gpuE0ELNS1_3repE0EEENS1_30default_config_static_selectorELNS0_4arch9wavefront6targetE1EEEvT1_,@function
_ZN7rocprim17ROCPRIM_400000_NS6detail17trampoline_kernelINS0_14default_configENS1_25partition_config_selectorILNS1_17partition_subalgoE1EsNS0_10empty_typeEbEEZZNS1_14partition_implILS5_1ELb0ES3_jN6thrust23THRUST_200600_302600_NS6detail15normal_iteratorINSA_10device_ptrIsEEEEPS6_NSA_18transform_iteratorI7is_evenIsESF_NSA_11use_defaultESK_EENS0_5tupleIJNSA_16discard_iteratorISK_EESO_EEENSM_IJSG_SG_EEES6_PlJS6_EEE10hipError_tPvRmT3_T4_T5_T6_T7_T9_mT8_P12ihipStream_tbDpT10_ENKUlT_T0_E_clISt17integral_constantIbLb0EES1A_IbLb1EEEEDaS16_S17_EUlS16_E_NS1_11comp_targetILNS1_3genE0ELNS1_11target_archE4294967295ELNS1_3gpuE0ELNS1_3repE0EEENS1_30default_config_static_selectorELNS0_4arch9wavefront6targetE1EEEvT1_: ; @_ZN7rocprim17ROCPRIM_400000_NS6detail17trampoline_kernelINS0_14default_configENS1_25partition_config_selectorILNS1_17partition_subalgoE1EsNS0_10empty_typeEbEEZZNS1_14partition_implILS5_1ELb0ES3_jN6thrust23THRUST_200600_302600_NS6detail15normal_iteratorINSA_10device_ptrIsEEEEPS6_NSA_18transform_iteratorI7is_evenIsESF_NSA_11use_defaultESK_EENS0_5tupleIJNSA_16discard_iteratorISK_EESO_EEENSM_IJSG_SG_EEES6_PlJS6_EEE10hipError_tPvRmT3_T4_T5_T6_T7_T9_mT8_P12ihipStream_tbDpT10_ENKUlT_T0_E_clISt17integral_constantIbLb0EES1A_IbLb1EEEEDaS16_S17_EUlS16_E_NS1_11comp_targetILNS1_3genE0ELNS1_11target_archE4294967295ELNS1_3gpuE0ELNS1_3repE0EEENS1_30default_config_static_selectorELNS0_4arch9wavefront6targetE1EEEvT1_
; %bb.0:
	.section	.rodata,"a",@progbits
	.p2align	6, 0x0
	.amdhsa_kernel _ZN7rocprim17ROCPRIM_400000_NS6detail17trampoline_kernelINS0_14default_configENS1_25partition_config_selectorILNS1_17partition_subalgoE1EsNS0_10empty_typeEbEEZZNS1_14partition_implILS5_1ELb0ES3_jN6thrust23THRUST_200600_302600_NS6detail15normal_iteratorINSA_10device_ptrIsEEEEPS6_NSA_18transform_iteratorI7is_evenIsESF_NSA_11use_defaultESK_EENS0_5tupleIJNSA_16discard_iteratorISK_EESO_EEENSM_IJSG_SG_EEES6_PlJS6_EEE10hipError_tPvRmT3_T4_T5_T6_T7_T9_mT8_P12ihipStream_tbDpT10_ENKUlT_T0_E_clISt17integral_constantIbLb0EES1A_IbLb1EEEEDaS16_S17_EUlS16_E_NS1_11comp_targetILNS1_3genE0ELNS1_11target_archE4294967295ELNS1_3gpuE0ELNS1_3repE0EEENS1_30default_config_static_selectorELNS0_4arch9wavefront6targetE1EEEvT1_
		.amdhsa_group_segment_fixed_size 0
		.amdhsa_private_segment_fixed_size 0
		.amdhsa_kernarg_size 160
		.amdhsa_user_sgpr_count 6
		.amdhsa_user_sgpr_private_segment_buffer 1
		.amdhsa_user_sgpr_dispatch_ptr 0
		.amdhsa_user_sgpr_queue_ptr 0
		.amdhsa_user_sgpr_kernarg_segment_ptr 1
		.amdhsa_user_sgpr_dispatch_id 0
		.amdhsa_user_sgpr_flat_scratch_init 0
		.amdhsa_user_sgpr_kernarg_preload_length 0
		.amdhsa_user_sgpr_kernarg_preload_offset 0
		.amdhsa_user_sgpr_private_segment_size 0
		.amdhsa_uses_dynamic_stack 0
		.amdhsa_system_sgpr_private_segment_wavefront_offset 0
		.amdhsa_system_sgpr_workgroup_id_x 1
		.amdhsa_system_sgpr_workgroup_id_y 0
		.amdhsa_system_sgpr_workgroup_id_z 0
		.amdhsa_system_sgpr_workgroup_info 0
		.amdhsa_system_vgpr_workitem_id 0
		.amdhsa_next_free_vgpr 1
		.amdhsa_next_free_sgpr 0
		.amdhsa_accum_offset 4
		.amdhsa_reserve_vcc 0
		.amdhsa_reserve_flat_scratch 0
		.amdhsa_float_round_mode_32 0
		.amdhsa_float_round_mode_16_64 0
		.amdhsa_float_denorm_mode_32 3
		.amdhsa_float_denorm_mode_16_64 3
		.amdhsa_dx10_clamp 1
		.amdhsa_ieee_mode 1
		.amdhsa_fp16_overflow 0
		.amdhsa_tg_split 0
		.amdhsa_exception_fp_ieee_invalid_op 0
		.amdhsa_exception_fp_denorm_src 0
		.amdhsa_exception_fp_ieee_div_zero 0
		.amdhsa_exception_fp_ieee_overflow 0
		.amdhsa_exception_fp_ieee_underflow 0
		.amdhsa_exception_fp_ieee_inexact 0
		.amdhsa_exception_int_div_zero 0
	.end_amdhsa_kernel
	.section	.text._ZN7rocprim17ROCPRIM_400000_NS6detail17trampoline_kernelINS0_14default_configENS1_25partition_config_selectorILNS1_17partition_subalgoE1EsNS0_10empty_typeEbEEZZNS1_14partition_implILS5_1ELb0ES3_jN6thrust23THRUST_200600_302600_NS6detail15normal_iteratorINSA_10device_ptrIsEEEEPS6_NSA_18transform_iteratorI7is_evenIsESF_NSA_11use_defaultESK_EENS0_5tupleIJNSA_16discard_iteratorISK_EESO_EEENSM_IJSG_SG_EEES6_PlJS6_EEE10hipError_tPvRmT3_T4_T5_T6_T7_T9_mT8_P12ihipStream_tbDpT10_ENKUlT_T0_E_clISt17integral_constantIbLb0EES1A_IbLb1EEEEDaS16_S17_EUlS16_E_NS1_11comp_targetILNS1_3genE0ELNS1_11target_archE4294967295ELNS1_3gpuE0ELNS1_3repE0EEENS1_30default_config_static_selectorELNS0_4arch9wavefront6targetE1EEEvT1_,"axG",@progbits,_ZN7rocprim17ROCPRIM_400000_NS6detail17trampoline_kernelINS0_14default_configENS1_25partition_config_selectorILNS1_17partition_subalgoE1EsNS0_10empty_typeEbEEZZNS1_14partition_implILS5_1ELb0ES3_jN6thrust23THRUST_200600_302600_NS6detail15normal_iteratorINSA_10device_ptrIsEEEEPS6_NSA_18transform_iteratorI7is_evenIsESF_NSA_11use_defaultESK_EENS0_5tupleIJNSA_16discard_iteratorISK_EESO_EEENSM_IJSG_SG_EEES6_PlJS6_EEE10hipError_tPvRmT3_T4_T5_T6_T7_T9_mT8_P12ihipStream_tbDpT10_ENKUlT_T0_E_clISt17integral_constantIbLb0EES1A_IbLb1EEEEDaS16_S17_EUlS16_E_NS1_11comp_targetILNS1_3genE0ELNS1_11target_archE4294967295ELNS1_3gpuE0ELNS1_3repE0EEENS1_30default_config_static_selectorELNS0_4arch9wavefront6targetE1EEEvT1_,comdat
.Lfunc_end3379:
	.size	_ZN7rocprim17ROCPRIM_400000_NS6detail17trampoline_kernelINS0_14default_configENS1_25partition_config_selectorILNS1_17partition_subalgoE1EsNS0_10empty_typeEbEEZZNS1_14partition_implILS5_1ELb0ES3_jN6thrust23THRUST_200600_302600_NS6detail15normal_iteratorINSA_10device_ptrIsEEEEPS6_NSA_18transform_iteratorI7is_evenIsESF_NSA_11use_defaultESK_EENS0_5tupleIJNSA_16discard_iteratorISK_EESO_EEENSM_IJSG_SG_EEES6_PlJS6_EEE10hipError_tPvRmT3_T4_T5_T6_T7_T9_mT8_P12ihipStream_tbDpT10_ENKUlT_T0_E_clISt17integral_constantIbLb0EES1A_IbLb1EEEEDaS16_S17_EUlS16_E_NS1_11comp_targetILNS1_3genE0ELNS1_11target_archE4294967295ELNS1_3gpuE0ELNS1_3repE0EEENS1_30default_config_static_selectorELNS0_4arch9wavefront6targetE1EEEvT1_, .Lfunc_end3379-_ZN7rocprim17ROCPRIM_400000_NS6detail17trampoline_kernelINS0_14default_configENS1_25partition_config_selectorILNS1_17partition_subalgoE1EsNS0_10empty_typeEbEEZZNS1_14partition_implILS5_1ELb0ES3_jN6thrust23THRUST_200600_302600_NS6detail15normal_iteratorINSA_10device_ptrIsEEEEPS6_NSA_18transform_iteratorI7is_evenIsESF_NSA_11use_defaultESK_EENS0_5tupleIJNSA_16discard_iteratorISK_EESO_EEENSM_IJSG_SG_EEES6_PlJS6_EEE10hipError_tPvRmT3_T4_T5_T6_T7_T9_mT8_P12ihipStream_tbDpT10_ENKUlT_T0_E_clISt17integral_constantIbLb0EES1A_IbLb1EEEEDaS16_S17_EUlS16_E_NS1_11comp_targetILNS1_3genE0ELNS1_11target_archE4294967295ELNS1_3gpuE0ELNS1_3repE0EEENS1_30default_config_static_selectorELNS0_4arch9wavefront6targetE1EEEvT1_
                                        ; -- End function
	.section	.AMDGPU.csdata,"",@progbits
; Kernel info:
; codeLenInByte = 0
; NumSgprs: 4
; NumVgprs: 0
; NumAgprs: 0
; TotalNumVgprs: 0
; ScratchSize: 0
; MemoryBound: 0
; FloatMode: 240
; IeeeMode: 1
; LDSByteSize: 0 bytes/workgroup (compile time only)
; SGPRBlocks: 0
; VGPRBlocks: 0
; NumSGPRsForWavesPerEU: 4
; NumVGPRsForWavesPerEU: 1
; AccumOffset: 4
; Occupancy: 8
; WaveLimiterHint : 0
; COMPUTE_PGM_RSRC2:SCRATCH_EN: 0
; COMPUTE_PGM_RSRC2:USER_SGPR: 6
; COMPUTE_PGM_RSRC2:TRAP_HANDLER: 0
; COMPUTE_PGM_RSRC2:TGID_X_EN: 1
; COMPUTE_PGM_RSRC2:TGID_Y_EN: 0
; COMPUTE_PGM_RSRC2:TGID_Z_EN: 0
; COMPUTE_PGM_RSRC2:TIDIG_COMP_CNT: 0
; COMPUTE_PGM_RSRC3_GFX90A:ACCUM_OFFSET: 0
; COMPUTE_PGM_RSRC3_GFX90A:TG_SPLIT: 0
	.section	.text._ZN7rocprim17ROCPRIM_400000_NS6detail17trampoline_kernelINS0_14default_configENS1_25partition_config_selectorILNS1_17partition_subalgoE1EsNS0_10empty_typeEbEEZZNS1_14partition_implILS5_1ELb0ES3_jN6thrust23THRUST_200600_302600_NS6detail15normal_iteratorINSA_10device_ptrIsEEEEPS6_NSA_18transform_iteratorI7is_evenIsESF_NSA_11use_defaultESK_EENS0_5tupleIJNSA_16discard_iteratorISK_EESO_EEENSM_IJSG_SG_EEES6_PlJS6_EEE10hipError_tPvRmT3_T4_T5_T6_T7_T9_mT8_P12ihipStream_tbDpT10_ENKUlT_T0_E_clISt17integral_constantIbLb0EES1A_IbLb1EEEEDaS16_S17_EUlS16_E_NS1_11comp_targetILNS1_3genE5ELNS1_11target_archE942ELNS1_3gpuE9ELNS1_3repE0EEENS1_30default_config_static_selectorELNS0_4arch9wavefront6targetE1EEEvT1_,"axG",@progbits,_ZN7rocprim17ROCPRIM_400000_NS6detail17trampoline_kernelINS0_14default_configENS1_25partition_config_selectorILNS1_17partition_subalgoE1EsNS0_10empty_typeEbEEZZNS1_14partition_implILS5_1ELb0ES3_jN6thrust23THRUST_200600_302600_NS6detail15normal_iteratorINSA_10device_ptrIsEEEEPS6_NSA_18transform_iteratorI7is_evenIsESF_NSA_11use_defaultESK_EENS0_5tupleIJNSA_16discard_iteratorISK_EESO_EEENSM_IJSG_SG_EEES6_PlJS6_EEE10hipError_tPvRmT3_T4_T5_T6_T7_T9_mT8_P12ihipStream_tbDpT10_ENKUlT_T0_E_clISt17integral_constantIbLb0EES1A_IbLb1EEEEDaS16_S17_EUlS16_E_NS1_11comp_targetILNS1_3genE5ELNS1_11target_archE942ELNS1_3gpuE9ELNS1_3repE0EEENS1_30default_config_static_selectorELNS0_4arch9wavefront6targetE1EEEvT1_,comdat
	.protected	_ZN7rocprim17ROCPRIM_400000_NS6detail17trampoline_kernelINS0_14default_configENS1_25partition_config_selectorILNS1_17partition_subalgoE1EsNS0_10empty_typeEbEEZZNS1_14partition_implILS5_1ELb0ES3_jN6thrust23THRUST_200600_302600_NS6detail15normal_iteratorINSA_10device_ptrIsEEEEPS6_NSA_18transform_iteratorI7is_evenIsESF_NSA_11use_defaultESK_EENS0_5tupleIJNSA_16discard_iteratorISK_EESO_EEENSM_IJSG_SG_EEES6_PlJS6_EEE10hipError_tPvRmT3_T4_T5_T6_T7_T9_mT8_P12ihipStream_tbDpT10_ENKUlT_T0_E_clISt17integral_constantIbLb0EES1A_IbLb1EEEEDaS16_S17_EUlS16_E_NS1_11comp_targetILNS1_3genE5ELNS1_11target_archE942ELNS1_3gpuE9ELNS1_3repE0EEENS1_30default_config_static_selectorELNS0_4arch9wavefront6targetE1EEEvT1_ ; -- Begin function _ZN7rocprim17ROCPRIM_400000_NS6detail17trampoline_kernelINS0_14default_configENS1_25partition_config_selectorILNS1_17partition_subalgoE1EsNS0_10empty_typeEbEEZZNS1_14partition_implILS5_1ELb0ES3_jN6thrust23THRUST_200600_302600_NS6detail15normal_iteratorINSA_10device_ptrIsEEEEPS6_NSA_18transform_iteratorI7is_evenIsESF_NSA_11use_defaultESK_EENS0_5tupleIJNSA_16discard_iteratorISK_EESO_EEENSM_IJSG_SG_EEES6_PlJS6_EEE10hipError_tPvRmT3_T4_T5_T6_T7_T9_mT8_P12ihipStream_tbDpT10_ENKUlT_T0_E_clISt17integral_constantIbLb0EES1A_IbLb1EEEEDaS16_S17_EUlS16_E_NS1_11comp_targetILNS1_3genE5ELNS1_11target_archE942ELNS1_3gpuE9ELNS1_3repE0EEENS1_30default_config_static_selectorELNS0_4arch9wavefront6targetE1EEEvT1_
	.globl	_ZN7rocprim17ROCPRIM_400000_NS6detail17trampoline_kernelINS0_14default_configENS1_25partition_config_selectorILNS1_17partition_subalgoE1EsNS0_10empty_typeEbEEZZNS1_14partition_implILS5_1ELb0ES3_jN6thrust23THRUST_200600_302600_NS6detail15normal_iteratorINSA_10device_ptrIsEEEEPS6_NSA_18transform_iteratorI7is_evenIsESF_NSA_11use_defaultESK_EENS0_5tupleIJNSA_16discard_iteratorISK_EESO_EEENSM_IJSG_SG_EEES6_PlJS6_EEE10hipError_tPvRmT3_T4_T5_T6_T7_T9_mT8_P12ihipStream_tbDpT10_ENKUlT_T0_E_clISt17integral_constantIbLb0EES1A_IbLb1EEEEDaS16_S17_EUlS16_E_NS1_11comp_targetILNS1_3genE5ELNS1_11target_archE942ELNS1_3gpuE9ELNS1_3repE0EEENS1_30default_config_static_selectorELNS0_4arch9wavefront6targetE1EEEvT1_
	.p2align	8
	.type	_ZN7rocprim17ROCPRIM_400000_NS6detail17trampoline_kernelINS0_14default_configENS1_25partition_config_selectorILNS1_17partition_subalgoE1EsNS0_10empty_typeEbEEZZNS1_14partition_implILS5_1ELb0ES3_jN6thrust23THRUST_200600_302600_NS6detail15normal_iteratorINSA_10device_ptrIsEEEEPS6_NSA_18transform_iteratorI7is_evenIsESF_NSA_11use_defaultESK_EENS0_5tupleIJNSA_16discard_iteratorISK_EESO_EEENSM_IJSG_SG_EEES6_PlJS6_EEE10hipError_tPvRmT3_T4_T5_T6_T7_T9_mT8_P12ihipStream_tbDpT10_ENKUlT_T0_E_clISt17integral_constantIbLb0EES1A_IbLb1EEEEDaS16_S17_EUlS16_E_NS1_11comp_targetILNS1_3genE5ELNS1_11target_archE942ELNS1_3gpuE9ELNS1_3repE0EEENS1_30default_config_static_selectorELNS0_4arch9wavefront6targetE1EEEvT1_,@function
_ZN7rocprim17ROCPRIM_400000_NS6detail17trampoline_kernelINS0_14default_configENS1_25partition_config_selectorILNS1_17partition_subalgoE1EsNS0_10empty_typeEbEEZZNS1_14partition_implILS5_1ELb0ES3_jN6thrust23THRUST_200600_302600_NS6detail15normal_iteratorINSA_10device_ptrIsEEEEPS6_NSA_18transform_iteratorI7is_evenIsESF_NSA_11use_defaultESK_EENS0_5tupleIJNSA_16discard_iteratorISK_EESO_EEENSM_IJSG_SG_EEES6_PlJS6_EEE10hipError_tPvRmT3_T4_T5_T6_T7_T9_mT8_P12ihipStream_tbDpT10_ENKUlT_T0_E_clISt17integral_constantIbLb0EES1A_IbLb1EEEEDaS16_S17_EUlS16_E_NS1_11comp_targetILNS1_3genE5ELNS1_11target_archE942ELNS1_3gpuE9ELNS1_3repE0EEENS1_30default_config_static_selectorELNS0_4arch9wavefront6targetE1EEEvT1_: ; @_ZN7rocprim17ROCPRIM_400000_NS6detail17trampoline_kernelINS0_14default_configENS1_25partition_config_selectorILNS1_17partition_subalgoE1EsNS0_10empty_typeEbEEZZNS1_14partition_implILS5_1ELb0ES3_jN6thrust23THRUST_200600_302600_NS6detail15normal_iteratorINSA_10device_ptrIsEEEEPS6_NSA_18transform_iteratorI7is_evenIsESF_NSA_11use_defaultESK_EENS0_5tupleIJNSA_16discard_iteratorISK_EESO_EEENSM_IJSG_SG_EEES6_PlJS6_EEE10hipError_tPvRmT3_T4_T5_T6_T7_T9_mT8_P12ihipStream_tbDpT10_ENKUlT_T0_E_clISt17integral_constantIbLb0EES1A_IbLb1EEEEDaS16_S17_EUlS16_E_NS1_11comp_targetILNS1_3genE5ELNS1_11target_archE942ELNS1_3gpuE9ELNS1_3repE0EEENS1_30default_config_static_selectorELNS0_4arch9wavefront6targetE1EEEvT1_
; %bb.0:
	.section	.rodata,"a",@progbits
	.p2align	6, 0x0
	.amdhsa_kernel _ZN7rocprim17ROCPRIM_400000_NS6detail17trampoline_kernelINS0_14default_configENS1_25partition_config_selectorILNS1_17partition_subalgoE1EsNS0_10empty_typeEbEEZZNS1_14partition_implILS5_1ELb0ES3_jN6thrust23THRUST_200600_302600_NS6detail15normal_iteratorINSA_10device_ptrIsEEEEPS6_NSA_18transform_iteratorI7is_evenIsESF_NSA_11use_defaultESK_EENS0_5tupleIJNSA_16discard_iteratorISK_EESO_EEENSM_IJSG_SG_EEES6_PlJS6_EEE10hipError_tPvRmT3_T4_T5_T6_T7_T9_mT8_P12ihipStream_tbDpT10_ENKUlT_T0_E_clISt17integral_constantIbLb0EES1A_IbLb1EEEEDaS16_S17_EUlS16_E_NS1_11comp_targetILNS1_3genE5ELNS1_11target_archE942ELNS1_3gpuE9ELNS1_3repE0EEENS1_30default_config_static_selectorELNS0_4arch9wavefront6targetE1EEEvT1_
		.amdhsa_group_segment_fixed_size 0
		.amdhsa_private_segment_fixed_size 0
		.amdhsa_kernarg_size 160
		.amdhsa_user_sgpr_count 6
		.amdhsa_user_sgpr_private_segment_buffer 1
		.amdhsa_user_sgpr_dispatch_ptr 0
		.amdhsa_user_sgpr_queue_ptr 0
		.amdhsa_user_sgpr_kernarg_segment_ptr 1
		.amdhsa_user_sgpr_dispatch_id 0
		.amdhsa_user_sgpr_flat_scratch_init 0
		.amdhsa_user_sgpr_kernarg_preload_length 0
		.amdhsa_user_sgpr_kernarg_preload_offset 0
		.amdhsa_user_sgpr_private_segment_size 0
		.amdhsa_uses_dynamic_stack 0
		.amdhsa_system_sgpr_private_segment_wavefront_offset 0
		.amdhsa_system_sgpr_workgroup_id_x 1
		.amdhsa_system_sgpr_workgroup_id_y 0
		.amdhsa_system_sgpr_workgroup_id_z 0
		.amdhsa_system_sgpr_workgroup_info 0
		.amdhsa_system_vgpr_workitem_id 0
		.amdhsa_next_free_vgpr 1
		.amdhsa_next_free_sgpr 0
		.amdhsa_accum_offset 4
		.amdhsa_reserve_vcc 0
		.amdhsa_reserve_flat_scratch 0
		.amdhsa_float_round_mode_32 0
		.amdhsa_float_round_mode_16_64 0
		.amdhsa_float_denorm_mode_32 3
		.amdhsa_float_denorm_mode_16_64 3
		.amdhsa_dx10_clamp 1
		.amdhsa_ieee_mode 1
		.amdhsa_fp16_overflow 0
		.amdhsa_tg_split 0
		.amdhsa_exception_fp_ieee_invalid_op 0
		.amdhsa_exception_fp_denorm_src 0
		.amdhsa_exception_fp_ieee_div_zero 0
		.amdhsa_exception_fp_ieee_overflow 0
		.amdhsa_exception_fp_ieee_underflow 0
		.amdhsa_exception_fp_ieee_inexact 0
		.amdhsa_exception_int_div_zero 0
	.end_amdhsa_kernel
	.section	.text._ZN7rocprim17ROCPRIM_400000_NS6detail17trampoline_kernelINS0_14default_configENS1_25partition_config_selectorILNS1_17partition_subalgoE1EsNS0_10empty_typeEbEEZZNS1_14partition_implILS5_1ELb0ES3_jN6thrust23THRUST_200600_302600_NS6detail15normal_iteratorINSA_10device_ptrIsEEEEPS6_NSA_18transform_iteratorI7is_evenIsESF_NSA_11use_defaultESK_EENS0_5tupleIJNSA_16discard_iteratorISK_EESO_EEENSM_IJSG_SG_EEES6_PlJS6_EEE10hipError_tPvRmT3_T4_T5_T6_T7_T9_mT8_P12ihipStream_tbDpT10_ENKUlT_T0_E_clISt17integral_constantIbLb0EES1A_IbLb1EEEEDaS16_S17_EUlS16_E_NS1_11comp_targetILNS1_3genE5ELNS1_11target_archE942ELNS1_3gpuE9ELNS1_3repE0EEENS1_30default_config_static_selectorELNS0_4arch9wavefront6targetE1EEEvT1_,"axG",@progbits,_ZN7rocprim17ROCPRIM_400000_NS6detail17trampoline_kernelINS0_14default_configENS1_25partition_config_selectorILNS1_17partition_subalgoE1EsNS0_10empty_typeEbEEZZNS1_14partition_implILS5_1ELb0ES3_jN6thrust23THRUST_200600_302600_NS6detail15normal_iteratorINSA_10device_ptrIsEEEEPS6_NSA_18transform_iteratorI7is_evenIsESF_NSA_11use_defaultESK_EENS0_5tupleIJNSA_16discard_iteratorISK_EESO_EEENSM_IJSG_SG_EEES6_PlJS6_EEE10hipError_tPvRmT3_T4_T5_T6_T7_T9_mT8_P12ihipStream_tbDpT10_ENKUlT_T0_E_clISt17integral_constantIbLb0EES1A_IbLb1EEEEDaS16_S17_EUlS16_E_NS1_11comp_targetILNS1_3genE5ELNS1_11target_archE942ELNS1_3gpuE9ELNS1_3repE0EEENS1_30default_config_static_selectorELNS0_4arch9wavefront6targetE1EEEvT1_,comdat
.Lfunc_end3380:
	.size	_ZN7rocprim17ROCPRIM_400000_NS6detail17trampoline_kernelINS0_14default_configENS1_25partition_config_selectorILNS1_17partition_subalgoE1EsNS0_10empty_typeEbEEZZNS1_14partition_implILS5_1ELb0ES3_jN6thrust23THRUST_200600_302600_NS6detail15normal_iteratorINSA_10device_ptrIsEEEEPS6_NSA_18transform_iteratorI7is_evenIsESF_NSA_11use_defaultESK_EENS0_5tupleIJNSA_16discard_iteratorISK_EESO_EEENSM_IJSG_SG_EEES6_PlJS6_EEE10hipError_tPvRmT3_T4_T5_T6_T7_T9_mT8_P12ihipStream_tbDpT10_ENKUlT_T0_E_clISt17integral_constantIbLb0EES1A_IbLb1EEEEDaS16_S17_EUlS16_E_NS1_11comp_targetILNS1_3genE5ELNS1_11target_archE942ELNS1_3gpuE9ELNS1_3repE0EEENS1_30default_config_static_selectorELNS0_4arch9wavefront6targetE1EEEvT1_, .Lfunc_end3380-_ZN7rocprim17ROCPRIM_400000_NS6detail17trampoline_kernelINS0_14default_configENS1_25partition_config_selectorILNS1_17partition_subalgoE1EsNS0_10empty_typeEbEEZZNS1_14partition_implILS5_1ELb0ES3_jN6thrust23THRUST_200600_302600_NS6detail15normal_iteratorINSA_10device_ptrIsEEEEPS6_NSA_18transform_iteratorI7is_evenIsESF_NSA_11use_defaultESK_EENS0_5tupleIJNSA_16discard_iteratorISK_EESO_EEENSM_IJSG_SG_EEES6_PlJS6_EEE10hipError_tPvRmT3_T4_T5_T6_T7_T9_mT8_P12ihipStream_tbDpT10_ENKUlT_T0_E_clISt17integral_constantIbLb0EES1A_IbLb1EEEEDaS16_S17_EUlS16_E_NS1_11comp_targetILNS1_3genE5ELNS1_11target_archE942ELNS1_3gpuE9ELNS1_3repE0EEENS1_30default_config_static_selectorELNS0_4arch9wavefront6targetE1EEEvT1_
                                        ; -- End function
	.section	.AMDGPU.csdata,"",@progbits
; Kernel info:
; codeLenInByte = 0
; NumSgprs: 4
; NumVgprs: 0
; NumAgprs: 0
; TotalNumVgprs: 0
; ScratchSize: 0
; MemoryBound: 0
; FloatMode: 240
; IeeeMode: 1
; LDSByteSize: 0 bytes/workgroup (compile time only)
; SGPRBlocks: 0
; VGPRBlocks: 0
; NumSGPRsForWavesPerEU: 4
; NumVGPRsForWavesPerEU: 1
; AccumOffset: 4
; Occupancy: 8
; WaveLimiterHint : 0
; COMPUTE_PGM_RSRC2:SCRATCH_EN: 0
; COMPUTE_PGM_RSRC2:USER_SGPR: 6
; COMPUTE_PGM_RSRC2:TRAP_HANDLER: 0
; COMPUTE_PGM_RSRC2:TGID_X_EN: 1
; COMPUTE_PGM_RSRC2:TGID_Y_EN: 0
; COMPUTE_PGM_RSRC2:TGID_Z_EN: 0
; COMPUTE_PGM_RSRC2:TIDIG_COMP_CNT: 0
; COMPUTE_PGM_RSRC3_GFX90A:ACCUM_OFFSET: 0
; COMPUTE_PGM_RSRC3_GFX90A:TG_SPLIT: 0
	.section	.text._ZN7rocprim17ROCPRIM_400000_NS6detail17trampoline_kernelINS0_14default_configENS1_25partition_config_selectorILNS1_17partition_subalgoE1EsNS0_10empty_typeEbEEZZNS1_14partition_implILS5_1ELb0ES3_jN6thrust23THRUST_200600_302600_NS6detail15normal_iteratorINSA_10device_ptrIsEEEEPS6_NSA_18transform_iteratorI7is_evenIsESF_NSA_11use_defaultESK_EENS0_5tupleIJNSA_16discard_iteratorISK_EESO_EEENSM_IJSG_SG_EEES6_PlJS6_EEE10hipError_tPvRmT3_T4_T5_T6_T7_T9_mT8_P12ihipStream_tbDpT10_ENKUlT_T0_E_clISt17integral_constantIbLb0EES1A_IbLb1EEEEDaS16_S17_EUlS16_E_NS1_11comp_targetILNS1_3genE4ELNS1_11target_archE910ELNS1_3gpuE8ELNS1_3repE0EEENS1_30default_config_static_selectorELNS0_4arch9wavefront6targetE1EEEvT1_,"axG",@progbits,_ZN7rocprim17ROCPRIM_400000_NS6detail17trampoline_kernelINS0_14default_configENS1_25partition_config_selectorILNS1_17partition_subalgoE1EsNS0_10empty_typeEbEEZZNS1_14partition_implILS5_1ELb0ES3_jN6thrust23THRUST_200600_302600_NS6detail15normal_iteratorINSA_10device_ptrIsEEEEPS6_NSA_18transform_iteratorI7is_evenIsESF_NSA_11use_defaultESK_EENS0_5tupleIJNSA_16discard_iteratorISK_EESO_EEENSM_IJSG_SG_EEES6_PlJS6_EEE10hipError_tPvRmT3_T4_T5_T6_T7_T9_mT8_P12ihipStream_tbDpT10_ENKUlT_T0_E_clISt17integral_constantIbLb0EES1A_IbLb1EEEEDaS16_S17_EUlS16_E_NS1_11comp_targetILNS1_3genE4ELNS1_11target_archE910ELNS1_3gpuE8ELNS1_3repE0EEENS1_30default_config_static_selectorELNS0_4arch9wavefront6targetE1EEEvT1_,comdat
	.protected	_ZN7rocprim17ROCPRIM_400000_NS6detail17trampoline_kernelINS0_14default_configENS1_25partition_config_selectorILNS1_17partition_subalgoE1EsNS0_10empty_typeEbEEZZNS1_14partition_implILS5_1ELb0ES3_jN6thrust23THRUST_200600_302600_NS6detail15normal_iteratorINSA_10device_ptrIsEEEEPS6_NSA_18transform_iteratorI7is_evenIsESF_NSA_11use_defaultESK_EENS0_5tupleIJNSA_16discard_iteratorISK_EESO_EEENSM_IJSG_SG_EEES6_PlJS6_EEE10hipError_tPvRmT3_T4_T5_T6_T7_T9_mT8_P12ihipStream_tbDpT10_ENKUlT_T0_E_clISt17integral_constantIbLb0EES1A_IbLb1EEEEDaS16_S17_EUlS16_E_NS1_11comp_targetILNS1_3genE4ELNS1_11target_archE910ELNS1_3gpuE8ELNS1_3repE0EEENS1_30default_config_static_selectorELNS0_4arch9wavefront6targetE1EEEvT1_ ; -- Begin function _ZN7rocprim17ROCPRIM_400000_NS6detail17trampoline_kernelINS0_14default_configENS1_25partition_config_selectorILNS1_17partition_subalgoE1EsNS0_10empty_typeEbEEZZNS1_14partition_implILS5_1ELb0ES3_jN6thrust23THRUST_200600_302600_NS6detail15normal_iteratorINSA_10device_ptrIsEEEEPS6_NSA_18transform_iteratorI7is_evenIsESF_NSA_11use_defaultESK_EENS0_5tupleIJNSA_16discard_iteratorISK_EESO_EEENSM_IJSG_SG_EEES6_PlJS6_EEE10hipError_tPvRmT3_T4_T5_T6_T7_T9_mT8_P12ihipStream_tbDpT10_ENKUlT_T0_E_clISt17integral_constantIbLb0EES1A_IbLb1EEEEDaS16_S17_EUlS16_E_NS1_11comp_targetILNS1_3genE4ELNS1_11target_archE910ELNS1_3gpuE8ELNS1_3repE0EEENS1_30default_config_static_selectorELNS0_4arch9wavefront6targetE1EEEvT1_
	.globl	_ZN7rocprim17ROCPRIM_400000_NS6detail17trampoline_kernelINS0_14default_configENS1_25partition_config_selectorILNS1_17partition_subalgoE1EsNS0_10empty_typeEbEEZZNS1_14partition_implILS5_1ELb0ES3_jN6thrust23THRUST_200600_302600_NS6detail15normal_iteratorINSA_10device_ptrIsEEEEPS6_NSA_18transform_iteratorI7is_evenIsESF_NSA_11use_defaultESK_EENS0_5tupleIJNSA_16discard_iteratorISK_EESO_EEENSM_IJSG_SG_EEES6_PlJS6_EEE10hipError_tPvRmT3_T4_T5_T6_T7_T9_mT8_P12ihipStream_tbDpT10_ENKUlT_T0_E_clISt17integral_constantIbLb0EES1A_IbLb1EEEEDaS16_S17_EUlS16_E_NS1_11comp_targetILNS1_3genE4ELNS1_11target_archE910ELNS1_3gpuE8ELNS1_3repE0EEENS1_30default_config_static_selectorELNS0_4arch9wavefront6targetE1EEEvT1_
	.p2align	8
	.type	_ZN7rocprim17ROCPRIM_400000_NS6detail17trampoline_kernelINS0_14default_configENS1_25partition_config_selectorILNS1_17partition_subalgoE1EsNS0_10empty_typeEbEEZZNS1_14partition_implILS5_1ELb0ES3_jN6thrust23THRUST_200600_302600_NS6detail15normal_iteratorINSA_10device_ptrIsEEEEPS6_NSA_18transform_iteratorI7is_evenIsESF_NSA_11use_defaultESK_EENS0_5tupleIJNSA_16discard_iteratorISK_EESO_EEENSM_IJSG_SG_EEES6_PlJS6_EEE10hipError_tPvRmT3_T4_T5_T6_T7_T9_mT8_P12ihipStream_tbDpT10_ENKUlT_T0_E_clISt17integral_constantIbLb0EES1A_IbLb1EEEEDaS16_S17_EUlS16_E_NS1_11comp_targetILNS1_3genE4ELNS1_11target_archE910ELNS1_3gpuE8ELNS1_3repE0EEENS1_30default_config_static_selectorELNS0_4arch9wavefront6targetE1EEEvT1_,@function
_ZN7rocprim17ROCPRIM_400000_NS6detail17trampoline_kernelINS0_14default_configENS1_25partition_config_selectorILNS1_17partition_subalgoE1EsNS0_10empty_typeEbEEZZNS1_14partition_implILS5_1ELb0ES3_jN6thrust23THRUST_200600_302600_NS6detail15normal_iteratorINSA_10device_ptrIsEEEEPS6_NSA_18transform_iteratorI7is_evenIsESF_NSA_11use_defaultESK_EENS0_5tupleIJNSA_16discard_iteratorISK_EESO_EEENSM_IJSG_SG_EEES6_PlJS6_EEE10hipError_tPvRmT3_T4_T5_T6_T7_T9_mT8_P12ihipStream_tbDpT10_ENKUlT_T0_E_clISt17integral_constantIbLb0EES1A_IbLb1EEEEDaS16_S17_EUlS16_E_NS1_11comp_targetILNS1_3genE4ELNS1_11target_archE910ELNS1_3gpuE8ELNS1_3repE0EEENS1_30default_config_static_selectorELNS0_4arch9wavefront6targetE1EEEvT1_: ; @_ZN7rocprim17ROCPRIM_400000_NS6detail17trampoline_kernelINS0_14default_configENS1_25partition_config_selectorILNS1_17partition_subalgoE1EsNS0_10empty_typeEbEEZZNS1_14partition_implILS5_1ELb0ES3_jN6thrust23THRUST_200600_302600_NS6detail15normal_iteratorINSA_10device_ptrIsEEEEPS6_NSA_18transform_iteratorI7is_evenIsESF_NSA_11use_defaultESK_EENS0_5tupleIJNSA_16discard_iteratorISK_EESO_EEENSM_IJSG_SG_EEES6_PlJS6_EEE10hipError_tPvRmT3_T4_T5_T6_T7_T9_mT8_P12ihipStream_tbDpT10_ENKUlT_T0_E_clISt17integral_constantIbLb0EES1A_IbLb1EEEEDaS16_S17_EUlS16_E_NS1_11comp_targetILNS1_3genE4ELNS1_11target_archE910ELNS1_3gpuE8ELNS1_3repE0EEENS1_30default_config_static_selectorELNS0_4arch9wavefront6targetE1EEEvT1_
; %bb.0:
	s_load_dwordx2 s[6:7], s[4:5], 0x20
	s_load_dwordx4 s[20:23], s[4:5], 0x60
	s_load_dwordx2 s[2:3], s[4:5], 0x70
	s_load_dwordx2 s[24:25], s[4:5], 0x80
	v_cmp_eq_u32_e64 s[0:1], 0, v0
	s_and_saveexec_b64 s[8:9], s[0:1]
	s_cbranch_execz .LBB3381_4
; %bb.1:
	s_mov_b64 s[12:13], exec
	v_mbcnt_lo_u32_b32 v1, s12, 0
	v_mbcnt_hi_u32_b32 v1, s13, v1
	v_cmp_eq_u32_e32 vcc, 0, v1
                                        ; implicit-def: $vgpr2
	s_and_saveexec_b64 s[10:11], vcc
	s_cbranch_execz .LBB3381_3
; %bb.2:
	s_load_dwordx2 s[14:15], s[4:5], 0x90
	s_bcnt1_i32_b64 s12, s[12:13]
	v_mov_b32_e32 v2, 0
	v_mov_b32_e32 v3, s12
	s_waitcnt lgkmcnt(0)
	global_atomic_add v2, v2, v3, s[14:15] glc
.LBB3381_3:
	s_or_b64 exec, exec, s[10:11]
	s_waitcnt vmcnt(0)
	v_readfirstlane_b32 s10, v2
	v_add_u32_e32 v1, s10, v1
	v_mov_b32_e32 v2, 0
	ds_write_b32 v2, v1
.LBB3381_4:
	s_or_b64 exec, exec, s[8:9]
	v_mov_b32_e32 v1, 0
	s_load_dwordx4 s[8:11], s[4:5], 0x8
	s_load_dword s12, s[4:5], 0x88
	s_waitcnt lgkmcnt(0)
	s_barrier
	ds_read_b32 v4, v1
	s_waitcnt lgkmcnt(0)
	s_barrier
	global_load_dwordx2 v[10:11], v1, s[22:23]
	s_lshl_b64 s[4:5], s[10:11], 1
	v_mov_b32_e32 v3, s3
	s_add_u32 s13, s8, s4
	s_mul_i32 s3, s12, 0x1400
	s_addc_u32 s22, s9, s5
	s_add_i32 s9, s3, s10
	s_sub_i32 s14, s2, s9
	s_add_i32 s8, s12, -1
	s_addk_i32 s14, 0x1400
	v_mov_b32_e32 v2, s2
	s_add_u32 s2, s10, s3
	v_readfirstlane_b32 s30, v4
	s_addc_u32 s3, s11, 0
	s_cmp_eq_u32 s30, s8
	s_cselect_b64 s[18:19], -1, 0
	s_cmp_lg_u32 s30, s8
	s_mul_i32 s16, s30, 0x1400
	s_mov_b32 s17, 0
	v_cmp_lt_u64_e32 vcc, s[2:3], v[2:3]
	s_cselect_b64 s[2:3], -1, 0
	s_or_b64 s[8:9], vcc, s[2:3]
	s_lshl_b64 s[10:11], s[16:17], 1
	s_add_u32 s15, s13, s10
	s_addc_u32 s16, s22, s11
	s_mov_b64 s[2:3], -1
	s_and_b64 vcc, exec, s[8:9]
	v_lshlrev_b32_e32 v14, 1, v0
	s_cbranch_vccz .LBB3381_6
; %bb.5:
	v_mov_b32_e32 v1, s16
	v_add_co_u32_e32 v2, vcc, s15, v14
	v_addc_co_u32_e32 v3, vcc, 0, v1, vcc
	v_add_co_u32_e32 v4, vcc, 0x1000, v2
	v_addc_co_u32_e32 v5, vcc, 0, v3, vcc
	flat_load_ushort v1, v[2:3]
	flat_load_ushort v6, v[2:3] offset:512
	flat_load_ushort v7, v[2:3] offset:1024
	;; [unrolled: 1-line block ×7, first 2 shown]
	v_add_co_u32_e32 v2, vcc, 0x2000, v2
	v_addc_co_u32_e32 v3, vcc, 0, v3, vcc
	flat_load_ushort v16, v[4:5]
	flat_load_ushort v17, v[4:5] offset:512
	flat_load_ushort v18, v[4:5] offset:1024
	;; [unrolled: 1-line block ×7, first 2 shown]
	s_nop 0
	flat_load_ushort v4, v[2:3]
	flat_load_ushort v5, v[2:3] offset:512
	flat_load_ushort v24, v[2:3] offset:1024
	;; [unrolled: 1-line block ×3, first 2 shown]
	s_mov_b64 s[2:3], 0
	s_waitcnt vmcnt(0) lgkmcnt(0)
	ds_write_b16 v14, v1
	ds_write_b16 v14, v6 offset:512
	ds_write_b16 v14, v7 offset:1024
	;; [unrolled: 1-line block ×19, first 2 shown]
	s_waitcnt lgkmcnt(0)
	s_barrier
.LBB3381_6:
	s_andn2_b64 vcc, exec, s[2:3]
	v_cmp_gt_u32_e64 s[2:3], s14, v0
	s_cbranch_vccnz .LBB3381_48
; %bb.7:
                                        ; implicit-def: $vgpr1
	s_and_saveexec_b64 s[12:13], s[2:3]
	s_cbranch_execz .LBB3381_9
; %bb.8:
	v_mov_b32_e32 v1, s16
	v_add_co_u32_e32 v2, vcc, s15, v14
	v_addc_co_u32_e32 v3, vcc, 0, v1, vcc
	flat_load_ushort v1, v[2:3]
.LBB3381_9:
	s_or_b64 exec, exec, s[12:13]
	v_or_b32_e32 v2, 0x100, v0
	v_cmp_gt_u32_e32 vcc, s14, v2
                                        ; implicit-def: $vgpr2
	s_and_saveexec_b64 s[2:3], vcc
	s_cbranch_execz .LBB3381_11
; %bb.10:
	v_mov_b32_e32 v3, s16
	v_add_co_u32_e32 v2, vcc, s15, v14
	v_addc_co_u32_e32 v3, vcc, 0, v3, vcc
	flat_load_ushort v2, v[2:3] offset:512
.LBB3381_11:
	s_or_b64 exec, exec, s[2:3]
	v_or_b32_e32 v3, 0x200, v0
	v_cmp_gt_u32_e32 vcc, s14, v3
                                        ; implicit-def: $vgpr3
	s_and_saveexec_b64 s[2:3], vcc
	s_cbranch_execz .LBB3381_13
; %bb.12:
	v_mov_b32_e32 v3, s16
	v_add_co_u32_e32 v4, vcc, s15, v14
	v_addc_co_u32_e32 v5, vcc, 0, v3, vcc
	flat_load_ushort v3, v[4:5] offset:1024
.LBB3381_13:
	s_or_b64 exec, exec, s[2:3]
	v_or_b32_e32 v4, 0x300, v0
	v_cmp_gt_u32_e32 vcc, s14, v4
                                        ; implicit-def: $vgpr4
	s_and_saveexec_b64 s[2:3], vcc
	s_cbranch_execz .LBB3381_15
; %bb.14:
	v_mov_b32_e32 v5, s16
	v_add_co_u32_e32 v4, vcc, s15, v14
	v_addc_co_u32_e32 v5, vcc, 0, v5, vcc
	flat_load_ushort v4, v[4:5] offset:1536
.LBB3381_15:
	s_or_b64 exec, exec, s[2:3]
	v_or_b32_e32 v5, 0x400, v0
	v_cmp_gt_u32_e32 vcc, s14, v5
                                        ; implicit-def: $vgpr5
	s_and_saveexec_b64 s[2:3], vcc
	s_cbranch_execz .LBB3381_17
; %bb.16:
	v_mov_b32_e32 v5, s16
	v_add_co_u32_e32 v6, vcc, s15, v14
	v_addc_co_u32_e32 v7, vcc, 0, v5, vcc
	flat_load_ushort v5, v[6:7] offset:2048
.LBB3381_17:
	s_or_b64 exec, exec, s[2:3]
	v_or_b32_e32 v6, 0x500, v0
	v_cmp_gt_u32_e32 vcc, s14, v6
                                        ; implicit-def: $vgpr6
	s_and_saveexec_b64 s[2:3], vcc
	s_cbranch_execz .LBB3381_19
; %bb.18:
	v_mov_b32_e32 v7, s16
	v_add_co_u32_e32 v6, vcc, s15, v14
	v_addc_co_u32_e32 v7, vcc, 0, v7, vcc
	flat_load_ushort v6, v[6:7] offset:2560
.LBB3381_19:
	s_or_b64 exec, exec, s[2:3]
	v_or_b32_e32 v7, 0x600, v0
	v_cmp_gt_u32_e32 vcc, s14, v7
                                        ; implicit-def: $vgpr7
	s_and_saveexec_b64 s[2:3], vcc
	s_cbranch_execz .LBB3381_21
; %bb.20:
	v_mov_b32_e32 v7, s16
	v_add_co_u32_e32 v8, vcc, s15, v14
	v_addc_co_u32_e32 v9, vcc, 0, v7, vcc
	flat_load_ushort v7, v[8:9] offset:3072
.LBB3381_21:
	s_or_b64 exec, exec, s[2:3]
	v_or_b32_e32 v8, 0x700, v0
	v_cmp_gt_u32_e32 vcc, s14, v8
                                        ; implicit-def: $vgpr8
	s_and_saveexec_b64 s[2:3], vcc
	s_cbranch_execz .LBB3381_23
; %bb.22:
	v_mov_b32_e32 v9, s16
	v_add_co_u32_e32 v8, vcc, s15, v14
	v_addc_co_u32_e32 v9, vcc, 0, v9, vcc
	flat_load_ushort v8, v[8:9] offset:3584
.LBB3381_23:
	s_or_b64 exec, exec, s[2:3]
	v_or_b32_e32 v12, 0x800, v0
	v_cmp_gt_u32_e32 vcc, s14, v12
                                        ; implicit-def: $vgpr9
	s_and_saveexec_b64 s[2:3], vcc
	s_cbranch_execz .LBB3381_25
; %bb.24:
	v_lshlrev_b32_e32 v9, 1, v12
	v_mov_b32_e32 v13, s16
	v_add_co_u32_e32 v12, vcc, s15, v9
	v_addc_co_u32_e32 v13, vcc, 0, v13, vcc
	flat_load_ushort v9, v[12:13]
.LBB3381_25:
	s_or_b64 exec, exec, s[2:3]
	v_or_b32_e32 v13, 0x900, v0
	v_cmp_gt_u32_e32 vcc, s14, v13
                                        ; implicit-def: $vgpr12
	s_and_saveexec_b64 s[2:3], vcc
	s_cbranch_execz .LBB3381_27
; %bb.26:
	v_lshlrev_b32_e32 v12, 1, v13
	v_mov_b32_e32 v13, s16
	v_add_co_u32_e32 v12, vcc, s15, v12
	v_addc_co_u32_e32 v13, vcc, 0, v13, vcc
	flat_load_ushort v12, v[12:13]
.LBB3381_27:
	s_or_b64 exec, exec, s[2:3]
	v_or_b32_e32 v15, 0xa00, v0
	v_cmp_gt_u32_e32 vcc, s14, v15
                                        ; implicit-def: $vgpr13
	s_and_saveexec_b64 s[2:3], vcc
	s_cbranch_execz .LBB3381_29
; %bb.28:
	v_lshlrev_b32_e32 v13, 1, v15
	v_mov_b32_e32 v15, s16
	v_add_co_u32_e32 v16, vcc, s15, v13
	v_addc_co_u32_e32 v17, vcc, 0, v15, vcc
	flat_load_ushort v13, v[16:17]
.LBB3381_29:
	s_or_b64 exec, exec, s[2:3]
	v_or_b32_e32 v16, 0xb00, v0
	v_cmp_gt_u32_e32 vcc, s14, v16
                                        ; implicit-def: $vgpr15
	s_and_saveexec_b64 s[2:3], vcc
	s_cbranch_execz .LBB3381_31
; %bb.30:
	v_lshlrev_b32_e32 v15, 1, v16
	v_mov_b32_e32 v17, s16
	v_add_co_u32_e32 v16, vcc, s15, v15
	v_addc_co_u32_e32 v17, vcc, 0, v17, vcc
	flat_load_ushort v15, v[16:17]
.LBB3381_31:
	s_or_b64 exec, exec, s[2:3]
	v_or_b32_e32 v17, 0xc00, v0
	v_cmp_gt_u32_e32 vcc, s14, v17
                                        ; implicit-def: $vgpr16
	s_and_saveexec_b64 s[2:3], vcc
	s_cbranch_execz .LBB3381_33
; %bb.32:
	v_lshlrev_b32_e32 v16, 1, v17
	v_mov_b32_e32 v17, s16
	v_add_co_u32_e32 v16, vcc, s15, v16
	v_addc_co_u32_e32 v17, vcc, 0, v17, vcc
	flat_load_ushort v16, v[16:17]
.LBB3381_33:
	s_or_b64 exec, exec, s[2:3]
	v_or_b32_e32 v18, 0xd00, v0
	v_cmp_gt_u32_e32 vcc, s14, v18
                                        ; implicit-def: $vgpr17
	s_and_saveexec_b64 s[2:3], vcc
	s_cbranch_execz .LBB3381_35
; %bb.34:
	v_lshlrev_b32_e32 v17, 1, v18
	v_mov_b32_e32 v19, s16
	v_add_co_u32_e32 v18, vcc, s15, v17
	v_addc_co_u32_e32 v19, vcc, 0, v19, vcc
	flat_load_ushort v17, v[18:19]
.LBB3381_35:
	s_or_b64 exec, exec, s[2:3]
	v_or_b32_e32 v19, 0xe00, v0
	v_cmp_gt_u32_e32 vcc, s14, v19
                                        ; implicit-def: $vgpr18
	s_and_saveexec_b64 s[2:3], vcc
	s_cbranch_execz .LBB3381_37
; %bb.36:
	v_lshlrev_b32_e32 v18, 1, v19
	v_mov_b32_e32 v19, s16
	v_add_co_u32_e32 v18, vcc, s15, v18
	v_addc_co_u32_e32 v19, vcc, 0, v19, vcc
	flat_load_ushort v18, v[18:19]
.LBB3381_37:
	s_or_b64 exec, exec, s[2:3]
	v_or_b32_e32 v20, 0xf00, v0
	v_cmp_gt_u32_e32 vcc, s14, v20
                                        ; implicit-def: $vgpr19
	s_and_saveexec_b64 s[2:3], vcc
	s_cbranch_execz .LBB3381_39
; %bb.38:
	v_lshlrev_b32_e32 v19, 1, v20
	v_mov_b32_e32 v21, s16
	v_add_co_u32_e32 v20, vcc, s15, v19
	v_addc_co_u32_e32 v21, vcc, 0, v21, vcc
	flat_load_ushort v19, v[20:21]
.LBB3381_39:
	s_or_b64 exec, exec, s[2:3]
	v_or_b32_e32 v21, 0x1000, v0
	v_cmp_gt_u32_e32 vcc, s14, v21
                                        ; implicit-def: $vgpr20
	s_and_saveexec_b64 s[2:3], vcc
	s_cbranch_execz .LBB3381_41
; %bb.40:
	v_lshlrev_b32_e32 v20, 1, v21
	v_mov_b32_e32 v21, s16
	v_add_co_u32_e32 v20, vcc, s15, v20
	v_addc_co_u32_e32 v21, vcc, 0, v21, vcc
	flat_load_ushort v20, v[20:21]
.LBB3381_41:
	s_or_b64 exec, exec, s[2:3]
	v_or_b32_e32 v22, 0x1100, v0
	v_cmp_gt_u32_e32 vcc, s14, v22
                                        ; implicit-def: $vgpr21
	s_and_saveexec_b64 s[2:3], vcc
	s_cbranch_execz .LBB3381_43
; %bb.42:
	v_lshlrev_b32_e32 v21, 1, v22
	v_mov_b32_e32 v23, s16
	v_add_co_u32_e32 v22, vcc, s15, v21
	v_addc_co_u32_e32 v23, vcc, 0, v23, vcc
	flat_load_ushort v21, v[22:23]
.LBB3381_43:
	s_or_b64 exec, exec, s[2:3]
	v_or_b32_e32 v23, 0x1200, v0
	v_cmp_gt_u32_e32 vcc, s14, v23
                                        ; implicit-def: $vgpr22
	s_and_saveexec_b64 s[2:3], vcc
	s_cbranch_execz .LBB3381_45
; %bb.44:
	v_lshlrev_b32_e32 v22, 1, v23
	v_mov_b32_e32 v23, s16
	v_add_co_u32_e32 v22, vcc, s15, v22
	v_addc_co_u32_e32 v23, vcc, 0, v23, vcc
	flat_load_ushort v22, v[22:23]
.LBB3381_45:
	s_or_b64 exec, exec, s[2:3]
	v_or_b32_e32 v24, 0x1300, v0
	v_cmp_gt_u32_e32 vcc, s14, v24
                                        ; implicit-def: $vgpr23
	s_and_saveexec_b64 s[2:3], vcc
	s_cbranch_execz .LBB3381_47
; %bb.46:
	v_lshlrev_b32_e32 v23, 1, v24
	v_mov_b32_e32 v25, s16
	v_add_co_u32_e32 v24, vcc, s15, v23
	v_addc_co_u32_e32 v25, vcc, 0, v25, vcc
	flat_load_ushort v23, v[24:25]
.LBB3381_47:
	s_or_b64 exec, exec, s[2:3]
	s_waitcnt vmcnt(0) lgkmcnt(0)
	ds_write_b16 v14, v1
	ds_write_b16 v14, v2 offset:512
	ds_write_b16 v14, v3 offset:1024
	;; [unrolled: 1-line block ×19, first 2 shown]
	s_waitcnt lgkmcnt(0)
	s_barrier
.LBB3381_48:
	v_mul_u32_u24_e32 v1, 20, v0
	v_lshlrev_b32_e32 v6, 1, v1
	ds_read_b64 v[12:13], v6 offset:32
	ds_read2_b64 v[2:5], v6 offset0:2 offset1:3
	ds_read2_b64 v[6:9], v6 offset1:1
	s_add_u32 s2, s6, s4
	s_addc_u32 s3, s7, s5
	s_add_u32 s2, s2, s10
	s_addc_u32 s3, s3, s11
	s_mov_b64 s[4:5], -1
	s_and_b64 vcc, exec, s[8:9]
	s_waitcnt lgkmcnt(0)
	s_barrier
	s_cbranch_vccz .LBB3381_50
; %bb.49:
	v_mov_b32_e32 v16, s3
	v_add_co_u32_e32 v18, vcc, s2, v14
	s_movk_i32 s4, 0x1000
	v_addc_co_u32_e32 v19, vcc, 0, v16, vcc
	v_add_co_u32_e32 v16, vcc, s4, v18
	s_movk_i32 s5, 0x2000
	v_addc_co_u32_e32 v17, vcc, 0, v19, vcc
	global_load_ubyte v15, v14, s[2:3]
	global_load_ubyte v20, v14, s[2:3] offset:512
	global_load_ubyte v21, v14, s[2:3] offset:1024
	;; [unrolled: 1-line block ×7, first 2 shown]
	v_add_co_u32_e32 v18, vcc, s5, v18
	v_addc_co_u32_e32 v19, vcc, 0, v19, vcc
	global_load_ubyte v27, v[18:19], off offset:-4096
	global_load_ubyte v28, v[16:17], off offset:512
	global_load_ubyte v29, v[16:17], off offset:1024
	;; [unrolled: 1-line block ×7, first 2 shown]
	global_load_ubyte v35, v[18:19], off
	global_load_ubyte v36, v[18:19], off offset:512
	global_load_ubyte v37, v[18:19], off offset:1024
	;; [unrolled: 1-line block ×3, first 2 shown]
	s_mov_b64 s[4:5], 0
	s_waitcnt vmcnt(19)
	v_xor_b32_e32 v15, -1, v15
	s_waitcnt vmcnt(18)
	v_xor_b32_e32 v16, -1, v20
	;; [unrolled: 2-line block ×8, first 2 shown]
	v_and_b32_e32 v15, 1, v15
	v_and_b32_e32 v16, 1, v16
	;; [unrolled: 1-line block ×8, first 2 shown]
	ds_write_b8 v0, v15
	ds_write_b8 v0, v16 offset:256
	ds_write_b8 v0, v17 offset:512
	;; [unrolled: 1-line block ×7, first 2 shown]
	s_waitcnt vmcnt(11)
	v_xor_b32_e32 v15, -1, v27
	s_waitcnt vmcnt(10)
	v_xor_b32_e32 v16, -1, v28
	;; [unrolled: 2-line block ×12, first 2 shown]
	v_and_b32_e32 v15, 1, v15
	v_and_b32_e32 v16, 1, v16
	;; [unrolled: 1-line block ×12, first 2 shown]
	ds_write_b8 v0, v15 offset:2048
	ds_write_b8 v0, v16 offset:2304
	;; [unrolled: 1-line block ×12, first 2 shown]
	s_waitcnt lgkmcnt(0)
	s_barrier
.LBB3381_50:
	s_andn2_b64 vcc, exec, s[4:5]
	s_cbranch_vccnz .LBB3381_92
; %bb.51:
	v_cmp_gt_u32_e32 vcc, s14, v0
	v_mov_b32_e32 v15, 0
	v_mov_b32_e32 v16, 0
	s_and_saveexec_b64 s[4:5], vcc
	s_cbranch_execz .LBB3381_53
; %bb.52:
	global_load_ubyte v16, v14, s[2:3]
	s_waitcnt vmcnt(0)
	v_xor_b32_e32 v16, -1, v16
	v_and_b32_e32 v16, 1, v16
.LBB3381_53:
	s_or_b64 exec, exec, s[4:5]
	v_or_b32_e32 v17, 0x100, v0
	v_cmp_gt_u32_e32 vcc, s14, v17
	s_and_saveexec_b64 s[4:5], vcc
	s_cbranch_execz .LBB3381_55
; %bb.54:
	global_load_ubyte v15, v14, s[2:3] offset:512
	s_waitcnt vmcnt(0)
	v_xor_b32_e32 v15, -1, v15
	v_and_b32_e32 v15, 1, v15
.LBB3381_55:
	s_or_b64 exec, exec, s[4:5]
	v_or_b32_e32 v17, 0x200, v0
	v_cmp_gt_u32_e32 vcc, s14, v17
	v_mov_b32_e32 v17, 0
	v_mov_b32_e32 v18, 0
	s_and_saveexec_b64 s[4:5], vcc
	s_cbranch_execz .LBB3381_57
; %bb.56:
	global_load_ubyte v18, v14, s[2:3] offset:1024
	s_waitcnt vmcnt(0)
	v_xor_b32_e32 v18, -1, v18
	v_and_b32_e32 v18, 1, v18
.LBB3381_57:
	s_or_b64 exec, exec, s[4:5]
	v_or_b32_e32 v19, 0x300, v0
	v_cmp_gt_u32_e32 vcc, s14, v19
	s_and_saveexec_b64 s[4:5], vcc
	s_cbranch_execz .LBB3381_59
; %bb.58:
	global_load_ubyte v17, v14, s[2:3] offset:1536
	s_waitcnt vmcnt(0)
	v_xor_b32_e32 v17, -1, v17
	v_and_b32_e32 v17, 1, v17
.LBB3381_59:
	s_or_b64 exec, exec, s[4:5]
	v_or_b32_e32 v19, 0x400, v0
	v_cmp_gt_u32_e32 vcc, s14, v19
	v_mov_b32_e32 v19, 0
	v_mov_b32_e32 v20, 0
	s_and_saveexec_b64 s[4:5], vcc
	s_cbranch_execz .LBB3381_61
; %bb.60:
	global_load_ubyte v20, v14, s[2:3] offset:2048
	s_waitcnt vmcnt(0)
	v_xor_b32_e32 v20, -1, v20
	v_and_b32_e32 v20, 1, v20
.LBB3381_61:
	;; [unrolled: 24-line block ×3, first 2 shown]
	s_or_b64 exec, exec, s[4:5]
	v_or_b32_e32 v23, 0x700, v0
	v_cmp_gt_u32_e32 vcc, s14, v23
	s_and_saveexec_b64 s[4:5], vcc
	s_cbranch_execz .LBB3381_67
; %bb.66:
	global_load_ubyte v14, v14, s[2:3] offset:3584
	s_waitcnt vmcnt(0)
	v_xor_b32_e32 v14, -1, v14
	v_and_b32_e32 v21, 1, v14
.LBB3381_67:
	s_or_b64 exec, exec, s[4:5]
	v_or_b32_e32 v24, 0x800, v0
	v_cmp_gt_u32_e32 vcc, s14, v24
	v_mov_b32_e32 v14, 0
	v_mov_b32_e32 v23, 0
	s_and_saveexec_b64 s[4:5], vcc
	s_cbranch_execz .LBB3381_69
; %bb.68:
	v_lshlrev_b32_e32 v23, 1, v24
	global_load_ubyte v23, v23, s[2:3]
	s_waitcnt vmcnt(0)
	v_xor_b32_e32 v23, -1, v23
	v_and_b32_e32 v23, 1, v23
.LBB3381_69:
	s_or_b64 exec, exec, s[4:5]
	v_or_b32_e32 v24, 0x900, v0
	v_cmp_gt_u32_e32 vcc, s14, v24
	s_and_saveexec_b64 s[4:5], vcc
	s_cbranch_execz .LBB3381_71
; %bb.70:
	v_lshlrev_b32_e32 v14, 1, v24
	global_load_ubyte v14, v14, s[2:3]
	s_waitcnt vmcnt(0)
	v_xor_b32_e32 v14, -1, v14
	v_and_b32_e32 v14, 1, v14
.LBB3381_71:
	s_or_b64 exec, exec, s[4:5]
	v_or_b32_e32 v26, 0xa00, v0
	v_cmp_gt_u32_e32 vcc, s14, v26
	v_mov_b32_e32 v24, 0
	v_mov_b32_e32 v25, 0
	s_and_saveexec_b64 s[4:5], vcc
	s_cbranch_execz .LBB3381_73
; %bb.72:
	v_lshlrev_b32_e32 v25, 1, v26
	global_load_ubyte v25, v25, s[2:3]
	s_waitcnt vmcnt(0)
	v_xor_b32_e32 v25, -1, v25
	v_and_b32_e32 v25, 1, v25
.LBB3381_73:
	s_or_b64 exec, exec, s[4:5]
	v_or_b32_e32 v26, 0xb00, v0
	v_cmp_gt_u32_e32 vcc, s14, v26
	s_and_saveexec_b64 s[4:5], vcc
	s_cbranch_execz .LBB3381_75
; %bb.74:
	v_lshlrev_b32_e32 v24, 1, v26
	global_load_ubyte v24, v24, s[2:3]
	s_waitcnt vmcnt(0)
	v_xor_b32_e32 v24, -1, v24
	v_and_b32_e32 v24, 1, v24
.LBB3381_75:
	;; [unrolled: 26-line block ×6, first 2 shown]
	s_or_b64 exec, exec, s[4:5]
	ds_write_b8 v0, v16
	ds_write_b8 v0, v15 offset:256
	ds_write_b8 v0, v18 offset:512
	;; [unrolled: 1-line block ×19, first 2 shown]
	s_waitcnt lgkmcnt(0)
	s_barrier
.LBB3381_92:
	ds_read2_b32 v[16:17], v1 offset1:1
	ds_read2_b32 v[14:15], v1 offset0:2 offset1:3
	ds_read_b32 v29, v1 offset:16
	s_cmp_lg_u32 s30, 0
	v_lshrrev_b32_e32 v48, 6, v0
	s_waitcnt lgkmcnt(2)
	v_lshrrev_b32_e32 v34, 24, v16
	v_bfe_u32 v46, v16, 16, 8
	v_add_u32_sdwa v18, v16, v16 dst_sel:DWORD dst_unused:UNUSED_PAD src0_sel:BYTE_1 src1_sel:BYTE_0
	v_and_b32_e32 v43, 0xff, v17
	v_bfe_u32 v44, v17, 8, 8
	v_add3_u32 v18, v18, v46, v34
	v_lshrrev_b32_e32 v33, 24, v17
	v_bfe_u32 v45, v17, 16, 8
	v_add3_u32 v18, v18, v43, v44
	s_waitcnt lgkmcnt(1)
	v_and_b32_e32 v40, 0xff, v14
	v_bfe_u32 v41, v14, 8, 8
	v_add3_u32 v18, v18, v45, v33
	v_lshrrev_b32_e32 v32, 24, v14
	v_bfe_u32 v42, v14, 16, 8
	v_add3_u32 v18, v18, v40, v41
	v_and_b32_e32 v37, 0xff, v15
	v_bfe_u32 v38, v15, 8, 8
	v_add3_u32 v18, v18, v42, v32
	v_lshrrev_b32_e32 v31, 24, v15
	v_bfe_u32 v39, v15, 16, 8
	v_add3_u32 v18, v18, v37, v38
	s_waitcnt lgkmcnt(0)
	v_and_b32_e32 v35, 0xff, v29
	v_bfe_u32 v36, v29, 8, 8
	v_add3_u32 v18, v18, v39, v31
	v_lshrrev_b32_e32 v28, 24, v29
	v_bfe_u32 v30, v29, 16, 8
	v_add3_u32 v18, v18, v35, v36
	v_add3_u32 v49, v18, v30, v28
	v_mbcnt_lo_u32_b32 v18, -1, 0
	v_mbcnt_hi_u32_b32 v47, -1, v18
	v_and_b32_e32 v18, 15, v47
	v_cmp_eq_u32_e64 s[14:15], 0, v18
	v_cmp_lt_u32_e64 s[12:13], 1, v18
	v_cmp_lt_u32_e64 s[10:11], 3, v18
	;; [unrolled: 1-line block ×3, first 2 shown]
	v_and_b32_e32 v18, 16, v47
	v_cmp_eq_u32_e64 s[6:7], 0, v18
	v_or_b32_e32 v18, 63, v0
	v_cmp_lt_u32_e64 s[2:3], 31, v47
	v_cmp_eq_u32_e64 s[4:5], v18, v0
	s_barrier
	s_cbranch_scc0 .LBB3381_119
; %bb.93:
	v_mov_b32_dpp v18, v49 row_shr:1 row_mask:0xf bank_mask:0xf
	v_cndmask_b32_e64 v18, v18, 0, s[14:15]
	v_add_u32_e32 v18, v18, v49
	s_nop 1
	v_mov_b32_dpp v19, v18 row_shr:2 row_mask:0xf bank_mask:0xf
	v_cndmask_b32_e64 v19, 0, v19, s[12:13]
	v_add_u32_e32 v18, v18, v19
	s_nop 1
	;; [unrolled: 4-line block ×4, first 2 shown]
	v_mov_b32_dpp v19, v18 row_bcast:15 row_mask:0xf bank_mask:0xf
	v_cndmask_b32_e64 v19, v19, 0, s[6:7]
	v_add_u32_e32 v18, v18, v19
	s_nop 1
	v_mov_b32_dpp v19, v18 row_bcast:31 row_mask:0xf bank_mask:0xf
	v_cndmask_b32_e64 v19, 0, v19, s[2:3]
	v_add_u32_e32 v18, v18, v19
	s_and_saveexec_b64 s[16:17], s[4:5]
	s_cbranch_execz .LBB3381_95
; %bb.94:
	v_lshlrev_b32_e32 v19, 2, v48
	ds_write_b32 v19, v18
.LBB3381_95:
	s_or_b64 exec, exec, s[16:17]
	v_cmp_gt_u32_e32 vcc, 4, v0
	s_waitcnt lgkmcnt(0)
	s_barrier
	s_and_saveexec_b64 s[16:17], vcc
	s_cbranch_execz .LBB3381_97
; %bb.96:
	v_lshlrev_b32_e32 v19, 2, v0
	ds_read_b32 v20, v19
	v_and_b32_e32 v21, 3, v47
	v_cmp_ne_u32_e32 vcc, 0, v21
	s_waitcnt lgkmcnt(0)
	v_mov_b32_dpp v22, v20 row_shr:1 row_mask:0xf bank_mask:0xf
	v_cndmask_b32_e32 v22, 0, v22, vcc
	v_add_u32_e32 v20, v22, v20
	v_cmp_lt_u32_e32 vcc, 1, v21
	s_nop 0
	v_mov_b32_dpp v22, v20 row_shr:2 row_mask:0xf bank_mask:0xf
	v_cndmask_b32_e32 v21, 0, v22, vcc
	v_add_u32_e32 v20, v20, v21
	ds_write_b32 v19, v20
.LBB3381_97:
	s_or_b64 exec, exec, s[16:17]
	v_cmp_gt_u32_e32 vcc, 64, v0
	v_cmp_lt_u32_e64 s[16:17], 63, v0
	s_waitcnt lgkmcnt(0)
	s_barrier
	s_waitcnt lgkmcnt(0)
                                        ; implicit-def: $vgpr50
	s_and_saveexec_b64 s[22:23], s[16:17]
	s_cbranch_execz .LBB3381_99
; %bb.98:
	v_lshl_add_u32 v19, v48, 2, -4
	ds_read_b32 v50, v19
	s_waitcnt lgkmcnt(0)
	v_add_u32_e32 v18, v50, v18
.LBB3381_99:
	s_or_b64 exec, exec, s[22:23]
	v_add_u32_e32 v19, -1, v47
	v_and_b32_e32 v20, 64, v47
	v_cmp_lt_i32_e64 s[16:17], v19, v20
	v_cndmask_b32_e64 v19, v19, v47, s[16:17]
	v_lshlrev_b32_e32 v19, 2, v19
	ds_bpermute_b32 v51, v19, v18
	v_cmp_eq_u32_e64 s[16:17], 0, v47
	s_and_saveexec_b64 s[22:23], vcc
	s_cbranch_execz .LBB3381_118
; %bb.100:
	v_mov_b32_e32 v25, 0
	ds_read_b32 v18, v25 offset:12
	s_and_saveexec_b64 s[26:27], s[16:17]
	s_cbranch_execz .LBB3381_102
; %bb.101:
	s_add_i32 s28, s30, 64
	s_mov_b32 s29, 0
	s_lshl_b64 s[28:29], s[28:29], 3
	s_add_u32 s28, s24, s28
	v_mov_b32_e32 v19, 1
	s_addc_u32 s29, s25, s29
	s_waitcnt lgkmcnt(0)
	global_store_dwordx2 v25, v[18:19], s[28:29]
.LBB3381_102:
	s_or_b64 exec, exec, s[26:27]
	v_xad_u32 v20, v47, -1, s30
	v_add_u32_e32 v24, 64, v20
	v_lshlrev_b64 v[22:23], 3, v[24:25]
	v_mov_b32_e32 v19, s25
	v_add_co_u32_e32 v26, vcc, s24, v22
	v_addc_co_u32_e32 v27, vcc, v19, v23, vcc
	global_load_dwordx2 v[22:23], v[26:27], off glc
	s_waitcnt vmcnt(0)
	v_cmp_eq_u16_sdwa s[28:29], v23, v25 src0_sel:BYTE_0 src1_sel:DWORD
	s_and_saveexec_b64 s[26:27], s[28:29]
	s_cbranch_execz .LBB3381_106
; %bb.103:
	s_mov_b64 s[28:29], 0
	v_mov_b32_e32 v19, 0
.LBB3381_104:                           ; =>This Inner Loop Header: Depth=1
	global_load_dwordx2 v[22:23], v[26:27], off glc
	s_waitcnt vmcnt(0)
	v_cmp_ne_u16_sdwa s[34:35], v23, v19 src0_sel:BYTE_0 src1_sel:DWORD
	s_or_b64 s[28:29], s[34:35], s[28:29]
	s_andn2_b64 exec, exec, s[28:29]
	s_cbranch_execnz .LBB3381_104
; %bb.105:
	s_or_b64 exec, exec, s[28:29]
.LBB3381_106:
	s_or_b64 exec, exec, s[26:27]
	v_and_b32_e32 v53, 63, v47
	v_mov_b32_e32 v52, 2
	v_cmp_ne_u32_e32 vcc, 63, v53
	v_cmp_eq_u16_sdwa s[26:27], v23, v52 src0_sel:BYTE_0 src1_sel:DWORD
	v_lshlrev_b64 v[24:25], v47, -1
	v_addc_co_u32_e32 v26, vcc, 0, v47, vcc
	v_and_b32_e32 v19, s27, v25
	v_lshlrev_b32_e32 v54, 2, v26
	v_or_b32_e32 v19, 0x80000000, v19
	ds_bpermute_b32 v26, v54, v22
	v_and_b32_e32 v21, s26, v24
	v_ffbl_b32_e32 v19, v19
	v_add_u32_e32 v19, 32, v19
	v_ffbl_b32_e32 v21, v21
	v_min_u32_e32 v19, v21, v19
	v_cmp_lt_u32_e32 vcc, v53, v19
	s_waitcnt lgkmcnt(0)
	v_cndmask_b32_e32 v21, 0, v26, vcc
	v_cmp_gt_u32_e32 vcc, 62, v53
	v_add_u32_e32 v21, v21, v22
	v_cndmask_b32_e64 v22, 0, 1, vcc
	v_lshlrev_b32_e32 v22, 1, v22
	v_add_lshl_u32 v55, v22, v47, 2
	ds_bpermute_b32 v22, v55, v21
	v_add_u32_e32 v56, 2, v53
	v_cmp_le_u32_e32 vcc, v56, v19
	v_add_u32_e32 v58, 4, v53
	v_add_u32_e32 v60, 8, v53
	s_waitcnt lgkmcnt(0)
	v_cndmask_b32_e32 v22, 0, v22, vcc
	v_cmp_gt_u32_e32 vcc, 60, v53
	v_add_u32_e32 v21, v21, v22
	v_cndmask_b32_e64 v22, 0, 1, vcc
	v_lshlrev_b32_e32 v22, 2, v22
	v_add_lshl_u32 v57, v22, v47, 2
	ds_bpermute_b32 v22, v57, v21
	v_cmp_le_u32_e32 vcc, v58, v19
	v_add_u32_e32 v62, 16, v53
	v_add_u32_e32 v64, 32, v53
	s_waitcnt lgkmcnt(0)
	v_cndmask_b32_e32 v22, 0, v22, vcc
	v_cmp_gt_u32_e32 vcc, 56, v53
	v_add_u32_e32 v21, v21, v22
	v_cndmask_b32_e64 v22, 0, 1, vcc
	v_lshlrev_b32_e32 v22, 3, v22
	v_add_lshl_u32 v59, v22, v47, 2
	ds_bpermute_b32 v22, v59, v21
	v_cmp_le_u32_e32 vcc, v60, v19
	s_waitcnt lgkmcnt(0)
	v_cndmask_b32_e32 v22, 0, v22, vcc
	v_cmp_gt_u32_e32 vcc, 48, v53
	v_add_u32_e32 v21, v21, v22
	v_cndmask_b32_e64 v22, 0, 1, vcc
	v_lshlrev_b32_e32 v22, 4, v22
	v_add_lshl_u32 v61, v22, v47, 2
	ds_bpermute_b32 v22, v61, v21
	v_cmp_le_u32_e32 vcc, v62, v19
	;; [unrolled: 9-line block ×3, first 2 shown]
	s_waitcnt lgkmcnt(0)
	v_cndmask_b32_e32 v19, 0, v22, vcc
	v_add_u32_e32 v22, v21, v19
	v_mov_b32_e32 v21, 0
	s_branch .LBB3381_108
.LBB3381_107:                           ;   in Loop: Header=BB3381_108 Depth=1
	s_or_b64 exec, exec, s[26:27]
	v_cmp_eq_u16_sdwa s[26:27], v23, v52 src0_sel:BYTE_0 src1_sel:DWORD
	v_and_b32_e32 v26, s27, v25
	v_or_b32_e32 v26, 0x80000000, v26
	ds_bpermute_b32 v65, v54, v22
	v_and_b32_e32 v27, s26, v24
	v_ffbl_b32_e32 v26, v26
	v_add_u32_e32 v26, 32, v26
	v_ffbl_b32_e32 v27, v27
	v_min_u32_e32 v26, v27, v26
	v_cmp_lt_u32_e32 vcc, v53, v26
	s_waitcnt lgkmcnt(0)
	v_cndmask_b32_e32 v27, 0, v65, vcc
	v_add_u32_e32 v22, v27, v22
	ds_bpermute_b32 v27, v55, v22
	v_cmp_le_u32_e32 vcc, v56, v26
	v_subrev_u32_e32 v20, 64, v20
	s_waitcnt lgkmcnt(0)
	v_cndmask_b32_e32 v27, 0, v27, vcc
	v_add_u32_e32 v22, v22, v27
	ds_bpermute_b32 v27, v57, v22
	v_cmp_le_u32_e32 vcc, v58, v26
	s_waitcnt lgkmcnt(0)
	v_cndmask_b32_e32 v27, 0, v27, vcc
	v_add_u32_e32 v22, v22, v27
	ds_bpermute_b32 v27, v59, v22
	v_cmp_le_u32_e32 vcc, v60, v26
	s_waitcnt lgkmcnt(0)
	v_cndmask_b32_e32 v27, 0, v27, vcc
	v_add_u32_e32 v22, v22, v27
	ds_bpermute_b32 v27, v61, v22
	v_cmp_le_u32_e32 vcc, v62, v26
	s_waitcnt lgkmcnt(0)
	v_cndmask_b32_e32 v27, 0, v27, vcc
	v_add_u32_e32 v22, v22, v27
	ds_bpermute_b32 v27, v63, v22
	v_cmp_le_u32_e32 vcc, v64, v26
	s_waitcnt lgkmcnt(0)
	v_cndmask_b32_e32 v26, 0, v27, vcc
	v_add3_u32 v22, v26, v19, v22
.LBB3381_108:                           ; =>This Loop Header: Depth=1
                                        ;     Child Loop BB3381_111 Depth 2
	v_cmp_ne_u16_sdwa s[26:27], v23, v52 src0_sel:BYTE_0 src1_sel:DWORD
	v_cndmask_b32_e64 v19, 0, 1, s[26:27]
	;;#ASMSTART
	;;#ASMEND
	v_cmp_ne_u32_e32 vcc, 0, v19
	s_cmp_lg_u64 vcc, exec
	v_mov_b32_e32 v19, v22
	s_cbranch_scc1 .LBB3381_113
; %bb.109:                              ;   in Loop: Header=BB3381_108 Depth=1
	v_lshlrev_b64 v[22:23], 3, v[20:21]
	v_mov_b32_e32 v27, s25
	v_add_co_u32_e32 v26, vcc, s24, v22
	v_addc_co_u32_e32 v27, vcc, v27, v23, vcc
	global_load_dwordx2 v[22:23], v[26:27], off glc
	s_waitcnt vmcnt(0)
	v_cmp_eq_u16_sdwa s[28:29], v23, v21 src0_sel:BYTE_0 src1_sel:DWORD
	s_and_saveexec_b64 s[26:27], s[28:29]
	s_cbranch_execz .LBB3381_107
; %bb.110:                              ;   in Loop: Header=BB3381_108 Depth=1
	s_mov_b64 s[28:29], 0
.LBB3381_111:                           ;   Parent Loop BB3381_108 Depth=1
                                        ; =>  This Inner Loop Header: Depth=2
	global_load_dwordx2 v[22:23], v[26:27], off glc
	s_waitcnt vmcnt(0)
	v_cmp_ne_u16_sdwa s[34:35], v23, v21 src0_sel:BYTE_0 src1_sel:DWORD
	s_or_b64 s[28:29], s[34:35], s[28:29]
	s_andn2_b64 exec, exec, s[28:29]
	s_cbranch_execnz .LBB3381_111
; %bb.112:                              ;   in Loop: Header=BB3381_108 Depth=1
	s_or_b64 exec, exec, s[28:29]
	s_branch .LBB3381_107
.LBB3381_113:                           ;   in Loop: Header=BB3381_108 Depth=1
                                        ; implicit-def: $vgpr22
                                        ; implicit-def: $vgpr23
	s_cbranch_execz .LBB3381_108
; %bb.114:
	s_and_saveexec_b64 s[26:27], s[16:17]
	s_cbranch_execz .LBB3381_116
; %bb.115:
	s_add_i32 s28, s30, 64
	s_mov_b32 s29, 0
	s_lshl_b64 s[28:29], s[28:29], 3
	s_add_u32 s28, s24, s28
	v_add_u32_e32 v20, v19, v18
	v_mov_b32_e32 v21, 2
	s_addc_u32 s29, s25, s29
	v_mov_b32_e32 v22, 0
	global_store_dwordx2 v22, v[20:21], s[28:29]
	ds_write_b64 v22, v[18:19] offset:10240
.LBB3381_116:
	s_or_b64 exec, exec, s[26:27]
	s_and_b64 exec, exec, s[0:1]
	s_cbranch_execz .LBB3381_118
; %bb.117:
	v_mov_b32_e32 v18, 0
	ds_write_b32 v18, v19 offset:12
.LBB3381_118:
	s_or_b64 exec, exec, s[22:23]
	v_mov_b32_e32 v18, 0
	s_waitcnt lgkmcnt(0)
	s_barrier
	ds_read_b32 v20, v18 offset:12
	s_waitcnt lgkmcnt(0)
	s_barrier
	ds_read_b64 v[18:19], v18 offset:10240
	v_cndmask_b32_e64 v21, v51, v50, s[16:17]
	v_cndmask_b32_e64 v21, v21, 0, s[0:1]
	v_add_u32_e32 v23, v20, v21
	s_branch .LBB3381_129
.LBB3381_119:
                                        ; implicit-def: $vgpr19
                                        ; implicit-def: $vgpr23
	s_cbranch_execz .LBB3381_129
; %bb.120:
	s_waitcnt lgkmcnt(0)
	v_mov_b32_dpp v18, v49 row_shr:1 row_mask:0xf bank_mask:0xf
	v_cndmask_b32_e64 v18, v18, 0, s[14:15]
	v_add_u32_e32 v18, v18, v49
	s_nop 1
	v_mov_b32_dpp v19, v18 row_shr:2 row_mask:0xf bank_mask:0xf
	v_cndmask_b32_e64 v19, 0, v19, s[12:13]
	v_add_u32_e32 v18, v18, v19
	s_nop 1
	;; [unrolled: 4-line block ×4, first 2 shown]
	v_mov_b32_dpp v19, v18 row_bcast:15 row_mask:0xf bank_mask:0xf
	v_cndmask_b32_e64 v19, v19, 0, s[6:7]
	v_add_u32_e32 v18, v18, v19
	s_nop 1
	v_mov_b32_dpp v19, v18 row_bcast:31 row_mask:0xf bank_mask:0xf
	v_cndmask_b32_e64 v19, 0, v19, s[2:3]
	v_add_u32_e32 v18, v18, v19
	s_and_saveexec_b64 s[2:3], s[4:5]
	s_cbranch_execz .LBB3381_122
; %bb.121:
	v_lshlrev_b32_e32 v19, 2, v48
	ds_write_b32 v19, v18
.LBB3381_122:
	s_or_b64 exec, exec, s[2:3]
	v_cmp_gt_u32_e32 vcc, 4, v0
	s_waitcnt lgkmcnt(0)
	s_barrier
	s_and_saveexec_b64 s[2:3], vcc
	s_cbranch_execz .LBB3381_124
; %bb.123:
	v_lshlrev_b32_e32 v19, 2, v0
	ds_read_b32 v20, v19
	v_and_b32_e32 v21, 3, v47
	v_cmp_ne_u32_e32 vcc, 0, v21
	s_waitcnt lgkmcnt(0)
	v_mov_b32_dpp v22, v20 row_shr:1 row_mask:0xf bank_mask:0xf
	v_cndmask_b32_e32 v22, 0, v22, vcc
	v_add_u32_e32 v20, v22, v20
	v_cmp_lt_u32_e32 vcc, 1, v21
	s_nop 0
	v_mov_b32_dpp v22, v20 row_shr:2 row_mask:0xf bank_mask:0xf
	v_cndmask_b32_e32 v21, 0, v22, vcc
	v_add_u32_e32 v20, v20, v21
	ds_write_b32 v19, v20
.LBB3381_124:
	s_or_b64 exec, exec, s[2:3]
	v_cmp_lt_u32_e32 vcc, 63, v0
	v_mov_b32_e32 v19, 0
	v_mov_b32_e32 v0, 0
	s_waitcnt lgkmcnt(0)
	s_barrier
	s_and_saveexec_b64 s[2:3], vcc
	s_cbranch_execz .LBB3381_126
; %bb.125:
	v_lshl_add_u32 v0, v48, 2, -4
	ds_read_b32 v0, v0
.LBB3381_126:
	s_or_b64 exec, exec, s[2:3]
	v_add_u32_e32 v20, -1, v47
	v_and_b32_e32 v21, 64, v47
	v_cmp_lt_i32_e32 vcc, v20, v21
	v_cndmask_b32_e32 v20, v20, v47, vcc
	s_waitcnt lgkmcnt(0)
	v_add_u32_e32 v18, v0, v18
	v_lshlrev_b32_e32 v20, 2, v20
	ds_bpermute_b32 v20, v20, v18
	ds_read_b32 v18, v19 offset:12
	s_and_saveexec_b64 s[2:3], s[0:1]
	s_cbranch_execz .LBB3381_128
; %bb.127:
	v_mov_b32_e32 v21, 0
	v_mov_b32_e32 v19, 2
	s_waitcnt lgkmcnt(0)
	global_store_dwordx2 v21, v[18:19], s[24:25] offset:512
.LBB3381_128:
	s_or_b64 exec, exec, s[2:3]
	v_cmp_eq_u32_e32 vcc, 0, v47
	s_waitcnt lgkmcnt(1)
	v_cndmask_b32_e32 v0, v20, v0, vcc
	v_mov_b32_e32 v19, 0
	v_cndmask_b32_e64 v23, v0, 0, s[0:1]
	s_waitcnt lgkmcnt(0)
	s_barrier
.LBB3381_129:
	v_add_u32_sdwa v25, v23, v16 dst_sel:DWORD dst_unused:UNUSED_PAD src0_sel:DWORD src1_sel:BYTE_0
	s_waitcnt lgkmcnt(0)
	v_add_u32_e32 v1, v18, v1
	v_sub_u32_e32 v23, v23, v19
	v_and_b32_e32 v51, 1, v16
	v_sub_u32_e32 v50, v1, v23
	v_cmp_eq_u32_e32 vcc, 1, v51
	v_cndmask_b32_e32 v23, v50, v23, vcc
	v_lshlrev_b32_e32 v23, 1, v23
	v_lshrrev_b32_e32 v24, 8, v16
	ds_write_b16 v23, v6
	v_sub_u32_e32 v23, v25, v19
	v_add_u32_sdwa v26, v25, v16 dst_sel:DWORD dst_unused:UNUSED_PAD src0_sel:DWORD src1_sel:BYTE_1
	v_sub_u32_e32 v25, v1, v23
	v_and_b32_e32 v24, 1, v24
	v_add_u32_e32 v25, 1, v25
	v_cmp_eq_u32_e32 vcc, 1, v24
	v_cndmask_b32_e32 v23, v25, v23, vcc
	v_lshlrev_b32_e32 v23, 1, v23
	ds_write_b16_d16_hi v23, v6
	v_sub_u32_e32 v6, v26, v19
	v_mov_b32_e32 v24, 1
	v_sub_u32_e32 v23, v1, v6
	v_and_b32_sdwa v16, v24, v16 dst_sel:DWORD dst_unused:UNUSED_PAD src0_sel:DWORD src1_sel:WORD_1
	v_add_u32_e32 v23, 2, v23
	v_cmp_eq_u32_e32 vcc, 1, v16
	v_cndmask_b32_e32 v6, v23, v6, vcc
	v_add_u32_e32 v27, v26, v46
	v_lshlrev_b32_e32 v6, 1, v6
	ds_write_b16 v6, v7
	v_sub_u32_e32 v6, v27, v19
	v_sub_u32_e32 v16, v1, v6
	v_and_b32_e32 v23, 1, v34
	v_add_u32_e32 v16, 3, v16
	v_cmp_eq_u32_e32 vcc, 1, v23
	v_cndmask_b32_e32 v6, v16, v6, vcc
	v_add_u32_e32 v46, v27, v34
	v_lshlrev_b32_e32 v6, 1, v6
	ds_write_b16_d16_hi v6, v7
	v_sub_u32_e32 v6, v46, v19
	v_sub_u32_e32 v7, v1, v6
	v_and_b32_e32 v16, 1, v17
	v_add_u32_e32 v7, 4, v7
	v_cmp_eq_u32_e32 vcc, 1, v16
	v_cndmask_b32_e32 v6, v7, v6, vcc
	v_add_u32_e32 v43, v46, v43
	v_lshlrev_b32_e32 v6, 1, v6
	v_lshrrev_b32_e32 v22, 8, v17
	ds_write_b16 v6, v8
	v_sub_u32_e32 v6, v43, v19
	v_sub_u32_e32 v7, v1, v6
	v_and_b32_e32 v16, 1, v22
	v_add_u32_e32 v7, 5, v7
	v_cmp_eq_u32_e32 vcc, 1, v16
	v_cndmask_b32_e32 v6, v7, v6, vcc
	v_add_u32_e32 v44, v43, v44
	v_lshlrev_b32_e32 v6, 1, v6
	ds_write_b16_d16_hi v6, v8
	v_sub_u32_e32 v6, v44, v19
	v_sub_u32_e32 v7, v1, v6
	v_and_b32_sdwa v8, v24, v17 dst_sel:DWORD dst_unused:UNUSED_PAD src0_sel:DWORD src1_sel:WORD_1
	v_add_u32_e32 v7, 6, v7
	v_cmp_eq_u32_e32 vcc, 1, v8
	v_cndmask_b32_e32 v6, v7, v6, vcc
	v_add_u32_e32 v45, v44, v45
	v_lshlrev_b32_e32 v6, 1, v6
	ds_write_b16 v6, v9
	v_sub_u32_e32 v6, v45, v19
	v_sub_u32_e32 v7, v1, v6
	v_and_b32_e32 v8, 1, v33
	v_add_u32_e32 v7, 7, v7
	v_cmp_eq_u32_e32 vcc, 1, v8
	v_cndmask_b32_e32 v6, v7, v6, vcc
	v_add_u32_e32 v47, v45, v33
	v_lshlrev_b32_e32 v6, 1, v6
	ds_write_b16_d16_hi v6, v9
	v_sub_u32_e32 v6, v47, v19
	v_sub_u32_e32 v7, v1, v6
	v_and_b32_e32 v8, 1, v14
	v_add_u32_e32 v7, 8, v7
	v_cmp_eq_u32_e32 vcc, 1, v8
	v_cndmask_b32_e32 v6, v7, v6, vcc
	v_add_u32_e32 v40, v47, v40
	v_lshlrev_b32_e32 v6, 1, v6
	v_lshrrev_b32_e32 v21, 8, v14
	ds_write_b16 v6, v2
	v_sub_u32_e32 v6, v40, v19
	v_sub_u32_e32 v7, v1, v6
	v_and_b32_e32 v8, 1, v21
	v_add_u32_e32 v7, 9, v7
	v_cmp_eq_u32_e32 vcc, 1, v8
	v_cndmask_b32_e32 v6, v7, v6, vcc
	v_add_u32_e32 v41, v40, v41
	v_lshlrev_b32_e32 v6, 1, v6
	ds_write_b16_d16_hi v6, v2
	v_sub_u32_e32 v2, v41, v19
	;; [unrolled: 37-line block ×4, first 2 shown]
	v_sub_u32_e32 v2, v1, v0
	v_and_b32_sdwa v3, v24, v29 dst_sel:DWORD dst_unused:UNUSED_PAD src0_sel:DWORD src1_sel:WORD_1
	v_add_u32_e32 v2, 18, v2
	v_cmp_eq_u32_e32 vcc, 1, v3
	v_cndmask_b32_e32 v0, v2, v0, vcc
	v_lshlrev_b32_e32 v0, 1, v0
	ds_write_b16 v0, v13
	v_sub_u32_e32 v0, v30, v19
	v_add_u32_e32 v0, v36, v0
	v_sub_u32_e32 v1, v1, v0
	v_and_b32_e32 v2, 1, v28
	v_add_u32_e32 v1, 19, v1
	v_cmp_eq_u32_e32 vcc, 1, v2
	v_cndmask_b32_e32 v0, v1, v0, vcc
	v_lshlrev_b32_e32 v0, 1, v0
	s_and_b64 s[0:1], s[0:1], s[18:19]
	ds_write_b16_d16_hi v0, v13
	s_waitcnt lgkmcnt(0)
	s_barrier
	s_and_saveexec_b64 s[2:3], s[0:1]
	s_cbranch_execz .LBB3381_131
; %bb.130:
	s_waitcnt vmcnt(0)
	v_add_co_u32_e32 v0, vcc, v10, v18
	v_addc_co_u32_e32 v1, vcc, 0, v11, vcc
	v_add_co_u32_e32 v0, vcc, v0, v19
	v_mov_b32_e32 v2, 0
	v_addc_co_u32_e32 v1, vcc, 0, v1, vcc
	global_store_dwordx2 v2, v[0:1], s[20:21]
.LBB3381_131:
	s_endpgm
	.section	.rodata,"a",@progbits
	.p2align	6, 0x0
	.amdhsa_kernel _ZN7rocprim17ROCPRIM_400000_NS6detail17trampoline_kernelINS0_14default_configENS1_25partition_config_selectorILNS1_17partition_subalgoE1EsNS0_10empty_typeEbEEZZNS1_14partition_implILS5_1ELb0ES3_jN6thrust23THRUST_200600_302600_NS6detail15normal_iteratorINSA_10device_ptrIsEEEEPS6_NSA_18transform_iteratorI7is_evenIsESF_NSA_11use_defaultESK_EENS0_5tupleIJNSA_16discard_iteratorISK_EESO_EEENSM_IJSG_SG_EEES6_PlJS6_EEE10hipError_tPvRmT3_T4_T5_T6_T7_T9_mT8_P12ihipStream_tbDpT10_ENKUlT_T0_E_clISt17integral_constantIbLb0EES1A_IbLb1EEEEDaS16_S17_EUlS16_E_NS1_11comp_targetILNS1_3genE4ELNS1_11target_archE910ELNS1_3gpuE8ELNS1_3repE0EEENS1_30default_config_static_selectorELNS0_4arch9wavefront6targetE1EEEvT1_
		.amdhsa_group_segment_fixed_size 10248
		.amdhsa_private_segment_fixed_size 0
		.amdhsa_kernarg_size 160
		.amdhsa_user_sgpr_count 6
		.amdhsa_user_sgpr_private_segment_buffer 1
		.amdhsa_user_sgpr_dispatch_ptr 0
		.amdhsa_user_sgpr_queue_ptr 0
		.amdhsa_user_sgpr_kernarg_segment_ptr 1
		.amdhsa_user_sgpr_dispatch_id 0
		.amdhsa_user_sgpr_flat_scratch_init 0
		.amdhsa_user_sgpr_kernarg_preload_length 0
		.amdhsa_user_sgpr_kernarg_preload_offset 0
		.amdhsa_user_sgpr_private_segment_size 0
		.amdhsa_uses_dynamic_stack 0
		.amdhsa_system_sgpr_private_segment_wavefront_offset 0
		.amdhsa_system_sgpr_workgroup_id_x 1
		.amdhsa_system_sgpr_workgroup_id_y 0
		.amdhsa_system_sgpr_workgroup_id_z 0
		.amdhsa_system_sgpr_workgroup_info 0
		.amdhsa_system_vgpr_workitem_id 0
		.amdhsa_next_free_vgpr 66
		.amdhsa_next_free_sgpr 36
		.amdhsa_accum_offset 68
		.amdhsa_reserve_vcc 1
		.amdhsa_reserve_flat_scratch 0
		.amdhsa_float_round_mode_32 0
		.amdhsa_float_round_mode_16_64 0
		.amdhsa_float_denorm_mode_32 3
		.amdhsa_float_denorm_mode_16_64 3
		.amdhsa_dx10_clamp 1
		.amdhsa_ieee_mode 1
		.amdhsa_fp16_overflow 0
		.amdhsa_tg_split 0
		.amdhsa_exception_fp_ieee_invalid_op 0
		.amdhsa_exception_fp_denorm_src 0
		.amdhsa_exception_fp_ieee_div_zero 0
		.amdhsa_exception_fp_ieee_overflow 0
		.amdhsa_exception_fp_ieee_underflow 0
		.amdhsa_exception_fp_ieee_inexact 0
		.amdhsa_exception_int_div_zero 0
	.end_amdhsa_kernel
	.section	.text._ZN7rocprim17ROCPRIM_400000_NS6detail17trampoline_kernelINS0_14default_configENS1_25partition_config_selectorILNS1_17partition_subalgoE1EsNS0_10empty_typeEbEEZZNS1_14partition_implILS5_1ELb0ES3_jN6thrust23THRUST_200600_302600_NS6detail15normal_iteratorINSA_10device_ptrIsEEEEPS6_NSA_18transform_iteratorI7is_evenIsESF_NSA_11use_defaultESK_EENS0_5tupleIJNSA_16discard_iteratorISK_EESO_EEENSM_IJSG_SG_EEES6_PlJS6_EEE10hipError_tPvRmT3_T4_T5_T6_T7_T9_mT8_P12ihipStream_tbDpT10_ENKUlT_T0_E_clISt17integral_constantIbLb0EES1A_IbLb1EEEEDaS16_S17_EUlS16_E_NS1_11comp_targetILNS1_3genE4ELNS1_11target_archE910ELNS1_3gpuE8ELNS1_3repE0EEENS1_30default_config_static_selectorELNS0_4arch9wavefront6targetE1EEEvT1_,"axG",@progbits,_ZN7rocprim17ROCPRIM_400000_NS6detail17trampoline_kernelINS0_14default_configENS1_25partition_config_selectorILNS1_17partition_subalgoE1EsNS0_10empty_typeEbEEZZNS1_14partition_implILS5_1ELb0ES3_jN6thrust23THRUST_200600_302600_NS6detail15normal_iteratorINSA_10device_ptrIsEEEEPS6_NSA_18transform_iteratorI7is_evenIsESF_NSA_11use_defaultESK_EENS0_5tupleIJNSA_16discard_iteratorISK_EESO_EEENSM_IJSG_SG_EEES6_PlJS6_EEE10hipError_tPvRmT3_T4_T5_T6_T7_T9_mT8_P12ihipStream_tbDpT10_ENKUlT_T0_E_clISt17integral_constantIbLb0EES1A_IbLb1EEEEDaS16_S17_EUlS16_E_NS1_11comp_targetILNS1_3genE4ELNS1_11target_archE910ELNS1_3gpuE8ELNS1_3repE0EEENS1_30default_config_static_selectorELNS0_4arch9wavefront6targetE1EEEvT1_,comdat
.Lfunc_end3381:
	.size	_ZN7rocprim17ROCPRIM_400000_NS6detail17trampoline_kernelINS0_14default_configENS1_25partition_config_selectorILNS1_17partition_subalgoE1EsNS0_10empty_typeEbEEZZNS1_14partition_implILS5_1ELb0ES3_jN6thrust23THRUST_200600_302600_NS6detail15normal_iteratorINSA_10device_ptrIsEEEEPS6_NSA_18transform_iteratorI7is_evenIsESF_NSA_11use_defaultESK_EENS0_5tupleIJNSA_16discard_iteratorISK_EESO_EEENSM_IJSG_SG_EEES6_PlJS6_EEE10hipError_tPvRmT3_T4_T5_T6_T7_T9_mT8_P12ihipStream_tbDpT10_ENKUlT_T0_E_clISt17integral_constantIbLb0EES1A_IbLb1EEEEDaS16_S17_EUlS16_E_NS1_11comp_targetILNS1_3genE4ELNS1_11target_archE910ELNS1_3gpuE8ELNS1_3repE0EEENS1_30default_config_static_selectorELNS0_4arch9wavefront6targetE1EEEvT1_, .Lfunc_end3381-_ZN7rocprim17ROCPRIM_400000_NS6detail17trampoline_kernelINS0_14default_configENS1_25partition_config_selectorILNS1_17partition_subalgoE1EsNS0_10empty_typeEbEEZZNS1_14partition_implILS5_1ELb0ES3_jN6thrust23THRUST_200600_302600_NS6detail15normal_iteratorINSA_10device_ptrIsEEEEPS6_NSA_18transform_iteratorI7is_evenIsESF_NSA_11use_defaultESK_EENS0_5tupleIJNSA_16discard_iteratorISK_EESO_EEENSM_IJSG_SG_EEES6_PlJS6_EEE10hipError_tPvRmT3_T4_T5_T6_T7_T9_mT8_P12ihipStream_tbDpT10_ENKUlT_T0_E_clISt17integral_constantIbLb0EES1A_IbLb1EEEEDaS16_S17_EUlS16_E_NS1_11comp_targetILNS1_3genE4ELNS1_11target_archE910ELNS1_3gpuE8ELNS1_3repE0EEENS1_30default_config_static_selectorELNS0_4arch9wavefront6targetE1EEEvT1_
                                        ; -- End function
	.section	.AMDGPU.csdata,"",@progbits
; Kernel info:
; codeLenInByte = 6688
; NumSgprs: 40
; NumVgprs: 66
; NumAgprs: 0
; TotalNumVgprs: 66
; ScratchSize: 0
; MemoryBound: 0
; FloatMode: 240
; IeeeMode: 1
; LDSByteSize: 10248 bytes/workgroup (compile time only)
; SGPRBlocks: 4
; VGPRBlocks: 8
; NumSGPRsForWavesPerEU: 40
; NumVGPRsForWavesPerEU: 66
; AccumOffset: 68
; Occupancy: 6
; WaveLimiterHint : 1
; COMPUTE_PGM_RSRC2:SCRATCH_EN: 0
; COMPUTE_PGM_RSRC2:USER_SGPR: 6
; COMPUTE_PGM_RSRC2:TRAP_HANDLER: 0
; COMPUTE_PGM_RSRC2:TGID_X_EN: 1
; COMPUTE_PGM_RSRC2:TGID_Y_EN: 0
; COMPUTE_PGM_RSRC2:TGID_Z_EN: 0
; COMPUTE_PGM_RSRC2:TIDIG_COMP_CNT: 0
; COMPUTE_PGM_RSRC3_GFX90A:ACCUM_OFFSET: 16
; COMPUTE_PGM_RSRC3_GFX90A:TG_SPLIT: 0
	.section	.text._ZN7rocprim17ROCPRIM_400000_NS6detail17trampoline_kernelINS0_14default_configENS1_25partition_config_selectorILNS1_17partition_subalgoE1EsNS0_10empty_typeEbEEZZNS1_14partition_implILS5_1ELb0ES3_jN6thrust23THRUST_200600_302600_NS6detail15normal_iteratorINSA_10device_ptrIsEEEEPS6_NSA_18transform_iteratorI7is_evenIsESF_NSA_11use_defaultESK_EENS0_5tupleIJNSA_16discard_iteratorISK_EESO_EEENSM_IJSG_SG_EEES6_PlJS6_EEE10hipError_tPvRmT3_T4_T5_T6_T7_T9_mT8_P12ihipStream_tbDpT10_ENKUlT_T0_E_clISt17integral_constantIbLb0EES1A_IbLb1EEEEDaS16_S17_EUlS16_E_NS1_11comp_targetILNS1_3genE3ELNS1_11target_archE908ELNS1_3gpuE7ELNS1_3repE0EEENS1_30default_config_static_selectorELNS0_4arch9wavefront6targetE1EEEvT1_,"axG",@progbits,_ZN7rocprim17ROCPRIM_400000_NS6detail17trampoline_kernelINS0_14default_configENS1_25partition_config_selectorILNS1_17partition_subalgoE1EsNS0_10empty_typeEbEEZZNS1_14partition_implILS5_1ELb0ES3_jN6thrust23THRUST_200600_302600_NS6detail15normal_iteratorINSA_10device_ptrIsEEEEPS6_NSA_18transform_iteratorI7is_evenIsESF_NSA_11use_defaultESK_EENS0_5tupleIJNSA_16discard_iteratorISK_EESO_EEENSM_IJSG_SG_EEES6_PlJS6_EEE10hipError_tPvRmT3_T4_T5_T6_T7_T9_mT8_P12ihipStream_tbDpT10_ENKUlT_T0_E_clISt17integral_constantIbLb0EES1A_IbLb1EEEEDaS16_S17_EUlS16_E_NS1_11comp_targetILNS1_3genE3ELNS1_11target_archE908ELNS1_3gpuE7ELNS1_3repE0EEENS1_30default_config_static_selectorELNS0_4arch9wavefront6targetE1EEEvT1_,comdat
	.protected	_ZN7rocprim17ROCPRIM_400000_NS6detail17trampoline_kernelINS0_14default_configENS1_25partition_config_selectorILNS1_17partition_subalgoE1EsNS0_10empty_typeEbEEZZNS1_14partition_implILS5_1ELb0ES3_jN6thrust23THRUST_200600_302600_NS6detail15normal_iteratorINSA_10device_ptrIsEEEEPS6_NSA_18transform_iteratorI7is_evenIsESF_NSA_11use_defaultESK_EENS0_5tupleIJNSA_16discard_iteratorISK_EESO_EEENSM_IJSG_SG_EEES6_PlJS6_EEE10hipError_tPvRmT3_T4_T5_T6_T7_T9_mT8_P12ihipStream_tbDpT10_ENKUlT_T0_E_clISt17integral_constantIbLb0EES1A_IbLb1EEEEDaS16_S17_EUlS16_E_NS1_11comp_targetILNS1_3genE3ELNS1_11target_archE908ELNS1_3gpuE7ELNS1_3repE0EEENS1_30default_config_static_selectorELNS0_4arch9wavefront6targetE1EEEvT1_ ; -- Begin function _ZN7rocprim17ROCPRIM_400000_NS6detail17trampoline_kernelINS0_14default_configENS1_25partition_config_selectorILNS1_17partition_subalgoE1EsNS0_10empty_typeEbEEZZNS1_14partition_implILS5_1ELb0ES3_jN6thrust23THRUST_200600_302600_NS6detail15normal_iteratorINSA_10device_ptrIsEEEEPS6_NSA_18transform_iteratorI7is_evenIsESF_NSA_11use_defaultESK_EENS0_5tupleIJNSA_16discard_iteratorISK_EESO_EEENSM_IJSG_SG_EEES6_PlJS6_EEE10hipError_tPvRmT3_T4_T5_T6_T7_T9_mT8_P12ihipStream_tbDpT10_ENKUlT_T0_E_clISt17integral_constantIbLb0EES1A_IbLb1EEEEDaS16_S17_EUlS16_E_NS1_11comp_targetILNS1_3genE3ELNS1_11target_archE908ELNS1_3gpuE7ELNS1_3repE0EEENS1_30default_config_static_selectorELNS0_4arch9wavefront6targetE1EEEvT1_
	.globl	_ZN7rocprim17ROCPRIM_400000_NS6detail17trampoline_kernelINS0_14default_configENS1_25partition_config_selectorILNS1_17partition_subalgoE1EsNS0_10empty_typeEbEEZZNS1_14partition_implILS5_1ELb0ES3_jN6thrust23THRUST_200600_302600_NS6detail15normal_iteratorINSA_10device_ptrIsEEEEPS6_NSA_18transform_iteratorI7is_evenIsESF_NSA_11use_defaultESK_EENS0_5tupleIJNSA_16discard_iteratorISK_EESO_EEENSM_IJSG_SG_EEES6_PlJS6_EEE10hipError_tPvRmT3_T4_T5_T6_T7_T9_mT8_P12ihipStream_tbDpT10_ENKUlT_T0_E_clISt17integral_constantIbLb0EES1A_IbLb1EEEEDaS16_S17_EUlS16_E_NS1_11comp_targetILNS1_3genE3ELNS1_11target_archE908ELNS1_3gpuE7ELNS1_3repE0EEENS1_30default_config_static_selectorELNS0_4arch9wavefront6targetE1EEEvT1_
	.p2align	8
	.type	_ZN7rocprim17ROCPRIM_400000_NS6detail17trampoline_kernelINS0_14default_configENS1_25partition_config_selectorILNS1_17partition_subalgoE1EsNS0_10empty_typeEbEEZZNS1_14partition_implILS5_1ELb0ES3_jN6thrust23THRUST_200600_302600_NS6detail15normal_iteratorINSA_10device_ptrIsEEEEPS6_NSA_18transform_iteratorI7is_evenIsESF_NSA_11use_defaultESK_EENS0_5tupleIJNSA_16discard_iteratorISK_EESO_EEENSM_IJSG_SG_EEES6_PlJS6_EEE10hipError_tPvRmT3_T4_T5_T6_T7_T9_mT8_P12ihipStream_tbDpT10_ENKUlT_T0_E_clISt17integral_constantIbLb0EES1A_IbLb1EEEEDaS16_S17_EUlS16_E_NS1_11comp_targetILNS1_3genE3ELNS1_11target_archE908ELNS1_3gpuE7ELNS1_3repE0EEENS1_30default_config_static_selectorELNS0_4arch9wavefront6targetE1EEEvT1_,@function
_ZN7rocprim17ROCPRIM_400000_NS6detail17trampoline_kernelINS0_14default_configENS1_25partition_config_selectorILNS1_17partition_subalgoE1EsNS0_10empty_typeEbEEZZNS1_14partition_implILS5_1ELb0ES3_jN6thrust23THRUST_200600_302600_NS6detail15normal_iteratorINSA_10device_ptrIsEEEEPS6_NSA_18transform_iteratorI7is_evenIsESF_NSA_11use_defaultESK_EENS0_5tupleIJNSA_16discard_iteratorISK_EESO_EEENSM_IJSG_SG_EEES6_PlJS6_EEE10hipError_tPvRmT3_T4_T5_T6_T7_T9_mT8_P12ihipStream_tbDpT10_ENKUlT_T0_E_clISt17integral_constantIbLb0EES1A_IbLb1EEEEDaS16_S17_EUlS16_E_NS1_11comp_targetILNS1_3genE3ELNS1_11target_archE908ELNS1_3gpuE7ELNS1_3repE0EEENS1_30default_config_static_selectorELNS0_4arch9wavefront6targetE1EEEvT1_: ; @_ZN7rocprim17ROCPRIM_400000_NS6detail17trampoline_kernelINS0_14default_configENS1_25partition_config_selectorILNS1_17partition_subalgoE1EsNS0_10empty_typeEbEEZZNS1_14partition_implILS5_1ELb0ES3_jN6thrust23THRUST_200600_302600_NS6detail15normal_iteratorINSA_10device_ptrIsEEEEPS6_NSA_18transform_iteratorI7is_evenIsESF_NSA_11use_defaultESK_EENS0_5tupleIJNSA_16discard_iteratorISK_EESO_EEENSM_IJSG_SG_EEES6_PlJS6_EEE10hipError_tPvRmT3_T4_T5_T6_T7_T9_mT8_P12ihipStream_tbDpT10_ENKUlT_T0_E_clISt17integral_constantIbLb0EES1A_IbLb1EEEEDaS16_S17_EUlS16_E_NS1_11comp_targetILNS1_3genE3ELNS1_11target_archE908ELNS1_3gpuE7ELNS1_3repE0EEENS1_30default_config_static_selectorELNS0_4arch9wavefront6targetE1EEEvT1_
; %bb.0:
	.section	.rodata,"a",@progbits
	.p2align	6, 0x0
	.amdhsa_kernel _ZN7rocprim17ROCPRIM_400000_NS6detail17trampoline_kernelINS0_14default_configENS1_25partition_config_selectorILNS1_17partition_subalgoE1EsNS0_10empty_typeEbEEZZNS1_14partition_implILS5_1ELb0ES3_jN6thrust23THRUST_200600_302600_NS6detail15normal_iteratorINSA_10device_ptrIsEEEEPS6_NSA_18transform_iteratorI7is_evenIsESF_NSA_11use_defaultESK_EENS0_5tupleIJNSA_16discard_iteratorISK_EESO_EEENSM_IJSG_SG_EEES6_PlJS6_EEE10hipError_tPvRmT3_T4_T5_T6_T7_T9_mT8_P12ihipStream_tbDpT10_ENKUlT_T0_E_clISt17integral_constantIbLb0EES1A_IbLb1EEEEDaS16_S17_EUlS16_E_NS1_11comp_targetILNS1_3genE3ELNS1_11target_archE908ELNS1_3gpuE7ELNS1_3repE0EEENS1_30default_config_static_selectorELNS0_4arch9wavefront6targetE1EEEvT1_
		.amdhsa_group_segment_fixed_size 0
		.amdhsa_private_segment_fixed_size 0
		.amdhsa_kernarg_size 160
		.amdhsa_user_sgpr_count 6
		.amdhsa_user_sgpr_private_segment_buffer 1
		.amdhsa_user_sgpr_dispatch_ptr 0
		.amdhsa_user_sgpr_queue_ptr 0
		.amdhsa_user_sgpr_kernarg_segment_ptr 1
		.amdhsa_user_sgpr_dispatch_id 0
		.amdhsa_user_sgpr_flat_scratch_init 0
		.amdhsa_user_sgpr_kernarg_preload_length 0
		.amdhsa_user_sgpr_kernarg_preload_offset 0
		.amdhsa_user_sgpr_private_segment_size 0
		.amdhsa_uses_dynamic_stack 0
		.amdhsa_system_sgpr_private_segment_wavefront_offset 0
		.amdhsa_system_sgpr_workgroup_id_x 1
		.amdhsa_system_sgpr_workgroup_id_y 0
		.amdhsa_system_sgpr_workgroup_id_z 0
		.amdhsa_system_sgpr_workgroup_info 0
		.amdhsa_system_vgpr_workitem_id 0
		.amdhsa_next_free_vgpr 1
		.amdhsa_next_free_sgpr 0
		.amdhsa_accum_offset 4
		.amdhsa_reserve_vcc 0
		.amdhsa_reserve_flat_scratch 0
		.amdhsa_float_round_mode_32 0
		.amdhsa_float_round_mode_16_64 0
		.amdhsa_float_denorm_mode_32 3
		.amdhsa_float_denorm_mode_16_64 3
		.amdhsa_dx10_clamp 1
		.amdhsa_ieee_mode 1
		.amdhsa_fp16_overflow 0
		.amdhsa_tg_split 0
		.amdhsa_exception_fp_ieee_invalid_op 0
		.amdhsa_exception_fp_denorm_src 0
		.amdhsa_exception_fp_ieee_div_zero 0
		.amdhsa_exception_fp_ieee_overflow 0
		.amdhsa_exception_fp_ieee_underflow 0
		.amdhsa_exception_fp_ieee_inexact 0
		.amdhsa_exception_int_div_zero 0
	.end_amdhsa_kernel
	.section	.text._ZN7rocprim17ROCPRIM_400000_NS6detail17trampoline_kernelINS0_14default_configENS1_25partition_config_selectorILNS1_17partition_subalgoE1EsNS0_10empty_typeEbEEZZNS1_14partition_implILS5_1ELb0ES3_jN6thrust23THRUST_200600_302600_NS6detail15normal_iteratorINSA_10device_ptrIsEEEEPS6_NSA_18transform_iteratorI7is_evenIsESF_NSA_11use_defaultESK_EENS0_5tupleIJNSA_16discard_iteratorISK_EESO_EEENSM_IJSG_SG_EEES6_PlJS6_EEE10hipError_tPvRmT3_T4_T5_T6_T7_T9_mT8_P12ihipStream_tbDpT10_ENKUlT_T0_E_clISt17integral_constantIbLb0EES1A_IbLb1EEEEDaS16_S17_EUlS16_E_NS1_11comp_targetILNS1_3genE3ELNS1_11target_archE908ELNS1_3gpuE7ELNS1_3repE0EEENS1_30default_config_static_selectorELNS0_4arch9wavefront6targetE1EEEvT1_,"axG",@progbits,_ZN7rocprim17ROCPRIM_400000_NS6detail17trampoline_kernelINS0_14default_configENS1_25partition_config_selectorILNS1_17partition_subalgoE1EsNS0_10empty_typeEbEEZZNS1_14partition_implILS5_1ELb0ES3_jN6thrust23THRUST_200600_302600_NS6detail15normal_iteratorINSA_10device_ptrIsEEEEPS6_NSA_18transform_iteratorI7is_evenIsESF_NSA_11use_defaultESK_EENS0_5tupleIJNSA_16discard_iteratorISK_EESO_EEENSM_IJSG_SG_EEES6_PlJS6_EEE10hipError_tPvRmT3_T4_T5_T6_T7_T9_mT8_P12ihipStream_tbDpT10_ENKUlT_T0_E_clISt17integral_constantIbLb0EES1A_IbLb1EEEEDaS16_S17_EUlS16_E_NS1_11comp_targetILNS1_3genE3ELNS1_11target_archE908ELNS1_3gpuE7ELNS1_3repE0EEENS1_30default_config_static_selectorELNS0_4arch9wavefront6targetE1EEEvT1_,comdat
.Lfunc_end3382:
	.size	_ZN7rocprim17ROCPRIM_400000_NS6detail17trampoline_kernelINS0_14default_configENS1_25partition_config_selectorILNS1_17partition_subalgoE1EsNS0_10empty_typeEbEEZZNS1_14partition_implILS5_1ELb0ES3_jN6thrust23THRUST_200600_302600_NS6detail15normal_iteratorINSA_10device_ptrIsEEEEPS6_NSA_18transform_iteratorI7is_evenIsESF_NSA_11use_defaultESK_EENS0_5tupleIJNSA_16discard_iteratorISK_EESO_EEENSM_IJSG_SG_EEES6_PlJS6_EEE10hipError_tPvRmT3_T4_T5_T6_T7_T9_mT8_P12ihipStream_tbDpT10_ENKUlT_T0_E_clISt17integral_constantIbLb0EES1A_IbLb1EEEEDaS16_S17_EUlS16_E_NS1_11comp_targetILNS1_3genE3ELNS1_11target_archE908ELNS1_3gpuE7ELNS1_3repE0EEENS1_30default_config_static_selectorELNS0_4arch9wavefront6targetE1EEEvT1_, .Lfunc_end3382-_ZN7rocprim17ROCPRIM_400000_NS6detail17trampoline_kernelINS0_14default_configENS1_25partition_config_selectorILNS1_17partition_subalgoE1EsNS0_10empty_typeEbEEZZNS1_14partition_implILS5_1ELb0ES3_jN6thrust23THRUST_200600_302600_NS6detail15normal_iteratorINSA_10device_ptrIsEEEEPS6_NSA_18transform_iteratorI7is_evenIsESF_NSA_11use_defaultESK_EENS0_5tupleIJNSA_16discard_iteratorISK_EESO_EEENSM_IJSG_SG_EEES6_PlJS6_EEE10hipError_tPvRmT3_T4_T5_T6_T7_T9_mT8_P12ihipStream_tbDpT10_ENKUlT_T0_E_clISt17integral_constantIbLb0EES1A_IbLb1EEEEDaS16_S17_EUlS16_E_NS1_11comp_targetILNS1_3genE3ELNS1_11target_archE908ELNS1_3gpuE7ELNS1_3repE0EEENS1_30default_config_static_selectorELNS0_4arch9wavefront6targetE1EEEvT1_
                                        ; -- End function
	.section	.AMDGPU.csdata,"",@progbits
; Kernel info:
; codeLenInByte = 0
; NumSgprs: 4
; NumVgprs: 0
; NumAgprs: 0
; TotalNumVgprs: 0
; ScratchSize: 0
; MemoryBound: 0
; FloatMode: 240
; IeeeMode: 1
; LDSByteSize: 0 bytes/workgroup (compile time only)
; SGPRBlocks: 0
; VGPRBlocks: 0
; NumSGPRsForWavesPerEU: 4
; NumVGPRsForWavesPerEU: 1
; AccumOffset: 4
; Occupancy: 8
; WaveLimiterHint : 0
; COMPUTE_PGM_RSRC2:SCRATCH_EN: 0
; COMPUTE_PGM_RSRC2:USER_SGPR: 6
; COMPUTE_PGM_RSRC2:TRAP_HANDLER: 0
; COMPUTE_PGM_RSRC2:TGID_X_EN: 1
; COMPUTE_PGM_RSRC2:TGID_Y_EN: 0
; COMPUTE_PGM_RSRC2:TGID_Z_EN: 0
; COMPUTE_PGM_RSRC2:TIDIG_COMP_CNT: 0
; COMPUTE_PGM_RSRC3_GFX90A:ACCUM_OFFSET: 0
; COMPUTE_PGM_RSRC3_GFX90A:TG_SPLIT: 0
	.section	.text._ZN7rocprim17ROCPRIM_400000_NS6detail17trampoline_kernelINS0_14default_configENS1_25partition_config_selectorILNS1_17partition_subalgoE1EsNS0_10empty_typeEbEEZZNS1_14partition_implILS5_1ELb0ES3_jN6thrust23THRUST_200600_302600_NS6detail15normal_iteratorINSA_10device_ptrIsEEEEPS6_NSA_18transform_iteratorI7is_evenIsESF_NSA_11use_defaultESK_EENS0_5tupleIJNSA_16discard_iteratorISK_EESO_EEENSM_IJSG_SG_EEES6_PlJS6_EEE10hipError_tPvRmT3_T4_T5_T6_T7_T9_mT8_P12ihipStream_tbDpT10_ENKUlT_T0_E_clISt17integral_constantIbLb0EES1A_IbLb1EEEEDaS16_S17_EUlS16_E_NS1_11comp_targetILNS1_3genE2ELNS1_11target_archE906ELNS1_3gpuE6ELNS1_3repE0EEENS1_30default_config_static_selectorELNS0_4arch9wavefront6targetE1EEEvT1_,"axG",@progbits,_ZN7rocprim17ROCPRIM_400000_NS6detail17trampoline_kernelINS0_14default_configENS1_25partition_config_selectorILNS1_17partition_subalgoE1EsNS0_10empty_typeEbEEZZNS1_14partition_implILS5_1ELb0ES3_jN6thrust23THRUST_200600_302600_NS6detail15normal_iteratorINSA_10device_ptrIsEEEEPS6_NSA_18transform_iteratorI7is_evenIsESF_NSA_11use_defaultESK_EENS0_5tupleIJNSA_16discard_iteratorISK_EESO_EEENSM_IJSG_SG_EEES6_PlJS6_EEE10hipError_tPvRmT3_T4_T5_T6_T7_T9_mT8_P12ihipStream_tbDpT10_ENKUlT_T0_E_clISt17integral_constantIbLb0EES1A_IbLb1EEEEDaS16_S17_EUlS16_E_NS1_11comp_targetILNS1_3genE2ELNS1_11target_archE906ELNS1_3gpuE6ELNS1_3repE0EEENS1_30default_config_static_selectorELNS0_4arch9wavefront6targetE1EEEvT1_,comdat
	.protected	_ZN7rocprim17ROCPRIM_400000_NS6detail17trampoline_kernelINS0_14default_configENS1_25partition_config_selectorILNS1_17partition_subalgoE1EsNS0_10empty_typeEbEEZZNS1_14partition_implILS5_1ELb0ES3_jN6thrust23THRUST_200600_302600_NS6detail15normal_iteratorINSA_10device_ptrIsEEEEPS6_NSA_18transform_iteratorI7is_evenIsESF_NSA_11use_defaultESK_EENS0_5tupleIJNSA_16discard_iteratorISK_EESO_EEENSM_IJSG_SG_EEES6_PlJS6_EEE10hipError_tPvRmT3_T4_T5_T6_T7_T9_mT8_P12ihipStream_tbDpT10_ENKUlT_T0_E_clISt17integral_constantIbLb0EES1A_IbLb1EEEEDaS16_S17_EUlS16_E_NS1_11comp_targetILNS1_3genE2ELNS1_11target_archE906ELNS1_3gpuE6ELNS1_3repE0EEENS1_30default_config_static_selectorELNS0_4arch9wavefront6targetE1EEEvT1_ ; -- Begin function _ZN7rocprim17ROCPRIM_400000_NS6detail17trampoline_kernelINS0_14default_configENS1_25partition_config_selectorILNS1_17partition_subalgoE1EsNS0_10empty_typeEbEEZZNS1_14partition_implILS5_1ELb0ES3_jN6thrust23THRUST_200600_302600_NS6detail15normal_iteratorINSA_10device_ptrIsEEEEPS6_NSA_18transform_iteratorI7is_evenIsESF_NSA_11use_defaultESK_EENS0_5tupleIJNSA_16discard_iteratorISK_EESO_EEENSM_IJSG_SG_EEES6_PlJS6_EEE10hipError_tPvRmT3_T4_T5_T6_T7_T9_mT8_P12ihipStream_tbDpT10_ENKUlT_T0_E_clISt17integral_constantIbLb0EES1A_IbLb1EEEEDaS16_S17_EUlS16_E_NS1_11comp_targetILNS1_3genE2ELNS1_11target_archE906ELNS1_3gpuE6ELNS1_3repE0EEENS1_30default_config_static_selectorELNS0_4arch9wavefront6targetE1EEEvT1_
	.globl	_ZN7rocprim17ROCPRIM_400000_NS6detail17trampoline_kernelINS0_14default_configENS1_25partition_config_selectorILNS1_17partition_subalgoE1EsNS0_10empty_typeEbEEZZNS1_14partition_implILS5_1ELb0ES3_jN6thrust23THRUST_200600_302600_NS6detail15normal_iteratorINSA_10device_ptrIsEEEEPS6_NSA_18transform_iteratorI7is_evenIsESF_NSA_11use_defaultESK_EENS0_5tupleIJNSA_16discard_iteratorISK_EESO_EEENSM_IJSG_SG_EEES6_PlJS6_EEE10hipError_tPvRmT3_T4_T5_T6_T7_T9_mT8_P12ihipStream_tbDpT10_ENKUlT_T0_E_clISt17integral_constantIbLb0EES1A_IbLb1EEEEDaS16_S17_EUlS16_E_NS1_11comp_targetILNS1_3genE2ELNS1_11target_archE906ELNS1_3gpuE6ELNS1_3repE0EEENS1_30default_config_static_selectorELNS0_4arch9wavefront6targetE1EEEvT1_
	.p2align	8
	.type	_ZN7rocprim17ROCPRIM_400000_NS6detail17trampoline_kernelINS0_14default_configENS1_25partition_config_selectorILNS1_17partition_subalgoE1EsNS0_10empty_typeEbEEZZNS1_14partition_implILS5_1ELb0ES3_jN6thrust23THRUST_200600_302600_NS6detail15normal_iteratorINSA_10device_ptrIsEEEEPS6_NSA_18transform_iteratorI7is_evenIsESF_NSA_11use_defaultESK_EENS0_5tupleIJNSA_16discard_iteratorISK_EESO_EEENSM_IJSG_SG_EEES6_PlJS6_EEE10hipError_tPvRmT3_T4_T5_T6_T7_T9_mT8_P12ihipStream_tbDpT10_ENKUlT_T0_E_clISt17integral_constantIbLb0EES1A_IbLb1EEEEDaS16_S17_EUlS16_E_NS1_11comp_targetILNS1_3genE2ELNS1_11target_archE906ELNS1_3gpuE6ELNS1_3repE0EEENS1_30default_config_static_selectorELNS0_4arch9wavefront6targetE1EEEvT1_,@function
_ZN7rocprim17ROCPRIM_400000_NS6detail17trampoline_kernelINS0_14default_configENS1_25partition_config_selectorILNS1_17partition_subalgoE1EsNS0_10empty_typeEbEEZZNS1_14partition_implILS5_1ELb0ES3_jN6thrust23THRUST_200600_302600_NS6detail15normal_iteratorINSA_10device_ptrIsEEEEPS6_NSA_18transform_iteratorI7is_evenIsESF_NSA_11use_defaultESK_EENS0_5tupleIJNSA_16discard_iteratorISK_EESO_EEENSM_IJSG_SG_EEES6_PlJS6_EEE10hipError_tPvRmT3_T4_T5_T6_T7_T9_mT8_P12ihipStream_tbDpT10_ENKUlT_T0_E_clISt17integral_constantIbLb0EES1A_IbLb1EEEEDaS16_S17_EUlS16_E_NS1_11comp_targetILNS1_3genE2ELNS1_11target_archE906ELNS1_3gpuE6ELNS1_3repE0EEENS1_30default_config_static_selectorELNS0_4arch9wavefront6targetE1EEEvT1_: ; @_ZN7rocprim17ROCPRIM_400000_NS6detail17trampoline_kernelINS0_14default_configENS1_25partition_config_selectorILNS1_17partition_subalgoE1EsNS0_10empty_typeEbEEZZNS1_14partition_implILS5_1ELb0ES3_jN6thrust23THRUST_200600_302600_NS6detail15normal_iteratorINSA_10device_ptrIsEEEEPS6_NSA_18transform_iteratorI7is_evenIsESF_NSA_11use_defaultESK_EENS0_5tupleIJNSA_16discard_iteratorISK_EESO_EEENSM_IJSG_SG_EEES6_PlJS6_EEE10hipError_tPvRmT3_T4_T5_T6_T7_T9_mT8_P12ihipStream_tbDpT10_ENKUlT_T0_E_clISt17integral_constantIbLb0EES1A_IbLb1EEEEDaS16_S17_EUlS16_E_NS1_11comp_targetILNS1_3genE2ELNS1_11target_archE906ELNS1_3gpuE6ELNS1_3repE0EEENS1_30default_config_static_selectorELNS0_4arch9wavefront6targetE1EEEvT1_
; %bb.0:
	.section	.rodata,"a",@progbits
	.p2align	6, 0x0
	.amdhsa_kernel _ZN7rocprim17ROCPRIM_400000_NS6detail17trampoline_kernelINS0_14default_configENS1_25partition_config_selectorILNS1_17partition_subalgoE1EsNS0_10empty_typeEbEEZZNS1_14partition_implILS5_1ELb0ES3_jN6thrust23THRUST_200600_302600_NS6detail15normal_iteratorINSA_10device_ptrIsEEEEPS6_NSA_18transform_iteratorI7is_evenIsESF_NSA_11use_defaultESK_EENS0_5tupleIJNSA_16discard_iteratorISK_EESO_EEENSM_IJSG_SG_EEES6_PlJS6_EEE10hipError_tPvRmT3_T4_T5_T6_T7_T9_mT8_P12ihipStream_tbDpT10_ENKUlT_T0_E_clISt17integral_constantIbLb0EES1A_IbLb1EEEEDaS16_S17_EUlS16_E_NS1_11comp_targetILNS1_3genE2ELNS1_11target_archE906ELNS1_3gpuE6ELNS1_3repE0EEENS1_30default_config_static_selectorELNS0_4arch9wavefront6targetE1EEEvT1_
		.amdhsa_group_segment_fixed_size 0
		.amdhsa_private_segment_fixed_size 0
		.amdhsa_kernarg_size 160
		.amdhsa_user_sgpr_count 6
		.amdhsa_user_sgpr_private_segment_buffer 1
		.amdhsa_user_sgpr_dispatch_ptr 0
		.amdhsa_user_sgpr_queue_ptr 0
		.amdhsa_user_sgpr_kernarg_segment_ptr 1
		.amdhsa_user_sgpr_dispatch_id 0
		.amdhsa_user_sgpr_flat_scratch_init 0
		.amdhsa_user_sgpr_kernarg_preload_length 0
		.amdhsa_user_sgpr_kernarg_preload_offset 0
		.amdhsa_user_sgpr_private_segment_size 0
		.amdhsa_uses_dynamic_stack 0
		.amdhsa_system_sgpr_private_segment_wavefront_offset 0
		.amdhsa_system_sgpr_workgroup_id_x 1
		.amdhsa_system_sgpr_workgroup_id_y 0
		.amdhsa_system_sgpr_workgroup_id_z 0
		.amdhsa_system_sgpr_workgroup_info 0
		.amdhsa_system_vgpr_workitem_id 0
		.amdhsa_next_free_vgpr 1
		.amdhsa_next_free_sgpr 0
		.amdhsa_accum_offset 4
		.amdhsa_reserve_vcc 0
		.amdhsa_reserve_flat_scratch 0
		.amdhsa_float_round_mode_32 0
		.amdhsa_float_round_mode_16_64 0
		.amdhsa_float_denorm_mode_32 3
		.amdhsa_float_denorm_mode_16_64 3
		.amdhsa_dx10_clamp 1
		.amdhsa_ieee_mode 1
		.amdhsa_fp16_overflow 0
		.amdhsa_tg_split 0
		.amdhsa_exception_fp_ieee_invalid_op 0
		.amdhsa_exception_fp_denorm_src 0
		.amdhsa_exception_fp_ieee_div_zero 0
		.amdhsa_exception_fp_ieee_overflow 0
		.amdhsa_exception_fp_ieee_underflow 0
		.amdhsa_exception_fp_ieee_inexact 0
		.amdhsa_exception_int_div_zero 0
	.end_amdhsa_kernel
	.section	.text._ZN7rocprim17ROCPRIM_400000_NS6detail17trampoline_kernelINS0_14default_configENS1_25partition_config_selectorILNS1_17partition_subalgoE1EsNS0_10empty_typeEbEEZZNS1_14partition_implILS5_1ELb0ES3_jN6thrust23THRUST_200600_302600_NS6detail15normal_iteratorINSA_10device_ptrIsEEEEPS6_NSA_18transform_iteratorI7is_evenIsESF_NSA_11use_defaultESK_EENS0_5tupleIJNSA_16discard_iteratorISK_EESO_EEENSM_IJSG_SG_EEES6_PlJS6_EEE10hipError_tPvRmT3_T4_T5_T6_T7_T9_mT8_P12ihipStream_tbDpT10_ENKUlT_T0_E_clISt17integral_constantIbLb0EES1A_IbLb1EEEEDaS16_S17_EUlS16_E_NS1_11comp_targetILNS1_3genE2ELNS1_11target_archE906ELNS1_3gpuE6ELNS1_3repE0EEENS1_30default_config_static_selectorELNS0_4arch9wavefront6targetE1EEEvT1_,"axG",@progbits,_ZN7rocprim17ROCPRIM_400000_NS6detail17trampoline_kernelINS0_14default_configENS1_25partition_config_selectorILNS1_17partition_subalgoE1EsNS0_10empty_typeEbEEZZNS1_14partition_implILS5_1ELb0ES3_jN6thrust23THRUST_200600_302600_NS6detail15normal_iteratorINSA_10device_ptrIsEEEEPS6_NSA_18transform_iteratorI7is_evenIsESF_NSA_11use_defaultESK_EENS0_5tupleIJNSA_16discard_iteratorISK_EESO_EEENSM_IJSG_SG_EEES6_PlJS6_EEE10hipError_tPvRmT3_T4_T5_T6_T7_T9_mT8_P12ihipStream_tbDpT10_ENKUlT_T0_E_clISt17integral_constantIbLb0EES1A_IbLb1EEEEDaS16_S17_EUlS16_E_NS1_11comp_targetILNS1_3genE2ELNS1_11target_archE906ELNS1_3gpuE6ELNS1_3repE0EEENS1_30default_config_static_selectorELNS0_4arch9wavefront6targetE1EEEvT1_,comdat
.Lfunc_end3383:
	.size	_ZN7rocprim17ROCPRIM_400000_NS6detail17trampoline_kernelINS0_14default_configENS1_25partition_config_selectorILNS1_17partition_subalgoE1EsNS0_10empty_typeEbEEZZNS1_14partition_implILS5_1ELb0ES3_jN6thrust23THRUST_200600_302600_NS6detail15normal_iteratorINSA_10device_ptrIsEEEEPS6_NSA_18transform_iteratorI7is_evenIsESF_NSA_11use_defaultESK_EENS0_5tupleIJNSA_16discard_iteratorISK_EESO_EEENSM_IJSG_SG_EEES6_PlJS6_EEE10hipError_tPvRmT3_T4_T5_T6_T7_T9_mT8_P12ihipStream_tbDpT10_ENKUlT_T0_E_clISt17integral_constantIbLb0EES1A_IbLb1EEEEDaS16_S17_EUlS16_E_NS1_11comp_targetILNS1_3genE2ELNS1_11target_archE906ELNS1_3gpuE6ELNS1_3repE0EEENS1_30default_config_static_selectorELNS0_4arch9wavefront6targetE1EEEvT1_, .Lfunc_end3383-_ZN7rocprim17ROCPRIM_400000_NS6detail17trampoline_kernelINS0_14default_configENS1_25partition_config_selectorILNS1_17partition_subalgoE1EsNS0_10empty_typeEbEEZZNS1_14partition_implILS5_1ELb0ES3_jN6thrust23THRUST_200600_302600_NS6detail15normal_iteratorINSA_10device_ptrIsEEEEPS6_NSA_18transform_iteratorI7is_evenIsESF_NSA_11use_defaultESK_EENS0_5tupleIJNSA_16discard_iteratorISK_EESO_EEENSM_IJSG_SG_EEES6_PlJS6_EEE10hipError_tPvRmT3_T4_T5_T6_T7_T9_mT8_P12ihipStream_tbDpT10_ENKUlT_T0_E_clISt17integral_constantIbLb0EES1A_IbLb1EEEEDaS16_S17_EUlS16_E_NS1_11comp_targetILNS1_3genE2ELNS1_11target_archE906ELNS1_3gpuE6ELNS1_3repE0EEENS1_30default_config_static_selectorELNS0_4arch9wavefront6targetE1EEEvT1_
                                        ; -- End function
	.section	.AMDGPU.csdata,"",@progbits
; Kernel info:
; codeLenInByte = 0
; NumSgprs: 4
; NumVgprs: 0
; NumAgprs: 0
; TotalNumVgprs: 0
; ScratchSize: 0
; MemoryBound: 0
; FloatMode: 240
; IeeeMode: 1
; LDSByteSize: 0 bytes/workgroup (compile time only)
; SGPRBlocks: 0
; VGPRBlocks: 0
; NumSGPRsForWavesPerEU: 4
; NumVGPRsForWavesPerEU: 1
; AccumOffset: 4
; Occupancy: 8
; WaveLimiterHint : 0
; COMPUTE_PGM_RSRC2:SCRATCH_EN: 0
; COMPUTE_PGM_RSRC2:USER_SGPR: 6
; COMPUTE_PGM_RSRC2:TRAP_HANDLER: 0
; COMPUTE_PGM_RSRC2:TGID_X_EN: 1
; COMPUTE_PGM_RSRC2:TGID_Y_EN: 0
; COMPUTE_PGM_RSRC2:TGID_Z_EN: 0
; COMPUTE_PGM_RSRC2:TIDIG_COMP_CNT: 0
; COMPUTE_PGM_RSRC3_GFX90A:ACCUM_OFFSET: 0
; COMPUTE_PGM_RSRC3_GFX90A:TG_SPLIT: 0
	.section	.text._ZN7rocprim17ROCPRIM_400000_NS6detail17trampoline_kernelINS0_14default_configENS1_25partition_config_selectorILNS1_17partition_subalgoE1EsNS0_10empty_typeEbEEZZNS1_14partition_implILS5_1ELb0ES3_jN6thrust23THRUST_200600_302600_NS6detail15normal_iteratorINSA_10device_ptrIsEEEEPS6_NSA_18transform_iteratorI7is_evenIsESF_NSA_11use_defaultESK_EENS0_5tupleIJNSA_16discard_iteratorISK_EESO_EEENSM_IJSG_SG_EEES6_PlJS6_EEE10hipError_tPvRmT3_T4_T5_T6_T7_T9_mT8_P12ihipStream_tbDpT10_ENKUlT_T0_E_clISt17integral_constantIbLb0EES1A_IbLb1EEEEDaS16_S17_EUlS16_E_NS1_11comp_targetILNS1_3genE10ELNS1_11target_archE1200ELNS1_3gpuE4ELNS1_3repE0EEENS1_30default_config_static_selectorELNS0_4arch9wavefront6targetE1EEEvT1_,"axG",@progbits,_ZN7rocprim17ROCPRIM_400000_NS6detail17trampoline_kernelINS0_14default_configENS1_25partition_config_selectorILNS1_17partition_subalgoE1EsNS0_10empty_typeEbEEZZNS1_14partition_implILS5_1ELb0ES3_jN6thrust23THRUST_200600_302600_NS6detail15normal_iteratorINSA_10device_ptrIsEEEEPS6_NSA_18transform_iteratorI7is_evenIsESF_NSA_11use_defaultESK_EENS0_5tupleIJNSA_16discard_iteratorISK_EESO_EEENSM_IJSG_SG_EEES6_PlJS6_EEE10hipError_tPvRmT3_T4_T5_T6_T7_T9_mT8_P12ihipStream_tbDpT10_ENKUlT_T0_E_clISt17integral_constantIbLb0EES1A_IbLb1EEEEDaS16_S17_EUlS16_E_NS1_11comp_targetILNS1_3genE10ELNS1_11target_archE1200ELNS1_3gpuE4ELNS1_3repE0EEENS1_30default_config_static_selectorELNS0_4arch9wavefront6targetE1EEEvT1_,comdat
	.protected	_ZN7rocprim17ROCPRIM_400000_NS6detail17trampoline_kernelINS0_14default_configENS1_25partition_config_selectorILNS1_17partition_subalgoE1EsNS0_10empty_typeEbEEZZNS1_14partition_implILS5_1ELb0ES3_jN6thrust23THRUST_200600_302600_NS6detail15normal_iteratorINSA_10device_ptrIsEEEEPS6_NSA_18transform_iteratorI7is_evenIsESF_NSA_11use_defaultESK_EENS0_5tupleIJNSA_16discard_iteratorISK_EESO_EEENSM_IJSG_SG_EEES6_PlJS6_EEE10hipError_tPvRmT3_T4_T5_T6_T7_T9_mT8_P12ihipStream_tbDpT10_ENKUlT_T0_E_clISt17integral_constantIbLb0EES1A_IbLb1EEEEDaS16_S17_EUlS16_E_NS1_11comp_targetILNS1_3genE10ELNS1_11target_archE1200ELNS1_3gpuE4ELNS1_3repE0EEENS1_30default_config_static_selectorELNS0_4arch9wavefront6targetE1EEEvT1_ ; -- Begin function _ZN7rocprim17ROCPRIM_400000_NS6detail17trampoline_kernelINS0_14default_configENS1_25partition_config_selectorILNS1_17partition_subalgoE1EsNS0_10empty_typeEbEEZZNS1_14partition_implILS5_1ELb0ES3_jN6thrust23THRUST_200600_302600_NS6detail15normal_iteratorINSA_10device_ptrIsEEEEPS6_NSA_18transform_iteratorI7is_evenIsESF_NSA_11use_defaultESK_EENS0_5tupleIJNSA_16discard_iteratorISK_EESO_EEENSM_IJSG_SG_EEES6_PlJS6_EEE10hipError_tPvRmT3_T4_T5_T6_T7_T9_mT8_P12ihipStream_tbDpT10_ENKUlT_T0_E_clISt17integral_constantIbLb0EES1A_IbLb1EEEEDaS16_S17_EUlS16_E_NS1_11comp_targetILNS1_3genE10ELNS1_11target_archE1200ELNS1_3gpuE4ELNS1_3repE0EEENS1_30default_config_static_selectorELNS0_4arch9wavefront6targetE1EEEvT1_
	.globl	_ZN7rocprim17ROCPRIM_400000_NS6detail17trampoline_kernelINS0_14default_configENS1_25partition_config_selectorILNS1_17partition_subalgoE1EsNS0_10empty_typeEbEEZZNS1_14partition_implILS5_1ELb0ES3_jN6thrust23THRUST_200600_302600_NS6detail15normal_iteratorINSA_10device_ptrIsEEEEPS6_NSA_18transform_iteratorI7is_evenIsESF_NSA_11use_defaultESK_EENS0_5tupleIJNSA_16discard_iteratorISK_EESO_EEENSM_IJSG_SG_EEES6_PlJS6_EEE10hipError_tPvRmT3_T4_T5_T6_T7_T9_mT8_P12ihipStream_tbDpT10_ENKUlT_T0_E_clISt17integral_constantIbLb0EES1A_IbLb1EEEEDaS16_S17_EUlS16_E_NS1_11comp_targetILNS1_3genE10ELNS1_11target_archE1200ELNS1_3gpuE4ELNS1_3repE0EEENS1_30default_config_static_selectorELNS0_4arch9wavefront6targetE1EEEvT1_
	.p2align	8
	.type	_ZN7rocprim17ROCPRIM_400000_NS6detail17trampoline_kernelINS0_14default_configENS1_25partition_config_selectorILNS1_17partition_subalgoE1EsNS0_10empty_typeEbEEZZNS1_14partition_implILS5_1ELb0ES3_jN6thrust23THRUST_200600_302600_NS6detail15normal_iteratorINSA_10device_ptrIsEEEEPS6_NSA_18transform_iteratorI7is_evenIsESF_NSA_11use_defaultESK_EENS0_5tupleIJNSA_16discard_iteratorISK_EESO_EEENSM_IJSG_SG_EEES6_PlJS6_EEE10hipError_tPvRmT3_T4_T5_T6_T7_T9_mT8_P12ihipStream_tbDpT10_ENKUlT_T0_E_clISt17integral_constantIbLb0EES1A_IbLb1EEEEDaS16_S17_EUlS16_E_NS1_11comp_targetILNS1_3genE10ELNS1_11target_archE1200ELNS1_3gpuE4ELNS1_3repE0EEENS1_30default_config_static_selectorELNS0_4arch9wavefront6targetE1EEEvT1_,@function
_ZN7rocprim17ROCPRIM_400000_NS6detail17trampoline_kernelINS0_14default_configENS1_25partition_config_selectorILNS1_17partition_subalgoE1EsNS0_10empty_typeEbEEZZNS1_14partition_implILS5_1ELb0ES3_jN6thrust23THRUST_200600_302600_NS6detail15normal_iteratorINSA_10device_ptrIsEEEEPS6_NSA_18transform_iteratorI7is_evenIsESF_NSA_11use_defaultESK_EENS0_5tupleIJNSA_16discard_iteratorISK_EESO_EEENSM_IJSG_SG_EEES6_PlJS6_EEE10hipError_tPvRmT3_T4_T5_T6_T7_T9_mT8_P12ihipStream_tbDpT10_ENKUlT_T0_E_clISt17integral_constantIbLb0EES1A_IbLb1EEEEDaS16_S17_EUlS16_E_NS1_11comp_targetILNS1_3genE10ELNS1_11target_archE1200ELNS1_3gpuE4ELNS1_3repE0EEENS1_30default_config_static_selectorELNS0_4arch9wavefront6targetE1EEEvT1_: ; @_ZN7rocprim17ROCPRIM_400000_NS6detail17trampoline_kernelINS0_14default_configENS1_25partition_config_selectorILNS1_17partition_subalgoE1EsNS0_10empty_typeEbEEZZNS1_14partition_implILS5_1ELb0ES3_jN6thrust23THRUST_200600_302600_NS6detail15normal_iteratorINSA_10device_ptrIsEEEEPS6_NSA_18transform_iteratorI7is_evenIsESF_NSA_11use_defaultESK_EENS0_5tupleIJNSA_16discard_iteratorISK_EESO_EEENSM_IJSG_SG_EEES6_PlJS6_EEE10hipError_tPvRmT3_T4_T5_T6_T7_T9_mT8_P12ihipStream_tbDpT10_ENKUlT_T0_E_clISt17integral_constantIbLb0EES1A_IbLb1EEEEDaS16_S17_EUlS16_E_NS1_11comp_targetILNS1_3genE10ELNS1_11target_archE1200ELNS1_3gpuE4ELNS1_3repE0EEENS1_30default_config_static_selectorELNS0_4arch9wavefront6targetE1EEEvT1_
; %bb.0:
	.section	.rodata,"a",@progbits
	.p2align	6, 0x0
	.amdhsa_kernel _ZN7rocprim17ROCPRIM_400000_NS6detail17trampoline_kernelINS0_14default_configENS1_25partition_config_selectorILNS1_17partition_subalgoE1EsNS0_10empty_typeEbEEZZNS1_14partition_implILS5_1ELb0ES3_jN6thrust23THRUST_200600_302600_NS6detail15normal_iteratorINSA_10device_ptrIsEEEEPS6_NSA_18transform_iteratorI7is_evenIsESF_NSA_11use_defaultESK_EENS0_5tupleIJNSA_16discard_iteratorISK_EESO_EEENSM_IJSG_SG_EEES6_PlJS6_EEE10hipError_tPvRmT3_T4_T5_T6_T7_T9_mT8_P12ihipStream_tbDpT10_ENKUlT_T0_E_clISt17integral_constantIbLb0EES1A_IbLb1EEEEDaS16_S17_EUlS16_E_NS1_11comp_targetILNS1_3genE10ELNS1_11target_archE1200ELNS1_3gpuE4ELNS1_3repE0EEENS1_30default_config_static_selectorELNS0_4arch9wavefront6targetE1EEEvT1_
		.amdhsa_group_segment_fixed_size 0
		.amdhsa_private_segment_fixed_size 0
		.amdhsa_kernarg_size 160
		.amdhsa_user_sgpr_count 6
		.amdhsa_user_sgpr_private_segment_buffer 1
		.amdhsa_user_sgpr_dispatch_ptr 0
		.amdhsa_user_sgpr_queue_ptr 0
		.amdhsa_user_sgpr_kernarg_segment_ptr 1
		.amdhsa_user_sgpr_dispatch_id 0
		.amdhsa_user_sgpr_flat_scratch_init 0
		.amdhsa_user_sgpr_kernarg_preload_length 0
		.amdhsa_user_sgpr_kernarg_preload_offset 0
		.amdhsa_user_sgpr_private_segment_size 0
		.amdhsa_uses_dynamic_stack 0
		.amdhsa_system_sgpr_private_segment_wavefront_offset 0
		.amdhsa_system_sgpr_workgroup_id_x 1
		.amdhsa_system_sgpr_workgroup_id_y 0
		.amdhsa_system_sgpr_workgroup_id_z 0
		.amdhsa_system_sgpr_workgroup_info 0
		.amdhsa_system_vgpr_workitem_id 0
		.amdhsa_next_free_vgpr 1
		.amdhsa_next_free_sgpr 0
		.amdhsa_accum_offset 4
		.amdhsa_reserve_vcc 0
		.amdhsa_reserve_flat_scratch 0
		.amdhsa_float_round_mode_32 0
		.amdhsa_float_round_mode_16_64 0
		.amdhsa_float_denorm_mode_32 3
		.amdhsa_float_denorm_mode_16_64 3
		.amdhsa_dx10_clamp 1
		.amdhsa_ieee_mode 1
		.amdhsa_fp16_overflow 0
		.amdhsa_tg_split 0
		.amdhsa_exception_fp_ieee_invalid_op 0
		.amdhsa_exception_fp_denorm_src 0
		.amdhsa_exception_fp_ieee_div_zero 0
		.amdhsa_exception_fp_ieee_overflow 0
		.amdhsa_exception_fp_ieee_underflow 0
		.amdhsa_exception_fp_ieee_inexact 0
		.amdhsa_exception_int_div_zero 0
	.end_amdhsa_kernel
	.section	.text._ZN7rocprim17ROCPRIM_400000_NS6detail17trampoline_kernelINS0_14default_configENS1_25partition_config_selectorILNS1_17partition_subalgoE1EsNS0_10empty_typeEbEEZZNS1_14partition_implILS5_1ELb0ES3_jN6thrust23THRUST_200600_302600_NS6detail15normal_iteratorINSA_10device_ptrIsEEEEPS6_NSA_18transform_iteratorI7is_evenIsESF_NSA_11use_defaultESK_EENS0_5tupleIJNSA_16discard_iteratorISK_EESO_EEENSM_IJSG_SG_EEES6_PlJS6_EEE10hipError_tPvRmT3_T4_T5_T6_T7_T9_mT8_P12ihipStream_tbDpT10_ENKUlT_T0_E_clISt17integral_constantIbLb0EES1A_IbLb1EEEEDaS16_S17_EUlS16_E_NS1_11comp_targetILNS1_3genE10ELNS1_11target_archE1200ELNS1_3gpuE4ELNS1_3repE0EEENS1_30default_config_static_selectorELNS0_4arch9wavefront6targetE1EEEvT1_,"axG",@progbits,_ZN7rocprim17ROCPRIM_400000_NS6detail17trampoline_kernelINS0_14default_configENS1_25partition_config_selectorILNS1_17partition_subalgoE1EsNS0_10empty_typeEbEEZZNS1_14partition_implILS5_1ELb0ES3_jN6thrust23THRUST_200600_302600_NS6detail15normal_iteratorINSA_10device_ptrIsEEEEPS6_NSA_18transform_iteratorI7is_evenIsESF_NSA_11use_defaultESK_EENS0_5tupleIJNSA_16discard_iteratorISK_EESO_EEENSM_IJSG_SG_EEES6_PlJS6_EEE10hipError_tPvRmT3_T4_T5_T6_T7_T9_mT8_P12ihipStream_tbDpT10_ENKUlT_T0_E_clISt17integral_constantIbLb0EES1A_IbLb1EEEEDaS16_S17_EUlS16_E_NS1_11comp_targetILNS1_3genE10ELNS1_11target_archE1200ELNS1_3gpuE4ELNS1_3repE0EEENS1_30default_config_static_selectorELNS0_4arch9wavefront6targetE1EEEvT1_,comdat
.Lfunc_end3384:
	.size	_ZN7rocprim17ROCPRIM_400000_NS6detail17trampoline_kernelINS0_14default_configENS1_25partition_config_selectorILNS1_17partition_subalgoE1EsNS0_10empty_typeEbEEZZNS1_14partition_implILS5_1ELb0ES3_jN6thrust23THRUST_200600_302600_NS6detail15normal_iteratorINSA_10device_ptrIsEEEEPS6_NSA_18transform_iteratorI7is_evenIsESF_NSA_11use_defaultESK_EENS0_5tupleIJNSA_16discard_iteratorISK_EESO_EEENSM_IJSG_SG_EEES6_PlJS6_EEE10hipError_tPvRmT3_T4_T5_T6_T7_T9_mT8_P12ihipStream_tbDpT10_ENKUlT_T0_E_clISt17integral_constantIbLb0EES1A_IbLb1EEEEDaS16_S17_EUlS16_E_NS1_11comp_targetILNS1_3genE10ELNS1_11target_archE1200ELNS1_3gpuE4ELNS1_3repE0EEENS1_30default_config_static_selectorELNS0_4arch9wavefront6targetE1EEEvT1_, .Lfunc_end3384-_ZN7rocprim17ROCPRIM_400000_NS6detail17trampoline_kernelINS0_14default_configENS1_25partition_config_selectorILNS1_17partition_subalgoE1EsNS0_10empty_typeEbEEZZNS1_14partition_implILS5_1ELb0ES3_jN6thrust23THRUST_200600_302600_NS6detail15normal_iteratorINSA_10device_ptrIsEEEEPS6_NSA_18transform_iteratorI7is_evenIsESF_NSA_11use_defaultESK_EENS0_5tupleIJNSA_16discard_iteratorISK_EESO_EEENSM_IJSG_SG_EEES6_PlJS6_EEE10hipError_tPvRmT3_T4_T5_T6_T7_T9_mT8_P12ihipStream_tbDpT10_ENKUlT_T0_E_clISt17integral_constantIbLb0EES1A_IbLb1EEEEDaS16_S17_EUlS16_E_NS1_11comp_targetILNS1_3genE10ELNS1_11target_archE1200ELNS1_3gpuE4ELNS1_3repE0EEENS1_30default_config_static_selectorELNS0_4arch9wavefront6targetE1EEEvT1_
                                        ; -- End function
	.section	.AMDGPU.csdata,"",@progbits
; Kernel info:
; codeLenInByte = 0
; NumSgprs: 4
; NumVgprs: 0
; NumAgprs: 0
; TotalNumVgprs: 0
; ScratchSize: 0
; MemoryBound: 0
; FloatMode: 240
; IeeeMode: 1
; LDSByteSize: 0 bytes/workgroup (compile time only)
; SGPRBlocks: 0
; VGPRBlocks: 0
; NumSGPRsForWavesPerEU: 4
; NumVGPRsForWavesPerEU: 1
; AccumOffset: 4
; Occupancy: 8
; WaveLimiterHint : 0
; COMPUTE_PGM_RSRC2:SCRATCH_EN: 0
; COMPUTE_PGM_RSRC2:USER_SGPR: 6
; COMPUTE_PGM_RSRC2:TRAP_HANDLER: 0
; COMPUTE_PGM_RSRC2:TGID_X_EN: 1
; COMPUTE_PGM_RSRC2:TGID_Y_EN: 0
; COMPUTE_PGM_RSRC2:TGID_Z_EN: 0
; COMPUTE_PGM_RSRC2:TIDIG_COMP_CNT: 0
; COMPUTE_PGM_RSRC3_GFX90A:ACCUM_OFFSET: 0
; COMPUTE_PGM_RSRC3_GFX90A:TG_SPLIT: 0
	.section	.text._ZN7rocprim17ROCPRIM_400000_NS6detail17trampoline_kernelINS0_14default_configENS1_25partition_config_selectorILNS1_17partition_subalgoE1EsNS0_10empty_typeEbEEZZNS1_14partition_implILS5_1ELb0ES3_jN6thrust23THRUST_200600_302600_NS6detail15normal_iteratorINSA_10device_ptrIsEEEEPS6_NSA_18transform_iteratorI7is_evenIsESF_NSA_11use_defaultESK_EENS0_5tupleIJNSA_16discard_iteratorISK_EESO_EEENSM_IJSG_SG_EEES6_PlJS6_EEE10hipError_tPvRmT3_T4_T5_T6_T7_T9_mT8_P12ihipStream_tbDpT10_ENKUlT_T0_E_clISt17integral_constantIbLb0EES1A_IbLb1EEEEDaS16_S17_EUlS16_E_NS1_11comp_targetILNS1_3genE9ELNS1_11target_archE1100ELNS1_3gpuE3ELNS1_3repE0EEENS1_30default_config_static_selectorELNS0_4arch9wavefront6targetE1EEEvT1_,"axG",@progbits,_ZN7rocprim17ROCPRIM_400000_NS6detail17trampoline_kernelINS0_14default_configENS1_25partition_config_selectorILNS1_17partition_subalgoE1EsNS0_10empty_typeEbEEZZNS1_14partition_implILS5_1ELb0ES3_jN6thrust23THRUST_200600_302600_NS6detail15normal_iteratorINSA_10device_ptrIsEEEEPS6_NSA_18transform_iteratorI7is_evenIsESF_NSA_11use_defaultESK_EENS0_5tupleIJNSA_16discard_iteratorISK_EESO_EEENSM_IJSG_SG_EEES6_PlJS6_EEE10hipError_tPvRmT3_T4_T5_T6_T7_T9_mT8_P12ihipStream_tbDpT10_ENKUlT_T0_E_clISt17integral_constantIbLb0EES1A_IbLb1EEEEDaS16_S17_EUlS16_E_NS1_11comp_targetILNS1_3genE9ELNS1_11target_archE1100ELNS1_3gpuE3ELNS1_3repE0EEENS1_30default_config_static_selectorELNS0_4arch9wavefront6targetE1EEEvT1_,comdat
	.protected	_ZN7rocprim17ROCPRIM_400000_NS6detail17trampoline_kernelINS0_14default_configENS1_25partition_config_selectorILNS1_17partition_subalgoE1EsNS0_10empty_typeEbEEZZNS1_14partition_implILS5_1ELb0ES3_jN6thrust23THRUST_200600_302600_NS6detail15normal_iteratorINSA_10device_ptrIsEEEEPS6_NSA_18transform_iteratorI7is_evenIsESF_NSA_11use_defaultESK_EENS0_5tupleIJNSA_16discard_iteratorISK_EESO_EEENSM_IJSG_SG_EEES6_PlJS6_EEE10hipError_tPvRmT3_T4_T5_T6_T7_T9_mT8_P12ihipStream_tbDpT10_ENKUlT_T0_E_clISt17integral_constantIbLb0EES1A_IbLb1EEEEDaS16_S17_EUlS16_E_NS1_11comp_targetILNS1_3genE9ELNS1_11target_archE1100ELNS1_3gpuE3ELNS1_3repE0EEENS1_30default_config_static_selectorELNS0_4arch9wavefront6targetE1EEEvT1_ ; -- Begin function _ZN7rocprim17ROCPRIM_400000_NS6detail17trampoline_kernelINS0_14default_configENS1_25partition_config_selectorILNS1_17partition_subalgoE1EsNS0_10empty_typeEbEEZZNS1_14partition_implILS5_1ELb0ES3_jN6thrust23THRUST_200600_302600_NS6detail15normal_iteratorINSA_10device_ptrIsEEEEPS6_NSA_18transform_iteratorI7is_evenIsESF_NSA_11use_defaultESK_EENS0_5tupleIJNSA_16discard_iteratorISK_EESO_EEENSM_IJSG_SG_EEES6_PlJS6_EEE10hipError_tPvRmT3_T4_T5_T6_T7_T9_mT8_P12ihipStream_tbDpT10_ENKUlT_T0_E_clISt17integral_constantIbLb0EES1A_IbLb1EEEEDaS16_S17_EUlS16_E_NS1_11comp_targetILNS1_3genE9ELNS1_11target_archE1100ELNS1_3gpuE3ELNS1_3repE0EEENS1_30default_config_static_selectorELNS0_4arch9wavefront6targetE1EEEvT1_
	.globl	_ZN7rocprim17ROCPRIM_400000_NS6detail17trampoline_kernelINS0_14default_configENS1_25partition_config_selectorILNS1_17partition_subalgoE1EsNS0_10empty_typeEbEEZZNS1_14partition_implILS5_1ELb0ES3_jN6thrust23THRUST_200600_302600_NS6detail15normal_iteratorINSA_10device_ptrIsEEEEPS6_NSA_18transform_iteratorI7is_evenIsESF_NSA_11use_defaultESK_EENS0_5tupleIJNSA_16discard_iteratorISK_EESO_EEENSM_IJSG_SG_EEES6_PlJS6_EEE10hipError_tPvRmT3_T4_T5_T6_T7_T9_mT8_P12ihipStream_tbDpT10_ENKUlT_T0_E_clISt17integral_constantIbLb0EES1A_IbLb1EEEEDaS16_S17_EUlS16_E_NS1_11comp_targetILNS1_3genE9ELNS1_11target_archE1100ELNS1_3gpuE3ELNS1_3repE0EEENS1_30default_config_static_selectorELNS0_4arch9wavefront6targetE1EEEvT1_
	.p2align	8
	.type	_ZN7rocprim17ROCPRIM_400000_NS6detail17trampoline_kernelINS0_14default_configENS1_25partition_config_selectorILNS1_17partition_subalgoE1EsNS0_10empty_typeEbEEZZNS1_14partition_implILS5_1ELb0ES3_jN6thrust23THRUST_200600_302600_NS6detail15normal_iteratorINSA_10device_ptrIsEEEEPS6_NSA_18transform_iteratorI7is_evenIsESF_NSA_11use_defaultESK_EENS0_5tupleIJNSA_16discard_iteratorISK_EESO_EEENSM_IJSG_SG_EEES6_PlJS6_EEE10hipError_tPvRmT3_T4_T5_T6_T7_T9_mT8_P12ihipStream_tbDpT10_ENKUlT_T0_E_clISt17integral_constantIbLb0EES1A_IbLb1EEEEDaS16_S17_EUlS16_E_NS1_11comp_targetILNS1_3genE9ELNS1_11target_archE1100ELNS1_3gpuE3ELNS1_3repE0EEENS1_30default_config_static_selectorELNS0_4arch9wavefront6targetE1EEEvT1_,@function
_ZN7rocprim17ROCPRIM_400000_NS6detail17trampoline_kernelINS0_14default_configENS1_25partition_config_selectorILNS1_17partition_subalgoE1EsNS0_10empty_typeEbEEZZNS1_14partition_implILS5_1ELb0ES3_jN6thrust23THRUST_200600_302600_NS6detail15normal_iteratorINSA_10device_ptrIsEEEEPS6_NSA_18transform_iteratorI7is_evenIsESF_NSA_11use_defaultESK_EENS0_5tupleIJNSA_16discard_iteratorISK_EESO_EEENSM_IJSG_SG_EEES6_PlJS6_EEE10hipError_tPvRmT3_T4_T5_T6_T7_T9_mT8_P12ihipStream_tbDpT10_ENKUlT_T0_E_clISt17integral_constantIbLb0EES1A_IbLb1EEEEDaS16_S17_EUlS16_E_NS1_11comp_targetILNS1_3genE9ELNS1_11target_archE1100ELNS1_3gpuE3ELNS1_3repE0EEENS1_30default_config_static_selectorELNS0_4arch9wavefront6targetE1EEEvT1_: ; @_ZN7rocprim17ROCPRIM_400000_NS6detail17trampoline_kernelINS0_14default_configENS1_25partition_config_selectorILNS1_17partition_subalgoE1EsNS0_10empty_typeEbEEZZNS1_14partition_implILS5_1ELb0ES3_jN6thrust23THRUST_200600_302600_NS6detail15normal_iteratorINSA_10device_ptrIsEEEEPS6_NSA_18transform_iteratorI7is_evenIsESF_NSA_11use_defaultESK_EENS0_5tupleIJNSA_16discard_iteratorISK_EESO_EEENSM_IJSG_SG_EEES6_PlJS6_EEE10hipError_tPvRmT3_T4_T5_T6_T7_T9_mT8_P12ihipStream_tbDpT10_ENKUlT_T0_E_clISt17integral_constantIbLb0EES1A_IbLb1EEEEDaS16_S17_EUlS16_E_NS1_11comp_targetILNS1_3genE9ELNS1_11target_archE1100ELNS1_3gpuE3ELNS1_3repE0EEENS1_30default_config_static_selectorELNS0_4arch9wavefront6targetE1EEEvT1_
; %bb.0:
	.section	.rodata,"a",@progbits
	.p2align	6, 0x0
	.amdhsa_kernel _ZN7rocprim17ROCPRIM_400000_NS6detail17trampoline_kernelINS0_14default_configENS1_25partition_config_selectorILNS1_17partition_subalgoE1EsNS0_10empty_typeEbEEZZNS1_14partition_implILS5_1ELb0ES3_jN6thrust23THRUST_200600_302600_NS6detail15normal_iteratorINSA_10device_ptrIsEEEEPS6_NSA_18transform_iteratorI7is_evenIsESF_NSA_11use_defaultESK_EENS0_5tupleIJNSA_16discard_iteratorISK_EESO_EEENSM_IJSG_SG_EEES6_PlJS6_EEE10hipError_tPvRmT3_T4_T5_T6_T7_T9_mT8_P12ihipStream_tbDpT10_ENKUlT_T0_E_clISt17integral_constantIbLb0EES1A_IbLb1EEEEDaS16_S17_EUlS16_E_NS1_11comp_targetILNS1_3genE9ELNS1_11target_archE1100ELNS1_3gpuE3ELNS1_3repE0EEENS1_30default_config_static_selectorELNS0_4arch9wavefront6targetE1EEEvT1_
		.amdhsa_group_segment_fixed_size 0
		.amdhsa_private_segment_fixed_size 0
		.amdhsa_kernarg_size 160
		.amdhsa_user_sgpr_count 6
		.amdhsa_user_sgpr_private_segment_buffer 1
		.amdhsa_user_sgpr_dispatch_ptr 0
		.amdhsa_user_sgpr_queue_ptr 0
		.amdhsa_user_sgpr_kernarg_segment_ptr 1
		.amdhsa_user_sgpr_dispatch_id 0
		.amdhsa_user_sgpr_flat_scratch_init 0
		.amdhsa_user_sgpr_kernarg_preload_length 0
		.amdhsa_user_sgpr_kernarg_preload_offset 0
		.amdhsa_user_sgpr_private_segment_size 0
		.amdhsa_uses_dynamic_stack 0
		.amdhsa_system_sgpr_private_segment_wavefront_offset 0
		.amdhsa_system_sgpr_workgroup_id_x 1
		.amdhsa_system_sgpr_workgroup_id_y 0
		.amdhsa_system_sgpr_workgroup_id_z 0
		.amdhsa_system_sgpr_workgroup_info 0
		.amdhsa_system_vgpr_workitem_id 0
		.amdhsa_next_free_vgpr 1
		.amdhsa_next_free_sgpr 0
		.amdhsa_accum_offset 4
		.amdhsa_reserve_vcc 0
		.amdhsa_reserve_flat_scratch 0
		.amdhsa_float_round_mode_32 0
		.amdhsa_float_round_mode_16_64 0
		.amdhsa_float_denorm_mode_32 3
		.amdhsa_float_denorm_mode_16_64 3
		.amdhsa_dx10_clamp 1
		.amdhsa_ieee_mode 1
		.amdhsa_fp16_overflow 0
		.amdhsa_tg_split 0
		.amdhsa_exception_fp_ieee_invalid_op 0
		.amdhsa_exception_fp_denorm_src 0
		.amdhsa_exception_fp_ieee_div_zero 0
		.amdhsa_exception_fp_ieee_overflow 0
		.amdhsa_exception_fp_ieee_underflow 0
		.amdhsa_exception_fp_ieee_inexact 0
		.amdhsa_exception_int_div_zero 0
	.end_amdhsa_kernel
	.section	.text._ZN7rocprim17ROCPRIM_400000_NS6detail17trampoline_kernelINS0_14default_configENS1_25partition_config_selectorILNS1_17partition_subalgoE1EsNS0_10empty_typeEbEEZZNS1_14partition_implILS5_1ELb0ES3_jN6thrust23THRUST_200600_302600_NS6detail15normal_iteratorINSA_10device_ptrIsEEEEPS6_NSA_18transform_iteratorI7is_evenIsESF_NSA_11use_defaultESK_EENS0_5tupleIJNSA_16discard_iteratorISK_EESO_EEENSM_IJSG_SG_EEES6_PlJS6_EEE10hipError_tPvRmT3_T4_T5_T6_T7_T9_mT8_P12ihipStream_tbDpT10_ENKUlT_T0_E_clISt17integral_constantIbLb0EES1A_IbLb1EEEEDaS16_S17_EUlS16_E_NS1_11comp_targetILNS1_3genE9ELNS1_11target_archE1100ELNS1_3gpuE3ELNS1_3repE0EEENS1_30default_config_static_selectorELNS0_4arch9wavefront6targetE1EEEvT1_,"axG",@progbits,_ZN7rocprim17ROCPRIM_400000_NS6detail17trampoline_kernelINS0_14default_configENS1_25partition_config_selectorILNS1_17partition_subalgoE1EsNS0_10empty_typeEbEEZZNS1_14partition_implILS5_1ELb0ES3_jN6thrust23THRUST_200600_302600_NS6detail15normal_iteratorINSA_10device_ptrIsEEEEPS6_NSA_18transform_iteratorI7is_evenIsESF_NSA_11use_defaultESK_EENS0_5tupleIJNSA_16discard_iteratorISK_EESO_EEENSM_IJSG_SG_EEES6_PlJS6_EEE10hipError_tPvRmT3_T4_T5_T6_T7_T9_mT8_P12ihipStream_tbDpT10_ENKUlT_T0_E_clISt17integral_constantIbLb0EES1A_IbLb1EEEEDaS16_S17_EUlS16_E_NS1_11comp_targetILNS1_3genE9ELNS1_11target_archE1100ELNS1_3gpuE3ELNS1_3repE0EEENS1_30default_config_static_selectorELNS0_4arch9wavefront6targetE1EEEvT1_,comdat
.Lfunc_end3385:
	.size	_ZN7rocprim17ROCPRIM_400000_NS6detail17trampoline_kernelINS0_14default_configENS1_25partition_config_selectorILNS1_17partition_subalgoE1EsNS0_10empty_typeEbEEZZNS1_14partition_implILS5_1ELb0ES3_jN6thrust23THRUST_200600_302600_NS6detail15normal_iteratorINSA_10device_ptrIsEEEEPS6_NSA_18transform_iteratorI7is_evenIsESF_NSA_11use_defaultESK_EENS0_5tupleIJNSA_16discard_iteratorISK_EESO_EEENSM_IJSG_SG_EEES6_PlJS6_EEE10hipError_tPvRmT3_T4_T5_T6_T7_T9_mT8_P12ihipStream_tbDpT10_ENKUlT_T0_E_clISt17integral_constantIbLb0EES1A_IbLb1EEEEDaS16_S17_EUlS16_E_NS1_11comp_targetILNS1_3genE9ELNS1_11target_archE1100ELNS1_3gpuE3ELNS1_3repE0EEENS1_30default_config_static_selectorELNS0_4arch9wavefront6targetE1EEEvT1_, .Lfunc_end3385-_ZN7rocprim17ROCPRIM_400000_NS6detail17trampoline_kernelINS0_14default_configENS1_25partition_config_selectorILNS1_17partition_subalgoE1EsNS0_10empty_typeEbEEZZNS1_14partition_implILS5_1ELb0ES3_jN6thrust23THRUST_200600_302600_NS6detail15normal_iteratorINSA_10device_ptrIsEEEEPS6_NSA_18transform_iteratorI7is_evenIsESF_NSA_11use_defaultESK_EENS0_5tupleIJNSA_16discard_iteratorISK_EESO_EEENSM_IJSG_SG_EEES6_PlJS6_EEE10hipError_tPvRmT3_T4_T5_T6_T7_T9_mT8_P12ihipStream_tbDpT10_ENKUlT_T0_E_clISt17integral_constantIbLb0EES1A_IbLb1EEEEDaS16_S17_EUlS16_E_NS1_11comp_targetILNS1_3genE9ELNS1_11target_archE1100ELNS1_3gpuE3ELNS1_3repE0EEENS1_30default_config_static_selectorELNS0_4arch9wavefront6targetE1EEEvT1_
                                        ; -- End function
	.section	.AMDGPU.csdata,"",@progbits
; Kernel info:
; codeLenInByte = 0
; NumSgprs: 4
; NumVgprs: 0
; NumAgprs: 0
; TotalNumVgprs: 0
; ScratchSize: 0
; MemoryBound: 0
; FloatMode: 240
; IeeeMode: 1
; LDSByteSize: 0 bytes/workgroup (compile time only)
; SGPRBlocks: 0
; VGPRBlocks: 0
; NumSGPRsForWavesPerEU: 4
; NumVGPRsForWavesPerEU: 1
; AccumOffset: 4
; Occupancy: 8
; WaveLimiterHint : 0
; COMPUTE_PGM_RSRC2:SCRATCH_EN: 0
; COMPUTE_PGM_RSRC2:USER_SGPR: 6
; COMPUTE_PGM_RSRC2:TRAP_HANDLER: 0
; COMPUTE_PGM_RSRC2:TGID_X_EN: 1
; COMPUTE_PGM_RSRC2:TGID_Y_EN: 0
; COMPUTE_PGM_RSRC2:TGID_Z_EN: 0
; COMPUTE_PGM_RSRC2:TIDIG_COMP_CNT: 0
; COMPUTE_PGM_RSRC3_GFX90A:ACCUM_OFFSET: 0
; COMPUTE_PGM_RSRC3_GFX90A:TG_SPLIT: 0
	.section	.text._ZN7rocprim17ROCPRIM_400000_NS6detail17trampoline_kernelINS0_14default_configENS1_25partition_config_selectorILNS1_17partition_subalgoE1EsNS0_10empty_typeEbEEZZNS1_14partition_implILS5_1ELb0ES3_jN6thrust23THRUST_200600_302600_NS6detail15normal_iteratorINSA_10device_ptrIsEEEEPS6_NSA_18transform_iteratorI7is_evenIsESF_NSA_11use_defaultESK_EENS0_5tupleIJNSA_16discard_iteratorISK_EESO_EEENSM_IJSG_SG_EEES6_PlJS6_EEE10hipError_tPvRmT3_T4_T5_T6_T7_T9_mT8_P12ihipStream_tbDpT10_ENKUlT_T0_E_clISt17integral_constantIbLb0EES1A_IbLb1EEEEDaS16_S17_EUlS16_E_NS1_11comp_targetILNS1_3genE8ELNS1_11target_archE1030ELNS1_3gpuE2ELNS1_3repE0EEENS1_30default_config_static_selectorELNS0_4arch9wavefront6targetE1EEEvT1_,"axG",@progbits,_ZN7rocprim17ROCPRIM_400000_NS6detail17trampoline_kernelINS0_14default_configENS1_25partition_config_selectorILNS1_17partition_subalgoE1EsNS0_10empty_typeEbEEZZNS1_14partition_implILS5_1ELb0ES3_jN6thrust23THRUST_200600_302600_NS6detail15normal_iteratorINSA_10device_ptrIsEEEEPS6_NSA_18transform_iteratorI7is_evenIsESF_NSA_11use_defaultESK_EENS0_5tupleIJNSA_16discard_iteratorISK_EESO_EEENSM_IJSG_SG_EEES6_PlJS6_EEE10hipError_tPvRmT3_T4_T5_T6_T7_T9_mT8_P12ihipStream_tbDpT10_ENKUlT_T0_E_clISt17integral_constantIbLb0EES1A_IbLb1EEEEDaS16_S17_EUlS16_E_NS1_11comp_targetILNS1_3genE8ELNS1_11target_archE1030ELNS1_3gpuE2ELNS1_3repE0EEENS1_30default_config_static_selectorELNS0_4arch9wavefront6targetE1EEEvT1_,comdat
	.protected	_ZN7rocprim17ROCPRIM_400000_NS6detail17trampoline_kernelINS0_14default_configENS1_25partition_config_selectorILNS1_17partition_subalgoE1EsNS0_10empty_typeEbEEZZNS1_14partition_implILS5_1ELb0ES3_jN6thrust23THRUST_200600_302600_NS6detail15normal_iteratorINSA_10device_ptrIsEEEEPS6_NSA_18transform_iteratorI7is_evenIsESF_NSA_11use_defaultESK_EENS0_5tupleIJNSA_16discard_iteratorISK_EESO_EEENSM_IJSG_SG_EEES6_PlJS6_EEE10hipError_tPvRmT3_T4_T5_T6_T7_T9_mT8_P12ihipStream_tbDpT10_ENKUlT_T0_E_clISt17integral_constantIbLb0EES1A_IbLb1EEEEDaS16_S17_EUlS16_E_NS1_11comp_targetILNS1_3genE8ELNS1_11target_archE1030ELNS1_3gpuE2ELNS1_3repE0EEENS1_30default_config_static_selectorELNS0_4arch9wavefront6targetE1EEEvT1_ ; -- Begin function _ZN7rocprim17ROCPRIM_400000_NS6detail17trampoline_kernelINS0_14default_configENS1_25partition_config_selectorILNS1_17partition_subalgoE1EsNS0_10empty_typeEbEEZZNS1_14partition_implILS5_1ELb0ES3_jN6thrust23THRUST_200600_302600_NS6detail15normal_iteratorINSA_10device_ptrIsEEEEPS6_NSA_18transform_iteratorI7is_evenIsESF_NSA_11use_defaultESK_EENS0_5tupleIJNSA_16discard_iteratorISK_EESO_EEENSM_IJSG_SG_EEES6_PlJS6_EEE10hipError_tPvRmT3_T4_T5_T6_T7_T9_mT8_P12ihipStream_tbDpT10_ENKUlT_T0_E_clISt17integral_constantIbLb0EES1A_IbLb1EEEEDaS16_S17_EUlS16_E_NS1_11comp_targetILNS1_3genE8ELNS1_11target_archE1030ELNS1_3gpuE2ELNS1_3repE0EEENS1_30default_config_static_selectorELNS0_4arch9wavefront6targetE1EEEvT1_
	.globl	_ZN7rocprim17ROCPRIM_400000_NS6detail17trampoline_kernelINS0_14default_configENS1_25partition_config_selectorILNS1_17partition_subalgoE1EsNS0_10empty_typeEbEEZZNS1_14partition_implILS5_1ELb0ES3_jN6thrust23THRUST_200600_302600_NS6detail15normal_iteratorINSA_10device_ptrIsEEEEPS6_NSA_18transform_iteratorI7is_evenIsESF_NSA_11use_defaultESK_EENS0_5tupleIJNSA_16discard_iteratorISK_EESO_EEENSM_IJSG_SG_EEES6_PlJS6_EEE10hipError_tPvRmT3_T4_T5_T6_T7_T9_mT8_P12ihipStream_tbDpT10_ENKUlT_T0_E_clISt17integral_constantIbLb0EES1A_IbLb1EEEEDaS16_S17_EUlS16_E_NS1_11comp_targetILNS1_3genE8ELNS1_11target_archE1030ELNS1_3gpuE2ELNS1_3repE0EEENS1_30default_config_static_selectorELNS0_4arch9wavefront6targetE1EEEvT1_
	.p2align	8
	.type	_ZN7rocprim17ROCPRIM_400000_NS6detail17trampoline_kernelINS0_14default_configENS1_25partition_config_selectorILNS1_17partition_subalgoE1EsNS0_10empty_typeEbEEZZNS1_14partition_implILS5_1ELb0ES3_jN6thrust23THRUST_200600_302600_NS6detail15normal_iteratorINSA_10device_ptrIsEEEEPS6_NSA_18transform_iteratorI7is_evenIsESF_NSA_11use_defaultESK_EENS0_5tupleIJNSA_16discard_iteratorISK_EESO_EEENSM_IJSG_SG_EEES6_PlJS6_EEE10hipError_tPvRmT3_T4_T5_T6_T7_T9_mT8_P12ihipStream_tbDpT10_ENKUlT_T0_E_clISt17integral_constantIbLb0EES1A_IbLb1EEEEDaS16_S17_EUlS16_E_NS1_11comp_targetILNS1_3genE8ELNS1_11target_archE1030ELNS1_3gpuE2ELNS1_3repE0EEENS1_30default_config_static_selectorELNS0_4arch9wavefront6targetE1EEEvT1_,@function
_ZN7rocprim17ROCPRIM_400000_NS6detail17trampoline_kernelINS0_14default_configENS1_25partition_config_selectorILNS1_17partition_subalgoE1EsNS0_10empty_typeEbEEZZNS1_14partition_implILS5_1ELb0ES3_jN6thrust23THRUST_200600_302600_NS6detail15normal_iteratorINSA_10device_ptrIsEEEEPS6_NSA_18transform_iteratorI7is_evenIsESF_NSA_11use_defaultESK_EENS0_5tupleIJNSA_16discard_iteratorISK_EESO_EEENSM_IJSG_SG_EEES6_PlJS6_EEE10hipError_tPvRmT3_T4_T5_T6_T7_T9_mT8_P12ihipStream_tbDpT10_ENKUlT_T0_E_clISt17integral_constantIbLb0EES1A_IbLb1EEEEDaS16_S17_EUlS16_E_NS1_11comp_targetILNS1_3genE8ELNS1_11target_archE1030ELNS1_3gpuE2ELNS1_3repE0EEENS1_30default_config_static_selectorELNS0_4arch9wavefront6targetE1EEEvT1_: ; @_ZN7rocprim17ROCPRIM_400000_NS6detail17trampoline_kernelINS0_14default_configENS1_25partition_config_selectorILNS1_17partition_subalgoE1EsNS0_10empty_typeEbEEZZNS1_14partition_implILS5_1ELb0ES3_jN6thrust23THRUST_200600_302600_NS6detail15normal_iteratorINSA_10device_ptrIsEEEEPS6_NSA_18transform_iteratorI7is_evenIsESF_NSA_11use_defaultESK_EENS0_5tupleIJNSA_16discard_iteratorISK_EESO_EEENSM_IJSG_SG_EEES6_PlJS6_EEE10hipError_tPvRmT3_T4_T5_T6_T7_T9_mT8_P12ihipStream_tbDpT10_ENKUlT_T0_E_clISt17integral_constantIbLb0EES1A_IbLb1EEEEDaS16_S17_EUlS16_E_NS1_11comp_targetILNS1_3genE8ELNS1_11target_archE1030ELNS1_3gpuE2ELNS1_3repE0EEENS1_30default_config_static_selectorELNS0_4arch9wavefront6targetE1EEEvT1_
; %bb.0:
	.section	.rodata,"a",@progbits
	.p2align	6, 0x0
	.amdhsa_kernel _ZN7rocprim17ROCPRIM_400000_NS6detail17trampoline_kernelINS0_14default_configENS1_25partition_config_selectorILNS1_17partition_subalgoE1EsNS0_10empty_typeEbEEZZNS1_14partition_implILS5_1ELb0ES3_jN6thrust23THRUST_200600_302600_NS6detail15normal_iteratorINSA_10device_ptrIsEEEEPS6_NSA_18transform_iteratorI7is_evenIsESF_NSA_11use_defaultESK_EENS0_5tupleIJNSA_16discard_iteratorISK_EESO_EEENSM_IJSG_SG_EEES6_PlJS6_EEE10hipError_tPvRmT3_T4_T5_T6_T7_T9_mT8_P12ihipStream_tbDpT10_ENKUlT_T0_E_clISt17integral_constantIbLb0EES1A_IbLb1EEEEDaS16_S17_EUlS16_E_NS1_11comp_targetILNS1_3genE8ELNS1_11target_archE1030ELNS1_3gpuE2ELNS1_3repE0EEENS1_30default_config_static_selectorELNS0_4arch9wavefront6targetE1EEEvT1_
		.amdhsa_group_segment_fixed_size 0
		.amdhsa_private_segment_fixed_size 0
		.amdhsa_kernarg_size 160
		.amdhsa_user_sgpr_count 6
		.amdhsa_user_sgpr_private_segment_buffer 1
		.amdhsa_user_sgpr_dispatch_ptr 0
		.amdhsa_user_sgpr_queue_ptr 0
		.amdhsa_user_sgpr_kernarg_segment_ptr 1
		.amdhsa_user_sgpr_dispatch_id 0
		.amdhsa_user_sgpr_flat_scratch_init 0
		.amdhsa_user_sgpr_kernarg_preload_length 0
		.amdhsa_user_sgpr_kernarg_preload_offset 0
		.amdhsa_user_sgpr_private_segment_size 0
		.amdhsa_uses_dynamic_stack 0
		.amdhsa_system_sgpr_private_segment_wavefront_offset 0
		.amdhsa_system_sgpr_workgroup_id_x 1
		.amdhsa_system_sgpr_workgroup_id_y 0
		.amdhsa_system_sgpr_workgroup_id_z 0
		.amdhsa_system_sgpr_workgroup_info 0
		.amdhsa_system_vgpr_workitem_id 0
		.amdhsa_next_free_vgpr 1
		.amdhsa_next_free_sgpr 0
		.amdhsa_accum_offset 4
		.amdhsa_reserve_vcc 0
		.amdhsa_reserve_flat_scratch 0
		.amdhsa_float_round_mode_32 0
		.amdhsa_float_round_mode_16_64 0
		.amdhsa_float_denorm_mode_32 3
		.amdhsa_float_denorm_mode_16_64 3
		.amdhsa_dx10_clamp 1
		.amdhsa_ieee_mode 1
		.amdhsa_fp16_overflow 0
		.amdhsa_tg_split 0
		.amdhsa_exception_fp_ieee_invalid_op 0
		.amdhsa_exception_fp_denorm_src 0
		.amdhsa_exception_fp_ieee_div_zero 0
		.amdhsa_exception_fp_ieee_overflow 0
		.amdhsa_exception_fp_ieee_underflow 0
		.amdhsa_exception_fp_ieee_inexact 0
		.amdhsa_exception_int_div_zero 0
	.end_amdhsa_kernel
	.section	.text._ZN7rocprim17ROCPRIM_400000_NS6detail17trampoline_kernelINS0_14default_configENS1_25partition_config_selectorILNS1_17partition_subalgoE1EsNS0_10empty_typeEbEEZZNS1_14partition_implILS5_1ELb0ES3_jN6thrust23THRUST_200600_302600_NS6detail15normal_iteratorINSA_10device_ptrIsEEEEPS6_NSA_18transform_iteratorI7is_evenIsESF_NSA_11use_defaultESK_EENS0_5tupleIJNSA_16discard_iteratorISK_EESO_EEENSM_IJSG_SG_EEES6_PlJS6_EEE10hipError_tPvRmT3_T4_T5_T6_T7_T9_mT8_P12ihipStream_tbDpT10_ENKUlT_T0_E_clISt17integral_constantIbLb0EES1A_IbLb1EEEEDaS16_S17_EUlS16_E_NS1_11comp_targetILNS1_3genE8ELNS1_11target_archE1030ELNS1_3gpuE2ELNS1_3repE0EEENS1_30default_config_static_selectorELNS0_4arch9wavefront6targetE1EEEvT1_,"axG",@progbits,_ZN7rocprim17ROCPRIM_400000_NS6detail17trampoline_kernelINS0_14default_configENS1_25partition_config_selectorILNS1_17partition_subalgoE1EsNS0_10empty_typeEbEEZZNS1_14partition_implILS5_1ELb0ES3_jN6thrust23THRUST_200600_302600_NS6detail15normal_iteratorINSA_10device_ptrIsEEEEPS6_NSA_18transform_iteratorI7is_evenIsESF_NSA_11use_defaultESK_EENS0_5tupleIJNSA_16discard_iteratorISK_EESO_EEENSM_IJSG_SG_EEES6_PlJS6_EEE10hipError_tPvRmT3_T4_T5_T6_T7_T9_mT8_P12ihipStream_tbDpT10_ENKUlT_T0_E_clISt17integral_constantIbLb0EES1A_IbLb1EEEEDaS16_S17_EUlS16_E_NS1_11comp_targetILNS1_3genE8ELNS1_11target_archE1030ELNS1_3gpuE2ELNS1_3repE0EEENS1_30default_config_static_selectorELNS0_4arch9wavefront6targetE1EEEvT1_,comdat
.Lfunc_end3386:
	.size	_ZN7rocprim17ROCPRIM_400000_NS6detail17trampoline_kernelINS0_14default_configENS1_25partition_config_selectorILNS1_17partition_subalgoE1EsNS0_10empty_typeEbEEZZNS1_14partition_implILS5_1ELb0ES3_jN6thrust23THRUST_200600_302600_NS6detail15normal_iteratorINSA_10device_ptrIsEEEEPS6_NSA_18transform_iteratorI7is_evenIsESF_NSA_11use_defaultESK_EENS0_5tupleIJNSA_16discard_iteratorISK_EESO_EEENSM_IJSG_SG_EEES6_PlJS6_EEE10hipError_tPvRmT3_T4_T5_T6_T7_T9_mT8_P12ihipStream_tbDpT10_ENKUlT_T0_E_clISt17integral_constantIbLb0EES1A_IbLb1EEEEDaS16_S17_EUlS16_E_NS1_11comp_targetILNS1_3genE8ELNS1_11target_archE1030ELNS1_3gpuE2ELNS1_3repE0EEENS1_30default_config_static_selectorELNS0_4arch9wavefront6targetE1EEEvT1_, .Lfunc_end3386-_ZN7rocprim17ROCPRIM_400000_NS6detail17trampoline_kernelINS0_14default_configENS1_25partition_config_selectorILNS1_17partition_subalgoE1EsNS0_10empty_typeEbEEZZNS1_14partition_implILS5_1ELb0ES3_jN6thrust23THRUST_200600_302600_NS6detail15normal_iteratorINSA_10device_ptrIsEEEEPS6_NSA_18transform_iteratorI7is_evenIsESF_NSA_11use_defaultESK_EENS0_5tupleIJNSA_16discard_iteratorISK_EESO_EEENSM_IJSG_SG_EEES6_PlJS6_EEE10hipError_tPvRmT3_T4_T5_T6_T7_T9_mT8_P12ihipStream_tbDpT10_ENKUlT_T0_E_clISt17integral_constantIbLb0EES1A_IbLb1EEEEDaS16_S17_EUlS16_E_NS1_11comp_targetILNS1_3genE8ELNS1_11target_archE1030ELNS1_3gpuE2ELNS1_3repE0EEENS1_30default_config_static_selectorELNS0_4arch9wavefront6targetE1EEEvT1_
                                        ; -- End function
	.section	.AMDGPU.csdata,"",@progbits
; Kernel info:
; codeLenInByte = 0
; NumSgprs: 4
; NumVgprs: 0
; NumAgprs: 0
; TotalNumVgprs: 0
; ScratchSize: 0
; MemoryBound: 0
; FloatMode: 240
; IeeeMode: 1
; LDSByteSize: 0 bytes/workgroup (compile time only)
; SGPRBlocks: 0
; VGPRBlocks: 0
; NumSGPRsForWavesPerEU: 4
; NumVGPRsForWavesPerEU: 1
; AccumOffset: 4
; Occupancy: 8
; WaveLimiterHint : 0
; COMPUTE_PGM_RSRC2:SCRATCH_EN: 0
; COMPUTE_PGM_RSRC2:USER_SGPR: 6
; COMPUTE_PGM_RSRC2:TRAP_HANDLER: 0
; COMPUTE_PGM_RSRC2:TGID_X_EN: 1
; COMPUTE_PGM_RSRC2:TGID_Y_EN: 0
; COMPUTE_PGM_RSRC2:TGID_Z_EN: 0
; COMPUTE_PGM_RSRC2:TIDIG_COMP_CNT: 0
; COMPUTE_PGM_RSRC3_GFX90A:ACCUM_OFFSET: 0
; COMPUTE_PGM_RSRC3_GFX90A:TG_SPLIT: 0
	.section	.text._ZN7rocprim17ROCPRIM_400000_NS6detail17trampoline_kernelINS0_14default_configENS1_25partition_config_selectorILNS1_17partition_subalgoE1EsNS0_10empty_typeEbEEZZNS1_14partition_implILS5_1ELb0ES3_jN6thrust23THRUST_200600_302600_NS6detail15normal_iteratorINSA_10device_ptrIsEEEEPS6_NSA_18transform_iteratorI7is_evenIsESF_NSA_11use_defaultESK_EENS0_5tupleIJSF_NSA_16discard_iteratorISK_EEEEENSM_IJSG_SG_EEES6_PlJS6_EEE10hipError_tPvRmT3_T4_T5_T6_T7_T9_mT8_P12ihipStream_tbDpT10_ENKUlT_T0_E_clISt17integral_constantIbLb0EES1B_EEDaS16_S17_EUlS16_E_NS1_11comp_targetILNS1_3genE0ELNS1_11target_archE4294967295ELNS1_3gpuE0ELNS1_3repE0EEENS1_30default_config_static_selectorELNS0_4arch9wavefront6targetE1EEEvT1_,"axG",@progbits,_ZN7rocprim17ROCPRIM_400000_NS6detail17trampoline_kernelINS0_14default_configENS1_25partition_config_selectorILNS1_17partition_subalgoE1EsNS0_10empty_typeEbEEZZNS1_14partition_implILS5_1ELb0ES3_jN6thrust23THRUST_200600_302600_NS6detail15normal_iteratorINSA_10device_ptrIsEEEEPS6_NSA_18transform_iteratorI7is_evenIsESF_NSA_11use_defaultESK_EENS0_5tupleIJSF_NSA_16discard_iteratorISK_EEEEENSM_IJSG_SG_EEES6_PlJS6_EEE10hipError_tPvRmT3_T4_T5_T6_T7_T9_mT8_P12ihipStream_tbDpT10_ENKUlT_T0_E_clISt17integral_constantIbLb0EES1B_EEDaS16_S17_EUlS16_E_NS1_11comp_targetILNS1_3genE0ELNS1_11target_archE4294967295ELNS1_3gpuE0ELNS1_3repE0EEENS1_30default_config_static_selectorELNS0_4arch9wavefront6targetE1EEEvT1_,comdat
	.protected	_ZN7rocprim17ROCPRIM_400000_NS6detail17trampoline_kernelINS0_14default_configENS1_25partition_config_selectorILNS1_17partition_subalgoE1EsNS0_10empty_typeEbEEZZNS1_14partition_implILS5_1ELb0ES3_jN6thrust23THRUST_200600_302600_NS6detail15normal_iteratorINSA_10device_ptrIsEEEEPS6_NSA_18transform_iteratorI7is_evenIsESF_NSA_11use_defaultESK_EENS0_5tupleIJSF_NSA_16discard_iteratorISK_EEEEENSM_IJSG_SG_EEES6_PlJS6_EEE10hipError_tPvRmT3_T4_T5_T6_T7_T9_mT8_P12ihipStream_tbDpT10_ENKUlT_T0_E_clISt17integral_constantIbLb0EES1B_EEDaS16_S17_EUlS16_E_NS1_11comp_targetILNS1_3genE0ELNS1_11target_archE4294967295ELNS1_3gpuE0ELNS1_3repE0EEENS1_30default_config_static_selectorELNS0_4arch9wavefront6targetE1EEEvT1_ ; -- Begin function _ZN7rocprim17ROCPRIM_400000_NS6detail17trampoline_kernelINS0_14default_configENS1_25partition_config_selectorILNS1_17partition_subalgoE1EsNS0_10empty_typeEbEEZZNS1_14partition_implILS5_1ELb0ES3_jN6thrust23THRUST_200600_302600_NS6detail15normal_iteratorINSA_10device_ptrIsEEEEPS6_NSA_18transform_iteratorI7is_evenIsESF_NSA_11use_defaultESK_EENS0_5tupleIJSF_NSA_16discard_iteratorISK_EEEEENSM_IJSG_SG_EEES6_PlJS6_EEE10hipError_tPvRmT3_T4_T5_T6_T7_T9_mT8_P12ihipStream_tbDpT10_ENKUlT_T0_E_clISt17integral_constantIbLb0EES1B_EEDaS16_S17_EUlS16_E_NS1_11comp_targetILNS1_3genE0ELNS1_11target_archE4294967295ELNS1_3gpuE0ELNS1_3repE0EEENS1_30default_config_static_selectorELNS0_4arch9wavefront6targetE1EEEvT1_
	.globl	_ZN7rocprim17ROCPRIM_400000_NS6detail17trampoline_kernelINS0_14default_configENS1_25partition_config_selectorILNS1_17partition_subalgoE1EsNS0_10empty_typeEbEEZZNS1_14partition_implILS5_1ELb0ES3_jN6thrust23THRUST_200600_302600_NS6detail15normal_iteratorINSA_10device_ptrIsEEEEPS6_NSA_18transform_iteratorI7is_evenIsESF_NSA_11use_defaultESK_EENS0_5tupleIJSF_NSA_16discard_iteratorISK_EEEEENSM_IJSG_SG_EEES6_PlJS6_EEE10hipError_tPvRmT3_T4_T5_T6_T7_T9_mT8_P12ihipStream_tbDpT10_ENKUlT_T0_E_clISt17integral_constantIbLb0EES1B_EEDaS16_S17_EUlS16_E_NS1_11comp_targetILNS1_3genE0ELNS1_11target_archE4294967295ELNS1_3gpuE0ELNS1_3repE0EEENS1_30default_config_static_selectorELNS0_4arch9wavefront6targetE1EEEvT1_
	.p2align	8
	.type	_ZN7rocprim17ROCPRIM_400000_NS6detail17trampoline_kernelINS0_14default_configENS1_25partition_config_selectorILNS1_17partition_subalgoE1EsNS0_10empty_typeEbEEZZNS1_14partition_implILS5_1ELb0ES3_jN6thrust23THRUST_200600_302600_NS6detail15normal_iteratorINSA_10device_ptrIsEEEEPS6_NSA_18transform_iteratorI7is_evenIsESF_NSA_11use_defaultESK_EENS0_5tupleIJSF_NSA_16discard_iteratorISK_EEEEENSM_IJSG_SG_EEES6_PlJS6_EEE10hipError_tPvRmT3_T4_T5_T6_T7_T9_mT8_P12ihipStream_tbDpT10_ENKUlT_T0_E_clISt17integral_constantIbLb0EES1B_EEDaS16_S17_EUlS16_E_NS1_11comp_targetILNS1_3genE0ELNS1_11target_archE4294967295ELNS1_3gpuE0ELNS1_3repE0EEENS1_30default_config_static_selectorELNS0_4arch9wavefront6targetE1EEEvT1_,@function
_ZN7rocprim17ROCPRIM_400000_NS6detail17trampoline_kernelINS0_14default_configENS1_25partition_config_selectorILNS1_17partition_subalgoE1EsNS0_10empty_typeEbEEZZNS1_14partition_implILS5_1ELb0ES3_jN6thrust23THRUST_200600_302600_NS6detail15normal_iteratorINSA_10device_ptrIsEEEEPS6_NSA_18transform_iteratorI7is_evenIsESF_NSA_11use_defaultESK_EENS0_5tupleIJSF_NSA_16discard_iteratorISK_EEEEENSM_IJSG_SG_EEES6_PlJS6_EEE10hipError_tPvRmT3_T4_T5_T6_T7_T9_mT8_P12ihipStream_tbDpT10_ENKUlT_T0_E_clISt17integral_constantIbLb0EES1B_EEDaS16_S17_EUlS16_E_NS1_11comp_targetILNS1_3genE0ELNS1_11target_archE4294967295ELNS1_3gpuE0ELNS1_3repE0EEENS1_30default_config_static_selectorELNS0_4arch9wavefront6targetE1EEEvT1_: ; @_ZN7rocprim17ROCPRIM_400000_NS6detail17trampoline_kernelINS0_14default_configENS1_25partition_config_selectorILNS1_17partition_subalgoE1EsNS0_10empty_typeEbEEZZNS1_14partition_implILS5_1ELb0ES3_jN6thrust23THRUST_200600_302600_NS6detail15normal_iteratorINSA_10device_ptrIsEEEEPS6_NSA_18transform_iteratorI7is_evenIsESF_NSA_11use_defaultESK_EENS0_5tupleIJSF_NSA_16discard_iteratorISK_EEEEENSM_IJSG_SG_EEES6_PlJS6_EEE10hipError_tPvRmT3_T4_T5_T6_T7_T9_mT8_P12ihipStream_tbDpT10_ENKUlT_T0_E_clISt17integral_constantIbLb0EES1B_EEDaS16_S17_EUlS16_E_NS1_11comp_targetILNS1_3genE0ELNS1_11target_archE4294967295ELNS1_3gpuE0ELNS1_3repE0EEENS1_30default_config_static_selectorELNS0_4arch9wavefront6targetE1EEEvT1_
; %bb.0:
	.section	.rodata,"a",@progbits
	.p2align	6, 0x0
	.amdhsa_kernel _ZN7rocprim17ROCPRIM_400000_NS6detail17trampoline_kernelINS0_14default_configENS1_25partition_config_selectorILNS1_17partition_subalgoE1EsNS0_10empty_typeEbEEZZNS1_14partition_implILS5_1ELb0ES3_jN6thrust23THRUST_200600_302600_NS6detail15normal_iteratorINSA_10device_ptrIsEEEEPS6_NSA_18transform_iteratorI7is_evenIsESF_NSA_11use_defaultESK_EENS0_5tupleIJSF_NSA_16discard_iteratorISK_EEEEENSM_IJSG_SG_EEES6_PlJS6_EEE10hipError_tPvRmT3_T4_T5_T6_T7_T9_mT8_P12ihipStream_tbDpT10_ENKUlT_T0_E_clISt17integral_constantIbLb0EES1B_EEDaS16_S17_EUlS16_E_NS1_11comp_targetILNS1_3genE0ELNS1_11target_archE4294967295ELNS1_3gpuE0ELNS1_3repE0EEENS1_30default_config_static_selectorELNS0_4arch9wavefront6targetE1EEEvT1_
		.amdhsa_group_segment_fixed_size 0
		.amdhsa_private_segment_fixed_size 0
		.amdhsa_kernarg_size 136
		.amdhsa_user_sgpr_count 6
		.amdhsa_user_sgpr_private_segment_buffer 1
		.amdhsa_user_sgpr_dispatch_ptr 0
		.amdhsa_user_sgpr_queue_ptr 0
		.amdhsa_user_sgpr_kernarg_segment_ptr 1
		.amdhsa_user_sgpr_dispatch_id 0
		.amdhsa_user_sgpr_flat_scratch_init 0
		.amdhsa_user_sgpr_kernarg_preload_length 0
		.amdhsa_user_sgpr_kernarg_preload_offset 0
		.amdhsa_user_sgpr_private_segment_size 0
		.amdhsa_uses_dynamic_stack 0
		.amdhsa_system_sgpr_private_segment_wavefront_offset 0
		.amdhsa_system_sgpr_workgroup_id_x 1
		.amdhsa_system_sgpr_workgroup_id_y 0
		.amdhsa_system_sgpr_workgroup_id_z 0
		.amdhsa_system_sgpr_workgroup_info 0
		.amdhsa_system_vgpr_workitem_id 0
		.amdhsa_next_free_vgpr 1
		.amdhsa_next_free_sgpr 0
		.amdhsa_accum_offset 4
		.amdhsa_reserve_vcc 0
		.amdhsa_reserve_flat_scratch 0
		.amdhsa_float_round_mode_32 0
		.amdhsa_float_round_mode_16_64 0
		.amdhsa_float_denorm_mode_32 3
		.amdhsa_float_denorm_mode_16_64 3
		.amdhsa_dx10_clamp 1
		.amdhsa_ieee_mode 1
		.amdhsa_fp16_overflow 0
		.amdhsa_tg_split 0
		.amdhsa_exception_fp_ieee_invalid_op 0
		.amdhsa_exception_fp_denorm_src 0
		.amdhsa_exception_fp_ieee_div_zero 0
		.amdhsa_exception_fp_ieee_overflow 0
		.amdhsa_exception_fp_ieee_underflow 0
		.amdhsa_exception_fp_ieee_inexact 0
		.amdhsa_exception_int_div_zero 0
	.end_amdhsa_kernel
	.section	.text._ZN7rocprim17ROCPRIM_400000_NS6detail17trampoline_kernelINS0_14default_configENS1_25partition_config_selectorILNS1_17partition_subalgoE1EsNS0_10empty_typeEbEEZZNS1_14partition_implILS5_1ELb0ES3_jN6thrust23THRUST_200600_302600_NS6detail15normal_iteratorINSA_10device_ptrIsEEEEPS6_NSA_18transform_iteratorI7is_evenIsESF_NSA_11use_defaultESK_EENS0_5tupleIJSF_NSA_16discard_iteratorISK_EEEEENSM_IJSG_SG_EEES6_PlJS6_EEE10hipError_tPvRmT3_T4_T5_T6_T7_T9_mT8_P12ihipStream_tbDpT10_ENKUlT_T0_E_clISt17integral_constantIbLb0EES1B_EEDaS16_S17_EUlS16_E_NS1_11comp_targetILNS1_3genE0ELNS1_11target_archE4294967295ELNS1_3gpuE0ELNS1_3repE0EEENS1_30default_config_static_selectorELNS0_4arch9wavefront6targetE1EEEvT1_,"axG",@progbits,_ZN7rocprim17ROCPRIM_400000_NS6detail17trampoline_kernelINS0_14default_configENS1_25partition_config_selectorILNS1_17partition_subalgoE1EsNS0_10empty_typeEbEEZZNS1_14partition_implILS5_1ELb0ES3_jN6thrust23THRUST_200600_302600_NS6detail15normal_iteratorINSA_10device_ptrIsEEEEPS6_NSA_18transform_iteratorI7is_evenIsESF_NSA_11use_defaultESK_EENS0_5tupleIJSF_NSA_16discard_iteratorISK_EEEEENSM_IJSG_SG_EEES6_PlJS6_EEE10hipError_tPvRmT3_T4_T5_T6_T7_T9_mT8_P12ihipStream_tbDpT10_ENKUlT_T0_E_clISt17integral_constantIbLb0EES1B_EEDaS16_S17_EUlS16_E_NS1_11comp_targetILNS1_3genE0ELNS1_11target_archE4294967295ELNS1_3gpuE0ELNS1_3repE0EEENS1_30default_config_static_selectorELNS0_4arch9wavefront6targetE1EEEvT1_,comdat
.Lfunc_end3387:
	.size	_ZN7rocprim17ROCPRIM_400000_NS6detail17trampoline_kernelINS0_14default_configENS1_25partition_config_selectorILNS1_17partition_subalgoE1EsNS0_10empty_typeEbEEZZNS1_14partition_implILS5_1ELb0ES3_jN6thrust23THRUST_200600_302600_NS6detail15normal_iteratorINSA_10device_ptrIsEEEEPS6_NSA_18transform_iteratorI7is_evenIsESF_NSA_11use_defaultESK_EENS0_5tupleIJSF_NSA_16discard_iteratorISK_EEEEENSM_IJSG_SG_EEES6_PlJS6_EEE10hipError_tPvRmT3_T4_T5_T6_T7_T9_mT8_P12ihipStream_tbDpT10_ENKUlT_T0_E_clISt17integral_constantIbLb0EES1B_EEDaS16_S17_EUlS16_E_NS1_11comp_targetILNS1_3genE0ELNS1_11target_archE4294967295ELNS1_3gpuE0ELNS1_3repE0EEENS1_30default_config_static_selectorELNS0_4arch9wavefront6targetE1EEEvT1_, .Lfunc_end3387-_ZN7rocprim17ROCPRIM_400000_NS6detail17trampoline_kernelINS0_14default_configENS1_25partition_config_selectorILNS1_17partition_subalgoE1EsNS0_10empty_typeEbEEZZNS1_14partition_implILS5_1ELb0ES3_jN6thrust23THRUST_200600_302600_NS6detail15normal_iteratorINSA_10device_ptrIsEEEEPS6_NSA_18transform_iteratorI7is_evenIsESF_NSA_11use_defaultESK_EENS0_5tupleIJSF_NSA_16discard_iteratorISK_EEEEENSM_IJSG_SG_EEES6_PlJS6_EEE10hipError_tPvRmT3_T4_T5_T6_T7_T9_mT8_P12ihipStream_tbDpT10_ENKUlT_T0_E_clISt17integral_constantIbLb0EES1B_EEDaS16_S17_EUlS16_E_NS1_11comp_targetILNS1_3genE0ELNS1_11target_archE4294967295ELNS1_3gpuE0ELNS1_3repE0EEENS1_30default_config_static_selectorELNS0_4arch9wavefront6targetE1EEEvT1_
                                        ; -- End function
	.section	.AMDGPU.csdata,"",@progbits
; Kernel info:
; codeLenInByte = 0
; NumSgprs: 4
; NumVgprs: 0
; NumAgprs: 0
; TotalNumVgprs: 0
; ScratchSize: 0
; MemoryBound: 0
; FloatMode: 240
; IeeeMode: 1
; LDSByteSize: 0 bytes/workgroup (compile time only)
; SGPRBlocks: 0
; VGPRBlocks: 0
; NumSGPRsForWavesPerEU: 4
; NumVGPRsForWavesPerEU: 1
; AccumOffset: 4
; Occupancy: 8
; WaveLimiterHint : 0
; COMPUTE_PGM_RSRC2:SCRATCH_EN: 0
; COMPUTE_PGM_RSRC2:USER_SGPR: 6
; COMPUTE_PGM_RSRC2:TRAP_HANDLER: 0
; COMPUTE_PGM_RSRC2:TGID_X_EN: 1
; COMPUTE_PGM_RSRC2:TGID_Y_EN: 0
; COMPUTE_PGM_RSRC2:TGID_Z_EN: 0
; COMPUTE_PGM_RSRC2:TIDIG_COMP_CNT: 0
; COMPUTE_PGM_RSRC3_GFX90A:ACCUM_OFFSET: 0
; COMPUTE_PGM_RSRC3_GFX90A:TG_SPLIT: 0
	.section	.text._ZN7rocprim17ROCPRIM_400000_NS6detail17trampoline_kernelINS0_14default_configENS1_25partition_config_selectorILNS1_17partition_subalgoE1EsNS0_10empty_typeEbEEZZNS1_14partition_implILS5_1ELb0ES3_jN6thrust23THRUST_200600_302600_NS6detail15normal_iteratorINSA_10device_ptrIsEEEEPS6_NSA_18transform_iteratorI7is_evenIsESF_NSA_11use_defaultESK_EENS0_5tupleIJSF_NSA_16discard_iteratorISK_EEEEENSM_IJSG_SG_EEES6_PlJS6_EEE10hipError_tPvRmT3_T4_T5_T6_T7_T9_mT8_P12ihipStream_tbDpT10_ENKUlT_T0_E_clISt17integral_constantIbLb0EES1B_EEDaS16_S17_EUlS16_E_NS1_11comp_targetILNS1_3genE5ELNS1_11target_archE942ELNS1_3gpuE9ELNS1_3repE0EEENS1_30default_config_static_selectorELNS0_4arch9wavefront6targetE1EEEvT1_,"axG",@progbits,_ZN7rocprim17ROCPRIM_400000_NS6detail17trampoline_kernelINS0_14default_configENS1_25partition_config_selectorILNS1_17partition_subalgoE1EsNS0_10empty_typeEbEEZZNS1_14partition_implILS5_1ELb0ES3_jN6thrust23THRUST_200600_302600_NS6detail15normal_iteratorINSA_10device_ptrIsEEEEPS6_NSA_18transform_iteratorI7is_evenIsESF_NSA_11use_defaultESK_EENS0_5tupleIJSF_NSA_16discard_iteratorISK_EEEEENSM_IJSG_SG_EEES6_PlJS6_EEE10hipError_tPvRmT3_T4_T5_T6_T7_T9_mT8_P12ihipStream_tbDpT10_ENKUlT_T0_E_clISt17integral_constantIbLb0EES1B_EEDaS16_S17_EUlS16_E_NS1_11comp_targetILNS1_3genE5ELNS1_11target_archE942ELNS1_3gpuE9ELNS1_3repE0EEENS1_30default_config_static_selectorELNS0_4arch9wavefront6targetE1EEEvT1_,comdat
	.protected	_ZN7rocprim17ROCPRIM_400000_NS6detail17trampoline_kernelINS0_14default_configENS1_25partition_config_selectorILNS1_17partition_subalgoE1EsNS0_10empty_typeEbEEZZNS1_14partition_implILS5_1ELb0ES3_jN6thrust23THRUST_200600_302600_NS6detail15normal_iteratorINSA_10device_ptrIsEEEEPS6_NSA_18transform_iteratorI7is_evenIsESF_NSA_11use_defaultESK_EENS0_5tupleIJSF_NSA_16discard_iteratorISK_EEEEENSM_IJSG_SG_EEES6_PlJS6_EEE10hipError_tPvRmT3_T4_T5_T6_T7_T9_mT8_P12ihipStream_tbDpT10_ENKUlT_T0_E_clISt17integral_constantIbLb0EES1B_EEDaS16_S17_EUlS16_E_NS1_11comp_targetILNS1_3genE5ELNS1_11target_archE942ELNS1_3gpuE9ELNS1_3repE0EEENS1_30default_config_static_selectorELNS0_4arch9wavefront6targetE1EEEvT1_ ; -- Begin function _ZN7rocprim17ROCPRIM_400000_NS6detail17trampoline_kernelINS0_14default_configENS1_25partition_config_selectorILNS1_17partition_subalgoE1EsNS0_10empty_typeEbEEZZNS1_14partition_implILS5_1ELb0ES3_jN6thrust23THRUST_200600_302600_NS6detail15normal_iteratorINSA_10device_ptrIsEEEEPS6_NSA_18transform_iteratorI7is_evenIsESF_NSA_11use_defaultESK_EENS0_5tupleIJSF_NSA_16discard_iteratorISK_EEEEENSM_IJSG_SG_EEES6_PlJS6_EEE10hipError_tPvRmT3_T4_T5_T6_T7_T9_mT8_P12ihipStream_tbDpT10_ENKUlT_T0_E_clISt17integral_constantIbLb0EES1B_EEDaS16_S17_EUlS16_E_NS1_11comp_targetILNS1_3genE5ELNS1_11target_archE942ELNS1_3gpuE9ELNS1_3repE0EEENS1_30default_config_static_selectorELNS0_4arch9wavefront6targetE1EEEvT1_
	.globl	_ZN7rocprim17ROCPRIM_400000_NS6detail17trampoline_kernelINS0_14default_configENS1_25partition_config_selectorILNS1_17partition_subalgoE1EsNS0_10empty_typeEbEEZZNS1_14partition_implILS5_1ELb0ES3_jN6thrust23THRUST_200600_302600_NS6detail15normal_iteratorINSA_10device_ptrIsEEEEPS6_NSA_18transform_iteratorI7is_evenIsESF_NSA_11use_defaultESK_EENS0_5tupleIJSF_NSA_16discard_iteratorISK_EEEEENSM_IJSG_SG_EEES6_PlJS6_EEE10hipError_tPvRmT3_T4_T5_T6_T7_T9_mT8_P12ihipStream_tbDpT10_ENKUlT_T0_E_clISt17integral_constantIbLb0EES1B_EEDaS16_S17_EUlS16_E_NS1_11comp_targetILNS1_3genE5ELNS1_11target_archE942ELNS1_3gpuE9ELNS1_3repE0EEENS1_30default_config_static_selectorELNS0_4arch9wavefront6targetE1EEEvT1_
	.p2align	8
	.type	_ZN7rocprim17ROCPRIM_400000_NS6detail17trampoline_kernelINS0_14default_configENS1_25partition_config_selectorILNS1_17partition_subalgoE1EsNS0_10empty_typeEbEEZZNS1_14partition_implILS5_1ELb0ES3_jN6thrust23THRUST_200600_302600_NS6detail15normal_iteratorINSA_10device_ptrIsEEEEPS6_NSA_18transform_iteratorI7is_evenIsESF_NSA_11use_defaultESK_EENS0_5tupleIJSF_NSA_16discard_iteratorISK_EEEEENSM_IJSG_SG_EEES6_PlJS6_EEE10hipError_tPvRmT3_T4_T5_T6_T7_T9_mT8_P12ihipStream_tbDpT10_ENKUlT_T0_E_clISt17integral_constantIbLb0EES1B_EEDaS16_S17_EUlS16_E_NS1_11comp_targetILNS1_3genE5ELNS1_11target_archE942ELNS1_3gpuE9ELNS1_3repE0EEENS1_30default_config_static_selectorELNS0_4arch9wavefront6targetE1EEEvT1_,@function
_ZN7rocprim17ROCPRIM_400000_NS6detail17trampoline_kernelINS0_14default_configENS1_25partition_config_selectorILNS1_17partition_subalgoE1EsNS0_10empty_typeEbEEZZNS1_14partition_implILS5_1ELb0ES3_jN6thrust23THRUST_200600_302600_NS6detail15normal_iteratorINSA_10device_ptrIsEEEEPS6_NSA_18transform_iteratorI7is_evenIsESF_NSA_11use_defaultESK_EENS0_5tupleIJSF_NSA_16discard_iteratorISK_EEEEENSM_IJSG_SG_EEES6_PlJS6_EEE10hipError_tPvRmT3_T4_T5_T6_T7_T9_mT8_P12ihipStream_tbDpT10_ENKUlT_T0_E_clISt17integral_constantIbLb0EES1B_EEDaS16_S17_EUlS16_E_NS1_11comp_targetILNS1_3genE5ELNS1_11target_archE942ELNS1_3gpuE9ELNS1_3repE0EEENS1_30default_config_static_selectorELNS0_4arch9wavefront6targetE1EEEvT1_: ; @_ZN7rocprim17ROCPRIM_400000_NS6detail17trampoline_kernelINS0_14default_configENS1_25partition_config_selectorILNS1_17partition_subalgoE1EsNS0_10empty_typeEbEEZZNS1_14partition_implILS5_1ELb0ES3_jN6thrust23THRUST_200600_302600_NS6detail15normal_iteratorINSA_10device_ptrIsEEEEPS6_NSA_18transform_iteratorI7is_evenIsESF_NSA_11use_defaultESK_EENS0_5tupleIJSF_NSA_16discard_iteratorISK_EEEEENSM_IJSG_SG_EEES6_PlJS6_EEE10hipError_tPvRmT3_T4_T5_T6_T7_T9_mT8_P12ihipStream_tbDpT10_ENKUlT_T0_E_clISt17integral_constantIbLb0EES1B_EEDaS16_S17_EUlS16_E_NS1_11comp_targetILNS1_3genE5ELNS1_11target_archE942ELNS1_3gpuE9ELNS1_3repE0EEENS1_30default_config_static_selectorELNS0_4arch9wavefront6targetE1EEEvT1_
; %bb.0:
	.section	.rodata,"a",@progbits
	.p2align	6, 0x0
	.amdhsa_kernel _ZN7rocprim17ROCPRIM_400000_NS6detail17trampoline_kernelINS0_14default_configENS1_25partition_config_selectorILNS1_17partition_subalgoE1EsNS0_10empty_typeEbEEZZNS1_14partition_implILS5_1ELb0ES3_jN6thrust23THRUST_200600_302600_NS6detail15normal_iteratorINSA_10device_ptrIsEEEEPS6_NSA_18transform_iteratorI7is_evenIsESF_NSA_11use_defaultESK_EENS0_5tupleIJSF_NSA_16discard_iteratorISK_EEEEENSM_IJSG_SG_EEES6_PlJS6_EEE10hipError_tPvRmT3_T4_T5_T6_T7_T9_mT8_P12ihipStream_tbDpT10_ENKUlT_T0_E_clISt17integral_constantIbLb0EES1B_EEDaS16_S17_EUlS16_E_NS1_11comp_targetILNS1_3genE5ELNS1_11target_archE942ELNS1_3gpuE9ELNS1_3repE0EEENS1_30default_config_static_selectorELNS0_4arch9wavefront6targetE1EEEvT1_
		.amdhsa_group_segment_fixed_size 0
		.amdhsa_private_segment_fixed_size 0
		.amdhsa_kernarg_size 136
		.amdhsa_user_sgpr_count 6
		.amdhsa_user_sgpr_private_segment_buffer 1
		.amdhsa_user_sgpr_dispatch_ptr 0
		.amdhsa_user_sgpr_queue_ptr 0
		.amdhsa_user_sgpr_kernarg_segment_ptr 1
		.amdhsa_user_sgpr_dispatch_id 0
		.amdhsa_user_sgpr_flat_scratch_init 0
		.amdhsa_user_sgpr_kernarg_preload_length 0
		.amdhsa_user_sgpr_kernarg_preload_offset 0
		.amdhsa_user_sgpr_private_segment_size 0
		.amdhsa_uses_dynamic_stack 0
		.amdhsa_system_sgpr_private_segment_wavefront_offset 0
		.amdhsa_system_sgpr_workgroup_id_x 1
		.amdhsa_system_sgpr_workgroup_id_y 0
		.amdhsa_system_sgpr_workgroup_id_z 0
		.amdhsa_system_sgpr_workgroup_info 0
		.amdhsa_system_vgpr_workitem_id 0
		.amdhsa_next_free_vgpr 1
		.amdhsa_next_free_sgpr 0
		.amdhsa_accum_offset 4
		.amdhsa_reserve_vcc 0
		.amdhsa_reserve_flat_scratch 0
		.amdhsa_float_round_mode_32 0
		.amdhsa_float_round_mode_16_64 0
		.amdhsa_float_denorm_mode_32 3
		.amdhsa_float_denorm_mode_16_64 3
		.amdhsa_dx10_clamp 1
		.amdhsa_ieee_mode 1
		.amdhsa_fp16_overflow 0
		.amdhsa_tg_split 0
		.amdhsa_exception_fp_ieee_invalid_op 0
		.amdhsa_exception_fp_denorm_src 0
		.amdhsa_exception_fp_ieee_div_zero 0
		.amdhsa_exception_fp_ieee_overflow 0
		.amdhsa_exception_fp_ieee_underflow 0
		.amdhsa_exception_fp_ieee_inexact 0
		.amdhsa_exception_int_div_zero 0
	.end_amdhsa_kernel
	.section	.text._ZN7rocprim17ROCPRIM_400000_NS6detail17trampoline_kernelINS0_14default_configENS1_25partition_config_selectorILNS1_17partition_subalgoE1EsNS0_10empty_typeEbEEZZNS1_14partition_implILS5_1ELb0ES3_jN6thrust23THRUST_200600_302600_NS6detail15normal_iteratorINSA_10device_ptrIsEEEEPS6_NSA_18transform_iteratorI7is_evenIsESF_NSA_11use_defaultESK_EENS0_5tupleIJSF_NSA_16discard_iteratorISK_EEEEENSM_IJSG_SG_EEES6_PlJS6_EEE10hipError_tPvRmT3_T4_T5_T6_T7_T9_mT8_P12ihipStream_tbDpT10_ENKUlT_T0_E_clISt17integral_constantIbLb0EES1B_EEDaS16_S17_EUlS16_E_NS1_11comp_targetILNS1_3genE5ELNS1_11target_archE942ELNS1_3gpuE9ELNS1_3repE0EEENS1_30default_config_static_selectorELNS0_4arch9wavefront6targetE1EEEvT1_,"axG",@progbits,_ZN7rocprim17ROCPRIM_400000_NS6detail17trampoline_kernelINS0_14default_configENS1_25partition_config_selectorILNS1_17partition_subalgoE1EsNS0_10empty_typeEbEEZZNS1_14partition_implILS5_1ELb0ES3_jN6thrust23THRUST_200600_302600_NS6detail15normal_iteratorINSA_10device_ptrIsEEEEPS6_NSA_18transform_iteratorI7is_evenIsESF_NSA_11use_defaultESK_EENS0_5tupleIJSF_NSA_16discard_iteratorISK_EEEEENSM_IJSG_SG_EEES6_PlJS6_EEE10hipError_tPvRmT3_T4_T5_T6_T7_T9_mT8_P12ihipStream_tbDpT10_ENKUlT_T0_E_clISt17integral_constantIbLb0EES1B_EEDaS16_S17_EUlS16_E_NS1_11comp_targetILNS1_3genE5ELNS1_11target_archE942ELNS1_3gpuE9ELNS1_3repE0EEENS1_30default_config_static_selectorELNS0_4arch9wavefront6targetE1EEEvT1_,comdat
.Lfunc_end3388:
	.size	_ZN7rocprim17ROCPRIM_400000_NS6detail17trampoline_kernelINS0_14default_configENS1_25partition_config_selectorILNS1_17partition_subalgoE1EsNS0_10empty_typeEbEEZZNS1_14partition_implILS5_1ELb0ES3_jN6thrust23THRUST_200600_302600_NS6detail15normal_iteratorINSA_10device_ptrIsEEEEPS6_NSA_18transform_iteratorI7is_evenIsESF_NSA_11use_defaultESK_EENS0_5tupleIJSF_NSA_16discard_iteratorISK_EEEEENSM_IJSG_SG_EEES6_PlJS6_EEE10hipError_tPvRmT3_T4_T5_T6_T7_T9_mT8_P12ihipStream_tbDpT10_ENKUlT_T0_E_clISt17integral_constantIbLb0EES1B_EEDaS16_S17_EUlS16_E_NS1_11comp_targetILNS1_3genE5ELNS1_11target_archE942ELNS1_3gpuE9ELNS1_3repE0EEENS1_30default_config_static_selectorELNS0_4arch9wavefront6targetE1EEEvT1_, .Lfunc_end3388-_ZN7rocprim17ROCPRIM_400000_NS6detail17trampoline_kernelINS0_14default_configENS1_25partition_config_selectorILNS1_17partition_subalgoE1EsNS0_10empty_typeEbEEZZNS1_14partition_implILS5_1ELb0ES3_jN6thrust23THRUST_200600_302600_NS6detail15normal_iteratorINSA_10device_ptrIsEEEEPS6_NSA_18transform_iteratorI7is_evenIsESF_NSA_11use_defaultESK_EENS0_5tupleIJSF_NSA_16discard_iteratorISK_EEEEENSM_IJSG_SG_EEES6_PlJS6_EEE10hipError_tPvRmT3_T4_T5_T6_T7_T9_mT8_P12ihipStream_tbDpT10_ENKUlT_T0_E_clISt17integral_constantIbLb0EES1B_EEDaS16_S17_EUlS16_E_NS1_11comp_targetILNS1_3genE5ELNS1_11target_archE942ELNS1_3gpuE9ELNS1_3repE0EEENS1_30default_config_static_selectorELNS0_4arch9wavefront6targetE1EEEvT1_
                                        ; -- End function
	.section	.AMDGPU.csdata,"",@progbits
; Kernel info:
; codeLenInByte = 0
; NumSgprs: 4
; NumVgprs: 0
; NumAgprs: 0
; TotalNumVgprs: 0
; ScratchSize: 0
; MemoryBound: 0
; FloatMode: 240
; IeeeMode: 1
; LDSByteSize: 0 bytes/workgroup (compile time only)
; SGPRBlocks: 0
; VGPRBlocks: 0
; NumSGPRsForWavesPerEU: 4
; NumVGPRsForWavesPerEU: 1
; AccumOffset: 4
; Occupancy: 8
; WaveLimiterHint : 0
; COMPUTE_PGM_RSRC2:SCRATCH_EN: 0
; COMPUTE_PGM_RSRC2:USER_SGPR: 6
; COMPUTE_PGM_RSRC2:TRAP_HANDLER: 0
; COMPUTE_PGM_RSRC2:TGID_X_EN: 1
; COMPUTE_PGM_RSRC2:TGID_Y_EN: 0
; COMPUTE_PGM_RSRC2:TGID_Z_EN: 0
; COMPUTE_PGM_RSRC2:TIDIG_COMP_CNT: 0
; COMPUTE_PGM_RSRC3_GFX90A:ACCUM_OFFSET: 0
; COMPUTE_PGM_RSRC3_GFX90A:TG_SPLIT: 0
	.section	.text._ZN7rocprim17ROCPRIM_400000_NS6detail17trampoline_kernelINS0_14default_configENS1_25partition_config_selectorILNS1_17partition_subalgoE1EsNS0_10empty_typeEbEEZZNS1_14partition_implILS5_1ELb0ES3_jN6thrust23THRUST_200600_302600_NS6detail15normal_iteratorINSA_10device_ptrIsEEEEPS6_NSA_18transform_iteratorI7is_evenIsESF_NSA_11use_defaultESK_EENS0_5tupleIJSF_NSA_16discard_iteratorISK_EEEEENSM_IJSG_SG_EEES6_PlJS6_EEE10hipError_tPvRmT3_T4_T5_T6_T7_T9_mT8_P12ihipStream_tbDpT10_ENKUlT_T0_E_clISt17integral_constantIbLb0EES1B_EEDaS16_S17_EUlS16_E_NS1_11comp_targetILNS1_3genE4ELNS1_11target_archE910ELNS1_3gpuE8ELNS1_3repE0EEENS1_30default_config_static_selectorELNS0_4arch9wavefront6targetE1EEEvT1_,"axG",@progbits,_ZN7rocprim17ROCPRIM_400000_NS6detail17trampoline_kernelINS0_14default_configENS1_25partition_config_selectorILNS1_17partition_subalgoE1EsNS0_10empty_typeEbEEZZNS1_14partition_implILS5_1ELb0ES3_jN6thrust23THRUST_200600_302600_NS6detail15normal_iteratorINSA_10device_ptrIsEEEEPS6_NSA_18transform_iteratorI7is_evenIsESF_NSA_11use_defaultESK_EENS0_5tupleIJSF_NSA_16discard_iteratorISK_EEEEENSM_IJSG_SG_EEES6_PlJS6_EEE10hipError_tPvRmT3_T4_T5_T6_T7_T9_mT8_P12ihipStream_tbDpT10_ENKUlT_T0_E_clISt17integral_constantIbLb0EES1B_EEDaS16_S17_EUlS16_E_NS1_11comp_targetILNS1_3genE4ELNS1_11target_archE910ELNS1_3gpuE8ELNS1_3repE0EEENS1_30default_config_static_selectorELNS0_4arch9wavefront6targetE1EEEvT1_,comdat
	.protected	_ZN7rocprim17ROCPRIM_400000_NS6detail17trampoline_kernelINS0_14default_configENS1_25partition_config_selectorILNS1_17partition_subalgoE1EsNS0_10empty_typeEbEEZZNS1_14partition_implILS5_1ELb0ES3_jN6thrust23THRUST_200600_302600_NS6detail15normal_iteratorINSA_10device_ptrIsEEEEPS6_NSA_18transform_iteratorI7is_evenIsESF_NSA_11use_defaultESK_EENS0_5tupleIJSF_NSA_16discard_iteratorISK_EEEEENSM_IJSG_SG_EEES6_PlJS6_EEE10hipError_tPvRmT3_T4_T5_T6_T7_T9_mT8_P12ihipStream_tbDpT10_ENKUlT_T0_E_clISt17integral_constantIbLb0EES1B_EEDaS16_S17_EUlS16_E_NS1_11comp_targetILNS1_3genE4ELNS1_11target_archE910ELNS1_3gpuE8ELNS1_3repE0EEENS1_30default_config_static_selectorELNS0_4arch9wavefront6targetE1EEEvT1_ ; -- Begin function _ZN7rocprim17ROCPRIM_400000_NS6detail17trampoline_kernelINS0_14default_configENS1_25partition_config_selectorILNS1_17partition_subalgoE1EsNS0_10empty_typeEbEEZZNS1_14partition_implILS5_1ELb0ES3_jN6thrust23THRUST_200600_302600_NS6detail15normal_iteratorINSA_10device_ptrIsEEEEPS6_NSA_18transform_iteratorI7is_evenIsESF_NSA_11use_defaultESK_EENS0_5tupleIJSF_NSA_16discard_iteratorISK_EEEEENSM_IJSG_SG_EEES6_PlJS6_EEE10hipError_tPvRmT3_T4_T5_T6_T7_T9_mT8_P12ihipStream_tbDpT10_ENKUlT_T0_E_clISt17integral_constantIbLb0EES1B_EEDaS16_S17_EUlS16_E_NS1_11comp_targetILNS1_3genE4ELNS1_11target_archE910ELNS1_3gpuE8ELNS1_3repE0EEENS1_30default_config_static_selectorELNS0_4arch9wavefront6targetE1EEEvT1_
	.globl	_ZN7rocprim17ROCPRIM_400000_NS6detail17trampoline_kernelINS0_14default_configENS1_25partition_config_selectorILNS1_17partition_subalgoE1EsNS0_10empty_typeEbEEZZNS1_14partition_implILS5_1ELb0ES3_jN6thrust23THRUST_200600_302600_NS6detail15normal_iteratorINSA_10device_ptrIsEEEEPS6_NSA_18transform_iteratorI7is_evenIsESF_NSA_11use_defaultESK_EENS0_5tupleIJSF_NSA_16discard_iteratorISK_EEEEENSM_IJSG_SG_EEES6_PlJS6_EEE10hipError_tPvRmT3_T4_T5_T6_T7_T9_mT8_P12ihipStream_tbDpT10_ENKUlT_T0_E_clISt17integral_constantIbLb0EES1B_EEDaS16_S17_EUlS16_E_NS1_11comp_targetILNS1_3genE4ELNS1_11target_archE910ELNS1_3gpuE8ELNS1_3repE0EEENS1_30default_config_static_selectorELNS0_4arch9wavefront6targetE1EEEvT1_
	.p2align	8
	.type	_ZN7rocprim17ROCPRIM_400000_NS6detail17trampoline_kernelINS0_14default_configENS1_25partition_config_selectorILNS1_17partition_subalgoE1EsNS0_10empty_typeEbEEZZNS1_14partition_implILS5_1ELb0ES3_jN6thrust23THRUST_200600_302600_NS6detail15normal_iteratorINSA_10device_ptrIsEEEEPS6_NSA_18transform_iteratorI7is_evenIsESF_NSA_11use_defaultESK_EENS0_5tupleIJSF_NSA_16discard_iteratorISK_EEEEENSM_IJSG_SG_EEES6_PlJS6_EEE10hipError_tPvRmT3_T4_T5_T6_T7_T9_mT8_P12ihipStream_tbDpT10_ENKUlT_T0_E_clISt17integral_constantIbLb0EES1B_EEDaS16_S17_EUlS16_E_NS1_11comp_targetILNS1_3genE4ELNS1_11target_archE910ELNS1_3gpuE8ELNS1_3repE0EEENS1_30default_config_static_selectorELNS0_4arch9wavefront6targetE1EEEvT1_,@function
_ZN7rocprim17ROCPRIM_400000_NS6detail17trampoline_kernelINS0_14default_configENS1_25partition_config_selectorILNS1_17partition_subalgoE1EsNS0_10empty_typeEbEEZZNS1_14partition_implILS5_1ELb0ES3_jN6thrust23THRUST_200600_302600_NS6detail15normal_iteratorINSA_10device_ptrIsEEEEPS6_NSA_18transform_iteratorI7is_evenIsESF_NSA_11use_defaultESK_EENS0_5tupleIJSF_NSA_16discard_iteratorISK_EEEEENSM_IJSG_SG_EEES6_PlJS6_EEE10hipError_tPvRmT3_T4_T5_T6_T7_T9_mT8_P12ihipStream_tbDpT10_ENKUlT_T0_E_clISt17integral_constantIbLb0EES1B_EEDaS16_S17_EUlS16_E_NS1_11comp_targetILNS1_3genE4ELNS1_11target_archE910ELNS1_3gpuE8ELNS1_3repE0EEENS1_30default_config_static_selectorELNS0_4arch9wavefront6targetE1EEEvT1_: ; @_ZN7rocprim17ROCPRIM_400000_NS6detail17trampoline_kernelINS0_14default_configENS1_25partition_config_selectorILNS1_17partition_subalgoE1EsNS0_10empty_typeEbEEZZNS1_14partition_implILS5_1ELb0ES3_jN6thrust23THRUST_200600_302600_NS6detail15normal_iteratorINSA_10device_ptrIsEEEEPS6_NSA_18transform_iteratorI7is_evenIsESF_NSA_11use_defaultESK_EENS0_5tupleIJSF_NSA_16discard_iteratorISK_EEEEENSM_IJSG_SG_EEES6_PlJS6_EEE10hipError_tPvRmT3_T4_T5_T6_T7_T9_mT8_P12ihipStream_tbDpT10_ENKUlT_T0_E_clISt17integral_constantIbLb0EES1B_EEDaS16_S17_EUlS16_E_NS1_11comp_targetILNS1_3genE4ELNS1_11target_archE910ELNS1_3gpuE8ELNS1_3repE0EEENS1_30default_config_static_selectorELNS0_4arch9wavefront6targetE1EEEvT1_
; %bb.0:
	s_load_dwordx2 s[0:1], s[4:5], 0x68
	s_load_dwordx4 s[12:15], s[4:5], 0x8
	s_load_dwordx2 s[2:3], s[4:5], 0x20
	s_load_dwordx4 s[20:23], s[4:5], 0x58
	s_mul_i32 s10, s6, 0x1400
	s_waitcnt lgkmcnt(0)
	v_mov_b32_e32 v3, s1
	s_load_dword s1, s[4:5], 0x80
	s_lshl_b64 s[8:9], s[14:15], 1
	s_add_u32 s7, s12, s8
	s_addc_u32 s12, s13, s9
	v_mov_b32_e32 v2, s0
	s_waitcnt lgkmcnt(0)
	s_add_i32 s13, s1, -1
	s_mulk_i32 s1, 0x1400
	s_add_i32 s11, s1, s14
	s_sub_i32 s33, s0, s11
	s_addk_i32 s33, 0x1400
	s_add_u32 s0, s14, s1
	s_addc_u32 s1, s15, 0
	s_cmp_eq_u32 s6, s13
	s_load_dwordx2 s[22:23], s[22:23], 0x0
	s_cselect_b64 s[24:25], -1, 0
	s_cmp_lg_u32 s6, s13
	s_mov_b32 s11, 0
	v_cmp_lt_u64_e32 vcc, s[0:1], v[2:3]
	s_cselect_b64 s[0:1], -1, 0
	s_or_b64 s[26:27], s[0:1], vcc
	s_lshl_b64 s[10:11], s[10:11], 1
	s_add_u32 s7, s7, s10
	s_addc_u32 s14, s12, s11
	s_mov_b64 s[0:1], -1
	s_and_b64 vcc, exec, s[26:27]
	v_lshlrev_b32_e32 v1, 1, v0
	s_cbranch_vccz .LBB3389_2
; %bb.1:
	v_mov_b32_e32 v3, s14
	v_add_co_u32_e32 v2, vcc, s7, v1
	v_addc_co_u32_e32 v3, vcc, 0, v3, vcc
	v_add_co_u32_e32 v4, vcc, 0x1000, v2
	v_addc_co_u32_e32 v5, vcc, 0, v3, vcc
	flat_load_ushort v6, v[2:3]
	flat_load_ushort v7, v[2:3] offset:512
	flat_load_ushort v8, v[2:3] offset:1024
	;; [unrolled: 1-line block ×7, first 2 shown]
	v_add_co_u32_e32 v2, vcc, 0x2000, v2
	v_addc_co_u32_e32 v3, vcc, 0, v3, vcc
	flat_load_ushort v14, v[4:5]
	flat_load_ushort v15, v[4:5] offset:512
	flat_load_ushort v16, v[4:5] offset:1024
	;; [unrolled: 1-line block ×7, first 2 shown]
	s_nop 0
	flat_load_ushort v4, v[2:3]
	flat_load_ushort v5, v[2:3] offset:512
	flat_load_ushort v22, v[2:3] offset:1024
	;; [unrolled: 1-line block ×3, first 2 shown]
	s_mov_b64 s[0:1], 0
	s_waitcnt vmcnt(0) lgkmcnt(0)
	ds_write_b16 v1, v6
	ds_write_b16 v1, v7 offset:512
	ds_write_b16 v1, v8 offset:1024
	;; [unrolled: 1-line block ×19, first 2 shown]
	s_waitcnt lgkmcnt(0)
	s_barrier
.LBB3389_2:
	s_andn2_b64 vcc, exec, s[0:1]
	v_cmp_gt_u32_e64 s[0:1], s33, v0
	s_cbranch_vccnz .LBB3389_44
; %bb.3:
                                        ; implicit-def: $vgpr2
	s_and_saveexec_b64 s[12:13], s[0:1]
	s_cbranch_execz .LBB3389_5
; %bb.4:
	v_mov_b32_e32 v3, s14
	v_add_co_u32_e32 v2, vcc, s7, v1
	v_addc_co_u32_e32 v3, vcc, 0, v3, vcc
	flat_load_ushort v2, v[2:3]
.LBB3389_5:
	s_or_b64 exec, exec, s[12:13]
	v_or_b32_e32 v3, 0x100, v0
	v_cmp_gt_u32_e32 vcc, s33, v3
                                        ; implicit-def: $vgpr3
	s_and_saveexec_b64 s[0:1], vcc
	s_cbranch_execz .LBB3389_7
; %bb.6:
	v_mov_b32_e32 v3, s14
	v_add_co_u32_e32 v4, vcc, s7, v1
	v_addc_co_u32_e32 v5, vcc, 0, v3, vcc
	flat_load_ushort v3, v[4:5] offset:512
.LBB3389_7:
	s_or_b64 exec, exec, s[0:1]
	v_or_b32_e32 v4, 0x200, v0
	v_cmp_gt_u32_e32 vcc, s33, v4
                                        ; implicit-def: $vgpr4
	s_and_saveexec_b64 s[0:1], vcc
	s_cbranch_execz .LBB3389_9
; %bb.8:
	v_mov_b32_e32 v5, s14
	v_add_co_u32_e32 v4, vcc, s7, v1
	v_addc_co_u32_e32 v5, vcc, 0, v5, vcc
	flat_load_ushort v4, v[4:5] offset:1024
.LBB3389_9:
	s_or_b64 exec, exec, s[0:1]
	v_or_b32_e32 v5, 0x300, v0
	v_cmp_gt_u32_e32 vcc, s33, v5
                                        ; implicit-def: $vgpr5
	s_and_saveexec_b64 s[0:1], vcc
	s_cbranch_execz .LBB3389_11
; %bb.10:
	v_mov_b32_e32 v5, s14
	v_add_co_u32_e32 v6, vcc, s7, v1
	v_addc_co_u32_e32 v7, vcc, 0, v5, vcc
	flat_load_ushort v5, v[6:7] offset:1536
.LBB3389_11:
	s_or_b64 exec, exec, s[0:1]
	v_or_b32_e32 v6, 0x400, v0
	v_cmp_gt_u32_e32 vcc, s33, v6
                                        ; implicit-def: $vgpr6
	s_and_saveexec_b64 s[0:1], vcc
	s_cbranch_execz .LBB3389_13
; %bb.12:
	v_mov_b32_e32 v7, s14
	v_add_co_u32_e32 v6, vcc, s7, v1
	v_addc_co_u32_e32 v7, vcc, 0, v7, vcc
	flat_load_ushort v6, v[6:7] offset:2048
.LBB3389_13:
	s_or_b64 exec, exec, s[0:1]
	v_or_b32_e32 v7, 0x500, v0
	v_cmp_gt_u32_e32 vcc, s33, v7
                                        ; implicit-def: $vgpr7
	s_and_saveexec_b64 s[0:1], vcc
	s_cbranch_execz .LBB3389_15
; %bb.14:
	v_mov_b32_e32 v7, s14
	v_add_co_u32_e32 v8, vcc, s7, v1
	v_addc_co_u32_e32 v9, vcc, 0, v7, vcc
	flat_load_ushort v7, v[8:9] offset:2560
.LBB3389_15:
	s_or_b64 exec, exec, s[0:1]
	v_or_b32_e32 v8, 0x600, v0
	v_cmp_gt_u32_e32 vcc, s33, v8
                                        ; implicit-def: $vgpr8
	s_and_saveexec_b64 s[0:1], vcc
	s_cbranch_execz .LBB3389_17
; %bb.16:
	v_mov_b32_e32 v9, s14
	v_add_co_u32_e32 v8, vcc, s7, v1
	v_addc_co_u32_e32 v9, vcc, 0, v9, vcc
	flat_load_ushort v8, v[8:9] offset:3072
.LBB3389_17:
	s_or_b64 exec, exec, s[0:1]
	v_or_b32_e32 v9, 0x700, v0
	v_cmp_gt_u32_e32 vcc, s33, v9
                                        ; implicit-def: $vgpr9
	s_and_saveexec_b64 s[0:1], vcc
	s_cbranch_execz .LBB3389_19
; %bb.18:
	v_mov_b32_e32 v9, s14
	v_add_co_u32_e32 v10, vcc, s7, v1
	v_addc_co_u32_e32 v11, vcc, 0, v9, vcc
	flat_load_ushort v9, v[10:11] offset:3584
.LBB3389_19:
	s_or_b64 exec, exec, s[0:1]
	v_or_b32_e32 v11, 0x800, v0
	v_cmp_gt_u32_e32 vcc, s33, v11
                                        ; implicit-def: $vgpr10
	s_and_saveexec_b64 s[0:1], vcc
	s_cbranch_execz .LBB3389_21
; %bb.20:
	v_lshlrev_b32_e32 v10, 1, v11
	v_mov_b32_e32 v11, s14
	v_add_co_u32_e32 v10, vcc, s7, v10
	v_addc_co_u32_e32 v11, vcc, 0, v11, vcc
	flat_load_ushort v10, v[10:11]
.LBB3389_21:
	s_or_b64 exec, exec, s[0:1]
	v_or_b32_e32 v12, 0x900, v0
	v_cmp_gt_u32_e32 vcc, s33, v12
                                        ; implicit-def: $vgpr11
	s_and_saveexec_b64 s[0:1], vcc
	s_cbranch_execz .LBB3389_23
; %bb.22:
	v_lshlrev_b32_e32 v11, 1, v12
	v_mov_b32_e32 v13, s14
	v_add_co_u32_e32 v12, vcc, s7, v11
	v_addc_co_u32_e32 v13, vcc, 0, v13, vcc
	flat_load_ushort v11, v[12:13]
.LBB3389_23:
	s_or_b64 exec, exec, s[0:1]
	v_or_b32_e32 v13, 0xa00, v0
	v_cmp_gt_u32_e32 vcc, s33, v13
                                        ; implicit-def: $vgpr12
	s_and_saveexec_b64 s[0:1], vcc
	s_cbranch_execz .LBB3389_25
; %bb.24:
	v_lshlrev_b32_e32 v12, 1, v13
	v_mov_b32_e32 v13, s14
	v_add_co_u32_e32 v12, vcc, s7, v12
	v_addc_co_u32_e32 v13, vcc, 0, v13, vcc
	flat_load_ushort v12, v[12:13]
.LBB3389_25:
	s_or_b64 exec, exec, s[0:1]
	v_or_b32_e32 v14, 0xb00, v0
	v_cmp_gt_u32_e32 vcc, s33, v14
                                        ; implicit-def: $vgpr13
	s_and_saveexec_b64 s[0:1], vcc
	s_cbranch_execz .LBB3389_27
; %bb.26:
	v_lshlrev_b32_e32 v13, 1, v14
	v_mov_b32_e32 v15, s14
	v_add_co_u32_e32 v14, vcc, s7, v13
	v_addc_co_u32_e32 v15, vcc, 0, v15, vcc
	flat_load_ushort v13, v[14:15]
.LBB3389_27:
	s_or_b64 exec, exec, s[0:1]
	v_or_b32_e32 v15, 0xc00, v0
	v_cmp_gt_u32_e32 vcc, s33, v15
                                        ; implicit-def: $vgpr14
	s_and_saveexec_b64 s[0:1], vcc
	s_cbranch_execz .LBB3389_29
; %bb.28:
	v_lshlrev_b32_e32 v14, 1, v15
	v_mov_b32_e32 v15, s14
	v_add_co_u32_e32 v14, vcc, s7, v14
	v_addc_co_u32_e32 v15, vcc, 0, v15, vcc
	flat_load_ushort v14, v[14:15]
.LBB3389_29:
	s_or_b64 exec, exec, s[0:1]
	v_or_b32_e32 v16, 0xd00, v0
	v_cmp_gt_u32_e32 vcc, s33, v16
                                        ; implicit-def: $vgpr15
	s_and_saveexec_b64 s[0:1], vcc
	s_cbranch_execz .LBB3389_31
; %bb.30:
	v_lshlrev_b32_e32 v15, 1, v16
	v_mov_b32_e32 v17, s14
	v_add_co_u32_e32 v16, vcc, s7, v15
	v_addc_co_u32_e32 v17, vcc, 0, v17, vcc
	flat_load_ushort v15, v[16:17]
.LBB3389_31:
	s_or_b64 exec, exec, s[0:1]
	v_or_b32_e32 v17, 0xe00, v0
	v_cmp_gt_u32_e32 vcc, s33, v17
                                        ; implicit-def: $vgpr16
	s_and_saveexec_b64 s[0:1], vcc
	s_cbranch_execz .LBB3389_33
; %bb.32:
	v_lshlrev_b32_e32 v16, 1, v17
	v_mov_b32_e32 v17, s14
	v_add_co_u32_e32 v16, vcc, s7, v16
	v_addc_co_u32_e32 v17, vcc, 0, v17, vcc
	flat_load_ushort v16, v[16:17]
.LBB3389_33:
	s_or_b64 exec, exec, s[0:1]
	v_or_b32_e32 v18, 0xf00, v0
	v_cmp_gt_u32_e32 vcc, s33, v18
                                        ; implicit-def: $vgpr17
	s_and_saveexec_b64 s[0:1], vcc
	s_cbranch_execz .LBB3389_35
; %bb.34:
	v_lshlrev_b32_e32 v17, 1, v18
	v_mov_b32_e32 v19, s14
	v_add_co_u32_e32 v18, vcc, s7, v17
	v_addc_co_u32_e32 v19, vcc, 0, v19, vcc
	flat_load_ushort v17, v[18:19]
.LBB3389_35:
	s_or_b64 exec, exec, s[0:1]
	v_or_b32_e32 v19, 0x1000, v0
	v_cmp_gt_u32_e32 vcc, s33, v19
                                        ; implicit-def: $vgpr18
	s_and_saveexec_b64 s[0:1], vcc
	s_cbranch_execz .LBB3389_37
; %bb.36:
	v_lshlrev_b32_e32 v18, 1, v19
	v_mov_b32_e32 v19, s14
	v_add_co_u32_e32 v18, vcc, s7, v18
	v_addc_co_u32_e32 v19, vcc, 0, v19, vcc
	flat_load_ushort v18, v[18:19]
.LBB3389_37:
	s_or_b64 exec, exec, s[0:1]
	v_or_b32_e32 v20, 0x1100, v0
	v_cmp_gt_u32_e32 vcc, s33, v20
                                        ; implicit-def: $vgpr19
	s_and_saveexec_b64 s[0:1], vcc
	s_cbranch_execz .LBB3389_39
; %bb.38:
	v_lshlrev_b32_e32 v19, 1, v20
	v_mov_b32_e32 v21, s14
	v_add_co_u32_e32 v20, vcc, s7, v19
	v_addc_co_u32_e32 v21, vcc, 0, v21, vcc
	flat_load_ushort v19, v[20:21]
.LBB3389_39:
	s_or_b64 exec, exec, s[0:1]
	v_or_b32_e32 v21, 0x1200, v0
	v_cmp_gt_u32_e32 vcc, s33, v21
                                        ; implicit-def: $vgpr20
	s_and_saveexec_b64 s[0:1], vcc
	s_cbranch_execz .LBB3389_41
; %bb.40:
	v_lshlrev_b32_e32 v20, 1, v21
	v_mov_b32_e32 v21, s14
	v_add_co_u32_e32 v20, vcc, s7, v20
	v_addc_co_u32_e32 v21, vcc, 0, v21, vcc
	flat_load_ushort v20, v[20:21]
.LBB3389_41:
	s_or_b64 exec, exec, s[0:1]
	v_or_b32_e32 v22, 0x1300, v0
	v_cmp_gt_u32_e32 vcc, s33, v22
                                        ; implicit-def: $vgpr21
	s_and_saveexec_b64 s[0:1], vcc
	s_cbranch_execz .LBB3389_43
; %bb.42:
	v_lshlrev_b32_e32 v21, 1, v22
	v_mov_b32_e32 v23, s14
	v_add_co_u32_e32 v22, vcc, s7, v21
	v_addc_co_u32_e32 v23, vcc, 0, v23, vcc
	flat_load_ushort v21, v[22:23]
.LBB3389_43:
	s_or_b64 exec, exec, s[0:1]
	s_waitcnt vmcnt(0) lgkmcnt(0)
	ds_write_b16 v1, v2
	ds_write_b16 v1, v3 offset:512
	ds_write_b16 v1, v4 offset:1024
	;; [unrolled: 1-line block ×19, first 2 shown]
	s_waitcnt lgkmcnt(0)
	s_barrier
.LBB3389_44:
	v_mul_u32_u24_e32 v26, 20, v0
	v_lshlrev_b32_e32 v6, 1, v26
	s_waitcnt lgkmcnt(0)
	ds_read_b64 v[10:11], v6 offset:32
	ds_read2_b64 v[2:5], v6 offset0:2 offset1:3
	ds_read2_b64 v[6:9], v6 offset1:1
	s_add_u32 s0, s2, s8
	s_addc_u32 s1, s3, s9
	s_add_u32 s0, s0, s10
	s_addc_u32 s1, s1, s11
	s_mov_b64 s[2:3], -1
	s_and_b64 vcc, exec, s[26:27]
	s_waitcnt lgkmcnt(0)
	s_barrier
	s_cbranch_vccz .LBB3389_46
; %bb.45:
	v_mov_b32_e32 v12, s1
	v_add_co_u32_e32 v14, vcc, s0, v1
	s_movk_i32 s2, 0x1000
	v_addc_co_u32_e32 v15, vcc, 0, v12, vcc
	v_add_co_u32_e32 v12, vcc, s2, v14
	s_movk_i32 s3, 0x2000
	v_addc_co_u32_e32 v13, vcc, 0, v15, vcc
	global_load_ubyte v16, v1, s[0:1]
	global_load_ubyte v17, v1, s[0:1] offset:512
	global_load_ubyte v18, v1, s[0:1] offset:1024
	;; [unrolled: 1-line block ×7, first 2 shown]
	v_add_co_u32_e32 v14, vcc, s3, v14
	v_addc_co_u32_e32 v15, vcc, 0, v15, vcc
	global_load_ubyte v24, v[14:15], off offset:-4096
	global_load_ubyte v25, v[12:13], off offset:512
	global_load_ubyte v27, v[12:13], off offset:1024
	;; [unrolled: 1-line block ×7, first 2 shown]
	global_load_ubyte v33, v[14:15], off
	global_load_ubyte v34, v[14:15], off offset:512
	global_load_ubyte v35, v[14:15], off offset:1024
	;; [unrolled: 1-line block ×3, first 2 shown]
	s_mov_b64 s[2:3], 0
	s_waitcnt vmcnt(19)
	v_xor_b32_e32 v12, -1, v16
	s_waitcnt vmcnt(18)
	v_xor_b32_e32 v13, -1, v17
	;; [unrolled: 2-line block ×8, first 2 shown]
	v_and_b32_e32 v12, 1, v12
	v_and_b32_e32 v13, 1, v13
	;; [unrolled: 1-line block ×8, first 2 shown]
	ds_write_b8 v0, v12
	ds_write_b8 v0, v13 offset:256
	ds_write_b8 v0, v14 offset:512
	;; [unrolled: 1-line block ×7, first 2 shown]
	s_waitcnt vmcnt(11)
	v_xor_b32_e32 v12, -1, v24
	s_waitcnt vmcnt(10)
	v_xor_b32_e32 v13, -1, v25
	;; [unrolled: 2-line block ×12, first 2 shown]
	v_and_b32_e32 v12, 1, v12
	v_and_b32_e32 v13, 1, v13
	;; [unrolled: 1-line block ×12, first 2 shown]
	ds_write_b8 v0, v12 offset:2048
	ds_write_b8 v0, v13 offset:2304
	;; [unrolled: 1-line block ×12, first 2 shown]
	s_waitcnt lgkmcnt(0)
	s_barrier
.LBB3389_46:
	s_load_dwordx2 s[28:29], s[4:5], 0x78
	s_andn2_b64 vcc, exec, s[2:3]
	s_cbranch_vccnz .LBB3389_88
; %bb.47:
	v_cmp_gt_u32_e32 vcc, s33, v0
	v_mov_b32_e32 v12, 0
	v_mov_b32_e32 v13, 0
	s_and_saveexec_b64 s[2:3], vcc
	s_cbranch_execz .LBB3389_49
; %bb.48:
	global_load_ubyte v13, v1, s[0:1]
	s_waitcnt vmcnt(0)
	v_xor_b32_e32 v13, -1, v13
	v_and_b32_e32 v13, 1, v13
.LBB3389_49:
	s_or_b64 exec, exec, s[2:3]
	v_or_b32_e32 v14, 0x100, v0
	v_cmp_gt_u32_e32 vcc, s33, v14
	s_and_saveexec_b64 s[2:3], vcc
	s_cbranch_execz .LBB3389_51
; %bb.50:
	global_load_ubyte v12, v1, s[0:1] offset:512
	s_waitcnt vmcnt(0)
	v_xor_b32_e32 v12, -1, v12
	v_and_b32_e32 v12, 1, v12
.LBB3389_51:
	s_or_b64 exec, exec, s[2:3]
	v_or_b32_e32 v14, 0x200, v0
	v_cmp_gt_u32_e32 vcc, s33, v14
	v_mov_b32_e32 v14, 0
	v_mov_b32_e32 v15, 0
	s_and_saveexec_b64 s[2:3], vcc
	s_cbranch_execz .LBB3389_53
; %bb.52:
	global_load_ubyte v15, v1, s[0:1] offset:1024
	s_waitcnt vmcnt(0)
	v_xor_b32_e32 v15, -1, v15
	v_and_b32_e32 v15, 1, v15
.LBB3389_53:
	s_or_b64 exec, exec, s[2:3]
	v_or_b32_e32 v16, 0x300, v0
	v_cmp_gt_u32_e32 vcc, s33, v16
	s_and_saveexec_b64 s[2:3], vcc
	s_cbranch_execz .LBB3389_55
; %bb.54:
	global_load_ubyte v14, v1, s[0:1] offset:1536
	s_waitcnt vmcnt(0)
	v_xor_b32_e32 v14, -1, v14
	v_and_b32_e32 v14, 1, v14
.LBB3389_55:
	s_or_b64 exec, exec, s[2:3]
	v_or_b32_e32 v16, 0x400, v0
	v_cmp_gt_u32_e32 vcc, s33, v16
	v_mov_b32_e32 v16, 0
	v_mov_b32_e32 v17, 0
	s_and_saveexec_b64 s[2:3], vcc
	s_cbranch_execz .LBB3389_57
; %bb.56:
	global_load_ubyte v17, v1, s[0:1] offset:2048
	s_waitcnt vmcnt(0)
	v_xor_b32_e32 v17, -1, v17
	v_and_b32_e32 v17, 1, v17
.LBB3389_57:
	;; [unrolled: 24-line block ×3, first 2 shown]
	s_or_b64 exec, exec, s[2:3]
	v_or_b32_e32 v20, 0x700, v0
	v_cmp_gt_u32_e32 vcc, s33, v20
	s_and_saveexec_b64 s[2:3], vcc
	s_cbranch_execz .LBB3389_63
; %bb.62:
	global_load_ubyte v18, v1, s[0:1] offset:3584
	s_waitcnt vmcnt(0)
	v_xor_b32_e32 v18, -1, v18
	v_and_b32_e32 v18, 1, v18
.LBB3389_63:
	s_or_b64 exec, exec, s[2:3]
	v_or_b32_e32 v22, 0x800, v0
	v_cmp_gt_u32_e32 vcc, s33, v22
	v_mov_b32_e32 v20, 0
	v_mov_b32_e32 v21, 0
	s_and_saveexec_b64 s[2:3], vcc
	s_cbranch_execz .LBB3389_65
; %bb.64:
	v_lshlrev_b32_e32 v21, 1, v22
	global_load_ubyte v21, v21, s[0:1]
	s_waitcnt vmcnt(0)
	v_xor_b32_e32 v21, -1, v21
	v_and_b32_e32 v21, 1, v21
.LBB3389_65:
	s_or_b64 exec, exec, s[2:3]
	v_or_b32_e32 v22, 0x900, v0
	v_cmp_gt_u32_e32 vcc, s33, v22
	s_and_saveexec_b64 s[2:3], vcc
	s_cbranch_execz .LBB3389_67
; %bb.66:
	v_lshlrev_b32_e32 v20, 1, v22
	global_load_ubyte v20, v20, s[0:1]
	s_waitcnt vmcnt(0)
	v_xor_b32_e32 v20, -1, v20
	v_and_b32_e32 v20, 1, v20
.LBB3389_67:
	s_or_b64 exec, exec, s[2:3]
	v_or_b32_e32 v24, 0xa00, v0
	v_cmp_gt_u32_e32 vcc, s33, v24
	v_mov_b32_e32 v22, 0
	v_mov_b32_e32 v23, 0
	s_and_saveexec_b64 s[2:3], vcc
	s_cbranch_execz .LBB3389_69
; %bb.68:
	v_lshlrev_b32_e32 v23, 1, v24
	global_load_ubyte v23, v23, s[0:1]
	s_waitcnt vmcnt(0)
	v_xor_b32_e32 v23, -1, v23
	v_and_b32_e32 v23, 1, v23
.LBB3389_69:
	s_or_b64 exec, exec, s[2:3]
	v_or_b32_e32 v24, 0xb00, v0
	v_cmp_gt_u32_e32 vcc, s33, v24
	s_and_saveexec_b64 s[2:3], vcc
	s_cbranch_execz .LBB3389_71
; %bb.70:
	v_lshlrev_b32_e32 v22, 1, v24
	global_load_ubyte v22, v22, s[0:1]
	s_waitcnt vmcnt(0)
	v_xor_b32_e32 v22, -1, v22
	v_and_b32_e32 v22, 1, v22
.LBB3389_71:
	s_or_b64 exec, exec, s[2:3]
	v_or_b32_e32 v27, 0xc00, v0
	v_cmp_gt_u32_e32 vcc, s33, v27
	v_mov_b32_e32 v24, 0
	v_mov_b32_e32 v25, 0
	s_and_saveexec_b64 s[2:3], vcc
	s_cbranch_execz .LBB3389_73
; %bb.72:
	v_lshlrev_b32_e32 v25, 1, v27
	global_load_ubyte v25, v25, s[0:1]
	s_waitcnt vmcnt(0)
	v_xor_b32_e32 v25, -1, v25
	v_and_b32_e32 v25, 1, v25
.LBB3389_73:
	s_or_b64 exec, exec, s[2:3]
	v_or_b32_e32 v27, 0xd00, v0
	v_cmp_gt_u32_e32 vcc, s33, v27
	s_and_saveexec_b64 s[2:3], vcc
	s_cbranch_execz .LBB3389_75
; %bb.74:
	v_lshlrev_b32_e32 v24, 1, v27
	global_load_ubyte v24, v24, s[0:1]
	s_waitcnt vmcnt(0)
	v_xor_b32_e32 v24, -1, v24
	v_and_b32_e32 v24, 1, v24
.LBB3389_75:
	s_or_b64 exec, exec, s[2:3]
	v_or_b32_e32 v29, 0xe00, v0
	v_cmp_gt_u32_e32 vcc, s33, v29
	v_mov_b32_e32 v27, 0
	v_mov_b32_e32 v28, 0
	s_and_saveexec_b64 s[2:3], vcc
	s_cbranch_execz .LBB3389_77
; %bb.76:
	v_lshlrev_b32_e32 v28, 1, v29
	global_load_ubyte v28, v28, s[0:1]
	s_waitcnt vmcnt(0)
	v_xor_b32_e32 v28, -1, v28
	v_and_b32_e32 v28, 1, v28
.LBB3389_77:
	s_or_b64 exec, exec, s[2:3]
	v_or_b32_e32 v29, 0xf00, v0
	v_cmp_gt_u32_e32 vcc, s33, v29
	s_and_saveexec_b64 s[2:3], vcc
	s_cbranch_execz .LBB3389_79
; %bb.78:
	v_lshlrev_b32_e32 v27, 1, v29
	global_load_ubyte v27, v27, s[0:1]
	s_waitcnt vmcnt(0)
	v_xor_b32_e32 v27, -1, v27
	v_and_b32_e32 v27, 1, v27
.LBB3389_79:
	s_or_b64 exec, exec, s[2:3]
	v_or_b32_e32 v31, 0x1000, v0
	v_cmp_gt_u32_e32 vcc, s33, v31
	v_mov_b32_e32 v29, 0
	v_mov_b32_e32 v30, 0
	s_and_saveexec_b64 s[2:3], vcc
	s_cbranch_execz .LBB3389_81
; %bb.80:
	v_lshlrev_b32_e32 v30, 1, v31
	global_load_ubyte v30, v30, s[0:1]
	s_waitcnt vmcnt(0)
	v_xor_b32_e32 v30, -1, v30
	v_and_b32_e32 v30, 1, v30
.LBB3389_81:
	s_or_b64 exec, exec, s[2:3]
	v_or_b32_e32 v31, 0x1100, v0
	v_cmp_gt_u32_e32 vcc, s33, v31
	s_and_saveexec_b64 s[2:3], vcc
	s_cbranch_execz .LBB3389_83
; %bb.82:
	v_lshlrev_b32_e32 v29, 1, v31
	global_load_ubyte v29, v29, s[0:1]
	s_waitcnt vmcnt(0)
	v_xor_b32_e32 v29, -1, v29
	v_and_b32_e32 v29, 1, v29
.LBB3389_83:
	s_or_b64 exec, exec, s[2:3]
	v_or_b32_e32 v33, 0x1200, v0
	v_cmp_gt_u32_e32 vcc, s33, v33
	v_mov_b32_e32 v31, 0
	v_mov_b32_e32 v32, 0
	s_and_saveexec_b64 s[2:3], vcc
	s_cbranch_execz .LBB3389_85
; %bb.84:
	v_lshlrev_b32_e32 v32, 1, v33
	global_load_ubyte v32, v32, s[0:1]
	s_waitcnt vmcnt(0)
	v_xor_b32_e32 v32, -1, v32
	v_and_b32_e32 v32, 1, v32
.LBB3389_85:
	s_or_b64 exec, exec, s[2:3]
	v_or_b32_e32 v33, 0x1300, v0
	v_cmp_gt_u32_e32 vcc, s33, v33
	s_and_saveexec_b64 s[2:3], vcc
	s_cbranch_execz .LBB3389_87
; %bb.86:
	v_lshlrev_b32_e32 v31, 1, v33
	global_load_ubyte v31, v31, s[0:1]
	s_waitcnt vmcnt(0)
	v_xor_b32_e32 v31, -1, v31
	v_and_b32_e32 v31, 1, v31
.LBB3389_87:
	s_or_b64 exec, exec, s[2:3]
	ds_write_b8 v0, v13
	ds_write_b8 v0, v12 offset:256
	ds_write_b8 v0, v15 offset:512
	;; [unrolled: 1-line block ×19, first 2 shown]
	s_waitcnt lgkmcnt(0)
	s_barrier
.LBB3389_88:
	s_waitcnt lgkmcnt(0)
	ds_read2_b32 v[18:19], v26 offset1:1
	ds_read2_b32 v[16:17], v26 offset0:2 offset1:3
	ds_read_b32 v28, v26 offset:16
	s_cmp_lg_u32 s6, 0
	v_lshrrev_b32_e32 v47, 6, v0
	s_waitcnt lgkmcnt(2)
	v_lshrrev_b32_e32 v33, 24, v18
	v_bfe_u32 v45, v18, 16, 8
	v_add_u32_sdwa v12, v18, v18 dst_sel:DWORD dst_unused:UNUSED_PAD src0_sel:BYTE_1 src1_sel:BYTE_0
	v_and_b32_e32 v42, 0xff, v19
	v_bfe_u32 v43, v19, 8, 8
	v_add3_u32 v12, v12, v45, v33
	v_lshrrev_b32_e32 v32, 24, v19
	v_bfe_u32 v44, v19, 16, 8
	v_add3_u32 v12, v12, v42, v43
	s_waitcnt lgkmcnt(1)
	v_and_b32_e32 v39, 0xff, v16
	v_bfe_u32 v40, v16, 8, 8
	v_add3_u32 v12, v12, v44, v32
	v_lshrrev_b32_e32 v31, 24, v16
	v_bfe_u32 v41, v16, 16, 8
	v_add3_u32 v12, v12, v39, v40
	v_and_b32_e32 v36, 0xff, v17
	v_bfe_u32 v37, v17, 8, 8
	v_add3_u32 v12, v12, v41, v31
	v_lshrrev_b32_e32 v30, 24, v17
	v_bfe_u32 v38, v17, 16, 8
	v_add3_u32 v12, v12, v36, v37
	s_waitcnt lgkmcnt(0)
	v_and_b32_e32 v34, 0xff, v28
	v_bfe_u32 v35, v28, 8, 8
	v_add3_u32 v12, v12, v38, v30
	v_lshrrev_b32_e32 v27, 24, v28
	v_bfe_u32 v29, v28, 16, 8
	v_add3_u32 v12, v12, v34, v35
	v_add3_u32 v48, v12, v29, v27
	v_mbcnt_lo_u32_b32 v12, -1, 0
	v_mbcnt_hi_u32_b32 v46, -1, v12
	v_and_b32_e32 v12, 15, v46
	v_cmp_eq_u32_e64 s[14:15], 0, v12
	v_cmp_lt_u32_e64 s[12:13], 1, v12
	v_cmp_lt_u32_e64 s[10:11], 3, v12
	v_cmp_lt_u32_e64 s[8:9], 7, v12
	v_and_b32_e32 v12, 16, v46
	v_cmp_eq_u32_e64 s[18:19], 0, v12
	v_or_b32_e32 v12, 63, v0
	v_cmp_lt_u32_e64 s[0:1], 31, v46
	v_cmp_eq_u32_e64 s[2:3], v12, v0
	s_barrier
	s_cbranch_scc0 .LBB3389_115
; %bb.89:
	v_mov_b32_dpp v12, v48 row_shr:1 row_mask:0xf bank_mask:0xf
	v_cndmask_b32_e64 v12, v12, 0, s[14:15]
	v_add_u32_e32 v12, v12, v48
	s_nop 1
	v_mov_b32_dpp v13, v12 row_shr:2 row_mask:0xf bank_mask:0xf
	v_cndmask_b32_e64 v13, 0, v13, s[12:13]
	v_add_u32_e32 v12, v12, v13
	s_nop 1
	;; [unrolled: 4-line block ×4, first 2 shown]
	v_mov_b32_dpp v13, v12 row_bcast:15 row_mask:0xf bank_mask:0xf
	v_cndmask_b32_e64 v13, v13, 0, s[18:19]
	v_add_u32_e32 v12, v12, v13
	s_nop 1
	v_mov_b32_dpp v13, v12 row_bcast:31 row_mask:0xf bank_mask:0xf
	v_cndmask_b32_e64 v13, 0, v13, s[0:1]
	v_add_u32_e32 v12, v12, v13
	s_and_saveexec_b64 s[16:17], s[2:3]
	s_cbranch_execz .LBB3389_91
; %bb.90:
	v_lshlrev_b32_e32 v13, 2, v47
	ds_write_b32 v13, v12
.LBB3389_91:
	s_or_b64 exec, exec, s[16:17]
	v_cmp_gt_u32_e32 vcc, 4, v0
	s_waitcnt lgkmcnt(0)
	s_barrier
	s_and_saveexec_b64 s[16:17], vcc
	s_cbranch_execz .LBB3389_93
; %bb.92:
	v_lshlrev_b32_e32 v13, 2, v0
	ds_read_b32 v14, v13
	v_and_b32_e32 v15, 3, v46
	v_cmp_ne_u32_e32 vcc, 0, v15
	s_waitcnt lgkmcnt(0)
	v_mov_b32_dpp v20, v14 row_shr:1 row_mask:0xf bank_mask:0xf
	v_cndmask_b32_e32 v20, 0, v20, vcc
	v_add_u32_e32 v14, v20, v14
	v_cmp_lt_u32_e32 vcc, 1, v15
	s_nop 0
	v_mov_b32_dpp v20, v14 row_shr:2 row_mask:0xf bank_mask:0xf
	v_cndmask_b32_e32 v15, 0, v20, vcc
	v_add_u32_e32 v14, v14, v15
	ds_write_b32 v13, v14
.LBB3389_93:
	s_or_b64 exec, exec, s[16:17]
	v_cmp_gt_u32_e32 vcc, 64, v0
	v_cmp_lt_u32_e64 s[16:17], 63, v0
	s_waitcnt lgkmcnt(0)
	s_barrier
	s_waitcnt lgkmcnt(0)
                                        ; implicit-def: $vgpr49
	s_and_saveexec_b64 s[30:31], s[16:17]
	s_cbranch_execz .LBB3389_95
; %bb.94:
	v_lshl_add_u32 v13, v47, 2, -4
	ds_read_b32 v49, v13
	s_waitcnt lgkmcnt(0)
	v_add_u32_e32 v12, v49, v12
.LBB3389_95:
	s_or_b64 exec, exec, s[30:31]
	v_add_u32_e32 v13, -1, v46
	v_and_b32_e32 v14, 64, v46
	v_cmp_lt_i32_e64 s[16:17], v13, v14
	v_cndmask_b32_e64 v13, v13, v46, s[16:17]
	v_lshlrev_b32_e32 v13, 2, v13
	ds_bpermute_b32 v50, v13, v12
	v_cmp_eq_u32_e64 s[16:17], 0, v46
	s_and_saveexec_b64 s[30:31], vcc
	s_cbranch_execz .LBB3389_114
; %bb.96:
	v_mov_b32_e32 v23, 0
	ds_read_b32 v12, v23 offset:12
	s_and_saveexec_b64 s[34:35], s[16:17]
	s_cbranch_execz .LBB3389_98
; %bb.97:
	s_add_i32 s36, s6, 64
	s_mov_b32 s37, 0
	s_lshl_b64 s[36:37], s[36:37], 3
	s_add_u32 s36, s28, s36
	v_mov_b32_e32 v13, 1
	s_addc_u32 s37, s29, s37
	s_waitcnt lgkmcnt(0)
	global_store_dwordx2 v23, v[12:13], s[36:37]
.LBB3389_98:
	s_or_b64 exec, exec, s[34:35]
	v_xad_u32 v14, v46, -1, s6
	v_add_u32_e32 v22, 64, v14
	v_lshlrev_b64 v[20:21], 3, v[22:23]
	v_mov_b32_e32 v13, s29
	v_add_co_u32_e32 v24, vcc, s28, v20
	v_addc_co_u32_e32 v25, vcc, v13, v21, vcc
	global_load_dwordx2 v[20:21], v[24:25], off glc
	s_waitcnt vmcnt(0)
	v_cmp_eq_u16_sdwa s[36:37], v21, v23 src0_sel:BYTE_0 src1_sel:DWORD
	s_and_saveexec_b64 s[34:35], s[36:37]
	s_cbranch_execz .LBB3389_102
; %bb.99:
	s_mov_b64 s[36:37], 0
	v_mov_b32_e32 v13, 0
.LBB3389_100:                           ; =>This Inner Loop Header: Depth=1
	global_load_dwordx2 v[20:21], v[24:25], off glc
	s_waitcnt vmcnt(0)
	v_cmp_ne_u16_sdwa s[38:39], v21, v13 src0_sel:BYTE_0 src1_sel:DWORD
	s_or_b64 s[36:37], s[38:39], s[36:37]
	s_andn2_b64 exec, exec, s[36:37]
	s_cbranch_execnz .LBB3389_100
; %bb.101:
	s_or_b64 exec, exec, s[36:37]
.LBB3389_102:
	s_or_b64 exec, exec, s[34:35]
	v_and_b32_e32 v52, 63, v46
	v_mov_b32_e32 v51, 2
	v_cmp_ne_u32_e32 vcc, 63, v52
	v_cmp_eq_u16_sdwa s[34:35], v21, v51 src0_sel:BYTE_0 src1_sel:DWORD
	v_lshlrev_b64 v[22:23], v46, -1
	v_addc_co_u32_e32 v24, vcc, 0, v46, vcc
	v_and_b32_e32 v13, s35, v23
	v_lshlrev_b32_e32 v53, 2, v24
	v_or_b32_e32 v13, 0x80000000, v13
	ds_bpermute_b32 v24, v53, v20
	v_and_b32_e32 v15, s34, v22
	v_ffbl_b32_e32 v13, v13
	v_add_u32_e32 v13, 32, v13
	v_ffbl_b32_e32 v15, v15
	v_min_u32_e32 v13, v15, v13
	v_cmp_lt_u32_e32 vcc, v52, v13
	s_waitcnt lgkmcnt(0)
	v_cndmask_b32_e32 v15, 0, v24, vcc
	v_cmp_gt_u32_e32 vcc, 62, v52
	v_add_u32_e32 v15, v15, v20
	v_cndmask_b32_e64 v20, 0, 1, vcc
	v_lshlrev_b32_e32 v20, 1, v20
	v_add_lshl_u32 v54, v20, v46, 2
	ds_bpermute_b32 v20, v54, v15
	v_add_u32_e32 v55, 2, v52
	v_cmp_le_u32_e32 vcc, v55, v13
	v_add_u32_e32 v57, 4, v52
	v_add_u32_e32 v59, 8, v52
	s_waitcnt lgkmcnt(0)
	v_cndmask_b32_e32 v20, 0, v20, vcc
	v_cmp_gt_u32_e32 vcc, 60, v52
	v_add_u32_e32 v15, v15, v20
	v_cndmask_b32_e64 v20, 0, 1, vcc
	v_lshlrev_b32_e32 v20, 2, v20
	v_add_lshl_u32 v56, v20, v46, 2
	ds_bpermute_b32 v20, v56, v15
	v_cmp_le_u32_e32 vcc, v57, v13
	v_add_u32_e32 v61, 16, v52
	v_add_u32_e32 v63, 32, v52
	s_waitcnt lgkmcnt(0)
	v_cndmask_b32_e32 v20, 0, v20, vcc
	v_cmp_gt_u32_e32 vcc, 56, v52
	v_add_u32_e32 v15, v15, v20
	v_cndmask_b32_e64 v20, 0, 1, vcc
	v_lshlrev_b32_e32 v20, 3, v20
	v_add_lshl_u32 v58, v20, v46, 2
	ds_bpermute_b32 v20, v58, v15
	v_cmp_le_u32_e32 vcc, v59, v13
	s_waitcnt lgkmcnt(0)
	v_cndmask_b32_e32 v20, 0, v20, vcc
	v_cmp_gt_u32_e32 vcc, 48, v52
	v_add_u32_e32 v15, v15, v20
	v_cndmask_b32_e64 v20, 0, 1, vcc
	v_lshlrev_b32_e32 v20, 4, v20
	v_add_lshl_u32 v60, v20, v46, 2
	ds_bpermute_b32 v20, v60, v15
	v_cmp_le_u32_e32 vcc, v61, v13
	;; [unrolled: 9-line block ×3, first 2 shown]
	s_waitcnt lgkmcnt(0)
	v_cndmask_b32_e32 v13, 0, v20, vcc
	v_add_u32_e32 v20, v15, v13
	v_mov_b32_e32 v15, 0
	s_branch .LBB3389_104
.LBB3389_103:                           ;   in Loop: Header=BB3389_104 Depth=1
	s_or_b64 exec, exec, s[34:35]
	v_cmp_eq_u16_sdwa s[34:35], v21, v51 src0_sel:BYTE_0 src1_sel:DWORD
	v_and_b32_e32 v24, s35, v23
	v_or_b32_e32 v24, 0x80000000, v24
	ds_bpermute_b32 v64, v53, v20
	v_and_b32_e32 v25, s34, v22
	v_ffbl_b32_e32 v24, v24
	v_add_u32_e32 v24, 32, v24
	v_ffbl_b32_e32 v25, v25
	v_min_u32_e32 v24, v25, v24
	v_cmp_lt_u32_e32 vcc, v52, v24
	s_waitcnt lgkmcnt(0)
	v_cndmask_b32_e32 v25, 0, v64, vcc
	v_add_u32_e32 v20, v25, v20
	ds_bpermute_b32 v25, v54, v20
	v_cmp_le_u32_e32 vcc, v55, v24
	v_subrev_u32_e32 v14, 64, v14
	s_waitcnt lgkmcnt(0)
	v_cndmask_b32_e32 v25, 0, v25, vcc
	v_add_u32_e32 v20, v20, v25
	ds_bpermute_b32 v25, v56, v20
	v_cmp_le_u32_e32 vcc, v57, v24
	s_waitcnt lgkmcnt(0)
	v_cndmask_b32_e32 v25, 0, v25, vcc
	v_add_u32_e32 v20, v20, v25
	ds_bpermute_b32 v25, v58, v20
	v_cmp_le_u32_e32 vcc, v59, v24
	;; [unrolled: 5-line block ×4, first 2 shown]
	s_waitcnt lgkmcnt(0)
	v_cndmask_b32_e32 v24, 0, v25, vcc
	v_add3_u32 v20, v24, v13, v20
.LBB3389_104:                           ; =>This Loop Header: Depth=1
                                        ;     Child Loop BB3389_107 Depth 2
	v_cmp_ne_u16_sdwa s[34:35], v21, v51 src0_sel:BYTE_0 src1_sel:DWORD
	v_cndmask_b32_e64 v13, 0, 1, s[34:35]
	;;#ASMSTART
	;;#ASMEND
	v_cmp_ne_u32_e32 vcc, 0, v13
	s_cmp_lg_u64 vcc, exec
	v_mov_b32_e32 v13, v20
	s_cbranch_scc1 .LBB3389_109
; %bb.105:                              ;   in Loop: Header=BB3389_104 Depth=1
	v_lshlrev_b64 v[20:21], 3, v[14:15]
	v_mov_b32_e32 v25, s29
	v_add_co_u32_e32 v24, vcc, s28, v20
	v_addc_co_u32_e32 v25, vcc, v25, v21, vcc
	global_load_dwordx2 v[20:21], v[24:25], off glc
	s_waitcnt vmcnt(0)
	v_cmp_eq_u16_sdwa s[36:37], v21, v15 src0_sel:BYTE_0 src1_sel:DWORD
	s_and_saveexec_b64 s[34:35], s[36:37]
	s_cbranch_execz .LBB3389_103
; %bb.106:                              ;   in Loop: Header=BB3389_104 Depth=1
	s_mov_b64 s[36:37], 0
.LBB3389_107:                           ;   Parent Loop BB3389_104 Depth=1
                                        ; =>  This Inner Loop Header: Depth=2
	global_load_dwordx2 v[20:21], v[24:25], off glc
	s_waitcnt vmcnt(0)
	v_cmp_ne_u16_sdwa s[38:39], v21, v15 src0_sel:BYTE_0 src1_sel:DWORD
	s_or_b64 s[36:37], s[38:39], s[36:37]
	s_andn2_b64 exec, exec, s[36:37]
	s_cbranch_execnz .LBB3389_107
; %bb.108:                              ;   in Loop: Header=BB3389_104 Depth=1
	s_or_b64 exec, exec, s[36:37]
	s_branch .LBB3389_103
.LBB3389_109:                           ;   in Loop: Header=BB3389_104 Depth=1
                                        ; implicit-def: $vgpr20
                                        ; implicit-def: $vgpr21
	s_cbranch_execz .LBB3389_104
; %bb.110:
	s_and_saveexec_b64 s[34:35], s[16:17]
	s_cbranch_execz .LBB3389_112
; %bb.111:
	s_add_i32 s6, s6, 64
	s_mov_b32 s7, 0
	s_lshl_b64 s[6:7], s[6:7], 3
	s_add_u32 s6, s28, s6
	v_add_u32_e32 v14, v13, v12
	v_mov_b32_e32 v15, 2
	s_addc_u32 s7, s29, s7
	v_mov_b32_e32 v20, 0
	global_store_dwordx2 v20, v[14:15], s[6:7]
	ds_write_b64 v20, v[12:13] offset:10240
.LBB3389_112:
	s_or_b64 exec, exec, s[34:35]
	v_cmp_eq_u32_e32 vcc, 0, v0
	s_and_b64 exec, exec, vcc
	s_cbranch_execz .LBB3389_114
; %bb.113:
	v_mov_b32_e32 v12, 0
	ds_write_b32 v12, v13 offset:12
.LBB3389_114:
	s_or_b64 exec, exec, s[30:31]
	v_mov_b32_e32 v12, 0
	s_waitcnt lgkmcnt(0)
	s_barrier
	ds_read_b32 v15, v12 offset:12
	s_waitcnt lgkmcnt(0)
	s_barrier
	ds_read_b64 v[12:13], v12 offset:10240
	v_cndmask_b32_e64 v14, v50, v49, s[16:17]
	v_cmp_ne_u32_e32 vcc, 0, v0
	v_cndmask_b32_e32 v14, 0, v14, vcc
	v_add_u32_e32 v22, v15, v14
	s_waitcnt lgkmcnt(0)
	v_mov_b32_e32 v14, v13
	s_load_dwordx2 s[4:5], s[4:5], 0x30
	s_branch .LBB3389_125
.LBB3389_115:
                                        ; implicit-def: $vgpr14
                                        ; implicit-def: $vgpr12
                                        ; implicit-def: $vgpr22
	s_load_dwordx2 s[4:5], s[4:5], 0x30
	s_cbranch_execz .LBB3389_125
; %bb.116:
	v_mov_b32_dpp v12, v48 row_shr:1 row_mask:0xf bank_mask:0xf
	v_cndmask_b32_e64 v12, v12, 0, s[14:15]
	v_add_u32_e32 v12, v12, v48
	s_nop 1
	v_mov_b32_dpp v13, v12 row_shr:2 row_mask:0xf bank_mask:0xf
	v_cndmask_b32_e64 v13, 0, v13, s[12:13]
	v_add_u32_e32 v12, v12, v13
	s_nop 1
	;; [unrolled: 4-line block ×4, first 2 shown]
	v_mov_b32_dpp v13, v12 row_bcast:15 row_mask:0xf bank_mask:0xf
	v_cndmask_b32_e64 v13, v13, 0, s[18:19]
	v_add_u32_e32 v12, v12, v13
	s_nop 1
	v_mov_b32_dpp v13, v12 row_bcast:31 row_mask:0xf bank_mask:0xf
	v_cndmask_b32_e64 v13, 0, v13, s[0:1]
	v_add_u32_e32 v12, v12, v13
	s_and_saveexec_b64 s[0:1], s[2:3]
	s_cbranch_execz .LBB3389_118
; %bb.117:
	v_lshlrev_b32_e32 v13, 2, v47
	ds_write_b32 v13, v12
.LBB3389_118:
	s_or_b64 exec, exec, s[0:1]
	v_cmp_gt_u32_e32 vcc, 4, v0
	s_waitcnt lgkmcnt(0)
	s_barrier
	s_and_saveexec_b64 s[0:1], vcc
	s_cbranch_execz .LBB3389_120
; %bb.119:
	v_lshlrev_b32_e32 v13, 2, v0
	ds_read_b32 v14, v13
	v_and_b32_e32 v15, 3, v46
	v_cmp_ne_u32_e32 vcc, 0, v15
	s_waitcnt lgkmcnt(0)
	v_mov_b32_dpp v20, v14 row_shr:1 row_mask:0xf bank_mask:0xf
	v_cndmask_b32_e32 v20, 0, v20, vcc
	v_add_u32_e32 v14, v20, v14
	v_cmp_lt_u32_e32 vcc, 1, v15
	s_nop 0
	v_mov_b32_dpp v20, v14 row_shr:2 row_mask:0xf bank_mask:0xf
	v_cndmask_b32_e32 v15, 0, v20, vcc
	v_add_u32_e32 v14, v14, v15
	ds_write_b32 v13, v14
.LBB3389_120:
	s_or_b64 exec, exec, s[0:1]
	v_cmp_lt_u32_e32 vcc, 63, v0
	v_mov_b32_e32 v13, 0
	v_mov_b32_e32 v14, 0
	s_waitcnt lgkmcnt(0)
	s_barrier
	s_and_saveexec_b64 s[0:1], vcc
	s_cbranch_execz .LBB3389_122
; %bb.121:
	v_lshl_add_u32 v14, v47, 2, -4
	ds_read_b32 v14, v14
.LBB3389_122:
	s_or_b64 exec, exec, s[0:1]
	v_add_u32_e32 v15, -1, v46
	v_and_b32_e32 v20, 64, v46
	v_cmp_lt_i32_e32 vcc, v15, v20
	v_cndmask_b32_e32 v15, v15, v46, vcc
	s_waitcnt lgkmcnt(0)
	v_add_u32_e32 v12, v14, v12
	v_lshlrev_b32_e32 v15, 2, v15
	ds_bpermute_b32 v15, v15, v12
	ds_read_b32 v12, v13 offset:12
	v_cmp_eq_u32_e32 vcc, 0, v0
	s_and_saveexec_b64 s[0:1], vcc
	s_cbranch_execz .LBB3389_124
; %bb.123:
	v_mov_b32_e32 v20, 0
	v_mov_b32_e32 v13, 2
	s_waitcnt lgkmcnt(0)
	global_store_dwordx2 v20, v[12:13], s[28:29] offset:512
.LBB3389_124:
	s_or_b64 exec, exec, s[0:1]
	v_cmp_eq_u32_e64 s[0:1], 0, v46
	s_waitcnt lgkmcnt(1)
	v_cndmask_b32_e64 v13, v15, v14, s[0:1]
	v_mov_b32_e32 v14, 0
	v_cndmask_b32_e64 v22, v13, 0, vcc
	s_waitcnt lgkmcnt(0)
	s_barrier
.LBB3389_125:
	v_add_u32_sdwa v24, v22, v18 dst_sel:DWORD dst_unused:UNUSED_PAD src0_sel:DWORD src1_sel:BYTE_0
	v_add_u32_e32 v26, v12, v26
	v_sub_u32_e32 v22, v22, v14
	v_and_b32_e32 v51, 1, v18
	v_sub_u32_e32 v50, v26, v22
	v_cmp_eq_u32_e32 vcc, 1, v51
	v_cndmask_b32_e32 v22, v50, v22, vcc
	v_lshlrev_b32_e32 v22, 1, v22
	v_lshrrev_b32_e32 v23, 8, v18
	ds_write_b16 v22, v6
	v_sub_u32_e32 v22, v24, v14
	v_add_u32_sdwa v25, v24, v18 dst_sel:DWORD dst_unused:UNUSED_PAD src0_sel:DWORD src1_sel:BYTE_1
	v_sub_u32_e32 v24, v26, v22
	v_and_b32_e32 v23, 1, v23
	v_add_u32_e32 v24, 1, v24
	v_cmp_eq_u32_e32 vcc, 1, v23
	v_cndmask_b32_e32 v22, v24, v22, vcc
	v_lshlrev_b32_e32 v22, 1, v22
	ds_write_b16_d16_hi v22, v6
	v_sub_u32_e32 v6, v25, v14
	v_mov_b32_e32 v23, 1
	v_sub_u32_e32 v22, v26, v6
	v_and_b32_sdwa v18, v23, v18 dst_sel:DWORD dst_unused:UNUSED_PAD src0_sel:DWORD src1_sel:WORD_1
	v_add_u32_e32 v22, 2, v22
	v_cmp_eq_u32_e32 vcc, 1, v18
	v_cndmask_b32_e32 v6, v22, v6, vcc
	v_add_u32_e32 v45, v25, v45
	v_lshlrev_b32_e32 v6, 1, v6
	ds_write_b16 v6, v7
	v_sub_u32_e32 v6, v45, v14
	v_sub_u32_e32 v18, v26, v6
	v_and_b32_e32 v22, 1, v33
	v_add_u32_e32 v18, 3, v18
	v_cmp_eq_u32_e32 vcc, 1, v22
	v_cndmask_b32_e32 v6, v18, v6, vcc
	v_add_u32_e32 v46, v45, v33
	v_lshlrev_b32_e32 v6, 1, v6
	ds_write_b16_d16_hi v6, v7
	v_sub_u32_e32 v6, v46, v14
	v_sub_u32_e32 v7, v26, v6
	v_and_b32_e32 v18, 1, v19
	v_add_u32_e32 v7, 4, v7
	v_cmp_eq_u32_e32 vcc, 1, v18
	v_cndmask_b32_e32 v6, v7, v6, vcc
	v_add_u32_e32 v42, v46, v42
	v_lshlrev_b32_e32 v6, 1, v6
	v_lshrrev_b32_e32 v21, 8, v19
	ds_write_b16 v6, v8
	v_sub_u32_e32 v6, v42, v14
	v_sub_u32_e32 v7, v26, v6
	v_and_b32_e32 v18, 1, v21
	v_add_u32_e32 v7, 5, v7
	v_cmp_eq_u32_e32 vcc, 1, v18
	v_cndmask_b32_e32 v6, v7, v6, vcc
	v_add_u32_e32 v43, v42, v43
	v_lshlrev_b32_e32 v6, 1, v6
	ds_write_b16_d16_hi v6, v8
	v_sub_u32_e32 v6, v43, v14
	v_sub_u32_e32 v7, v26, v6
	v_and_b32_sdwa v8, v23, v19 dst_sel:DWORD dst_unused:UNUSED_PAD src0_sel:DWORD src1_sel:WORD_1
	v_add_u32_e32 v7, 6, v7
	v_cmp_eq_u32_e32 vcc, 1, v8
	v_cndmask_b32_e32 v6, v7, v6, vcc
	v_add_u32_e32 v44, v43, v44
	v_lshlrev_b32_e32 v6, 1, v6
	ds_write_b16 v6, v9
	v_sub_u32_e32 v6, v44, v14
	v_sub_u32_e32 v7, v26, v6
	v_and_b32_e32 v8, 1, v32
	v_add_u32_e32 v7, 7, v7
	v_cmp_eq_u32_e32 vcc, 1, v8
	v_cndmask_b32_e32 v6, v7, v6, vcc
	v_add_u32_e32 v47, v44, v32
	v_lshlrev_b32_e32 v6, 1, v6
	ds_write_b16_d16_hi v6, v9
	v_sub_u32_e32 v6, v47, v14
	v_sub_u32_e32 v7, v26, v6
	v_and_b32_e32 v8, 1, v16
	v_add_u32_e32 v7, 8, v7
	v_cmp_eq_u32_e32 vcc, 1, v8
	v_cndmask_b32_e32 v6, v7, v6, vcc
	v_add_u32_e32 v39, v47, v39
	v_lshlrev_b32_e32 v6, 1, v6
	v_lshrrev_b32_e32 v20, 8, v16
	ds_write_b16 v6, v2
	v_sub_u32_e32 v6, v39, v14
	v_sub_u32_e32 v7, v26, v6
	v_and_b32_e32 v8, 1, v20
	v_add_u32_e32 v7, 9, v7
	v_cmp_eq_u32_e32 vcc, 1, v8
	v_cndmask_b32_e32 v6, v7, v6, vcc
	v_add_u32_e32 v40, v39, v40
	v_lshlrev_b32_e32 v6, 1, v6
	ds_write_b16_d16_hi v6, v2
	v_sub_u32_e32 v2, v40, v14
	;; [unrolled: 37-line block ×4, first 2 shown]
	v_sub_u32_e32 v3, v26, v2
	v_and_b32_sdwa v4, v23, v28 dst_sel:DWORD dst_unused:UNUSED_PAD src0_sel:DWORD src1_sel:WORD_1
	v_add_u32_e32 v3, 18, v3
	v_cmp_eq_u32_e32 vcc, 1, v4
	v_cndmask_b32_e32 v2, v3, v2, vcc
	v_lshlrev_b32_e32 v2, 1, v2
	ds_write_b16 v2, v11
	v_sub_u32_e32 v2, v29, v14
	v_add_u32_e32 v2, v35, v2
	v_sub_u32_e32 v3, v26, v2
	v_and_b32_e32 v4, 1, v27
	v_add_u32_e32 v3, 19, v3
	v_cmp_eq_u32_e32 vcc, 1, v4
	v_cndmask_b32_e32 v2, v3, v2, vcc
	v_lshlrev_b32_e32 v2, 1, v2
	ds_write_b16_d16_hi v2, v11
	s_waitcnt lgkmcnt(0)
	s_barrier
	ds_read_u16 v45, v1
	ds_read_u16 v44, v1 offset:512
	ds_read_u16 v42, v1 offset:1024
	;; [unrolled: 1-line block ×19, first 2 shown]
	v_or_b32_e32 v43, 0x100, v0
	v_or_b32_e32 v41, 0x200, v0
	;; [unrolled: 1-line block ×18, first 2 shown]
	s_andn2_b64 vcc, exec, s[26:27]
	v_or_b32_e32 v5, 0x1300, v0
	s_cbranch_vccnz .LBB3389_147
; %bb.126:
	s_lshl_b64 s[0:1], s[22:23], 1
	v_mov_b32_e32 v15, 0
	s_add_u32 s0, s4, s0
	s_addc_u32 s1, s5, s1
	v_lshlrev_b64 v[2:3], 1, v[14:15]
	v_mov_b32_e32 v15, s1
	v_add_co_u32_e32 v2, vcc, s0, v2
	v_addc_co_u32_e32 v3, vcc, v15, v3, vcc
	v_cmp_lt_u32_e32 vcc, v0, v12
	s_and_saveexec_b64 s[0:1], vcc
	s_cbranch_execnz .LBB3389_174
; %bb.127:
	s_or_b64 exec, exec, s[0:1]
	v_cmp_lt_u32_e32 vcc, v43, v12
	s_and_saveexec_b64 s[0:1], vcc
	s_cbranch_execnz .LBB3389_175
.LBB3389_128:
	s_or_b64 exec, exec, s[0:1]
	v_cmp_lt_u32_e32 vcc, v41, v12
	s_and_saveexec_b64 s[0:1], vcc
	s_cbranch_execnz .LBB3389_176
.LBB3389_129:
	s_or_b64 exec, exec, s[0:1]
	v_cmp_lt_u32_e32 vcc, v39, v12
	s_and_saveexec_b64 s[0:1], vcc
	s_cbranch_execnz .LBB3389_177
.LBB3389_130:
	s_or_b64 exec, exec, s[0:1]
	v_cmp_lt_u32_e32 vcc, v37, v12
	s_and_saveexec_b64 s[0:1], vcc
	s_cbranch_execnz .LBB3389_178
.LBB3389_131:
	s_or_b64 exec, exec, s[0:1]
	v_cmp_lt_u32_e32 vcc, v36, v12
	s_and_saveexec_b64 s[0:1], vcc
	s_cbranch_execnz .LBB3389_179
.LBB3389_132:
	s_or_b64 exec, exec, s[0:1]
	v_cmp_lt_u32_e32 vcc, v34, v12
	s_and_saveexec_b64 s[0:1], vcc
	s_cbranch_execnz .LBB3389_180
.LBB3389_133:
	s_or_b64 exec, exec, s[0:1]
	v_cmp_lt_u32_e32 vcc, v32, v12
	s_and_saveexec_b64 s[0:1], vcc
	s_cbranch_execnz .LBB3389_181
.LBB3389_134:
	s_or_b64 exec, exec, s[0:1]
	v_cmp_lt_u32_e32 vcc, v29, v12
	s_and_saveexec_b64 s[0:1], vcc
	s_cbranch_execnz .LBB3389_182
.LBB3389_135:
	s_or_b64 exec, exec, s[0:1]
	v_cmp_lt_u32_e32 vcc, v27, v12
	s_and_saveexec_b64 s[0:1], vcc
	s_cbranch_execnz .LBB3389_183
.LBB3389_136:
	s_or_b64 exec, exec, s[0:1]
	v_cmp_lt_u32_e32 vcc, v25, v12
	s_and_saveexec_b64 s[0:1], vcc
	s_cbranch_execnz .LBB3389_184
.LBB3389_137:
	s_or_b64 exec, exec, s[0:1]
	v_cmp_lt_u32_e32 vcc, v23, v12
	s_and_saveexec_b64 s[0:1], vcc
	s_cbranch_execnz .LBB3389_185
.LBB3389_138:
	s_or_b64 exec, exec, s[0:1]
	v_cmp_lt_u32_e32 vcc, v21, v12
	s_and_saveexec_b64 s[0:1], vcc
	s_cbranch_execnz .LBB3389_186
.LBB3389_139:
	s_or_b64 exec, exec, s[0:1]
	v_cmp_lt_u32_e32 vcc, v19, v12
	s_and_saveexec_b64 s[0:1], vcc
	s_cbranch_execnz .LBB3389_187
.LBB3389_140:
	s_or_b64 exec, exec, s[0:1]
	v_cmp_lt_u32_e32 vcc, v17, v12
	s_and_saveexec_b64 s[0:1], vcc
	s_cbranch_execnz .LBB3389_188
.LBB3389_141:
	s_or_b64 exec, exec, s[0:1]
	v_cmp_lt_u32_e32 vcc, v13, v12
	s_and_saveexec_b64 s[0:1], vcc
	s_cbranch_execnz .LBB3389_189
.LBB3389_142:
	s_or_b64 exec, exec, s[0:1]
	v_cmp_lt_u32_e32 vcc, v11, v12
	s_and_saveexec_b64 s[0:1], vcc
	s_cbranch_execnz .LBB3389_190
.LBB3389_143:
	s_or_b64 exec, exec, s[0:1]
	v_cmp_lt_u32_e32 vcc, v9, v12
	s_and_saveexec_b64 s[0:1], vcc
	s_cbranch_execnz .LBB3389_191
.LBB3389_144:
	s_or_b64 exec, exec, s[0:1]
	v_cmp_lt_u32_e32 vcc, v7, v12
	s_and_saveexec_b64 s[0:1], vcc
	s_cbranch_execz .LBB3389_146
.LBB3389_145:
	v_lshlrev_b32_e32 v15, 1, v7
	v_readfirstlane_b32 s2, v2
	v_readfirstlane_b32 s3, v3
	s_waitcnt lgkmcnt(1)
	s_nop 3
	global_store_short v15, v6, s[2:3]
.LBB3389_146:
	s_or_b64 exec, exec, s[0:1]
	v_cmp_lt_u32_e64 s[0:1], v5, v12
	s_branch .LBB3389_169
.LBB3389_147:
	s_mov_b64 s[0:1], 0
                                        ; implicit-def: $vgpr2_vgpr3
	s_cbranch_execz .LBB3389_169
; %bb.148:
	s_lshl_b64 s[0:1], s[22:23], 1
	v_mov_b32_e32 v15, 0
	s_add_u32 s0, s4, s0
	s_addc_u32 s1, s5, s1
	v_lshlrev_b64 v[2:3], 1, v[14:15]
	v_mov_b32_e32 v15, s1
	v_add_co_u32_e32 v2, vcc, s0, v2
	v_min_u32_e32 v46, s33, v12
	v_addc_co_u32_e32 v3, vcc, v15, v3, vcc
	v_cmp_gt_u32_e32 vcc, v46, v0
	s_and_saveexec_b64 s[0:1], vcc
	s_cbranch_execnz .LBB3389_192
; %bb.149:
	s_or_b64 exec, exec, s[0:1]
	v_cmp_lt_u32_e32 vcc, v43, v46
	s_and_saveexec_b64 s[0:1], vcc
	s_cbranch_execnz .LBB3389_193
.LBB3389_150:
	s_or_b64 exec, exec, s[0:1]
	v_cmp_lt_u32_e32 vcc, v41, v46
	s_and_saveexec_b64 s[0:1], vcc
	s_cbranch_execnz .LBB3389_194
.LBB3389_151:
	s_or_b64 exec, exec, s[0:1]
	v_cmp_lt_u32_e32 vcc, v39, v46
	s_and_saveexec_b64 s[0:1], vcc
	s_cbranch_execnz .LBB3389_195
.LBB3389_152:
	s_or_b64 exec, exec, s[0:1]
	v_cmp_lt_u32_e32 vcc, v37, v46
	s_and_saveexec_b64 s[0:1], vcc
	s_cbranch_execnz .LBB3389_196
.LBB3389_153:
	s_or_b64 exec, exec, s[0:1]
	v_cmp_lt_u32_e32 vcc, v36, v46
	s_and_saveexec_b64 s[0:1], vcc
	s_cbranch_execnz .LBB3389_197
.LBB3389_154:
	s_or_b64 exec, exec, s[0:1]
	v_cmp_lt_u32_e32 vcc, v34, v46
	s_and_saveexec_b64 s[0:1], vcc
	s_cbranch_execnz .LBB3389_198
.LBB3389_155:
	s_or_b64 exec, exec, s[0:1]
	v_cmp_lt_u32_e32 vcc, v32, v46
	s_and_saveexec_b64 s[0:1], vcc
	s_cbranch_execnz .LBB3389_199
.LBB3389_156:
	s_or_b64 exec, exec, s[0:1]
	v_cmp_lt_u32_e32 vcc, v29, v46
	s_and_saveexec_b64 s[0:1], vcc
	s_cbranch_execnz .LBB3389_200
.LBB3389_157:
	s_or_b64 exec, exec, s[0:1]
	v_cmp_lt_u32_e32 vcc, v27, v46
	s_and_saveexec_b64 s[0:1], vcc
	s_cbranch_execnz .LBB3389_201
.LBB3389_158:
	s_or_b64 exec, exec, s[0:1]
	v_cmp_lt_u32_e32 vcc, v25, v46
	s_and_saveexec_b64 s[0:1], vcc
	s_cbranch_execnz .LBB3389_202
.LBB3389_159:
	s_or_b64 exec, exec, s[0:1]
	v_cmp_lt_u32_e32 vcc, v23, v46
	s_and_saveexec_b64 s[0:1], vcc
	s_cbranch_execnz .LBB3389_203
.LBB3389_160:
	s_or_b64 exec, exec, s[0:1]
	v_cmp_lt_u32_e32 vcc, v21, v46
	s_and_saveexec_b64 s[0:1], vcc
	s_cbranch_execnz .LBB3389_204
.LBB3389_161:
	s_or_b64 exec, exec, s[0:1]
	v_cmp_lt_u32_e32 vcc, v19, v46
	s_and_saveexec_b64 s[0:1], vcc
	s_cbranch_execnz .LBB3389_205
.LBB3389_162:
	s_or_b64 exec, exec, s[0:1]
	v_cmp_lt_u32_e32 vcc, v17, v46
	s_and_saveexec_b64 s[0:1], vcc
	s_cbranch_execnz .LBB3389_206
.LBB3389_163:
	s_or_b64 exec, exec, s[0:1]
	v_cmp_lt_u32_e32 vcc, v13, v46
	s_and_saveexec_b64 s[0:1], vcc
	s_cbranch_execnz .LBB3389_207
.LBB3389_164:
	s_or_b64 exec, exec, s[0:1]
	v_cmp_lt_u32_e32 vcc, v11, v46
	s_and_saveexec_b64 s[0:1], vcc
	s_cbranch_execnz .LBB3389_208
.LBB3389_165:
	s_or_b64 exec, exec, s[0:1]
	v_cmp_lt_u32_e32 vcc, v9, v46
	s_and_saveexec_b64 s[0:1], vcc
	s_cbranch_execnz .LBB3389_209
.LBB3389_166:
	s_or_b64 exec, exec, s[0:1]
	v_cmp_lt_u32_e32 vcc, v7, v46
	s_and_saveexec_b64 s[0:1], vcc
	s_cbranch_execz .LBB3389_168
.LBB3389_167:
	v_lshlrev_b32_e32 v1, 1, v7
	v_readfirstlane_b32 s2, v2
	v_readfirstlane_b32 s3, v3
	s_waitcnt lgkmcnt(1)
	s_nop 3
	global_store_short v1, v6, s[2:3]
.LBB3389_168:
	s_or_b64 exec, exec, s[0:1]
	v_cmp_lt_u32_e64 s[0:1], v5, v46
.LBB3389_169:
	s_and_saveexec_b64 s[2:3], s[0:1]
	s_cbranch_execz .LBB3389_171
; %bb.170:
	v_lshlrev_b32_e32 v1, 1, v5
	v_readfirstlane_b32 s0, v2
	v_readfirstlane_b32 s1, v3
	s_waitcnt lgkmcnt(0)
	s_nop 3
	global_store_short v1, v4, s[0:1]
.LBB3389_171:
	s_or_b64 exec, exec, s[2:3]
	v_cmp_eq_u32_e32 vcc, 0, v0
	s_and_b64 s[0:1], vcc, s[24:25]
	s_and_saveexec_b64 s[2:3], s[0:1]
	s_cbranch_execz .LBB3389_173
; %bb.172:
	v_mov_b32_e32 v0, s23
	v_add_co_u32_e32 v1, vcc, s22, v12
	v_addc_co_u32_e32 v3, vcc, 0, v0, vcc
	v_add_co_u32_e32 v0, vcc, v1, v14
	v_mov_b32_e32 v2, 0
	v_addc_co_u32_e32 v1, vcc, 0, v3, vcc
	global_store_dwordx2 v2, v[0:1], s[20:21]
.LBB3389_173:
	s_endpgm
.LBB3389_174:
	v_readfirstlane_b32 s2, v2
	v_readfirstlane_b32 s3, v3
	s_waitcnt lgkmcnt(14)
	s_nop 3
	global_store_short v1, v45, s[2:3]
	s_or_b64 exec, exec, s[0:1]
	v_cmp_lt_u32_e32 vcc, v43, v12
	s_and_saveexec_b64 s[0:1], vcc
	s_cbranch_execz .LBB3389_128
.LBB3389_175:
	v_readfirstlane_b32 s2, v2
	v_readfirstlane_b32 s3, v3
	s_waitcnt lgkmcnt(14)
	s_nop 3
	global_store_short v1, v44, s[2:3] offset:512
	s_or_b64 exec, exec, s[0:1]
	v_cmp_lt_u32_e32 vcc, v41, v12
	s_and_saveexec_b64 s[0:1], vcc
	s_cbranch_execz .LBB3389_129
.LBB3389_176:
	v_readfirstlane_b32 s2, v2
	v_readfirstlane_b32 s3, v3
	s_waitcnt lgkmcnt(14)
	s_nop 3
	global_store_short v1, v42, s[2:3] offset:1024
	s_or_b64 exec, exec, s[0:1]
	v_cmp_lt_u32_e32 vcc, v39, v12
	s_and_saveexec_b64 s[0:1], vcc
	s_cbranch_execz .LBB3389_130
.LBB3389_177:
	v_readfirstlane_b32 s2, v2
	v_readfirstlane_b32 s3, v3
	s_waitcnt lgkmcnt(14)
	s_nop 3
	global_store_short v1, v40, s[2:3] offset:1536
	s_or_b64 exec, exec, s[0:1]
	v_cmp_lt_u32_e32 vcc, v37, v12
	s_and_saveexec_b64 s[0:1], vcc
	s_cbranch_execz .LBB3389_131
.LBB3389_178:
	v_readfirstlane_b32 s2, v2
	v_readfirstlane_b32 s3, v3
	s_waitcnt lgkmcnt(14)
	s_nop 3
	global_store_short v1, v38, s[2:3] offset:2048
	s_or_b64 exec, exec, s[0:1]
	v_cmp_lt_u32_e32 vcc, v36, v12
	s_and_saveexec_b64 s[0:1], vcc
	s_cbranch_execz .LBB3389_132
.LBB3389_179:
	v_readfirstlane_b32 s2, v2
	v_readfirstlane_b32 s3, v3
	s_waitcnt lgkmcnt(14)
	s_nop 3
	global_store_short v1, v35, s[2:3] offset:2560
	s_or_b64 exec, exec, s[0:1]
	v_cmp_lt_u32_e32 vcc, v34, v12
	s_and_saveexec_b64 s[0:1], vcc
	s_cbranch_execz .LBB3389_133
.LBB3389_180:
	v_readfirstlane_b32 s2, v2
	v_readfirstlane_b32 s3, v3
	s_waitcnt lgkmcnt(13)
	s_nop 3
	global_store_short v1, v33, s[2:3] offset:3072
	s_or_b64 exec, exec, s[0:1]
	v_cmp_lt_u32_e32 vcc, v32, v12
	s_and_saveexec_b64 s[0:1], vcc
	s_cbranch_execz .LBB3389_134
.LBB3389_181:
	v_readfirstlane_b32 s2, v2
	v_readfirstlane_b32 s3, v3
	s_waitcnt lgkmcnt(12)
	s_nop 3
	global_store_short v1, v30, s[2:3] offset:3584
	s_or_b64 exec, exec, s[0:1]
	v_cmp_lt_u32_e32 vcc, v29, v12
	s_and_saveexec_b64 s[0:1], vcc
	s_cbranch_execz .LBB3389_135
.LBB3389_182:
	v_lshlrev_b32_e32 v15, 1, v29
	v_readfirstlane_b32 s2, v2
	v_readfirstlane_b32 s3, v3
	s_waitcnt lgkmcnt(11)
	s_nop 3
	global_store_short v15, v31, s[2:3]
	s_or_b64 exec, exec, s[0:1]
	v_cmp_lt_u32_e32 vcc, v27, v12
	s_and_saveexec_b64 s[0:1], vcc
	s_cbranch_execz .LBB3389_136
.LBB3389_183:
	v_lshlrev_b32_e32 v15, 1, v27
	v_readfirstlane_b32 s2, v2
	v_readfirstlane_b32 s3, v3
	s_waitcnt lgkmcnt(10)
	s_nop 3
	global_store_short v15, v28, s[2:3]
	s_or_b64 exec, exec, s[0:1]
	v_cmp_lt_u32_e32 vcc, v25, v12
	s_and_saveexec_b64 s[0:1], vcc
	s_cbranch_execz .LBB3389_137
.LBB3389_184:
	v_lshlrev_b32_e32 v15, 1, v25
	v_readfirstlane_b32 s2, v2
	v_readfirstlane_b32 s3, v3
	s_waitcnt lgkmcnt(9)
	s_nop 3
	global_store_short v15, v26, s[2:3]
	s_or_b64 exec, exec, s[0:1]
	v_cmp_lt_u32_e32 vcc, v23, v12
	s_and_saveexec_b64 s[0:1], vcc
	s_cbranch_execz .LBB3389_138
.LBB3389_185:
	v_lshlrev_b32_e32 v15, 1, v23
	v_readfirstlane_b32 s2, v2
	v_readfirstlane_b32 s3, v3
	s_waitcnt lgkmcnt(8)
	s_nop 3
	global_store_short v15, v24, s[2:3]
	s_or_b64 exec, exec, s[0:1]
	v_cmp_lt_u32_e32 vcc, v21, v12
	s_and_saveexec_b64 s[0:1], vcc
	s_cbranch_execz .LBB3389_139
.LBB3389_186:
	v_lshlrev_b32_e32 v15, 1, v21
	v_readfirstlane_b32 s2, v2
	v_readfirstlane_b32 s3, v3
	s_waitcnt lgkmcnt(7)
	s_nop 3
	global_store_short v15, v22, s[2:3]
	s_or_b64 exec, exec, s[0:1]
	v_cmp_lt_u32_e32 vcc, v19, v12
	s_and_saveexec_b64 s[0:1], vcc
	s_cbranch_execz .LBB3389_140
.LBB3389_187:
	v_lshlrev_b32_e32 v15, 1, v19
	v_readfirstlane_b32 s2, v2
	v_readfirstlane_b32 s3, v3
	s_waitcnt lgkmcnt(6)
	s_nop 3
	global_store_short v15, v20, s[2:3]
	s_or_b64 exec, exec, s[0:1]
	v_cmp_lt_u32_e32 vcc, v17, v12
	s_and_saveexec_b64 s[0:1], vcc
	s_cbranch_execz .LBB3389_141
.LBB3389_188:
	v_lshlrev_b32_e32 v15, 1, v17
	v_readfirstlane_b32 s2, v2
	v_readfirstlane_b32 s3, v3
	s_waitcnt lgkmcnt(5)
	s_nop 3
	global_store_short v15, v18, s[2:3]
	s_or_b64 exec, exec, s[0:1]
	v_cmp_lt_u32_e32 vcc, v13, v12
	s_and_saveexec_b64 s[0:1], vcc
	s_cbranch_execz .LBB3389_142
.LBB3389_189:
	v_lshlrev_b32_e32 v15, 1, v13
	v_readfirstlane_b32 s2, v2
	v_readfirstlane_b32 s3, v3
	s_waitcnt lgkmcnt(4)
	s_nop 3
	global_store_short v15, v16, s[2:3]
	s_or_b64 exec, exec, s[0:1]
	v_cmp_lt_u32_e32 vcc, v11, v12
	s_and_saveexec_b64 s[0:1], vcc
	s_cbranch_execz .LBB3389_143
.LBB3389_190:
	v_lshlrev_b32_e32 v15, 1, v11
	v_readfirstlane_b32 s2, v2
	v_readfirstlane_b32 s3, v3
	s_waitcnt lgkmcnt(3)
	s_nop 3
	global_store_short v15, v10, s[2:3]
	s_or_b64 exec, exec, s[0:1]
	v_cmp_lt_u32_e32 vcc, v9, v12
	s_and_saveexec_b64 s[0:1], vcc
	s_cbranch_execz .LBB3389_144
.LBB3389_191:
	v_lshlrev_b32_e32 v15, 1, v9
	v_readfirstlane_b32 s2, v2
	v_readfirstlane_b32 s3, v3
	s_waitcnt lgkmcnt(2)
	s_nop 3
	global_store_short v15, v8, s[2:3]
	s_or_b64 exec, exec, s[0:1]
	v_cmp_lt_u32_e32 vcc, v7, v12
	s_and_saveexec_b64 s[0:1], vcc
	s_cbranch_execnz .LBB3389_145
	s_branch .LBB3389_146
.LBB3389_192:
	v_readfirstlane_b32 s2, v2
	v_readfirstlane_b32 s3, v3
	s_waitcnt lgkmcnt(14)
	s_nop 3
	global_store_short v1, v45, s[2:3]
	s_or_b64 exec, exec, s[0:1]
	v_cmp_lt_u32_e32 vcc, v43, v46
	s_and_saveexec_b64 s[0:1], vcc
	s_cbranch_execz .LBB3389_150
.LBB3389_193:
	v_readfirstlane_b32 s2, v2
	v_readfirstlane_b32 s3, v3
	s_waitcnt lgkmcnt(14)
	s_nop 3
	global_store_short v1, v44, s[2:3] offset:512
	s_or_b64 exec, exec, s[0:1]
	v_cmp_lt_u32_e32 vcc, v41, v46
	s_and_saveexec_b64 s[0:1], vcc
	s_cbranch_execz .LBB3389_151
.LBB3389_194:
	v_readfirstlane_b32 s2, v2
	v_readfirstlane_b32 s3, v3
	s_waitcnt lgkmcnt(14)
	s_nop 3
	global_store_short v1, v42, s[2:3] offset:1024
	s_or_b64 exec, exec, s[0:1]
	v_cmp_lt_u32_e32 vcc, v39, v46
	s_and_saveexec_b64 s[0:1], vcc
	s_cbranch_execz .LBB3389_152
.LBB3389_195:
	v_readfirstlane_b32 s2, v2
	v_readfirstlane_b32 s3, v3
	s_waitcnt lgkmcnt(14)
	s_nop 3
	global_store_short v1, v40, s[2:3] offset:1536
	s_or_b64 exec, exec, s[0:1]
	v_cmp_lt_u32_e32 vcc, v37, v46
	s_and_saveexec_b64 s[0:1], vcc
	s_cbranch_execz .LBB3389_153
.LBB3389_196:
	v_readfirstlane_b32 s2, v2
	v_readfirstlane_b32 s3, v3
	s_waitcnt lgkmcnt(14)
	s_nop 3
	global_store_short v1, v38, s[2:3] offset:2048
	s_or_b64 exec, exec, s[0:1]
	v_cmp_lt_u32_e32 vcc, v36, v46
	s_and_saveexec_b64 s[0:1], vcc
	s_cbranch_execz .LBB3389_154
.LBB3389_197:
	v_readfirstlane_b32 s2, v2
	v_readfirstlane_b32 s3, v3
	s_waitcnt lgkmcnt(14)
	s_nop 3
	global_store_short v1, v35, s[2:3] offset:2560
	s_or_b64 exec, exec, s[0:1]
	v_cmp_lt_u32_e32 vcc, v34, v46
	s_and_saveexec_b64 s[0:1], vcc
	s_cbranch_execz .LBB3389_155
.LBB3389_198:
	v_readfirstlane_b32 s2, v2
	v_readfirstlane_b32 s3, v3
	s_waitcnt lgkmcnt(13)
	s_nop 3
	global_store_short v1, v33, s[2:3] offset:3072
	s_or_b64 exec, exec, s[0:1]
	v_cmp_lt_u32_e32 vcc, v32, v46
	s_and_saveexec_b64 s[0:1], vcc
	s_cbranch_execz .LBB3389_156
.LBB3389_199:
	v_readfirstlane_b32 s2, v2
	v_readfirstlane_b32 s3, v3
	s_waitcnt lgkmcnt(12)
	s_nop 3
	global_store_short v1, v30, s[2:3] offset:3584
	s_or_b64 exec, exec, s[0:1]
	v_cmp_lt_u32_e32 vcc, v29, v46
	s_and_saveexec_b64 s[0:1], vcc
	s_cbranch_execz .LBB3389_157
.LBB3389_200:
	v_lshlrev_b32_e32 v1, 1, v29
	v_readfirstlane_b32 s2, v2
	v_readfirstlane_b32 s3, v3
	s_waitcnt lgkmcnt(11)
	s_nop 3
	global_store_short v1, v31, s[2:3]
	s_or_b64 exec, exec, s[0:1]
	v_cmp_lt_u32_e32 vcc, v27, v46
	s_and_saveexec_b64 s[0:1], vcc
	s_cbranch_execz .LBB3389_158
.LBB3389_201:
	v_lshlrev_b32_e32 v1, 1, v27
	v_readfirstlane_b32 s2, v2
	v_readfirstlane_b32 s3, v3
	s_waitcnt lgkmcnt(10)
	s_nop 3
	global_store_short v1, v28, s[2:3]
	s_or_b64 exec, exec, s[0:1]
	v_cmp_lt_u32_e32 vcc, v25, v46
	s_and_saveexec_b64 s[0:1], vcc
	s_cbranch_execz .LBB3389_159
.LBB3389_202:
	v_lshlrev_b32_e32 v1, 1, v25
	v_readfirstlane_b32 s2, v2
	v_readfirstlane_b32 s3, v3
	s_waitcnt lgkmcnt(9)
	s_nop 3
	global_store_short v1, v26, s[2:3]
	s_or_b64 exec, exec, s[0:1]
	v_cmp_lt_u32_e32 vcc, v23, v46
	s_and_saveexec_b64 s[0:1], vcc
	s_cbranch_execz .LBB3389_160
.LBB3389_203:
	v_lshlrev_b32_e32 v1, 1, v23
	v_readfirstlane_b32 s2, v2
	v_readfirstlane_b32 s3, v3
	s_waitcnt lgkmcnt(8)
	s_nop 3
	global_store_short v1, v24, s[2:3]
	s_or_b64 exec, exec, s[0:1]
	v_cmp_lt_u32_e32 vcc, v21, v46
	s_and_saveexec_b64 s[0:1], vcc
	s_cbranch_execz .LBB3389_161
.LBB3389_204:
	v_lshlrev_b32_e32 v1, 1, v21
	v_readfirstlane_b32 s2, v2
	v_readfirstlane_b32 s3, v3
	s_waitcnt lgkmcnt(7)
	s_nop 3
	global_store_short v1, v22, s[2:3]
	s_or_b64 exec, exec, s[0:1]
	v_cmp_lt_u32_e32 vcc, v19, v46
	s_and_saveexec_b64 s[0:1], vcc
	s_cbranch_execz .LBB3389_162
.LBB3389_205:
	v_lshlrev_b32_e32 v1, 1, v19
	v_readfirstlane_b32 s2, v2
	v_readfirstlane_b32 s3, v3
	s_waitcnt lgkmcnt(6)
	s_nop 3
	global_store_short v1, v20, s[2:3]
	s_or_b64 exec, exec, s[0:1]
	v_cmp_lt_u32_e32 vcc, v17, v46
	s_and_saveexec_b64 s[0:1], vcc
	s_cbranch_execz .LBB3389_163
.LBB3389_206:
	v_lshlrev_b32_e32 v1, 1, v17
	v_readfirstlane_b32 s2, v2
	v_readfirstlane_b32 s3, v3
	s_waitcnt lgkmcnt(5)
	s_nop 3
	global_store_short v1, v18, s[2:3]
	s_or_b64 exec, exec, s[0:1]
	v_cmp_lt_u32_e32 vcc, v13, v46
	s_and_saveexec_b64 s[0:1], vcc
	s_cbranch_execz .LBB3389_164
.LBB3389_207:
	v_lshlrev_b32_e32 v1, 1, v13
	v_readfirstlane_b32 s2, v2
	v_readfirstlane_b32 s3, v3
	s_waitcnt lgkmcnt(4)
	s_nop 3
	global_store_short v1, v16, s[2:3]
	s_or_b64 exec, exec, s[0:1]
	v_cmp_lt_u32_e32 vcc, v11, v46
	s_and_saveexec_b64 s[0:1], vcc
	s_cbranch_execz .LBB3389_165
.LBB3389_208:
	v_lshlrev_b32_e32 v1, 1, v11
	v_readfirstlane_b32 s2, v2
	v_readfirstlane_b32 s3, v3
	s_waitcnt lgkmcnt(3)
	s_nop 3
	global_store_short v1, v10, s[2:3]
	s_or_b64 exec, exec, s[0:1]
	v_cmp_lt_u32_e32 vcc, v9, v46
	s_and_saveexec_b64 s[0:1], vcc
	s_cbranch_execz .LBB3389_166
.LBB3389_209:
	v_lshlrev_b32_e32 v1, 1, v9
	v_readfirstlane_b32 s2, v2
	v_readfirstlane_b32 s3, v3
	s_waitcnt lgkmcnt(2)
	s_nop 3
	global_store_short v1, v8, s[2:3]
	s_or_b64 exec, exec, s[0:1]
	v_cmp_lt_u32_e32 vcc, v7, v46
	s_and_saveexec_b64 s[0:1], vcc
	s_cbranch_execnz .LBB3389_167
	s_branch .LBB3389_168
	.section	.rodata,"a",@progbits
	.p2align	6, 0x0
	.amdhsa_kernel _ZN7rocprim17ROCPRIM_400000_NS6detail17trampoline_kernelINS0_14default_configENS1_25partition_config_selectorILNS1_17partition_subalgoE1EsNS0_10empty_typeEbEEZZNS1_14partition_implILS5_1ELb0ES3_jN6thrust23THRUST_200600_302600_NS6detail15normal_iteratorINSA_10device_ptrIsEEEEPS6_NSA_18transform_iteratorI7is_evenIsESF_NSA_11use_defaultESK_EENS0_5tupleIJSF_NSA_16discard_iteratorISK_EEEEENSM_IJSG_SG_EEES6_PlJS6_EEE10hipError_tPvRmT3_T4_T5_T6_T7_T9_mT8_P12ihipStream_tbDpT10_ENKUlT_T0_E_clISt17integral_constantIbLb0EES1B_EEDaS16_S17_EUlS16_E_NS1_11comp_targetILNS1_3genE4ELNS1_11target_archE910ELNS1_3gpuE8ELNS1_3repE0EEENS1_30default_config_static_selectorELNS0_4arch9wavefront6targetE1EEEvT1_
		.amdhsa_group_segment_fixed_size 10248
		.amdhsa_private_segment_fixed_size 0
		.amdhsa_kernarg_size 136
		.amdhsa_user_sgpr_count 6
		.amdhsa_user_sgpr_private_segment_buffer 1
		.amdhsa_user_sgpr_dispatch_ptr 0
		.amdhsa_user_sgpr_queue_ptr 0
		.amdhsa_user_sgpr_kernarg_segment_ptr 1
		.amdhsa_user_sgpr_dispatch_id 0
		.amdhsa_user_sgpr_flat_scratch_init 0
		.amdhsa_user_sgpr_kernarg_preload_length 0
		.amdhsa_user_sgpr_kernarg_preload_offset 0
		.amdhsa_user_sgpr_private_segment_size 0
		.amdhsa_uses_dynamic_stack 0
		.amdhsa_system_sgpr_private_segment_wavefront_offset 0
		.amdhsa_system_sgpr_workgroup_id_x 1
		.amdhsa_system_sgpr_workgroup_id_y 0
		.amdhsa_system_sgpr_workgroup_id_z 0
		.amdhsa_system_sgpr_workgroup_info 0
		.amdhsa_system_vgpr_workitem_id 0
		.amdhsa_next_free_vgpr 65
		.amdhsa_next_free_sgpr 40
		.amdhsa_accum_offset 68
		.amdhsa_reserve_vcc 1
		.amdhsa_reserve_flat_scratch 0
		.amdhsa_float_round_mode_32 0
		.amdhsa_float_round_mode_16_64 0
		.amdhsa_float_denorm_mode_32 3
		.amdhsa_float_denorm_mode_16_64 3
		.amdhsa_dx10_clamp 1
		.amdhsa_ieee_mode 1
		.amdhsa_fp16_overflow 0
		.amdhsa_tg_split 0
		.amdhsa_exception_fp_ieee_invalid_op 0
		.amdhsa_exception_fp_denorm_src 0
		.amdhsa_exception_fp_ieee_div_zero 0
		.amdhsa_exception_fp_ieee_overflow 0
		.amdhsa_exception_fp_ieee_underflow 0
		.amdhsa_exception_fp_ieee_inexact 0
		.amdhsa_exception_int_div_zero 0
	.end_amdhsa_kernel
	.section	.text._ZN7rocprim17ROCPRIM_400000_NS6detail17trampoline_kernelINS0_14default_configENS1_25partition_config_selectorILNS1_17partition_subalgoE1EsNS0_10empty_typeEbEEZZNS1_14partition_implILS5_1ELb0ES3_jN6thrust23THRUST_200600_302600_NS6detail15normal_iteratorINSA_10device_ptrIsEEEEPS6_NSA_18transform_iteratorI7is_evenIsESF_NSA_11use_defaultESK_EENS0_5tupleIJSF_NSA_16discard_iteratorISK_EEEEENSM_IJSG_SG_EEES6_PlJS6_EEE10hipError_tPvRmT3_T4_T5_T6_T7_T9_mT8_P12ihipStream_tbDpT10_ENKUlT_T0_E_clISt17integral_constantIbLb0EES1B_EEDaS16_S17_EUlS16_E_NS1_11comp_targetILNS1_3genE4ELNS1_11target_archE910ELNS1_3gpuE8ELNS1_3repE0EEENS1_30default_config_static_selectorELNS0_4arch9wavefront6targetE1EEEvT1_,"axG",@progbits,_ZN7rocprim17ROCPRIM_400000_NS6detail17trampoline_kernelINS0_14default_configENS1_25partition_config_selectorILNS1_17partition_subalgoE1EsNS0_10empty_typeEbEEZZNS1_14partition_implILS5_1ELb0ES3_jN6thrust23THRUST_200600_302600_NS6detail15normal_iteratorINSA_10device_ptrIsEEEEPS6_NSA_18transform_iteratorI7is_evenIsESF_NSA_11use_defaultESK_EENS0_5tupleIJSF_NSA_16discard_iteratorISK_EEEEENSM_IJSG_SG_EEES6_PlJS6_EEE10hipError_tPvRmT3_T4_T5_T6_T7_T9_mT8_P12ihipStream_tbDpT10_ENKUlT_T0_E_clISt17integral_constantIbLb0EES1B_EEDaS16_S17_EUlS16_E_NS1_11comp_targetILNS1_3genE4ELNS1_11target_archE910ELNS1_3gpuE8ELNS1_3repE0EEENS1_30default_config_static_selectorELNS0_4arch9wavefront6targetE1EEEvT1_,comdat
.Lfunc_end3389:
	.size	_ZN7rocprim17ROCPRIM_400000_NS6detail17trampoline_kernelINS0_14default_configENS1_25partition_config_selectorILNS1_17partition_subalgoE1EsNS0_10empty_typeEbEEZZNS1_14partition_implILS5_1ELb0ES3_jN6thrust23THRUST_200600_302600_NS6detail15normal_iteratorINSA_10device_ptrIsEEEEPS6_NSA_18transform_iteratorI7is_evenIsESF_NSA_11use_defaultESK_EENS0_5tupleIJSF_NSA_16discard_iteratorISK_EEEEENSM_IJSG_SG_EEES6_PlJS6_EEE10hipError_tPvRmT3_T4_T5_T6_T7_T9_mT8_P12ihipStream_tbDpT10_ENKUlT_T0_E_clISt17integral_constantIbLb0EES1B_EEDaS16_S17_EUlS16_E_NS1_11comp_targetILNS1_3genE4ELNS1_11target_archE910ELNS1_3gpuE8ELNS1_3repE0EEENS1_30default_config_static_selectorELNS0_4arch9wavefront6targetE1EEEvT1_, .Lfunc_end3389-_ZN7rocprim17ROCPRIM_400000_NS6detail17trampoline_kernelINS0_14default_configENS1_25partition_config_selectorILNS1_17partition_subalgoE1EsNS0_10empty_typeEbEEZZNS1_14partition_implILS5_1ELb0ES3_jN6thrust23THRUST_200600_302600_NS6detail15normal_iteratorINSA_10device_ptrIsEEEEPS6_NSA_18transform_iteratorI7is_evenIsESF_NSA_11use_defaultESK_EENS0_5tupleIJSF_NSA_16discard_iteratorISK_EEEEENSM_IJSG_SG_EEES6_PlJS6_EEE10hipError_tPvRmT3_T4_T5_T6_T7_T9_mT8_P12ihipStream_tbDpT10_ENKUlT_T0_E_clISt17integral_constantIbLb0EES1B_EEDaS16_S17_EUlS16_E_NS1_11comp_targetILNS1_3genE4ELNS1_11target_archE910ELNS1_3gpuE8ELNS1_3repE0EEENS1_30default_config_static_selectorELNS0_4arch9wavefront6targetE1EEEvT1_
                                        ; -- End function
	.section	.AMDGPU.csdata,"",@progbits
; Kernel info:
; codeLenInByte = 9248
; NumSgprs: 44
; NumVgprs: 65
; NumAgprs: 0
; TotalNumVgprs: 65
; ScratchSize: 0
; MemoryBound: 0
; FloatMode: 240
; IeeeMode: 1
; LDSByteSize: 10248 bytes/workgroup (compile time only)
; SGPRBlocks: 5
; VGPRBlocks: 8
; NumSGPRsForWavesPerEU: 44
; NumVGPRsForWavesPerEU: 65
; AccumOffset: 68
; Occupancy: 6
; WaveLimiterHint : 1
; COMPUTE_PGM_RSRC2:SCRATCH_EN: 0
; COMPUTE_PGM_RSRC2:USER_SGPR: 6
; COMPUTE_PGM_RSRC2:TRAP_HANDLER: 0
; COMPUTE_PGM_RSRC2:TGID_X_EN: 1
; COMPUTE_PGM_RSRC2:TGID_Y_EN: 0
; COMPUTE_PGM_RSRC2:TGID_Z_EN: 0
; COMPUTE_PGM_RSRC2:TIDIG_COMP_CNT: 0
; COMPUTE_PGM_RSRC3_GFX90A:ACCUM_OFFSET: 16
; COMPUTE_PGM_RSRC3_GFX90A:TG_SPLIT: 0
	.section	.text._ZN7rocprim17ROCPRIM_400000_NS6detail17trampoline_kernelINS0_14default_configENS1_25partition_config_selectorILNS1_17partition_subalgoE1EsNS0_10empty_typeEbEEZZNS1_14partition_implILS5_1ELb0ES3_jN6thrust23THRUST_200600_302600_NS6detail15normal_iteratorINSA_10device_ptrIsEEEEPS6_NSA_18transform_iteratorI7is_evenIsESF_NSA_11use_defaultESK_EENS0_5tupleIJSF_NSA_16discard_iteratorISK_EEEEENSM_IJSG_SG_EEES6_PlJS6_EEE10hipError_tPvRmT3_T4_T5_T6_T7_T9_mT8_P12ihipStream_tbDpT10_ENKUlT_T0_E_clISt17integral_constantIbLb0EES1B_EEDaS16_S17_EUlS16_E_NS1_11comp_targetILNS1_3genE3ELNS1_11target_archE908ELNS1_3gpuE7ELNS1_3repE0EEENS1_30default_config_static_selectorELNS0_4arch9wavefront6targetE1EEEvT1_,"axG",@progbits,_ZN7rocprim17ROCPRIM_400000_NS6detail17trampoline_kernelINS0_14default_configENS1_25partition_config_selectorILNS1_17partition_subalgoE1EsNS0_10empty_typeEbEEZZNS1_14partition_implILS5_1ELb0ES3_jN6thrust23THRUST_200600_302600_NS6detail15normal_iteratorINSA_10device_ptrIsEEEEPS6_NSA_18transform_iteratorI7is_evenIsESF_NSA_11use_defaultESK_EENS0_5tupleIJSF_NSA_16discard_iteratorISK_EEEEENSM_IJSG_SG_EEES6_PlJS6_EEE10hipError_tPvRmT3_T4_T5_T6_T7_T9_mT8_P12ihipStream_tbDpT10_ENKUlT_T0_E_clISt17integral_constantIbLb0EES1B_EEDaS16_S17_EUlS16_E_NS1_11comp_targetILNS1_3genE3ELNS1_11target_archE908ELNS1_3gpuE7ELNS1_3repE0EEENS1_30default_config_static_selectorELNS0_4arch9wavefront6targetE1EEEvT1_,comdat
	.protected	_ZN7rocprim17ROCPRIM_400000_NS6detail17trampoline_kernelINS0_14default_configENS1_25partition_config_selectorILNS1_17partition_subalgoE1EsNS0_10empty_typeEbEEZZNS1_14partition_implILS5_1ELb0ES3_jN6thrust23THRUST_200600_302600_NS6detail15normal_iteratorINSA_10device_ptrIsEEEEPS6_NSA_18transform_iteratorI7is_evenIsESF_NSA_11use_defaultESK_EENS0_5tupleIJSF_NSA_16discard_iteratorISK_EEEEENSM_IJSG_SG_EEES6_PlJS6_EEE10hipError_tPvRmT3_T4_T5_T6_T7_T9_mT8_P12ihipStream_tbDpT10_ENKUlT_T0_E_clISt17integral_constantIbLb0EES1B_EEDaS16_S17_EUlS16_E_NS1_11comp_targetILNS1_3genE3ELNS1_11target_archE908ELNS1_3gpuE7ELNS1_3repE0EEENS1_30default_config_static_selectorELNS0_4arch9wavefront6targetE1EEEvT1_ ; -- Begin function _ZN7rocprim17ROCPRIM_400000_NS6detail17trampoline_kernelINS0_14default_configENS1_25partition_config_selectorILNS1_17partition_subalgoE1EsNS0_10empty_typeEbEEZZNS1_14partition_implILS5_1ELb0ES3_jN6thrust23THRUST_200600_302600_NS6detail15normal_iteratorINSA_10device_ptrIsEEEEPS6_NSA_18transform_iteratorI7is_evenIsESF_NSA_11use_defaultESK_EENS0_5tupleIJSF_NSA_16discard_iteratorISK_EEEEENSM_IJSG_SG_EEES6_PlJS6_EEE10hipError_tPvRmT3_T4_T5_T6_T7_T9_mT8_P12ihipStream_tbDpT10_ENKUlT_T0_E_clISt17integral_constantIbLb0EES1B_EEDaS16_S17_EUlS16_E_NS1_11comp_targetILNS1_3genE3ELNS1_11target_archE908ELNS1_3gpuE7ELNS1_3repE0EEENS1_30default_config_static_selectorELNS0_4arch9wavefront6targetE1EEEvT1_
	.globl	_ZN7rocprim17ROCPRIM_400000_NS6detail17trampoline_kernelINS0_14default_configENS1_25partition_config_selectorILNS1_17partition_subalgoE1EsNS0_10empty_typeEbEEZZNS1_14partition_implILS5_1ELb0ES3_jN6thrust23THRUST_200600_302600_NS6detail15normal_iteratorINSA_10device_ptrIsEEEEPS6_NSA_18transform_iteratorI7is_evenIsESF_NSA_11use_defaultESK_EENS0_5tupleIJSF_NSA_16discard_iteratorISK_EEEEENSM_IJSG_SG_EEES6_PlJS6_EEE10hipError_tPvRmT3_T4_T5_T6_T7_T9_mT8_P12ihipStream_tbDpT10_ENKUlT_T0_E_clISt17integral_constantIbLb0EES1B_EEDaS16_S17_EUlS16_E_NS1_11comp_targetILNS1_3genE3ELNS1_11target_archE908ELNS1_3gpuE7ELNS1_3repE0EEENS1_30default_config_static_selectorELNS0_4arch9wavefront6targetE1EEEvT1_
	.p2align	8
	.type	_ZN7rocprim17ROCPRIM_400000_NS6detail17trampoline_kernelINS0_14default_configENS1_25partition_config_selectorILNS1_17partition_subalgoE1EsNS0_10empty_typeEbEEZZNS1_14partition_implILS5_1ELb0ES3_jN6thrust23THRUST_200600_302600_NS6detail15normal_iteratorINSA_10device_ptrIsEEEEPS6_NSA_18transform_iteratorI7is_evenIsESF_NSA_11use_defaultESK_EENS0_5tupleIJSF_NSA_16discard_iteratorISK_EEEEENSM_IJSG_SG_EEES6_PlJS6_EEE10hipError_tPvRmT3_T4_T5_T6_T7_T9_mT8_P12ihipStream_tbDpT10_ENKUlT_T0_E_clISt17integral_constantIbLb0EES1B_EEDaS16_S17_EUlS16_E_NS1_11comp_targetILNS1_3genE3ELNS1_11target_archE908ELNS1_3gpuE7ELNS1_3repE0EEENS1_30default_config_static_selectorELNS0_4arch9wavefront6targetE1EEEvT1_,@function
_ZN7rocprim17ROCPRIM_400000_NS6detail17trampoline_kernelINS0_14default_configENS1_25partition_config_selectorILNS1_17partition_subalgoE1EsNS0_10empty_typeEbEEZZNS1_14partition_implILS5_1ELb0ES3_jN6thrust23THRUST_200600_302600_NS6detail15normal_iteratorINSA_10device_ptrIsEEEEPS6_NSA_18transform_iteratorI7is_evenIsESF_NSA_11use_defaultESK_EENS0_5tupleIJSF_NSA_16discard_iteratorISK_EEEEENSM_IJSG_SG_EEES6_PlJS6_EEE10hipError_tPvRmT3_T4_T5_T6_T7_T9_mT8_P12ihipStream_tbDpT10_ENKUlT_T0_E_clISt17integral_constantIbLb0EES1B_EEDaS16_S17_EUlS16_E_NS1_11comp_targetILNS1_3genE3ELNS1_11target_archE908ELNS1_3gpuE7ELNS1_3repE0EEENS1_30default_config_static_selectorELNS0_4arch9wavefront6targetE1EEEvT1_: ; @_ZN7rocprim17ROCPRIM_400000_NS6detail17trampoline_kernelINS0_14default_configENS1_25partition_config_selectorILNS1_17partition_subalgoE1EsNS0_10empty_typeEbEEZZNS1_14partition_implILS5_1ELb0ES3_jN6thrust23THRUST_200600_302600_NS6detail15normal_iteratorINSA_10device_ptrIsEEEEPS6_NSA_18transform_iteratorI7is_evenIsESF_NSA_11use_defaultESK_EENS0_5tupleIJSF_NSA_16discard_iteratorISK_EEEEENSM_IJSG_SG_EEES6_PlJS6_EEE10hipError_tPvRmT3_T4_T5_T6_T7_T9_mT8_P12ihipStream_tbDpT10_ENKUlT_T0_E_clISt17integral_constantIbLb0EES1B_EEDaS16_S17_EUlS16_E_NS1_11comp_targetILNS1_3genE3ELNS1_11target_archE908ELNS1_3gpuE7ELNS1_3repE0EEENS1_30default_config_static_selectorELNS0_4arch9wavefront6targetE1EEEvT1_
; %bb.0:
	.section	.rodata,"a",@progbits
	.p2align	6, 0x0
	.amdhsa_kernel _ZN7rocprim17ROCPRIM_400000_NS6detail17trampoline_kernelINS0_14default_configENS1_25partition_config_selectorILNS1_17partition_subalgoE1EsNS0_10empty_typeEbEEZZNS1_14partition_implILS5_1ELb0ES3_jN6thrust23THRUST_200600_302600_NS6detail15normal_iteratorINSA_10device_ptrIsEEEEPS6_NSA_18transform_iteratorI7is_evenIsESF_NSA_11use_defaultESK_EENS0_5tupleIJSF_NSA_16discard_iteratorISK_EEEEENSM_IJSG_SG_EEES6_PlJS6_EEE10hipError_tPvRmT3_T4_T5_T6_T7_T9_mT8_P12ihipStream_tbDpT10_ENKUlT_T0_E_clISt17integral_constantIbLb0EES1B_EEDaS16_S17_EUlS16_E_NS1_11comp_targetILNS1_3genE3ELNS1_11target_archE908ELNS1_3gpuE7ELNS1_3repE0EEENS1_30default_config_static_selectorELNS0_4arch9wavefront6targetE1EEEvT1_
		.amdhsa_group_segment_fixed_size 0
		.amdhsa_private_segment_fixed_size 0
		.amdhsa_kernarg_size 136
		.amdhsa_user_sgpr_count 6
		.amdhsa_user_sgpr_private_segment_buffer 1
		.amdhsa_user_sgpr_dispatch_ptr 0
		.amdhsa_user_sgpr_queue_ptr 0
		.amdhsa_user_sgpr_kernarg_segment_ptr 1
		.amdhsa_user_sgpr_dispatch_id 0
		.amdhsa_user_sgpr_flat_scratch_init 0
		.amdhsa_user_sgpr_kernarg_preload_length 0
		.amdhsa_user_sgpr_kernarg_preload_offset 0
		.amdhsa_user_sgpr_private_segment_size 0
		.amdhsa_uses_dynamic_stack 0
		.amdhsa_system_sgpr_private_segment_wavefront_offset 0
		.amdhsa_system_sgpr_workgroup_id_x 1
		.amdhsa_system_sgpr_workgroup_id_y 0
		.amdhsa_system_sgpr_workgroup_id_z 0
		.amdhsa_system_sgpr_workgroup_info 0
		.amdhsa_system_vgpr_workitem_id 0
		.amdhsa_next_free_vgpr 1
		.amdhsa_next_free_sgpr 0
		.amdhsa_accum_offset 4
		.amdhsa_reserve_vcc 0
		.amdhsa_reserve_flat_scratch 0
		.amdhsa_float_round_mode_32 0
		.amdhsa_float_round_mode_16_64 0
		.amdhsa_float_denorm_mode_32 3
		.amdhsa_float_denorm_mode_16_64 3
		.amdhsa_dx10_clamp 1
		.amdhsa_ieee_mode 1
		.amdhsa_fp16_overflow 0
		.amdhsa_tg_split 0
		.amdhsa_exception_fp_ieee_invalid_op 0
		.amdhsa_exception_fp_denorm_src 0
		.amdhsa_exception_fp_ieee_div_zero 0
		.amdhsa_exception_fp_ieee_overflow 0
		.amdhsa_exception_fp_ieee_underflow 0
		.amdhsa_exception_fp_ieee_inexact 0
		.amdhsa_exception_int_div_zero 0
	.end_amdhsa_kernel
	.section	.text._ZN7rocprim17ROCPRIM_400000_NS6detail17trampoline_kernelINS0_14default_configENS1_25partition_config_selectorILNS1_17partition_subalgoE1EsNS0_10empty_typeEbEEZZNS1_14partition_implILS5_1ELb0ES3_jN6thrust23THRUST_200600_302600_NS6detail15normal_iteratorINSA_10device_ptrIsEEEEPS6_NSA_18transform_iteratorI7is_evenIsESF_NSA_11use_defaultESK_EENS0_5tupleIJSF_NSA_16discard_iteratorISK_EEEEENSM_IJSG_SG_EEES6_PlJS6_EEE10hipError_tPvRmT3_T4_T5_T6_T7_T9_mT8_P12ihipStream_tbDpT10_ENKUlT_T0_E_clISt17integral_constantIbLb0EES1B_EEDaS16_S17_EUlS16_E_NS1_11comp_targetILNS1_3genE3ELNS1_11target_archE908ELNS1_3gpuE7ELNS1_3repE0EEENS1_30default_config_static_selectorELNS0_4arch9wavefront6targetE1EEEvT1_,"axG",@progbits,_ZN7rocprim17ROCPRIM_400000_NS6detail17trampoline_kernelINS0_14default_configENS1_25partition_config_selectorILNS1_17partition_subalgoE1EsNS0_10empty_typeEbEEZZNS1_14partition_implILS5_1ELb0ES3_jN6thrust23THRUST_200600_302600_NS6detail15normal_iteratorINSA_10device_ptrIsEEEEPS6_NSA_18transform_iteratorI7is_evenIsESF_NSA_11use_defaultESK_EENS0_5tupleIJSF_NSA_16discard_iteratorISK_EEEEENSM_IJSG_SG_EEES6_PlJS6_EEE10hipError_tPvRmT3_T4_T5_T6_T7_T9_mT8_P12ihipStream_tbDpT10_ENKUlT_T0_E_clISt17integral_constantIbLb0EES1B_EEDaS16_S17_EUlS16_E_NS1_11comp_targetILNS1_3genE3ELNS1_11target_archE908ELNS1_3gpuE7ELNS1_3repE0EEENS1_30default_config_static_selectorELNS0_4arch9wavefront6targetE1EEEvT1_,comdat
.Lfunc_end3390:
	.size	_ZN7rocprim17ROCPRIM_400000_NS6detail17trampoline_kernelINS0_14default_configENS1_25partition_config_selectorILNS1_17partition_subalgoE1EsNS0_10empty_typeEbEEZZNS1_14partition_implILS5_1ELb0ES3_jN6thrust23THRUST_200600_302600_NS6detail15normal_iteratorINSA_10device_ptrIsEEEEPS6_NSA_18transform_iteratorI7is_evenIsESF_NSA_11use_defaultESK_EENS0_5tupleIJSF_NSA_16discard_iteratorISK_EEEEENSM_IJSG_SG_EEES6_PlJS6_EEE10hipError_tPvRmT3_T4_T5_T6_T7_T9_mT8_P12ihipStream_tbDpT10_ENKUlT_T0_E_clISt17integral_constantIbLb0EES1B_EEDaS16_S17_EUlS16_E_NS1_11comp_targetILNS1_3genE3ELNS1_11target_archE908ELNS1_3gpuE7ELNS1_3repE0EEENS1_30default_config_static_selectorELNS0_4arch9wavefront6targetE1EEEvT1_, .Lfunc_end3390-_ZN7rocprim17ROCPRIM_400000_NS6detail17trampoline_kernelINS0_14default_configENS1_25partition_config_selectorILNS1_17partition_subalgoE1EsNS0_10empty_typeEbEEZZNS1_14partition_implILS5_1ELb0ES3_jN6thrust23THRUST_200600_302600_NS6detail15normal_iteratorINSA_10device_ptrIsEEEEPS6_NSA_18transform_iteratorI7is_evenIsESF_NSA_11use_defaultESK_EENS0_5tupleIJSF_NSA_16discard_iteratorISK_EEEEENSM_IJSG_SG_EEES6_PlJS6_EEE10hipError_tPvRmT3_T4_T5_T6_T7_T9_mT8_P12ihipStream_tbDpT10_ENKUlT_T0_E_clISt17integral_constantIbLb0EES1B_EEDaS16_S17_EUlS16_E_NS1_11comp_targetILNS1_3genE3ELNS1_11target_archE908ELNS1_3gpuE7ELNS1_3repE0EEENS1_30default_config_static_selectorELNS0_4arch9wavefront6targetE1EEEvT1_
                                        ; -- End function
	.section	.AMDGPU.csdata,"",@progbits
; Kernel info:
; codeLenInByte = 0
; NumSgprs: 4
; NumVgprs: 0
; NumAgprs: 0
; TotalNumVgprs: 0
; ScratchSize: 0
; MemoryBound: 0
; FloatMode: 240
; IeeeMode: 1
; LDSByteSize: 0 bytes/workgroup (compile time only)
; SGPRBlocks: 0
; VGPRBlocks: 0
; NumSGPRsForWavesPerEU: 4
; NumVGPRsForWavesPerEU: 1
; AccumOffset: 4
; Occupancy: 8
; WaveLimiterHint : 0
; COMPUTE_PGM_RSRC2:SCRATCH_EN: 0
; COMPUTE_PGM_RSRC2:USER_SGPR: 6
; COMPUTE_PGM_RSRC2:TRAP_HANDLER: 0
; COMPUTE_PGM_RSRC2:TGID_X_EN: 1
; COMPUTE_PGM_RSRC2:TGID_Y_EN: 0
; COMPUTE_PGM_RSRC2:TGID_Z_EN: 0
; COMPUTE_PGM_RSRC2:TIDIG_COMP_CNT: 0
; COMPUTE_PGM_RSRC3_GFX90A:ACCUM_OFFSET: 0
; COMPUTE_PGM_RSRC3_GFX90A:TG_SPLIT: 0
	.section	.text._ZN7rocprim17ROCPRIM_400000_NS6detail17trampoline_kernelINS0_14default_configENS1_25partition_config_selectorILNS1_17partition_subalgoE1EsNS0_10empty_typeEbEEZZNS1_14partition_implILS5_1ELb0ES3_jN6thrust23THRUST_200600_302600_NS6detail15normal_iteratorINSA_10device_ptrIsEEEEPS6_NSA_18transform_iteratorI7is_evenIsESF_NSA_11use_defaultESK_EENS0_5tupleIJSF_NSA_16discard_iteratorISK_EEEEENSM_IJSG_SG_EEES6_PlJS6_EEE10hipError_tPvRmT3_T4_T5_T6_T7_T9_mT8_P12ihipStream_tbDpT10_ENKUlT_T0_E_clISt17integral_constantIbLb0EES1B_EEDaS16_S17_EUlS16_E_NS1_11comp_targetILNS1_3genE2ELNS1_11target_archE906ELNS1_3gpuE6ELNS1_3repE0EEENS1_30default_config_static_selectorELNS0_4arch9wavefront6targetE1EEEvT1_,"axG",@progbits,_ZN7rocprim17ROCPRIM_400000_NS6detail17trampoline_kernelINS0_14default_configENS1_25partition_config_selectorILNS1_17partition_subalgoE1EsNS0_10empty_typeEbEEZZNS1_14partition_implILS5_1ELb0ES3_jN6thrust23THRUST_200600_302600_NS6detail15normal_iteratorINSA_10device_ptrIsEEEEPS6_NSA_18transform_iteratorI7is_evenIsESF_NSA_11use_defaultESK_EENS0_5tupleIJSF_NSA_16discard_iteratorISK_EEEEENSM_IJSG_SG_EEES6_PlJS6_EEE10hipError_tPvRmT3_T4_T5_T6_T7_T9_mT8_P12ihipStream_tbDpT10_ENKUlT_T0_E_clISt17integral_constantIbLb0EES1B_EEDaS16_S17_EUlS16_E_NS1_11comp_targetILNS1_3genE2ELNS1_11target_archE906ELNS1_3gpuE6ELNS1_3repE0EEENS1_30default_config_static_selectorELNS0_4arch9wavefront6targetE1EEEvT1_,comdat
	.protected	_ZN7rocprim17ROCPRIM_400000_NS6detail17trampoline_kernelINS0_14default_configENS1_25partition_config_selectorILNS1_17partition_subalgoE1EsNS0_10empty_typeEbEEZZNS1_14partition_implILS5_1ELb0ES3_jN6thrust23THRUST_200600_302600_NS6detail15normal_iteratorINSA_10device_ptrIsEEEEPS6_NSA_18transform_iteratorI7is_evenIsESF_NSA_11use_defaultESK_EENS0_5tupleIJSF_NSA_16discard_iteratorISK_EEEEENSM_IJSG_SG_EEES6_PlJS6_EEE10hipError_tPvRmT3_T4_T5_T6_T7_T9_mT8_P12ihipStream_tbDpT10_ENKUlT_T0_E_clISt17integral_constantIbLb0EES1B_EEDaS16_S17_EUlS16_E_NS1_11comp_targetILNS1_3genE2ELNS1_11target_archE906ELNS1_3gpuE6ELNS1_3repE0EEENS1_30default_config_static_selectorELNS0_4arch9wavefront6targetE1EEEvT1_ ; -- Begin function _ZN7rocprim17ROCPRIM_400000_NS6detail17trampoline_kernelINS0_14default_configENS1_25partition_config_selectorILNS1_17partition_subalgoE1EsNS0_10empty_typeEbEEZZNS1_14partition_implILS5_1ELb0ES3_jN6thrust23THRUST_200600_302600_NS6detail15normal_iteratorINSA_10device_ptrIsEEEEPS6_NSA_18transform_iteratorI7is_evenIsESF_NSA_11use_defaultESK_EENS0_5tupleIJSF_NSA_16discard_iteratorISK_EEEEENSM_IJSG_SG_EEES6_PlJS6_EEE10hipError_tPvRmT3_T4_T5_T6_T7_T9_mT8_P12ihipStream_tbDpT10_ENKUlT_T0_E_clISt17integral_constantIbLb0EES1B_EEDaS16_S17_EUlS16_E_NS1_11comp_targetILNS1_3genE2ELNS1_11target_archE906ELNS1_3gpuE6ELNS1_3repE0EEENS1_30default_config_static_selectorELNS0_4arch9wavefront6targetE1EEEvT1_
	.globl	_ZN7rocprim17ROCPRIM_400000_NS6detail17trampoline_kernelINS0_14default_configENS1_25partition_config_selectorILNS1_17partition_subalgoE1EsNS0_10empty_typeEbEEZZNS1_14partition_implILS5_1ELb0ES3_jN6thrust23THRUST_200600_302600_NS6detail15normal_iteratorINSA_10device_ptrIsEEEEPS6_NSA_18transform_iteratorI7is_evenIsESF_NSA_11use_defaultESK_EENS0_5tupleIJSF_NSA_16discard_iteratorISK_EEEEENSM_IJSG_SG_EEES6_PlJS6_EEE10hipError_tPvRmT3_T4_T5_T6_T7_T9_mT8_P12ihipStream_tbDpT10_ENKUlT_T0_E_clISt17integral_constantIbLb0EES1B_EEDaS16_S17_EUlS16_E_NS1_11comp_targetILNS1_3genE2ELNS1_11target_archE906ELNS1_3gpuE6ELNS1_3repE0EEENS1_30default_config_static_selectorELNS0_4arch9wavefront6targetE1EEEvT1_
	.p2align	8
	.type	_ZN7rocprim17ROCPRIM_400000_NS6detail17trampoline_kernelINS0_14default_configENS1_25partition_config_selectorILNS1_17partition_subalgoE1EsNS0_10empty_typeEbEEZZNS1_14partition_implILS5_1ELb0ES3_jN6thrust23THRUST_200600_302600_NS6detail15normal_iteratorINSA_10device_ptrIsEEEEPS6_NSA_18transform_iteratorI7is_evenIsESF_NSA_11use_defaultESK_EENS0_5tupleIJSF_NSA_16discard_iteratorISK_EEEEENSM_IJSG_SG_EEES6_PlJS6_EEE10hipError_tPvRmT3_T4_T5_T6_T7_T9_mT8_P12ihipStream_tbDpT10_ENKUlT_T0_E_clISt17integral_constantIbLb0EES1B_EEDaS16_S17_EUlS16_E_NS1_11comp_targetILNS1_3genE2ELNS1_11target_archE906ELNS1_3gpuE6ELNS1_3repE0EEENS1_30default_config_static_selectorELNS0_4arch9wavefront6targetE1EEEvT1_,@function
_ZN7rocprim17ROCPRIM_400000_NS6detail17trampoline_kernelINS0_14default_configENS1_25partition_config_selectorILNS1_17partition_subalgoE1EsNS0_10empty_typeEbEEZZNS1_14partition_implILS5_1ELb0ES3_jN6thrust23THRUST_200600_302600_NS6detail15normal_iteratorINSA_10device_ptrIsEEEEPS6_NSA_18transform_iteratorI7is_evenIsESF_NSA_11use_defaultESK_EENS0_5tupleIJSF_NSA_16discard_iteratorISK_EEEEENSM_IJSG_SG_EEES6_PlJS6_EEE10hipError_tPvRmT3_T4_T5_T6_T7_T9_mT8_P12ihipStream_tbDpT10_ENKUlT_T0_E_clISt17integral_constantIbLb0EES1B_EEDaS16_S17_EUlS16_E_NS1_11comp_targetILNS1_3genE2ELNS1_11target_archE906ELNS1_3gpuE6ELNS1_3repE0EEENS1_30default_config_static_selectorELNS0_4arch9wavefront6targetE1EEEvT1_: ; @_ZN7rocprim17ROCPRIM_400000_NS6detail17trampoline_kernelINS0_14default_configENS1_25partition_config_selectorILNS1_17partition_subalgoE1EsNS0_10empty_typeEbEEZZNS1_14partition_implILS5_1ELb0ES3_jN6thrust23THRUST_200600_302600_NS6detail15normal_iteratorINSA_10device_ptrIsEEEEPS6_NSA_18transform_iteratorI7is_evenIsESF_NSA_11use_defaultESK_EENS0_5tupleIJSF_NSA_16discard_iteratorISK_EEEEENSM_IJSG_SG_EEES6_PlJS6_EEE10hipError_tPvRmT3_T4_T5_T6_T7_T9_mT8_P12ihipStream_tbDpT10_ENKUlT_T0_E_clISt17integral_constantIbLb0EES1B_EEDaS16_S17_EUlS16_E_NS1_11comp_targetILNS1_3genE2ELNS1_11target_archE906ELNS1_3gpuE6ELNS1_3repE0EEENS1_30default_config_static_selectorELNS0_4arch9wavefront6targetE1EEEvT1_
; %bb.0:
	.section	.rodata,"a",@progbits
	.p2align	6, 0x0
	.amdhsa_kernel _ZN7rocprim17ROCPRIM_400000_NS6detail17trampoline_kernelINS0_14default_configENS1_25partition_config_selectorILNS1_17partition_subalgoE1EsNS0_10empty_typeEbEEZZNS1_14partition_implILS5_1ELb0ES3_jN6thrust23THRUST_200600_302600_NS6detail15normal_iteratorINSA_10device_ptrIsEEEEPS6_NSA_18transform_iteratorI7is_evenIsESF_NSA_11use_defaultESK_EENS0_5tupleIJSF_NSA_16discard_iteratorISK_EEEEENSM_IJSG_SG_EEES6_PlJS6_EEE10hipError_tPvRmT3_T4_T5_T6_T7_T9_mT8_P12ihipStream_tbDpT10_ENKUlT_T0_E_clISt17integral_constantIbLb0EES1B_EEDaS16_S17_EUlS16_E_NS1_11comp_targetILNS1_3genE2ELNS1_11target_archE906ELNS1_3gpuE6ELNS1_3repE0EEENS1_30default_config_static_selectorELNS0_4arch9wavefront6targetE1EEEvT1_
		.amdhsa_group_segment_fixed_size 0
		.amdhsa_private_segment_fixed_size 0
		.amdhsa_kernarg_size 136
		.amdhsa_user_sgpr_count 6
		.amdhsa_user_sgpr_private_segment_buffer 1
		.amdhsa_user_sgpr_dispatch_ptr 0
		.amdhsa_user_sgpr_queue_ptr 0
		.amdhsa_user_sgpr_kernarg_segment_ptr 1
		.amdhsa_user_sgpr_dispatch_id 0
		.amdhsa_user_sgpr_flat_scratch_init 0
		.amdhsa_user_sgpr_kernarg_preload_length 0
		.amdhsa_user_sgpr_kernarg_preload_offset 0
		.amdhsa_user_sgpr_private_segment_size 0
		.amdhsa_uses_dynamic_stack 0
		.amdhsa_system_sgpr_private_segment_wavefront_offset 0
		.amdhsa_system_sgpr_workgroup_id_x 1
		.amdhsa_system_sgpr_workgroup_id_y 0
		.amdhsa_system_sgpr_workgroup_id_z 0
		.amdhsa_system_sgpr_workgroup_info 0
		.amdhsa_system_vgpr_workitem_id 0
		.amdhsa_next_free_vgpr 1
		.amdhsa_next_free_sgpr 0
		.amdhsa_accum_offset 4
		.amdhsa_reserve_vcc 0
		.amdhsa_reserve_flat_scratch 0
		.amdhsa_float_round_mode_32 0
		.amdhsa_float_round_mode_16_64 0
		.amdhsa_float_denorm_mode_32 3
		.amdhsa_float_denorm_mode_16_64 3
		.amdhsa_dx10_clamp 1
		.amdhsa_ieee_mode 1
		.amdhsa_fp16_overflow 0
		.amdhsa_tg_split 0
		.amdhsa_exception_fp_ieee_invalid_op 0
		.amdhsa_exception_fp_denorm_src 0
		.amdhsa_exception_fp_ieee_div_zero 0
		.amdhsa_exception_fp_ieee_overflow 0
		.amdhsa_exception_fp_ieee_underflow 0
		.amdhsa_exception_fp_ieee_inexact 0
		.amdhsa_exception_int_div_zero 0
	.end_amdhsa_kernel
	.section	.text._ZN7rocprim17ROCPRIM_400000_NS6detail17trampoline_kernelINS0_14default_configENS1_25partition_config_selectorILNS1_17partition_subalgoE1EsNS0_10empty_typeEbEEZZNS1_14partition_implILS5_1ELb0ES3_jN6thrust23THRUST_200600_302600_NS6detail15normal_iteratorINSA_10device_ptrIsEEEEPS6_NSA_18transform_iteratorI7is_evenIsESF_NSA_11use_defaultESK_EENS0_5tupleIJSF_NSA_16discard_iteratorISK_EEEEENSM_IJSG_SG_EEES6_PlJS6_EEE10hipError_tPvRmT3_T4_T5_T6_T7_T9_mT8_P12ihipStream_tbDpT10_ENKUlT_T0_E_clISt17integral_constantIbLb0EES1B_EEDaS16_S17_EUlS16_E_NS1_11comp_targetILNS1_3genE2ELNS1_11target_archE906ELNS1_3gpuE6ELNS1_3repE0EEENS1_30default_config_static_selectorELNS0_4arch9wavefront6targetE1EEEvT1_,"axG",@progbits,_ZN7rocprim17ROCPRIM_400000_NS6detail17trampoline_kernelINS0_14default_configENS1_25partition_config_selectorILNS1_17partition_subalgoE1EsNS0_10empty_typeEbEEZZNS1_14partition_implILS5_1ELb0ES3_jN6thrust23THRUST_200600_302600_NS6detail15normal_iteratorINSA_10device_ptrIsEEEEPS6_NSA_18transform_iteratorI7is_evenIsESF_NSA_11use_defaultESK_EENS0_5tupleIJSF_NSA_16discard_iteratorISK_EEEEENSM_IJSG_SG_EEES6_PlJS6_EEE10hipError_tPvRmT3_T4_T5_T6_T7_T9_mT8_P12ihipStream_tbDpT10_ENKUlT_T0_E_clISt17integral_constantIbLb0EES1B_EEDaS16_S17_EUlS16_E_NS1_11comp_targetILNS1_3genE2ELNS1_11target_archE906ELNS1_3gpuE6ELNS1_3repE0EEENS1_30default_config_static_selectorELNS0_4arch9wavefront6targetE1EEEvT1_,comdat
.Lfunc_end3391:
	.size	_ZN7rocprim17ROCPRIM_400000_NS6detail17trampoline_kernelINS0_14default_configENS1_25partition_config_selectorILNS1_17partition_subalgoE1EsNS0_10empty_typeEbEEZZNS1_14partition_implILS5_1ELb0ES3_jN6thrust23THRUST_200600_302600_NS6detail15normal_iteratorINSA_10device_ptrIsEEEEPS6_NSA_18transform_iteratorI7is_evenIsESF_NSA_11use_defaultESK_EENS0_5tupleIJSF_NSA_16discard_iteratorISK_EEEEENSM_IJSG_SG_EEES6_PlJS6_EEE10hipError_tPvRmT3_T4_T5_T6_T7_T9_mT8_P12ihipStream_tbDpT10_ENKUlT_T0_E_clISt17integral_constantIbLb0EES1B_EEDaS16_S17_EUlS16_E_NS1_11comp_targetILNS1_3genE2ELNS1_11target_archE906ELNS1_3gpuE6ELNS1_3repE0EEENS1_30default_config_static_selectorELNS0_4arch9wavefront6targetE1EEEvT1_, .Lfunc_end3391-_ZN7rocprim17ROCPRIM_400000_NS6detail17trampoline_kernelINS0_14default_configENS1_25partition_config_selectorILNS1_17partition_subalgoE1EsNS0_10empty_typeEbEEZZNS1_14partition_implILS5_1ELb0ES3_jN6thrust23THRUST_200600_302600_NS6detail15normal_iteratorINSA_10device_ptrIsEEEEPS6_NSA_18transform_iteratorI7is_evenIsESF_NSA_11use_defaultESK_EENS0_5tupleIJSF_NSA_16discard_iteratorISK_EEEEENSM_IJSG_SG_EEES6_PlJS6_EEE10hipError_tPvRmT3_T4_T5_T6_T7_T9_mT8_P12ihipStream_tbDpT10_ENKUlT_T0_E_clISt17integral_constantIbLb0EES1B_EEDaS16_S17_EUlS16_E_NS1_11comp_targetILNS1_3genE2ELNS1_11target_archE906ELNS1_3gpuE6ELNS1_3repE0EEENS1_30default_config_static_selectorELNS0_4arch9wavefront6targetE1EEEvT1_
                                        ; -- End function
	.section	.AMDGPU.csdata,"",@progbits
; Kernel info:
; codeLenInByte = 0
; NumSgprs: 4
; NumVgprs: 0
; NumAgprs: 0
; TotalNumVgprs: 0
; ScratchSize: 0
; MemoryBound: 0
; FloatMode: 240
; IeeeMode: 1
; LDSByteSize: 0 bytes/workgroup (compile time only)
; SGPRBlocks: 0
; VGPRBlocks: 0
; NumSGPRsForWavesPerEU: 4
; NumVGPRsForWavesPerEU: 1
; AccumOffset: 4
; Occupancy: 8
; WaveLimiterHint : 0
; COMPUTE_PGM_RSRC2:SCRATCH_EN: 0
; COMPUTE_PGM_RSRC2:USER_SGPR: 6
; COMPUTE_PGM_RSRC2:TRAP_HANDLER: 0
; COMPUTE_PGM_RSRC2:TGID_X_EN: 1
; COMPUTE_PGM_RSRC2:TGID_Y_EN: 0
; COMPUTE_PGM_RSRC2:TGID_Z_EN: 0
; COMPUTE_PGM_RSRC2:TIDIG_COMP_CNT: 0
; COMPUTE_PGM_RSRC3_GFX90A:ACCUM_OFFSET: 0
; COMPUTE_PGM_RSRC3_GFX90A:TG_SPLIT: 0
	.section	.text._ZN7rocprim17ROCPRIM_400000_NS6detail17trampoline_kernelINS0_14default_configENS1_25partition_config_selectorILNS1_17partition_subalgoE1EsNS0_10empty_typeEbEEZZNS1_14partition_implILS5_1ELb0ES3_jN6thrust23THRUST_200600_302600_NS6detail15normal_iteratorINSA_10device_ptrIsEEEEPS6_NSA_18transform_iteratorI7is_evenIsESF_NSA_11use_defaultESK_EENS0_5tupleIJSF_NSA_16discard_iteratorISK_EEEEENSM_IJSG_SG_EEES6_PlJS6_EEE10hipError_tPvRmT3_T4_T5_T6_T7_T9_mT8_P12ihipStream_tbDpT10_ENKUlT_T0_E_clISt17integral_constantIbLb0EES1B_EEDaS16_S17_EUlS16_E_NS1_11comp_targetILNS1_3genE10ELNS1_11target_archE1200ELNS1_3gpuE4ELNS1_3repE0EEENS1_30default_config_static_selectorELNS0_4arch9wavefront6targetE1EEEvT1_,"axG",@progbits,_ZN7rocprim17ROCPRIM_400000_NS6detail17trampoline_kernelINS0_14default_configENS1_25partition_config_selectorILNS1_17partition_subalgoE1EsNS0_10empty_typeEbEEZZNS1_14partition_implILS5_1ELb0ES3_jN6thrust23THRUST_200600_302600_NS6detail15normal_iteratorINSA_10device_ptrIsEEEEPS6_NSA_18transform_iteratorI7is_evenIsESF_NSA_11use_defaultESK_EENS0_5tupleIJSF_NSA_16discard_iteratorISK_EEEEENSM_IJSG_SG_EEES6_PlJS6_EEE10hipError_tPvRmT3_T4_T5_T6_T7_T9_mT8_P12ihipStream_tbDpT10_ENKUlT_T0_E_clISt17integral_constantIbLb0EES1B_EEDaS16_S17_EUlS16_E_NS1_11comp_targetILNS1_3genE10ELNS1_11target_archE1200ELNS1_3gpuE4ELNS1_3repE0EEENS1_30default_config_static_selectorELNS0_4arch9wavefront6targetE1EEEvT1_,comdat
	.protected	_ZN7rocprim17ROCPRIM_400000_NS6detail17trampoline_kernelINS0_14default_configENS1_25partition_config_selectorILNS1_17partition_subalgoE1EsNS0_10empty_typeEbEEZZNS1_14partition_implILS5_1ELb0ES3_jN6thrust23THRUST_200600_302600_NS6detail15normal_iteratorINSA_10device_ptrIsEEEEPS6_NSA_18transform_iteratorI7is_evenIsESF_NSA_11use_defaultESK_EENS0_5tupleIJSF_NSA_16discard_iteratorISK_EEEEENSM_IJSG_SG_EEES6_PlJS6_EEE10hipError_tPvRmT3_T4_T5_T6_T7_T9_mT8_P12ihipStream_tbDpT10_ENKUlT_T0_E_clISt17integral_constantIbLb0EES1B_EEDaS16_S17_EUlS16_E_NS1_11comp_targetILNS1_3genE10ELNS1_11target_archE1200ELNS1_3gpuE4ELNS1_3repE0EEENS1_30default_config_static_selectorELNS0_4arch9wavefront6targetE1EEEvT1_ ; -- Begin function _ZN7rocprim17ROCPRIM_400000_NS6detail17trampoline_kernelINS0_14default_configENS1_25partition_config_selectorILNS1_17partition_subalgoE1EsNS0_10empty_typeEbEEZZNS1_14partition_implILS5_1ELb0ES3_jN6thrust23THRUST_200600_302600_NS6detail15normal_iteratorINSA_10device_ptrIsEEEEPS6_NSA_18transform_iteratorI7is_evenIsESF_NSA_11use_defaultESK_EENS0_5tupleIJSF_NSA_16discard_iteratorISK_EEEEENSM_IJSG_SG_EEES6_PlJS6_EEE10hipError_tPvRmT3_T4_T5_T6_T7_T9_mT8_P12ihipStream_tbDpT10_ENKUlT_T0_E_clISt17integral_constantIbLb0EES1B_EEDaS16_S17_EUlS16_E_NS1_11comp_targetILNS1_3genE10ELNS1_11target_archE1200ELNS1_3gpuE4ELNS1_3repE0EEENS1_30default_config_static_selectorELNS0_4arch9wavefront6targetE1EEEvT1_
	.globl	_ZN7rocprim17ROCPRIM_400000_NS6detail17trampoline_kernelINS0_14default_configENS1_25partition_config_selectorILNS1_17partition_subalgoE1EsNS0_10empty_typeEbEEZZNS1_14partition_implILS5_1ELb0ES3_jN6thrust23THRUST_200600_302600_NS6detail15normal_iteratorINSA_10device_ptrIsEEEEPS6_NSA_18transform_iteratorI7is_evenIsESF_NSA_11use_defaultESK_EENS0_5tupleIJSF_NSA_16discard_iteratorISK_EEEEENSM_IJSG_SG_EEES6_PlJS6_EEE10hipError_tPvRmT3_T4_T5_T6_T7_T9_mT8_P12ihipStream_tbDpT10_ENKUlT_T0_E_clISt17integral_constantIbLb0EES1B_EEDaS16_S17_EUlS16_E_NS1_11comp_targetILNS1_3genE10ELNS1_11target_archE1200ELNS1_3gpuE4ELNS1_3repE0EEENS1_30default_config_static_selectorELNS0_4arch9wavefront6targetE1EEEvT1_
	.p2align	8
	.type	_ZN7rocprim17ROCPRIM_400000_NS6detail17trampoline_kernelINS0_14default_configENS1_25partition_config_selectorILNS1_17partition_subalgoE1EsNS0_10empty_typeEbEEZZNS1_14partition_implILS5_1ELb0ES3_jN6thrust23THRUST_200600_302600_NS6detail15normal_iteratorINSA_10device_ptrIsEEEEPS6_NSA_18transform_iteratorI7is_evenIsESF_NSA_11use_defaultESK_EENS0_5tupleIJSF_NSA_16discard_iteratorISK_EEEEENSM_IJSG_SG_EEES6_PlJS6_EEE10hipError_tPvRmT3_T4_T5_T6_T7_T9_mT8_P12ihipStream_tbDpT10_ENKUlT_T0_E_clISt17integral_constantIbLb0EES1B_EEDaS16_S17_EUlS16_E_NS1_11comp_targetILNS1_3genE10ELNS1_11target_archE1200ELNS1_3gpuE4ELNS1_3repE0EEENS1_30default_config_static_selectorELNS0_4arch9wavefront6targetE1EEEvT1_,@function
_ZN7rocprim17ROCPRIM_400000_NS6detail17trampoline_kernelINS0_14default_configENS1_25partition_config_selectorILNS1_17partition_subalgoE1EsNS0_10empty_typeEbEEZZNS1_14partition_implILS5_1ELb0ES3_jN6thrust23THRUST_200600_302600_NS6detail15normal_iteratorINSA_10device_ptrIsEEEEPS6_NSA_18transform_iteratorI7is_evenIsESF_NSA_11use_defaultESK_EENS0_5tupleIJSF_NSA_16discard_iteratorISK_EEEEENSM_IJSG_SG_EEES6_PlJS6_EEE10hipError_tPvRmT3_T4_T5_T6_T7_T9_mT8_P12ihipStream_tbDpT10_ENKUlT_T0_E_clISt17integral_constantIbLb0EES1B_EEDaS16_S17_EUlS16_E_NS1_11comp_targetILNS1_3genE10ELNS1_11target_archE1200ELNS1_3gpuE4ELNS1_3repE0EEENS1_30default_config_static_selectorELNS0_4arch9wavefront6targetE1EEEvT1_: ; @_ZN7rocprim17ROCPRIM_400000_NS6detail17trampoline_kernelINS0_14default_configENS1_25partition_config_selectorILNS1_17partition_subalgoE1EsNS0_10empty_typeEbEEZZNS1_14partition_implILS5_1ELb0ES3_jN6thrust23THRUST_200600_302600_NS6detail15normal_iteratorINSA_10device_ptrIsEEEEPS6_NSA_18transform_iteratorI7is_evenIsESF_NSA_11use_defaultESK_EENS0_5tupleIJSF_NSA_16discard_iteratorISK_EEEEENSM_IJSG_SG_EEES6_PlJS6_EEE10hipError_tPvRmT3_T4_T5_T6_T7_T9_mT8_P12ihipStream_tbDpT10_ENKUlT_T0_E_clISt17integral_constantIbLb0EES1B_EEDaS16_S17_EUlS16_E_NS1_11comp_targetILNS1_3genE10ELNS1_11target_archE1200ELNS1_3gpuE4ELNS1_3repE0EEENS1_30default_config_static_selectorELNS0_4arch9wavefront6targetE1EEEvT1_
; %bb.0:
	.section	.rodata,"a",@progbits
	.p2align	6, 0x0
	.amdhsa_kernel _ZN7rocprim17ROCPRIM_400000_NS6detail17trampoline_kernelINS0_14default_configENS1_25partition_config_selectorILNS1_17partition_subalgoE1EsNS0_10empty_typeEbEEZZNS1_14partition_implILS5_1ELb0ES3_jN6thrust23THRUST_200600_302600_NS6detail15normal_iteratorINSA_10device_ptrIsEEEEPS6_NSA_18transform_iteratorI7is_evenIsESF_NSA_11use_defaultESK_EENS0_5tupleIJSF_NSA_16discard_iteratorISK_EEEEENSM_IJSG_SG_EEES6_PlJS6_EEE10hipError_tPvRmT3_T4_T5_T6_T7_T9_mT8_P12ihipStream_tbDpT10_ENKUlT_T0_E_clISt17integral_constantIbLb0EES1B_EEDaS16_S17_EUlS16_E_NS1_11comp_targetILNS1_3genE10ELNS1_11target_archE1200ELNS1_3gpuE4ELNS1_3repE0EEENS1_30default_config_static_selectorELNS0_4arch9wavefront6targetE1EEEvT1_
		.amdhsa_group_segment_fixed_size 0
		.amdhsa_private_segment_fixed_size 0
		.amdhsa_kernarg_size 136
		.amdhsa_user_sgpr_count 6
		.amdhsa_user_sgpr_private_segment_buffer 1
		.amdhsa_user_sgpr_dispatch_ptr 0
		.amdhsa_user_sgpr_queue_ptr 0
		.amdhsa_user_sgpr_kernarg_segment_ptr 1
		.amdhsa_user_sgpr_dispatch_id 0
		.amdhsa_user_sgpr_flat_scratch_init 0
		.amdhsa_user_sgpr_kernarg_preload_length 0
		.amdhsa_user_sgpr_kernarg_preload_offset 0
		.amdhsa_user_sgpr_private_segment_size 0
		.amdhsa_uses_dynamic_stack 0
		.amdhsa_system_sgpr_private_segment_wavefront_offset 0
		.amdhsa_system_sgpr_workgroup_id_x 1
		.amdhsa_system_sgpr_workgroup_id_y 0
		.amdhsa_system_sgpr_workgroup_id_z 0
		.amdhsa_system_sgpr_workgroup_info 0
		.amdhsa_system_vgpr_workitem_id 0
		.amdhsa_next_free_vgpr 1
		.amdhsa_next_free_sgpr 0
		.amdhsa_accum_offset 4
		.amdhsa_reserve_vcc 0
		.amdhsa_reserve_flat_scratch 0
		.amdhsa_float_round_mode_32 0
		.amdhsa_float_round_mode_16_64 0
		.amdhsa_float_denorm_mode_32 3
		.amdhsa_float_denorm_mode_16_64 3
		.amdhsa_dx10_clamp 1
		.amdhsa_ieee_mode 1
		.amdhsa_fp16_overflow 0
		.amdhsa_tg_split 0
		.amdhsa_exception_fp_ieee_invalid_op 0
		.amdhsa_exception_fp_denorm_src 0
		.amdhsa_exception_fp_ieee_div_zero 0
		.amdhsa_exception_fp_ieee_overflow 0
		.amdhsa_exception_fp_ieee_underflow 0
		.amdhsa_exception_fp_ieee_inexact 0
		.amdhsa_exception_int_div_zero 0
	.end_amdhsa_kernel
	.section	.text._ZN7rocprim17ROCPRIM_400000_NS6detail17trampoline_kernelINS0_14default_configENS1_25partition_config_selectorILNS1_17partition_subalgoE1EsNS0_10empty_typeEbEEZZNS1_14partition_implILS5_1ELb0ES3_jN6thrust23THRUST_200600_302600_NS6detail15normal_iteratorINSA_10device_ptrIsEEEEPS6_NSA_18transform_iteratorI7is_evenIsESF_NSA_11use_defaultESK_EENS0_5tupleIJSF_NSA_16discard_iteratorISK_EEEEENSM_IJSG_SG_EEES6_PlJS6_EEE10hipError_tPvRmT3_T4_T5_T6_T7_T9_mT8_P12ihipStream_tbDpT10_ENKUlT_T0_E_clISt17integral_constantIbLb0EES1B_EEDaS16_S17_EUlS16_E_NS1_11comp_targetILNS1_3genE10ELNS1_11target_archE1200ELNS1_3gpuE4ELNS1_3repE0EEENS1_30default_config_static_selectorELNS0_4arch9wavefront6targetE1EEEvT1_,"axG",@progbits,_ZN7rocprim17ROCPRIM_400000_NS6detail17trampoline_kernelINS0_14default_configENS1_25partition_config_selectorILNS1_17partition_subalgoE1EsNS0_10empty_typeEbEEZZNS1_14partition_implILS5_1ELb0ES3_jN6thrust23THRUST_200600_302600_NS6detail15normal_iteratorINSA_10device_ptrIsEEEEPS6_NSA_18transform_iteratorI7is_evenIsESF_NSA_11use_defaultESK_EENS0_5tupleIJSF_NSA_16discard_iteratorISK_EEEEENSM_IJSG_SG_EEES6_PlJS6_EEE10hipError_tPvRmT3_T4_T5_T6_T7_T9_mT8_P12ihipStream_tbDpT10_ENKUlT_T0_E_clISt17integral_constantIbLb0EES1B_EEDaS16_S17_EUlS16_E_NS1_11comp_targetILNS1_3genE10ELNS1_11target_archE1200ELNS1_3gpuE4ELNS1_3repE0EEENS1_30default_config_static_selectorELNS0_4arch9wavefront6targetE1EEEvT1_,comdat
.Lfunc_end3392:
	.size	_ZN7rocprim17ROCPRIM_400000_NS6detail17trampoline_kernelINS0_14default_configENS1_25partition_config_selectorILNS1_17partition_subalgoE1EsNS0_10empty_typeEbEEZZNS1_14partition_implILS5_1ELb0ES3_jN6thrust23THRUST_200600_302600_NS6detail15normal_iteratorINSA_10device_ptrIsEEEEPS6_NSA_18transform_iteratorI7is_evenIsESF_NSA_11use_defaultESK_EENS0_5tupleIJSF_NSA_16discard_iteratorISK_EEEEENSM_IJSG_SG_EEES6_PlJS6_EEE10hipError_tPvRmT3_T4_T5_T6_T7_T9_mT8_P12ihipStream_tbDpT10_ENKUlT_T0_E_clISt17integral_constantIbLb0EES1B_EEDaS16_S17_EUlS16_E_NS1_11comp_targetILNS1_3genE10ELNS1_11target_archE1200ELNS1_3gpuE4ELNS1_3repE0EEENS1_30default_config_static_selectorELNS0_4arch9wavefront6targetE1EEEvT1_, .Lfunc_end3392-_ZN7rocprim17ROCPRIM_400000_NS6detail17trampoline_kernelINS0_14default_configENS1_25partition_config_selectorILNS1_17partition_subalgoE1EsNS0_10empty_typeEbEEZZNS1_14partition_implILS5_1ELb0ES3_jN6thrust23THRUST_200600_302600_NS6detail15normal_iteratorINSA_10device_ptrIsEEEEPS6_NSA_18transform_iteratorI7is_evenIsESF_NSA_11use_defaultESK_EENS0_5tupleIJSF_NSA_16discard_iteratorISK_EEEEENSM_IJSG_SG_EEES6_PlJS6_EEE10hipError_tPvRmT3_T4_T5_T6_T7_T9_mT8_P12ihipStream_tbDpT10_ENKUlT_T0_E_clISt17integral_constantIbLb0EES1B_EEDaS16_S17_EUlS16_E_NS1_11comp_targetILNS1_3genE10ELNS1_11target_archE1200ELNS1_3gpuE4ELNS1_3repE0EEENS1_30default_config_static_selectorELNS0_4arch9wavefront6targetE1EEEvT1_
                                        ; -- End function
	.section	.AMDGPU.csdata,"",@progbits
; Kernel info:
; codeLenInByte = 0
; NumSgprs: 4
; NumVgprs: 0
; NumAgprs: 0
; TotalNumVgprs: 0
; ScratchSize: 0
; MemoryBound: 0
; FloatMode: 240
; IeeeMode: 1
; LDSByteSize: 0 bytes/workgroup (compile time only)
; SGPRBlocks: 0
; VGPRBlocks: 0
; NumSGPRsForWavesPerEU: 4
; NumVGPRsForWavesPerEU: 1
; AccumOffset: 4
; Occupancy: 8
; WaveLimiterHint : 0
; COMPUTE_PGM_RSRC2:SCRATCH_EN: 0
; COMPUTE_PGM_RSRC2:USER_SGPR: 6
; COMPUTE_PGM_RSRC2:TRAP_HANDLER: 0
; COMPUTE_PGM_RSRC2:TGID_X_EN: 1
; COMPUTE_PGM_RSRC2:TGID_Y_EN: 0
; COMPUTE_PGM_RSRC2:TGID_Z_EN: 0
; COMPUTE_PGM_RSRC2:TIDIG_COMP_CNT: 0
; COMPUTE_PGM_RSRC3_GFX90A:ACCUM_OFFSET: 0
; COMPUTE_PGM_RSRC3_GFX90A:TG_SPLIT: 0
	.section	.text._ZN7rocprim17ROCPRIM_400000_NS6detail17trampoline_kernelINS0_14default_configENS1_25partition_config_selectorILNS1_17partition_subalgoE1EsNS0_10empty_typeEbEEZZNS1_14partition_implILS5_1ELb0ES3_jN6thrust23THRUST_200600_302600_NS6detail15normal_iteratorINSA_10device_ptrIsEEEEPS6_NSA_18transform_iteratorI7is_evenIsESF_NSA_11use_defaultESK_EENS0_5tupleIJSF_NSA_16discard_iteratorISK_EEEEENSM_IJSG_SG_EEES6_PlJS6_EEE10hipError_tPvRmT3_T4_T5_T6_T7_T9_mT8_P12ihipStream_tbDpT10_ENKUlT_T0_E_clISt17integral_constantIbLb0EES1B_EEDaS16_S17_EUlS16_E_NS1_11comp_targetILNS1_3genE9ELNS1_11target_archE1100ELNS1_3gpuE3ELNS1_3repE0EEENS1_30default_config_static_selectorELNS0_4arch9wavefront6targetE1EEEvT1_,"axG",@progbits,_ZN7rocprim17ROCPRIM_400000_NS6detail17trampoline_kernelINS0_14default_configENS1_25partition_config_selectorILNS1_17partition_subalgoE1EsNS0_10empty_typeEbEEZZNS1_14partition_implILS5_1ELb0ES3_jN6thrust23THRUST_200600_302600_NS6detail15normal_iteratorINSA_10device_ptrIsEEEEPS6_NSA_18transform_iteratorI7is_evenIsESF_NSA_11use_defaultESK_EENS0_5tupleIJSF_NSA_16discard_iteratorISK_EEEEENSM_IJSG_SG_EEES6_PlJS6_EEE10hipError_tPvRmT3_T4_T5_T6_T7_T9_mT8_P12ihipStream_tbDpT10_ENKUlT_T0_E_clISt17integral_constantIbLb0EES1B_EEDaS16_S17_EUlS16_E_NS1_11comp_targetILNS1_3genE9ELNS1_11target_archE1100ELNS1_3gpuE3ELNS1_3repE0EEENS1_30default_config_static_selectorELNS0_4arch9wavefront6targetE1EEEvT1_,comdat
	.protected	_ZN7rocprim17ROCPRIM_400000_NS6detail17trampoline_kernelINS0_14default_configENS1_25partition_config_selectorILNS1_17partition_subalgoE1EsNS0_10empty_typeEbEEZZNS1_14partition_implILS5_1ELb0ES3_jN6thrust23THRUST_200600_302600_NS6detail15normal_iteratorINSA_10device_ptrIsEEEEPS6_NSA_18transform_iteratorI7is_evenIsESF_NSA_11use_defaultESK_EENS0_5tupleIJSF_NSA_16discard_iteratorISK_EEEEENSM_IJSG_SG_EEES6_PlJS6_EEE10hipError_tPvRmT3_T4_T5_T6_T7_T9_mT8_P12ihipStream_tbDpT10_ENKUlT_T0_E_clISt17integral_constantIbLb0EES1B_EEDaS16_S17_EUlS16_E_NS1_11comp_targetILNS1_3genE9ELNS1_11target_archE1100ELNS1_3gpuE3ELNS1_3repE0EEENS1_30default_config_static_selectorELNS0_4arch9wavefront6targetE1EEEvT1_ ; -- Begin function _ZN7rocprim17ROCPRIM_400000_NS6detail17trampoline_kernelINS0_14default_configENS1_25partition_config_selectorILNS1_17partition_subalgoE1EsNS0_10empty_typeEbEEZZNS1_14partition_implILS5_1ELb0ES3_jN6thrust23THRUST_200600_302600_NS6detail15normal_iteratorINSA_10device_ptrIsEEEEPS6_NSA_18transform_iteratorI7is_evenIsESF_NSA_11use_defaultESK_EENS0_5tupleIJSF_NSA_16discard_iteratorISK_EEEEENSM_IJSG_SG_EEES6_PlJS6_EEE10hipError_tPvRmT3_T4_T5_T6_T7_T9_mT8_P12ihipStream_tbDpT10_ENKUlT_T0_E_clISt17integral_constantIbLb0EES1B_EEDaS16_S17_EUlS16_E_NS1_11comp_targetILNS1_3genE9ELNS1_11target_archE1100ELNS1_3gpuE3ELNS1_3repE0EEENS1_30default_config_static_selectorELNS0_4arch9wavefront6targetE1EEEvT1_
	.globl	_ZN7rocprim17ROCPRIM_400000_NS6detail17trampoline_kernelINS0_14default_configENS1_25partition_config_selectorILNS1_17partition_subalgoE1EsNS0_10empty_typeEbEEZZNS1_14partition_implILS5_1ELb0ES3_jN6thrust23THRUST_200600_302600_NS6detail15normal_iteratorINSA_10device_ptrIsEEEEPS6_NSA_18transform_iteratorI7is_evenIsESF_NSA_11use_defaultESK_EENS0_5tupleIJSF_NSA_16discard_iteratorISK_EEEEENSM_IJSG_SG_EEES6_PlJS6_EEE10hipError_tPvRmT3_T4_T5_T6_T7_T9_mT8_P12ihipStream_tbDpT10_ENKUlT_T0_E_clISt17integral_constantIbLb0EES1B_EEDaS16_S17_EUlS16_E_NS1_11comp_targetILNS1_3genE9ELNS1_11target_archE1100ELNS1_3gpuE3ELNS1_3repE0EEENS1_30default_config_static_selectorELNS0_4arch9wavefront6targetE1EEEvT1_
	.p2align	8
	.type	_ZN7rocprim17ROCPRIM_400000_NS6detail17trampoline_kernelINS0_14default_configENS1_25partition_config_selectorILNS1_17partition_subalgoE1EsNS0_10empty_typeEbEEZZNS1_14partition_implILS5_1ELb0ES3_jN6thrust23THRUST_200600_302600_NS6detail15normal_iteratorINSA_10device_ptrIsEEEEPS6_NSA_18transform_iteratorI7is_evenIsESF_NSA_11use_defaultESK_EENS0_5tupleIJSF_NSA_16discard_iteratorISK_EEEEENSM_IJSG_SG_EEES6_PlJS6_EEE10hipError_tPvRmT3_T4_T5_T6_T7_T9_mT8_P12ihipStream_tbDpT10_ENKUlT_T0_E_clISt17integral_constantIbLb0EES1B_EEDaS16_S17_EUlS16_E_NS1_11comp_targetILNS1_3genE9ELNS1_11target_archE1100ELNS1_3gpuE3ELNS1_3repE0EEENS1_30default_config_static_selectorELNS0_4arch9wavefront6targetE1EEEvT1_,@function
_ZN7rocprim17ROCPRIM_400000_NS6detail17trampoline_kernelINS0_14default_configENS1_25partition_config_selectorILNS1_17partition_subalgoE1EsNS0_10empty_typeEbEEZZNS1_14partition_implILS5_1ELb0ES3_jN6thrust23THRUST_200600_302600_NS6detail15normal_iteratorINSA_10device_ptrIsEEEEPS6_NSA_18transform_iteratorI7is_evenIsESF_NSA_11use_defaultESK_EENS0_5tupleIJSF_NSA_16discard_iteratorISK_EEEEENSM_IJSG_SG_EEES6_PlJS6_EEE10hipError_tPvRmT3_T4_T5_T6_T7_T9_mT8_P12ihipStream_tbDpT10_ENKUlT_T0_E_clISt17integral_constantIbLb0EES1B_EEDaS16_S17_EUlS16_E_NS1_11comp_targetILNS1_3genE9ELNS1_11target_archE1100ELNS1_3gpuE3ELNS1_3repE0EEENS1_30default_config_static_selectorELNS0_4arch9wavefront6targetE1EEEvT1_: ; @_ZN7rocprim17ROCPRIM_400000_NS6detail17trampoline_kernelINS0_14default_configENS1_25partition_config_selectorILNS1_17partition_subalgoE1EsNS0_10empty_typeEbEEZZNS1_14partition_implILS5_1ELb0ES3_jN6thrust23THRUST_200600_302600_NS6detail15normal_iteratorINSA_10device_ptrIsEEEEPS6_NSA_18transform_iteratorI7is_evenIsESF_NSA_11use_defaultESK_EENS0_5tupleIJSF_NSA_16discard_iteratorISK_EEEEENSM_IJSG_SG_EEES6_PlJS6_EEE10hipError_tPvRmT3_T4_T5_T6_T7_T9_mT8_P12ihipStream_tbDpT10_ENKUlT_T0_E_clISt17integral_constantIbLb0EES1B_EEDaS16_S17_EUlS16_E_NS1_11comp_targetILNS1_3genE9ELNS1_11target_archE1100ELNS1_3gpuE3ELNS1_3repE0EEENS1_30default_config_static_selectorELNS0_4arch9wavefront6targetE1EEEvT1_
; %bb.0:
	.section	.rodata,"a",@progbits
	.p2align	6, 0x0
	.amdhsa_kernel _ZN7rocprim17ROCPRIM_400000_NS6detail17trampoline_kernelINS0_14default_configENS1_25partition_config_selectorILNS1_17partition_subalgoE1EsNS0_10empty_typeEbEEZZNS1_14partition_implILS5_1ELb0ES3_jN6thrust23THRUST_200600_302600_NS6detail15normal_iteratorINSA_10device_ptrIsEEEEPS6_NSA_18transform_iteratorI7is_evenIsESF_NSA_11use_defaultESK_EENS0_5tupleIJSF_NSA_16discard_iteratorISK_EEEEENSM_IJSG_SG_EEES6_PlJS6_EEE10hipError_tPvRmT3_T4_T5_T6_T7_T9_mT8_P12ihipStream_tbDpT10_ENKUlT_T0_E_clISt17integral_constantIbLb0EES1B_EEDaS16_S17_EUlS16_E_NS1_11comp_targetILNS1_3genE9ELNS1_11target_archE1100ELNS1_3gpuE3ELNS1_3repE0EEENS1_30default_config_static_selectorELNS0_4arch9wavefront6targetE1EEEvT1_
		.amdhsa_group_segment_fixed_size 0
		.amdhsa_private_segment_fixed_size 0
		.amdhsa_kernarg_size 136
		.amdhsa_user_sgpr_count 6
		.amdhsa_user_sgpr_private_segment_buffer 1
		.amdhsa_user_sgpr_dispatch_ptr 0
		.amdhsa_user_sgpr_queue_ptr 0
		.amdhsa_user_sgpr_kernarg_segment_ptr 1
		.amdhsa_user_sgpr_dispatch_id 0
		.amdhsa_user_sgpr_flat_scratch_init 0
		.amdhsa_user_sgpr_kernarg_preload_length 0
		.amdhsa_user_sgpr_kernarg_preload_offset 0
		.amdhsa_user_sgpr_private_segment_size 0
		.amdhsa_uses_dynamic_stack 0
		.amdhsa_system_sgpr_private_segment_wavefront_offset 0
		.amdhsa_system_sgpr_workgroup_id_x 1
		.amdhsa_system_sgpr_workgroup_id_y 0
		.amdhsa_system_sgpr_workgroup_id_z 0
		.amdhsa_system_sgpr_workgroup_info 0
		.amdhsa_system_vgpr_workitem_id 0
		.amdhsa_next_free_vgpr 1
		.amdhsa_next_free_sgpr 0
		.amdhsa_accum_offset 4
		.amdhsa_reserve_vcc 0
		.amdhsa_reserve_flat_scratch 0
		.amdhsa_float_round_mode_32 0
		.amdhsa_float_round_mode_16_64 0
		.amdhsa_float_denorm_mode_32 3
		.amdhsa_float_denorm_mode_16_64 3
		.amdhsa_dx10_clamp 1
		.amdhsa_ieee_mode 1
		.amdhsa_fp16_overflow 0
		.amdhsa_tg_split 0
		.amdhsa_exception_fp_ieee_invalid_op 0
		.amdhsa_exception_fp_denorm_src 0
		.amdhsa_exception_fp_ieee_div_zero 0
		.amdhsa_exception_fp_ieee_overflow 0
		.amdhsa_exception_fp_ieee_underflow 0
		.amdhsa_exception_fp_ieee_inexact 0
		.amdhsa_exception_int_div_zero 0
	.end_amdhsa_kernel
	.section	.text._ZN7rocprim17ROCPRIM_400000_NS6detail17trampoline_kernelINS0_14default_configENS1_25partition_config_selectorILNS1_17partition_subalgoE1EsNS0_10empty_typeEbEEZZNS1_14partition_implILS5_1ELb0ES3_jN6thrust23THRUST_200600_302600_NS6detail15normal_iteratorINSA_10device_ptrIsEEEEPS6_NSA_18transform_iteratorI7is_evenIsESF_NSA_11use_defaultESK_EENS0_5tupleIJSF_NSA_16discard_iteratorISK_EEEEENSM_IJSG_SG_EEES6_PlJS6_EEE10hipError_tPvRmT3_T4_T5_T6_T7_T9_mT8_P12ihipStream_tbDpT10_ENKUlT_T0_E_clISt17integral_constantIbLb0EES1B_EEDaS16_S17_EUlS16_E_NS1_11comp_targetILNS1_3genE9ELNS1_11target_archE1100ELNS1_3gpuE3ELNS1_3repE0EEENS1_30default_config_static_selectorELNS0_4arch9wavefront6targetE1EEEvT1_,"axG",@progbits,_ZN7rocprim17ROCPRIM_400000_NS6detail17trampoline_kernelINS0_14default_configENS1_25partition_config_selectorILNS1_17partition_subalgoE1EsNS0_10empty_typeEbEEZZNS1_14partition_implILS5_1ELb0ES3_jN6thrust23THRUST_200600_302600_NS6detail15normal_iteratorINSA_10device_ptrIsEEEEPS6_NSA_18transform_iteratorI7is_evenIsESF_NSA_11use_defaultESK_EENS0_5tupleIJSF_NSA_16discard_iteratorISK_EEEEENSM_IJSG_SG_EEES6_PlJS6_EEE10hipError_tPvRmT3_T4_T5_T6_T7_T9_mT8_P12ihipStream_tbDpT10_ENKUlT_T0_E_clISt17integral_constantIbLb0EES1B_EEDaS16_S17_EUlS16_E_NS1_11comp_targetILNS1_3genE9ELNS1_11target_archE1100ELNS1_3gpuE3ELNS1_3repE0EEENS1_30default_config_static_selectorELNS0_4arch9wavefront6targetE1EEEvT1_,comdat
.Lfunc_end3393:
	.size	_ZN7rocprim17ROCPRIM_400000_NS6detail17trampoline_kernelINS0_14default_configENS1_25partition_config_selectorILNS1_17partition_subalgoE1EsNS0_10empty_typeEbEEZZNS1_14partition_implILS5_1ELb0ES3_jN6thrust23THRUST_200600_302600_NS6detail15normal_iteratorINSA_10device_ptrIsEEEEPS6_NSA_18transform_iteratorI7is_evenIsESF_NSA_11use_defaultESK_EENS0_5tupleIJSF_NSA_16discard_iteratorISK_EEEEENSM_IJSG_SG_EEES6_PlJS6_EEE10hipError_tPvRmT3_T4_T5_T6_T7_T9_mT8_P12ihipStream_tbDpT10_ENKUlT_T0_E_clISt17integral_constantIbLb0EES1B_EEDaS16_S17_EUlS16_E_NS1_11comp_targetILNS1_3genE9ELNS1_11target_archE1100ELNS1_3gpuE3ELNS1_3repE0EEENS1_30default_config_static_selectorELNS0_4arch9wavefront6targetE1EEEvT1_, .Lfunc_end3393-_ZN7rocprim17ROCPRIM_400000_NS6detail17trampoline_kernelINS0_14default_configENS1_25partition_config_selectorILNS1_17partition_subalgoE1EsNS0_10empty_typeEbEEZZNS1_14partition_implILS5_1ELb0ES3_jN6thrust23THRUST_200600_302600_NS6detail15normal_iteratorINSA_10device_ptrIsEEEEPS6_NSA_18transform_iteratorI7is_evenIsESF_NSA_11use_defaultESK_EENS0_5tupleIJSF_NSA_16discard_iteratorISK_EEEEENSM_IJSG_SG_EEES6_PlJS6_EEE10hipError_tPvRmT3_T4_T5_T6_T7_T9_mT8_P12ihipStream_tbDpT10_ENKUlT_T0_E_clISt17integral_constantIbLb0EES1B_EEDaS16_S17_EUlS16_E_NS1_11comp_targetILNS1_3genE9ELNS1_11target_archE1100ELNS1_3gpuE3ELNS1_3repE0EEENS1_30default_config_static_selectorELNS0_4arch9wavefront6targetE1EEEvT1_
                                        ; -- End function
	.section	.AMDGPU.csdata,"",@progbits
; Kernel info:
; codeLenInByte = 0
; NumSgprs: 4
; NumVgprs: 0
; NumAgprs: 0
; TotalNumVgprs: 0
; ScratchSize: 0
; MemoryBound: 0
; FloatMode: 240
; IeeeMode: 1
; LDSByteSize: 0 bytes/workgroup (compile time only)
; SGPRBlocks: 0
; VGPRBlocks: 0
; NumSGPRsForWavesPerEU: 4
; NumVGPRsForWavesPerEU: 1
; AccumOffset: 4
; Occupancy: 8
; WaveLimiterHint : 0
; COMPUTE_PGM_RSRC2:SCRATCH_EN: 0
; COMPUTE_PGM_RSRC2:USER_SGPR: 6
; COMPUTE_PGM_RSRC2:TRAP_HANDLER: 0
; COMPUTE_PGM_RSRC2:TGID_X_EN: 1
; COMPUTE_PGM_RSRC2:TGID_Y_EN: 0
; COMPUTE_PGM_RSRC2:TGID_Z_EN: 0
; COMPUTE_PGM_RSRC2:TIDIG_COMP_CNT: 0
; COMPUTE_PGM_RSRC3_GFX90A:ACCUM_OFFSET: 0
; COMPUTE_PGM_RSRC3_GFX90A:TG_SPLIT: 0
	.section	.text._ZN7rocprim17ROCPRIM_400000_NS6detail17trampoline_kernelINS0_14default_configENS1_25partition_config_selectorILNS1_17partition_subalgoE1EsNS0_10empty_typeEbEEZZNS1_14partition_implILS5_1ELb0ES3_jN6thrust23THRUST_200600_302600_NS6detail15normal_iteratorINSA_10device_ptrIsEEEEPS6_NSA_18transform_iteratorI7is_evenIsESF_NSA_11use_defaultESK_EENS0_5tupleIJSF_NSA_16discard_iteratorISK_EEEEENSM_IJSG_SG_EEES6_PlJS6_EEE10hipError_tPvRmT3_T4_T5_T6_T7_T9_mT8_P12ihipStream_tbDpT10_ENKUlT_T0_E_clISt17integral_constantIbLb0EES1B_EEDaS16_S17_EUlS16_E_NS1_11comp_targetILNS1_3genE8ELNS1_11target_archE1030ELNS1_3gpuE2ELNS1_3repE0EEENS1_30default_config_static_selectorELNS0_4arch9wavefront6targetE1EEEvT1_,"axG",@progbits,_ZN7rocprim17ROCPRIM_400000_NS6detail17trampoline_kernelINS0_14default_configENS1_25partition_config_selectorILNS1_17partition_subalgoE1EsNS0_10empty_typeEbEEZZNS1_14partition_implILS5_1ELb0ES3_jN6thrust23THRUST_200600_302600_NS6detail15normal_iteratorINSA_10device_ptrIsEEEEPS6_NSA_18transform_iteratorI7is_evenIsESF_NSA_11use_defaultESK_EENS0_5tupleIJSF_NSA_16discard_iteratorISK_EEEEENSM_IJSG_SG_EEES6_PlJS6_EEE10hipError_tPvRmT3_T4_T5_T6_T7_T9_mT8_P12ihipStream_tbDpT10_ENKUlT_T0_E_clISt17integral_constantIbLb0EES1B_EEDaS16_S17_EUlS16_E_NS1_11comp_targetILNS1_3genE8ELNS1_11target_archE1030ELNS1_3gpuE2ELNS1_3repE0EEENS1_30default_config_static_selectorELNS0_4arch9wavefront6targetE1EEEvT1_,comdat
	.protected	_ZN7rocprim17ROCPRIM_400000_NS6detail17trampoline_kernelINS0_14default_configENS1_25partition_config_selectorILNS1_17partition_subalgoE1EsNS0_10empty_typeEbEEZZNS1_14partition_implILS5_1ELb0ES3_jN6thrust23THRUST_200600_302600_NS6detail15normal_iteratorINSA_10device_ptrIsEEEEPS6_NSA_18transform_iteratorI7is_evenIsESF_NSA_11use_defaultESK_EENS0_5tupleIJSF_NSA_16discard_iteratorISK_EEEEENSM_IJSG_SG_EEES6_PlJS6_EEE10hipError_tPvRmT3_T4_T5_T6_T7_T9_mT8_P12ihipStream_tbDpT10_ENKUlT_T0_E_clISt17integral_constantIbLb0EES1B_EEDaS16_S17_EUlS16_E_NS1_11comp_targetILNS1_3genE8ELNS1_11target_archE1030ELNS1_3gpuE2ELNS1_3repE0EEENS1_30default_config_static_selectorELNS0_4arch9wavefront6targetE1EEEvT1_ ; -- Begin function _ZN7rocprim17ROCPRIM_400000_NS6detail17trampoline_kernelINS0_14default_configENS1_25partition_config_selectorILNS1_17partition_subalgoE1EsNS0_10empty_typeEbEEZZNS1_14partition_implILS5_1ELb0ES3_jN6thrust23THRUST_200600_302600_NS6detail15normal_iteratorINSA_10device_ptrIsEEEEPS6_NSA_18transform_iteratorI7is_evenIsESF_NSA_11use_defaultESK_EENS0_5tupleIJSF_NSA_16discard_iteratorISK_EEEEENSM_IJSG_SG_EEES6_PlJS6_EEE10hipError_tPvRmT3_T4_T5_T6_T7_T9_mT8_P12ihipStream_tbDpT10_ENKUlT_T0_E_clISt17integral_constantIbLb0EES1B_EEDaS16_S17_EUlS16_E_NS1_11comp_targetILNS1_3genE8ELNS1_11target_archE1030ELNS1_3gpuE2ELNS1_3repE0EEENS1_30default_config_static_selectorELNS0_4arch9wavefront6targetE1EEEvT1_
	.globl	_ZN7rocprim17ROCPRIM_400000_NS6detail17trampoline_kernelINS0_14default_configENS1_25partition_config_selectorILNS1_17partition_subalgoE1EsNS0_10empty_typeEbEEZZNS1_14partition_implILS5_1ELb0ES3_jN6thrust23THRUST_200600_302600_NS6detail15normal_iteratorINSA_10device_ptrIsEEEEPS6_NSA_18transform_iteratorI7is_evenIsESF_NSA_11use_defaultESK_EENS0_5tupleIJSF_NSA_16discard_iteratorISK_EEEEENSM_IJSG_SG_EEES6_PlJS6_EEE10hipError_tPvRmT3_T4_T5_T6_T7_T9_mT8_P12ihipStream_tbDpT10_ENKUlT_T0_E_clISt17integral_constantIbLb0EES1B_EEDaS16_S17_EUlS16_E_NS1_11comp_targetILNS1_3genE8ELNS1_11target_archE1030ELNS1_3gpuE2ELNS1_3repE0EEENS1_30default_config_static_selectorELNS0_4arch9wavefront6targetE1EEEvT1_
	.p2align	8
	.type	_ZN7rocprim17ROCPRIM_400000_NS6detail17trampoline_kernelINS0_14default_configENS1_25partition_config_selectorILNS1_17partition_subalgoE1EsNS0_10empty_typeEbEEZZNS1_14partition_implILS5_1ELb0ES3_jN6thrust23THRUST_200600_302600_NS6detail15normal_iteratorINSA_10device_ptrIsEEEEPS6_NSA_18transform_iteratorI7is_evenIsESF_NSA_11use_defaultESK_EENS0_5tupleIJSF_NSA_16discard_iteratorISK_EEEEENSM_IJSG_SG_EEES6_PlJS6_EEE10hipError_tPvRmT3_T4_T5_T6_T7_T9_mT8_P12ihipStream_tbDpT10_ENKUlT_T0_E_clISt17integral_constantIbLb0EES1B_EEDaS16_S17_EUlS16_E_NS1_11comp_targetILNS1_3genE8ELNS1_11target_archE1030ELNS1_3gpuE2ELNS1_3repE0EEENS1_30default_config_static_selectorELNS0_4arch9wavefront6targetE1EEEvT1_,@function
_ZN7rocprim17ROCPRIM_400000_NS6detail17trampoline_kernelINS0_14default_configENS1_25partition_config_selectorILNS1_17partition_subalgoE1EsNS0_10empty_typeEbEEZZNS1_14partition_implILS5_1ELb0ES3_jN6thrust23THRUST_200600_302600_NS6detail15normal_iteratorINSA_10device_ptrIsEEEEPS6_NSA_18transform_iteratorI7is_evenIsESF_NSA_11use_defaultESK_EENS0_5tupleIJSF_NSA_16discard_iteratorISK_EEEEENSM_IJSG_SG_EEES6_PlJS6_EEE10hipError_tPvRmT3_T4_T5_T6_T7_T9_mT8_P12ihipStream_tbDpT10_ENKUlT_T0_E_clISt17integral_constantIbLb0EES1B_EEDaS16_S17_EUlS16_E_NS1_11comp_targetILNS1_3genE8ELNS1_11target_archE1030ELNS1_3gpuE2ELNS1_3repE0EEENS1_30default_config_static_selectorELNS0_4arch9wavefront6targetE1EEEvT1_: ; @_ZN7rocprim17ROCPRIM_400000_NS6detail17trampoline_kernelINS0_14default_configENS1_25partition_config_selectorILNS1_17partition_subalgoE1EsNS0_10empty_typeEbEEZZNS1_14partition_implILS5_1ELb0ES3_jN6thrust23THRUST_200600_302600_NS6detail15normal_iteratorINSA_10device_ptrIsEEEEPS6_NSA_18transform_iteratorI7is_evenIsESF_NSA_11use_defaultESK_EENS0_5tupleIJSF_NSA_16discard_iteratorISK_EEEEENSM_IJSG_SG_EEES6_PlJS6_EEE10hipError_tPvRmT3_T4_T5_T6_T7_T9_mT8_P12ihipStream_tbDpT10_ENKUlT_T0_E_clISt17integral_constantIbLb0EES1B_EEDaS16_S17_EUlS16_E_NS1_11comp_targetILNS1_3genE8ELNS1_11target_archE1030ELNS1_3gpuE2ELNS1_3repE0EEENS1_30default_config_static_selectorELNS0_4arch9wavefront6targetE1EEEvT1_
; %bb.0:
	.section	.rodata,"a",@progbits
	.p2align	6, 0x0
	.amdhsa_kernel _ZN7rocprim17ROCPRIM_400000_NS6detail17trampoline_kernelINS0_14default_configENS1_25partition_config_selectorILNS1_17partition_subalgoE1EsNS0_10empty_typeEbEEZZNS1_14partition_implILS5_1ELb0ES3_jN6thrust23THRUST_200600_302600_NS6detail15normal_iteratorINSA_10device_ptrIsEEEEPS6_NSA_18transform_iteratorI7is_evenIsESF_NSA_11use_defaultESK_EENS0_5tupleIJSF_NSA_16discard_iteratorISK_EEEEENSM_IJSG_SG_EEES6_PlJS6_EEE10hipError_tPvRmT3_T4_T5_T6_T7_T9_mT8_P12ihipStream_tbDpT10_ENKUlT_T0_E_clISt17integral_constantIbLb0EES1B_EEDaS16_S17_EUlS16_E_NS1_11comp_targetILNS1_3genE8ELNS1_11target_archE1030ELNS1_3gpuE2ELNS1_3repE0EEENS1_30default_config_static_selectorELNS0_4arch9wavefront6targetE1EEEvT1_
		.amdhsa_group_segment_fixed_size 0
		.amdhsa_private_segment_fixed_size 0
		.amdhsa_kernarg_size 136
		.amdhsa_user_sgpr_count 6
		.amdhsa_user_sgpr_private_segment_buffer 1
		.amdhsa_user_sgpr_dispatch_ptr 0
		.amdhsa_user_sgpr_queue_ptr 0
		.amdhsa_user_sgpr_kernarg_segment_ptr 1
		.amdhsa_user_sgpr_dispatch_id 0
		.amdhsa_user_sgpr_flat_scratch_init 0
		.amdhsa_user_sgpr_kernarg_preload_length 0
		.amdhsa_user_sgpr_kernarg_preload_offset 0
		.amdhsa_user_sgpr_private_segment_size 0
		.amdhsa_uses_dynamic_stack 0
		.amdhsa_system_sgpr_private_segment_wavefront_offset 0
		.amdhsa_system_sgpr_workgroup_id_x 1
		.amdhsa_system_sgpr_workgroup_id_y 0
		.amdhsa_system_sgpr_workgroup_id_z 0
		.amdhsa_system_sgpr_workgroup_info 0
		.amdhsa_system_vgpr_workitem_id 0
		.amdhsa_next_free_vgpr 1
		.amdhsa_next_free_sgpr 0
		.amdhsa_accum_offset 4
		.amdhsa_reserve_vcc 0
		.amdhsa_reserve_flat_scratch 0
		.amdhsa_float_round_mode_32 0
		.amdhsa_float_round_mode_16_64 0
		.amdhsa_float_denorm_mode_32 3
		.amdhsa_float_denorm_mode_16_64 3
		.amdhsa_dx10_clamp 1
		.amdhsa_ieee_mode 1
		.amdhsa_fp16_overflow 0
		.amdhsa_tg_split 0
		.amdhsa_exception_fp_ieee_invalid_op 0
		.amdhsa_exception_fp_denorm_src 0
		.amdhsa_exception_fp_ieee_div_zero 0
		.amdhsa_exception_fp_ieee_overflow 0
		.amdhsa_exception_fp_ieee_underflow 0
		.amdhsa_exception_fp_ieee_inexact 0
		.amdhsa_exception_int_div_zero 0
	.end_amdhsa_kernel
	.section	.text._ZN7rocprim17ROCPRIM_400000_NS6detail17trampoline_kernelINS0_14default_configENS1_25partition_config_selectorILNS1_17partition_subalgoE1EsNS0_10empty_typeEbEEZZNS1_14partition_implILS5_1ELb0ES3_jN6thrust23THRUST_200600_302600_NS6detail15normal_iteratorINSA_10device_ptrIsEEEEPS6_NSA_18transform_iteratorI7is_evenIsESF_NSA_11use_defaultESK_EENS0_5tupleIJSF_NSA_16discard_iteratorISK_EEEEENSM_IJSG_SG_EEES6_PlJS6_EEE10hipError_tPvRmT3_T4_T5_T6_T7_T9_mT8_P12ihipStream_tbDpT10_ENKUlT_T0_E_clISt17integral_constantIbLb0EES1B_EEDaS16_S17_EUlS16_E_NS1_11comp_targetILNS1_3genE8ELNS1_11target_archE1030ELNS1_3gpuE2ELNS1_3repE0EEENS1_30default_config_static_selectorELNS0_4arch9wavefront6targetE1EEEvT1_,"axG",@progbits,_ZN7rocprim17ROCPRIM_400000_NS6detail17trampoline_kernelINS0_14default_configENS1_25partition_config_selectorILNS1_17partition_subalgoE1EsNS0_10empty_typeEbEEZZNS1_14partition_implILS5_1ELb0ES3_jN6thrust23THRUST_200600_302600_NS6detail15normal_iteratorINSA_10device_ptrIsEEEEPS6_NSA_18transform_iteratorI7is_evenIsESF_NSA_11use_defaultESK_EENS0_5tupleIJSF_NSA_16discard_iteratorISK_EEEEENSM_IJSG_SG_EEES6_PlJS6_EEE10hipError_tPvRmT3_T4_T5_T6_T7_T9_mT8_P12ihipStream_tbDpT10_ENKUlT_T0_E_clISt17integral_constantIbLb0EES1B_EEDaS16_S17_EUlS16_E_NS1_11comp_targetILNS1_3genE8ELNS1_11target_archE1030ELNS1_3gpuE2ELNS1_3repE0EEENS1_30default_config_static_selectorELNS0_4arch9wavefront6targetE1EEEvT1_,comdat
.Lfunc_end3394:
	.size	_ZN7rocprim17ROCPRIM_400000_NS6detail17trampoline_kernelINS0_14default_configENS1_25partition_config_selectorILNS1_17partition_subalgoE1EsNS0_10empty_typeEbEEZZNS1_14partition_implILS5_1ELb0ES3_jN6thrust23THRUST_200600_302600_NS6detail15normal_iteratorINSA_10device_ptrIsEEEEPS6_NSA_18transform_iteratorI7is_evenIsESF_NSA_11use_defaultESK_EENS0_5tupleIJSF_NSA_16discard_iteratorISK_EEEEENSM_IJSG_SG_EEES6_PlJS6_EEE10hipError_tPvRmT3_T4_T5_T6_T7_T9_mT8_P12ihipStream_tbDpT10_ENKUlT_T0_E_clISt17integral_constantIbLb0EES1B_EEDaS16_S17_EUlS16_E_NS1_11comp_targetILNS1_3genE8ELNS1_11target_archE1030ELNS1_3gpuE2ELNS1_3repE0EEENS1_30default_config_static_selectorELNS0_4arch9wavefront6targetE1EEEvT1_, .Lfunc_end3394-_ZN7rocprim17ROCPRIM_400000_NS6detail17trampoline_kernelINS0_14default_configENS1_25partition_config_selectorILNS1_17partition_subalgoE1EsNS0_10empty_typeEbEEZZNS1_14partition_implILS5_1ELb0ES3_jN6thrust23THRUST_200600_302600_NS6detail15normal_iteratorINSA_10device_ptrIsEEEEPS6_NSA_18transform_iteratorI7is_evenIsESF_NSA_11use_defaultESK_EENS0_5tupleIJSF_NSA_16discard_iteratorISK_EEEEENSM_IJSG_SG_EEES6_PlJS6_EEE10hipError_tPvRmT3_T4_T5_T6_T7_T9_mT8_P12ihipStream_tbDpT10_ENKUlT_T0_E_clISt17integral_constantIbLb0EES1B_EEDaS16_S17_EUlS16_E_NS1_11comp_targetILNS1_3genE8ELNS1_11target_archE1030ELNS1_3gpuE2ELNS1_3repE0EEENS1_30default_config_static_selectorELNS0_4arch9wavefront6targetE1EEEvT1_
                                        ; -- End function
	.section	.AMDGPU.csdata,"",@progbits
; Kernel info:
; codeLenInByte = 0
; NumSgprs: 4
; NumVgprs: 0
; NumAgprs: 0
; TotalNumVgprs: 0
; ScratchSize: 0
; MemoryBound: 0
; FloatMode: 240
; IeeeMode: 1
; LDSByteSize: 0 bytes/workgroup (compile time only)
; SGPRBlocks: 0
; VGPRBlocks: 0
; NumSGPRsForWavesPerEU: 4
; NumVGPRsForWavesPerEU: 1
; AccumOffset: 4
; Occupancy: 8
; WaveLimiterHint : 0
; COMPUTE_PGM_RSRC2:SCRATCH_EN: 0
; COMPUTE_PGM_RSRC2:USER_SGPR: 6
; COMPUTE_PGM_RSRC2:TRAP_HANDLER: 0
; COMPUTE_PGM_RSRC2:TGID_X_EN: 1
; COMPUTE_PGM_RSRC2:TGID_Y_EN: 0
; COMPUTE_PGM_RSRC2:TGID_Z_EN: 0
; COMPUTE_PGM_RSRC2:TIDIG_COMP_CNT: 0
; COMPUTE_PGM_RSRC3_GFX90A:ACCUM_OFFSET: 0
; COMPUTE_PGM_RSRC3_GFX90A:TG_SPLIT: 0
	.section	.text._ZN7rocprim17ROCPRIM_400000_NS6detail17trampoline_kernelINS0_14default_configENS1_25partition_config_selectorILNS1_17partition_subalgoE1EsNS0_10empty_typeEbEEZZNS1_14partition_implILS5_1ELb0ES3_jN6thrust23THRUST_200600_302600_NS6detail15normal_iteratorINSA_10device_ptrIsEEEEPS6_NSA_18transform_iteratorI7is_evenIsESF_NSA_11use_defaultESK_EENS0_5tupleIJSF_NSA_16discard_iteratorISK_EEEEENSM_IJSG_SG_EEES6_PlJS6_EEE10hipError_tPvRmT3_T4_T5_T6_T7_T9_mT8_P12ihipStream_tbDpT10_ENKUlT_T0_E_clISt17integral_constantIbLb1EES1B_EEDaS16_S17_EUlS16_E_NS1_11comp_targetILNS1_3genE0ELNS1_11target_archE4294967295ELNS1_3gpuE0ELNS1_3repE0EEENS1_30default_config_static_selectorELNS0_4arch9wavefront6targetE1EEEvT1_,"axG",@progbits,_ZN7rocprim17ROCPRIM_400000_NS6detail17trampoline_kernelINS0_14default_configENS1_25partition_config_selectorILNS1_17partition_subalgoE1EsNS0_10empty_typeEbEEZZNS1_14partition_implILS5_1ELb0ES3_jN6thrust23THRUST_200600_302600_NS6detail15normal_iteratorINSA_10device_ptrIsEEEEPS6_NSA_18transform_iteratorI7is_evenIsESF_NSA_11use_defaultESK_EENS0_5tupleIJSF_NSA_16discard_iteratorISK_EEEEENSM_IJSG_SG_EEES6_PlJS6_EEE10hipError_tPvRmT3_T4_T5_T6_T7_T9_mT8_P12ihipStream_tbDpT10_ENKUlT_T0_E_clISt17integral_constantIbLb1EES1B_EEDaS16_S17_EUlS16_E_NS1_11comp_targetILNS1_3genE0ELNS1_11target_archE4294967295ELNS1_3gpuE0ELNS1_3repE0EEENS1_30default_config_static_selectorELNS0_4arch9wavefront6targetE1EEEvT1_,comdat
	.protected	_ZN7rocprim17ROCPRIM_400000_NS6detail17trampoline_kernelINS0_14default_configENS1_25partition_config_selectorILNS1_17partition_subalgoE1EsNS0_10empty_typeEbEEZZNS1_14partition_implILS5_1ELb0ES3_jN6thrust23THRUST_200600_302600_NS6detail15normal_iteratorINSA_10device_ptrIsEEEEPS6_NSA_18transform_iteratorI7is_evenIsESF_NSA_11use_defaultESK_EENS0_5tupleIJSF_NSA_16discard_iteratorISK_EEEEENSM_IJSG_SG_EEES6_PlJS6_EEE10hipError_tPvRmT3_T4_T5_T6_T7_T9_mT8_P12ihipStream_tbDpT10_ENKUlT_T0_E_clISt17integral_constantIbLb1EES1B_EEDaS16_S17_EUlS16_E_NS1_11comp_targetILNS1_3genE0ELNS1_11target_archE4294967295ELNS1_3gpuE0ELNS1_3repE0EEENS1_30default_config_static_selectorELNS0_4arch9wavefront6targetE1EEEvT1_ ; -- Begin function _ZN7rocprim17ROCPRIM_400000_NS6detail17trampoline_kernelINS0_14default_configENS1_25partition_config_selectorILNS1_17partition_subalgoE1EsNS0_10empty_typeEbEEZZNS1_14partition_implILS5_1ELb0ES3_jN6thrust23THRUST_200600_302600_NS6detail15normal_iteratorINSA_10device_ptrIsEEEEPS6_NSA_18transform_iteratorI7is_evenIsESF_NSA_11use_defaultESK_EENS0_5tupleIJSF_NSA_16discard_iteratorISK_EEEEENSM_IJSG_SG_EEES6_PlJS6_EEE10hipError_tPvRmT3_T4_T5_T6_T7_T9_mT8_P12ihipStream_tbDpT10_ENKUlT_T0_E_clISt17integral_constantIbLb1EES1B_EEDaS16_S17_EUlS16_E_NS1_11comp_targetILNS1_3genE0ELNS1_11target_archE4294967295ELNS1_3gpuE0ELNS1_3repE0EEENS1_30default_config_static_selectorELNS0_4arch9wavefront6targetE1EEEvT1_
	.globl	_ZN7rocprim17ROCPRIM_400000_NS6detail17trampoline_kernelINS0_14default_configENS1_25partition_config_selectorILNS1_17partition_subalgoE1EsNS0_10empty_typeEbEEZZNS1_14partition_implILS5_1ELb0ES3_jN6thrust23THRUST_200600_302600_NS6detail15normal_iteratorINSA_10device_ptrIsEEEEPS6_NSA_18transform_iteratorI7is_evenIsESF_NSA_11use_defaultESK_EENS0_5tupleIJSF_NSA_16discard_iteratorISK_EEEEENSM_IJSG_SG_EEES6_PlJS6_EEE10hipError_tPvRmT3_T4_T5_T6_T7_T9_mT8_P12ihipStream_tbDpT10_ENKUlT_T0_E_clISt17integral_constantIbLb1EES1B_EEDaS16_S17_EUlS16_E_NS1_11comp_targetILNS1_3genE0ELNS1_11target_archE4294967295ELNS1_3gpuE0ELNS1_3repE0EEENS1_30default_config_static_selectorELNS0_4arch9wavefront6targetE1EEEvT1_
	.p2align	8
	.type	_ZN7rocprim17ROCPRIM_400000_NS6detail17trampoline_kernelINS0_14default_configENS1_25partition_config_selectorILNS1_17partition_subalgoE1EsNS0_10empty_typeEbEEZZNS1_14partition_implILS5_1ELb0ES3_jN6thrust23THRUST_200600_302600_NS6detail15normal_iteratorINSA_10device_ptrIsEEEEPS6_NSA_18transform_iteratorI7is_evenIsESF_NSA_11use_defaultESK_EENS0_5tupleIJSF_NSA_16discard_iteratorISK_EEEEENSM_IJSG_SG_EEES6_PlJS6_EEE10hipError_tPvRmT3_T4_T5_T6_T7_T9_mT8_P12ihipStream_tbDpT10_ENKUlT_T0_E_clISt17integral_constantIbLb1EES1B_EEDaS16_S17_EUlS16_E_NS1_11comp_targetILNS1_3genE0ELNS1_11target_archE4294967295ELNS1_3gpuE0ELNS1_3repE0EEENS1_30default_config_static_selectorELNS0_4arch9wavefront6targetE1EEEvT1_,@function
_ZN7rocprim17ROCPRIM_400000_NS6detail17trampoline_kernelINS0_14default_configENS1_25partition_config_selectorILNS1_17partition_subalgoE1EsNS0_10empty_typeEbEEZZNS1_14partition_implILS5_1ELb0ES3_jN6thrust23THRUST_200600_302600_NS6detail15normal_iteratorINSA_10device_ptrIsEEEEPS6_NSA_18transform_iteratorI7is_evenIsESF_NSA_11use_defaultESK_EENS0_5tupleIJSF_NSA_16discard_iteratorISK_EEEEENSM_IJSG_SG_EEES6_PlJS6_EEE10hipError_tPvRmT3_T4_T5_T6_T7_T9_mT8_P12ihipStream_tbDpT10_ENKUlT_T0_E_clISt17integral_constantIbLb1EES1B_EEDaS16_S17_EUlS16_E_NS1_11comp_targetILNS1_3genE0ELNS1_11target_archE4294967295ELNS1_3gpuE0ELNS1_3repE0EEENS1_30default_config_static_selectorELNS0_4arch9wavefront6targetE1EEEvT1_: ; @_ZN7rocprim17ROCPRIM_400000_NS6detail17trampoline_kernelINS0_14default_configENS1_25partition_config_selectorILNS1_17partition_subalgoE1EsNS0_10empty_typeEbEEZZNS1_14partition_implILS5_1ELb0ES3_jN6thrust23THRUST_200600_302600_NS6detail15normal_iteratorINSA_10device_ptrIsEEEEPS6_NSA_18transform_iteratorI7is_evenIsESF_NSA_11use_defaultESK_EENS0_5tupleIJSF_NSA_16discard_iteratorISK_EEEEENSM_IJSG_SG_EEES6_PlJS6_EEE10hipError_tPvRmT3_T4_T5_T6_T7_T9_mT8_P12ihipStream_tbDpT10_ENKUlT_T0_E_clISt17integral_constantIbLb1EES1B_EEDaS16_S17_EUlS16_E_NS1_11comp_targetILNS1_3genE0ELNS1_11target_archE4294967295ELNS1_3gpuE0ELNS1_3repE0EEENS1_30default_config_static_selectorELNS0_4arch9wavefront6targetE1EEEvT1_
; %bb.0:
	.section	.rodata,"a",@progbits
	.p2align	6, 0x0
	.amdhsa_kernel _ZN7rocprim17ROCPRIM_400000_NS6detail17trampoline_kernelINS0_14default_configENS1_25partition_config_selectorILNS1_17partition_subalgoE1EsNS0_10empty_typeEbEEZZNS1_14partition_implILS5_1ELb0ES3_jN6thrust23THRUST_200600_302600_NS6detail15normal_iteratorINSA_10device_ptrIsEEEEPS6_NSA_18transform_iteratorI7is_evenIsESF_NSA_11use_defaultESK_EENS0_5tupleIJSF_NSA_16discard_iteratorISK_EEEEENSM_IJSG_SG_EEES6_PlJS6_EEE10hipError_tPvRmT3_T4_T5_T6_T7_T9_mT8_P12ihipStream_tbDpT10_ENKUlT_T0_E_clISt17integral_constantIbLb1EES1B_EEDaS16_S17_EUlS16_E_NS1_11comp_targetILNS1_3genE0ELNS1_11target_archE4294967295ELNS1_3gpuE0ELNS1_3repE0EEENS1_30default_config_static_selectorELNS0_4arch9wavefront6targetE1EEEvT1_
		.amdhsa_group_segment_fixed_size 0
		.amdhsa_private_segment_fixed_size 0
		.amdhsa_kernarg_size 152
		.amdhsa_user_sgpr_count 6
		.amdhsa_user_sgpr_private_segment_buffer 1
		.amdhsa_user_sgpr_dispatch_ptr 0
		.amdhsa_user_sgpr_queue_ptr 0
		.amdhsa_user_sgpr_kernarg_segment_ptr 1
		.amdhsa_user_sgpr_dispatch_id 0
		.amdhsa_user_sgpr_flat_scratch_init 0
		.amdhsa_user_sgpr_kernarg_preload_length 0
		.amdhsa_user_sgpr_kernarg_preload_offset 0
		.amdhsa_user_sgpr_private_segment_size 0
		.amdhsa_uses_dynamic_stack 0
		.amdhsa_system_sgpr_private_segment_wavefront_offset 0
		.amdhsa_system_sgpr_workgroup_id_x 1
		.amdhsa_system_sgpr_workgroup_id_y 0
		.amdhsa_system_sgpr_workgroup_id_z 0
		.amdhsa_system_sgpr_workgroup_info 0
		.amdhsa_system_vgpr_workitem_id 0
		.amdhsa_next_free_vgpr 1
		.amdhsa_next_free_sgpr 0
		.amdhsa_accum_offset 4
		.amdhsa_reserve_vcc 0
		.amdhsa_reserve_flat_scratch 0
		.amdhsa_float_round_mode_32 0
		.amdhsa_float_round_mode_16_64 0
		.amdhsa_float_denorm_mode_32 3
		.amdhsa_float_denorm_mode_16_64 3
		.amdhsa_dx10_clamp 1
		.amdhsa_ieee_mode 1
		.amdhsa_fp16_overflow 0
		.amdhsa_tg_split 0
		.amdhsa_exception_fp_ieee_invalid_op 0
		.amdhsa_exception_fp_denorm_src 0
		.amdhsa_exception_fp_ieee_div_zero 0
		.amdhsa_exception_fp_ieee_overflow 0
		.amdhsa_exception_fp_ieee_underflow 0
		.amdhsa_exception_fp_ieee_inexact 0
		.amdhsa_exception_int_div_zero 0
	.end_amdhsa_kernel
	.section	.text._ZN7rocprim17ROCPRIM_400000_NS6detail17trampoline_kernelINS0_14default_configENS1_25partition_config_selectorILNS1_17partition_subalgoE1EsNS0_10empty_typeEbEEZZNS1_14partition_implILS5_1ELb0ES3_jN6thrust23THRUST_200600_302600_NS6detail15normal_iteratorINSA_10device_ptrIsEEEEPS6_NSA_18transform_iteratorI7is_evenIsESF_NSA_11use_defaultESK_EENS0_5tupleIJSF_NSA_16discard_iteratorISK_EEEEENSM_IJSG_SG_EEES6_PlJS6_EEE10hipError_tPvRmT3_T4_T5_T6_T7_T9_mT8_P12ihipStream_tbDpT10_ENKUlT_T0_E_clISt17integral_constantIbLb1EES1B_EEDaS16_S17_EUlS16_E_NS1_11comp_targetILNS1_3genE0ELNS1_11target_archE4294967295ELNS1_3gpuE0ELNS1_3repE0EEENS1_30default_config_static_selectorELNS0_4arch9wavefront6targetE1EEEvT1_,"axG",@progbits,_ZN7rocprim17ROCPRIM_400000_NS6detail17trampoline_kernelINS0_14default_configENS1_25partition_config_selectorILNS1_17partition_subalgoE1EsNS0_10empty_typeEbEEZZNS1_14partition_implILS5_1ELb0ES3_jN6thrust23THRUST_200600_302600_NS6detail15normal_iteratorINSA_10device_ptrIsEEEEPS6_NSA_18transform_iteratorI7is_evenIsESF_NSA_11use_defaultESK_EENS0_5tupleIJSF_NSA_16discard_iteratorISK_EEEEENSM_IJSG_SG_EEES6_PlJS6_EEE10hipError_tPvRmT3_T4_T5_T6_T7_T9_mT8_P12ihipStream_tbDpT10_ENKUlT_T0_E_clISt17integral_constantIbLb1EES1B_EEDaS16_S17_EUlS16_E_NS1_11comp_targetILNS1_3genE0ELNS1_11target_archE4294967295ELNS1_3gpuE0ELNS1_3repE0EEENS1_30default_config_static_selectorELNS0_4arch9wavefront6targetE1EEEvT1_,comdat
.Lfunc_end3395:
	.size	_ZN7rocprim17ROCPRIM_400000_NS6detail17trampoline_kernelINS0_14default_configENS1_25partition_config_selectorILNS1_17partition_subalgoE1EsNS0_10empty_typeEbEEZZNS1_14partition_implILS5_1ELb0ES3_jN6thrust23THRUST_200600_302600_NS6detail15normal_iteratorINSA_10device_ptrIsEEEEPS6_NSA_18transform_iteratorI7is_evenIsESF_NSA_11use_defaultESK_EENS0_5tupleIJSF_NSA_16discard_iteratorISK_EEEEENSM_IJSG_SG_EEES6_PlJS6_EEE10hipError_tPvRmT3_T4_T5_T6_T7_T9_mT8_P12ihipStream_tbDpT10_ENKUlT_T0_E_clISt17integral_constantIbLb1EES1B_EEDaS16_S17_EUlS16_E_NS1_11comp_targetILNS1_3genE0ELNS1_11target_archE4294967295ELNS1_3gpuE0ELNS1_3repE0EEENS1_30default_config_static_selectorELNS0_4arch9wavefront6targetE1EEEvT1_, .Lfunc_end3395-_ZN7rocprim17ROCPRIM_400000_NS6detail17trampoline_kernelINS0_14default_configENS1_25partition_config_selectorILNS1_17partition_subalgoE1EsNS0_10empty_typeEbEEZZNS1_14partition_implILS5_1ELb0ES3_jN6thrust23THRUST_200600_302600_NS6detail15normal_iteratorINSA_10device_ptrIsEEEEPS6_NSA_18transform_iteratorI7is_evenIsESF_NSA_11use_defaultESK_EENS0_5tupleIJSF_NSA_16discard_iteratorISK_EEEEENSM_IJSG_SG_EEES6_PlJS6_EEE10hipError_tPvRmT3_T4_T5_T6_T7_T9_mT8_P12ihipStream_tbDpT10_ENKUlT_T0_E_clISt17integral_constantIbLb1EES1B_EEDaS16_S17_EUlS16_E_NS1_11comp_targetILNS1_3genE0ELNS1_11target_archE4294967295ELNS1_3gpuE0ELNS1_3repE0EEENS1_30default_config_static_selectorELNS0_4arch9wavefront6targetE1EEEvT1_
                                        ; -- End function
	.section	.AMDGPU.csdata,"",@progbits
; Kernel info:
; codeLenInByte = 0
; NumSgprs: 4
; NumVgprs: 0
; NumAgprs: 0
; TotalNumVgprs: 0
; ScratchSize: 0
; MemoryBound: 0
; FloatMode: 240
; IeeeMode: 1
; LDSByteSize: 0 bytes/workgroup (compile time only)
; SGPRBlocks: 0
; VGPRBlocks: 0
; NumSGPRsForWavesPerEU: 4
; NumVGPRsForWavesPerEU: 1
; AccumOffset: 4
; Occupancy: 8
; WaveLimiterHint : 0
; COMPUTE_PGM_RSRC2:SCRATCH_EN: 0
; COMPUTE_PGM_RSRC2:USER_SGPR: 6
; COMPUTE_PGM_RSRC2:TRAP_HANDLER: 0
; COMPUTE_PGM_RSRC2:TGID_X_EN: 1
; COMPUTE_PGM_RSRC2:TGID_Y_EN: 0
; COMPUTE_PGM_RSRC2:TGID_Z_EN: 0
; COMPUTE_PGM_RSRC2:TIDIG_COMP_CNT: 0
; COMPUTE_PGM_RSRC3_GFX90A:ACCUM_OFFSET: 0
; COMPUTE_PGM_RSRC3_GFX90A:TG_SPLIT: 0
	.section	.text._ZN7rocprim17ROCPRIM_400000_NS6detail17trampoline_kernelINS0_14default_configENS1_25partition_config_selectorILNS1_17partition_subalgoE1EsNS0_10empty_typeEbEEZZNS1_14partition_implILS5_1ELb0ES3_jN6thrust23THRUST_200600_302600_NS6detail15normal_iteratorINSA_10device_ptrIsEEEEPS6_NSA_18transform_iteratorI7is_evenIsESF_NSA_11use_defaultESK_EENS0_5tupleIJSF_NSA_16discard_iteratorISK_EEEEENSM_IJSG_SG_EEES6_PlJS6_EEE10hipError_tPvRmT3_T4_T5_T6_T7_T9_mT8_P12ihipStream_tbDpT10_ENKUlT_T0_E_clISt17integral_constantIbLb1EES1B_EEDaS16_S17_EUlS16_E_NS1_11comp_targetILNS1_3genE5ELNS1_11target_archE942ELNS1_3gpuE9ELNS1_3repE0EEENS1_30default_config_static_selectorELNS0_4arch9wavefront6targetE1EEEvT1_,"axG",@progbits,_ZN7rocprim17ROCPRIM_400000_NS6detail17trampoline_kernelINS0_14default_configENS1_25partition_config_selectorILNS1_17partition_subalgoE1EsNS0_10empty_typeEbEEZZNS1_14partition_implILS5_1ELb0ES3_jN6thrust23THRUST_200600_302600_NS6detail15normal_iteratorINSA_10device_ptrIsEEEEPS6_NSA_18transform_iteratorI7is_evenIsESF_NSA_11use_defaultESK_EENS0_5tupleIJSF_NSA_16discard_iteratorISK_EEEEENSM_IJSG_SG_EEES6_PlJS6_EEE10hipError_tPvRmT3_T4_T5_T6_T7_T9_mT8_P12ihipStream_tbDpT10_ENKUlT_T0_E_clISt17integral_constantIbLb1EES1B_EEDaS16_S17_EUlS16_E_NS1_11comp_targetILNS1_3genE5ELNS1_11target_archE942ELNS1_3gpuE9ELNS1_3repE0EEENS1_30default_config_static_selectorELNS0_4arch9wavefront6targetE1EEEvT1_,comdat
	.protected	_ZN7rocprim17ROCPRIM_400000_NS6detail17trampoline_kernelINS0_14default_configENS1_25partition_config_selectorILNS1_17partition_subalgoE1EsNS0_10empty_typeEbEEZZNS1_14partition_implILS5_1ELb0ES3_jN6thrust23THRUST_200600_302600_NS6detail15normal_iteratorINSA_10device_ptrIsEEEEPS6_NSA_18transform_iteratorI7is_evenIsESF_NSA_11use_defaultESK_EENS0_5tupleIJSF_NSA_16discard_iteratorISK_EEEEENSM_IJSG_SG_EEES6_PlJS6_EEE10hipError_tPvRmT3_T4_T5_T6_T7_T9_mT8_P12ihipStream_tbDpT10_ENKUlT_T0_E_clISt17integral_constantIbLb1EES1B_EEDaS16_S17_EUlS16_E_NS1_11comp_targetILNS1_3genE5ELNS1_11target_archE942ELNS1_3gpuE9ELNS1_3repE0EEENS1_30default_config_static_selectorELNS0_4arch9wavefront6targetE1EEEvT1_ ; -- Begin function _ZN7rocprim17ROCPRIM_400000_NS6detail17trampoline_kernelINS0_14default_configENS1_25partition_config_selectorILNS1_17partition_subalgoE1EsNS0_10empty_typeEbEEZZNS1_14partition_implILS5_1ELb0ES3_jN6thrust23THRUST_200600_302600_NS6detail15normal_iteratorINSA_10device_ptrIsEEEEPS6_NSA_18transform_iteratorI7is_evenIsESF_NSA_11use_defaultESK_EENS0_5tupleIJSF_NSA_16discard_iteratorISK_EEEEENSM_IJSG_SG_EEES6_PlJS6_EEE10hipError_tPvRmT3_T4_T5_T6_T7_T9_mT8_P12ihipStream_tbDpT10_ENKUlT_T0_E_clISt17integral_constantIbLb1EES1B_EEDaS16_S17_EUlS16_E_NS1_11comp_targetILNS1_3genE5ELNS1_11target_archE942ELNS1_3gpuE9ELNS1_3repE0EEENS1_30default_config_static_selectorELNS0_4arch9wavefront6targetE1EEEvT1_
	.globl	_ZN7rocprim17ROCPRIM_400000_NS6detail17trampoline_kernelINS0_14default_configENS1_25partition_config_selectorILNS1_17partition_subalgoE1EsNS0_10empty_typeEbEEZZNS1_14partition_implILS5_1ELb0ES3_jN6thrust23THRUST_200600_302600_NS6detail15normal_iteratorINSA_10device_ptrIsEEEEPS6_NSA_18transform_iteratorI7is_evenIsESF_NSA_11use_defaultESK_EENS0_5tupleIJSF_NSA_16discard_iteratorISK_EEEEENSM_IJSG_SG_EEES6_PlJS6_EEE10hipError_tPvRmT3_T4_T5_T6_T7_T9_mT8_P12ihipStream_tbDpT10_ENKUlT_T0_E_clISt17integral_constantIbLb1EES1B_EEDaS16_S17_EUlS16_E_NS1_11comp_targetILNS1_3genE5ELNS1_11target_archE942ELNS1_3gpuE9ELNS1_3repE0EEENS1_30default_config_static_selectorELNS0_4arch9wavefront6targetE1EEEvT1_
	.p2align	8
	.type	_ZN7rocprim17ROCPRIM_400000_NS6detail17trampoline_kernelINS0_14default_configENS1_25partition_config_selectorILNS1_17partition_subalgoE1EsNS0_10empty_typeEbEEZZNS1_14partition_implILS5_1ELb0ES3_jN6thrust23THRUST_200600_302600_NS6detail15normal_iteratorINSA_10device_ptrIsEEEEPS6_NSA_18transform_iteratorI7is_evenIsESF_NSA_11use_defaultESK_EENS0_5tupleIJSF_NSA_16discard_iteratorISK_EEEEENSM_IJSG_SG_EEES6_PlJS6_EEE10hipError_tPvRmT3_T4_T5_T6_T7_T9_mT8_P12ihipStream_tbDpT10_ENKUlT_T0_E_clISt17integral_constantIbLb1EES1B_EEDaS16_S17_EUlS16_E_NS1_11comp_targetILNS1_3genE5ELNS1_11target_archE942ELNS1_3gpuE9ELNS1_3repE0EEENS1_30default_config_static_selectorELNS0_4arch9wavefront6targetE1EEEvT1_,@function
_ZN7rocprim17ROCPRIM_400000_NS6detail17trampoline_kernelINS0_14default_configENS1_25partition_config_selectorILNS1_17partition_subalgoE1EsNS0_10empty_typeEbEEZZNS1_14partition_implILS5_1ELb0ES3_jN6thrust23THRUST_200600_302600_NS6detail15normal_iteratorINSA_10device_ptrIsEEEEPS6_NSA_18transform_iteratorI7is_evenIsESF_NSA_11use_defaultESK_EENS0_5tupleIJSF_NSA_16discard_iteratorISK_EEEEENSM_IJSG_SG_EEES6_PlJS6_EEE10hipError_tPvRmT3_T4_T5_T6_T7_T9_mT8_P12ihipStream_tbDpT10_ENKUlT_T0_E_clISt17integral_constantIbLb1EES1B_EEDaS16_S17_EUlS16_E_NS1_11comp_targetILNS1_3genE5ELNS1_11target_archE942ELNS1_3gpuE9ELNS1_3repE0EEENS1_30default_config_static_selectorELNS0_4arch9wavefront6targetE1EEEvT1_: ; @_ZN7rocprim17ROCPRIM_400000_NS6detail17trampoline_kernelINS0_14default_configENS1_25partition_config_selectorILNS1_17partition_subalgoE1EsNS0_10empty_typeEbEEZZNS1_14partition_implILS5_1ELb0ES3_jN6thrust23THRUST_200600_302600_NS6detail15normal_iteratorINSA_10device_ptrIsEEEEPS6_NSA_18transform_iteratorI7is_evenIsESF_NSA_11use_defaultESK_EENS0_5tupleIJSF_NSA_16discard_iteratorISK_EEEEENSM_IJSG_SG_EEES6_PlJS6_EEE10hipError_tPvRmT3_T4_T5_T6_T7_T9_mT8_P12ihipStream_tbDpT10_ENKUlT_T0_E_clISt17integral_constantIbLb1EES1B_EEDaS16_S17_EUlS16_E_NS1_11comp_targetILNS1_3genE5ELNS1_11target_archE942ELNS1_3gpuE9ELNS1_3repE0EEENS1_30default_config_static_selectorELNS0_4arch9wavefront6targetE1EEEvT1_
; %bb.0:
	.section	.rodata,"a",@progbits
	.p2align	6, 0x0
	.amdhsa_kernel _ZN7rocprim17ROCPRIM_400000_NS6detail17trampoline_kernelINS0_14default_configENS1_25partition_config_selectorILNS1_17partition_subalgoE1EsNS0_10empty_typeEbEEZZNS1_14partition_implILS5_1ELb0ES3_jN6thrust23THRUST_200600_302600_NS6detail15normal_iteratorINSA_10device_ptrIsEEEEPS6_NSA_18transform_iteratorI7is_evenIsESF_NSA_11use_defaultESK_EENS0_5tupleIJSF_NSA_16discard_iteratorISK_EEEEENSM_IJSG_SG_EEES6_PlJS6_EEE10hipError_tPvRmT3_T4_T5_T6_T7_T9_mT8_P12ihipStream_tbDpT10_ENKUlT_T0_E_clISt17integral_constantIbLb1EES1B_EEDaS16_S17_EUlS16_E_NS1_11comp_targetILNS1_3genE5ELNS1_11target_archE942ELNS1_3gpuE9ELNS1_3repE0EEENS1_30default_config_static_selectorELNS0_4arch9wavefront6targetE1EEEvT1_
		.amdhsa_group_segment_fixed_size 0
		.amdhsa_private_segment_fixed_size 0
		.amdhsa_kernarg_size 152
		.amdhsa_user_sgpr_count 6
		.amdhsa_user_sgpr_private_segment_buffer 1
		.amdhsa_user_sgpr_dispatch_ptr 0
		.amdhsa_user_sgpr_queue_ptr 0
		.amdhsa_user_sgpr_kernarg_segment_ptr 1
		.amdhsa_user_sgpr_dispatch_id 0
		.amdhsa_user_sgpr_flat_scratch_init 0
		.amdhsa_user_sgpr_kernarg_preload_length 0
		.amdhsa_user_sgpr_kernarg_preload_offset 0
		.amdhsa_user_sgpr_private_segment_size 0
		.amdhsa_uses_dynamic_stack 0
		.amdhsa_system_sgpr_private_segment_wavefront_offset 0
		.amdhsa_system_sgpr_workgroup_id_x 1
		.amdhsa_system_sgpr_workgroup_id_y 0
		.amdhsa_system_sgpr_workgroup_id_z 0
		.amdhsa_system_sgpr_workgroup_info 0
		.amdhsa_system_vgpr_workitem_id 0
		.amdhsa_next_free_vgpr 1
		.amdhsa_next_free_sgpr 0
		.amdhsa_accum_offset 4
		.amdhsa_reserve_vcc 0
		.amdhsa_reserve_flat_scratch 0
		.amdhsa_float_round_mode_32 0
		.amdhsa_float_round_mode_16_64 0
		.amdhsa_float_denorm_mode_32 3
		.amdhsa_float_denorm_mode_16_64 3
		.amdhsa_dx10_clamp 1
		.amdhsa_ieee_mode 1
		.amdhsa_fp16_overflow 0
		.amdhsa_tg_split 0
		.amdhsa_exception_fp_ieee_invalid_op 0
		.amdhsa_exception_fp_denorm_src 0
		.amdhsa_exception_fp_ieee_div_zero 0
		.amdhsa_exception_fp_ieee_overflow 0
		.amdhsa_exception_fp_ieee_underflow 0
		.amdhsa_exception_fp_ieee_inexact 0
		.amdhsa_exception_int_div_zero 0
	.end_amdhsa_kernel
	.section	.text._ZN7rocprim17ROCPRIM_400000_NS6detail17trampoline_kernelINS0_14default_configENS1_25partition_config_selectorILNS1_17partition_subalgoE1EsNS0_10empty_typeEbEEZZNS1_14partition_implILS5_1ELb0ES3_jN6thrust23THRUST_200600_302600_NS6detail15normal_iteratorINSA_10device_ptrIsEEEEPS6_NSA_18transform_iteratorI7is_evenIsESF_NSA_11use_defaultESK_EENS0_5tupleIJSF_NSA_16discard_iteratorISK_EEEEENSM_IJSG_SG_EEES6_PlJS6_EEE10hipError_tPvRmT3_T4_T5_T6_T7_T9_mT8_P12ihipStream_tbDpT10_ENKUlT_T0_E_clISt17integral_constantIbLb1EES1B_EEDaS16_S17_EUlS16_E_NS1_11comp_targetILNS1_3genE5ELNS1_11target_archE942ELNS1_3gpuE9ELNS1_3repE0EEENS1_30default_config_static_selectorELNS0_4arch9wavefront6targetE1EEEvT1_,"axG",@progbits,_ZN7rocprim17ROCPRIM_400000_NS6detail17trampoline_kernelINS0_14default_configENS1_25partition_config_selectorILNS1_17partition_subalgoE1EsNS0_10empty_typeEbEEZZNS1_14partition_implILS5_1ELb0ES3_jN6thrust23THRUST_200600_302600_NS6detail15normal_iteratorINSA_10device_ptrIsEEEEPS6_NSA_18transform_iteratorI7is_evenIsESF_NSA_11use_defaultESK_EENS0_5tupleIJSF_NSA_16discard_iteratorISK_EEEEENSM_IJSG_SG_EEES6_PlJS6_EEE10hipError_tPvRmT3_T4_T5_T6_T7_T9_mT8_P12ihipStream_tbDpT10_ENKUlT_T0_E_clISt17integral_constantIbLb1EES1B_EEDaS16_S17_EUlS16_E_NS1_11comp_targetILNS1_3genE5ELNS1_11target_archE942ELNS1_3gpuE9ELNS1_3repE0EEENS1_30default_config_static_selectorELNS0_4arch9wavefront6targetE1EEEvT1_,comdat
.Lfunc_end3396:
	.size	_ZN7rocprim17ROCPRIM_400000_NS6detail17trampoline_kernelINS0_14default_configENS1_25partition_config_selectorILNS1_17partition_subalgoE1EsNS0_10empty_typeEbEEZZNS1_14partition_implILS5_1ELb0ES3_jN6thrust23THRUST_200600_302600_NS6detail15normal_iteratorINSA_10device_ptrIsEEEEPS6_NSA_18transform_iteratorI7is_evenIsESF_NSA_11use_defaultESK_EENS0_5tupleIJSF_NSA_16discard_iteratorISK_EEEEENSM_IJSG_SG_EEES6_PlJS6_EEE10hipError_tPvRmT3_T4_T5_T6_T7_T9_mT8_P12ihipStream_tbDpT10_ENKUlT_T0_E_clISt17integral_constantIbLb1EES1B_EEDaS16_S17_EUlS16_E_NS1_11comp_targetILNS1_3genE5ELNS1_11target_archE942ELNS1_3gpuE9ELNS1_3repE0EEENS1_30default_config_static_selectorELNS0_4arch9wavefront6targetE1EEEvT1_, .Lfunc_end3396-_ZN7rocprim17ROCPRIM_400000_NS6detail17trampoline_kernelINS0_14default_configENS1_25partition_config_selectorILNS1_17partition_subalgoE1EsNS0_10empty_typeEbEEZZNS1_14partition_implILS5_1ELb0ES3_jN6thrust23THRUST_200600_302600_NS6detail15normal_iteratorINSA_10device_ptrIsEEEEPS6_NSA_18transform_iteratorI7is_evenIsESF_NSA_11use_defaultESK_EENS0_5tupleIJSF_NSA_16discard_iteratorISK_EEEEENSM_IJSG_SG_EEES6_PlJS6_EEE10hipError_tPvRmT3_T4_T5_T6_T7_T9_mT8_P12ihipStream_tbDpT10_ENKUlT_T0_E_clISt17integral_constantIbLb1EES1B_EEDaS16_S17_EUlS16_E_NS1_11comp_targetILNS1_3genE5ELNS1_11target_archE942ELNS1_3gpuE9ELNS1_3repE0EEENS1_30default_config_static_selectorELNS0_4arch9wavefront6targetE1EEEvT1_
                                        ; -- End function
	.section	.AMDGPU.csdata,"",@progbits
; Kernel info:
; codeLenInByte = 0
; NumSgprs: 4
; NumVgprs: 0
; NumAgprs: 0
; TotalNumVgprs: 0
; ScratchSize: 0
; MemoryBound: 0
; FloatMode: 240
; IeeeMode: 1
; LDSByteSize: 0 bytes/workgroup (compile time only)
; SGPRBlocks: 0
; VGPRBlocks: 0
; NumSGPRsForWavesPerEU: 4
; NumVGPRsForWavesPerEU: 1
; AccumOffset: 4
; Occupancy: 8
; WaveLimiterHint : 0
; COMPUTE_PGM_RSRC2:SCRATCH_EN: 0
; COMPUTE_PGM_RSRC2:USER_SGPR: 6
; COMPUTE_PGM_RSRC2:TRAP_HANDLER: 0
; COMPUTE_PGM_RSRC2:TGID_X_EN: 1
; COMPUTE_PGM_RSRC2:TGID_Y_EN: 0
; COMPUTE_PGM_RSRC2:TGID_Z_EN: 0
; COMPUTE_PGM_RSRC2:TIDIG_COMP_CNT: 0
; COMPUTE_PGM_RSRC3_GFX90A:ACCUM_OFFSET: 0
; COMPUTE_PGM_RSRC3_GFX90A:TG_SPLIT: 0
	.section	.text._ZN7rocprim17ROCPRIM_400000_NS6detail17trampoline_kernelINS0_14default_configENS1_25partition_config_selectorILNS1_17partition_subalgoE1EsNS0_10empty_typeEbEEZZNS1_14partition_implILS5_1ELb0ES3_jN6thrust23THRUST_200600_302600_NS6detail15normal_iteratorINSA_10device_ptrIsEEEEPS6_NSA_18transform_iteratorI7is_evenIsESF_NSA_11use_defaultESK_EENS0_5tupleIJSF_NSA_16discard_iteratorISK_EEEEENSM_IJSG_SG_EEES6_PlJS6_EEE10hipError_tPvRmT3_T4_T5_T6_T7_T9_mT8_P12ihipStream_tbDpT10_ENKUlT_T0_E_clISt17integral_constantIbLb1EES1B_EEDaS16_S17_EUlS16_E_NS1_11comp_targetILNS1_3genE4ELNS1_11target_archE910ELNS1_3gpuE8ELNS1_3repE0EEENS1_30default_config_static_selectorELNS0_4arch9wavefront6targetE1EEEvT1_,"axG",@progbits,_ZN7rocprim17ROCPRIM_400000_NS6detail17trampoline_kernelINS0_14default_configENS1_25partition_config_selectorILNS1_17partition_subalgoE1EsNS0_10empty_typeEbEEZZNS1_14partition_implILS5_1ELb0ES3_jN6thrust23THRUST_200600_302600_NS6detail15normal_iteratorINSA_10device_ptrIsEEEEPS6_NSA_18transform_iteratorI7is_evenIsESF_NSA_11use_defaultESK_EENS0_5tupleIJSF_NSA_16discard_iteratorISK_EEEEENSM_IJSG_SG_EEES6_PlJS6_EEE10hipError_tPvRmT3_T4_T5_T6_T7_T9_mT8_P12ihipStream_tbDpT10_ENKUlT_T0_E_clISt17integral_constantIbLb1EES1B_EEDaS16_S17_EUlS16_E_NS1_11comp_targetILNS1_3genE4ELNS1_11target_archE910ELNS1_3gpuE8ELNS1_3repE0EEENS1_30default_config_static_selectorELNS0_4arch9wavefront6targetE1EEEvT1_,comdat
	.protected	_ZN7rocprim17ROCPRIM_400000_NS6detail17trampoline_kernelINS0_14default_configENS1_25partition_config_selectorILNS1_17partition_subalgoE1EsNS0_10empty_typeEbEEZZNS1_14partition_implILS5_1ELb0ES3_jN6thrust23THRUST_200600_302600_NS6detail15normal_iteratorINSA_10device_ptrIsEEEEPS6_NSA_18transform_iteratorI7is_evenIsESF_NSA_11use_defaultESK_EENS0_5tupleIJSF_NSA_16discard_iteratorISK_EEEEENSM_IJSG_SG_EEES6_PlJS6_EEE10hipError_tPvRmT3_T4_T5_T6_T7_T9_mT8_P12ihipStream_tbDpT10_ENKUlT_T0_E_clISt17integral_constantIbLb1EES1B_EEDaS16_S17_EUlS16_E_NS1_11comp_targetILNS1_3genE4ELNS1_11target_archE910ELNS1_3gpuE8ELNS1_3repE0EEENS1_30default_config_static_selectorELNS0_4arch9wavefront6targetE1EEEvT1_ ; -- Begin function _ZN7rocprim17ROCPRIM_400000_NS6detail17trampoline_kernelINS0_14default_configENS1_25partition_config_selectorILNS1_17partition_subalgoE1EsNS0_10empty_typeEbEEZZNS1_14partition_implILS5_1ELb0ES3_jN6thrust23THRUST_200600_302600_NS6detail15normal_iteratorINSA_10device_ptrIsEEEEPS6_NSA_18transform_iteratorI7is_evenIsESF_NSA_11use_defaultESK_EENS0_5tupleIJSF_NSA_16discard_iteratorISK_EEEEENSM_IJSG_SG_EEES6_PlJS6_EEE10hipError_tPvRmT3_T4_T5_T6_T7_T9_mT8_P12ihipStream_tbDpT10_ENKUlT_T0_E_clISt17integral_constantIbLb1EES1B_EEDaS16_S17_EUlS16_E_NS1_11comp_targetILNS1_3genE4ELNS1_11target_archE910ELNS1_3gpuE8ELNS1_3repE0EEENS1_30default_config_static_selectorELNS0_4arch9wavefront6targetE1EEEvT1_
	.globl	_ZN7rocprim17ROCPRIM_400000_NS6detail17trampoline_kernelINS0_14default_configENS1_25partition_config_selectorILNS1_17partition_subalgoE1EsNS0_10empty_typeEbEEZZNS1_14partition_implILS5_1ELb0ES3_jN6thrust23THRUST_200600_302600_NS6detail15normal_iteratorINSA_10device_ptrIsEEEEPS6_NSA_18transform_iteratorI7is_evenIsESF_NSA_11use_defaultESK_EENS0_5tupleIJSF_NSA_16discard_iteratorISK_EEEEENSM_IJSG_SG_EEES6_PlJS6_EEE10hipError_tPvRmT3_T4_T5_T6_T7_T9_mT8_P12ihipStream_tbDpT10_ENKUlT_T0_E_clISt17integral_constantIbLb1EES1B_EEDaS16_S17_EUlS16_E_NS1_11comp_targetILNS1_3genE4ELNS1_11target_archE910ELNS1_3gpuE8ELNS1_3repE0EEENS1_30default_config_static_selectorELNS0_4arch9wavefront6targetE1EEEvT1_
	.p2align	8
	.type	_ZN7rocprim17ROCPRIM_400000_NS6detail17trampoline_kernelINS0_14default_configENS1_25partition_config_selectorILNS1_17partition_subalgoE1EsNS0_10empty_typeEbEEZZNS1_14partition_implILS5_1ELb0ES3_jN6thrust23THRUST_200600_302600_NS6detail15normal_iteratorINSA_10device_ptrIsEEEEPS6_NSA_18transform_iteratorI7is_evenIsESF_NSA_11use_defaultESK_EENS0_5tupleIJSF_NSA_16discard_iteratorISK_EEEEENSM_IJSG_SG_EEES6_PlJS6_EEE10hipError_tPvRmT3_T4_T5_T6_T7_T9_mT8_P12ihipStream_tbDpT10_ENKUlT_T0_E_clISt17integral_constantIbLb1EES1B_EEDaS16_S17_EUlS16_E_NS1_11comp_targetILNS1_3genE4ELNS1_11target_archE910ELNS1_3gpuE8ELNS1_3repE0EEENS1_30default_config_static_selectorELNS0_4arch9wavefront6targetE1EEEvT1_,@function
_ZN7rocprim17ROCPRIM_400000_NS6detail17trampoline_kernelINS0_14default_configENS1_25partition_config_selectorILNS1_17partition_subalgoE1EsNS0_10empty_typeEbEEZZNS1_14partition_implILS5_1ELb0ES3_jN6thrust23THRUST_200600_302600_NS6detail15normal_iteratorINSA_10device_ptrIsEEEEPS6_NSA_18transform_iteratorI7is_evenIsESF_NSA_11use_defaultESK_EENS0_5tupleIJSF_NSA_16discard_iteratorISK_EEEEENSM_IJSG_SG_EEES6_PlJS6_EEE10hipError_tPvRmT3_T4_T5_T6_T7_T9_mT8_P12ihipStream_tbDpT10_ENKUlT_T0_E_clISt17integral_constantIbLb1EES1B_EEDaS16_S17_EUlS16_E_NS1_11comp_targetILNS1_3genE4ELNS1_11target_archE910ELNS1_3gpuE8ELNS1_3repE0EEENS1_30default_config_static_selectorELNS0_4arch9wavefront6targetE1EEEvT1_: ; @_ZN7rocprim17ROCPRIM_400000_NS6detail17trampoline_kernelINS0_14default_configENS1_25partition_config_selectorILNS1_17partition_subalgoE1EsNS0_10empty_typeEbEEZZNS1_14partition_implILS5_1ELb0ES3_jN6thrust23THRUST_200600_302600_NS6detail15normal_iteratorINSA_10device_ptrIsEEEEPS6_NSA_18transform_iteratorI7is_evenIsESF_NSA_11use_defaultESK_EENS0_5tupleIJSF_NSA_16discard_iteratorISK_EEEEENSM_IJSG_SG_EEES6_PlJS6_EEE10hipError_tPvRmT3_T4_T5_T6_T7_T9_mT8_P12ihipStream_tbDpT10_ENKUlT_T0_E_clISt17integral_constantIbLb1EES1B_EEDaS16_S17_EUlS16_E_NS1_11comp_targetILNS1_3genE4ELNS1_11target_archE910ELNS1_3gpuE8ELNS1_3repE0EEENS1_30default_config_static_selectorELNS0_4arch9wavefront6targetE1EEEvT1_
; %bb.0:
	s_load_dwordx2 s[6:7], s[4:5], 0x20
	s_load_dwordx2 s[24:25], s[4:5], 0x30
	;; [unrolled: 1-line block ×3, first 2 shown]
	s_load_dwordx4 s[20:23], s[4:5], 0x58
	s_load_dwordx2 s[26:27], s[4:5], 0x78
	v_cmp_eq_u32_e64 s[0:1], 0, v0
	s_and_saveexec_b64 s[8:9], s[0:1]
	s_cbranch_execz .LBB3397_4
; %bb.1:
	s_mov_b64 s[12:13], exec
	v_mbcnt_lo_u32_b32 v1, s12, 0
	v_mbcnt_hi_u32_b32 v1, s13, v1
	v_cmp_eq_u32_e32 vcc, 0, v1
                                        ; implicit-def: $vgpr2
	s_and_saveexec_b64 s[10:11], vcc
	s_cbranch_execz .LBB3397_3
; %bb.2:
	s_load_dwordx2 s[14:15], s[4:5], 0x88
	s_bcnt1_i32_b64 s12, s[12:13]
	v_mov_b32_e32 v2, 0
	v_mov_b32_e32 v3, s12
	s_waitcnt lgkmcnt(0)
	global_atomic_add v2, v2, v3, s[14:15] glc
.LBB3397_3:
	s_or_b64 exec, exec, s[10:11]
	s_waitcnt vmcnt(0)
	v_readfirstlane_b32 s10, v2
	v_add_u32_e32 v1, s10, v1
	v_mov_b32_e32 v2, 0
	ds_write_b32 v2, v1
.LBB3397_4:
	s_or_b64 exec, exec, s[8:9]
	v_mov_b32_e32 v1, 0
	s_load_dwordx4 s[8:11], s[4:5], 0x8
	s_load_dword s12, s[4:5], 0x80
	s_waitcnt lgkmcnt(0)
	s_barrier
	ds_read_b32 v4, v1
	s_waitcnt lgkmcnt(0)
	s_barrier
	global_load_dwordx2 v[10:11], v1, s[22:23]
	s_lshl_b64 s[4:5], s[10:11], 1
	v_mov_b32_e32 v3, s3
	s_add_u32 s13, s8, s4
	s_mul_i32 s3, s12, 0x1400
	s_addc_u32 s14, s9, s5
	s_add_i32 s9, s3, s10
	s_sub_i32 s33, s2, s9
	s_add_i32 s15, s12, -1
	s_addk_i32 s33, 0x1400
	v_mov_b32_e32 v2, s2
	s_add_u32 s2, s10, s3
	v_readfirstlane_b32 s36, v4
	s_addc_u32 s3, s11, 0
	s_cmp_eq_u32 s36, s15
	s_cselect_b64 s[18:19], -1, 0
	s_cmp_lg_u32 s36, s15
	s_mul_i32 s8, s36, 0x1400
	s_mov_b32 s9, 0
	v_cmp_lt_u64_e32 vcc, s[2:3], v[2:3]
	s_cselect_b64 s[2:3], -1, 0
	s_or_b64 s[22:23], vcc, s[2:3]
	s_lshl_b64 s[8:9], s[8:9], 1
	s_add_u32 s12, s13, s8
	s_addc_u32 s13, s14, s9
	s_mov_b64 s[2:3], -1
	s_and_b64 vcc, exec, s[22:23]
	v_lshlrev_b32_e32 v1, 1, v0
	s_cbranch_vccz .LBB3397_6
; %bb.5:
	v_mov_b32_e32 v3, s13
	v_add_co_u32_e32 v2, vcc, s12, v1
	v_addc_co_u32_e32 v3, vcc, 0, v3, vcc
	v_add_co_u32_e32 v4, vcc, 0x1000, v2
	v_addc_co_u32_e32 v5, vcc, 0, v3, vcc
	flat_load_ushort v6, v[2:3]
	flat_load_ushort v7, v[2:3] offset:512
	flat_load_ushort v8, v[2:3] offset:1024
	;; [unrolled: 1-line block ×7, first 2 shown]
	v_add_co_u32_e32 v2, vcc, 0x2000, v2
	v_addc_co_u32_e32 v3, vcc, 0, v3, vcc
	flat_load_ushort v16, v[4:5]
	flat_load_ushort v17, v[4:5] offset:512
	flat_load_ushort v18, v[4:5] offset:1024
	;; [unrolled: 1-line block ×7, first 2 shown]
	s_nop 0
	flat_load_ushort v4, v[2:3]
	flat_load_ushort v5, v[2:3] offset:512
	flat_load_ushort v24, v[2:3] offset:1024
	;; [unrolled: 1-line block ×3, first 2 shown]
	s_mov_b64 s[2:3], 0
	s_waitcnt vmcnt(0) lgkmcnt(0)
	ds_write_b16 v1, v6
	ds_write_b16 v1, v7 offset:512
	ds_write_b16 v1, v8 offset:1024
	;; [unrolled: 1-line block ×19, first 2 shown]
	s_waitcnt lgkmcnt(0)
	s_barrier
.LBB3397_6:
	s_andn2_b64 vcc, exec, s[2:3]
	v_cmp_gt_u32_e64 s[2:3], s33, v0
	s_cbranch_vccnz .LBB3397_48
; %bb.7:
                                        ; implicit-def: $vgpr2
	s_and_saveexec_b64 s[10:11], s[2:3]
	s_cbranch_execz .LBB3397_9
; %bb.8:
	v_mov_b32_e32 v3, s13
	v_add_co_u32_e32 v2, vcc, s12, v1
	v_addc_co_u32_e32 v3, vcc, 0, v3, vcc
	flat_load_ushort v2, v[2:3]
.LBB3397_9:
	s_or_b64 exec, exec, s[10:11]
	v_or_b32_e32 v3, 0x100, v0
	v_cmp_gt_u32_e32 vcc, s33, v3
                                        ; implicit-def: $vgpr3
	s_and_saveexec_b64 s[2:3], vcc
	s_cbranch_execz .LBB3397_11
; %bb.10:
	v_mov_b32_e32 v3, s13
	v_add_co_u32_e32 v4, vcc, s12, v1
	v_addc_co_u32_e32 v5, vcc, 0, v3, vcc
	flat_load_ushort v3, v[4:5] offset:512
.LBB3397_11:
	s_or_b64 exec, exec, s[2:3]
	v_or_b32_e32 v4, 0x200, v0
	v_cmp_gt_u32_e32 vcc, s33, v4
                                        ; implicit-def: $vgpr4
	s_and_saveexec_b64 s[2:3], vcc
	s_cbranch_execz .LBB3397_13
; %bb.12:
	v_mov_b32_e32 v5, s13
	v_add_co_u32_e32 v4, vcc, s12, v1
	v_addc_co_u32_e32 v5, vcc, 0, v5, vcc
	flat_load_ushort v4, v[4:5] offset:1024
.LBB3397_13:
	s_or_b64 exec, exec, s[2:3]
	v_or_b32_e32 v5, 0x300, v0
	v_cmp_gt_u32_e32 vcc, s33, v5
                                        ; implicit-def: $vgpr5
	s_and_saveexec_b64 s[2:3], vcc
	s_cbranch_execz .LBB3397_15
; %bb.14:
	v_mov_b32_e32 v5, s13
	v_add_co_u32_e32 v6, vcc, s12, v1
	v_addc_co_u32_e32 v7, vcc, 0, v5, vcc
	flat_load_ushort v5, v[6:7] offset:1536
.LBB3397_15:
	s_or_b64 exec, exec, s[2:3]
	v_or_b32_e32 v6, 0x400, v0
	v_cmp_gt_u32_e32 vcc, s33, v6
                                        ; implicit-def: $vgpr6
	s_and_saveexec_b64 s[2:3], vcc
	s_cbranch_execz .LBB3397_17
; %bb.16:
	v_mov_b32_e32 v7, s13
	v_add_co_u32_e32 v6, vcc, s12, v1
	v_addc_co_u32_e32 v7, vcc, 0, v7, vcc
	flat_load_ushort v6, v[6:7] offset:2048
.LBB3397_17:
	s_or_b64 exec, exec, s[2:3]
	v_or_b32_e32 v7, 0x500, v0
	v_cmp_gt_u32_e32 vcc, s33, v7
                                        ; implicit-def: $vgpr7
	s_and_saveexec_b64 s[2:3], vcc
	s_cbranch_execz .LBB3397_19
; %bb.18:
	v_mov_b32_e32 v7, s13
	v_add_co_u32_e32 v8, vcc, s12, v1
	v_addc_co_u32_e32 v9, vcc, 0, v7, vcc
	flat_load_ushort v7, v[8:9] offset:2560
.LBB3397_19:
	s_or_b64 exec, exec, s[2:3]
	v_or_b32_e32 v8, 0x600, v0
	v_cmp_gt_u32_e32 vcc, s33, v8
                                        ; implicit-def: $vgpr8
	s_and_saveexec_b64 s[2:3], vcc
	s_cbranch_execz .LBB3397_21
; %bb.20:
	v_mov_b32_e32 v9, s13
	v_add_co_u32_e32 v8, vcc, s12, v1
	v_addc_co_u32_e32 v9, vcc, 0, v9, vcc
	flat_load_ushort v8, v[8:9] offset:3072
.LBB3397_21:
	s_or_b64 exec, exec, s[2:3]
	v_or_b32_e32 v9, 0x700, v0
	v_cmp_gt_u32_e32 vcc, s33, v9
                                        ; implicit-def: $vgpr9
	s_and_saveexec_b64 s[2:3], vcc
	s_cbranch_execz .LBB3397_23
; %bb.22:
	v_mov_b32_e32 v9, s13
	v_add_co_u32_e32 v12, vcc, s12, v1
	v_addc_co_u32_e32 v13, vcc, 0, v9, vcc
	flat_load_ushort v9, v[12:13] offset:3584
.LBB3397_23:
	s_or_b64 exec, exec, s[2:3]
	v_or_b32_e32 v13, 0x800, v0
	v_cmp_gt_u32_e32 vcc, s33, v13
                                        ; implicit-def: $vgpr12
	s_and_saveexec_b64 s[2:3], vcc
	s_cbranch_execz .LBB3397_25
; %bb.24:
	v_lshlrev_b32_e32 v12, 1, v13
	v_mov_b32_e32 v13, s13
	v_add_co_u32_e32 v12, vcc, s12, v12
	v_addc_co_u32_e32 v13, vcc, 0, v13, vcc
	flat_load_ushort v12, v[12:13]
.LBB3397_25:
	s_or_b64 exec, exec, s[2:3]
	v_or_b32_e32 v14, 0x900, v0
	v_cmp_gt_u32_e32 vcc, s33, v14
                                        ; implicit-def: $vgpr13
	s_and_saveexec_b64 s[2:3], vcc
	s_cbranch_execz .LBB3397_27
; %bb.26:
	v_lshlrev_b32_e32 v13, 1, v14
	v_mov_b32_e32 v15, s13
	v_add_co_u32_e32 v14, vcc, s12, v13
	v_addc_co_u32_e32 v15, vcc, 0, v15, vcc
	flat_load_ushort v13, v[14:15]
.LBB3397_27:
	s_or_b64 exec, exec, s[2:3]
	v_or_b32_e32 v15, 0xa00, v0
	v_cmp_gt_u32_e32 vcc, s33, v15
                                        ; implicit-def: $vgpr14
	s_and_saveexec_b64 s[2:3], vcc
	s_cbranch_execz .LBB3397_29
; %bb.28:
	v_lshlrev_b32_e32 v14, 1, v15
	v_mov_b32_e32 v15, s13
	v_add_co_u32_e32 v14, vcc, s12, v14
	v_addc_co_u32_e32 v15, vcc, 0, v15, vcc
	flat_load_ushort v14, v[14:15]
.LBB3397_29:
	s_or_b64 exec, exec, s[2:3]
	v_or_b32_e32 v16, 0xb00, v0
	v_cmp_gt_u32_e32 vcc, s33, v16
                                        ; implicit-def: $vgpr15
	s_and_saveexec_b64 s[2:3], vcc
	s_cbranch_execz .LBB3397_31
; %bb.30:
	v_lshlrev_b32_e32 v15, 1, v16
	v_mov_b32_e32 v17, s13
	v_add_co_u32_e32 v16, vcc, s12, v15
	v_addc_co_u32_e32 v17, vcc, 0, v17, vcc
	flat_load_ushort v15, v[16:17]
.LBB3397_31:
	s_or_b64 exec, exec, s[2:3]
	v_or_b32_e32 v17, 0xc00, v0
	v_cmp_gt_u32_e32 vcc, s33, v17
                                        ; implicit-def: $vgpr16
	s_and_saveexec_b64 s[2:3], vcc
	s_cbranch_execz .LBB3397_33
; %bb.32:
	v_lshlrev_b32_e32 v16, 1, v17
	v_mov_b32_e32 v17, s13
	v_add_co_u32_e32 v16, vcc, s12, v16
	v_addc_co_u32_e32 v17, vcc, 0, v17, vcc
	flat_load_ushort v16, v[16:17]
.LBB3397_33:
	s_or_b64 exec, exec, s[2:3]
	v_or_b32_e32 v18, 0xd00, v0
	v_cmp_gt_u32_e32 vcc, s33, v18
                                        ; implicit-def: $vgpr17
	s_and_saveexec_b64 s[2:3], vcc
	s_cbranch_execz .LBB3397_35
; %bb.34:
	v_lshlrev_b32_e32 v17, 1, v18
	v_mov_b32_e32 v19, s13
	v_add_co_u32_e32 v18, vcc, s12, v17
	v_addc_co_u32_e32 v19, vcc, 0, v19, vcc
	flat_load_ushort v17, v[18:19]
.LBB3397_35:
	s_or_b64 exec, exec, s[2:3]
	v_or_b32_e32 v19, 0xe00, v0
	v_cmp_gt_u32_e32 vcc, s33, v19
                                        ; implicit-def: $vgpr18
	s_and_saveexec_b64 s[2:3], vcc
	s_cbranch_execz .LBB3397_37
; %bb.36:
	v_lshlrev_b32_e32 v18, 1, v19
	v_mov_b32_e32 v19, s13
	v_add_co_u32_e32 v18, vcc, s12, v18
	v_addc_co_u32_e32 v19, vcc, 0, v19, vcc
	flat_load_ushort v18, v[18:19]
.LBB3397_37:
	s_or_b64 exec, exec, s[2:3]
	v_or_b32_e32 v20, 0xf00, v0
	v_cmp_gt_u32_e32 vcc, s33, v20
                                        ; implicit-def: $vgpr19
	s_and_saveexec_b64 s[2:3], vcc
	s_cbranch_execz .LBB3397_39
; %bb.38:
	v_lshlrev_b32_e32 v19, 1, v20
	v_mov_b32_e32 v21, s13
	v_add_co_u32_e32 v20, vcc, s12, v19
	v_addc_co_u32_e32 v21, vcc, 0, v21, vcc
	flat_load_ushort v19, v[20:21]
.LBB3397_39:
	s_or_b64 exec, exec, s[2:3]
	v_or_b32_e32 v21, 0x1000, v0
	v_cmp_gt_u32_e32 vcc, s33, v21
                                        ; implicit-def: $vgpr20
	s_and_saveexec_b64 s[2:3], vcc
	s_cbranch_execz .LBB3397_41
; %bb.40:
	v_lshlrev_b32_e32 v20, 1, v21
	v_mov_b32_e32 v21, s13
	v_add_co_u32_e32 v20, vcc, s12, v20
	v_addc_co_u32_e32 v21, vcc, 0, v21, vcc
	flat_load_ushort v20, v[20:21]
.LBB3397_41:
	s_or_b64 exec, exec, s[2:3]
	v_or_b32_e32 v22, 0x1100, v0
	v_cmp_gt_u32_e32 vcc, s33, v22
                                        ; implicit-def: $vgpr21
	s_and_saveexec_b64 s[2:3], vcc
	s_cbranch_execz .LBB3397_43
; %bb.42:
	v_lshlrev_b32_e32 v21, 1, v22
	v_mov_b32_e32 v23, s13
	v_add_co_u32_e32 v22, vcc, s12, v21
	v_addc_co_u32_e32 v23, vcc, 0, v23, vcc
	flat_load_ushort v21, v[22:23]
.LBB3397_43:
	s_or_b64 exec, exec, s[2:3]
	v_or_b32_e32 v23, 0x1200, v0
	v_cmp_gt_u32_e32 vcc, s33, v23
                                        ; implicit-def: $vgpr22
	s_and_saveexec_b64 s[2:3], vcc
	s_cbranch_execz .LBB3397_45
; %bb.44:
	v_lshlrev_b32_e32 v22, 1, v23
	v_mov_b32_e32 v23, s13
	v_add_co_u32_e32 v22, vcc, s12, v22
	v_addc_co_u32_e32 v23, vcc, 0, v23, vcc
	flat_load_ushort v22, v[22:23]
.LBB3397_45:
	s_or_b64 exec, exec, s[2:3]
	v_or_b32_e32 v24, 0x1300, v0
	v_cmp_gt_u32_e32 vcc, s33, v24
                                        ; implicit-def: $vgpr23
	s_and_saveexec_b64 s[2:3], vcc
	s_cbranch_execz .LBB3397_47
; %bb.46:
	v_lshlrev_b32_e32 v23, 1, v24
	v_mov_b32_e32 v25, s13
	v_add_co_u32_e32 v24, vcc, s12, v23
	v_addc_co_u32_e32 v25, vcc, 0, v25, vcc
	flat_load_ushort v23, v[24:25]
.LBB3397_47:
	s_or_b64 exec, exec, s[2:3]
	s_waitcnt vmcnt(0) lgkmcnt(0)
	ds_write_b16 v1, v2
	ds_write_b16 v1, v3 offset:512
	ds_write_b16 v1, v4 offset:1024
	;; [unrolled: 1-line block ×19, first 2 shown]
	s_waitcnt lgkmcnt(0)
	s_barrier
.LBB3397_48:
	v_mul_u32_u24_e32 v28, 20, v0
	v_lshlrev_b32_e32 v6, 1, v28
	ds_read_b64 v[12:13], v6 offset:32
	ds_read2_b64 v[2:5], v6 offset0:2 offset1:3
	ds_read2_b64 v[6:9], v6 offset1:1
	s_add_u32 s2, s6, s4
	s_addc_u32 s3, s7, s5
	s_add_u32 s2, s2, s8
	s_addc_u32 s3, s3, s9
	s_mov_b64 s[4:5], -1
	s_and_b64 vcc, exec, s[22:23]
	s_waitcnt lgkmcnt(0)
	s_barrier
	s_cbranch_vccz .LBB3397_50
; %bb.49:
	v_mov_b32_e32 v14, s3
	v_add_co_u32_e32 v16, vcc, s2, v1
	s_movk_i32 s4, 0x1000
	v_addc_co_u32_e32 v17, vcc, 0, v14, vcc
	v_add_co_u32_e32 v14, vcc, s4, v16
	s_movk_i32 s5, 0x2000
	v_addc_co_u32_e32 v15, vcc, 0, v17, vcc
	global_load_ubyte v18, v1, s[2:3]
	global_load_ubyte v19, v1, s[2:3] offset:512
	global_load_ubyte v20, v1, s[2:3] offset:1024
	;; [unrolled: 1-line block ×7, first 2 shown]
	v_add_co_u32_e32 v16, vcc, s5, v16
	v_addc_co_u32_e32 v17, vcc, 0, v17, vcc
	global_load_ubyte v26, v[16:17], off offset:-4096
	global_load_ubyte v27, v[14:15], off offset:512
	global_load_ubyte v29, v[14:15], off offset:1024
	;; [unrolled: 1-line block ×7, first 2 shown]
	global_load_ubyte v35, v[16:17], off
	global_load_ubyte v36, v[16:17], off offset:512
	global_load_ubyte v37, v[16:17], off offset:1024
	;; [unrolled: 1-line block ×3, first 2 shown]
	s_mov_b64 s[4:5], 0
	s_waitcnt vmcnt(19)
	v_xor_b32_e32 v14, -1, v18
	s_waitcnt vmcnt(18)
	v_xor_b32_e32 v15, -1, v19
	;; [unrolled: 2-line block ×8, first 2 shown]
	v_and_b32_e32 v14, 1, v14
	v_and_b32_e32 v15, 1, v15
	;; [unrolled: 1-line block ×8, first 2 shown]
	ds_write_b8 v0, v14
	ds_write_b8 v0, v15 offset:256
	ds_write_b8 v0, v16 offset:512
	;; [unrolled: 1-line block ×7, first 2 shown]
	s_waitcnt vmcnt(11)
	v_xor_b32_e32 v14, -1, v26
	s_waitcnt vmcnt(10)
	v_xor_b32_e32 v15, -1, v27
	;; [unrolled: 2-line block ×12, first 2 shown]
	v_and_b32_e32 v14, 1, v14
	v_and_b32_e32 v15, 1, v15
	;; [unrolled: 1-line block ×12, first 2 shown]
	ds_write_b8 v0, v14 offset:2048
	ds_write_b8 v0, v15 offset:2304
	;; [unrolled: 1-line block ×12, first 2 shown]
	s_waitcnt lgkmcnt(0)
	s_barrier
.LBB3397_50:
	s_andn2_b64 vcc, exec, s[4:5]
	s_cbranch_vccnz .LBB3397_92
; %bb.51:
	v_cmp_gt_u32_e32 vcc, s33, v0
	v_mov_b32_e32 v14, 0
	v_mov_b32_e32 v15, 0
	s_and_saveexec_b64 s[4:5], vcc
	s_cbranch_execz .LBB3397_53
; %bb.52:
	global_load_ubyte v15, v1, s[2:3]
	s_waitcnt vmcnt(0)
	v_xor_b32_e32 v15, -1, v15
	v_and_b32_e32 v15, 1, v15
.LBB3397_53:
	s_or_b64 exec, exec, s[4:5]
	v_or_b32_e32 v16, 0x100, v0
	v_cmp_gt_u32_e32 vcc, s33, v16
	s_and_saveexec_b64 s[4:5], vcc
	s_cbranch_execz .LBB3397_55
; %bb.54:
	global_load_ubyte v14, v1, s[2:3] offset:512
	s_waitcnt vmcnt(0)
	v_xor_b32_e32 v14, -1, v14
	v_and_b32_e32 v14, 1, v14
.LBB3397_55:
	s_or_b64 exec, exec, s[4:5]
	v_or_b32_e32 v16, 0x200, v0
	v_cmp_gt_u32_e32 vcc, s33, v16
	v_mov_b32_e32 v16, 0
	v_mov_b32_e32 v17, 0
	s_and_saveexec_b64 s[4:5], vcc
	s_cbranch_execz .LBB3397_57
; %bb.56:
	global_load_ubyte v17, v1, s[2:3] offset:1024
	s_waitcnt vmcnt(0)
	v_xor_b32_e32 v17, -1, v17
	v_and_b32_e32 v17, 1, v17
.LBB3397_57:
	s_or_b64 exec, exec, s[4:5]
	v_or_b32_e32 v18, 0x300, v0
	v_cmp_gt_u32_e32 vcc, s33, v18
	s_and_saveexec_b64 s[4:5], vcc
	s_cbranch_execz .LBB3397_59
; %bb.58:
	global_load_ubyte v16, v1, s[2:3] offset:1536
	s_waitcnt vmcnt(0)
	v_xor_b32_e32 v16, -1, v16
	v_and_b32_e32 v16, 1, v16
.LBB3397_59:
	s_or_b64 exec, exec, s[4:5]
	v_or_b32_e32 v18, 0x400, v0
	v_cmp_gt_u32_e32 vcc, s33, v18
	v_mov_b32_e32 v18, 0
	v_mov_b32_e32 v19, 0
	s_and_saveexec_b64 s[4:5], vcc
	s_cbranch_execz .LBB3397_61
; %bb.60:
	global_load_ubyte v19, v1, s[2:3] offset:2048
	s_waitcnt vmcnt(0)
	v_xor_b32_e32 v19, -1, v19
	v_and_b32_e32 v19, 1, v19
.LBB3397_61:
	;; [unrolled: 24-line block ×3, first 2 shown]
	s_or_b64 exec, exec, s[4:5]
	v_or_b32_e32 v22, 0x700, v0
	v_cmp_gt_u32_e32 vcc, s33, v22
	s_and_saveexec_b64 s[4:5], vcc
	s_cbranch_execz .LBB3397_67
; %bb.66:
	global_load_ubyte v20, v1, s[2:3] offset:3584
	s_waitcnt vmcnt(0)
	v_xor_b32_e32 v20, -1, v20
	v_and_b32_e32 v20, 1, v20
.LBB3397_67:
	s_or_b64 exec, exec, s[4:5]
	v_or_b32_e32 v24, 0x800, v0
	v_cmp_gt_u32_e32 vcc, s33, v24
	v_mov_b32_e32 v22, 0
	v_mov_b32_e32 v23, 0
	s_and_saveexec_b64 s[4:5], vcc
	s_cbranch_execz .LBB3397_69
; %bb.68:
	v_lshlrev_b32_e32 v23, 1, v24
	global_load_ubyte v23, v23, s[2:3]
	s_waitcnt vmcnt(0)
	v_xor_b32_e32 v23, -1, v23
	v_and_b32_e32 v23, 1, v23
.LBB3397_69:
	s_or_b64 exec, exec, s[4:5]
	v_or_b32_e32 v24, 0x900, v0
	v_cmp_gt_u32_e32 vcc, s33, v24
	s_and_saveexec_b64 s[4:5], vcc
	s_cbranch_execz .LBB3397_71
; %bb.70:
	v_lshlrev_b32_e32 v22, 1, v24
	global_load_ubyte v22, v22, s[2:3]
	s_waitcnt vmcnt(0)
	v_xor_b32_e32 v22, -1, v22
	v_and_b32_e32 v22, 1, v22
.LBB3397_71:
	s_or_b64 exec, exec, s[4:5]
	v_or_b32_e32 v26, 0xa00, v0
	v_cmp_gt_u32_e32 vcc, s33, v26
	v_mov_b32_e32 v24, 0
	v_mov_b32_e32 v25, 0
	s_and_saveexec_b64 s[4:5], vcc
	s_cbranch_execz .LBB3397_73
; %bb.72:
	v_lshlrev_b32_e32 v25, 1, v26
	global_load_ubyte v25, v25, s[2:3]
	s_waitcnt vmcnt(0)
	v_xor_b32_e32 v25, -1, v25
	v_and_b32_e32 v25, 1, v25
.LBB3397_73:
	s_or_b64 exec, exec, s[4:5]
	v_or_b32_e32 v26, 0xb00, v0
	v_cmp_gt_u32_e32 vcc, s33, v26
	s_and_saveexec_b64 s[4:5], vcc
	s_cbranch_execz .LBB3397_75
; %bb.74:
	v_lshlrev_b32_e32 v24, 1, v26
	global_load_ubyte v24, v24, s[2:3]
	s_waitcnt vmcnt(0)
	v_xor_b32_e32 v24, -1, v24
	v_and_b32_e32 v24, 1, v24
.LBB3397_75:
	;; [unrolled: 26-line block ×6, first 2 shown]
	s_or_b64 exec, exec, s[4:5]
	ds_write_b8 v0, v15
	ds_write_b8 v0, v14 offset:256
	ds_write_b8 v0, v17 offset:512
	;; [unrolled: 1-line block ×19, first 2 shown]
	s_waitcnt lgkmcnt(0)
	s_barrier
.LBB3397_92:
	ds_read2_b32 v[20:21], v28 offset1:1
	ds_read2_b32 v[18:19], v28 offset0:2 offset1:3
	ds_read_b32 v30, v28 offset:16
	s_cmp_lg_u32 s36, 0
	v_lshrrev_b32_e32 v49, 6, v0
	s_waitcnt lgkmcnt(2)
	v_lshrrev_b32_e32 v35, 24, v20
	v_bfe_u32 v47, v20, 16, 8
	v_add_u32_sdwa v14, v20, v20 dst_sel:DWORD dst_unused:UNUSED_PAD src0_sel:BYTE_1 src1_sel:BYTE_0
	v_and_b32_e32 v44, 0xff, v21
	v_bfe_u32 v45, v21, 8, 8
	v_add3_u32 v14, v14, v47, v35
	v_lshrrev_b32_e32 v34, 24, v21
	v_bfe_u32 v46, v21, 16, 8
	v_add3_u32 v14, v14, v44, v45
	s_waitcnt lgkmcnt(1)
	v_and_b32_e32 v41, 0xff, v18
	v_bfe_u32 v42, v18, 8, 8
	v_add3_u32 v14, v14, v46, v34
	v_lshrrev_b32_e32 v33, 24, v18
	v_bfe_u32 v43, v18, 16, 8
	v_add3_u32 v14, v14, v41, v42
	v_and_b32_e32 v38, 0xff, v19
	v_bfe_u32 v39, v19, 8, 8
	v_add3_u32 v14, v14, v43, v33
	v_lshrrev_b32_e32 v32, 24, v19
	v_bfe_u32 v40, v19, 16, 8
	v_add3_u32 v14, v14, v38, v39
	s_waitcnt lgkmcnt(0)
	v_and_b32_e32 v36, 0xff, v30
	v_bfe_u32 v37, v30, 8, 8
	v_add3_u32 v14, v14, v40, v32
	v_lshrrev_b32_e32 v29, 24, v30
	v_bfe_u32 v31, v30, 16, 8
	v_add3_u32 v14, v14, v36, v37
	v_add3_u32 v50, v14, v31, v29
	v_mbcnt_lo_u32_b32 v14, -1, 0
	v_mbcnt_hi_u32_b32 v48, -1, v14
	v_and_b32_e32 v14, 15, v48
	v_cmp_eq_u32_e64 s[14:15], 0, v14
	v_cmp_lt_u32_e64 s[12:13], 1, v14
	v_cmp_lt_u32_e64 s[10:11], 3, v14
	;; [unrolled: 1-line block ×3, first 2 shown]
	v_and_b32_e32 v14, 16, v48
	v_cmp_eq_u32_e64 s[6:7], 0, v14
	v_or_b32_e32 v14, 63, v0
	v_cmp_lt_u32_e64 s[2:3], 31, v48
	v_cmp_eq_u32_e64 s[4:5], v14, v0
	s_barrier
	s_cbranch_scc0 .LBB3397_123
; %bb.93:
	v_mov_b32_dpp v14, v50 row_shr:1 row_mask:0xf bank_mask:0xf
	v_cndmask_b32_e64 v14, v14, 0, s[14:15]
	v_add_u32_e32 v14, v14, v50
	s_nop 1
	v_mov_b32_dpp v15, v14 row_shr:2 row_mask:0xf bank_mask:0xf
	v_cndmask_b32_e64 v15, 0, v15, s[12:13]
	v_add_u32_e32 v14, v14, v15
	s_nop 1
	;; [unrolled: 4-line block ×4, first 2 shown]
	v_mov_b32_dpp v15, v14 row_bcast:15 row_mask:0xf bank_mask:0xf
	v_cndmask_b32_e64 v15, v15, 0, s[6:7]
	v_add_u32_e32 v14, v14, v15
	s_nop 1
	v_mov_b32_dpp v15, v14 row_bcast:31 row_mask:0xf bank_mask:0xf
	v_cndmask_b32_e64 v15, 0, v15, s[2:3]
	v_add_u32_e32 v14, v14, v15
	s_and_saveexec_b64 s[16:17], s[4:5]
	s_cbranch_execz .LBB3397_95
; %bb.94:
	v_lshlrev_b32_e32 v15, 2, v49
	ds_write_b32 v15, v14
.LBB3397_95:
	s_or_b64 exec, exec, s[16:17]
	v_cmp_gt_u32_e32 vcc, 4, v0
	s_waitcnt lgkmcnt(0)
	s_barrier
	s_and_saveexec_b64 s[16:17], vcc
	s_cbranch_execz .LBB3397_97
; %bb.96:
	v_lshlrev_b32_e32 v15, 2, v0
	ds_read_b32 v16, v15
	v_and_b32_e32 v17, 3, v48
	v_cmp_ne_u32_e32 vcc, 0, v17
	s_waitcnt lgkmcnt(0)
	v_mov_b32_dpp v22, v16 row_shr:1 row_mask:0xf bank_mask:0xf
	v_cndmask_b32_e32 v22, 0, v22, vcc
	v_add_u32_e32 v16, v22, v16
	v_cmp_lt_u32_e32 vcc, 1, v17
	s_nop 0
	v_mov_b32_dpp v22, v16 row_shr:2 row_mask:0xf bank_mask:0xf
	v_cndmask_b32_e32 v17, 0, v22, vcc
	v_add_u32_e32 v16, v16, v17
	ds_write_b32 v15, v16
.LBB3397_97:
	s_or_b64 exec, exec, s[16:17]
	v_cmp_gt_u32_e32 vcc, 64, v0
	v_cmp_lt_u32_e64 s[16:17], 63, v0
	s_waitcnt lgkmcnt(0)
	s_barrier
	s_waitcnt lgkmcnt(0)
                                        ; implicit-def: $vgpr51
	s_and_saveexec_b64 s[28:29], s[16:17]
	s_cbranch_execz .LBB3397_99
; %bb.98:
	v_lshl_add_u32 v15, v49, 2, -4
	ds_read_b32 v51, v15
	s_waitcnt lgkmcnt(0)
	v_add_u32_e32 v14, v51, v14
.LBB3397_99:
	s_or_b64 exec, exec, s[28:29]
	v_add_u32_e32 v15, -1, v48
	v_and_b32_e32 v16, 64, v48
	v_cmp_lt_i32_e64 s[16:17], v15, v16
	v_cndmask_b32_e64 v15, v15, v48, s[16:17]
	v_lshlrev_b32_e32 v15, 2, v15
	ds_bpermute_b32 v52, v15, v14
	v_cmp_eq_u32_e64 s[16:17], 0, v48
	s_and_saveexec_b64 s[28:29], vcc
	s_cbranch_execz .LBB3397_122
; %bb.100:
	v_mov_b32_e32 v27, 0
	ds_read_b32 v14, v27 offset:12
	s_and_saveexec_b64 s[30:31], s[16:17]
	s_cbranch_execz .LBB3397_102
; %bb.101:
	s_add_i32 s34, s36, 64
	s_mov_b32 s35, 0
	s_lshl_b64 s[34:35], s[34:35], 3
	s_add_u32 s34, s26, s34
	v_mov_b32_e32 v15, 1
	s_addc_u32 s35, s27, s35
	s_waitcnt lgkmcnt(0)
	global_store_dwordx2 v27, v[14:15], s[34:35]
.LBB3397_102:
	s_or_b64 exec, exec, s[30:31]
	v_xad_u32 v16, v48, -1, s36
	v_add_u32_e32 v26, 64, v16
	v_lshlrev_b64 v[22:23], 3, v[26:27]
	v_mov_b32_e32 v15, s27
	v_add_co_u32_e32 v22, vcc, s26, v22
	v_addc_co_u32_e32 v23, vcc, v15, v23, vcc
	global_load_dwordx2 v[24:25], v[22:23], off glc
	s_waitcnt vmcnt(0)
	v_cmp_eq_u16_sdwa s[34:35], v25, v27 src0_sel:BYTE_0 src1_sel:DWORD
	s_and_saveexec_b64 s[30:31], s[34:35]
	s_cbranch_execz .LBB3397_108
; %bb.103:
	s_mov_b32 s37, 1
	s_mov_b64 s[34:35], 0
	v_mov_b32_e32 v15, 0
.LBB3397_104:                           ; =>This Loop Header: Depth=1
                                        ;     Child Loop BB3397_105 Depth 2
	s_max_u32 s38, s37, 1
.LBB3397_105:                           ;   Parent Loop BB3397_104 Depth=1
                                        ; =>  This Inner Loop Header: Depth=2
	s_add_i32 s38, s38, -1
	s_cmp_eq_u32 s38, 0
	s_sleep 1
	s_cbranch_scc0 .LBB3397_105
; %bb.106:                              ;   in Loop: Header=BB3397_104 Depth=1
	global_load_dwordx2 v[24:25], v[22:23], off glc
	s_cmp_lt_u32 s37, 32
	s_cselect_b64 s[38:39], -1, 0
	s_cmp_lg_u64 s[38:39], 0
	s_addc_u32 s37, s37, 0
	s_waitcnt vmcnt(0)
	v_cmp_ne_u16_sdwa s[38:39], v25, v15 src0_sel:BYTE_0 src1_sel:DWORD
	s_or_b64 s[34:35], s[38:39], s[34:35]
	s_andn2_b64 exec, exec, s[34:35]
	s_cbranch_execnz .LBB3397_104
; %bb.107:
	s_or_b64 exec, exec, s[34:35]
.LBB3397_108:
	s_or_b64 exec, exec, s[30:31]
	v_and_b32_e32 v54, 63, v48
	v_mov_b32_e32 v53, 2
	v_cmp_ne_u32_e32 vcc, 63, v54
	v_cmp_eq_u16_sdwa s[30:31], v25, v53 src0_sel:BYTE_0 src1_sel:DWORD
	v_lshlrev_b64 v[22:23], v48, -1
	v_addc_co_u32_e32 v26, vcc, 0, v48, vcc
	v_and_b32_e32 v15, s31, v23
	v_lshlrev_b32_e32 v55, 2, v26
	v_or_b32_e32 v15, 0x80000000, v15
	ds_bpermute_b32 v26, v55, v24
	v_and_b32_e32 v17, s30, v22
	v_ffbl_b32_e32 v15, v15
	v_add_u32_e32 v15, 32, v15
	v_ffbl_b32_e32 v17, v17
	v_min_u32_e32 v15, v17, v15
	v_cmp_lt_u32_e32 vcc, v54, v15
	s_waitcnt lgkmcnt(0)
	v_cndmask_b32_e32 v17, 0, v26, vcc
	v_cmp_gt_u32_e32 vcc, 62, v54
	v_add_u32_e32 v17, v17, v24
	v_cndmask_b32_e64 v24, 0, 1, vcc
	v_lshlrev_b32_e32 v24, 1, v24
	v_add_lshl_u32 v56, v24, v48, 2
	ds_bpermute_b32 v24, v56, v17
	v_add_u32_e32 v57, 2, v54
	v_cmp_le_u32_e32 vcc, v57, v15
	v_add_u32_e32 v59, 4, v54
	v_add_u32_e32 v61, 8, v54
	s_waitcnt lgkmcnt(0)
	v_cndmask_b32_e32 v24, 0, v24, vcc
	v_cmp_gt_u32_e32 vcc, 60, v54
	v_add_u32_e32 v17, v17, v24
	v_cndmask_b32_e64 v24, 0, 1, vcc
	v_lshlrev_b32_e32 v24, 2, v24
	v_add_lshl_u32 v58, v24, v48, 2
	ds_bpermute_b32 v24, v58, v17
	v_cmp_le_u32_e32 vcc, v59, v15
	v_add_u32_e32 v63, 16, v54
	v_add_u32_e32 v65, 32, v54
	s_waitcnt lgkmcnt(0)
	v_cndmask_b32_e32 v24, 0, v24, vcc
	v_cmp_gt_u32_e32 vcc, 56, v54
	v_add_u32_e32 v17, v17, v24
	v_cndmask_b32_e64 v24, 0, 1, vcc
	v_lshlrev_b32_e32 v24, 3, v24
	v_add_lshl_u32 v60, v24, v48, 2
	ds_bpermute_b32 v24, v60, v17
	v_cmp_le_u32_e32 vcc, v61, v15
	s_waitcnt lgkmcnt(0)
	v_cndmask_b32_e32 v24, 0, v24, vcc
	v_cmp_gt_u32_e32 vcc, 48, v54
	v_add_u32_e32 v17, v17, v24
	v_cndmask_b32_e64 v24, 0, 1, vcc
	v_lshlrev_b32_e32 v24, 4, v24
	v_add_lshl_u32 v62, v24, v48, 2
	ds_bpermute_b32 v24, v62, v17
	v_cmp_le_u32_e32 vcc, v63, v15
	;; [unrolled: 9-line block ×3, first 2 shown]
	s_waitcnt lgkmcnt(0)
	v_cndmask_b32_e32 v15, 0, v24, vcc
	v_add_u32_e32 v24, v17, v15
	v_mov_b32_e32 v17, 0
	s_branch .LBB3397_110
.LBB3397_109:                           ;   in Loop: Header=BB3397_110 Depth=1
	s_or_b64 exec, exec, s[30:31]
	v_cmp_eq_u16_sdwa s[30:31], v25, v53 src0_sel:BYTE_0 src1_sel:DWORD
	v_and_b32_e32 v26, s31, v23
	v_or_b32_e32 v26, 0x80000000, v26
	ds_bpermute_b32 v66, v55, v24
	v_and_b32_e32 v27, s30, v22
	v_ffbl_b32_e32 v26, v26
	v_add_u32_e32 v26, 32, v26
	v_ffbl_b32_e32 v27, v27
	v_min_u32_e32 v26, v27, v26
	v_cmp_lt_u32_e32 vcc, v54, v26
	s_waitcnt lgkmcnt(0)
	v_cndmask_b32_e32 v27, 0, v66, vcc
	v_add_u32_e32 v24, v27, v24
	ds_bpermute_b32 v27, v56, v24
	v_cmp_le_u32_e32 vcc, v57, v26
	v_subrev_u32_e32 v16, 64, v16
	s_waitcnt lgkmcnt(0)
	v_cndmask_b32_e32 v27, 0, v27, vcc
	v_add_u32_e32 v24, v24, v27
	ds_bpermute_b32 v27, v58, v24
	v_cmp_le_u32_e32 vcc, v59, v26
	s_waitcnt lgkmcnt(0)
	v_cndmask_b32_e32 v27, 0, v27, vcc
	v_add_u32_e32 v24, v24, v27
	ds_bpermute_b32 v27, v60, v24
	v_cmp_le_u32_e32 vcc, v61, v26
	;; [unrolled: 5-line block ×4, first 2 shown]
	s_waitcnt lgkmcnt(0)
	v_cndmask_b32_e32 v26, 0, v27, vcc
	v_add3_u32 v24, v26, v15, v24
.LBB3397_110:                           ; =>This Loop Header: Depth=1
                                        ;     Child Loop BB3397_113 Depth 2
                                        ;       Child Loop BB3397_114 Depth 3
	v_cmp_ne_u16_sdwa s[30:31], v25, v53 src0_sel:BYTE_0 src1_sel:DWORD
	v_cndmask_b32_e64 v15, 0, 1, s[30:31]
	;;#ASMSTART
	;;#ASMEND
	v_cmp_ne_u32_e32 vcc, 0, v15
	s_cmp_lg_u64 vcc, exec
	v_mov_b32_e32 v15, v24
	s_cbranch_scc1 .LBB3397_117
; %bb.111:                              ;   in Loop: Header=BB3397_110 Depth=1
	v_lshlrev_b64 v[24:25], 3, v[16:17]
	v_mov_b32_e32 v27, s27
	v_add_co_u32_e32 v26, vcc, s26, v24
	v_addc_co_u32_e32 v27, vcc, v27, v25, vcc
	global_load_dwordx2 v[24:25], v[26:27], off glc
	s_waitcnt vmcnt(0)
	v_cmp_eq_u16_sdwa s[34:35], v25, v17 src0_sel:BYTE_0 src1_sel:DWORD
	s_and_saveexec_b64 s[30:31], s[34:35]
	s_cbranch_execz .LBB3397_109
; %bb.112:                              ;   in Loop: Header=BB3397_110 Depth=1
	s_mov_b32 s37, 1
	s_mov_b64 s[34:35], 0
.LBB3397_113:                           ;   Parent Loop BB3397_110 Depth=1
                                        ; =>  This Loop Header: Depth=2
                                        ;       Child Loop BB3397_114 Depth 3
	s_max_u32 s38, s37, 1
.LBB3397_114:                           ;   Parent Loop BB3397_110 Depth=1
                                        ;     Parent Loop BB3397_113 Depth=2
                                        ; =>    This Inner Loop Header: Depth=3
	s_add_i32 s38, s38, -1
	s_cmp_eq_u32 s38, 0
	s_sleep 1
	s_cbranch_scc0 .LBB3397_114
; %bb.115:                              ;   in Loop: Header=BB3397_113 Depth=2
	global_load_dwordx2 v[24:25], v[26:27], off glc
	s_cmp_lt_u32 s37, 32
	s_cselect_b64 s[38:39], -1, 0
	s_cmp_lg_u64 s[38:39], 0
	s_addc_u32 s37, s37, 0
	s_waitcnt vmcnt(0)
	v_cmp_ne_u16_sdwa s[38:39], v25, v17 src0_sel:BYTE_0 src1_sel:DWORD
	s_or_b64 s[34:35], s[38:39], s[34:35]
	s_andn2_b64 exec, exec, s[34:35]
	s_cbranch_execnz .LBB3397_113
; %bb.116:                              ;   in Loop: Header=BB3397_110 Depth=1
	s_or_b64 exec, exec, s[34:35]
	s_branch .LBB3397_109
.LBB3397_117:                           ;   in Loop: Header=BB3397_110 Depth=1
                                        ; implicit-def: $vgpr24
                                        ; implicit-def: $vgpr25
	s_cbranch_execz .LBB3397_110
; %bb.118:
	s_and_saveexec_b64 s[30:31], s[16:17]
	s_cbranch_execz .LBB3397_120
; %bb.119:
	s_add_i32 s34, s36, 64
	s_mov_b32 s35, 0
	s_lshl_b64 s[34:35], s[34:35], 3
	s_add_u32 s34, s26, s34
	v_add_u32_e32 v16, v15, v14
	v_mov_b32_e32 v17, 2
	s_addc_u32 s35, s27, s35
	v_mov_b32_e32 v22, 0
	global_store_dwordx2 v22, v[16:17], s[34:35]
	ds_write_b64 v22, v[14:15] offset:10240
.LBB3397_120:
	s_or_b64 exec, exec, s[30:31]
	s_and_b64 exec, exec, s[0:1]
	s_cbranch_execz .LBB3397_122
; %bb.121:
	v_mov_b32_e32 v14, 0
	ds_write_b32 v14, v15 offset:12
.LBB3397_122:
	s_or_b64 exec, exec, s[28:29]
	v_mov_b32_e32 v14, 0
	s_waitcnt lgkmcnt(0)
	s_barrier
	ds_read_b32 v16, v14 offset:12
	s_waitcnt lgkmcnt(0)
	s_barrier
	ds_read_b64 v[14:15], v14 offset:10240
	v_cndmask_b32_e64 v17, v52, v51, s[16:17]
	v_cndmask_b32_e64 v17, v17, 0, s[0:1]
	v_add_u32_e32 v24, v16, v17
	s_waitcnt lgkmcnt(0)
	v_mov_b32_e32 v16, v15
	s_branch .LBB3397_133
.LBB3397_123:
                                        ; implicit-def: $vgpr16
                                        ; implicit-def: $vgpr14
                                        ; implicit-def: $vgpr24
	s_cbranch_execz .LBB3397_133
; %bb.124:
	s_nop 0
	v_mov_b32_dpp v14, v50 row_shr:1 row_mask:0xf bank_mask:0xf
	v_cndmask_b32_e64 v14, v14, 0, s[14:15]
	v_add_u32_e32 v14, v14, v50
	s_nop 1
	v_mov_b32_dpp v15, v14 row_shr:2 row_mask:0xf bank_mask:0xf
	v_cndmask_b32_e64 v15, 0, v15, s[12:13]
	v_add_u32_e32 v14, v14, v15
	;; [unrolled: 4-line block ×4, first 2 shown]
	s_nop 1
	v_mov_b32_dpp v15, v14 row_bcast:15 row_mask:0xf bank_mask:0xf
	v_cndmask_b32_e64 v15, v15, 0, s[6:7]
	v_add_u32_e32 v14, v14, v15
	s_nop 1
	v_mov_b32_dpp v15, v14 row_bcast:31 row_mask:0xf bank_mask:0xf
	v_cndmask_b32_e64 v15, 0, v15, s[2:3]
	v_add_u32_e32 v14, v14, v15
	s_and_saveexec_b64 s[2:3], s[4:5]
	s_cbranch_execz .LBB3397_126
; %bb.125:
	v_lshlrev_b32_e32 v15, 2, v49
	ds_write_b32 v15, v14
.LBB3397_126:
	s_or_b64 exec, exec, s[2:3]
	v_cmp_gt_u32_e32 vcc, 4, v0
	s_waitcnt lgkmcnt(0)
	s_barrier
	s_and_saveexec_b64 s[2:3], vcc
	s_cbranch_execz .LBB3397_128
; %bb.127:
	v_lshlrev_b32_e32 v15, 2, v0
	ds_read_b32 v16, v15
	v_and_b32_e32 v17, 3, v48
	v_cmp_ne_u32_e32 vcc, 0, v17
	s_waitcnt lgkmcnt(0)
	v_mov_b32_dpp v22, v16 row_shr:1 row_mask:0xf bank_mask:0xf
	v_cndmask_b32_e32 v22, 0, v22, vcc
	v_add_u32_e32 v16, v22, v16
	v_cmp_lt_u32_e32 vcc, 1, v17
	s_nop 0
	v_mov_b32_dpp v22, v16 row_shr:2 row_mask:0xf bank_mask:0xf
	v_cndmask_b32_e32 v17, 0, v22, vcc
	v_add_u32_e32 v16, v16, v17
	ds_write_b32 v15, v16
.LBB3397_128:
	s_or_b64 exec, exec, s[2:3]
	v_cmp_lt_u32_e32 vcc, 63, v0
	v_mov_b32_e32 v15, 0
	v_mov_b32_e32 v16, 0
	s_waitcnt lgkmcnt(0)
	s_barrier
	s_and_saveexec_b64 s[2:3], vcc
	s_cbranch_execz .LBB3397_130
; %bb.129:
	v_lshl_add_u32 v16, v49, 2, -4
	ds_read_b32 v16, v16
.LBB3397_130:
	s_or_b64 exec, exec, s[2:3]
	v_add_u32_e32 v17, -1, v48
	v_and_b32_e32 v22, 64, v48
	v_cmp_lt_i32_e32 vcc, v17, v22
	v_cndmask_b32_e32 v17, v17, v48, vcc
	s_waitcnt lgkmcnt(0)
	v_add_u32_e32 v14, v16, v14
	v_lshlrev_b32_e32 v17, 2, v17
	ds_bpermute_b32 v17, v17, v14
	ds_read_b32 v14, v15 offset:12
	s_and_saveexec_b64 s[2:3], s[0:1]
	s_cbranch_execz .LBB3397_132
; %bb.131:
	v_mov_b32_e32 v22, 0
	v_mov_b32_e32 v15, 2
	s_waitcnt lgkmcnt(0)
	global_store_dwordx2 v22, v[14:15], s[26:27] offset:512
.LBB3397_132:
	s_or_b64 exec, exec, s[2:3]
	v_cmp_eq_u32_e32 vcc, 0, v48
	s_waitcnt lgkmcnt(1)
	v_cndmask_b32_e32 v15, v17, v16, vcc
	v_mov_b32_e32 v16, 0
	v_cndmask_b32_e64 v24, v15, 0, s[0:1]
	s_waitcnt lgkmcnt(0)
	s_barrier
.LBB3397_133:
	v_add_u32_sdwa v26, v24, v20 dst_sel:DWORD dst_unused:UNUSED_PAD src0_sel:DWORD src1_sel:BYTE_0
	v_add_u32_e32 v28, v14, v28
	v_sub_u32_e32 v24, v24, v16
	v_and_b32_e32 v53, 1, v20
	v_sub_u32_e32 v52, v28, v24
	v_cmp_eq_u32_e32 vcc, 1, v53
	v_cndmask_b32_e32 v24, v52, v24, vcc
	v_lshlrev_b32_e32 v24, 1, v24
	v_lshrrev_b32_e32 v25, 8, v20
	ds_write_b16 v24, v6
	v_sub_u32_e32 v24, v26, v16
	v_add_u32_sdwa v27, v26, v20 dst_sel:DWORD dst_unused:UNUSED_PAD src0_sel:DWORD src1_sel:BYTE_1
	v_sub_u32_e32 v26, v28, v24
	v_and_b32_e32 v25, 1, v25
	v_add_u32_e32 v26, 1, v26
	v_cmp_eq_u32_e32 vcc, 1, v25
	v_cndmask_b32_e32 v24, v26, v24, vcc
	v_lshlrev_b32_e32 v24, 1, v24
	ds_write_b16_d16_hi v24, v6
	v_sub_u32_e32 v6, v27, v16
	v_mov_b32_e32 v25, 1
	v_sub_u32_e32 v24, v28, v6
	v_and_b32_sdwa v20, v25, v20 dst_sel:DWORD dst_unused:UNUSED_PAD src0_sel:DWORD src1_sel:WORD_1
	v_add_u32_e32 v24, 2, v24
	v_cmp_eq_u32_e32 vcc, 1, v20
	v_cndmask_b32_e32 v6, v24, v6, vcc
	v_add_u32_e32 v47, v27, v47
	v_lshlrev_b32_e32 v6, 1, v6
	ds_write_b16 v6, v7
	v_sub_u32_e32 v6, v47, v16
	v_sub_u32_e32 v20, v28, v6
	v_and_b32_e32 v24, 1, v35
	v_add_u32_e32 v20, 3, v20
	v_cmp_eq_u32_e32 vcc, 1, v24
	v_cndmask_b32_e32 v6, v20, v6, vcc
	v_add_u32_e32 v48, v47, v35
	v_lshlrev_b32_e32 v6, 1, v6
	ds_write_b16_d16_hi v6, v7
	v_sub_u32_e32 v6, v48, v16
	v_sub_u32_e32 v7, v28, v6
	v_and_b32_e32 v20, 1, v21
	v_add_u32_e32 v7, 4, v7
	v_cmp_eq_u32_e32 vcc, 1, v20
	v_cndmask_b32_e32 v6, v7, v6, vcc
	v_add_u32_e32 v44, v48, v44
	v_lshlrev_b32_e32 v6, 1, v6
	v_lshrrev_b32_e32 v23, 8, v21
	ds_write_b16 v6, v8
	v_sub_u32_e32 v6, v44, v16
	v_sub_u32_e32 v7, v28, v6
	v_and_b32_e32 v20, 1, v23
	v_add_u32_e32 v7, 5, v7
	v_cmp_eq_u32_e32 vcc, 1, v20
	v_cndmask_b32_e32 v6, v7, v6, vcc
	v_add_u32_e32 v45, v44, v45
	v_lshlrev_b32_e32 v6, 1, v6
	ds_write_b16_d16_hi v6, v8
	v_sub_u32_e32 v6, v45, v16
	v_sub_u32_e32 v7, v28, v6
	v_and_b32_sdwa v8, v25, v21 dst_sel:DWORD dst_unused:UNUSED_PAD src0_sel:DWORD src1_sel:WORD_1
	v_add_u32_e32 v7, 6, v7
	v_cmp_eq_u32_e32 vcc, 1, v8
	v_cndmask_b32_e32 v6, v7, v6, vcc
	v_add_u32_e32 v46, v45, v46
	v_lshlrev_b32_e32 v6, 1, v6
	ds_write_b16 v6, v9
	v_sub_u32_e32 v6, v46, v16
	v_sub_u32_e32 v7, v28, v6
	v_and_b32_e32 v8, 1, v34
	v_add_u32_e32 v7, 7, v7
	v_cmp_eq_u32_e32 vcc, 1, v8
	v_cndmask_b32_e32 v6, v7, v6, vcc
	v_add_u32_e32 v49, v46, v34
	v_lshlrev_b32_e32 v6, 1, v6
	ds_write_b16_d16_hi v6, v9
	v_sub_u32_e32 v6, v49, v16
	v_sub_u32_e32 v7, v28, v6
	v_and_b32_e32 v8, 1, v18
	v_add_u32_e32 v7, 8, v7
	v_cmp_eq_u32_e32 vcc, 1, v8
	v_cndmask_b32_e32 v6, v7, v6, vcc
	v_add_u32_e32 v41, v49, v41
	v_lshlrev_b32_e32 v6, 1, v6
	v_lshrrev_b32_e32 v22, 8, v18
	ds_write_b16 v6, v2
	v_sub_u32_e32 v6, v41, v16
	v_sub_u32_e32 v7, v28, v6
	v_and_b32_e32 v8, 1, v22
	v_add_u32_e32 v7, 9, v7
	v_cmp_eq_u32_e32 vcc, 1, v8
	v_cndmask_b32_e32 v6, v7, v6, vcc
	v_add_u32_e32 v42, v41, v42
	v_lshlrev_b32_e32 v6, 1, v6
	ds_write_b16_d16_hi v6, v2
	v_sub_u32_e32 v2, v42, v16
	;; [unrolled: 37-line block ×4, first 2 shown]
	v_sub_u32_e32 v3, v28, v2
	v_and_b32_sdwa v4, v25, v30 dst_sel:DWORD dst_unused:UNUSED_PAD src0_sel:DWORD src1_sel:WORD_1
	v_add_u32_e32 v3, 18, v3
	v_cmp_eq_u32_e32 vcc, 1, v4
	v_cndmask_b32_e32 v2, v3, v2, vcc
	v_lshlrev_b32_e32 v2, 1, v2
	ds_write_b16 v2, v13
	v_sub_u32_e32 v2, v31, v16
	v_add_u32_e32 v2, v37, v2
	v_sub_u32_e32 v3, v28, v2
	v_and_b32_e32 v4, 1, v29
	v_add_u32_e32 v3, 19, v3
	v_cmp_eq_u32_e32 vcc, 1, v4
	v_cndmask_b32_e32 v2, v3, v2, vcc
	v_lshlrev_b32_e32 v2, 1, v2
	ds_write_b16_d16_hi v2, v13
	s_waitcnt lgkmcnt(0)
	s_barrier
	ds_read_u16 v49, v1
	ds_read_u16 v48, v1 offset:512
	ds_read_u16 v46, v1 offset:1024
	;; [unrolled: 1-line block ×19, first 2 shown]
	v_or_b32_e32 v47, 0x100, v0
	v_or_b32_e32 v45, 0x200, v0
	;; [unrolled: 1-line block ×19, first 2 shown]
	s_andn2_b64 vcc, exec, s[22:23]
	s_waitcnt vmcnt(0)
	v_lshlrev_b64 v[4:5], 1, v[10:11]
	s_cbranch_vccnz .LBB3397_155
; %bb.134:
	v_mov_b32_e32 v17, 0
	v_mov_b32_e32 v2, s25
	v_add_co_u32_e32 v50, vcc, s24, v4
	v_addc_co_u32_e32 v51, vcc, v2, v5, vcc
	v_lshlrev_b64 v[2:3], 1, v[16:17]
	v_add_co_u32_e32 v2, vcc, v50, v2
	v_addc_co_u32_e32 v3, vcc, v51, v3, vcc
	v_cmp_lt_u32_e32 vcc, v0, v14
	s_and_saveexec_b64 s[2:3], vcc
	s_cbranch_execnz .LBB3397_182
; %bb.135:
	s_or_b64 exec, exec, s[2:3]
	v_cmp_lt_u32_e32 vcc, v47, v14
	s_and_saveexec_b64 s[2:3], vcc
	s_cbranch_execnz .LBB3397_183
.LBB3397_136:
	s_or_b64 exec, exec, s[2:3]
	v_cmp_lt_u32_e32 vcc, v45, v14
	s_and_saveexec_b64 s[2:3], vcc
	s_cbranch_execnz .LBB3397_184
.LBB3397_137:
	s_or_b64 exec, exec, s[2:3]
	v_cmp_lt_u32_e32 vcc, v43, v14
	s_and_saveexec_b64 s[2:3], vcc
	s_cbranch_execnz .LBB3397_185
.LBB3397_138:
	s_or_b64 exec, exec, s[2:3]
	v_cmp_lt_u32_e32 vcc, v41, v14
	s_and_saveexec_b64 s[2:3], vcc
	s_cbranch_execnz .LBB3397_186
.LBB3397_139:
	s_or_b64 exec, exec, s[2:3]
	v_cmp_lt_u32_e32 vcc, v40, v14
	s_and_saveexec_b64 s[2:3], vcc
	s_cbranch_execnz .LBB3397_187
.LBB3397_140:
	s_or_b64 exec, exec, s[2:3]
	v_cmp_lt_u32_e32 vcc, v38, v14
	s_and_saveexec_b64 s[2:3], vcc
	s_cbranch_execnz .LBB3397_188
.LBB3397_141:
	s_or_b64 exec, exec, s[2:3]
	v_cmp_lt_u32_e32 vcc, v36, v14
	s_and_saveexec_b64 s[2:3], vcc
	s_cbranch_execnz .LBB3397_189
.LBB3397_142:
	s_or_b64 exec, exec, s[2:3]
	v_cmp_lt_u32_e32 vcc, v33, v14
	s_and_saveexec_b64 s[2:3], vcc
	s_cbranch_execnz .LBB3397_190
.LBB3397_143:
	s_or_b64 exec, exec, s[2:3]
	v_cmp_lt_u32_e32 vcc, v31, v14
	s_and_saveexec_b64 s[2:3], vcc
	s_cbranch_execnz .LBB3397_191
.LBB3397_144:
	s_or_b64 exec, exec, s[2:3]
	v_cmp_lt_u32_e32 vcc, v29, v14
	s_and_saveexec_b64 s[2:3], vcc
	s_cbranch_execnz .LBB3397_192
.LBB3397_145:
	s_or_b64 exec, exec, s[2:3]
	v_cmp_lt_u32_e32 vcc, v27, v14
	s_and_saveexec_b64 s[2:3], vcc
	s_cbranch_execnz .LBB3397_193
.LBB3397_146:
	s_or_b64 exec, exec, s[2:3]
	v_cmp_lt_u32_e32 vcc, v25, v14
	s_and_saveexec_b64 s[2:3], vcc
	s_cbranch_execnz .LBB3397_194
.LBB3397_147:
	s_or_b64 exec, exec, s[2:3]
	v_cmp_lt_u32_e32 vcc, v23, v14
	s_and_saveexec_b64 s[2:3], vcc
	s_cbranch_execnz .LBB3397_195
.LBB3397_148:
	s_or_b64 exec, exec, s[2:3]
	v_cmp_lt_u32_e32 vcc, v21, v14
	s_and_saveexec_b64 s[2:3], vcc
	s_cbranch_execnz .LBB3397_196
.LBB3397_149:
	s_or_b64 exec, exec, s[2:3]
	v_cmp_lt_u32_e32 vcc, v19, v14
	s_and_saveexec_b64 s[2:3], vcc
	s_cbranch_execnz .LBB3397_197
.LBB3397_150:
	s_or_b64 exec, exec, s[2:3]
	v_cmp_lt_u32_e32 vcc, v15, v14
	s_and_saveexec_b64 s[2:3], vcc
	s_cbranch_execnz .LBB3397_198
.LBB3397_151:
	s_or_b64 exec, exec, s[2:3]
	v_cmp_lt_u32_e32 vcc, v12, v14
	s_and_saveexec_b64 s[2:3], vcc
	s_cbranch_execnz .LBB3397_199
.LBB3397_152:
	s_or_b64 exec, exec, s[2:3]
	v_cmp_lt_u32_e32 vcc, v9, v14
	s_and_saveexec_b64 s[2:3], vcc
	s_cbranch_execz .LBB3397_154
.LBB3397_153:
	v_lshlrev_b32_e32 v17, 1, v9
	v_readfirstlane_b32 s4, v2
	v_readfirstlane_b32 s5, v3
	s_waitcnt lgkmcnt(1)
	s_nop 3
	global_store_short v17, v8, s[4:5]
.LBB3397_154:
	s_or_b64 exec, exec, s[2:3]
	v_cmp_lt_u32_e64 s[2:3], v7, v14
	s_branch .LBB3397_177
.LBB3397_155:
	s_mov_b64 s[2:3], 0
                                        ; implicit-def: $vgpr2_vgpr3
	s_cbranch_execz .LBB3397_177
; %bb.156:
	v_mov_b32_e32 v17, 0
	v_mov_b32_e32 v2, s25
	v_add_co_u32_e32 v4, vcc, s24, v4
	v_addc_co_u32_e32 v5, vcc, v2, v5, vcc
	v_lshlrev_b64 v[2:3], 1, v[16:17]
	v_add_co_u32_e32 v2, vcc, v4, v2
	v_min_u32_e32 v50, s33, v14
	v_addc_co_u32_e32 v3, vcc, v5, v3, vcc
	v_cmp_gt_u32_e32 vcc, v50, v0
	s_and_saveexec_b64 s[2:3], vcc
	s_cbranch_execnz .LBB3397_200
; %bb.157:
	s_or_b64 exec, exec, s[2:3]
	v_cmp_lt_u32_e32 vcc, v47, v50
	s_and_saveexec_b64 s[2:3], vcc
	s_cbranch_execnz .LBB3397_201
.LBB3397_158:
	s_or_b64 exec, exec, s[2:3]
	v_cmp_lt_u32_e32 vcc, v45, v50
	s_and_saveexec_b64 s[2:3], vcc
	s_cbranch_execnz .LBB3397_202
.LBB3397_159:
	s_or_b64 exec, exec, s[2:3]
	v_cmp_lt_u32_e32 vcc, v43, v50
	s_and_saveexec_b64 s[2:3], vcc
	s_cbranch_execnz .LBB3397_203
.LBB3397_160:
	s_or_b64 exec, exec, s[2:3]
	v_cmp_lt_u32_e32 vcc, v41, v50
	s_and_saveexec_b64 s[2:3], vcc
	s_cbranch_execnz .LBB3397_204
.LBB3397_161:
	s_or_b64 exec, exec, s[2:3]
	v_cmp_lt_u32_e32 vcc, v40, v50
	s_and_saveexec_b64 s[2:3], vcc
	s_cbranch_execnz .LBB3397_205
.LBB3397_162:
	s_or_b64 exec, exec, s[2:3]
	v_cmp_lt_u32_e32 vcc, v38, v50
	s_and_saveexec_b64 s[2:3], vcc
	s_cbranch_execnz .LBB3397_206
.LBB3397_163:
	s_or_b64 exec, exec, s[2:3]
	v_cmp_lt_u32_e32 vcc, v36, v50
	s_and_saveexec_b64 s[2:3], vcc
	s_cbranch_execnz .LBB3397_207
.LBB3397_164:
	s_or_b64 exec, exec, s[2:3]
	v_cmp_lt_u32_e32 vcc, v33, v50
	s_and_saveexec_b64 s[2:3], vcc
	s_cbranch_execnz .LBB3397_208
.LBB3397_165:
	s_or_b64 exec, exec, s[2:3]
	v_cmp_lt_u32_e32 vcc, v31, v50
	s_and_saveexec_b64 s[2:3], vcc
	s_cbranch_execnz .LBB3397_209
.LBB3397_166:
	s_or_b64 exec, exec, s[2:3]
	v_cmp_lt_u32_e32 vcc, v29, v50
	s_and_saveexec_b64 s[2:3], vcc
	s_cbranch_execnz .LBB3397_210
.LBB3397_167:
	s_or_b64 exec, exec, s[2:3]
	v_cmp_lt_u32_e32 vcc, v27, v50
	s_and_saveexec_b64 s[2:3], vcc
	s_cbranch_execnz .LBB3397_211
.LBB3397_168:
	s_or_b64 exec, exec, s[2:3]
	v_cmp_lt_u32_e32 vcc, v25, v50
	s_and_saveexec_b64 s[2:3], vcc
	s_cbranch_execnz .LBB3397_212
.LBB3397_169:
	s_or_b64 exec, exec, s[2:3]
	v_cmp_lt_u32_e32 vcc, v23, v50
	s_and_saveexec_b64 s[2:3], vcc
	s_cbranch_execnz .LBB3397_213
.LBB3397_170:
	s_or_b64 exec, exec, s[2:3]
	v_cmp_lt_u32_e32 vcc, v21, v50
	s_and_saveexec_b64 s[2:3], vcc
	s_cbranch_execnz .LBB3397_214
.LBB3397_171:
	s_or_b64 exec, exec, s[2:3]
	v_cmp_lt_u32_e32 vcc, v19, v50
	s_and_saveexec_b64 s[2:3], vcc
	s_cbranch_execnz .LBB3397_215
.LBB3397_172:
	s_or_b64 exec, exec, s[2:3]
	v_cmp_lt_u32_e32 vcc, v15, v50
	s_and_saveexec_b64 s[2:3], vcc
	s_cbranch_execnz .LBB3397_216
.LBB3397_173:
	s_or_b64 exec, exec, s[2:3]
	v_cmp_lt_u32_e32 vcc, v12, v50
	s_and_saveexec_b64 s[2:3], vcc
	s_cbranch_execnz .LBB3397_217
.LBB3397_174:
	s_or_b64 exec, exec, s[2:3]
	v_cmp_lt_u32_e32 vcc, v9, v50
	s_and_saveexec_b64 s[2:3], vcc
	s_cbranch_execz .LBB3397_176
.LBB3397_175:
	v_lshlrev_b32_e32 v0, 1, v9
	v_readfirstlane_b32 s4, v2
	v_readfirstlane_b32 s5, v3
	s_waitcnt lgkmcnt(1)
	s_nop 3
	global_store_short v0, v8, s[4:5]
.LBB3397_176:
	s_or_b64 exec, exec, s[2:3]
	v_cmp_lt_u32_e64 s[2:3], v7, v50
.LBB3397_177:
	s_and_saveexec_b64 s[4:5], s[2:3]
	s_cbranch_execnz .LBB3397_180
; %bb.178:
	s_or_b64 exec, exec, s[4:5]
	s_and_b64 s[0:1], s[0:1], s[18:19]
	s_and_saveexec_b64 s[2:3], s[0:1]
	s_cbranch_execnz .LBB3397_181
.LBB3397_179:
	s_endpgm
.LBB3397_180:
	v_lshlrev_b32_e32 v0, 1, v7
	v_readfirstlane_b32 s2, v2
	v_readfirstlane_b32 s3, v3
	s_waitcnt lgkmcnt(0)
	s_nop 3
	global_store_short v0, v6, s[2:3]
	s_or_b64 exec, exec, s[4:5]
	s_and_b64 s[0:1], s[0:1], s[18:19]
	s_and_saveexec_b64 s[2:3], s[0:1]
	s_cbranch_execz .LBB3397_179
.LBB3397_181:
	v_add_co_u32_e32 v0, vcc, v10, v14
	v_addc_co_u32_e32 v1, vcc, 0, v11, vcc
	v_add_co_u32_e32 v0, vcc, v0, v16
	v_mov_b32_e32 v2, 0
	v_addc_co_u32_e32 v1, vcc, 0, v1, vcc
	global_store_dwordx2 v2, v[0:1], s[20:21]
	s_endpgm
.LBB3397_182:
	v_readfirstlane_b32 s4, v2
	v_readfirstlane_b32 s5, v3
	s_waitcnt lgkmcnt(14)
	s_nop 3
	global_store_short v1, v49, s[4:5]
	s_or_b64 exec, exec, s[2:3]
	v_cmp_lt_u32_e32 vcc, v47, v14
	s_and_saveexec_b64 s[2:3], vcc
	s_cbranch_execz .LBB3397_136
.LBB3397_183:
	v_readfirstlane_b32 s4, v2
	v_readfirstlane_b32 s5, v3
	s_waitcnt lgkmcnt(14)
	s_nop 3
	global_store_short v1, v48, s[4:5] offset:512
	s_or_b64 exec, exec, s[2:3]
	v_cmp_lt_u32_e32 vcc, v45, v14
	s_and_saveexec_b64 s[2:3], vcc
	s_cbranch_execz .LBB3397_137
.LBB3397_184:
	v_readfirstlane_b32 s4, v2
	v_readfirstlane_b32 s5, v3
	s_waitcnt lgkmcnt(14)
	s_nop 3
	global_store_short v1, v46, s[4:5] offset:1024
	s_or_b64 exec, exec, s[2:3]
	v_cmp_lt_u32_e32 vcc, v43, v14
	s_and_saveexec_b64 s[2:3], vcc
	s_cbranch_execz .LBB3397_138
.LBB3397_185:
	v_readfirstlane_b32 s4, v2
	v_readfirstlane_b32 s5, v3
	s_waitcnt lgkmcnt(14)
	s_nop 3
	global_store_short v1, v44, s[4:5] offset:1536
	s_or_b64 exec, exec, s[2:3]
	v_cmp_lt_u32_e32 vcc, v41, v14
	s_and_saveexec_b64 s[2:3], vcc
	s_cbranch_execz .LBB3397_139
.LBB3397_186:
	v_readfirstlane_b32 s4, v2
	v_readfirstlane_b32 s5, v3
	s_waitcnt lgkmcnt(14)
	s_nop 3
	global_store_short v1, v42, s[4:5] offset:2048
	s_or_b64 exec, exec, s[2:3]
	v_cmp_lt_u32_e32 vcc, v40, v14
	s_and_saveexec_b64 s[2:3], vcc
	s_cbranch_execz .LBB3397_140
.LBB3397_187:
	v_readfirstlane_b32 s4, v2
	v_readfirstlane_b32 s5, v3
	s_waitcnt lgkmcnt(14)
	s_nop 3
	global_store_short v1, v39, s[4:5] offset:2560
	s_or_b64 exec, exec, s[2:3]
	v_cmp_lt_u32_e32 vcc, v38, v14
	s_and_saveexec_b64 s[2:3], vcc
	s_cbranch_execz .LBB3397_141
.LBB3397_188:
	v_readfirstlane_b32 s4, v2
	v_readfirstlane_b32 s5, v3
	s_waitcnt lgkmcnt(13)
	s_nop 3
	global_store_short v1, v37, s[4:5] offset:3072
	s_or_b64 exec, exec, s[2:3]
	v_cmp_lt_u32_e32 vcc, v36, v14
	s_and_saveexec_b64 s[2:3], vcc
	s_cbranch_execz .LBB3397_142
.LBB3397_189:
	v_readfirstlane_b32 s4, v2
	v_readfirstlane_b32 s5, v3
	s_waitcnt lgkmcnt(12)
	s_nop 3
	global_store_short v1, v34, s[4:5] offset:3584
	s_or_b64 exec, exec, s[2:3]
	v_cmp_lt_u32_e32 vcc, v33, v14
	s_and_saveexec_b64 s[2:3], vcc
	s_cbranch_execz .LBB3397_143
.LBB3397_190:
	v_lshlrev_b32_e32 v17, 1, v33
	v_readfirstlane_b32 s4, v2
	v_readfirstlane_b32 s5, v3
	s_waitcnt lgkmcnt(11)
	s_nop 3
	global_store_short v17, v35, s[4:5]
	s_or_b64 exec, exec, s[2:3]
	v_cmp_lt_u32_e32 vcc, v31, v14
	s_and_saveexec_b64 s[2:3], vcc
	s_cbranch_execz .LBB3397_144
.LBB3397_191:
	v_lshlrev_b32_e32 v17, 1, v31
	v_readfirstlane_b32 s4, v2
	v_readfirstlane_b32 s5, v3
	s_waitcnt lgkmcnt(10)
	s_nop 3
	global_store_short v17, v32, s[4:5]
	s_or_b64 exec, exec, s[2:3]
	v_cmp_lt_u32_e32 vcc, v29, v14
	s_and_saveexec_b64 s[2:3], vcc
	s_cbranch_execz .LBB3397_145
.LBB3397_192:
	v_lshlrev_b32_e32 v17, 1, v29
	v_readfirstlane_b32 s4, v2
	v_readfirstlane_b32 s5, v3
	s_waitcnt lgkmcnt(9)
	s_nop 3
	global_store_short v17, v30, s[4:5]
	s_or_b64 exec, exec, s[2:3]
	v_cmp_lt_u32_e32 vcc, v27, v14
	s_and_saveexec_b64 s[2:3], vcc
	s_cbranch_execz .LBB3397_146
.LBB3397_193:
	v_lshlrev_b32_e32 v17, 1, v27
	v_readfirstlane_b32 s4, v2
	v_readfirstlane_b32 s5, v3
	s_waitcnt lgkmcnt(8)
	s_nop 3
	global_store_short v17, v28, s[4:5]
	s_or_b64 exec, exec, s[2:3]
	v_cmp_lt_u32_e32 vcc, v25, v14
	s_and_saveexec_b64 s[2:3], vcc
	s_cbranch_execz .LBB3397_147
.LBB3397_194:
	v_lshlrev_b32_e32 v17, 1, v25
	v_readfirstlane_b32 s4, v2
	v_readfirstlane_b32 s5, v3
	s_waitcnt lgkmcnt(7)
	s_nop 3
	global_store_short v17, v26, s[4:5]
	s_or_b64 exec, exec, s[2:3]
	v_cmp_lt_u32_e32 vcc, v23, v14
	s_and_saveexec_b64 s[2:3], vcc
	s_cbranch_execz .LBB3397_148
.LBB3397_195:
	v_lshlrev_b32_e32 v17, 1, v23
	v_readfirstlane_b32 s4, v2
	v_readfirstlane_b32 s5, v3
	s_waitcnt lgkmcnt(6)
	s_nop 3
	global_store_short v17, v24, s[4:5]
	s_or_b64 exec, exec, s[2:3]
	v_cmp_lt_u32_e32 vcc, v21, v14
	s_and_saveexec_b64 s[2:3], vcc
	s_cbranch_execz .LBB3397_149
.LBB3397_196:
	v_lshlrev_b32_e32 v17, 1, v21
	v_readfirstlane_b32 s4, v2
	v_readfirstlane_b32 s5, v3
	s_waitcnt lgkmcnt(5)
	s_nop 3
	global_store_short v17, v22, s[4:5]
	s_or_b64 exec, exec, s[2:3]
	v_cmp_lt_u32_e32 vcc, v19, v14
	s_and_saveexec_b64 s[2:3], vcc
	s_cbranch_execz .LBB3397_150
.LBB3397_197:
	v_lshlrev_b32_e32 v17, 1, v19
	v_readfirstlane_b32 s4, v2
	v_readfirstlane_b32 s5, v3
	s_waitcnt lgkmcnt(4)
	s_nop 3
	global_store_short v17, v20, s[4:5]
	s_or_b64 exec, exec, s[2:3]
	v_cmp_lt_u32_e32 vcc, v15, v14
	s_and_saveexec_b64 s[2:3], vcc
	s_cbranch_execz .LBB3397_151
.LBB3397_198:
	v_lshlrev_b32_e32 v17, 1, v15
	v_readfirstlane_b32 s4, v2
	v_readfirstlane_b32 s5, v3
	s_waitcnt lgkmcnt(3)
	s_nop 3
	global_store_short v17, v18, s[4:5]
	s_or_b64 exec, exec, s[2:3]
	v_cmp_lt_u32_e32 vcc, v12, v14
	s_and_saveexec_b64 s[2:3], vcc
	s_cbranch_execz .LBB3397_152
.LBB3397_199:
	v_lshlrev_b32_e32 v17, 1, v12
	v_readfirstlane_b32 s4, v2
	v_readfirstlane_b32 s5, v3
	s_waitcnt lgkmcnt(2)
	s_nop 3
	global_store_short v17, v13, s[4:5]
	s_or_b64 exec, exec, s[2:3]
	v_cmp_lt_u32_e32 vcc, v9, v14
	s_and_saveexec_b64 s[2:3], vcc
	s_cbranch_execnz .LBB3397_153
	s_branch .LBB3397_154
.LBB3397_200:
	v_readfirstlane_b32 s4, v2
	v_readfirstlane_b32 s5, v3
	s_waitcnt lgkmcnt(14)
	s_nop 3
	global_store_short v1, v49, s[4:5]
	s_or_b64 exec, exec, s[2:3]
	v_cmp_lt_u32_e32 vcc, v47, v50
	s_and_saveexec_b64 s[2:3], vcc
	s_cbranch_execz .LBB3397_158
.LBB3397_201:
	v_readfirstlane_b32 s4, v2
	v_readfirstlane_b32 s5, v3
	s_waitcnt lgkmcnt(14)
	s_nop 3
	global_store_short v1, v48, s[4:5] offset:512
	s_or_b64 exec, exec, s[2:3]
	v_cmp_lt_u32_e32 vcc, v45, v50
	s_and_saveexec_b64 s[2:3], vcc
	s_cbranch_execz .LBB3397_159
.LBB3397_202:
	v_readfirstlane_b32 s4, v2
	v_readfirstlane_b32 s5, v3
	s_waitcnt lgkmcnt(14)
	s_nop 3
	global_store_short v1, v46, s[4:5] offset:1024
	s_or_b64 exec, exec, s[2:3]
	v_cmp_lt_u32_e32 vcc, v43, v50
	s_and_saveexec_b64 s[2:3], vcc
	s_cbranch_execz .LBB3397_160
.LBB3397_203:
	v_readfirstlane_b32 s4, v2
	v_readfirstlane_b32 s5, v3
	s_waitcnt lgkmcnt(14)
	s_nop 3
	global_store_short v1, v44, s[4:5] offset:1536
	s_or_b64 exec, exec, s[2:3]
	v_cmp_lt_u32_e32 vcc, v41, v50
	s_and_saveexec_b64 s[2:3], vcc
	s_cbranch_execz .LBB3397_161
.LBB3397_204:
	v_readfirstlane_b32 s4, v2
	v_readfirstlane_b32 s5, v3
	s_waitcnt lgkmcnt(14)
	s_nop 3
	global_store_short v1, v42, s[4:5] offset:2048
	s_or_b64 exec, exec, s[2:3]
	v_cmp_lt_u32_e32 vcc, v40, v50
	s_and_saveexec_b64 s[2:3], vcc
	s_cbranch_execz .LBB3397_162
.LBB3397_205:
	v_readfirstlane_b32 s4, v2
	v_readfirstlane_b32 s5, v3
	s_waitcnt lgkmcnt(14)
	s_nop 3
	global_store_short v1, v39, s[4:5] offset:2560
	s_or_b64 exec, exec, s[2:3]
	v_cmp_lt_u32_e32 vcc, v38, v50
	s_and_saveexec_b64 s[2:3], vcc
	s_cbranch_execz .LBB3397_163
.LBB3397_206:
	v_readfirstlane_b32 s4, v2
	v_readfirstlane_b32 s5, v3
	s_waitcnt lgkmcnt(13)
	s_nop 3
	global_store_short v1, v37, s[4:5] offset:3072
	s_or_b64 exec, exec, s[2:3]
	v_cmp_lt_u32_e32 vcc, v36, v50
	s_and_saveexec_b64 s[2:3], vcc
	s_cbranch_execz .LBB3397_164
.LBB3397_207:
	v_readfirstlane_b32 s4, v2
	v_readfirstlane_b32 s5, v3
	s_waitcnt lgkmcnt(12)
	s_nop 3
	global_store_short v1, v34, s[4:5] offset:3584
	s_or_b64 exec, exec, s[2:3]
	v_cmp_lt_u32_e32 vcc, v33, v50
	s_and_saveexec_b64 s[2:3], vcc
	s_cbranch_execz .LBB3397_165
.LBB3397_208:
	v_lshlrev_b32_e32 v0, 1, v33
	v_readfirstlane_b32 s4, v2
	v_readfirstlane_b32 s5, v3
	s_waitcnt lgkmcnt(11)
	s_nop 3
	global_store_short v0, v35, s[4:5]
	s_or_b64 exec, exec, s[2:3]
	v_cmp_lt_u32_e32 vcc, v31, v50
	s_and_saveexec_b64 s[2:3], vcc
	s_cbranch_execz .LBB3397_166
.LBB3397_209:
	v_lshlrev_b32_e32 v0, 1, v31
	v_readfirstlane_b32 s4, v2
	v_readfirstlane_b32 s5, v3
	s_waitcnt lgkmcnt(10)
	s_nop 3
	global_store_short v0, v32, s[4:5]
	s_or_b64 exec, exec, s[2:3]
	v_cmp_lt_u32_e32 vcc, v29, v50
	s_and_saveexec_b64 s[2:3], vcc
	s_cbranch_execz .LBB3397_167
.LBB3397_210:
	v_lshlrev_b32_e32 v0, 1, v29
	v_readfirstlane_b32 s4, v2
	v_readfirstlane_b32 s5, v3
	s_waitcnt lgkmcnt(9)
	s_nop 3
	global_store_short v0, v30, s[4:5]
	s_or_b64 exec, exec, s[2:3]
	v_cmp_lt_u32_e32 vcc, v27, v50
	s_and_saveexec_b64 s[2:3], vcc
	s_cbranch_execz .LBB3397_168
.LBB3397_211:
	v_lshlrev_b32_e32 v0, 1, v27
	v_readfirstlane_b32 s4, v2
	v_readfirstlane_b32 s5, v3
	s_waitcnt lgkmcnt(8)
	s_nop 3
	global_store_short v0, v28, s[4:5]
	s_or_b64 exec, exec, s[2:3]
	v_cmp_lt_u32_e32 vcc, v25, v50
	s_and_saveexec_b64 s[2:3], vcc
	s_cbranch_execz .LBB3397_169
.LBB3397_212:
	v_lshlrev_b32_e32 v0, 1, v25
	v_readfirstlane_b32 s4, v2
	v_readfirstlane_b32 s5, v3
	s_waitcnt lgkmcnt(7)
	s_nop 3
	global_store_short v0, v26, s[4:5]
	s_or_b64 exec, exec, s[2:3]
	v_cmp_lt_u32_e32 vcc, v23, v50
	s_and_saveexec_b64 s[2:3], vcc
	s_cbranch_execz .LBB3397_170
.LBB3397_213:
	v_lshlrev_b32_e32 v0, 1, v23
	v_readfirstlane_b32 s4, v2
	v_readfirstlane_b32 s5, v3
	s_waitcnt lgkmcnt(6)
	s_nop 3
	global_store_short v0, v24, s[4:5]
	s_or_b64 exec, exec, s[2:3]
	v_cmp_lt_u32_e32 vcc, v21, v50
	s_and_saveexec_b64 s[2:3], vcc
	s_cbranch_execz .LBB3397_171
.LBB3397_214:
	v_lshlrev_b32_e32 v0, 1, v21
	v_readfirstlane_b32 s4, v2
	v_readfirstlane_b32 s5, v3
	s_waitcnt lgkmcnt(5)
	s_nop 3
	global_store_short v0, v22, s[4:5]
	s_or_b64 exec, exec, s[2:3]
	v_cmp_lt_u32_e32 vcc, v19, v50
	s_and_saveexec_b64 s[2:3], vcc
	s_cbranch_execz .LBB3397_172
.LBB3397_215:
	v_lshlrev_b32_e32 v0, 1, v19
	v_readfirstlane_b32 s4, v2
	v_readfirstlane_b32 s5, v3
	s_waitcnt lgkmcnt(4)
	s_nop 3
	global_store_short v0, v20, s[4:5]
	s_or_b64 exec, exec, s[2:3]
	v_cmp_lt_u32_e32 vcc, v15, v50
	s_and_saveexec_b64 s[2:3], vcc
	s_cbranch_execz .LBB3397_173
.LBB3397_216:
	v_lshlrev_b32_e32 v0, 1, v15
	v_readfirstlane_b32 s4, v2
	v_readfirstlane_b32 s5, v3
	s_waitcnt lgkmcnt(3)
	s_nop 3
	global_store_short v0, v18, s[4:5]
	s_or_b64 exec, exec, s[2:3]
	v_cmp_lt_u32_e32 vcc, v12, v50
	s_and_saveexec_b64 s[2:3], vcc
	s_cbranch_execz .LBB3397_174
.LBB3397_217:
	v_lshlrev_b32_e32 v0, 1, v12
	v_readfirstlane_b32 s4, v2
	v_readfirstlane_b32 s5, v3
	s_waitcnt lgkmcnt(2)
	s_nop 3
	global_store_short v0, v13, s[4:5]
	s_or_b64 exec, exec, s[2:3]
	v_cmp_lt_u32_e32 vcc, v9, v50
	s_and_saveexec_b64 s[2:3], vcc
	s_cbranch_execnz .LBB3397_175
	s_branch .LBB3397_176
	.section	.rodata,"a",@progbits
	.p2align	6, 0x0
	.amdhsa_kernel _ZN7rocprim17ROCPRIM_400000_NS6detail17trampoline_kernelINS0_14default_configENS1_25partition_config_selectorILNS1_17partition_subalgoE1EsNS0_10empty_typeEbEEZZNS1_14partition_implILS5_1ELb0ES3_jN6thrust23THRUST_200600_302600_NS6detail15normal_iteratorINSA_10device_ptrIsEEEEPS6_NSA_18transform_iteratorI7is_evenIsESF_NSA_11use_defaultESK_EENS0_5tupleIJSF_NSA_16discard_iteratorISK_EEEEENSM_IJSG_SG_EEES6_PlJS6_EEE10hipError_tPvRmT3_T4_T5_T6_T7_T9_mT8_P12ihipStream_tbDpT10_ENKUlT_T0_E_clISt17integral_constantIbLb1EES1B_EEDaS16_S17_EUlS16_E_NS1_11comp_targetILNS1_3genE4ELNS1_11target_archE910ELNS1_3gpuE8ELNS1_3repE0EEENS1_30default_config_static_selectorELNS0_4arch9wavefront6targetE1EEEvT1_
		.amdhsa_group_segment_fixed_size 10248
		.amdhsa_private_segment_fixed_size 0
		.amdhsa_kernarg_size 152
		.amdhsa_user_sgpr_count 6
		.amdhsa_user_sgpr_private_segment_buffer 1
		.amdhsa_user_sgpr_dispatch_ptr 0
		.amdhsa_user_sgpr_queue_ptr 0
		.amdhsa_user_sgpr_kernarg_segment_ptr 1
		.amdhsa_user_sgpr_dispatch_id 0
		.amdhsa_user_sgpr_flat_scratch_init 0
		.amdhsa_user_sgpr_kernarg_preload_length 0
		.amdhsa_user_sgpr_kernarg_preload_offset 0
		.amdhsa_user_sgpr_private_segment_size 0
		.amdhsa_uses_dynamic_stack 0
		.amdhsa_system_sgpr_private_segment_wavefront_offset 0
		.amdhsa_system_sgpr_workgroup_id_x 1
		.amdhsa_system_sgpr_workgroup_id_y 0
		.amdhsa_system_sgpr_workgroup_id_z 0
		.amdhsa_system_sgpr_workgroup_info 0
		.amdhsa_system_vgpr_workitem_id 0
		.amdhsa_next_free_vgpr 67
		.amdhsa_next_free_sgpr 40
		.amdhsa_accum_offset 68
		.amdhsa_reserve_vcc 1
		.amdhsa_reserve_flat_scratch 0
		.amdhsa_float_round_mode_32 0
		.amdhsa_float_round_mode_16_64 0
		.amdhsa_float_denorm_mode_32 3
		.amdhsa_float_denorm_mode_16_64 3
		.amdhsa_dx10_clamp 1
		.amdhsa_ieee_mode 1
		.amdhsa_fp16_overflow 0
		.amdhsa_tg_split 0
		.amdhsa_exception_fp_ieee_invalid_op 0
		.amdhsa_exception_fp_denorm_src 0
		.amdhsa_exception_fp_ieee_div_zero 0
		.amdhsa_exception_fp_ieee_overflow 0
		.amdhsa_exception_fp_ieee_underflow 0
		.amdhsa_exception_fp_ieee_inexact 0
		.amdhsa_exception_int_div_zero 0
	.end_amdhsa_kernel
	.section	.text._ZN7rocprim17ROCPRIM_400000_NS6detail17trampoline_kernelINS0_14default_configENS1_25partition_config_selectorILNS1_17partition_subalgoE1EsNS0_10empty_typeEbEEZZNS1_14partition_implILS5_1ELb0ES3_jN6thrust23THRUST_200600_302600_NS6detail15normal_iteratorINSA_10device_ptrIsEEEEPS6_NSA_18transform_iteratorI7is_evenIsESF_NSA_11use_defaultESK_EENS0_5tupleIJSF_NSA_16discard_iteratorISK_EEEEENSM_IJSG_SG_EEES6_PlJS6_EEE10hipError_tPvRmT3_T4_T5_T6_T7_T9_mT8_P12ihipStream_tbDpT10_ENKUlT_T0_E_clISt17integral_constantIbLb1EES1B_EEDaS16_S17_EUlS16_E_NS1_11comp_targetILNS1_3genE4ELNS1_11target_archE910ELNS1_3gpuE8ELNS1_3repE0EEENS1_30default_config_static_selectorELNS0_4arch9wavefront6targetE1EEEvT1_,"axG",@progbits,_ZN7rocprim17ROCPRIM_400000_NS6detail17trampoline_kernelINS0_14default_configENS1_25partition_config_selectorILNS1_17partition_subalgoE1EsNS0_10empty_typeEbEEZZNS1_14partition_implILS5_1ELb0ES3_jN6thrust23THRUST_200600_302600_NS6detail15normal_iteratorINSA_10device_ptrIsEEEEPS6_NSA_18transform_iteratorI7is_evenIsESF_NSA_11use_defaultESK_EENS0_5tupleIJSF_NSA_16discard_iteratorISK_EEEEENSM_IJSG_SG_EEES6_PlJS6_EEE10hipError_tPvRmT3_T4_T5_T6_T7_T9_mT8_P12ihipStream_tbDpT10_ENKUlT_T0_E_clISt17integral_constantIbLb1EES1B_EEDaS16_S17_EUlS16_E_NS1_11comp_targetILNS1_3genE4ELNS1_11target_archE910ELNS1_3gpuE8ELNS1_3repE0EEENS1_30default_config_static_selectorELNS0_4arch9wavefront6targetE1EEEvT1_,comdat
.Lfunc_end3397:
	.size	_ZN7rocprim17ROCPRIM_400000_NS6detail17trampoline_kernelINS0_14default_configENS1_25partition_config_selectorILNS1_17partition_subalgoE1EsNS0_10empty_typeEbEEZZNS1_14partition_implILS5_1ELb0ES3_jN6thrust23THRUST_200600_302600_NS6detail15normal_iteratorINSA_10device_ptrIsEEEEPS6_NSA_18transform_iteratorI7is_evenIsESF_NSA_11use_defaultESK_EENS0_5tupleIJSF_NSA_16discard_iteratorISK_EEEEENSM_IJSG_SG_EEES6_PlJS6_EEE10hipError_tPvRmT3_T4_T5_T6_T7_T9_mT8_P12ihipStream_tbDpT10_ENKUlT_T0_E_clISt17integral_constantIbLb1EES1B_EEDaS16_S17_EUlS16_E_NS1_11comp_targetILNS1_3genE4ELNS1_11target_archE910ELNS1_3gpuE8ELNS1_3repE0EEENS1_30default_config_static_selectorELNS0_4arch9wavefront6targetE1EEEvT1_, .Lfunc_end3397-_ZN7rocprim17ROCPRIM_400000_NS6detail17trampoline_kernelINS0_14default_configENS1_25partition_config_selectorILNS1_17partition_subalgoE1EsNS0_10empty_typeEbEEZZNS1_14partition_implILS5_1ELb0ES3_jN6thrust23THRUST_200600_302600_NS6detail15normal_iteratorINSA_10device_ptrIsEEEEPS6_NSA_18transform_iteratorI7is_evenIsESF_NSA_11use_defaultESK_EENS0_5tupleIJSF_NSA_16discard_iteratorISK_EEEEENSM_IJSG_SG_EEES6_PlJS6_EEE10hipError_tPvRmT3_T4_T5_T6_T7_T9_mT8_P12ihipStream_tbDpT10_ENKUlT_T0_E_clISt17integral_constantIbLb1EES1B_EEDaS16_S17_EUlS16_E_NS1_11comp_targetILNS1_3genE4ELNS1_11target_archE910ELNS1_3gpuE8ELNS1_3repE0EEENS1_30default_config_static_selectorELNS0_4arch9wavefront6targetE1EEEvT1_
                                        ; -- End function
	.section	.AMDGPU.csdata,"",@progbits
; Kernel info:
; codeLenInByte = 9456
; NumSgprs: 44
; NumVgprs: 67
; NumAgprs: 0
; TotalNumVgprs: 67
; ScratchSize: 0
; MemoryBound: 0
; FloatMode: 240
; IeeeMode: 1
; LDSByteSize: 10248 bytes/workgroup (compile time only)
; SGPRBlocks: 5
; VGPRBlocks: 8
; NumSGPRsForWavesPerEU: 44
; NumVGPRsForWavesPerEU: 67
; AccumOffset: 68
; Occupancy: 6
; WaveLimiterHint : 1
; COMPUTE_PGM_RSRC2:SCRATCH_EN: 0
; COMPUTE_PGM_RSRC2:USER_SGPR: 6
; COMPUTE_PGM_RSRC2:TRAP_HANDLER: 0
; COMPUTE_PGM_RSRC2:TGID_X_EN: 1
; COMPUTE_PGM_RSRC2:TGID_Y_EN: 0
; COMPUTE_PGM_RSRC2:TGID_Z_EN: 0
; COMPUTE_PGM_RSRC2:TIDIG_COMP_CNT: 0
; COMPUTE_PGM_RSRC3_GFX90A:ACCUM_OFFSET: 16
; COMPUTE_PGM_RSRC3_GFX90A:TG_SPLIT: 0
	.section	.text._ZN7rocprim17ROCPRIM_400000_NS6detail17trampoline_kernelINS0_14default_configENS1_25partition_config_selectorILNS1_17partition_subalgoE1EsNS0_10empty_typeEbEEZZNS1_14partition_implILS5_1ELb0ES3_jN6thrust23THRUST_200600_302600_NS6detail15normal_iteratorINSA_10device_ptrIsEEEEPS6_NSA_18transform_iteratorI7is_evenIsESF_NSA_11use_defaultESK_EENS0_5tupleIJSF_NSA_16discard_iteratorISK_EEEEENSM_IJSG_SG_EEES6_PlJS6_EEE10hipError_tPvRmT3_T4_T5_T6_T7_T9_mT8_P12ihipStream_tbDpT10_ENKUlT_T0_E_clISt17integral_constantIbLb1EES1B_EEDaS16_S17_EUlS16_E_NS1_11comp_targetILNS1_3genE3ELNS1_11target_archE908ELNS1_3gpuE7ELNS1_3repE0EEENS1_30default_config_static_selectorELNS0_4arch9wavefront6targetE1EEEvT1_,"axG",@progbits,_ZN7rocprim17ROCPRIM_400000_NS6detail17trampoline_kernelINS0_14default_configENS1_25partition_config_selectorILNS1_17partition_subalgoE1EsNS0_10empty_typeEbEEZZNS1_14partition_implILS5_1ELb0ES3_jN6thrust23THRUST_200600_302600_NS6detail15normal_iteratorINSA_10device_ptrIsEEEEPS6_NSA_18transform_iteratorI7is_evenIsESF_NSA_11use_defaultESK_EENS0_5tupleIJSF_NSA_16discard_iteratorISK_EEEEENSM_IJSG_SG_EEES6_PlJS6_EEE10hipError_tPvRmT3_T4_T5_T6_T7_T9_mT8_P12ihipStream_tbDpT10_ENKUlT_T0_E_clISt17integral_constantIbLb1EES1B_EEDaS16_S17_EUlS16_E_NS1_11comp_targetILNS1_3genE3ELNS1_11target_archE908ELNS1_3gpuE7ELNS1_3repE0EEENS1_30default_config_static_selectorELNS0_4arch9wavefront6targetE1EEEvT1_,comdat
	.protected	_ZN7rocprim17ROCPRIM_400000_NS6detail17trampoline_kernelINS0_14default_configENS1_25partition_config_selectorILNS1_17partition_subalgoE1EsNS0_10empty_typeEbEEZZNS1_14partition_implILS5_1ELb0ES3_jN6thrust23THRUST_200600_302600_NS6detail15normal_iteratorINSA_10device_ptrIsEEEEPS6_NSA_18transform_iteratorI7is_evenIsESF_NSA_11use_defaultESK_EENS0_5tupleIJSF_NSA_16discard_iteratorISK_EEEEENSM_IJSG_SG_EEES6_PlJS6_EEE10hipError_tPvRmT3_T4_T5_T6_T7_T9_mT8_P12ihipStream_tbDpT10_ENKUlT_T0_E_clISt17integral_constantIbLb1EES1B_EEDaS16_S17_EUlS16_E_NS1_11comp_targetILNS1_3genE3ELNS1_11target_archE908ELNS1_3gpuE7ELNS1_3repE0EEENS1_30default_config_static_selectorELNS0_4arch9wavefront6targetE1EEEvT1_ ; -- Begin function _ZN7rocprim17ROCPRIM_400000_NS6detail17trampoline_kernelINS0_14default_configENS1_25partition_config_selectorILNS1_17partition_subalgoE1EsNS0_10empty_typeEbEEZZNS1_14partition_implILS5_1ELb0ES3_jN6thrust23THRUST_200600_302600_NS6detail15normal_iteratorINSA_10device_ptrIsEEEEPS6_NSA_18transform_iteratorI7is_evenIsESF_NSA_11use_defaultESK_EENS0_5tupleIJSF_NSA_16discard_iteratorISK_EEEEENSM_IJSG_SG_EEES6_PlJS6_EEE10hipError_tPvRmT3_T4_T5_T6_T7_T9_mT8_P12ihipStream_tbDpT10_ENKUlT_T0_E_clISt17integral_constantIbLb1EES1B_EEDaS16_S17_EUlS16_E_NS1_11comp_targetILNS1_3genE3ELNS1_11target_archE908ELNS1_3gpuE7ELNS1_3repE0EEENS1_30default_config_static_selectorELNS0_4arch9wavefront6targetE1EEEvT1_
	.globl	_ZN7rocprim17ROCPRIM_400000_NS6detail17trampoline_kernelINS0_14default_configENS1_25partition_config_selectorILNS1_17partition_subalgoE1EsNS0_10empty_typeEbEEZZNS1_14partition_implILS5_1ELb0ES3_jN6thrust23THRUST_200600_302600_NS6detail15normal_iteratorINSA_10device_ptrIsEEEEPS6_NSA_18transform_iteratorI7is_evenIsESF_NSA_11use_defaultESK_EENS0_5tupleIJSF_NSA_16discard_iteratorISK_EEEEENSM_IJSG_SG_EEES6_PlJS6_EEE10hipError_tPvRmT3_T4_T5_T6_T7_T9_mT8_P12ihipStream_tbDpT10_ENKUlT_T0_E_clISt17integral_constantIbLb1EES1B_EEDaS16_S17_EUlS16_E_NS1_11comp_targetILNS1_3genE3ELNS1_11target_archE908ELNS1_3gpuE7ELNS1_3repE0EEENS1_30default_config_static_selectorELNS0_4arch9wavefront6targetE1EEEvT1_
	.p2align	8
	.type	_ZN7rocprim17ROCPRIM_400000_NS6detail17trampoline_kernelINS0_14default_configENS1_25partition_config_selectorILNS1_17partition_subalgoE1EsNS0_10empty_typeEbEEZZNS1_14partition_implILS5_1ELb0ES3_jN6thrust23THRUST_200600_302600_NS6detail15normal_iteratorINSA_10device_ptrIsEEEEPS6_NSA_18transform_iteratorI7is_evenIsESF_NSA_11use_defaultESK_EENS0_5tupleIJSF_NSA_16discard_iteratorISK_EEEEENSM_IJSG_SG_EEES6_PlJS6_EEE10hipError_tPvRmT3_T4_T5_T6_T7_T9_mT8_P12ihipStream_tbDpT10_ENKUlT_T0_E_clISt17integral_constantIbLb1EES1B_EEDaS16_S17_EUlS16_E_NS1_11comp_targetILNS1_3genE3ELNS1_11target_archE908ELNS1_3gpuE7ELNS1_3repE0EEENS1_30default_config_static_selectorELNS0_4arch9wavefront6targetE1EEEvT1_,@function
_ZN7rocprim17ROCPRIM_400000_NS6detail17trampoline_kernelINS0_14default_configENS1_25partition_config_selectorILNS1_17partition_subalgoE1EsNS0_10empty_typeEbEEZZNS1_14partition_implILS5_1ELb0ES3_jN6thrust23THRUST_200600_302600_NS6detail15normal_iteratorINSA_10device_ptrIsEEEEPS6_NSA_18transform_iteratorI7is_evenIsESF_NSA_11use_defaultESK_EENS0_5tupleIJSF_NSA_16discard_iteratorISK_EEEEENSM_IJSG_SG_EEES6_PlJS6_EEE10hipError_tPvRmT3_T4_T5_T6_T7_T9_mT8_P12ihipStream_tbDpT10_ENKUlT_T0_E_clISt17integral_constantIbLb1EES1B_EEDaS16_S17_EUlS16_E_NS1_11comp_targetILNS1_3genE3ELNS1_11target_archE908ELNS1_3gpuE7ELNS1_3repE0EEENS1_30default_config_static_selectorELNS0_4arch9wavefront6targetE1EEEvT1_: ; @_ZN7rocprim17ROCPRIM_400000_NS6detail17trampoline_kernelINS0_14default_configENS1_25partition_config_selectorILNS1_17partition_subalgoE1EsNS0_10empty_typeEbEEZZNS1_14partition_implILS5_1ELb0ES3_jN6thrust23THRUST_200600_302600_NS6detail15normal_iteratorINSA_10device_ptrIsEEEEPS6_NSA_18transform_iteratorI7is_evenIsESF_NSA_11use_defaultESK_EENS0_5tupleIJSF_NSA_16discard_iteratorISK_EEEEENSM_IJSG_SG_EEES6_PlJS6_EEE10hipError_tPvRmT3_T4_T5_T6_T7_T9_mT8_P12ihipStream_tbDpT10_ENKUlT_T0_E_clISt17integral_constantIbLb1EES1B_EEDaS16_S17_EUlS16_E_NS1_11comp_targetILNS1_3genE3ELNS1_11target_archE908ELNS1_3gpuE7ELNS1_3repE0EEENS1_30default_config_static_selectorELNS0_4arch9wavefront6targetE1EEEvT1_
; %bb.0:
	.section	.rodata,"a",@progbits
	.p2align	6, 0x0
	.amdhsa_kernel _ZN7rocprim17ROCPRIM_400000_NS6detail17trampoline_kernelINS0_14default_configENS1_25partition_config_selectorILNS1_17partition_subalgoE1EsNS0_10empty_typeEbEEZZNS1_14partition_implILS5_1ELb0ES3_jN6thrust23THRUST_200600_302600_NS6detail15normal_iteratorINSA_10device_ptrIsEEEEPS6_NSA_18transform_iteratorI7is_evenIsESF_NSA_11use_defaultESK_EENS0_5tupleIJSF_NSA_16discard_iteratorISK_EEEEENSM_IJSG_SG_EEES6_PlJS6_EEE10hipError_tPvRmT3_T4_T5_T6_T7_T9_mT8_P12ihipStream_tbDpT10_ENKUlT_T0_E_clISt17integral_constantIbLb1EES1B_EEDaS16_S17_EUlS16_E_NS1_11comp_targetILNS1_3genE3ELNS1_11target_archE908ELNS1_3gpuE7ELNS1_3repE0EEENS1_30default_config_static_selectorELNS0_4arch9wavefront6targetE1EEEvT1_
		.amdhsa_group_segment_fixed_size 0
		.amdhsa_private_segment_fixed_size 0
		.amdhsa_kernarg_size 152
		.amdhsa_user_sgpr_count 6
		.amdhsa_user_sgpr_private_segment_buffer 1
		.amdhsa_user_sgpr_dispatch_ptr 0
		.amdhsa_user_sgpr_queue_ptr 0
		.amdhsa_user_sgpr_kernarg_segment_ptr 1
		.amdhsa_user_sgpr_dispatch_id 0
		.amdhsa_user_sgpr_flat_scratch_init 0
		.amdhsa_user_sgpr_kernarg_preload_length 0
		.amdhsa_user_sgpr_kernarg_preload_offset 0
		.amdhsa_user_sgpr_private_segment_size 0
		.amdhsa_uses_dynamic_stack 0
		.amdhsa_system_sgpr_private_segment_wavefront_offset 0
		.amdhsa_system_sgpr_workgroup_id_x 1
		.amdhsa_system_sgpr_workgroup_id_y 0
		.amdhsa_system_sgpr_workgroup_id_z 0
		.amdhsa_system_sgpr_workgroup_info 0
		.amdhsa_system_vgpr_workitem_id 0
		.amdhsa_next_free_vgpr 1
		.amdhsa_next_free_sgpr 0
		.amdhsa_accum_offset 4
		.amdhsa_reserve_vcc 0
		.amdhsa_reserve_flat_scratch 0
		.amdhsa_float_round_mode_32 0
		.amdhsa_float_round_mode_16_64 0
		.amdhsa_float_denorm_mode_32 3
		.amdhsa_float_denorm_mode_16_64 3
		.amdhsa_dx10_clamp 1
		.amdhsa_ieee_mode 1
		.amdhsa_fp16_overflow 0
		.amdhsa_tg_split 0
		.amdhsa_exception_fp_ieee_invalid_op 0
		.amdhsa_exception_fp_denorm_src 0
		.amdhsa_exception_fp_ieee_div_zero 0
		.amdhsa_exception_fp_ieee_overflow 0
		.amdhsa_exception_fp_ieee_underflow 0
		.amdhsa_exception_fp_ieee_inexact 0
		.amdhsa_exception_int_div_zero 0
	.end_amdhsa_kernel
	.section	.text._ZN7rocprim17ROCPRIM_400000_NS6detail17trampoline_kernelINS0_14default_configENS1_25partition_config_selectorILNS1_17partition_subalgoE1EsNS0_10empty_typeEbEEZZNS1_14partition_implILS5_1ELb0ES3_jN6thrust23THRUST_200600_302600_NS6detail15normal_iteratorINSA_10device_ptrIsEEEEPS6_NSA_18transform_iteratorI7is_evenIsESF_NSA_11use_defaultESK_EENS0_5tupleIJSF_NSA_16discard_iteratorISK_EEEEENSM_IJSG_SG_EEES6_PlJS6_EEE10hipError_tPvRmT3_T4_T5_T6_T7_T9_mT8_P12ihipStream_tbDpT10_ENKUlT_T0_E_clISt17integral_constantIbLb1EES1B_EEDaS16_S17_EUlS16_E_NS1_11comp_targetILNS1_3genE3ELNS1_11target_archE908ELNS1_3gpuE7ELNS1_3repE0EEENS1_30default_config_static_selectorELNS0_4arch9wavefront6targetE1EEEvT1_,"axG",@progbits,_ZN7rocprim17ROCPRIM_400000_NS6detail17trampoline_kernelINS0_14default_configENS1_25partition_config_selectorILNS1_17partition_subalgoE1EsNS0_10empty_typeEbEEZZNS1_14partition_implILS5_1ELb0ES3_jN6thrust23THRUST_200600_302600_NS6detail15normal_iteratorINSA_10device_ptrIsEEEEPS6_NSA_18transform_iteratorI7is_evenIsESF_NSA_11use_defaultESK_EENS0_5tupleIJSF_NSA_16discard_iteratorISK_EEEEENSM_IJSG_SG_EEES6_PlJS6_EEE10hipError_tPvRmT3_T4_T5_T6_T7_T9_mT8_P12ihipStream_tbDpT10_ENKUlT_T0_E_clISt17integral_constantIbLb1EES1B_EEDaS16_S17_EUlS16_E_NS1_11comp_targetILNS1_3genE3ELNS1_11target_archE908ELNS1_3gpuE7ELNS1_3repE0EEENS1_30default_config_static_selectorELNS0_4arch9wavefront6targetE1EEEvT1_,comdat
.Lfunc_end3398:
	.size	_ZN7rocprim17ROCPRIM_400000_NS6detail17trampoline_kernelINS0_14default_configENS1_25partition_config_selectorILNS1_17partition_subalgoE1EsNS0_10empty_typeEbEEZZNS1_14partition_implILS5_1ELb0ES3_jN6thrust23THRUST_200600_302600_NS6detail15normal_iteratorINSA_10device_ptrIsEEEEPS6_NSA_18transform_iteratorI7is_evenIsESF_NSA_11use_defaultESK_EENS0_5tupleIJSF_NSA_16discard_iteratorISK_EEEEENSM_IJSG_SG_EEES6_PlJS6_EEE10hipError_tPvRmT3_T4_T5_T6_T7_T9_mT8_P12ihipStream_tbDpT10_ENKUlT_T0_E_clISt17integral_constantIbLb1EES1B_EEDaS16_S17_EUlS16_E_NS1_11comp_targetILNS1_3genE3ELNS1_11target_archE908ELNS1_3gpuE7ELNS1_3repE0EEENS1_30default_config_static_selectorELNS0_4arch9wavefront6targetE1EEEvT1_, .Lfunc_end3398-_ZN7rocprim17ROCPRIM_400000_NS6detail17trampoline_kernelINS0_14default_configENS1_25partition_config_selectorILNS1_17partition_subalgoE1EsNS0_10empty_typeEbEEZZNS1_14partition_implILS5_1ELb0ES3_jN6thrust23THRUST_200600_302600_NS6detail15normal_iteratorINSA_10device_ptrIsEEEEPS6_NSA_18transform_iteratorI7is_evenIsESF_NSA_11use_defaultESK_EENS0_5tupleIJSF_NSA_16discard_iteratorISK_EEEEENSM_IJSG_SG_EEES6_PlJS6_EEE10hipError_tPvRmT3_T4_T5_T6_T7_T9_mT8_P12ihipStream_tbDpT10_ENKUlT_T0_E_clISt17integral_constantIbLb1EES1B_EEDaS16_S17_EUlS16_E_NS1_11comp_targetILNS1_3genE3ELNS1_11target_archE908ELNS1_3gpuE7ELNS1_3repE0EEENS1_30default_config_static_selectorELNS0_4arch9wavefront6targetE1EEEvT1_
                                        ; -- End function
	.section	.AMDGPU.csdata,"",@progbits
; Kernel info:
; codeLenInByte = 0
; NumSgprs: 4
; NumVgprs: 0
; NumAgprs: 0
; TotalNumVgprs: 0
; ScratchSize: 0
; MemoryBound: 0
; FloatMode: 240
; IeeeMode: 1
; LDSByteSize: 0 bytes/workgroup (compile time only)
; SGPRBlocks: 0
; VGPRBlocks: 0
; NumSGPRsForWavesPerEU: 4
; NumVGPRsForWavesPerEU: 1
; AccumOffset: 4
; Occupancy: 8
; WaveLimiterHint : 0
; COMPUTE_PGM_RSRC2:SCRATCH_EN: 0
; COMPUTE_PGM_RSRC2:USER_SGPR: 6
; COMPUTE_PGM_RSRC2:TRAP_HANDLER: 0
; COMPUTE_PGM_RSRC2:TGID_X_EN: 1
; COMPUTE_PGM_RSRC2:TGID_Y_EN: 0
; COMPUTE_PGM_RSRC2:TGID_Z_EN: 0
; COMPUTE_PGM_RSRC2:TIDIG_COMP_CNT: 0
; COMPUTE_PGM_RSRC3_GFX90A:ACCUM_OFFSET: 0
; COMPUTE_PGM_RSRC3_GFX90A:TG_SPLIT: 0
	.section	.text._ZN7rocprim17ROCPRIM_400000_NS6detail17trampoline_kernelINS0_14default_configENS1_25partition_config_selectorILNS1_17partition_subalgoE1EsNS0_10empty_typeEbEEZZNS1_14partition_implILS5_1ELb0ES3_jN6thrust23THRUST_200600_302600_NS6detail15normal_iteratorINSA_10device_ptrIsEEEEPS6_NSA_18transform_iteratorI7is_evenIsESF_NSA_11use_defaultESK_EENS0_5tupleIJSF_NSA_16discard_iteratorISK_EEEEENSM_IJSG_SG_EEES6_PlJS6_EEE10hipError_tPvRmT3_T4_T5_T6_T7_T9_mT8_P12ihipStream_tbDpT10_ENKUlT_T0_E_clISt17integral_constantIbLb1EES1B_EEDaS16_S17_EUlS16_E_NS1_11comp_targetILNS1_3genE2ELNS1_11target_archE906ELNS1_3gpuE6ELNS1_3repE0EEENS1_30default_config_static_selectorELNS0_4arch9wavefront6targetE1EEEvT1_,"axG",@progbits,_ZN7rocprim17ROCPRIM_400000_NS6detail17trampoline_kernelINS0_14default_configENS1_25partition_config_selectorILNS1_17partition_subalgoE1EsNS0_10empty_typeEbEEZZNS1_14partition_implILS5_1ELb0ES3_jN6thrust23THRUST_200600_302600_NS6detail15normal_iteratorINSA_10device_ptrIsEEEEPS6_NSA_18transform_iteratorI7is_evenIsESF_NSA_11use_defaultESK_EENS0_5tupleIJSF_NSA_16discard_iteratorISK_EEEEENSM_IJSG_SG_EEES6_PlJS6_EEE10hipError_tPvRmT3_T4_T5_T6_T7_T9_mT8_P12ihipStream_tbDpT10_ENKUlT_T0_E_clISt17integral_constantIbLb1EES1B_EEDaS16_S17_EUlS16_E_NS1_11comp_targetILNS1_3genE2ELNS1_11target_archE906ELNS1_3gpuE6ELNS1_3repE0EEENS1_30default_config_static_selectorELNS0_4arch9wavefront6targetE1EEEvT1_,comdat
	.protected	_ZN7rocprim17ROCPRIM_400000_NS6detail17trampoline_kernelINS0_14default_configENS1_25partition_config_selectorILNS1_17partition_subalgoE1EsNS0_10empty_typeEbEEZZNS1_14partition_implILS5_1ELb0ES3_jN6thrust23THRUST_200600_302600_NS6detail15normal_iteratorINSA_10device_ptrIsEEEEPS6_NSA_18transform_iteratorI7is_evenIsESF_NSA_11use_defaultESK_EENS0_5tupleIJSF_NSA_16discard_iteratorISK_EEEEENSM_IJSG_SG_EEES6_PlJS6_EEE10hipError_tPvRmT3_T4_T5_T6_T7_T9_mT8_P12ihipStream_tbDpT10_ENKUlT_T0_E_clISt17integral_constantIbLb1EES1B_EEDaS16_S17_EUlS16_E_NS1_11comp_targetILNS1_3genE2ELNS1_11target_archE906ELNS1_3gpuE6ELNS1_3repE0EEENS1_30default_config_static_selectorELNS0_4arch9wavefront6targetE1EEEvT1_ ; -- Begin function _ZN7rocprim17ROCPRIM_400000_NS6detail17trampoline_kernelINS0_14default_configENS1_25partition_config_selectorILNS1_17partition_subalgoE1EsNS0_10empty_typeEbEEZZNS1_14partition_implILS5_1ELb0ES3_jN6thrust23THRUST_200600_302600_NS6detail15normal_iteratorINSA_10device_ptrIsEEEEPS6_NSA_18transform_iteratorI7is_evenIsESF_NSA_11use_defaultESK_EENS0_5tupleIJSF_NSA_16discard_iteratorISK_EEEEENSM_IJSG_SG_EEES6_PlJS6_EEE10hipError_tPvRmT3_T4_T5_T6_T7_T9_mT8_P12ihipStream_tbDpT10_ENKUlT_T0_E_clISt17integral_constantIbLb1EES1B_EEDaS16_S17_EUlS16_E_NS1_11comp_targetILNS1_3genE2ELNS1_11target_archE906ELNS1_3gpuE6ELNS1_3repE0EEENS1_30default_config_static_selectorELNS0_4arch9wavefront6targetE1EEEvT1_
	.globl	_ZN7rocprim17ROCPRIM_400000_NS6detail17trampoline_kernelINS0_14default_configENS1_25partition_config_selectorILNS1_17partition_subalgoE1EsNS0_10empty_typeEbEEZZNS1_14partition_implILS5_1ELb0ES3_jN6thrust23THRUST_200600_302600_NS6detail15normal_iteratorINSA_10device_ptrIsEEEEPS6_NSA_18transform_iteratorI7is_evenIsESF_NSA_11use_defaultESK_EENS0_5tupleIJSF_NSA_16discard_iteratorISK_EEEEENSM_IJSG_SG_EEES6_PlJS6_EEE10hipError_tPvRmT3_T4_T5_T6_T7_T9_mT8_P12ihipStream_tbDpT10_ENKUlT_T0_E_clISt17integral_constantIbLb1EES1B_EEDaS16_S17_EUlS16_E_NS1_11comp_targetILNS1_3genE2ELNS1_11target_archE906ELNS1_3gpuE6ELNS1_3repE0EEENS1_30default_config_static_selectorELNS0_4arch9wavefront6targetE1EEEvT1_
	.p2align	8
	.type	_ZN7rocprim17ROCPRIM_400000_NS6detail17trampoline_kernelINS0_14default_configENS1_25partition_config_selectorILNS1_17partition_subalgoE1EsNS0_10empty_typeEbEEZZNS1_14partition_implILS5_1ELb0ES3_jN6thrust23THRUST_200600_302600_NS6detail15normal_iteratorINSA_10device_ptrIsEEEEPS6_NSA_18transform_iteratorI7is_evenIsESF_NSA_11use_defaultESK_EENS0_5tupleIJSF_NSA_16discard_iteratorISK_EEEEENSM_IJSG_SG_EEES6_PlJS6_EEE10hipError_tPvRmT3_T4_T5_T6_T7_T9_mT8_P12ihipStream_tbDpT10_ENKUlT_T0_E_clISt17integral_constantIbLb1EES1B_EEDaS16_S17_EUlS16_E_NS1_11comp_targetILNS1_3genE2ELNS1_11target_archE906ELNS1_3gpuE6ELNS1_3repE0EEENS1_30default_config_static_selectorELNS0_4arch9wavefront6targetE1EEEvT1_,@function
_ZN7rocprim17ROCPRIM_400000_NS6detail17trampoline_kernelINS0_14default_configENS1_25partition_config_selectorILNS1_17partition_subalgoE1EsNS0_10empty_typeEbEEZZNS1_14partition_implILS5_1ELb0ES3_jN6thrust23THRUST_200600_302600_NS6detail15normal_iteratorINSA_10device_ptrIsEEEEPS6_NSA_18transform_iteratorI7is_evenIsESF_NSA_11use_defaultESK_EENS0_5tupleIJSF_NSA_16discard_iteratorISK_EEEEENSM_IJSG_SG_EEES6_PlJS6_EEE10hipError_tPvRmT3_T4_T5_T6_T7_T9_mT8_P12ihipStream_tbDpT10_ENKUlT_T0_E_clISt17integral_constantIbLb1EES1B_EEDaS16_S17_EUlS16_E_NS1_11comp_targetILNS1_3genE2ELNS1_11target_archE906ELNS1_3gpuE6ELNS1_3repE0EEENS1_30default_config_static_selectorELNS0_4arch9wavefront6targetE1EEEvT1_: ; @_ZN7rocprim17ROCPRIM_400000_NS6detail17trampoline_kernelINS0_14default_configENS1_25partition_config_selectorILNS1_17partition_subalgoE1EsNS0_10empty_typeEbEEZZNS1_14partition_implILS5_1ELb0ES3_jN6thrust23THRUST_200600_302600_NS6detail15normal_iteratorINSA_10device_ptrIsEEEEPS6_NSA_18transform_iteratorI7is_evenIsESF_NSA_11use_defaultESK_EENS0_5tupleIJSF_NSA_16discard_iteratorISK_EEEEENSM_IJSG_SG_EEES6_PlJS6_EEE10hipError_tPvRmT3_T4_T5_T6_T7_T9_mT8_P12ihipStream_tbDpT10_ENKUlT_T0_E_clISt17integral_constantIbLb1EES1B_EEDaS16_S17_EUlS16_E_NS1_11comp_targetILNS1_3genE2ELNS1_11target_archE906ELNS1_3gpuE6ELNS1_3repE0EEENS1_30default_config_static_selectorELNS0_4arch9wavefront6targetE1EEEvT1_
; %bb.0:
	.section	.rodata,"a",@progbits
	.p2align	6, 0x0
	.amdhsa_kernel _ZN7rocprim17ROCPRIM_400000_NS6detail17trampoline_kernelINS0_14default_configENS1_25partition_config_selectorILNS1_17partition_subalgoE1EsNS0_10empty_typeEbEEZZNS1_14partition_implILS5_1ELb0ES3_jN6thrust23THRUST_200600_302600_NS6detail15normal_iteratorINSA_10device_ptrIsEEEEPS6_NSA_18transform_iteratorI7is_evenIsESF_NSA_11use_defaultESK_EENS0_5tupleIJSF_NSA_16discard_iteratorISK_EEEEENSM_IJSG_SG_EEES6_PlJS6_EEE10hipError_tPvRmT3_T4_T5_T6_T7_T9_mT8_P12ihipStream_tbDpT10_ENKUlT_T0_E_clISt17integral_constantIbLb1EES1B_EEDaS16_S17_EUlS16_E_NS1_11comp_targetILNS1_3genE2ELNS1_11target_archE906ELNS1_3gpuE6ELNS1_3repE0EEENS1_30default_config_static_selectorELNS0_4arch9wavefront6targetE1EEEvT1_
		.amdhsa_group_segment_fixed_size 0
		.amdhsa_private_segment_fixed_size 0
		.amdhsa_kernarg_size 152
		.amdhsa_user_sgpr_count 6
		.amdhsa_user_sgpr_private_segment_buffer 1
		.amdhsa_user_sgpr_dispatch_ptr 0
		.amdhsa_user_sgpr_queue_ptr 0
		.amdhsa_user_sgpr_kernarg_segment_ptr 1
		.amdhsa_user_sgpr_dispatch_id 0
		.amdhsa_user_sgpr_flat_scratch_init 0
		.amdhsa_user_sgpr_kernarg_preload_length 0
		.amdhsa_user_sgpr_kernarg_preload_offset 0
		.amdhsa_user_sgpr_private_segment_size 0
		.amdhsa_uses_dynamic_stack 0
		.amdhsa_system_sgpr_private_segment_wavefront_offset 0
		.amdhsa_system_sgpr_workgroup_id_x 1
		.amdhsa_system_sgpr_workgroup_id_y 0
		.amdhsa_system_sgpr_workgroup_id_z 0
		.amdhsa_system_sgpr_workgroup_info 0
		.amdhsa_system_vgpr_workitem_id 0
		.amdhsa_next_free_vgpr 1
		.amdhsa_next_free_sgpr 0
		.amdhsa_accum_offset 4
		.amdhsa_reserve_vcc 0
		.amdhsa_reserve_flat_scratch 0
		.amdhsa_float_round_mode_32 0
		.amdhsa_float_round_mode_16_64 0
		.amdhsa_float_denorm_mode_32 3
		.amdhsa_float_denorm_mode_16_64 3
		.amdhsa_dx10_clamp 1
		.amdhsa_ieee_mode 1
		.amdhsa_fp16_overflow 0
		.amdhsa_tg_split 0
		.amdhsa_exception_fp_ieee_invalid_op 0
		.amdhsa_exception_fp_denorm_src 0
		.amdhsa_exception_fp_ieee_div_zero 0
		.amdhsa_exception_fp_ieee_overflow 0
		.amdhsa_exception_fp_ieee_underflow 0
		.amdhsa_exception_fp_ieee_inexact 0
		.amdhsa_exception_int_div_zero 0
	.end_amdhsa_kernel
	.section	.text._ZN7rocprim17ROCPRIM_400000_NS6detail17trampoline_kernelINS0_14default_configENS1_25partition_config_selectorILNS1_17partition_subalgoE1EsNS0_10empty_typeEbEEZZNS1_14partition_implILS5_1ELb0ES3_jN6thrust23THRUST_200600_302600_NS6detail15normal_iteratorINSA_10device_ptrIsEEEEPS6_NSA_18transform_iteratorI7is_evenIsESF_NSA_11use_defaultESK_EENS0_5tupleIJSF_NSA_16discard_iteratorISK_EEEEENSM_IJSG_SG_EEES6_PlJS6_EEE10hipError_tPvRmT3_T4_T5_T6_T7_T9_mT8_P12ihipStream_tbDpT10_ENKUlT_T0_E_clISt17integral_constantIbLb1EES1B_EEDaS16_S17_EUlS16_E_NS1_11comp_targetILNS1_3genE2ELNS1_11target_archE906ELNS1_3gpuE6ELNS1_3repE0EEENS1_30default_config_static_selectorELNS0_4arch9wavefront6targetE1EEEvT1_,"axG",@progbits,_ZN7rocprim17ROCPRIM_400000_NS6detail17trampoline_kernelINS0_14default_configENS1_25partition_config_selectorILNS1_17partition_subalgoE1EsNS0_10empty_typeEbEEZZNS1_14partition_implILS5_1ELb0ES3_jN6thrust23THRUST_200600_302600_NS6detail15normal_iteratorINSA_10device_ptrIsEEEEPS6_NSA_18transform_iteratorI7is_evenIsESF_NSA_11use_defaultESK_EENS0_5tupleIJSF_NSA_16discard_iteratorISK_EEEEENSM_IJSG_SG_EEES6_PlJS6_EEE10hipError_tPvRmT3_T4_T5_T6_T7_T9_mT8_P12ihipStream_tbDpT10_ENKUlT_T0_E_clISt17integral_constantIbLb1EES1B_EEDaS16_S17_EUlS16_E_NS1_11comp_targetILNS1_3genE2ELNS1_11target_archE906ELNS1_3gpuE6ELNS1_3repE0EEENS1_30default_config_static_selectorELNS0_4arch9wavefront6targetE1EEEvT1_,comdat
.Lfunc_end3399:
	.size	_ZN7rocprim17ROCPRIM_400000_NS6detail17trampoline_kernelINS0_14default_configENS1_25partition_config_selectorILNS1_17partition_subalgoE1EsNS0_10empty_typeEbEEZZNS1_14partition_implILS5_1ELb0ES3_jN6thrust23THRUST_200600_302600_NS6detail15normal_iteratorINSA_10device_ptrIsEEEEPS6_NSA_18transform_iteratorI7is_evenIsESF_NSA_11use_defaultESK_EENS0_5tupleIJSF_NSA_16discard_iteratorISK_EEEEENSM_IJSG_SG_EEES6_PlJS6_EEE10hipError_tPvRmT3_T4_T5_T6_T7_T9_mT8_P12ihipStream_tbDpT10_ENKUlT_T0_E_clISt17integral_constantIbLb1EES1B_EEDaS16_S17_EUlS16_E_NS1_11comp_targetILNS1_3genE2ELNS1_11target_archE906ELNS1_3gpuE6ELNS1_3repE0EEENS1_30default_config_static_selectorELNS0_4arch9wavefront6targetE1EEEvT1_, .Lfunc_end3399-_ZN7rocprim17ROCPRIM_400000_NS6detail17trampoline_kernelINS0_14default_configENS1_25partition_config_selectorILNS1_17partition_subalgoE1EsNS0_10empty_typeEbEEZZNS1_14partition_implILS5_1ELb0ES3_jN6thrust23THRUST_200600_302600_NS6detail15normal_iteratorINSA_10device_ptrIsEEEEPS6_NSA_18transform_iteratorI7is_evenIsESF_NSA_11use_defaultESK_EENS0_5tupleIJSF_NSA_16discard_iteratorISK_EEEEENSM_IJSG_SG_EEES6_PlJS6_EEE10hipError_tPvRmT3_T4_T5_T6_T7_T9_mT8_P12ihipStream_tbDpT10_ENKUlT_T0_E_clISt17integral_constantIbLb1EES1B_EEDaS16_S17_EUlS16_E_NS1_11comp_targetILNS1_3genE2ELNS1_11target_archE906ELNS1_3gpuE6ELNS1_3repE0EEENS1_30default_config_static_selectorELNS0_4arch9wavefront6targetE1EEEvT1_
                                        ; -- End function
	.section	.AMDGPU.csdata,"",@progbits
; Kernel info:
; codeLenInByte = 0
; NumSgprs: 4
; NumVgprs: 0
; NumAgprs: 0
; TotalNumVgprs: 0
; ScratchSize: 0
; MemoryBound: 0
; FloatMode: 240
; IeeeMode: 1
; LDSByteSize: 0 bytes/workgroup (compile time only)
; SGPRBlocks: 0
; VGPRBlocks: 0
; NumSGPRsForWavesPerEU: 4
; NumVGPRsForWavesPerEU: 1
; AccumOffset: 4
; Occupancy: 8
; WaveLimiterHint : 0
; COMPUTE_PGM_RSRC2:SCRATCH_EN: 0
; COMPUTE_PGM_RSRC2:USER_SGPR: 6
; COMPUTE_PGM_RSRC2:TRAP_HANDLER: 0
; COMPUTE_PGM_RSRC2:TGID_X_EN: 1
; COMPUTE_PGM_RSRC2:TGID_Y_EN: 0
; COMPUTE_PGM_RSRC2:TGID_Z_EN: 0
; COMPUTE_PGM_RSRC2:TIDIG_COMP_CNT: 0
; COMPUTE_PGM_RSRC3_GFX90A:ACCUM_OFFSET: 0
; COMPUTE_PGM_RSRC3_GFX90A:TG_SPLIT: 0
	.section	.text._ZN7rocprim17ROCPRIM_400000_NS6detail17trampoline_kernelINS0_14default_configENS1_25partition_config_selectorILNS1_17partition_subalgoE1EsNS0_10empty_typeEbEEZZNS1_14partition_implILS5_1ELb0ES3_jN6thrust23THRUST_200600_302600_NS6detail15normal_iteratorINSA_10device_ptrIsEEEEPS6_NSA_18transform_iteratorI7is_evenIsESF_NSA_11use_defaultESK_EENS0_5tupleIJSF_NSA_16discard_iteratorISK_EEEEENSM_IJSG_SG_EEES6_PlJS6_EEE10hipError_tPvRmT3_T4_T5_T6_T7_T9_mT8_P12ihipStream_tbDpT10_ENKUlT_T0_E_clISt17integral_constantIbLb1EES1B_EEDaS16_S17_EUlS16_E_NS1_11comp_targetILNS1_3genE10ELNS1_11target_archE1200ELNS1_3gpuE4ELNS1_3repE0EEENS1_30default_config_static_selectorELNS0_4arch9wavefront6targetE1EEEvT1_,"axG",@progbits,_ZN7rocprim17ROCPRIM_400000_NS6detail17trampoline_kernelINS0_14default_configENS1_25partition_config_selectorILNS1_17partition_subalgoE1EsNS0_10empty_typeEbEEZZNS1_14partition_implILS5_1ELb0ES3_jN6thrust23THRUST_200600_302600_NS6detail15normal_iteratorINSA_10device_ptrIsEEEEPS6_NSA_18transform_iteratorI7is_evenIsESF_NSA_11use_defaultESK_EENS0_5tupleIJSF_NSA_16discard_iteratorISK_EEEEENSM_IJSG_SG_EEES6_PlJS6_EEE10hipError_tPvRmT3_T4_T5_T6_T7_T9_mT8_P12ihipStream_tbDpT10_ENKUlT_T0_E_clISt17integral_constantIbLb1EES1B_EEDaS16_S17_EUlS16_E_NS1_11comp_targetILNS1_3genE10ELNS1_11target_archE1200ELNS1_3gpuE4ELNS1_3repE0EEENS1_30default_config_static_selectorELNS0_4arch9wavefront6targetE1EEEvT1_,comdat
	.protected	_ZN7rocprim17ROCPRIM_400000_NS6detail17trampoline_kernelINS0_14default_configENS1_25partition_config_selectorILNS1_17partition_subalgoE1EsNS0_10empty_typeEbEEZZNS1_14partition_implILS5_1ELb0ES3_jN6thrust23THRUST_200600_302600_NS6detail15normal_iteratorINSA_10device_ptrIsEEEEPS6_NSA_18transform_iteratorI7is_evenIsESF_NSA_11use_defaultESK_EENS0_5tupleIJSF_NSA_16discard_iteratorISK_EEEEENSM_IJSG_SG_EEES6_PlJS6_EEE10hipError_tPvRmT3_T4_T5_T6_T7_T9_mT8_P12ihipStream_tbDpT10_ENKUlT_T0_E_clISt17integral_constantIbLb1EES1B_EEDaS16_S17_EUlS16_E_NS1_11comp_targetILNS1_3genE10ELNS1_11target_archE1200ELNS1_3gpuE4ELNS1_3repE0EEENS1_30default_config_static_selectorELNS0_4arch9wavefront6targetE1EEEvT1_ ; -- Begin function _ZN7rocprim17ROCPRIM_400000_NS6detail17trampoline_kernelINS0_14default_configENS1_25partition_config_selectorILNS1_17partition_subalgoE1EsNS0_10empty_typeEbEEZZNS1_14partition_implILS5_1ELb0ES3_jN6thrust23THRUST_200600_302600_NS6detail15normal_iteratorINSA_10device_ptrIsEEEEPS6_NSA_18transform_iteratorI7is_evenIsESF_NSA_11use_defaultESK_EENS0_5tupleIJSF_NSA_16discard_iteratorISK_EEEEENSM_IJSG_SG_EEES6_PlJS6_EEE10hipError_tPvRmT3_T4_T5_T6_T7_T9_mT8_P12ihipStream_tbDpT10_ENKUlT_T0_E_clISt17integral_constantIbLb1EES1B_EEDaS16_S17_EUlS16_E_NS1_11comp_targetILNS1_3genE10ELNS1_11target_archE1200ELNS1_3gpuE4ELNS1_3repE0EEENS1_30default_config_static_selectorELNS0_4arch9wavefront6targetE1EEEvT1_
	.globl	_ZN7rocprim17ROCPRIM_400000_NS6detail17trampoline_kernelINS0_14default_configENS1_25partition_config_selectorILNS1_17partition_subalgoE1EsNS0_10empty_typeEbEEZZNS1_14partition_implILS5_1ELb0ES3_jN6thrust23THRUST_200600_302600_NS6detail15normal_iteratorINSA_10device_ptrIsEEEEPS6_NSA_18transform_iteratorI7is_evenIsESF_NSA_11use_defaultESK_EENS0_5tupleIJSF_NSA_16discard_iteratorISK_EEEEENSM_IJSG_SG_EEES6_PlJS6_EEE10hipError_tPvRmT3_T4_T5_T6_T7_T9_mT8_P12ihipStream_tbDpT10_ENKUlT_T0_E_clISt17integral_constantIbLb1EES1B_EEDaS16_S17_EUlS16_E_NS1_11comp_targetILNS1_3genE10ELNS1_11target_archE1200ELNS1_3gpuE4ELNS1_3repE0EEENS1_30default_config_static_selectorELNS0_4arch9wavefront6targetE1EEEvT1_
	.p2align	8
	.type	_ZN7rocprim17ROCPRIM_400000_NS6detail17trampoline_kernelINS0_14default_configENS1_25partition_config_selectorILNS1_17partition_subalgoE1EsNS0_10empty_typeEbEEZZNS1_14partition_implILS5_1ELb0ES3_jN6thrust23THRUST_200600_302600_NS6detail15normal_iteratorINSA_10device_ptrIsEEEEPS6_NSA_18transform_iteratorI7is_evenIsESF_NSA_11use_defaultESK_EENS0_5tupleIJSF_NSA_16discard_iteratorISK_EEEEENSM_IJSG_SG_EEES6_PlJS6_EEE10hipError_tPvRmT3_T4_T5_T6_T7_T9_mT8_P12ihipStream_tbDpT10_ENKUlT_T0_E_clISt17integral_constantIbLb1EES1B_EEDaS16_S17_EUlS16_E_NS1_11comp_targetILNS1_3genE10ELNS1_11target_archE1200ELNS1_3gpuE4ELNS1_3repE0EEENS1_30default_config_static_selectorELNS0_4arch9wavefront6targetE1EEEvT1_,@function
_ZN7rocprim17ROCPRIM_400000_NS6detail17trampoline_kernelINS0_14default_configENS1_25partition_config_selectorILNS1_17partition_subalgoE1EsNS0_10empty_typeEbEEZZNS1_14partition_implILS5_1ELb0ES3_jN6thrust23THRUST_200600_302600_NS6detail15normal_iteratorINSA_10device_ptrIsEEEEPS6_NSA_18transform_iteratorI7is_evenIsESF_NSA_11use_defaultESK_EENS0_5tupleIJSF_NSA_16discard_iteratorISK_EEEEENSM_IJSG_SG_EEES6_PlJS6_EEE10hipError_tPvRmT3_T4_T5_T6_T7_T9_mT8_P12ihipStream_tbDpT10_ENKUlT_T0_E_clISt17integral_constantIbLb1EES1B_EEDaS16_S17_EUlS16_E_NS1_11comp_targetILNS1_3genE10ELNS1_11target_archE1200ELNS1_3gpuE4ELNS1_3repE0EEENS1_30default_config_static_selectorELNS0_4arch9wavefront6targetE1EEEvT1_: ; @_ZN7rocprim17ROCPRIM_400000_NS6detail17trampoline_kernelINS0_14default_configENS1_25partition_config_selectorILNS1_17partition_subalgoE1EsNS0_10empty_typeEbEEZZNS1_14partition_implILS5_1ELb0ES3_jN6thrust23THRUST_200600_302600_NS6detail15normal_iteratorINSA_10device_ptrIsEEEEPS6_NSA_18transform_iteratorI7is_evenIsESF_NSA_11use_defaultESK_EENS0_5tupleIJSF_NSA_16discard_iteratorISK_EEEEENSM_IJSG_SG_EEES6_PlJS6_EEE10hipError_tPvRmT3_T4_T5_T6_T7_T9_mT8_P12ihipStream_tbDpT10_ENKUlT_T0_E_clISt17integral_constantIbLb1EES1B_EEDaS16_S17_EUlS16_E_NS1_11comp_targetILNS1_3genE10ELNS1_11target_archE1200ELNS1_3gpuE4ELNS1_3repE0EEENS1_30default_config_static_selectorELNS0_4arch9wavefront6targetE1EEEvT1_
; %bb.0:
	.section	.rodata,"a",@progbits
	.p2align	6, 0x0
	.amdhsa_kernel _ZN7rocprim17ROCPRIM_400000_NS6detail17trampoline_kernelINS0_14default_configENS1_25partition_config_selectorILNS1_17partition_subalgoE1EsNS0_10empty_typeEbEEZZNS1_14partition_implILS5_1ELb0ES3_jN6thrust23THRUST_200600_302600_NS6detail15normal_iteratorINSA_10device_ptrIsEEEEPS6_NSA_18transform_iteratorI7is_evenIsESF_NSA_11use_defaultESK_EENS0_5tupleIJSF_NSA_16discard_iteratorISK_EEEEENSM_IJSG_SG_EEES6_PlJS6_EEE10hipError_tPvRmT3_T4_T5_T6_T7_T9_mT8_P12ihipStream_tbDpT10_ENKUlT_T0_E_clISt17integral_constantIbLb1EES1B_EEDaS16_S17_EUlS16_E_NS1_11comp_targetILNS1_3genE10ELNS1_11target_archE1200ELNS1_3gpuE4ELNS1_3repE0EEENS1_30default_config_static_selectorELNS0_4arch9wavefront6targetE1EEEvT1_
		.amdhsa_group_segment_fixed_size 0
		.amdhsa_private_segment_fixed_size 0
		.amdhsa_kernarg_size 152
		.amdhsa_user_sgpr_count 6
		.amdhsa_user_sgpr_private_segment_buffer 1
		.amdhsa_user_sgpr_dispatch_ptr 0
		.amdhsa_user_sgpr_queue_ptr 0
		.amdhsa_user_sgpr_kernarg_segment_ptr 1
		.amdhsa_user_sgpr_dispatch_id 0
		.amdhsa_user_sgpr_flat_scratch_init 0
		.amdhsa_user_sgpr_kernarg_preload_length 0
		.amdhsa_user_sgpr_kernarg_preload_offset 0
		.amdhsa_user_sgpr_private_segment_size 0
		.amdhsa_uses_dynamic_stack 0
		.amdhsa_system_sgpr_private_segment_wavefront_offset 0
		.amdhsa_system_sgpr_workgroup_id_x 1
		.amdhsa_system_sgpr_workgroup_id_y 0
		.amdhsa_system_sgpr_workgroup_id_z 0
		.amdhsa_system_sgpr_workgroup_info 0
		.amdhsa_system_vgpr_workitem_id 0
		.amdhsa_next_free_vgpr 1
		.amdhsa_next_free_sgpr 0
		.amdhsa_accum_offset 4
		.amdhsa_reserve_vcc 0
		.amdhsa_reserve_flat_scratch 0
		.amdhsa_float_round_mode_32 0
		.amdhsa_float_round_mode_16_64 0
		.amdhsa_float_denorm_mode_32 3
		.amdhsa_float_denorm_mode_16_64 3
		.amdhsa_dx10_clamp 1
		.amdhsa_ieee_mode 1
		.amdhsa_fp16_overflow 0
		.amdhsa_tg_split 0
		.amdhsa_exception_fp_ieee_invalid_op 0
		.amdhsa_exception_fp_denorm_src 0
		.amdhsa_exception_fp_ieee_div_zero 0
		.amdhsa_exception_fp_ieee_overflow 0
		.amdhsa_exception_fp_ieee_underflow 0
		.amdhsa_exception_fp_ieee_inexact 0
		.amdhsa_exception_int_div_zero 0
	.end_amdhsa_kernel
	.section	.text._ZN7rocprim17ROCPRIM_400000_NS6detail17trampoline_kernelINS0_14default_configENS1_25partition_config_selectorILNS1_17partition_subalgoE1EsNS0_10empty_typeEbEEZZNS1_14partition_implILS5_1ELb0ES3_jN6thrust23THRUST_200600_302600_NS6detail15normal_iteratorINSA_10device_ptrIsEEEEPS6_NSA_18transform_iteratorI7is_evenIsESF_NSA_11use_defaultESK_EENS0_5tupleIJSF_NSA_16discard_iteratorISK_EEEEENSM_IJSG_SG_EEES6_PlJS6_EEE10hipError_tPvRmT3_T4_T5_T6_T7_T9_mT8_P12ihipStream_tbDpT10_ENKUlT_T0_E_clISt17integral_constantIbLb1EES1B_EEDaS16_S17_EUlS16_E_NS1_11comp_targetILNS1_3genE10ELNS1_11target_archE1200ELNS1_3gpuE4ELNS1_3repE0EEENS1_30default_config_static_selectorELNS0_4arch9wavefront6targetE1EEEvT1_,"axG",@progbits,_ZN7rocprim17ROCPRIM_400000_NS6detail17trampoline_kernelINS0_14default_configENS1_25partition_config_selectorILNS1_17partition_subalgoE1EsNS0_10empty_typeEbEEZZNS1_14partition_implILS5_1ELb0ES3_jN6thrust23THRUST_200600_302600_NS6detail15normal_iteratorINSA_10device_ptrIsEEEEPS6_NSA_18transform_iteratorI7is_evenIsESF_NSA_11use_defaultESK_EENS0_5tupleIJSF_NSA_16discard_iteratorISK_EEEEENSM_IJSG_SG_EEES6_PlJS6_EEE10hipError_tPvRmT3_T4_T5_T6_T7_T9_mT8_P12ihipStream_tbDpT10_ENKUlT_T0_E_clISt17integral_constantIbLb1EES1B_EEDaS16_S17_EUlS16_E_NS1_11comp_targetILNS1_3genE10ELNS1_11target_archE1200ELNS1_3gpuE4ELNS1_3repE0EEENS1_30default_config_static_selectorELNS0_4arch9wavefront6targetE1EEEvT1_,comdat
.Lfunc_end3400:
	.size	_ZN7rocprim17ROCPRIM_400000_NS6detail17trampoline_kernelINS0_14default_configENS1_25partition_config_selectorILNS1_17partition_subalgoE1EsNS0_10empty_typeEbEEZZNS1_14partition_implILS5_1ELb0ES3_jN6thrust23THRUST_200600_302600_NS6detail15normal_iteratorINSA_10device_ptrIsEEEEPS6_NSA_18transform_iteratorI7is_evenIsESF_NSA_11use_defaultESK_EENS0_5tupleIJSF_NSA_16discard_iteratorISK_EEEEENSM_IJSG_SG_EEES6_PlJS6_EEE10hipError_tPvRmT3_T4_T5_T6_T7_T9_mT8_P12ihipStream_tbDpT10_ENKUlT_T0_E_clISt17integral_constantIbLb1EES1B_EEDaS16_S17_EUlS16_E_NS1_11comp_targetILNS1_3genE10ELNS1_11target_archE1200ELNS1_3gpuE4ELNS1_3repE0EEENS1_30default_config_static_selectorELNS0_4arch9wavefront6targetE1EEEvT1_, .Lfunc_end3400-_ZN7rocprim17ROCPRIM_400000_NS6detail17trampoline_kernelINS0_14default_configENS1_25partition_config_selectorILNS1_17partition_subalgoE1EsNS0_10empty_typeEbEEZZNS1_14partition_implILS5_1ELb0ES3_jN6thrust23THRUST_200600_302600_NS6detail15normal_iteratorINSA_10device_ptrIsEEEEPS6_NSA_18transform_iteratorI7is_evenIsESF_NSA_11use_defaultESK_EENS0_5tupleIJSF_NSA_16discard_iteratorISK_EEEEENSM_IJSG_SG_EEES6_PlJS6_EEE10hipError_tPvRmT3_T4_T5_T6_T7_T9_mT8_P12ihipStream_tbDpT10_ENKUlT_T0_E_clISt17integral_constantIbLb1EES1B_EEDaS16_S17_EUlS16_E_NS1_11comp_targetILNS1_3genE10ELNS1_11target_archE1200ELNS1_3gpuE4ELNS1_3repE0EEENS1_30default_config_static_selectorELNS0_4arch9wavefront6targetE1EEEvT1_
                                        ; -- End function
	.section	.AMDGPU.csdata,"",@progbits
; Kernel info:
; codeLenInByte = 0
; NumSgprs: 4
; NumVgprs: 0
; NumAgprs: 0
; TotalNumVgprs: 0
; ScratchSize: 0
; MemoryBound: 0
; FloatMode: 240
; IeeeMode: 1
; LDSByteSize: 0 bytes/workgroup (compile time only)
; SGPRBlocks: 0
; VGPRBlocks: 0
; NumSGPRsForWavesPerEU: 4
; NumVGPRsForWavesPerEU: 1
; AccumOffset: 4
; Occupancy: 8
; WaveLimiterHint : 0
; COMPUTE_PGM_RSRC2:SCRATCH_EN: 0
; COMPUTE_PGM_RSRC2:USER_SGPR: 6
; COMPUTE_PGM_RSRC2:TRAP_HANDLER: 0
; COMPUTE_PGM_RSRC2:TGID_X_EN: 1
; COMPUTE_PGM_RSRC2:TGID_Y_EN: 0
; COMPUTE_PGM_RSRC2:TGID_Z_EN: 0
; COMPUTE_PGM_RSRC2:TIDIG_COMP_CNT: 0
; COMPUTE_PGM_RSRC3_GFX90A:ACCUM_OFFSET: 0
; COMPUTE_PGM_RSRC3_GFX90A:TG_SPLIT: 0
	.section	.text._ZN7rocprim17ROCPRIM_400000_NS6detail17trampoline_kernelINS0_14default_configENS1_25partition_config_selectorILNS1_17partition_subalgoE1EsNS0_10empty_typeEbEEZZNS1_14partition_implILS5_1ELb0ES3_jN6thrust23THRUST_200600_302600_NS6detail15normal_iteratorINSA_10device_ptrIsEEEEPS6_NSA_18transform_iteratorI7is_evenIsESF_NSA_11use_defaultESK_EENS0_5tupleIJSF_NSA_16discard_iteratorISK_EEEEENSM_IJSG_SG_EEES6_PlJS6_EEE10hipError_tPvRmT3_T4_T5_T6_T7_T9_mT8_P12ihipStream_tbDpT10_ENKUlT_T0_E_clISt17integral_constantIbLb1EES1B_EEDaS16_S17_EUlS16_E_NS1_11comp_targetILNS1_3genE9ELNS1_11target_archE1100ELNS1_3gpuE3ELNS1_3repE0EEENS1_30default_config_static_selectorELNS0_4arch9wavefront6targetE1EEEvT1_,"axG",@progbits,_ZN7rocprim17ROCPRIM_400000_NS6detail17trampoline_kernelINS0_14default_configENS1_25partition_config_selectorILNS1_17partition_subalgoE1EsNS0_10empty_typeEbEEZZNS1_14partition_implILS5_1ELb0ES3_jN6thrust23THRUST_200600_302600_NS6detail15normal_iteratorINSA_10device_ptrIsEEEEPS6_NSA_18transform_iteratorI7is_evenIsESF_NSA_11use_defaultESK_EENS0_5tupleIJSF_NSA_16discard_iteratorISK_EEEEENSM_IJSG_SG_EEES6_PlJS6_EEE10hipError_tPvRmT3_T4_T5_T6_T7_T9_mT8_P12ihipStream_tbDpT10_ENKUlT_T0_E_clISt17integral_constantIbLb1EES1B_EEDaS16_S17_EUlS16_E_NS1_11comp_targetILNS1_3genE9ELNS1_11target_archE1100ELNS1_3gpuE3ELNS1_3repE0EEENS1_30default_config_static_selectorELNS0_4arch9wavefront6targetE1EEEvT1_,comdat
	.protected	_ZN7rocprim17ROCPRIM_400000_NS6detail17trampoline_kernelINS0_14default_configENS1_25partition_config_selectorILNS1_17partition_subalgoE1EsNS0_10empty_typeEbEEZZNS1_14partition_implILS5_1ELb0ES3_jN6thrust23THRUST_200600_302600_NS6detail15normal_iteratorINSA_10device_ptrIsEEEEPS6_NSA_18transform_iteratorI7is_evenIsESF_NSA_11use_defaultESK_EENS0_5tupleIJSF_NSA_16discard_iteratorISK_EEEEENSM_IJSG_SG_EEES6_PlJS6_EEE10hipError_tPvRmT3_T4_T5_T6_T7_T9_mT8_P12ihipStream_tbDpT10_ENKUlT_T0_E_clISt17integral_constantIbLb1EES1B_EEDaS16_S17_EUlS16_E_NS1_11comp_targetILNS1_3genE9ELNS1_11target_archE1100ELNS1_3gpuE3ELNS1_3repE0EEENS1_30default_config_static_selectorELNS0_4arch9wavefront6targetE1EEEvT1_ ; -- Begin function _ZN7rocprim17ROCPRIM_400000_NS6detail17trampoline_kernelINS0_14default_configENS1_25partition_config_selectorILNS1_17partition_subalgoE1EsNS0_10empty_typeEbEEZZNS1_14partition_implILS5_1ELb0ES3_jN6thrust23THRUST_200600_302600_NS6detail15normal_iteratorINSA_10device_ptrIsEEEEPS6_NSA_18transform_iteratorI7is_evenIsESF_NSA_11use_defaultESK_EENS0_5tupleIJSF_NSA_16discard_iteratorISK_EEEEENSM_IJSG_SG_EEES6_PlJS6_EEE10hipError_tPvRmT3_T4_T5_T6_T7_T9_mT8_P12ihipStream_tbDpT10_ENKUlT_T0_E_clISt17integral_constantIbLb1EES1B_EEDaS16_S17_EUlS16_E_NS1_11comp_targetILNS1_3genE9ELNS1_11target_archE1100ELNS1_3gpuE3ELNS1_3repE0EEENS1_30default_config_static_selectorELNS0_4arch9wavefront6targetE1EEEvT1_
	.globl	_ZN7rocprim17ROCPRIM_400000_NS6detail17trampoline_kernelINS0_14default_configENS1_25partition_config_selectorILNS1_17partition_subalgoE1EsNS0_10empty_typeEbEEZZNS1_14partition_implILS5_1ELb0ES3_jN6thrust23THRUST_200600_302600_NS6detail15normal_iteratorINSA_10device_ptrIsEEEEPS6_NSA_18transform_iteratorI7is_evenIsESF_NSA_11use_defaultESK_EENS0_5tupleIJSF_NSA_16discard_iteratorISK_EEEEENSM_IJSG_SG_EEES6_PlJS6_EEE10hipError_tPvRmT3_T4_T5_T6_T7_T9_mT8_P12ihipStream_tbDpT10_ENKUlT_T0_E_clISt17integral_constantIbLb1EES1B_EEDaS16_S17_EUlS16_E_NS1_11comp_targetILNS1_3genE9ELNS1_11target_archE1100ELNS1_3gpuE3ELNS1_3repE0EEENS1_30default_config_static_selectorELNS0_4arch9wavefront6targetE1EEEvT1_
	.p2align	8
	.type	_ZN7rocprim17ROCPRIM_400000_NS6detail17trampoline_kernelINS0_14default_configENS1_25partition_config_selectorILNS1_17partition_subalgoE1EsNS0_10empty_typeEbEEZZNS1_14partition_implILS5_1ELb0ES3_jN6thrust23THRUST_200600_302600_NS6detail15normal_iteratorINSA_10device_ptrIsEEEEPS6_NSA_18transform_iteratorI7is_evenIsESF_NSA_11use_defaultESK_EENS0_5tupleIJSF_NSA_16discard_iteratorISK_EEEEENSM_IJSG_SG_EEES6_PlJS6_EEE10hipError_tPvRmT3_T4_T5_T6_T7_T9_mT8_P12ihipStream_tbDpT10_ENKUlT_T0_E_clISt17integral_constantIbLb1EES1B_EEDaS16_S17_EUlS16_E_NS1_11comp_targetILNS1_3genE9ELNS1_11target_archE1100ELNS1_3gpuE3ELNS1_3repE0EEENS1_30default_config_static_selectorELNS0_4arch9wavefront6targetE1EEEvT1_,@function
_ZN7rocprim17ROCPRIM_400000_NS6detail17trampoline_kernelINS0_14default_configENS1_25partition_config_selectorILNS1_17partition_subalgoE1EsNS0_10empty_typeEbEEZZNS1_14partition_implILS5_1ELb0ES3_jN6thrust23THRUST_200600_302600_NS6detail15normal_iteratorINSA_10device_ptrIsEEEEPS6_NSA_18transform_iteratorI7is_evenIsESF_NSA_11use_defaultESK_EENS0_5tupleIJSF_NSA_16discard_iteratorISK_EEEEENSM_IJSG_SG_EEES6_PlJS6_EEE10hipError_tPvRmT3_T4_T5_T6_T7_T9_mT8_P12ihipStream_tbDpT10_ENKUlT_T0_E_clISt17integral_constantIbLb1EES1B_EEDaS16_S17_EUlS16_E_NS1_11comp_targetILNS1_3genE9ELNS1_11target_archE1100ELNS1_3gpuE3ELNS1_3repE0EEENS1_30default_config_static_selectorELNS0_4arch9wavefront6targetE1EEEvT1_: ; @_ZN7rocprim17ROCPRIM_400000_NS6detail17trampoline_kernelINS0_14default_configENS1_25partition_config_selectorILNS1_17partition_subalgoE1EsNS0_10empty_typeEbEEZZNS1_14partition_implILS5_1ELb0ES3_jN6thrust23THRUST_200600_302600_NS6detail15normal_iteratorINSA_10device_ptrIsEEEEPS6_NSA_18transform_iteratorI7is_evenIsESF_NSA_11use_defaultESK_EENS0_5tupleIJSF_NSA_16discard_iteratorISK_EEEEENSM_IJSG_SG_EEES6_PlJS6_EEE10hipError_tPvRmT3_T4_T5_T6_T7_T9_mT8_P12ihipStream_tbDpT10_ENKUlT_T0_E_clISt17integral_constantIbLb1EES1B_EEDaS16_S17_EUlS16_E_NS1_11comp_targetILNS1_3genE9ELNS1_11target_archE1100ELNS1_3gpuE3ELNS1_3repE0EEENS1_30default_config_static_selectorELNS0_4arch9wavefront6targetE1EEEvT1_
; %bb.0:
	.section	.rodata,"a",@progbits
	.p2align	6, 0x0
	.amdhsa_kernel _ZN7rocprim17ROCPRIM_400000_NS6detail17trampoline_kernelINS0_14default_configENS1_25partition_config_selectorILNS1_17partition_subalgoE1EsNS0_10empty_typeEbEEZZNS1_14partition_implILS5_1ELb0ES3_jN6thrust23THRUST_200600_302600_NS6detail15normal_iteratorINSA_10device_ptrIsEEEEPS6_NSA_18transform_iteratorI7is_evenIsESF_NSA_11use_defaultESK_EENS0_5tupleIJSF_NSA_16discard_iteratorISK_EEEEENSM_IJSG_SG_EEES6_PlJS6_EEE10hipError_tPvRmT3_T4_T5_T6_T7_T9_mT8_P12ihipStream_tbDpT10_ENKUlT_T0_E_clISt17integral_constantIbLb1EES1B_EEDaS16_S17_EUlS16_E_NS1_11comp_targetILNS1_3genE9ELNS1_11target_archE1100ELNS1_3gpuE3ELNS1_3repE0EEENS1_30default_config_static_selectorELNS0_4arch9wavefront6targetE1EEEvT1_
		.amdhsa_group_segment_fixed_size 0
		.amdhsa_private_segment_fixed_size 0
		.amdhsa_kernarg_size 152
		.amdhsa_user_sgpr_count 6
		.amdhsa_user_sgpr_private_segment_buffer 1
		.amdhsa_user_sgpr_dispatch_ptr 0
		.amdhsa_user_sgpr_queue_ptr 0
		.amdhsa_user_sgpr_kernarg_segment_ptr 1
		.amdhsa_user_sgpr_dispatch_id 0
		.amdhsa_user_sgpr_flat_scratch_init 0
		.amdhsa_user_sgpr_kernarg_preload_length 0
		.amdhsa_user_sgpr_kernarg_preload_offset 0
		.amdhsa_user_sgpr_private_segment_size 0
		.amdhsa_uses_dynamic_stack 0
		.amdhsa_system_sgpr_private_segment_wavefront_offset 0
		.amdhsa_system_sgpr_workgroup_id_x 1
		.amdhsa_system_sgpr_workgroup_id_y 0
		.amdhsa_system_sgpr_workgroup_id_z 0
		.amdhsa_system_sgpr_workgroup_info 0
		.amdhsa_system_vgpr_workitem_id 0
		.amdhsa_next_free_vgpr 1
		.amdhsa_next_free_sgpr 0
		.amdhsa_accum_offset 4
		.amdhsa_reserve_vcc 0
		.amdhsa_reserve_flat_scratch 0
		.amdhsa_float_round_mode_32 0
		.amdhsa_float_round_mode_16_64 0
		.amdhsa_float_denorm_mode_32 3
		.amdhsa_float_denorm_mode_16_64 3
		.amdhsa_dx10_clamp 1
		.amdhsa_ieee_mode 1
		.amdhsa_fp16_overflow 0
		.amdhsa_tg_split 0
		.amdhsa_exception_fp_ieee_invalid_op 0
		.amdhsa_exception_fp_denorm_src 0
		.amdhsa_exception_fp_ieee_div_zero 0
		.amdhsa_exception_fp_ieee_overflow 0
		.amdhsa_exception_fp_ieee_underflow 0
		.amdhsa_exception_fp_ieee_inexact 0
		.amdhsa_exception_int_div_zero 0
	.end_amdhsa_kernel
	.section	.text._ZN7rocprim17ROCPRIM_400000_NS6detail17trampoline_kernelINS0_14default_configENS1_25partition_config_selectorILNS1_17partition_subalgoE1EsNS0_10empty_typeEbEEZZNS1_14partition_implILS5_1ELb0ES3_jN6thrust23THRUST_200600_302600_NS6detail15normal_iteratorINSA_10device_ptrIsEEEEPS6_NSA_18transform_iteratorI7is_evenIsESF_NSA_11use_defaultESK_EENS0_5tupleIJSF_NSA_16discard_iteratorISK_EEEEENSM_IJSG_SG_EEES6_PlJS6_EEE10hipError_tPvRmT3_T4_T5_T6_T7_T9_mT8_P12ihipStream_tbDpT10_ENKUlT_T0_E_clISt17integral_constantIbLb1EES1B_EEDaS16_S17_EUlS16_E_NS1_11comp_targetILNS1_3genE9ELNS1_11target_archE1100ELNS1_3gpuE3ELNS1_3repE0EEENS1_30default_config_static_selectorELNS0_4arch9wavefront6targetE1EEEvT1_,"axG",@progbits,_ZN7rocprim17ROCPRIM_400000_NS6detail17trampoline_kernelINS0_14default_configENS1_25partition_config_selectorILNS1_17partition_subalgoE1EsNS0_10empty_typeEbEEZZNS1_14partition_implILS5_1ELb0ES3_jN6thrust23THRUST_200600_302600_NS6detail15normal_iteratorINSA_10device_ptrIsEEEEPS6_NSA_18transform_iteratorI7is_evenIsESF_NSA_11use_defaultESK_EENS0_5tupleIJSF_NSA_16discard_iteratorISK_EEEEENSM_IJSG_SG_EEES6_PlJS6_EEE10hipError_tPvRmT3_T4_T5_T6_T7_T9_mT8_P12ihipStream_tbDpT10_ENKUlT_T0_E_clISt17integral_constantIbLb1EES1B_EEDaS16_S17_EUlS16_E_NS1_11comp_targetILNS1_3genE9ELNS1_11target_archE1100ELNS1_3gpuE3ELNS1_3repE0EEENS1_30default_config_static_selectorELNS0_4arch9wavefront6targetE1EEEvT1_,comdat
.Lfunc_end3401:
	.size	_ZN7rocprim17ROCPRIM_400000_NS6detail17trampoline_kernelINS0_14default_configENS1_25partition_config_selectorILNS1_17partition_subalgoE1EsNS0_10empty_typeEbEEZZNS1_14partition_implILS5_1ELb0ES3_jN6thrust23THRUST_200600_302600_NS6detail15normal_iteratorINSA_10device_ptrIsEEEEPS6_NSA_18transform_iteratorI7is_evenIsESF_NSA_11use_defaultESK_EENS0_5tupleIJSF_NSA_16discard_iteratorISK_EEEEENSM_IJSG_SG_EEES6_PlJS6_EEE10hipError_tPvRmT3_T4_T5_T6_T7_T9_mT8_P12ihipStream_tbDpT10_ENKUlT_T0_E_clISt17integral_constantIbLb1EES1B_EEDaS16_S17_EUlS16_E_NS1_11comp_targetILNS1_3genE9ELNS1_11target_archE1100ELNS1_3gpuE3ELNS1_3repE0EEENS1_30default_config_static_selectorELNS0_4arch9wavefront6targetE1EEEvT1_, .Lfunc_end3401-_ZN7rocprim17ROCPRIM_400000_NS6detail17trampoline_kernelINS0_14default_configENS1_25partition_config_selectorILNS1_17partition_subalgoE1EsNS0_10empty_typeEbEEZZNS1_14partition_implILS5_1ELb0ES3_jN6thrust23THRUST_200600_302600_NS6detail15normal_iteratorINSA_10device_ptrIsEEEEPS6_NSA_18transform_iteratorI7is_evenIsESF_NSA_11use_defaultESK_EENS0_5tupleIJSF_NSA_16discard_iteratorISK_EEEEENSM_IJSG_SG_EEES6_PlJS6_EEE10hipError_tPvRmT3_T4_T5_T6_T7_T9_mT8_P12ihipStream_tbDpT10_ENKUlT_T0_E_clISt17integral_constantIbLb1EES1B_EEDaS16_S17_EUlS16_E_NS1_11comp_targetILNS1_3genE9ELNS1_11target_archE1100ELNS1_3gpuE3ELNS1_3repE0EEENS1_30default_config_static_selectorELNS0_4arch9wavefront6targetE1EEEvT1_
                                        ; -- End function
	.section	.AMDGPU.csdata,"",@progbits
; Kernel info:
; codeLenInByte = 0
; NumSgprs: 4
; NumVgprs: 0
; NumAgprs: 0
; TotalNumVgprs: 0
; ScratchSize: 0
; MemoryBound: 0
; FloatMode: 240
; IeeeMode: 1
; LDSByteSize: 0 bytes/workgroup (compile time only)
; SGPRBlocks: 0
; VGPRBlocks: 0
; NumSGPRsForWavesPerEU: 4
; NumVGPRsForWavesPerEU: 1
; AccumOffset: 4
; Occupancy: 8
; WaveLimiterHint : 0
; COMPUTE_PGM_RSRC2:SCRATCH_EN: 0
; COMPUTE_PGM_RSRC2:USER_SGPR: 6
; COMPUTE_PGM_RSRC2:TRAP_HANDLER: 0
; COMPUTE_PGM_RSRC2:TGID_X_EN: 1
; COMPUTE_PGM_RSRC2:TGID_Y_EN: 0
; COMPUTE_PGM_RSRC2:TGID_Z_EN: 0
; COMPUTE_PGM_RSRC2:TIDIG_COMP_CNT: 0
; COMPUTE_PGM_RSRC3_GFX90A:ACCUM_OFFSET: 0
; COMPUTE_PGM_RSRC3_GFX90A:TG_SPLIT: 0
	.section	.text._ZN7rocprim17ROCPRIM_400000_NS6detail17trampoline_kernelINS0_14default_configENS1_25partition_config_selectorILNS1_17partition_subalgoE1EsNS0_10empty_typeEbEEZZNS1_14partition_implILS5_1ELb0ES3_jN6thrust23THRUST_200600_302600_NS6detail15normal_iteratorINSA_10device_ptrIsEEEEPS6_NSA_18transform_iteratorI7is_evenIsESF_NSA_11use_defaultESK_EENS0_5tupleIJSF_NSA_16discard_iteratorISK_EEEEENSM_IJSG_SG_EEES6_PlJS6_EEE10hipError_tPvRmT3_T4_T5_T6_T7_T9_mT8_P12ihipStream_tbDpT10_ENKUlT_T0_E_clISt17integral_constantIbLb1EES1B_EEDaS16_S17_EUlS16_E_NS1_11comp_targetILNS1_3genE8ELNS1_11target_archE1030ELNS1_3gpuE2ELNS1_3repE0EEENS1_30default_config_static_selectorELNS0_4arch9wavefront6targetE1EEEvT1_,"axG",@progbits,_ZN7rocprim17ROCPRIM_400000_NS6detail17trampoline_kernelINS0_14default_configENS1_25partition_config_selectorILNS1_17partition_subalgoE1EsNS0_10empty_typeEbEEZZNS1_14partition_implILS5_1ELb0ES3_jN6thrust23THRUST_200600_302600_NS6detail15normal_iteratorINSA_10device_ptrIsEEEEPS6_NSA_18transform_iteratorI7is_evenIsESF_NSA_11use_defaultESK_EENS0_5tupleIJSF_NSA_16discard_iteratorISK_EEEEENSM_IJSG_SG_EEES6_PlJS6_EEE10hipError_tPvRmT3_T4_T5_T6_T7_T9_mT8_P12ihipStream_tbDpT10_ENKUlT_T0_E_clISt17integral_constantIbLb1EES1B_EEDaS16_S17_EUlS16_E_NS1_11comp_targetILNS1_3genE8ELNS1_11target_archE1030ELNS1_3gpuE2ELNS1_3repE0EEENS1_30default_config_static_selectorELNS0_4arch9wavefront6targetE1EEEvT1_,comdat
	.protected	_ZN7rocprim17ROCPRIM_400000_NS6detail17trampoline_kernelINS0_14default_configENS1_25partition_config_selectorILNS1_17partition_subalgoE1EsNS0_10empty_typeEbEEZZNS1_14partition_implILS5_1ELb0ES3_jN6thrust23THRUST_200600_302600_NS6detail15normal_iteratorINSA_10device_ptrIsEEEEPS6_NSA_18transform_iteratorI7is_evenIsESF_NSA_11use_defaultESK_EENS0_5tupleIJSF_NSA_16discard_iteratorISK_EEEEENSM_IJSG_SG_EEES6_PlJS6_EEE10hipError_tPvRmT3_T4_T5_T6_T7_T9_mT8_P12ihipStream_tbDpT10_ENKUlT_T0_E_clISt17integral_constantIbLb1EES1B_EEDaS16_S17_EUlS16_E_NS1_11comp_targetILNS1_3genE8ELNS1_11target_archE1030ELNS1_3gpuE2ELNS1_3repE0EEENS1_30default_config_static_selectorELNS0_4arch9wavefront6targetE1EEEvT1_ ; -- Begin function _ZN7rocprim17ROCPRIM_400000_NS6detail17trampoline_kernelINS0_14default_configENS1_25partition_config_selectorILNS1_17partition_subalgoE1EsNS0_10empty_typeEbEEZZNS1_14partition_implILS5_1ELb0ES3_jN6thrust23THRUST_200600_302600_NS6detail15normal_iteratorINSA_10device_ptrIsEEEEPS6_NSA_18transform_iteratorI7is_evenIsESF_NSA_11use_defaultESK_EENS0_5tupleIJSF_NSA_16discard_iteratorISK_EEEEENSM_IJSG_SG_EEES6_PlJS6_EEE10hipError_tPvRmT3_T4_T5_T6_T7_T9_mT8_P12ihipStream_tbDpT10_ENKUlT_T0_E_clISt17integral_constantIbLb1EES1B_EEDaS16_S17_EUlS16_E_NS1_11comp_targetILNS1_3genE8ELNS1_11target_archE1030ELNS1_3gpuE2ELNS1_3repE0EEENS1_30default_config_static_selectorELNS0_4arch9wavefront6targetE1EEEvT1_
	.globl	_ZN7rocprim17ROCPRIM_400000_NS6detail17trampoline_kernelINS0_14default_configENS1_25partition_config_selectorILNS1_17partition_subalgoE1EsNS0_10empty_typeEbEEZZNS1_14partition_implILS5_1ELb0ES3_jN6thrust23THRUST_200600_302600_NS6detail15normal_iteratorINSA_10device_ptrIsEEEEPS6_NSA_18transform_iteratorI7is_evenIsESF_NSA_11use_defaultESK_EENS0_5tupleIJSF_NSA_16discard_iteratorISK_EEEEENSM_IJSG_SG_EEES6_PlJS6_EEE10hipError_tPvRmT3_T4_T5_T6_T7_T9_mT8_P12ihipStream_tbDpT10_ENKUlT_T0_E_clISt17integral_constantIbLb1EES1B_EEDaS16_S17_EUlS16_E_NS1_11comp_targetILNS1_3genE8ELNS1_11target_archE1030ELNS1_3gpuE2ELNS1_3repE0EEENS1_30default_config_static_selectorELNS0_4arch9wavefront6targetE1EEEvT1_
	.p2align	8
	.type	_ZN7rocprim17ROCPRIM_400000_NS6detail17trampoline_kernelINS0_14default_configENS1_25partition_config_selectorILNS1_17partition_subalgoE1EsNS0_10empty_typeEbEEZZNS1_14partition_implILS5_1ELb0ES3_jN6thrust23THRUST_200600_302600_NS6detail15normal_iteratorINSA_10device_ptrIsEEEEPS6_NSA_18transform_iteratorI7is_evenIsESF_NSA_11use_defaultESK_EENS0_5tupleIJSF_NSA_16discard_iteratorISK_EEEEENSM_IJSG_SG_EEES6_PlJS6_EEE10hipError_tPvRmT3_T4_T5_T6_T7_T9_mT8_P12ihipStream_tbDpT10_ENKUlT_T0_E_clISt17integral_constantIbLb1EES1B_EEDaS16_S17_EUlS16_E_NS1_11comp_targetILNS1_3genE8ELNS1_11target_archE1030ELNS1_3gpuE2ELNS1_3repE0EEENS1_30default_config_static_selectorELNS0_4arch9wavefront6targetE1EEEvT1_,@function
_ZN7rocprim17ROCPRIM_400000_NS6detail17trampoline_kernelINS0_14default_configENS1_25partition_config_selectorILNS1_17partition_subalgoE1EsNS0_10empty_typeEbEEZZNS1_14partition_implILS5_1ELb0ES3_jN6thrust23THRUST_200600_302600_NS6detail15normal_iteratorINSA_10device_ptrIsEEEEPS6_NSA_18transform_iteratorI7is_evenIsESF_NSA_11use_defaultESK_EENS0_5tupleIJSF_NSA_16discard_iteratorISK_EEEEENSM_IJSG_SG_EEES6_PlJS6_EEE10hipError_tPvRmT3_T4_T5_T6_T7_T9_mT8_P12ihipStream_tbDpT10_ENKUlT_T0_E_clISt17integral_constantIbLb1EES1B_EEDaS16_S17_EUlS16_E_NS1_11comp_targetILNS1_3genE8ELNS1_11target_archE1030ELNS1_3gpuE2ELNS1_3repE0EEENS1_30default_config_static_selectorELNS0_4arch9wavefront6targetE1EEEvT1_: ; @_ZN7rocprim17ROCPRIM_400000_NS6detail17trampoline_kernelINS0_14default_configENS1_25partition_config_selectorILNS1_17partition_subalgoE1EsNS0_10empty_typeEbEEZZNS1_14partition_implILS5_1ELb0ES3_jN6thrust23THRUST_200600_302600_NS6detail15normal_iteratorINSA_10device_ptrIsEEEEPS6_NSA_18transform_iteratorI7is_evenIsESF_NSA_11use_defaultESK_EENS0_5tupleIJSF_NSA_16discard_iteratorISK_EEEEENSM_IJSG_SG_EEES6_PlJS6_EEE10hipError_tPvRmT3_T4_T5_T6_T7_T9_mT8_P12ihipStream_tbDpT10_ENKUlT_T0_E_clISt17integral_constantIbLb1EES1B_EEDaS16_S17_EUlS16_E_NS1_11comp_targetILNS1_3genE8ELNS1_11target_archE1030ELNS1_3gpuE2ELNS1_3repE0EEENS1_30default_config_static_selectorELNS0_4arch9wavefront6targetE1EEEvT1_
; %bb.0:
	.section	.rodata,"a",@progbits
	.p2align	6, 0x0
	.amdhsa_kernel _ZN7rocprim17ROCPRIM_400000_NS6detail17trampoline_kernelINS0_14default_configENS1_25partition_config_selectorILNS1_17partition_subalgoE1EsNS0_10empty_typeEbEEZZNS1_14partition_implILS5_1ELb0ES3_jN6thrust23THRUST_200600_302600_NS6detail15normal_iteratorINSA_10device_ptrIsEEEEPS6_NSA_18transform_iteratorI7is_evenIsESF_NSA_11use_defaultESK_EENS0_5tupleIJSF_NSA_16discard_iteratorISK_EEEEENSM_IJSG_SG_EEES6_PlJS6_EEE10hipError_tPvRmT3_T4_T5_T6_T7_T9_mT8_P12ihipStream_tbDpT10_ENKUlT_T0_E_clISt17integral_constantIbLb1EES1B_EEDaS16_S17_EUlS16_E_NS1_11comp_targetILNS1_3genE8ELNS1_11target_archE1030ELNS1_3gpuE2ELNS1_3repE0EEENS1_30default_config_static_selectorELNS0_4arch9wavefront6targetE1EEEvT1_
		.amdhsa_group_segment_fixed_size 0
		.amdhsa_private_segment_fixed_size 0
		.amdhsa_kernarg_size 152
		.amdhsa_user_sgpr_count 6
		.amdhsa_user_sgpr_private_segment_buffer 1
		.amdhsa_user_sgpr_dispatch_ptr 0
		.amdhsa_user_sgpr_queue_ptr 0
		.amdhsa_user_sgpr_kernarg_segment_ptr 1
		.amdhsa_user_sgpr_dispatch_id 0
		.amdhsa_user_sgpr_flat_scratch_init 0
		.amdhsa_user_sgpr_kernarg_preload_length 0
		.amdhsa_user_sgpr_kernarg_preload_offset 0
		.amdhsa_user_sgpr_private_segment_size 0
		.amdhsa_uses_dynamic_stack 0
		.amdhsa_system_sgpr_private_segment_wavefront_offset 0
		.amdhsa_system_sgpr_workgroup_id_x 1
		.amdhsa_system_sgpr_workgroup_id_y 0
		.amdhsa_system_sgpr_workgroup_id_z 0
		.amdhsa_system_sgpr_workgroup_info 0
		.amdhsa_system_vgpr_workitem_id 0
		.amdhsa_next_free_vgpr 1
		.amdhsa_next_free_sgpr 0
		.amdhsa_accum_offset 4
		.amdhsa_reserve_vcc 0
		.amdhsa_reserve_flat_scratch 0
		.amdhsa_float_round_mode_32 0
		.amdhsa_float_round_mode_16_64 0
		.amdhsa_float_denorm_mode_32 3
		.amdhsa_float_denorm_mode_16_64 3
		.amdhsa_dx10_clamp 1
		.amdhsa_ieee_mode 1
		.amdhsa_fp16_overflow 0
		.amdhsa_tg_split 0
		.amdhsa_exception_fp_ieee_invalid_op 0
		.amdhsa_exception_fp_denorm_src 0
		.amdhsa_exception_fp_ieee_div_zero 0
		.amdhsa_exception_fp_ieee_overflow 0
		.amdhsa_exception_fp_ieee_underflow 0
		.amdhsa_exception_fp_ieee_inexact 0
		.amdhsa_exception_int_div_zero 0
	.end_amdhsa_kernel
	.section	.text._ZN7rocprim17ROCPRIM_400000_NS6detail17trampoline_kernelINS0_14default_configENS1_25partition_config_selectorILNS1_17partition_subalgoE1EsNS0_10empty_typeEbEEZZNS1_14partition_implILS5_1ELb0ES3_jN6thrust23THRUST_200600_302600_NS6detail15normal_iteratorINSA_10device_ptrIsEEEEPS6_NSA_18transform_iteratorI7is_evenIsESF_NSA_11use_defaultESK_EENS0_5tupleIJSF_NSA_16discard_iteratorISK_EEEEENSM_IJSG_SG_EEES6_PlJS6_EEE10hipError_tPvRmT3_T4_T5_T6_T7_T9_mT8_P12ihipStream_tbDpT10_ENKUlT_T0_E_clISt17integral_constantIbLb1EES1B_EEDaS16_S17_EUlS16_E_NS1_11comp_targetILNS1_3genE8ELNS1_11target_archE1030ELNS1_3gpuE2ELNS1_3repE0EEENS1_30default_config_static_selectorELNS0_4arch9wavefront6targetE1EEEvT1_,"axG",@progbits,_ZN7rocprim17ROCPRIM_400000_NS6detail17trampoline_kernelINS0_14default_configENS1_25partition_config_selectorILNS1_17partition_subalgoE1EsNS0_10empty_typeEbEEZZNS1_14partition_implILS5_1ELb0ES3_jN6thrust23THRUST_200600_302600_NS6detail15normal_iteratorINSA_10device_ptrIsEEEEPS6_NSA_18transform_iteratorI7is_evenIsESF_NSA_11use_defaultESK_EENS0_5tupleIJSF_NSA_16discard_iteratorISK_EEEEENSM_IJSG_SG_EEES6_PlJS6_EEE10hipError_tPvRmT3_T4_T5_T6_T7_T9_mT8_P12ihipStream_tbDpT10_ENKUlT_T0_E_clISt17integral_constantIbLb1EES1B_EEDaS16_S17_EUlS16_E_NS1_11comp_targetILNS1_3genE8ELNS1_11target_archE1030ELNS1_3gpuE2ELNS1_3repE0EEENS1_30default_config_static_selectorELNS0_4arch9wavefront6targetE1EEEvT1_,comdat
.Lfunc_end3402:
	.size	_ZN7rocprim17ROCPRIM_400000_NS6detail17trampoline_kernelINS0_14default_configENS1_25partition_config_selectorILNS1_17partition_subalgoE1EsNS0_10empty_typeEbEEZZNS1_14partition_implILS5_1ELb0ES3_jN6thrust23THRUST_200600_302600_NS6detail15normal_iteratorINSA_10device_ptrIsEEEEPS6_NSA_18transform_iteratorI7is_evenIsESF_NSA_11use_defaultESK_EENS0_5tupleIJSF_NSA_16discard_iteratorISK_EEEEENSM_IJSG_SG_EEES6_PlJS6_EEE10hipError_tPvRmT3_T4_T5_T6_T7_T9_mT8_P12ihipStream_tbDpT10_ENKUlT_T0_E_clISt17integral_constantIbLb1EES1B_EEDaS16_S17_EUlS16_E_NS1_11comp_targetILNS1_3genE8ELNS1_11target_archE1030ELNS1_3gpuE2ELNS1_3repE0EEENS1_30default_config_static_selectorELNS0_4arch9wavefront6targetE1EEEvT1_, .Lfunc_end3402-_ZN7rocprim17ROCPRIM_400000_NS6detail17trampoline_kernelINS0_14default_configENS1_25partition_config_selectorILNS1_17partition_subalgoE1EsNS0_10empty_typeEbEEZZNS1_14partition_implILS5_1ELb0ES3_jN6thrust23THRUST_200600_302600_NS6detail15normal_iteratorINSA_10device_ptrIsEEEEPS6_NSA_18transform_iteratorI7is_evenIsESF_NSA_11use_defaultESK_EENS0_5tupleIJSF_NSA_16discard_iteratorISK_EEEEENSM_IJSG_SG_EEES6_PlJS6_EEE10hipError_tPvRmT3_T4_T5_T6_T7_T9_mT8_P12ihipStream_tbDpT10_ENKUlT_T0_E_clISt17integral_constantIbLb1EES1B_EEDaS16_S17_EUlS16_E_NS1_11comp_targetILNS1_3genE8ELNS1_11target_archE1030ELNS1_3gpuE2ELNS1_3repE0EEENS1_30default_config_static_selectorELNS0_4arch9wavefront6targetE1EEEvT1_
                                        ; -- End function
	.section	.AMDGPU.csdata,"",@progbits
; Kernel info:
; codeLenInByte = 0
; NumSgprs: 4
; NumVgprs: 0
; NumAgprs: 0
; TotalNumVgprs: 0
; ScratchSize: 0
; MemoryBound: 0
; FloatMode: 240
; IeeeMode: 1
; LDSByteSize: 0 bytes/workgroup (compile time only)
; SGPRBlocks: 0
; VGPRBlocks: 0
; NumSGPRsForWavesPerEU: 4
; NumVGPRsForWavesPerEU: 1
; AccumOffset: 4
; Occupancy: 8
; WaveLimiterHint : 0
; COMPUTE_PGM_RSRC2:SCRATCH_EN: 0
; COMPUTE_PGM_RSRC2:USER_SGPR: 6
; COMPUTE_PGM_RSRC2:TRAP_HANDLER: 0
; COMPUTE_PGM_RSRC2:TGID_X_EN: 1
; COMPUTE_PGM_RSRC2:TGID_Y_EN: 0
; COMPUTE_PGM_RSRC2:TGID_Z_EN: 0
; COMPUTE_PGM_RSRC2:TIDIG_COMP_CNT: 0
; COMPUTE_PGM_RSRC3_GFX90A:ACCUM_OFFSET: 0
; COMPUTE_PGM_RSRC3_GFX90A:TG_SPLIT: 0
	.section	.text._ZN7rocprim17ROCPRIM_400000_NS6detail17trampoline_kernelINS0_14default_configENS1_25partition_config_selectorILNS1_17partition_subalgoE1EsNS0_10empty_typeEbEEZZNS1_14partition_implILS5_1ELb0ES3_jN6thrust23THRUST_200600_302600_NS6detail15normal_iteratorINSA_10device_ptrIsEEEEPS6_NSA_18transform_iteratorI7is_evenIsESF_NSA_11use_defaultESK_EENS0_5tupleIJSF_NSA_16discard_iteratorISK_EEEEENSM_IJSG_SG_EEES6_PlJS6_EEE10hipError_tPvRmT3_T4_T5_T6_T7_T9_mT8_P12ihipStream_tbDpT10_ENKUlT_T0_E_clISt17integral_constantIbLb1EES1A_IbLb0EEEEDaS16_S17_EUlS16_E_NS1_11comp_targetILNS1_3genE0ELNS1_11target_archE4294967295ELNS1_3gpuE0ELNS1_3repE0EEENS1_30default_config_static_selectorELNS0_4arch9wavefront6targetE1EEEvT1_,"axG",@progbits,_ZN7rocprim17ROCPRIM_400000_NS6detail17trampoline_kernelINS0_14default_configENS1_25partition_config_selectorILNS1_17partition_subalgoE1EsNS0_10empty_typeEbEEZZNS1_14partition_implILS5_1ELb0ES3_jN6thrust23THRUST_200600_302600_NS6detail15normal_iteratorINSA_10device_ptrIsEEEEPS6_NSA_18transform_iteratorI7is_evenIsESF_NSA_11use_defaultESK_EENS0_5tupleIJSF_NSA_16discard_iteratorISK_EEEEENSM_IJSG_SG_EEES6_PlJS6_EEE10hipError_tPvRmT3_T4_T5_T6_T7_T9_mT8_P12ihipStream_tbDpT10_ENKUlT_T0_E_clISt17integral_constantIbLb1EES1A_IbLb0EEEEDaS16_S17_EUlS16_E_NS1_11comp_targetILNS1_3genE0ELNS1_11target_archE4294967295ELNS1_3gpuE0ELNS1_3repE0EEENS1_30default_config_static_selectorELNS0_4arch9wavefront6targetE1EEEvT1_,comdat
	.protected	_ZN7rocprim17ROCPRIM_400000_NS6detail17trampoline_kernelINS0_14default_configENS1_25partition_config_selectorILNS1_17partition_subalgoE1EsNS0_10empty_typeEbEEZZNS1_14partition_implILS5_1ELb0ES3_jN6thrust23THRUST_200600_302600_NS6detail15normal_iteratorINSA_10device_ptrIsEEEEPS6_NSA_18transform_iteratorI7is_evenIsESF_NSA_11use_defaultESK_EENS0_5tupleIJSF_NSA_16discard_iteratorISK_EEEEENSM_IJSG_SG_EEES6_PlJS6_EEE10hipError_tPvRmT3_T4_T5_T6_T7_T9_mT8_P12ihipStream_tbDpT10_ENKUlT_T0_E_clISt17integral_constantIbLb1EES1A_IbLb0EEEEDaS16_S17_EUlS16_E_NS1_11comp_targetILNS1_3genE0ELNS1_11target_archE4294967295ELNS1_3gpuE0ELNS1_3repE0EEENS1_30default_config_static_selectorELNS0_4arch9wavefront6targetE1EEEvT1_ ; -- Begin function _ZN7rocprim17ROCPRIM_400000_NS6detail17trampoline_kernelINS0_14default_configENS1_25partition_config_selectorILNS1_17partition_subalgoE1EsNS0_10empty_typeEbEEZZNS1_14partition_implILS5_1ELb0ES3_jN6thrust23THRUST_200600_302600_NS6detail15normal_iteratorINSA_10device_ptrIsEEEEPS6_NSA_18transform_iteratorI7is_evenIsESF_NSA_11use_defaultESK_EENS0_5tupleIJSF_NSA_16discard_iteratorISK_EEEEENSM_IJSG_SG_EEES6_PlJS6_EEE10hipError_tPvRmT3_T4_T5_T6_T7_T9_mT8_P12ihipStream_tbDpT10_ENKUlT_T0_E_clISt17integral_constantIbLb1EES1A_IbLb0EEEEDaS16_S17_EUlS16_E_NS1_11comp_targetILNS1_3genE0ELNS1_11target_archE4294967295ELNS1_3gpuE0ELNS1_3repE0EEENS1_30default_config_static_selectorELNS0_4arch9wavefront6targetE1EEEvT1_
	.globl	_ZN7rocprim17ROCPRIM_400000_NS6detail17trampoline_kernelINS0_14default_configENS1_25partition_config_selectorILNS1_17partition_subalgoE1EsNS0_10empty_typeEbEEZZNS1_14partition_implILS5_1ELb0ES3_jN6thrust23THRUST_200600_302600_NS6detail15normal_iteratorINSA_10device_ptrIsEEEEPS6_NSA_18transform_iteratorI7is_evenIsESF_NSA_11use_defaultESK_EENS0_5tupleIJSF_NSA_16discard_iteratorISK_EEEEENSM_IJSG_SG_EEES6_PlJS6_EEE10hipError_tPvRmT3_T4_T5_T6_T7_T9_mT8_P12ihipStream_tbDpT10_ENKUlT_T0_E_clISt17integral_constantIbLb1EES1A_IbLb0EEEEDaS16_S17_EUlS16_E_NS1_11comp_targetILNS1_3genE0ELNS1_11target_archE4294967295ELNS1_3gpuE0ELNS1_3repE0EEENS1_30default_config_static_selectorELNS0_4arch9wavefront6targetE1EEEvT1_
	.p2align	8
	.type	_ZN7rocprim17ROCPRIM_400000_NS6detail17trampoline_kernelINS0_14default_configENS1_25partition_config_selectorILNS1_17partition_subalgoE1EsNS0_10empty_typeEbEEZZNS1_14partition_implILS5_1ELb0ES3_jN6thrust23THRUST_200600_302600_NS6detail15normal_iteratorINSA_10device_ptrIsEEEEPS6_NSA_18transform_iteratorI7is_evenIsESF_NSA_11use_defaultESK_EENS0_5tupleIJSF_NSA_16discard_iteratorISK_EEEEENSM_IJSG_SG_EEES6_PlJS6_EEE10hipError_tPvRmT3_T4_T5_T6_T7_T9_mT8_P12ihipStream_tbDpT10_ENKUlT_T0_E_clISt17integral_constantIbLb1EES1A_IbLb0EEEEDaS16_S17_EUlS16_E_NS1_11comp_targetILNS1_3genE0ELNS1_11target_archE4294967295ELNS1_3gpuE0ELNS1_3repE0EEENS1_30default_config_static_selectorELNS0_4arch9wavefront6targetE1EEEvT1_,@function
_ZN7rocprim17ROCPRIM_400000_NS6detail17trampoline_kernelINS0_14default_configENS1_25partition_config_selectorILNS1_17partition_subalgoE1EsNS0_10empty_typeEbEEZZNS1_14partition_implILS5_1ELb0ES3_jN6thrust23THRUST_200600_302600_NS6detail15normal_iteratorINSA_10device_ptrIsEEEEPS6_NSA_18transform_iteratorI7is_evenIsESF_NSA_11use_defaultESK_EENS0_5tupleIJSF_NSA_16discard_iteratorISK_EEEEENSM_IJSG_SG_EEES6_PlJS6_EEE10hipError_tPvRmT3_T4_T5_T6_T7_T9_mT8_P12ihipStream_tbDpT10_ENKUlT_T0_E_clISt17integral_constantIbLb1EES1A_IbLb0EEEEDaS16_S17_EUlS16_E_NS1_11comp_targetILNS1_3genE0ELNS1_11target_archE4294967295ELNS1_3gpuE0ELNS1_3repE0EEENS1_30default_config_static_selectorELNS0_4arch9wavefront6targetE1EEEvT1_: ; @_ZN7rocprim17ROCPRIM_400000_NS6detail17trampoline_kernelINS0_14default_configENS1_25partition_config_selectorILNS1_17partition_subalgoE1EsNS0_10empty_typeEbEEZZNS1_14partition_implILS5_1ELb0ES3_jN6thrust23THRUST_200600_302600_NS6detail15normal_iteratorINSA_10device_ptrIsEEEEPS6_NSA_18transform_iteratorI7is_evenIsESF_NSA_11use_defaultESK_EENS0_5tupleIJSF_NSA_16discard_iteratorISK_EEEEENSM_IJSG_SG_EEES6_PlJS6_EEE10hipError_tPvRmT3_T4_T5_T6_T7_T9_mT8_P12ihipStream_tbDpT10_ENKUlT_T0_E_clISt17integral_constantIbLb1EES1A_IbLb0EEEEDaS16_S17_EUlS16_E_NS1_11comp_targetILNS1_3genE0ELNS1_11target_archE4294967295ELNS1_3gpuE0ELNS1_3repE0EEENS1_30default_config_static_selectorELNS0_4arch9wavefront6targetE1EEEvT1_
; %bb.0:
	.section	.rodata,"a",@progbits
	.p2align	6, 0x0
	.amdhsa_kernel _ZN7rocprim17ROCPRIM_400000_NS6detail17trampoline_kernelINS0_14default_configENS1_25partition_config_selectorILNS1_17partition_subalgoE1EsNS0_10empty_typeEbEEZZNS1_14partition_implILS5_1ELb0ES3_jN6thrust23THRUST_200600_302600_NS6detail15normal_iteratorINSA_10device_ptrIsEEEEPS6_NSA_18transform_iteratorI7is_evenIsESF_NSA_11use_defaultESK_EENS0_5tupleIJSF_NSA_16discard_iteratorISK_EEEEENSM_IJSG_SG_EEES6_PlJS6_EEE10hipError_tPvRmT3_T4_T5_T6_T7_T9_mT8_P12ihipStream_tbDpT10_ENKUlT_T0_E_clISt17integral_constantIbLb1EES1A_IbLb0EEEEDaS16_S17_EUlS16_E_NS1_11comp_targetILNS1_3genE0ELNS1_11target_archE4294967295ELNS1_3gpuE0ELNS1_3repE0EEENS1_30default_config_static_selectorELNS0_4arch9wavefront6targetE1EEEvT1_
		.amdhsa_group_segment_fixed_size 0
		.amdhsa_private_segment_fixed_size 0
		.amdhsa_kernarg_size 136
		.amdhsa_user_sgpr_count 6
		.amdhsa_user_sgpr_private_segment_buffer 1
		.amdhsa_user_sgpr_dispatch_ptr 0
		.amdhsa_user_sgpr_queue_ptr 0
		.amdhsa_user_sgpr_kernarg_segment_ptr 1
		.amdhsa_user_sgpr_dispatch_id 0
		.amdhsa_user_sgpr_flat_scratch_init 0
		.amdhsa_user_sgpr_kernarg_preload_length 0
		.amdhsa_user_sgpr_kernarg_preload_offset 0
		.amdhsa_user_sgpr_private_segment_size 0
		.amdhsa_uses_dynamic_stack 0
		.amdhsa_system_sgpr_private_segment_wavefront_offset 0
		.amdhsa_system_sgpr_workgroup_id_x 1
		.amdhsa_system_sgpr_workgroup_id_y 0
		.amdhsa_system_sgpr_workgroup_id_z 0
		.amdhsa_system_sgpr_workgroup_info 0
		.amdhsa_system_vgpr_workitem_id 0
		.amdhsa_next_free_vgpr 1
		.amdhsa_next_free_sgpr 0
		.amdhsa_accum_offset 4
		.amdhsa_reserve_vcc 0
		.amdhsa_reserve_flat_scratch 0
		.amdhsa_float_round_mode_32 0
		.amdhsa_float_round_mode_16_64 0
		.amdhsa_float_denorm_mode_32 3
		.amdhsa_float_denorm_mode_16_64 3
		.amdhsa_dx10_clamp 1
		.amdhsa_ieee_mode 1
		.amdhsa_fp16_overflow 0
		.amdhsa_tg_split 0
		.amdhsa_exception_fp_ieee_invalid_op 0
		.amdhsa_exception_fp_denorm_src 0
		.amdhsa_exception_fp_ieee_div_zero 0
		.amdhsa_exception_fp_ieee_overflow 0
		.amdhsa_exception_fp_ieee_underflow 0
		.amdhsa_exception_fp_ieee_inexact 0
		.amdhsa_exception_int_div_zero 0
	.end_amdhsa_kernel
	.section	.text._ZN7rocprim17ROCPRIM_400000_NS6detail17trampoline_kernelINS0_14default_configENS1_25partition_config_selectorILNS1_17partition_subalgoE1EsNS0_10empty_typeEbEEZZNS1_14partition_implILS5_1ELb0ES3_jN6thrust23THRUST_200600_302600_NS6detail15normal_iteratorINSA_10device_ptrIsEEEEPS6_NSA_18transform_iteratorI7is_evenIsESF_NSA_11use_defaultESK_EENS0_5tupleIJSF_NSA_16discard_iteratorISK_EEEEENSM_IJSG_SG_EEES6_PlJS6_EEE10hipError_tPvRmT3_T4_T5_T6_T7_T9_mT8_P12ihipStream_tbDpT10_ENKUlT_T0_E_clISt17integral_constantIbLb1EES1A_IbLb0EEEEDaS16_S17_EUlS16_E_NS1_11comp_targetILNS1_3genE0ELNS1_11target_archE4294967295ELNS1_3gpuE0ELNS1_3repE0EEENS1_30default_config_static_selectorELNS0_4arch9wavefront6targetE1EEEvT1_,"axG",@progbits,_ZN7rocprim17ROCPRIM_400000_NS6detail17trampoline_kernelINS0_14default_configENS1_25partition_config_selectorILNS1_17partition_subalgoE1EsNS0_10empty_typeEbEEZZNS1_14partition_implILS5_1ELb0ES3_jN6thrust23THRUST_200600_302600_NS6detail15normal_iteratorINSA_10device_ptrIsEEEEPS6_NSA_18transform_iteratorI7is_evenIsESF_NSA_11use_defaultESK_EENS0_5tupleIJSF_NSA_16discard_iteratorISK_EEEEENSM_IJSG_SG_EEES6_PlJS6_EEE10hipError_tPvRmT3_T4_T5_T6_T7_T9_mT8_P12ihipStream_tbDpT10_ENKUlT_T0_E_clISt17integral_constantIbLb1EES1A_IbLb0EEEEDaS16_S17_EUlS16_E_NS1_11comp_targetILNS1_3genE0ELNS1_11target_archE4294967295ELNS1_3gpuE0ELNS1_3repE0EEENS1_30default_config_static_selectorELNS0_4arch9wavefront6targetE1EEEvT1_,comdat
.Lfunc_end3403:
	.size	_ZN7rocprim17ROCPRIM_400000_NS6detail17trampoline_kernelINS0_14default_configENS1_25partition_config_selectorILNS1_17partition_subalgoE1EsNS0_10empty_typeEbEEZZNS1_14partition_implILS5_1ELb0ES3_jN6thrust23THRUST_200600_302600_NS6detail15normal_iteratorINSA_10device_ptrIsEEEEPS6_NSA_18transform_iteratorI7is_evenIsESF_NSA_11use_defaultESK_EENS0_5tupleIJSF_NSA_16discard_iteratorISK_EEEEENSM_IJSG_SG_EEES6_PlJS6_EEE10hipError_tPvRmT3_T4_T5_T6_T7_T9_mT8_P12ihipStream_tbDpT10_ENKUlT_T0_E_clISt17integral_constantIbLb1EES1A_IbLb0EEEEDaS16_S17_EUlS16_E_NS1_11comp_targetILNS1_3genE0ELNS1_11target_archE4294967295ELNS1_3gpuE0ELNS1_3repE0EEENS1_30default_config_static_selectorELNS0_4arch9wavefront6targetE1EEEvT1_, .Lfunc_end3403-_ZN7rocprim17ROCPRIM_400000_NS6detail17trampoline_kernelINS0_14default_configENS1_25partition_config_selectorILNS1_17partition_subalgoE1EsNS0_10empty_typeEbEEZZNS1_14partition_implILS5_1ELb0ES3_jN6thrust23THRUST_200600_302600_NS6detail15normal_iteratorINSA_10device_ptrIsEEEEPS6_NSA_18transform_iteratorI7is_evenIsESF_NSA_11use_defaultESK_EENS0_5tupleIJSF_NSA_16discard_iteratorISK_EEEEENSM_IJSG_SG_EEES6_PlJS6_EEE10hipError_tPvRmT3_T4_T5_T6_T7_T9_mT8_P12ihipStream_tbDpT10_ENKUlT_T0_E_clISt17integral_constantIbLb1EES1A_IbLb0EEEEDaS16_S17_EUlS16_E_NS1_11comp_targetILNS1_3genE0ELNS1_11target_archE4294967295ELNS1_3gpuE0ELNS1_3repE0EEENS1_30default_config_static_selectorELNS0_4arch9wavefront6targetE1EEEvT1_
                                        ; -- End function
	.section	.AMDGPU.csdata,"",@progbits
; Kernel info:
; codeLenInByte = 0
; NumSgprs: 4
; NumVgprs: 0
; NumAgprs: 0
; TotalNumVgprs: 0
; ScratchSize: 0
; MemoryBound: 0
; FloatMode: 240
; IeeeMode: 1
; LDSByteSize: 0 bytes/workgroup (compile time only)
; SGPRBlocks: 0
; VGPRBlocks: 0
; NumSGPRsForWavesPerEU: 4
; NumVGPRsForWavesPerEU: 1
; AccumOffset: 4
; Occupancy: 8
; WaveLimiterHint : 0
; COMPUTE_PGM_RSRC2:SCRATCH_EN: 0
; COMPUTE_PGM_RSRC2:USER_SGPR: 6
; COMPUTE_PGM_RSRC2:TRAP_HANDLER: 0
; COMPUTE_PGM_RSRC2:TGID_X_EN: 1
; COMPUTE_PGM_RSRC2:TGID_Y_EN: 0
; COMPUTE_PGM_RSRC2:TGID_Z_EN: 0
; COMPUTE_PGM_RSRC2:TIDIG_COMP_CNT: 0
; COMPUTE_PGM_RSRC3_GFX90A:ACCUM_OFFSET: 0
; COMPUTE_PGM_RSRC3_GFX90A:TG_SPLIT: 0
	.section	.text._ZN7rocprim17ROCPRIM_400000_NS6detail17trampoline_kernelINS0_14default_configENS1_25partition_config_selectorILNS1_17partition_subalgoE1EsNS0_10empty_typeEbEEZZNS1_14partition_implILS5_1ELb0ES3_jN6thrust23THRUST_200600_302600_NS6detail15normal_iteratorINSA_10device_ptrIsEEEEPS6_NSA_18transform_iteratorI7is_evenIsESF_NSA_11use_defaultESK_EENS0_5tupleIJSF_NSA_16discard_iteratorISK_EEEEENSM_IJSG_SG_EEES6_PlJS6_EEE10hipError_tPvRmT3_T4_T5_T6_T7_T9_mT8_P12ihipStream_tbDpT10_ENKUlT_T0_E_clISt17integral_constantIbLb1EES1A_IbLb0EEEEDaS16_S17_EUlS16_E_NS1_11comp_targetILNS1_3genE5ELNS1_11target_archE942ELNS1_3gpuE9ELNS1_3repE0EEENS1_30default_config_static_selectorELNS0_4arch9wavefront6targetE1EEEvT1_,"axG",@progbits,_ZN7rocprim17ROCPRIM_400000_NS6detail17trampoline_kernelINS0_14default_configENS1_25partition_config_selectorILNS1_17partition_subalgoE1EsNS0_10empty_typeEbEEZZNS1_14partition_implILS5_1ELb0ES3_jN6thrust23THRUST_200600_302600_NS6detail15normal_iteratorINSA_10device_ptrIsEEEEPS6_NSA_18transform_iteratorI7is_evenIsESF_NSA_11use_defaultESK_EENS0_5tupleIJSF_NSA_16discard_iteratorISK_EEEEENSM_IJSG_SG_EEES6_PlJS6_EEE10hipError_tPvRmT3_T4_T5_T6_T7_T9_mT8_P12ihipStream_tbDpT10_ENKUlT_T0_E_clISt17integral_constantIbLb1EES1A_IbLb0EEEEDaS16_S17_EUlS16_E_NS1_11comp_targetILNS1_3genE5ELNS1_11target_archE942ELNS1_3gpuE9ELNS1_3repE0EEENS1_30default_config_static_selectorELNS0_4arch9wavefront6targetE1EEEvT1_,comdat
	.protected	_ZN7rocprim17ROCPRIM_400000_NS6detail17trampoline_kernelINS0_14default_configENS1_25partition_config_selectorILNS1_17partition_subalgoE1EsNS0_10empty_typeEbEEZZNS1_14partition_implILS5_1ELb0ES3_jN6thrust23THRUST_200600_302600_NS6detail15normal_iteratorINSA_10device_ptrIsEEEEPS6_NSA_18transform_iteratorI7is_evenIsESF_NSA_11use_defaultESK_EENS0_5tupleIJSF_NSA_16discard_iteratorISK_EEEEENSM_IJSG_SG_EEES6_PlJS6_EEE10hipError_tPvRmT3_T4_T5_T6_T7_T9_mT8_P12ihipStream_tbDpT10_ENKUlT_T0_E_clISt17integral_constantIbLb1EES1A_IbLb0EEEEDaS16_S17_EUlS16_E_NS1_11comp_targetILNS1_3genE5ELNS1_11target_archE942ELNS1_3gpuE9ELNS1_3repE0EEENS1_30default_config_static_selectorELNS0_4arch9wavefront6targetE1EEEvT1_ ; -- Begin function _ZN7rocprim17ROCPRIM_400000_NS6detail17trampoline_kernelINS0_14default_configENS1_25partition_config_selectorILNS1_17partition_subalgoE1EsNS0_10empty_typeEbEEZZNS1_14partition_implILS5_1ELb0ES3_jN6thrust23THRUST_200600_302600_NS6detail15normal_iteratorINSA_10device_ptrIsEEEEPS6_NSA_18transform_iteratorI7is_evenIsESF_NSA_11use_defaultESK_EENS0_5tupleIJSF_NSA_16discard_iteratorISK_EEEEENSM_IJSG_SG_EEES6_PlJS6_EEE10hipError_tPvRmT3_T4_T5_T6_T7_T9_mT8_P12ihipStream_tbDpT10_ENKUlT_T0_E_clISt17integral_constantIbLb1EES1A_IbLb0EEEEDaS16_S17_EUlS16_E_NS1_11comp_targetILNS1_3genE5ELNS1_11target_archE942ELNS1_3gpuE9ELNS1_3repE0EEENS1_30default_config_static_selectorELNS0_4arch9wavefront6targetE1EEEvT1_
	.globl	_ZN7rocprim17ROCPRIM_400000_NS6detail17trampoline_kernelINS0_14default_configENS1_25partition_config_selectorILNS1_17partition_subalgoE1EsNS0_10empty_typeEbEEZZNS1_14partition_implILS5_1ELb0ES3_jN6thrust23THRUST_200600_302600_NS6detail15normal_iteratorINSA_10device_ptrIsEEEEPS6_NSA_18transform_iteratorI7is_evenIsESF_NSA_11use_defaultESK_EENS0_5tupleIJSF_NSA_16discard_iteratorISK_EEEEENSM_IJSG_SG_EEES6_PlJS6_EEE10hipError_tPvRmT3_T4_T5_T6_T7_T9_mT8_P12ihipStream_tbDpT10_ENKUlT_T0_E_clISt17integral_constantIbLb1EES1A_IbLb0EEEEDaS16_S17_EUlS16_E_NS1_11comp_targetILNS1_3genE5ELNS1_11target_archE942ELNS1_3gpuE9ELNS1_3repE0EEENS1_30default_config_static_selectorELNS0_4arch9wavefront6targetE1EEEvT1_
	.p2align	8
	.type	_ZN7rocprim17ROCPRIM_400000_NS6detail17trampoline_kernelINS0_14default_configENS1_25partition_config_selectorILNS1_17partition_subalgoE1EsNS0_10empty_typeEbEEZZNS1_14partition_implILS5_1ELb0ES3_jN6thrust23THRUST_200600_302600_NS6detail15normal_iteratorINSA_10device_ptrIsEEEEPS6_NSA_18transform_iteratorI7is_evenIsESF_NSA_11use_defaultESK_EENS0_5tupleIJSF_NSA_16discard_iteratorISK_EEEEENSM_IJSG_SG_EEES6_PlJS6_EEE10hipError_tPvRmT3_T4_T5_T6_T7_T9_mT8_P12ihipStream_tbDpT10_ENKUlT_T0_E_clISt17integral_constantIbLb1EES1A_IbLb0EEEEDaS16_S17_EUlS16_E_NS1_11comp_targetILNS1_3genE5ELNS1_11target_archE942ELNS1_3gpuE9ELNS1_3repE0EEENS1_30default_config_static_selectorELNS0_4arch9wavefront6targetE1EEEvT1_,@function
_ZN7rocprim17ROCPRIM_400000_NS6detail17trampoline_kernelINS0_14default_configENS1_25partition_config_selectorILNS1_17partition_subalgoE1EsNS0_10empty_typeEbEEZZNS1_14partition_implILS5_1ELb0ES3_jN6thrust23THRUST_200600_302600_NS6detail15normal_iteratorINSA_10device_ptrIsEEEEPS6_NSA_18transform_iteratorI7is_evenIsESF_NSA_11use_defaultESK_EENS0_5tupleIJSF_NSA_16discard_iteratorISK_EEEEENSM_IJSG_SG_EEES6_PlJS6_EEE10hipError_tPvRmT3_T4_T5_T6_T7_T9_mT8_P12ihipStream_tbDpT10_ENKUlT_T0_E_clISt17integral_constantIbLb1EES1A_IbLb0EEEEDaS16_S17_EUlS16_E_NS1_11comp_targetILNS1_3genE5ELNS1_11target_archE942ELNS1_3gpuE9ELNS1_3repE0EEENS1_30default_config_static_selectorELNS0_4arch9wavefront6targetE1EEEvT1_: ; @_ZN7rocprim17ROCPRIM_400000_NS6detail17trampoline_kernelINS0_14default_configENS1_25partition_config_selectorILNS1_17partition_subalgoE1EsNS0_10empty_typeEbEEZZNS1_14partition_implILS5_1ELb0ES3_jN6thrust23THRUST_200600_302600_NS6detail15normal_iteratorINSA_10device_ptrIsEEEEPS6_NSA_18transform_iteratorI7is_evenIsESF_NSA_11use_defaultESK_EENS0_5tupleIJSF_NSA_16discard_iteratorISK_EEEEENSM_IJSG_SG_EEES6_PlJS6_EEE10hipError_tPvRmT3_T4_T5_T6_T7_T9_mT8_P12ihipStream_tbDpT10_ENKUlT_T0_E_clISt17integral_constantIbLb1EES1A_IbLb0EEEEDaS16_S17_EUlS16_E_NS1_11comp_targetILNS1_3genE5ELNS1_11target_archE942ELNS1_3gpuE9ELNS1_3repE0EEENS1_30default_config_static_selectorELNS0_4arch9wavefront6targetE1EEEvT1_
; %bb.0:
	.section	.rodata,"a",@progbits
	.p2align	6, 0x0
	.amdhsa_kernel _ZN7rocprim17ROCPRIM_400000_NS6detail17trampoline_kernelINS0_14default_configENS1_25partition_config_selectorILNS1_17partition_subalgoE1EsNS0_10empty_typeEbEEZZNS1_14partition_implILS5_1ELb0ES3_jN6thrust23THRUST_200600_302600_NS6detail15normal_iteratorINSA_10device_ptrIsEEEEPS6_NSA_18transform_iteratorI7is_evenIsESF_NSA_11use_defaultESK_EENS0_5tupleIJSF_NSA_16discard_iteratorISK_EEEEENSM_IJSG_SG_EEES6_PlJS6_EEE10hipError_tPvRmT3_T4_T5_T6_T7_T9_mT8_P12ihipStream_tbDpT10_ENKUlT_T0_E_clISt17integral_constantIbLb1EES1A_IbLb0EEEEDaS16_S17_EUlS16_E_NS1_11comp_targetILNS1_3genE5ELNS1_11target_archE942ELNS1_3gpuE9ELNS1_3repE0EEENS1_30default_config_static_selectorELNS0_4arch9wavefront6targetE1EEEvT1_
		.amdhsa_group_segment_fixed_size 0
		.amdhsa_private_segment_fixed_size 0
		.amdhsa_kernarg_size 136
		.amdhsa_user_sgpr_count 6
		.amdhsa_user_sgpr_private_segment_buffer 1
		.amdhsa_user_sgpr_dispatch_ptr 0
		.amdhsa_user_sgpr_queue_ptr 0
		.amdhsa_user_sgpr_kernarg_segment_ptr 1
		.amdhsa_user_sgpr_dispatch_id 0
		.amdhsa_user_sgpr_flat_scratch_init 0
		.amdhsa_user_sgpr_kernarg_preload_length 0
		.amdhsa_user_sgpr_kernarg_preload_offset 0
		.amdhsa_user_sgpr_private_segment_size 0
		.amdhsa_uses_dynamic_stack 0
		.amdhsa_system_sgpr_private_segment_wavefront_offset 0
		.amdhsa_system_sgpr_workgroup_id_x 1
		.amdhsa_system_sgpr_workgroup_id_y 0
		.amdhsa_system_sgpr_workgroup_id_z 0
		.amdhsa_system_sgpr_workgroup_info 0
		.amdhsa_system_vgpr_workitem_id 0
		.amdhsa_next_free_vgpr 1
		.amdhsa_next_free_sgpr 0
		.amdhsa_accum_offset 4
		.amdhsa_reserve_vcc 0
		.amdhsa_reserve_flat_scratch 0
		.amdhsa_float_round_mode_32 0
		.amdhsa_float_round_mode_16_64 0
		.amdhsa_float_denorm_mode_32 3
		.amdhsa_float_denorm_mode_16_64 3
		.amdhsa_dx10_clamp 1
		.amdhsa_ieee_mode 1
		.amdhsa_fp16_overflow 0
		.amdhsa_tg_split 0
		.amdhsa_exception_fp_ieee_invalid_op 0
		.amdhsa_exception_fp_denorm_src 0
		.amdhsa_exception_fp_ieee_div_zero 0
		.amdhsa_exception_fp_ieee_overflow 0
		.amdhsa_exception_fp_ieee_underflow 0
		.amdhsa_exception_fp_ieee_inexact 0
		.amdhsa_exception_int_div_zero 0
	.end_amdhsa_kernel
	.section	.text._ZN7rocprim17ROCPRIM_400000_NS6detail17trampoline_kernelINS0_14default_configENS1_25partition_config_selectorILNS1_17partition_subalgoE1EsNS0_10empty_typeEbEEZZNS1_14partition_implILS5_1ELb0ES3_jN6thrust23THRUST_200600_302600_NS6detail15normal_iteratorINSA_10device_ptrIsEEEEPS6_NSA_18transform_iteratorI7is_evenIsESF_NSA_11use_defaultESK_EENS0_5tupleIJSF_NSA_16discard_iteratorISK_EEEEENSM_IJSG_SG_EEES6_PlJS6_EEE10hipError_tPvRmT3_T4_T5_T6_T7_T9_mT8_P12ihipStream_tbDpT10_ENKUlT_T0_E_clISt17integral_constantIbLb1EES1A_IbLb0EEEEDaS16_S17_EUlS16_E_NS1_11comp_targetILNS1_3genE5ELNS1_11target_archE942ELNS1_3gpuE9ELNS1_3repE0EEENS1_30default_config_static_selectorELNS0_4arch9wavefront6targetE1EEEvT1_,"axG",@progbits,_ZN7rocprim17ROCPRIM_400000_NS6detail17trampoline_kernelINS0_14default_configENS1_25partition_config_selectorILNS1_17partition_subalgoE1EsNS0_10empty_typeEbEEZZNS1_14partition_implILS5_1ELb0ES3_jN6thrust23THRUST_200600_302600_NS6detail15normal_iteratorINSA_10device_ptrIsEEEEPS6_NSA_18transform_iteratorI7is_evenIsESF_NSA_11use_defaultESK_EENS0_5tupleIJSF_NSA_16discard_iteratorISK_EEEEENSM_IJSG_SG_EEES6_PlJS6_EEE10hipError_tPvRmT3_T4_T5_T6_T7_T9_mT8_P12ihipStream_tbDpT10_ENKUlT_T0_E_clISt17integral_constantIbLb1EES1A_IbLb0EEEEDaS16_S17_EUlS16_E_NS1_11comp_targetILNS1_3genE5ELNS1_11target_archE942ELNS1_3gpuE9ELNS1_3repE0EEENS1_30default_config_static_selectorELNS0_4arch9wavefront6targetE1EEEvT1_,comdat
.Lfunc_end3404:
	.size	_ZN7rocprim17ROCPRIM_400000_NS6detail17trampoline_kernelINS0_14default_configENS1_25partition_config_selectorILNS1_17partition_subalgoE1EsNS0_10empty_typeEbEEZZNS1_14partition_implILS5_1ELb0ES3_jN6thrust23THRUST_200600_302600_NS6detail15normal_iteratorINSA_10device_ptrIsEEEEPS6_NSA_18transform_iteratorI7is_evenIsESF_NSA_11use_defaultESK_EENS0_5tupleIJSF_NSA_16discard_iteratorISK_EEEEENSM_IJSG_SG_EEES6_PlJS6_EEE10hipError_tPvRmT3_T4_T5_T6_T7_T9_mT8_P12ihipStream_tbDpT10_ENKUlT_T0_E_clISt17integral_constantIbLb1EES1A_IbLb0EEEEDaS16_S17_EUlS16_E_NS1_11comp_targetILNS1_3genE5ELNS1_11target_archE942ELNS1_3gpuE9ELNS1_3repE0EEENS1_30default_config_static_selectorELNS0_4arch9wavefront6targetE1EEEvT1_, .Lfunc_end3404-_ZN7rocprim17ROCPRIM_400000_NS6detail17trampoline_kernelINS0_14default_configENS1_25partition_config_selectorILNS1_17partition_subalgoE1EsNS0_10empty_typeEbEEZZNS1_14partition_implILS5_1ELb0ES3_jN6thrust23THRUST_200600_302600_NS6detail15normal_iteratorINSA_10device_ptrIsEEEEPS6_NSA_18transform_iteratorI7is_evenIsESF_NSA_11use_defaultESK_EENS0_5tupleIJSF_NSA_16discard_iteratorISK_EEEEENSM_IJSG_SG_EEES6_PlJS6_EEE10hipError_tPvRmT3_T4_T5_T6_T7_T9_mT8_P12ihipStream_tbDpT10_ENKUlT_T0_E_clISt17integral_constantIbLb1EES1A_IbLb0EEEEDaS16_S17_EUlS16_E_NS1_11comp_targetILNS1_3genE5ELNS1_11target_archE942ELNS1_3gpuE9ELNS1_3repE0EEENS1_30default_config_static_selectorELNS0_4arch9wavefront6targetE1EEEvT1_
                                        ; -- End function
	.section	.AMDGPU.csdata,"",@progbits
; Kernel info:
; codeLenInByte = 0
; NumSgprs: 4
; NumVgprs: 0
; NumAgprs: 0
; TotalNumVgprs: 0
; ScratchSize: 0
; MemoryBound: 0
; FloatMode: 240
; IeeeMode: 1
; LDSByteSize: 0 bytes/workgroup (compile time only)
; SGPRBlocks: 0
; VGPRBlocks: 0
; NumSGPRsForWavesPerEU: 4
; NumVGPRsForWavesPerEU: 1
; AccumOffset: 4
; Occupancy: 8
; WaveLimiterHint : 0
; COMPUTE_PGM_RSRC2:SCRATCH_EN: 0
; COMPUTE_PGM_RSRC2:USER_SGPR: 6
; COMPUTE_PGM_RSRC2:TRAP_HANDLER: 0
; COMPUTE_PGM_RSRC2:TGID_X_EN: 1
; COMPUTE_PGM_RSRC2:TGID_Y_EN: 0
; COMPUTE_PGM_RSRC2:TGID_Z_EN: 0
; COMPUTE_PGM_RSRC2:TIDIG_COMP_CNT: 0
; COMPUTE_PGM_RSRC3_GFX90A:ACCUM_OFFSET: 0
; COMPUTE_PGM_RSRC3_GFX90A:TG_SPLIT: 0
	.section	.text._ZN7rocprim17ROCPRIM_400000_NS6detail17trampoline_kernelINS0_14default_configENS1_25partition_config_selectorILNS1_17partition_subalgoE1EsNS0_10empty_typeEbEEZZNS1_14partition_implILS5_1ELb0ES3_jN6thrust23THRUST_200600_302600_NS6detail15normal_iteratorINSA_10device_ptrIsEEEEPS6_NSA_18transform_iteratorI7is_evenIsESF_NSA_11use_defaultESK_EENS0_5tupleIJSF_NSA_16discard_iteratorISK_EEEEENSM_IJSG_SG_EEES6_PlJS6_EEE10hipError_tPvRmT3_T4_T5_T6_T7_T9_mT8_P12ihipStream_tbDpT10_ENKUlT_T0_E_clISt17integral_constantIbLb1EES1A_IbLb0EEEEDaS16_S17_EUlS16_E_NS1_11comp_targetILNS1_3genE4ELNS1_11target_archE910ELNS1_3gpuE8ELNS1_3repE0EEENS1_30default_config_static_selectorELNS0_4arch9wavefront6targetE1EEEvT1_,"axG",@progbits,_ZN7rocprim17ROCPRIM_400000_NS6detail17trampoline_kernelINS0_14default_configENS1_25partition_config_selectorILNS1_17partition_subalgoE1EsNS0_10empty_typeEbEEZZNS1_14partition_implILS5_1ELb0ES3_jN6thrust23THRUST_200600_302600_NS6detail15normal_iteratorINSA_10device_ptrIsEEEEPS6_NSA_18transform_iteratorI7is_evenIsESF_NSA_11use_defaultESK_EENS0_5tupleIJSF_NSA_16discard_iteratorISK_EEEEENSM_IJSG_SG_EEES6_PlJS6_EEE10hipError_tPvRmT3_T4_T5_T6_T7_T9_mT8_P12ihipStream_tbDpT10_ENKUlT_T0_E_clISt17integral_constantIbLb1EES1A_IbLb0EEEEDaS16_S17_EUlS16_E_NS1_11comp_targetILNS1_3genE4ELNS1_11target_archE910ELNS1_3gpuE8ELNS1_3repE0EEENS1_30default_config_static_selectorELNS0_4arch9wavefront6targetE1EEEvT1_,comdat
	.protected	_ZN7rocprim17ROCPRIM_400000_NS6detail17trampoline_kernelINS0_14default_configENS1_25partition_config_selectorILNS1_17partition_subalgoE1EsNS0_10empty_typeEbEEZZNS1_14partition_implILS5_1ELb0ES3_jN6thrust23THRUST_200600_302600_NS6detail15normal_iteratorINSA_10device_ptrIsEEEEPS6_NSA_18transform_iteratorI7is_evenIsESF_NSA_11use_defaultESK_EENS0_5tupleIJSF_NSA_16discard_iteratorISK_EEEEENSM_IJSG_SG_EEES6_PlJS6_EEE10hipError_tPvRmT3_T4_T5_T6_T7_T9_mT8_P12ihipStream_tbDpT10_ENKUlT_T0_E_clISt17integral_constantIbLb1EES1A_IbLb0EEEEDaS16_S17_EUlS16_E_NS1_11comp_targetILNS1_3genE4ELNS1_11target_archE910ELNS1_3gpuE8ELNS1_3repE0EEENS1_30default_config_static_selectorELNS0_4arch9wavefront6targetE1EEEvT1_ ; -- Begin function _ZN7rocprim17ROCPRIM_400000_NS6detail17trampoline_kernelINS0_14default_configENS1_25partition_config_selectorILNS1_17partition_subalgoE1EsNS0_10empty_typeEbEEZZNS1_14partition_implILS5_1ELb0ES3_jN6thrust23THRUST_200600_302600_NS6detail15normal_iteratorINSA_10device_ptrIsEEEEPS6_NSA_18transform_iteratorI7is_evenIsESF_NSA_11use_defaultESK_EENS0_5tupleIJSF_NSA_16discard_iteratorISK_EEEEENSM_IJSG_SG_EEES6_PlJS6_EEE10hipError_tPvRmT3_T4_T5_T6_T7_T9_mT8_P12ihipStream_tbDpT10_ENKUlT_T0_E_clISt17integral_constantIbLb1EES1A_IbLb0EEEEDaS16_S17_EUlS16_E_NS1_11comp_targetILNS1_3genE4ELNS1_11target_archE910ELNS1_3gpuE8ELNS1_3repE0EEENS1_30default_config_static_selectorELNS0_4arch9wavefront6targetE1EEEvT1_
	.globl	_ZN7rocprim17ROCPRIM_400000_NS6detail17trampoline_kernelINS0_14default_configENS1_25partition_config_selectorILNS1_17partition_subalgoE1EsNS0_10empty_typeEbEEZZNS1_14partition_implILS5_1ELb0ES3_jN6thrust23THRUST_200600_302600_NS6detail15normal_iteratorINSA_10device_ptrIsEEEEPS6_NSA_18transform_iteratorI7is_evenIsESF_NSA_11use_defaultESK_EENS0_5tupleIJSF_NSA_16discard_iteratorISK_EEEEENSM_IJSG_SG_EEES6_PlJS6_EEE10hipError_tPvRmT3_T4_T5_T6_T7_T9_mT8_P12ihipStream_tbDpT10_ENKUlT_T0_E_clISt17integral_constantIbLb1EES1A_IbLb0EEEEDaS16_S17_EUlS16_E_NS1_11comp_targetILNS1_3genE4ELNS1_11target_archE910ELNS1_3gpuE8ELNS1_3repE0EEENS1_30default_config_static_selectorELNS0_4arch9wavefront6targetE1EEEvT1_
	.p2align	8
	.type	_ZN7rocprim17ROCPRIM_400000_NS6detail17trampoline_kernelINS0_14default_configENS1_25partition_config_selectorILNS1_17partition_subalgoE1EsNS0_10empty_typeEbEEZZNS1_14partition_implILS5_1ELb0ES3_jN6thrust23THRUST_200600_302600_NS6detail15normal_iteratorINSA_10device_ptrIsEEEEPS6_NSA_18transform_iteratorI7is_evenIsESF_NSA_11use_defaultESK_EENS0_5tupleIJSF_NSA_16discard_iteratorISK_EEEEENSM_IJSG_SG_EEES6_PlJS6_EEE10hipError_tPvRmT3_T4_T5_T6_T7_T9_mT8_P12ihipStream_tbDpT10_ENKUlT_T0_E_clISt17integral_constantIbLb1EES1A_IbLb0EEEEDaS16_S17_EUlS16_E_NS1_11comp_targetILNS1_3genE4ELNS1_11target_archE910ELNS1_3gpuE8ELNS1_3repE0EEENS1_30default_config_static_selectorELNS0_4arch9wavefront6targetE1EEEvT1_,@function
_ZN7rocprim17ROCPRIM_400000_NS6detail17trampoline_kernelINS0_14default_configENS1_25partition_config_selectorILNS1_17partition_subalgoE1EsNS0_10empty_typeEbEEZZNS1_14partition_implILS5_1ELb0ES3_jN6thrust23THRUST_200600_302600_NS6detail15normal_iteratorINSA_10device_ptrIsEEEEPS6_NSA_18transform_iteratorI7is_evenIsESF_NSA_11use_defaultESK_EENS0_5tupleIJSF_NSA_16discard_iteratorISK_EEEEENSM_IJSG_SG_EEES6_PlJS6_EEE10hipError_tPvRmT3_T4_T5_T6_T7_T9_mT8_P12ihipStream_tbDpT10_ENKUlT_T0_E_clISt17integral_constantIbLb1EES1A_IbLb0EEEEDaS16_S17_EUlS16_E_NS1_11comp_targetILNS1_3genE4ELNS1_11target_archE910ELNS1_3gpuE8ELNS1_3repE0EEENS1_30default_config_static_selectorELNS0_4arch9wavefront6targetE1EEEvT1_: ; @_ZN7rocprim17ROCPRIM_400000_NS6detail17trampoline_kernelINS0_14default_configENS1_25partition_config_selectorILNS1_17partition_subalgoE1EsNS0_10empty_typeEbEEZZNS1_14partition_implILS5_1ELb0ES3_jN6thrust23THRUST_200600_302600_NS6detail15normal_iteratorINSA_10device_ptrIsEEEEPS6_NSA_18transform_iteratorI7is_evenIsESF_NSA_11use_defaultESK_EENS0_5tupleIJSF_NSA_16discard_iteratorISK_EEEEENSM_IJSG_SG_EEES6_PlJS6_EEE10hipError_tPvRmT3_T4_T5_T6_T7_T9_mT8_P12ihipStream_tbDpT10_ENKUlT_T0_E_clISt17integral_constantIbLb1EES1A_IbLb0EEEEDaS16_S17_EUlS16_E_NS1_11comp_targetILNS1_3genE4ELNS1_11target_archE910ELNS1_3gpuE8ELNS1_3repE0EEENS1_30default_config_static_selectorELNS0_4arch9wavefront6targetE1EEEvT1_
; %bb.0:
	s_load_dwordx2 s[0:1], s[4:5], 0x68
	s_load_dwordx4 s[12:15], s[4:5], 0x8
	s_load_dwordx2 s[2:3], s[4:5], 0x20
	s_load_dwordx4 s[20:23], s[4:5], 0x58
	s_mul_i32 s10, s6, 0x1400
	s_waitcnt lgkmcnt(0)
	v_mov_b32_e32 v3, s1
	s_load_dword s1, s[4:5], 0x80
	s_lshl_b64 s[8:9], s[14:15], 1
	s_add_u32 s7, s12, s8
	s_addc_u32 s12, s13, s9
	v_mov_b32_e32 v2, s0
	s_waitcnt lgkmcnt(0)
	s_add_i32 s13, s1, -1
	s_mulk_i32 s1, 0x1400
	s_add_i32 s11, s1, s14
	s_sub_i32 s33, s0, s11
	s_addk_i32 s33, 0x1400
	s_add_u32 s0, s14, s1
	s_addc_u32 s1, s15, 0
	s_cmp_eq_u32 s6, s13
	s_load_dwordx2 s[22:23], s[22:23], 0x0
	s_cselect_b64 s[24:25], -1, 0
	s_cmp_lg_u32 s6, s13
	s_mov_b32 s11, 0
	v_cmp_lt_u64_e32 vcc, s[0:1], v[2:3]
	s_cselect_b64 s[0:1], -1, 0
	s_or_b64 s[26:27], s[0:1], vcc
	s_lshl_b64 s[10:11], s[10:11], 1
	s_add_u32 s7, s7, s10
	s_addc_u32 s14, s12, s11
	s_mov_b64 s[0:1], -1
	s_and_b64 vcc, exec, s[26:27]
	v_lshlrev_b32_e32 v1, 1, v0
	s_cbranch_vccz .LBB3405_2
; %bb.1:
	v_mov_b32_e32 v3, s14
	v_add_co_u32_e32 v2, vcc, s7, v1
	v_addc_co_u32_e32 v3, vcc, 0, v3, vcc
	v_add_co_u32_e32 v4, vcc, 0x1000, v2
	v_addc_co_u32_e32 v5, vcc, 0, v3, vcc
	flat_load_ushort v6, v[2:3]
	flat_load_ushort v7, v[2:3] offset:512
	flat_load_ushort v8, v[2:3] offset:1024
	;; [unrolled: 1-line block ×7, first 2 shown]
	v_add_co_u32_e32 v2, vcc, 0x2000, v2
	v_addc_co_u32_e32 v3, vcc, 0, v3, vcc
	flat_load_ushort v14, v[4:5]
	flat_load_ushort v15, v[4:5] offset:512
	flat_load_ushort v16, v[4:5] offset:1024
	;; [unrolled: 1-line block ×7, first 2 shown]
	s_nop 0
	flat_load_ushort v4, v[2:3]
	flat_load_ushort v5, v[2:3] offset:512
	flat_load_ushort v22, v[2:3] offset:1024
	;; [unrolled: 1-line block ×3, first 2 shown]
	s_mov_b64 s[0:1], 0
	s_waitcnt vmcnt(0) lgkmcnt(0)
	ds_write_b16 v1, v6
	ds_write_b16 v1, v7 offset:512
	ds_write_b16 v1, v8 offset:1024
	;; [unrolled: 1-line block ×19, first 2 shown]
	s_waitcnt lgkmcnt(0)
	s_barrier
.LBB3405_2:
	s_andn2_b64 vcc, exec, s[0:1]
	v_cmp_gt_u32_e64 s[0:1], s33, v0
	s_cbranch_vccnz .LBB3405_44
; %bb.3:
                                        ; implicit-def: $vgpr2
	s_and_saveexec_b64 s[12:13], s[0:1]
	s_cbranch_execz .LBB3405_5
; %bb.4:
	v_mov_b32_e32 v3, s14
	v_add_co_u32_e32 v2, vcc, s7, v1
	v_addc_co_u32_e32 v3, vcc, 0, v3, vcc
	flat_load_ushort v2, v[2:3]
.LBB3405_5:
	s_or_b64 exec, exec, s[12:13]
	v_or_b32_e32 v3, 0x100, v0
	v_cmp_gt_u32_e32 vcc, s33, v3
                                        ; implicit-def: $vgpr3
	s_and_saveexec_b64 s[0:1], vcc
	s_cbranch_execz .LBB3405_7
; %bb.6:
	v_mov_b32_e32 v3, s14
	v_add_co_u32_e32 v4, vcc, s7, v1
	v_addc_co_u32_e32 v5, vcc, 0, v3, vcc
	flat_load_ushort v3, v[4:5] offset:512
.LBB3405_7:
	s_or_b64 exec, exec, s[0:1]
	v_or_b32_e32 v4, 0x200, v0
	v_cmp_gt_u32_e32 vcc, s33, v4
                                        ; implicit-def: $vgpr4
	s_and_saveexec_b64 s[0:1], vcc
	s_cbranch_execz .LBB3405_9
; %bb.8:
	v_mov_b32_e32 v5, s14
	v_add_co_u32_e32 v4, vcc, s7, v1
	v_addc_co_u32_e32 v5, vcc, 0, v5, vcc
	flat_load_ushort v4, v[4:5] offset:1024
.LBB3405_9:
	s_or_b64 exec, exec, s[0:1]
	v_or_b32_e32 v5, 0x300, v0
	v_cmp_gt_u32_e32 vcc, s33, v5
                                        ; implicit-def: $vgpr5
	s_and_saveexec_b64 s[0:1], vcc
	s_cbranch_execz .LBB3405_11
; %bb.10:
	v_mov_b32_e32 v5, s14
	v_add_co_u32_e32 v6, vcc, s7, v1
	v_addc_co_u32_e32 v7, vcc, 0, v5, vcc
	flat_load_ushort v5, v[6:7] offset:1536
.LBB3405_11:
	s_or_b64 exec, exec, s[0:1]
	v_or_b32_e32 v6, 0x400, v0
	v_cmp_gt_u32_e32 vcc, s33, v6
                                        ; implicit-def: $vgpr6
	s_and_saveexec_b64 s[0:1], vcc
	s_cbranch_execz .LBB3405_13
; %bb.12:
	v_mov_b32_e32 v7, s14
	v_add_co_u32_e32 v6, vcc, s7, v1
	v_addc_co_u32_e32 v7, vcc, 0, v7, vcc
	flat_load_ushort v6, v[6:7] offset:2048
.LBB3405_13:
	s_or_b64 exec, exec, s[0:1]
	v_or_b32_e32 v7, 0x500, v0
	v_cmp_gt_u32_e32 vcc, s33, v7
                                        ; implicit-def: $vgpr7
	s_and_saveexec_b64 s[0:1], vcc
	s_cbranch_execz .LBB3405_15
; %bb.14:
	v_mov_b32_e32 v7, s14
	v_add_co_u32_e32 v8, vcc, s7, v1
	v_addc_co_u32_e32 v9, vcc, 0, v7, vcc
	flat_load_ushort v7, v[8:9] offset:2560
.LBB3405_15:
	s_or_b64 exec, exec, s[0:1]
	v_or_b32_e32 v8, 0x600, v0
	v_cmp_gt_u32_e32 vcc, s33, v8
                                        ; implicit-def: $vgpr8
	s_and_saveexec_b64 s[0:1], vcc
	s_cbranch_execz .LBB3405_17
; %bb.16:
	v_mov_b32_e32 v9, s14
	v_add_co_u32_e32 v8, vcc, s7, v1
	v_addc_co_u32_e32 v9, vcc, 0, v9, vcc
	flat_load_ushort v8, v[8:9] offset:3072
.LBB3405_17:
	s_or_b64 exec, exec, s[0:1]
	v_or_b32_e32 v9, 0x700, v0
	v_cmp_gt_u32_e32 vcc, s33, v9
                                        ; implicit-def: $vgpr9
	s_and_saveexec_b64 s[0:1], vcc
	s_cbranch_execz .LBB3405_19
; %bb.18:
	v_mov_b32_e32 v9, s14
	v_add_co_u32_e32 v10, vcc, s7, v1
	v_addc_co_u32_e32 v11, vcc, 0, v9, vcc
	flat_load_ushort v9, v[10:11] offset:3584
.LBB3405_19:
	s_or_b64 exec, exec, s[0:1]
	v_or_b32_e32 v11, 0x800, v0
	v_cmp_gt_u32_e32 vcc, s33, v11
                                        ; implicit-def: $vgpr10
	s_and_saveexec_b64 s[0:1], vcc
	s_cbranch_execz .LBB3405_21
; %bb.20:
	v_lshlrev_b32_e32 v10, 1, v11
	v_mov_b32_e32 v11, s14
	v_add_co_u32_e32 v10, vcc, s7, v10
	v_addc_co_u32_e32 v11, vcc, 0, v11, vcc
	flat_load_ushort v10, v[10:11]
.LBB3405_21:
	s_or_b64 exec, exec, s[0:1]
	v_or_b32_e32 v12, 0x900, v0
	v_cmp_gt_u32_e32 vcc, s33, v12
                                        ; implicit-def: $vgpr11
	s_and_saveexec_b64 s[0:1], vcc
	s_cbranch_execz .LBB3405_23
; %bb.22:
	v_lshlrev_b32_e32 v11, 1, v12
	v_mov_b32_e32 v13, s14
	v_add_co_u32_e32 v12, vcc, s7, v11
	v_addc_co_u32_e32 v13, vcc, 0, v13, vcc
	flat_load_ushort v11, v[12:13]
.LBB3405_23:
	s_or_b64 exec, exec, s[0:1]
	v_or_b32_e32 v13, 0xa00, v0
	v_cmp_gt_u32_e32 vcc, s33, v13
                                        ; implicit-def: $vgpr12
	s_and_saveexec_b64 s[0:1], vcc
	s_cbranch_execz .LBB3405_25
; %bb.24:
	v_lshlrev_b32_e32 v12, 1, v13
	v_mov_b32_e32 v13, s14
	v_add_co_u32_e32 v12, vcc, s7, v12
	v_addc_co_u32_e32 v13, vcc, 0, v13, vcc
	flat_load_ushort v12, v[12:13]
.LBB3405_25:
	s_or_b64 exec, exec, s[0:1]
	v_or_b32_e32 v14, 0xb00, v0
	v_cmp_gt_u32_e32 vcc, s33, v14
                                        ; implicit-def: $vgpr13
	s_and_saveexec_b64 s[0:1], vcc
	s_cbranch_execz .LBB3405_27
; %bb.26:
	v_lshlrev_b32_e32 v13, 1, v14
	v_mov_b32_e32 v15, s14
	v_add_co_u32_e32 v14, vcc, s7, v13
	v_addc_co_u32_e32 v15, vcc, 0, v15, vcc
	flat_load_ushort v13, v[14:15]
.LBB3405_27:
	s_or_b64 exec, exec, s[0:1]
	v_or_b32_e32 v15, 0xc00, v0
	v_cmp_gt_u32_e32 vcc, s33, v15
                                        ; implicit-def: $vgpr14
	s_and_saveexec_b64 s[0:1], vcc
	s_cbranch_execz .LBB3405_29
; %bb.28:
	v_lshlrev_b32_e32 v14, 1, v15
	v_mov_b32_e32 v15, s14
	v_add_co_u32_e32 v14, vcc, s7, v14
	v_addc_co_u32_e32 v15, vcc, 0, v15, vcc
	flat_load_ushort v14, v[14:15]
.LBB3405_29:
	s_or_b64 exec, exec, s[0:1]
	v_or_b32_e32 v16, 0xd00, v0
	v_cmp_gt_u32_e32 vcc, s33, v16
                                        ; implicit-def: $vgpr15
	s_and_saveexec_b64 s[0:1], vcc
	s_cbranch_execz .LBB3405_31
; %bb.30:
	v_lshlrev_b32_e32 v15, 1, v16
	v_mov_b32_e32 v17, s14
	v_add_co_u32_e32 v16, vcc, s7, v15
	v_addc_co_u32_e32 v17, vcc, 0, v17, vcc
	flat_load_ushort v15, v[16:17]
.LBB3405_31:
	s_or_b64 exec, exec, s[0:1]
	v_or_b32_e32 v17, 0xe00, v0
	v_cmp_gt_u32_e32 vcc, s33, v17
                                        ; implicit-def: $vgpr16
	s_and_saveexec_b64 s[0:1], vcc
	s_cbranch_execz .LBB3405_33
; %bb.32:
	v_lshlrev_b32_e32 v16, 1, v17
	v_mov_b32_e32 v17, s14
	v_add_co_u32_e32 v16, vcc, s7, v16
	v_addc_co_u32_e32 v17, vcc, 0, v17, vcc
	flat_load_ushort v16, v[16:17]
.LBB3405_33:
	s_or_b64 exec, exec, s[0:1]
	v_or_b32_e32 v18, 0xf00, v0
	v_cmp_gt_u32_e32 vcc, s33, v18
                                        ; implicit-def: $vgpr17
	s_and_saveexec_b64 s[0:1], vcc
	s_cbranch_execz .LBB3405_35
; %bb.34:
	v_lshlrev_b32_e32 v17, 1, v18
	v_mov_b32_e32 v19, s14
	v_add_co_u32_e32 v18, vcc, s7, v17
	v_addc_co_u32_e32 v19, vcc, 0, v19, vcc
	flat_load_ushort v17, v[18:19]
.LBB3405_35:
	s_or_b64 exec, exec, s[0:1]
	v_or_b32_e32 v19, 0x1000, v0
	v_cmp_gt_u32_e32 vcc, s33, v19
                                        ; implicit-def: $vgpr18
	s_and_saveexec_b64 s[0:1], vcc
	s_cbranch_execz .LBB3405_37
; %bb.36:
	v_lshlrev_b32_e32 v18, 1, v19
	v_mov_b32_e32 v19, s14
	v_add_co_u32_e32 v18, vcc, s7, v18
	v_addc_co_u32_e32 v19, vcc, 0, v19, vcc
	flat_load_ushort v18, v[18:19]
.LBB3405_37:
	s_or_b64 exec, exec, s[0:1]
	v_or_b32_e32 v20, 0x1100, v0
	v_cmp_gt_u32_e32 vcc, s33, v20
                                        ; implicit-def: $vgpr19
	s_and_saveexec_b64 s[0:1], vcc
	s_cbranch_execz .LBB3405_39
; %bb.38:
	v_lshlrev_b32_e32 v19, 1, v20
	v_mov_b32_e32 v21, s14
	v_add_co_u32_e32 v20, vcc, s7, v19
	v_addc_co_u32_e32 v21, vcc, 0, v21, vcc
	flat_load_ushort v19, v[20:21]
.LBB3405_39:
	s_or_b64 exec, exec, s[0:1]
	v_or_b32_e32 v21, 0x1200, v0
	v_cmp_gt_u32_e32 vcc, s33, v21
                                        ; implicit-def: $vgpr20
	s_and_saveexec_b64 s[0:1], vcc
	s_cbranch_execz .LBB3405_41
; %bb.40:
	v_lshlrev_b32_e32 v20, 1, v21
	v_mov_b32_e32 v21, s14
	v_add_co_u32_e32 v20, vcc, s7, v20
	v_addc_co_u32_e32 v21, vcc, 0, v21, vcc
	flat_load_ushort v20, v[20:21]
.LBB3405_41:
	s_or_b64 exec, exec, s[0:1]
	v_or_b32_e32 v22, 0x1300, v0
	v_cmp_gt_u32_e32 vcc, s33, v22
                                        ; implicit-def: $vgpr21
	s_and_saveexec_b64 s[0:1], vcc
	s_cbranch_execz .LBB3405_43
; %bb.42:
	v_lshlrev_b32_e32 v21, 1, v22
	v_mov_b32_e32 v23, s14
	v_add_co_u32_e32 v22, vcc, s7, v21
	v_addc_co_u32_e32 v23, vcc, 0, v23, vcc
	flat_load_ushort v21, v[22:23]
.LBB3405_43:
	s_or_b64 exec, exec, s[0:1]
	s_waitcnt vmcnt(0) lgkmcnt(0)
	ds_write_b16 v1, v2
	ds_write_b16 v1, v3 offset:512
	ds_write_b16 v1, v4 offset:1024
	;; [unrolled: 1-line block ×19, first 2 shown]
	s_waitcnt lgkmcnt(0)
	s_barrier
.LBB3405_44:
	v_mul_u32_u24_e32 v26, 20, v0
	v_lshlrev_b32_e32 v6, 1, v26
	s_waitcnt lgkmcnt(0)
	ds_read_b64 v[10:11], v6 offset:32
	ds_read2_b64 v[2:5], v6 offset0:2 offset1:3
	ds_read2_b64 v[6:9], v6 offset1:1
	s_add_u32 s0, s2, s8
	s_addc_u32 s1, s3, s9
	s_add_u32 s0, s0, s10
	s_addc_u32 s1, s1, s11
	s_mov_b64 s[2:3], -1
	s_and_b64 vcc, exec, s[26:27]
	s_waitcnt lgkmcnt(0)
	s_barrier
	s_cbranch_vccz .LBB3405_46
; %bb.45:
	v_mov_b32_e32 v12, s1
	v_add_co_u32_e32 v14, vcc, s0, v1
	s_movk_i32 s2, 0x1000
	v_addc_co_u32_e32 v15, vcc, 0, v12, vcc
	v_add_co_u32_e32 v12, vcc, s2, v14
	s_movk_i32 s3, 0x2000
	v_addc_co_u32_e32 v13, vcc, 0, v15, vcc
	global_load_ubyte v16, v1, s[0:1]
	global_load_ubyte v17, v1, s[0:1] offset:512
	global_load_ubyte v18, v1, s[0:1] offset:1024
	;; [unrolled: 1-line block ×7, first 2 shown]
	v_add_co_u32_e32 v14, vcc, s3, v14
	v_addc_co_u32_e32 v15, vcc, 0, v15, vcc
	global_load_ubyte v24, v[14:15], off offset:-4096
	global_load_ubyte v25, v[12:13], off offset:512
	global_load_ubyte v27, v[12:13], off offset:1024
	;; [unrolled: 1-line block ×7, first 2 shown]
	global_load_ubyte v33, v[14:15], off
	global_load_ubyte v34, v[14:15], off offset:512
	global_load_ubyte v35, v[14:15], off offset:1024
	;; [unrolled: 1-line block ×3, first 2 shown]
	s_mov_b64 s[2:3], 0
	s_waitcnt vmcnt(19)
	v_xor_b32_e32 v12, -1, v16
	s_waitcnt vmcnt(18)
	v_xor_b32_e32 v13, -1, v17
	;; [unrolled: 2-line block ×8, first 2 shown]
	v_and_b32_e32 v12, 1, v12
	v_and_b32_e32 v13, 1, v13
	;; [unrolled: 1-line block ×8, first 2 shown]
	ds_write_b8 v0, v12
	ds_write_b8 v0, v13 offset:256
	ds_write_b8 v0, v14 offset:512
	;; [unrolled: 1-line block ×7, first 2 shown]
	s_waitcnt vmcnt(11)
	v_xor_b32_e32 v12, -1, v24
	s_waitcnt vmcnt(10)
	v_xor_b32_e32 v13, -1, v25
	;; [unrolled: 2-line block ×12, first 2 shown]
	v_and_b32_e32 v12, 1, v12
	v_and_b32_e32 v13, 1, v13
	;; [unrolled: 1-line block ×12, first 2 shown]
	ds_write_b8 v0, v12 offset:2048
	ds_write_b8 v0, v13 offset:2304
	;; [unrolled: 1-line block ×12, first 2 shown]
	s_waitcnt lgkmcnt(0)
	s_barrier
.LBB3405_46:
	s_load_dwordx2 s[28:29], s[4:5], 0x78
	s_andn2_b64 vcc, exec, s[2:3]
	s_cbranch_vccnz .LBB3405_88
; %bb.47:
	v_cmp_gt_u32_e32 vcc, s33, v0
	v_mov_b32_e32 v12, 0
	v_mov_b32_e32 v13, 0
	s_and_saveexec_b64 s[2:3], vcc
	s_cbranch_execz .LBB3405_49
; %bb.48:
	global_load_ubyte v13, v1, s[0:1]
	s_waitcnt vmcnt(0)
	v_xor_b32_e32 v13, -1, v13
	v_and_b32_e32 v13, 1, v13
.LBB3405_49:
	s_or_b64 exec, exec, s[2:3]
	v_or_b32_e32 v14, 0x100, v0
	v_cmp_gt_u32_e32 vcc, s33, v14
	s_and_saveexec_b64 s[2:3], vcc
	s_cbranch_execz .LBB3405_51
; %bb.50:
	global_load_ubyte v12, v1, s[0:1] offset:512
	s_waitcnt vmcnt(0)
	v_xor_b32_e32 v12, -1, v12
	v_and_b32_e32 v12, 1, v12
.LBB3405_51:
	s_or_b64 exec, exec, s[2:3]
	v_or_b32_e32 v14, 0x200, v0
	v_cmp_gt_u32_e32 vcc, s33, v14
	v_mov_b32_e32 v14, 0
	v_mov_b32_e32 v15, 0
	s_and_saveexec_b64 s[2:3], vcc
	s_cbranch_execz .LBB3405_53
; %bb.52:
	global_load_ubyte v15, v1, s[0:1] offset:1024
	s_waitcnt vmcnt(0)
	v_xor_b32_e32 v15, -1, v15
	v_and_b32_e32 v15, 1, v15
.LBB3405_53:
	s_or_b64 exec, exec, s[2:3]
	v_or_b32_e32 v16, 0x300, v0
	v_cmp_gt_u32_e32 vcc, s33, v16
	s_and_saveexec_b64 s[2:3], vcc
	s_cbranch_execz .LBB3405_55
; %bb.54:
	global_load_ubyte v14, v1, s[0:1] offset:1536
	s_waitcnt vmcnt(0)
	v_xor_b32_e32 v14, -1, v14
	v_and_b32_e32 v14, 1, v14
.LBB3405_55:
	s_or_b64 exec, exec, s[2:3]
	v_or_b32_e32 v16, 0x400, v0
	v_cmp_gt_u32_e32 vcc, s33, v16
	v_mov_b32_e32 v16, 0
	v_mov_b32_e32 v17, 0
	s_and_saveexec_b64 s[2:3], vcc
	s_cbranch_execz .LBB3405_57
; %bb.56:
	global_load_ubyte v17, v1, s[0:1] offset:2048
	s_waitcnt vmcnt(0)
	v_xor_b32_e32 v17, -1, v17
	v_and_b32_e32 v17, 1, v17
.LBB3405_57:
	;; [unrolled: 24-line block ×3, first 2 shown]
	s_or_b64 exec, exec, s[2:3]
	v_or_b32_e32 v20, 0x700, v0
	v_cmp_gt_u32_e32 vcc, s33, v20
	s_and_saveexec_b64 s[2:3], vcc
	s_cbranch_execz .LBB3405_63
; %bb.62:
	global_load_ubyte v18, v1, s[0:1] offset:3584
	s_waitcnt vmcnt(0)
	v_xor_b32_e32 v18, -1, v18
	v_and_b32_e32 v18, 1, v18
.LBB3405_63:
	s_or_b64 exec, exec, s[2:3]
	v_or_b32_e32 v22, 0x800, v0
	v_cmp_gt_u32_e32 vcc, s33, v22
	v_mov_b32_e32 v20, 0
	v_mov_b32_e32 v21, 0
	s_and_saveexec_b64 s[2:3], vcc
	s_cbranch_execz .LBB3405_65
; %bb.64:
	v_lshlrev_b32_e32 v21, 1, v22
	global_load_ubyte v21, v21, s[0:1]
	s_waitcnt vmcnt(0)
	v_xor_b32_e32 v21, -1, v21
	v_and_b32_e32 v21, 1, v21
.LBB3405_65:
	s_or_b64 exec, exec, s[2:3]
	v_or_b32_e32 v22, 0x900, v0
	v_cmp_gt_u32_e32 vcc, s33, v22
	s_and_saveexec_b64 s[2:3], vcc
	s_cbranch_execz .LBB3405_67
; %bb.66:
	v_lshlrev_b32_e32 v20, 1, v22
	global_load_ubyte v20, v20, s[0:1]
	s_waitcnt vmcnt(0)
	v_xor_b32_e32 v20, -1, v20
	v_and_b32_e32 v20, 1, v20
.LBB3405_67:
	s_or_b64 exec, exec, s[2:3]
	v_or_b32_e32 v24, 0xa00, v0
	v_cmp_gt_u32_e32 vcc, s33, v24
	v_mov_b32_e32 v22, 0
	v_mov_b32_e32 v23, 0
	s_and_saveexec_b64 s[2:3], vcc
	s_cbranch_execz .LBB3405_69
; %bb.68:
	v_lshlrev_b32_e32 v23, 1, v24
	global_load_ubyte v23, v23, s[0:1]
	s_waitcnt vmcnt(0)
	v_xor_b32_e32 v23, -1, v23
	v_and_b32_e32 v23, 1, v23
.LBB3405_69:
	s_or_b64 exec, exec, s[2:3]
	v_or_b32_e32 v24, 0xb00, v0
	v_cmp_gt_u32_e32 vcc, s33, v24
	s_and_saveexec_b64 s[2:3], vcc
	s_cbranch_execz .LBB3405_71
; %bb.70:
	v_lshlrev_b32_e32 v22, 1, v24
	global_load_ubyte v22, v22, s[0:1]
	s_waitcnt vmcnt(0)
	v_xor_b32_e32 v22, -1, v22
	v_and_b32_e32 v22, 1, v22
.LBB3405_71:
	;; [unrolled: 26-line block ×6, first 2 shown]
	s_or_b64 exec, exec, s[2:3]
	ds_write_b8 v0, v13
	ds_write_b8 v0, v12 offset:256
	ds_write_b8 v0, v15 offset:512
	;; [unrolled: 1-line block ×19, first 2 shown]
	s_waitcnt lgkmcnt(0)
	s_barrier
.LBB3405_88:
	s_waitcnt lgkmcnt(0)
	ds_read2_b32 v[18:19], v26 offset1:1
	ds_read2_b32 v[16:17], v26 offset0:2 offset1:3
	ds_read_b32 v28, v26 offset:16
	s_cmp_lg_u32 s6, 0
	v_lshrrev_b32_e32 v47, 6, v0
	s_waitcnt lgkmcnt(2)
	v_lshrrev_b32_e32 v33, 24, v18
	v_bfe_u32 v45, v18, 16, 8
	v_add_u32_sdwa v12, v18, v18 dst_sel:DWORD dst_unused:UNUSED_PAD src0_sel:BYTE_1 src1_sel:BYTE_0
	v_and_b32_e32 v42, 0xff, v19
	v_bfe_u32 v43, v19, 8, 8
	v_add3_u32 v12, v12, v45, v33
	v_lshrrev_b32_e32 v32, 24, v19
	v_bfe_u32 v44, v19, 16, 8
	v_add3_u32 v12, v12, v42, v43
	s_waitcnt lgkmcnt(1)
	v_and_b32_e32 v39, 0xff, v16
	v_bfe_u32 v40, v16, 8, 8
	v_add3_u32 v12, v12, v44, v32
	v_lshrrev_b32_e32 v31, 24, v16
	v_bfe_u32 v41, v16, 16, 8
	v_add3_u32 v12, v12, v39, v40
	v_and_b32_e32 v36, 0xff, v17
	v_bfe_u32 v37, v17, 8, 8
	v_add3_u32 v12, v12, v41, v31
	v_lshrrev_b32_e32 v30, 24, v17
	v_bfe_u32 v38, v17, 16, 8
	v_add3_u32 v12, v12, v36, v37
	s_waitcnt lgkmcnt(0)
	v_and_b32_e32 v34, 0xff, v28
	v_bfe_u32 v35, v28, 8, 8
	v_add3_u32 v12, v12, v38, v30
	v_lshrrev_b32_e32 v27, 24, v28
	v_bfe_u32 v29, v28, 16, 8
	v_add3_u32 v12, v12, v34, v35
	v_add3_u32 v48, v12, v29, v27
	v_mbcnt_lo_u32_b32 v12, -1, 0
	v_mbcnt_hi_u32_b32 v46, -1, v12
	v_and_b32_e32 v12, 15, v46
	v_cmp_eq_u32_e64 s[14:15], 0, v12
	v_cmp_lt_u32_e64 s[12:13], 1, v12
	v_cmp_lt_u32_e64 s[10:11], 3, v12
	;; [unrolled: 1-line block ×3, first 2 shown]
	v_and_b32_e32 v12, 16, v46
	v_cmp_eq_u32_e64 s[18:19], 0, v12
	v_or_b32_e32 v12, 63, v0
	v_cmp_lt_u32_e64 s[0:1], 31, v46
	v_cmp_eq_u32_e64 s[2:3], v12, v0
	s_barrier
	s_cbranch_scc0 .LBB3405_119
; %bb.89:
	v_mov_b32_dpp v12, v48 row_shr:1 row_mask:0xf bank_mask:0xf
	v_cndmask_b32_e64 v12, v12, 0, s[14:15]
	v_add_u32_e32 v12, v12, v48
	s_nop 1
	v_mov_b32_dpp v13, v12 row_shr:2 row_mask:0xf bank_mask:0xf
	v_cndmask_b32_e64 v13, 0, v13, s[12:13]
	v_add_u32_e32 v12, v12, v13
	s_nop 1
	;; [unrolled: 4-line block ×4, first 2 shown]
	v_mov_b32_dpp v13, v12 row_bcast:15 row_mask:0xf bank_mask:0xf
	v_cndmask_b32_e64 v13, v13, 0, s[18:19]
	v_add_u32_e32 v12, v12, v13
	s_nop 1
	v_mov_b32_dpp v13, v12 row_bcast:31 row_mask:0xf bank_mask:0xf
	v_cndmask_b32_e64 v13, 0, v13, s[0:1]
	v_add_u32_e32 v12, v12, v13
	s_and_saveexec_b64 s[16:17], s[2:3]
	s_cbranch_execz .LBB3405_91
; %bb.90:
	v_lshlrev_b32_e32 v13, 2, v47
	ds_write_b32 v13, v12
.LBB3405_91:
	s_or_b64 exec, exec, s[16:17]
	v_cmp_gt_u32_e32 vcc, 4, v0
	s_waitcnt lgkmcnt(0)
	s_barrier
	s_and_saveexec_b64 s[16:17], vcc
	s_cbranch_execz .LBB3405_93
; %bb.92:
	v_lshlrev_b32_e32 v13, 2, v0
	ds_read_b32 v14, v13
	v_and_b32_e32 v15, 3, v46
	v_cmp_ne_u32_e32 vcc, 0, v15
	s_waitcnt lgkmcnt(0)
	v_mov_b32_dpp v20, v14 row_shr:1 row_mask:0xf bank_mask:0xf
	v_cndmask_b32_e32 v20, 0, v20, vcc
	v_add_u32_e32 v14, v20, v14
	v_cmp_lt_u32_e32 vcc, 1, v15
	s_nop 0
	v_mov_b32_dpp v20, v14 row_shr:2 row_mask:0xf bank_mask:0xf
	v_cndmask_b32_e32 v15, 0, v20, vcc
	v_add_u32_e32 v14, v14, v15
	ds_write_b32 v13, v14
.LBB3405_93:
	s_or_b64 exec, exec, s[16:17]
	v_cmp_gt_u32_e32 vcc, 64, v0
	v_cmp_lt_u32_e64 s[16:17], 63, v0
	s_waitcnt lgkmcnt(0)
	s_barrier
	s_waitcnt lgkmcnt(0)
                                        ; implicit-def: $vgpr49
	s_and_saveexec_b64 s[30:31], s[16:17]
	s_cbranch_execz .LBB3405_95
; %bb.94:
	v_lshl_add_u32 v13, v47, 2, -4
	ds_read_b32 v49, v13
	s_waitcnt lgkmcnt(0)
	v_add_u32_e32 v12, v49, v12
.LBB3405_95:
	s_or_b64 exec, exec, s[30:31]
	v_add_u32_e32 v13, -1, v46
	v_and_b32_e32 v14, 64, v46
	v_cmp_lt_i32_e64 s[16:17], v13, v14
	v_cndmask_b32_e64 v13, v13, v46, s[16:17]
	v_lshlrev_b32_e32 v13, 2, v13
	ds_bpermute_b32 v50, v13, v12
	v_cmp_eq_u32_e64 s[16:17], 0, v46
	s_and_saveexec_b64 s[30:31], vcc
	s_cbranch_execz .LBB3405_118
; %bb.96:
	v_mov_b32_e32 v25, 0
	ds_read_b32 v12, v25 offset:12
	s_and_saveexec_b64 s[34:35], s[16:17]
	s_cbranch_execz .LBB3405_98
; %bb.97:
	s_add_i32 s36, s6, 64
	s_mov_b32 s37, 0
	s_lshl_b64 s[36:37], s[36:37], 3
	s_add_u32 s36, s28, s36
	v_mov_b32_e32 v13, 1
	s_addc_u32 s37, s29, s37
	s_waitcnt lgkmcnt(0)
	global_store_dwordx2 v25, v[12:13], s[36:37]
.LBB3405_98:
	s_or_b64 exec, exec, s[34:35]
	v_xad_u32 v14, v46, -1, s6
	v_add_u32_e32 v24, 64, v14
	v_lshlrev_b64 v[20:21], 3, v[24:25]
	v_mov_b32_e32 v13, s29
	v_add_co_u32_e32 v20, vcc, s28, v20
	v_addc_co_u32_e32 v21, vcc, v13, v21, vcc
	global_load_dwordx2 v[22:23], v[20:21], off glc
	s_waitcnt vmcnt(0)
	v_cmp_eq_u16_sdwa s[36:37], v23, v25 src0_sel:BYTE_0 src1_sel:DWORD
	s_and_saveexec_b64 s[34:35], s[36:37]
	s_cbranch_execz .LBB3405_104
; %bb.99:
	s_mov_b32 s7, 1
	s_mov_b64 s[36:37], 0
	v_mov_b32_e32 v13, 0
.LBB3405_100:                           ; =>This Loop Header: Depth=1
                                        ;     Child Loop BB3405_101 Depth 2
	s_max_u32 s38, s7, 1
.LBB3405_101:                           ;   Parent Loop BB3405_100 Depth=1
                                        ; =>  This Inner Loop Header: Depth=2
	s_add_i32 s38, s38, -1
	s_cmp_eq_u32 s38, 0
	s_sleep 1
	s_cbranch_scc0 .LBB3405_101
; %bb.102:                              ;   in Loop: Header=BB3405_100 Depth=1
	global_load_dwordx2 v[22:23], v[20:21], off glc
	s_cmp_lt_u32 s7, 32
	s_cselect_b64 s[38:39], -1, 0
	s_cmp_lg_u64 s[38:39], 0
	s_addc_u32 s7, s7, 0
	s_waitcnt vmcnt(0)
	v_cmp_ne_u16_sdwa s[38:39], v23, v13 src0_sel:BYTE_0 src1_sel:DWORD
	s_or_b64 s[36:37], s[38:39], s[36:37]
	s_andn2_b64 exec, exec, s[36:37]
	s_cbranch_execnz .LBB3405_100
; %bb.103:
	s_or_b64 exec, exec, s[36:37]
.LBB3405_104:
	s_or_b64 exec, exec, s[34:35]
	v_and_b32_e32 v52, 63, v46
	v_mov_b32_e32 v51, 2
	v_cmp_ne_u32_e32 vcc, 63, v52
	v_cmp_eq_u16_sdwa s[34:35], v23, v51 src0_sel:BYTE_0 src1_sel:DWORD
	v_lshlrev_b64 v[20:21], v46, -1
	v_addc_co_u32_e32 v24, vcc, 0, v46, vcc
	v_and_b32_e32 v13, s35, v21
	v_lshlrev_b32_e32 v53, 2, v24
	v_or_b32_e32 v13, 0x80000000, v13
	ds_bpermute_b32 v24, v53, v22
	v_and_b32_e32 v15, s34, v20
	v_ffbl_b32_e32 v13, v13
	v_add_u32_e32 v13, 32, v13
	v_ffbl_b32_e32 v15, v15
	v_min_u32_e32 v13, v15, v13
	v_cmp_lt_u32_e32 vcc, v52, v13
	s_waitcnt lgkmcnt(0)
	v_cndmask_b32_e32 v15, 0, v24, vcc
	v_cmp_gt_u32_e32 vcc, 62, v52
	v_add_u32_e32 v15, v15, v22
	v_cndmask_b32_e64 v22, 0, 1, vcc
	v_lshlrev_b32_e32 v22, 1, v22
	v_add_lshl_u32 v54, v22, v46, 2
	ds_bpermute_b32 v22, v54, v15
	v_add_u32_e32 v55, 2, v52
	v_cmp_le_u32_e32 vcc, v55, v13
	v_add_u32_e32 v57, 4, v52
	v_add_u32_e32 v59, 8, v52
	s_waitcnt lgkmcnt(0)
	v_cndmask_b32_e32 v22, 0, v22, vcc
	v_cmp_gt_u32_e32 vcc, 60, v52
	v_add_u32_e32 v15, v15, v22
	v_cndmask_b32_e64 v22, 0, 1, vcc
	v_lshlrev_b32_e32 v22, 2, v22
	v_add_lshl_u32 v56, v22, v46, 2
	ds_bpermute_b32 v22, v56, v15
	v_cmp_le_u32_e32 vcc, v57, v13
	v_add_u32_e32 v61, 16, v52
	v_add_u32_e32 v63, 32, v52
	s_waitcnt lgkmcnt(0)
	v_cndmask_b32_e32 v22, 0, v22, vcc
	v_cmp_gt_u32_e32 vcc, 56, v52
	v_add_u32_e32 v15, v15, v22
	v_cndmask_b32_e64 v22, 0, 1, vcc
	v_lshlrev_b32_e32 v22, 3, v22
	v_add_lshl_u32 v58, v22, v46, 2
	ds_bpermute_b32 v22, v58, v15
	v_cmp_le_u32_e32 vcc, v59, v13
	s_waitcnt lgkmcnt(0)
	v_cndmask_b32_e32 v22, 0, v22, vcc
	v_cmp_gt_u32_e32 vcc, 48, v52
	v_add_u32_e32 v15, v15, v22
	v_cndmask_b32_e64 v22, 0, 1, vcc
	v_lshlrev_b32_e32 v22, 4, v22
	v_add_lshl_u32 v60, v22, v46, 2
	ds_bpermute_b32 v22, v60, v15
	v_cmp_le_u32_e32 vcc, v61, v13
	;; [unrolled: 9-line block ×3, first 2 shown]
	s_waitcnt lgkmcnt(0)
	v_cndmask_b32_e32 v13, 0, v22, vcc
	v_add_u32_e32 v22, v15, v13
	v_mov_b32_e32 v15, 0
	s_branch .LBB3405_106
.LBB3405_105:                           ;   in Loop: Header=BB3405_106 Depth=1
	s_or_b64 exec, exec, s[34:35]
	v_cmp_eq_u16_sdwa s[34:35], v23, v51 src0_sel:BYTE_0 src1_sel:DWORD
	v_and_b32_e32 v24, s35, v21
	v_or_b32_e32 v24, 0x80000000, v24
	ds_bpermute_b32 v64, v53, v22
	v_and_b32_e32 v25, s34, v20
	v_ffbl_b32_e32 v24, v24
	v_add_u32_e32 v24, 32, v24
	v_ffbl_b32_e32 v25, v25
	v_min_u32_e32 v24, v25, v24
	v_cmp_lt_u32_e32 vcc, v52, v24
	s_waitcnt lgkmcnt(0)
	v_cndmask_b32_e32 v25, 0, v64, vcc
	v_add_u32_e32 v22, v25, v22
	ds_bpermute_b32 v25, v54, v22
	v_cmp_le_u32_e32 vcc, v55, v24
	v_subrev_u32_e32 v14, 64, v14
	s_waitcnt lgkmcnt(0)
	v_cndmask_b32_e32 v25, 0, v25, vcc
	v_add_u32_e32 v22, v22, v25
	ds_bpermute_b32 v25, v56, v22
	v_cmp_le_u32_e32 vcc, v57, v24
	s_waitcnt lgkmcnt(0)
	v_cndmask_b32_e32 v25, 0, v25, vcc
	v_add_u32_e32 v22, v22, v25
	ds_bpermute_b32 v25, v58, v22
	v_cmp_le_u32_e32 vcc, v59, v24
	;; [unrolled: 5-line block ×4, first 2 shown]
	s_waitcnt lgkmcnt(0)
	v_cndmask_b32_e32 v24, 0, v25, vcc
	v_add3_u32 v22, v24, v13, v22
.LBB3405_106:                           ; =>This Loop Header: Depth=1
                                        ;     Child Loop BB3405_109 Depth 2
                                        ;       Child Loop BB3405_110 Depth 3
	v_cmp_ne_u16_sdwa s[34:35], v23, v51 src0_sel:BYTE_0 src1_sel:DWORD
	v_cndmask_b32_e64 v13, 0, 1, s[34:35]
	;;#ASMSTART
	;;#ASMEND
	v_cmp_ne_u32_e32 vcc, 0, v13
	s_cmp_lg_u64 vcc, exec
	v_mov_b32_e32 v13, v22
	s_cbranch_scc1 .LBB3405_113
; %bb.107:                              ;   in Loop: Header=BB3405_106 Depth=1
	v_lshlrev_b64 v[22:23], 3, v[14:15]
	v_mov_b32_e32 v25, s29
	v_add_co_u32_e32 v24, vcc, s28, v22
	v_addc_co_u32_e32 v25, vcc, v25, v23, vcc
	global_load_dwordx2 v[22:23], v[24:25], off glc
	s_waitcnt vmcnt(0)
	v_cmp_eq_u16_sdwa s[36:37], v23, v15 src0_sel:BYTE_0 src1_sel:DWORD
	s_and_saveexec_b64 s[34:35], s[36:37]
	s_cbranch_execz .LBB3405_105
; %bb.108:                              ;   in Loop: Header=BB3405_106 Depth=1
	s_mov_b32 s7, 1
	s_mov_b64 s[36:37], 0
.LBB3405_109:                           ;   Parent Loop BB3405_106 Depth=1
                                        ; =>  This Loop Header: Depth=2
                                        ;       Child Loop BB3405_110 Depth 3
	s_max_u32 s38, s7, 1
.LBB3405_110:                           ;   Parent Loop BB3405_106 Depth=1
                                        ;     Parent Loop BB3405_109 Depth=2
                                        ; =>    This Inner Loop Header: Depth=3
	s_add_i32 s38, s38, -1
	s_cmp_eq_u32 s38, 0
	s_sleep 1
	s_cbranch_scc0 .LBB3405_110
; %bb.111:                              ;   in Loop: Header=BB3405_109 Depth=2
	global_load_dwordx2 v[22:23], v[24:25], off glc
	s_cmp_lt_u32 s7, 32
	s_cselect_b64 s[38:39], -1, 0
	s_cmp_lg_u64 s[38:39], 0
	s_addc_u32 s7, s7, 0
	s_waitcnt vmcnt(0)
	v_cmp_ne_u16_sdwa s[38:39], v23, v15 src0_sel:BYTE_0 src1_sel:DWORD
	s_or_b64 s[36:37], s[38:39], s[36:37]
	s_andn2_b64 exec, exec, s[36:37]
	s_cbranch_execnz .LBB3405_109
; %bb.112:                              ;   in Loop: Header=BB3405_106 Depth=1
	s_or_b64 exec, exec, s[36:37]
	s_branch .LBB3405_105
.LBB3405_113:                           ;   in Loop: Header=BB3405_106 Depth=1
                                        ; implicit-def: $vgpr22
                                        ; implicit-def: $vgpr23
	s_cbranch_execz .LBB3405_106
; %bb.114:
	s_and_saveexec_b64 s[34:35], s[16:17]
	s_cbranch_execz .LBB3405_116
; %bb.115:
	s_add_i32 s6, s6, 64
	s_mov_b32 s7, 0
	s_lshl_b64 s[6:7], s[6:7], 3
	s_add_u32 s6, s28, s6
	v_add_u32_e32 v14, v13, v12
	v_mov_b32_e32 v15, 2
	s_addc_u32 s7, s29, s7
	v_mov_b32_e32 v20, 0
	global_store_dwordx2 v20, v[14:15], s[6:7]
	ds_write_b64 v20, v[12:13] offset:10240
.LBB3405_116:
	s_or_b64 exec, exec, s[34:35]
	v_cmp_eq_u32_e32 vcc, 0, v0
	s_and_b64 exec, exec, vcc
	s_cbranch_execz .LBB3405_118
; %bb.117:
	v_mov_b32_e32 v12, 0
	ds_write_b32 v12, v13 offset:12
.LBB3405_118:
	s_or_b64 exec, exec, s[30:31]
	v_mov_b32_e32 v12, 0
	s_waitcnt lgkmcnt(0)
	s_barrier
	ds_read_b32 v15, v12 offset:12
	s_waitcnt lgkmcnt(0)
	s_barrier
	ds_read_b64 v[12:13], v12 offset:10240
	v_cndmask_b32_e64 v14, v50, v49, s[16:17]
	v_cmp_ne_u32_e32 vcc, 0, v0
	v_cndmask_b32_e32 v14, 0, v14, vcc
	v_add_u32_e32 v22, v15, v14
	s_waitcnt lgkmcnt(0)
	v_mov_b32_e32 v14, v13
	s_load_dwordx2 s[4:5], s[4:5], 0x30
	s_branch .LBB3405_129
.LBB3405_119:
                                        ; implicit-def: $vgpr14
                                        ; implicit-def: $vgpr12
                                        ; implicit-def: $vgpr22
	s_load_dwordx2 s[4:5], s[4:5], 0x30
	s_cbranch_execz .LBB3405_129
; %bb.120:
	v_mov_b32_dpp v12, v48 row_shr:1 row_mask:0xf bank_mask:0xf
	v_cndmask_b32_e64 v12, v12, 0, s[14:15]
	v_add_u32_e32 v12, v12, v48
	s_nop 1
	v_mov_b32_dpp v13, v12 row_shr:2 row_mask:0xf bank_mask:0xf
	v_cndmask_b32_e64 v13, 0, v13, s[12:13]
	v_add_u32_e32 v12, v12, v13
	s_nop 1
	;; [unrolled: 4-line block ×4, first 2 shown]
	v_mov_b32_dpp v13, v12 row_bcast:15 row_mask:0xf bank_mask:0xf
	v_cndmask_b32_e64 v13, v13, 0, s[18:19]
	v_add_u32_e32 v12, v12, v13
	s_nop 1
	v_mov_b32_dpp v13, v12 row_bcast:31 row_mask:0xf bank_mask:0xf
	v_cndmask_b32_e64 v13, 0, v13, s[0:1]
	v_add_u32_e32 v12, v12, v13
	s_and_saveexec_b64 s[0:1], s[2:3]
	s_cbranch_execz .LBB3405_122
; %bb.121:
	v_lshlrev_b32_e32 v13, 2, v47
	ds_write_b32 v13, v12
.LBB3405_122:
	s_or_b64 exec, exec, s[0:1]
	v_cmp_gt_u32_e32 vcc, 4, v0
	s_waitcnt lgkmcnt(0)
	s_barrier
	s_and_saveexec_b64 s[0:1], vcc
	s_cbranch_execz .LBB3405_124
; %bb.123:
	v_lshlrev_b32_e32 v13, 2, v0
	ds_read_b32 v14, v13
	v_and_b32_e32 v15, 3, v46
	v_cmp_ne_u32_e32 vcc, 0, v15
	s_waitcnt lgkmcnt(0)
	v_mov_b32_dpp v20, v14 row_shr:1 row_mask:0xf bank_mask:0xf
	v_cndmask_b32_e32 v20, 0, v20, vcc
	v_add_u32_e32 v14, v20, v14
	v_cmp_lt_u32_e32 vcc, 1, v15
	s_nop 0
	v_mov_b32_dpp v20, v14 row_shr:2 row_mask:0xf bank_mask:0xf
	v_cndmask_b32_e32 v15, 0, v20, vcc
	v_add_u32_e32 v14, v14, v15
	ds_write_b32 v13, v14
.LBB3405_124:
	s_or_b64 exec, exec, s[0:1]
	v_cmp_lt_u32_e32 vcc, 63, v0
	v_mov_b32_e32 v13, 0
	v_mov_b32_e32 v14, 0
	s_waitcnt lgkmcnt(0)
	s_barrier
	s_and_saveexec_b64 s[0:1], vcc
	s_cbranch_execz .LBB3405_126
; %bb.125:
	v_lshl_add_u32 v14, v47, 2, -4
	ds_read_b32 v14, v14
.LBB3405_126:
	s_or_b64 exec, exec, s[0:1]
	v_add_u32_e32 v15, -1, v46
	v_and_b32_e32 v20, 64, v46
	v_cmp_lt_i32_e32 vcc, v15, v20
	v_cndmask_b32_e32 v15, v15, v46, vcc
	s_waitcnt lgkmcnt(0)
	v_add_u32_e32 v12, v14, v12
	v_lshlrev_b32_e32 v15, 2, v15
	ds_bpermute_b32 v15, v15, v12
	ds_read_b32 v12, v13 offset:12
	v_cmp_eq_u32_e32 vcc, 0, v0
	s_and_saveexec_b64 s[0:1], vcc
	s_cbranch_execz .LBB3405_128
; %bb.127:
	v_mov_b32_e32 v20, 0
	v_mov_b32_e32 v13, 2
	s_waitcnt lgkmcnt(0)
	global_store_dwordx2 v20, v[12:13], s[28:29] offset:512
.LBB3405_128:
	s_or_b64 exec, exec, s[0:1]
	v_cmp_eq_u32_e64 s[0:1], 0, v46
	s_waitcnt lgkmcnt(1)
	v_cndmask_b32_e64 v13, v15, v14, s[0:1]
	v_mov_b32_e32 v14, 0
	v_cndmask_b32_e64 v22, v13, 0, vcc
	s_waitcnt lgkmcnt(0)
	s_barrier
.LBB3405_129:
	v_add_u32_sdwa v24, v22, v18 dst_sel:DWORD dst_unused:UNUSED_PAD src0_sel:DWORD src1_sel:BYTE_0
	v_add_u32_e32 v26, v12, v26
	v_sub_u32_e32 v22, v22, v14
	v_and_b32_e32 v51, 1, v18
	v_sub_u32_e32 v50, v26, v22
	v_cmp_eq_u32_e32 vcc, 1, v51
	v_cndmask_b32_e32 v22, v50, v22, vcc
	v_lshlrev_b32_e32 v22, 1, v22
	v_lshrrev_b32_e32 v23, 8, v18
	ds_write_b16 v22, v6
	v_sub_u32_e32 v22, v24, v14
	v_add_u32_sdwa v25, v24, v18 dst_sel:DWORD dst_unused:UNUSED_PAD src0_sel:DWORD src1_sel:BYTE_1
	v_sub_u32_e32 v24, v26, v22
	v_and_b32_e32 v23, 1, v23
	v_add_u32_e32 v24, 1, v24
	v_cmp_eq_u32_e32 vcc, 1, v23
	v_cndmask_b32_e32 v22, v24, v22, vcc
	v_lshlrev_b32_e32 v22, 1, v22
	ds_write_b16_d16_hi v22, v6
	v_sub_u32_e32 v6, v25, v14
	v_mov_b32_e32 v23, 1
	v_sub_u32_e32 v22, v26, v6
	v_and_b32_sdwa v18, v23, v18 dst_sel:DWORD dst_unused:UNUSED_PAD src0_sel:DWORD src1_sel:WORD_1
	v_add_u32_e32 v22, 2, v22
	v_cmp_eq_u32_e32 vcc, 1, v18
	v_cndmask_b32_e32 v6, v22, v6, vcc
	v_add_u32_e32 v45, v25, v45
	v_lshlrev_b32_e32 v6, 1, v6
	ds_write_b16 v6, v7
	v_sub_u32_e32 v6, v45, v14
	v_sub_u32_e32 v18, v26, v6
	v_and_b32_e32 v22, 1, v33
	v_add_u32_e32 v18, 3, v18
	v_cmp_eq_u32_e32 vcc, 1, v22
	v_cndmask_b32_e32 v6, v18, v6, vcc
	v_add_u32_e32 v46, v45, v33
	v_lshlrev_b32_e32 v6, 1, v6
	ds_write_b16_d16_hi v6, v7
	v_sub_u32_e32 v6, v46, v14
	v_sub_u32_e32 v7, v26, v6
	v_and_b32_e32 v18, 1, v19
	v_add_u32_e32 v7, 4, v7
	v_cmp_eq_u32_e32 vcc, 1, v18
	v_cndmask_b32_e32 v6, v7, v6, vcc
	v_add_u32_e32 v42, v46, v42
	v_lshlrev_b32_e32 v6, 1, v6
	v_lshrrev_b32_e32 v21, 8, v19
	ds_write_b16 v6, v8
	v_sub_u32_e32 v6, v42, v14
	v_sub_u32_e32 v7, v26, v6
	v_and_b32_e32 v18, 1, v21
	v_add_u32_e32 v7, 5, v7
	v_cmp_eq_u32_e32 vcc, 1, v18
	v_cndmask_b32_e32 v6, v7, v6, vcc
	v_add_u32_e32 v43, v42, v43
	v_lshlrev_b32_e32 v6, 1, v6
	ds_write_b16_d16_hi v6, v8
	v_sub_u32_e32 v6, v43, v14
	v_sub_u32_e32 v7, v26, v6
	v_and_b32_sdwa v8, v23, v19 dst_sel:DWORD dst_unused:UNUSED_PAD src0_sel:DWORD src1_sel:WORD_1
	v_add_u32_e32 v7, 6, v7
	v_cmp_eq_u32_e32 vcc, 1, v8
	v_cndmask_b32_e32 v6, v7, v6, vcc
	v_add_u32_e32 v44, v43, v44
	v_lshlrev_b32_e32 v6, 1, v6
	ds_write_b16 v6, v9
	v_sub_u32_e32 v6, v44, v14
	v_sub_u32_e32 v7, v26, v6
	v_and_b32_e32 v8, 1, v32
	v_add_u32_e32 v7, 7, v7
	v_cmp_eq_u32_e32 vcc, 1, v8
	v_cndmask_b32_e32 v6, v7, v6, vcc
	v_add_u32_e32 v47, v44, v32
	v_lshlrev_b32_e32 v6, 1, v6
	ds_write_b16_d16_hi v6, v9
	v_sub_u32_e32 v6, v47, v14
	v_sub_u32_e32 v7, v26, v6
	v_and_b32_e32 v8, 1, v16
	v_add_u32_e32 v7, 8, v7
	v_cmp_eq_u32_e32 vcc, 1, v8
	v_cndmask_b32_e32 v6, v7, v6, vcc
	v_add_u32_e32 v39, v47, v39
	v_lshlrev_b32_e32 v6, 1, v6
	v_lshrrev_b32_e32 v20, 8, v16
	ds_write_b16 v6, v2
	v_sub_u32_e32 v6, v39, v14
	v_sub_u32_e32 v7, v26, v6
	v_and_b32_e32 v8, 1, v20
	v_add_u32_e32 v7, 9, v7
	v_cmp_eq_u32_e32 vcc, 1, v8
	v_cndmask_b32_e32 v6, v7, v6, vcc
	v_add_u32_e32 v40, v39, v40
	v_lshlrev_b32_e32 v6, 1, v6
	ds_write_b16_d16_hi v6, v2
	v_sub_u32_e32 v2, v40, v14
	;; [unrolled: 37-line block ×4, first 2 shown]
	v_sub_u32_e32 v3, v26, v2
	v_and_b32_sdwa v4, v23, v28 dst_sel:DWORD dst_unused:UNUSED_PAD src0_sel:DWORD src1_sel:WORD_1
	v_add_u32_e32 v3, 18, v3
	v_cmp_eq_u32_e32 vcc, 1, v4
	v_cndmask_b32_e32 v2, v3, v2, vcc
	v_lshlrev_b32_e32 v2, 1, v2
	ds_write_b16 v2, v11
	v_sub_u32_e32 v2, v29, v14
	v_add_u32_e32 v2, v35, v2
	v_sub_u32_e32 v3, v26, v2
	v_and_b32_e32 v4, 1, v27
	v_add_u32_e32 v3, 19, v3
	v_cmp_eq_u32_e32 vcc, 1, v4
	v_cndmask_b32_e32 v2, v3, v2, vcc
	v_lshlrev_b32_e32 v2, 1, v2
	ds_write_b16_d16_hi v2, v11
	s_waitcnt lgkmcnt(0)
	s_barrier
	ds_read_u16 v45, v1
	ds_read_u16 v44, v1 offset:512
	ds_read_u16 v42, v1 offset:1024
	;; [unrolled: 1-line block ×19, first 2 shown]
	v_or_b32_e32 v43, 0x100, v0
	v_or_b32_e32 v41, 0x200, v0
	;; [unrolled: 1-line block ×18, first 2 shown]
	s_andn2_b64 vcc, exec, s[26:27]
	v_or_b32_e32 v5, 0x1300, v0
	s_cbranch_vccnz .LBB3405_151
; %bb.130:
	s_lshl_b64 s[0:1], s[22:23], 1
	v_mov_b32_e32 v15, 0
	s_add_u32 s0, s4, s0
	s_addc_u32 s1, s5, s1
	v_lshlrev_b64 v[2:3], 1, v[14:15]
	v_mov_b32_e32 v15, s1
	v_add_co_u32_e32 v2, vcc, s0, v2
	v_addc_co_u32_e32 v3, vcc, v15, v3, vcc
	v_cmp_lt_u32_e32 vcc, v0, v12
	s_and_saveexec_b64 s[0:1], vcc
	s_cbranch_execnz .LBB3405_178
; %bb.131:
	s_or_b64 exec, exec, s[0:1]
	v_cmp_lt_u32_e32 vcc, v43, v12
	s_and_saveexec_b64 s[0:1], vcc
	s_cbranch_execnz .LBB3405_179
.LBB3405_132:
	s_or_b64 exec, exec, s[0:1]
	v_cmp_lt_u32_e32 vcc, v41, v12
	s_and_saveexec_b64 s[0:1], vcc
	s_cbranch_execnz .LBB3405_180
.LBB3405_133:
	s_or_b64 exec, exec, s[0:1]
	v_cmp_lt_u32_e32 vcc, v39, v12
	s_and_saveexec_b64 s[0:1], vcc
	s_cbranch_execnz .LBB3405_181
.LBB3405_134:
	s_or_b64 exec, exec, s[0:1]
	v_cmp_lt_u32_e32 vcc, v37, v12
	s_and_saveexec_b64 s[0:1], vcc
	s_cbranch_execnz .LBB3405_182
.LBB3405_135:
	s_or_b64 exec, exec, s[0:1]
	v_cmp_lt_u32_e32 vcc, v36, v12
	s_and_saveexec_b64 s[0:1], vcc
	s_cbranch_execnz .LBB3405_183
.LBB3405_136:
	s_or_b64 exec, exec, s[0:1]
	v_cmp_lt_u32_e32 vcc, v34, v12
	s_and_saveexec_b64 s[0:1], vcc
	s_cbranch_execnz .LBB3405_184
.LBB3405_137:
	s_or_b64 exec, exec, s[0:1]
	v_cmp_lt_u32_e32 vcc, v32, v12
	s_and_saveexec_b64 s[0:1], vcc
	s_cbranch_execnz .LBB3405_185
.LBB3405_138:
	s_or_b64 exec, exec, s[0:1]
	v_cmp_lt_u32_e32 vcc, v29, v12
	s_and_saveexec_b64 s[0:1], vcc
	s_cbranch_execnz .LBB3405_186
.LBB3405_139:
	s_or_b64 exec, exec, s[0:1]
	v_cmp_lt_u32_e32 vcc, v27, v12
	s_and_saveexec_b64 s[0:1], vcc
	s_cbranch_execnz .LBB3405_187
.LBB3405_140:
	s_or_b64 exec, exec, s[0:1]
	v_cmp_lt_u32_e32 vcc, v25, v12
	s_and_saveexec_b64 s[0:1], vcc
	s_cbranch_execnz .LBB3405_188
.LBB3405_141:
	s_or_b64 exec, exec, s[0:1]
	v_cmp_lt_u32_e32 vcc, v23, v12
	s_and_saveexec_b64 s[0:1], vcc
	s_cbranch_execnz .LBB3405_189
.LBB3405_142:
	s_or_b64 exec, exec, s[0:1]
	v_cmp_lt_u32_e32 vcc, v21, v12
	s_and_saveexec_b64 s[0:1], vcc
	s_cbranch_execnz .LBB3405_190
.LBB3405_143:
	s_or_b64 exec, exec, s[0:1]
	v_cmp_lt_u32_e32 vcc, v19, v12
	s_and_saveexec_b64 s[0:1], vcc
	s_cbranch_execnz .LBB3405_191
.LBB3405_144:
	s_or_b64 exec, exec, s[0:1]
	v_cmp_lt_u32_e32 vcc, v17, v12
	s_and_saveexec_b64 s[0:1], vcc
	s_cbranch_execnz .LBB3405_192
.LBB3405_145:
	s_or_b64 exec, exec, s[0:1]
	v_cmp_lt_u32_e32 vcc, v13, v12
	s_and_saveexec_b64 s[0:1], vcc
	s_cbranch_execnz .LBB3405_193
.LBB3405_146:
	s_or_b64 exec, exec, s[0:1]
	v_cmp_lt_u32_e32 vcc, v11, v12
	s_and_saveexec_b64 s[0:1], vcc
	s_cbranch_execnz .LBB3405_194
.LBB3405_147:
	s_or_b64 exec, exec, s[0:1]
	v_cmp_lt_u32_e32 vcc, v9, v12
	s_and_saveexec_b64 s[0:1], vcc
	s_cbranch_execnz .LBB3405_195
.LBB3405_148:
	s_or_b64 exec, exec, s[0:1]
	v_cmp_lt_u32_e32 vcc, v7, v12
	s_and_saveexec_b64 s[0:1], vcc
	s_cbranch_execz .LBB3405_150
.LBB3405_149:
	v_lshlrev_b32_e32 v15, 1, v7
	v_readfirstlane_b32 s2, v2
	v_readfirstlane_b32 s3, v3
	s_waitcnt lgkmcnt(1)
	s_nop 3
	global_store_short v15, v6, s[2:3]
.LBB3405_150:
	s_or_b64 exec, exec, s[0:1]
	v_cmp_lt_u32_e64 s[0:1], v5, v12
	s_branch .LBB3405_173
.LBB3405_151:
	s_mov_b64 s[0:1], 0
                                        ; implicit-def: $vgpr2_vgpr3
	s_cbranch_execz .LBB3405_173
; %bb.152:
	s_lshl_b64 s[0:1], s[22:23], 1
	v_mov_b32_e32 v15, 0
	s_add_u32 s0, s4, s0
	s_addc_u32 s1, s5, s1
	v_lshlrev_b64 v[2:3], 1, v[14:15]
	v_mov_b32_e32 v15, s1
	v_add_co_u32_e32 v2, vcc, s0, v2
	v_min_u32_e32 v46, s33, v12
	v_addc_co_u32_e32 v3, vcc, v15, v3, vcc
	v_cmp_gt_u32_e32 vcc, v46, v0
	s_and_saveexec_b64 s[0:1], vcc
	s_cbranch_execnz .LBB3405_196
; %bb.153:
	s_or_b64 exec, exec, s[0:1]
	v_cmp_lt_u32_e32 vcc, v43, v46
	s_and_saveexec_b64 s[0:1], vcc
	s_cbranch_execnz .LBB3405_197
.LBB3405_154:
	s_or_b64 exec, exec, s[0:1]
	v_cmp_lt_u32_e32 vcc, v41, v46
	s_and_saveexec_b64 s[0:1], vcc
	s_cbranch_execnz .LBB3405_198
.LBB3405_155:
	s_or_b64 exec, exec, s[0:1]
	v_cmp_lt_u32_e32 vcc, v39, v46
	s_and_saveexec_b64 s[0:1], vcc
	s_cbranch_execnz .LBB3405_199
.LBB3405_156:
	s_or_b64 exec, exec, s[0:1]
	v_cmp_lt_u32_e32 vcc, v37, v46
	s_and_saveexec_b64 s[0:1], vcc
	s_cbranch_execnz .LBB3405_200
.LBB3405_157:
	s_or_b64 exec, exec, s[0:1]
	v_cmp_lt_u32_e32 vcc, v36, v46
	s_and_saveexec_b64 s[0:1], vcc
	s_cbranch_execnz .LBB3405_201
.LBB3405_158:
	s_or_b64 exec, exec, s[0:1]
	v_cmp_lt_u32_e32 vcc, v34, v46
	s_and_saveexec_b64 s[0:1], vcc
	s_cbranch_execnz .LBB3405_202
.LBB3405_159:
	s_or_b64 exec, exec, s[0:1]
	v_cmp_lt_u32_e32 vcc, v32, v46
	s_and_saveexec_b64 s[0:1], vcc
	s_cbranch_execnz .LBB3405_203
.LBB3405_160:
	s_or_b64 exec, exec, s[0:1]
	v_cmp_lt_u32_e32 vcc, v29, v46
	s_and_saveexec_b64 s[0:1], vcc
	s_cbranch_execnz .LBB3405_204
.LBB3405_161:
	s_or_b64 exec, exec, s[0:1]
	v_cmp_lt_u32_e32 vcc, v27, v46
	s_and_saveexec_b64 s[0:1], vcc
	s_cbranch_execnz .LBB3405_205
.LBB3405_162:
	s_or_b64 exec, exec, s[0:1]
	v_cmp_lt_u32_e32 vcc, v25, v46
	s_and_saveexec_b64 s[0:1], vcc
	s_cbranch_execnz .LBB3405_206
.LBB3405_163:
	s_or_b64 exec, exec, s[0:1]
	v_cmp_lt_u32_e32 vcc, v23, v46
	s_and_saveexec_b64 s[0:1], vcc
	s_cbranch_execnz .LBB3405_207
.LBB3405_164:
	s_or_b64 exec, exec, s[0:1]
	v_cmp_lt_u32_e32 vcc, v21, v46
	s_and_saveexec_b64 s[0:1], vcc
	s_cbranch_execnz .LBB3405_208
.LBB3405_165:
	s_or_b64 exec, exec, s[0:1]
	v_cmp_lt_u32_e32 vcc, v19, v46
	s_and_saveexec_b64 s[0:1], vcc
	s_cbranch_execnz .LBB3405_209
.LBB3405_166:
	s_or_b64 exec, exec, s[0:1]
	v_cmp_lt_u32_e32 vcc, v17, v46
	s_and_saveexec_b64 s[0:1], vcc
	s_cbranch_execnz .LBB3405_210
.LBB3405_167:
	s_or_b64 exec, exec, s[0:1]
	v_cmp_lt_u32_e32 vcc, v13, v46
	s_and_saveexec_b64 s[0:1], vcc
	s_cbranch_execnz .LBB3405_211
.LBB3405_168:
	s_or_b64 exec, exec, s[0:1]
	v_cmp_lt_u32_e32 vcc, v11, v46
	s_and_saveexec_b64 s[0:1], vcc
	s_cbranch_execnz .LBB3405_212
.LBB3405_169:
	s_or_b64 exec, exec, s[0:1]
	v_cmp_lt_u32_e32 vcc, v9, v46
	s_and_saveexec_b64 s[0:1], vcc
	s_cbranch_execnz .LBB3405_213
.LBB3405_170:
	s_or_b64 exec, exec, s[0:1]
	v_cmp_lt_u32_e32 vcc, v7, v46
	s_and_saveexec_b64 s[0:1], vcc
	s_cbranch_execz .LBB3405_172
.LBB3405_171:
	v_lshlrev_b32_e32 v1, 1, v7
	v_readfirstlane_b32 s2, v2
	v_readfirstlane_b32 s3, v3
	s_waitcnt lgkmcnt(1)
	s_nop 3
	global_store_short v1, v6, s[2:3]
.LBB3405_172:
	s_or_b64 exec, exec, s[0:1]
	v_cmp_lt_u32_e64 s[0:1], v5, v46
.LBB3405_173:
	s_and_saveexec_b64 s[2:3], s[0:1]
	s_cbranch_execz .LBB3405_175
; %bb.174:
	v_lshlrev_b32_e32 v1, 1, v5
	v_readfirstlane_b32 s0, v2
	v_readfirstlane_b32 s1, v3
	s_waitcnt lgkmcnt(0)
	s_nop 3
	global_store_short v1, v4, s[0:1]
.LBB3405_175:
	s_or_b64 exec, exec, s[2:3]
	v_cmp_eq_u32_e32 vcc, 0, v0
	s_and_b64 s[0:1], vcc, s[24:25]
	s_and_saveexec_b64 s[2:3], s[0:1]
	s_cbranch_execz .LBB3405_177
; %bb.176:
	v_mov_b32_e32 v0, s23
	v_add_co_u32_e32 v1, vcc, s22, v12
	v_addc_co_u32_e32 v3, vcc, 0, v0, vcc
	v_add_co_u32_e32 v0, vcc, v1, v14
	v_mov_b32_e32 v2, 0
	v_addc_co_u32_e32 v1, vcc, 0, v3, vcc
	global_store_dwordx2 v2, v[0:1], s[20:21]
.LBB3405_177:
	s_endpgm
.LBB3405_178:
	v_readfirstlane_b32 s2, v2
	v_readfirstlane_b32 s3, v3
	s_waitcnt lgkmcnt(14)
	s_nop 3
	global_store_short v1, v45, s[2:3]
	s_or_b64 exec, exec, s[0:1]
	v_cmp_lt_u32_e32 vcc, v43, v12
	s_and_saveexec_b64 s[0:1], vcc
	s_cbranch_execz .LBB3405_132
.LBB3405_179:
	v_readfirstlane_b32 s2, v2
	v_readfirstlane_b32 s3, v3
	s_waitcnt lgkmcnt(14)
	s_nop 3
	global_store_short v1, v44, s[2:3] offset:512
	s_or_b64 exec, exec, s[0:1]
	v_cmp_lt_u32_e32 vcc, v41, v12
	s_and_saveexec_b64 s[0:1], vcc
	s_cbranch_execz .LBB3405_133
.LBB3405_180:
	v_readfirstlane_b32 s2, v2
	v_readfirstlane_b32 s3, v3
	s_waitcnt lgkmcnt(14)
	s_nop 3
	global_store_short v1, v42, s[2:3] offset:1024
	s_or_b64 exec, exec, s[0:1]
	v_cmp_lt_u32_e32 vcc, v39, v12
	s_and_saveexec_b64 s[0:1], vcc
	s_cbranch_execz .LBB3405_134
.LBB3405_181:
	v_readfirstlane_b32 s2, v2
	v_readfirstlane_b32 s3, v3
	s_waitcnt lgkmcnt(14)
	s_nop 3
	global_store_short v1, v40, s[2:3] offset:1536
	s_or_b64 exec, exec, s[0:1]
	v_cmp_lt_u32_e32 vcc, v37, v12
	s_and_saveexec_b64 s[0:1], vcc
	s_cbranch_execz .LBB3405_135
.LBB3405_182:
	v_readfirstlane_b32 s2, v2
	v_readfirstlane_b32 s3, v3
	s_waitcnt lgkmcnt(14)
	s_nop 3
	global_store_short v1, v38, s[2:3] offset:2048
	s_or_b64 exec, exec, s[0:1]
	v_cmp_lt_u32_e32 vcc, v36, v12
	s_and_saveexec_b64 s[0:1], vcc
	s_cbranch_execz .LBB3405_136
.LBB3405_183:
	v_readfirstlane_b32 s2, v2
	v_readfirstlane_b32 s3, v3
	s_waitcnt lgkmcnt(14)
	s_nop 3
	global_store_short v1, v35, s[2:3] offset:2560
	s_or_b64 exec, exec, s[0:1]
	v_cmp_lt_u32_e32 vcc, v34, v12
	s_and_saveexec_b64 s[0:1], vcc
	s_cbranch_execz .LBB3405_137
.LBB3405_184:
	v_readfirstlane_b32 s2, v2
	v_readfirstlane_b32 s3, v3
	s_waitcnt lgkmcnt(13)
	s_nop 3
	global_store_short v1, v33, s[2:3] offset:3072
	s_or_b64 exec, exec, s[0:1]
	v_cmp_lt_u32_e32 vcc, v32, v12
	s_and_saveexec_b64 s[0:1], vcc
	s_cbranch_execz .LBB3405_138
.LBB3405_185:
	v_readfirstlane_b32 s2, v2
	v_readfirstlane_b32 s3, v3
	s_waitcnt lgkmcnt(12)
	s_nop 3
	global_store_short v1, v30, s[2:3] offset:3584
	s_or_b64 exec, exec, s[0:1]
	v_cmp_lt_u32_e32 vcc, v29, v12
	s_and_saveexec_b64 s[0:1], vcc
	s_cbranch_execz .LBB3405_139
.LBB3405_186:
	v_lshlrev_b32_e32 v15, 1, v29
	v_readfirstlane_b32 s2, v2
	v_readfirstlane_b32 s3, v3
	s_waitcnt lgkmcnt(11)
	s_nop 3
	global_store_short v15, v31, s[2:3]
	s_or_b64 exec, exec, s[0:1]
	v_cmp_lt_u32_e32 vcc, v27, v12
	s_and_saveexec_b64 s[0:1], vcc
	s_cbranch_execz .LBB3405_140
.LBB3405_187:
	v_lshlrev_b32_e32 v15, 1, v27
	v_readfirstlane_b32 s2, v2
	v_readfirstlane_b32 s3, v3
	s_waitcnt lgkmcnt(10)
	s_nop 3
	global_store_short v15, v28, s[2:3]
	s_or_b64 exec, exec, s[0:1]
	v_cmp_lt_u32_e32 vcc, v25, v12
	s_and_saveexec_b64 s[0:1], vcc
	s_cbranch_execz .LBB3405_141
.LBB3405_188:
	v_lshlrev_b32_e32 v15, 1, v25
	v_readfirstlane_b32 s2, v2
	v_readfirstlane_b32 s3, v3
	s_waitcnt lgkmcnt(9)
	s_nop 3
	global_store_short v15, v26, s[2:3]
	s_or_b64 exec, exec, s[0:1]
	v_cmp_lt_u32_e32 vcc, v23, v12
	s_and_saveexec_b64 s[0:1], vcc
	s_cbranch_execz .LBB3405_142
.LBB3405_189:
	v_lshlrev_b32_e32 v15, 1, v23
	v_readfirstlane_b32 s2, v2
	v_readfirstlane_b32 s3, v3
	s_waitcnt lgkmcnt(8)
	s_nop 3
	global_store_short v15, v24, s[2:3]
	s_or_b64 exec, exec, s[0:1]
	v_cmp_lt_u32_e32 vcc, v21, v12
	s_and_saveexec_b64 s[0:1], vcc
	s_cbranch_execz .LBB3405_143
.LBB3405_190:
	v_lshlrev_b32_e32 v15, 1, v21
	v_readfirstlane_b32 s2, v2
	v_readfirstlane_b32 s3, v3
	s_waitcnt lgkmcnt(7)
	s_nop 3
	global_store_short v15, v22, s[2:3]
	s_or_b64 exec, exec, s[0:1]
	v_cmp_lt_u32_e32 vcc, v19, v12
	s_and_saveexec_b64 s[0:1], vcc
	s_cbranch_execz .LBB3405_144
.LBB3405_191:
	v_lshlrev_b32_e32 v15, 1, v19
	v_readfirstlane_b32 s2, v2
	v_readfirstlane_b32 s3, v3
	s_waitcnt lgkmcnt(6)
	s_nop 3
	global_store_short v15, v20, s[2:3]
	s_or_b64 exec, exec, s[0:1]
	v_cmp_lt_u32_e32 vcc, v17, v12
	s_and_saveexec_b64 s[0:1], vcc
	s_cbranch_execz .LBB3405_145
.LBB3405_192:
	v_lshlrev_b32_e32 v15, 1, v17
	v_readfirstlane_b32 s2, v2
	v_readfirstlane_b32 s3, v3
	s_waitcnt lgkmcnt(5)
	s_nop 3
	global_store_short v15, v18, s[2:3]
	s_or_b64 exec, exec, s[0:1]
	v_cmp_lt_u32_e32 vcc, v13, v12
	s_and_saveexec_b64 s[0:1], vcc
	s_cbranch_execz .LBB3405_146
.LBB3405_193:
	v_lshlrev_b32_e32 v15, 1, v13
	v_readfirstlane_b32 s2, v2
	v_readfirstlane_b32 s3, v3
	s_waitcnt lgkmcnt(4)
	s_nop 3
	global_store_short v15, v16, s[2:3]
	s_or_b64 exec, exec, s[0:1]
	v_cmp_lt_u32_e32 vcc, v11, v12
	s_and_saveexec_b64 s[0:1], vcc
	s_cbranch_execz .LBB3405_147
.LBB3405_194:
	v_lshlrev_b32_e32 v15, 1, v11
	v_readfirstlane_b32 s2, v2
	v_readfirstlane_b32 s3, v3
	s_waitcnt lgkmcnt(3)
	s_nop 3
	global_store_short v15, v10, s[2:3]
	s_or_b64 exec, exec, s[0:1]
	v_cmp_lt_u32_e32 vcc, v9, v12
	s_and_saveexec_b64 s[0:1], vcc
	s_cbranch_execz .LBB3405_148
.LBB3405_195:
	v_lshlrev_b32_e32 v15, 1, v9
	v_readfirstlane_b32 s2, v2
	v_readfirstlane_b32 s3, v3
	s_waitcnt lgkmcnt(2)
	s_nop 3
	global_store_short v15, v8, s[2:3]
	s_or_b64 exec, exec, s[0:1]
	v_cmp_lt_u32_e32 vcc, v7, v12
	s_and_saveexec_b64 s[0:1], vcc
	s_cbranch_execnz .LBB3405_149
	s_branch .LBB3405_150
.LBB3405_196:
	v_readfirstlane_b32 s2, v2
	v_readfirstlane_b32 s3, v3
	s_waitcnt lgkmcnt(14)
	s_nop 3
	global_store_short v1, v45, s[2:3]
	s_or_b64 exec, exec, s[0:1]
	v_cmp_lt_u32_e32 vcc, v43, v46
	s_and_saveexec_b64 s[0:1], vcc
	s_cbranch_execz .LBB3405_154
.LBB3405_197:
	v_readfirstlane_b32 s2, v2
	v_readfirstlane_b32 s3, v3
	s_waitcnt lgkmcnt(14)
	s_nop 3
	global_store_short v1, v44, s[2:3] offset:512
	s_or_b64 exec, exec, s[0:1]
	v_cmp_lt_u32_e32 vcc, v41, v46
	s_and_saveexec_b64 s[0:1], vcc
	s_cbranch_execz .LBB3405_155
.LBB3405_198:
	v_readfirstlane_b32 s2, v2
	v_readfirstlane_b32 s3, v3
	s_waitcnt lgkmcnt(14)
	s_nop 3
	global_store_short v1, v42, s[2:3] offset:1024
	s_or_b64 exec, exec, s[0:1]
	v_cmp_lt_u32_e32 vcc, v39, v46
	s_and_saveexec_b64 s[0:1], vcc
	s_cbranch_execz .LBB3405_156
.LBB3405_199:
	v_readfirstlane_b32 s2, v2
	v_readfirstlane_b32 s3, v3
	s_waitcnt lgkmcnt(14)
	s_nop 3
	global_store_short v1, v40, s[2:3] offset:1536
	s_or_b64 exec, exec, s[0:1]
	v_cmp_lt_u32_e32 vcc, v37, v46
	s_and_saveexec_b64 s[0:1], vcc
	s_cbranch_execz .LBB3405_157
.LBB3405_200:
	v_readfirstlane_b32 s2, v2
	v_readfirstlane_b32 s3, v3
	s_waitcnt lgkmcnt(14)
	s_nop 3
	global_store_short v1, v38, s[2:3] offset:2048
	s_or_b64 exec, exec, s[0:1]
	v_cmp_lt_u32_e32 vcc, v36, v46
	s_and_saveexec_b64 s[0:1], vcc
	s_cbranch_execz .LBB3405_158
.LBB3405_201:
	v_readfirstlane_b32 s2, v2
	v_readfirstlane_b32 s3, v3
	s_waitcnt lgkmcnt(14)
	s_nop 3
	global_store_short v1, v35, s[2:3] offset:2560
	s_or_b64 exec, exec, s[0:1]
	v_cmp_lt_u32_e32 vcc, v34, v46
	s_and_saveexec_b64 s[0:1], vcc
	s_cbranch_execz .LBB3405_159
.LBB3405_202:
	v_readfirstlane_b32 s2, v2
	v_readfirstlane_b32 s3, v3
	s_waitcnt lgkmcnt(13)
	s_nop 3
	global_store_short v1, v33, s[2:3] offset:3072
	s_or_b64 exec, exec, s[0:1]
	v_cmp_lt_u32_e32 vcc, v32, v46
	s_and_saveexec_b64 s[0:1], vcc
	s_cbranch_execz .LBB3405_160
.LBB3405_203:
	v_readfirstlane_b32 s2, v2
	v_readfirstlane_b32 s3, v3
	s_waitcnt lgkmcnt(12)
	s_nop 3
	global_store_short v1, v30, s[2:3] offset:3584
	s_or_b64 exec, exec, s[0:1]
	v_cmp_lt_u32_e32 vcc, v29, v46
	s_and_saveexec_b64 s[0:1], vcc
	s_cbranch_execz .LBB3405_161
.LBB3405_204:
	v_lshlrev_b32_e32 v1, 1, v29
	v_readfirstlane_b32 s2, v2
	v_readfirstlane_b32 s3, v3
	s_waitcnt lgkmcnt(11)
	s_nop 3
	global_store_short v1, v31, s[2:3]
	s_or_b64 exec, exec, s[0:1]
	v_cmp_lt_u32_e32 vcc, v27, v46
	s_and_saveexec_b64 s[0:1], vcc
	s_cbranch_execz .LBB3405_162
.LBB3405_205:
	v_lshlrev_b32_e32 v1, 1, v27
	v_readfirstlane_b32 s2, v2
	v_readfirstlane_b32 s3, v3
	s_waitcnt lgkmcnt(10)
	s_nop 3
	global_store_short v1, v28, s[2:3]
	s_or_b64 exec, exec, s[0:1]
	v_cmp_lt_u32_e32 vcc, v25, v46
	s_and_saveexec_b64 s[0:1], vcc
	s_cbranch_execz .LBB3405_163
.LBB3405_206:
	v_lshlrev_b32_e32 v1, 1, v25
	v_readfirstlane_b32 s2, v2
	v_readfirstlane_b32 s3, v3
	s_waitcnt lgkmcnt(9)
	s_nop 3
	global_store_short v1, v26, s[2:3]
	s_or_b64 exec, exec, s[0:1]
	v_cmp_lt_u32_e32 vcc, v23, v46
	s_and_saveexec_b64 s[0:1], vcc
	s_cbranch_execz .LBB3405_164
.LBB3405_207:
	v_lshlrev_b32_e32 v1, 1, v23
	v_readfirstlane_b32 s2, v2
	v_readfirstlane_b32 s3, v3
	s_waitcnt lgkmcnt(8)
	s_nop 3
	global_store_short v1, v24, s[2:3]
	s_or_b64 exec, exec, s[0:1]
	v_cmp_lt_u32_e32 vcc, v21, v46
	s_and_saveexec_b64 s[0:1], vcc
	s_cbranch_execz .LBB3405_165
.LBB3405_208:
	v_lshlrev_b32_e32 v1, 1, v21
	v_readfirstlane_b32 s2, v2
	v_readfirstlane_b32 s3, v3
	s_waitcnt lgkmcnt(7)
	s_nop 3
	global_store_short v1, v22, s[2:3]
	s_or_b64 exec, exec, s[0:1]
	v_cmp_lt_u32_e32 vcc, v19, v46
	s_and_saveexec_b64 s[0:1], vcc
	s_cbranch_execz .LBB3405_166
.LBB3405_209:
	v_lshlrev_b32_e32 v1, 1, v19
	v_readfirstlane_b32 s2, v2
	v_readfirstlane_b32 s3, v3
	s_waitcnt lgkmcnt(6)
	s_nop 3
	global_store_short v1, v20, s[2:3]
	s_or_b64 exec, exec, s[0:1]
	v_cmp_lt_u32_e32 vcc, v17, v46
	s_and_saveexec_b64 s[0:1], vcc
	s_cbranch_execz .LBB3405_167
.LBB3405_210:
	v_lshlrev_b32_e32 v1, 1, v17
	v_readfirstlane_b32 s2, v2
	v_readfirstlane_b32 s3, v3
	s_waitcnt lgkmcnt(5)
	s_nop 3
	global_store_short v1, v18, s[2:3]
	s_or_b64 exec, exec, s[0:1]
	v_cmp_lt_u32_e32 vcc, v13, v46
	s_and_saveexec_b64 s[0:1], vcc
	s_cbranch_execz .LBB3405_168
.LBB3405_211:
	v_lshlrev_b32_e32 v1, 1, v13
	v_readfirstlane_b32 s2, v2
	v_readfirstlane_b32 s3, v3
	s_waitcnt lgkmcnt(4)
	s_nop 3
	global_store_short v1, v16, s[2:3]
	s_or_b64 exec, exec, s[0:1]
	v_cmp_lt_u32_e32 vcc, v11, v46
	s_and_saveexec_b64 s[0:1], vcc
	s_cbranch_execz .LBB3405_169
.LBB3405_212:
	v_lshlrev_b32_e32 v1, 1, v11
	v_readfirstlane_b32 s2, v2
	v_readfirstlane_b32 s3, v3
	s_waitcnt lgkmcnt(3)
	s_nop 3
	global_store_short v1, v10, s[2:3]
	s_or_b64 exec, exec, s[0:1]
	v_cmp_lt_u32_e32 vcc, v9, v46
	s_and_saveexec_b64 s[0:1], vcc
	s_cbranch_execz .LBB3405_170
.LBB3405_213:
	v_lshlrev_b32_e32 v1, 1, v9
	v_readfirstlane_b32 s2, v2
	v_readfirstlane_b32 s3, v3
	s_waitcnt lgkmcnt(2)
	s_nop 3
	global_store_short v1, v8, s[2:3]
	s_or_b64 exec, exec, s[0:1]
	v_cmp_lt_u32_e32 vcc, v7, v46
	s_and_saveexec_b64 s[0:1], vcc
	s_cbranch_execnz .LBB3405_171
	s_branch .LBB3405_172
	.section	.rodata,"a",@progbits
	.p2align	6, 0x0
	.amdhsa_kernel _ZN7rocprim17ROCPRIM_400000_NS6detail17trampoline_kernelINS0_14default_configENS1_25partition_config_selectorILNS1_17partition_subalgoE1EsNS0_10empty_typeEbEEZZNS1_14partition_implILS5_1ELb0ES3_jN6thrust23THRUST_200600_302600_NS6detail15normal_iteratorINSA_10device_ptrIsEEEEPS6_NSA_18transform_iteratorI7is_evenIsESF_NSA_11use_defaultESK_EENS0_5tupleIJSF_NSA_16discard_iteratorISK_EEEEENSM_IJSG_SG_EEES6_PlJS6_EEE10hipError_tPvRmT3_T4_T5_T6_T7_T9_mT8_P12ihipStream_tbDpT10_ENKUlT_T0_E_clISt17integral_constantIbLb1EES1A_IbLb0EEEEDaS16_S17_EUlS16_E_NS1_11comp_targetILNS1_3genE4ELNS1_11target_archE910ELNS1_3gpuE8ELNS1_3repE0EEENS1_30default_config_static_selectorELNS0_4arch9wavefront6targetE1EEEvT1_
		.amdhsa_group_segment_fixed_size 10248
		.amdhsa_private_segment_fixed_size 0
		.amdhsa_kernarg_size 136
		.amdhsa_user_sgpr_count 6
		.amdhsa_user_sgpr_private_segment_buffer 1
		.amdhsa_user_sgpr_dispatch_ptr 0
		.amdhsa_user_sgpr_queue_ptr 0
		.amdhsa_user_sgpr_kernarg_segment_ptr 1
		.amdhsa_user_sgpr_dispatch_id 0
		.amdhsa_user_sgpr_flat_scratch_init 0
		.amdhsa_user_sgpr_kernarg_preload_length 0
		.amdhsa_user_sgpr_kernarg_preload_offset 0
		.amdhsa_user_sgpr_private_segment_size 0
		.amdhsa_uses_dynamic_stack 0
		.amdhsa_system_sgpr_private_segment_wavefront_offset 0
		.amdhsa_system_sgpr_workgroup_id_x 1
		.amdhsa_system_sgpr_workgroup_id_y 0
		.amdhsa_system_sgpr_workgroup_id_z 0
		.amdhsa_system_sgpr_workgroup_info 0
		.amdhsa_system_vgpr_workitem_id 0
		.amdhsa_next_free_vgpr 65
		.amdhsa_next_free_sgpr 40
		.amdhsa_accum_offset 68
		.amdhsa_reserve_vcc 1
		.amdhsa_reserve_flat_scratch 0
		.amdhsa_float_round_mode_32 0
		.amdhsa_float_round_mode_16_64 0
		.amdhsa_float_denorm_mode_32 3
		.amdhsa_float_denorm_mode_16_64 3
		.amdhsa_dx10_clamp 1
		.amdhsa_ieee_mode 1
		.amdhsa_fp16_overflow 0
		.amdhsa_tg_split 0
		.amdhsa_exception_fp_ieee_invalid_op 0
		.amdhsa_exception_fp_denorm_src 0
		.amdhsa_exception_fp_ieee_div_zero 0
		.amdhsa_exception_fp_ieee_overflow 0
		.amdhsa_exception_fp_ieee_underflow 0
		.amdhsa_exception_fp_ieee_inexact 0
		.amdhsa_exception_int_div_zero 0
	.end_amdhsa_kernel
	.section	.text._ZN7rocprim17ROCPRIM_400000_NS6detail17trampoline_kernelINS0_14default_configENS1_25partition_config_selectorILNS1_17partition_subalgoE1EsNS0_10empty_typeEbEEZZNS1_14partition_implILS5_1ELb0ES3_jN6thrust23THRUST_200600_302600_NS6detail15normal_iteratorINSA_10device_ptrIsEEEEPS6_NSA_18transform_iteratorI7is_evenIsESF_NSA_11use_defaultESK_EENS0_5tupleIJSF_NSA_16discard_iteratorISK_EEEEENSM_IJSG_SG_EEES6_PlJS6_EEE10hipError_tPvRmT3_T4_T5_T6_T7_T9_mT8_P12ihipStream_tbDpT10_ENKUlT_T0_E_clISt17integral_constantIbLb1EES1A_IbLb0EEEEDaS16_S17_EUlS16_E_NS1_11comp_targetILNS1_3genE4ELNS1_11target_archE910ELNS1_3gpuE8ELNS1_3repE0EEENS1_30default_config_static_selectorELNS0_4arch9wavefront6targetE1EEEvT1_,"axG",@progbits,_ZN7rocprim17ROCPRIM_400000_NS6detail17trampoline_kernelINS0_14default_configENS1_25partition_config_selectorILNS1_17partition_subalgoE1EsNS0_10empty_typeEbEEZZNS1_14partition_implILS5_1ELb0ES3_jN6thrust23THRUST_200600_302600_NS6detail15normal_iteratorINSA_10device_ptrIsEEEEPS6_NSA_18transform_iteratorI7is_evenIsESF_NSA_11use_defaultESK_EENS0_5tupleIJSF_NSA_16discard_iteratorISK_EEEEENSM_IJSG_SG_EEES6_PlJS6_EEE10hipError_tPvRmT3_T4_T5_T6_T7_T9_mT8_P12ihipStream_tbDpT10_ENKUlT_T0_E_clISt17integral_constantIbLb1EES1A_IbLb0EEEEDaS16_S17_EUlS16_E_NS1_11comp_targetILNS1_3genE4ELNS1_11target_archE910ELNS1_3gpuE8ELNS1_3repE0EEENS1_30default_config_static_selectorELNS0_4arch9wavefront6targetE1EEEvT1_,comdat
.Lfunc_end3405:
	.size	_ZN7rocprim17ROCPRIM_400000_NS6detail17trampoline_kernelINS0_14default_configENS1_25partition_config_selectorILNS1_17partition_subalgoE1EsNS0_10empty_typeEbEEZZNS1_14partition_implILS5_1ELb0ES3_jN6thrust23THRUST_200600_302600_NS6detail15normal_iteratorINSA_10device_ptrIsEEEEPS6_NSA_18transform_iteratorI7is_evenIsESF_NSA_11use_defaultESK_EENS0_5tupleIJSF_NSA_16discard_iteratorISK_EEEEENSM_IJSG_SG_EEES6_PlJS6_EEE10hipError_tPvRmT3_T4_T5_T6_T7_T9_mT8_P12ihipStream_tbDpT10_ENKUlT_T0_E_clISt17integral_constantIbLb1EES1A_IbLb0EEEEDaS16_S17_EUlS16_E_NS1_11comp_targetILNS1_3genE4ELNS1_11target_archE910ELNS1_3gpuE8ELNS1_3repE0EEENS1_30default_config_static_selectorELNS0_4arch9wavefront6targetE1EEEvT1_, .Lfunc_end3405-_ZN7rocprim17ROCPRIM_400000_NS6detail17trampoline_kernelINS0_14default_configENS1_25partition_config_selectorILNS1_17partition_subalgoE1EsNS0_10empty_typeEbEEZZNS1_14partition_implILS5_1ELb0ES3_jN6thrust23THRUST_200600_302600_NS6detail15normal_iteratorINSA_10device_ptrIsEEEEPS6_NSA_18transform_iteratorI7is_evenIsESF_NSA_11use_defaultESK_EENS0_5tupleIJSF_NSA_16discard_iteratorISK_EEEEENSM_IJSG_SG_EEES6_PlJS6_EEE10hipError_tPvRmT3_T4_T5_T6_T7_T9_mT8_P12ihipStream_tbDpT10_ENKUlT_T0_E_clISt17integral_constantIbLb1EES1A_IbLb0EEEEDaS16_S17_EUlS16_E_NS1_11comp_targetILNS1_3genE4ELNS1_11target_archE910ELNS1_3gpuE8ELNS1_3repE0EEENS1_30default_config_static_selectorELNS0_4arch9wavefront6targetE1EEEvT1_
                                        ; -- End function
	.section	.AMDGPU.csdata,"",@progbits
; Kernel info:
; codeLenInByte = 9328
; NumSgprs: 44
; NumVgprs: 65
; NumAgprs: 0
; TotalNumVgprs: 65
; ScratchSize: 0
; MemoryBound: 0
; FloatMode: 240
; IeeeMode: 1
; LDSByteSize: 10248 bytes/workgroup (compile time only)
; SGPRBlocks: 5
; VGPRBlocks: 8
; NumSGPRsForWavesPerEU: 44
; NumVGPRsForWavesPerEU: 65
; AccumOffset: 68
; Occupancy: 6
; WaveLimiterHint : 1
; COMPUTE_PGM_RSRC2:SCRATCH_EN: 0
; COMPUTE_PGM_RSRC2:USER_SGPR: 6
; COMPUTE_PGM_RSRC2:TRAP_HANDLER: 0
; COMPUTE_PGM_RSRC2:TGID_X_EN: 1
; COMPUTE_PGM_RSRC2:TGID_Y_EN: 0
; COMPUTE_PGM_RSRC2:TGID_Z_EN: 0
; COMPUTE_PGM_RSRC2:TIDIG_COMP_CNT: 0
; COMPUTE_PGM_RSRC3_GFX90A:ACCUM_OFFSET: 16
; COMPUTE_PGM_RSRC3_GFX90A:TG_SPLIT: 0
	.section	.text._ZN7rocprim17ROCPRIM_400000_NS6detail17trampoline_kernelINS0_14default_configENS1_25partition_config_selectorILNS1_17partition_subalgoE1EsNS0_10empty_typeEbEEZZNS1_14partition_implILS5_1ELb0ES3_jN6thrust23THRUST_200600_302600_NS6detail15normal_iteratorINSA_10device_ptrIsEEEEPS6_NSA_18transform_iteratorI7is_evenIsESF_NSA_11use_defaultESK_EENS0_5tupleIJSF_NSA_16discard_iteratorISK_EEEEENSM_IJSG_SG_EEES6_PlJS6_EEE10hipError_tPvRmT3_T4_T5_T6_T7_T9_mT8_P12ihipStream_tbDpT10_ENKUlT_T0_E_clISt17integral_constantIbLb1EES1A_IbLb0EEEEDaS16_S17_EUlS16_E_NS1_11comp_targetILNS1_3genE3ELNS1_11target_archE908ELNS1_3gpuE7ELNS1_3repE0EEENS1_30default_config_static_selectorELNS0_4arch9wavefront6targetE1EEEvT1_,"axG",@progbits,_ZN7rocprim17ROCPRIM_400000_NS6detail17trampoline_kernelINS0_14default_configENS1_25partition_config_selectorILNS1_17partition_subalgoE1EsNS0_10empty_typeEbEEZZNS1_14partition_implILS5_1ELb0ES3_jN6thrust23THRUST_200600_302600_NS6detail15normal_iteratorINSA_10device_ptrIsEEEEPS6_NSA_18transform_iteratorI7is_evenIsESF_NSA_11use_defaultESK_EENS0_5tupleIJSF_NSA_16discard_iteratorISK_EEEEENSM_IJSG_SG_EEES6_PlJS6_EEE10hipError_tPvRmT3_T4_T5_T6_T7_T9_mT8_P12ihipStream_tbDpT10_ENKUlT_T0_E_clISt17integral_constantIbLb1EES1A_IbLb0EEEEDaS16_S17_EUlS16_E_NS1_11comp_targetILNS1_3genE3ELNS1_11target_archE908ELNS1_3gpuE7ELNS1_3repE0EEENS1_30default_config_static_selectorELNS0_4arch9wavefront6targetE1EEEvT1_,comdat
	.protected	_ZN7rocprim17ROCPRIM_400000_NS6detail17trampoline_kernelINS0_14default_configENS1_25partition_config_selectorILNS1_17partition_subalgoE1EsNS0_10empty_typeEbEEZZNS1_14partition_implILS5_1ELb0ES3_jN6thrust23THRUST_200600_302600_NS6detail15normal_iteratorINSA_10device_ptrIsEEEEPS6_NSA_18transform_iteratorI7is_evenIsESF_NSA_11use_defaultESK_EENS0_5tupleIJSF_NSA_16discard_iteratorISK_EEEEENSM_IJSG_SG_EEES6_PlJS6_EEE10hipError_tPvRmT3_T4_T5_T6_T7_T9_mT8_P12ihipStream_tbDpT10_ENKUlT_T0_E_clISt17integral_constantIbLb1EES1A_IbLb0EEEEDaS16_S17_EUlS16_E_NS1_11comp_targetILNS1_3genE3ELNS1_11target_archE908ELNS1_3gpuE7ELNS1_3repE0EEENS1_30default_config_static_selectorELNS0_4arch9wavefront6targetE1EEEvT1_ ; -- Begin function _ZN7rocprim17ROCPRIM_400000_NS6detail17trampoline_kernelINS0_14default_configENS1_25partition_config_selectorILNS1_17partition_subalgoE1EsNS0_10empty_typeEbEEZZNS1_14partition_implILS5_1ELb0ES3_jN6thrust23THRUST_200600_302600_NS6detail15normal_iteratorINSA_10device_ptrIsEEEEPS6_NSA_18transform_iteratorI7is_evenIsESF_NSA_11use_defaultESK_EENS0_5tupleIJSF_NSA_16discard_iteratorISK_EEEEENSM_IJSG_SG_EEES6_PlJS6_EEE10hipError_tPvRmT3_T4_T5_T6_T7_T9_mT8_P12ihipStream_tbDpT10_ENKUlT_T0_E_clISt17integral_constantIbLb1EES1A_IbLb0EEEEDaS16_S17_EUlS16_E_NS1_11comp_targetILNS1_3genE3ELNS1_11target_archE908ELNS1_3gpuE7ELNS1_3repE0EEENS1_30default_config_static_selectorELNS0_4arch9wavefront6targetE1EEEvT1_
	.globl	_ZN7rocprim17ROCPRIM_400000_NS6detail17trampoline_kernelINS0_14default_configENS1_25partition_config_selectorILNS1_17partition_subalgoE1EsNS0_10empty_typeEbEEZZNS1_14partition_implILS5_1ELb0ES3_jN6thrust23THRUST_200600_302600_NS6detail15normal_iteratorINSA_10device_ptrIsEEEEPS6_NSA_18transform_iteratorI7is_evenIsESF_NSA_11use_defaultESK_EENS0_5tupleIJSF_NSA_16discard_iteratorISK_EEEEENSM_IJSG_SG_EEES6_PlJS6_EEE10hipError_tPvRmT3_T4_T5_T6_T7_T9_mT8_P12ihipStream_tbDpT10_ENKUlT_T0_E_clISt17integral_constantIbLb1EES1A_IbLb0EEEEDaS16_S17_EUlS16_E_NS1_11comp_targetILNS1_3genE3ELNS1_11target_archE908ELNS1_3gpuE7ELNS1_3repE0EEENS1_30default_config_static_selectorELNS0_4arch9wavefront6targetE1EEEvT1_
	.p2align	8
	.type	_ZN7rocprim17ROCPRIM_400000_NS6detail17trampoline_kernelINS0_14default_configENS1_25partition_config_selectorILNS1_17partition_subalgoE1EsNS0_10empty_typeEbEEZZNS1_14partition_implILS5_1ELb0ES3_jN6thrust23THRUST_200600_302600_NS6detail15normal_iteratorINSA_10device_ptrIsEEEEPS6_NSA_18transform_iteratorI7is_evenIsESF_NSA_11use_defaultESK_EENS0_5tupleIJSF_NSA_16discard_iteratorISK_EEEEENSM_IJSG_SG_EEES6_PlJS6_EEE10hipError_tPvRmT3_T4_T5_T6_T7_T9_mT8_P12ihipStream_tbDpT10_ENKUlT_T0_E_clISt17integral_constantIbLb1EES1A_IbLb0EEEEDaS16_S17_EUlS16_E_NS1_11comp_targetILNS1_3genE3ELNS1_11target_archE908ELNS1_3gpuE7ELNS1_3repE0EEENS1_30default_config_static_selectorELNS0_4arch9wavefront6targetE1EEEvT1_,@function
_ZN7rocprim17ROCPRIM_400000_NS6detail17trampoline_kernelINS0_14default_configENS1_25partition_config_selectorILNS1_17partition_subalgoE1EsNS0_10empty_typeEbEEZZNS1_14partition_implILS5_1ELb0ES3_jN6thrust23THRUST_200600_302600_NS6detail15normal_iteratorINSA_10device_ptrIsEEEEPS6_NSA_18transform_iteratorI7is_evenIsESF_NSA_11use_defaultESK_EENS0_5tupleIJSF_NSA_16discard_iteratorISK_EEEEENSM_IJSG_SG_EEES6_PlJS6_EEE10hipError_tPvRmT3_T4_T5_T6_T7_T9_mT8_P12ihipStream_tbDpT10_ENKUlT_T0_E_clISt17integral_constantIbLb1EES1A_IbLb0EEEEDaS16_S17_EUlS16_E_NS1_11comp_targetILNS1_3genE3ELNS1_11target_archE908ELNS1_3gpuE7ELNS1_3repE0EEENS1_30default_config_static_selectorELNS0_4arch9wavefront6targetE1EEEvT1_: ; @_ZN7rocprim17ROCPRIM_400000_NS6detail17trampoline_kernelINS0_14default_configENS1_25partition_config_selectorILNS1_17partition_subalgoE1EsNS0_10empty_typeEbEEZZNS1_14partition_implILS5_1ELb0ES3_jN6thrust23THRUST_200600_302600_NS6detail15normal_iteratorINSA_10device_ptrIsEEEEPS6_NSA_18transform_iteratorI7is_evenIsESF_NSA_11use_defaultESK_EENS0_5tupleIJSF_NSA_16discard_iteratorISK_EEEEENSM_IJSG_SG_EEES6_PlJS6_EEE10hipError_tPvRmT3_T4_T5_T6_T7_T9_mT8_P12ihipStream_tbDpT10_ENKUlT_T0_E_clISt17integral_constantIbLb1EES1A_IbLb0EEEEDaS16_S17_EUlS16_E_NS1_11comp_targetILNS1_3genE3ELNS1_11target_archE908ELNS1_3gpuE7ELNS1_3repE0EEENS1_30default_config_static_selectorELNS0_4arch9wavefront6targetE1EEEvT1_
; %bb.0:
	.section	.rodata,"a",@progbits
	.p2align	6, 0x0
	.amdhsa_kernel _ZN7rocprim17ROCPRIM_400000_NS6detail17trampoline_kernelINS0_14default_configENS1_25partition_config_selectorILNS1_17partition_subalgoE1EsNS0_10empty_typeEbEEZZNS1_14partition_implILS5_1ELb0ES3_jN6thrust23THRUST_200600_302600_NS6detail15normal_iteratorINSA_10device_ptrIsEEEEPS6_NSA_18transform_iteratorI7is_evenIsESF_NSA_11use_defaultESK_EENS0_5tupleIJSF_NSA_16discard_iteratorISK_EEEEENSM_IJSG_SG_EEES6_PlJS6_EEE10hipError_tPvRmT3_T4_T5_T6_T7_T9_mT8_P12ihipStream_tbDpT10_ENKUlT_T0_E_clISt17integral_constantIbLb1EES1A_IbLb0EEEEDaS16_S17_EUlS16_E_NS1_11comp_targetILNS1_3genE3ELNS1_11target_archE908ELNS1_3gpuE7ELNS1_3repE0EEENS1_30default_config_static_selectorELNS0_4arch9wavefront6targetE1EEEvT1_
		.amdhsa_group_segment_fixed_size 0
		.amdhsa_private_segment_fixed_size 0
		.amdhsa_kernarg_size 136
		.amdhsa_user_sgpr_count 6
		.amdhsa_user_sgpr_private_segment_buffer 1
		.amdhsa_user_sgpr_dispatch_ptr 0
		.amdhsa_user_sgpr_queue_ptr 0
		.amdhsa_user_sgpr_kernarg_segment_ptr 1
		.amdhsa_user_sgpr_dispatch_id 0
		.amdhsa_user_sgpr_flat_scratch_init 0
		.amdhsa_user_sgpr_kernarg_preload_length 0
		.amdhsa_user_sgpr_kernarg_preload_offset 0
		.amdhsa_user_sgpr_private_segment_size 0
		.amdhsa_uses_dynamic_stack 0
		.amdhsa_system_sgpr_private_segment_wavefront_offset 0
		.amdhsa_system_sgpr_workgroup_id_x 1
		.amdhsa_system_sgpr_workgroup_id_y 0
		.amdhsa_system_sgpr_workgroup_id_z 0
		.amdhsa_system_sgpr_workgroup_info 0
		.amdhsa_system_vgpr_workitem_id 0
		.amdhsa_next_free_vgpr 1
		.amdhsa_next_free_sgpr 0
		.amdhsa_accum_offset 4
		.amdhsa_reserve_vcc 0
		.amdhsa_reserve_flat_scratch 0
		.amdhsa_float_round_mode_32 0
		.amdhsa_float_round_mode_16_64 0
		.amdhsa_float_denorm_mode_32 3
		.amdhsa_float_denorm_mode_16_64 3
		.amdhsa_dx10_clamp 1
		.amdhsa_ieee_mode 1
		.amdhsa_fp16_overflow 0
		.amdhsa_tg_split 0
		.amdhsa_exception_fp_ieee_invalid_op 0
		.amdhsa_exception_fp_denorm_src 0
		.amdhsa_exception_fp_ieee_div_zero 0
		.amdhsa_exception_fp_ieee_overflow 0
		.amdhsa_exception_fp_ieee_underflow 0
		.amdhsa_exception_fp_ieee_inexact 0
		.amdhsa_exception_int_div_zero 0
	.end_amdhsa_kernel
	.section	.text._ZN7rocprim17ROCPRIM_400000_NS6detail17trampoline_kernelINS0_14default_configENS1_25partition_config_selectorILNS1_17partition_subalgoE1EsNS0_10empty_typeEbEEZZNS1_14partition_implILS5_1ELb0ES3_jN6thrust23THRUST_200600_302600_NS6detail15normal_iteratorINSA_10device_ptrIsEEEEPS6_NSA_18transform_iteratorI7is_evenIsESF_NSA_11use_defaultESK_EENS0_5tupleIJSF_NSA_16discard_iteratorISK_EEEEENSM_IJSG_SG_EEES6_PlJS6_EEE10hipError_tPvRmT3_T4_T5_T6_T7_T9_mT8_P12ihipStream_tbDpT10_ENKUlT_T0_E_clISt17integral_constantIbLb1EES1A_IbLb0EEEEDaS16_S17_EUlS16_E_NS1_11comp_targetILNS1_3genE3ELNS1_11target_archE908ELNS1_3gpuE7ELNS1_3repE0EEENS1_30default_config_static_selectorELNS0_4arch9wavefront6targetE1EEEvT1_,"axG",@progbits,_ZN7rocprim17ROCPRIM_400000_NS6detail17trampoline_kernelINS0_14default_configENS1_25partition_config_selectorILNS1_17partition_subalgoE1EsNS0_10empty_typeEbEEZZNS1_14partition_implILS5_1ELb0ES3_jN6thrust23THRUST_200600_302600_NS6detail15normal_iteratorINSA_10device_ptrIsEEEEPS6_NSA_18transform_iteratorI7is_evenIsESF_NSA_11use_defaultESK_EENS0_5tupleIJSF_NSA_16discard_iteratorISK_EEEEENSM_IJSG_SG_EEES6_PlJS6_EEE10hipError_tPvRmT3_T4_T5_T6_T7_T9_mT8_P12ihipStream_tbDpT10_ENKUlT_T0_E_clISt17integral_constantIbLb1EES1A_IbLb0EEEEDaS16_S17_EUlS16_E_NS1_11comp_targetILNS1_3genE3ELNS1_11target_archE908ELNS1_3gpuE7ELNS1_3repE0EEENS1_30default_config_static_selectorELNS0_4arch9wavefront6targetE1EEEvT1_,comdat
.Lfunc_end3406:
	.size	_ZN7rocprim17ROCPRIM_400000_NS6detail17trampoline_kernelINS0_14default_configENS1_25partition_config_selectorILNS1_17partition_subalgoE1EsNS0_10empty_typeEbEEZZNS1_14partition_implILS5_1ELb0ES3_jN6thrust23THRUST_200600_302600_NS6detail15normal_iteratorINSA_10device_ptrIsEEEEPS6_NSA_18transform_iteratorI7is_evenIsESF_NSA_11use_defaultESK_EENS0_5tupleIJSF_NSA_16discard_iteratorISK_EEEEENSM_IJSG_SG_EEES6_PlJS6_EEE10hipError_tPvRmT3_T4_T5_T6_T7_T9_mT8_P12ihipStream_tbDpT10_ENKUlT_T0_E_clISt17integral_constantIbLb1EES1A_IbLb0EEEEDaS16_S17_EUlS16_E_NS1_11comp_targetILNS1_3genE3ELNS1_11target_archE908ELNS1_3gpuE7ELNS1_3repE0EEENS1_30default_config_static_selectorELNS0_4arch9wavefront6targetE1EEEvT1_, .Lfunc_end3406-_ZN7rocprim17ROCPRIM_400000_NS6detail17trampoline_kernelINS0_14default_configENS1_25partition_config_selectorILNS1_17partition_subalgoE1EsNS0_10empty_typeEbEEZZNS1_14partition_implILS5_1ELb0ES3_jN6thrust23THRUST_200600_302600_NS6detail15normal_iteratorINSA_10device_ptrIsEEEEPS6_NSA_18transform_iteratorI7is_evenIsESF_NSA_11use_defaultESK_EENS0_5tupleIJSF_NSA_16discard_iteratorISK_EEEEENSM_IJSG_SG_EEES6_PlJS6_EEE10hipError_tPvRmT3_T4_T5_T6_T7_T9_mT8_P12ihipStream_tbDpT10_ENKUlT_T0_E_clISt17integral_constantIbLb1EES1A_IbLb0EEEEDaS16_S17_EUlS16_E_NS1_11comp_targetILNS1_3genE3ELNS1_11target_archE908ELNS1_3gpuE7ELNS1_3repE0EEENS1_30default_config_static_selectorELNS0_4arch9wavefront6targetE1EEEvT1_
                                        ; -- End function
	.section	.AMDGPU.csdata,"",@progbits
; Kernel info:
; codeLenInByte = 0
; NumSgprs: 4
; NumVgprs: 0
; NumAgprs: 0
; TotalNumVgprs: 0
; ScratchSize: 0
; MemoryBound: 0
; FloatMode: 240
; IeeeMode: 1
; LDSByteSize: 0 bytes/workgroup (compile time only)
; SGPRBlocks: 0
; VGPRBlocks: 0
; NumSGPRsForWavesPerEU: 4
; NumVGPRsForWavesPerEU: 1
; AccumOffset: 4
; Occupancy: 8
; WaveLimiterHint : 0
; COMPUTE_PGM_RSRC2:SCRATCH_EN: 0
; COMPUTE_PGM_RSRC2:USER_SGPR: 6
; COMPUTE_PGM_RSRC2:TRAP_HANDLER: 0
; COMPUTE_PGM_RSRC2:TGID_X_EN: 1
; COMPUTE_PGM_RSRC2:TGID_Y_EN: 0
; COMPUTE_PGM_RSRC2:TGID_Z_EN: 0
; COMPUTE_PGM_RSRC2:TIDIG_COMP_CNT: 0
; COMPUTE_PGM_RSRC3_GFX90A:ACCUM_OFFSET: 0
; COMPUTE_PGM_RSRC3_GFX90A:TG_SPLIT: 0
	.section	.text._ZN7rocprim17ROCPRIM_400000_NS6detail17trampoline_kernelINS0_14default_configENS1_25partition_config_selectorILNS1_17partition_subalgoE1EsNS0_10empty_typeEbEEZZNS1_14partition_implILS5_1ELb0ES3_jN6thrust23THRUST_200600_302600_NS6detail15normal_iteratorINSA_10device_ptrIsEEEEPS6_NSA_18transform_iteratorI7is_evenIsESF_NSA_11use_defaultESK_EENS0_5tupleIJSF_NSA_16discard_iteratorISK_EEEEENSM_IJSG_SG_EEES6_PlJS6_EEE10hipError_tPvRmT3_T4_T5_T6_T7_T9_mT8_P12ihipStream_tbDpT10_ENKUlT_T0_E_clISt17integral_constantIbLb1EES1A_IbLb0EEEEDaS16_S17_EUlS16_E_NS1_11comp_targetILNS1_3genE2ELNS1_11target_archE906ELNS1_3gpuE6ELNS1_3repE0EEENS1_30default_config_static_selectorELNS0_4arch9wavefront6targetE1EEEvT1_,"axG",@progbits,_ZN7rocprim17ROCPRIM_400000_NS6detail17trampoline_kernelINS0_14default_configENS1_25partition_config_selectorILNS1_17partition_subalgoE1EsNS0_10empty_typeEbEEZZNS1_14partition_implILS5_1ELb0ES3_jN6thrust23THRUST_200600_302600_NS6detail15normal_iteratorINSA_10device_ptrIsEEEEPS6_NSA_18transform_iteratorI7is_evenIsESF_NSA_11use_defaultESK_EENS0_5tupleIJSF_NSA_16discard_iteratorISK_EEEEENSM_IJSG_SG_EEES6_PlJS6_EEE10hipError_tPvRmT3_T4_T5_T6_T7_T9_mT8_P12ihipStream_tbDpT10_ENKUlT_T0_E_clISt17integral_constantIbLb1EES1A_IbLb0EEEEDaS16_S17_EUlS16_E_NS1_11comp_targetILNS1_3genE2ELNS1_11target_archE906ELNS1_3gpuE6ELNS1_3repE0EEENS1_30default_config_static_selectorELNS0_4arch9wavefront6targetE1EEEvT1_,comdat
	.protected	_ZN7rocprim17ROCPRIM_400000_NS6detail17trampoline_kernelINS0_14default_configENS1_25partition_config_selectorILNS1_17partition_subalgoE1EsNS0_10empty_typeEbEEZZNS1_14partition_implILS5_1ELb0ES3_jN6thrust23THRUST_200600_302600_NS6detail15normal_iteratorINSA_10device_ptrIsEEEEPS6_NSA_18transform_iteratorI7is_evenIsESF_NSA_11use_defaultESK_EENS0_5tupleIJSF_NSA_16discard_iteratorISK_EEEEENSM_IJSG_SG_EEES6_PlJS6_EEE10hipError_tPvRmT3_T4_T5_T6_T7_T9_mT8_P12ihipStream_tbDpT10_ENKUlT_T0_E_clISt17integral_constantIbLb1EES1A_IbLb0EEEEDaS16_S17_EUlS16_E_NS1_11comp_targetILNS1_3genE2ELNS1_11target_archE906ELNS1_3gpuE6ELNS1_3repE0EEENS1_30default_config_static_selectorELNS0_4arch9wavefront6targetE1EEEvT1_ ; -- Begin function _ZN7rocprim17ROCPRIM_400000_NS6detail17trampoline_kernelINS0_14default_configENS1_25partition_config_selectorILNS1_17partition_subalgoE1EsNS0_10empty_typeEbEEZZNS1_14partition_implILS5_1ELb0ES3_jN6thrust23THRUST_200600_302600_NS6detail15normal_iteratorINSA_10device_ptrIsEEEEPS6_NSA_18transform_iteratorI7is_evenIsESF_NSA_11use_defaultESK_EENS0_5tupleIJSF_NSA_16discard_iteratorISK_EEEEENSM_IJSG_SG_EEES6_PlJS6_EEE10hipError_tPvRmT3_T4_T5_T6_T7_T9_mT8_P12ihipStream_tbDpT10_ENKUlT_T0_E_clISt17integral_constantIbLb1EES1A_IbLb0EEEEDaS16_S17_EUlS16_E_NS1_11comp_targetILNS1_3genE2ELNS1_11target_archE906ELNS1_3gpuE6ELNS1_3repE0EEENS1_30default_config_static_selectorELNS0_4arch9wavefront6targetE1EEEvT1_
	.globl	_ZN7rocprim17ROCPRIM_400000_NS6detail17trampoline_kernelINS0_14default_configENS1_25partition_config_selectorILNS1_17partition_subalgoE1EsNS0_10empty_typeEbEEZZNS1_14partition_implILS5_1ELb0ES3_jN6thrust23THRUST_200600_302600_NS6detail15normal_iteratorINSA_10device_ptrIsEEEEPS6_NSA_18transform_iteratorI7is_evenIsESF_NSA_11use_defaultESK_EENS0_5tupleIJSF_NSA_16discard_iteratorISK_EEEEENSM_IJSG_SG_EEES6_PlJS6_EEE10hipError_tPvRmT3_T4_T5_T6_T7_T9_mT8_P12ihipStream_tbDpT10_ENKUlT_T0_E_clISt17integral_constantIbLb1EES1A_IbLb0EEEEDaS16_S17_EUlS16_E_NS1_11comp_targetILNS1_3genE2ELNS1_11target_archE906ELNS1_3gpuE6ELNS1_3repE0EEENS1_30default_config_static_selectorELNS0_4arch9wavefront6targetE1EEEvT1_
	.p2align	8
	.type	_ZN7rocprim17ROCPRIM_400000_NS6detail17trampoline_kernelINS0_14default_configENS1_25partition_config_selectorILNS1_17partition_subalgoE1EsNS0_10empty_typeEbEEZZNS1_14partition_implILS5_1ELb0ES3_jN6thrust23THRUST_200600_302600_NS6detail15normal_iteratorINSA_10device_ptrIsEEEEPS6_NSA_18transform_iteratorI7is_evenIsESF_NSA_11use_defaultESK_EENS0_5tupleIJSF_NSA_16discard_iteratorISK_EEEEENSM_IJSG_SG_EEES6_PlJS6_EEE10hipError_tPvRmT3_T4_T5_T6_T7_T9_mT8_P12ihipStream_tbDpT10_ENKUlT_T0_E_clISt17integral_constantIbLb1EES1A_IbLb0EEEEDaS16_S17_EUlS16_E_NS1_11comp_targetILNS1_3genE2ELNS1_11target_archE906ELNS1_3gpuE6ELNS1_3repE0EEENS1_30default_config_static_selectorELNS0_4arch9wavefront6targetE1EEEvT1_,@function
_ZN7rocprim17ROCPRIM_400000_NS6detail17trampoline_kernelINS0_14default_configENS1_25partition_config_selectorILNS1_17partition_subalgoE1EsNS0_10empty_typeEbEEZZNS1_14partition_implILS5_1ELb0ES3_jN6thrust23THRUST_200600_302600_NS6detail15normal_iteratorINSA_10device_ptrIsEEEEPS6_NSA_18transform_iteratorI7is_evenIsESF_NSA_11use_defaultESK_EENS0_5tupleIJSF_NSA_16discard_iteratorISK_EEEEENSM_IJSG_SG_EEES6_PlJS6_EEE10hipError_tPvRmT3_T4_T5_T6_T7_T9_mT8_P12ihipStream_tbDpT10_ENKUlT_T0_E_clISt17integral_constantIbLb1EES1A_IbLb0EEEEDaS16_S17_EUlS16_E_NS1_11comp_targetILNS1_3genE2ELNS1_11target_archE906ELNS1_3gpuE6ELNS1_3repE0EEENS1_30default_config_static_selectorELNS0_4arch9wavefront6targetE1EEEvT1_: ; @_ZN7rocprim17ROCPRIM_400000_NS6detail17trampoline_kernelINS0_14default_configENS1_25partition_config_selectorILNS1_17partition_subalgoE1EsNS0_10empty_typeEbEEZZNS1_14partition_implILS5_1ELb0ES3_jN6thrust23THRUST_200600_302600_NS6detail15normal_iteratorINSA_10device_ptrIsEEEEPS6_NSA_18transform_iteratorI7is_evenIsESF_NSA_11use_defaultESK_EENS0_5tupleIJSF_NSA_16discard_iteratorISK_EEEEENSM_IJSG_SG_EEES6_PlJS6_EEE10hipError_tPvRmT3_T4_T5_T6_T7_T9_mT8_P12ihipStream_tbDpT10_ENKUlT_T0_E_clISt17integral_constantIbLb1EES1A_IbLb0EEEEDaS16_S17_EUlS16_E_NS1_11comp_targetILNS1_3genE2ELNS1_11target_archE906ELNS1_3gpuE6ELNS1_3repE0EEENS1_30default_config_static_selectorELNS0_4arch9wavefront6targetE1EEEvT1_
; %bb.0:
	.section	.rodata,"a",@progbits
	.p2align	6, 0x0
	.amdhsa_kernel _ZN7rocprim17ROCPRIM_400000_NS6detail17trampoline_kernelINS0_14default_configENS1_25partition_config_selectorILNS1_17partition_subalgoE1EsNS0_10empty_typeEbEEZZNS1_14partition_implILS5_1ELb0ES3_jN6thrust23THRUST_200600_302600_NS6detail15normal_iteratorINSA_10device_ptrIsEEEEPS6_NSA_18transform_iteratorI7is_evenIsESF_NSA_11use_defaultESK_EENS0_5tupleIJSF_NSA_16discard_iteratorISK_EEEEENSM_IJSG_SG_EEES6_PlJS6_EEE10hipError_tPvRmT3_T4_T5_T6_T7_T9_mT8_P12ihipStream_tbDpT10_ENKUlT_T0_E_clISt17integral_constantIbLb1EES1A_IbLb0EEEEDaS16_S17_EUlS16_E_NS1_11comp_targetILNS1_3genE2ELNS1_11target_archE906ELNS1_3gpuE6ELNS1_3repE0EEENS1_30default_config_static_selectorELNS0_4arch9wavefront6targetE1EEEvT1_
		.amdhsa_group_segment_fixed_size 0
		.amdhsa_private_segment_fixed_size 0
		.amdhsa_kernarg_size 136
		.amdhsa_user_sgpr_count 6
		.amdhsa_user_sgpr_private_segment_buffer 1
		.amdhsa_user_sgpr_dispatch_ptr 0
		.amdhsa_user_sgpr_queue_ptr 0
		.amdhsa_user_sgpr_kernarg_segment_ptr 1
		.amdhsa_user_sgpr_dispatch_id 0
		.amdhsa_user_sgpr_flat_scratch_init 0
		.amdhsa_user_sgpr_kernarg_preload_length 0
		.amdhsa_user_sgpr_kernarg_preload_offset 0
		.amdhsa_user_sgpr_private_segment_size 0
		.amdhsa_uses_dynamic_stack 0
		.amdhsa_system_sgpr_private_segment_wavefront_offset 0
		.amdhsa_system_sgpr_workgroup_id_x 1
		.amdhsa_system_sgpr_workgroup_id_y 0
		.amdhsa_system_sgpr_workgroup_id_z 0
		.amdhsa_system_sgpr_workgroup_info 0
		.amdhsa_system_vgpr_workitem_id 0
		.amdhsa_next_free_vgpr 1
		.amdhsa_next_free_sgpr 0
		.amdhsa_accum_offset 4
		.amdhsa_reserve_vcc 0
		.amdhsa_reserve_flat_scratch 0
		.amdhsa_float_round_mode_32 0
		.amdhsa_float_round_mode_16_64 0
		.amdhsa_float_denorm_mode_32 3
		.amdhsa_float_denorm_mode_16_64 3
		.amdhsa_dx10_clamp 1
		.amdhsa_ieee_mode 1
		.amdhsa_fp16_overflow 0
		.amdhsa_tg_split 0
		.amdhsa_exception_fp_ieee_invalid_op 0
		.amdhsa_exception_fp_denorm_src 0
		.amdhsa_exception_fp_ieee_div_zero 0
		.amdhsa_exception_fp_ieee_overflow 0
		.amdhsa_exception_fp_ieee_underflow 0
		.amdhsa_exception_fp_ieee_inexact 0
		.amdhsa_exception_int_div_zero 0
	.end_amdhsa_kernel
	.section	.text._ZN7rocprim17ROCPRIM_400000_NS6detail17trampoline_kernelINS0_14default_configENS1_25partition_config_selectorILNS1_17partition_subalgoE1EsNS0_10empty_typeEbEEZZNS1_14partition_implILS5_1ELb0ES3_jN6thrust23THRUST_200600_302600_NS6detail15normal_iteratorINSA_10device_ptrIsEEEEPS6_NSA_18transform_iteratorI7is_evenIsESF_NSA_11use_defaultESK_EENS0_5tupleIJSF_NSA_16discard_iteratorISK_EEEEENSM_IJSG_SG_EEES6_PlJS6_EEE10hipError_tPvRmT3_T4_T5_T6_T7_T9_mT8_P12ihipStream_tbDpT10_ENKUlT_T0_E_clISt17integral_constantIbLb1EES1A_IbLb0EEEEDaS16_S17_EUlS16_E_NS1_11comp_targetILNS1_3genE2ELNS1_11target_archE906ELNS1_3gpuE6ELNS1_3repE0EEENS1_30default_config_static_selectorELNS0_4arch9wavefront6targetE1EEEvT1_,"axG",@progbits,_ZN7rocprim17ROCPRIM_400000_NS6detail17trampoline_kernelINS0_14default_configENS1_25partition_config_selectorILNS1_17partition_subalgoE1EsNS0_10empty_typeEbEEZZNS1_14partition_implILS5_1ELb0ES3_jN6thrust23THRUST_200600_302600_NS6detail15normal_iteratorINSA_10device_ptrIsEEEEPS6_NSA_18transform_iteratorI7is_evenIsESF_NSA_11use_defaultESK_EENS0_5tupleIJSF_NSA_16discard_iteratorISK_EEEEENSM_IJSG_SG_EEES6_PlJS6_EEE10hipError_tPvRmT3_T4_T5_T6_T7_T9_mT8_P12ihipStream_tbDpT10_ENKUlT_T0_E_clISt17integral_constantIbLb1EES1A_IbLb0EEEEDaS16_S17_EUlS16_E_NS1_11comp_targetILNS1_3genE2ELNS1_11target_archE906ELNS1_3gpuE6ELNS1_3repE0EEENS1_30default_config_static_selectorELNS0_4arch9wavefront6targetE1EEEvT1_,comdat
.Lfunc_end3407:
	.size	_ZN7rocprim17ROCPRIM_400000_NS6detail17trampoline_kernelINS0_14default_configENS1_25partition_config_selectorILNS1_17partition_subalgoE1EsNS0_10empty_typeEbEEZZNS1_14partition_implILS5_1ELb0ES3_jN6thrust23THRUST_200600_302600_NS6detail15normal_iteratorINSA_10device_ptrIsEEEEPS6_NSA_18transform_iteratorI7is_evenIsESF_NSA_11use_defaultESK_EENS0_5tupleIJSF_NSA_16discard_iteratorISK_EEEEENSM_IJSG_SG_EEES6_PlJS6_EEE10hipError_tPvRmT3_T4_T5_T6_T7_T9_mT8_P12ihipStream_tbDpT10_ENKUlT_T0_E_clISt17integral_constantIbLb1EES1A_IbLb0EEEEDaS16_S17_EUlS16_E_NS1_11comp_targetILNS1_3genE2ELNS1_11target_archE906ELNS1_3gpuE6ELNS1_3repE0EEENS1_30default_config_static_selectorELNS0_4arch9wavefront6targetE1EEEvT1_, .Lfunc_end3407-_ZN7rocprim17ROCPRIM_400000_NS6detail17trampoline_kernelINS0_14default_configENS1_25partition_config_selectorILNS1_17partition_subalgoE1EsNS0_10empty_typeEbEEZZNS1_14partition_implILS5_1ELb0ES3_jN6thrust23THRUST_200600_302600_NS6detail15normal_iteratorINSA_10device_ptrIsEEEEPS6_NSA_18transform_iteratorI7is_evenIsESF_NSA_11use_defaultESK_EENS0_5tupleIJSF_NSA_16discard_iteratorISK_EEEEENSM_IJSG_SG_EEES6_PlJS6_EEE10hipError_tPvRmT3_T4_T5_T6_T7_T9_mT8_P12ihipStream_tbDpT10_ENKUlT_T0_E_clISt17integral_constantIbLb1EES1A_IbLb0EEEEDaS16_S17_EUlS16_E_NS1_11comp_targetILNS1_3genE2ELNS1_11target_archE906ELNS1_3gpuE6ELNS1_3repE0EEENS1_30default_config_static_selectorELNS0_4arch9wavefront6targetE1EEEvT1_
                                        ; -- End function
	.section	.AMDGPU.csdata,"",@progbits
; Kernel info:
; codeLenInByte = 0
; NumSgprs: 4
; NumVgprs: 0
; NumAgprs: 0
; TotalNumVgprs: 0
; ScratchSize: 0
; MemoryBound: 0
; FloatMode: 240
; IeeeMode: 1
; LDSByteSize: 0 bytes/workgroup (compile time only)
; SGPRBlocks: 0
; VGPRBlocks: 0
; NumSGPRsForWavesPerEU: 4
; NumVGPRsForWavesPerEU: 1
; AccumOffset: 4
; Occupancy: 8
; WaveLimiterHint : 0
; COMPUTE_PGM_RSRC2:SCRATCH_EN: 0
; COMPUTE_PGM_RSRC2:USER_SGPR: 6
; COMPUTE_PGM_RSRC2:TRAP_HANDLER: 0
; COMPUTE_PGM_RSRC2:TGID_X_EN: 1
; COMPUTE_PGM_RSRC2:TGID_Y_EN: 0
; COMPUTE_PGM_RSRC2:TGID_Z_EN: 0
; COMPUTE_PGM_RSRC2:TIDIG_COMP_CNT: 0
; COMPUTE_PGM_RSRC3_GFX90A:ACCUM_OFFSET: 0
; COMPUTE_PGM_RSRC3_GFX90A:TG_SPLIT: 0
	.section	.text._ZN7rocprim17ROCPRIM_400000_NS6detail17trampoline_kernelINS0_14default_configENS1_25partition_config_selectorILNS1_17partition_subalgoE1EsNS0_10empty_typeEbEEZZNS1_14partition_implILS5_1ELb0ES3_jN6thrust23THRUST_200600_302600_NS6detail15normal_iteratorINSA_10device_ptrIsEEEEPS6_NSA_18transform_iteratorI7is_evenIsESF_NSA_11use_defaultESK_EENS0_5tupleIJSF_NSA_16discard_iteratorISK_EEEEENSM_IJSG_SG_EEES6_PlJS6_EEE10hipError_tPvRmT3_T4_T5_T6_T7_T9_mT8_P12ihipStream_tbDpT10_ENKUlT_T0_E_clISt17integral_constantIbLb1EES1A_IbLb0EEEEDaS16_S17_EUlS16_E_NS1_11comp_targetILNS1_3genE10ELNS1_11target_archE1200ELNS1_3gpuE4ELNS1_3repE0EEENS1_30default_config_static_selectorELNS0_4arch9wavefront6targetE1EEEvT1_,"axG",@progbits,_ZN7rocprim17ROCPRIM_400000_NS6detail17trampoline_kernelINS0_14default_configENS1_25partition_config_selectorILNS1_17partition_subalgoE1EsNS0_10empty_typeEbEEZZNS1_14partition_implILS5_1ELb0ES3_jN6thrust23THRUST_200600_302600_NS6detail15normal_iteratorINSA_10device_ptrIsEEEEPS6_NSA_18transform_iteratorI7is_evenIsESF_NSA_11use_defaultESK_EENS0_5tupleIJSF_NSA_16discard_iteratorISK_EEEEENSM_IJSG_SG_EEES6_PlJS6_EEE10hipError_tPvRmT3_T4_T5_T6_T7_T9_mT8_P12ihipStream_tbDpT10_ENKUlT_T0_E_clISt17integral_constantIbLb1EES1A_IbLb0EEEEDaS16_S17_EUlS16_E_NS1_11comp_targetILNS1_3genE10ELNS1_11target_archE1200ELNS1_3gpuE4ELNS1_3repE0EEENS1_30default_config_static_selectorELNS0_4arch9wavefront6targetE1EEEvT1_,comdat
	.protected	_ZN7rocprim17ROCPRIM_400000_NS6detail17trampoline_kernelINS0_14default_configENS1_25partition_config_selectorILNS1_17partition_subalgoE1EsNS0_10empty_typeEbEEZZNS1_14partition_implILS5_1ELb0ES3_jN6thrust23THRUST_200600_302600_NS6detail15normal_iteratorINSA_10device_ptrIsEEEEPS6_NSA_18transform_iteratorI7is_evenIsESF_NSA_11use_defaultESK_EENS0_5tupleIJSF_NSA_16discard_iteratorISK_EEEEENSM_IJSG_SG_EEES6_PlJS6_EEE10hipError_tPvRmT3_T4_T5_T6_T7_T9_mT8_P12ihipStream_tbDpT10_ENKUlT_T0_E_clISt17integral_constantIbLb1EES1A_IbLb0EEEEDaS16_S17_EUlS16_E_NS1_11comp_targetILNS1_3genE10ELNS1_11target_archE1200ELNS1_3gpuE4ELNS1_3repE0EEENS1_30default_config_static_selectorELNS0_4arch9wavefront6targetE1EEEvT1_ ; -- Begin function _ZN7rocprim17ROCPRIM_400000_NS6detail17trampoline_kernelINS0_14default_configENS1_25partition_config_selectorILNS1_17partition_subalgoE1EsNS0_10empty_typeEbEEZZNS1_14partition_implILS5_1ELb0ES3_jN6thrust23THRUST_200600_302600_NS6detail15normal_iteratorINSA_10device_ptrIsEEEEPS6_NSA_18transform_iteratorI7is_evenIsESF_NSA_11use_defaultESK_EENS0_5tupleIJSF_NSA_16discard_iteratorISK_EEEEENSM_IJSG_SG_EEES6_PlJS6_EEE10hipError_tPvRmT3_T4_T5_T6_T7_T9_mT8_P12ihipStream_tbDpT10_ENKUlT_T0_E_clISt17integral_constantIbLb1EES1A_IbLb0EEEEDaS16_S17_EUlS16_E_NS1_11comp_targetILNS1_3genE10ELNS1_11target_archE1200ELNS1_3gpuE4ELNS1_3repE0EEENS1_30default_config_static_selectorELNS0_4arch9wavefront6targetE1EEEvT1_
	.globl	_ZN7rocprim17ROCPRIM_400000_NS6detail17trampoline_kernelINS0_14default_configENS1_25partition_config_selectorILNS1_17partition_subalgoE1EsNS0_10empty_typeEbEEZZNS1_14partition_implILS5_1ELb0ES3_jN6thrust23THRUST_200600_302600_NS6detail15normal_iteratorINSA_10device_ptrIsEEEEPS6_NSA_18transform_iteratorI7is_evenIsESF_NSA_11use_defaultESK_EENS0_5tupleIJSF_NSA_16discard_iteratorISK_EEEEENSM_IJSG_SG_EEES6_PlJS6_EEE10hipError_tPvRmT3_T4_T5_T6_T7_T9_mT8_P12ihipStream_tbDpT10_ENKUlT_T0_E_clISt17integral_constantIbLb1EES1A_IbLb0EEEEDaS16_S17_EUlS16_E_NS1_11comp_targetILNS1_3genE10ELNS1_11target_archE1200ELNS1_3gpuE4ELNS1_3repE0EEENS1_30default_config_static_selectorELNS0_4arch9wavefront6targetE1EEEvT1_
	.p2align	8
	.type	_ZN7rocprim17ROCPRIM_400000_NS6detail17trampoline_kernelINS0_14default_configENS1_25partition_config_selectorILNS1_17partition_subalgoE1EsNS0_10empty_typeEbEEZZNS1_14partition_implILS5_1ELb0ES3_jN6thrust23THRUST_200600_302600_NS6detail15normal_iteratorINSA_10device_ptrIsEEEEPS6_NSA_18transform_iteratorI7is_evenIsESF_NSA_11use_defaultESK_EENS0_5tupleIJSF_NSA_16discard_iteratorISK_EEEEENSM_IJSG_SG_EEES6_PlJS6_EEE10hipError_tPvRmT3_T4_T5_T6_T7_T9_mT8_P12ihipStream_tbDpT10_ENKUlT_T0_E_clISt17integral_constantIbLb1EES1A_IbLb0EEEEDaS16_S17_EUlS16_E_NS1_11comp_targetILNS1_3genE10ELNS1_11target_archE1200ELNS1_3gpuE4ELNS1_3repE0EEENS1_30default_config_static_selectorELNS0_4arch9wavefront6targetE1EEEvT1_,@function
_ZN7rocprim17ROCPRIM_400000_NS6detail17trampoline_kernelINS0_14default_configENS1_25partition_config_selectorILNS1_17partition_subalgoE1EsNS0_10empty_typeEbEEZZNS1_14partition_implILS5_1ELb0ES3_jN6thrust23THRUST_200600_302600_NS6detail15normal_iteratorINSA_10device_ptrIsEEEEPS6_NSA_18transform_iteratorI7is_evenIsESF_NSA_11use_defaultESK_EENS0_5tupleIJSF_NSA_16discard_iteratorISK_EEEEENSM_IJSG_SG_EEES6_PlJS6_EEE10hipError_tPvRmT3_T4_T5_T6_T7_T9_mT8_P12ihipStream_tbDpT10_ENKUlT_T0_E_clISt17integral_constantIbLb1EES1A_IbLb0EEEEDaS16_S17_EUlS16_E_NS1_11comp_targetILNS1_3genE10ELNS1_11target_archE1200ELNS1_3gpuE4ELNS1_3repE0EEENS1_30default_config_static_selectorELNS0_4arch9wavefront6targetE1EEEvT1_: ; @_ZN7rocprim17ROCPRIM_400000_NS6detail17trampoline_kernelINS0_14default_configENS1_25partition_config_selectorILNS1_17partition_subalgoE1EsNS0_10empty_typeEbEEZZNS1_14partition_implILS5_1ELb0ES3_jN6thrust23THRUST_200600_302600_NS6detail15normal_iteratorINSA_10device_ptrIsEEEEPS6_NSA_18transform_iteratorI7is_evenIsESF_NSA_11use_defaultESK_EENS0_5tupleIJSF_NSA_16discard_iteratorISK_EEEEENSM_IJSG_SG_EEES6_PlJS6_EEE10hipError_tPvRmT3_T4_T5_T6_T7_T9_mT8_P12ihipStream_tbDpT10_ENKUlT_T0_E_clISt17integral_constantIbLb1EES1A_IbLb0EEEEDaS16_S17_EUlS16_E_NS1_11comp_targetILNS1_3genE10ELNS1_11target_archE1200ELNS1_3gpuE4ELNS1_3repE0EEENS1_30default_config_static_selectorELNS0_4arch9wavefront6targetE1EEEvT1_
; %bb.0:
	.section	.rodata,"a",@progbits
	.p2align	6, 0x0
	.amdhsa_kernel _ZN7rocprim17ROCPRIM_400000_NS6detail17trampoline_kernelINS0_14default_configENS1_25partition_config_selectorILNS1_17partition_subalgoE1EsNS0_10empty_typeEbEEZZNS1_14partition_implILS5_1ELb0ES3_jN6thrust23THRUST_200600_302600_NS6detail15normal_iteratorINSA_10device_ptrIsEEEEPS6_NSA_18transform_iteratorI7is_evenIsESF_NSA_11use_defaultESK_EENS0_5tupleIJSF_NSA_16discard_iteratorISK_EEEEENSM_IJSG_SG_EEES6_PlJS6_EEE10hipError_tPvRmT3_T4_T5_T6_T7_T9_mT8_P12ihipStream_tbDpT10_ENKUlT_T0_E_clISt17integral_constantIbLb1EES1A_IbLb0EEEEDaS16_S17_EUlS16_E_NS1_11comp_targetILNS1_3genE10ELNS1_11target_archE1200ELNS1_3gpuE4ELNS1_3repE0EEENS1_30default_config_static_selectorELNS0_4arch9wavefront6targetE1EEEvT1_
		.amdhsa_group_segment_fixed_size 0
		.amdhsa_private_segment_fixed_size 0
		.amdhsa_kernarg_size 136
		.amdhsa_user_sgpr_count 6
		.amdhsa_user_sgpr_private_segment_buffer 1
		.amdhsa_user_sgpr_dispatch_ptr 0
		.amdhsa_user_sgpr_queue_ptr 0
		.amdhsa_user_sgpr_kernarg_segment_ptr 1
		.amdhsa_user_sgpr_dispatch_id 0
		.amdhsa_user_sgpr_flat_scratch_init 0
		.amdhsa_user_sgpr_kernarg_preload_length 0
		.amdhsa_user_sgpr_kernarg_preload_offset 0
		.amdhsa_user_sgpr_private_segment_size 0
		.amdhsa_uses_dynamic_stack 0
		.amdhsa_system_sgpr_private_segment_wavefront_offset 0
		.amdhsa_system_sgpr_workgroup_id_x 1
		.amdhsa_system_sgpr_workgroup_id_y 0
		.amdhsa_system_sgpr_workgroup_id_z 0
		.amdhsa_system_sgpr_workgroup_info 0
		.amdhsa_system_vgpr_workitem_id 0
		.amdhsa_next_free_vgpr 1
		.amdhsa_next_free_sgpr 0
		.amdhsa_accum_offset 4
		.amdhsa_reserve_vcc 0
		.amdhsa_reserve_flat_scratch 0
		.amdhsa_float_round_mode_32 0
		.amdhsa_float_round_mode_16_64 0
		.amdhsa_float_denorm_mode_32 3
		.amdhsa_float_denorm_mode_16_64 3
		.amdhsa_dx10_clamp 1
		.amdhsa_ieee_mode 1
		.amdhsa_fp16_overflow 0
		.amdhsa_tg_split 0
		.amdhsa_exception_fp_ieee_invalid_op 0
		.amdhsa_exception_fp_denorm_src 0
		.amdhsa_exception_fp_ieee_div_zero 0
		.amdhsa_exception_fp_ieee_overflow 0
		.amdhsa_exception_fp_ieee_underflow 0
		.amdhsa_exception_fp_ieee_inexact 0
		.amdhsa_exception_int_div_zero 0
	.end_amdhsa_kernel
	.section	.text._ZN7rocprim17ROCPRIM_400000_NS6detail17trampoline_kernelINS0_14default_configENS1_25partition_config_selectorILNS1_17partition_subalgoE1EsNS0_10empty_typeEbEEZZNS1_14partition_implILS5_1ELb0ES3_jN6thrust23THRUST_200600_302600_NS6detail15normal_iteratorINSA_10device_ptrIsEEEEPS6_NSA_18transform_iteratorI7is_evenIsESF_NSA_11use_defaultESK_EENS0_5tupleIJSF_NSA_16discard_iteratorISK_EEEEENSM_IJSG_SG_EEES6_PlJS6_EEE10hipError_tPvRmT3_T4_T5_T6_T7_T9_mT8_P12ihipStream_tbDpT10_ENKUlT_T0_E_clISt17integral_constantIbLb1EES1A_IbLb0EEEEDaS16_S17_EUlS16_E_NS1_11comp_targetILNS1_3genE10ELNS1_11target_archE1200ELNS1_3gpuE4ELNS1_3repE0EEENS1_30default_config_static_selectorELNS0_4arch9wavefront6targetE1EEEvT1_,"axG",@progbits,_ZN7rocprim17ROCPRIM_400000_NS6detail17trampoline_kernelINS0_14default_configENS1_25partition_config_selectorILNS1_17partition_subalgoE1EsNS0_10empty_typeEbEEZZNS1_14partition_implILS5_1ELb0ES3_jN6thrust23THRUST_200600_302600_NS6detail15normal_iteratorINSA_10device_ptrIsEEEEPS6_NSA_18transform_iteratorI7is_evenIsESF_NSA_11use_defaultESK_EENS0_5tupleIJSF_NSA_16discard_iteratorISK_EEEEENSM_IJSG_SG_EEES6_PlJS6_EEE10hipError_tPvRmT3_T4_T5_T6_T7_T9_mT8_P12ihipStream_tbDpT10_ENKUlT_T0_E_clISt17integral_constantIbLb1EES1A_IbLb0EEEEDaS16_S17_EUlS16_E_NS1_11comp_targetILNS1_3genE10ELNS1_11target_archE1200ELNS1_3gpuE4ELNS1_3repE0EEENS1_30default_config_static_selectorELNS0_4arch9wavefront6targetE1EEEvT1_,comdat
.Lfunc_end3408:
	.size	_ZN7rocprim17ROCPRIM_400000_NS6detail17trampoline_kernelINS0_14default_configENS1_25partition_config_selectorILNS1_17partition_subalgoE1EsNS0_10empty_typeEbEEZZNS1_14partition_implILS5_1ELb0ES3_jN6thrust23THRUST_200600_302600_NS6detail15normal_iteratorINSA_10device_ptrIsEEEEPS6_NSA_18transform_iteratorI7is_evenIsESF_NSA_11use_defaultESK_EENS0_5tupleIJSF_NSA_16discard_iteratorISK_EEEEENSM_IJSG_SG_EEES6_PlJS6_EEE10hipError_tPvRmT3_T4_T5_T6_T7_T9_mT8_P12ihipStream_tbDpT10_ENKUlT_T0_E_clISt17integral_constantIbLb1EES1A_IbLb0EEEEDaS16_S17_EUlS16_E_NS1_11comp_targetILNS1_3genE10ELNS1_11target_archE1200ELNS1_3gpuE4ELNS1_3repE0EEENS1_30default_config_static_selectorELNS0_4arch9wavefront6targetE1EEEvT1_, .Lfunc_end3408-_ZN7rocprim17ROCPRIM_400000_NS6detail17trampoline_kernelINS0_14default_configENS1_25partition_config_selectorILNS1_17partition_subalgoE1EsNS0_10empty_typeEbEEZZNS1_14partition_implILS5_1ELb0ES3_jN6thrust23THRUST_200600_302600_NS6detail15normal_iteratorINSA_10device_ptrIsEEEEPS6_NSA_18transform_iteratorI7is_evenIsESF_NSA_11use_defaultESK_EENS0_5tupleIJSF_NSA_16discard_iteratorISK_EEEEENSM_IJSG_SG_EEES6_PlJS6_EEE10hipError_tPvRmT3_T4_T5_T6_T7_T9_mT8_P12ihipStream_tbDpT10_ENKUlT_T0_E_clISt17integral_constantIbLb1EES1A_IbLb0EEEEDaS16_S17_EUlS16_E_NS1_11comp_targetILNS1_3genE10ELNS1_11target_archE1200ELNS1_3gpuE4ELNS1_3repE0EEENS1_30default_config_static_selectorELNS0_4arch9wavefront6targetE1EEEvT1_
                                        ; -- End function
	.section	.AMDGPU.csdata,"",@progbits
; Kernel info:
; codeLenInByte = 0
; NumSgprs: 4
; NumVgprs: 0
; NumAgprs: 0
; TotalNumVgprs: 0
; ScratchSize: 0
; MemoryBound: 0
; FloatMode: 240
; IeeeMode: 1
; LDSByteSize: 0 bytes/workgroup (compile time only)
; SGPRBlocks: 0
; VGPRBlocks: 0
; NumSGPRsForWavesPerEU: 4
; NumVGPRsForWavesPerEU: 1
; AccumOffset: 4
; Occupancy: 8
; WaveLimiterHint : 0
; COMPUTE_PGM_RSRC2:SCRATCH_EN: 0
; COMPUTE_PGM_RSRC2:USER_SGPR: 6
; COMPUTE_PGM_RSRC2:TRAP_HANDLER: 0
; COMPUTE_PGM_RSRC2:TGID_X_EN: 1
; COMPUTE_PGM_RSRC2:TGID_Y_EN: 0
; COMPUTE_PGM_RSRC2:TGID_Z_EN: 0
; COMPUTE_PGM_RSRC2:TIDIG_COMP_CNT: 0
; COMPUTE_PGM_RSRC3_GFX90A:ACCUM_OFFSET: 0
; COMPUTE_PGM_RSRC3_GFX90A:TG_SPLIT: 0
	.section	.text._ZN7rocprim17ROCPRIM_400000_NS6detail17trampoline_kernelINS0_14default_configENS1_25partition_config_selectorILNS1_17partition_subalgoE1EsNS0_10empty_typeEbEEZZNS1_14partition_implILS5_1ELb0ES3_jN6thrust23THRUST_200600_302600_NS6detail15normal_iteratorINSA_10device_ptrIsEEEEPS6_NSA_18transform_iteratorI7is_evenIsESF_NSA_11use_defaultESK_EENS0_5tupleIJSF_NSA_16discard_iteratorISK_EEEEENSM_IJSG_SG_EEES6_PlJS6_EEE10hipError_tPvRmT3_T4_T5_T6_T7_T9_mT8_P12ihipStream_tbDpT10_ENKUlT_T0_E_clISt17integral_constantIbLb1EES1A_IbLb0EEEEDaS16_S17_EUlS16_E_NS1_11comp_targetILNS1_3genE9ELNS1_11target_archE1100ELNS1_3gpuE3ELNS1_3repE0EEENS1_30default_config_static_selectorELNS0_4arch9wavefront6targetE1EEEvT1_,"axG",@progbits,_ZN7rocprim17ROCPRIM_400000_NS6detail17trampoline_kernelINS0_14default_configENS1_25partition_config_selectorILNS1_17partition_subalgoE1EsNS0_10empty_typeEbEEZZNS1_14partition_implILS5_1ELb0ES3_jN6thrust23THRUST_200600_302600_NS6detail15normal_iteratorINSA_10device_ptrIsEEEEPS6_NSA_18transform_iteratorI7is_evenIsESF_NSA_11use_defaultESK_EENS0_5tupleIJSF_NSA_16discard_iteratorISK_EEEEENSM_IJSG_SG_EEES6_PlJS6_EEE10hipError_tPvRmT3_T4_T5_T6_T7_T9_mT8_P12ihipStream_tbDpT10_ENKUlT_T0_E_clISt17integral_constantIbLb1EES1A_IbLb0EEEEDaS16_S17_EUlS16_E_NS1_11comp_targetILNS1_3genE9ELNS1_11target_archE1100ELNS1_3gpuE3ELNS1_3repE0EEENS1_30default_config_static_selectorELNS0_4arch9wavefront6targetE1EEEvT1_,comdat
	.protected	_ZN7rocprim17ROCPRIM_400000_NS6detail17trampoline_kernelINS0_14default_configENS1_25partition_config_selectorILNS1_17partition_subalgoE1EsNS0_10empty_typeEbEEZZNS1_14partition_implILS5_1ELb0ES3_jN6thrust23THRUST_200600_302600_NS6detail15normal_iteratorINSA_10device_ptrIsEEEEPS6_NSA_18transform_iteratorI7is_evenIsESF_NSA_11use_defaultESK_EENS0_5tupleIJSF_NSA_16discard_iteratorISK_EEEEENSM_IJSG_SG_EEES6_PlJS6_EEE10hipError_tPvRmT3_T4_T5_T6_T7_T9_mT8_P12ihipStream_tbDpT10_ENKUlT_T0_E_clISt17integral_constantIbLb1EES1A_IbLb0EEEEDaS16_S17_EUlS16_E_NS1_11comp_targetILNS1_3genE9ELNS1_11target_archE1100ELNS1_3gpuE3ELNS1_3repE0EEENS1_30default_config_static_selectorELNS0_4arch9wavefront6targetE1EEEvT1_ ; -- Begin function _ZN7rocprim17ROCPRIM_400000_NS6detail17trampoline_kernelINS0_14default_configENS1_25partition_config_selectorILNS1_17partition_subalgoE1EsNS0_10empty_typeEbEEZZNS1_14partition_implILS5_1ELb0ES3_jN6thrust23THRUST_200600_302600_NS6detail15normal_iteratorINSA_10device_ptrIsEEEEPS6_NSA_18transform_iteratorI7is_evenIsESF_NSA_11use_defaultESK_EENS0_5tupleIJSF_NSA_16discard_iteratorISK_EEEEENSM_IJSG_SG_EEES6_PlJS6_EEE10hipError_tPvRmT3_T4_T5_T6_T7_T9_mT8_P12ihipStream_tbDpT10_ENKUlT_T0_E_clISt17integral_constantIbLb1EES1A_IbLb0EEEEDaS16_S17_EUlS16_E_NS1_11comp_targetILNS1_3genE9ELNS1_11target_archE1100ELNS1_3gpuE3ELNS1_3repE0EEENS1_30default_config_static_selectorELNS0_4arch9wavefront6targetE1EEEvT1_
	.globl	_ZN7rocprim17ROCPRIM_400000_NS6detail17trampoline_kernelINS0_14default_configENS1_25partition_config_selectorILNS1_17partition_subalgoE1EsNS0_10empty_typeEbEEZZNS1_14partition_implILS5_1ELb0ES3_jN6thrust23THRUST_200600_302600_NS6detail15normal_iteratorINSA_10device_ptrIsEEEEPS6_NSA_18transform_iteratorI7is_evenIsESF_NSA_11use_defaultESK_EENS0_5tupleIJSF_NSA_16discard_iteratorISK_EEEEENSM_IJSG_SG_EEES6_PlJS6_EEE10hipError_tPvRmT3_T4_T5_T6_T7_T9_mT8_P12ihipStream_tbDpT10_ENKUlT_T0_E_clISt17integral_constantIbLb1EES1A_IbLb0EEEEDaS16_S17_EUlS16_E_NS1_11comp_targetILNS1_3genE9ELNS1_11target_archE1100ELNS1_3gpuE3ELNS1_3repE0EEENS1_30default_config_static_selectorELNS0_4arch9wavefront6targetE1EEEvT1_
	.p2align	8
	.type	_ZN7rocprim17ROCPRIM_400000_NS6detail17trampoline_kernelINS0_14default_configENS1_25partition_config_selectorILNS1_17partition_subalgoE1EsNS0_10empty_typeEbEEZZNS1_14partition_implILS5_1ELb0ES3_jN6thrust23THRUST_200600_302600_NS6detail15normal_iteratorINSA_10device_ptrIsEEEEPS6_NSA_18transform_iteratorI7is_evenIsESF_NSA_11use_defaultESK_EENS0_5tupleIJSF_NSA_16discard_iteratorISK_EEEEENSM_IJSG_SG_EEES6_PlJS6_EEE10hipError_tPvRmT3_T4_T5_T6_T7_T9_mT8_P12ihipStream_tbDpT10_ENKUlT_T0_E_clISt17integral_constantIbLb1EES1A_IbLb0EEEEDaS16_S17_EUlS16_E_NS1_11comp_targetILNS1_3genE9ELNS1_11target_archE1100ELNS1_3gpuE3ELNS1_3repE0EEENS1_30default_config_static_selectorELNS0_4arch9wavefront6targetE1EEEvT1_,@function
_ZN7rocprim17ROCPRIM_400000_NS6detail17trampoline_kernelINS0_14default_configENS1_25partition_config_selectorILNS1_17partition_subalgoE1EsNS0_10empty_typeEbEEZZNS1_14partition_implILS5_1ELb0ES3_jN6thrust23THRUST_200600_302600_NS6detail15normal_iteratorINSA_10device_ptrIsEEEEPS6_NSA_18transform_iteratorI7is_evenIsESF_NSA_11use_defaultESK_EENS0_5tupleIJSF_NSA_16discard_iteratorISK_EEEEENSM_IJSG_SG_EEES6_PlJS6_EEE10hipError_tPvRmT3_T4_T5_T6_T7_T9_mT8_P12ihipStream_tbDpT10_ENKUlT_T0_E_clISt17integral_constantIbLb1EES1A_IbLb0EEEEDaS16_S17_EUlS16_E_NS1_11comp_targetILNS1_3genE9ELNS1_11target_archE1100ELNS1_3gpuE3ELNS1_3repE0EEENS1_30default_config_static_selectorELNS0_4arch9wavefront6targetE1EEEvT1_: ; @_ZN7rocprim17ROCPRIM_400000_NS6detail17trampoline_kernelINS0_14default_configENS1_25partition_config_selectorILNS1_17partition_subalgoE1EsNS0_10empty_typeEbEEZZNS1_14partition_implILS5_1ELb0ES3_jN6thrust23THRUST_200600_302600_NS6detail15normal_iteratorINSA_10device_ptrIsEEEEPS6_NSA_18transform_iteratorI7is_evenIsESF_NSA_11use_defaultESK_EENS0_5tupleIJSF_NSA_16discard_iteratorISK_EEEEENSM_IJSG_SG_EEES6_PlJS6_EEE10hipError_tPvRmT3_T4_T5_T6_T7_T9_mT8_P12ihipStream_tbDpT10_ENKUlT_T0_E_clISt17integral_constantIbLb1EES1A_IbLb0EEEEDaS16_S17_EUlS16_E_NS1_11comp_targetILNS1_3genE9ELNS1_11target_archE1100ELNS1_3gpuE3ELNS1_3repE0EEENS1_30default_config_static_selectorELNS0_4arch9wavefront6targetE1EEEvT1_
; %bb.0:
	.section	.rodata,"a",@progbits
	.p2align	6, 0x0
	.amdhsa_kernel _ZN7rocprim17ROCPRIM_400000_NS6detail17trampoline_kernelINS0_14default_configENS1_25partition_config_selectorILNS1_17partition_subalgoE1EsNS0_10empty_typeEbEEZZNS1_14partition_implILS5_1ELb0ES3_jN6thrust23THRUST_200600_302600_NS6detail15normal_iteratorINSA_10device_ptrIsEEEEPS6_NSA_18transform_iteratorI7is_evenIsESF_NSA_11use_defaultESK_EENS0_5tupleIJSF_NSA_16discard_iteratorISK_EEEEENSM_IJSG_SG_EEES6_PlJS6_EEE10hipError_tPvRmT3_T4_T5_T6_T7_T9_mT8_P12ihipStream_tbDpT10_ENKUlT_T0_E_clISt17integral_constantIbLb1EES1A_IbLb0EEEEDaS16_S17_EUlS16_E_NS1_11comp_targetILNS1_3genE9ELNS1_11target_archE1100ELNS1_3gpuE3ELNS1_3repE0EEENS1_30default_config_static_selectorELNS0_4arch9wavefront6targetE1EEEvT1_
		.amdhsa_group_segment_fixed_size 0
		.amdhsa_private_segment_fixed_size 0
		.amdhsa_kernarg_size 136
		.amdhsa_user_sgpr_count 6
		.amdhsa_user_sgpr_private_segment_buffer 1
		.amdhsa_user_sgpr_dispatch_ptr 0
		.amdhsa_user_sgpr_queue_ptr 0
		.amdhsa_user_sgpr_kernarg_segment_ptr 1
		.amdhsa_user_sgpr_dispatch_id 0
		.amdhsa_user_sgpr_flat_scratch_init 0
		.amdhsa_user_sgpr_kernarg_preload_length 0
		.amdhsa_user_sgpr_kernarg_preload_offset 0
		.amdhsa_user_sgpr_private_segment_size 0
		.amdhsa_uses_dynamic_stack 0
		.amdhsa_system_sgpr_private_segment_wavefront_offset 0
		.amdhsa_system_sgpr_workgroup_id_x 1
		.amdhsa_system_sgpr_workgroup_id_y 0
		.amdhsa_system_sgpr_workgroup_id_z 0
		.amdhsa_system_sgpr_workgroup_info 0
		.amdhsa_system_vgpr_workitem_id 0
		.amdhsa_next_free_vgpr 1
		.amdhsa_next_free_sgpr 0
		.amdhsa_accum_offset 4
		.amdhsa_reserve_vcc 0
		.amdhsa_reserve_flat_scratch 0
		.amdhsa_float_round_mode_32 0
		.amdhsa_float_round_mode_16_64 0
		.amdhsa_float_denorm_mode_32 3
		.amdhsa_float_denorm_mode_16_64 3
		.amdhsa_dx10_clamp 1
		.amdhsa_ieee_mode 1
		.amdhsa_fp16_overflow 0
		.amdhsa_tg_split 0
		.amdhsa_exception_fp_ieee_invalid_op 0
		.amdhsa_exception_fp_denorm_src 0
		.amdhsa_exception_fp_ieee_div_zero 0
		.amdhsa_exception_fp_ieee_overflow 0
		.amdhsa_exception_fp_ieee_underflow 0
		.amdhsa_exception_fp_ieee_inexact 0
		.amdhsa_exception_int_div_zero 0
	.end_amdhsa_kernel
	.section	.text._ZN7rocprim17ROCPRIM_400000_NS6detail17trampoline_kernelINS0_14default_configENS1_25partition_config_selectorILNS1_17partition_subalgoE1EsNS0_10empty_typeEbEEZZNS1_14partition_implILS5_1ELb0ES3_jN6thrust23THRUST_200600_302600_NS6detail15normal_iteratorINSA_10device_ptrIsEEEEPS6_NSA_18transform_iteratorI7is_evenIsESF_NSA_11use_defaultESK_EENS0_5tupleIJSF_NSA_16discard_iteratorISK_EEEEENSM_IJSG_SG_EEES6_PlJS6_EEE10hipError_tPvRmT3_T4_T5_T6_T7_T9_mT8_P12ihipStream_tbDpT10_ENKUlT_T0_E_clISt17integral_constantIbLb1EES1A_IbLb0EEEEDaS16_S17_EUlS16_E_NS1_11comp_targetILNS1_3genE9ELNS1_11target_archE1100ELNS1_3gpuE3ELNS1_3repE0EEENS1_30default_config_static_selectorELNS0_4arch9wavefront6targetE1EEEvT1_,"axG",@progbits,_ZN7rocprim17ROCPRIM_400000_NS6detail17trampoline_kernelINS0_14default_configENS1_25partition_config_selectorILNS1_17partition_subalgoE1EsNS0_10empty_typeEbEEZZNS1_14partition_implILS5_1ELb0ES3_jN6thrust23THRUST_200600_302600_NS6detail15normal_iteratorINSA_10device_ptrIsEEEEPS6_NSA_18transform_iteratorI7is_evenIsESF_NSA_11use_defaultESK_EENS0_5tupleIJSF_NSA_16discard_iteratorISK_EEEEENSM_IJSG_SG_EEES6_PlJS6_EEE10hipError_tPvRmT3_T4_T5_T6_T7_T9_mT8_P12ihipStream_tbDpT10_ENKUlT_T0_E_clISt17integral_constantIbLb1EES1A_IbLb0EEEEDaS16_S17_EUlS16_E_NS1_11comp_targetILNS1_3genE9ELNS1_11target_archE1100ELNS1_3gpuE3ELNS1_3repE0EEENS1_30default_config_static_selectorELNS0_4arch9wavefront6targetE1EEEvT1_,comdat
.Lfunc_end3409:
	.size	_ZN7rocprim17ROCPRIM_400000_NS6detail17trampoline_kernelINS0_14default_configENS1_25partition_config_selectorILNS1_17partition_subalgoE1EsNS0_10empty_typeEbEEZZNS1_14partition_implILS5_1ELb0ES3_jN6thrust23THRUST_200600_302600_NS6detail15normal_iteratorINSA_10device_ptrIsEEEEPS6_NSA_18transform_iteratorI7is_evenIsESF_NSA_11use_defaultESK_EENS0_5tupleIJSF_NSA_16discard_iteratorISK_EEEEENSM_IJSG_SG_EEES6_PlJS6_EEE10hipError_tPvRmT3_T4_T5_T6_T7_T9_mT8_P12ihipStream_tbDpT10_ENKUlT_T0_E_clISt17integral_constantIbLb1EES1A_IbLb0EEEEDaS16_S17_EUlS16_E_NS1_11comp_targetILNS1_3genE9ELNS1_11target_archE1100ELNS1_3gpuE3ELNS1_3repE0EEENS1_30default_config_static_selectorELNS0_4arch9wavefront6targetE1EEEvT1_, .Lfunc_end3409-_ZN7rocprim17ROCPRIM_400000_NS6detail17trampoline_kernelINS0_14default_configENS1_25partition_config_selectorILNS1_17partition_subalgoE1EsNS0_10empty_typeEbEEZZNS1_14partition_implILS5_1ELb0ES3_jN6thrust23THRUST_200600_302600_NS6detail15normal_iteratorINSA_10device_ptrIsEEEEPS6_NSA_18transform_iteratorI7is_evenIsESF_NSA_11use_defaultESK_EENS0_5tupleIJSF_NSA_16discard_iteratorISK_EEEEENSM_IJSG_SG_EEES6_PlJS6_EEE10hipError_tPvRmT3_T4_T5_T6_T7_T9_mT8_P12ihipStream_tbDpT10_ENKUlT_T0_E_clISt17integral_constantIbLb1EES1A_IbLb0EEEEDaS16_S17_EUlS16_E_NS1_11comp_targetILNS1_3genE9ELNS1_11target_archE1100ELNS1_3gpuE3ELNS1_3repE0EEENS1_30default_config_static_selectorELNS0_4arch9wavefront6targetE1EEEvT1_
                                        ; -- End function
	.section	.AMDGPU.csdata,"",@progbits
; Kernel info:
; codeLenInByte = 0
; NumSgprs: 4
; NumVgprs: 0
; NumAgprs: 0
; TotalNumVgprs: 0
; ScratchSize: 0
; MemoryBound: 0
; FloatMode: 240
; IeeeMode: 1
; LDSByteSize: 0 bytes/workgroup (compile time only)
; SGPRBlocks: 0
; VGPRBlocks: 0
; NumSGPRsForWavesPerEU: 4
; NumVGPRsForWavesPerEU: 1
; AccumOffset: 4
; Occupancy: 8
; WaveLimiterHint : 0
; COMPUTE_PGM_RSRC2:SCRATCH_EN: 0
; COMPUTE_PGM_RSRC2:USER_SGPR: 6
; COMPUTE_PGM_RSRC2:TRAP_HANDLER: 0
; COMPUTE_PGM_RSRC2:TGID_X_EN: 1
; COMPUTE_PGM_RSRC2:TGID_Y_EN: 0
; COMPUTE_PGM_RSRC2:TGID_Z_EN: 0
; COMPUTE_PGM_RSRC2:TIDIG_COMP_CNT: 0
; COMPUTE_PGM_RSRC3_GFX90A:ACCUM_OFFSET: 0
; COMPUTE_PGM_RSRC3_GFX90A:TG_SPLIT: 0
	.section	.text._ZN7rocprim17ROCPRIM_400000_NS6detail17trampoline_kernelINS0_14default_configENS1_25partition_config_selectorILNS1_17partition_subalgoE1EsNS0_10empty_typeEbEEZZNS1_14partition_implILS5_1ELb0ES3_jN6thrust23THRUST_200600_302600_NS6detail15normal_iteratorINSA_10device_ptrIsEEEEPS6_NSA_18transform_iteratorI7is_evenIsESF_NSA_11use_defaultESK_EENS0_5tupleIJSF_NSA_16discard_iteratorISK_EEEEENSM_IJSG_SG_EEES6_PlJS6_EEE10hipError_tPvRmT3_T4_T5_T6_T7_T9_mT8_P12ihipStream_tbDpT10_ENKUlT_T0_E_clISt17integral_constantIbLb1EES1A_IbLb0EEEEDaS16_S17_EUlS16_E_NS1_11comp_targetILNS1_3genE8ELNS1_11target_archE1030ELNS1_3gpuE2ELNS1_3repE0EEENS1_30default_config_static_selectorELNS0_4arch9wavefront6targetE1EEEvT1_,"axG",@progbits,_ZN7rocprim17ROCPRIM_400000_NS6detail17trampoline_kernelINS0_14default_configENS1_25partition_config_selectorILNS1_17partition_subalgoE1EsNS0_10empty_typeEbEEZZNS1_14partition_implILS5_1ELb0ES3_jN6thrust23THRUST_200600_302600_NS6detail15normal_iteratorINSA_10device_ptrIsEEEEPS6_NSA_18transform_iteratorI7is_evenIsESF_NSA_11use_defaultESK_EENS0_5tupleIJSF_NSA_16discard_iteratorISK_EEEEENSM_IJSG_SG_EEES6_PlJS6_EEE10hipError_tPvRmT3_T4_T5_T6_T7_T9_mT8_P12ihipStream_tbDpT10_ENKUlT_T0_E_clISt17integral_constantIbLb1EES1A_IbLb0EEEEDaS16_S17_EUlS16_E_NS1_11comp_targetILNS1_3genE8ELNS1_11target_archE1030ELNS1_3gpuE2ELNS1_3repE0EEENS1_30default_config_static_selectorELNS0_4arch9wavefront6targetE1EEEvT1_,comdat
	.protected	_ZN7rocprim17ROCPRIM_400000_NS6detail17trampoline_kernelINS0_14default_configENS1_25partition_config_selectorILNS1_17partition_subalgoE1EsNS0_10empty_typeEbEEZZNS1_14partition_implILS5_1ELb0ES3_jN6thrust23THRUST_200600_302600_NS6detail15normal_iteratorINSA_10device_ptrIsEEEEPS6_NSA_18transform_iteratorI7is_evenIsESF_NSA_11use_defaultESK_EENS0_5tupleIJSF_NSA_16discard_iteratorISK_EEEEENSM_IJSG_SG_EEES6_PlJS6_EEE10hipError_tPvRmT3_T4_T5_T6_T7_T9_mT8_P12ihipStream_tbDpT10_ENKUlT_T0_E_clISt17integral_constantIbLb1EES1A_IbLb0EEEEDaS16_S17_EUlS16_E_NS1_11comp_targetILNS1_3genE8ELNS1_11target_archE1030ELNS1_3gpuE2ELNS1_3repE0EEENS1_30default_config_static_selectorELNS0_4arch9wavefront6targetE1EEEvT1_ ; -- Begin function _ZN7rocprim17ROCPRIM_400000_NS6detail17trampoline_kernelINS0_14default_configENS1_25partition_config_selectorILNS1_17partition_subalgoE1EsNS0_10empty_typeEbEEZZNS1_14partition_implILS5_1ELb0ES3_jN6thrust23THRUST_200600_302600_NS6detail15normal_iteratorINSA_10device_ptrIsEEEEPS6_NSA_18transform_iteratorI7is_evenIsESF_NSA_11use_defaultESK_EENS0_5tupleIJSF_NSA_16discard_iteratorISK_EEEEENSM_IJSG_SG_EEES6_PlJS6_EEE10hipError_tPvRmT3_T4_T5_T6_T7_T9_mT8_P12ihipStream_tbDpT10_ENKUlT_T0_E_clISt17integral_constantIbLb1EES1A_IbLb0EEEEDaS16_S17_EUlS16_E_NS1_11comp_targetILNS1_3genE8ELNS1_11target_archE1030ELNS1_3gpuE2ELNS1_3repE0EEENS1_30default_config_static_selectorELNS0_4arch9wavefront6targetE1EEEvT1_
	.globl	_ZN7rocprim17ROCPRIM_400000_NS6detail17trampoline_kernelINS0_14default_configENS1_25partition_config_selectorILNS1_17partition_subalgoE1EsNS0_10empty_typeEbEEZZNS1_14partition_implILS5_1ELb0ES3_jN6thrust23THRUST_200600_302600_NS6detail15normal_iteratorINSA_10device_ptrIsEEEEPS6_NSA_18transform_iteratorI7is_evenIsESF_NSA_11use_defaultESK_EENS0_5tupleIJSF_NSA_16discard_iteratorISK_EEEEENSM_IJSG_SG_EEES6_PlJS6_EEE10hipError_tPvRmT3_T4_T5_T6_T7_T9_mT8_P12ihipStream_tbDpT10_ENKUlT_T0_E_clISt17integral_constantIbLb1EES1A_IbLb0EEEEDaS16_S17_EUlS16_E_NS1_11comp_targetILNS1_3genE8ELNS1_11target_archE1030ELNS1_3gpuE2ELNS1_3repE0EEENS1_30default_config_static_selectorELNS0_4arch9wavefront6targetE1EEEvT1_
	.p2align	8
	.type	_ZN7rocprim17ROCPRIM_400000_NS6detail17trampoline_kernelINS0_14default_configENS1_25partition_config_selectorILNS1_17partition_subalgoE1EsNS0_10empty_typeEbEEZZNS1_14partition_implILS5_1ELb0ES3_jN6thrust23THRUST_200600_302600_NS6detail15normal_iteratorINSA_10device_ptrIsEEEEPS6_NSA_18transform_iteratorI7is_evenIsESF_NSA_11use_defaultESK_EENS0_5tupleIJSF_NSA_16discard_iteratorISK_EEEEENSM_IJSG_SG_EEES6_PlJS6_EEE10hipError_tPvRmT3_T4_T5_T6_T7_T9_mT8_P12ihipStream_tbDpT10_ENKUlT_T0_E_clISt17integral_constantIbLb1EES1A_IbLb0EEEEDaS16_S17_EUlS16_E_NS1_11comp_targetILNS1_3genE8ELNS1_11target_archE1030ELNS1_3gpuE2ELNS1_3repE0EEENS1_30default_config_static_selectorELNS0_4arch9wavefront6targetE1EEEvT1_,@function
_ZN7rocprim17ROCPRIM_400000_NS6detail17trampoline_kernelINS0_14default_configENS1_25partition_config_selectorILNS1_17partition_subalgoE1EsNS0_10empty_typeEbEEZZNS1_14partition_implILS5_1ELb0ES3_jN6thrust23THRUST_200600_302600_NS6detail15normal_iteratorINSA_10device_ptrIsEEEEPS6_NSA_18transform_iteratorI7is_evenIsESF_NSA_11use_defaultESK_EENS0_5tupleIJSF_NSA_16discard_iteratorISK_EEEEENSM_IJSG_SG_EEES6_PlJS6_EEE10hipError_tPvRmT3_T4_T5_T6_T7_T9_mT8_P12ihipStream_tbDpT10_ENKUlT_T0_E_clISt17integral_constantIbLb1EES1A_IbLb0EEEEDaS16_S17_EUlS16_E_NS1_11comp_targetILNS1_3genE8ELNS1_11target_archE1030ELNS1_3gpuE2ELNS1_3repE0EEENS1_30default_config_static_selectorELNS0_4arch9wavefront6targetE1EEEvT1_: ; @_ZN7rocprim17ROCPRIM_400000_NS6detail17trampoline_kernelINS0_14default_configENS1_25partition_config_selectorILNS1_17partition_subalgoE1EsNS0_10empty_typeEbEEZZNS1_14partition_implILS5_1ELb0ES3_jN6thrust23THRUST_200600_302600_NS6detail15normal_iteratorINSA_10device_ptrIsEEEEPS6_NSA_18transform_iteratorI7is_evenIsESF_NSA_11use_defaultESK_EENS0_5tupleIJSF_NSA_16discard_iteratorISK_EEEEENSM_IJSG_SG_EEES6_PlJS6_EEE10hipError_tPvRmT3_T4_T5_T6_T7_T9_mT8_P12ihipStream_tbDpT10_ENKUlT_T0_E_clISt17integral_constantIbLb1EES1A_IbLb0EEEEDaS16_S17_EUlS16_E_NS1_11comp_targetILNS1_3genE8ELNS1_11target_archE1030ELNS1_3gpuE2ELNS1_3repE0EEENS1_30default_config_static_selectorELNS0_4arch9wavefront6targetE1EEEvT1_
; %bb.0:
	.section	.rodata,"a",@progbits
	.p2align	6, 0x0
	.amdhsa_kernel _ZN7rocprim17ROCPRIM_400000_NS6detail17trampoline_kernelINS0_14default_configENS1_25partition_config_selectorILNS1_17partition_subalgoE1EsNS0_10empty_typeEbEEZZNS1_14partition_implILS5_1ELb0ES3_jN6thrust23THRUST_200600_302600_NS6detail15normal_iteratorINSA_10device_ptrIsEEEEPS6_NSA_18transform_iteratorI7is_evenIsESF_NSA_11use_defaultESK_EENS0_5tupleIJSF_NSA_16discard_iteratorISK_EEEEENSM_IJSG_SG_EEES6_PlJS6_EEE10hipError_tPvRmT3_T4_T5_T6_T7_T9_mT8_P12ihipStream_tbDpT10_ENKUlT_T0_E_clISt17integral_constantIbLb1EES1A_IbLb0EEEEDaS16_S17_EUlS16_E_NS1_11comp_targetILNS1_3genE8ELNS1_11target_archE1030ELNS1_3gpuE2ELNS1_3repE0EEENS1_30default_config_static_selectorELNS0_4arch9wavefront6targetE1EEEvT1_
		.amdhsa_group_segment_fixed_size 0
		.amdhsa_private_segment_fixed_size 0
		.amdhsa_kernarg_size 136
		.amdhsa_user_sgpr_count 6
		.amdhsa_user_sgpr_private_segment_buffer 1
		.amdhsa_user_sgpr_dispatch_ptr 0
		.amdhsa_user_sgpr_queue_ptr 0
		.amdhsa_user_sgpr_kernarg_segment_ptr 1
		.amdhsa_user_sgpr_dispatch_id 0
		.amdhsa_user_sgpr_flat_scratch_init 0
		.amdhsa_user_sgpr_kernarg_preload_length 0
		.amdhsa_user_sgpr_kernarg_preload_offset 0
		.amdhsa_user_sgpr_private_segment_size 0
		.amdhsa_uses_dynamic_stack 0
		.amdhsa_system_sgpr_private_segment_wavefront_offset 0
		.amdhsa_system_sgpr_workgroup_id_x 1
		.amdhsa_system_sgpr_workgroup_id_y 0
		.amdhsa_system_sgpr_workgroup_id_z 0
		.amdhsa_system_sgpr_workgroup_info 0
		.amdhsa_system_vgpr_workitem_id 0
		.amdhsa_next_free_vgpr 1
		.amdhsa_next_free_sgpr 0
		.amdhsa_accum_offset 4
		.amdhsa_reserve_vcc 0
		.amdhsa_reserve_flat_scratch 0
		.amdhsa_float_round_mode_32 0
		.amdhsa_float_round_mode_16_64 0
		.amdhsa_float_denorm_mode_32 3
		.amdhsa_float_denorm_mode_16_64 3
		.amdhsa_dx10_clamp 1
		.amdhsa_ieee_mode 1
		.amdhsa_fp16_overflow 0
		.amdhsa_tg_split 0
		.amdhsa_exception_fp_ieee_invalid_op 0
		.amdhsa_exception_fp_denorm_src 0
		.amdhsa_exception_fp_ieee_div_zero 0
		.amdhsa_exception_fp_ieee_overflow 0
		.amdhsa_exception_fp_ieee_underflow 0
		.amdhsa_exception_fp_ieee_inexact 0
		.amdhsa_exception_int_div_zero 0
	.end_amdhsa_kernel
	.section	.text._ZN7rocprim17ROCPRIM_400000_NS6detail17trampoline_kernelINS0_14default_configENS1_25partition_config_selectorILNS1_17partition_subalgoE1EsNS0_10empty_typeEbEEZZNS1_14partition_implILS5_1ELb0ES3_jN6thrust23THRUST_200600_302600_NS6detail15normal_iteratorINSA_10device_ptrIsEEEEPS6_NSA_18transform_iteratorI7is_evenIsESF_NSA_11use_defaultESK_EENS0_5tupleIJSF_NSA_16discard_iteratorISK_EEEEENSM_IJSG_SG_EEES6_PlJS6_EEE10hipError_tPvRmT3_T4_T5_T6_T7_T9_mT8_P12ihipStream_tbDpT10_ENKUlT_T0_E_clISt17integral_constantIbLb1EES1A_IbLb0EEEEDaS16_S17_EUlS16_E_NS1_11comp_targetILNS1_3genE8ELNS1_11target_archE1030ELNS1_3gpuE2ELNS1_3repE0EEENS1_30default_config_static_selectorELNS0_4arch9wavefront6targetE1EEEvT1_,"axG",@progbits,_ZN7rocprim17ROCPRIM_400000_NS6detail17trampoline_kernelINS0_14default_configENS1_25partition_config_selectorILNS1_17partition_subalgoE1EsNS0_10empty_typeEbEEZZNS1_14partition_implILS5_1ELb0ES3_jN6thrust23THRUST_200600_302600_NS6detail15normal_iteratorINSA_10device_ptrIsEEEEPS6_NSA_18transform_iteratorI7is_evenIsESF_NSA_11use_defaultESK_EENS0_5tupleIJSF_NSA_16discard_iteratorISK_EEEEENSM_IJSG_SG_EEES6_PlJS6_EEE10hipError_tPvRmT3_T4_T5_T6_T7_T9_mT8_P12ihipStream_tbDpT10_ENKUlT_T0_E_clISt17integral_constantIbLb1EES1A_IbLb0EEEEDaS16_S17_EUlS16_E_NS1_11comp_targetILNS1_3genE8ELNS1_11target_archE1030ELNS1_3gpuE2ELNS1_3repE0EEENS1_30default_config_static_selectorELNS0_4arch9wavefront6targetE1EEEvT1_,comdat
.Lfunc_end3410:
	.size	_ZN7rocprim17ROCPRIM_400000_NS6detail17trampoline_kernelINS0_14default_configENS1_25partition_config_selectorILNS1_17partition_subalgoE1EsNS0_10empty_typeEbEEZZNS1_14partition_implILS5_1ELb0ES3_jN6thrust23THRUST_200600_302600_NS6detail15normal_iteratorINSA_10device_ptrIsEEEEPS6_NSA_18transform_iteratorI7is_evenIsESF_NSA_11use_defaultESK_EENS0_5tupleIJSF_NSA_16discard_iteratorISK_EEEEENSM_IJSG_SG_EEES6_PlJS6_EEE10hipError_tPvRmT3_T4_T5_T6_T7_T9_mT8_P12ihipStream_tbDpT10_ENKUlT_T0_E_clISt17integral_constantIbLb1EES1A_IbLb0EEEEDaS16_S17_EUlS16_E_NS1_11comp_targetILNS1_3genE8ELNS1_11target_archE1030ELNS1_3gpuE2ELNS1_3repE0EEENS1_30default_config_static_selectorELNS0_4arch9wavefront6targetE1EEEvT1_, .Lfunc_end3410-_ZN7rocprim17ROCPRIM_400000_NS6detail17trampoline_kernelINS0_14default_configENS1_25partition_config_selectorILNS1_17partition_subalgoE1EsNS0_10empty_typeEbEEZZNS1_14partition_implILS5_1ELb0ES3_jN6thrust23THRUST_200600_302600_NS6detail15normal_iteratorINSA_10device_ptrIsEEEEPS6_NSA_18transform_iteratorI7is_evenIsESF_NSA_11use_defaultESK_EENS0_5tupleIJSF_NSA_16discard_iteratorISK_EEEEENSM_IJSG_SG_EEES6_PlJS6_EEE10hipError_tPvRmT3_T4_T5_T6_T7_T9_mT8_P12ihipStream_tbDpT10_ENKUlT_T0_E_clISt17integral_constantIbLb1EES1A_IbLb0EEEEDaS16_S17_EUlS16_E_NS1_11comp_targetILNS1_3genE8ELNS1_11target_archE1030ELNS1_3gpuE2ELNS1_3repE0EEENS1_30default_config_static_selectorELNS0_4arch9wavefront6targetE1EEEvT1_
                                        ; -- End function
	.section	.AMDGPU.csdata,"",@progbits
; Kernel info:
; codeLenInByte = 0
; NumSgprs: 4
; NumVgprs: 0
; NumAgprs: 0
; TotalNumVgprs: 0
; ScratchSize: 0
; MemoryBound: 0
; FloatMode: 240
; IeeeMode: 1
; LDSByteSize: 0 bytes/workgroup (compile time only)
; SGPRBlocks: 0
; VGPRBlocks: 0
; NumSGPRsForWavesPerEU: 4
; NumVGPRsForWavesPerEU: 1
; AccumOffset: 4
; Occupancy: 8
; WaveLimiterHint : 0
; COMPUTE_PGM_RSRC2:SCRATCH_EN: 0
; COMPUTE_PGM_RSRC2:USER_SGPR: 6
; COMPUTE_PGM_RSRC2:TRAP_HANDLER: 0
; COMPUTE_PGM_RSRC2:TGID_X_EN: 1
; COMPUTE_PGM_RSRC2:TGID_Y_EN: 0
; COMPUTE_PGM_RSRC2:TGID_Z_EN: 0
; COMPUTE_PGM_RSRC2:TIDIG_COMP_CNT: 0
; COMPUTE_PGM_RSRC3_GFX90A:ACCUM_OFFSET: 0
; COMPUTE_PGM_RSRC3_GFX90A:TG_SPLIT: 0
	.section	.text._ZN7rocprim17ROCPRIM_400000_NS6detail17trampoline_kernelINS0_14default_configENS1_25partition_config_selectorILNS1_17partition_subalgoE1EsNS0_10empty_typeEbEEZZNS1_14partition_implILS5_1ELb0ES3_jN6thrust23THRUST_200600_302600_NS6detail15normal_iteratorINSA_10device_ptrIsEEEEPS6_NSA_18transform_iteratorI7is_evenIsESF_NSA_11use_defaultESK_EENS0_5tupleIJSF_NSA_16discard_iteratorISK_EEEEENSM_IJSG_SG_EEES6_PlJS6_EEE10hipError_tPvRmT3_T4_T5_T6_T7_T9_mT8_P12ihipStream_tbDpT10_ENKUlT_T0_E_clISt17integral_constantIbLb0EES1A_IbLb1EEEEDaS16_S17_EUlS16_E_NS1_11comp_targetILNS1_3genE0ELNS1_11target_archE4294967295ELNS1_3gpuE0ELNS1_3repE0EEENS1_30default_config_static_selectorELNS0_4arch9wavefront6targetE1EEEvT1_,"axG",@progbits,_ZN7rocprim17ROCPRIM_400000_NS6detail17trampoline_kernelINS0_14default_configENS1_25partition_config_selectorILNS1_17partition_subalgoE1EsNS0_10empty_typeEbEEZZNS1_14partition_implILS5_1ELb0ES3_jN6thrust23THRUST_200600_302600_NS6detail15normal_iteratorINSA_10device_ptrIsEEEEPS6_NSA_18transform_iteratorI7is_evenIsESF_NSA_11use_defaultESK_EENS0_5tupleIJSF_NSA_16discard_iteratorISK_EEEEENSM_IJSG_SG_EEES6_PlJS6_EEE10hipError_tPvRmT3_T4_T5_T6_T7_T9_mT8_P12ihipStream_tbDpT10_ENKUlT_T0_E_clISt17integral_constantIbLb0EES1A_IbLb1EEEEDaS16_S17_EUlS16_E_NS1_11comp_targetILNS1_3genE0ELNS1_11target_archE4294967295ELNS1_3gpuE0ELNS1_3repE0EEENS1_30default_config_static_selectorELNS0_4arch9wavefront6targetE1EEEvT1_,comdat
	.protected	_ZN7rocprim17ROCPRIM_400000_NS6detail17trampoline_kernelINS0_14default_configENS1_25partition_config_selectorILNS1_17partition_subalgoE1EsNS0_10empty_typeEbEEZZNS1_14partition_implILS5_1ELb0ES3_jN6thrust23THRUST_200600_302600_NS6detail15normal_iteratorINSA_10device_ptrIsEEEEPS6_NSA_18transform_iteratorI7is_evenIsESF_NSA_11use_defaultESK_EENS0_5tupleIJSF_NSA_16discard_iteratorISK_EEEEENSM_IJSG_SG_EEES6_PlJS6_EEE10hipError_tPvRmT3_T4_T5_T6_T7_T9_mT8_P12ihipStream_tbDpT10_ENKUlT_T0_E_clISt17integral_constantIbLb0EES1A_IbLb1EEEEDaS16_S17_EUlS16_E_NS1_11comp_targetILNS1_3genE0ELNS1_11target_archE4294967295ELNS1_3gpuE0ELNS1_3repE0EEENS1_30default_config_static_selectorELNS0_4arch9wavefront6targetE1EEEvT1_ ; -- Begin function _ZN7rocprim17ROCPRIM_400000_NS6detail17trampoline_kernelINS0_14default_configENS1_25partition_config_selectorILNS1_17partition_subalgoE1EsNS0_10empty_typeEbEEZZNS1_14partition_implILS5_1ELb0ES3_jN6thrust23THRUST_200600_302600_NS6detail15normal_iteratorINSA_10device_ptrIsEEEEPS6_NSA_18transform_iteratorI7is_evenIsESF_NSA_11use_defaultESK_EENS0_5tupleIJSF_NSA_16discard_iteratorISK_EEEEENSM_IJSG_SG_EEES6_PlJS6_EEE10hipError_tPvRmT3_T4_T5_T6_T7_T9_mT8_P12ihipStream_tbDpT10_ENKUlT_T0_E_clISt17integral_constantIbLb0EES1A_IbLb1EEEEDaS16_S17_EUlS16_E_NS1_11comp_targetILNS1_3genE0ELNS1_11target_archE4294967295ELNS1_3gpuE0ELNS1_3repE0EEENS1_30default_config_static_selectorELNS0_4arch9wavefront6targetE1EEEvT1_
	.globl	_ZN7rocprim17ROCPRIM_400000_NS6detail17trampoline_kernelINS0_14default_configENS1_25partition_config_selectorILNS1_17partition_subalgoE1EsNS0_10empty_typeEbEEZZNS1_14partition_implILS5_1ELb0ES3_jN6thrust23THRUST_200600_302600_NS6detail15normal_iteratorINSA_10device_ptrIsEEEEPS6_NSA_18transform_iteratorI7is_evenIsESF_NSA_11use_defaultESK_EENS0_5tupleIJSF_NSA_16discard_iteratorISK_EEEEENSM_IJSG_SG_EEES6_PlJS6_EEE10hipError_tPvRmT3_T4_T5_T6_T7_T9_mT8_P12ihipStream_tbDpT10_ENKUlT_T0_E_clISt17integral_constantIbLb0EES1A_IbLb1EEEEDaS16_S17_EUlS16_E_NS1_11comp_targetILNS1_3genE0ELNS1_11target_archE4294967295ELNS1_3gpuE0ELNS1_3repE0EEENS1_30default_config_static_selectorELNS0_4arch9wavefront6targetE1EEEvT1_
	.p2align	8
	.type	_ZN7rocprim17ROCPRIM_400000_NS6detail17trampoline_kernelINS0_14default_configENS1_25partition_config_selectorILNS1_17partition_subalgoE1EsNS0_10empty_typeEbEEZZNS1_14partition_implILS5_1ELb0ES3_jN6thrust23THRUST_200600_302600_NS6detail15normal_iteratorINSA_10device_ptrIsEEEEPS6_NSA_18transform_iteratorI7is_evenIsESF_NSA_11use_defaultESK_EENS0_5tupleIJSF_NSA_16discard_iteratorISK_EEEEENSM_IJSG_SG_EEES6_PlJS6_EEE10hipError_tPvRmT3_T4_T5_T6_T7_T9_mT8_P12ihipStream_tbDpT10_ENKUlT_T0_E_clISt17integral_constantIbLb0EES1A_IbLb1EEEEDaS16_S17_EUlS16_E_NS1_11comp_targetILNS1_3genE0ELNS1_11target_archE4294967295ELNS1_3gpuE0ELNS1_3repE0EEENS1_30default_config_static_selectorELNS0_4arch9wavefront6targetE1EEEvT1_,@function
_ZN7rocprim17ROCPRIM_400000_NS6detail17trampoline_kernelINS0_14default_configENS1_25partition_config_selectorILNS1_17partition_subalgoE1EsNS0_10empty_typeEbEEZZNS1_14partition_implILS5_1ELb0ES3_jN6thrust23THRUST_200600_302600_NS6detail15normal_iteratorINSA_10device_ptrIsEEEEPS6_NSA_18transform_iteratorI7is_evenIsESF_NSA_11use_defaultESK_EENS0_5tupleIJSF_NSA_16discard_iteratorISK_EEEEENSM_IJSG_SG_EEES6_PlJS6_EEE10hipError_tPvRmT3_T4_T5_T6_T7_T9_mT8_P12ihipStream_tbDpT10_ENKUlT_T0_E_clISt17integral_constantIbLb0EES1A_IbLb1EEEEDaS16_S17_EUlS16_E_NS1_11comp_targetILNS1_3genE0ELNS1_11target_archE4294967295ELNS1_3gpuE0ELNS1_3repE0EEENS1_30default_config_static_selectorELNS0_4arch9wavefront6targetE1EEEvT1_: ; @_ZN7rocprim17ROCPRIM_400000_NS6detail17trampoline_kernelINS0_14default_configENS1_25partition_config_selectorILNS1_17partition_subalgoE1EsNS0_10empty_typeEbEEZZNS1_14partition_implILS5_1ELb0ES3_jN6thrust23THRUST_200600_302600_NS6detail15normal_iteratorINSA_10device_ptrIsEEEEPS6_NSA_18transform_iteratorI7is_evenIsESF_NSA_11use_defaultESK_EENS0_5tupleIJSF_NSA_16discard_iteratorISK_EEEEENSM_IJSG_SG_EEES6_PlJS6_EEE10hipError_tPvRmT3_T4_T5_T6_T7_T9_mT8_P12ihipStream_tbDpT10_ENKUlT_T0_E_clISt17integral_constantIbLb0EES1A_IbLb1EEEEDaS16_S17_EUlS16_E_NS1_11comp_targetILNS1_3genE0ELNS1_11target_archE4294967295ELNS1_3gpuE0ELNS1_3repE0EEENS1_30default_config_static_selectorELNS0_4arch9wavefront6targetE1EEEvT1_
; %bb.0:
	.section	.rodata,"a",@progbits
	.p2align	6, 0x0
	.amdhsa_kernel _ZN7rocprim17ROCPRIM_400000_NS6detail17trampoline_kernelINS0_14default_configENS1_25partition_config_selectorILNS1_17partition_subalgoE1EsNS0_10empty_typeEbEEZZNS1_14partition_implILS5_1ELb0ES3_jN6thrust23THRUST_200600_302600_NS6detail15normal_iteratorINSA_10device_ptrIsEEEEPS6_NSA_18transform_iteratorI7is_evenIsESF_NSA_11use_defaultESK_EENS0_5tupleIJSF_NSA_16discard_iteratorISK_EEEEENSM_IJSG_SG_EEES6_PlJS6_EEE10hipError_tPvRmT3_T4_T5_T6_T7_T9_mT8_P12ihipStream_tbDpT10_ENKUlT_T0_E_clISt17integral_constantIbLb0EES1A_IbLb1EEEEDaS16_S17_EUlS16_E_NS1_11comp_targetILNS1_3genE0ELNS1_11target_archE4294967295ELNS1_3gpuE0ELNS1_3repE0EEENS1_30default_config_static_selectorELNS0_4arch9wavefront6targetE1EEEvT1_
		.amdhsa_group_segment_fixed_size 0
		.amdhsa_private_segment_fixed_size 0
		.amdhsa_kernarg_size 152
		.amdhsa_user_sgpr_count 6
		.amdhsa_user_sgpr_private_segment_buffer 1
		.amdhsa_user_sgpr_dispatch_ptr 0
		.amdhsa_user_sgpr_queue_ptr 0
		.amdhsa_user_sgpr_kernarg_segment_ptr 1
		.amdhsa_user_sgpr_dispatch_id 0
		.amdhsa_user_sgpr_flat_scratch_init 0
		.amdhsa_user_sgpr_kernarg_preload_length 0
		.amdhsa_user_sgpr_kernarg_preload_offset 0
		.amdhsa_user_sgpr_private_segment_size 0
		.amdhsa_uses_dynamic_stack 0
		.amdhsa_system_sgpr_private_segment_wavefront_offset 0
		.amdhsa_system_sgpr_workgroup_id_x 1
		.amdhsa_system_sgpr_workgroup_id_y 0
		.amdhsa_system_sgpr_workgroup_id_z 0
		.amdhsa_system_sgpr_workgroup_info 0
		.amdhsa_system_vgpr_workitem_id 0
		.amdhsa_next_free_vgpr 1
		.amdhsa_next_free_sgpr 0
		.amdhsa_accum_offset 4
		.amdhsa_reserve_vcc 0
		.amdhsa_reserve_flat_scratch 0
		.amdhsa_float_round_mode_32 0
		.amdhsa_float_round_mode_16_64 0
		.amdhsa_float_denorm_mode_32 3
		.amdhsa_float_denorm_mode_16_64 3
		.amdhsa_dx10_clamp 1
		.amdhsa_ieee_mode 1
		.amdhsa_fp16_overflow 0
		.amdhsa_tg_split 0
		.amdhsa_exception_fp_ieee_invalid_op 0
		.amdhsa_exception_fp_denorm_src 0
		.amdhsa_exception_fp_ieee_div_zero 0
		.amdhsa_exception_fp_ieee_overflow 0
		.amdhsa_exception_fp_ieee_underflow 0
		.amdhsa_exception_fp_ieee_inexact 0
		.amdhsa_exception_int_div_zero 0
	.end_amdhsa_kernel
	.section	.text._ZN7rocprim17ROCPRIM_400000_NS6detail17trampoline_kernelINS0_14default_configENS1_25partition_config_selectorILNS1_17partition_subalgoE1EsNS0_10empty_typeEbEEZZNS1_14partition_implILS5_1ELb0ES3_jN6thrust23THRUST_200600_302600_NS6detail15normal_iteratorINSA_10device_ptrIsEEEEPS6_NSA_18transform_iteratorI7is_evenIsESF_NSA_11use_defaultESK_EENS0_5tupleIJSF_NSA_16discard_iteratorISK_EEEEENSM_IJSG_SG_EEES6_PlJS6_EEE10hipError_tPvRmT3_T4_T5_T6_T7_T9_mT8_P12ihipStream_tbDpT10_ENKUlT_T0_E_clISt17integral_constantIbLb0EES1A_IbLb1EEEEDaS16_S17_EUlS16_E_NS1_11comp_targetILNS1_3genE0ELNS1_11target_archE4294967295ELNS1_3gpuE0ELNS1_3repE0EEENS1_30default_config_static_selectorELNS0_4arch9wavefront6targetE1EEEvT1_,"axG",@progbits,_ZN7rocprim17ROCPRIM_400000_NS6detail17trampoline_kernelINS0_14default_configENS1_25partition_config_selectorILNS1_17partition_subalgoE1EsNS0_10empty_typeEbEEZZNS1_14partition_implILS5_1ELb0ES3_jN6thrust23THRUST_200600_302600_NS6detail15normal_iteratorINSA_10device_ptrIsEEEEPS6_NSA_18transform_iteratorI7is_evenIsESF_NSA_11use_defaultESK_EENS0_5tupleIJSF_NSA_16discard_iteratorISK_EEEEENSM_IJSG_SG_EEES6_PlJS6_EEE10hipError_tPvRmT3_T4_T5_T6_T7_T9_mT8_P12ihipStream_tbDpT10_ENKUlT_T0_E_clISt17integral_constantIbLb0EES1A_IbLb1EEEEDaS16_S17_EUlS16_E_NS1_11comp_targetILNS1_3genE0ELNS1_11target_archE4294967295ELNS1_3gpuE0ELNS1_3repE0EEENS1_30default_config_static_selectorELNS0_4arch9wavefront6targetE1EEEvT1_,comdat
.Lfunc_end3411:
	.size	_ZN7rocprim17ROCPRIM_400000_NS6detail17trampoline_kernelINS0_14default_configENS1_25partition_config_selectorILNS1_17partition_subalgoE1EsNS0_10empty_typeEbEEZZNS1_14partition_implILS5_1ELb0ES3_jN6thrust23THRUST_200600_302600_NS6detail15normal_iteratorINSA_10device_ptrIsEEEEPS6_NSA_18transform_iteratorI7is_evenIsESF_NSA_11use_defaultESK_EENS0_5tupleIJSF_NSA_16discard_iteratorISK_EEEEENSM_IJSG_SG_EEES6_PlJS6_EEE10hipError_tPvRmT3_T4_T5_T6_T7_T9_mT8_P12ihipStream_tbDpT10_ENKUlT_T0_E_clISt17integral_constantIbLb0EES1A_IbLb1EEEEDaS16_S17_EUlS16_E_NS1_11comp_targetILNS1_3genE0ELNS1_11target_archE4294967295ELNS1_3gpuE0ELNS1_3repE0EEENS1_30default_config_static_selectorELNS0_4arch9wavefront6targetE1EEEvT1_, .Lfunc_end3411-_ZN7rocprim17ROCPRIM_400000_NS6detail17trampoline_kernelINS0_14default_configENS1_25partition_config_selectorILNS1_17partition_subalgoE1EsNS0_10empty_typeEbEEZZNS1_14partition_implILS5_1ELb0ES3_jN6thrust23THRUST_200600_302600_NS6detail15normal_iteratorINSA_10device_ptrIsEEEEPS6_NSA_18transform_iteratorI7is_evenIsESF_NSA_11use_defaultESK_EENS0_5tupleIJSF_NSA_16discard_iteratorISK_EEEEENSM_IJSG_SG_EEES6_PlJS6_EEE10hipError_tPvRmT3_T4_T5_T6_T7_T9_mT8_P12ihipStream_tbDpT10_ENKUlT_T0_E_clISt17integral_constantIbLb0EES1A_IbLb1EEEEDaS16_S17_EUlS16_E_NS1_11comp_targetILNS1_3genE0ELNS1_11target_archE4294967295ELNS1_3gpuE0ELNS1_3repE0EEENS1_30default_config_static_selectorELNS0_4arch9wavefront6targetE1EEEvT1_
                                        ; -- End function
	.section	.AMDGPU.csdata,"",@progbits
; Kernel info:
; codeLenInByte = 0
; NumSgprs: 4
; NumVgprs: 0
; NumAgprs: 0
; TotalNumVgprs: 0
; ScratchSize: 0
; MemoryBound: 0
; FloatMode: 240
; IeeeMode: 1
; LDSByteSize: 0 bytes/workgroup (compile time only)
; SGPRBlocks: 0
; VGPRBlocks: 0
; NumSGPRsForWavesPerEU: 4
; NumVGPRsForWavesPerEU: 1
; AccumOffset: 4
; Occupancy: 8
; WaveLimiterHint : 0
; COMPUTE_PGM_RSRC2:SCRATCH_EN: 0
; COMPUTE_PGM_RSRC2:USER_SGPR: 6
; COMPUTE_PGM_RSRC2:TRAP_HANDLER: 0
; COMPUTE_PGM_RSRC2:TGID_X_EN: 1
; COMPUTE_PGM_RSRC2:TGID_Y_EN: 0
; COMPUTE_PGM_RSRC2:TGID_Z_EN: 0
; COMPUTE_PGM_RSRC2:TIDIG_COMP_CNT: 0
; COMPUTE_PGM_RSRC3_GFX90A:ACCUM_OFFSET: 0
; COMPUTE_PGM_RSRC3_GFX90A:TG_SPLIT: 0
	.section	.text._ZN7rocprim17ROCPRIM_400000_NS6detail17trampoline_kernelINS0_14default_configENS1_25partition_config_selectorILNS1_17partition_subalgoE1EsNS0_10empty_typeEbEEZZNS1_14partition_implILS5_1ELb0ES3_jN6thrust23THRUST_200600_302600_NS6detail15normal_iteratorINSA_10device_ptrIsEEEEPS6_NSA_18transform_iteratorI7is_evenIsESF_NSA_11use_defaultESK_EENS0_5tupleIJSF_NSA_16discard_iteratorISK_EEEEENSM_IJSG_SG_EEES6_PlJS6_EEE10hipError_tPvRmT3_T4_T5_T6_T7_T9_mT8_P12ihipStream_tbDpT10_ENKUlT_T0_E_clISt17integral_constantIbLb0EES1A_IbLb1EEEEDaS16_S17_EUlS16_E_NS1_11comp_targetILNS1_3genE5ELNS1_11target_archE942ELNS1_3gpuE9ELNS1_3repE0EEENS1_30default_config_static_selectorELNS0_4arch9wavefront6targetE1EEEvT1_,"axG",@progbits,_ZN7rocprim17ROCPRIM_400000_NS6detail17trampoline_kernelINS0_14default_configENS1_25partition_config_selectorILNS1_17partition_subalgoE1EsNS0_10empty_typeEbEEZZNS1_14partition_implILS5_1ELb0ES3_jN6thrust23THRUST_200600_302600_NS6detail15normal_iteratorINSA_10device_ptrIsEEEEPS6_NSA_18transform_iteratorI7is_evenIsESF_NSA_11use_defaultESK_EENS0_5tupleIJSF_NSA_16discard_iteratorISK_EEEEENSM_IJSG_SG_EEES6_PlJS6_EEE10hipError_tPvRmT3_T4_T5_T6_T7_T9_mT8_P12ihipStream_tbDpT10_ENKUlT_T0_E_clISt17integral_constantIbLb0EES1A_IbLb1EEEEDaS16_S17_EUlS16_E_NS1_11comp_targetILNS1_3genE5ELNS1_11target_archE942ELNS1_3gpuE9ELNS1_3repE0EEENS1_30default_config_static_selectorELNS0_4arch9wavefront6targetE1EEEvT1_,comdat
	.protected	_ZN7rocprim17ROCPRIM_400000_NS6detail17trampoline_kernelINS0_14default_configENS1_25partition_config_selectorILNS1_17partition_subalgoE1EsNS0_10empty_typeEbEEZZNS1_14partition_implILS5_1ELb0ES3_jN6thrust23THRUST_200600_302600_NS6detail15normal_iteratorINSA_10device_ptrIsEEEEPS6_NSA_18transform_iteratorI7is_evenIsESF_NSA_11use_defaultESK_EENS0_5tupleIJSF_NSA_16discard_iteratorISK_EEEEENSM_IJSG_SG_EEES6_PlJS6_EEE10hipError_tPvRmT3_T4_T5_T6_T7_T9_mT8_P12ihipStream_tbDpT10_ENKUlT_T0_E_clISt17integral_constantIbLb0EES1A_IbLb1EEEEDaS16_S17_EUlS16_E_NS1_11comp_targetILNS1_3genE5ELNS1_11target_archE942ELNS1_3gpuE9ELNS1_3repE0EEENS1_30default_config_static_selectorELNS0_4arch9wavefront6targetE1EEEvT1_ ; -- Begin function _ZN7rocprim17ROCPRIM_400000_NS6detail17trampoline_kernelINS0_14default_configENS1_25partition_config_selectorILNS1_17partition_subalgoE1EsNS0_10empty_typeEbEEZZNS1_14partition_implILS5_1ELb0ES3_jN6thrust23THRUST_200600_302600_NS6detail15normal_iteratorINSA_10device_ptrIsEEEEPS6_NSA_18transform_iteratorI7is_evenIsESF_NSA_11use_defaultESK_EENS0_5tupleIJSF_NSA_16discard_iteratorISK_EEEEENSM_IJSG_SG_EEES6_PlJS6_EEE10hipError_tPvRmT3_T4_T5_T6_T7_T9_mT8_P12ihipStream_tbDpT10_ENKUlT_T0_E_clISt17integral_constantIbLb0EES1A_IbLb1EEEEDaS16_S17_EUlS16_E_NS1_11comp_targetILNS1_3genE5ELNS1_11target_archE942ELNS1_3gpuE9ELNS1_3repE0EEENS1_30default_config_static_selectorELNS0_4arch9wavefront6targetE1EEEvT1_
	.globl	_ZN7rocprim17ROCPRIM_400000_NS6detail17trampoline_kernelINS0_14default_configENS1_25partition_config_selectorILNS1_17partition_subalgoE1EsNS0_10empty_typeEbEEZZNS1_14partition_implILS5_1ELb0ES3_jN6thrust23THRUST_200600_302600_NS6detail15normal_iteratorINSA_10device_ptrIsEEEEPS6_NSA_18transform_iteratorI7is_evenIsESF_NSA_11use_defaultESK_EENS0_5tupleIJSF_NSA_16discard_iteratorISK_EEEEENSM_IJSG_SG_EEES6_PlJS6_EEE10hipError_tPvRmT3_T4_T5_T6_T7_T9_mT8_P12ihipStream_tbDpT10_ENKUlT_T0_E_clISt17integral_constantIbLb0EES1A_IbLb1EEEEDaS16_S17_EUlS16_E_NS1_11comp_targetILNS1_3genE5ELNS1_11target_archE942ELNS1_3gpuE9ELNS1_3repE0EEENS1_30default_config_static_selectorELNS0_4arch9wavefront6targetE1EEEvT1_
	.p2align	8
	.type	_ZN7rocprim17ROCPRIM_400000_NS6detail17trampoline_kernelINS0_14default_configENS1_25partition_config_selectorILNS1_17partition_subalgoE1EsNS0_10empty_typeEbEEZZNS1_14partition_implILS5_1ELb0ES3_jN6thrust23THRUST_200600_302600_NS6detail15normal_iteratorINSA_10device_ptrIsEEEEPS6_NSA_18transform_iteratorI7is_evenIsESF_NSA_11use_defaultESK_EENS0_5tupleIJSF_NSA_16discard_iteratorISK_EEEEENSM_IJSG_SG_EEES6_PlJS6_EEE10hipError_tPvRmT3_T4_T5_T6_T7_T9_mT8_P12ihipStream_tbDpT10_ENKUlT_T0_E_clISt17integral_constantIbLb0EES1A_IbLb1EEEEDaS16_S17_EUlS16_E_NS1_11comp_targetILNS1_3genE5ELNS1_11target_archE942ELNS1_3gpuE9ELNS1_3repE0EEENS1_30default_config_static_selectorELNS0_4arch9wavefront6targetE1EEEvT1_,@function
_ZN7rocprim17ROCPRIM_400000_NS6detail17trampoline_kernelINS0_14default_configENS1_25partition_config_selectorILNS1_17partition_subalgoE1EsNS0_10empty_typeEbEEZZNS1_14partition_implILS5_1ELb0ES3_jN6thrust23THRUST_200600_302600_NS6detail15normal_iteratorINSA_10device_ptrIsEEEEPS6_NSA_18transform_iteratorI7is_evenIsESF_NSA_11use_defaultESK_EENS0_5tupleIJSF_NSA_16discard_iteratorISK_EEEEENSM_IJSG_SG_EEES6_PlJS6_EEE10hipError_tPvRmT3_T4_T5_T6_T7_T9_mT8_P12ihipStream_tbDpT10_ENKUlT_T0_E_clISt17integral_constantIbLb0EES1A_IbLb1EEEEDaS16_S17_EUlS16_E_NS1_11comp_targetILNS1_3genE5ELNS1_11target_archE942ELNS1_3gpuE9ELNS1_3repE0EEENS1_30default_config_static_selectorELNS0_4arch9wavefront6targetE1EEEvT1_: ; @_ZN7rocprim17ROCPRIM_400000_NS6detail17trampoline_kernelINS0_14default_configENS1_25partition_config_selectorILNS1_17partition_subalgoE1EsNS0_10empty_typeEbEEZZNS1_14partition_implILS5_1ELb0ES3_jN6thrust23THRUST_200600_302600_NS6detail15normal_iteratorINSA_10device_ptrIsEEEEPS6_NSA_18transform_iteratorI7is_evenIsESF_NSA_11use_defaultESK_EENS0_5tupleIJSF_NSA_16discard_iteratorISK_EEEEENSM_IJSG_SG_EEES6_PlJS6_EEE10hipError_tPvRmT3_T4_T5_T6_T7_T9_mT8_P12ihipStream_tbDpT10_ENKUlT_T0_E_clISt17integral_constantIbLb0EES1A_IbLb1EEEEDaS16_S17_EUlS16_E_NS1_11comp_targetILNS1_3genE5ELNS1_11target_archE942ELNS1_3gpuE9ELNS1_3repE0EEENS1_30default_config_static_selectorELNS0_4arch9wavefront6targetE1EEEvT1_
; %bb.0:
	.section	.rodata,"a",@progbits
	.p2align	6, 0x0
	.amdhsa_kernel _ZN7rocprim17ROCPRIM_400000_NS6detail17trampoline_kernelINS0_14default_configENS1_25partition_config_selectorILNS1_17partition_subalgoE1EsNS0_10empty_typeEbEEZZNS1_14partition_implILS5_1ELb0ES3_jN6thrust23THRUST_200600_302600_NS6detail15normal_iteratorINSA_10device_ptrIsEEEEPS6_NSA_18transform_iteratorI7is_evenIsESF_NSA_11use_defaultESK_EENS0_5tupleIJSF_NSA_16discard_iteratorISK_EEEEENSM_IJSG_SG_EEES6_PlJS6_EEE10hipError_tPvRmT3_T4_T5_T6_T7_T9_mT8_P12ihipStream_tbDpT10_ENKUlT_T0_E_clISt17integral_constantIbLb0EES1A_IbLb1EEEEDaS16_S17_EUlS16_E_NS1_11comp_targetILNS1_3genE5ELNS1_11target_archE942ELNS1_3gpuE9ELNS1_3repE0EEENS1_30default_config_static_selectorELNS0_4arch9wavefront6targetE1EEEvT1_
		.amdhsa_group_segment_fixed_size 0
		.amdhsa_private_segment_fixed_size 0
		.amdhsa_kernarg_size 152
		.amdhsa_user_sgpr_count 6
		.amdhsa_user_sgpr_private_segment_buffer 1
		.amdhsa_user_sgpr_dispatch_ptr 0
		.amdhsa_user_sgpr_queue_ptr 0
		.amdhsa_user_sgpr_kernarg_segment_ptr 1
		.amdhsa_user_sgpr_dispatch_id 0
		.amdhsa_user_sgpr_flat_scratch_init 0
		.amdhsa_user_sgpr_kernarg_preload_length 0
		.amdhsa_user_sgpr_kernarg_preload_offset 0
		.amdhsa_user_sgpr_private_segment_size 0
		.amdhsa_uses_dynamic_stack 0
		.amdhsa_system_sgpr_private_segment_wavefront_offset 0
		.amdhsa_system_sgpr_workgroup_id_x 1
		.amdhsa_system_sgpr_workgroup_id_y 0
		.amdhsa_system_sgpr_workgroup_id_z 0
		.amdhsa_system_sgpr_workgroup_info 0
		.amdhsa_system_vgpr_workitem_id 0
		.amdhsa_next_free_vgpr 1
		.amdhsa_next_free_sgpr 0
		.amdhsa_accum_offset 4
		.amdhsa_reserve_vcc 0
		.amdhsa_reserve_flat_scratch 0
		.amdhsa_float_round_mode_32 0
		.amdhsa_float_round_mode_16_64 0
		.amdhsa_float_denorm_mode_32 3
		.amdhsa_float_denorm_mode_16_64 3
		.amdhsa_dx10_clamp 1
		.amdhsa_ieee_mode 1
		.amdhsa_fp16_overflow 0
		.amdhsa_tg_split 0
		.amdhsa_exception_fp_ieee_invalid_op 0
		.amdhsa_exception_fp_denorm_src 0
		.amdhsa_exception_fp_ieee_div_zero 0
		.amdhsa_exception_fp_ieee_overflow 0
		.amdhsa_exception_fp_ieee_underflow 0
		.amdhsa_exception_fp_ieee_inexact 0
		.amdhsa_exception_int_div_zero 0
	.end_amdhsa_kernel
	.section	.text._ZN7rocprim17ROCPRIM_400000_NS6detail17trampoline_kernelINS0_14default_configENS1_25partition_config_selectorILNS1_17partition_subalgoE1EsNS0_10empty_typeEbEEZZNS1_14partition_implILS5_1ELb0ES3_jN6thrust23THRUST_200600_302600_NS6detail15normal_iteratorINSA_10device_ptrIsEEEEPS6_NSA_18transform_iteratorI7is_evenIsESF_NSA_11use_defaultESK_EENS0_5tupleIJSF_NSA_16discard_iteratorISK_EEEEENSM_IJSG_SG_EEES6_PlJS6_EEE10hipError_tPvRmT3_T4_T5_T6_T7_T9_mT8_P12ihipStream_tbDpT10_ENKUlT_T0_E_clISt17integral_constantIbLb0EES1A_IbLb1EEEEDaS16_S17_EUlS16_E_NS1_11comp_targetILNS1_3genE5ELNS1_11target_archE942ELNS1_3gpuE9ELNS1_3repE0EEENS1_30default_config_static_selectorELNS0_4arch9wavefront6targetE1EEEvT1_,"axG",@progbits,_ZN7rocprim17ROCPRIM_400000_NS6detail17trampoline_kernelINS0_14default_configENS1_25partition_config_selectorILNS1_17partition_subalgoE1EsNS0_10empty_typeEbEEZZNS1_14partition_implILS5_1ELb0ES3_jN6thrust23THRUST_200600_302600_NS6detail15normal_iteratorINSA_10device_ptrIsEEEEPS6_NSA_18transform_iteratorI7is_evenIsESF_NSA_11use_defaultESK_EENS0_5tupleIJSF_NSA_16discard_iteratorISK_EEEEENSM_IJSG_SG_EEES6_PlJS6_EEE10hipError_tPvRmT3_T4_T5_T6_T7_T9_mT8_P12ihipStream_tbDpT10_ENKUlT_T0_E_clISt17integral_constantIbLb0EES1A_IbLb1EEEEDaS16_S17_EUlS16_E_NS1_11comp_targetILNS1_3genE5ELNS1_11target_archE942ELNS1_3gpuE9ELNS1_3repE0EEENS1_30default_config_static_selectorELNS0_4arch9wavefront6targetE1EEEvT1_,comdat
.Lfunc_end3412:
	.size	_ZN7rocprim17ROCPRIM_400000_NS6detail17trampoline_kernelINS0_14default_configENS1_25partition_config_selectorILNS1_17partition_subalgoE1EsNS0_10empty_typeEbEEZZNS1_14partition_implILS5_1ELb0ES3_jN6thrust23THRUST_200600_302600_NS6detail15normal_iteratorINSA_10device_ptrIsEEEEPS6_NSA_18transform_iteratorI7is_evenIsESF_NSA_11use_defaultESK_EENS0_5tupleIJSF_NSA_16discard_iteratorISK_EEEEENSM_IJSG_SG_EEES6_PlJS6_EEE10hipError_tPvRmT3_T4_T5_T6_T7_T9_mT8_P12ihipStream_tbDpT10_ENKUlT_T0_E_clISt17integral_constantIbLb0EES1A_IbLb1EEEEDaS16_S17_EUlS16_E_NS1_11comp_targetILNS1_3genE5ELNS1_11target_archE942ELNS1_3gpuE9ELNS1_3repE0EEENS1_30default_config_static_selectorELNS0_4arch9wavefront6targetE1EEEvT1_, .Lfunc_end3412-_ZN7rocprim17ROCPRIM_400000_NS6detail17trampoline_kernelINS0_14default_configENS1_25partition_config_selectorILNS1_17partition_subalgoE1EsNS0_10empty_typeEbEEZZNS1_14partition_implILS5_1ELb0ES3_jN6thrust23THRUST_200600_302600_NS6detail15normal_iteratorINSA_10device_ptrIsEEEEPS6_NSA_18transform_iteratorI7is_evenIsESF_NSA_11use_defaultESK_EENS0_5tupleIJSF_NSA_16discard_iteratorISK_EEEEENSM_IJSG_SG_EEES6_PlJS6_EEE10hipError_tPvRmT3_T4_T5_T6_T7_T9_mT8_P12ihipStream_tbDpT10_ENKUlT_T0_E_clISt17integral_constantIbLb0EES1A_IbLb1EEEEDaS16_S17_EUlS16_E_NS1_11comp_targetILNS1_3genE5ELNS1_11target_archE942ELNS1_3gpuE9ELNS1_3repE0EEENS1_30default_config_static_selectorELNS0_4arch9wavefront6targetE1EEEvT1_
                                        ; -- End function
	.section	.AMDGPU.csdata,"",@progbits
; Kernel info:
; codeLenInByte = 0
; NumSgprs: 4
; NumVgprs: 0
; NumAgprs: 0
; TotalNumVgprs: 0
; ScratchSize: 0
; MemoryBound: 0
; FloatMode: 240
; IeeeMode: 1
; LDSByteSize: 0 bytes/workgroup (compile time only)
; SGPRBlocks: 0
; VGPRBlocks: 0
; NumSGPRsForWavesPerEU: 4
; NumVGPRsForWavesPerEU: 1
; AccumOffset: 4
; Occupancy: 8
; WaveLimiterHint : 0
; COMPUTE_PGM_RSRC2:SCRATCH_EN: 0
; COMPUTE_PGM_RSRC2:USER_SGPR: 6
; COMPUTE_PGM_RSRC2:TRAP_HANDLER: 0
; COMPUTE_PGM_RSRC2:TGID_X_EN: 1
; COMPUTE_PGM_RSRC2:TGID_Y_EN: 0
; COMPUTE_PGM_RSRC2:TGID_Z_EN: 0
; COMPUTE_PGM_RSRC2:TIDIG_COMP_CNT: 0
; COMPUTE_PGM_RSRC3_GFX90A:ACCUM_OFFSET: 0
; COMPUTE_PGM_RSRC3_GFX90A:TG_SPLIT: 0
	.section	.text._ZN7rocprim17ROCPRIM_400000_NS6detail17trampoline_kernelINS0_14default_configENS1_25partition_config_selectorILNS1_17partition_subalgoE1EsNS0_10empty_typeEbEEZZNS1_14partition_implILS5_1ELb0ES3_jN6thrust23THRUST_200600_302600_NS6detail15normal_iteratorINSA_10device_ptrIsEEEEPS6_NSA_18transform_iteratorI7is_evenIsESF_NSA_11use_defaultESK_EENS0_5tupleIJSF_NSA_16discard_iteratorISK_EEEEENSM_IJSG_SG_EEES6_PlJS6_EEE10hipError_tPvRmT3_T4_T5_T6_T7_T9_mT8_P12ihipStream_tbDpT10_ENKUlT_T0_E_clISt17integral_constantIbLb0EES1A_IbLb1EEEEDaS16_S17_EUlS16_E_NS1_11comp_targetILNS1_3genE4ELNS1_11target_archE910ELNS1_3gpuE8ELNS1_3repE0EEENS1_30default_config_static_selectorELNS0_4arch9wavefront6targetE1EEEvT1_,"axG",@progbits,_ZN7rocprim17ROCPRIM_400000_NS6detail17trampoline_kernelINS0_14default_configENS1_25partition_config_selectorILNS1_17partition_subalgoE1EsNS0_10empty_typeEbEEZZNS1_14partition_implILS5_1ELb0ES3_jN6thrust23THRUST_200600_302600_NS6detail15normal_iteratorINSA_10device_ptrIsEEEEPS6_NSA_18transform_iteratorI7is_evenIsESF_NSA_11use_defaultESK_EENS0_5tupleIJSF_NSA_16discard_iteratorISK_EEEEENSM_IJSG_SG_EEES6_PlJS6_EEE10hipError_tPvRmT3_T4_T5_T6_T7_T9_mT8_P12ihipStream_tbDpT10_ENKUlT_T0_E_clISt17integral_constantIbLb0EES1A_IbLb1EEEEDaS16_S17_EUlS16_E_NS1_11comp_targetILNS1_3genE4ELNS1_11target_archE910ELNS1_3gpuE8ELNS1_3repE0EEENS1_30default_config_static_selectorELNS0_4arch9wavefront6targetE1EEEvT1_,comdat
	.protected	_ZN7rocprim17ROCPRIM_400000_NS6detail17trampoline_kernelINS0_14default_configENS1_25partition_config_selectorILNS1_17partition_subalgoE1EsNS0_10empty_typeEbEEZZNS1_14partition_implILS5_1ELb0ES3_jN6thrust23THRUST_200600_302600_NS6detail15normal_iteratorINSA_10device_ptrIsEEEEPS6_NSA_18transform_iteratorI7is_evenIsESF_NSA_11use_defaultESK_EENS0_5tupleIJSF_NSA_16discard_iteratorISK_EEEEENSM_IJSG_SG_EEES6_PlJS6_EEE10hipError_tPvRmT3_T4_T5_T6_T7_T9_mT8_P12ihipStream_tbDpT10_ENKUlT_T0_E_clISt17integral_constantIbLb0EES1A_IbLb1EEEEDaS16_S17_EUlS16_E_NS1_11comp_targetILNS1_3genE4ELNS1_11target_archE910ELNS1_3gpuE8ELNS1_3repE0EEENS1_30default_config_static_selectorELNS0_4arch9wavefront6targetE1EEEvT1_ ; -- Begin function _ZN7rocprim17ROCPRIM_400000_NS6detail17trampoline_kernelINS0_14default_configENS1_25partition_config_selectorILNS1_17partition_subalgoE1EsNS0_10empty_typeEbEEZZNS1_14partition_implILS5_1ELb0ES3_jN6thrust23THRUST_200600_302600_NS6detail15normal_iteratorINSA_10device_ptrIsEEEEPS6_NSA_18transform_iteratorI7is_evenIsESF_NSA_11use_defaultESK_EENS0_5tupleIJSF_NSA_16discard_iteratorISK_EEEEENSM_IJSG_SG_EEES6_PlJS6_EEE10hipError_tPvRmT3_T4_T5_T6_T7_T9_mT8_P12ihipStream_tbDpT10_ENKUlT_T0_E_clISt17integral_constantIbLb0EES1A_IbLb1EEEEDaS16_S17_EUlS16_E_NS1_11comp_targetILNS1_3genE4ELNS1_11target_archE910ELNS1_3gpuE8ELNS1_3repE0EEENS1_30default_config_static_selectorELNS0_4arch9wavefront6targetE1EEEvT1_
	.globl	_ZN7rocprim17ROCPRIM_400000_NS6detail17trampoline_kernelINS0_14default_configENS1_25partition_config_selectorILNS1_17partition_subalgoE1EsNS0_10empty_typeEbEEZZNS1_14partition_implILS5_1ELb0ES3_jN6thrust23THRUST_200600_302600_NS6detail15normal_iteratorINSA_10device_ptrIsEEEEPS6_NSA_18transform_iteratorI7is_evenIsESF_NSA_11use_defaultESK_EENS0_5tupleIJSF_NSA_16discard_iteratorISK_EEEEENSM_IJSG_SG_EEES6_PlJS6_EEE10hipError_tPvRmT3_T4_T5_T6_T7_T9_mT8_P12ihipStream_tbDpT10_ENKUlT_T0_E_clISt17integral_constantIbLb0EES1A_IbLb1EEEEDaS16_S17_EUlS16_E_NS1_11comp_targetILNS1_3genE4ELNS1_11target_archE910ELNS1_3gpuE8ELNS1_3repE0EEENS1_30default_config_static_selectorELNS0_4arch9wavefront6targetE1EEEvT1_
	.p2align	8
	.type	_ZN7rocprim17ROCPRIM_400000_NS6detail17trampoline_kernelINS0_14default_configENS1_25partition_config_selectorILNS1_17partition_subalgoE1EsNS0_10empty_typeEbEEZZNS1_14partition_implILS5_1ELb0ES3_jN6thrust23THRUST_200600_302600_NS6detail15normal_iteratorINSA_10device_ptrIsEEEEPS6_NSA_18transform_iteratorI7is_evenIsESF_NSA_11use_defaultESK_EENS0_5tupleIJSF_NSA_16discard_iteratorISK_EEEEENSM_IJSG_SG_EEES6_PlJS6_EEE10hipError_tPvRmT3_T4_T5_T6_T7_T9_mT8_P12ihipStream_tbDpT10_ENKUlT_T0_E_clISt17integral_constantIbLb0EES1A_IbLb1EEEEDaS16_S17_EUlS16_E_NS1_11comp_targetILNS1_3genE4ELNS1_11target_archE910ELNS1_3gpuE8ELNS1_3repE0EEENS1_30default_config_static_selectorELNS0_4arch9wavefront6targetE1EEEvT1_,@function
_ZN7rocprim17ROCPRIM_400000_NS6detail17trampoline_kernelINS0_14default_configENS1_25partition_config_selectorILNS1_17partition_subalgoE1EsNS0_10empty_typeEbEEZZNS1_14partition_implILS5_1ELb0ES3_jN6thrust23THRUST_200600_302600_NS6detail15normal_iteratorINSA_10device_ptrIsEEEEPS6_NSA_18transform_iteratorI7is_evenIsESF_NSA_11use_defaultESK_EENS0_5tupleIJSF_NSA_16discard_iteratorISK_EEEEENSM_IJSG_SG_EEES6_PlJS6_EEE10hipError_tPvRmT3_T4_T5_T6_T7_T9_mT8_P12ihipStream_tbDpT10_ENKUlT_T0_E_clISt17integral_constantIbLb0EES1A_IbLb1EEEEDaS16_S17_EUlS16_E_NS1_11comp_targetILNS1_3genE4ELNS1_11target_archE910ELNS1_3gpuE8ELNS1_3repE0EEENS1_30default_config_static_selectorELNS0_4arch9wavefront6targetE1EEEvT1_: ; @_ZN7rocprim17ROCPRIM_400000_NS6detail17trampoline_kernelINS0_14default_configENS1_25partition_config_selectorILNS1_17partition_subalgoE1EsNS0_10empty_typeEbEEZZNS1_14partition_implILS5_1ELb0ES3_jN6thrust23THRUST_200600_302600_NS6detail15normal_iteratorINSA_10device_ptrIsEEEEPS6_NSA_18transform_iteratorI7is_evenIsESF_NSA_11use_defaultESK_EENS0_5tupleIJSF_NSA_16discard_iteratorISK_EEEEENSM_IJSG_SG_EEES6_PlJS6_EEE10hipError_tPvRmT3_T4_T5_T6_T7_T9_mT8_P12ihipStream_tbDpT10_ENKUlT_T0_E_clISt17integral_constantIbLb0EES1A_IbLb1EEEEDaS16_S17_EUlS16_E_NS1_11comp_targetILNS1_3genE4ELNS1_11target_archE910ELNS1_3gpuE8ELNS1_3repE0EEENS1_30default_config_static_selectorELNS0_4arch9wavefront6targetE1EEEvT1_
; %bb.0:
	s_load_dwordx2 s[6:7], s[4:5], 0x20
	s_load_dwordx2 s[24:25], s[4:5], 0x30
	;; [unrolled: 1-line block ×3, first 2 shown]
	s_load_dwordx4 s[20:23], s[4:5], 0x58
	s_load_dwordx2 s[26:27], s[4:5], 0x78
	v_cmp_eq_u32_e64 s[0:1], 0, v0
	s_and_saveexec_b64 s[8:9], s[0:1]
	s_cbranch_execz .LBB3413_4
; %bb.1:
	s_mov_b64 s[12:13], exec
	v_mbcnt_lo_u32_b32 v1, s12, 0
	v_mbcnt_hi_u32_b32 v1, s13, v1
	v_cmp_eq_u32_e32 vcc, 0, v1
                                        ; implicit-def: $vgpr2
	s_and_saveexec_b64 s[10:11], vcc
	s_cbranch_execz .LBB3413_3
; %bb.2:
	s_load_dwordx2 s[14:15], s[4:5], 0x88
	s_bcnt1_i32_b64 s12, s[12:13]
	v_mov_b32_e32 v2, 0
	v_mov_b32_e32 v3, s12
	s_waitcnt lgkmcnt(0)
	global_atomic_add v2, v2, v3, s[14:15] glc
.LBB3413_3:
	s_or_b64 exec, exec, s[10:11]
	s_waitcnt vmcnt(0)
	v_readfirstlane_b32 s10, v2
	v_add_u32_e32 v1, s10, v1
	v_mov_b32_e32 v2, 0
	ds_write_b32 v2, v1
.LBB3413_4:
	s_or_b64 exec, exec, s[8:9]
	v_mov_b32_e32 v1, 0
	s_load_dwordx4 s[8:11], s[4:5], 0x8
	s_load_dword s12, s[4:5], 0x80
	s_waitcnt lgkmcnt(0)
	s_barrier
	ds_read_b32 v4, v1
	s_waitcnt lgkmcnt(0)
	s_barrier
	global_load_dwordx2 v[10:11], v1, s[22:23]
	s_lshl_b64 s[4:5], s[10:11], 1
	v_mov_b32_e32 v3, s3
	s_add_u32 s13, s8, s4
	s_mul_i32 s3, s12, 0x1400
	s_addc_u32 s14, s9, s5
	s_add_i32 s9, s3, s10
	s_sub_i32 s33, s2, s9
	s_add_i32 s15, s12, -1
	s_addk_i32 s33, 0x1400
	v_mov_b32_e32 v2, s2
	s_add_u32 s2, s10, s3
	v_readfirstlane_b32 s36, v4
	s_addc_u32 s3, s11, 0
	s_cmp_eq_u32 s36, s15
	s_cselect_b64 s[18:19], -1, 0
	s_cmp_lg_u32 s36, s15
	s_mul_i32 s8, s36, 0x1400
	s_mov_b32 s9, 0
	v_cmp_lt_u64_e32 vcc, s[2:3], v[2:3]
	s_cselect_b64 s[2:3], -1, 0
	s_or_b64 s[22:23], vcc, s[2:3]
	s_lshl_b64 s[8:9], s[8:9], 1
	s_add_u32 s12, s13, s8
	s_addc_u32 s13, s14, s9
	s_mov_b64 s[2:3], -1
	s_and_b64 vcc, exec, s[22:23]
	v_lshlrev_b32_e32 v1, 1, v0
	s_cbranch_vccz .LBB3413_6
; %bb.5:
	v_mov_b32_e32 v3, s13
	v_add_co_u32_e32 v2, vcc, s12, v1
	v_addc_co_u32_e32 v3, vcc, 0, v3, vcc
	v_add_co_u32_e32 v4, vcc, 0x1000, v2
	v_addc_co_u32_e32 v5, vcc, 0, v3, vcc
	flat_load_ushort v6, v[2:3]
	flat_load_ushort v7, v[2:3] offset:512
	flat_load_ushort v8, v[2:3] offset:1024
	;; [unrolled: 1-line block ×7, first 2 shown]
	v_add_co_u32_e32 v2, vcc, 0x2000, v2
	v_addc_co_u32_e32 v3, vcc, 0, v3, vcc
	flat_load_ushort v16, v[4:5]
	flat_load_ushort v17, v[4:5] offset:512
	flat_load_ushort v18, v[4:5] offset:1024
	;; [unrolled: 1-line block ×7, first 2 shown]
	s_nop 0
	flat_load_ushort v4, v[2:3]
	flat_load_ushort v5, v[2:3] offset:512
	flat_load_ushort v24, v[2:3] offset:1024
	;; [unrolled: 1-line block ×3, first 2 shown]
	s_mov_b64 s[2:3], 0
	s_waitcnt vmcnt(0) lgkmcnt(0)
	ds_write_b16 v1, v6
	ds_write_b16 v1, v7 offset:512
	ds_write_b16 v1, v8 offset:1024
	;; [unrolled: 1-line block ×19, first 2 shown]
	s_waitcnt lgkmcnt(0)
	s_barrier
.LBB3413_6:
	s_andn2_b64 vcc, exec, s[2:3]
	v_cmp_gt_u32_e64 s[2:3], s33, v0
	s_cbranch_vccnz .LBB3413_48
; %bb.7:
                                        ; implicit-def: $vgpr2
	s_and_saveexec_b64 s[10:11], s[2:3]
	s_cbranch_execz .LBB3413_9
; %bb.8:
	v_mov_b32_e32 v3, s13
	v_add_co_u32_e32 v2, vcc, s12, v1
	v_addc_co_u32_e32 v3, vcc, 0, v3, vcc
	flat_load_ushort v2, v[2:3]
.LBB3413_9:
	s_or_b64 exec, exec, s[10:11]
	v_or_b32_e32 v3, 0x100, v0
	v_cmp_gt_u32_e32 vcc, s33, v3
                                        ; implicit-def: $vgpr3
	s_and_saveexec_b64 s[2:3], vcc
	s_cbranch_execz .LBB3413_11
; %bb.10:
	v_mov_b32_e32 v3, s13
	v_add_co_u32_e32 v4, vcc, s12, v1
	v_addc_co_u32_e32 v5, vcc, 0, v3, vcc
	flat_load_ushort v3, v[4:5] offset:512
.LBB3413_11:
	s_or_b64 exec, exec, s[2:3]
	v_or_b32_e32 v4, 0x200, v0
	v_cmp_gt_u32_e32 vcc, s33, v4
                                        ; implicit-def: $vgpr4
	s_and_saveexec_b64 s[2:3], vcc
	s_cbranch_execz .LBB3413_13
; %bb.12:
	v_mov_b32_e32 v5, s13
	v_add_co_u32_e32 v4, vcc, s12, v1
	v_addc_co_u32_e32 v5, vcc, 0, v5, vcc
	flat_load_ushort v4, v[4:5] offset:1024
.LBB3413_13:
	s_or_b64 exec, exec, s[2:3]
	v_or_b32_e32 v5, 0x300, v0
	v_cmp_gt_u32_e32 vcc, s33, v5
                                        ; implicit-def: $vgpr5
	s_and_saveexec_b64 s[2:3], vcc
	s_cbranch_execz .LBB3413_15
; %bb.14:
	v_mov_b32_e32 v5, s13
	v_add_co_u32_e32 v6, vcc, s12, v1
	v_addc_co_u32_e32 v7, vcc, 0, v5, vcc
	flat_load_ushort v5, v[6:7] offset:1536
.LBB3413_15:
	s_or_b64 exec, exec, s[2:3]
	v_or_b32_e32 v6, 0x400, v0
	v_cmp_gt_u32_e32 vcc, s33, v6
                                        ; implicit-def: $vgpr6
	s_and_saveexec_b64 s[2:3], vcc
	s_cbranch_execz .LBB3413_17
; %bb.16:
	v_mov_b32_e32 v7, s13
	v_add_co_u32_e32 v6, vcc, s12, v1
	v_addc_co_u32_e32 v7, vcc, 0, v7, vcc
	flat_load_ushort v6, v[6:7] offset:2048
.LBB3413_17:
	s_or_b64 exec, exec, s[2:3]
	v_or_b32_e32 v7, 0x500, v0
	v_cmp_gt_u32_e32 vcc, s33, v7
                                        ; implicit-def: $vgpr7
	s_and_saveexec_b64 s[2:3], vcc
	s_cbranch_execz .LBB3413_19
; %bb.18:
	v_mov_b32_e32 v7, s13
	v_add_co_u32_e32 v8, vcc, s12, v1
	v_addc_co_u32_e32 v9, vcc, 0, v7, vcc
	flat_load_ushort v7, v[8:9] offset:2560
.LBB3413_19:
	s_or_b64 exec, exec, s[2:3]
	v_or_b32_e32 v8, 0x600, v0
	v_cmp_gt_u32_e32 vcc, s33, v8
                                        ; implicit-def: $vgpr8
	s_and_saveexec_b64 s[2:3], vcc
	s_cbranch_execz .LBB3413_21
; %bb.20:
	v_mov_b32_e32 v9, s13
	v_add_co_u32_e32 v8, vcc, s12, v1
	v_addc_co_u32_e32 v9, vcc, 0, v9, vcc
	flat_load_ushort v8, v[8:9] offset:3072
.LBB3413_21:
	s_or_b64 exec, exec, s[2:3]
	v_or_b32_e32 v9, 0x700, v0
	v_cmp_gt_u32_e32 vcc, s33, v9
                                        ; implicit-def: $vgpr9
	s_and_saveexec_b64 s[2:3], vcc
	s_cbranch_execz .LBB3413_23
; %bb.22:
	v_mov_b32_e32 v9, s13
	v_add_co_u32_e32 v12, vcc, s12, v1
	v_addc_co_u32_e32 v13, vcc, 0, v9, vcc
	flat_load_ushort v9, v[12:13] offset:3584
.LBB3413_23:
	s_or_b64 exec, exec, s[2:3]
	v_or_b32_e32 v13, 0x800, v0
	v_cmp_gt_u32_e32 vcc, s33, v13
                                        ; implicit-def: $vgpr12
	s_and_saveexec_b64 s[2:3], vcc
	s_cbranch_execz .LBB3413_25
; %bb.24:
	v_lshlrev_b32_e32 v12, 1, v13
	v_mov_b32_e32 v13, s13
	v_add_co_u32_e32 v12, vcc, s12, v12
	v_addc_co_u32_e32 v13, vcc, 0, v13, vcc
	flat_load_ushort v12, v[12:13]
.LBB3413_25:
	s_or_b64 exec, exec, s[2:3]
	v_or_b32_e32 v14, 0x900, v0
	v_cmp_gt_u32_e32 vcc, s33, v14
                                        ; implicit-def: $vgpr13
	s_and_saveexec_b64 s[2:3], vcc
	s_cbranch_execz .LBB3413_27
; %bb.26:
	v_lshlrev_b32_e32 v13, 1, v14
	v_mov_b32_e32 v15, s13
	v_add_co_u32_e32 v14, vcc, s12, v13
	v_addc_co_u32_e32 v15, vcc, 0, v15, vcc
	flat_load_ushort v13, v[14:15]
.LBB3413_27:
	s_or_b64 exec, exec, s[2:3]
	v_or_b32_e32 v15, 0xa00, v0
	v_cmp_gt_u32_e32 vcc, s33, v15
                                        ; implicit-def: $vgpr14
	s_and_saveexec_b64 s[2:3], vcc
	s_cbranch_execz .LBB3413_29
; %bb.28:
	v_lshlrev_b32_e32 v14, 1, v15
	v_mov_b32_e32 v15, s13
	v_add_co_u32_e32 v14, vcc, s12, v14
	v_addc_co_u32_e32 v15, vcc, 0, v15, vcc
	flat_load_ushort v14, v[14:15]
.LBB3413_29:
	s_or_b64 exec, exec, s[2:3]
	v_or_b32_e32 v16, 0xb00, v0
	v_cmp_gt_u32_e32 vcc, s33, v16
                                        ; implicit-def: $vgpr15
	s_and_saveexec_b64 s[2:3], vcc
	s_cbranch_execz .LBB3413_31
; %bb.30:
	v_lshlrev_b32_e32 v15, 1, v16
	v_mov_b32_e32 v17, s13
	v_add_co_u32_e32 v16, vcc, s12, v15
	v_addc_co_u32_e32 v17, vcc, 0, v17, vcc
	flat_load_ushort v15, v[16:17]
.LBB3413_31:
	s_or_b64 exec, exec, s[2:3]
	v_or_b32_e32 v17, 0xc00, v0
	v_cmp_gt_u32_e32 vcc, s33, v17
                                        ; implicit-def: $vgpr16
	s_and_saveexec_b64 s[2:3], vcc
	s_cbranch_execz .LBB3413_33
; %bb.32:
	v_lshlrev_b32_e32 v16, 1, v17
	v_mov_b32_e32 v17, s13
	v_add_co_u32_e32 v16, vcc, s12, v16
	v_addc_co_u32_e32 v17, vcc, 0, v17, vcc
	flat_load_ushort v16, v[16:17]
.LBB3413_33:
	s_or_b64 exec, exec, s[2:3]
	v_or_b32_e32 v18, 0xd00, v0
	v_cmp_gt_u32_e32 vcc, s33, v18
                                        ; implicit-def: $vgpr17
	s_and_saveexec_b64 s[2:3], vcc
	s_cbranch_execz .LBB3413_35
; %bb.34:
	v_lshlrev_b32_e32 v17, 1, v18
	v_mov_b32_e32 v19, s13
	v_add_co_u32_e32 v18, vcc, s12, v17
	v_addc_co_u32_e32 v19, vcc, 0, v19, vcc
	flat_load_ushort v17, v[18:19]
.LBB3413_35:
	s_or_b64 exec, exec, s[2:3]
	v_or_b32_e32 v19, 0xe00, v0
	v_cmp_gt_u32_e32 vcc, s33, v19
                                        ; implicit-def: $vgpr18
	s_and_saveexec_b64 s[2:3], vcc
	s_cbranch_execz .LBB3413_37
; %bb.36:
	v_lshlrev_b32_e32 v18, 1, v19
	v_mov_b32_e32 v19, s13
	v_add_co_u32_e32 v18, vcc, s12, v18
	v_addc_co_u32_e32 v19, vcc, 0, v19, vcc
	flat_load_ushort v18, v[18:19]
.LBB3413_37:
	s_or_b64 exec, exec, s[2:3]
	v_or_b32_e32 v20, 0xf00, v0
	v_cmp_gt_u32_e32 vcc, s33, v20
                                        ; implicit-def: $vgpr19
	s_and_saveexec_b64 s[2:3], vcc
	s_cbranch_execz .LBB3413_39
; %bb.38:
	v_lshlrev_b32_e32 v19, 1, v20
	v_mov_b32_e32 v21, s13
	v_add_co_u32_e32 v20, vcc, s12, v19
	v_addc_co_u32_e32 v21, vcc, 0, v21, vcc
	flat_load_ushort v19, v[20:21]
.LBB3413_39:
	s_or_b64 exec, exec, s[2:3]
	v_or_b32_e32 v21, 0x1000, v0
	v_cmp_gt_u32_e32 vcc, s33, v21
                                        ; implicit-def: $vgpr20
	s_and_saveexec_b64 s[2:3], vcc
	s_cbranch_execz .LBB3413_41
; %bb.40:
	v_lshlrev_b32_e32 v20, 1, v21
	v_mov_b32_e32 v21, s13
	v_add_co_u32_e32 v20, vcc, s12, v20
	v_addc_co_u32_e32 v21, vcc, 0, v21, vcc
	flat_load_ushort v20, v[20:21]
.LBB3413_41:
	s_or_b64 exec, exec, s[2:3]
	v_or_b32_e32 v22, 0x1100, v0
	v_cmp_gt_u32_e32 vcc, s33, v22
                                        ; implicit-def: $vgpr21
	s_and_saveexec_b64 s[2:3], vcc
	s_cbranch_execz .LBB3413_43
; %bb.42:
	v_lshlrev_b32_e32 v21, 1, v22
	v_mov_b32_e32 v23, s13
	v_add_co_u32_e32 v22, vcc, s12, v21
	v_addc_co_u32_e32 v23, vcc, 0, v23, vcc
	flat_load_ushort v21, v[22:23]
.LBB3413_43:
	s_or_b64 exec, exec, s[2:3]
	v_or_b32_e32 v23, 0x1200, v0
	v_cmp_gt_u32_e32 vcc, s33, v23
                                        ; implicit-def: $vgpr22
	s_and_saveexec_b64 s[2:3], vcc
	s_cbranch_execz .LBB3413_45
; %bb.44:
	v_lshlrev_b32_e32 v22, 1, v23
	v_mov_b32_e32 v23, s13
	v_add_co_u32_e32 v22, vcc, s12, v22
	v_addc_co_u32_e32 v23, vcc, 0, v23, vcc
	flat_load_ushort v22, v[22:23]
.LBB3413_45:
	s_or_b64 exec, exec, s[2:3]
	v_or_b32_e32 v24, 0x1300, v0
	v_cmp_gt_u32_e32 vcc, s33, v24
                                        ; implicit-def: $vgpr23
	s_and_saveexec_b64 s[2:3], vcc
	s_cbranch_execz .LBB3413_47
; %bb.46:
	v_lshlrev_b32_e32 v23, 1, v24
	v_mov_b32_e32 v25, s13
	v_add_co_u32_e32 v24, vcc, s12, v23
	v_addc_co_u32_e32 v25, vcc, 0, v25, vcc
	flat_load_ushort v23, v[24:25]
.LBB3413_47:
	s_or_b64 exec, exec, s[2:3]
	s_waitcnt vmcnt(0) lgkmcnt(0)
	ds_write_b16 v1, v2
	ds_write_b16 v1, v3 offset:512
	ds_write_b16 v1, v4 offset:1024
	;; [unrolled: 1-line block ×19, first 2 shown]
	s_waitcnt lgkmcnt(0)
	s_barrier
.LBB3413_48:
	v_mul_u32_u24_e32 v28, 20, v0
	v_lshlrev_b32_e32 v6, 1, v28
	ds_read_b64 v[12:13], v6 offset:32
	ds_read2_b64 v[2:5], v6 offset0:2 offset1:3
	ds_read2_b64 v[6:9], v6 offset1:1
	s_add_u32 s2, s6, s4
	s_addc_u32 s3, s7, s5
	s_add_u32 s2, s2, s8
	s_addc_u32 s3, s3, s9
	s_mov_b64 s[4:5], -1
	s_and_b64 vcc, exec, s[22:23]
	s_waitcnt lgkmcnt(0)
	s_barrier
	s_cbranch_vccz .LBB3413_50
; %bb.49:
	v_mov_b32_e32 v14, s3
	v_add_co_u32_e32 v16, vcc, s2, v1
	s_movk_i32 s4, 0x1000
	v_addc_co_u32_e32 v17, vcc, 0, v14, vcc
	v_add_co_u32_e32 v14, vcc, s4, v16
	s_movk_i32 s5, 0x2000
	v_addc_co_u32_e32 v15, vcc, 0, v17, vcc
	global_load_ubyte v18, v1, s[2:3]
	global_load_ubyte v19, v1, s[2:3] offset:512
	global_load_ubyte v20, v1, s[2:3] offset:1024
	;; [unrolled: 1-line block ×7, first 2 shown]
	v_add_co_u32_e32 v16, vcc, s5, v16
	v_addc_co_u32_e32 v17, vcc, 0, v17, vcc
	global_load_ubyte v26, v[16:17], off offset:-4096
	global_load_ubyte v27, v[14:15], off offset:512
	global_load_ubyte v29, v[14:15], off offset:1024
	global_load_ubyte v30, v[14:15], off offset:1536
	global_load_ubyte v31, v[14:15], off offset:2048
	global_load_ubyte v32, v[14:15], off offset:2560
	global_load_ubyte v33, v[14:15], off offset:3072
	global_load_ubyte v34, v[14:15], off offset:3584
	global_load_ubyte v35, v[16:17], off
	global_load_ubyte v36, v[16:17], off offset:512
	global_load_ubyte v37, v[16:17], off offset:1024
	;; [unrolled: 1-line block ×3, first 2 shown]
	s_mov_b64 s[4:5], 0
	s_waitcnt vmcnt(19)
	v_xor_b32_e32 v14, -1, v18
	s_waitcnt vmcnt(18)
	v_xor_b32_e32 v15, -1, v19
	;; [unrolled: 2-line block ×8, first 2 shown]
	v_and_b32_e32 v14, 1, v14
	v_and_b32_e32 v15, 1, v15
	;; [unrolled: 1-line block ×8, first 2 shown]
	ds_write_b8 v0, v14
	ds_write_b8 v0, v15 offset:256
	ds_write_b8 v0, v16 offset:512
	;; [unrolled: 1-line block ×7, first 2 shown]
	s_waitcnt vmcnt(11)
	v_xor_b32_e32 v14, -1, v26
	s_waitcnt vmcnt(10)
	v_xor_b32_e32 v15, -1, v27
	;; [unrolled: 2-line block ×12, first 2 shown]
	v_and_b32_e32 v14, 1, v14
	v_and_b32_e32 v15, 1, v15
	;; [unrolled: 1-line block ×12, first 2 shown]
	ds_write_b8 v0, v14 offset:2048
	ds_write_b8 v0, v15 offset:2304
	;; [unrolled: 1-line block ×12, first 2 shown]
	s_waitcnt lgkmcnt(0)
	s_barrier
.LBB3413_50:
	s_andn2_b64 vcc, exec, s[4:5]
	s_cbranch_vccnz .LBB3413_92
; %bb.51:
	v_cmp_gt_u32_e32 vcc, s33, v0
	v_mov_b32_e32 v14, 0
	v_mov_b32_e32 v15, 0
	s_and_saveexec_b64 s[4:5], vcc
	s_cbranch_execz .LBB3413_53
; %bb.52:
	global_load_ubyte v15, v1, s[2:3]
	s_waitcnt vmcnt(0)
	v_xor_b32_e32 v15, -1, v15
	v_and_b32_e32 v15, 1, v15
.LBB3413_53:
	s_or_b64 exec, exec, s[4:5]
	v_or_b32_e32 v16, 0x100, v0
	v_cmp_gt_u32_e32 vcc, s33, v16
	s_and_saveexec_b64 s[4:5], vcc
	s_cbranch_execz .LBB3413_55
; %bb.54:
	global_load_ubyte v14, v1, s[2:3] offset:512
	s_waitcnt vmcnt(0)
	v_xor_b32_e32 v14, -1, v14
	v_and_b32_e32 v14, 1, v14
.LBB3413_55:
	s_or_b64 exec, exec, s[4:5]
	v_or_b32_e32 v16, 0x200, v0
	v_cmp_gt_u32_e32 vcc, s33, v16
	v_mov_b32_e32 v16, 0
	v_mov_b32_e32 v17, 0
	s_and_saveexec_b64 s[4:5], vcc
	s_cbranch_execz .LBB3413_57
; %bb.56:
	global_load_ubyte v17, v1, s[2:3] offset:1024
	s_waitcnt vmcnt(0)
	v_xor_b32_e32 v17, -1, v17
	v_and_b32_e32 v17, 1, v17
.LBB3413_57:
	s_or_b64 exec, exec, s[4:5]
	v_or_b32_e32 v18, 0x300, v0
	v_cmp_gt_u32_e32 vcc, s33, v18
	s_and_saveexec_b64 s[4:5], vcc
	s_cbranch_execz .LBB3413_59
; %bb.58:
	global_load_ubyte v16, v1, s[2:3] offset:1536
	s_waitcnt vmcnt(0)
	v_xor_b32_e32 v16, -1, v16
	v_and_b32_e32 v16, 1, v16
.LBB3413_59:
	s_or_b64 exec, exec, s[4:5]
	v_or_b32_e32 v18, 0x400, v0
	v_cmp_gt_u32_e32 vcc, s33, v18
	v_mov_b32_e32 v18, 0
	v_mov_b32_e32 v19, 0
	s_and_saveexec_b64 s[4:5], vcc
	s_cbranch_execz .LBB3413_61
; %bb.60:
	global_load_ubyte v19, v1, s[2:3] offset:2048
	s_waitcnt vmcnt(0)
	v_xor_b32_e32 v19, -1, v19
	v_and_b32_e32 v19, 1, v19
.LBB3413_61:
	s_or_b64 exec, exec, s[4:5]
	v_or_b32_e32 v20, 0x500, v0
	v_cmp_gt_u32_e32 vcc, s33, v20
	s_and_saveexec_b64 s[4:5], vcc
	s_cbranch_execz .LBB3413_63
; %bb.62:
	global_load_ubyte v18, v1, s[2:3] offset:2560
	s_waitcnt vmcnt(0)
	v_xor_b32_e32 v18, -1, v18
	v_and_b32_e32 v18, 1, v18
.LBB3413_63:
	s_or_b64 exec, exec, s[4:5]
	v_or_b32_e32 v20, 0x600, v0
	v_cmp_gt_u32_e32 vcc, s33, v20
	v_mov_b32_e32 v20, 0
	v_mov_b32_e32 v21, 0
	s_and_saveexec_b64 s[4:5], vcc
	s_cbranch_execz .LBB3413_65
; %bb.64:
	global_load_ubyte v21, v1, s[2:3] offset:3072
	s_waitcnt vmcnt(0)
	v_xor_b32_e32 v21, -1, v21
	v_and_b32_e32 v21, 1, v21
.LBB3413_65:
	s_or_b64 exec, exec, s[4:5]
	v_or_b32_e32 v22, 0x700, v0
	v_cmp_gt_u32_e32 vcc, s33, v22
	s_and_saveexec_b64 s[4:5], vcc
	s_cbranch_execz .LBB3413_67
; %bb.66:
	global_load_ubyte v20, v1, s[2:3] offset:3584
	s_waitcnt vmcnt(0)
	v_xor_b32_e32 v20, -1, v20
	v_and_b32_e32 v20, 1, v20
.LBB3413_67:
	s_or_b64 exec, exec, s[4:5]
	v_or_b32_e32 v24, 0x800, v0
	v_cmp_gt_u32_e32 vcc, s33, v24
	v_mov_b32_e32 v22, 0
	v_mov_b32_e32 v23, 0
	s_and_saveexec_b64 s[4:5], vcc
	s_cbranch_execz .LBB3413_69
; %bb.68:
	v_lshlrev_b32_e32 v23, 1, v24
	global_load_ubyte v23, v23, s[2:3]
	s_waitcnt vmcnt(0)
	v_xor_b32_e32 v23, -1, v23
	v_and_b32_e32 v23, 1, v23
.LBB3413_69:
	s_or_b64 exec, exec, s[4:5]
	v_or_b32_e32 v24, 0x900, v0
	v_cmp_gt_u32_e32 vcc, s33, v24
	s_and_saveexec_b64 s[4:5], vcc
	s_cbranch_execz .LBB3413_71
; %bb.70:
	v_lshlrev_b32_e32 v22, 1, v24
	global_load_ubyte v22, v22, s[2:3]
	s_waitcnt vmcnt(0)
	v_xor_b32_e32 v22, -1, v22
	v_and_b32_e32 v22, 1, v22
.LBB3413_71:
	s_or_b64 exec, exec, s[4:5]
	v_or_b32_e32 v26, 0xa00, v0
	v_cmp_gt_u32_e32 vcc, s33, v26
	v_mov_b32_e32 v24, 0
	v_mov_b32_e32 v25, 0
	s_and_saveexec_b64 s[4:5], vcc
	s_cbranch_execz .LBB3413_73
; %bb.72:
	v_lshlrev_b32_e32 v25, 1, v26
	global_load_ubyte v25, v25, s[2:3]
	s_waitcnt vmcnt(0)
	v_xor_b32_e32 v25, -1, v25
	v_and_b32_e32 v25, 1, v25
.LBB3413_73:
	s_or_b64 exec, exec, s[4:5]
	v_or_b32_e32 v26, 0xb00, v0
	v_cmp_gt_u32_e32 vcc, s33, v26
	s_and_saveexec_b64 s[4:5], vcc
	s_cbranch_execz .LBB3413_75
; %bb.74:
	v_lshlrev_b32_e32 v24, 1, v26
	global_load_ubyte v24, v24, s[2:3]
	s_waitcnt vmcnt(0)
	v_xor_b32_e32 v24, -1, v24
	v_and_b32_e32 v24, 1, v24
.LBB3413_75:
	;; [unrolled: 26-line block ×6, first 2 shown]
	s_or_b64 exec, exec, s[4:5]
	ds_write_b8 v0, v15
	ds_write_b8 v0, v14 offset:256
	ds_write_b8 v0, v17 offset:512
	;; [unrolled: 1-line block ×19, first 2 shown]
	s_waitcnt lgkmcnt(0)
	s_barrier
.LBB3413_92:
	ds_read2_b32 v[20:21], v28 offset1:1
	ds_read2_b32 v[18:19], v28 offset0:2 offset1:3
	ds_read_b32 v30, v28 offset:16
	s_cmp_lg_u32 s36, 0
	v_lshrrev_b32_e32 v49, 6, v0
	s_waitcnt lgkmcnt(2)
	v_lshrrev_b32_e32 v35, 24, v20
	v_bfe_u32 v47, v20, 16, 8
	v_add_u32_sdwa v14, v20, v20 dst_sel:DWORD dst_unused:UNUSED_PAD src0_sel:BYTE_1 src1_sel:BYTE_0
	v_and_b32_e32 v44, 0xff, v21
	v_bfe_u32 v45, v21, 8, 8
	v_add3_u32 v14, v14, v47, v35
	v_lshrrev_b32_e32 v34, 24, v21
	v_bfe_u32 v46, v21, 16, 8
	v_add3_u32 v14, v14, v44, v45
	s_waitcnt lgkmcnt(1)
	v_and_b32_e32 v41, 0xff, v18
	v_bfe_u32 v42, v18, 8, 8
	v_add3_u32 v14, v14, v46, v34
	v_lshrrev_b32_e32 v33, 24, v18
	v_bfe_u32 v43, v18, 16, 8
	v_add3_u32 v14, v14, v41, v42
	v_and_b32_e32 v38, 0xff, v19
	v_bfe_u32 v39, v19, 8, 8
	v_add3_u32 v14, v14, v43, v33
	v_lshrrev_b32_e32 v32, 24, v19
	v_bfe_u32 v40, v19, 16, 8
	v_add3_u32 v14, v14, v38, v39
	s_waitcnt lgkmcnt(0)
	v_and_b32_e32 v36, 0xff, v30
	v_bfe_u32 v37, v30, 8, 8
	v_add3_u32 v14, v14, v40, v32
	v_lshrrev_b32_e32 v29, 24, v30
	v_bfe_u32 v31, v30, 16, 8
	v_add3_u32 v14, v14, v36, v37
	v_add3_u32 v50, v14, v31, v29
	v_mbcnt_lo_u32_b32 v14, -1, 0
	v_mbcnt_hi_u32_b32 v48, -1, v14
	v_and_b32_e32 v14, 15, v48
	v_cmp_eq_u32_e64 s[14:15], 0, v14
	v_cmp_lt_u32_e64 s[12:13], 1, v14
	v_cmp_lt_u32_e64 s[10:11], 3, v14
	;; [unrolled: 1-line block ×3, first 2 shown]
	v_and_b32_e32 v14, 16, v48
	v_cmp_eq_u32_e64 s[6:7], 0, v14
	v_or_b32_e32 v14, 63, v0
	v_cmp_lt_u32_e64 s[2:3], 31, v48
	v_cmp_eq_u32_e64 s[4:5], v14, v0
	s_barrier
	s_cbranch_scc0 .LBB3413_119
; %bb.93:
	v_mov_b32_dpp v14, v50 row_shr:1 row_mask:0xf bank_mask:0xf
	v_cndmask_b32_e64 v14, v14, 0, s[14:15]
	v_add_u32_e32 v14, v14, v50
	s_nop 1
	v_mov_b32_dpp v15, v14 row_shr:2 row_mask:0xf bank_mask:0xf
	v_cndmask_b32_e64 v15, 0, v15, s[12:13]
	v_add_u32_e32 v14, v14, v15
	s_nop 1
	;; [unrolled: 4-line block ×4, first 2 shown]
	v_mov_b32_dpp v15, v14 row_bcast:15 row_mask:0xf bank_mask:0xf
	v_cndmask_b32_e64 v15, v15, 0, s[6:7]
	v_add_u32_e32 v14, v14, v15
	s_nop 1
	v_mov_b32_dpp v15, v14 row_bcast:31 row_mask:0xf bank_mask:0xf
	v_cndmask_b32_e64 v15, 0, v15, s[2:3]
	v_add_u32_e32 v14, v14, v15
	s_and_saveexec_b64 s[16:17], s[4:5]
	s_cbranch_execz .LBB3413_95
; %bb.94:
	v_lshlrev_b32_e32 v15, 2, v49
	ds_write_b32 v15, v14
.LBB3413_95:
	s_or_b64 exec, exec, s[16:17]
	v_cmp_gt_u32_e32 vcc, 4, v0
	s_waitcnt lgkmcnt(0)
	s_barrier
	s_and_saveexec_b64 s[16:17], vcc
	s_cbranch_execz .LBB3413_97
; %bb.96:
	v_lshlrev_b32_e32 v15, 2, v0
	ds_read_b32 v16, v15
	v_and_b32_e32 v17, 3, v48
	v_cmp_ne_u32_e32 vcc, 0, v17
	s_waitcnt lgkmcnt(0)
	v_mov_b32_dpp v22, v16 row_shr:1 row_mask:0xf bank_mask:0xf
	v_cndmask_b32_e32 v22, 0, v22, vcc
	v_add_u32_e32 v16, v22, v16
	v_cmp_lt_u32_e32 vcc, 1, v17
	s_nop 0
	v_mov_b32_dpp v22, v16 row_shr:2 row_mask:0xf bank_mask:0xf
	v_cndmask_b32_e32 v17, 0, v22, vcc
	v_add_u32_e32 v16, v16, v17
	ds_write_b32 v15, v16
.LBB3413_97:
	s_or_b64 exec, exec, s[16:17]
	v_cmp_gt_u32_e32 vcc, 64, v0
	v_cmp_lt_u32_e64 s[16:17], 63, v0
	s_waitcnt lgkmcnt(0)
	s_barrier
	s_waitcnt lgkmcnt(0)
                                        ; implicit-def: $vgpr51
	s_and_saveexec_b64 s[28:29], s[16:17]
	s_cbranch_execz .LBB3413_99
; %bb.98:
	v_lshl_add_u32 v15, v49, 2, -4
	ds_read_b32 v51, v15
	s_waitcnt lgkmcnt(0)
	v_add_u32_e32 v14, v51, v14
.LBB3413_99:
	s_or_b64 exec, exec, s[28:29]
	v_add_u32_e32 v15, -1, v48
	v_and_b32_e32 v16, 64, v48
	v_cmp_lt_i32_e64 s[16:17], v15, v16
	v_cndmask_b32_e64 v15, v15, v48, s[16:17]
	v_lshlrev_b32_e32 v15, 2, v15
	ds_bpermute_b32 v52, v15, v14
	v_cmp_eq_u32_e64 s[16:17], 0, v48
	s_and_saveexec_b64 s[28:29], vcc
	s_cbranch_execz .LBB3413_118
; %bb.100:
	v_mov_b32_e32 v25, 0
	ds_read_b32 v14, v25 offset:12
	s_and_saveexec_b64 s[30:31], s[16:17]
	s_cbranch_execz .LBB3413_102
; %bb.101:
	s_add_i32 s34, s36, 64
	s_mov_b32 s35, 0
	s_lshl_b64 s[34:35], s[34:35], 3
	s_add_u32 s34, s26, s34
	v_mov_b32_e32 v15, 1
	s_addc_u32 s35, s27, s35
	s_waitcnt lgkmcnt(0)
	global_store_dwordx2 v25, v[14:15], s[34:35]
.LBB3413_102:
	s_or_b64 exec, exec, s[30:31]
	v_xad_u32 v16, v48, -1, s36
	v_add_u32_e32 v24, 64, v16
	v_lshlrev_b64 v[22:23], 3, v[24:25]
	v_mov_b32_e32 v15, s27
	v_add_co_u32_e32 v26, vcc, s26, v22
	v_addc_co_u32_e32 v27, vcc, v15, v23, vcc
	global_load_dwordx2 v[22:23], v[26:27], off glc
	s_waitcnt vmcnt(0)
	v_cmp_eq_u16_sdwa s[34:35], v23, v25 src0_sel:BYTE_0 src1_sel:DWORD
	s_and_saveexec_b64 s[30:31], s[34:35]
	s_cbranch_execz .LBB3413_106
; %bb.103:
	s_mov_b64 s[34:35], 0
	v_mov_b32_e32 v15, 0
.LBB3413_104:                           ; =>This Inner Loop Header: Depth=1
	global_load_dwordx2 v[22:23], v[26:27], off glc
	s_waitcnt vmcnt(0)
	v_cmp_ne_u16_sdwa s[38:39], v23, v15 src0_sel:BYTE_0 src1_sel:DWORD
	s_or_b64 s[34:35], s[38:39], s[34:35]
	s_andn2_b64 exec, exec, s[34:35]
	s_cbranch_execnz .LBB3413_104
; %bb.105:
	s_or_b64 exec, exec, s[34:35]
.LBB3413_106:
	s_or_b64 exec, exec, s[30:31]
	v_and_b32_e32 v54, 63, v48
	v_mov_b32_e32 v53, 2
	v_cmp_ne_u32_e32 vcc, 63, v54
	v_cmp_eq_u16_sdwa s[30:31], v23, v53 src0_sel:BYTE_0 src1_sel:DWORD
	v_lshlrev_b64 v[24:25], v48, -1
	v_addc_co_u32_e32 v26, vcc, 0, v48, vcc
	v_and_b32_e32 v15, s31, v25
	v_lshlrev_b32_e32 v55, 2, v26
	v_or_b32_e32 v15, 0x80000000, v15
	ds_bpermute_b32 v26, v55, v22
	v_and_b32_e32 v17, s30, v24
	v_ffbl_b32_e32 v15, v15
	v_add_u32_e32 v15, 32, v15
	v_ffbl_b32_e32 v17, v17
	v_min_u32_e32 v15, v17, v15
	v_cmp_lt_u32_e32 vcc, v54, v15
	s_waitcnt lgkmcnt(0)
	v_cndmask_b32_e32 v17, 0, v26, vcc
	v_cmp_gt_u32_e32 vcc, 62, v54
	v_add_u32_e32 v17, v17, v22
	v_cndmask_b32_e64 v22, 0, 1, vcc
	v_lshlrev_b32_e32 v22, 1, v22
	v_add_lshl_u32 v56, v22, v48, 2
	ds_bpermute_b32 v22, v56, v17
	v_add_u32_e32 v57, 2, v54
	v_cmp_le_u32_e32 vcc, v57, v15
	v_add_u32_e32 v59, 4, v54
	v_add_u32_e32 v61, 8, v54
	s_waitcnt lgkmcnt(0)
	v_cndmask_b32_e32 v22, 0, v22, vcc
	v_cmp_gt_u32_e32 vcc, 60, v54
	v_add_u32_e32 v17, v17, v22
	v_cndmask_b32_e64 v22, 0, 1, vcc
	v_lshlrev_b32_e32 v22, 2, v22
	v_add_lshl_u32 v58, v22, v48, 2
	ds_bpermute_b32 v22, v58, v17
	v_cmp_le_u32_e32 vcc, v59, v15
	v_add_u32_e32 v63, 16, v54
	v_add_u32_e32 v65, 32, v54
	s_waitcnt lgkmcnt(0)
	v_cndmask_b32_e32 v22, 0, v22, vcc
	v_cmp_gt_u32_e32 vcc, 56, v54
	v_add_u32_e32 v17, v17, v22
	v_cndmask_b32_e64 v22, 0, 1, vcc
	v_lshlrev_b32_e32 v22, 3, v22
	v_add_lshl_u32 v60, v22, v48, 2
	ds_bpermute_b32 v22, v60, v17
	v_cmp_le_u32_e32 vcc, v61, v15
	s_waitcnt lgkmcnt(0)
	v_cndmask_b32_e32 v22, 0, v22, vcc
	v_cmp_gt_u32_e32 vcc, 48, v54
	v_add_u32_e32 v17, v17, v22
	v_cndmask_b32_e64 v22, 0, 1, vcc
	v_lshlrev_b32_e32 v22, 4, v22
	v_add_lshl_u32 v62, v22, v48, 2
	ds_bpermute_b32 v22, v62, v17
	v_cmp_le_u32_e32 vcc, v63, v15
	;; [unrolled: 9-line block ×3, first 2 shown]
	s_waitcnt lgkmcnt(0)
	v_cndmask_b32_e32 v15, 0, v22, vcc
	v_add_u32_e32 v22, v17, v15
	v_mov_b32_e32 v17, 0
	s_branch .LBB3413_108
.LBB3413_107:                           ;   in Loop: Header=BB3413_108 Depth=1
	s_or_b64 exec, exec, s[30:31]
	v_cmp_eq_u16_sdwa s[30:31], v23, v53 src0_sel:BYTE_0 src1_sel:DWORD
	v_and_b32_e32 v26, s31, v25
	v_or_b32_e32 v26, 0x80000000, v26
	ds_bpermute_b32 v66, v55, v22
	v_and_b32_e32 v27, s30, v24
	v_ffbl_b32_e32 v26, v26
	v_add_u32_e32 v26, 32, v26
	v_ffbl_b32_e32 v27, v27
	v_min_u32_e32 v26, v27, v26
	v_cmp_lt_u32_e32 vcc, v54, v26
	s_waitcnt lgkmcnt(0)
	v_cndmask_b32_e32 v27, 0, v66, vcc
	v_add_u32_e32 v22, v27, v22
	ds_bpermute_b32 v27, v56, v22
	v_cmp_le_u32_e32 vcc, v57, v26
	v_subrev_u32_e32 v16, 64, v16
	s_waitcnt lgkmcnt(0)
	v_cndmask_b32_e32 v27, 0, v27, vcc
	v_add_u32_e32 v22, v22, v27
	ds_bpermute_b32 v27, v58, v22
	v_cmp_le_u32_e32 vcc, v59, v26
	s_waitcnt lgkmcnt(0)
	v_cndmask_b32_e32 v27, 0, v27, vcc
	v_add_u32_e32 v22, v22, v27
	ds_bpermute_b32 v27, v60, v22
	v_cmp_le_u32_e32 vcc, v61, v26
	;; [unrolled: 5-line block ×4, first 2 shown]
	s_waitcnt lgkmcnt(0)
	v_cndmask_b32_e32 v26, 0, v27, vcc
	v_add3_u32 v22, v26, v15, v22
.LBB3413_108:                           ; =>This Loop Header: Depth=1
                                        ;     Child Loop BB3413_111 Depth 2
	v_cmp_ne_u16_sdwa s[30:31], v23, v53 src0_sel:BYTE_0 src1_sel:DWORD
	v_cndmask_b32_e64 v15, 0, 1, s[30:31]
	;;#ASMSTART
	;;#ASMEND
	v_cmp_ne_u32_e32 vcc, 0, v15
	s_cmp_lg_u64 vcc, exec
	v_mov_b32_e32 v15, v22
	s_cbranch_scc1 .LBB3413_113
; %bb.109:                              ;   in Loop: Header=BB3413_108 Depth=1
	v_lshlrev_b64 v[22:23], 3, v[16:17]
	v_mov_b32_e32 v27, s27
	v_add_co_u32_e32 v26, vcc, s26, v22
	v_addc_co_u32_e32 v27, vcc, v27, v23, vcc
	global_load_dwordx2 v[22:23], v[26:27], off glc
	s_waitcnt vmcnt(0)
	v_cmp_eq_u16_sdwa s[34:35], v23, v17 src0_sel:BYTE_0 src1_sel:DWORD
	s_and_saveexec_b64 s[30:31], s[34:35]
	s_cbranch_execz .LBB3413_107
; %bb.110:                              ;   in Loop: Header=BB3413_108 Depth=1
	s_mov_b64 s[34:35], 0
.LBB3413_111:                           ;   Parent Loop BB3413_108 Depth=1
                                        ; =>  This Inner Loop Header: Depth=2
	global_load_dwordx2 v[22:23], v[26:27], off glc
	s_waitcnt vmcnt(0)
	v_cmp_ne_u16_sdwa s[38:39], v23, v17 src0_sel:BYTE_0 src1_sel:DWORD
	s_or_b64 s[34:35], s[38:39], s[34:35]
	s_andn2_b64 exec, exec, s[34:35]
	s_cbranch_execnz .LBB3413_111
; %bb.112:                              ;   in Loop: Header=BB3413_108 Depth=1
	s_or_b64 exec, exec, s[34:35]
	s_branch .LBB3413_107
.LBB3413_113:                           ;   in Loop: Header=BB3413_108 Depth=1
                                        ; implicit-def: $vgpr22
                                        ; implicit-def: $vgpr23
	s_cbranch_execz .LBB3413_108
; %bb.114:
	s_and_saveexec_b64 s[30:31], s[16:17]
	s_cbranch_execz .LBB3413_116
; %bb.115:
	s_add_i32 s34, s36, 64
	s_mov_b32 s35, 0
	s_lshl_b64 s[34:35], s[34:35], 3
	s_add_u32 s34, s26, s34
	v_add_u32_e32 v16, v15, v14
	v_mov_b32_e32 v17, 2
	s_addc_u32 s35, s27, s35
	v_mov_b32_e32 v22, 0
	global_store_dwordx2 v22, v[16:17], s[34:35]
	ds_write_b64 v22, v[14:15] offset:10240
.LBB3413_116:
	s_or_b64 exec, exec, s[30:31]
	s_and_b64 exec, exec, s[0:1]
	s_cbranch_execz .LBB3413_118
; %bb.117:
	v_mov_b32_e32 v14, 0
	ds_write_b32 v14, v15 offset:12
.LBB3413_118:
	s_or_b64 exec, exec, s[28:29]
	v_mov_b32_e32 v14, 0
	s_waitcnt lgkmcnt(0)
	s_barrier
	ds_read_b32 v16, v14 offset:12
	s_waitcnt lgkmcnt(0)
	s_barrier
	ds_read_b64 v[14:15], v14 offset:10240
	v_cndmask_b32_e64 v17, v52, v51, s[16:17]
	v_cndmask_b32_e64 v17, v17, 0, s[0:1]
	v_add_u32_e32 v24, v16, v17
	s_waitcnt lgkmcnt(0)
	v_mov_b32_e32 v16, v15
	s_branch .LBB3413_129
.LBB3413_119:
                                        ; implicit-def: $vgpr16
                                        ; implicit-def: $vgpr14
                                        ; implicit-def: $vgpr24
	s_cbranch_execz .LBB3413_129
; %bb.120:
	s_nop 0
	v_mov_b32_dpp v14, v50 row_shr:1 row_mask:0xf bank_mask:0xf
	v_cndmask_b32_e64 v14, v14, 0, s[14:15]
	v_add_u32_e32 v14, v14, v50
	s_nop 1
	v_mov_b32_dpp v15, v14 row_shr:2 row_mask:0xf bank_mask:0xf
	v_cndmask_b32_e64 v15, 0, v15, s[12:13]
	v_add_u32_e32 v14, v14, v15
	;; [unrolled: 4-line block ×4, first 2 shown]
	s_nop 1
	v_mov_b32_dpp v15, v14 row_bcast:15 row_mask:0xf bank_mask:0xf
	v_cndmask_b32_e64 v15, v15, 0, s[6:7]
	v_add_u32_e32 v14, v14, v15
	s_nop 1
	v_mov_b32_dpp v15, v14 row_bcast:31 row_mask:0xf bank_mask:0xf
	v_cndmask_b32_e64 v15, 0, v15, s[2:3]
	v_add_u32_e32 v14, v14, v15
	s_and_saveexec_b64 s[2:3], s[4:5]
	s_cbranch_execz .LBB3413_122
; %bb.121:
	v_lshlrev_b32_e32 v15, 2, v49
	ds_write_b32 v15, v14
.LBB3413_122:
	s_or_b64 exec, exec, s[2:3]
	v_cmp_gt_u32_e32 vcc, 4, v0
	s_waitcnt lgkmcnt(0)
	s_barrier
	s_and_saveexec_b64 s[2:3], vcc
	s_cbranch_execz .LBB3413_124
; %bb.123:
	v_lshlrev_b32_e32 v15, 2, v0
	ds_read_b32 v16, v15
	v_and_b32_e32 v17, 3, v48
	v_cmp_ne_u32_e32 vcc, 0, v17
	s_waitcnt lgkmcnt(0)
	v_mov_b32_dpp v22, v16 row_shr:1 row_mask:0xf bank_mask:0xf
	v_cndmask_b32_e32 v22, 0, v22, vcc
	v_add_u32_e32 v16, v22, v16
	v_cmp_lt_u32_e32 vcc, 1, v17
	s_nop 0
	v_mov_b32_dpp v22, v16 row_shr:2 row_mask:0xf bank_mask:0xf
	v_cndmask_b32_e32 v17, 0, v22, vcc
	v_add_u32_e32 v16, v16, v17
	ds_write_b32 v15, v16
.LBB3413_124:
	s_or_b64 exec, exec, s[2:3]
	v_cmp_lt_u32_e32 vcc, 63, v0
	v_mov_b32_e32 v15, 0
	v_mov_b32_e32 v16, 0
	s_waitcnt lgkmcnt(0)
	s_barrier
	s_and_saveexec_b64 s[2:3], vcc
	s_cbranch_execz .LBB3413_126
; %bb.125:
	v_lshl_add_u32 v16, v49, 2, -4
	ds_read_b32 v16, v16
.LBB3413_126:
	s_or_b64 exec, exec, s[2:3]
	v_add_u32_e32 v17, -1, v48
	v_and_b32_e32 v22, 64, v48
	v_cmp_lt_i32_e32 vcc, v17, v22
	v_cndmask_b32_e32 v17, v17, v48, vcc
	s_waitcnt lgkmcnt(0)
	v_add_u32_e32 v14, v16, v14
	v_lshlrev_b32_e32 v17, 2, v17
	ds_bpermute_b32 v17, v17, v14
	ds_read_b32 v14, v15 offset:12
	s_and_saveexec_b64 s[2:3], s[0:1]
	s_cbranch_execz .LBB3413_128
; %bb.127:
	v_mov_b32_e32 v22, 0
	v_mov_b32_e32 v15, 2
	s_waitcnt lgkmcnt(0)
	global_store_dwordx2 v22, v[14:15], s[26:27] offset:512
.LBB3413_128:
	s_or_b64 exec, exec, s[2:3]
	v_cmp_eq_u32_e32 vcc, 0, v48
	s_waitcnt lgkmcnt(1)
	v_cndmask_b32_e32 v15, v17, v16, vcc
	v_mov_b32_e32 v16, 0
	v_cndmask_b32_e64 v24, v15, 0, s[0:1]
	s_waitcnt lgkmcnt(0)
	s_barrier
.LBB3413_129:
	v_add_u32_sdwa v26, v24, v20 dst_sel:DWORD dst_unused:UNUSED_PAD src0_sel:DWORD src1_sel:BYTE_0
	v_add_u32_e32 v28, v14, v28
	v_sub_u32_e32 v24, v24, v16
	v_and_b32_e32 v53, 1, v20
	v_sub_u32_e32 v52, v28, v24
	v_cmp_eq_u32_e32 vcc, 1, v53
	v_cndmask_b32_e32 v24, v52, v24, vcc
	v_lshlrev_b32_e32 v24, 1, v24
	v_lshrrev_b32_e32 v25, 8, v20
	ds_write_b16 v24, v6
	v_sub_u32_e32 v24, v26, v16
	v_add_u32_sdwa v27, v26, v20 dst_sel:DWORD dst_unused:UNUSED_PAD src0_sel:DWORD src1_sel:BYTE_1
	v_sub_u32_e32 v26, v28, v24
	v_and_b32_e32 v25, 1, v25
	v_add_u32_e32 v26, 1, v26
	v_cmp_eq_u32_e32 vcc, 1, v25
	v_cndmask_b32_e32 v24, v26, v24, vcc
	v_lshlrev_b32_e32 v24, 1, v24
	ds_write_b16_d16_hi v24, v6
	v_sub_u32_e32 v6, v27, v16
	v_mov_b32_e32 v25, 1
	v_sub_u32_e32 v24, v28, v6
	v_and_b32_sdwa v20, v25, v20 dst_sel:DWORD dst_unused:UNUSED_PAD src0_sel:DWORD src1_sel:WORD_1
	v_add_u32_e32 v24, 2, v24
	v_cmp_eq_u32_e32 vcc, 1, v20
	v_cndmask_b32_e32 v6, v24, v6, vcc
	v_add_u32_e32 v47, v27, v47
	v_lshlrev_b32_e32 v6, 1, v6
	ds_write_b16 v6, v7
	v_sub_u32_e32 v6, v47, v16
	v_sub_u32_e32 v20, v28, v6
	v_and_b32_e32 v24, 1, v35
	v_add_u32_e32 v20, 3, v20
	v_cmp_eq_u32_e32 vcc, 1, v24
	v_cndmask_b32_e32 v6, v20, v6, vcc
	v_add_u32_e32 v48, v47, v35
	v_lshlrev_b32_e32 v6, 1, v6
	ds_write_b16_d16_hi v6, v7
	v_sub_u32_e32 v6, v48, v16
	v_sub_u32_e32 v7, v28, v6
	v_and_b32_e32 v20, 1, v21
	v_add_u32_e32 v7, 4, v7
	v_cmp_eq_u32_e32 vcc, 1, v20
	v_cndmask_b32_e32 v6, v7, v6, vcc
	v_add_u32_e32 v44, v48, v44
	v_lshlrev_b32_e32 v6, 1, v6
	v_lshrrev_b32_e32 v23, 8, v21
	ds_write_b16 v6, v8
	v_sub_u32_e32 v6, v44, v16
	v_sub_u32_e32 v7, v28, v6
	v_and_b32_e32 v20, 1, v23
	v_add_u32_e32 v7, 5, v7
	v_cmp_eq_u32_e32 vcc, 1, v20
	v_cndmask_b32_e32 v6, v7, v6, vcc
	v_add_u32_e32 v45, v44, v45
	v_lshlrev_b32_e32 v6, 1, v6
	ds_write_b16_d16_hi v6, v8
	v_sub_u32_e32 v6, v45, v16
	v_sub_u32_e32 v7, v28, v6
	v_and_b32_sdwa v8, v25, v21 dst_sel:DWORD dst_unused:UNUSED_PAD src0_sel:DWORD src1_sel:WORD_1
	v_add_u32_e32 v7, 6, v7
	v_cmp_eq_u32_e32 vcc, 1, v8
	v_cndmask_b32_e32 v6, v7, v6, vcc
	v_add_u32_e32 v46, v45, v46
	v_lshlrev_b32_e32 v6, 1, v6
	ds_write_b16 v6, v9
	v_sub_u32_e32 v6, v46, v16
	v_sub_u32_e32 v7, v28, v6
	v_and_b32_e32 v8, 1, v34
	v_add_u32_e32 v7, 7, v7
	v_cmp_eq_u32_e32 vcc, 1, v8
	v_cndmask_b32_e32 v6, v7, v6, vcc
	v_add_u32_e32 v49, v46, v34
	v_lshlrev_b32_e32 v6, 1, v6
	ds_write_b16_d16_hi v6, v9
	v_sub_u32_e32 v6, v49, v16
	v_sub_u32_e32 v7, v28, v6
	v_and_b32_e32 v8, 1, v18
	v_add_u32_e32 v7, 8, v7
	v_cmp_eq_u32_e32 vcc, 1, v8
	v_cndmask_b32_e32 v6, v7, v6, vcc
	v_add_u32_e32 v41, v49, v41
	v_lshlrev_b32_e32 v6, 1, v6
	v_lshrrev_b32_e32 v22, 8, v18
	ds_write_b16 v6, v2
	v_sub_u32_e32 v6, v41, v16
	v_sub_u32_e32 v7, v28, v6
	v_and_b32_e32 v8, 1, v22
	v_add_u32_e32 v7, 9, v7
	v_cmp_eq_u32_e32 vcc, 1, v8
	v_cndmask_b32_e32 v6, v7, v6, vcc
	v_add_u32_e32 v42, v41, v42
	v_lshlrev_b32_e32 v6, 1, v6
	ds_write_b16_d16_hi v6, v2
	v_sub_u32_e32 v2, v42, v16
	;; [unrolled: 37-line block ×4, first 2 shown]
	v_sub_u32_e32 v3, v28, v2
	v_and_b32_sdwa v4, v25, v30 dst_sel:DWORD dst_unused:UNUSED_PAD src0_sel:DWORD src1_sel:WORD_1
	v_add_u32_e32 v3, 18, v3
	v_cmp_eq_u32_e32 vcc, 1, v4
	v_cndmask_b32_e32 v2, v3, v2, vcc
	v_lshlrev_b32_e32 v2, 1, v2
	ds_write_b16 v2, v13
	v_sub_u32_e32 v2, v31, v16
	v_add_u32_e32 v2, v37, v2
	v_sub_u32_e32 v3, v28, v2
	v_and_b32_e32 v4, 1, v29
	v_add_u32_e32 v3, 19, v3
	v_cmp_eq_u32_e32 vcc, 1, v4
	v_cndmask_b32_e32 v2, v3, v2, vcc
	v_lshlrev_b32_e32 v2, 1, v2
	ds_write_b16_d16_hi v2, v13
	s_waitcnt lgkmcnt(0)
	s_barrier
	ds_read_u16 v49, v1
	ds_read_u16 v48, v1 offset:512
	ds_read_u16 v46, v1 offset:1024
	;; [unrolled: 1-line block ×19, first 2 shown]
	v_or_b32_e32 v47, 0x100, v0
	v_or_b32_e32 v45, 0x200, v0
	;; [unrolled: 1-line block ×19, first 2 shown]
	s_andn2_b64 vcc, exec, s[22:23]
	s_waitcnt vmcnt(0)
	v_lshlrev_b64 v[4:5], 1, v[10:11]
	s_cbranch_vccnz .LBB3413_151
; %bb.130:
	v_mov_b32_e32 v17, 0
	v_mov_b32_e32 v2, s25
	v_add_co_u32_e32 v50, vcc, s24, v4
	v_addc_co_u32_e32 v51, vcc, v2, v5, vcc
	v_lshlrev_b64 v[2:3], 1, v[16:17]
	v_add_co_u32_e32 v2, vcc, v50, v2
	v_addc_co_u32_e32 v3, vcc, v51, v3, vcc
	v_cmp_lt_u32_e32 vcc, v0, v14
	s_and_saveexec_b64 s[2:3], vcc
	s_cbranch_execnz .LBB3413_178
; %bb.131:
	s_or_b64 exec, exec, s[2:3]
	v_cmp_lt_u32_e32 vcc, v47, v14
	s_and_saveexec_b64 s[2:3], vcc
	s_cbranch_execnz .LBB3413_179
.LBB3413_132:
	s_or_b64 exec, exec, s[2:3]
	v_cmp_lt_u32_e32 vcc, v45, v14
	s_and_saveexec_b64 s[2:3], vcc
	s_cbranch_execnz .LBB3413_180
.LBB3413_133:
	s_or_b64 exec, exec, s[2:3]
	v_cmp_lt_u32_e32 vcc, v43, v14
	s_and_saveexec_b64 s[2:3], vcc
	s_cbranch_execnz .LBB3413_181
.LBB3413_134:
	s_or_b64 exec, exec, s[2:3]
	v_cmp_lt_u32_e32 vcc, v41, v14
	s_and_saveexec_b64 s[2:3], vcc
	s_cbranch_execnz .LBB3413_182
.LBB3413_135:
	s_or_b64 exec, exec, s[2:3]
	v_cmp_lt_u32_e32 vcc, v40, v14
	s_and_saveexec_b64 s[2:3], vcc
	s_cbranch_execnz .LBB3413_183
.LBB3413_136:
	s_or_b64 exec, exec, s[2:3]
	v_cmp_lt_u32_e32 vcc, v38, v14
	s_and_saveexec_b64 s[2:3], vcc
	s_cbranch_execnz .LBB3413_184
.LBB3413_137:
	s_or_b64 exec, exec, s[2:3]
	v_cmp_lt_u32_e32 vcc, v36, v14
	s_and_saveexec_b64 s[2:3], vcc
	s_cbranch_execnz .LBB3413_185
.LBB3413_138:
	s_or_b64 exec, exec, s[2:3]
	v_cmp_lt_u32_e32 vcc, v33, v14
	s_and_saveexec_b64 s[2:3], vcc
	s_cbranch_execnz .LBB3413_186
.LBB3413_139:
	s_or_b64 exec, exec, s[2:3]
	v_cmp_lt_u32_e32 vcc, v31, v14
	s_and_saveexec_b64 s[2:3], vcc
	s_cbranch_execnz .LBB3413_187
.LBB3413_140:
	s_or_b64 exec, exec, s[2:3]
	v_cmp_lt_u32_e32 vcc, v29, v14
	s_and_saveexec_b64 s[2:3], vcc
	s_cbranch_execnz .LBB3413_188
.LBB3413_141:
	s_or_b64 exec, exec, s[2:3]
	v_cmp_lt_u32_e32 vcc, v27, v14
	s_and_saveexec_b64 s[2:3], vcc
	s_cbranch_execnz .LBB3413_189
.LBB3413_142:
	s_or_b64 exec, exec, s[2:3]
	v_cmp_lt_u32_e32 vcc, v25, v14
	s_and_saveexec_b64 s[2:3], vcc
	s_cbranch_execnz .LBB3413_190
.LBB3413_143:
	s_or_b64 exec, exec, s[2:3]
	v_cmp_lt_u32_e32 vcc, v23, v14
	s_and_saveexec_b64 s[2:3], vcc
	s_cbranch_execnz .LBB3413_191
.LBB3413_144:
	s_or_b64 exec, exec, s[2:3]
	v_cmp_lt_u32_e32 vcc, v21, v14
	s_and_saveexec_b64 s[2:3], vcc
	s_cbranch_execnz .LBB3413_192
.LBB3413_145:
	s_or_b64 exec, exec, s[2:3]
	v_cmp_lt_u32_e32 vcc, v19, v14
	s_and_saveexec_b64 s[2:3], vcc
	s_cbranch_execnz .LBB3413_193
.LBB3413_146:
	s_or_b64 exec, exec, s[2:3]
	v_cmp_lt_u32_e32 vcc, v15, v14
	s_and_saveexec_b64 s[2:3], vcc
	s_cbranch_execnz .LBB3413_194
.LBB3413_147:
	s_or_b64 exec, exec, s[2:3]
	v_cmp_lt_u32_e32 vcc, v12, v14
	s_and_saveexec_b64 s[2:3], vcc
	s_cbranch_execnz .LBB3413_195
.LBB3413_148:
	s_or_b64 exec, exec, s[2:3]
	v_cmp_lt_u32_e32 vcc, v9, v14
	s_and_saveexec_b64 s[2:3], vcc
	s_cbranch_execz .LBB3413_150
.LBB3413_149:
	v_lshlrev_b32_e32 v17, 1, v9
	v_readfirstlane_b32 s4, v2
	v_readfirstlane_b32 s5, v3
	s_waitcnt lgkmcnt(1)
	s_nop 3
	global_store_short v17, v8, s[4:5]
.LBB3413_150:
	s_or_b64 exec, exec, s[2:3]
	v_cmp_lt_u32_e64 s[2:3], v7, v14
	s_branch .LBB3413_173
.LBB3413_151:
	s_mov_b64 s[2:3], 0
                                        ; implicit-def: $vgpr2_vgpr3
	s_cbranch_execz .LBB3413_173
; %bb.152:
	v_mov_b32_e32 v17, 0
	v_mov_b32_e32 v2, s25
	v_add_co_u32_e32 v4, vcc, s24, v4
	v_addc_co_u32_e32 v5, vcc, v2, v5, vcc
	v_lshlrev_b64 v[2:3], 1, v[16:17]
	v_add_co_u32_e32 v2, vcc, v4, v2
	v_min_u32_e32 v50, s33, v14
	v_addc_co_u32_e32 v3, vcc, v5, v3, vcc
	v_cmp_gt_u32_e32 vcc, v50, v0
	s_and_saveexec_b64 s[2:3], vcc
	s_cbranch_execnz .LBB3413_196
; %bb.153:
	s_or_b64 exec, exec, s[2:3]
	v_cmp_lt_u32_e32 vcc, v47, v50
	s_and_saveexec_b64 s[2:3], vcc
	s_cbranch_execnz .LBB3413_197
.LBB3413_154:
	s_or_b64 exec, exec, s[2:3]
	v_cmp_lt_u32_e32 vcc, v45, v50
	s_and_saveexec_b64 s[2:3], vcc
	s_cbranch_execnz .LBB3413_198
.LBB3413_155:
	s_or_b64 exec, exec, s[2:3]
	v_cmp_lt_u32_e32 vcc, v43, v50
	s_and_saveexec_b64 s[2:3], vcc
	s_cbranch_execnz .LBB3413_199
.LBB3413_156:
	s_or_b64 exec, exec, s[2:3]
	v_cmp_lt_u32_e32 vcc, v41, v50
	s_and_saveexec_b64 s[2:3], vcc
	s_cbranch_execnz .LBB3413_200
.LBB3413_157:
	s_or_b64 exec, exec, s[2:3]
	v_cmp_lt_u32_e32 vcc, v40, v50
	s_and_saveexec_b64 s[2:3], vcc
	s_cbranch_execnz .LBB3413_201
.LBB3413_158:
	s_or_b64 exec, exec, s[2:3]
	v_cmp_lt_u32_e32 vcc, v38, v50
	s_and_saveexec_b64 s[2:3], vcc
	s_cbranch_execnz .LBB3413_202
.LBB3413_159:
	s_or_b64 exec, exec, s[2:3]
	v_cmp_lt_u32_e32 vcc, v36, v50
	s_and_saveexec_b64 s[2:3], vcc
	s_cbranch_execnz .LBB3413_203
.LBB3413_160:
	s_or_b64 exec, exec, s[2:3]
	v_cmp_lt_u32_e32 vcc, v33, v50
	s_and_saveexec_b64 s[2:3], vcc
	s_cbranch_execnz .LBB3413_204
.LBB3413_161:
	s_or_b64 exec, exec, s[2:3]
	v_cmp_lt_u32_e32 vcc, v31, v50
	s_and_saveexec_b64 s[2:3], vcc
	s_cbranch_execnz .LBB3413_205
.LBB3413_162:
	s_or_b64 exec, exec, s[2:3]
	v_cmp_lt_u32_e32 vcc, v29, v50
	s_and_saveexec_b64 s[2:3], vcc
	s_cbranch_execnz .LBB3413_206
.LBB3413_163:
	s_or_b64 exec, exec, s[2:3]
	v_cmp_lt_u32_e32 vcc, v27, v50
	s_and_saveexec_b64 s[2:3], vcc
	s_cbranch_execnz .LBB3413_207
.LBB3413_164:
	s_or_b64 exec, exec, s[2:3]
	v_cmp_lt_u32_e32 vcc, v25, v50
	s_and_saveexec_b64 s[2:3], vcc
	s_cbranch_execnz .LBB3413_208
.LBB3413_165:
	s_or_b64 exec, exec, s[2:3]
	v_cmp_lt_u32_e32 vcc, v23, v50
	s_and_saveexec_b64 s[2:3], vcc
	s_cbranch_execnz .LBB3413_209
.LBB3413_166:
	s_or_b64 exec, exec, s[2:3]
	v_cmp_lt_u32_e32 vcc, v21, v50
	s_and_saveexec_b64 s[2:3], vcc
	s_cbranch_execnz .LBB3413_210
.LBB3413_167:
	s_or_b64 exec, exec, s[2:3]
	v_cmp_lt_u32_e32 vcc, v19, v50
	s_and_saveexec_b64 s[2:3], vcc
	s_cbranch_execnz .LBB3413_211
.LBB3413_168:
	s_or_b64 exec, exec, s[2:3]
	v_cmp_lt_u32_e32 vcc, v15, v50
	s_and_saveexec_b64 s[2:3], vcc
	s_cbranch_execnz .LBB3413_212
.LBB3413_169:
	s_or_b64 exec, exec, s[2:3]
	v_cmp_lt_u32_e32 vcc, v12, v50
	s_and_saveexec_b64 s[2:3], vcc
	s_cbranch_execnz .LBB3413_213
.LBB3413_170:
	s_or_b64 exec, exec, s[2:3]
	v_cmp_lt_u32_e32 vcc, v9, v50
	s_and_saveexec_b64 s[2:3], vcc
	s_cbranch_execz .LBB3413_172
.LBB3413_171:
	v_lshlrev_b32_e32 v0, 1, v9
	v_readfirstlane_b32 s4, v2
	v_readfirstlane_b32 s5, v3
	s_waitcnt lgkmcnt(1)
	s_nop 3
	global_store_short v0, v8, s[4:5]
.LBB3413_172:
	s_or_b64 exec, exec, s[2:3]
	v_cmp_lt_u32_e64 s[2:3], v7, v50
.LBB3413_173:
	s_and_saveexec_b64 s[4:5], s[2:3]
	s_cbranch_execnz .LBB3413_176
; %bb.174:
	s_or_b64 exec, exec, s[4:5]
	s_and_b64 s[0:1], s[0:1], s[18:19]
	s_and_saveexec_b64 s[2:3], s[0:1]
	s_cbranch_execnz .LBB3413_177
.LBB3413_175:
	s_endpgm
.LBB3413_176:
	v_lshlrev_b32_e32 v0, 1, v7
	v_readfirstlane_b32 s2, v2
	v_readfirstlane_b32 s3, v3
	s_waitcnt lgkmcnt(0)
	s_nop 3
	global_store_short v0, v6, s[2:3]
	s_or_b64 exec, exec, s[4:5]
	s_and_b64 s[0:1], s[0:1], s[18:19]
	s_and_saveexec_b64 s[2:3], s[0:1]
	s_cbranch_execz .LBB3413_175
.LBB3413_177:
	v_add_co_u32_e32 v0, vcc, v10, v14
	v_addc_co_u32_e32 v1, vcc, 0, v11, vcc
	v_add_co_u32_e32 v0, vcc, v0, v16
	v_mov_b32_e32 v2, 0
	v_addc_co_u32_e32 v1, vcc, 0, v1, vcc
	global_store_dwordx2 v2, v[0:1], s[20:21]
	s_endpgm
.LBB3413_178:
	v_readfirstlane_b32 s4, v2
	v_readfirstlane_b32 s5, v3
	s_waitcnt lgkmcnt(14)
	s_nop 3
	global_store_short v1, v49, s[4:5]
	s_or_b64 exec, exec, s[2:3]
	v_cmp_lt_u32_e32 vcc, v47, v14
	s_and_saveexec_b64 s[2:3], vcc
	s_cbranch_execz .LBB3413_132
.LBB3413_179:
	v_readfirstlane_b32 s4, v2
	v_readfirstlane_b32 s5, v3
	s_waitcnt lgkmcnt(14)
	s_nop 3
	global_store_short v1, v48, s[4:5] offset:512
	s_or_b64 exec, exec, s[2:3]
	v_cmp_lt_u32_e32 vcc, v45, v14
	s_and_saveexec_b64 s[2:3], vcc
	s_cbranch_execz .LBB3413_133
.LBB3413_180:
	v_readfirstlane_b32 s4, v2
	v_readfirstlane_b32 s5, v3
	s_waitcnt lgkmcnt(14)
	s_nop 3
	global_store_short v1, v46, s[4:5] offset:1024
	s_or_b64 exec, exec, s[2:3]
	v_cmp_lt_u32_e32 vcc, v43, v14
	s_and_saveexec_b64 s[2:3], vcc
	s_cbranch_execz .LBB3413_134
.LBB3413_181:
	v_readfirstlane_b32 s4, v2
	v_readfirstlane_b32 s5, v3
	s_waitcnt lgkmcnt(14)
	s_nop 3
	global_store_short v1, v44, s[4:5] offset:1536
	s_or_b64 exec, exec, s[2:3]
	v_cmp_lt_u32_e32 vcc, v41, v14
	s_and_saveexec_b64 s[2:3], vcc
	s_cbranch_execz .LBB3413_135
.LBB3413_182:
	v_readfirstlane_b32 s4, v2
	v_readfirstlane_b32 s5, v3
	s_waitcnt lgkmcnt(14)
	s_nop 3
	global_store_short v1, v42, s[4:5] offset:2048
	s_or_b64 exec, exec, s[2:3]
	v_cmp_lt_u32_e32 vcc, v40, v14
	s_and_saveexec_b64 s[2:3], vcc
	s_cbranch_execz .LBB3413_136
.LBB3413_183:
	v_readfirstlane_b32 s4, v2
	v_readfirstlane_b32 s5, v3
	s_waitcnt lgkmcnt(14)
	s_nop 3
	global_store_short v1, v39, s[4:5] offset:2560
	s_or_b64 exec, exec, s[2:3]
	v_cmp_lt_u32_e32 vcc, v38, v14
	s_and_saveexec_b64 s[2:3], vcc
	s_cbranch_execz .LBB3413_137
.LBB3413_184:
	v_readfirstlane_b32 s4, v2
	v_readfirstlane_b32 s5, v3
	s_waitcnt lgkmcnt(13)
	s_nop 3
	global_store_short v1, v37, s[4:5] offset:3072
	s_or_b64 exec, exec, s[2:3]
	v_cmp_lt_u32_e32 vcc, v36, v14
	s_and_saveexec_b64 s[2:3], vcc
	s_cbranch_execz .LBB3413_138
.LBB3413_185:
	v_readfirstlane_b32 s4, v2
	v_readfirstlane_b32 s5, v3
	s_waitcnt lgkmcnt(12)
	s_nop 3
	global_store_short v1, v34, s[4:5] offset:3584
	s_or_b64 exec, exec, s[2:3]
	v_cmp_lt_u32_e32 vcc, v33, v14
	s_and_saveexec_b64 s[2:3], vcc
	s_cbranch_execz .LBB3413_139
.LBB3413_186:
	v_lshlrev_b32_e32 v17, 1, v33
	v_readfirstlane_b32 s4, v2
	v_readfirstlane_b32 s5, v3
	s_waitcnt lgkmcnt(11)
	s_nop 3
	global_store_short v17, v35, s[4:5]
	s_or_b64 exec, exec, s[2:3]
	v_cmp_lt_u32_e32 vcc, v31, v14
	s_and_saveexec_b64 s[2:3], vcc
	s_cbranch_execz .LBB3413_140
.LBB3413_187:
	v_lshlrev_b32_e32 v17, 1, v31
	v_readfirstlane_b32 s4, v2
	v_readfirstlane_b32 s5, v3
	s_waitcnt lgkmcnt(10)
	s_nop 3
	global_store_short v17, v32, s[4:5]
	s_or_b64 exec, exec, s[2:3]
	v_cmp_lt_u32_e32 vcc, v29, v14
	s_and_saveexec_b64 s[2:3], vcc
	s_cbranch_execz .LBB3413_141
.LBB3413_188:
	v_lshlrev_b32_e32 v17, 1, v29
	v_readfirstlane_b32 s4, v2
	v_readfirstlane_b32 s5, v3
	s_waitcnt lgkmcnt(9)
	s_nop 3
	global_store_short v17, v30, s[4:5]
	s_or_b64 exec, exec, s[2:3]
	v_cmp_lt_u32_e32 vcc, v27, v14
	s_and_saveexec_b64 s[2:3], vcc
	s_cbranch_execz .LBB3413_142
.LBB3413_189:
	v_lshlrev_b32_e32 v17, 1, v27
	v_readfirstlane_b32 s4, v2
	v_readfirstlane_b32 s5, v3
	s_waitcnt lgkmcnt(8)
	s_nop 3
	global_store_short v17, v28, s[4:5]
	s_or_b64 exec, exec, s[2:3]
	v_cmp_lt_u32_e32 vcc, v25, v14
	s_and_saveexec_b64 s[2:3], vcc
	s_cbranch_execz .LBB3413_143
.LBB3413_190:
	v_lshlrev_b32_e32 v17, 1, v25
	v_readfirstlane_b32 s4, v2
	v_readfirstlane_b32 s5, v3
	s_waitcnt lgkmcnt(7)
	s_nop 3
	global_store_short v17, v26, s[4:5]
	s_or_b64 exec, exec, s[2:3]
	v_cmp_lt_u32_e32 vcc, v23, v14
	s_and_saveexec_b64 s[2:3], vcc
	s_cbranch_execz .LBB3413_144
.LBB3413_191:
	v_lshlrev_b32_e32 v17, 1, v23
	v_readfirstlane_b32 s4, v2
	v_readfirstlane_b32 s5, v3
	s_waitcnt lgkmcnt(6)
	s_nop 3
	global_store_short v17, v24, s[4:5]
	s_or_b64 exec, exec, s[2:3]
	v_cmp_lt_u32_e32 vcc, v21, v14
	s_and_saveexec_b64 s[2:3], vcc
	s_cbranch_execz .LBB3413_145
.LBB3413_192:
	v_lshlrev_b32_e32 v17, 1, v21
	v_readfirstlane_b32 s4, v2
	v_readfirstlane_b32 s5, v3
	s_waitcnt lgkmcnt(5)
	s_nop 3
	global_store_short v17, v22, s[4:5]
	s_or_b64 exec, exec, s[2:3]
	v_cmp_lt_u32_e32 vcc, v19, v14
	s_and_saveexec_b64 s[2:3], vcc
	s_cbranch_execz .LBB3413_146
.LBB3413_193:
	v_lshlrev_b32_e32 v17, 1, v19
	v_readfirstlane_b32 s4, v2
	v_readfirstlane_b32 s5, v3
	s_waitcnt lgkmcnt(4)
	s_nop 3
	global_store_short v17, v20, s[4:5]
	s_or_b64 exec, exec, s[2:3]
	v_cmp_lt_u32_e32 vcc, v15, v14
	s_and_saveexec_b64 s[2:3], vcc
	s_cbranch_execz .LBB3413_147
.LBB3413_194:
	v_lshlrev_b32_e32 v17, 1, v15
	v_readfirstlane_b32 s4, v2
	v_readfirstlane_b32 s5, v3
	s_waitcnt lgkmcnt(3)
	s_nop 3
	global_store_short v17, v18, s[4:5]
	s_or_b64 exec, exec, s[2:3]
	v_cmp_lt_u32_e32 vcc, v12, v14
	s_and_saveexec_b64 s[2:3], vcc
	s_cbranch_execz .LBB3413_148
.LBB3413_195:
	v_lshlrev_b32_e32 v17, 1, v12
	v_readfirstlane_b32 s4, v2
	v_readfirstlane_b32 s5, v3
	s_waitcnt lgkmcnt(2)
	s_nop 3
	global_store_short v17, v13, s[4:5]
	s_or_b64 exec, exec, s[2:3]
	v_cmp_lt_u32_e32 vcc, v9, v14
	s_and_saveexec_b64 s[2:3], vcc
	s_cbranch_execnz .LBB3413_149
	s_branch .LBB3413_150
.LBB3413_196:
	v_readfirstlane_b32 s4, v2
	v_readfirstlane_b32 s5, v3
	s_waitcnt lgkmcnt(14)
	s_nop 3
	global_store_short v1, v49, s[4:5]
	s_or_b64 exec, exec, s[2:3]
	v_cmp_lt_u32_e32 vcc, v47, v50
	s_and_saveexec_b64 s[2:3], vcc
	s_cbranch_execz .LBB3413_154
.LBB3413_197:
	v_readfirstlane_b32 s4, v2
	v_readfirstlane_b32 s5, v3
	s_waitcnt lgkmcnt(14)
	s_nop 3
	global_store_short v1, v48, s[4:5] offset:512
	s_or_b64 exec, exec, s[2:3]
	v_cmp_lt_u32_e32 vcc, v45, v50
	s_and_saveexec_b64 s[2:3], vcc
	s_cbranch_execz .LBB3413_155
.LBB3413_198:
	v_readfirstlane_b32 s4, v2
	v_readfirstlane_b32 s5, v3
	s_waitcnt lgkmcnt(14)
	s_nop 3
	global_store_short v1, v46, s[4:5] offset:1024
	s_or_b64 exec, exec, s[2:3]
	v_cmp_lt_u32_e32 vcc, v43, v50
	s_and_saveexec_b64 s[2:3], vcc
	s_cbranch_execz .LBB3413_156
.LBB3413_199:
	v_readfirstlane_b32 s4, v2
	v_readfirstlane_b32 s5, v3
	s_waitcnt lgkmcnt(14)
	s_nop 3
	global_store_short v1, v44, s[4:5] offset:1536
	s_or_b64 exec, exec, s[2:3]
	v_cmp_lt_u32_e32 vcc, v41, v50
	s_and_saveexec_b64 s[2:3], vcc
	s_cbranch_execz .LBB3413_157
.LBB3413_200:
	v_readfirstlane_b32 s4, v2
	v_readfirstlane_b32 s5, v3
	s_waitcnt lgkmcnt(14)
	s_nop 3
	global_store_short v1, v42, s[4:5] offset:2048
	s_or_b64 exec, exec, s[2:3]
	v_cmp_lt_u32_e32 vcc, v40, v50
	s_and_saveexec_b64 s[2:3], vcc
	s_cbranch_execz .LBB3413_158
.LBB3413_201:
	v_readfirstlane_b32 s4, v2
	v_readfirstlane_b32 s5, v3
	s_waitcnt lgkmcnt(14)
	s_nop 3
	global_store_short v1, v39, s[4:5] offset:2560
	s_or_b64 exec, exec, s[2:3]
	v_cmp_lt_u32_e32 vcc, v38, v50
	s_and_saveexec_b64 s[2:3], vcc
	s_cbranch_execz .LBB3413_159
.LBB3413_202:
	v_readfirstlane_b32 s4, v2
	v_readfirstlane_b32 s5, v3
	s_waitcnt lgkmcnt(13)
	s_nop 3
	global_store_short v1, v37, s[4:5] offset:3072
	s_or_b64 exec, exec, s[2:3]
	v_cmp_lt_u32_e32 vcc, v36, v50
	s_and_saveexec_b64 s[2:3], vcc
	s_cbranch_execz .LBB3413_160
.LBB3413_203:
	v_readfirstlane_b32 s4, v2
	v_readfirstlane_b32 s5, v3
	s_waitcnt lgkmcnt(12)
	s_nop 3
	global_store_short v1, v34, s[4:5] offset:3584
	s_or_b64 exec, exec, s[2:3]
	v_cmp_lt_u32_e32 vcc, v33, v50
	s_and_saveexec_b64 s[2:3], vcc
	s_cbranch_execz .LBB3413_161
.LBB3413_204:
	v_lshlrev_b32_e32 v0, 1, v33
	v_readfirstlane_b32 s4, v2
	v_readfirstlane_b32 s5, v3
	s_waitcnt lgkmcnt(11)
	s_nop 3
	global_store_short v0, v35, s[4:5]
	s_or_b64 exec, exec, s[2:3]
	v_cmp_lt_u32_e32 vcc, v31, v50
	s_and_saveexec_b64 s[2:3], vcc
	s_cbranch_execz .LBB3413_162
.LBB3413_205:
	v_lshlrev_b32_e32 v0, 1, v31
	v_readfirstlane_b32 s4, v2
	v_readfirstlane_b32 s5, v3
	s_waitcnt lgkmcnt(10)
	s_nop 3
	global_store_short v0, v32, s[4:5]
	s_or_b64 exec, exec, s[2:3]
	v_cmp_lt_u32_e32 vcc, v29, v50
	s_and_saveexec_b64 s[2:3], vcc
	s_cbranch_execz .LBB3413_163
.LBB3413_206:
	v_lshlrev_b32_e32 v0, 1, v29
	v_readfirstlane_b32 s4, v2
	v_readfirstlane_b32 s5, v3
	s_waitcnt lgkmcnt(9)
	s_nop 3
	global_store_short v0, v30, s[4:5]
	s_or_b64 exec, exec, s[2:3]
	v_cmp_lt_u32_e32 vcc, v27, v50
	s_and_saveexec_b64 s[2:3], vcc
	s_cbranch_execz .LBB3413_164
.LBB3413_207:
	v_lshlrev_b32_e32 v0, 1, v27
	v_readfirstlane_b32 s4, v2
	v_readfirstlane_b32 s5, v3
	s_waitcnt lgkmcnt(8)
	s_nop 3
	global_store_short v0, v28, s[4:5]
	s_or_b64 exec, exec, s[2:3]
	v_cmp_lt_u32_e32 vcc, v25, v50
	s_and_saveexec_b64 s[2:3], vcc
	s_cbranch_execz .LBB3413_165
.LBB3413_208:
	v_lshlrev_b32_e32 v0, 1, v25
	v_readfirstlane_b32 s4, v2
	v_readfirstlane_b32 s5, v3
	s_waitcnt lgkmcnt(7)
	s_nop 3
	global_store_short v0, v26, s[4:5]
	s_or_b64 exec, exec, s[2:3]
	v_cmp_lt_u32_e32 vcc, v23, v50
	s_and_saveexec_b64 s[2:3], vcc
	s_cbranch_execz .LBB3413_166
.LBB3413_209:
	v_lshlrev_b32_e32 v0, 1, v23
	v_readfirstlane_b32 s4, v2
	v_readfirstlane_b32 s5, v3
	s_waitcnt lgkmcnt(6)
	s_nop 3
	global_store_short v0, v24, s[4:5]
	s_or_b64 exec, exec, s[2:3]
	v_cmp_lt_u32_e32 vcc, v21, v50
	s_and_saveexec_b64 s[2:3], vcc
	s_cbranch_execz .LBB3413_167
.LBB3413_210:
	v_lshlrev_b32_e32 v0, 1, v21
	v_readfirstlane_b32 s4, v2
	v_readfirstlane_b32 s5, v3
	s_waitcnt lgkmcnt(5)
	s_nop 3
	global_store_short v0, v22, s[4:5]
	s_or_b64 exec, exec, s[2:3]
	v_cmp_lt_u32_e32 vcc, v19, v50
	s_and_saveexec_b64 s[2:3], vcc
	s_cbranch_execz .LBB3413_168
.LBB3413_211:
	v_lshlrev_b32_e32 v0, 1, v19
	v_readfirstlane_b32 s4, v2
	v_readfirstlane_b32 s5, v3
	s_waitcnt lgkmcnt(4)
	s_nop 3
	global_store_short v0, v20, s[4:5]
	s_or_b64 exec, exec, s[2:3]
	v_cmp_lt_u32_e32 vcc, v15, v50
	s_and_saveexec_b64 s[2:3], vcc
	s_cbranch_execz .LBB3413_169
.LBB3413_212:
	v_lshlrev_b32_e32 v0, 1, v15
	v_readfirstlane_b32 s4, v2
	v_readfirstlane_b32 s5, v3
	s_waitcnt lgkmcnt(3)
	s_nop 3
	global_store_short v0, v18, s[4:5]
	s_or_b64 exec, exec, s[2:3]
	v_cmp_lt_u32_e32 vcc, v12, v50
	s_and_saveexec_b64 s[2:3], vcc
	s_cbranch_execz .LBB3413_170
.LBB3413_213:
	v_lshlrev_b32_e32 v0, 1, v12
	v_readfirstlane_b32 s4, v2
	v_readfirstlane_b32 s5, v3
	s_waitcnt lgkmcnt(2)
	s_nop 3
	global_store_short v0, v13, s[4:5]
	s_or_b64 exec, exec, s[2:3]
	v_cmp_lt_u32_e32 vcc, v9, v50
	s_and_saveexec_b64 s[2:3], vcc
	s_cbranch_execnz .LBB3413_171
	s_branch .LBB3413_172
	.section	.rodata,"a",@progbits
	.p2align	6, 0x0
	.amdhsa_kernel _ZN7rocprim17ROCPRIM_400000_NS6detail17trampoline_kernelINS0_14default_configENS1_25partition_config_selectorILNS1_17partition_subalgoE1EsNS0_10empty_typeEbEEZZNS1_14partition_implILS5_1ELb0ES3_jN6thrust23THRUST_200600_302600_NS6detail15normal_iteratorINSA_10device_ptrIsEEEEPS6_NSA_18transform_iteratorI7is_evenIsESF_NSA_11use_defaultESK_EENS0_5tupleIJSF_NSA_16discard_iteratorISK_EEEEENSM_IJSG_SG_EEES6_PlJS6_EEE10hipError_tPvRmT3_T4_T5_T6_T7_T9_mT8_P12ihipStream_tbDpT10_ENKUlT_T0_E_clISt17integral_constantIbLb0EES1A_IbLb1EEEEDaS16_S17_EUlS16_E_NS1_11comp_targetILNS1_3genE4ELNS1_11target_archE910ELNS1_3gpuE8ELNS1_3repE0EEENS1_30default_config_static_selectorELNS0_4arch9wavefront6targetE1EEEvT1_
		.amdhsa_group_segment_fixed_size 10248
		.amdhsa_private_segment_fixed_size 0
		.amdhsa_kernarg_size 152
		.amdhsa_user_sgpr_count 6
		.amdhsa_user_sgpr_private_segment_buffer 1
		.amdhsa_user_sgpr_dispatch_ptr 0
		.amdhsa_user_sgpr_queue_ptr 0
		.amdhsa_user_sgpr_kernarg_segment_ptr 1
		.amdhsa_user_sgpr_dispatch_id 0
		.amdhsa_user_sgpr_flat_scratch_init 0
		.amdhsa_user_sgpr_kernarg_preload_length 0
		.amdhsa_user_sgpr_kernarg_preload_offset 0
		.amdhsa_user_sgpr_private_segment_size 0
		.amdhsa_uses_dynamic_stack 0
		.amdhsa_system_sgpr_private_segment_wavefront_offset 0
		.amdhsa_system_sgpr_workgroup_id_x 1
		.amdhsa_system_sgpr_workgroup_id_y 0
		.amdhsa_system_sgpr_workgroup_id_z 0
		.amdhsa_system_sgpr_workgroup_info 0
		.amdhsa_system_vgpr_workitem_id 0
		.amdhsa_next_free_vgpr 67
		.amdhsa_next_free_sgpr 40
		.amdhsa_accum_offset 68
		.amdhsa_reserve_vcc 1
		.amdhsa_reserve_flat_scratch 0
		.amdhsa_float_round_mode_32 0
		.amdhsa_float_round_mode_16_64 0
		.amdhsa_float_denorm_mode_32 3
		.amdhsa_float_denorm_mode_16_64 3
		.amdhsa_dx10_clamp 1
		.amdhsa_ieee_mode 1
		.amdhsa_fp16_overflow 0
		.amdhsa_tg_split 0
		.amdhsa_exception_fp_ieee_invalid_op 0
		.amdhsa_exception_fp_denorm_src 0
		.amdhsa_exception_fp_ieee_div_zero 0
		.amdhsa_exception_fp_ieee_overflow 0
		.amdhsa_exception_fp_ieee_underflow 0
		.amdhsa_exception_fp_ieee_inexact 0
		.amdhsa_exception_int_div_zero 0
	.end_amdhsa_kernel
	.section	.text._ZN7rocprim17ROCPRIM_400000_NS6detail17trampoline_kernelINS0_14default_configENS1_25partition_config_selectorILNS1_17partition_subalgoE1EsNS0_10empty_typeEbEEZZNS1_14partition_implILS5_1ELb0ES3_jN6thrust23THRUST_200600_302600_NS6detail15normal_iteratorINSA_10device_ptrIsEEEEPS6_NSA_18transform_iteratorI7is_evenIsESF_NSA_11use_defaultESK_EENS0_5tupleIJSF_NSA_16discard_iteratorISK_EEEEENSM_IJSG_SG_EEES6_PlJS6_EEE10hipError_tPvRmT3_T4_T5_T6_T7_T9_mT8_P12ihipStream_tbDpT10_ENKUlT_T0_E_clISt17integral_constantIbLb0EES1A_IbLb1EEEEDaS16_S17_EUlS16_E_NS1_11comp_targetILNS1_3genE4ELNS1_11target_archE910ELNS1_3gpuE8ELNS1_3repE0EEENS1_30default_config_static_selectorELNS0_4arch9wavefront6targetE1EEEvT1_,"axG",@progbits,_ZN7rocprim17ROCPRIM_400000_NS6detail17trampoline_kernelINS0_14default_configENS1_25partition_config_selectorILNS1_17partition_subalgoE1EsNS0_10empty_typeEbEEZZNS1_14partition_implILS5_1ELb0ES3_jN6thrust23THRUST_200600_302600_NS6detail15normal_iteratorINSA_10device_ptrIsEEEEPS6_NSA_18transform_iteratorI7is_evenIsESF_NSA_11use_defaultESK_EENS0_5tupleIJSF_NSA_16discard_iteratorISK_EEEEENSM_IJSG_SG_EEES6_PlJS6_EEE10hipError_tPvRmT3_T4_T5_T6_T7_T9_mT8_P12ihipStream_tbDpT10_ENKUlT_T0_E_clISt17integral_constantIbLb0EES1A_IbLb1EEEEDaS16_S17_EUlS16_E_NS1_11comp_targetILNS1_3genE4ELNS1_11target_archE910ELNS1_3gpuE8ELNS1_3repE0EEENS1_30default_config_static_selectorELNS0_4arch9wavefront6targetE1EEEvT1_,comdat
.Lfunc_end3413:
	.size	_ZN7rocprim17ROCPRIM_400000_NS6detail17trampoline_kernelINS0_14default_configENS1_25partition_config_selectorILNS1_17partition_subalgoE1EsNS0_10empty_typeEbEEZZNS1_14partition_implILS5_1ELb0ES3_jN6thrust23THRUST_200600_302600_NS6detail15normal_iteratorINSA_10device_ptrIsEEEEPS6_NSA_18transform_iteratorI7is_evenIsESF_NSA_11use_defaultESK_EENS0_5tupleIJSF_NSA_16discard_iteratorISK_EEEEENSM_IJSG_SG_EEES6_PlJS6_EEE10hipError_tPvRmT3_T4_T5_T6_T7_T9_mT8_P12ihipStream_tbDpT10_ENKUlT_T0_E_clISt17integral_constantIbLb0EES1A_IbLb1EEEEDaS16_S17_EUlS16_E_NS1_11comp_targetILNS1_3genE4ELNS1_11target_archE910ELNS1_3gpuE8ELNS1_3repE0EEENS1_30default_config_static_selectorELNS0_4arch9wavefront6targetE1EEEvT1_, .Lfunc_end3413-_ZN7rocprim17ROCPRIM_400000_NS6detail17trampoline_kernelINS0_14default_configENS1_25partition_config_selectorILNS1_17partition_subalgoE1EsNS0_10empty_typeEbEEZZNS1_14partition_implILS5_1ELb0ES3_jN6thrust23THRUST_200600_302600_NS6detail15normal_iteratorINSA_10device_ptrIsEEEEPS6_NSA_18transform_iteratorI7is_evenIsESF_NSA_11use_defaultESK_EENS0_5tupleIJSF_NSA_16discard_iteratorISK_EEEEENSM_IJSG_SG_EEES6_PlJS6_EEE10hipError_tPvRmT3_T4_T5_T6_T7_T9_mT8_P12ihipStream_tbDpT10_ENKUlT_T0_E_clISt17integral_constantIbLb0EES1A_IbLb1EEEEDaS16_S17_EUlS16_E_NS1_11comp_targetILNS1_3genE4ELNS1_11target_archE910ELNS1_3gpuE8ELNS1_3repE0EEENS1_30default_config_static_selectorELNS0_4arch9wavefront6targetE1EEEvT1_
                                        ; -- End function
	.section	.AMDGPU.csdata,"",@progbits
; Kernel info:
; codeLenInByte = 9376
; NumSgprs: 44
; NumVgprs: 67
; NumAgprs: 0
; TotalNumVgprs: 67
; ScratchSize: 0
; MemoryBound: 0
; FloatMode: 240
; IeeeMode: 1
; LDSByteSize: 10248 bytes/workgroup (compile time only)
; SGPRBlocks: 5
; VGPRBlocks: 8
; NumSGPRsForWavesPerEU: 44
; NumVGPRsForWavesPerEU: 67
; AccumOffset: 68
; Occupancy: 6
; WaveLimiterHint : 1
; COMPUTE_PGM_RSRC2:SCRATCH_EN: 0
; COMPUTE_PGM_RSRC2:USER_SGPR: 6
; COMPUTE_PGM_RSRC2:TRAP_HANDLER: 0
; COMPUTE_PGM_RSRC2:TGID_X_EN: 1
; COMPUTE_PGM_RSRC2:TGID_Y_EN: 0
; COMPUTE_PGM_RSRC2:TGID_Z_EN: 0
; COMPUTE_PGM_RSRC2:TIDIG_COMP_CNT: 0
; COMPUTE_PGM_RSRC3_GFX90A:ACCUM_OFFSET: 16
; COMPUTE_PGM_RSRC3_GFX90A:TG_SPLIT: 0
	.section	.text._ZN7rocprim17ROCPRIM_400000_NS6detail17trampoline_kernelINS0_14default_configENS1_25partition_config_selectorILNS1_17partition_subalgoE1EsNS0_10empty_typeEbEEZZNS1_14partition_implILS5_1ELb0ES3_jN6thrust23THRUST_200600_302600_NS6detail15normal_iteratorINSA_10device_ptrIsEEEEPS6_NSA_18transform_iteratorI7is_evenIsESF_NSA_11use_defaultESK_EENS0_5tupleIJSF_NSA_16discard_iteratorISK_EEEEENSM_IJSG_SG_EEES6_PlJS6_EEE10hipError_tPvRmT3_T4_T5_T6_T7_T9_mT8_P12ihipStream_tbDpT10_ENKUlT_T0_E_clISt17integral_constantIbLb0EES1A_IbLb1EEEEDaS16_S17_EUlS16_E_NS1_11comp_targetILNS1_3genE3ELNS1_11target_archE908ELNS1_3gpuE7ELNS1_3repE0EEENS1_30default_config_static_selectorELNS0_4arch9wavefront6targetE1EEEvT1_,"axG",@progbits,_ZN7rocprim17ROCPRIM_400000_NS6detail17trampoline_kernelINS0_14default_configENS1_25partition_config_selectorILNS1_17partition_subalgoE1EsNS0_10empty_typeEbEEZZNS1_14partition_implILS5_1ELb0ES3_jN6thrust23THRUST_200600_302600_NS6detail15normal_iteratorINSA_10device_ptrIsEEEEPS6_NSA_18transform_iteratorI7is_evenIsESF_NSA_11use_defaultESK_EENS0_5tupleIJSF_NSA_16discard_iteratorISK_EEEEENSM_IJSG_SG_EEES6_PlJS6_EEE10hipError_tPvRmT3_T4_T5_T6_T7_T9_mT8_P12ihipStream_tbDpT10_ENKUlT_T0_E_clISt17integral_constantIbLb0EES1A_IbLb1EEEEDaS16_S17_EUlS16_E_NS1_11comp_targetILNS1_3genE3ELNS1_11target_archE908ELNS1_3gpuE7ELNS1_3repE0EEENS1_30default_config_static_selectorELNS0_4arch9wavefront6targetE1EEEvT1_,comdat
	.protected	_ZN7rocprim17ROCPRIM_400000_NS6detail17trampoline_kernelINS0_14default_configENS1_25partition_config_selectorILNS1_17partition_subalgoE1EsNS0_10empty_typeEbEEZZNS1_14partition_implILS5_1ELb0ES3_jN6thrust23THRUST_200600_302600_NS6detail15normal_iteratorINSA_10device_ptrIsEEEEPS6_NSA_18transform_iteratorI7is_evenIsESF_NSA_11use_defaultESK_EENS0_5tupleIJSF_NSA_16discard_iteratorISK_EEEEENSM_IJSG_SG_EEES6_PlJS6_EEE10hipError_tPvRmT3_T4_T5_T6_T7_T9_mT8_P12ihipStream_tbDpT10_ENKUlT_T0_E_clISt17integral_constantIbLb0EES1A_IbLb1EEEEDaS16_S17_EUlS16_E_NS1_11comp_targetILNS1_3genE3ELNS1_11target_archE908ELNS1_3gpuE7ELNS1_3repE0EEENS1_30default_config_static_selectorELNS0_4arch9wavefront6targetE1EEEvT1_ ; -- Begin function _ZN7rocprim17ROCPRIM_400000_NS6detail17trampoline_kernelINS0_14default_configENS1_25partition_config_selectorILNS1_17partition_subalgoE1EsNS0_10empty_typeEbEEZZNS1_14partition_implILS5_1ELb0ES3_jN6thrust23THRUST_200600_302600_NS6detail15normal_iteratorINSA_10device_ptrIsEEEEPS6_NSA_18transform_iteratorI7is_evenIsESF_NSA_11use_defaultESK_EENS0_5tupleIJSF_NSA_16discard_iteratorISK_EEEEENSM_IJSG_SG_EEES6_PlJS6_EEE10hipError_tPvRmT3_T4_T5_T6_T7_T9_mT8_P12ihipStream_tbDpT10_ENKUlT_T0_E_clISt17integral_constantIbLb0EES1A_IbLb1EEEEDaS16_S17_EUlS16_E_NS1_11comp_targetILNS1_3genE3ELNS1_11target_archE908ELNS1_3gpuE7ELNS1_3repE0EEENS1_30default_config_static_selectorELNS0_4arch9wavefront6targetE1EEEvT1_
	.globl	_ZN7rocprim17ROCPRIM_400000_NS6detail17trampoline_kernelINS0_14default_configENS1_25partition_config_selectorILNS1_17partition_subalgoE1EsNS0_10empty_typeEbEEZZNS1_14partition_implILS5_1ELb0ES3_jN6thrust23THRUST_200600_302600_NS6detail15normal_iteratorINSA_10device_ptrIsEEEEPS6_NSA_18transform_iteratorI7is_evenIsESF_NSA_11use_defaultESK_EENS0_5tupleIJSF_NSA_16discard_iteratorISK_EEEEENSM_IJSG_SG_EEES6_PlJS6_EEE10hipError_tPvRmT3_T4_T5_T6_T7_T9_mT8_P12ihipStream_tbDpT10_ENKUlT_T0_E_clISt17integral_constantIbLb0EES1A_IbLb1EEEEDaS16_S17_EUlS16_E_NS1_11comp_targetILNS1_3genE3ELNS1_11target_archE908ELNS1_3gpuE7ELNS1_3repE0EEENS1_30default_config_static_selectorELNS0_4arch9wavefront6targetE1EEEvT1_
	.p2align	8
	.type	_ZN7rocprim17ROCPRIM_400000_NS6detail17trampoline_kernelINS0_14default_configENS1_25partition_config_selectorILNS1_17partition_subalgoE1EsNS0_10empty_typeEbEEZZNS1_14partition_implILS5_1ELb0ES3_jN6thrust23THRUST_200600_302600_NS6detail15normal_iteratorINSA_10device_ptrIsEEEEPS6_NSA_18transform_iteratorI7is_evenIsESF_NSA_11use_defaultESK_EENS0_5tupleIJSF_NSA_16discard_iteratorISK_EEEEENSM_IJSG_SG_EEES6_PlJS6_EEE10hipError_tPvRmT3_T4_T5_T6_T7_T9_mT8_P12ihipStream_tbDpT10_ENKUlT_T0_E_clISt17integral_constantIbLb0EES1A_IbLb1EEEEDaS16_S17_EUlS16_E_NS1_11comp_targetILNS1_3genE3ELNS1_11target_archE908ELNS1_3gpuE7ELNS1_3repE0EEENS1_30default_config_static_selectorELNS0_4arch9wavefront6targetE1EEEvT1_,@function
_ZN7rocprim17ROCPRIM_400000_NS6detail17trampoline_kernelINS0_14default_configENS1_25partition_config_selectorILNS1_17partition_subalgoE1EsNS0_10empty_typeEbEEZZNS1_14partition_implILS5_1ELb0ES3_jN6thrust23THRUST_200600_302600_NS6detail15normal_iteratorINSA_10device_ptrIsEEEEPS6_NSA_18transform_iteratorI7is_evenIsESF_NSA_11use_defaultESK_EENS0_5tupleIJSF_NSA_16discard_iteratorISK_EEEEENSM_IJSG_SG_EEES6_PlJS6_EEE10hipError_tPvRmT3_T4_T5_T6_T7_T9_mT8_P12ihipStream_tbDpT10_ENKUlT_T0_E_clISt17integral_constantIbLb0EES1A_IbLb1EEEEDaS16_S17_EUlS16_E_NS1_11comp_targetILNS1_3genE3ELNS1_11target_archE908ELNS1_3gpuE7ELNS1_3repE0EEENS1_30default_config_static_selectorELNS0_4arch9wavefront6targetE1EEEvT1_: ; @_ZN7rocprim17ROCPRIM_400000_NS6detail17trampoline_kernelINS0_14default_configENS1_25partition_config_selectorILNS1_17partition_subalgoE1EsNS0_10empty_typeEbEEZZNS1_14partition_implILS5_1ELb0ES3_jN6thrust23THRUST_200600_302600_NS6detail15normal_iteratorINSA_10device_ptrIsEEEEPS6_NSA_18transform_iteratorI7is_evenIsESF_NSA_11use_defaultESK_EENS0_5tupleIJSF_NSA_16discard_iteratorISK_EEEEENSM_IJSG_SG_EEES6_PlJS6_EEE10hipError_tPvRmT3_T4_T5_T6_T7_T9_mT8_P12ihipStream_tbDpT10_ENKUlT_T0_E_clISt17integral_constantIbLb0EES1A_IbLb1EEEEDaS16_S17_EUlS16_E_NS1_11comp_targetILNS1_3genE3ELNS1_11target_archE908ELNS1_3gpuE7ELNS1_3repE0EEENS1_30default_config_static_selectorELNS0_4arch9wavefront6targetE1EEEvT1_
; %bb.0:
	.section	.rodata,"a",@progbits
	.p2align	6, 0x0
	.amdhsa_kernel _ZN7rocprim17ROCPRIM_400000_NS6detail17trampoline_kernelINS0_14default_configENS1_25partition_config_selectorILNS1_17partition_subalgoE1EsNS0_10empty_typeEbEEZZNS1_14partition_implILS5_1ELb0ES3_jN6thrust23THRUST_200600_302600_NS6detail15normal_iteratorINSA_10device_ptrIsEEEEPS6_NSA_18transform_iteratorI7is_evenIsESF_NSA_11use_defaultESK_EENS0_5tupleIJSF_NSA_16discard_iteratorISK_EEEEENSM_IJSG_SG_EEES6_PlJS6_EEE10hipError_tPvRmT3_T4_T5_T6_T7_T9_mT8_P12ihipStream_tbDpT10_ENKUlT_T0_E_clISt17integral_constantIbLb0EES1A_IbLb1EEEEDaS16_S17_EUlS16_E_NS1_11comp_targetILNS1_3genE3ELNS1_11target_archE908ELNS1_3gpuE7ELNS1_3repE0EEENS1_30default_config_static_selectorELNS0_4arch9wavefront6targetE1EEEvT1_
		.amdhsa_group_segment_fixed_size 0
		.amdhsa_private_segment_fixed_size 0
		.amdhsa_kernarg_size 152
		.amdhsa_user_sgpr_count 6
		.amdhsa_user_sgpr_private_segment_buffer 1
		.amdhsa_user_sgpr_dispatch_ptr 0
		.amdhsa_user_sgpr_queue_ptr 0
		.amdhsa_user_sgpr_kernarg_segment_ptr 1
		.amdhsa_user_sgpr_dispatch_id 0
		.amdhsa_user_sgpr_flat_scratch_init 0
		.amdhsa_user_sgpr_kernarg_preload_length 0
		.amdhsa_user_sgpr_kernarg_preload_offset 0
		.amdhsa_user_sgpr_private_segment_size 0
		.amdhsa_uses_dynamic_stack 0
		.amdhsa_system_sgpr_private_segment_wavefront_offset 0
		.amdhsa_system_sgpr_workgroup_id_x 1
		.amdhsa_system_sgpr_workgroup_id_y 0
		.amdhsa_system_sgpr_workgroup_id_z 0
		.amdhsa_system_sgpr_workgroup_info 0
		.amdhsa_system_vgpr_workitem_id 0
		.amdhsa_next_free_vgpr 1
		.amdhsa_next_free_sgpr 0
		.amdhsa_accum_offset 4
		.amdhsa_reserve_vcc 0
		.amdhsa_reserve_flat_scratch 0
		.amdhsa_float_round_mode_32 0
		.amdhsa_float_round_mode_16_64 0
		.amdhsa_float_denorm_mode_32 3
		.amdhsa_float_denorm_mode_16_64 3
		.amdhsa_dx10_clamp 1
		.amdhsa_ieee_mode 1
		.amdhsa_fp16_overflow 0
		.amdhsa_tg_split 0
		.amdhsa_exception_fp_ieee_invalid_op 0
		.amdhsa_exception_fp_denorm_src 0
		.amdhsa_exception_fp_ieee_div_zero 0
		.amdhsa_exception_fp_ieee_overflow 0
		.amdhsa_exception_fp_ieee_underflow 0
		.amdhsa_exception_fp_ieee_inexact 0
		.amdhsa_exception_int_div_zero 0
	.end_amdhsa_kernel
	.section	.text._ZN7rocprim17ROCPRIM_400000_NS6detail17trampoline_kernelINS0_14default_configENS1_25partition_config_selectorILNS1_17partition_subalgoE1EsNS0_10empty_typeEbEEZZNS1_14partition_implILS5_1ELb0ES3_jN6thrust23THRUST_200600_302600_NS6detail15normal_iteratorINSA_10device_ptrIsEEEEPS6_NSA_18transform_iteratorI7is_evenIsESF_NSA_11use_defaultESK_EENS0_5tupleIJSF_NSA_16discard_iteratorISK_EEEEENSM_IJSG_SG_EEES6_PlJS6_EEE10hipError_tPvRmT3_T4_T5_T6_T7_T9_mT8_P12ihipStream_tbDpT10_ENKUlT_T0_E_clISt17integral_constantIbLb0EES1A_IbLb1EEEEDaS16_S17_EUlS16_E_NS1_11comp_targetILNS1_3genE3ELNS1_11target_archE908ELNS1_3gpuE7ELNS1_3repE0EEENS1_30default_config_static_selectorELNS0_4arch9wavefront6targetE1EEEvT1_,"axG",@progbits,_ZN7rocprim17ROCPRIM_400000_NS6detail17trampoline_kernelINS0_14default_configENS1_25partition_config_selectorILNS1_17partition_subalgoE1EsNS0_10empty_typeEbEEZZNS1_14partition_implILS5_1ELb0ES3_jN6thrust23THRUST_200600_302600_NS6detail15normal_iteratorINSA_10device_ptrIsEEEEPS6_NSA_18transform_iteratorI7is_evenIsESF_NSA_11use_defaultESK_EENS0_5tupleIJSF_NSA_16discard_iteratorISK_EEEEENSM_IJSG_SG_EEES6_PlJS6_EEE10hipError_tPvRmT3_T4_T5_T6_T7_T9_mT8_P12ihipStream_tbDpT10_ENKUlT_T0_E_clISt17integral_constantIbLb0EES1A_IbLb1EEEEDaS16_S17_EUlS16_E_NS1_11comp_targetILNS1_3genE3ELNS1_11target_archE908ELNS1_3gpuE7ELNS1_3repE0EEENS1_30default_config_static_selectorELNS0_4arch9wavefront6targetE1EEEvT1_,comdat
.Lfunc_end3414:
	.size	_ZN7rocprim17ROCPRIM_400000_NS6detail17trampoline_kernelINS0_14default_configENS1_25partition_config_selectorILNS1_17partition_subalgoE1EsNS0_10empty_typeEbEEZZNS1_14partition_implILS5_1ELb0ES3_jN6thrust23THRUST_200600_302600_NS6detail15normal_iteratorINSA_10device_ptrIsEEEEPS6_NSA_18transform_iteratorI7is_evenIsESF_NSA_11use_defaultESK_EENS0_5tupleIJSF_NSA_16discard_iteratorISK_EEEEENSM_IJSG_SG_EEES6_PlJS6_EEE10hipError_tPvRmT3_T4_T5_T6_T7_T9_mT8_P12ihipStream_tbDpT10_ENKUlT_T0_E_clISt17integral_constantIbLb0EES1A_IbLb1EEEEDaS16_S17_EUlS16_E_NS1_11comp_targetILNS1_3genE3ELNS1_11target_archE908ELNS1_3gpuE7ELNS1_3repE0EEENS1_30default_config_static_selectorELNS0_4arch9wavefront6targetE1EEEvT1_, .Lfunc_end3414-_ZN7rocprim17ROCPRIM_400000_NS6detail17trampoline_kernelINS0_14default_configENS1_25partition_config_selectorILNS1_17partition_subalgoE1EsNS0_10empty_typeEbEEZZNS1_14partition_implILS5_1ELb0ES3_jN6thrust23THRUST_200600_302600_NS6detail15normal_iteratorINSA_10device_ptrIsEEEEPS6_NSA_18transform_iteratorI7is_evenIsESF_NSA_11use_defaultESK_EENS0_5tupleIJSF_NSA_16discard_iteratorISK_EEEEENSM_IJSG_SG_EEES6_PlJS6_EEE10hipError_tPvRmT3_T4_T5_T6_T7_T9_mT8_P12ihipStream_tbDpT10_ENKUlT_T0_E_clISt17integral_constantIbLb0EES1A_IbLb1EEEEDaS16_S17_EUlS16_E_NS1_11comp_targetILNS1_3genE3ELNS1_11target_archE908ELNS1_3gpuE7ELNS1_3repE0EEENS1_30default_config_static_selectorELNS0_4arch9wavefront6targetE1EEEvT1_
                                        ; -- End function
	.section	.AMDGPU.csdata,"",@progbits
; Kernel info:
; codeLenInByte = 0
; NumSgprs: 4
; NumVgprs: 0
; NumAgprs: 0
; TotalNumVgprs: 0
; ScratchSize: 0
; MemoryBound: 0
; FloatMode: 240
; IeeeMode: 1
; LDSByteSize: 0 bytes/workgroup (compile time only)
; SGPRBlocks: 0
; VGPRBlocks: 0
; NumSGPRsForWavesPerEU: 4
; NumVGPRsForWavesPerEU: 1
; AccumOffset: 4
; Occupancy: 8
; WaveLimiterHint : 0
; COMPUTE_PGM_RSRC2:SCRATCH_EN: 0
; COMPUTE_PGM_RSRC2:USER_SGPR: 6
; COMPUTE_PGM_RSRC2:TRAP_HANDLER: 0
; COMPUTE_PGM_RSRC2:TGID_X_EN: 1
; COMPUTE_PGM_RSRC2:TGID_Y_EN: 0
; COMPUTE_PGM_RSRC2:TGID_Z_EN: 0
; COMPUTE_PGM_RSRC2:TIDIG_COMP_CNT: 0
; COMPUTE_PGM_RSRC3_GFX90A:ACCUM_OFFSET: 0
; COMPUTE_PGM_RSRC3_GFX90A:TG_SPLIT: 0
	.section	.text._ZN7rocprim17ROCPRIM_400000_NS6detail17trampoline_kernelINS0_14default_configENS1_25partition_config_selectorILNS1_17partition_subalgoE1EsNS0_10empty_typeEbEEZZNS1_14partition_implILS5_1ELb0ES3_jN6thrust23THRUST_200600_302600_NS6detail15normal_iteratorINSA_10device_ptrIsEEEEPS6_NSA_18transform_iteratorI7is_evenIsESF_NSA_11use_defaultESK_EENS0_5tupleIJSF_NSA_16discard_iteratorISK_EEEEENSM_IJSG_SG_EEES6_PlJS6_EEE10hipError_tPvRmT3_T4_T5_T6_T7_T9_mT8_P12ihipStream_tbDpT10_ENKUlT_T0_E_clISt17integral_constantIbLb0EES1A_IbLb1EEEEDaS16_S17_EUlS16_E_NS1_11comp_targetILNS1_3genE2ELNS1_11target_archE906ELNS1_3gpuE6ELNS1_3repE0EEENS1_30default_config_static_selectorELNS0_4arch9wavefront6targetE1EEEvT1_,"axG",@progbits,_ZN7rocprim17ROCPRIM_400000_NS6detail17trampoline_kernelINS0_14default_configENS1_25partition_config_selectorILNS1_17partition_subalgoE1EsNS0_10empty_typeEbEEZZNS1_14partition_implILS5_1ELb0ES3_jN6thrust23THRUST_200600_302600_NS6detail15normal_iteratorINSA_10device_ptrIsEEEEPS6_NSA_18transform_iteratorI7is_evenIsESF_NSA_11use_defaultESK_EENS0_5tupleIJSF_NSA_16discard_iteratorISK_EEEEENSM_IJSG_SG_EEES6_PlJS6_EEE10hipError_tPvRmT3_T4_T5_T6_T7_T9_mT8_P12ihipStream_tbDpT10_ENKUlT_T0_E_clISt17integral_constantIbLb0EES1A_IbLb1EEEEDaS16_S17_EUlS16_E_NS1_11comp_targetILNS1_3genE2ELNS1_11target_archE906ELNS1_3gpuE6ELNS1_3repE0EEENS1_30default_config_static_selectorELNS0_4arch9wavefront6targetE1EEEvT1_,comdat
	.protected	_ZN7rocprim17ROCPRIM_400000_NS6detail17trampoline_kernelINS0_14default_configENS1_25partition_config_selectorILNS1_17partition_subalgoE1EsNS0_10empty_typeEbEEZZNS1_14partition_implILS5_1ELb0ES3_jN6thrust23THRUST_200600_302600_NS6detail15normal_iteratorINSA_10device_ptrIsEEEEPS6_NSA_18transform_iteratorI7is_evenIsESF_NSA_11use_defaultESK_EENS0_5tupleIJSF_NSA_16discard_iteratorISK_EEEEENSM_IJSG_SG_EEES6_PlJS6_EEE10hipError_tPvRmT3_T4_T5_T6_T7_T9_mT8_P12ihipStream_tbDpT10_ENKUlT_T0_E_clISt17integral_constantIbLb0EES1A_IbLb1EEEEDaS16_S17_EUlS16_E_NS1_11comp_targetILNS1_3genE2ELNS1_11target_archE906ELNS1_3gpuE6ELNS1_3repE0EEENS1_30default_config_static_selectorELNS0_4arch9wavefront6targetE1EEEvT1_ ; -- Begin function _ZN7rocprim17ROCPRIM_400000_NS6detail17trampoline_kernelINS0_14default_configENS1_25partition_config_selectorILNS1_17partition_subalgoE1EsNS0_10empty_typeEbEEZZNS1_14partition_implILS5_1ELb0ES3_jN6thrust23THRUST_200600_302600_NS6detail15normal_iteratorINSA_10device_ptrIsEEEEPS6_NSA_18transform_iteratorI7is_evenIsESF_NSA_11use_defaultESK_EENS0_5tupleIJSF_NSA_16discard_iteratorISK_EEEEENSM_IJSG_SG_EEES6_PlJS6_EEE10hipError_tPvRmT3_T4_T5_T6_T7_T9_mT8_P12ihipStream_tbDpT10_ENKUlT_T0_E_clISt17integral_constantIbLb0EES1A_IbLb1EEEEDaS16_S17_EUlS16_E_NS1_11comp_targetILNS1_3genE2ELNS1_11target_archE906ELNS1_3gpuE6ELNS1_3repE0EEENS1_30default_config_static_selectorELNS0_4arch9wavefront6targetE1EEEvT1_
	.globl	_ZN7rocprim17ROCPRIM_400000_NS6detail17trampoline_kernelINS0_14default_configENS1_25partition_config_selectorILNS1_17partition_subalgoE1EsNS0_10empty_typeEbEEZZNS1_14partition_implILS5_1ELb0ES3_jN6thrust23THRUST_200600_302600_NS6detail15normal_iteratorINSA_10device_ptrIsEEEEPS6_NSA_18transform_iteratorI7is_evenIsESF_NSA_11use_defaultESK_EENS0_5tupleIJSF_NSA_16discard_iteratorISK_EEEEENSM_IJSG_SG_EEES6_PlJS6_EEE10hipError_tPvRmT3_T4_T5_T6_T7_T9_mT8_P12ihipStream_tbDpT10_ENKUlT_T0_E_clISt17integral_constantIbLb0EES1A_IbLb1EEEEDaS16_S17_EUlS16_E_NS1_11comp_targetILNS1_3genE2ELNS1_11target_archE906ELNS1_3gpuE6ELNS1_3repE0EEENS1_30default_config_static_selectorELNS0_4arch9wavefront6targetE1EEEvT1_
	.p2align	8
	.type	_ZN7rocprim17ROCPRIM_400000_NS6detail17trampoline_kernelINS0_14default_configENS1_25partition_config_selectorILNS1_17partition_subalgoE1EsNS0_10empty_typeEbEEZZNS1_14partition_implILS5_1ELb0ES3_jN6thrust23THRUST_200600_302600_NS6detail15normal_iteratorINSA_10device_ptrIsEEEEPS6_NSA_18transform_iteratorI7is_evenIsESF_NSA_11use_defaultESK_EENS0_5tupleIJSF_NSA_16discard_iteratorISK_EEEEENSM_IJSG_SG_EEES6_PlJS6_EEE10hipError_tPvRmT3_T4_T5_T6_T7_T9_mT8_P12ihipStream_tbDpT10_ENKUlT_T0_E_clISt17integral_constantIbLb0EES1A_IbLb1EEEEDaS16_S17_EUlS16_E_NS1_11comp_targetILNS1_3genE2ELNS1_11target_archE906ELNS1_3gpuE6ELNS1_3repE0EEENS1_30default_config_static_selectorELNS0_4arch9wavefront6targetE1EEEvT1_,@function
_ZN7rocprim17ROCPRIM_400000_NS6detail17trampoline_kernelINS0_14default_configENS1_25partition_config_selectorILNS1_17partition_subalgoE1EsNS0_10empty_typeEbEEZZNS1_14partition_implILS5_1ELb0ES3_jN6thrust23THRUST_200600_302600_NS6detail15normal_iteratorINSA_10device_ptrIsEEEEPS6_NSA_18transform_iteratorI7is_evenIsESF_NSA_11use_defaultESK_EENS0_5tupleIJSF_NSA_16discard_iteratorISK_EEEEENSM_IJSG_SG_EEES6_PlJS6_EEE10hipError_tPvRmT3_T4_T5_T6_T7_T9_mT8_P12ihipStream_tbDpT10_ENKUlT_T0_E_clISt17integral_constantIbLb0EES1A_IbLb1EEEEDaS16_S17_EUlS16_E_NS1_11comp_targetILNS1_3genE2ELNS1_11target_archE906ELNS1_3gpuE6ELNS1_3repE0EEENS1_30default_config_static_selectorELNS0_4arch9wavefront6targetE1EEEvT1_: ; @_ZN7rocprim17ROCPRIM_400000_NS6detail17trampoline_kernelINS0_14default_configENS1_25partition_config_selectorILNS1_17partition_subalgoE1EsNS0_10empty_typeEbEEZZNS1_14partition_implILS5_1ELb0ES3_jN6thrust23THRUST_200600_302600_NS6detail15normal_iteratorINSA_10device_ptrIsEEEEPS6_NSA_18transform_iteratorI7is_evenIsESF_NSA_11use_defaultESK_EENS0_5tupleIJSF_NSA_16discard_iteratorISK_EEEEENSM_IJSG_SG_EEES6_PlJS6_EEE10hipError_tPvRmT3_T4_T5_T6_T7_T9_mT8_P12ihipStream_tbDpT10_ENKUlT_T0_E_clISt17integral_constantIbLb0EES1A_IbLb1EEEEDaS16_S17_EUlS16_E_NS1_11comp_targetILNS1_3genE2ELNS1_11target_archE906ELNS1_3gpuE6ELNS1_3repE0EEENS1_30default_config_static_selectorELNS0_4arch9wavefront6targetE1EEEvT1_
; %bb.0:
	.section	.rodata,"a",@progbits
	.p2align	6, 0x0
	.amdhsa_kernel _ZN7rocprim17ROCPRIM_400000_NS6detail17trampoline_kernelINS0_14default_configENS1_25partition_config_selectorILNS1_17partition_subalgoE1EsNS0_10empty_typeEbEEZZNS1_14partition_implILS5_1ELb0ES3_jN6thrust23THRUST_200600_302600_NS6detail15normal_iteratorINSA_10device_ptrIsEEEEPS6_NSA_18transform_iteratorI7is_evenIsESF_NSA_11use_defaultESK_EENS0_5tupleIJSF_NSA_16discard_iteratorISK_EEEEENSM_IJSG_SG_EEES6_PlJS6_EEE10hipError_tPvRmT3_T4_T5_T6_T7_T9_mT8_P12ihipStream_tbDpT10_ENKUlT_T0_E_clISt17integral_constantIbLb0EES1A_IbLb1EEEEDaS16_S17_EUlS16_E_NS1_11comp_targetILNS1_3genE2ELNS1_11target_archE906ELNS1_3gpuE6ELNS1_3repE0EEENS1_30default_config_static_selectorELNS0_4arch9wavefront6targetE1EEEvT1_
		.amdhsa_group_segment_fixed_size 0
		.amdhsa_private_segment_fixed_size 0
		.amdhsa_kernarg_size 152
		.amdhsa_user_sgpr_count 6
		.amdhsa_user_sgpr_private_segment_buffer 1
		.amdhsa_user_sgpr_dispatch_ptr 0
		.amdhsa_user_sgpr_queue_ptr 0
		.amdhsa_user_sgpr_kernarg_segment_ptr 1
		.amdhsa_user_sgpr_dispatch_id 0
		.amdhsa_user_sgpr_flat_scratch_init 0
		.amdhsa_user_sgpr_kernarg_preload_length 0
		.amdhsa_user_sgpr_kernarg_preload_offset 0
		.amdhsa_user_sgpr_private_segment_size 0
		.amdhsa_uses_dynamic_stack 0
		.amdhsa_system_sgpr_private_segment_wavefront_offset 0
		.amdhsa_system_sgpr_workgroup_id_x 1
		.amdhsa_system_sgpr_workgroup_id_y 0
		.amdhsa_system_sgpr_workgroup_id_z 0
		.amdhsa_system_sgpr_workgroup_info 0
		.amdhsa_system_vgpr_workitem_id 0
		.amdhsa_next_free_vgpr 1
		.amdhsa_next_free_sgpr 0
		.amdhsa_accum_offset 4
		.amdhsa_reserve_vcc 0
		.amdhsa_reserve_flat_scratch 0
		.amdhsa_float_round_mode_32 0
		.amdhsa_float_round_mode_16_64 0
		.amdhsa_float_denorm_mode_32 3
		.amdhsa_float_denorm_mode_16_64 3
		.amdhsa_dx10_clamp 1
		.amdhsa_ieee_mode 1
		.amdhsa_fp16_overflow 0
		.amdhsa_tg_split 0
		.amdhsa_exception_fp_ieee_invalid_op 0
		.amdhsa_exception_fp_denorm_src 0
		.amdhsa_exception_fp_ieee_div_zero 0
		.amdhsa_exception_fp_ieee_overflow 0
		.amdhsa_exception_fp_ieee_underflow 0
		.amdhsa_exception_fp_ieee_inexact 0
		.amdhsa_exception_int_div_zero 0
	.end_amdhsa_kernel
	.section	.text._ZN7rocprim17ROCPRIM_400000_NS6detail17trampoline_kernelINS0_14default_configENS1_25partition_config_selectorILNS1_17partition_subalgoE1EsNS0_10empty_typeEbEEZZNS1_14partition_implILS5_1ELb0ES3_jN6thrust23THRUST_200600_302600_NS6detail15normal_iteratorINSA_10device_ptrIsEEEEPS6_NSA_18transform_iteratorI7is_evenIsESF_NSA_11use_defaultESK_EENS0_5tupleIJSF_NSA_16discard_iteratorISK_EEEEENSM_IJSG_SG_EEES6_PlJS6_EEE10hipError_tPvRmT3_T4_T5_T6_T7_T9_mT8_P12ihipStream_tbDpT10_ENKUlT_T0_E_clISt17integral_constantIbLb0EES1A_IbLb1EEEEDaS16_S17_EUlS16_E_NS1_11comp_targetILNS1_3genE2ELNS1_11target_archE906ELNS1_3gpuE6ELNS1_3repE0EEENS1_30default_config_static_selectorELNS0_4arch9wavefront6targetE1EEEvT1_,"axG",@progbits,_ZN7rocprim17ROCPRIM_400000_NS6detail17trampoline_kernelINS0_14default_configENS1_25partition_config_selectorILNS1_17partition_subalgoE1EsNS0_10empty_typeEbEEZZNS1_14partition_implILS5_1ELb0ES3_jN6thrust23THRUST_200600_302600_NS6detail15normal_iteratorINSA_10device_ptrIsEEEEPS6_NSA_18transform_iteratorI7is_evenIsESF_NSA_11use_defaultESK_EENS0_5tupleIJSF_NSA_16discard_iteratorISK_EEEEENSM_IJSG_SG_EEES6_PlJS6_EEE10hipError_tPvRmT3_T4_T5_T6_T7_T9_mT8_P12ihipStream_tbDpT10_ENKUlT_T0_E_clISt17integral_constantIbLb0EES1A_IbLb1EEEEDaS16_S17_EUlS16_E_NS1_11comp_targetILNS1_3genE2ELNS1_11target_archE906ELNS1_3gpuE6ELNS1_3repE0EEENS1_30default_config_static_selectorELNS0_4arch9wavefront6targetE1EEEvT1_,comdat
.Lfunc_end3415:
	.size	_ZN7rocprim17ROCPRIM_400000_NS6detail17trampoline_kernelINS0_14default_configENS1_25partition_config_selectorILNS1_17partition_subalgoE1EsNS0_10empty_typeEbEEZZNS1_14partition_implILS5_1ELb0ES3_jN6thrust23THRUST_200600_302600_NS6detail15normal_iteratorINSA_10device_ptrIsEEEEPS6_NSA_18transform_iteratorI7is_evenIsESF_NSA_11use_defaultESK_EENS0_5tupleIJSF_NSA_16discard_iteratorISK_EEEEENSM_IJSG_SG_EEES6_PlJS6_EEE10hipError_tPvRmT3_T4_T5_T6_T7_T9_mT8_P12ihipStream_tbDpT10_ENKUlT_T0_E_clISt17integral_constantIbLb0EES1A_IbLb1EEEEDaS16_S17_EUlS16_E_NS1_11comp_targetILNS1_3genE2ELNS1_11target_archE906ELNS1_3gpuE6ELNS1_3repE0EEENS1_30default_config_static_selectorELNS0_4arch9wavefront6targetE1EEEvT1_, .Lfunc_end3415-_ZN7rocprim17ROCPRIM_400000_NS6detail17trampoline_kernelINS0_14default_configENS1_25partition_config_selectorILNS1_17partition_subalgoE1EsNS0_10empty_typeEbEEZZNS1_14partition_implILS5_1ELb0ES3_jN6thrust23THRUST_200600_302600_NS6detail15normal_iteratorINSA_10device_ptrIsEEEEPS6_NSA_18transform_iteratorI7is_evenIsESF_NSA_11use_defaultESK_EENS0_5tupleIJSF_NSA_16discard_iteratorISK_EEEEENSM_IJSG_SG_EEES6_PlJS6_EEE10hipError_tPvRmT3_T4_T5_T6_T7_T9_mT8_P12ihipStream_tbDpT10_ENKUlT_T0_E_clISt17integral_constantIbLb0EES1A_IbLb1EEEEDaS16_S17_EUlS16_E_NS1_11comp_targetILNS1_3genE2ELNS1_11target_archE906ELNS1_3gpuE6ELNS1_3repE0EEENS1_30default_config_static_selectorELNS0_4arch9wavefront6targetE1EEEvT1_
                                        ; -- End function
	.section	.AMDGPU.csdata,"",@progbits
; Kernel info:
; codeLenInByte = 0
; NumSgprs: 4
; NumVgprs: 0
; NumAgprs: 0
; TotalNumVgprs: 0
; ScratchSize: 0
; MemoryBound: 0
; FloatMode: 240
; IeeeMode: 1
; LDSByteSize: 0 bytes/workgroup (compile time only)
; SGPRBlocks: 0
; VGPRBlocks: 0
; NumSGPRsForWavesPerEU: 4
; NumVGPRsForWavesPerEU: 1
; AccumOffset: 4
; Occupancy: 8
; WaveLimiterHint : 0
; COMPUTE_PGM_RSRC2:SCRATCH_EN: 0
; COMPUTE_PGM_RSRC2:USER_SGPR: 6
; COMPUTE_PGM_RSRC2:TRAP_HANDLER: 0
; COMPUTE_PGM_RSRC2:TGID_X_EN: 1
; COMPUTE_PGM_RSRC2:TGID_Y_EN: 0
; COMPUTE_PGM_RSRC2:TGID_Z_EN: 0
; COMPUTE_PGM_RSRC2:TIDIG_COMP_CNT: 0
; COMPUTE_PGM_RSRC3_GFX90A:ACCUM_OFFSET: 0
; COMPUTE_PGM_RSRC3_GFX90A:TG_SPLIT: 0
	.section	.text._ZN7rocprim17ROCPRIM_400000_NS6detail17trampoline_kernelINS0_14default_configENS1_25partition_config_selectorILNS1_17partition_subalgoE1EsNS0_10empty_typeEbEEZZNS1_14partition_implILS5_1ELb0ES3_jN6thrust23THRUST_200600_302600_NS6detail15normal_iteratorINSA_10device_ptrIsEEEEPS6_NSA_18transform_iteratorI7is_evenIsESF_NSA_11use_defaultESK_EENS0_5tupleIJSF_NSA_16discard_iteratorISK_EEEEENSM_IJSG_SG_EEES6_PlJS6_EEE10hipError_tPvRmT3_T4_T5_T6_T7_T9_mT8_P12ihipStream_tbDpT10_ENKUlT_T0_E_clISt17integral_constantIbLb0EES1A_IbLb1EEEEDaS16_S17_EUlS16_E_NS1_11comp_targetILNS1_3genE10ELNS1_11target_archE1200ELNS1_3gpuE4ELNS1_3repE0EEENS1_30default_config_static_selectorELNS0_4arch9wavefront6targetE1EEEvT1_,"axG",@progbits,_ZN7rocprim17ROCPRIM_400000_NS6detail17trampoline_kernelINS0_14default_configENS1_25partition_config_selectorILNS1_17partition_subalgoE1EsNS0_10empty_typeEbEEZZNS1_14partition_implILS5_1ELb0ES3_jN6thrust23THRUST_200600_302600_NS6detail15normal_iteratorINSA_10device_ptrIsEEEEPS6_NSA_18transform_iteratorI7is_evenIsESF_NSA_11use_defaultESK_EENS0_5tupleIJSF_NSA_16discard_iteratorISK_EEEEENSM_IJSG_SG_EEES6_PlJS6_EEE10hipError_tPvRmT3_T4_T5_T6_T7_T9_mT8_P12ihipStream_tbDpT10_ENKUlT_T0_E_clISt17integral_constantIbLb0EES1A_IbLb1EEEEDaS16_S17_EUlS16_E_NS1_11comp_targetILNS1_3genE10ELNS1_11target_archE1200ELNS1_3gpuE4ELNS1_3repE0EEENS1_30default_config_static_selectorELNS0_4arch9wavefront6targetE1EEEvT1_,comdat
	.protected	_ZN7rocprim17ROCPRIM_400000_NS6detail17trampoline_kernelINS0_14default_configENS1_25partition_config_selectorILNS1_17partition_subalgoE1EsNS0_10empty_typeEbEEZZNS1_14partition_implILS5_1ELb0ES3_jN6thrust23THRUST_200600_302600_NS6detail15normal_iteratorINSA_10device_ptrIsEEEEPS6_NSA_18transform_iteratorI7is_evenIsESF_NSA_11use_defaultESK_EENS0_5tupleIJSF_NSA_16discard_iteratorISK_EEEEENSM_IJSG_SG_EEES6_PlJS6_EEE10hipError_tPvRmT3_T4_T5_T6_T7_T9_mT8_P12ihipStream_tbDpT10_ENKUlT_T0_E_clISt17integral_constantIbLb0EES1A_IbLb1EEEEDaS16_S17_EUlS16_E_NS1_11comp_targetILNS1_3genE10ELNS1_11target_archE1200ELNS1_3gpuE4ELNS1_3repE0EEENS1_30default_config_static_selectorELNS0_4arch9wavefront6targetE1EEEvT1_ ; -- Begin function _ZN7rocprim17ROCPRIM_400000_NS6detail17trampoline_kernelINS0_14default_configENS1_25partition_config_selectorILNS1_17partition_subalgoE1EsNS0_10empty_typeEbEEZZNS1_14partition_implILS5_1ELb0ES3_jN6thrust23THRUST_200600_302600_NS6detail15normal_iteratorINSA_10device_ptrIsEEEEPS6_NSA_18transform_iteratorI7is_evenIsESF_NSA_11use_defaultESK_EENS0_5tupleIJSF_NSA_16discard_iteratorISK_EEEEENSM_IJSG_SG_EEES6_PlJS6_EEE10hipError_tPvRmT3_T4_T5_T6_T7_T9_mT8_P12ihipStream_tbDpT10_ENKUlT_T0_E_clISt17integral_constantIbLb0EES1A_IbLb1EEEEDaS16_S17_EUlS16_E_NS1_11comp_targetILNS1_3genE10ELNS1_11target_archE1200ELNS1_3gpuE4ELNS1_3repE0EEENS1_30default_config_static_selectorELNS0_4arch9wavefront6targetE1EEEvT1_
	.globl	_ZN7rocprim17ROCPRIM_400000_NS6detail17trampoline_kernelINS0_14default_configENS1_25partition_config_selectorILNS1_17partition_subalgoE1EsNS0_10empty_typeEbEEZZNS1_14partition_implILS5_1ELb0ES3_jN6thrust23THRUST_200600_302600_NS6detail15normal_iteratorINSA_10device_ptrIsEEEEPS6_NSA_18transform_iteratorI7is_evenIsESF_NSA_11use_defaultESK_EENS0_5tupleIJSF_NSA_16discard_iteratorISK_EEEEENSM_IJSG_SG_EEES6_PlJS6_EEE10hipError_tPvRmT3_T4_T5_T6_T7_T9_mT8_P12ihipStream_tbDpT10_ENKUlT_T0_E_clISt17integral_constantIbLb0EES1A_IbLb1EEEEDaS16_S17_EUlS16_E_NS1_11comp_targetILNS1_3genE10ELNS1_11target_archE1200ELNS1_3gpuE4ELNS1_3repE0EEENS1_30default_config_static_selectorELNS0_4arch9wavefront6targetE1EEEvT1_
	.p2align	8
	.type	_ZN7rocprim17ROCPRIM_400000_NS6detail17trampoline_kernelINS0_14default_configENS1_25partition_config_selectorILNS1_17partition_subalgoE1EsNS0_10empty_typeEbEEZZNS1_14partition_implILS5_1ELb0ES3_jN6thrust23THRUST_200600_302600_NS6detail15normal_iteratorINSA_10device_ptrIsEEEEPS6_NSA_18transform_iteratorI7is_evenIsESF_NSA_11use_defaultESK_EENS0_5tupleIJSF_NSA_16discard_iteratorISK_EEEEENSM_IJSG_SG_EEES6_PlJS6_EEE10hipError_tPvRmT3_T4_T5_T6_T7_T9_mT8_P12ihipStream_tbDpT10_ENKUlT_T0_E_clISt17integral_constantIbLb0EES1A_IbLb1EEEEDaS16_S17_EUlS16_E_NS1_11comp_targetILNS1_3genE10ELNS1_11target_archE1200ELNS1_3gpuE4ELNS1_3repE0EEENS1_30default_config_static_selectorELNS0_4arch9wavefront6targetE1EEEvT1_,@function
_ZN7rocprim17ROCPRIM_400000_NS6detail17trampoline_kernelINS0_14default_configENS1_25partition_config_selectorILNS1_17partition_subalgoE1EsNS0_10empty_typeEbEEZZNS1_14partition_implILS5_1ELb0ES3_jN6thrust23THRUST_200600_302600_NS6detail15normal_iteratorINSA_10device_ptrIsEEEEPS6_NSA_18transform_iteratorI7is_evenIsESF_NSA_11use_defaultESK_EENS0_5tupleIJSF_NSA_16discard_iteratorISK_EEEEENSM_IJSG_SG_EEES6_PlJS6_EEE10hipError_tPvRmT3_T4_T5_T6_T7_T9_mT8_P12ihipStream_tbDpT10_ENKUlT_T0_E_clISt17integral_constantIbLb0EES1A_IbLb1EEEEDaS16_S17_EUlS16_E_NS1_11comp_targetILNS1_3genE10ELNS1_11target_archE1200ELNS1_3gpuE4ELNS1_3repE0EEENS1_30default_config_static_selectorELNS0_4arch9wavefront6targetE1EEEvT1_: ; @_ZN7rocprim17ROCPRIM_400000_NS6detail17trampoline_kernelINS0_14default_configENS1_25partition_config_selectorILNS1_17partition_subalgoE1EsNS0_10empty_typeEbEEZZNS1_14partition_implILS5_1ELb0ES3_jN6thrust23THRUST_200600_302600_NS6detail15normal_iteratorINSA_10device_ptrIsEEEEPS6_NSA_18transform_iteratorI7is_evenIsESF_NSA_11use_defaultESK_EENS0_5tupleIJSF_NSA_16discard_iteratorISK_EEEEENSM_IJSG_SG_EEES6_PlJS6_EEE10hipError_tPvRmT3_T4_T5_T6_T7_T9_mT8_P12ihipStream_tbDpT10_ENKUlT_T0_E_clISt17integral_constantIbLb0EES1A_IbLb1EEEEDaS16_S17_EUlS16_E_NS1_11comp_targetILNS1_3genE10ELNS1_11target_archE1200ELNS1_3gpuE4ELNS1_3repE0EEENS1_30default_config_static_selectorELNS0_4arch9wavefront6targetE1EEEvT1_
; %bb.0:
	.section	.rodata,"a",@progbits
	.p2align	6, 0x0
	.amdhsa_kernel _ZN7rocprim17ROCPRIM_400000_NS6detail17trampoline_kernelINS0_14default_configENS1_25partition_config_selectorILNS1_17partition_subalgoE1EsNS0_10empty_typeEbEEZZNS1_14partition_implILS5_1ELb0ES3_jN6thrust23THRUST_200600_302600_NS6detail15normal_iteratorINSA_10device_ptrIsEEEEPS6_NSA_18transform_iteratorI7is_evenIsESF_NSA_11use_defaultESK_EENS0_5tupleIJSF_NSA_16discard_iteratorISK_EEEEENSM_IJSG_SG_EEES6_PlJS6_EEE10hipError_tPvRmT3_T4_T5_T6_T7_T9_mT8_P12ihipStream_tbDpT10_ENKUlT_T0_E_clISt17integral_constantIbLb0EES1A_IbLb1EEEEDaS16_S17_EUlS16_E_NS1_11comp_targetILNS1_3genE10ELNS1_11target_archE1200ELNS1_3gpuE4ELNS1_3repE0EEENS1_30default_config_static_selectorELNS0_4arch9wavefront6targetE1EEEvT1_
		.amdhsa_group_segment_fixed_size 0
		.amdhsa_private_segment_fixed_size 0
		.amdhsa_kernarg_size 152
		.amdhsa_user_sgpr_count 6
		.amdhsa_user_sgpr_private_segment_buffer 1
		.amdhsa_user_sgpr_dispatch_ptr 0
		.amdhsa_user_sgpr_queue_ptr 0
		.amdhsa_user_sgpr_kernarg_segment_ptr 1
		.amdhsa_user_sgpr_dispatch_id 0
		.amdhsa_user_sgpr_flat_scratch_init 0
		.amdhsa_user_sgpr_kernarg_preload_length 0
		.amdhsa_user_sgpr_kernarg_preload_offset 0
		.amdhsa_user_sgpr_private_segment_size 0
		.amdhsa_uses_dynamic_stack 0
		.amdhsa_system_sgpr_private_segment_wavefront_offset 0
		.amdhsa_system_sgpr_workgroup_id_x 1
		.amdhsa_system_sgpr_workgroup_id_y 0
		.amdhsa_system_sgpr_workgroup_id_z 0
		.amdhsa_system_sgpr_workgroup_info 0
		.amdhsa_system_vgpr_workitem_id 0
		.amdhsa_next_free_vgpr 1
		.amdhsa_next_free_sgpr 0
		.amdhsa_accum_offset 4
		.amdhsa_reserve_vcc 0
		.amdhsa_reserve_flat_scratch 0
		.amdhsa_float_round_mode_32 0
		.amdhsa_float_round_mode_16_64 0
		.amdhsa_float_denorm_mode_32 3
		.amdhsa_float_denorm_mode_16_64 3
		.amdhsa_dx10_clamp 1
		.amdhsa_ieee_mode 1
		.amdhsa_fp16_overflow 0
		.amdhsa_tg_split 0
		.amdhsa_exception_fp_ieee_invalid_op 0
		.amdhsa_exception_fp_denorm_src 0
		.amdhsa_exception_fp_ieee_div_zero 0
		.amdhsa_exception_fp_ieee_overflow 0
		.amdhsa_exception_fp_ieee_underflow 0
		.amdhsa_exception_fp_ieee_inexact 0
		.amdhsa_exception_int_div_zero 0
	.end_amdhsa_kernel
	.section	.text._ZN7rocprim17ROCPRIM_400000_NS6detail17trampoline_kernelINS0_14default_configENS1_25partition_config_selectorILNS1_17partition_subalgoE1EsNS0_10empty_typeEbEEZZNS1_14partition_implILS5_1ELb0ES3_jN6thrust23THRUST_200600_302600_NS6detail15normal_iteratorINSA_10device_ptrIsEEEEPS6_NSA_18transform_iteratorI7is_evenIsESF_NSA_11use_defaultESK_EENS0_5tupleIJSF_NSA_16discard_iteratorISK_EEEEENSM_IJSG_SG_EEES6_PlJS6_EEE10hipError_tPvRmT3_T4_T5_T6_T7_T9_mT8_P12ihipStream_tbDpT10_ENKUlT_T0_E_clISt17integral_constantIbLb0EES1A_IbLb1EEEEDaS16_S17_EUlS16_E_NS1_11comp_targetILNS1_3genE10ELNS1_11target_archE1200ELNS1_3gpuE4ELNS1_3repE0EEENS1_30default_config_static_selectorELNS0_4arch9wavefront6targetE1EEEvT1_,"axG",@progbits,_ZN7rocprim17ROCPRIM_400000_NS6detail17trampoline_kernelINS0_14default_configENS1_25partition_config_selectorILNS1_17partition_subalgoE1EsNS0_10empty_typeEbEEZZNS1_14partition_implILS5_1ELb0ES3_jN6thrust23THRUST_200600_302600_NS6detail15normal_iteratorINSA_10device_ptrIsEEEEPS6_NSA_18transform_iteratorI7is_evenIsESF_NSA_11use_defaultESK_EENS0_5tupleIJSF_NSA_16discard_iteratorISK_EEEEENSM_IJSG_SG_EEES6_PlJS6_EEE10hipError_tPvRmT3_T4_T5_T6_T7_T9_mT8_P12ihipStream_tbDpT10_ENKUlT_T0_E_clISt17integral_constantIbLb0EES1A_IbLb1EEEEDaS16_S17_EUlS16_E_NS1_11comp_targetILNS1_3genE10ELNS1_11target_archE1200ELNS1_3gpuE4ELNS1_3repE0EEENS1_30default_config_static_selectorELNS0_4arch9wavefront6targetE1EEEvT1_,comdat
.Lfunc_end3416:
	.size	_ZN7rocprim17ROCPRIM_400000_NS6detail17trampoline_kernelINS0_14default_configENS1_25partition_config_selectorILNS1_17partition_subalgoE1EsNS0_10empty_typeEbEEZZNS1_14partition_implILS5_1ELb0ES3_jN6thrust23THRUST_200600_302600_NS6detail15normal_iteratorINSA_10device_ptrIsEEEEPS6_NSA_18transform_iteratorI7is_evenIsESF_NSA_11use_defaultESK_EENS0_5tupleIJSF_NSA_16discard_iteratorISK_EEEEENSM_IJSG_SG_EEES6_PlJS6_EEE10hipError_tPvRmT3_T4_T5_T6_T7_T9_mT8_P12ihipStream_tbDpT10_ENKUlT_T0_E_clISt17integral_constantIbLb0EES1A_IbLb1EEEEDaS16_S17_EUlS16_E_NS1_11comp_targetILNS1_3genE10ELNS1_11target_archE1200ELNS1_3gpuE4ELNS1_3repE0EEENS1_30default_config_static_selectorELNS0_4arch9wavefront6targetE1EEEvT1_, .Lfunc_end3416-_ZN7rocprim17ROCPRIM_400000_NS6detail17trampoline_kernelINS0_14default_configENS1_25partition_config_selectorILNS1_17partition_subalgoE1EsNS0_10empty_typeEbEEZZNS1_14partition_implILS5_1ELb0ES3_jN6thrust23THRUST_200600_302600_NS6detail15normal_iteratorINSA_10device_ptrIsEEEEPS6_NSA_18transform_iteratorI7is_evenIsESF_NSA_11use_defaultESK_EENS0_5tupleIJSF_NSA_16discard_iteratorISK_EEEEENSM_IJSG_SG_EEES6_PlJS6_EEE10hipError_tPvRmT3_T4_T5_T6_T7_T9_mT8_P12ihipStream_tbDpT10_ENKUlT_T0_E_clISt17integral_constantIbLb0EES1A_IbLb1EEEEDaS16_S17_EUlS16_E_NS1_11comp_targetILNS1_3genE10ELNS1_11target_archE1200ELNS1_3gpuE4ELNS1_3repE0EEENS1_30default_config_static_selectorELNS0_4arch9wavefront6targetE1EEEvT1_
                                        ; -- End function
	.section	.AMDGPU.csdata,"",@progbits
; Kernel info:
; codeLenInByte = 0
; NumSgprs: 4
; NumVgprs: 0
; NumAgprs: 0
; TotalNumVgprs: 0
; ScratchSize: 0
; MemoryBound: 0
; FloatMode: 240
; IeeeMode: 1
; LDSByteSize: 0 bytes/workgroup (compile time only)
; SGPRBlocks: 0
; VGPRBlocks: 0
; NumSGPRsForWavesPerEU: 4
; NumVGPRsForWavesPerEU: 1
; AccumOffset: 4
; Occupancy: 8
; WaveLimiterHint : 0
; COMPUTE_PGM_RSRC2:SCRATCH_EN: 0
; COMPUTE_PGM_RSRC2:USER_SGPR: 6
; COMPUTE_PGM_RSRC2:TRAP_HANDLER: 0
; COMPUTE_PGM_RSRC2:TGID_X_EN: 1
; COMPUTE_PGM_RSRC2:TGID_Y_EN: 0
; COMPUTE_PGM_RSRC2:TGID_Z_EN: 0
; COMPUTE_PGM_RSRC2:TIDIG_COMP_CNT: 0
; COMPUTE_PGM_RSRC3_GFX90A:ACCUM_OFFSET: 0
; COMPUTE_PGM_RSRC3_GFX90A:TG_SPLIT: 0
	.section	.text._ZN7rocprim17ROCPRIM_400000_NS6detail17trampoline_kernelINS0_14default_configENS1_25partition_config_selectorILNS1_17partition_subalgoE1EsNS0_10empty_typeEbEEZZNS1_14partition_implILS5_1ELb0ES3_jN6thrust23THRUST_200600_302600_NS6detail15normal_iteratorINSA_10device_ptrIsEEEEPS6_NSA_18transform_iteratorI7is_evenIsESF_NSA_11use_defaultESK_EENS0_5tupleIJSF_NSA_16discard_iteratorISK_EEEEENSM_IJSG_SG_EEES6_PlJS6_EEE10hipError_tPvRmT3_T4_T5_T6_T7_T9_mT8_P12ihipStream_tbDpT10_ENKUlT_T0_E_clISt17integral_constantIbLb0EES1A_IbLb1EEEEDaS16_S17_EUlS16_E_NS1_11comp_targetILNS1_3genE9ELNS1_11target_archE1100ELNS1_3gpuE3ELNS1_3repE0EEENS1_30default_config_static_selectorELNS0_4arch9wavefront6targetE1EEEvT1_,"axG",@progbits,_ZN7rocprim17ROCPRIM_400000_NS6detail17trampoline_kernelINS0_14default_configENS1_25partition_config_selectorILNS1_17partition_subalgoE1EsNS0_10empty_typeEbEEZZNS1_14partition_implILS5_1ELb0ES3_jN6thrust23THRUST_200600_302600_NS6detail15normal_iteratorINSA_10device_ptrIsEEEEPS6_NSA_18transform_iteratorI7is_evenIsESF_NSA_11use_defaultESK_EENS0_5tupleIJSF_NSA_16discard_iteratorISK_EEEEENSM_IJSG_SG_EEES6_PlJS6_EEE10hipError_tPvRmT3_T4_T5_T6_T7_T9_mT8_P12ihipStream_tbDpT10_ENKUlT_T0_E_clISt17integral_constantIbLb0EES1A_IbLb1EEEEDaS16_S17_EUlS16_E_NS1_11comp_targetILNS1_3genE9ELNS1_11target_archE1100ELNS1_3gpuE3ELNS1_3repE0EEENS1_30default_config_static_selectorELNS0_4arch9wavefront6targetE1EEEvT1_,comdat
	.protected	_ZN7rocprim17ROCPRIM_400000_NS6detail17trampoline_kernelINS0_14default_configENS1_25partition_config_selectorILNS1_17partition_subalgoE1EsNS0_10empty_typeEbEEZZNS1_14partition_implILS5_1ELb0ES3_jN6thrust23THRUST_200600_302600_NS6detail15normal_iteratorINSA_10device_ptrIsEEEEPS6_NSA_18transform_iteratorI7is_evenIsESF_NSA_11use_defaultESK_EENS0_5tupleIJSF_NSA_16discard_iteratorISK_EEEEENSM_IJSG_SG_EEES6_PlJS6_EEE10hipError_tPvRmT3_T4_T5_T6_T7_T9_mT8_P12ihipStream_tbDpT10_ENKUlT_T0_E_clISt17integral_constantIbLb0EES1A_IbLb1EEEEDaS16_S17_EUlS16_E_NS1_11comp_targetILNS1_3genE9ELNS1_11target_archE1100ELNS1_3gpuE3ELNS1_3repE0EEENS1_30default_config_static_selectorELNS0_4arch9wavefront6targetE1EEEvT1_ ; -- Begin function _ZN7rocprim17ROCPRIM_400000_NS6detail17trampoline_kernelINS0_14default_configENS1_25partition_config_selectorILNS1_17partition_subalgoE1EsNS0_10empty_typeEbEEZZNS1_14partition_implILS5_1ELb0ES3_jN6thrust23THRUST_200600_302600_NS6detail15normal_iteratorINSA_10device_ptrIsEEEEPS6_NSA_18transform_iteratorI7is_evenIsESF_NSA_11use_defaultESK_EENS0_5tupleIJSF_NSA_16discard_iteratorISK_EEEEENSM_IJSG_SG_EEES6_PlJS6_EEE10hipError_tPvRmT3_T4_T5_T6_T7_T9_mT8_P12ihipStream_tbDpT10_ENKUlT_T0_E_clISt17integral_constantIbLb0EES1A_IbLb1EEEEDaS16_S17_EUlS16_E_NS1_11comp_targetILNS1_3genE9ELNS1_11target_archE1100ELNS1_3gpuE3ELNS1_3repE0EEENS1_30default_config_static_selectorELNS0_4arch9wavefront6targetE1EEEvT1_
	.globl	_ZN7rocprim17ROCPRIM_400000_NS6detail17trampoline_kernelINS0_14default_configENS1_25partition_config_selectorILNS1_17partition_subalgoE1EsNS0_10empty_typeEbEEZZNS1_14partition_implILS5_1ELb0ES3_jN6thrust23THRUST_200600_302600_NS6detail15normal_iteratorINSA_10device_ptrIsEEEEPS6_NSA_18transform_iteratorI7is_evenIsESF_NSA_11use_defaultESK_EENS0_5tupleIJSF_NSA_16discard_iteratorISK_EEEEENSM_IJSG_SG_EEES6_PlJS6_EEE10hipError_tPvRmT3_T4_T5_T6_T7_T9_mT8_P12ihipStream_tbDpT10_ENKUlT_T0_E_clISt17integral_constantIbLb0EES1A_IbLb1EEEEDaS16_S17_EUlS16_E_NS1_11comp_targetILNS1_3genE9ELNS1_11target_archE1100ELNS1_3gpuE3ELNS1_3repE0EEENS1_30default_config_static_selectorELNS0_4arch9wavefront6targetE1EEEvT1_
	.p2align	8
	.type	_ZN7rocprim17ROCPRIM_400000_NS6detail17trampoline_kernelINS0_14default_configENS1_25partition_config_selectorILNS1_17partition_subalgoE1EsNS0_10empty_typeEbEEZZNS1_14partition_implILS5_1ELb0ES3_jN6thrust23THRUST_200600_302600_NS6detail15normal_iteratorINSA_10device_ptrIsEEEEPS6_NSA_18transform_iteratorI7is_evenIsESF_NSA_11use_defaultESK_EENS0_5tupleIJSF_NSA_16discard_iteratorISK_EEEEENSM_IJSG_SG_EEES6_PlJS6_EEE10hipError_tPvRmT3_T4_T5_T6_T7_T9_mT8_P12ihipStream_tbDpT10_ENKUlT_T0_E_clISt17integral_constantIbLb0EES1A_IbLb1EEEEDaS16_S17_EUlS16_E_NS1_11comp_targetILNS1_3genE9ELNS1_11target_archE1100ELNS1_3gpuE3ELNS1_3repE0EEENS1_30default_config_static_selectorELNS0_4arch9wavefront6targetE1EEEvT1_,@function
_ZN7rocprim17ROCPRIM_400000_NS6detail17trampoline_kernelINS0_14default_configENS1_25partition_config_selectorILNS1_17partition_subalgoE1EsNS0_10empty_typeEbEEZZNS1_14partition_implILS5_1ELb0ES3_jN6thrust23THRUST_200600_302600_NS6detail15normal_iteratorINSA_10device_ptrIsEEEEPS6_NSA_18transform_iteratorI7is_evenIsESF_NSA_11use_defaultESK_EENS0_5tupleIJSF_NSA_16discard_iteratorISK_EEEEENSM_IJSG_SG_EEES6_PlJS6_EEE10hipError_tPvRmT3_T4_T5_T6_T7_T9_mT8_P12ihipStream_tbDpT10_ENKUlT_T0_E_clISt17integral_constantIbLb0EES1A_IbLb1EEEEDaS16_S17_EUlS16_E_NS1_11comp_targetILNS1_3genE9ELNS1_11target_archE1100ELNS1_3gpuE3ELNS1_3repE0EEENS1_30default_config_static_selectorELNS0_4arch9wavefront6targetE1EEEvT1_: ; @_ZN7rocprim17ROCPRIM_400000_NS6detail17trampoline_kernelINS0_14default_configENS1_25partition_config_selectorILNS1_17partition_subalgoE1EsNS0_10empty_typeEbEEZZNS1_14partition_implILS5_1ELb0ES3_jN6thrust23THRUST_200600_302600_NS6detail15normal_iteratorINSA_10device_ptrIsEEEEPS6_NSA_18transform_iteratorI7is_evenIsESF_NSA_11use_defaultESK_EENS0_5tupleIJSF_NSA_16discard_iteratorISK_EEEEENSM_IJSG_SG_EEES6_PlJS6_EEE10hipError_tPvRmT3_T4_T5_T6_T7_T9_mT8_P12ihipStream_tbDpT10_ENKUlT_T0_E_clISt17integral_constantIbLb0EES1A_IbLb1EEEEDaS16_S17_EUlS16_E_NS1_11comp_targetILNS1_3genE9ELNS1_11target_archE1100ELNS1_3gpuE3ELNS1_3repE0EEENS1_30default_config_static_selectorELNS0_4arch9wavefront6targetE1EEEvT1_
; %bb.0:
	.section	.rodata,"a",@progbits
	.p2align	6, 0x0
	.amdhsa_kernel _ZN7rocprim17ROCPRIM_400000_NS6detail17trampoline_kernelINS0_14default_configENS1_25partition_config_selectorILNS1_17partition_subalgoE1EsNS0_10empty_typeEbEEZZNS1_14partition_implILS5_1ELb0ES3_jN6thrust23THRUST_200600_302600_NS6detail15normal_iteratorINSA_10device_ptrIsEEEEPS6_NSA_18transform_iteratorI7is_evenIsESF_NSA_11use_defaultESK_EENS0_5tupleIJSF_NSA_16discard_iteratorISK_EEEEENSM_IJSG_SG_EEES6_PlJS6_EEE10hipError_tPvRmT3_T4_T5_T6_T7_T9_mT8_P12ihipStream_tbDpT10_ENKUlT_T0_E_clISt17integral_constantIbLb0EES1A_IbLb1EEEEDaS16_S17_EUlS16_E_NS1_11comp_targetILNS1_3genE9ELNS1_11target_archE1100ELNS1_3gpuE3ELNS1_3repE0EEENS1_30default_config_static_selectorELNS0_4arch9wavefront6targetE1EEEvT1_
		.amdhsa_group_segment_fixed_size 0
		.amdhsa_private_segment_fixed_size 0
		.amdhsa_kernarg_size 152
		.amdhsa_user_sgpr_count 6
		.amdhsa_user_sgpr_private_segment_buffer 1
		.amdhsa_user_sgpr_dispatch_ptr 0
		.amdhsa_user_sgpr_queue_ptr 0
		.amdhsa_user_sgpr_kernarg_segment_ptr 1
		.amdhsa_user_sgpr_dispatch_id 0
		.amdhsa_user_sgpr_flat_scratch_init 0
		.amdhsa_user_sgpr_kernarg_preload_length 0
		.amdhsa_user_sgpr_kernarg_preload_offset 0
		.amdhsa_user_sgpr_private_segment_size 0
		.amdhsa_uses_dynamic_stack 0
		.amdhsa_system_sgpr_private_segment_wavefront_offset 0
		.amdhsa_system_sgpr_workgroup_id_x 1
		.amdhsa_system_sgpr_workgroup_id_y 0
		.amdhsa_system_sgpr_workgroup_id_z 0
		.amdhsa_system_sgpr_workgroup_info 0
		.amdhsa_system_vgpr_workitem_id 0
		.amdhsa_next_free_vgpr 1
		.amdhsa_next_free_sgpr 0
		.amdhsa_accum_offset 4
		.amdhsa_reserve_vcc 0
		.amdhsa_reserve_flat_scratch 0
		.amdhsa_float_round_mode_32 0
		.amdhsa_float_round_mode_16_64 0
		.amdhsa_float_denorm_mode_32 3
		.amdhsa_float_denorm_mode_16_64 3
		.amdhsa_dx10_clamp 1
		.amdhsa_ieee_mode 1
		.amdhsa_fp16_overflow 0
		.amdhsa_tg_split 0
		.amdhsa_exception_fp_ieee_invalid_op 0
		.amdhsa_exception_fp_denorm_src 0
		.amdhsa_exception_fp_ieee_div_zero 0
		.amdhsa_exception_fp_ieee_overflow 0
		.amdhsa_exception_fp_ieee_underflow 0
		.amdhsa_exception_fp_ieee_inexact 0
		.amdhsa_exception_int_div_zero 0
	.end_amdhsa_kernel
	.section	.text._ZN7rocprim17ROCPRIM_400000_NS6detail17trampoline_kernelINS0_14default_configENS1_25partition_config_selectorILNS1_17partition_subalgoE1EsNS0_10empty_typeEbEEZZNS1_14partition_implILS5_1ELb0ES3_jN6thrust23THRUST_200600_302600_NS6detail15normal_iteratorINSA_10device_ptrIsEEEEPS6_NSA_18transform_iteratorI7is_evenIsESF_NSA_11use_defaultESK_EENS0_5tupleIJSF_NSA_16discard_iteratorISK_EEEEENSM_IJSG_SG_EEES6_PlJS6_EEE10hipError_tPvRmT3_T4_T5_T6_T7_T9_mT8_P12ihipStream_tbDpT10_ENKUlT_T0_E_clISt17integral_constantIbLb0EES1A_IbLb1EEEEDaS16_S17_EUlS16_E_NS1_11comp_targetILNS1_3genE9ELNS1_11target_archE1100ELNS1_3gpuE3ELNS1_3repE0EEENS1_30default_config_static_selectorELNS0_4arch9wavefront6targetE1EEEvT1_,"axG",@progbits,_ZN7rocprim17ROCPRIM_400000_NS6detail17trampoline_kernelINS0_14default_configENS1_25partition_config_selectorILNS1_17partition_subalgoE1EsNS0_10empty_typeEbEEZZNS1_14partition_implILS5_1ELb0ES3_jN6thrust23THRUST_200600_302600_NS6detail15normal_iteratorINSA_10device_ptrIsEEEEPS6_NSA_18transform_iteratorI7is_evenIsESF_NSA_11use_defaultESK_EENS0_5tupleIJSF_NSA_16discard_iteratorISK_EEEEENSM_IJSG_SG_EEES6_PlJS6_EEE10hipError_tPvRmT3_T4_T5_T6_T7_T9_mT8_P12ihipStream_tbDpT10_ENKUlT_T0_E_clISt17integral_constantIbLb0EES1A_IbLb1EEEEDaS16_S17_EUlS16_E_NS1_11comp_targetILNS1_3genE9ELNS1_11target_archE1100ELNS1_3gpuE3ELNS1_3repE0EEENS1_30default_config_static_selectorELNS0_4arch9wavefront6targetE1EEEvT1_,comdat
.Lfunc_end3417:
	.size	_ZN7rocprim17ROCPRIM_400000_NS6detail17trampoline_kernelINS0_14default_configENS1_25partition_config_selectorILNS1_17partition_subalgoE1EsNS0_10empty_typeEbEEZZNS1_14partition_implILS5_1ELb0ES3_jN6thrust23THRUST_200600_302600_NS6detail15normal_iteratorINSA_10device_ptrIsEEEEPS6_NSA_18transform_iteratorI7is_evenIsESF_NSA_11use_defaultESK_EENS0_5tupleIJSF_NSA_16discard_iteratorISK_EEEEENSM_IJSG_SG_EEES6_PlJS6_EEE10hipError_tPvRmT3_T4_T5_T6_T7_T9_mT8_P12ihipStream_tbDpT10_ENKUlT_T0_E_clISt17integral_constantIbLb0EES1A_IbLb1EEEEDaS16_S17_EUlS16_E_NS1_11comp_targetILNS1_3genE9ELNS1_11target_archE1100ELNS1_3gpuE3ELNS1_3repE0EEENS1_30default_config_static_selectorELNS0_4arch9wavefront6targetE1EEEvT1_, .Lfunc_end3417-_ZN7rocprim17ROCPRIM_400000_NS6detail17trampoline_kernelINS0_14default_configENS1_25partition_config_selectorILNS1_17partition_subalgoE1EsNS0_10empty_typeEbEEZZNS1_14partition_implILS5_1ELb0ES3_jN6thrust23THRUST_200600_302600_NS6detail15normal_iteratorINSA_10device_ptrIsEEEEPS6_NSA_18transform_iteratorI7is_evenIsESF_NSA_11use_defaultESK_EENS0_5tupleIJSF_NSA_16discard_iteratorISK_EEEEENSM_IJSG_SG_EEES6_PlJS6_EEE10hipError_tPvRmT3_T4_T5_T6_T7_T9_mT8_P12ihipStream_tbDpT10_ENKUlT_T0_E_clISt17integral_constantIbLb0EES1A_IbLb1EEEEDaS16_S17_EUlS16_E_NS1_11comp_targetILNS1_3genE9ELNS1_11target_archE1100ELNS1_3gpuE3ELNS1_3repE0EEENS1_30default_config_static_selectorELNS0_4arch9wavefront6targetE1EEEvT1_
                                        ; -- End function
	.section	.AMDGPU.csdata,"",@progbits
; Kernel info:
; codeLenInByte = 0
; NumSgprs: 4
; NumVgprs: 0
; NumAgprs: 0
; TotalNumVgprs: 0
; ScratchSize: 0
; MemoryBound: 0
; FloatMode: 240
; IeeeMode: 1
; LDSByteSize: 0 bytes/workgroup (compile time only)
; SGPRBlocks: 0
; VGPRBlocks: 0
; NumSGPRsForWavesPerEU: 4
; NumVGPRsForWavesPerEU: 1
; AccumOffset: 4
; Occupancy: 8
; WaveLimiterHint : 0
; COMPUTE_PGM_RSRC2:SCRATCH_EN: 0
; COMPUTE_PGM_RSRC2:USER_SGPR: 6
; COMPUTE_PGM_RSRC2:TRAP_HANDLER: 0
; COMPUTE_PGM_RSRC2:TGID_X_EN: 1
; COMPUTE_PGM_RSRC2:TGID_Y_EN: 0
; COMPUTE_PGM_RSRC2:TGID_Z_EN: 0
; COMPUTE_PGM_RSRC2:TIDIG_COMP_CNT: 0
; COMPUTE_PGM_RSRC3_GFX90A:ACCUM_OFFSET: 0
; COMPUTE_PGM_RSRC3_GFX90A:TG_SPLIT: 0
	.section	.text._ZN7rocprim17ROCPRIM_400000_NS6detail17trampoline_kernelINS0_14default_configENS1_25partition_config_selectorILNS1_17partition_subalgoE1EsNS0_10empty_typeEbEEZZNS1_14partition_implILS5_1ELb0ES3_jN6thrust23THRUST_200600_302600_NS6detail15normal_iteratorINSA_10device_ptrIsEEEEPS6_NSA_18transform_iteratorI7is_evenIsESF_NSA_11use_defaultESK_EENS0_5tupleIJSF_NSA_16discard_iteratorISK_EEEEENSM_IJSG_SG_EEES6_PlJS6_EEE10hipError_tPvRmT3_T4_T5_T6_T7_T9_mT8_P12ihipStream_tbDpT10_ENKUlT_T0_E_clISt17integral_constantIbLb0EES1A_IbLb1EEEEDaS16_S17_EUlS16_E_NS1_11comp_targetILNS1_3genE8ELNS1_11target_archE1030ELNS1_3gpuE2ELNS1_3repE0EEENS1_30default_config_static_selectorELNS0_4arch9wavefront6targetE1EEEvT1_,"axG",@progbits,_ZN7rocprim17ROCPRIM_400000_NS6detail17trampoline_kernelINS0_14default_configENS1_25partition_config_selectorILNS1_17partition_subalgoE1EsNS0_10empty_typeEbEEZZNS1_14partition_implILS5_1ELb0ES3_jN6thrust23THRUST_200600_302600_NS6detail15normal_iteratorINSA_10device_ptrIsEEEEPS6_NSA_18transform_iteratorI7is_evenIsESF_NSA_11use_defaultESK_EENS0_5tupleIJSF_NSA_16discard_iteratorISK_EEEEENSM_IJSG_SG_EEES6_PlJS6_EEE10hipError_tPvRmT3_T4_T5_T6_T7_T9_mT8_P12ihipStream_tbDpT10_ENKUlT_T0_E_clISt17integral_constantIbLb0EES1A_IbLb1EEEEDaS16_S17_EUlS16_E_NS1_11comp_targetILNS1_3genE8ELNS1_11target_archE1030ELNS1_3gpuE2ELNS1_3repE0EEENS1_30default_config_static_selectorELNS0_4arch9wavefront6targetE1EEEvT1_,comdat
	.protected	_ZN7rocprim17ROCPRIM_400000_NS6detail17trampoline_kernelINS0_14default_configENS1_25partition_config_selectorILNS1_17partition_subalgoE1EsNS0_10empty_typeEbEEZZNS1_14partition_implILS5_1ELb0ES3_jN6thrust23THRUST_200600_302600_NS6detail15normal_iteratorINSA_10device_ptrIsEEEEPS6_NSA_18transform_iteratorI7is_evenIsESF_NSA_11use_defaultESK_EENS0_5tupleIJSF_NSA_16discard_iteratorISK_EEEEENSM_IJSG_SG_EEES6_PlJS6_EEE10hipError_tPvRmT3_T4_T5_T6_T7_T9_mT8_P12ihipStream_tbDpT10_ENKUlT_T0_E_clISt17integral_constantIbLb0EES1A_IbLb1EEEEDaS16_S17_EUlS16_E_NS1_11comp_targetILNS1_3genE8ELNS1_11target_archE1030ELNS1_3gpuE2ELNS1_3repE0EEENS1_30default_config_static_selectorELNS0_4arch9wavefront6targetE1EEEvT1_ ; -- Begin function _ZN7rocprim17ROCPRIM_400000_NS6detail17trampoline_kernelINS0_14default_configENS1_25partition_config_selectorILNS1_17partition_subalgoE1EsNS0_10empty_typeEbEEZZNS1_14partition_implILS5_1ELb0ES3_jN6thrust23THRUST_200600_302600_NS6detail15normal_iteratorINSA_10device_ptrIsEEEEPS6_NSA_18transform_iteratorI7is_evenIsESF_NSA_11use_defaultESK_EENS0_5tupleIJSF_NSA_16discard_iteratorISK_EEEEENSM_IJSG_SG_EEES6_PlJS6_EEE10hipError_tPvRmT3_T4_T5_T6_T7_T9_mT8_P12ihipStream_tbDpT10_ENKUlT_T0_E_clISt17integral_constantIbLb0EES1A_IbLb1EEEEDaS16_S17_EUlS16_E_NS1_11comp_targetILNS1_3genE8ELNS1_11target_archE1030ELNS1_3gpuE2ELNS1_3repE0EEENS1_30default_config_static_selectorELNS0_4arch9wavefront6targetE1EEEvT1_
	.globl	_ZN7rocprim17ROCPRIM_400000_NS6detail17trampoline_kernelINS0_14default_configENS1_25partition_config_selectorILNS1_17partition_subalgoE1EsNS0_10empty_typeEbEEZZNS1_14partition_implILS5_1ELb0ES3_jN6thrust23THRUST_200600_302600_NS6detail15normal_iteratorINSA_10device_ptrIsEEEEPS6_NSA_18transform_iteratorI7is_evenIsESF_NSA_11use_defaultESK_EENS0_5tupleIJSF_NSA_16discard_iteratorISK_EEEEENSM_IJSG_SG_EEES6_PlJS6_EEE10hipError_tPvRmT3_T4_T5_T6_T7_T9_mT8_P12ihipStream_tbDpT10_ENKUlT_T0_E_clISt17integral_constantIbLb0EES1A_IbLb1EEEEDaS16_S17_EUlS16_E_NS1_11comp_targetILNS1_3genE8ELNS1_11target_archE1030ELNS1_3gpuE2ELNS1_3repE0EEENS1_30default_config_static_selectorELNS0_4arch9wavefront6targetE1EEEvT1_
	.p2align	8
	.type	_ZN7rocprim17ROCPRIM_400000_NS6detail17trampoline_kernelINS0_14default_configENS1_25partition_config_selectorILNS1_17partition_subalgoE1EsNS0_10empty_typeEbEEZZNS1_14partition_implILS5_1ELb0ES3_jN6thrust23THRUST_200600_302600_NS6detail15normal_iteratorINSA_10device_ptrIsEEEEPS6_NSA_18transform_iteratorI7is_evenIsESF_NSA_11use_defaultESK_EENS0_5tupleIJSF_NSA_16discard_iteratorISK_EEEEENSM_IJSG_SG_EEES6_PlJS6_EEE10hipError_tPvRmT3_T4_T5_T6_T7_T9_mT8_P12ihipStream_tbDpT10_ENKUlT_T0_E_clISt17integral_constantIbLb0EES1A_IbLb1EEEEDaS16_S17_EUlS16_E_NS1_11comp_targetILNS1_3genE8ELNS1_11target_archE1030ELNS1_3gpuE2ELNS1_3repE0EEENS1_30default_config_static_selectorELNS0_4arch9wavefront6targetE1EEEvT1_,@function
_ZN7rocprim17ROCPRIM_400000_NS6detail17trampoline_kernelINS0_14default_configENS1_25partition_config_selectorILNS1_17partition_subalgoE1EsNS0_10empty_typeEbEEZZNS1_14partition_implILS5_1ELb0ES3_jN6thrust23THRUST_200600_302600_NS6detail15normal_iteratorINSA_10device_ptrIsEEEEPS6_NSA_18transform_iteratorI7is_evenIsESF_NSA_11use_defaultESK_EENS0_5tupleIJSF_NSA_16discard_iteratorISK_EEEEENSM_IJSG_SG_EEES6_PlJS6_EEE10hipError_tPvRmT3_T4_T5_T6_T7_T9_mT8_P12ihipStream_tbDpT10_ENKUlT_T0_E_clISt17integral_constantIbLb0EES1A_IbLb1EEEEDaS16_S17_EUlS16_E_NS1_11comp_targetILNS1_3genE8ELNS1_11target_archE1030ELNS1_3gpuE2ELNS1_3repE0EEENS1_30default_config_static_selectorELNS0_4arch9wavefront6targetE1EEEvT1_: ; @_ZN7rocprim17ROCPRIM_400000_NS6detail17trampoline_kernelINS0_14default_configENS1_25partition_config_selectorILNS1_17partition_subalgoE1EsNS0_10empty_typeEbEEZZNS1_14partition_implILS5_1ELb0ES3_jN6thrust23THRUST_200600_302600_NS6detail15normal_iteratorINSA_10device_ptrIsEEEEPS6_NSA_18transform_iteratorI7is_evenIsESF_NSA_11use_defaultESK_EENS0_5tupleIJSF_NSA_16discard_iteratorISK_EEEEENSM_IJSG_SG_EEES6_PlJS6_EEE10hipError_tPvRmT3_T4_T5_T6_T7_T9_mT8_P12ihipStream_tbDpT10_ENKUlT_T0_E_clISt17integral_constantIbLb0EES1A_IbLb1EEEEDaS16_S17_EUlS16_E_NS1_11comp_targetILNS1_3genE8ELNS1_11target_archE1030ELNS1_3gpuE2ELNS1_3repE0EEENS1_30default_config_static_selectorELNS0_4arch9wavefront6targetE1EEEvT1_
; %bb.0:
	.section	.rodata,"a",@progbits
	.p2align	6, 0x0
	.amdhsa_kernel _ZN7rocprim17ROCPRIM_400000_NS6detail17trampoline_kernelINS0_14default_configENS1_25partition_config_selectorILNS1_17partition_subalgoE1EsNS0_10empty_typeEbEEZZNS1_14partition_implILS5_1ELb0ES3_jN6thrust23THRUST_200600_302600_NS6detail15normal_iteratorINSA_10device_ptrIsEEEEPS6_NSA_18transform_iteratorI7is_evenIsESF_NSA_11use_defaultESK_EENS0_5tupleIJSF_NSA_16discard_iteratorISK_EEEEENSM_IJSG_SG_EEES6_PlJS6_EEE10hipError_tPvRmT3_T4_T5_T6_T7_T9_mT8_P12ihipStream_tbDpT10_ENKUlT_T0_E_clISt17integral_constantIbLb0EES1A_IbLb1EEEEDaS16_S17_EUlS16_E_NS1_11comp_targetILNS1_3genE8ELNS1_11target_archE1030ELNS1_3gpuE2ELNS1_3repE0EEENS1_30default_config_static_selectorELNS0_4arch9wavefront6targetE1EEEvT1_
		.amdhsa_group_segment_fixed_size 0
		.amdhsa_private_segment_fixed_size 0
		.amdhsa_kernarg_size 152
		.amdhsa_user_sgpr_count 6
		.amdhsa_user_sgpr_private_segment_buffer 1
		.amdhsa_user_sgpr_dispatch_ptr 0
		.amdhsa_user_sgpr_queue_ptr 0
		.amdhsa_user_sgpr_kernarg_segment_ptr 1
		.amdhsa_user_sgpr_dispatch_id 0
		.amdhsa_user_sgpr_flat_scratch_init 0
		.amdhsa_user_sgpr_kernarg_preload_length 0
		.amdhsa_user_sgpr_kernarg_preload_offset 0
		.amdhsa_user_sgpr_private_segment_size 0
		.amdhsa_uses_dynamic_stack 0
		.amdhsa_system_sgpr_private_segment_wavefront_offset 0
		.amdhsa_system_sgpr_workgroup_id_x 1
		.amdhsa_system_sgpr_workgroup_id_y 0
		.amdhsa_system_sgpr_workgroup_id_z 0
		.amdhsa_system_sgpr_workgroup_info 0
		.amdhsa_system_vgpr_workitem_id 0
		.amdhsa_next_free_vgpr 1
		.amdhsa_next_free_sgpr 0
		.amdhsa_accum_offset 4
		.amdhsa_reserve_vcc 0
		.amdhsa_reserve_flat_scratch 0
		.amdhsa_float_round_mode_32 0
		.amdhsa_float_round_mode_16_64 0
		.amdhsa_float_denorm_mode_32 3
		.amdhsa_float_denorm_mode_16_64 3
		.amdhsa_dx10_clamp 1
		.amdhsa_ieee_mode 1
		.amdhsa_fp16_overflow 0
		.amdhsa_tg_split 0
		.amdhsa_exception_fp_ieee_invalid_op 0
		.amdhsa_exception_fp_denorm_src 0
		.amdhsa_exception_fp_ieee_div_zero 0
		.amdhsa_exception_fp_ieee_overflow 0
		.amdhsa_exception_fp_ieee_underflow 0
		.amdhsa_exception_fp_ieee_inexact 0
		.amdhsa_exception_int_div_zero 0
	.end_amdhsa_kernel
	.section	.text._ZN7rocprim17ROCPRIM_400000_NS6detail17trampoline_kernelINS0_14default_configENS1_25partition_config_selectorILNS1_17partition_subalgoE1EsNS0_10empty_typeEbEEZZNS1_14partition_implILS5_1ELb0ES3_jN6thrust23THRUST_200600_302600_NS6detail15normal_iteratorINSA_10device_ptrIsEEEEPS6_NSA_18transform_iteratorI7is_evenIsESF_NSA_11use_defaultESK_EENS0_5tupleIJSF_NSA_16discard_iteratorISK_EEEEENSM_IJSG_SG_EEES6_PlJS6_EEE10hipError_tPvRmT3_T4_T5_T6_T7_T9_mT8_P12ihipStream_tbDpT10_ENKUlT_T0_E_clISt17integral_constantIbLb0EES1A_IbLb1EEEEDaS16_S17_EUlS16_E_NS1_11comp_targetILNS1_3genE8ELNS1_11target_archE1030ELNS1_3gpuE2ELNS1_3repE0EEENS1_30default_config_static_selectorELNS0_4arch9wavefront6targetE1EEEvT1_,"axG",@progbits,_ZN7rocprim17ROCPRIM_400000_NS6detail17trampoline_kernelINS0_14default_configENS1_25partition_config_selectorILNS1_17partition_subalgoE1EsNS0_10empty_typeEbEEZZNS1_14partition_implILS5_1ELb0ES3_jN6thrust23THRUST_200600_302600_NS6detail15normal_iteratorINSA_10device_ptrIsEEEEPS6_NSA_18transform_iteratorI7is_evenIsESF_NSA_11use_defaultESK_EENS0_5tupleIJSF_NSA_16discard_iteratorISK_EEEEENSM_IJSG_SG_EEES6_PlJS6_EEE10hipError_tPvRmT3_T4_T5_T6_T7_T9_mT8_P12ihipStream_tbDpT10_ENKUlT_T0_E_clISt17integral_constantIbLb0EES1A_IbLb1EEEEDaS16_S17_EUlS16_E_NS1_11comp_targetILNS1_3genE8ELNS1_11target_archE1030ELNS1_3gpuE2ELNS1_3repE0EEENS1_30default_config_static_selectorELNS0_4arch9wavefront6targetE1EEEvT1_,comdat
.Lfunc_end3418:
	.size	_ZN7rocprim17ROCPRIM_400000_NS6detail17trampoline_kernelINS0_14default_configENS1_25partition_config_selectorILNS1_17partition_subalgoE1EsNS0_10empty_typeEbEEZZNS1_14partition_implILS5_1ELb0ES3_jN6thrust23THRUST_200600_302600_NS6detail15normal_iteratorINSA_10device_ptrIsEEEEPS6_NSA_18transform_iteratorI7is_evenIsESF_NSA_11use_defaultESK_EENS0_5tupleIJSF_NSA_16discard_iteratorISK_EEEEENSM_IJSG_SG_EEES6_PlJS6_EEE10hipError_tPvRmT3_T4_T5_T6_T7_T9_mT8_P12ihipStream_tbDpT10_ENKUlT_T0_E_clISt17integral_constantIbLb0EES1A_IbLb1EEEEDaS16_S17_EUlS16_E_NS1_11comp_targetILNS1_3genE8ELNS1_11target_archE1030ELNS1_3gpuE2ELNS1_3repE0EEENS1_30default_config_static_selectorELNS0_4arch9wavefront6targetE1EEEvT1_, .Lfunc_end3418-_ZN7rocprim17ROCPRIM_400000_NS6detail17trampoline_kernelINS0_14default_configENS1_25partition_config_selectorILNS1_17partition_subalgoE1EsNS0_10empty_typeEbEEZZNS1_14partition_implILS5_1ELb0ES3_jN6thrust23THRUST_200600_302600_NS6detail15normal_iteratorINSA_10device_ptrIsEEEEPS6_NSA_18transform_iteratorI7is_evenIsESF_NSA_11use_defaultESK_EENS0_5tupleIJSF_NSA_16discard_iteratorISK_EEEEENSM_IJSG_SG_EEES6_PlJS6_EEE10hipError_tPvRmT3_T4_T5_T6_T7_T9_mT8_P12ihipStream_tbDpT10_ENKUlT_T0_E_clISt17integral_constantIbLb0EES1A_IbLb1EEEEDaS16_S17_EUlS16_E_NS1_11comp_targetILNS1_3genE8ELNS1_11target_archE1030ELNS1_3gpuE2ELNS1_3repE0EEENS1_30default_config_static_selectorELNS0_4arch9wavefront6targetE1EEEvT1_
                                        ; -- End function
	.section	.AMDGPU.csdata,"",@progbits
; Kernel info:
; codeLenInByte = 0
; NumSgprs: 4
; NumVgprs: 0
; NumAgprs: 0
; TotalNumVgprs: 0
; ScratchSize: 0
; MemoryBound: 0
; FloatMode: 240
; IeeeMode: 1
; LDSByteSize: 0 bytes/workgroup (compile time only)
; SGPRBlocks: 0
; VGPRBlocks: 0
; NumSGPRsForWavesPerEU: 4
; NumVGPRsForWavesPerEU: 1
; AccumOffset: 4
; Occupancy: 8
; WaveLimiterHint : 0
; COMPUTE_PGM_RSRC2:SCRATCH_EN: 0
; COMPUTE_PGM_RSRC2:USER_SGPR: 6
; COMPUTE_PGM_RSRC2:TRAP_HANDLER: 0
; COMPUTE_PGM_RSRC2:TGID_X_EN: 1
; COMPUTE_PGM_RSRC2:TGID_Y_EN: 0
; COMPUTE_PGM_RSRC2:TGID_Z_EN: 0
; COMPUTE_PGM_RSRC2:TIDIG_COMP_CNT: 0
; COMPUTE_PGM_RSRC3_GFX90A:ACCUM_OFFSET: 0
; COMPUTE_PGM_RSRC3_GFX90A:TG_SPLIT: 0
	.section	.text._ZN7rocprim17ROCPRIM_400000_NS6detail17trampoline_kernelINS0_14default_configENS1_25partition_config_selectorILNS1_17partition_subalgoE1EsNS0_10empty_typeEbEEZZNS1_14partition_implILS5_1ELb0ES3_jN6thrust23THRUST_200600_302600_NS6detail15normal_iteratorINSA_10device_ptrIsEEEEPS6_NSA_18transform_iteratorI7is_evenIsESF_NSA_11use_defaultESK_EENS0_5tupleIJNSA_16discard_iteratorISK_EESF_EEENSM_IJSG_SG_EEES6_PlJS6_EEE10hipError_tPvRmT3_T4_T5_T6_T7_T9_mT8_P12ihipStream_tbDpT10_ENKUlT_T0_E_clISt17integral_constantIbLb0EES1B_EEDaS16_S17_EUlS16_E_NS1_11comp_targetILNS1_3genE0ELNS1_11target_archE4294967295ELNS1_3gpuE0ELNS1_3repE0EEENS1_30default_config_static_selectorELNS0_4arch9wavefront6targetE1EEEvT1_,"axG",@progbits,_ZN7rocprim17ROCPRIM_400000_NS6detail17trampoline_kernelINS0_14default_configENS1_25partition_config_selectorILNS1_17partition_subalgoE1EsNS0_10empty_typeEbEEZZNS1_14partition_implILS5_1ELb0ES3_jN6thrust23THRUST_200600_302600_NS6detail15normal_iteratorINSA_10device_ptrIsEEEEPS6_NSA_18transform_iteratorI7is_evenIsESF_NSA_11use_defaultESK_EENS0_5tupleIJNSA_16discard_iteratorISK_EESF_EEENSM_IJSG_SG_EEES6_PlJS6_EEE10hipError_tPvRmT3_T4_T5_T6_T7_T9_mT8_P12ihipStream_tbDpT10_ENKUlT_T0_E_clISt17integral_constantIbLb0EES1B_EEDaS16_S17_EUlS16_E_NS1_11comp_targetILNS1_3genE0ELNS1_11target_archE4294967295ELNS1_3gpuE0ELNS1_3repE0EEENS1_30default_config_static_selectorELNS0_4arch9wavefront6targetE1EEEvT1_,comdat
	.protected	_ZN7rocprim17ROCPRIM_400000_NS6detail17trampoline_kernelINS0_14default_configENS1_25partition_config_selectorILNS1_17partition_subalgoE1EsNS0_10empty_typeEbEEZZNS1_14partition_implILS5_1ELb0ES3_jN6thrust23THRUST_200600_302600_NS6detail15normal_iteratorINSA_10device_ptrIsEEEEPS6_NSA_18transform_iteratorI7is_evenIsESF_NSA_11use_defaultESK_EENS0_5tupleIJNSA_16discard_iteratorISK_EESF_EEENSM_IJSG_SG_EEES6_PlJS6_EEE10hipError_tPvRmT3_T4_T5_T6_T7_T9_mT8_P12ihipStream_tbDpT10_ENKUlT_T0_E_clISt17integral_constantIbLb0EES1B_EEDaS16_S17_EUlS16_E_NS1_11comp_targetILNS1_3genE0ELNS1_11target_archE4294967295ELNS1_3gpuE0ELNS1_3repE0EEENS1_30default_config_static_selectorELNS0_4arch9wavefront6targetE1EEEvT1_ ; -- Begin function _ZN7rocprim17ROCPRIM_400000_NS6detail17trampoline_kernelINS0_14default_configENS1_25partition_config_selectorILNS1_17partition_subalgoE1EsNS0_10empty_typeEbEEZZNS1_14partition_implILS5_1ELb0ES3_jN6thrust23THRUST_200600_302600_NS6detail15normal_iteratorINSA_10device_ptrIsEEEEPS6_NSA_18transform_iteratorI7is_evenIsESF_NSA_11use_defaultESK_EENS0_5tupleIJNSA_16discard_iteratorISK_EESF_EEENSM_IJSG_SG_EEES6_PlJS6_EEE10hipError_tPvRmT3_T4_T5_T6_T7_T9_mT8_P12ihipStream_tbDpT10_ENKUlT_T0_E_clISt17integral_constantIbLb0EES1B_EEDaS16_S17_EUlS16_E_NS1_11comp_targetILNS1_3genE0ELNS1_11target_archE4294967295ELNS1_3gpuE0ELNS1_3repE0EEENS1_30default_config_static_selectorELNS0_4arch9wavefront6targetE1EEEvT1_
	.globl	_ZN7rocprim17ROCPRIM_400000_NS6detail17trampoline_kernelINS0_14default_configENS1_25partition_config_selectorILNS1_17partition_subalgoE1EsNS0_10empty_typeEbEEZZNS1_14partition_implILS5_1ELb0ES3_jN6thrust23THRUST_200600_302600_NS6detail15normal_iteratorINSA_10device_ptrIsEEEEPS6_NSA_18transform_iteratorI7is_evenIsESF_NSA_11use_defaultESK_EENS0_5tupleIJNSA_16discard_iteratorISK_EESF_EEENSM_IJSG_SG_EEES6_PlJS6_EEE10hipError_tPvRmT3_T4_T5_T6_T7_T9_mT8_P12ihipStream_tbDpT10_ENKUlT_T0_E_clISt17integral_constantIbLb0EES1B_EEDaS16_S17_EUlS16_E_NS1_11comp_targetILNS1_3genE0ELNS1_11target_archE4294967295ELNS1_3gpuE0ELNS1_3repE0EEENS1_30default_config_static_selectorELNS0_4arch9wavefront6targetE1EEEvT1_
	.p2align	8
	.type	_ZN7rocprim17ROCPRIM_400000_NS6detail17trampoline_kernelINS0_14default_configENS1_25partition_config_selectorILNS1_17partition_subalgoE1EsNS0_10empty_typeEbEEZZNS1_14partition_implILS5_1ELb0ES3_jN6thrust23THRUST_200600_302600_NS6detail15normal_iteratorINSA_10device_ptrIsEEEEPS6_NSA_18transform_iteratorI7is_evenIsESF_NSA_11use_defaultESK_EENS0_5tupleIJNSA_16discard_iteratorISK_EESF_EEENSM_IJSG_SG_EEES6_PlJS6_EEE10hipError_tPvRmT3_T4_T5_T6_T7_T9_mT8_P12ihipStream_tbDpT10_ENKUlT_T0_E_clISt17integral_constantIbLb0EES1B_EEDaS16_S17_EUlS16_E_NS1_11comp_targetILNS1_3genE0ELNS1_11target_archE4294967295ELNS1_3gpuE0ELNS1_3repE0EEENS1_30default_config_static_selectorELNS0_4arch9wavefront6targetE1EEEvT1_,@function
_ZN7rocprim17ROCPRIM_400000_NS6detail17trampoline_kernelINS0_14default_configENS1_25partition_config_selectorILNS1_17partition_subalgoE1EsNS0_10empty_typeEbEEZZNS1_14partition_implILS5_1ELb0ES3_jN6thrust23THRUST_200600_302600_NS6detail15normal_iteratorINSA_10device_ptrIsEEEEPS6_NSA_18transform_iteratorI7is_evenIsESF_NSA_11use_defaultESK_EENS0_5tupleIJNSA_16discard_iteratorISK_EESF_EEENSM_IJSG_SG_EEES6_PlJS6_EEE10hipError_tPvRmT3_T4_T5_T6_T7_T9_mT8_P12ihipStream_tbDpT10_ENKUlT_T0_E_clISt17integral_constantIbLb0EES1B_EEDaS16_S17_EUlS16_E_NS1_11comp_targetILNS1_3genE0ELNS1_11target_archE4294967295ELNS1_3gpuE0ELNS1_3repE0EEENS1_30default_config_static_selectorELNS0_4arch9wavefront6targetE1EEEvT1_: ; @_ZN7rocprim17ROCPRIM_400000_NS6detail17trampoline_kernelINS0_14default_configENS1_25partition_config_selectorILNS1_17partition_subalgoE1EsNS0_10empty_typeEbEEZZNS1_14partition_implILS5_1ELb0ES3_jN6thrust23THRUST_200600_302600_NS6detail15normal_iteratorINSA_10device_ptrIsEEEEPS6_NSA_18transform_iteratorI7is_evenIsESF_NSA_11use_defaultESK_EENS0_5tupleIJNSA_16discard_iteratorISK_EESF_EEENSM_IJSG_SG_EEES6_PlJS6_EEE10hipError_tPvRmT3_T4_T5_T6_T7_T9_mT8_P12ihipStream_tbDpT10_ENKUlT_T0_E_clISt17integral_constantIbLb0EES1B_EEDaS16_S17_EUlS16_E_NS1_11comp_targetILNS1_3genE0ELNS1_11target_archE4294967295ELNS1_3gpuE0ELNS1_3repE0EEENS1_30default_config_static_selectorELNS0_4arch9wavefront6targetE1EEEvT1_
; %bb.0:
	.section	.rodata,"a",@progbits
	.p2align	6, 0x0
	.amdhsa_kernel _ZN7rocprim17ROCPRIM_400000_NS6detail17trampoline_kernelINS0_14default_configENS1_25partition_config_selectorILNS1_17partition_subalgoE1EsNS0_10empty_typeEbEEZZNS1_14partition_implILS5_1ELb0ES3_jN6thrust23THRUST_200600_302600_NS6detail15normal_iteratorINSA_10device_ptrIsEEEEPS6_NSA_18transform_iteratorI7is_evenIsESF_NSA_11use_defaultESK_EENS0_5tupleIJNSA_16discard_iteratorISK_EESF_EEENSM_IJSG_SG_EEES6_PlJS6_EEE10hipError_tPvRmT3_T4_T5_T6_T7_T9_mT8_P12ihipStream_tbDpT10_ENKUlT_T0_E_clISt17integral_constantIbLb0EES1B_EEDaS16_S17_EUlS16_E_NS1_11comp_targetILNS1_3genE0ELNS1_11target_archE4294967295ELNS1_3gpuE0ELNS1_3repE0EEENS1_30default_config_static_selectorELNS0_4arch9wavefront6targetE1EEEvT1_
		.amdhsa_group_segment_fixed_size 0
		.amdhsa_private_segment_fixed_size 0
		.amdhsa_kernarg_size 136
		.amdhsa_user_sgpr_count 6
		.amdhsa_user_sgpr_private_segment_buffer 1
		.amdhsa_user_sgpr_dispatch_ptr 0
		.amdhsa_user_sgpr_queue_ptr 0
		.amdhsa_user_sgpr_kernarg_segment_ptr 1
		.amdhsa_user_sgpr_dispatch_id 0
		.amdhsa_user_sgpr_flat_scratch_init 0
		.amdhsa_user_sgpr_kernarg_preload_length 0
		.amdhsa_user_sgpr_kernarg_preload_offset 0
		.amdhsa_user_sgpr_private_segment_size 0
		.amdhsa_uses_dynamic_stack 0
		.amdhsa_system_sgpr_private_segment_wavefront_offset 0
		.amdhsa_system_sgpr_workgroup_id_x 1
		.amdhsa_system_sgpr_workgroup_id_y 0
		.amdhsa_system_sgpr_workgroup_id_z 0
		.amdhsa_system_sgpr_workgroup_info 0
		.amdhsa_system_vgpr_workitem_id 0
		.amdhsa_next_free_vgpr 1
		.amdhsa_next_free_sgpr 0
		.amdhsa_accum_offset 4
		.amdhsa_reserve_vcc 0
		.amdhsa_reserve_flat_scratch 0
		.amdhsa_float_round_mode_32 0
		.amdhsa_float_round_mode_16_64 0
		.amdhsa_float_denorm_mode_32 3
		.amdhsa_float_denorm_mode_16_64 3
		.amdhsa_dx10_clamp 1
		.amdhsa_ieee_mode 1
		.amdhsa_fp16_overflow 0
		.amdhsa_tg_split 0
		.amdhsa_exception_fp_ieee_invalid_op 0
		.amdhsa_exception_fp_denorm_src 0
		.amdhsa_exception_fp_ieee_div_zero 0
		.amdhsa_exception_fp_ieee_overflow 0
		.amdhsa_exception_fp_ieee_underflow 0
		.amdhsa_exception_fp_ieee_inexact 0
		.amdhsa_exception_int_div_zero 0
	.end_amdhsa_kernel
	.section	.text._ZN7rocprim17ROCPRIM_400000_NS6detail17trampoline_kernelINS0_14default_configENS1_25partition_config_selectorILNS1_17partition_subalgoE1EsNS0_10empty_typeEbEEZZNS1_14partition_implILS5_1ELb0ES3_jN6thrust23THRUST_200600_302600_NS6detail15normal_iteratorINSA_10device_ptrIsEEEEPS6_NSA_18transform_iteratorI7is_evenIsESF_NSA_11use_defaultESK_EENS0_5tupleIJNSA_16discard_iteratorISK_EESF_EEENSM_IJSG_SG_EEES6_PlJS6_EEE10hipError_tPvRmT3_T4_T5_T6_T7_T9_mT8_P12ihipStream_tbDpT10_ENKUlT_T0_E_clISt17integral_constantIbLb0EES1B_EEDaS16_S17_EUlS16_E_NS1_11comp_targetILNS1_3genE0ELNS1_11target_archE4294967295ELNS1_3gpuE0ELNS1_3repE0EEENS1_30default_config_static_selectorELNS0_4arch9wavefront6targetE1EEEvT1_,"axG",@progbits,_ZN7rocprim17ROCPRIM_400000_NS6detail17trampoline_kernelINS0_14default_configENS1_25partition_config_selectorILNS1_17partition_subalgoE1EsNS0_10empty_typeEbEEZZNS1_14partition_implILS5_1ELb0ES3_jN6thrust23THRUST_200600_302600_NS6detail15normal_iteratorINSA_10device_ptrIsEEEEPS6_NSA_18transform_iteratorI7is_evenIsESF_NSA_11use_defaultESK_EENS0_5tupleIJNSA_16discard_iteratorISK_EESF_EEENSM_IJSG_SG_EEES6_PlJS6_EEE10hipError_tPvRmT3_T4_T5_T6_T7_T9_mT8_P12ihipStream_tbDpT10_ENKUlT_T0_E_clISt17integral_constantIbLb0EES1B_EEDaS16_S17_EUlS16_E_NS1_11comp_targetILNS1_3genE0ELNS1_11target_archE4294967295ELNS1_3gpuE0ELNS1_3repE0EEENS1_30default_config_static_selectorELNS0_4arch9wavefront6targetE1EEEvT1_,comdat
.Lfunc_end3419:
	.size	_ZN7rocprim17ROCPRIM_400000_NS6detail17trampoline_kernelINS0_14default_configENS1_25partition_config_selectorILNS1_17partition_subalgoE1EsNS0_10empty_typeEbEEZZNS1_14partition_implILS5_1ELb0ES3_jN6thrust23THRUST_200600_302600_NS6detail15normal_iteratorINSA_10device_ptrIsEEEEPS6_NSA_18transform_iteratorI7is_evenIsESF_NSA_11use_defaultESK_EENS0_5tupleIJNSA_16discard_iteratorISK_EESF_EEENSM_IJSG_SG_EEES6_PlJS6_EEE10hipError_tPvRmT3_T4_T5_T6_T7_T9_mT8_P12ihipStream_tbDpT10_ENKUlT_T0_E_clISt17integral_constantIbLb0EES1B_EEDaS16_S17_EUlS16_E_NS1_11comp_targetILNS1_3genE0ELNS1_11target_archE4294967295ELNS1_3gpuE0ELNS1_3repE0EEENS1_30default_config_static_selectorELNS0_4arch9wavefront6targetE1EEEvT1_, .Lfunc_end3419-_ZN7rocprim17ROCPRIM_400000_NS6detail17trampoline_kernelINS0_14default_configENS1_25partition_config_selectorILNS1_17partition_subalgoE1EsNS0_10empty_typeEbEEZZNS1_14partition_implILS5_1ELb0ES3_jN6thrust23THRUST_200600_302600_NS6detail15normal_iteratorINSA_10device_ptrIsEEEEPS6_NSA_18transform_iteratorI7is_evenIsESF_NSA_11use_defaultESK_EENS0_5tupleIJNSA_16discard_iteratorISK_EESF_EEENSM_IJSG_SG_EEES6_PlJS6_EEE10hipError_tPvRmT3_T4_T5_T6_T7_T9_mT8_P12ihipStream_tbDpT10_ENKUlT_T0_E_clISt17integral_constantIbLb0EES1B_EEDaS16_S17_EUlS16_E_NS1_11comp_targetILNS1_3genE0ELNS1_11target_archE4294967295ELNS1_3gpuE0ELNS1_3repE0EEENS1_30default_config_static_selectorELNS0_4arch9wavefront6targetE1EEEvT1_
                                        ; -- End function
	.section	.AMDGPU.csdata,"",@progbits
; Kernel info:
; codeLenInByte = 0
; NumSgprs: 4
; NumVgprs: 0
; NumAgprs: 0
; TotalNumVgprs: 0
; ScratchSize: 0
; MemoryBound: 0
; FloatMode: 240
; IeeeMode: 1
; LDSByteSize: 0 bytes/workgroup (compile time only)
; SGPRBlocks: 0
; VGPRBlocks: 0
; NumSGPRsForWavesPerEU: 4
; NumVGPRsForWavesPerEU: 1
; AccumOffset: 4
; Occupancy: 8
; WaveLimiterHint : 0
; COMPUTE_PGM_RSRC2:SCRATCH_EN: 0
; COMPUTE_PGM_RSRC2:USER_SGPR: 6
; COMPUTE_PGM_RSRC2:TRAP_HANDLER: 0
; COMPUTE_PGM_RSRC2:TGID_X_EN: 1
; COMPUTE_PGM_RSRC2:TGID_Y_EN: 0
; COMPUTE_PGM_RSRC2:TGID_Z_EN: 0
; COMPUTE_PGM_RSRC2:TIDIG_COMP_CNT: 0
; COMPUTE_PGM_RSRC3_GFX90A:ACCUM_OFFSET: 0
; COMPUTE_PGM_RSRC3_GFX90A:TG_SPLIT: 0
	.section	.text._ZN7rocprim17ROCPRIM_400000_NS6detail17trampoline_kernelINS0_14default_configENS1_25partition_config_selectorILNS1_17partition_subalgoE1EsNS0_10empty_typeEbEEZZNS1_14partition_implILS5_1ELb0ES3_jN6thrust23THRUST_200600_302600_NS6detail15normal_iteratorINSA_10device_ptrIsEEEEPS6_NSA_18transform_iteratorI7is_evenIsESF_NSA_11use_defaultESK_EENS0_5tupleIJNSA_16discard_iteratorISK_EESF_EEENSM_IJSG_SG_EEES6_PlJS6_EEE10hipError_tPvRmT3_T4_T5_T6_T7_T9_mT8_P12ihipStream_tbDpT10_ENKUlT_T0_E_clISt17integral_constantIbLb0EES1B_EEDaS16_S17_EUlS16_E_NS1_11comp_targetILNS1_3genE5ELNS1_11target_archE942ELNS1_3gpuE9ELNS1_3repE0EEENS1_30default_config_static_selectorELNS0_4arch9wavefront6targetE1EEEvT1_,"axG",@progbits,_ZN7rocprim17ROCPRIM_400000_NS6detail17trampoline_kernelINS0_14default_configENS1_25partition_config_selectorILNS1_17partition_subalgoE1EsNS0_10empty_typeEbEEZZNS1_14partition_implILS5_1ELb0ES3_jN6thrust23THRUST_200600_302600_NS6detail15normal_iteratorINSA_10device_ptrIsEEEEPS6_NSA_18transform_iteratorI7is_evenIsESF_NSA_11use_defaultESK_EENS0_5tupleIJNSA_16discard_iteratorISK_EESF_EEENSM_IJSG_SG_EEES6_PlJS6_EEE10hipError_tPvRmT3_T4_T5_T6_T7_T9_mT8_P12ihipStream_tbDpT10_ENKUlT_T0_E_clISt17integral_constantIbLb0EES1B_EEDaS16_S17_EUlS16_E_NS1_11comp_targetILNS1_3genE5ELNS1_11target_archE942ELNS1_3gpuE9ELNS1_3repE0EEENS1_30default_config_static_selectorELNS0_4arch9wavefront6targetE1EEEvT1_,comdat
	.protected	_ZN7rocprim17ROCPRIM_400000_NS6detail17trampoline_kernelINS0_14default_configENS1_25partition_config_selectorILNS1_17partition_subalgoE1EsNS0_10empty_typeEbEEZZNS1_14partition_implILS5_1ELb0ES3_jN6thrust23THRUST_200600_302600_NS6detail15normal_iteratorINSA_10device_ptrIsEEEEPS6_NSA_18transform_iteratorI7is_evenIsESF_NSA_11use_defaultESK_EENS0_5tupleIJNSA_16discard_iteratorISK_EESF_EEENSM_IJSG_SG_EEES6_PlJS6_EEE10hipError_tPvRmT3_T4_T5_T6_T7_T9_mT8_P12ihipStream_tbDpT10_ENKUlT_T0_E_clISt17integral_constantIbLb0EES1B_EEDaS16_S17_EUlS16_E_NS1_11comp_targetILNS1_3genE5ELNS1_11target_archE942ELNS1_3gpuE9ELNS1_3repE0EEENS1_30default_config_static_selectorELNS0_4arch9wavefront6targetE1EEEvT1_ ; -- Begin function _ZN7rocprim17ROCPRIM_400000_NS6detail17trampoline_kernelINS0_14default_configENS1_25partition_config_selectorILNS1_17partition_subalgoE1EsNS0_10empty_typeEbEEZZNS1_14partition_implILS5_1ELb0ES3_jN6thrust23THRUST_200600_302600_NS6detail15normal_iteratorINSA_10device_ptrIsEEEEPS6_NSA_18transform_iteratorI7is_evenIsESF_NSA_11use_defaultESK_EENS0_5tupleIJNSA_16discard_iteratorISK_EESF_EEENSM_IJSG_SG_EEES6_PlJS6_EEE10hipError_tPvRmT3_T4_T5_T6_T7_T9_mT8_P12ihipStream_tbDpT10_ENKUlT_T0_E_clISt17integral_constantIbLb0EES1B_EEDaS16_S17_EUlS16_E_NS1_11comp_targetILNS1_3genE5ELNS1_11target_archE942ELNS1_3gpuE9ELNS1_3repE0EEENS1_30default_config_static_selectorELNS0_4arch9wavefront6targetE1EEEvT1_
	.globl	_ZN7rocprim17ROCPRIM_400000_NS6detail17trampoline_kernelINS0_14default_configENS1_25partition_config_selectorILNS1_17partition_subalgoE1EsNS0_10empty_typeEbEEZZNS1_14partition_implILS5_1ELb0ES3_jN6thrust23THRUST_200600_302600_NS6detail15normal_iteratorINSA_10device_ptrIsEEEEPS6_NSA_18transform_iteratorI7is_evenIsESF_NSA_11use_defaultESK_EENS0_5tupleIJNSA_16discard_iteratorISK_EESF_EEENSM_IJSG_SG_EEES6_PlJS6_EEE10hipError_tPvRmT3_T4_T5_T6_T7_T9_mT8_P12ihipStream_tbDpT10_ENKUlT_T0_E_clISt17integral_constantIbLb0EES1B_EEDaS16_S17_EUlS16_E_NS1_11comp_targetILNS1_3genE5ELNS1_11target_archE942ELNS1_3gpuE9ELNS1_3repE0EEENS1_30default_config_static_selectorELNS0_4arch9wavefront6targetE1EEEvT1_
	.p2align	8
	.type	_ZN7rocprim17ROCPRIM_400000_NS6detail17trampoline_kernelINS0_14default_configENS1_25partition_config_selectorILNS1_17partition_subalgoE1EsNS0_10empty_typeEbEEZZNS1_14partition_implILS5_1ELb0ES3_jN6thrust23THRUST_200600_302600_NS6detail15normal_iteratorINSA_10device_ptrIsEEEEPS6_NSA_18transform_iteratorI7is_evenIsESF_NSA_11use_defaultESK_EENS0_5tupleIJNSA_16discard_iteratorISK_EESF_EEENSM_IJSG_SG_EEES6_PlJS6_EEE10hipError_tPvRmT3_T4_T5_T6_T7_T9_mT8_P12ihipStream_tbDpT10_ENKUlT_T0_E_clISt17integral_constantIbLb0EES1B_EEDaS16_S17_EUlS16_E_NS1_11comp_targetILNS1_3genE5ELNS1_11target_archE942ELNS1_3gpuE9ELNS1_3repE0EEENS1_30default_config_static_selectorELNS0_4arch9wavefront6targetE1EEEvT1_,@function
_ZN7rocprim17ROCPRIM_400000_NS6detail17trampoline_kernelINS0_14default_configENS1_25partition_config_selectorILNS1_17partition_subalgoE1EsNS0_10empty_typeEbEEZZNS1_14partition_implILS5_1ELb0ES3_jN6thrust23THRUST_200600_302600_NS6detail15normal_iteratorINSA_10device_ptrIsEEEEPS6_NSA_18transform_iteratorI7is_evenIsESF_NSA_11use_defaultESK_EENS0_5tupleIJNSA_16discard_iteratorISK_EESF_EEENSM_IJSG_SG_EEES6_PlJS6_EEE10hipError_tPvRmT3_T4_T5_T6_T7_T9_mT8_P12ihipStream_tbDpT10_ENKUlT_T0_E_clISt17integral_constantIbLb0EES1B_EEDaS16_S17_EUlS16_E_NS1_11comp_targetILNS1_3genE5ELNS1_11target_archE942ELNS1_3gpuE9ELNS1_3repE0EEENS1_30default_config_static_selectorELNS0_4arch9wavefront6targetE1EEEvT1_: ; @_ZN7rocprim17ROCPRIM_400000_NS6detail17trampoline_kernelINS0_14default_configENS1_25partition_config_selectorILNS1_17partition_subalgoE1EsNS0_10empty_typeEbEEZZNS1_14partition_implILS5_1ELb0ES3_jN6thrust23THRUST_200600_302600_NS6detail15normal_iteratorINSA_10device_ptrIsEEEEPS6_NSA_18transform_iteratorI7is_evenIsESF_NSA_11use_defaultESK_EENS0_5tupleIJNSA_16discard_iteratorISK_EESF_EEENSM_IJSG_SG_EEES6_PlJS6_EEE10hipError_tPvRmT3_T4_T5_T6_T7_T9_mT8_P12ihipStream_tbDpT10_ENKUlT_T0_E_clISt17integral_constantIbLb0EES1B_EEDaS16_S17_EUlS16_E_NS1_11comp_targetILNS1_3genE5ELNS1_11target_archE942ELNS1_3gpuE9ELNS1_3repE0EEENS1_30default_config_static_selectorELNS0_4arch9wavefront6targetE1EEEvT1_
; %bb.0:
	.section	.rodata,"a",@progbits
	.p2align	6, 0x0
	.amdhsa_kernel _ZN7rocprim17ROCPRIM_400000_NS6detail17trampoline_kernelINS0_14default_configENS1_25partition_config_selectorILNS1_17partition_subalgoE1EsNS0_10empty_typeEbEEZZNS1_14partition_implILS5_1ELb0ES3_jN6thrust23THRUST_200600_302600_NS6detail15normal_iteratorINSA_10device_ptrIsEEEEPS6_NSA_18transform_iteratorI7is_evenIsESF_NSA_11use_defaultESK_EENS0_5tupleIJNSA_16discard_iteratorISK_EESF_EEENSM_IJSG_SG_EEES6_PlJS6_EEE10hipError_tPvRmT3_T4_T5_T6_T7_T9_mT8_P12ihipStream_tbDpT10_ENKUlT_T0_E_clISt17integral_constantIbLb0EES1B_EEDaS16_S17_EUlS16_E_NS1_11comp_targetILNS1_3genE5ELNS1_11target_archE942ELNS1_3gpuE9ELNS1_3repE0EEENS1_30default_config_static_selectorELNS0_4arch9wavefront6targetE1EEEvT1_
		.amdhsa_group_segment_fixed_size 0
		.amdhsa_private_segment_fixed_size 0
		.amdhsa_kernarg_size 136
		.amdhsa_user_sgpr_count 6
		.amdhsa_user_sgpr_private_segment_buffer 1
		.amdhsa_user_sgpr_dispatch_ptr 0
		.amdhsa_user_sgpr_queue_ptr 0
		.amdhsa_user_sgpr_kernarg_segment_ptr 1
		.amdhsa_user_sgpr_dispatch_id 0
		.amdhsa_user_sgpr_flat_scratch_init 0
		.amdhsa_user_sgpr_kernarg_preload_length 0
		.amdhsa_user_sgpr_kernarg_preload_offset 0
		.amdhsa_user_sgpr_private_segment_size 0
		.amdhsa_uses_dynamic_stack 0
		.amdhsa_system_sgpr_private_segment_wavefront_offset 0
		.amdhsa_system_sgpr_workgroup_id_x 1
		.amdhsa_system_sgpr_workgroup_id_y 0
		.amdhsa_system_sgpr_workgroup_id_z 0
		.amdhsa_system_sgpr_workgroup_info 0
		.amdhsa_system_vgpr_workitem_id 0
		.amdhsa_next_free_vgpr 1
		.amdhsa_next_free_sgpr 0
		.amdhsa_accum_offset 4
		.amdhsa_reserve_vcc 0
		.amdhsa_reserve_flat_scratch 0
		.amdhsa_float_round_mode_32 0
		.amdhsa_float_round_mode_16_64 0
		.amdhsa_float_denorm_mode_32 3
		.amdhsa_float_denorm_mode_16_64 3
		.amdhsa_dx10_clamp 1
		.amdhsa_ieee_mode 1
		.amdhsa_fp16_overflow 0
		.amdhsa_tg_split 0
		.amdhsa_exception_fp_ieee_invalid_op 0
		.amdhsa_exception_fp_denorm_src 0
		.amdhsa_exception_fp_ieee_div_zero 0
		.amdhsa_exception_fp_ieee_overflow 0
		.amdhsa_exception_fp_ieee_underflow 0
		.amdhsa_exception_fp_ieee_inexact 0
		.amdhsa_exception_int_div_zero 0
	.end_amdhsa_kernel
	.section	.text._ZN7rocprim17ROCPRIM_400000_NS6detail17trampoline_kernelINS0_14default_configENS1_25partition_config_selectorILNS1_17partition_subalgoE1EsNS0_10empty_typeEbEEZZNS1_14partition_implILS5_1ELb0ES3_jN6thrust23THRUST_200600_302600_NS6detail15normal_iteratorINSA_10device_ptrIsEEEEPS6_NSA_18transform_iteratorI7is_evenIsESF_NSA_11use_defaultESK_EENS0_5tupleIJNSA_16discard_iteratorISK_EESF_EEENSM_IJSG_SG_EEES6_PlJS6_EEE10hipError_tPvRmT3_T4_T5_T6_T7_T9_mT8_P12ihipStream_tbDpT10_ENKUlT_T0_E_clISt17integral_constantIbLb0EES1B_EEDaS16_S17_EUlS16_E_NS1_11comp_targetILNS1_3genE5ELNS1_11target_archE942ELNS1_3gpuE9ELNS1_3repE0EEENS1_30default_config_static_selectorELNS0_4arch9wavefront6targetE1EEEvT1_,"axG",@progbits,_ZN7rocprim17ROCPRIM_400000_NS6detail17trampoline_kernelINS0_14default_configENS1_25partition_config_selectorILNS1_17partition_subalgoE1EsNS0_10empty_typeEbEEZZNS1_14partition_implILS5_1ELb0ES3_jN6thrust23THRUST_200600_302600_NS6detail15normal_iteratorINSA_10device_ptrIsEEEEPS6_NSA_18transform_iteratorI7is_evenIsESF_NSA_11use_defaultESK_EENS0_5tupleIJNSA_16discard_iteratorISK_EESF_EEENSM_IJSG_SG_EEES6_PlJS6_EEE10hipError_tPvRmT3_T4_T5_T6_T7_T9_mT8_P12ihipStream_tbDpT10_ENKUlT_T0_E_clISt17integral_constantIbLb0EES1B_EEDaS16_S17_EUlS16_E_NS1_11comp_targetILNS1_3genE5ELNS1_11target_archE942ELNS1_3gpuE9ELNS1_3repE0EEENS1_30default_config_static_selectorELNS0_4arch9wavefront6targetE1EEEvT1_,comdat
.Lfunc_end3420:
	.size	_ZN7rocprim17ROCPRIM_400000_NS6detail17trampoline_kernelINS0_14default_configENS1_25partition_config_selectorILNS1_17partition_subalgoE1EsNS0_10empty_typeEbEEZZNS1_14partition_implILS5_1ELb0ES3_jN6thrust23THRUST_200600_302600_NS6detail15normal_iteratorINSA_10device_ptrIsEEEEPS6_NSA_18transform_iteratorI7is_evenIsESF_NSA_11use_defaultESK_EENS0_5tupleIJNSA_16discard_iteratorISK_EESF_EEENSM_IJSG_SG_EEES6_PlJS6_EEE10hipError_tPvRmT3_T4_T5_T6_T7_T9_mT8_P12ihipStream_tbDpT10_ENKUlT_T0_E_clISt17integral_constantIbLb0EES1B_EEDaS16_S17_EUlS16_E_NS1_11comp_targetILNS1_3genE5ELNS1_11target_archE942ELNS1_3gpuE9ELNS1_3repE0EEENS1_30default_config_static_selectorELNS0_4arch9wavefront6targetE1EEEvT1_, .Lfunc_end3420-_ZN7rocprim17ROCPRIM_400000_NS6detail17trampoline_kernelINS0_14default_configENS1_25partition_config_selectorILNS1_17partition_subalgoE1EsNS0_10empty_typeEbEEZZNS1_14partition_implILS5_1ELb0ES3_jN6thrust23THRUST_200600_302600_NS6detail15normal_iteratorINSA_10device_ptrIsEEEEPS6_NSA_18transform_iteratorI7is_evenIsESF_NSA_11use_defaultESK_EENS0_5tupleIJNSA_16discard_iteratorISK_EESF_EEENSM_IJSG_SG_EEES6_PlJS6_EEE10hipError_tPvRmT3_T4_T5_T6_T7_T9_mT8_P12ihipStream_tbDpT10_ENKUlT_T0_E_clISt17integral_constantIbLb0EES1B_EEDaS16_S17_EUlS16_E_NS1_11comp_targetILNS1_3genE5ELNS1_11target_archE942ELNS1_3gpuE9ELNS1_3repE0EEENS1_30default_config_static_selectorELNS0_4arch9wavefront6targetE1EEEvT1_
                                        ; -- End function
	.section	.AMDGPU.csdata,"",@progbits
; Kernel info:
; codeLenInByte = 0
; NumSgprs: 4
; NumVgprs: 0
; NumAgprs: 0
; TotalNumVgprs: 0
; ScratchSize: 0
; MemoryBound: 0
; FloatMode: 240
; IeeeMode: 1
; LDSByteSize: 0 bytes/workgroup (compile time only)
; SGPRBlocks: 0
; VGPRBlocks: 0
; NumSGPRsForWavesPerEU: 4
; NumVGPRsForWavesPerEU: 1
; AccumOffset: 4
; Occupancy: 8
; WaveLimiterHint : 0
; COMPUTE_PGM_RSRC2:SCRATCH_EN: 0
; COMPUTE_PGM_RSRC2:USER_SGPR: 6
; COMPUTE_PGM_RSRC2:TRAP_HANDLER: 0
; COMPUTE_PGM_RSRC2:TGID_X_EN: 1
; COMPUTE_PGM_RSRC2:TGID_Y_EN: 0
; COMPUTE_PGM_RSRC2:TGID_Z_EN: 0
; COMPUTE_PGM_RSRC2:TIDIG_COMP_CNT: 0
; COMPUTE_PGM_RSRC3_GFX90A:ACCUM_OFFSET: 0
; COMPUTE_PGM_RSRC3_GFX90A:TG_SPLIT: 0
	.section	.text._ZN7rocprim17ROCPRIM_400000_NS6detail17trampoline_kernelINS0_14default_configENS1_25partition_config_selectorILNS1_17partition_subalgoE1EsNS0_10empty_typeEbEEZZNS1_14partition_implILS5_1ELb0ES3_jN6thrust23THRUST_200600_302600_NS6detail15normal_iteratorINSA_10device_ptrIsEEEEPS6_NSA_18transform_iteratorI7is_evenIsESF_NSA_11use_defaultESK_EENS0_5tupleIJNSA_16discard_iteratorISK_EESF_EEENSM_IJSG_SG_EEES6_PlJS6_EEE10hipError_tPvRmT3_T4_T5_T6_T7_T9_mT8_P12ihipStream_tbDpT10_ENKUlT_T0_E_clISt17integral_constantIbLb0EES1B_EEDaS16_S17_EUlS16_E_NS1_11comp_targetILNS1_3genE4ELNS1_11target_archE910ELNS1_3gpuE8ELNS1_3repE0EEENS1_30default_config_static_selectorELNS0_4arch9wavefront6targetE1EEEvT1_,"axG",@progbits,_ZN7rocprim17ROCPRIM_400000_NS6detail17trampoline_kernelINS0_14default_configENS1_25partition_config_selectorILNS1_17partition_subalgoE1EsNS0_10empty_typeEbEEZZNS1_14partition_implILS5_1ELb0ES3_jN6thrust23THRUST_200600_302600_NS6detail15normal_iteratorINSA_10device_ptrIsEEEEPS6_NSA_18transform_iteratorI7is_evenIsESF_NSA_11use_defaultESK_EENS0_5tupleIJNSA_16discard_iteratorISK_EESF_EEENSM_IJSG_SG_EEES6_PlJS6_EEE10hipError_tPvRmT3_T4_T5_T6_T7_T9_mT8_P12ihipStream_tbDpT10_ENKUlT_T0_E_clISt17integral_constantIbLb0EES1B_EEDaS16_S17_EUlS16_E_NS1_11comp_targetILNS1_3genE4ELNS1_11target_archE910ELNS1_3gpuE8ELNS1_3repE0EEENS1_30default_config_static_selectorELNS0_4arch9wavefront6targetE1EEEvT1_,comdat
	.protected	_ZN7rocprim17ROCPRIM_400000_NS6detail17trampoline_kernelINS0_14default_configENS1_25partition_config_selectorILNS1_17partition_subalgoE1EsNS0_10empty_typeEbEEZZNS1_14partition_implILS5_1ELb0ES3_jN6thrust23THRUST_200600_302600_NS6detail15normal_iteratorINSA_10device_ptrIsEEEEPS6_NSA_18transform_iteratorI7is_evenIsESF_NSA_11use_defaultESK_EENS0_5tupleIJNSA_16discard_iteratorISK_EESF_EEENSM_IJSG_SG_EEES6_PlJS6_EEE10hipError_tPvRmT3_T4_T5_T6_T7_T9_mT8_P12ihipStream_tbDpT10_ENKUlT_T0_E_clISt17integral_constantIbLb0EES1B_EEDaS16_S17_EUlS16_E_NS1_11comp_targetILNS1_3genE4ELNS1_11target_archE910ELNS1_3gpuE8ELNS1_3repE0EEENS1_30default_config_static_selectorELNS0_4arch9wavefront6targetE1EEEvT1_ ; -- Begin function _ZN7rocprim17ROCPRIM_400000_NS6detail17trampoline_kernelINS0_14default_configENS1_25partition_config_selectorILNS1_17partition_subalgoE1EsNS0_10empty_typeEbEEZZNS1_14partition_implILS5_1ELb0ES3_jN6thrust23THRUST_200600_302600_NS6detail15normal_iteratorINSA_10device_ptrIsEEEEPS6_NSA_18transform_iteratorI7is_evenIsESF_NSA_11use_defaultESK_EENS0_5tupleIJNSA_16discard_iteratorISK_EESF_EEENSM_IJSG_SG_EEES6_PlJS6_EEE10hipError_tPvRmT3_T4_T5_T6_T7_T9_mT8_P12ihipStream_tbDpT10_ENKUlT_T0_E_clISt17integral_constantIbLb0EES1B_EEDaS16_S17_EUlS16_E_NS1_11comp_targetILNS1_3genE4ELNS1_11target_archE910ELNS1_3gpuE8ELNS1_3repE0EEENS1_30default_config_static_selectorELNS0_4arch9wavefront6targetE1EEEvT1_
	.globl	_ZN7rocprim17ROCPRIM_400000_NS6detail17trampoline_kernelINS0_14default_configENS1_25partition_config_selectorILNS1_17partition_subalgoE1EsNS0_10empty_typeEbEEZZNS1_14partition_implILS5_1ELb0ES3_jN6thrust23THRUST_200600_302600_NS6detail15normal_iteratorINSA_10device_ptrIsEEEEPS6_NSA_18transform_iteratorI7is_evenIsESF_NSA_11use_defaultESK_EENS0_5tupleIJNSA_16discard_iteratorISK_EESF_EEENSM_IJSG_SG_EEES6_PlJS6_EEE10hipError_tPvRmT3_T4_T5_T6_T7_T9_mT8_P12ihipStream_tbDpT10_ENKUlT_T0_E_clISt17integral_constantIbLb0EES1B_EEDaS16_S17_EUlS16_E_NS1_11comp_targetILNS1_3genE4ELNS1_11target_archE910ELNS1_3gpuE8ELNS1_3repE0EEENS1_30default_config_static_selectorELNS0_4arch9wavefront6targetE1EEEvT1_
	.p2align	8
	.type	_ZN7rocprim17ROCPRIM_400000_NS6detail17trampoline_kernelINS0_14default_configENS1_25partition_config_selectorILNS1_17partition_subalgoE1EsNS0_10empty_typeEbEEZZNS1_14partition_implILS5_1ELb0ES3_jN6thrust23THRUST_200600_302600_NS6detail15normal_iteratorINSA_10device_ptrIsEEEEPS6_NSA_18transform_iteratorI7is_evenIsESF_NSA_11use_defaultESK_EENS0_5tupleIJNSA_16discard_iteratorISK_EESF_EEENSM_IJSG_SG_EEES6_PlJS6_EEE10hipError_tPvRmT3_T4_T5_T6_T7_T9_mT8_P12ihipStream_tbDpT10_ENKUlT_T0_E_clISt17integral_constantIbLb0EES1B_EEDaS16_S17_EUlS16_E_NS1_11comp_targetILNS1_3genE4ELNS1_11target_archE910ELNS1_3gpuE8ELNS1_3repE0EEENS1_30default_config_static_selectorELNS0_4arch9wavefront6targetE1EEEvT1_,@function
_ZN7rocprim17ROCPRIM_400000_NS6detail17trampoline_kernelINS0_14default_configENS1_25partition_config_selectorILNS1_17partition_subalgoE1EsNS0_10empty_typeEbEEZZNS1_14partition_implILS5_1ELb0ES3_jN6thrust23THRUST_200600_302600_NS6detail15normal_iteratorINSA_10device_ptrIsEEEEPS6_NSA_18transform_iteratorI7is_evenIsESF_NSA_11use_defaultESK_EENS0_5tupleIJNSA_16discard_iteratorISK_EESF_EEENSM_IJSG_SG_EEES6_PlJS6_EEE10hipError_tPvRmT3_T4_T5_T6_T7_T9_mT8_P12ihipStream_tbDpT10_ENKUlT_T0_E_clISt17integral_constantIbLb0EES1B_EEDaS16_S17_EUlS16_E_NS1_11comp_targetILNS1_3genE4ELNS1_11target_archE910ELNS1_3gpuE8ELNS1_3repE0EEENS1_30default_config_static_selectorELNS0_4arch9wavefront6targetE1EEEvT1_: ; @_ZN7rocprim17ROCPRIM_400000_NS6detail17trampoline_kernelINS0_14default_configENS1_25partition_config_selectorILNS1_17partition_subalgoE1EsNS0_10empty_typeEbEEZZNS1_14partition_implILS5_1ELb0ES3_jN6thrust23THRUST_200600_302600_NS6detail15normal_iteratorINSA_10device_ptrIsEEEEPS6_NSA_18transform_iteratorI7is_evenIsESF_NSA_11use_defaultESK_EENS0_5tupleIJNSA_16discard_iteratorISK_EESF_EEENSM_IJSG_SG_EEES6_PlJS6_EEE10hipError_tPvRmT3_T4_T5_T6_T7_T9_mT8_P12ihipStream_tbDpT10_ENKUlT_T0_E_clISt17integral_constantIbLb0EES1B_EEDaS16_S17_EUlS16_E_NS1_11comp_targetILNS1_3genE4ELNS1_11target_archE910ELNS1_3gpuE8ELNS1_3repE0EEENS1_30default_config_static_selectorELNS0_4arch9wavefront6targetE1EEEvT1_
; %bb.0:
	s_load_dwordx2 s[0:1], s[4:5], 0x68
	s_load_dwordx4 s[24:27], s[4:5], 0x8
	s_load_dwordx2 s[2:3], s[4:5], 0x20
	s_load_dwordx4 s[20:23], s[4:5], 0x58
	s_mul_i32 s10, s6, 0x1400
	s_waitcnt lgkmcnt(0)
	v_mov_b32_e32 v3, s1
	s_load_dword s1, s[4:5], 0x80
	s_lshl_b64 s[8:9], s[26:27], 1
	s_add_u32 s7, s24, s8
	s_addc_u32 s12, s25, s9
	v_mov_b32_e32 v2, s0
	s_waitcnt lgkmcnt(0)
	s_add_i32 s13, s1, -1
	s_mulk_i32 s1, 0x1400
	s_add_i32 s11, s1, s26
	s_sub_i32 s33, s0, s11
	s_addk_i32 s33, 0x1400
	s_add_u32 s0, s26, s1
	s_addc_u32 s1, s27, 0
	s_cmp_eq_u32 s6, s13
	s_load_dwordx2 s[28:29], s[22:23], 0x0
	s_cselect_b64 s[22:23], -1, 0
	s_cmp_lg_u32 s6, s13
	s_mov_b32 s11, 0
	v_cmp_lt_u64_e32 vcc, s[0:1], v[2:3]
	s_cselect_b64 s[0:1], -1, 0
	s_or_b64 s[24:25], s[0:1], vcc
	s_lshl_b64 s[30:31], s[10:11], 1
	s_add_u32 s7, s7, s30
	s_addc_u32 s12, s12, s31
	s_mov_b64 s[0:1], -1
	s_and_b64 vcc, exec, s[24:25]
	v_lshlrev_b32_e32 v26, 1, v0
	s_cbranch_vccz .LBB3421_2
; %bb.1:
	v_mov_b32_e32 v1, s12
	v_add_co_u32_e32 v2, vcc, s7, v26
	v_addc_co_u32_e32 v3, vcc, 0, v1, vcc
	v_add_co_u32_e32 v4, vcc, 0x1000, v2
	v_addc_co_u32_e32 v5, vcc, 0, v3, vcc
	flat_load_ushort v1, v[2:3]
	flat_load_ushort v6, v[2:3] offset:512
	flat_load_ushort v7, v[2:3] offset:1024
	;; [unrolled: 1-line block ×7, first 2 shown]
	v_add_co_u32_e32 v2, vcc, 0x2000, v2
	v_addc_co_u32_e32 v3, vcc, 0, v3, vcc
	flat_load_ushort v13, v[4:5]
	flat_load_ushort v14, v[4:5] offset:512
	flat_load_ushort v15, v[4:5] offset:1024
	;; [unrolled: 1-line block ×7, first 2 shown]
	s_nop 0
	flat_load_ushort v4, v[2:3]
	flat_load_ushort v5, v[2:3] offset:512
	flat_load_ushort v21, v[2:3] offset:1024
	;; [unrolled: 1-line block ×3, first 2 shown]
	s_mov_b64 s[0:1], 0
	s_waitcnt vmcnt(0) lgkmcnt(0)
	ds_write_b16 v26, v1
	ds_write_b16 v26, v6 offset:512
	ds_write_b16 v26, v7 offset:1024
	;; [unrolled: 1-line block ×19, first 2 shown]
	s_waitcnt lgkmcnt(0)
	s_barrier
.LBB3421_2:
	s_andn2_b64 vcc, exec, s[0:1]
	v_cmp_gt_u32_e64 s[0:1], s33, v0
	s_cbranch_vccnz .LBB3421_44
; %bb.3:
                                        ; implicit-def: $vgpr1
	s_and_saveexec_b64 s[10:11], s[0:1]
	s_cbranch_execz .LBB3421_5
; %bb.4:
	v_mov_b32_e32 v1, s12
	v_add_co_u32_e32 v2, vcc, s7, v26
	v_addc_co_u32_e32 v3, vcc, 0, v1, vcc
	flat_load_ushort v1, v[2:3]
.LBB3421_5:
	s_or_b64 exec, exec, s[10:11]
	v_or_b32_e32 v2, 0x100, v0
	v_cmp_gt_u32_e32 vcc, s33, v2
                                        ; implicit-def: $vgpr2
	s_and_saveexec_b64 s[0:1], vcc
	s_cbranch_execz .LBB3421_7
; %bb.6:
	v_mov_b32_e32 v3, s12
	v_add_co_u32_e32 v2, vcc, s7, v26
	v_addc_co_u32_e32 v3, vcc, 0, v3, vcc
	flat_load_ushort v2, v[2:3] offset:512
.LBB3421_7:
	s_or_b64 exec, exec, s[0:1]
	v_or_b32_e32 v3, 0x200, v0
	v_cmp_gt_u32_e32 vcc, s33, v3
                                        ; implicit-def: $vgpr3
	s_and_saveexec_b64 s[0:1], vcc
	s_cbranch_execz .LBB3421_9
; %bb.8:
	v_mov_b32_e32 v3, s12
	v_add_co_u32_e32 v4, vcc, s7, v26
	v_addc_co_u32_e32 v5, vcc, 0, v3, vcc
	flat_load_ushort v3, v[4:5] offset:1024
.LBB3421_9:
	s_or_b64 exec, exec, s[0:1]
	v_or_b32_e32 v4, 0x300, v0
	v_cmp_gt_u32_e32 vcc, s33, v4
                                        ; implicit-def: $vgpr4
	s_and_saveexec_b64 s[0:1], vcc
	s_cbranch_execz .LBB3421_11
; %bb.10:
	v_mov_b32_e32 v5, s12
	v_add_co_u32_e32 v4, vcc, s7, v26
	v_addc_co_u32_e32 v5, vcc, 0, v5, vcc
	flat_load_ushort v4, v[4:5] offset:1536
.LBB3421_11:
	s_or_b64 exec, exec, s[0:1]
	v_or_b32_e32 v5, 0x400, v0
	v_cmp_gt_u32_e32 vcc, s33, v5
                                        ; implicit-def: $vgpr5
	s_and_saveexec_b64 s[0:1], vcc
	s_cbranch_execz .LBB3421_13
; %bb.12:
	v_mov_b32_e32 v5, s12
	v_add_co_u32_e32 v6, vcc, s7, v26
	v_addc_co_u32_e32 v7, vcc, 0, v5, vcc
	flat_load_ushort v5, v[6:7] offset:2048
.LBB3421_13:
	s_or_b64 exec, exec, s[0:1]
	v_or_b32_e32 v6, 0x500, v0
	v_cmp_gt_u32_e32 vcc, s33, v6
                                        ; implicit-def: $vgpr6
	s_and_saveexec_b64 s[0:1], vcc
	s_cbranch_execz .LBB3421_15
; %bb.14:
	v_mov_b32_e32 v7, s12
	v_add_co_u32_e32 v6, vcc, s7, v26
	v_addc_co_u32_e32 v7, vcc, 0, v7, vcc
	flat_load_ushort v6, v[6:7] offset:2560
.LBB3421_15:
	s_or_b64 exec, exec, s[0:1]
	v_or_b32_e32 v7, 0x600, v0
	v_cmp_gt_u32_e32 vcc, s33, v7
                                        ; implicit-def: $vgpr7
	s_and_saveexec_b64 s[0:1], vcc
	s_cbranch_execz .LBB3421_17
; %bb.16:
	v_mov_b32_e32 v7, s12
	v_add_co_u32_e32 v8, vcc, s7, v26
	v_addc_co_u32_e32 v9, vcc, 0, v7, vcc
	flat_load_ushort v7, v[8:9] offset:3072
.LBB3421_17:
	s_or_b64 exec, exec, s[0:1]
	v_or_b32_e32 v8, 0x700, v0
	v_cmp_gt_u32_e32 vcc, s33, v8
                                        ; implicit-def: $vgpr8
	s_and_saveexec_b64 s[0:1], vcc
	s_cbranch_execz .LBB3421_19
; %bb.18:
	v_mov_b32_e32 v9, s12
	v_add_co_u32_e32 v8, vcc, s7, v26
	v_addc_co_u32_e32 v9, vcc, 0, v9, vcc
	flat_load_ushort v8, v[8:9] offset:3584
.LBB3421_19:
	s_or_b64 exec, exec, s[0:1]
	v_or_b32_e32 v10, 0x800, v0
	v_cmp_gt_u32_e32 vcc, s33, v10
                                        ; implicit-def: $vgpr9
	s_and_saveexec_b64 s[0:1], vcc
	s_cbranch_execz .LBB3421_21
; %bb.20:
	v_lshlrev_b32_e32 v9, 1, v10
	v_mov_b32_e32 v11, s12
	v_add_co_u32_e32 v10, vcc, s7, v9
	v_addc_co_u32_e32 v11, vcc, 0, v11, vcc
	flat_load_ushort v9, v[10:11]
.LBB3421_21:
	s_or_b64 exec, exec, s[0:1]
	v_or_b32_e32 v11, 0x900, v0
	v_cmp_gt_u32_e32 vcc, s33, v11
                                        ; implicit-def: $vgpr10
	s_and_saveexec_b64 s[0:1], vcc
	s_cbranch_execz .LBB3421_23
; %bb.22:
	v_lshlrev_b32_e32 v10, 1, v11
	v_mov_b32_e32 v11, s12
	v_add_co_u32_e32 v10, vcc, s7, v10
	v_addc_co_u32_e32 v11, vcc, 0, v11, vcc
	flat_load_ushort v10, v[10:11]
.LBB3421_23:
	s_or_b64 exec, exec, s[0:1]
	v_or_b32_e32 v12, 0xa00, v0
	v_cmp_gt_u32_e32 vcc, s33, v12
                                        ; implicit-def: $vgpr11
	s_and_saveexec_b64 s[0:1], vcc
	s_cbranch_execz .LBB3421_25
; %bb.24:
	v_lshlrev_b32_e32 v11, 1, v12
	v_mov_b32_e32 v13, s12
	v_add_co_u32_e32 v12, vcc, s7, v11
	v_addc_co_u32_e32 v13, vcc, 0, v13, vcc
	flat_load_ushort v11, v[12:13]
.LBB3421_25:
	s_or_b64 exec, exec, s[0:1]
	v_or_b32_e32 v13, 0xb00, v0
	v_cmp_gt_u32_e32 vcc, s33, v13
                                        ; implicit-def: $vgpr12
	s_and_saveexec_b64 s[0:1], vcc
	s_cbranch_execz .LBB3421_27
; %bb.26:
	v_lshlrev_b32_e32 v12, 1, v13
	v_mov_b32_e32 v13, s12
	v_add_co_u32_e32 v12, vcc, s7, v12
	v_addc_co_u32_e32 v13, vcc, 0, v13, vcc
	flat_load_ushort v12, v[12:13]
.LBB3421_27:
	s_or_b64 exec, exec, s[0:1]
	v_or_b32_e32 v14, 0xc00, v0
	v_cmp_gt_u32_e32 vcc, s33, v14
                                        ; implicit-def: $vgpr13
	s_and_saveexec_b64 s[0:1], vcc
	s_cbranch_execz .LBB3421_29
; %bb.28:
	v_lshlrev_b32_e32 v13, 1, v14
	v_mov_b32_e32 v15, s12
	v_add_co_u32_e32 v14, vcc, s7, v13
	v_addc_co_u32_e32 v15, vcc, 0, v15, vcc
	flat_load_ushort v13, v[14:15]
.LBB3421_29:
	s_or_b64 exec, exec, s[0:1]
	v_or_b32_e32 v15, 0xd00, v0
	v_cmp_gt_u32_e32 vcc, s33, v15
                                        ; implicit-def: $vgpr14
	s_and_saveexec_b64 s[0:1], vcc
	s_cbranch_execz .LBB3421_31
; %bb.30:
	v_lshlrev_b32_e32 v14, 1, v15
	v_mov_b32_e32 v15, s12
	v_add_co_u32_e32 v14, vcc, s7, v14
	v_addc_co_u32_e32 v15, vcc, 0, v15, vcc
	flat_load_ushort v14, v[14:15]
.LBB3421_31:
	s_or_b64 exec, exec, s[0:1]
	v_or_b32_e32 v16, 0xe00, v0
	v_cmp_gt_u32_e32 vcc, s33, v16
                                        ; implicit-def: $vgpr15
	s_and_saveexec_b64 s[0:1], vcc
	s_cbranch_execz .LBB3421_33
; %bb.32:
	v_lshlrev_b32_e32 v15, 1, v16
	v_mov_b32_e32 v17, s12
	v_add_co_u32_e32 v16, vcc, s7, v15
	v_addc_co_u32_e32 v17, vcc, 0, v17, vcc
	flat_load_ushort v15, v[16:17]
.LBB3421_33:
	s_or_b64 exec, exec, s[0:1]
	v_or_b32_e32 v17, 0xf00, v0
	v_cmp_gt_u32_e32 vcc, s33, v17
                                        ; implicit-def: $vgpr16
	s_and_saveexec_b64 s[0:1], vcc
	s_cbranch_execz .LBB3421_35
; %bb.34:
	v_lshlrev_b32_e32 v16, 1, v17
	v_mov_b32_e32 v17, s12
	v_add_co_u32_e32 v16, vcc, s7, v16
	v_addc_co_u32_e32 v17, vcc, 0, v17, vcc
	flat_load_ushort v16, v[16:17]
.LBB3421_35:
	s_or_b64 exec, exec, s[0:1]
	v_or_b32_e32 v18, 0x1000, v0
	v_cmp_gt_u32_e32 vcc, s33, v18
                                        ; implicit-def: $vgpr17
	s_and_saveexec_b64 s[0:1], vcc
	s_cbranch_execz .LBB3421_37
; %bb.36:
	v_lshlrev_b32_e32 v17, 1, v18
	v_mov_b32_e32 v19, s12
	v_add_co_u32_e32 v18, vcc, s7, v17
	v_addc_co_u32_e32 v19, vcc, 0, v19, vcc
	flat_load_ushort v17, v[18:19]
.LBB3421_37:
	s_or_b64 exec, exec, s[0:1]
	v_or_b32_e32 v19, 0x1100, v0
	v_cmp_gt_u32_e32 vcc, s33, v19
                                        ; implicit-def: $vgpr18
	s_and_saveexec_b64 s[0:1], vcc
	s_cbranch_execz .LBB3421_39
; %bb.38:
	v_lshlrev_b32_e32 v18, 1, v19
	v_mov_b32_e32 v19, s12
	v_add_co_u32_e32 v18, vcc, s7, v18
	v_addc_co_u32_e32 v19, vcc, 0, v19, vcc
	flat_load_ushort v18, v[18:19]
.LBB3421_39:
	s_or_b64 exec, exec, s[0:1]
	v_or_b32_e32 v20, 0x1200, v0
	v_cmp_gt_u32_e32 vcc, s33, v20
                                        ; implicit-def: $vgpr19
	s_and_saveexec_b64 s[0:1], vcc
	s_cbranch_execz .LBB3421_41
; %bb.40:
	v_lshlrev_b32_e32 v19, 1, v20
	v_mov_b32_e32 v21, s12
	v_add_co_u32_e32 v20, vcc, s7, v19
	v_addc_co_u32_e32 v21, vcc, 0, v21, vcc
	flat_load_ushort v19, v[20:21]
.LBB3421_41:
	s_or_b64 exec, exec, s[0:1]
	v_or_b32_e32 v21, 0x1300, v0
	v_cmp_gt_u32_e32 vcc, s33, v21
                                        ; implicit-def: $vgpr20
	s_and_saveexec_b64 s[0:1], vcc
	s_cbranch_execz .LBB3421_43
; %bb.42:
	v_lshlrev_b32_e32 v20, 1, v21
	v_mov_b32_e32 v21, s12
	v_add_co_u32_e32 v20, vcc, s7, v20
	v_addc_co_u32_e32 v21, vcc, 0, v21, vcc
	flat_load_ushort v20, v[20:21]
.LBB3421_43:
	s_or_b64 exec, exec, s[0:1]
	s_waitcnt vmcnt(0) lgkmcnt(0)
	ds_write_b16 v26, v1
	ds_write_b16 v26, v2 offset:512
	ds_write_b16 v26, v3 offset:1024
	;; [unrolled: 1-line block ×19, first 2 shown]
	s_waitcnt lgkmcnt(0)
	s_barrier
.LBB3421_44:
	v_mul_u32_u24_e32 v1, 20, v0
	v_lshlrev_b32_e32 v6, 1, v1
	s_waitcnt lgkmcnt(0)
	ds_read_b64 v[10:11], v6 offset:32
	ds_read2_b64 v[2:5], v6 offset0:2 offset1:3
	ds_read2_b64 v[6:9], v6 offset1:1
	s_add_u32 s0, s2, s8
	s_addc_u32 s1, s3, s9
	s_add_u32 s0, s0, s30
	s_addc_u32 s1, s1, s31
	s_mov_b64 s[2:3], -1
	s_and_b64 vcc, exec, s[24:25]
	s_waitcnt lgkmcnt(0)
	s_barrier
	s_cbranch_vccz .LBB3421_46
; %bb.45:
	v_mov_b32_e32 v12, s1
	v_add_co_u32_e32 v14, vcc, s0, v26
	s_movk_i32 s2, 0x1000
	v_addc_co_u32_e32 v15, vcc, 0, v12, vcc
	v_add_co_u32_e32 v12, vcc, s2, v14
	s_movk_i32 s3, 0x2000
	v_addc_co_u32_e32 v13, vcc, 0, v15, vcc
	global_load_ubyte v16, v26, s[0:1]
	global_load_ubyte v17, v26, s[0:1] offset:512
	global_load_ubyte v18, v26, s[0:1] offset:1024
	;; [unrolled: 1-line block ×7, first 2 shown]
	v_add_co_u32_e32 v14, vcc, s3, v14
	v_addc_co_u32_e32 v15, vcc, 0, v15, vcc
	global_load_ubyte v24, v[14:15], off offset:-4096
	global_load_ubyte v25, v[12:13], off offset:512
	global_load_ubyte v27, v[12:13], off offset:1024
	;; [unrolled: 1-line block ×7, first 2 shown]
	global_load_ubyte v33, v[14:15], off
	global_load_ubyte v34, v[14:15], off offset:512
	global_load_ubyte v35, v[14:15], off offset:1024
	global_load_ubyte v36, v[14:15], off offset:1536
	s_mov_b64 s[2:3], 0
	s_waitcnt vmcnt(19)
	v_xor_b32_e32 v12, -1, v16
	s_waitcnt vmcnt(18)
	v_xor_b32_e32 v13, -1, v17
	;; [unrolled: 2-line block ×8, first 2 shown]
	v_and_b32_e32 v12, 1, v12
	v_and_b32_e32 v13, 1, v13
	;; [unrolled: 1-line block ×8, first 2 shown]
	ds_write_b8 v0, v12
	ds_write_b8 v0, v13 offset:256
	ds_write_b8 v0, v14 offset:512
	ds_write_b8 v0, v15 offset:768
	ds_write_b8 v0, v16 offset:1024
	ds_write_b8 v0, v17 offset:1280
	ds_write_b8 v0, v18 offset:1536
	ds_write_b8 v0, v19 offset:1792
	s_waitcnt vmcnt(11)
	v_xor_b32_e32 v12, -1, v24
	s_waitcnt vmcnt(10)
	v_xor_b32_e32 v13, -1, v25
	;; [unrolled: 2-line block ×12, first 2 shown]
	v_and_b32_e32 v12, 1, v12
	v_and_b32_e32 v13, 1, v13
	;; [unrolled: 1-line block ×12, first 2 shown]
	ds_write_b8 v0, v12 offset:2048
	ds_write_b8 v0, v13 offset:2304
	;; [unrolled: 1-line block ×12, first 2 shown]
	s_waitcnt lgkmcnt(0)
	s_barrier
.LBB3421_46:
	s_load_dwordx2 s[34:35], s[4:5], 0x78
	s_andn2_b64 vcc, exec, s[2:3]
	s_cbranch_vccnz .LBB3421_88
; %bb.47:
	v_cmp_gt_u32_e32 vcc, s33, v0
	v_mov_b32_e32 v12, 0
	v_mov_b32_e32 v13, 0
	s_and_saveexec_b64 s[2:3], vcc
	s_cbranch_execz .LBB3421_49
; %bb.48:
	global_load_ubyte v13, v26, s[0:1]
	s_waitcnt vmcnt(0)
	v_xor_b32_e32 v13, -1, v13
	v_and_b32_e32 v13, 1, v13
.LBB3421_49:
	s_or_b64 exec, exec, s[2:3]
	v_or_b32_e32 v14, 0x100, v0
	v_cmp_gt_u32_e32 vcc, s33, v14
	s_and_saveexec_b64 s[2:3], vcc
	s_cbranch_execz .LBB3421_51
; %bb.50:
	global_load_ubyte v12, v26, s[0:1] offset:512
	s_waitcnt vmcnt(0)
	v_xor_b32_e32 v12, -1, v12
	v_and_b32_e32 v12, 1, v12
.LBB3421_51:
	s_or_b64 exec, exec, s[2:3]
	v_or_b32_e32 v14, 0x200, v0
	v_cmp_gt_u32_e32 vcc, s33, v14
	v_mov_b32_e32 v14, 0
	v_mov_b32_e32 v15, 0
	s_and_saveexec_b64 s[2:3], vcc
	s_cbranch_execz .LBB3421_53
; %bb.52:
	global_load_ubyte v15, v26, s[0:1] offset:1024
	s_waitcnt vmcnt(0)
	v_xor_b32_e32 v15, -1, v15
	v_and_b32_e32 v15, 1, v15
.LBB3421_53:
	s_or_b64 exec, exec, s[2:3]
	v_or_b32_e32 v16, 0x300, v0
	v_cmp_gt_u32_e32 vcc, s33, v16
	s_and_saveexec_b64 s[2:3], vcc
	s_cbranch_execz .LBB3421_55
; %bb.54:
	global_load_ubyte v14, v26, s[0:1] offset:1536
	s_waitcnt vmcnt(0)
	v_xor_b32_e32 v14, -1, v14
	v_and_b32_e32 v14, 1, v14
.LBB3421_55:
	s_or_b64 exec, exec, s[2:3]
	v_or_b32_e32 v16, 0x400, v0
	v_cmp_gt_u32_e32 vcc, s33, v16
	v_mov_b32_e32 v16, 0
	v_mov_b32_e32 v17, 0
	s_and_saveexec_b64 s[2:3], vcc
	s_cbranch_execz .LBB3421_57
; %bb.56:
	global_load_ubyte v17, v26, s[0:1] offset:2048
	s_waitcnt vmcnt(0)
	v_xor_b32_e32 v17, -1, v17
	v_and_b32_e32 v17, 1, v17
.LBB3421_57:
	s_or_b64 exec, exec, s[2:3]
	v_or_b32_e32 v18, 0x500, v0
	v_cmp_gt_u32_e32 vcc, s33, v18
	s_and_saveexec_b64 s[2:3], vcc
	s_cbranch_execz .LBB3421_59
; %bb.58:
	global_load_ubyte v16, v26, s[0:1] offset:2560
	s_waitcnt vmcnt(0)
	v_xor_b32_e32 v16, -1, v16
	v_and_b32_e32 v16, 1, v16
.LBB3421_59:
	s_or_b64 exec, exec, s[2:3]
	v_or_b32_e32 v18, 0x600, v0
	v_cmp_gt_u32_e32 vcc, s33, v18
	v_mov_b32_e32 v18, 0
	v_mov_b32_e32 v19, 0
	s_and_saveexec_b64 s[2:3], vcc
	s_cbranch_execz .LBB3421_61
; %bb.60:
	global_load_ubyte v19, v26, s[0:1] offset:3072
	s_waitcnt vmcnt(0)
	v_xor_b32_e32 v19, -1, v19
	v_and_b32_e32 v19, 1, v19
.LBB3421_61:
	s_or_b64 exec, exec, s[2:3]
	v_or_b32_e32 v20, 0x700, v0
	v_cmp_gt_u32_e32 vcc, s33, v20
	s_and_saveexec_b64 s[2:3], vcc
	s_cbranch_execz .LBB3421_63
; %bb.62:
	global_load_ubyte v18, v26, s[0:1] offset:3584
	s_waitcnt vmcnt(0)
	v_xor_b32_e32 v18, -1, v18
	v_and_b32_e32 v18, 1, v18
.LBB3421_63:
	s_or_b64 exec, exec, s[2:3]
	v_or_b32_e32 v22, 0x800, v0
	v_cmp_gt_u32_e32 vcc, s33, v22
	v_mov_b32_e32 v20, 0
	v_mov_b32_e32 v21, 0
	s_and_saveexec_b64 s[2:3], vcc
	s_cbranch_execz .LBB3421_65
; %bb.64:
	v_lshlrev_b32_e32 v21, 1, v22
	global_load_ubyte v21, v21, s[0:1]
	s_waitcnt vmcnt(0)
	v_xor_b32_e32 v21, -1, v21
	v_and_b32_e32 v21, 1, v21
.LBB3421_65:
	s_or_b64 exec, exec, s[2:3]
	v_or_b32_e32 v22, 0x900, v0
	v_cmp_gt_u32_e32 vcc, s33, v22
	s_and_saveexec_b64 s[2:3], vcc
	s_cbranch_execz .LBB3421_67
; %bb.66:
	v_lshlrev_b32_e32 v20, 1, v22
	global_load_ubyte v20, v20, s[0:1]
	s_waitcnt vmcnt(0)
	v_xor_b32_e32 v20, -1, v20
	v_and_b32_e32 v20, 1, v20
.LBB3421_67:
	s_or_b64 exec, exec, s[2:3]
	v_or_b32_e32 v24, 0xa00, v0
	v_cmp_gt_u32_e32 vcc, s33, v24
	v_mov_b32_e32 v22, 0
	v_mov_b32_e32 v23, 0
	s_and_saveexec_b64 s[2:3], vcc
	s_cbranch_execz .LBB3421_69
; %bb.68:
	v_lshlrev_b32_e32 v23, 1, v24
	global_load_ubyte v23, v23, s[0:1]
	s_waitcnt vmcnt(0)
	v_xor_b32_e32 v23, -1, v23
	v_and_b32_e32 v23, 1, v23
.LBB3421_69:
	s_or_b64 exec, exec, s[2:3]
	v_or_b32_e32 v24, 0xb00, v0
	v_cmp_gt_u32_e32 vcc, s33, v24
	s_and_saveexec_b64 s[2:3], vcc
	s_cbranch_execz .LBB3421_71
; %bb.70:
	v_lshlrev_b32_e32 v22, 1, v24
	global_load_ubyte v22, v22, s[0:1]
	s_waitcnt vmcnt(0)
	v_xor_b32_e32 v22, -1, v22
	v_and_b32_e32 v22, 1, v22
.LBB3421_71:
	;; [unrolled: 26-line block ×6, first 2 shown]
	s_or_b64 exec, exec, s[2:3]
	ds_write_b8 v0, v13
	ds_write_b8 v0, v12 offset:256
	ds_write_b8 v0, v15 offset:512
	ds_write_b8 v0, v14 offset:768
	ds_write_b8 v0, v17 offset:1024
	ds_write_b8 v0, v16 offset:1280
	ds_write_b8 v0, v19 offset:1536
	ds_write_b8 v0, v18 offset:1792
	ds_write_b8 v0, v21 offset:2048
	ds_write_b8 v0, v20 offset:2304
	ds_write_b8 v0, v23 offset:2560
	ds_write_b8 v0, v22 offset:2816
	ds_write_b8 v0, v25 offset:3072
	ds_write_b8 v0, v24 offset:3328
	ds_write_b8 v0, v28 offset:3584
	ds_write_b8 v0, v27 offset:3840
	ds_write_b8 v0, v30 offset:4096
	ds_write_b8 v0, v29 offset:4352
	ds_write_b8 v0, v32 offset:4608
	ds_write_b8 v0, v31 offset:4864
	s_waitcnt lgkmcnt(0)
	s_barrier
.LBB3421_88:
	s_waitcnt lgkmcnt(0)
	ds_read2_b32 v[16:17], v1 offset1:1
	ds_read2_b32 v[14:15], v1 offset0:2 offset1:3
	ds_read_b32 v28, v1 offset:16
	s_cmp_lg_u32 s6, 0
	v_lshrrev_b32_e32 v47, 6, v0
	s_waitcnt lgkmcnt(2)
	v_lshrrev_b32_e32 v33, 24, v16
	v_bfe_u32 v45, v16, 16, 8
	v_add_u32_sdwa v12, v16, v16 dst_sel:DWORD dst_unused:UNUSED_PAD src0_sel:BYTE_1 src1_sel:BYTE_0
	v_and_b32_e32 v42, 0xff, v17
	v_bfe_u32 v43, v17, 8, 8
	v_add3_u32 v12, v12, v45, v33
	v_lshrrev_b32_e32 v32, 24, v17
	v_bfe_u32 v44, v17, 16, 8
	v_add3_u32 v12, v12, v42, v43
	s_waitcnt lgkmcnt(1)
	v_and_b32_e32 v39, 0xff, v14
	v_bfe_u32 v40, v14, 8, 8
	v_add3_u32 v12, v12, v44, v32
	v_lshrrev_b32_e32 v31, 24, v14
	v_bfe_u32 v41, v14, 16, 8
	v_add3_u32 v12, v12, v39, v40
	v_and_b32_e32 v36, 0xff, v15
	v_bfe_u32 v37, v15, 8, 8
	v_add3_u32 v12, v12, v41, v31
	v_lshrrev_b32_e32 v30, 24, v15
	v_bfe_u32 v38, v15, 16, 8
	v_add3_u32 v12, v12, v36, v37
	s_waitcnt lgkmcnt(0)
	v_and_b32_e32 v34, 0xff, v28
	v_bfe_u32 v35, v28, 8, 8
	v_add3_u32 v12, v12, v38, v30
	v_lshrrev_b32_e32 v27, 24, v28
	v_bfe_u32 v29, v28, 16, 8
	v_add3_u32 v12, v12, v34, v35
	v_add3_u32 v48, v12, v29, v27
	v_mbcnt_lo_u32_b32 v12, -1, 0
	v_mbcnt_hi_u32_b32 v46, -1, v12
	v_and_b32_e32 v12, 15, v46
	v_cmp_eq_u32_e64 s[14:15], 0, v12
	v_cmp_lt_u32_e64 s[12:13], 1, v12
	v_cmp_lt_u32_e64 s[10:11], 3, v12
	v_cmp_lt_u32_e64 s[8:9], 7, v12
	v_and_b32_e32 v12, 16, v46
	v_cmp_eq_u32_e64 s[18:19], 0, v12
	v_or_b32_e32 v12, 63, v0
	v_cmp_lt_u32_e64 s[0:1], 31, v46
	v_cmp_eq_u32_e64 s[2:3], v12, v0
	s_barrier
	s_cbranch_scc0 .LBB3421_115
; %bb.89:
	v_mov_b32_dpp v12, v48 row_shr:1 row_mask:0xf bank_mask:0xf
	v_cndmask_b32_e64 v12, v12, 0, s[14:15]
	v_add_u32_e32 v12, v12, v48
	s_nop 1
	v_mov_b32_dpp v13, v12 row_shr:2 row_mask:0xf bank_mask:0xf
	v_cndmask_b32_e64 v13, 0, v13, s[12:13]
	v_add_u32_e32 v12, v12, v13
	s_nop 1
	v_mov_b32_dpp v13, v12 row_shr:4 row_mask:0xf bank_mask:0xf
	v_cndmask_b32_e64 v13, 0, v13, s[10:11]
	v_add_u32_e32 v12, v12, v13
	s_nop 1
	v_mov_b32_dpp v13, v12 row_shr:8 row_mask:0xf bank_mask:0xf
	v_cndmask_b32_e64 v13, 0, v13, s[8:9]
	v_add_u32_e32 v12, v12, v13
	s_nop 1
	v_mov_b32_dpp v13, v12 row_bcast:15 row_mask:0xf bank_mask:0xf
	v_cndmask_b32_e64 v13, v13, 0, s[18:19]
	v_add_u32_e32 v12, v12, v13
	s_nop 1
	v_mov_b32_dpp v13, v12 row_bcast:31 row_mask:0xf bank_mask:0xf
	v_cndmask_b32_e64 v13, 0, v13, s[0:1]
	v_add_u32_e32 v12, v12, v13
	s_and_saveexec_b64 s[16:17], s[2:3]
	s_cbranch_execz .LBB3421_91
; %bb.90:
	v_lshlrev_b32_e32 v13, 2, v47
	ds_write_b32 v13, v12
.LBB3421_91:
	s_or_b64 exec, exec, s[16:17]
	v_cmp_gt_u32_e32 vcc, 4, v0
	s_waitcnt lgkmcnt(0)
	s_barrier
	s_and_saveexec_b64 s[16:17], vcc
	s_cbranch_execz .LBB3421_93
; %bb.92:
	v_lshlrev_b32_e32 v13, 2, v0
	ds_read_b32 v18, v13
	v_and_b32_e32 v19, 3, v46
	v_cmp_ne_u32_e32 vcc, 0, v19
	s_waitcnt lgkmcnt(0)
	v_mov_b32_dpp v20, v18 row_shr:1 row_mask:0xf bank_mask:0xf
	v_cndmask_b32_e32 v20, 0, v20, vcc
	v_add_u32_e32 v18, v20, v18
	v_cmp_lt_u32_e32 vcc, 1, v19
	s_nop 0
	v_mov_b32_dpp v20, v18 row_shr:2 row_mask:0xf bank_mask:0xf
	v_cndmask_b32_e32 v19, 0, v20, vcc
	v_add_u32_e32 v18, v18, v19
	ds_write_b32 v13, v18
.LBB3421_93:
	s_or_b64 exec, exec, s[16:17]
	v_cmp_gt_u32_e32 vcc, 64, v0
	v_cmp_lt_u32_e64 s[16:17], 63, v0
	s_waitcnt lgkmcnt(0)
	s_barrier
	s_waitcnt lgkmcnt(0)
                                        ; implicit-def: $vgpr49
	s_and_saveexec_b64 s[36:37], s[16:17]
	s_cbranch_execz .LBB3421_95
; %bb.94:
	v_lshl_add_u32 v13, v47, 2, -4
	ds_read_b32 v49, v13
	s_waitcnt lgkmcnt(0)
	v_add_u32_e32 v12, v49, v12
.LBB3421_95:
	s_or_b64 exec, exec, s[36:37]
	v_add_u32_e32 v13, -1, v46
	v_and_b32_e32 v18, 64, v46
	v_cmp_lt_i32_e64 s[16:17], v13, v18
	v_cndmask_b32_e64 v13, v13, v46, s[16:17]
	v_lshlrev_b32_e32 v13, 2, v13
	ds_bpermute_b32 v50, v13, v12
	v_cmp_eq_u32_e64 s[16:17], 0, v46
	s_and_saveexec_b64 s[36:37], vcc
	s_cbranch_execz .LBB3421_114
; %bb.96:
	v_mov_b32_e32 v23, 0
	ds_read_b32 v12, v23 offset:12
	s_and_saveexec_b64 s[38:39], s[16:17]
	s_cbranch_execz .LBB3421_98
; %bb.97:
	s_add_i32 s40, s6, 64
	s_mov_b32 s41, 0
	s_lshl_b64 s[40:41], s[40:41], 3
	s_add_u32 s40, s34, s40
	v_mov_b32_e32 v13, 1
	s_addc_u32 s41, s35, s41
	s_waitcnt lgkmcnt(0)
	global_store_dwordx2 v23, v[12:13], s[40:41]
.LBB3421_98:
	s_or_b64 exec, exec, s[38:39]
	v_xad_u32 v18, v46, -1, s6
	v_add_u32_e32 v22, 64, v18
	v_lshlrev_b64 v[20:21], 3, v[22:23]
	v_mov_b32_e32 v13, s35
	v_add_co_u32_e32 v24, vcc, s34, v20
	v_addc_co_u32_e32 v25, vcc, v13, v21, vcc
	global_load_dwordx2 v[20:21], v[24:25], off glc
	s_waitcnt vmcnt(0)
	v_cmp_eq_u16_sdwa s[40:41], v21, v23 src0_sel:BYTE_0 src1_sel:DWORD
	s_and_saveexec_b64 s[38:39], s[40:41]
	s_cbranch_execz .LBB3421_102
; %bb.99:
	s_mov_b64 s[40:41], 0
	v_mov_b32_e32 v13, 0
.LBB3421_100:                           ; =>This Inner Loop Header: Depth=1
	global_load_dwordx2 v[20:21], v[24:25], off glc
	s_waitcnt vmcnt(0)
	v_cmp_ne_u16_sdwa s[42:43], v21, v13 src0_sel:BYTE_0 src1_sel:DWORD
	s_or_b64 s[40:41], s[42:43], s[40:41]
	s_andn2_b64 exec, exec, s[40:41]
	s_cbranch_execnz .LBB3421_100
; %bb.101:
	s_or_b64 exec, exec, s[40:41]
.LBB3421_102:
	s_or_b64 exec, exec, s[38:39]
	v_and_b32_e32 v52, 63, v46
	v_mov_b32_e32 v51, 2
	v_cmp_ne_u32_e32 vcc, 63, v52
	v_cmp_eq_u16_sdwa s[38:39], v21, v51 src0_sel:BYTE_0 src1_sel:DWORD
	v_lshlrev_b64 v[22:23], v46, -1
	v_addc_co_u32_e32 v24, vcc, 0, v46, vcc
	v_and_b32_e32 v13, s39, v23
	v_lshlrev_b32_e32 v53, 2, v24
	v_or_b32_e32 v13, 0x80000000, v13
	ds_bpermute_b32 v24, v53, v20
	v_and_b32_e32 v19, s38, v22
	v_ffbl_b32_e32 v13, v13
	v_add_u32_e32 v13, 32, v13
	v_ffbl_b32_e32 v19, v19
	v_min_u32_e32 v13, v19, v13
	v_cmp_lt_u32_e32 vcc, v52, v13
	s_waitcnt lgkmcnt(0)
	v_cndmask_b32_e32 v19, 0, v24, vcc
	v_cmp_gt_u32_e32 vcc, 62, v52
	v_add_u32_e32 v19, v19, v20
	v_cndmask_b32_e64 v20, 0, 1, vcc
	v_lshlrev_b32_e32 v20, 1, v20
	v_add_lshl_u32 v54, v20, v46, 2
	ds_bpermute_b32 v20, v54, v19
	v_add_u32_e32 v55, 2, v52
	v_cmp_le_u32_e32 vcc, v55, v13
	v_add_u32_e32 v57, 4, v52
	v_add_u32_e32 v59, 8, v52
	s_waitcnt lgkmcnt(0)
	v_cndmask_b32_e32 v20, 0, v20, vcc
	v_cmp_gt_u32_e32 vcc, 60, v52
	v_add_u32_e32 v19, v19, v20
	v_cndmask_b32_e64 v20, 0, 1, vcc
	v_lshlrev_b32_e32 v20, 2, v20
	v_add_lshl_u32 v56, v20, v46, 2
	ds_bpermute_b32 v20, v56, v19
	v_cmp_le_u32_e32 vcc, v57, v13
	v_add_u32_e32 v61, 16, v52
	v_add_u32_e32 v63, 32, v52
	s_waitcnt lgkmcnt(0)
	v_cndmask_b32_e32 v20, 0, v20, vcc
	v_cmp_gt_u32_e32 vcc, 56, v52
	v_add_u32_e32 v19, v19, v20
	v_cndmask_b32_e64 v20, 0, 1, vcc
	v_lshlrev_b32_e32 v20, 3, v20
	v_add_lshl_u32 v58, v20, v46, 2
	ds_bpermute_b32 v20, v58, v19
	v_cmp_le_u32_e32 vcc, v59, v13
	s_waitcnt lgkmcnt(0)
	v_cndmask_b32_e32 v20, 0, v20, vcc
	v_cmp_gt_u32_e32 vcc, 48, v52
	v_add_u32_e32 v19, v19, v20
	v_cndmask_b32_e64 v20, 0, 1, vcc
	v_lshlrev_b32_e32 v20, 4, v20
	v_add_lshl_u32 v60, v20, v46, 2
	ds_bpermute_b32 v20, v60, v19
	v_cmp_le_u32_e32 vcc, v61, v13
	;; [unrolled: 9-line block ×3, first 2 shown]
	s_waitcnt lgkmcnt(0)
	v_cndmask_b32_e32 v13, 0, v20, vcc
	v_add_u32_e32 v20, v19, v13
	v_mov_b32_e32 v19, 0
	s_branch .LBB3421_104
.LBB3421_103:                           ;   in Loop: Header=BB3421_104 Depth=1
	s_or_b64 exec, exec, s[38:39]
	v_cmp_eq_u16_sdwa s[38:39], v21, v51 src0_sel:BYTE_0 src1_sel:DWORD
	v_and_b32_e32 v24, s39, v23
	v_or_b32_e32 v24, 0x80000000, v24
	ds_bpermute_b32 v64, v53, v20
	v_and_b32_e32 v25, s38, v22
	v_ffbl_b32_e32 v24, v24
	v_add_u32_e32 v24, 32, v24
	v_ffbl_b32_e32 v25, v25
	v_min_u32_e32 v24, v25, v24
	v_cmp_lt_u32_e32 vcc, v52, v24
	s_waitcnt lgkmcnt(0)
	v_cndmask_b32_e32 v25, 0, v64, vcc
	v_add_u32_e32 v20, v25, v20
	ds_bpermute_b32 v25, v54, v20
	v_cmp_le_u32_e32 vcc, v55, v24
	v_subrev_u32_e32 v18, 64, v18
	s_waitcnt lgkmcnt(0)
	v_cndmask_b32_e32 v25, 0, v25, vcc
	v_add_u32_e32 v20, v20, v25
	ds_bpermute_b32 v25, v56, v20
	v_cmp_le_u32_e32 vcc, v57, v24
	s_waitcnt lgkmcnt(0)
	v_cndmask_b32_e32 v25, 0, v25, vcc
	v_add_u32_e32 v20, v20, v25
	ds_bpermute_b32 v25, v58, v20
	v_cmp_le_u32_e32 vcc, v59, v24
	;; [unrolled: 5-line block ×4, first 2 shown]
	s_waitcnt lgkmcnt(0)
	v_cndmask_b32_e32 v24, 0, v25, vcc
	v_add3_u32 v20, v24, v13, v20
.LBB3421_104:                           ; =>This Loop Header: Depth=1
                                        ;     Child Loop BB3421_107 Depth 2
	v_cmp_ne_u16_sdwa s[38:39], v21, v51 src0_sel:BYTE_0 src1_sel:DWORD
	v_cndmask_b32_e64 v13, 0, 1, s[38:39]
	;;#ASMSTART
	;;#ASMEND
	v_cmp_ne_u32_e32 vcc, 0, v13
	s_cmp_lg_u64 vcc, exec
	v_mov_b32_e32 v13, v20
	s_cbranch_scc1 .LBB3421_109
; %bb.105:                              ;   in Loop: Header=BB3421_104 Depth=1
	v_lshlrev_b64 v[20:21], 3, v[18:19]
	v_mov_b32_e32 v25, s35
	v_add_co_u32_e32 v24, vcc, s34, v20
	v_addc_co_u32_e32 v25, vcc, v25, v21, vcc
	global_load_dwordx2 v[20:21], v[24:25], off glc
	s_waitcnt vmcnt(0)
	v_cmp_eq_u16_sdwa s[40:41], v21, v19 src0_sel:BYTE_0 src1_sel:DWORD
	s_and_saveexec_b64 s[38:39], s[40:41]
	s_cbranch_execz .LBB3421_103
; %bb.106:                              ;   in Loop: Header=BB3421_104 Depth=1
	s_mov_b64 s[40:41], 0
.LBB3421_107:                           ;   Parent Loop BB3421_104 Depth=1
                                        ; =>  This Inner Loop Header: Depth=2
	global_load_dwordx2 v[20:21], v[24:25], off glc
	s_waitcnt vmcnt(0)
	v_cmp_ne_u16_sdwa s[42:43], v21, v19 src0_sel:BYTE_0 src1_sel:DWORD
	s_or_b64 s[40:41], s[42:43], s[40:41]
	s_andn2_b64 exec, exec, s[40:41]
	s_cbranch_execnz .LBB3421_107
; %bb.108:                              ;   in Loop: Header=BB3421_104 Depth=1
	s_or_b64 exec, exec, s[40:41]
	s_branch .LBB3421_103
.LBB3421_109:                           ;   in Loop: Header=BB3421_104 Depth=1
                                        ; implicit-def: $vgpr20
                                        ; implicit-def: $vgpr21
	s_cbranch_execz .LBB3421_104
; %bb.110:
	s_and_saveexec_b64 s[38:39], s[16:17]
	s_cbranch_execz .LBB3421_112
; %bb.111:
	s_add_i32 s6, s6, 64
	s_mov_b32 s7, 0
	s_lshl_b64 s[6:7], s[6:7], 3
	s_add_u32 s6, s34, s6
	v_add_u32_e32 v18, v13, v12
	v_mov_b32_e32 v19, 2
	s_addc_u32 s7, s35, s7
	v_mov_b32_e32 v20, 0
	global_store_dwordx2 v20, v[18:19], s[6:7]
	ds_write_b64 v20, v[12:13] offset:10240
.LBB3421_112:
	s_or_b64 exec, exec, s[38:39]
	v_cmp_eq_u32_e32 vcc, 0, v0
	s_and_b64 exec, exec, vcc
	s_cbranch_execz .LBB3421_114
; %bb.113:
	v_mov_b32_e32 v12, 0
	ds_write_b32 v12, v13 offset:12
.LBB3421_114:
	s_or_b64 exec, exec, s[36:37]
	v_mov_b32_e32 v12, 0
	s_waitcnt lgkmcnt(0)
	s_barrier
	ds_read_b32 v19, v12 offset:12
	s_waitcnt lgkmcnt(0)
	s_barrier
	ds_read_b64 v[12:13], v12 offset:10240
	v_cndmask_b32_e64 v18, v50, v49, s[16:17]
	v_cmp_ne_u32_e32 vcc, 0, v0
	v_cndmask_b32_e32 v18, 0, v18, vcc
	v_add_u32_e32 v22, v19, v18
	s_load_dwordx2 s[4:5], s[4:5], 0x40
	s_branch .LBB3421_125
.LBB3421_115:
                                        ; implicit-def: $vgpr13
                                        ; implicit-def: $vgpr22
	s_load_dwordx2 s[4:5], s[4:5], 0x40
	s_cbranch_execz .LBB3421_125
; %bb.116:
	s_waitcnt lgkmcnt(0)
	v_mov_b32_dpp v12, v48 row_shr:1 row_mask:0xf bank_mask:0xf
	v_cndmask_b32_e64 v12, v12, 0, s[14:15]
	v_add_u32_e32 v12, v12, v48
	s_nop 1
	v_mov_b32_dpp v13, v12 row_shr:2 row_mask:0xf bank_mask:0xf
	v_cndmask_b32_e64 v13, 0, v13, s[12:13]
	v_add_u32_e32 v12, v12, v13
	s_nop 1
	;; [unrolled: 4-line block ×4, first 2 shown]
	v_mov_b32_dpp v13, v12 row_bcast:15 row_mask:0xf bank_mask:0xf
	v_cndmask_b32_e64 v13, v13, 0, s[18:19]
	v_add_u32_e32 v12, v12, v13
	s_nop 1
	v_mov_b32_dpp v13, v12 row_bcast:31 row_mask:0xf bank_mask:0xf
	v_cndmask_b32_e64 v13, 0, v13, s[0:1]
	v_add_u32_e32 v12, v12, v13
	s_and_saveexec_b64 s[0:1], s[2:3]
	s_cbranch_execz .LBB3421_118
; %bb.117:
	v_lshlrev_b32_e32 v13, 2, v47
	ds_write_b32 v13, v12
.LBB3421_118:
	s_or_b64 exec, exec, s[0:1]
	v_cmp_gt_u32_e32 vcc, 4, v0
	s_waitcnt lgkmcnt(0)
	s_barrier
	s_and_saveexec_b64 s[0:1], vcc
	s_cbranch_execz .LBB3421_120
; %bb.119:
	v_lshlrev_b32_e32 v13, 2, v0
	ds_read_b32 v18, v13
	v_and_b32_e32 v19, 3, v46
	v_cmp_ne_u32_e32 vcc, 0, v19
	s_waitcnt lgkmcnt(0)
	v_mov_b32_dpp v20, v18 row_shr:1 row_mask:0xf bank_mask:0xf
	v_cndmask_b32_e32 v20, 0, v20, vcc
	v_add_u32_e32 v18, v20, v18
	v_cmp_lt_u32_e32 vcc, 1, v19
	s_nop 0
	v_mov_b32_dpp v20, v18 row_shr:2 row_mask:0xf bank_mask:0xf
	v_cndmask_b32_e32 v19, 0, v20, vcc
	v_add_u32_e32 v18, v18, v19
	ds_write_b32 v13, v18
.LBB3421_120:
	s_or_b64 exec, exec, s[0:1]
	v_cmp_lt_u32_e32 vcc, 63, v0
	v_mov_b32_e32 v13, 0
	v_mov_b32_e32 v18, 0
	s_waitcnt lgkmcnt(0)
	s_barrier
	s_and_saveexec_b64 s[0:1], vcc
	s_cbranch_execz .LBB3421_122
; %bb.121:
	v_lshl_add_u32 v18, v47, 2, -4
	ds_read_b32 v18, v18
.LBB3421_122:
	s_or_b64 exec, exec, s[0:1]
	v_add_u32_e32 v19, -1, v46
	v_and_b32_e32 v20, 64, v46
	v_cmp_lt_i32_e32 vcc, v19, v20
	v_cndmask_b32_e32 v19, v19, v46, vcc
	s_waitcnt lgkmcnt(0)
	v_add_u32_e32 v12, v18, v12
	v_lshlrev_b32_e32 v19, 2, v19
	ds_bpermute_b32 v19, v19, v12
	ds_read_b32 v12, v13 offset:12
	v_cmp_eq_u32_e32 vcc, 0, v0
	s_and_saveexec_b64 s[0:1], vcc
	s_cbranch_execz .LBB3421_124
; %bb.123:
	v_mov_b32_e32 v20, 0
	v_mov_b32_e32 v13, 2
	s_waitcnt lgkmcnt(0)
	global_store_dwordx2 v20, v[12:13], s[34:35] offset:512
.LBB3421_124:
	s_or_b64 exec, exec, s[0:1]
	v_cmp_eq_u32_e64 s[0:1], 0, v46
	s_waitcnt lgkmcnt(1)
	v_cndmask_b32_e64 v18, v19, v18, s[0:1]
	v_mov_b32_e32 v13, 0
	v_cndmask_b32_e64 v22, v18, 0, vcc
	s_waitcnt lgkmcnt(0)
	s_barrier
.LBB3421_125:
	v_add_u32_sdwa v24, v22, v16 dst_sel:DWORD dst_unused:UNUSED_PAD src0_sel:DWORD src1_sel:BYTE_0
	s_waitcnt lgkmcnt(0)
	v_add_u32_e32 v1, v12, v1
	v_sub_u32_e32 v22, v22, v13
	v_and_b32_e32 v51, 1, v16
	v_sub_u32_e32 v50, v1, v22
	v_cmp_eq_u32_e32 vcc, 1, v51
	v_cndmask_b32_e32 v22, v50, v22, vcc
	v_lshlrev_b32_e32 v22, 1, v22
	v_lshrrev_b32_e32 v23, 8, v16
	ds_write_b16 v22, v6
	v_sub_u32_e32 v22, v24, v13
	v_add_u32_sdwa v25, v24, v16 dst_sel:DWORD dst_unused:UNUSED_PAD src0_sel:DWORD src1_sel:BYTE_1
	v_sub_u32_e32 v24, v1, v22
	v_and_b32_e32 v23, 1, v23
	v_add_u32_e32 v24, 1, v24
	v_cmp_eq_u32_e32 vcc, 1, v23
	v_cndmask_b32_e32 v22, v24, v22, vcc
	v_lshlrev_b32_e32 v22, 1, v22
	ds_write_b16_d16_hi v22, v6
	v_sub_u32_e32 v6, v25, v13
	v_mov_b32_e32 v23, 1
	v_sub_u32_e32 v22, v1, v6
	v_and_b32_sdwa v16, v23, v16 dst_sel:DWORD dst_unused:UNUSED_PAD src0_sel:DWORD src1_sel:WORD_1
	v_add_u32_e32 v22, 2, v22
	v_cmp_eq_u32_e32 vcc, 1, v16
	v_cndmask_b32_e32 v6, v22, v6, vcc
	v_add_u32_e32 v45, v25, v45
	v_lshlrev_b32_e32 v6, 1, v6
	ds_write_b16 v6, v7
	v_sub_u32_e32 v6, v45, v13
	v_sub_u32_e32 v16, v1, v6
	v_and_b32_e32 v22, 1, v33
	v_add_u32_e32 v16, 3, v16
	v_cmp_eq_u32_e32 vcc, 1, v22
	v_cndmask_b32_e32 v6, v16, v6, vcc
	v_add_u32_e32 v46, v45, v33
	v_lshlrev_b32_e32 v6, 1, v6
	ds_write_b16_d16_hi v6, v7
	v_sub_u32_e32 v6, v46, v13
	v_sub_u32_e32 v7, v1, v6
	v_and_b32_e32 v16, 1, v17
	v_add_u32_e32 v7, 4, v7
	v_cmp_eq_u32_e32 vcc, 1, v16
	v_cndmask_b32_e32 v6, v7, v6, vcc
	v_add_u32_e32 v42, v46, v42
	v_lshlrev_b32_e32 v6, 1, v6
	v_lshrrev_b32_e32 v21, 8, v17
	ds_write_b16 v6, v8
	v_sub_u32_e32 v6, v42, v13
	v_sub_u32_e32 v7, v1, v6
	v_and_b32_e32 v16, 1, v21
	v_add_u32_e32 v7, 5, v7
	v_cmp_eq_u32_e32 vcc, 1, v16
	v_cndmask_b32_e32 v6, v7, v6, vcc
	v_add_u32_e32 v43, v42, v43
	v_lshlrev_b32_e32 v6, 1, v6
	ds_write_b16_d16_hi v6, v8
	v_sub_u32_e32 v6, v43, v13
	v_sub_u32_e32 v7, v1, v6
	v_and_b32_sdwa v8, v23, v17 dst_sel:DWORD dst_unused:UNUSED_PAD src0_sel:DWORD src1_sel:WORD_1
	v_add_u32_e32 v7, 6, v7
	v_cmp_eq_u32_e32 vcc, 1, v8
	v_cndmask_b32_e32 v6, v7, v6, vcc
	v_add_u32_e32 v44, v43, v44
	v_lshlrev_b32_e32 v6, 1, v6
	ds_write_b16 v6, v9
	v_sub_u32_e32 v6, v44, v13
	v_sub_u32_e32 v7, v1, v6
	v_and_b32_e32 v8, 1, v32
	v_add_u32_e32 v7, 7, v7
	v_cmp_eq_u32_e32 vcc, 1, v8
	v_cndmask_b32_e32 v6, v7, v6, vcc
	v_add_u32_e32 v47, v44, v32
	v_lshlrev_b32_e32 v6, 1, v6
	ds_write_b16_d16_hi v6, v9
	v_sub_u32_e32 v6, v47, v13
	v_sub_u32_e32 v7, v1, v6
	v_and_b32_e32 v8, 1, v14
	v_add_u32_e32 v7, 8, v7
	v_cmp_eq_u32_e32 vcc, 1, v8
	v_cndmask_b32_e32 v6, v7, v6, vcc
	v_add_u32_e32 v39, v47, v39
	v_lshlrev_b32_e32 v6, 1, v6
	v_lshrrev_b32_e32 v20, 8, v14
	ds_write_b16 v6, v2
	v_sub_u32_e32 v6, v39, v13
	v_sub_u32_e32 v7, v1, v6
	v_and_b32_e32 v8, 1, v20
	v_add_u32_e32 v7, 9, v7
	v_cmp_eq_u32_e32 vcc, 1, v8
	v_cndmask_b32_e32 v6, v7, v6, vcc
	v_add_u32_e32 v40, v39, v40
	v_lshlrev_b32_e32 v6, 1, v6
	ds_write_b16_d16_hi v6, v2
	v_sub_u32_e32 v2, v40, v13
	;; [unrolled: 37-line block ×4, first 2 shown]
	v_sub_u32_e32 v3, v1, v2
	v_and_b32_sdwa v4, v23, v28 dst_sel:DWORD dst_unused:UNUSED_PAD src0_sel:DWORD src1_sel:WORD_1
	v_add_u32_e32 v3, 18, v3
	v_cmp_eq_u32_e32 vcc, 1, v4
	v_cndmask_b32_e32 v2, v3, v2, vcc
	v_lshlrev_b32_e32 v2, 1, v2
	ds_write_b16 v2, v11
	v_sub_u32_e32 v2, v29, v13
	v_add_u32_e32 v2, v35, v2
	v_sub_u32_e32 v1, v1, v2
	v_and_b32_e32 v3, 1, v27
	v_add_u32_e32 v1, 19, v1
	v_cmp_eq_u32_e32 vcc, 1, v3
	v_cndmask_b32_e32 v1, v1, v2, vcc
	v_lshlrev_b32_e32 v1, 1, v1
	ds_write_b16_d16_hi v1, v11
	v_mov_b32_e32 v1, s29
	v_add_co_u32_e32 v2, vcc, s28, v12
	s_waitcnt lgkmcnt(0)
	s_barrier
	ds_read_u16 v46, v26
	ds_read_u16 v45, v26 offset:512
	ds_read_u16 v43, v26 offset:1024
	;; [unrolled: 1-line block ×15, first 2 shown]
	v_addc_co_u32_e32 v1, vcc, 0, v1, vcc
	v_add_co_u32_e32 v2, vcc, v2, v13
	v_addc_co_u32_e32 v3, vcc, 0, v1, vcc
	v_mov_b32_e32 v1, s27
	v_sub_co_u32_e32 v48, vcc, s26, v2
	ds_read_u16 v14, v26 offset:8192
	ds_read_u16 v10, v26 offset:8704
	ds_read_u16 v7, v26 offset:9216
	ds_read_u16 v5, v26 offset:9728
	v_subb_co_u32_e32 v49, vcc, v1, v3, vcc
	v_lshlrev_b64 v[48:49], 1, v[48:49]
	v_mov_b32_e32 v1, s5
	v_add_co_u32_e32 v4, vcc, s4, v48
	v_addc_co_u32_e32 v1, vcc, v1, v49, vcc
	v_mov_b32_e32 v13, s31
	v_add_co_u32_e32 v4, vcc, s30, v4
	v_addc_co_u32_e32 v1, vcc, v1, v13, vcc
	v_or_b32_e32 v44, 0x100, v0
	v_or_b32_e32 v42, 0x200, v0
	v_or_b32_e32 v40, 0x300, v0
	v_or_b32_e32 v39, 0x400, v0
	v_or_b32_e32 v37, 0x500, v0
	v_or_b32_e32 v35, 0x600, v0
	v_or_b32_e32 v33, 0x700, v0
	v_or_b32_e32 v30, 0x800, v0
	v_or_b32_e32 v28, 0x900, v0
	v_or_b32_e32 v25, 0xa00, v0
	v_or_b32_e32 v23, 0xb00, v0
	v_or_b32_e32 v21, 0xc00, v0
	v_or_b32_e32 v19, 0xd00, v0
	v_or_b32_e32 v17, 0xe00, v0
	v_or_b32_e32 v15, 0xf00, v0
	v_or_b32_e32 v11, 0x1000, v0
	v_or_b32_e32 v9, 0x1100, v0
	v_or_b32_e32 v8, 0x1200, v0
	v_or_b32_e32 v6, 0x1300, v0
	s_andn2_b64 vcc, exec, s[24:25]
	v_cmp_ge_u32_e64 s[0:1], v0, v12
	s_cbranch_vccnz .LBB3421_147
; %bb.126:
	s_and_saveexec_b64 s[2:3], s[0:1]
	s_cbranch_execnz .LBB3421_192
; %bb.127:
	s_or_b64 exec, exec, s[2:3]
	v_cmp_ge_u32_e32 vcc, v44, v12
	s_and_saveexec_b64 s[0:1], vcc
	s_cbranch_execnz .LBB3421_193
.LBB3421_128:
	s_or_b64 exec, exec, s[0:1]
	v_cmp_ge_u32_e32 vcc, v42, v12
	s_and_saveexec_b64 s[0:1], vcc
	s_cbranch_execnz .LBB3421_194
.LBB3421_129:
	s_or_b64 exec, exec, s[0:1]
	v_cmp_ge_u32_e32 vcc, v40, v12
	s_and_saveexec_b64 s[0:1], vcc
	s_cbranch_execnz .LBB3421_195
.LBB3421_130:
	s_or_b64 exec, exec, s[0:1]
	v_cmp_ge_u32_e32 vcc, v39, v12
	s_and_saveexec_b64 s[0:1], vcc
	s_cbranch_execnz .LBB3421_196
.LBB3421_131:
	s_or_b64 exec, exec, s[0:1]
	v_cmp_ge_u32_e32 vcc, v37, v12
	s_and_saveexec_b64 s[0:1], vcc
	s_cbranch_execnz .LBB3421_197
.LBB3421_132:
	s_or_b64 exec, exec, s[0:1]
	v_cmp_ge_u32_e32 vcc, v35, v12
	s_and_saveexec_b64 s[0:1], vcc
	s_cbranch_execnz .LBB3421_198
.LBB3421_133:
	s_or_b64 exec, exec, s[0:1]
	v_cmp_ge_u32_e32 vcc, v33, v12
	s_and_saveexec_b64 s[0:1], vcc
	s_cbranch_execnz .LBB3421_199
.LBB3421_134:
	s_or_b64 exec, exec, s[0:1]
	v_cmp_ge_u32_e32 vcc, v30, v12
	s_and_saveexec_b64 s[0:1], vcc
	s_cbranch_execnz .LBB3421_200
.LBB3421_135:
	s_or_b64 exec, exec, s[0:1]
	v_cmp_ge_u32_e32 vcc, v28, v12
	s_and_saveexec_b64 s[0:1], vcc
	s_cbranch_execnz .LBB3421_201
.LBB3421_136:
	s_or_b64 exec, exec, s[0:1]
	v_cmp_ge_u32_e32 vcc, v25, v12
	s_and_saveexec_b64 s[0:1], vcc
	s_cbranch_execnz .LBB3421_202
.LBB3421_137:
	s_or_b64 exec, exec, s[0:1]
	v_cmp_ge_u32_e32 vcc, v23, v12
	s_and_saveexec_b64 s[0:1], vcc
	s_cbranch_execnz .LBB3421_203
.LBB3421_138:
	s_or_b64 exec, exec, s[0:1]
	v_cmp_ge_u32_e32 vcc, v21, v12
	s_and_saveexec_b64 s[0:1], vcc
	s_cbranch_execnz .LBB3421_204
.LBB3421_139:
	s_or_b64 exec, exec, s[0:1]
	v_cmp_ge_u32_e32 vcc, v19, v12
	s_and_saveexec_b64 s[0:1], vcc
	s_cbranch_execnz .LBB3421_205
.LBB3421_140:
	s_or_b64 exec, exec, s[0:1]
	v_cmp_ge_u32_e32 vcc, v17, v12
	s_and_saveexec_b64 s[0:1], vcc
	s_cbranch_execnz .LBB3421_206
.LBB3421_141:
	s_or_b64 exec, exec, s[0:1]
	v_cmp_ge_u32_e32 vcc, v15, v12
	s_and_saveexec_b64 s[0:1], vcc
	s_cbranch_execnz .LBB3421_207
.LBB3421_142:
	s_or_b64 exec, exec, s[0:1]
	v_cmp_ge_u32_e32 vcc, v11, v12
	s_and_saveexec_b64 s[0:1], vcc
	s_cbranch_execnz .LBB3421_208
.LBB3421_143:
	s_or_b64 exec, exec, s[0:1]
	v_cmp_ge_u32_e32 vcc, v9, v12
	s_and_saveexec_b64 s[0:1], vcc
	s_cbranch_execnz .LBB3421_209
.LBB3421_144:
	s_or_b64 exec, exec, s[0:1]
	v_cmp_ge_u32_e32 vcc, v8, v12
	s_and_saveexec_b64 s[0:1], vcc
	s_cbranch_execz .LBB3421_146
.LBB3421_145:
	v_lshlrev_b32_e32 v13, 1, v8
	v_readfirstlane_b32 s2, v4
	v_readfirstlane_b32 s3, v1
	s_waitcnt lgkmcnt(1)
	s_nop 3
	global_store_short v13, v7, s[2:3]
.LBB3421_146:
	s_or_b64 exec, exec, s[0:1]
	v_cmp_ge_u32_e64 s[0:1], v6, v12
	s_branch .LBB3421_187
.LBB3421_147:
	s_mov_b64 s[0:1], 0
	s_cbranch_execz .LBB3421_187
; %bb.148:
	v_cmp_gt_u32_e32 vcc, s33, v0
	v_cmp_ge_u32_e64 s[0:1], v0, v12
	s_and_b64 s[2:3], vcc, s[0:1]
	s_and_saveexec_b64 s[0:1], s[2:3]
	s_cbranch_execz .LBB3421_150
; %bb.149:
	v_readfirstlane_b32 s2, v4
	v_readfirstlane_b32 s3, v1
	s_waitcnt lgkmcnt(14)
	s_nop 3
	global_store_short v26, v46, s[2:3]
.LBB3421_150:
	s_or_b64 exec, exec, s[0:1]
	v_cmp_gt_u32_e32 vcc, s33, v44
	v_cmp_ge_u32_e64 s[0:1], v44, v12
	s_and_b64 s[2:3], vcc, s[0:1]
	s_and_saveexec_b64 s[0:1], s[2:3]
	s_cbranch_execz .LBB3421_152
; %bb.151:
	v_readfirstlane_b32 s2, v4
	v_readfirstlane_b32 s3, v1
	s_waitcnt lgkmcnt(14)
	s_nop 3
	global_store_short v26, v45, s[2:3] offset:512
.LBB3421_152:
	s_or_b64 exec, exec, s[0:1]
	v_cmp_gt_u32_e32 vcc, s33, v42
	v_cmp_ge_u32_e64 s[0:1], v42, v12
	s_and_b64 s[2:3], vcc, s[0:1]
	s_and_saveexec_b64 s[0:1], s[2:3]
	s_cbranch_execz .LBB3421_154
; %bb.153:
	v_readfirstlane_b32 s2, v4
	v_readfirstlane_b32 s3, v1
	s_waitcnt lgkmcnt(14)
	s_nop 3
	global_store_short v26, v43, s[2:3] offset:1024
.LBB3421_154:
	;; [unrolled: 13-line block ×7, first 2 shown]
	s_or_b64 exec, exec, s[0:1]
	v_cmp_gt_u32_e32 vcc, s33, v30
	v_cmp_ge_u32_e64 s[0:1], v30, v12
	s_and_b64 s[2:3], vcc, s[0:1]
	s_and_saveexec_b64 s[0:1], s[2:3]
	s_cbranch_execz .LBB3421_166
; %bb.165:
	v_lshlrev_b32_e32 v13, 1, v30
	v_readfirstlane_b32 s2, v4
	v_readfirstlane_b32 s3, v1
	s_waitcnt lgkmcnt(11)
	s_nop 3
	global_store_short v13, v31, s[2:3]
.LBB3421_166:
	s_or_b64 exec, exec, s[0:1]
	v_cmp_gt_u32_e32 vcc, s33, v28
	v_cmp_ge_u32_e64 s[0:1], v28, v12
	s_and_b64 s[2:3], vcc, s[0:1]
	s_and_saveexec_b64 s[0:1], s[2:3]
	s_cbranch_execz .LBB3421_168
; %bb.167:
	v_lshlrev_b32_e32 v13, 1, v28
	v_readfirstlane_b32 s2, v4
	v_readfirstlane_b32 s3, v1
	s_waitcnt lgkmcnt(10)
	s_nop 3
	global_store_short v13, v29, s[2:3]
.LBB3421_168:
	;; [unrolled: 14-line block ×11, first 2 shown]
	s_or_b64 exec, exec, s[0:1]
	v_cmp_gt_u32_e32 vcc, s33, v6
	v_cmp_ge_u32_e64 s[0:1], v6, v12
	s_and_b64 s[0:1], vcc, s[0:1]
.LBB3421_187:
	s_and_saveexec_b64 s[2:3], s[0:1]
	s_cbranch_execz .LBB3421_189
; %bb.188:
	v_lshlrev_b32_e32 v6, 1, v6
	v_readfirstlane_b32 s0, v4
	v_readfirstlane_b32 s1, v1
	s_waitcnt lgkmcnt(0)
	s_nop 3
	global_store_short v6, v5, s[0:1]
.LBB3421_189:
	s_or_b64 exec, exec, s[2:3]
	v_cmp_eq_u32_e32 vcc, 0, v0
	s_and_b64 s[0:1], vcc, s[22:23]
	s_and_saveexec_b64 s[2:3], s[0:1]
	s_cbranch_execz .LBB3421_191
; %bb.190:
	v_mov_b32_e32 v0, 0
	global_store_dwordx2 v0, v[2:3], s[20:21]
.LBB3421_191:
	s_endpgm
.LBB3421_192:
	v_readfirstlane_b32 s0, v4
	v_readfirstlane_b32 s1, v1
	s_waitcnt lgkmcnt(14)
	s_nop 3
	global_store_short v26, v46, s[0:1]
	s_or_b64 exec, exec, s[2:3]
	v_cmp_ge_u32_e32 vcc, v44, v12
	s_and_saveexec_b64 s[0:1], vcc
	s_cbranch_execz .LBB3421_128
.LBB3421_193:
	v_readfirstlane_b32 s2, v4
	v_readfirstlane_b32 s3, v1
	s_waitcnt lgkmcnt(14)
	s_nop 3
	global_store_short v26, v45, s[2:3] offset:512
	s_or_b64 exec, exec, s[0:1]
	v_cmp_ge_u32_e32 vcc, v42, v12
	s_and_saveexec_b64 s[0:1], vcc
	s_cbranch_execz .LBB3421_129
.LBB3421_194:
	v_readfirstlane_b32 s2, v4
	v_readfirstlane_b32 s3, v1
	s_waitcnt lgkmcnt(14)
	s_nop 3
	global_store_short v26, v43, s[2:3] offset:1024
	s_or_b64 exec, exec, s[0:1]
	v_cmp_ge_u32_e32 vcc, v40, v12
	s_and_saveexec_b64 s[0:1], vcc
	s_cbranch_execz .LBB3421_130
.LBB3421_195:
	v_readfirstlane_b32 s2, v4
	v_readfirstlane_b32 s3, v1
	s_waitcnt lgkmcnt(14)
	s_nop 3
	global_store_short v26, v41, s[2:3] offset:1536
	s_or_b64 exec, exec, s[0:1]
	v_cmp_ge_u32_e32 vcc, v39, v12
	s_and_saveexec_b64 s[0:1], vcc
	s_cbranch_execz .LBB3421_131
.LBB3421_196:
	v_readfirstlane_b32 s2, v4
	v_readfirstlane_b32 s3, v1
	s_waitcnt lgkmcnt(14)
	s_nop 3
	global_store_short v26, v38, s[2:3] offset:2048
	s_or_b64 exec, exec, s[0:1]
	v_cmp_ge_u32_e32 vcc, v37, v12
	s_and_saveexec_b64 s[0:1], vcc
	s_cbranch_execz .LBB3421_132
.LBB3421_197:
	v_readfirstlane_b32 s2, v4
	v_readfirstlane_b32 s3, v1
	s_waitcnt lgkmcnt(14)
	s_nop 3
	global_store_short v26, v36, s[2:3] offset:2560
	s_or_b64 exec, exec, s[0:1]
	v_cmp_ge_u32_e32 vcc, v35, v12
	s_and_saveexec_b64 s[0:1], vcc
	s_cbranch_execz .LBB3421_133
.LBB3421_198:
	v_readfirstlane_b32 s2, v4
	v_readfirstlane_b32 s3, v1
	s_waitcnt lgkmcnt(13)
	s_nop 3
	global_store_short v26, v34, s[2:3] offset:3072
	s_or_b64 exec, exec, s[0:1]
	v_cmp_ge_u32_e32 vcc, v33, v12
	s_and_saveexec_b64 s[0:1], vcc
	s_cbranch_execz .LBB3421_134
.LBB3421_199:
	v_readfirstlane_b32 s2, v4
	v_readfirstlane_b32 s3, v1
	s_waitcnt lgkmcnt(12)
	s_nop 3
	global_store_short v26, v32, s[2:3] offset:3584
	s_or_b64 exec, exec, s[0:1]
	v_cmp_ge_u32_e32 vcc, v30, v12
	s_and_saveexec_b64 s[0:1], vcc
	s_cbranch_execz .LBB3421_135
.LBB3421_200:
	v_lshlrev_b32_e32 v13, 1, v30
	v_readfirstlane_b32 s2, v4
	v_readfirstlane_b32 s3, v1
	s_waitcnt lgkmcnt(11)
	s_nop 3
	global_store_short v13, v31, s[2:3]
	s_or_b64 exec, exec, s[0:1]
	v_cmp_ge_u32_e32 vcc, v28, v12
	s_and_saveexec_b64 s[0:1], vcc
	s_cbranch_execz .LBB3421_136
.LBB3421_201:
	v_lshlrev_b32_e32 v13, 1, v28
	v_readfirstlane_b32 s2, v4
	v_readfirstlane_b32 s3, v1
	s_waitcnt lgkmcnt(10)
	s_nop 3
	global_store_short v13, v29, s[2:3]
	s_or_b64 exec, exec, s[0:1]
	v_cmp_ge_u32_e32 vcc, v25, v12
	s_and_saveexec_b64 s[0:1], vcc
	s_cbranch_execz .LBB3421_137
.LBB3421_202:
	v_lshlrev_b32_e32 v13, 1, v25
	v_readfirstlane_b32 s2, v4
	v_readfirstlane_b32 s3, v1
	s_waitcnt lgkmcnt(9)
	s_nop 3
	global_store_short v13, v27, s[2:3]
	s_or_b64 exec, exec, s[0:1]
	v_cmp_ge_u32_e32 vcc, v23, v12
	s_and_saveexec_b64 s[0:1], vcc
	s_cbranch_execz .LBB3421_138
.LBB3421_203:
	v_lshlrev_b32_e32 v13, 1, v23
	v_readfirstlane_b32 s2, v4
	v_readfirstlane_b32 s3, v1
	s_waitcnt lgkmcnt(8)
	s_nop 3
	global_store_short v13, v24, s[2:3]
	s_or_b64 exec, exec, s[0:1]
	v_cmp_ge_u32_e32 vcc, v21, v12
	s_and_saveexec_b64 s[0:1], vcc
	s_cbranch_execz .LBB3421_139
.LBB3421_204:
	v_lshlrev_b32_e32 v13, 1, v21
	v_readfirstlane_b32 s2, v4
	v_readfirstlane_b32 s3, v1
	s_waitcnt lgkmcnt(7)
	s_nop 3
	global_store_short v13, v22, s[2:3]
	s_or_b64 exec, exec, s[0:1]
	v_cmp_ge_u32_e32 vcc, v19, v12
	s_and_saveexec_b64 s[0:1], vcc
	s_cbranch_execz .LBB3421_140
.LBB3421_205:
	v_lshlrev_b32_e32 v13, 1, v19
	v_readfirstlane_b32 s2, v4
	v_readfirstlane_b32 s3, v1
	s_waitcnt lgkmcnt(6)
	s_nop 3
	global_store_short v13, v20, s[2:3]
	s_or_b64 exec, exec, s[0:1]
	v_cmp_ge_u32_e32 vcc, v17, v12
	s_and_saveexec_b64 s[0:1], vcc
	s_cbranch_execz .LBB3421_141
.LBB3421_206:
	v_lshlrev_b32_e32 v13, 1, v17
	v_readfirstlane_b32 s2, v4
	v_readfirstlane_b32 s3, v1
	s_waitcnt lgkmcnt(5)
	s_nop 3
	global_store_short v13, v18, s[2:3]
	s_or_b64 exec, exec, s[0:1]
	v_cmp_ge_u32_e32 vcc, v15, v12
	s_and_saveexec_b64 s[0:1], vcc
	s_cbranch_execz .LBB3421_142
.LBB3421_207:
	v_lshlrev_b32_e32 v13, 1, v15
	v_readfirstlane_b32 s2, v4
	v_readfirstlane_b32 s3, v1
	s_waitcnt lgkmcnt(4)
	s_nop 3
	global_store_short v13, v16, s[2:3]
	s_or_b64 exec, exec, s[0:1]
	v_cmp_ge_u32_e32 vcc, v11, v12
	s_and_saveexec_b64 s[0:1], vcc
	s_cbranch_execz .LBB3421_143
.LBB3421_208:
	v_lshlrev_b32_e32 v13, 1, v11
	v_readfirstlane_b32 s2, v4
	v_readfirstlane_b32 s3, v1
	s_waitcnt lgkmcnt(3)
	s_nop 3
	global_store_short v13, v14, s[2:3]
	s_or_b64 exec, exec, s[0:1]
	v_cmp_ge_u32_e32 vcc, v9, v12
	s_and_saveexec_b64 s[0:1], vcc
	s_cbranch_execz .LBB3421_144
.LBB3421_209:
	v_lshlrev_b32_e32 v13, 1, v9
	v_readfirstlane_b32 s2, v4
	v_readfirstlane_b32 s3, v1
	s_waitcnt lgkmcnt(2)
	s_nop 3
	global_store_short v13, v10, s[2:3]
	s_or_b64 exec, exec, s[0:1]
	v_cmp_ge_u32_e32 vcc, v8, v12
	s_and_saveexec_b64 s[0:1], vcc
	s_cbranch_execnz .LBB3421_145
	s_branch .LBB3421_146
	.section	.rodata,"a",@progbits
	.p2align	6, 0x0
	.amdhsa_kernel _ZN7rocprim17ROCPRIM_400000_NS6detail17trampoline_kernelINS0_14default_configENS1_25partition_config_selectorILNS1_17partition_subalgoE1EsNS0_10empty_typeEbEEZZNS1_14partition_implILS5_1ELb0ES3_jN6thrust23THRUST_200600_302600_NS6detail15normal_iteratorINSA_10device_ptrIsEEEEPS6_NSA_18transform_iteratorI7is_evenIsESF_NSA_11use_defaultESK_EENS0_5tupleIJNSA_16discard_iteratorISK_EESF_EEENSM_IJSG_SG_EEES6_PlJS6_EEE10hipError_tPvRmT3_T4_T5_T6_T7_T9_mT8_P12ihipStream_tbDpT10_ENKUlT_T0_E_clISt17integral_constantIbLb0EES1B_EEDaS16_S17_EUlS16_E_NS1_11comp_targetILNS1_3genE4ELNS1_11target_archE910ELNS1_3gpuE8ELNS1_3repE0EEENS1_30default_config_static_selectorELNS0_4arch9wavefront6targetE1EEEvT1_
		.amdhsa_group_segment_fixed_size 10248
		.amdhsa_private_segment_fixed_size 0
		.amdhsa_kernarg_size 136
		.amdhsa_user_sgpr_count 6
		.amdhsa_user_sgpr_private_segment_buffer 1
		.amdhsa_user_sgpr_dispatch_ptr 0
		.amdhsa_user_sgpr_queue_ptr 0
		.amdhsa_user_sgpr_kernarg_segment_ptr 1
		.amdhsa_user_sgpr_dispatch_id 0
		.amdhsa_user_sgpr_flat_scratch_init 0
		.amdhsa_user_sgpr_kernarg_preload_length 0
		.amdhsa_user_sgpr_kernarg_preload_offset 0
		.amdhsa_user_sgpr_private_segment_size 0
		.amdhsa_uses_dynamic_stack 0
		.amdhsa_system_sgpr_private_segment_wavefront_offset 0
		.amdhsa_system_sgpr_workgroup_id_x 1
		.amdhsa_system_sgpr_workgroup_id_y 0
		.amdhsa_system_sgpr_workgroup_id_z 0
		.amdhsa_system_sgpr_workgroup_info 0
		.amdhsa_system_vgpr_workitem_id 0
		.amdhsa_next_free_vgpr 65
		.amdhsa_next_free_sgpr 44
		.amdhsa_accum_offset 68
		.amdhsa_reserve_vcc 1
		.amdhsa_reserve_flat_scratch 0
		.amdhsa_float_round_mode_32 0
		.amdhsa_float_round_mode_16_64 0
		.amdhsa_float_denorm_mode_32 3
		.amdhsa_float_denorm_mode_16_64 3
		.amdhsa_dx10_clamp 1
		.amdhsa_ieee_mode 1
		.amdhsa_fp16_overflow 0
		.amdhsa_tg_split 0
		.amdhsa_exception_fp_ieee_invalid_op 0
		.amdhsa_exception_fp_denorm_src 0
		.amdhsa_exception_fp_ieee_div_zero 0
		.amdhsa_exception_fp_ieee_overflow 0
		.amdhsa_exception_fp_ieee_underflow 0
		.amdhsa_exception_fp_ieee_inexact 0
		.amdhsa_exception_int_div_zero 0
	.end_amdhsa_kernel
	.section	.text._ZN7rocprim17ROCPRIM_400000_NS6detail17trampoline_kernelINS0_14default_configENS1_25partition_config_selectorILNS1_17partition_subalgoE1EsNS0_10empty_typeEbEEZZNS1_14partition_implILS5_1ELb0ES3_jN6thrust23THRUST_200600_302600_NS6detail15normal_iteratorINSA_10device_ptrIsEEEEPS6_NSA_18transform_iteratorI7is_evenIsESF_NSA_11use_defaultESK_EENS0_5tupleIJNSA_16discard_iteratorISK_EESF_EEENSM_IJSG_SG_EEES6_PlJS6_EEE10hipError_tPvRmT3_T4_T5_T6_T7_T9_mT8_P12ihipStream_tbDpT10_ENKUlT_T0_E_clISt17integral_constantIbLb0EES1B_EEDaS16_S17_EUlS16_E_NS1_11comp_targetILNS1_3genE4ELNS1_11target_archE910ELNS1_3gpuE8ELNS1_3repE0EEENS1_30default_config_static_selectorELNS0_4arch9wavefront6targetE1EEEvT1_,"axG",@progbits,_ZN7rocprim17ROCPRIM_400000_NS6detail17trampoline_kernelINS0_14default_configENS1_25partition_config_selectorILNS1_17partition_subalgoE1EsNS0_10empty_typeEbEEZZNS1_14partition_implILS5_1ELb0ES3_jN6thrust23THRUST_200600_302600_NS6detail15normal_iteratorINSA_10device_ptrIsEEEEPS6_NSA_18transform_iteratorI7is_evenIsESF_NSA_11use_defaultESK_EENS0_5tupleIJNSA_16discard_iteratorISK_EESF_EEENSM_IJSG_SG_EEES6_PlJS6_EEE10hipError_tPvRmT3_T4_T5_T6_T7_T9_mT8_P12ihipStream_tbDpT10_ENKUlT_T0_E_clISt17integral_constantIbLb0EES1B_EEDaS16_S17_EUlS16_E_NS1_11comp_targetILNS1_3genE4ELNS1_11target_archE910ELNS1_3gpuE8ELNS1_3repE0EEENS1_30default_config_static_selectorELNS0_4arch9wavefront6targetE1EEEvT1_,comdat
.Lfunc_end3421:
	.size	_ZN7rocprim17ROCPRIM_400000_NS6detail17trampoline_kernelINS0_14default_configENS1_25partition_config_selectorILNS1_17partition_subalgoE1EsNS0_10empty_typeEbEEZZNS1_14partition_implILS5_1ELb0ES3_jN6thrust23THRUST_200600_302600_NS6detail15normal_iteratorINSA_10device_ptrIsEEEEPS6_NSA_18transform_iteratorI7is_evenIsESF_NSA_11use_defaultESK_EENS0_5tupleIJNSA_16discard_iteratorISK_EESF_EEENSM_IJSG_SG_EEES6_PlJS6_EEE10hipError_tPvRmT3_T4_T5_T6_T7_T9_mT8_P12ihipStream_tbDpT10_ENKUlT_T0_E_clISt17integral_constantIbLb0EES1B_EEDaS16_S17_EUlS16_E_NS1_11comp_targetILNS1_3genE4ELNS1_11target_archE910ELNS1_3gpuE8ELNS1_3repE0EEENS1_30default_config_static_selectorELNS0_4arch9wavefront6targetE1EEEvT1_, .Lfunc_end3421-_ZN7rocprim17ROCPRIM_400000_NS6detail17trampoline_kernelINS0_14default_configENS1_25partition_config_selectorILNS1_17partition_subalgoE1EsNS0_10empty_typeEbEEZZNS1_14partition_implILS5_1ELb0ES3_jN6thrust23THRUST_200600_302600_NS6detail15normal_iteratorINSA_10device_ptrIsEEEEPS6_NSA_18transform_iteratorI7is_evenIsESF_NSA_11use_defaultESK_EENS0_5tupleIJNSA_16discard_iteratorISK_EESF_EEENSM_IJSG_SG_EEES6_PlJS6_EEE10hipError_tPvRmT3_T4_T5_T6_T7_T9_mT8_P12ihipStream_tbDpT10_ENKUlT_T0_E_clISt17integral_constantIbLb0EES1B_EEDaS16_S17_EUlS16_E_NS1_11comp_targetILNS1_3genE4ELNS1_11target_archE910ELNS1_3gpuE8ELNS1_3repE0EEENS1_30default_config_static_selectorELNS0_4arch9wavefront6targetE1EEEvT1_
                                        ; -- End function
	.section	.AMDGPU.csdata,"",@progbits
; Kernel info:
; codeLenInByte = 9164
; NumSgprs: 48
; NumVgprs: 65
; NumAgprs: 0
; TotalNumVgprs: 65
; ScratchSize: 0
; MemoryBound: 0
; FloatMode: 240
; IeeeMode: 1
; LDSByteSize: 10248 bytes/workgroup (compile time only)
; SGPRBlocks: 5
; VGPRBlocks: 8
; NumSGPRsForWavesPerEU: 48
; NumVGPRsForWavesPerEU: 65
; AccumOffset: 68
; Occupancy: 6
; WaveLimiterHint : 1
; COMPUTE_PGM_RSRC2:SCRATCH_EN: 0
; COMPUTE_PGM_RSRC2:USER_SGPR: 6
; COMPUTE_PGM_RSRC2:TRAP_HANDLER: 0
; COMPUTE_PGM_RSRC2:TGID_X_EN: 1
; COMPUTE_PGM_RSRC2:TGID_Y_EN: 0
; COMPUTE_PGM_RSRC2:TGID_Z_EN: 0
; COMPUTE_PGM_RSRC2:TIDIG_COMP_CNT: 0
; COMPUTE_PGM_RSRC3_GFX90A:ACCUM_OFFSET: 16
; COMPUTE_PGM_RSRC3_GFX90A:TG_SPLIT: 0
	.section	.text._ZN7rocprim17ROCPRIM_400000_NS6detail17trampoline_kernelINS0_14default_configENS1_25partition_config_selectorILNS1_17partition_subalgoE1EsNS0_10empty_typeEbEEZZNS1_14partition_implILS5_1ELb0ES3_jN6thrust23THRUST_200600_302600_NS6detail15normal_iteratorINSA_10device_ptrIsEEEEPS6_NSA_18transform_iteratorI7is_evenIsESF_NSA_11use_defaultESK_EENS0_5tupleIJNSA_16discard_iteratorISK_EESF_EEENSM_IJSG_SG_EEES6_PlJS6_EEE10hipError_tPvRmT3_T4_T5_T6_T7_T9_mT8_P12ihipStream_tbDpT10_ENKUlT_T0_E_clISt17integral_constantIbLb0EES1B_EEDaS16_S17_EUlS16_E_NS1_11comp_targetILNS1_3genE3ELNS1_11target_archE908ELNS1_3gpuE7ELNS1_3repE0EEENS1_30default_config_static_selectorELNS0_4arch9wavefront6targetE1EEEvT1_,"axG",@progbits,_ZN7rocprim17ROCPRIM_400000_NS6detail17trampoline_kernelINS0_14default_configENS1_25partition_config_selectorILNS1_17partition_subalgoE1EsNS0_10empty_typeEbEEZZNS1_14partition_implILS5_1ELb0ES3_jN6thrust23THRUST_200600_302600_NS6detail15normal_iteratorINSA_10device_ptrIsEEEEPS6_NSA_18transform_iteratorI7is_evenIsESF_NSA_11use_defaultESK_EENS0_5tupleIJNSA_16discard_iteratorISK_EESF_EEENSM_IJSG_SG_EEES6_PlJS6_EEE10hipError_tPvRmT3_T4_T5_T6_T7_T9_mT8_P12ihipStream_tbDpT10_ENKUlT_T0_E_clISt17integral_constantIbLb0EES1B_EEDaS16_S17_EUlS16_E_NS1_11comp_targetILNS1_3genE3ELNS1_11target_archE908ELNS1_3gpuE7ELNS1_3repE0EEENS1_30default_config_static_selectorELNS0_4arch9wavefront6targetE1EEEvT1_,comdat
	.protected	_ZN7rocprim17ROCPRIM_400000_NS6detail17trampoline_kernelINS0_14default_configENS1_25partition_config_selectorILNS1_17partition_subalgoE1EsNS0_10empty_typeEbEEZZNS1_14partition_implILS5_1ELb0ES3_jN6thrust23THRUST_200600_302600_NS6detail15normal_iteratorINSA_10device_ptrIsEEEEPS6_NSA_18transform_iteratorI7is_evenIsESF_NSA_11use_defaultESK_EENS0_5tupleIJNSA_16discard_iteratorISK_EESF_EEENSM_IJSG_SG_EEES6_PlJS6_EEE10hipError_tPvRmT3_T4_T5_T6_T7_T9_mT8_P12ihipStream_tbDpT10_ENKUlT_T0_E_clISt17integral_constantIbLb0EES1B_EEDaS16_S17_EUlS16_E_NS1_11comp_targetILNS1_3genE3ELNS1_11target_archE908ELNS1_3gpuE7ELNS1_3repE0EEENS1_30default_config_static_selectorELNS0_4arch9wavefront6targetE1EEEvT1_ ; -- Begin function _ZN7rocprim17ROCPRIM_400000_NS6detail17trampoline_kernelINS0_14default_configENS1_25partition_config_selectorILNS1_17partition_subalgoE1EsNS0_10empty_typeEbEEZZNS1_14partition_implILS5_1ELb0ES3_jN6thrust23THRUST_200600_302600_NS6detail15normal_iteratorINSA_10device_ptrIsEEEEPS6_NSA_18transform_iteratorI7is_evenIsESF_NSA_11use_defaultESK_EENS0_5tupleIJNSA_16discard_iteratorISK_EESF_EEENSM_IJSG_SG_EEES6_PlJS6_EEE10hipError_tPvRmT3_T4_T5_T6_T7_T9_mT8_P12ihipStream_tbDpT10_ENKUlT_T0_E_clISt17integral_constantIbLb0EES1B_EEDaS16_S17_EUlS16_E_NS1_11comp_targetILNS1_3genE3ELNS1_11target_archE908ELNS1_3gpuE7ELNS1_3repE0EEENS1_30default_config_static_selectorELNS0_4arch9wavefront6targetE1EEEvT1_
	.globl	_ZN7rocprim17ROCPRIM_400000_NS6detail17trampoline_kernelINS0_14default_configENS1_25partition_config_selectorILNS1_17partition_subalgoE1EsNS0_10empty_typeEbEEZZNS1_14partition_implILS5_1ELb0ES3_jN6thrust23THRUST_200600_302600_NS6detail15normal_iteratorINSA_10device_ptrIsEEEEPS6_NSA_18transform_iteratorI7is_evenIsESF_NSA_11use_defaultESK_EENS0_5tupleIJNSA_16discard_iteratorISK_EESF_EEENSM_IJSG_SG_EEES6_PlJS6_EEE10hipError_tPvRmT3_T4_T5_T6_T7_T9_mT8_P12ihipStream_tbDpT10_ENKUlT_T0_E_clISt17integral_constantIbLb0EES1B_EEDaS16_S17_EUlS16_E_NS1_11comp_targetILNS1_3genE3ELNS1_11target_archE908ELNS1_3gpuE7ELNS1_3repE0EEENS1_30default_config_static_selectorELNS0_4arch9wavefront6targetE1EEEvT1_
	.p2align	8
	.type	_ZN7rocprim17ROCPRIM_400000_NS6detail17trampoline_kernelINS0_14default_configENS1_25partition_config_selectorILNS1_17partition_subalgoE1EsNS0_10empty_typeEbEEZZNS1_14partition_implILS5_1ELb0ES3_jN6thrust23THRUST_200600_302600_NS6detail15normal_iteratorINSA_10device_ptrIsEEEEPS6_NSA_18transform_iteratorI7is_evenIsESF_NSA_11use_defaultESK_EENS0_5tupleIJNSA_16discard_iteratorISK_EESF_EEENSM_IJSG_SG_EEES6_PlJS6_EEE10hipError_tPvRmT3_T4_T5_T6_T7_T9_mT8_P12ihipStream_tbDpT10_ENKUlT_T0_E_clISt17integral_constantIbLb0EES1B_EEDaS16_S17_EUlS16_E_NS1_11comp_targetILNS1_3genE3ELNS1_11target_archE908ELNS1_3gpuE7ELNS1_3repE0EEENS1_30default_config_static_selectorELNS0_4arch9wavefront6targetE1EEEvT1_,@function
_ZN7rocprim17ROCPRIM_400000_NS6detail17trampoline_kernelINS0_14default_configENS1_25partition_config_selectorILNS1_17partition_subalgoE1EsNS0_10empty_typeEbEEZZNS1_14partition_implILS5_1ELb0ES3_jN6thrust23THRUST_200600_302600_NS6detail15normal_iteratorINSA_10device_ptrIsEEEEPS6_NSA_18transform_iteratorI7is_evenIsESF_NSA_11use_defaultESK_EENS0_5tupleIJNSA_16discard_iteratorISK_EESF_EEENSM_IJSG_SG_EEES6_PlJS6_EEE10hipError_tPvRmT3_T4_T5_T6_T7_T9_mT8_P12ihipStream_tbDpT10_ENKUlT_T0_E_clISt17integral_constantIbLb0EES1B_EEDaS16_S17_EUlS16_E_NS1_11comp_targetILNS1_3genE3ELNS1_11target_archE908ELNS1_3gpuE7ELNS1_3repE0EEENS1_30default_config_static_selectorELNS0_4arch9wavefront6targetE1EEEvT1_: ; @_ZN7rocprim17ROCPRIM_400000_NS6detail17trampoline_kernelINS0_14default_configENS1_25partition_config_selectorILNS1_17partition_subalgoE1EsNS0_10empty_typeEbEEZZNS1_14partition_implILS5_1ELb0ES3_jN6thrust23THRUST_200600_302600_NS6detail15normal_iteratorINSA_10device_ptrIsEEEEPS6_NSA_18transform_iteratorI7is_evenIsESF_NSA_11use_defaultESK_EENS0_5tupleIJNSA_16discard_iteratorISK_EESF_EEENSM_IJSG_SG_EEES6_PlJS6_EEE10hipError_tPvRmT3_T4_T5_T6_T7_T9_mT8_P12ihipStream_tbDpT10_ENKUlT_T0_E_clISt17integral_constantIbLb0EES1B_EEDaS16_S17_EUlS16_E_NS1_11comp_targetILNS1_3genE3ELNS1_11target_archE908ELNS1_3gpuE7ELNS1_3repE0EEENS1_30default_config_static_selectorELNS0_4arch9wavefront6targetE1EEEvT1_
; %bb.0:
	.section	.rodata,"a",@progbits
	.p2align	6, 0x0
	.amdhsa_kernel _ZN7rocprim17ROCPRIM_400000_NS6detail17trampoline_kernelINS0_14default_configENS1_25partition_config_selectorILNS1_17partition_subalgoE1EsNS0_10empty_typeEbEEZZNS1_14partition_implILS5_1ELb0ES3_jN6thrust23THRUST_200600_302600_NS6detail15normal_iteratorINSA_10device_ptrIsEEEEPS6_NSA_18transform_iteratorI7is_evenIsESF_NSA_11use_defaultESK_EENS0_5tupleIJNSA_16discard_iteratorISK_EESF_EEENSM_IJSG_SG_EEES6_PlJS6_EEE10hipError_tPvRmT3_T4_T5_T6_T7_T9_mT8_P12ihipStream_tbDpT10_ENKUlT_T0_E_clISt17integral_constantIbLb0EES1B_EEDaS16_S17_EUlS16_E_NS1_11comp_targetILNS1_3genE3ELNS1_11target_archE908ELNS1_3gpuE7ELNS1_3repE0EEENS1_30default_config_static_selectorELNS0_4arch9wavefront6targetE1EEEvT1_
		.amdhsa_group_segment_fixed_size 0
		.amdhsa_private_segment_fixed_size 0
		.amdhsa_kernarg_size 136
		.amdhsa_user_sgpr_count 6
		.amdhsa_user_sgpr_private_segment_buffer 1
		.amdhsa_user_sgpr_dispatch_ptr 0
		.amdhsa_user_sgpr_queue_ptr 0
		.amdhsa_user_sgpr_kernarg_segment_ptr 1
		.amdhsa_user_sgpr_dispatch_id 0
		.amdhsa_user_sgpr_flat_scratch_init 0
		.amdhsa_user_sgpr_kernarg_preload_length 0
		.amdhsa_user_sgpr_kernarg_preload_offset 0
		.amdhsa_user_sgpr_private_segment_size 0
		.amdhsa_uses_dynamic_stack 0
		.amdhsa_system_sgpr_private_segment_wavefront_offset 0
		.amdhsa_system_sgpr_workgroup_id_x 1
		.amdhsa_system_sgpr_workgroup_id_y 0
		.amdhsa_system_sgpr_workgroup_id_z 0
		.amdhsa_system_sgpr_workgroup_info 0
		.amdhsa_system_vgpr_workitem_id 0
		.amdhsa_next_free_vgpr 1
		.amdhsa_next_free_sgpr 0
		.amdhsa_accum_offset 4
		.amdhsa_reserve_vcc 0
		.amdhsa_reserve_flat_scratch 0
		.amdhsa_float_round_mode_32 0
		.amdhsa_float_round_mode_16_64 0
		.amdhsa_float_denorm_mode_32 3
		.amdhsa_float_denorm_mode_16_64 3
		.amdhsa_dx10_clamp 1
		.amdhsa_ieee_mode 1
		.amdhsa_fp16_overflow 0
		.amdhsa_tg_split 0
		.amdhsa_exception_fp_ieee_invalid_op 0
		.amdhsa_exception_fp_denorm_src 0
		.amdhsa_exception_fp_ieee_div_zero 0
		.amdhsa_exception_fp_ieee_overflow 0
		.amdhsa_exception_fp_ieee_underflow 0
		.amdhsa_exception_fp_ieee_inexact 0
		.amdhsa_exception_int_div_zero 0
	.end_amdhsa_kernel
	.section	.text._ZN7rocprim17ROCPRIM_400000_NS6detail17trampoline_kernelINS0_14default_configENS1_25partition_config_selectorILNS1_17partition_subalgoE1EsNS0_10empty_typeEbEEZZNS1_14partition_implILS5_1ELb0ES3_jN6thrust23THRUST_200600_302600_NS6detail15normal_iteratorINSA_10device_ptrIsEEEEPS6_NSA_18transform_iteratorI7is_evenIsESF_NSA_11use_defaultESK_EENS0_5tupleIJNSA_16discard_iteratorISK_EESF_EEENSM_IJSG_SG_EEES6_PlJS6_EEE10hipError_tPvRmT3_T4_T5_T6_T7_T9_mT8_P12ihipStream_tbDpT10_ENKUlT_T0_E_clISt17integral_constantIbLb0EES1B_EEDaS16_S17_EUlS16_E_NS1_11comp_targetILNS1_3genE3ELNS1_11target_archE908ELNS1_3gpuE7ELNS1_3repE0EEENS1_30default_config_static_selectorELNS0_4arch9wavefront6targetE1EEEvT1_,"axG",@progbits,_ZN7rocprim17ROCPRIM_400000_NS6detail17trampoline_kernelINS0_14default_configENS1_25partition_config_selectorILNS1_17partition_subalgoE1EsNS0_10empty_typeEbEEZZNS1_14partition_implILS5_1ELb0ES3_jN6thrust23THRUST_200600_302600_NS6detail15normal_iteratorINSA_10device_ptrIsEEEEPS6_NSA_18transform_iteratorI7is_evenIsESF_NSA_11use_defaultESK_EENS0_5tupleIJNSA_16discard_iteratorISK_EESF_EEENSM_IJSG_SG_EEES6_PlJS6_EEE10hipError_tPvRmT3_T4_T5_T6_T7_T9_mT8_P12ihipStream_tbDpT10_ENKUlT_T0_E_clISt17integral_constantIbLb0EES1B_EEDaS16_S17_EUlS16_E_NS1_11comp_targetILNS1_3genE3ELNS1_11target_archE908ELNS1_3gpuE7ELNS1_3repE0EEENS1_30default_config_static_selectorELNS0_4arch9wavefront6targetE1EEEvT1_,comdat
.Lfunc_end3422:
	.size	_ZN7rocprim17ROCPRIM_400000_NS6detail17trampoline_kernelINS0_14default_configENS1_25partition_config_selectorILNS1_17partition_subalgoE1EsNS0_10empty_typeEbEEZZNS1_14partition_implILS5_1ELb0ES3_jN6thrust23THRUST_200600_302600_NS6detail15normal_iteratorINSA_10device_ptrIsEEEEPS6_NSA_18transform_iteratorI7is_evenIsESF_NSA_11use_defaultESK_EENS0_5tupleIJNSA_16discard_iteratorISK_EESF_EEENSM_IJSG_SG_EEES6_PlJS6_EEE10hipError_tPvRmT3_T4_T5_T6_T7_T9_mT8_P12ihipStream_tbDpT10_ENKUlT_T0_E_clISt17integral_constantIbLb0EES1B_EEDaS16_S17_EUlS16_E_NS1_11comp_targetILNS1_3genE3ELNS1_11target_archE908ELNS1_3gpuE7ELNS1_3repE0EEENS1_30default_config_static_selectorELNS0_4arch9wavefront6targetE1EEEvT1_, .Lfunc_end3422-_ZN7rocprim17ROCPRIM_400000_NS6detail17trampoline_kernelINS0_14default_configENS1_25partition_config_selectorILNS1_17partition_subalgoE1EsNS0_10empty_typeEbEEZZNS1_14partition_implILS5_1ELb0ES3_jN6thrust23THRUST_200600_302600_NS6detail15normal_iteratorINSA_10device_ptrIsEEEEPS6_NSA_18transform_iteratorI7is_evenIsESF_NSA_11use_defaultESK_EENS0_5tupleIJNSA_16discard_iteratorISK_EESF_EEENSM_IJSG_SG_EEES6_PlJS6_EEE10hipError_tPvRmT3_T4_T5_T6_T7_T9_mT8_P12ihipStream_tbDpT10_ENKUlT_T0_E_clISt17integral_constantIbLb0EES1B_EEDaS16_S17_EUlS16_E_NS1_11comp_targetILNS1_3genE3ELNS1_11target_archE908ELNS1_3gpuE7ELNS1_3repE0EEENS1_30default_config_static_selectorELNS0_4arch9wavefront6targetE1EEEvT1_
                                        ; -- End function
	.section	.AMDGPU.csdata,"",@progbits
; Kernel info:
; codeLenInByte = 0
; NumSgprs: 4
; NumVgprs: 0
; NumAgprs: 0
; TotalNumVgprs: 0
; ScratchSize: 0
; MemoryBound: 0
; FloatMode: 240
; IeeeMode: 1
; LDSByteSize: 0 bytes/workgroup (compile time only)
; SGPRBlocks: 0
; VGPRBlocks: 0
; NumSGPRsForWavesPerEU: 4
; NumVGPRsForWavesPerEU: 1
; AccumOffset: 4
; Occupancy: 8
; WaveLimiterHint : 0
; COMPUTE_PGM_RSRC2:SCRATCH_EN: 0
; COMPUTE_PGM_RSRC2:USER_SGPR: 6
; COMPUTE_PGM_RSRC2:TRAP_HANDLER: 0
; COMPUTE_PGM_RSRC2:TGID_X_EN: 1
; COMPUTE_PGM_RSRC2:TGID_Y_EN: 0
; COMPUTE_PGM_RSRC2:TGID_Z_EN: 0
; COMPUTE_PGM_RSRC2:TIDIG_COMP_CNT: 0
; COMPUTE_PGM_RSRC3_GFX90A:ACCUM_OFFSET: 0
; COMPUTE_PGM_RSRC3_GFX90A:TG_SPLIT: 0
	.section	.text._ZN7rocprim17ROCPRIM_400000_NS6detail17trampoline_kernelINS0_14default_configENS1_25partition_config_selectorILNS1_17partition_subalgoE1EsNS0_10empty_typeEbEEZZNS1_14partition_implILS5_1ELb0ES3_jN6thrust23THRUST_200600_302600_NS6detail15normal_iteratorINSA_10device_ptrIsEEEEPS6_NSA_18transform_iteratorI7is_evenIsESF_NSA_11use_defaultESK_EENS0_5tupleIJNSA_16discard_iteratorISK_EESF_EEENSM_IJSG_SG_EEES6_PlJS6_EEE10hipError_tPvRmT3_T4_T5_T6_T7_T9_mT8_P12ihipStream_tbDpT10_ENKUlT_T0_E_clISt17integral_constantIbLb0EES1B_EEDaS16_S17_EUlS16_E_NS1_11comp_targetILNS1_3genE2ELNS1_11target_archE906ELNS1_3gpuE6ELNS1_3repE0EEENS1_30default_config_static_selectorELNS0_4arch9wavefront6targetE1EEEvT1_,"axG",@progbits,_ZN7rocprim17ROCPRIM_400000_NS6detail17trampoline_kernelINS0_14default_configENS1_25partition_config_selectorILNS1_17partition_subalgoE1EsNS0_10empty_typeEbEEZZNS1_14partition_implILS5_1ELb0ES3_jN6thrust23THRUST_200600_302600_NS6detail15normal_iteratorINSA_10device_ptrIsEEEEPS6_NSA_18transform_iteratorI7is_evenIsESF_NSA_11use_defaultESK_EENS0_5tupleIJNSA_16discard_iteratorISK_EESF_EEENSM_IJSG_SG_EEES6_PlJS6_EEE10hipError_tPvRmT3_T4_T5_T6_T7_T9_mT8_P12ihipStream_tbDpT10_ENKUlT_T0_E_clISt17integral_constantIbLb0EES1B_EEDaS16_S17_EUlS16_E_NS1_11comp_targetILNS1_3genE2ELNS1_11target_archE906ELNS1_3gpuE6ELNS1_3repE0EEENS1_30default_config_static_selectorELNS0_4arch9wavefront6targetE1EEEvT1_,comdat
	.protected	_ZN7rocprim17ROCPRIM_400000_NS6detail17trampoline_kernelINS0_14default_configENS1_25partition_config_selectorILNS1_17partition_subalgoE1EsNS0_10empty_typeEbEEZZNS1_14partition_implILS5_1ELb0ES3_jN6thrust23THRUST_200600_302600_NS6detail15normal_iteratorINSA_10device_ptrIsEEEEPS6_NSA_18transform_iteratorI7is_evenIsESF_NSA_11use_defaultESK_EENS0_5tupleIJNSA_16discard_iteratorISK_EESF_EEENSM_IJSG_SG_EEES6_PlJS6_EEE10hipError_tPvRmT3_T4_T5_T6_T7_T9_mT8_P12ihipStream_tbDpT10_ENKUlT_T0_E_clISt17integral_constantIbLb0EES1B_EEDaS16_S17_EUlS16_E_NS1_11comp_targetILNS1_3genE2ELNS1_11target_archE906ELNS1_3gpuE6ELNS1_3repE0EEENS1_30default_config_static_selectorELNS0_4arch9wavefront6targetE1EEEvT1_ ; -- Begin function _ZN7rocprim17ROCPRIM_400000_NS6detail17trampoline_kernelINS0_14default_configENS1_25partition_config_selectorILNS1_17partition_subalgoE1EsNS0_10empty_typeEbEEZZNS1_14partition_implILS5_1ELb0ES3_jN6thrust23THRUST_200600_302600_NS6detail15normal_iteratorINSA_10device_ptrIsEEEEPS6_NSA_18transform_iteratorI7is_evenIsESF_NSA_11use_defaultESK_EENS0_5tupleIJNSA_16discard_iteratorISK_EESF_EEENSM_IJSG_SG_EEES6_PlJS6_EEE10hipError_tPvRmT3_T4_T5_T6_T7_T9_mT8_P12ihipStream_tbDpT10_ENKUlT_T0_E_clISt17integral_constantIbLb0EES1B_EEDaS16_S17_EUlS16_E_NS1_11comp_targetILNS1_3genE2ELNS1_11target_archE906ELNS1_3gpuE6ELNS1_3repE0EEENS1_30default_config_static_selectorELNS0_4arch9wavefront6targetE1EEEvT1_
	.globl	_ZN7rocprim17ROCPRIM_400000_NS6detail17trampoline_kernelINS0_14default_configENS1_25partition_config_selectorILNS1_17partition_subalgoE1EsNS0_10empty_typeEbEEZZNS1_14partition_implILS5_1ELb0ES3_jN6thrust23THRUST_200600_302600_NS6detail15normal_iteratorINSA_10device_ptrIsEEEEPS6_NSA_18transform_iteratorI7is_evenIsESF_NSA_11use_defaultESK_EENS0_5tupleIJNSA_16discard_iteratorISK_EESF_EEENSM_IJSG_SG_EEES6_PlJS6_EEE10hipError_tPvRmT3_T4_T5_T6_T7_T9_mT8_P12ihipStream_tbDpT10_ENKUlT_T0_E_clISt17integral_constantIbLb0EES1B_EEDaS16_S17_EUlS16_E_NS1_11comp_targetILNS1_3genE2ELNS1_11target_archE906ELNS1_3gpuE6ELNS1_3repE0EEENS1_30default_config_static_selectorELNS0_4arch9wavefront6targetE1EEEvT1_
	.p2align	8
	.type	_ZN7rocprim17ROCPRIM_400000_NS6detail17trampoline_kernelINS0_14default_configENS1_25partition_config_selectorILNS1_17partition_subalgoE1EsNS0_10empty_typeEbEEZZNS1_14partition_implILS5_1ELb0ES3_jN6thrust23THRUST_200600_302600_NS6detail15normal_iteratorINSA_10device_ptrIsEEEEPS6_NSA_18transform_iteratorI7is_evenIsESF_NSA_11use_defaultESK_EENS0_5tupleIJNSA_16discard_iteratorISK_EESF_EEENSM_IJSG_SG_EEES6_PlJS6_EEE10hipError_tPvRmT3_T4_T5_T6_T7_T9_mT8_P12ihipStream_tbDpT10_ENKUlT_T0_E_clISt17integral_constantIbLb0EES1B_EEDaS16_S17_EUlS16_E_NS1_11comp_targetILNS1_3genE2ELNS1_11target_archE906ELNS1_3gpuE6ELNS1_3repE0EEENS1_30default_config_static_selectorELNS0_4arch9wavefront6targetE1EEEvT1_,@function
_ZN7rocprim17ROCPRIM_400000_NS6detail17trampoline_kernelINS0_14default_configENS1_25partition_config_selectorILNS1_17partition_subalgoE1EsNS0_10empty_typeEbEEZZNS1_14partition_implILS5_1ELb0ES3_jN6thrust23THRUST_200600_302600_NS6detail15normal_iteratorINSA_10device_ptrIsEEEEPS6_NSA_18transform_iteratorI7is_evenIsESF_NSA_11use_defaultESK_EENS0_5tupleIJNSA_16discard_iteratorISK_EESF_EEENSM_IJSG_SG_EEES6_PlJS6_EEE10hipError_tPvRmT3_T4_T5_T6_T7_T9_mT8_P12ihipStream_tbDpT10_ENKUlT_T0_E_clISt17integral_constantIbLb0EES1B_EEDaS16_S17_EUlS16_E_NS1_11comp_targetILNS1_3genE2ELNS1_11target_archE906ELNS1_3gpuE6ELNS1_3repE0EEENS1_30default_config_static_selectorELNS0_4arch9wavefront6targetE1EEEvT1_: ; @_ZN7rocprim17ROCPRIM_400000_NS6detail17trampoline_kernelINS0_14default_configENS1_25partition_config_selectorILNS1_17partition_subalgoE1EsNS0_10empty_typeEbEEZZNS1_14partition_implILS5_1ELb0ES3_jN6thrust23THRUST_200600_302600_NS6detail15normal_iteratorINSA_10device_ptrIsEEEEPS6_NSA_18transform_iteratorI7is_evenIsESF_NSA_11use_defaultESK_EENS0_5tupleIJNSA_16discard_iteratorISK_EESF_EEENSM_IJSG_SG_EEES6_PlJS6_EEE10hipError_tPvRmT3_T4_T5_T6_T7_T9_mT8_P12ihipStream_tbDpT10_ENKUlT_T0_E_clISt17integral_constantIbLb0EES1B_EEDaS16_S17_EUlS16_E_NS1_11comp_targetILNS1_3genE2ELNS1_11target_archE906ELNS1_3gpuE6ELNS1_3repE0EEENS1_30default_config_static_selectorELNS0_4arch9wavefront6targetE1EEEvT1_
; %bb.0:
	.section	.rodata,"a",@progbits
	.p2align	6, 0x0
	.amdhsa_kernel _ZN7rocprim17ROCPRIM_400000_NS6detail17trampoline_kernelINS0_14default_configENS1_25partition_config_selectorILNS1_17partition_subalgoE1EsNS0_10empty_typeEbEEZZNS1_14partition_implILS5_1ELb0ES3_jN6thrust23THRUST_200600_302600_NS6detail15normal_iteratorINSA_10device_ptrIsEEEEPS6_NSA_18transform_iteratorI7is_evenIsESF_NSA_11use_defaultESK_EENS0_5tupleIJNSA_16discard_iteratorISK_EESF_EEENSM_IJSG_SG_EEES6_PlJS6_EEE10hipError_tPvRmT3_T4_T5_T6_T7_T9_mT8_P12ihipStream_tbDpT10_ENKUlT_T0_E_clISt17integral_constantIbLb0EES1B_EEDaS16_S17_EUlS16_E_NS1_11comp_targetILNS1_3genE2ELNS1_11target_archE906ELNS1_3gpuE6ELNS1_3repE0EEENS1_30default_config_static_selectorELNS0_4arch9wavefront6targetE1EEEvT1_
		.amdhsa_group_segment_fixed_size 0
		.amdhsa_private_segment_fixed_size 0
		.amdhsa_kernarg_size 136
		.amdhsa_user_sgpr_count 6
		.amdhsa_user_sgpr_private_segment_buffer 1
		.amdhsa_user_sgpr_dispatch_ptr 0
		.amdhsa_user_sgpr_queue_ptr 0
		.amdhsa_user_sgpr_kernarg_segment_ptr 1
		.amdhsa_user_sgpr_dispatch_id 0
		.amdhsa_user_sgpr_flat_scratch_init 0
		.amdhsa_user_sgpr_kernarg_preload_length 0
		.amdhsa_user_sgpr_kernarg_preload_offset 0
		.amdhsa_user_sgpr_private_segment_size 0
		.amdhsa_uses_dynamic_stack 0
		.amdhsa_system_sgpr_private_segment_wavefront_offset 0
		.amdhsa_system_sgpr_workgroup_id_x 1
		.amdhsa_system_sgpr_workgroup_id_y 0
		.amdhsa_system_sgpr_workgroup_id_z 0
		.amdhsa_system_sgpr_workgroup_info 0
		.amdhsa_system_vgpr_workitem_id 0
		.amdhsa_next_free_vgpr 1
		.amdhsa_next_free_sgpr 0
		.amdhsa_accum_offset 4
		.amdhsa_reserve_vcc 0
		.amdhsa_reserve_flat_scratch 0
		.amdhsa_float_round_mode_32 0
		.amdhsa_float_round_mode_16_64 0
		.amdhsa_float_denorm_mode_32 3
		.amdhsa_float_denorm_mode_16_64 3
		.amdhsa_dx10_clamp 1
		.amdhsa_ieee_mode 1
		.amdhsa_fp16_overflow 0
		.amdhsa_tg_split 0
		.amdhsa_exception_fp_ieee_invalid_op 0
		.amdhsa_exception_fp_denorm_src 0
		.amdhsa_exception_fp_ieee_div_zero 0
		.amdhsa_exception_fp_ieee_overflow 0
		.amdhsa_exception_fp_ieee_underflow 0
		.amdhsa_exception_fp_ieee_inexact 0
		.amdhsa_exception_int_div_zero 0
	.end_amdhsa_kernel
	.section	.text._ZN7rocprim17ROCPRIM_400000_NS6detail17trampoline_kernelINS0_14default_configENS1_25partition_config_selectorILNS1_17partition_subalgoE1EsNS0_10empty_typeEbEEZZNS1_14partition_implILS5_1ELb0ES3_jN6thrust23THRUST_200600_302600_NS6detail15normal_iteratorINSA_10device_ptrIsEEEEPS6_NSA_18transform_iteratorI7is_evenIsESF_NSA_11use_defaultESK_EENS0_5tupleIJNSA_16discard_iteratorISK_EESF_EEENSM_IJSG_SG_EEES6_PlJS6_EEE10hipError_tPvRmT3_T4_T5_T6_T7_T9_mT8_P12ihipStream_tbDpT10_ENKUlT_T0_E_clISt17integral_constantIbLb0EES1B_EEDaS16_S17_EUlS16_E_NS1_11comp_targetILNS1_3genE2ELNS1_11target_archE906ELNS1_3gpuE6ELNS1_3repE0EEENS1_30default_config_static_selectorELNS0_4arch9wavefront6targetE1EEEvT1_,"axG",@progbits,_ZN7rocprim17ROCPRIM_400000_NS6detail17trampoline_kernelINS0_14default_configENS1_25partition_config_selectorILNS1_17partition_subalgoE1EsNS0_10empty_typeEbEEZZNS1_14partition_implILS5_1ELb0ES3_jN6thrust23THRUST_200600_302600_NS6detail15normal_iteratorINSA_10device_ptrIsEEEEPS6_NSA_18transform_iteratorI7is_evenIsESF_NSA_11use_defaultESK_EENS0_5tupleIJNSA_16discard_iteratorISK_EESF_EEENSM_IJSG_SG_EEES6_PlJS6_EEE10hipError_tPvRmT3_T4_T5_T6_T7_T9_mT8_P12ihipStream_tbDpT10_ENKUlT_T0_E_clISt17integral_constantIbLb0EES1B_EEDaS16_S17_EUlS16_E_NS1_11comp_targetILNS1_3genE2ELNS1_11target_archE906ELNS1_3gpuE6ELNS1_3repE0EEENS1_30default_config_static_selectorELNS0_4arch9wavefront6targetE1EEEvT1_,comdat
.Lfunc_end3423:
	.size	_ZN7rocprim17ROCPRIM_400000_NS6detail17trampoline_kernelINS0_14default_configENS1_25partition_config_selectorILNS1_17partition_subalgoE1EsNS0_10empty_typeEbEEZZNS1_14partition_implILS5_1ELb0ES3_jN6thrust23THRUST_200600_302600_NS6detail15normal_iteratorINSA_10device_ptrIsEEEEPS6_NSA_18transform_iteratorI7is_evenIsESF_NSA_11use_defaultESK_EENS0_5tupleIJNSA_16discard_iteratorISK_EESF_EEENSM_IJSG_SG_EEES6_PlJS6_EEE10hipError_tPvRmT3_T4_T5_T6_T7_T9_mT8_P12ihipStream_tbDpT10_ENKUlT_T0_E_clISt17integral_constantIbLb0EES1B_EEDaS16_S17_EUlS16_E_NS1_11comp_targetILNS1_3genE2ELNS1_11target_archE906ELNS1_3gpuE6ELNS1_3repE0EEENS1_30default_config_static_selectorELNS0_4arch9wavefront6targetE1EEEvT1_, .Lfunc_end3423-_ZN7rocprim17ROCPRIM_400000_NS6detail17trampoline_kernelINS0_14default_configENS1_25partition_config_selectorILNS1_17partition_subalgoE1EsNS0_10empty_typeEbEEZZNS1_14partition_implILS5_1ELb0ES3_jN6thrust23THRUST_200600_302600_NS6detail15normal_iteratorINSA_10device_ptrIsEEEEPS6_NSA_18transform_iteratorI7is_evenIsESF_NSA_11use_defaultESK_EENS0_5tupleIJNSA_16discard_iteratorISK_EESF_EEENSM_IJSG_SG_EEES6_PlJS6_EEE10hipError_tPvRmT3_T4_T5_T6_T7_T9_mT8_P12ihipStream_tbDpT10_ENKUlT_T0_E_clISt17integral_constantIbLb0EES1B_EEDaS16_S17_EUlS16_E_NS1_11comp_targetILNS1_3genE2ELNS1_11target_archE906ELNS1_3gpuE6ELNS1_3repE0EEENS1_30default_config_static_selectorELNS0_4arch9wavefront6targetE1EEEvT1_
                                        ; -- End function
	.section	.AMDGPU.csdata,"",@progbits
; Kernel info:
; codeLenInByte = 0
; NumSgprs: 4
; NumVgprs: 0
; NumAgprs: 0
; TotalNumVgprs: 0
; ScratchSize: 0
; MemoryBound: 0
; FloatMode: 240
; IeeeMode: 1
; LDSByteSize: 0 bytes/workgroup (compile time only)
; SGPRBlocks: 0
; VGPRBlocks: 0
; NumSGPRsForWavesPerEU: 4
; NumVGPRsForWavesPerEU: 1
; AccumOffset: 4
; Occupancy: 8
; WaveLimiterHint : 0
; COMPUTE_PGM_RSRC2:SCRATCH_EN: 0
; COMPUTE_PGM_RSRC2:USER_SGPR: 6
; COMPUTE_PGM_RSRC2:TRAP_HANDLER: 0
; COMPUTE_PGM_RSRC2:TGID_X_EN: 1
; COMPUTE_PGM_RSRC2:TGID_Y_EN: 0
; COMPUTE_PGM_RSRC2:TGID_Z_EN: 0
; COMPUTE_PGM_RSRC2:TIDIG_COMP_CNT: 0
; COMPUTE_PGM_RSRC3_GFX90A:ACCUM_OFFSET: 0
; COMPUTE_PGM_RSRC3_GFX90A:TG_SPLIT: 0
	.section	.text._ZN7rocprim17ROCPRIM_400000_NS6detail17trampoline_kernelINS0_14default_configENS1_25partition_config_selectorILNS1_17partition_subalgoE1EsNS0_10empty_typeEbEEZZNS1_14partition_implILS5_1ELb0ES3_jN6thrust23THRUST_200600_302600_NS6detail15normal_iteratorINSA_10device_ptrIsEEEEPS6_NSA_18transform_iteratorI7is_evenIsESF_NSA_11use_defaultESK_EENS0_5tupleIJNSA_16discard_iteratorISK_EESF_EEENSM_IJSG_SG_EEES6_PlJS6_EEE10hipError_tPvRmT3_T4_T5_T6_T7_T9_mT8_P12ihipStream_tbDpT10_ENKUlT_T0_E_clISt17integral_constantIbLb0EES1B_EEDaS16_S17_EUlS16_E_NS1_11comp_targetILNS1_3genE10ELNS1_11target_archE1200ELNS1_3gpuE4ELNS1_3repE0EEENS1_30default_config_static_selectorELNS0_4arch9wavefront6targetE1EEEvT1_,"axG",@progbits,_ZN7rocprim17ROCPRIM_400000_NS6detail17trampoline_kernelINS0_14default_configENS1_25partition_config_selectorILNS1_17partition_subalgoE1EsNS0_10empty_typeEbEEZZNS1_14partition_implILS5_1ELb0ES3_jN6thrust23THRUST_200600_302600_NS6detail15normal_iteratorINSA_10device_ptrIsEEEEPS6_NSA_18transform_iteratorI7is_evenIsESF_NSA_11use_defaultESK_EENS0_5tupleIJNSA_16discard_iteratorISK_EESF_EEENSM_IJSG_SG_EEES6_PlJS6_EEE10hipError_tPvRmT3_T4_T5_T6_T7_T9_mT8_P12ihipStream_tbDpT10_ENKUlT_T0_E_clISt17integral_constantIbLb0EES1B_EEDaS16_S17_EUlS16_E_NS1_11comp_targetILNS1_3genE10ELNS1_11target_archE1200ELNS1_3gpuE4ELNS1_3repE0EEENS1_30default_config_static_selectorELNS0_4arch9wavefront6targetE1EEEvT1_,comdat
	.protected	_ZN7rocprim17ROCPRIM_400000_NS6detail17trampoline_kernelINS0_14default_configENS1_25partition_config_selectorILNS1_17partition_subalgoE1EsNS0_10empty_typeEbEEZZNS1_14partition_implILS5_1ELb0ES3_jN6thrust23THRUST_200600_302600_NS6detail15normal_iteratorINSA_10device_ptrIsEEEEPS6_NSA_18transform_iteratorI7is_evenIsESF_NSA_11use_defaultESK_EENS0_5tupleIJNSA_16discard_iteratorISK_EESF_EEENSM_IJSG_SG_EEES6_PlJS6_EEE10hipError_tPvRmT3_T4_T5_T6_T7_T9_mT8_P12ihipStream_tbDpT10_ENKUlT_T0_E_clISt17integral_constantIbLb0EES1B_EEDaS16_S17_EUlS16_E_NS1_11comp_targetILNS1_3genE10ELNS1_11target_archE1200ELNS1_3gpuE4ELNS1_3repE0EEENS1_30default_config_static_selectorELNS0_4arch9wavefront6targetE1EEEvT1_ ; -- Begin function _ZN7rocprim17ROCPRIM_400000_NS6detail17trampoline_kernelINS0_14default_configENS1_25partition_config_selectorILNS1_17partition_subalgoE1EsNS0_10empty_typeEbEEZZNS1_14partition_implILS5_1ELb0ES3_jN6thrust23THRUST_200600_302600_NS6detail15normal_iteratorINSA_10device_ptrIsEEEEPS6_NSA_18transform_iteratorI7is_evenIsESF_NSA_11use_defaultESK_EENS0_5tupleIJNSA_16discard_iteratorISK_EESF_EEENSM_IJSG_SG_EEES6_PlJS6_EEE10hipError_tPvRmT3_T4_T5_T6_T7_T9_mT8_P12ihipStream_tbDpT10_ENKUlT_T0_E_clISt17integral_constantIbLb0EES1B_EEDaS16_S17_EUlS16_E_NS1_11comp_targetILNS1_3genE10ELNS1_11target_archE1200ELNS1_3gpuE4ELNS1_3repE0EEENS1_30default_config_static_selectorELNS0_4arch9wavefront6targetE1EEEvT1_
	.globl	_ZN7rocprim17ROCPRIM_400000_NS6detail17trampoline_kernelINS0_14default_configENS1_25partition_config_selectorILNS1_17partition_subalgoE1EsNS0_10empty_typeEbEEZZNS1_14partition_implILS5_1ELb0ES3_jN6thrust23THRUST_200600_302600_NS6detail15normal_iteratorINSA_10device_ptrIsEEEEPS6_NSA_18transform_iteratorI7is_evenIsESF_NSA_11use_defaultESK_EENS0_5tupleIJNSA_16discard_iteratorISK_EESF_EEENSM_IJSG_SG_EEES6_PlJS6_EEE10hipError_tPvRmT3_T4_T5_T6_T7_T9_mT8_P12ihipStream_tbDpT10_ENKUlT_T0_E_clISt17integral_constantIbLb0EES1B_EEDaS16_S17_EUlS16_E_NS1_11comp_targetILNS1_3genE10ELNS1_11target_archE1200ELNS1_3gpuE4ELNS1_3repE0EEENS1_30default_config_static_selectorELNS0_4arch9wavefront6targetE1EEEvT1_
	.p2align	8
	.type	_ZN7rocprim17ROCPRIM_400000_NS6detail17trampoline_kernelINS0_14default_configENS1_25partition_config_selectorILNS1_17partition_subalgoE1EsNS0_10empty_typeEbEEZZNS1_14partition_implILS5_1ELb0ES3_jN6thrust23THRUST_200600_302600_NS6detail15normal_iteratorINSA_10device_ptrIsEEEEPS6_NSA_18transform_iteratorI7is_evenIsESF_NSA_11use_defaultESK_EENS0_5tupleIJNSA_16discard_iteratorISK_EESF_EEENSM_IJSG_SG_EEES6_PlJS6_EEE10hipError_tPvRmT3_T4_T5_T6_T7_T9_mT8_P12ihipStream_tbDpT10_ENKUlT_T0_E_clISt17integral_constantIbLb0EES1B_EEDaS16_S17_EUlS16_E_NS1_11comp_targetILNS1_3genE10ELNS1_11target_archE1200ELNS1_3gpuE4ELNS1_3repE0EEENS1_30default_config_static_selectorELNS0_4arch9wavefront6targetE1EEEvT1_,@function
_ZN7rocprim17ROCPRIM_400000_NS6detail17trampoline_kernelINS0_14default_configENS1_25partition_config_selectorILNS1_17partition_subalgoE1EsNS0_10empty_typeEbEEZZNS1_14partition_implILS5_1ELb0ES3_jN6thrust23THRUST_200600_302600_NS6detail15normal_iteratorINSA_10device_ptrIsEEEEPS6_NSA_18transform_iteratorI7is_evenIsESF_NSA_11use_defaultESK_EENS0_5tupleIJNSA_16discard_iteratorISK_EESF_EEENSM_IJSG_SG_EEES6_PlJS6_EEE10hipError_tPvRmT3_T4_T5_T6_T7_T9_mT8_P12ihipStream_tbDpT10_ENKUlT_T0_E_clISt17integral_constantIbLb0EES1B_EEDaS16_S17_EUlS16_E_NS1_11comp_targetILNS1_3genE10ELNS1_11target_archE1200ELNS1_3gpuE4ELNS1_3repE0EEENS1_30default_config_static_selectorELNS0_4arch9wavefront6targetE1EEEvT1_: ; @_ZN7rocprim17ROCPRIM_400000_NS6detail17trampoline_kernelINS0_14default_configENS1_25partition_config_selectorILNS1_17partition_subalgoE1EsNS0_10empty_typeEbEEZZNS1_14partition_implILS5_1ELb0ES3_jN6thrust23THRUST_200600_302600_NS6detail15normal_iteratorINSA_10device_ptrIsEEEEPS6_NSA_18transform_iteratorI7is_evenIsESF_NSA_11use_defaultESK_EENS0_5tupleIJNSA_16discard_iteratorISK_EESF_EEENSM_IJSG_SG_EEES6_PlJS6_EEE10hipError_tPvRmT3_T4_T5_T6_T7_T9_mT8_P12ihipStream_tbDpT10_ENKUlT_T0_E_clISt17integral_constantIbLb0EES1B_EEDaS16_S17_EUlS16_E_NS1_11comp_targetILNS1_3genE10ELNS1_11target_archE1200ELNS1_3gpuE4ELNS1_3repE0EEENS1_30default_config_static_selectorELNS0_4arch9wavefront6targetE1EEEvT1_
; %bb.0:
	.section	.rodata,"a",@progbits
	.p2align	6, 0x0
	.amdhsa_kernel _ZN7rocprim17ROCPRIM_400000_NS6detail17trampoline_kernelINS0_14default_configENS1_25partition_config_selectorILNS1_17partition_subalgoE1EsNS0_10empty_typeEbEEZZNS1_14partition_implILS5_1ELb0ES3_jN6thrust23THRUST_200600_302600_NS6detail15normal_iteratorINSA_10device_ptrIsEEEEPS6_NSA_18transform_iteratorI7is_evenIsESF_NSA_11use_defaultESK_EENS0_5tupleIJNSA_16discard_iteratorISK_EESF_EEENSM_IJSG_SG_EEES6_PlJS6_EEE10hipError_tPvRmT3_T4_T5_T6_T7_T9_mT8_P12ihipStream_tbDpT10_ENKUlT_T0_E_clISt17integral_constantIbLb0EES1B_EEDaS16_S17_EUlS16_E_NS1_11comp_targetILNS1_3genE10ELNS1_11target_archE1200ELNS1_3gpuE4ELNS1_3repE0EEENS1_30default_config_static_selectorELNS0_4arch9wavefront6targetE1EEEvT1_
		.amdhsa_group_segment_fixed_size 0
		.amdhsa_private_segment_fixed_size 0
		.amdhsa_kernarg_size 136
		.amdhsa_user_sgpr_count 6
		.amdhsa_user_sgpr_private_segment_buffer 1
		.amdhsa_user_sgpr_dispatch_ptr 0
		.amdhsa_user_sgpr_queue_ptr 0
		.amdhsa_user_sgpr_kernarg_segment_ptr 1
		.amdhsa_user_sgpr_dispatch_id 0
		.amdhsa_user_sgpr_flat_scratch_init 0
		.amdhsa_user_sgpr_kernarg_preload_length 0
		.amdhsa_user_sgpr_kernarg_preload_offset 0
		.amdhsa_user_sgpr_private_segment_size 0
		.amdhsa_uses_dynamic_stack 0
		.amdhsa_system_sgpr_private_segment_wavefront_offset 0
		.amdhsa_system_sgpr_workgroup_id_x 1
		.amdhsa_system_sgpr_workgroup_id_y 0
		.amdhsa_system_sgpr_workgroup_id_z 0
		.amdhsa_system_sgpr_workgroup_info 0
		.amdhsa_system_vgpr_workitem_id 0
		.amdhsa_next_free_vgpr 1
		.amdhsa_next_free_sgpr 0
		.amdhsa_accum_offset 4
		.amdhsa_reserve_vcc 0
		.amdhsa_reserve_flat_scratch 0
		.amdhsa_float_round_mode_32 0
		.amdhsa_float_round_mode_16_64 0
		.amdhsa_float_denorm_mode_32 3
		.amdhsa_float_denorm_mode_16_64 3
		.amdhsa_dx10_clamp 1
		.amdhsa_ieee_mode 1
		.amdhsa_fp16_overflow 0
		.amdhsa_tg_split 0
		.amdhsa_exception_fp_ieee_invalid_op 0
		.amdhsa_exception_fp_denorm_src 0
		.amdhsa_exception_fp_ieee_div_zero 0
		.amdhsa_exception_fp_ieee_overflow 0
		.amdhsa_exception_fp_ieee_underflow 0
		.amdhsa_exception_fp_ieee_inexact 0
		.amdhsa_exception_int_div_zero 0
	.end_amdhsa_kernel
	.section	.text._ZN7rocprim17ROCPRIM_400000_NS6detail17trampoline_kernelINS0_14default_configENS1_25partition_config_selectorILNS1_17partition_subalgoE1EsNS0_10empty_typeEbEEZZNS1_14partition_implILS5_1ELb0ES3_jN6thrust23THRUST_200600_302600_NS6detail15normal_iteratorINSA_10device_ptrIsEEEEPS6_NSA_18transform_iteratorI7is_evenIsESF_NSA_11use_defaultESK_EENS0_5tupleIJNSA_16discard_iteratorISK_EESF_EEENSM_IJSG_SG_EEES6_PlJS6_EEE10hipError_tPvRmT3_T4_T5_T6_T7_T9_mT8_P12ihipStream_tbDpT10_ENKUlT_T0_E_clISt17integral_constantIbLb0EES1B_EEDaS16_S17_EUlS16_E_NS1_11comp_targetILNS1_3genE10ELNS1_11target_archE1200ELNS1_3gpuE4ELNS1_3repE0EEENS1_30default_config_static_selectorELNS0_4arch9wavefront6targetE1EEEvT1_,"axG",@progbits,_ZN7rocprim17ROCPRIM_400000_NS6detail17trampoline_kernelINS0_14default_configENS1_25partition_config_selectorILNS1_17partition_subalgoE1EsNS0_10empty_typeEbEEZZNS1_14partition_implILS5_1ELb0ES3_jN6thrust23THRUST_200600_302600_NS6detail15normal_iteratorINSA_10device_ptrIsEEEEPS6_NSA_18transform_iteratorI7is_evenIsESF_NSA_11use_defaultESK_EENS0_5tupleIJNSA_16discard_iteratorISK_EESF_EEENSM_IJSG_SG_EEES6_PlJS6_EEE10hipError_tPvRmT3_T4_T5_T6_T7_T9_mT8_P12ihipStream_tbDpT10_ENKUlT_T0_E_clISt17integral_constantIbLb0EES1B_EEDaS16_S17_EUlS16_E_NS1_11comp_targetILNS1_3genE10ELNS1_11target_archE1200ELNS1_3gpuE4ELNS1_3repE0EEENS1_30default_config_static_selectorELNS0_4arch9wavefront6targetE1EEEvT1_,comdat
.Lfunc_end3424:
	.size	_ZN7rocprim17ROCPRIM_400000_NS6detail17trampoline_kernelINS0_14default_configENS1_25partition_config_selectorILNS1_17partition_subalgoE1EsNS0_10empty_typeEbEEZZNS1_14partition_implILS5_1ELb0ES3_jN6thrust23THRUST_200600_302600_NS6detail15normal_iteratorINSA_10device_ptrIsEEEEPS6_NSA_18transform_iteratorI7is_evenIsESF_NSA_11use_defaultESK_EENS0_5tupleIJNSA_16discard_iteratorISK_EESF_EEENSM_IJSG_SG_EEES6_PlJS6_EEE10hipError_tPvRmT3_T4_T5_T6_T7_T9_mT8_P12ihipStream_tbDpT10_ENKUlT_T0_E_clISt17integral_constantIbLb0EES1B_EEDaS16_S17_EUlS16_E_NS1_11comp_targetILNS1_3genE10ELNS1_11target_archE1200ELNS1_3gpuE4ELNS1_3repE0EEENS1_30default_config_static_selectorELNS0_4arch9wavefront6targetE1EEEvT1_, .Lfunc_end3424-_ZN7rocprim17ROCPRIM_400000_NS6detail17trampoline_kernelINS0_14default_configENS1_25partition_config_selectorILNS1_17partition_subalgoE1EsNS0_10empty_typeEbEEZZNS1_14partition_implILS5_1ELb0ES3_jN6thrust23THRUST_200600_302600_NS6detail15normal_iteratorINSA_10device_ptrIsEEEEPS6_NSA_18transform_iteratorI7is_evenIsESF_NSA_11use_defaultESK_EENS0_5tupleIJNSA_16discard_iteratorISK_EESF_EEENSM_IJSG_SG_EEES6_PlJS6_EEE10hipError_tPvRmT3_T4_T5_T6_T7_T9_mT8_P12ihipStream_tbDpT10_ENKUlT_T0_E_clISt17integral_constantIbLb0EES1B_EEDaS16_S17_EUlS16_E_NS1_11comp_targetILNS1_3genE10ELNS1_11target_archE1200ELNS1_3gpuE4ELNS1_3repE0EEENS1_30default_config_static_selectorELNS0_4arch9wavefront6targetE1EEEvT1_
                                        ; -- End function
	.section	.AMDGPU.csdata,"",@progbits
; Kernel info:
; codeLenInByte = 0
; NumSgprs: 4
; NumVgprs: 0
; NumAgprs: 0
; TotalNumVgprs: 0
; ScratchSize: 0
; MemoryBound: 0
; FloatMode: 240
; IeeeMode: 1
; LDSByteSize: 0 bytes/workgroup (compile time only)
; SGPRBlocks: 0
; VGPRBlocks: 0
; NumSGPRsForWavesPerEU: 4
; NumVGPRsForWavesPerEU: 1
; AccumOffset: 4
; Occupancy: 8
; WaveLimiterHint : 0
; COMPUTE_PGM_RSRC2:SCRATCH_EN: 0
; COMPUTE_PGM_RSRC2:USER_SGPR: 6
; COMPUTE_PGM_RSRC2:TRAP_HANDLER: 0
; COMPUTE_PGM_RSRC2:TGID_X_EN: 1
; COMPUTE_PGM_RSRC2:TGID_Y_EN: 0
; COMPUTE_PGM_RSRC2:TGID_Z_EN: 0
; COMPUTE_PGM_RSRC2:TIDIG_COMP_CNT: 0
; COMPUTE_PGM_RSRC3_GFX90A:ACCUM_OFFSET: 0
; COMPUTE_PGM_RSRC3_GFX90A:TG_SPLIT: 0
	.section	.text._ZN7rocprim17ROCPRIM_400000_NS6detail17trampoline_kernelINS0_14default_configENS1_25partition_config_selectorILNS1_17partition_subalgoE1EsNS0_10empty_typeEbEEZZNS1_14partition_implILS5_1ELb0ES3_jN6thrust23THRUST_200600_302600_NS6detail15normal_iteratorINSA_10device_ptrIsEEEEPS6_NSA_18transform_iteratorI7is_evenIsESF_NSA_11use_defaultESK_EENS0_5tupleIJNSA_16discard_iteratorISK_EESF_EEENSM_IJSG_SG_EEES6_PlJS6_EEE10hipError_tPvRmT3_T4_T5_T6_T7_T9_mT8_P12ihipStream_tbDpT10_ENKUlT_T0_E_clISt17integral_constantIbLb0EES1B_EEDaS16_S17_EUlS16_E_NS1_11comp_targetILNS1_3genE9ELNS1_11target_archE1100ELNS1_3gpuE3ELNS1_3repE0EEENS1_30default_config_static_selectorELNS0_4arch9wavefront6targetE1EEEvT1_,"axG",@progbits,_ZN7rocprim17ROCPRIM_400000_NS6detail17trampoline_kernelINS0_14default_configENS1_25partition_config_selectorILNS1_17partition_subalgoE1EsNS0_10empty_typeEbEEZZNS1_14partition_implILS5_1ELb0ES3_jN6thrust23THRUST_200600_302600_NS6detail15normal_iteratorINSA_10device_ptrIsEEEEPS6_NSA_18transform_iteratorI7is_evenIsESF_NSA_11use_defaultESK_EENS0_5tupleIJNSA_16discard_iteratorISK_EESF_EEENSM_IJSG_SG_EEES6_PlJS6_EEE10hipError_tPvRmT3_T4_T5_T6_T7_T9_mT8_P12ihipStream_tbDpT10_ENKUlT_T0_E_clISt17integral_constantIbLb0EES1B_EEDaS16_S17_EUlS16_E_NS1_11comp_targetILNS1_3genE9ELNS1_11target_archE1100ELNS1_3gpuE3ELNS1_3repE0EEENS1_30default_config_static_selectorELNS0_4arch9wavefront6targetE1EEEvT1_,comdat
	.protected	_ZN7rocprim17ROCPRIM_400000_NS6detail17trampoline_kernelINS0_14default_configENS1_25partition_config_selectorILNS1_17partition_subalgoE1EsNS0_10empty_typeEbEEZZNS1_14partition_implILS5_1ELb0ES3_jN6thrust23THRUST_200600_302600_NS6detail15normal_iteratorINSA_10device_ptrIsEEEEPS6_NSA_18transform_iteratorI7is_evenIsESF_NSA_11use_defaultESK_EENS0_5tupleIJNSA_16discard_iteratorISK_EESF_EEENSM_IJSG_SG_EEES6_PlJS6_EEE10hipError_tPvRmT3_T4_T5_T6_T7_T9_mT8_P12ihipStream_tbDpT10_ENKUlT_T0_E_clISt17integral_constantIbLb0EES1B_EEDaS16_S17_EUlS16_E_NS1_11comp_targetILNS1_3genE9ELNS1_11target_archE1100ELNS1_3gpuE3ELNS1_3repE0EEENS1_30default_config_static_selectorELNS0_4arch9wavefront6targetE1EEEvT1_ ; -- Begin function _ZN7rocprim17ROCPRIM_400000_NS6detail17trampoline_kernelINS0_14default_configENS1_25partition_config_selectorILNS1_17partition_subalgoE1EsNS0_10empty_typeEbEEZZNS1_14partition_implILS5_1ELb0ES3_jN6thrust23THRUST_200600_302600_NS6detail15normal_iteratorINSA_10device_ptrIsEEEEPS6_NSA_18transform_iteratorI7is_evenIsESF_NSA_11use_defaultESK_EENS0_5tupleIJNSA_16discard_iteratorISK_EESF_EEENSM_IJSG_SG_EEES6_PlJS6_EEE10hipError_tPvRmT3_T4_T5_T6_T7_T9_mT8_P12ihipStream_tbDpT10_ENKUlT_T0_E_clISt17integral_constantIbLb0EES1B_EEDaS16_S17_EUlS16_E_NS1_11comp_targetILNS1_3genE9ELNS1_11target_archE1100ELNS1_3gpuE3ELNS1_3repE0EEENS1_30default_config_static_selectorELNS0_4arch9wavefront6targetE1EEEvT1_
	.globl	_ZN7rocprim17ROCPRIM_400000_NS6detail17trampoline_kernelINS0_14default_configENS1_25partition_config_selectorILNS1_17partition_subalgoE1EsNS0_10empty_typeEbEEZZNS1_14partition_implILS5_1ELb0ES3_jN6thrust23THRUST_200600_302600_NS6detail15normal_iteratorINSA_10device_ptrIsEEEEPS6_NSA_18transform_iteratorI7is_evenIsESF_NSA_11use_defaultESK_EENS0_5tupleIJNSA_16discard_iteratorISK_EESF_EEENSM_IJSG_SG_EEES6_PlJS6_EEE10hipError_tPvRmT3_T4_T5_T6_T7_T9_mT8_P12ihipStream_tbDpT10_ENKUlT_T0_E_clISt17integral_constantIbLb0EES1B_EEDaS16_S17_EUlS16_E_NS1_11comp_targetILNS1_3genE9ELNS1_11target_archE1100ELNS1_3gpuE3ELNS1_3repE0EEENS1_30default_config_static_selectorELNS0_4arch9wavefront6targetE1EEEvT1_
	.p2align	8
	.type	_ZN7rocprim17ROCPRIM_400000_NS6detail17trampoline_kernelINS0_14default_configENS1_25partition_config_selectorILNS1_17partition_subalgoE1EsNS0_10empty_typeEbEEZZNS1_14partition_implILS5_1ELb0ES3_jN6thrust23THRUST_200600_302600_NS6detail15normal_iteratorINSA_10device_ptrIsEEEEPS6_NSA_18transform_iteratorI7is_evenIsESF_NSA_11use_defaultESK_EENS0_5tupleIJNSA_16discard_iteratorISK_EESF_EEENSM_IJSG_SG_EEES6_PlJS6_EEE10hipError_tPvRmT3_T4_T5_T6_T7_T9_mT8_P12ihipStream_tbDpT10_ENKUlT_T0_E_clISt17integral_constantIbLb0EES1B_EEDaS16_S17_EUlS16_E_NS1_11comp_targetILNS1_3genE9ELNS1_11target_archE1100ELNS1_3gpuE3ELNS1_3repE0EEENS1_30default_config_static_selectorELNS0_4arch9wavefront6targetE1EEEvT1_,@function
_ZN7rocprim17ROCPRIM_400000_NS6detail17trampoline_kernelINS0_14default_configENS1_25partition_config_selectorILNS1_17partition_subalgoE1EsNS0_10empty_typeEbEEZZNS1_14partition_implILS5_1ELb0ES3_jN6thrust23THRUST_200600_302600_NS6detail15normal_iteratorINSA_10device_ptrIsEEEEPS6_NSA_18transform_iteratorI7is_evenIsESF_NSA_11use_defaultESK_EENS0_5tupleIJNSA_16discard_iteratorISK_EESF_EEENSM_IJSG_SG_EEES6_PlJS6_EEE10hipError_tPvRmT3_T4_T5_T6_T7_T9_mT8_P12ihipStream_tbDpT10_ENKUlT_T0_E_clISt17integral_constantIbLb0EES1B_EEDaS16_S17_EUlS16_E_NS1_11comp_targetILNS1_3genE9ELNS1_11target_archE1100ELNS1_3gpuE3ELNS1_3repE0EEENS1_30default_config_static_selectorELNS0_4arch9wavefront6targetE1EEEvT1_: ; @_ZN7rocprim17ROCPRIM_400000_NS6detail17trampoline_kernelINS0_14default_configENS1_25partition_config_selectorILNS1_17partition_subalgoE1EsNS0_10empty_typeEbEEZZNS1_14partition_implILS5_1ELb0ES3_jN6thrust23THRUST_200600_302600_NS6detail15normal_iteratorINSA_10device_ptrIsEEEEPS6_NSA_18transform_iteratorI7is_evenIsESF_NSA_11use_defaultESK_EENS0_5tupleIJNSA_16discard_iteratorISK_EESF_EEENSM_IJSG_SG_EEES6_PlJS6_EEE10hipError_tPvRmT3_T4_T5_T6_T7_T9_mT8_P12ihipStream_tbDpT10_ENKUlT_T0_E_clISt17integral_constantIbLb0EES1B_EEDaS16_S17_EUlS16_E_NS1_11comp_targetILNS1_3genE9ELNS1_11target_archE1100ELNS1_3gpuE3ELNS1_3repE0EEENS1_30default_config_static_selectorELNS0_4arch9wavefront6targetE1EEEvT1_
; %bb.0:
	.section	.rodata,"a",@progbits
	.p2align	6, 0x0
	.amdhsa_kernel _ZN7rocprim17ROCPRIM_400000_NS6detail17trampoline_kernelINS0_14default_configENS1_25partition_config_selectorILNS1_17partition_subalgoE1EsNS0_10empty_typeEbEEZZNS1_14partition_implILS5_1ELb0ES3_jN6thrust23THRUST_200600_302600_NS6detail15normal_iteratorINSA_10device_ptrIsEEEEPS6_NSA_18transform_iteratorI7is_evenIsESF_NSA_11use_defaultESK_EENS0_5tupleIJNSA_16discard_iteratorISK_EESF_EEENSM_IJSG_SG_EEES6_PlJS6_EEE10hipError_tPvRmT3_T4_T5_T6_T7_T9_mT8_P12ihipStream_tbDpT10_ENKUlT_T0_E_clISt17integral_constantIbLb0EES1B_EEDaS16_S17_EUlS16_E_NS1_11comp_targetILNS1_3genE9ELNS1_11target_archE1100ELNS1_3gpuE3ELNS1_3repE0EEENS1_30default_config_static_selectorELNS0_4arch9wavefront6targetE1EEEvT1_
		.amdhsa_group_segment_fixed_size 0
		.amdhsa_private_segment_fixed_size 0
		.amdhsa_kernarg_size 136
		.amdhsa_user_sgpr_count 6
		.amdhsa_user_sgpr_private_segment_buffer 1
		.amdhsa_user_sgpr_dispatch_ptr 0
		.amdhsa_user_sgpr_queue_ptr 0
		.amdhsa_user_sgpr_kernarg_segment_ptr 1
		.amdhsa_user_sgpr_dispatch_id 0
		.amdhsa_user_sgpr_flat_scratch_init 0
		.amdhsa_user_sgpr_kernarg_preload_length 0
		.amdhsa_user_sgpr_kernarg_preload_offset 0
		.amdhsa_user_sgpr_private_segment_size 0
		.amdhsa_uses_dynamic_stack 0
		.amdhsa_system_sgpr_private_segment_wavefront_offset 0
		.amdhsa_system_sgpr_workgroup_id_x 1
		.amdhsa_system_sgpr_workgroup_id_y 0
		.amdhsa_system_sgpr_workgroup_id_z 0
		.amdhsa_system_sgpr_workgroup_info 0
		.amdhsa_system_vgpr_workitem_id 0
		.amdhsa_next_free_vgpr 1
		.amdhsa_next_free_sgpr 0
		.amdhsa_accum_offset 4
		.amdhsa_reserve_vcc 0
		.amdhsa_reserve_flat_scratch 0
		.amdhsa_float_round_mode_32 0
		.amdhsa_float_round_mode_16_64 0
		.amdhsa_float_denorm_mode_32 3
		.amdhsa_float_denorm_mode_16_64 3
		.amdhsa_dx10_clamp 1
		.amdhsa_ieee_mode 1
		.amdhsa_fp16_overflow 0
		.amdhsa_tg_split 0
		.amdhsa_exception_fp_ieee_invalid_op 0
		.amdhsa_exception_fp_denorm_src 0
		.amdhsa_exception_fp_ieee_div_zero 0
		.amdhsa_exception_fp_ieee_overflow 0
		.amdhsa_exception_fp_ieee_underflow 0
		.amdhsa_exception_fp_ieee_inexact 0
		.amdhsa_exception_int_div_zero 0
	.end_amdhsa_kernel
	.section	.text._ZN7rocprim17ROCPRIM_400000_NS6detail17trampoline_kernelINS0_14default_configENS1_25partition_config_selectorILNS1_17partition_subalgoE1EsNS0_10empty_typeEbEEZZNS1_14partition_implILS5_1ELb0ES3_jN6thrust23THRUST_200600_302600_NS6detail15normal_iteratorINSA_10device_ptrIsEEEEPS6_NSA_18transform_iteratorI7is_evenIsESF_NSA_11use_defaultESK_EENS0_5tupleIJNSA_16discard_iteratorISK_EESF_EEENSM_IJSG_SG_EEES6_PlJS6_EEE10hipError_tPvRmT3_T4_T5_T6_T7_T9_mT8_P12ihipStream_tbDpT10_ENKUlT_T0_E_clISt17integral_constantIbLb0EES1B_EEDaS16_S17_EUlS16_E_NS1_11comp_targetILNS1_3genE9ELNS1_11target_archE1100ELNS1_3gpuE3ELNS1_3repE0EEENS1_30default_config_static_selectorELNS0_4arch9wavefront6targetE1EEEvT1_,"axG",@progbits,_ZN7rocprim17ROCPRIM_400000_NS6detail17trampoline_kernelINS0_14default_configENS1_25partition_config_selectorILNS1_17partition_subalgoE1EsNS0_10empty_typeEbEEZZNS1_14partition_implILS5_1ELb0ES3_jN6thrust23THRUST_200600_302600_NS6detail15normal_iteratorINSA_10device_ptrIsEEEEPS6_NSA_18transform_iteratorI7is_evenIsESF_NSA_11use_defaultESK_EENS0_5tupleIJNSA_16discard_iteratorISK_EESF_EEENSM_IJSG_SG_EEES6_PlJS6_EEE10hipError_tPvRmT3_T4_T5_T6_T7_T9_mT8_P12ihipStream_tbDpT10_ENKUlT_T0_E_clISt17integral_constantIbLb0EES1B_EEDaS16_S17_EUlS16_E_NS1_11comp_targetILNS1_3genE9ELNS1_11target_archE1100ELNS1_3gpuE3ELNS1_3repE0EEENS1_30default_config_static_selectorELNS0_4arch9wavefront6targetE1EEEvT1_,comdat
.Lfunc_end3425:
	.size	_ZN7rocprim17ROCPRIM_400000_NS6detail17trampoline_kernelINS0_14default_configENS1_25partition_config_selectorILNS1_17partition_subalgoE1EsNS0_10empty_typeEbEEZZNS1_14partition_implILS5_1ELb0ES3_jN6thrust23THRUST_200600_302600_NS6detail15normal_iteratorINSA_10device_ptrIsEEEEPS6_NSA_18transform_iteratorI7is_evenIsESF_NSA_11use_defaultESK_EENS0_5tupleIJNSA_16discard_iteratorISK_EESF_EEENSM_IJSG_SG_EEES6_PlJS6_EEE10hipError_tPvRmT3_T4_T5_T6_T7_T9_mT8_P12ihipStream_tbDpT10_ENKUlT_T0_E_clISt17integral_constantIbLb0EES1B_EEDaS16_S17_EUlS16_E_NS1_11comp_targetILNS1_3genE9ELNS1_11target_archE1100ELNS1_3gpuE3ELNS1_3repE0EEENS1_30default_config_static_selectorELNS0_4arch9wavefront6targetE1EEEvT1_, .Lfunc_end3425-_ZN7rocprim17ROCPRIM_400000_NS6detail17trampoline_kernelINS0_14default_configENS1_25partition_config_selectorILNS1_17partition_subalgoE1EsNS0_10empty_typeEbEEZZNS1_14partition_implILS5_1ELb0ES3_jN6thrust23THRUST_200600_302600_NS6detail15normal_iteratorINSA_10device_ptrIsEEEEPS6_NSA_18transform_iteratorI7is_evenIsESF_NSA_11use_defaultESK_EENS0_5tupleIJNSA_16discard_iteratorISK_EESF_EEENSM_IJSG_SG_EEES6_PlJS6_EEE10hipError_tPvRmT3_T4_T5_T6_T7_T9_mT8_P12ihipStream_tbDpT10_ENKUlT_T0_E_clISt17integral_constantIbLb0EES1B_EEDaS16_S17_EUlS16_E_NS1_11comp_targetILNS1_3genE9ELNS1_11target_archE1100ELNS1_3gpuE3ELNS1_3repE0EEENS1_30default_config_static_selectorELNS0_4arch9wavefront6targetE1EEEvT1_
                                        ; -- End function
	.section	.AMDGPU.csdata,"",@progbits
; Kernel info:
; codeLenInByte = 0
; NumSgprs: 4
; NumVgprs: 0
; NumAgprs: 0
; TotalNumVgprs: 0
; ScratchSize: 0
; MemoryBound: 0
; FloatMode: 240
; IeeeMode: 1
; LDSByteSize: 0 bytes/workgroup (compile time only)
; SGPRBlocks: 0
; VGPRBlocks: 0
; NumSGPRsForWavesPerEU: 4
; NumVGPRsForWavesPerEU: 1
; AccumOffset: 4
; Occupancy: 8
; WaveLimiterHint : 0
; COMPUTE_PGM_RSRC2:SCRATCH_EN: 0
; COMPUTE_PGM_RSRC2:USER_SGPR: 6
; COMPUTE_PGM_RSRC2:TRAP_HANDLER: 0
; COMPUTE_PGM_RSRC2:TGID_X_EN: 1
; COMPUTE_PGM_RSRC2:TGID_Y_EN: 0
; COMPUTE_PGM_RSRC2:TGID_Z_EN: 0
; COMPUTE_PGM_RSRC2:TIDIG_COMP_CNT: 0
; COMPUTE_PGM_RSRC3_GFX90A:ACCUM_OFFSET: 0
; COMPUTE_PGM_RSRC3_GFX90A:TG_SPLIT: 0
	.section	.text._ZN7rocprim17ROCPRIM_400000_NS6detail17trampoline_kernelINS0_14default_configENS1_25partition_config_selectorILNS1_17partition_subalgoE1EsNS0_10empty_typeEbEEZZNS1_14partition_implILS5_1ELb0ES3_jN6thrust23THRUST_200600_302600_NS6detail15normal_iteratorINSA_10device_ptrIsEEEEPS6_NSA_18transform_iteratorI7is_evenIsESF_NSA_11use_defaultESK_EENS0_5tupleIJNSA_16discard_iteratorISK_EESF_EEENSM_IJSG_SG_EEES6_PlJS6_EEE10hipError_tPvRmT3_T4_T5_T6_T7_T9_mT8_P12ihipStream_tbDpT10_ENKUlT_T0_E_clISt17integral_constantIbLb0EES1B_EEDaS16_S17_EUlS16_E_NS1_11comp_targetILNS1_3genE8ELNS1_11target_archE1030ELNS1_3gpuE2ELNS1_3repE0EEENS1_30default_config_static_selectorELNS0_4arch9wavefront6targetE1EEEvT1_,"axG",@progbits,_ZN7rocprim17ROCPRIM_400000_NS6detail17trampoline_kernelINS0_14default_configENS1_25partition_config_selectorILNS1_17partition_subalgoE1EsNS0_10empty_typeEbEEZZNS1_14partition_implILS5_1ELb0ES3_jN6thrust23THRUST_200600_302600_NS6detail15normal_iteratorINSA_10device_ptrIsEEEEPS6_NSA_18transform_iteratorI7is_evenIsESF_NSA_11use_defaultESK_EENS0_5tupleIJNSA_16discard_iteratorISK_EESF_EEENSM_IJSG_SG_EEES6_PlJS6_EEE10hipError_tPvRmT3_T4_T5_T6_T7_T9_mT8_P12ihipStream_tbDpT10_ENKUlT_T0_E_clISt17integral_constantIbLb0EES1B_EEDaS16_S17_EUlS16_E_NS1_11comp_targetILNS1_3genE8ELNS1_11target_archE1030ELNS1_3gpuE2ELNS1_3repE0EEENS1_30default_config_static_selectorELNS0_4arch9wavefront6targetE1EEEvT1_,comdat
	.protected	_ZN7rocprim17ROCPRIM_400000_NS6detail17trampoline_kernelINS0_14default_configENS1_25partition_config_selectorILNS1_17partition_subalgoE1EsNS0_10empty_typeEbEEZZNS1_14partition_implILS5_1ELb0ES3_jN6thrust23THRUST_200600_302600_NS6detail15normal_iteratorINSA_10device_ptrIsEEEEPS6_NSA_18transform_iteratorI7is_evenIsESF_NSA_11use_defaultESK_EENS0_5tupleIJNSA_16discard_iteratorISK_EESF_EEENSM_IJSG_SG_EEES6_PlJS6_EEE10hipError_tPvRmT3_T4_T5_T6_T7_T9_mT8_P12ihipStream_tbDpT10_ENKUlT_T0_E_clISt17integral_constantIbLb0EES1B_EEDaS16_S17_EUlS16_E_NS1_11comp_targetILNS1_3genE8ELNS1_11target_archE1030ELNS1_3gpuE2ELNS1_3repE0EEENS1_30default_config_static_selectorELNS0_4arch9wavefront6targetE1EEEvT1_ ; -- Begin function _ZN7rocprim17ROCPRIM_400000_NS6detail17trampoline_kernelINS0_14default_configENS1_25partition_config_selectorILNS1_17partition_subalgoE1EsNS0_10empty_typeEbEEZZNS1_14partition_implILS5_1ELb0ES3_jN6thrust23THRUST_200600_302600_NS6detail15normal_iteratorINSA_10device_ptrIsEEEEPS6_NSA_18transform_iteratorI7is_evenIsESF_NSA_11use_defaultESK_EENS0_5tupleIJNSA_16discard_iteratorISK_EESF_EEENSM_IJSG_SG_EEES6_PlJS6_EEE10hipError_tPvRmT3_T4_T5_T6_T7_T9_mT8_P12ihipStream_tbDpT10_ENKUlT_T0_E_clISt17integral_constantIbLb0EES1B_EEDaS16_S17_EUlS16_E_NS1_11comp_targetILNS1_3genE8ELNS1_11target_archE1030ELNS1_3gpuE2ELNS1_3repE0EEENS1_30default_config_static_selectorELNS0_4arch9wavefront6targetE1EEEvT1_
	.globl	_ZN7rocprim17ROCPRIM_400000_NS6detail17trampoline_kernelINS0_14default_configENS1_25partition_config_selectorILNS1_17partition_subalgoE1EsNS0_10empty_typeEbEEZZNS1_14partition_implILS5_1ELb0ES3_jN6thrust23THRUST_200600_302600_NS6detail15normal_iteratorINSA_10device_ptrIsEEEEPS6_NSA_18transform_iteratorI7is_evenIsESF_NSA_11use_defaultESK_EENS0_5tupleIJNSA_16discard_iteratorISK_EESF_EEENSM_IJSG_SG_EEES6_PlJS6_EEE10hipError_tPvRmT3_T4_T5_T6_T7_T9_mT8_P12ihipStream_tbDpT10_ENKUlT_T0_E_clISt17integral_constantIbLb0EES1B_EEDaS16_S17_EUlS16_E_NS1_11comp_targetILNS1_3genE8ELNS1_11target_archE1030ELNS1_3gpuE2ELNS1_3repE0EEENS1_30default_config_static_selectorELNS0_4arch9wavefront6targetE1EEEvT1_
	.p2align	8
	.type	_ZN7rocprim17ROCPRIM_400000_NS6detail17trampoline_kernelINS0_14default_configENS1_25partition_config_selectorILNS1_17partition_subalgoE1EsNS0_10empty_typeEbEEZZNS1_14partition_implILS5_1ELb0ES3_jN6thrust23THRUST_200600_302600_NS6detail15normal_iteratorINSA_10device_ptrIsEEEEPS6_NSA_18transform_iteratorI7is_evenIsESF_NSA_11use_defaultESK_EENS0_5tupleIJNSA_16discard_iteratorISK_EESF_EEENSM_IJSG_SG_EEES6_PlJS6_EEE10hipError_tPvRmT3_T4_T5_T6_T7_T9_mT8_P12ihipStream_tbDpT10_ENKUlT_T0_E_clISt17integral_constantIbLb0EES1B_EEDaS16_S17_EUlS16_E_NS1_11comp_targetILNS1_3genE8ELNS1_11target_archE1030ELNS1_3gpuE2ELNS1_3repE0EEENS1_30default_config_static_selectorELNS0_4arch9wavefront6targetE1EEEvT1_,@function
_ZN7rocprim17ROCPRIM_400000_NS6detail17trampoline_kernelINS0_14default_configENS1_25partition_config_selectorILNS1_17partition_subalgoE1EsNS0_10empty_typeEbEEZZNS1_14partition_implILS5_1ELb0ES3_jN6thrust23THRUST_200600_302600_NS6detail15normal_iteratorINSA_10device_ptrIsEEEEPS6_NSA_18transform_iteratorI7is_evenIsESF_NSA_11use_defaultESK_EENS0_5tupleIJNSA_16discard_iteratorISK_EESF_EEENSM_IJSG_SG_EEES6_PlJS6_EEE10hipError_tPvRmT3_T4_T5_T6_T7_T9_mT8_P12ihipStream_tbDpT10_ENKUlT_T0_E_clISt17integral_constantIbLb0EES1B_EEDaS16_S17_EUlS16_E_NS1_11comp_targetILNS1_3genE8ELNS1_11target_archE1030ELNS1_3gpuE2ELNS1_3repE0EEENS1_30default_config_static_selectorELNS0_4arch9wavefront6targetE1EEEvT1_: ; @_ZN7rocprim17ROCPRIM_400000_NS6detail17trampoline_kernelINS0_14default_configENS1_25partition_config_selectorILNS1_17partition_subalgoE1EsNS0_10empty_typeEbEEZZNS1_14partition_implILS5_1ELb0ES3_jN6thrust23THRUST_200600_302600_NS6detail15normal_iteratorINSA_10device_ptrIsEEEEPS6_NSA_18transform_iteratorI7is_evenIsESF_NSA_11use_defaultESK_EENS0_5tupleIJNSA_16discard_iteratorISK_EESF_EEENSM_IJSG_SG_EEES6_PlJS6_EEE10hipError_tPvRmT3_T4_T5_T6_T7_T9_mT8_P12ihipStream_tbDpT10_ENKUlT_T0_E_clISt17integral_constantIbLb0EES1B_EEDaS16_S17_EUlS16_E_NS1_11comp_targetILNS1_3genE8ELNS1_11target_archE1030ELNS1_3gpuE2ELNS1_3repE0EEENS1_30default_config_static_selectorELNS0_4arch9wavefront6targetE1EEEvT1_
; %bb.0:
	.section	.rodata,"a",@progbits
	.p2align	6, 0x0
	.amdhsa_kernel _ZN7rocprim17ROCPRIM_400000_NS6detail17trampoline_kernelINS0_14default_configENS1_25partition_config_selectorILNS1_17partition_subalgoE1EsNS0_10empty_typeEbEEZZNS1_14partition_implILS5_1ELb0ES3_jN6thrust23THRUST_200600_302600_NS6detail15normal_iteratorINSA_10device_ptrIsEEEEPS6_NSA_18transform_iteratorI7is_evenIsESF_NSA_11use_defaultESK_EENS0_5tupleIJNSA_16discard_iteratorISK_EESF_EEENSM_IJSG_SG_EEES6_PlJS6_EEE10hipError_tPvRmT3_T4_T5_T6_T7_T9_mT8_P12ihipStream_tbDpT10_ENKUlT_T0_E_clISt17integral_constantIbLb0EES1B_EEDaS16_S17_EUlS16_E_NS1_11comp_targetILNS1_3genE8ELNS1_11target_archE1030ELNS1_3gpuE2ELNS1_3repE0EEENS1_30default_config_static_selectorELNS0_4arch9wavefront6targetE1EEEvT1_
		.amdhsa_group_segment_fixed_size 0
		.amdhsa_private_segment_fixed_size 0
		.amdhsa_kernarg_size 136
		.amdhsa_user_sgpr_count 6
		.amdhsa_user_sgpr_private_segment_buffer 1
		.amdhsa_user_sgpr_dispatch_ptr 0
		.amdhsa_user_sgpr_queue_ptr 0
		.amdhsa_user_sgpr_kernarg_segment_ptr 1
		.amdhsa_user_sgpr_dispatch_id 0
		.amdhsa_user_sgpr_flat_scratch_init 0
		.amdhsa_user_sgpr_kernarg_preload_length 0
		.amdhsa_user_sgpr_kernarg_preload_offset 0
		.amdhsa_user_sgpr_private_segment_size 0
		.amdhsa_uses_dynamic_stack 0
		.amdhsa_system_sgpr_private_segment_wavefront_offset 0
		.amdhsa_system_sgpr_workgroup_id_x 1
		.amdhsa_system_sgpr_workgroup_id_y 0
		.amdhsa_system_sgpr_workgroup_id_z 0
		.amdhsa_system_sgpr_workgroup_info 0
		.amdhsa_system_vgpr_workitem_id 0
		.amdhsa_next_free_vgpr 1
		.amdhsa_next_free_sgpr 0
		.amdhsa_accum_offset 4
		.amdhsa_reserve_vcc 0
		.amdhsa_reserve_flat_scratch 0
		.amdhsa_float_round_mode_32 0
		.amdhsa_float_round_mode_16_64 0
		.amdhsa_float_denorm_mode_32 3
		.amdhsa_float_denorm_mode_16_64 3
		.amdhsa_dx10_clamp 1
		.amdhsa_ieee_mode 1
		.amdhsa_fp16_overflow 0
		.amdhsa_tg_split 0
		.amdhsa_exception_fp_ieee_invalid_op 0
		.amdhsa_exception_fp_denorm_src 0
		.amdhsa_exception_fp_ieee_div_zero 0
		.amdhsa_exception_fp_ieee_overflow 0
		.amdhsa_exception_fp_ieee_underflow 0
		.amdhsa_exception_fp_ieee_inexact 0
		.amdhsa_exception_int_div_zero 0
	.end_amdhsa_kernel
	.section	.text._ZN7rocprim17ROCPRIM_400000_NS6detail17trampoline_kernelINS0_14default_configENS1_25partition_config_selectorILNS1_17partition_subalgoE1EsNS0_10empty_typeEbEEZZNS1_14partition_implILS5_1ELb0ES3_jN6thrust23THRUST_200600_302600_NS6detail15normal_iteratorINSA_10device_ptrIsEEEEPS6_NSA_18transform_iteratorI7is_evenIsESF_NSA_11use_defaultESK_EENS0_5tupleIJNSA_16discard_iteratorISK_EESF_EEENSM_IJSG_SG_EEES6_PlJS6_EEE10hipError_tPvRmT3_T4_T5_T6_T7_T9_mT8_P12ihipStream_tbDpT10_ENKUlT_T0_E_clISt17integral_constantIbLb0EES1B_EEDaS16_S17_EUlS16_E_NS1_11comp_targetILNS1_3genE8ELNS1_11target_archE1030ELNS1_3gpuE2ELNS1_3repE0EEENS1_30default_config_static_selectorELNS0_4arch9wavefront6targetE1EEEvT1_,"axG",@progbits,_ZN7rocprim17ROCPRIM_400000_NS6detail17trampoline_kernelINS0_14default_configENS1_25partition_config_selectorILNS1_17partition_subalgoE1EsNS0_10empty_typeEbEEZZNS1_14partition_implILS5_1ELb0ES3_jN6thrust23THRUST_200600_302600_NS6detail15normal_iteratorINSA_10device_ptrIsEEEEPS6_NSA_18transform_iteratorI7is_evenIsESF_NSA_11use_defaultESK_EENS0_5tupleIJNSA_16discard_iteratorISK_EESF_EEENSM_IJSG_SG_EEES6_PlJS6_EEE10hipError_tPvRmT3_T4_T5_T6_T7_T9_mT8_P12ihipStream_tbDpT10_ENKUlT_T0_E_clISt17integral_constantIbLb0EES1B_EEDaS16_S17_EUlS16_E_NS1_11comp_targetILNS1_3genE8ELNS1_11target_archE1030ELNS1_3gpuE2ELNS1_3repE0EEENS1_30default_config_static_selectorELNS0_4arch9wavefront6targetE1EEEvT1_,comdat
.Lfunc_end3426:
	.size	_ZN7rocprim17ROCPRIM_400000_NS6detail17trampoline_kernelINS0_14default_configENS1_25partition_config_selectorILNS1_17partition_subalgoE1EsNS0_10empty_typeEbEEZZNS1_14partition_implILS5_1ELb0ES3_jN6thrust23THRUST_200600_302600_NS6detail15normal_iteratorINSA_10device_ptrIsEEEEPS6_NSA_18transform_iteratorI7is_evenIsESF_NSA_11use_defaultESK_EENS0_5tupleIJNSA_16discard_iteratorISK_EESF_EEENSM_IJSG_SG_EEES6_PlJS6_EEE10hipError_tPvRmT3_T4_T5_T6_T7_T9_mT8_P12ihipStream_tbDpT10_ENKUlT_T0_E_clISt17integral_constantIbLb0EES1B_EEDaS16_S17_EUlS16_E_NS1_11comp_targetILNS1_3genE8ELNS1_11target_archE1030ELNS1_3gpuE2ELNS1_3repE0EEENS1_30default_config_static_selectorELNS0_4arch9wavefront6targetE1EEEvT1_, .Lfunc_end3426-_ZN7rocprim17ROCPRIM_400000_NS6detail17trampoline_kernelINS0_14default_configENS1_25partition_config_selectorILNS1_17partition_subalgoE1EsNS0_10empty_typeEbEEZZNS1_14partition_implILS5_1ELb0ES3_jN6thrust23THRUST_200600_302600_NS6detail15normal_iteratorINSA_10device_ptrIsEEEEPS6_NSA_18transform_iteratorI7is_evenIsESF_NSA_11use_defaultESK_EENS0_5tupleIJNSA_16discard_iteratorISK_EESF_EEENSM_IJSG_SG_EEES6_PlJS6_EEE10hipError_tPvRmT3_T4_T5_T6_T7_T9_mT8_P12ihipStream_tbDpT10_ENKUlT_T0_E_clISt17integral_constantIbLb0EES1B_EEDaS16_S17_EUlS16_E_NS1_11comp_targetILNS1_3genE8ELNS1_11target_archE1030ELNS1_3gpuE2ELNS1_3repE0EEENS1_30default_config_static_selectorELNS0_4arch9wavefront6targetE1EEEvT1_
                                        ; -- End function
	.section	.AMDGPU.csdata,"",@progbits
; Kernel info:
; codeLenInByte = 0
; NumSgprs: 4
; NumVgprs: 0
; NumAgprs: 0
; TotalNumVgprs: 0
; ScratchSize: 0
; MemoryBound: 0
; FloatMode: 240
; IeeeMode: 1
; LDSByteSize: 0 bytes/workgroup (compile time only)
; SGPRBlocks: 0
; VGPRBlocks: 0
; NumSGPRsForWavesPerEU: 4
; NumVGPRsForWavesPerEU: 1
; AccumOffset: 4
; Occupancy: 8
; WaveLimiterHint : 0
; COMPUTE_PGM_RSRC2:SCRATCH_EN: 0
; COMPUTE_PGM_RSRC2:USER_SGPR: 6
; COMPUTE_PGM_RSRC2:TRAP_HANDLER: 0
; COMPUTE_PGM_RSRC2:TGID_X_EN: 1
; COMPUTE_PGM_RSRC2:TGID_Y_EN: 0
; COMPUTE_PGM_RSRC2:TGID_Z_EN: 0
; COMPUTE_PGM_RSRC2:TIDIG_COMP_CNT: 0
; COMPUTE_PGM_RSRC3_GFX90A:ACCUM_OFFSET: 0
; COMPUTE_PGM_RSRC3_GFX90A:TG_SPLIT: 0
	.section	.text._ZN7rocprim17ROCPRIM_400000_NS6detail17trampoline_kernelINS0_14default_configENS1_25partition_config_selectorILNS1_17partition_subalgoE1EsNS0_10empty_typeEbEEZZNS1_14partition_implILS5_1ELb0ES3_jN6thrust23THRUST_200600_302600_NS6detail15normal_iteratorINSA_10device_ptrIsEEEEPS6_NSA_18transform_iteratorI7is_evenIsESF_NSA_11use_defaultESK_EENS0_5tupleIJNSA_16discard_iteratorISK_EESF_EEENSM_IJSG_SG_EEES6_PlJS6_EEE10hipError_tPvRmT3_T4_T5_T6_T7_T9_mT8_P12ihipStream_tbDpT10_ENKUlT_T0_E_clISt17integral_constantIbLb1EES1B_EEDaS16_S17_EUlS16_E_NS1_11comp_targetILNS1_3genE0ELNS1_11target_archE4294967295ELNS1_3gpuE0ELNS1_3repE0EEENS1_30default_config_static_selectorELNS0_4arch9wavefront6targetE1EEEvT1_,"axG",@progbits,_ZN7rocprim17ROCPRIM_400000_NS6detail17trampoline_kernelINS0_14default_configENS1_25partition_config_selectorILNS1_17partition_subalgoE1EsNS0_10empty_typeEbEEZZNS1_14partition_implILS5_1ELb0ES3_jN6thrust23THRUST_200600_302600_NS6detail15normal_iteratorINSA_10device_ptrIsEEEEPS6_NSA_18transform_iteratorI7is_evenIsESF_NSA_11use_defaultESK_EENS0_5tupleIJNSA_16discard_iteratorISK_EESF_EEENSM_IJSG_SG_EEES6_PlJS6_EEE10hipError_tPvRmT3_T4_T5_T6_T7_T9_mT8_P12ihipStream_tbDpT10_ENKUlT_T0_E_clISt17integral_constantIbLb1EES1B_EEDaS16_S17_EUlS16_E_NS1_11comp_targetILNS1_3genE0ELNS1_11target_archE4294967295ELNS1_3gpuE0ELNS1_3repE0EEENS1_30default_config_static_selectorELNS0_4arch9wavefront6targetE1EEEvT1_,comdat
	.protected	_ZN7rocprim17ROCPRIM_400000_NS6detail17trampoline_kernelINS0_14default_configENS1_25partition_config_selectorILNS1_17partition_subalgoE1EsNS0_10empty_typeEbEEZZNS1_14partition_implILS5_1ELb0ES3_jN6thrust23THRUST_200600_302600_NS6detail15normal_iteratorINSA_10device_ptrIsEEEEPS6_NSA_18transform_iteratorI7is_evenIsESF_NSA_11use_defaultESK_EENS0_5tupleIJNSA_16discard_iteratorISK_EESF_EEENSM_IJSG_SG_EEES6_PlJS6_EEE10hipError_tPvRmT3_T4_T5_T6_T7_T9_mT8_P12ihipStream_tbDpT10_ENKUlT_T0_E_clISt17integral_constantIbLb1EES1B_EEDaS16_S17_EUlS16_E_NS1_11comp_targetILNS1_3genE0ELNS1_11target_archE4294967295ELNS1_3gpuE0ELNS1_3repE0EEENS1_30default_config_static_selectorELNS0_4arch9wavefront6targetE1EEEvT1_ ; -- Begin function _ZN7rocprim17ROCPRIM_400000_NS6detail17trampoline_kernelINS0_14default_configENS1_25partition_config_selectorILNS1_17partition_subalgoE1EsNS0_10empty_typeEbEEZZNS1_14partition_implILS5_1ELb0ES3_jN6thrust23THRUST_200600_302600_NS6detail15normal_iteratorINSA_10device_ptrIsEEEEPS6_NSA_18transform_iteratorI7is_evenIsESF_NSA_11use_defaultESK_EENS0_5tupleIJNSA_16discard_iteratorISK_EESF_EEENSM_IJSG_SG_EEES6_PlJS6_EEE10hipError_tPvRmT3_T4_T5_T6_T7_T9_mT8_P12ihipStream_tbDpT10_ENKUlT_T0_E_clISt17integral_constantIbLb1EES1B_EEDaS16_S17_EUlS16_E_NS1_11comp_targetILNS1_3genE0ELNS1_11target_archE4294967295ELNS1_3gpuE0ELNS1_3repE0EEENS1_30default_config_static_selectorELNS0_4arch9wavefront6targetE1EEEvT1_
	.globl	_ZN7rocprim17ROCPRIM_400000_NS6detail17trampoline_kernelINS0_14default_configENS1_25partition_config_selectorILNS1_17partition_subalgoE1EsNS0_10empty_typeEbEEZZNS1_14partition_implILS5_1ELb0ES3_jN6thrust23THRUST_200600_302600_NS6detail15normal_iteratorINSA_10device_ptrIsEEEEPS6_NSA_18transform_iteratorI7is_evenIsESF_NSA_11use_defaultESK_EENS0_5tupleIJNSA_16discard_iteratorISK_EESF_EEENSM_IJSG_SG_EEES6_PlJS6_EEE10hipError_tPvRmT3_T4_T5_T6_T7_T9_mT8_P12ihipStream_tbDpT10_ENKUlT_T0_E_clISt17integral_constantIbLb1EES1B_EEDaS16_S17_EUlS16_E_NS1_11comp_targetILNS1_3genE0ELNS1_11target_archE4294967295ELNS1_3gpuE0ELNS1_3repE0EEENS1_30default_config_static_selectorELNS0_4arch9wavefront6targetE1EEEvT1_
	.p2align	8
	.type	_ZN7rocprim17ROCPRIM_400000_NS6detail17trampoline_kernelINS0_14default_configENS1_25partition_config_selectorILNS1_17partition_subalgoE1EsNS0_10empty_typeEbEEZZNS1_14partition_implILS5_1ELb0ES3_jN6thrust23THRUST_200600_302600_NS6detail15normal_iteratorINSA_10device_ptrIsEEEEPS6_NSA_18transform_iteratorI7is_evenIsESF_NSA_11use_defaultESK_EENS0_5tupleIJNSA_16discard_iteratorISK_EESF_EEENSM_IJSG_SG_EEES6_PlJS6_EEE10hipError_tPvRmT3_T4_T5_T6_T7_T9_mT8_P12ihipStream_tbDpT10_ENKUlT_T0_E_clISt17integral_constantIbLb1EES1B_EEDaS16_S17_EUlS16_E_NS1_11comp_targetILNS1_3genE0ELNS1_11target_archE4294967295ELNS1_3gpuE0ELNS1_3repE0EEENS1_30default_config_static_selectorELNS0_4arch9wavefront6targetE1EEEvT1_,@function
_ZN7rocprim17ROCPRIM_400000_NS6detail17trampoline_kernelINS0_14default_configENS1_25partition_config_selectorILNS1_17partition_subalgoE1EsNS0_10empty_typeEbEEZZNS1_14partition_implILS5_1ELb0ES3_jN6thrust23THRUST_200600_302600_NS6detail15normal_iteratorINSA_10device_ptrIsEEEEPS6_NSA_18transform_iteratorI7is_evenIsESF_NSA_11use_defaultESK_EENS0_5tupleIJNSA_16discard_iteratorISK_EESF_EEENSM_IJSG_SG_EEES6_PlJS6_EEE10hipError_tPvRmT3_T4_T5_T6_T7_T9_mT8_P12ihipStream_tbDpT10_ENKUlT_T0_E_clISt17integral_constantIbLb1EES1B_EEDaS16_S17_EUlS16_E_NS1_11comp_targetILNS1_3genE0ELNS1_11target_archE4294967295ELNS1_3gpuE0ELNS1_3repE0EEENS1_30default_config_static_selectorELNS0_4arch9wavefront6targetE1EEEvT1_: ; @_ZN7rocprim17ROCPRIM_400000_NS6detail17trampoline_kernelINS0_14default_configENS1_25partition_config_selectorILNS1_17partition_subalgoE1EsNS0_10empty_typeEbEEZZNS1_14partition_implILS5_1ELb0ES3_jN6thrust23THRUST_200600_302600_NS6detail15normal_iteratorINSA_10device_ptrIsEEEEPS6_NSA_18transform_iteratorI7is_evenIsESF_NSA_11use_defaultESK_EENS0_5tupleIJNSA_16discard_iteratorISK_EESF_EEENSM_IJSG_SG_EEES6_PlJS6_EEE10hipError_tPvRmT3_T4_T5_T6_T7_T9_mT8_P12ihipStream_tbDpT10_ENKUlT_T0_E_clISt17integral_constantIbLb1EES1B_EEDaS16_S17_EUlS16_E_NS1_11comp_targetILNS1_3genE0ELNS1_11target_archE4294967295ELNS1_3gpuE0ELNS1_3repE0EEENS1_30default_config_static_selectorELNS0_4arch9wavefront6targetE1EEEvT1_
; %bb.0:
	.section	.rodata,"a",@progbits
	.p2align	6, 0x0
	.amdhsa_kernel _ZN7rocprim17ROCPRIM_400000_NS6detail17trampoline_kernelINS0_14default_configENS1_25partition_config_selectorILNS1_17partition_subalgoE1EsNS0_10empty_typeEbEEZZNS1_14partition_implILS5_1ELb0ES3_jN6thrust23THRUST_200600_302600_NS6detail15normal_iteratorINSA_10device_ptrIsEEEEPS6_NSA_18transform_iteratorI7is_evenIsESF_NSA_11use_defaultESK_EENS0_5tupleIJNSA_16discard_iteratorISK_EESF_EEENSM_IJSG_SG_EEES6_PlJS6_EEE10hipError_tPvRmT3_T4_T5_T6_T7_T9_mT8_P12ihipStream_tbDpT10_ENKUlT_T0_E_clISt17integral_constantIbLb1EES1B_EEDaS16_S17_EUlS16_E_NS1_11comp_targetILNS1_3genE0ELNS1_11target_archE4294967295ELNS1_3gpuE0ELNS1_3repE0EEENS1_30default_config_static_selectorELNS0_4arch9wavefront6targetE1EEEvT1_
		.amdhsa_group_segment_fixed_size 0
		.amdhsa_private_segment_fixed_size 0
		.amdhsa_kernarg_size 152
		.amdhsa_user_sgpr_count 6
		.amdhsa_user_sgpr_private_segment_buffer 1
		.amdhsa_user_sgpr_dispatch_ptr 0
		.amdhsa_user_sgpr_queue_ptr 0
		.amdhsa_user_sgpr_kernarg_segment_ptr 1
		.amdhsa_user_sgpr_dispatch_id 0
		.amdhsa_user_sgpr_flat_scratch_init 0
		.amdhsa_user_sgpr_kernarg_preload_length 0
		.amdhsa_user_sgpr_kernarg_preload_offset 0
		.amdhsa_user_sgpr_private_segment_size 0
		.amdhsa_uses_dynamic_stack 0
		.amdhsa_system_sgpr_private_segment_wavefront_offset 0
		.amdhsa_system_sgpr_workgroup_id_x 1
		.amdhsa_system_sgpr_workgroup_id_y 0
		.amdhsa_system_sgpr_workgroup_id_z 0
		.amdhsa_system_sgpr_workgroup_info 0
		.amdhsa_system_vgpr_workitem_id 0
		.amdhsa_next_free_vgpr 1
		.amdhsa_next_free_sgpr 0
		.amdhsa_accum_offset 4
		.amdhsa_reserve_vcc 0
		.amdhsa_reserve_flat_scratch 0
		.amdhsa_float_round_mode_32 0
		.amdhsa_float_round_mode_16_64 0
		.amdhsa_float_denorm_mode_32 3
		.amdhsa_float_denorm_mode_16_64 3
		.amdhsa_dx10_clamp 1
		.amdhsa_ieee_mode 1
		.amdhsa_fp16_overflow 0
		.amdhsa_tg_split 0
		.amdhsa_exception_fp_ieee_invalid_op 0
		.amdhsa_exception_fp_denorm_src 0
		.amdhsa_exception_fp_ieee_div_zero 0
		.amdhsa_exception_fp_ieee_overflow 0
		.amdhsa_exception_fp_ieee_underflow 0
		.amdhsa_exception_fp_ieee_inexact 0
		.amdhsa_exception_int_div_zero 0
	.end_amdhsa_kernel
	.section	.text._ZN7rocprim17ROCPRIM_400000_NS6detail17trampoline_kernelINS0_14default_configENS1_25partition_config_selectorILNS1_17partition_subalgoE1EsNS0_10empty_typeEbEEZZNS1_14partition_implILS5_1ELb0ES3_jN6thrust23THRUST_200600_302600_NS6detail15normal_iteratorINSA_10device_ptrIsEEEEPS6_NSA_18transform_iteratorI7is_evenIsESF_NSA_11use_defaultESK_EENS0_5tupleIJNSA_16discard_iteratorISK_EESF_EEENSM_IJSG_SG_EEES6_PlJS6_EEE10hipError_tPvRmT3_T4_T5_T6_T7_T9_mT8_P12ihipStream_tbDpT10_ENKUlT_T0_E_clISt17integral_constantIbLb1EES1B_EEDaS16_S17_EUlS16_E_NS1_11comp_targetILNS1_3genE0ELNS1_11target_archE4294967295ELNS1_3gpuE0ELNS1_3repE0EEENS1_30default_config_static_selectorELNS0_4arch9wavefront6targetE1EEEvT1_,"axG",@progbits,_ZN7rocprim17ROCPRIM_400000_NS6detail17trampoline_kernelINS0_14default_configENS1_25partition_config_selectorILNS1_17partition_subalgoE1EsNS0_10empty_typeEbEEZZNS1_14partition_implILS5_1ELb0ES3_jN6thrust23THRUST_200600_302600_NS6detail15normal_iteratorINSA_10device_ptrIsEEEEPS6_NSA_18transform_iteratorI7is_evenIsESF_NSA_11use_defaultESK_EENS0_5tupleIJNSA_16discard_iteratorISK_EESF_EEENSM_IJSG_SG_EEES6_PlJS6_EEE10hipError_tPvRmT3_T4_T5_T6_T7_T9_mT8_P12ihipStream_tbDpT10_ENKUlT_T0_E_clISt17integral_constantIbLb1EES1B_EEDaS16_S17_EUlS16_E_NS1_11comp_targetILNS1_3genE0ELNS1_11target_archE4294967295ELNS1_3gpuE0ELNS1_3repE0EEENS1_30default_config_static_selectorELNS0_4arch9wavefront6targetE1EEEvT1_,comdat
.Lfunc_end3427:
	.size	_ZN7rocprim17ROCPRIM_400000_NS6detail17trampoline_kernelINS0_14default_configENS1_25partition_config_selectorILNS1_17partition_subalgoE1EsNS0_10empty_typeEbEEZZNS1_14partition_implILS5_1ELb0ES3_jN6thrust23THRUST_200600_302600_NS6detail15normal_iteratorINSA_10device_ptrIsEEEEPS6_NSA_18transform_iteratorI7is_evenIsESF_NSA_11use_defaultESK_EENS0_5tupleIJNSA_16discard_iteratorISK_EESF_EEENSM_IJSG_SG_EEES6_PlJS6_EEE10hipError_tPvRmT3_T4_T5_T6_T7_T9_mT8_P12ihipStream_tbDpT10_ENKUlT_T0_E_clISt17integral_constantIbLb1EES1B_EEDaS16_S17_EUlS16_E_NS1_11comp_targetILNS1_3genE0ELNS1_11target_archE4294967295ELNS1_3gpuE0ELNS1_3repE0EEENS1_30default_config_static_selectorELNS0_4arch9wavefront6targetE1EEEvT1_, .Lfunc_end3427-_ZN7rocprim17ROCPRIM_400000_NS6detail17trampoline_kernelINS0_14default_configENS1_25partition_config_selectorILNS1_17partition_subalgoE1EsNS0_10empty_typeEbEEZZNS1_14partition_implILS5_1ELb0ES3_jN6thrust23THRUST_200600_302600_NS6detail15normal_iteratorINSA_10device_ptrIsEEEEPS6_NSA_18transform_iteratorI7is_evenIsESF_NSA_11use_defaultESK_EENS0_5tupleIJNSA_16discard_iteratorISK_EESF_EEENSM_IJSG_SG_EEES6_PlJS6_EEE10hipError_tPvRmT3_T4_T5_T6_T7_T9_mT8_P12ihipStream_tbDpT10_ENKUlT_T0_E_clISt17integral_constantIbLb1EES1B_EEDaS16_S17_EUlS16_E_NS1_11comp_targetILNS1_3genE0ELNS1_11target_archE4294967295ELNS1_3gpuE0ELNS1_3repE0EEENS1_30default_config_static_selectorELNS0_4arch9wavefront6targetE1EEEvT1_
                                        ; -- End function
	.section	.AMDGPU.csdata,"",@progbits
; Kernel info:
; codeLenInByte = 0
; NumSgprs: 4
; NumVgprs: 0
; NumAgprs: 0
; TotalNumVgprs: 0
; ScratchSize: 0
; MemoryBound: 0
; FloatMode: 240
; IeeeMode: 1
; LDSByteSize: 0 bytes/workgroup (compile time only)
; SGPRBlocks: 0
; VGPRBlocks: 0
; NumSGPRsForWavesPerEU: 4
; NumVGPRsForWavesPerEU: 1
; AccumOffset: 4
; Occupancy: 8
; WaveLimiterHint : 0
; COMPUTE_PGM_RSRC2:SCRATCH_EN: 0
; COMPUTE_PGM_RSRC2:USER_SGPR: 6
; COMPUTE_PGM_RSRC2:TRAP_HANDLER: 0
; COMPUTE_PGM_RSRC2:TGID_X_EN: 1
; COMPUTE_PGM_RSRC2:TGID_Y_EN: 0
; COMPUTE_PGM_RSRC2:TGID_Z_EN: 0
; COMPUTE_PGM_RSRC2:TIDIG_COMP_CNT: 0
; COMPUTE_PGM_RSRC3_GFX90A:ACCUM_OFFSET: 0
; COMPUTE_PGM_RSRC3_GFX90A:TG_SPLIT: 0
	.section	.text._ZN7rocprim17ROCPRIM_400000_NS6detail17trampoline_kernelINS0_14default_configENS1_25partition_config_selectorILNS1_17partition_subalgoE1EsNS0_10empty_typeEbEEZZNS1_14partition_implILS5_1ELb0ES3_jN6thrust23THRUST_200600_302600_NS6detail15normal_iteratorINSA_10device_ptrIsEEEEPS6_NSA_18transform_iteratorI7is_evenIsESF_NSA_11use_defaultESK_EENS0_5tupleIJNSA_16discard_iteratorISK_EESF_EEENSM_IJSG_SG_EEES6_PlJS6_EEE10hipError_tPvRmT3_T4_T5_T6_T7_T9_mT8_P12ihipStream_tbDpT10_ENKUlT_T0_E_clISt17integral_constantIbLb1EES1B_EEDaS16_S17_EUlS16_E_NS1_11comp_targetILNS1_3genE5ELNS1_11target_archE942ELNS1_3gpuE9ELNS1_3repE0EEENS1_30default_config_static_selectorELNS0_4arch9wavefront6targetE1EEEvT1_,"axG",@progbits,_ZN7rocprim17ROCPRIM_400000_NS6detail17trampoline_kernelINS0_14default_configENS1_25partition_config_selectorILNS1_17partition_subalgoE1EsNS0_10empty_typeEbEEZZNS1_14partition_implILS5_1ELb0ES3_jN6thrust23THRUST_200600_302600_NS6detail15normal_iteratorINSA_10device_ptrIsEEEEPS6_NSA_18transform_iteratorI7is_evenIsESF_NSA_11use_defaultESK_EENS0_5tupleIJNSA_16discard_iteratorISK_EESF_EEENSM_IJSG_SG_EEES6_PlJS6_EEE10hipError_tPvRmT3_T4_T5_T6_T7_T9_mT8_P12ihipStream_tbDpT10_ENKUlT_T0_E_clISt17integral_constantIbLb1EES1B_EEDaS16_S17_EUlS16_E_NS1_11comp_targetILNS1_3genE5ELNS1_11target_archE942ELNS1_3gpuE9ELNS1_3repE0EEENS1_30default_config_static_selectorELNS0_4arch9wavefront6targetE1EEEvT1_,comdat
	.protected	_ZN7rocprim17ROCPRIM_400000_NS6detail17trampoline_kernelINS0_14default_configENS1_25partition_config_selectorILNS1_17partition_subalgoE1EsNS0_10empty_typeEbEEZZNS1_14partition_implILS5_1ELb0ES3_jN6thrust23THRUST_200600_302600_NS6detail15normal_iteratorINSA_10device_ptrIsEEEEPS6_NSA_18transform_iteratorI7is_evenIsESF_NSA_11use_defaultESK_EENS0_5tupleIJNSA_16discard_iteratorISK_EESF_EEENSM_IJSG_SG_EEES6_PlJS6_EEE10hipError_tPvRmT3_T4_T5_T6_T7_T9_mT8_P12ihipStream_tbDpT10_ENKUlT_T0_E_clISt17integral_constantIbLb1EES1B_EEDaS16_S17_EUlS16_E_NS1_11comp_targetILNS1_3genE5ELNS1_11target_archE942ELNS1_3gpuE9ELNS1_3repE0EEENS1_30default_config_static_selectorELNS0_4arch9wavefront6targetE1EEEvT1_ ; -- Begin function _ZN7rocprim17ROCPRIM_400000_NS6detail17trampoline_kernelINS0_14default_configENS1_25partition_config_selectorILNS1_17partition_subalgoE1EsNS0_10empty_typeEbEEZZNS1_14partition_implILS5_1ELb0ES3_jN6thrust23THRUST_200600_302600_NS6detail15normal_iteratorINSA_10device_ptrIsEEEEPS6_NSA_18transform_iteratorI7is_evenIsESF_NSA_11use_defaultESK_EENS0_5tupleIJNSA_16discard_iteratorISK_EESF_EEENSM_IJSG_SG_EEES6_PlJS6_EEE10hipError_tPvRmT3_T4_T5_T6_T7_T9_mT8_P12ihipStream_tbDpT10_ENKUlT_T0_E_clISt17integral_constantIbLb1EES1B_EEDaS16_S17_EUlS16_E_NS1_11comp_targetILNS1_3genE5ELNS1_11target_archE942ELNS1_3gpuE9ELNS1_3repE0EEENS1_30default_config_static_selectorELNS0_4arch9wavefront6targetE1EEEvT1_
	.globl	_ZN7rocprim17ROCPRIM_400000_NS6detail17trampoline_kernelINS0_14default_configENS1_25partition_config_selectorILNS1_17partition_subalgoE1EsNS0_10empty_typeEbEEZZNS1_14partition_implILS5_1ELb0ES3_jN6thrust23THRUST_200600_302600_NS6detail15normal_iteratorINSA_10device_ptrIsEEEEPS6_NSA_18transform_iteratorI7is_evenIsESF_NSA_11use_defaultESK_EENS0_5tupleIJNSA_16discard_iteratorISK_EESF_EEENSM_IJSG_SG_EEES6_PlJS6_EEE10hipError_tPvRmT3_T4_T5_T6_T7_T9_mT8_P12ihipStream_tbDpT10_ENKUlT_T0_E_clISt17integral_constantIbLb1EES1B_EEDaS16_S17_EUlS16_E_NS1_11comp_targetILNS1_3genE5ELNS1_11target_archE942ELNS1_3gpuE9ELNS1_3repE0EEENS1_30default_config_static_selectorELNS0_4arch9wavefront6targetE1EEEvT1_
	.p2align	8
	.type	_ZN7rocprim17ROCPRIM_400000_NS6detail17trampoline_kernelINS0_14default_configENS1_25partition_config_selectorILNS1_17partition_subalgoE1EsNS0_10empty_typeEbEEZZNS1_14partition_implILS5_1ELb0ES3_jN6thrust23THRUST_200600_302600_NS6detail15normal_iteratorINSA_10device_ptrIsEEEEPS6_NSA_18transform_iteratorI7is_evenIsESF_NSA_11use_defaultESK_EENS0_5tupleIJNSA_16discard_iteratorISK_EESF_EEENSM_IJSG_SG_EEES6_PlJS6_EEE10hipError_tPvRmT3_T4_T5_T6_T7_T9_mT8_P12ihipStream_tbDpT10_ENKUlT_T0_E_clISt17integral_constantIbLb1EES1B_EEDaS16_S17_EUlS16_E_NS1_11comp_targetILNS1_3genE5ELNS1_11target_archE942ELNS1_3gpuE9ELNS1_3repE0EEENS1_30default_config_static_selectorELNS0_4arch9wavefront6targetE1EEEvT1_,@function
_ZN7rocprim17ROCPRIM_400000_NS6detail17trampoline_kernelINS0_14default_configENS1_25partition_config_selectorILNS1_17partition_subalgoE1EsNS0_10empty_typeEbEEZZNS1_14partition_implILS5_1ELb0ES3_jN6thrust23THRUST_200600_302600_NS6detail15normal_iteratorINSA_10device_ptrIsEEEEPS6_NSA_18transform_iteratorI7is_evenIsESF_NSA_11use_defaultESK_EENS0_5tupleIJNSA_16discard_iteratorISK_EESF_EEENSM_IJSG_SG_EEES6_PlJS6_EEE10hipError_tPvRmT3_T4_T5_T6_T7_T9_mT8_P12ihipStream_tbDpT10_ENKUlT_T0_E_clISt17integral_constantIbLb1EES1B_EEDaS16_S17_EUlS16_E_NS1_11comp_targetILNS1_3genE5ELNS1_11target_archE942ELNS1_3gpuE9ELNS1_3repE0EEENS1_30default_config_static_selectorELNS0_4arch9wavefront6targetE1EEEvT1_: ; @_ZN7rocprim17ROCPRIM_400000_NS6detail17trampoline_kernelINS0_14default_configENS1_25partition_config_selectorILNS1_17partition_subalgoE1EsNS0_10empty_typeEbEEZZNS1_14partition_implILS5_1ELb0ES3_jN6thrust23THRUST_200600_302600_NS6detail15normal_iteratorINSA_10device_ptrIsEEEEPS6_NSA_18transform_iteratorI7is_evenIsESF_NSA_11use_defaultESK_EENS0_5tupleIJNSA_16discard_iteratorISK_EESF_EEENSM_IJSG_SG_EEES6_PlJS6_EEE10hipError_tPvRmT3_T4_T5_T6_T7_T9_mT8_P12ihipStream_tbDpT10_ENKUlT_T0_E_clISt17integral_constantIbLb1EES1B_EEDaS16_S17_EUlS16_E_NS1_11comp_targetILNS1_3genE5ELNS1_11target_archE942ELNS1_3gpuE9ELNS1_3repE0EEENS1_30default_config_static_selectorELNS0_4arch9wavefront6targetE1EEEvT1_
; %bb.0:
	.section	.rodata,"a",@progbits
	.p2align	6, 0x0
	.amdhsa_kernel _ZN7rocprim17ROCPRIM_400000_NS6detail17trampoline_kernelINS0_14default_configENS1_25partition_config_selectorILNS1_17partition_subalgoE1EsNS0_10empty_typeEbEEZZNS1_14partition_implILS5_1ELb0ES3_jN6thrust23THRUST_200600_302600_NS6detail15normal_iteratorINSA_10device_ptrIsEEEEPS6_NSA_18transform_iteratorI7is_evenIsESF_NSA_11use_defaultESK_EENS0_5tupleIJNSA_16discard_iteratorISK_EESF_EEENSM_IJSG_SG_EEES6_PlJS6_EEE10hipError_tPvRmT3_T4_T5_T6_T7_T9_mT8_P12ihipStream_tbDpT10_ENKUlT_T0_E_clISt17integral_constantIbLb1EES1B_EEDaS16_S17_EUlS16_E_NS1_11comp_targetILNS1_3genE5ELNS1_11target_archE942ELNS1_3gpuE9ELNS1_3repE0EEENS1_30default_config_static_selectorELNS0_4arch9wavefront6targetE1EEEvT1_
		.amdhsa_group_segment_fixed_size 0
		.amdhsa_private_segment_fixed_size 0
		.amdhsa_kernarg_size 152
		.amdhsa_user_sgpr_count 6
		.amdhsa_user_sgpr_private_segment_buffer 1
		.amdhsa_user_sgpr_dispatch_ptr 0
		.amdhsa_user_sgpr_queue_ptr 0
		.amdhsa_user_sgpr_kernarg_segment_ptr 1
		.amdhsa_user_sgpr_dispatch_id 0
		.amdhsa_user_sgpr_flat_scratch_init 0
		.amdhsa_user_sgpr_kernarg_preload_length 0
		.amdhsa_user_sgpr_kernarg_preload_offset 0
		.amdhsa_user_sgpr_private_segment_size 0
		.amdhsa_uses_dynamic_stack 0
		.amdhsa_system_sgpr_private_segment_wavefront_offset 0
		.amdhsa_system_sgpr_workgroup_id_x 1
		.amdhsa_system_sgpr_workgroup_id_y 0
		.amdhsa_system_sgpr_workgroup_id_z 0
		.amdhsa_system_sgpr_workgroup_info 0
		.amdhsa_system_vgpr_workitem_id 0
		.amdhsa_next_free_vgpr 1
		.amdhsa_next_free_sgpr 0
		.amdhsa_accum_offset 4
		.amdhsa_reserve_vcc 0
		.amdhsa_reserve_flat_scratch 0
		.amdhsa_float_round_mode_32 0
		.amdhsa_float_round_mode_16_64 0
		.amdhsa_float_denorm_mode_32 3
		.amdhsa_float_denorm_mode_16_64 3
		.amdhsa_dx10_clamp 1
		.amdhsa_ieee_mode 1
		.amdhsa_fp16_overflow 0
		.amdhsa_tg_split 0
		.amdhsa_exception_fp_ieee_invalid_op 0
		.amdhsa_exception_fp_denorm_src 0
		.amdhsa_exception_fp_ieee_div_zero 0
		.amdhsa_exception_fp_ieee_overflow 0
		.amdhsa_exception_fp_ieee_underflow 0
		.amdhsa_exception_fp_ieee_inexact 0
		.amdhsa_exception_int_div_zero 0
	.end_amdhsa_kernel
	.section	.text._ZN7rocprim17ROCPRIM_400000_NS6detail17trampoline_kernelINS0_14default_configENS1_25partition_config_selectorILNS1_17partition_subalgoE1EsNS0_10empty_typeEbEEZZNS1_14partition_implILS5_1ELb0ES3_jN6thrust23THRUST_200600_302600_NS6detail15normal_iteratorINSA_10device_ptrIsEEEEPS6_NSA_18transform_iteratorI7is_evenIsESF_NSA_11use_defaultESK_EENS0_5tupleIJNSA_16discard_iteratorISK_EESF_EEENSM_IJSG_SG_EEES6_PlJS6_EEE10hipError_tPvRmT3_T4_T5_T6_T7_T9_mT8_P12ihipStream_tbDpT10_ENKUlT_T0_E_clISt17integral_constantIbLb1EES1B_EEDaS16_S17_EUlS16_E_NS1_11comp_targetILNS1_3genE5ELNS1_11target_archE942ELNS1_3gpuE9ELNS1_3repE0EEENS1_30default_config_static_selectorELNS0_4arch9wavefront6targetE1EEEvT1_,"axG",@progbits,_ZN7rocprim17ROCPRIM_400000_NS6detail17trampoline_kernelINS0_14default_configENS1_25partition_config_selectorILNS1_17partition_subalgoE1EsNS0_10empty_typeEbEEZZNS1_14partition_implILS5_1ELb0ES3_jN6thrust23THRUST_200600_302600_NS6detail15normal_iteratorINSA_10device_ptrIsEEEEPS6_NSA_18transform_iteratorI7is_evenIsESF_NSA_11use_defaultESK_EENS0_5tupleIJNSA_16discard_iteratorISK_EESF_EEENSM_IJSG_SG_EEES6_PlJS6_EEE10hipError_tPvRmT3_T4_T5_T6_T7_T9_mT8_P12ihipStream_tbDpT10_ENKUlT_T0_E_clISt17integral_constantIbLb1EES1B_EEDaS16_S17_EUlS16_E_NS1_11comp_targetILNS1_3genE5ELNS1_11target_archE942ELNS1_3gpuE9ELNS1_3repE0EEENS1_30default_config_static_selectorELNS0_4arch9wavefront6targetE1EEEvT1_,comdat
.Lfunc_end3428:
	.size	_ZN7rocprim17ROCPRIM_400000_NS6detail17trampoline_kernelINS0_14default_configENS1_25partition_config_selectorILNS1_17partition_subalgoE1EsNS0_10empty_typeEbEEZZNS1_14partition_implILS5_1ELb0ES3_jN6thrust23THRUST_200600_302600_NS6detail15normal_iteratorINSA_10device_ptrIsEEEEPS6_NSA_18transform_iteratorI7is_evenIsESF_NSA_11use_defaultESK_EENS0_5tupleIJNSA_16discard_iteratorISK_EESF_EEENSM_IJSG_SG_EEES6_PlJS6_EEE10hipError_tPvRmT3_T4_T5_T6_T7_T9_mT8_P12ihipStream_tbDpT10_ENKUlT_T0_E_clISt17integral_constantIbLb1EES1B_EEDaS16_S17_EUlS16_E_NS1_11comp_targetILNS1_3genE5ELNS1_11target_archE942ELNS1_3gpuE9ELNS1_3repE0EEENS1_30default_config_static_selectorELNS0_4arch9wavefront6targetE1EEEvT1_, .Lfunc_end3428-_ZN7rocprim17ROCPRIM_400000_NS6detail17trampoline_kernelINS0_14default_configENS1_25partition_config_selectorILNS1_17partition_subalgoE1EsNS0_10empty_typeEbEEZZNS1_14partition_implILS5_1ELb0ES3_jN6thrust23THRUST_200600_302600_NS6detail15normal_iteratorINSA_10device_ptrIsEEEEPS6_NSA_18transform_iteratorI7is_evenIsESF_NSA_11use_defaultESK_EENS0_5tupleIJNSA_16discard_iteratorISK_EESF_EEENSM_IJSG_SG_EEES6_PlJS6_EEE10hipError_tPvRmT3_T4_T5_T6_T7_T9_mT8_P12ihipStream_tbDpT10_ENKUlT_T0_E_clISt17integral_constantIbLb1EES1B_EEDaS16_S17_EUlS16_E_NS1_11comp_targetILNS1_3genE5ELNS1_11target_archE942ELNS1_3gpuE9ELNS1_3repE0EEENS1_30default_config_static_selectorELNS0_4arch9wavefront6targetE1EEEvT1_
                                        ; -- End function
	.section	.AMDGPU.csdata,"",@progbits
; Kernel info:
; codeLenInByte = 0
; NumSgprs: 4
; NumVgprs: 0
; NumAgprs: 0
; TotalNumVgprs: 0
; ScratchSize: 0
; MemoryBound: 0
; FloatMode: 240
; IeeeMode: 1
; LDSByteSize: 0 bytes/workgroup (compile time only)
; SGPRBlocks: 0
; VGPRBlocks: 0
; NumSGPRsForWavesPerEU: 4
; NumVGPRsForWavesPerEU: 1
; AccumOffset: 4
; Occupancy: 8
; WaveLimiterHint : 0
; COMPUTE_PGM_RSRC2:SCRATCH_EN: 0
; COMPUTE_PGM_RSRC2:USER_SGPR: 6
; COMPUTE_PGM_RSRC2:TRAP_HANDLER: 0
; COMPUTE_PGM_RSRC2:TGID_X_EN: 1
; COMPUTE_PGM_RSRC2:TGID_Y_EN: 0
; COMPUTE_PGM_RSRC2:TGID_Z_EN: 0
; COMPUTE_PGM_RSRC2:TIDIG_COMP_CNT: 0
; COMPUTE_PGM_RSRC3_GFX90A:ACCUM_OFFSET: 0
; COMPUTE_PGM_RSRC3_GFX90A:TG_SPLIT: 0
	.section	.text._ZN7rocprim17ROCPRIM_400000_NS6detail17trampoline_kernelINS0_14default_configENS1_25partition_config_selectorILNS1_17partition_subalgoE1EsNS0_10empty_typeEbEEZZNS1_14partition_implILS5_1ELb0ES3_jN6thrust23THRUST_200600_302600_NS6detail15normal_iteratorINSA_10device_ptrIsEEEEPS6_NSA_18transform_iteratorI7is_evenIsESF_NSA_11use_defaultESK_EENS0_5tupleIJNSA_16discard_iteratorISK_EESF_EEENSM_IJSG_SG_EEES6_PlJS6_EEE10hipError_tPvRmT3_T4_T5_T6_T7_T9_mT8_P12ihipStream_tbDpT10_ENKUlT_T0_E_clISt17integral_constantIbLb1EES1B_EEDaS16_S17_EUlS16_E_NS1_11comp_targetILNS1_3genE4ELNS1_11target_archE910ELNS1_3gpuE8ELNS1_3repE0EEENS1_30default_config_static_selectorELNS0_4arch9wavefront6targetE1EEEvT1_,"axG",@progbits,_ZN7rocprim17ROCPRIM_400000_NS6detail17trampoline_kernelINS0_14default_configENS1_25partition_config_selectorILNS1_17partition_subalgoE1EsNS0_10empty_typeEbEEZZNS1_14partition_implILS5_1ELb0ES3_jN6thrust23THRUST_200600_302600_NS6detail15normal_iteratorINSA_10device_ptrIsEEEEPS6_NSA_18transform_iteratorI7is_evenIsESF_NSA_11use_defaultESK_EENS0_5tupleIJNSA_16discard_iteratorISK_EESF_EEENSM_IJSG_SG_EEES6_PlJS6_EEE10hipError_tPvRmT3_T4_T5_T6_T7_T9_mT8_P12ihipStream_tbDpT10_ENKUlT_T0_E_clISt17integral_constantIbLb1EES1B_EEDaS16_S17_EUlS16_E_NS1_11comp_targetILNS1_3genE4ELNS1_11target_archE910ELNS1_3gpuE8ELNS1_3repE0EEENS1_30default_config_static_selectorELNS0_4arch9wavefront6targetE1EEEvT1_,comdat
	.protected	_ZN7rocprim17ROCPRIM_400000_NS6detail17trampoline_kernelINS0_14default_configENS1_25partition_config_selectorILNS1_17partition_subalgoE1EsNS0_10empty_typeEbEEZZNS1_14partition_implILS5_1ELb0ES3_jN6thrust23THRUST_200600_302600_NS6detail15normal_iteratorINSA_10device_ptrIsEEEEPS6_NSA_18transform_iteratorI7is_evenIsESF_NSA_11use_defaultESK_EENS0_5tupleIJNSA_16discard_iteratorISK_EESF_EEENSM_IJSG_SG_EEES6_PlJS6_EEE10hipError_tPvRmT3_T4_T5_T6_T7_T9_mT8_P12ihipStream_tbDpT10_ENKUlT_T0_E_clISt17integral_constantIbLb1EES1B_EEDaS16_S17_EUlS16_E_NS1_11comp_targetILNS1_3genE4ELNS1_11target_archE910ELNS1_3gpuE8ELNS1_3repE0EEENS1_30default_config_static_selectorELNS0_4arch9wavefront6targetE1EEEvT1_ ; -- Begin function _ZN7rocprim17ROCPRIM_400000_NS6detail17trampoline_kernelINS0_14default_configENS1_25partition_config_selectorILNS1_17partition_subalgoE1EsNS0_10empty_typeEbEEZZNS1_14partition_implILS5_1ELb0ES3_jN6thrust23THRUST_200600_302600_NS6detail15normal_iteratorINSA_10device_ptrIsEEEEPS6_NSA_18transform_iteratorI7is_evenIsESF_NSA_11use_defaultESK_EENS0_5tupleIJNSA_16discard_iteratorISK_EESF_EEENSM_IJSG_SG_EEES6_PlJS6_EEE10hipError_tPvRmT3_T4_T5_T6_T7_T9_mT8_P12ihipStream_tbDpT10_ENKUlT_T0_E_clISt17integral_constantIbLb1EES1B_EEDaS16_S17_EUlS16_E_NS1_11comp_targetILNS1_3genE4ELNS1_11target_archE910ELNS1_3gpuE8ELNS1_3repE0EEENS1_30default_config_static_selectorELNS0_4arch9wavefront6targetE1EEEvT1_
	.globl	_ZN7rocprim17ROCPRIM_400000_NS6detail17trampoline_kernelINS0_14default_configENS1_25partition_config_selectorILNS1_17partition_subalgoE1EsNS0_10empty_typeEbEEZZNS1_14partition_implILS5_1ELb0ES3_jN6thrust23THRUST_200600_302600_NS6detail15normal_iteratorINSA_10device_ptrIsEEEEPS6_NSA_18transform_iteratorI7is_evenIsESF_NSA_11use_defaultESK_EENS0_5tupleIJNSA_16discard_iteratorISK_EESF_EEENSM_IJSG_SG_EEES6_PlJS6_EEE10hipError_tPvRmT3_T4_T5_T6_T7_T9_mT8_P12ihipStream_tbDpT10_ENKUlT_T0_E_clISt17integral_constantIbLb1EES1B_EEDaS16_S17_EUlS16_E_NS1_11comp_targetILNS1_3genE4ELNS1_11target_archE910ELNS1_3gpuE8ELNS1_3repE0EEENS1_30default_config_static_selectorELNS0_4arch9wavefront6targetE1EEEvT1_
	.p2align	8
	.type	_ZN7rocprim17ROCPRIM_400000_NS6detail17trampoline_kernelINS0_14default_configENS1_25partition_config_selectorILNS1_17partition_subalgoE1EsNS0_10empty_typeEbEEZZNS1_14partition_implILS5_1ELb0ES3_jN6thrust23THRUST_200600_302600_NS6detail15normal_iteratorINSA_10device_ptrIsEEEEPS6_NSA_18transform_iteratorI7is_evenIsESF_NSA_11use_defaultESK_EENS0_5tupleIJNSA_16discard_iteratorISK_EESF_EEENSM_IJSG_SG_EEES6_PlJS6_EEE10hipError_tPvRmT3_T4_T5_T6_T7_T9_mT8_P12ihipStream_tbDpT10_ENKUlT_T0_E_clISt17integral_constantIbLb1EES1B_EEDaS16_S17_EUlS16_E_NS1_11comp_targetILNS1_3genE4ELNS1_11target_archE910ELNS1_3gpuE8ELNS1_3repE0EEENS1_30default_config_static_selectorELNS0_4arch9wavefront6targetE1EEEvT1_,@function
_ZN7rocprim17ROCPRIM_400000_NS6detail17trampoline_kernelINS0_14default_configENS1_25partition_config_selectorILNS1_17partition_subalgoE1EsNS0_10empty_typeEbEEZZNS1_14partition_implILS5_1ELb0ES3_jN6thrust23THRUST_200600_302600_NS6detail15normal_iteratorINSA_10device_ptrIsEEEEPS6_NSA_18transform_iteratorI7is_evenIsESF_NSA_11use_defaultESK_EENS0_5tupleIJNSA_16discard_iteratorISK_EESF_EEENSM_IJSG_SG_EEES6_PlJS6_EEE10hipError_tPvRmT3_T4_T5_T6_T7_T9_mT8_P12ihipStream_tbDpT10_ENKUlT_T0_E_clISt17integral_constantIbLb1EES1B_EEDaS16_S17_EUlS16_E_NS1_11comp_targetILNS1_3genE4ELNS1_11target_archE910ELNS1_3gpuE8ELNS1_3repE0EEENS1_30default_config_static_selectorELNS0_4arch9wavefront6targetE1EEEvT1_: ; @_ZN7rocprim17ROCPRIM_400000_NS6detail17trampoline_kernelINS0_14default_configENS1_25partition_config_selectorILNS1_17partition_subalgoE1EsNS0_10empty_typeEbEEZZNS1_14partition_implILS5_1ELb0ES3_jN6thrust23THRUST_200600_302600_NS6detail15normal_iteratorINSA_10device_ptrIsEEEEPS6_NSA_18transform_iteratorI7is_evenIsESF_NSA_11use_defaultESK_EENS0_5tupleIJNSA_16discard_iteratorISK_EESF_EEENSM_IJSG_SG_EEES6_PlJS6_EEE10hipError_tPvRmT3_T4_T5_T6_T7_T9_mT8_P12ihipStream_tbDpT10_ENKUlT_T0_E_clISt17integral_constantIbLb1EES1B_EEDaS16_S17_EUlS16_E_NS1_11comp_targetILNS1_3genE4ELNS1_11target_archE910ELNS1_3gpuE8ELNS1_3repE0EEENS1_30default_config_static_selectorELNS0_4arch9wavefront6targetE1EEEvT1_
; %bb.0:
	s_load_dwordx2 s[6:7], s[4:5], 0x20
	s_load_dwordx2 s[24:25], s[4:5], 0x40
	;; [unrolled: 1-line block ×3, first 2 shown]
	s_load_dwordx4 s[20:23], s[4:5], 0x58
	s_load_dwordx2 s[28:29], s[4:5], 0x78
	v_cmp_eq_u32_e64 s[0:1], 0, v0
	s_and_saveexec_b64 s[8:9], s[0:1]
	s_cbranch_execz .LBB3429_4
; %bb.1:
	s_mov_b64 s[12:13], exec
	v_mbcnt_lo_u32_b32 v1, s12, 0
	v_mbcnt_hi_u32_b32 v1, s13, v1
	v_cmp_eq_u32_e32 vcc, 0, v1
                                        ; implicit-def: $vgpr2
	s_and_saveexec_b64 s[10:11], vcc
	s_cbranch_execz .LBB3429_3
; %bb.2:
	s_load_dwordx2 s[14:15], s[4:5], 0x88
	s_bcnt1_i32_b64 s12, s[12:13]
	v_mov_b32_e32 v2, 0
	v_mov_b32_e32 v3, s12
	s_waitcnt lgkmcnt(0)
	global_atomic_add v2, v2, v3, s[14:15] glc
.LBB3429_3:
	s_or_b64 exec, exec, s[10:11]
	s_waitcnt vmcnt(0)
	v_readfirstlane_b32 s10, v2
	v_add_u32_e32 v1, s10, v1
	v_mov_b32_e32 v2, 0
	ds_write_b32 v2, v1
.LBB3429_4:
	s_or_b64 exec, exec, s[8:9]
	v_mov_b32_e32 v3, 0
	s_load_dwordx4 s[16:19], s[4:5], 0x8
	s_load_dword s8, s[4:5], 0x80
	s_waitcnt lgkmcnt(0)
	s_barrier
	ds_read_b32 v1, v3
	s_waitcnt lgkmcnt(0)
	s_barrier
	global_load_dwordx2 v[10:11], v3, s[22:23]
	v_mov_b32_e32 v5, s3
	s_lshl_b64 s[4:5], s[18:19], 1
	s_movk_i32 s3, 0x1400
	s_add_u32 s9, s16, s4
	v_mul_lo_u32 v2, v1, s3
	s_mul_i32 s3, s8, 0x1400
	s_addc_u32 s10, s17, s5
	s_add_i32 s11, s8, -1
	s_add_i32 s8, s3, s18
	s_sub_i32 s33, s2, s8
	s_addk_i32 s33, 0x1400
	v_mov_b32_e32 v4, s2
	s_add_u32 s2, s18, s3
	v_readfirstlane_b32 s38, v1
	s_addc_u32 s3, s19, 0
	s_cmp_eq_u32 s38, s11
	s_cselect_b64 s[22:23], -1, 0
	s_cmp_lg_u32 s38, s11
	v_cmp_lt_u64_e32 vcc, s[2:3], v[4:5]
	s_cselect_b64 s[2:3], -1, 0
	v_lshlrev_b64 v[12:13], 1, v[2:3]
	s_or_b64 s[26:27], vcc, s[2:3]
	v_mov_b32_e32 v2, s10
	v_add_co_u32_e32 v1, vcc, s9, v12
	v_addc_co_u32_e32 v2, vcc, v2, v13, vcc
	s_mov_b64 s[2:3], -1
	s_and_b64 vcc, exec, s[26:27]
	v_lshlrev_b32_e32 v30, 1, v0
	s_cbranch_vccz .LBB3429_6
; %bb.5:
	v_add_co_u32_e32 v4, vcc, v1, v30
	v_addc_co_u32_e32 v5, vcc, 0, v2, vcc
	v_add_co_u32_e32 v6, vcc, 0x1000, v4
	v_addc_co_u32_e32 v7, vcc, 0, v5, vcc
	flat_load_ushort v3, v[4:5]
	flat_load_ushort v8, v[4:5] offset:512
	flat_load_ushort v9, v[4:5] offset:1024
	flat_load_ushort v14, v[4:5] offset:1536
	flat_load_ushort v15, v[4:5] offset:2048
	flat_load_ushort v16, v[4:5] offset:2560
	flat_load_ushort v17, v[4:5] offset:3072
	flat_load_ushort v18, v[4:5] offset:3584
	v_add_co_u32_e32 v4, vcc, 0x2000, v4
	v_addc_co_u32_e32 v5, vcc, 0, v5, vcc
	flat_load_ushort v19, v[6:7]
	flat_load_ushort v20, v[6:7] offset:512
	flat_load_ushort v21, v[6:7] offset:1024
	;; [unrolled: 1-line block ×7, first 2 shown]
	s_nop 0
	flat_load_ushort v6, v[4:5]
	flat_load_ushort v7, v[4:5] offset:512
	flat_load_ushort v27, v[4:5] offset:1024
	;; [unrolled: 1-line block ×3, first 2 shown]
	s_mov_b64 s[2:3], 0
	s_waitcnt vmcnt(0) lgkmcnt(0)
	ds_write_b16 v30, v3
	ds_write_b16 v30, v8 offset:512
	ds_write_b16 v30, v9 offset:1024
	;; [unrolled: 1-line block ×19, first 2 shown]
	s_waitcnt lgkmcnt(0)
	s_barrier
.LBB3429_6:
	s_andn2_b64 vcc, exec, s[2:3]
	v_cmp_gt_u32_e64 s[2:3], s33, v0
	s_cbranch_vccnz .LBB3429_48
; %bb.7:
                                        ; implicit-def: $vgpr3
	s_and_saveexec_b64 s[8:9], s[2:3]
	s_cbranch_execz .LBB3429_9
; %bb.8:
	v_add_co_u32_e32 v4, vcc, v1, v30
	v_addc_co_u32_e32 v5, vcc, 0, v2, vcc
	flat_load_ushort v3, v[4:5]
.LBB3429_9:
	s_or_b64 exec, exec, s[8:9]
	v_or_b32_e32 v4, 0x100, v0
	v_cmp_gt_u32_e32 vcc, s33, v4
                                        ; implicit-def: $vgpr4
	s_and_saveexec_b64 s[2:3], vcc
	s_cbranch_execz .LBB3429_11
; %bb.10:
	v_add_co_u32_e32 v4, vcc, v1, v30
	v_addc_co_u32_e32 v5, vcc, 0, v2, vcc
	flat_load_ushort v4, v[4:5] offset:512
.LBB3429_11:
	s_or_b64 exec, exec, s[2:3]
	v_or_b32_e32 v5, 0x200, v0
	v_cmp_gt_u32_e32 vcc, s33, v5
                                        ; implicit-def: $vgpr5
	s_and_saveexec_b64 s[2:3], vcc
	s_cbranch_execz .LBB3429_13
; %bb.12:
	v_add_co_u32_e32 v6, vcc, v1, v30
	v_addc_co_u32_e32 v7, vcc, 0, v2, vcc
	flat_load_ushort v5, v[6:7] offset:1024
.LBB3429_13:
	s_or_b64 exec, exec, s[2:3]
	v_or_b32_e32 v6, 0x300, v0
	v_cmp_gt_u32_e32 vcc, s33, v6
                                        ; implicit-def: $vgpr6
	s_and_saveexec_b64 s[2:3], vcc
	s_cbranch_execz .LBB3429_15
; %bb.14:
	v_add_co_u32_e32 v6, vcc, v1, v30
	v_addc_co_u32_e32 v7, vcc, 0, v2, vcc
	flat_load_ushort v6, v[6:7] offset:1536
.LBB3429_15:
	s_or_b64 exec, exec, s[2:3]
	v_or_b32_e32 v7, 0x400, v0
	v_cmp_gt_u32_e32 vcc, s33, v7
                                        ; implicit-def: $vgpr7
	s_and_saveexec_b64 s[2:3], vcc
	s_cbranch_execz .LBB3429_17
; %bb.16:
	v_add_co_u32_e32 v8, vcc, v1, v30
	v_addc_co_u32_e32 v9, vcc, 0, v2, vcc
	flat_load_ushort v7, v[8:9] offset:2048
.LBB3429_17:
	s_or_b64 exec, exec, s[2:3]
	v_or_b32_e32 v8, 0x500, v0
	v_cmp_gt_u32_e32 vcc, s33, v8
                                        ; implicit-def: $vgpr8
	s_and_saveexec_b64 s[2:3], vcc
	s_cbranch_execz .LBB3429_19
; %bb.18:
	v_add_co_u32_e32 v8, vcc, v1, v30
	v_addc_co_u32_e32 v9, vcc, 0, v2, vcc
	flat_load_ushort v8, v[8:9] offset:2560
.LBB3429_19:
	s_or_b64 exec, exec, s[2:3]
	v_or_b32_e32 v9, 0x600, v0
	v_cmp_gt_u32_e32 vcc, s33, v9
                                        ; implicit-def: $vgpr9
	s_and_saveexec_b64 s[2:3], vcc
	s_cbranch_execz .LBB3429_21
; %bb.20:
	v_add_co_u32_e32 v14, vcc, v1, v30
	v_addc_co_u32_e32 v15, vcc, 0, v2, vcc
	flat_load_ushort v9, v[14:15] offset:3072
.LBB3429_21:
	s_or_b64 exec, exec, s[2:3]
	v_or_b32_e32 v14, 0x700, v0
	v_cmp_gt_u32_e32 vcc, s33, v14
                                        ; implicit-def: $vgpr14
	s_and_saveexec_b64 s[2:3], vcc
	s_cbranch_execz .LBB3429_23
; %bb.22:
	v_add_co_u32_e32 v14, vcc, v1, v30
	v_addc_co_u32_e32 v15, vcc, 0, v2, vcc
	flat_load_ushort v14, v[14:15] offset:3584
.LBB3429_23:
	s_or_b64 exec, exec, s[2:3]
	v_or_b32_e32 v16, 0x800, v0
	v_cmp_gt_u32_e32 vcc, s33, v16
                                        ; implicit-def: $vgpr15
	s_and_saveexec_b64 s[2:3], vcc
	s_cbranch_execz .LBB3429_25
; %bb.24:
	v_lshlrev_b32_e32 v15, 1, v16
	v_add_co_u32_e32 v16, vcc, v1, v15
	v_addc_co_u32_e32 v17, vcc, 0, v2, vcc
	flat_load_ushort v15, v[16:17]
.LBB3429_25:
	s_or_b64 exec, exec, s[2:3]
	v_or_b32_e32 v17, 0x900, v0
	v_cmp_gt_u32_e32 vcc, s33, v17
                                        ; implicit-def: $vgpr16
	s_and_saveexec_b64 s[2:3], vcc
	s_cbranch_execz .LBB3429_27
; %bb.26:
	v_lshlrev_b32_e32 v16, 1, v17
	v_add_co_u32_e32 v16, vcc, v1, v16
	v_addc_co_u32_e32 v17, vcc, 0, v2, vcc
	flat_load_ushort v16, v[16:17]
.LBB3429_27:
	s_or_b64 exec, exec, s[2:3]
	v_or_b32_e32 v18, 0xa00, v0
	v_cmp_gt_u32_e32 vcc, s33, v18
                                        ; implicit-def: $vgpr17
	s_and_saveexec_b64 s[2:3], vcc
	s_cbranch_execz .LBB3429_29
; %bb.28:
	v_lshlrev_b32_e32 v17, 1, v18
	v_add_co_u32_e32 v18, vcc, v1, v17
	v_addc_co_u32_e32 v19, vcc, 0, v2, vcc
	flat_load_ushort v17, v[18:19]
.LBB3429_29:
	s_or_b64 exec, exec, s[2:3]
	v_or_b32_e32 v19, 0xb00, v0
	v_cmp_gt_u32_e32 vcc, s33, v19
                                        ; implicit-def: $vgpr18
	s_and_saveexec_b64 s[2:3], vcc
	s_cbranch_execz .LBB3429_31
; %bb.30:
	v_lshlrev_b32_e32 v18, 1, v19
	v_add_co_u32_e32 v18, vcc, v1, v18
	v_addc_co_u32_e32 v19, vcc, 0, v2, vcc
	flat_load_ushort v18, v[18:19]
.LBB3429_31:
	s_or_b64 exec, exec, s[2:3]
	v_or_b32_e32 v20, 0xc00, v0
	v_cmp_gt_u32_e32 vcc, s33, v20
                                        ; implicit-def: $vgpr19
	s_and_saveexec_b64 s[2:3], vcc
	s_cbranch_execz .LBB3429_33
; %bb.32:
	v_lshlrev_b32_e32 v19, 1, v20
	v_add_co_u32_e32 v20, vcc, v1, v19
	v_addc_co_u32_e32 v21, vcc, 0, v2, vcc
	flat_load_ushort v19, v[20:21]
.LBB3429_33:
	s_or_b64 exec, exec, s[2:3]
	v_or_b32_e32 v21, 0xd00, v0
	v_cmp_gt_u32_e32 vcc, s33, v21
                                        ; implicit-def: $vgpr20
	s_and_saveexec_b64 s[2:3], vcc
	s_cbranch_execz .LBB3429_35
; %bb.34:
	v_lshlrev_b32_e32 v20, 1, v21
	v_add_co_u32_e32 v20, vcc, v1, v20
	v_addc_co_u32_e32 v21, vcc, 0, v2, vcc
	flat_load_ushort v20, v[20:21]
.LBB3429_35:
	s_or_b64 exec, exec, s[2:3]
	v_or_b32_e32 v22, 0xe00, v0
	v_cmp_gt_u32_e32 vcc, s33, v22
                                        ; implicit-def: $vgpr21
	s_and_saveexec_b64 s[2:3], vcc
	s_cbranch_execz .LBB3429_37
; %bb.36:
	v_lshlrev_b32_e32 v21, 1, v22
	v_add_co_u32_e32 v22, vcc, v1, v21
	v_addc_co_u32_e32 v23, vcc, 0, v2, vcc
	flat_load_ushort v21, v[22:23]
.LBB3429_37:
	s_or_b64 exec, exec, s[2:3]
	v_or_b32_e32 v23, 0xf00, v0
	v_cmp_gt_u32_e32 vcc, s33, v23
                                        ; implicit-def: $vgpr22
	s_and_saveexec_b64 s[2:3], vcc
	s_cbranch_execz .LBB3429_39
; %bb.38:
	v_lshlrev_b32_e32 v22, 1, v23
	v_add_co_u32_e32 v22, vcc, v1, v22
	v_addc_co_u32_e32 v23, vcc, 0, v2, vcc
	flat_load_ushort v22, v[22:23]
.LBB3429_39:
	s_or_b64 exec, exec, s[2:3]
	v_or_b32_e32 v24, 0x1000, v0
	v_cmp_gt_u32_e32 vcc, s33, v24
                                        ; implicit-def: $vgpr23
	s_and_saveexec_b64 s[2:3], vcc
	s_cbranch_execz .LBB3429_41
; %bb.40:
	v_lshlrev_b32_e32 v23, 1, v24
	v_add_co_u32_e32 v24, vcc, v1, v23
	v_addc_co_u32_e32 v25, vcc, 0, v2, vcc
	flat_load_ushort v23, v[24:25]
.LBB3429_41:
	s_or_b64 exec, exec, s[2:3]
	v_or_b32_e32 v25, 0x1100, v0
	v_cmp_gt_u32_e32 vcc, s33, v25
                                        ; implicit-def: $vgpr24
	s_and_saveexec_b64 s[2:3], vcc
	s_cbranch_execz .LBB3429_43
; %bb.42:
	v_lshlrev_b32_e32 v24, 1, v25
	v_add_co_u32_e32 v24, vcc, v1, v24
	v_addc_co_u32_e32 v25, vcc, 0, v2, vcc
	flat_load_ushort v24, v[24:25]
.LBB3429_43:
	s_or_b64 exec, exec, s[2:3]
	v_or_b32_e32 v26, 0x1200, v0
	v_cmp_gt_u32_e32 vcc, s33, v26
                                        ; implicit-def: $vgpr25
	s_and_saveexec_b64 s[2:3], vcc
	s_cbranch_execz .LBB3429_45
; %bb.44:
	v_lshlrev_b32_e32 v25, 1, v26
	v_add_co_u32_e32 v26, vcc, v1, v25
	v_addc_co_u32_e32 v27, vcc, 0, v2, vcc
	flat_load_ushort v25, v[26:27]
.LBB3429_45:
	s_or_b64 exec, exec, s[2:3]
	v_or_b32_e32 v27, 0x1300, v0
	v_cmp_gt_u32_e32 vcc, s33, v27
                                        ; implicit-def: $vgpr26
	s_and_saveexec_b64 s[2:3], vcc
	s_cbranch_execz .LBB3429_47
; %bb.46:
	v_lshlrev_b32_e32 v26, 1, v27
	v_add_co_u32_e32 v26, vcc, v1, v26
	v_addc_co_u32_e32 v27, vcc, 0, v2, vcc
	flat_load_ushort v26, v[26:27]
.LBB3429_47:
	s_or_b64 exec, exec, s[2:3]
	s_waitcnt vmcnt(0) lgkmcnt(0)
	ds_write_b16 v30, v3
	ds_write_b16 v30, v4 offset:512
	ds_write_b16 v30, v5 offset:1024
	;; [unrolled: 1-line block ×19, first 2 shown]
	s_waitcnt lgkmcnt(0)
	s_barrier
.LBB3429_48:
	v_mul_u32_u24_e32 v31, 20, v0
	v_lshlrev_b32_e32 v1, 1, v31
	ds_read_b64 v[14:15], v1 offset:32
	ds_read2_b64 v[2:5], v1 offset0:2 offset1:3
	ds_read2_b64 v[6:9], v1 offset1:1
	s_add_u32 s2, s6, s4
	s_addc_u32 s3, s7, s5
	v_mov_b32_e32 v1, s3
	v_add_co_u32_e32 v16, vcc, s2, v12
	v_addc_co_u32_e32 v1, vcc, v1, v13, vcc
	s_mov_b64 s[2:3], -1
	s_and_b64 vcc, exec, s[26:27]
	s_waitcnt lgkmcnt(0)
	s_barrier
	s_cbranch_vccz .LBB3429_50
; %bb.49:
	v_add_co_u32_e32 v17, vcc, v16, v30
	v_readfirstlane_b32 s2, v16
	v_readfirstlane_b32 s3, v1
	v_addc_co_u32_e32 v21, vcc, 0, v1, vcc
	s_nop 3
	global_load_ubyte v22, v30, s[2:3]
	global_load_ubyte v23, v30, s[2:3] offset:512
	global_load_ubyte v24, v30, s[2:3] offset:1024
	;; [unrolled: 1-line block ×7, first 2 shown]
	s_movk_i32 s2, 0x1000
	v_add_co_u32_e32 v18, vcc, s2, v17
	v_addc_co_u32_e32 v19, vcc, 0, v21, vcc
	s_movk_i32 s2, 0x2000
	v_add_co_u32_e32 v20, vcc, s2, v17
	v_addc_co_u32_e32 v21, vcc, 0, v21, vcc
	global_load_ubyte v17, v[20:21], off offset:-4096
	global_load_ubyte v32, v[18:19], off offset:512
	global_load_ubyte v33, v[18:19], off offset:1024
	;; [unrolled: 1-line block ×7, first 2 shown]
	global_load_ubyte v39, v[20:21], off
	global_load_ubyte v40, v[20:21], off offset:512
	global_load_ubyte v41, v[20:21], off offset:1024
	;; [unrolled: 1-line block ×3, first 2 shown]
	s_mov_b64 s[2:3], 0
	s_waitcnt vmcnt(19)
	v_xor_b32_e32 v18, -1, v22
	s_waitcnt vmcnt(18)
	v_xor_b32_e32 v19, -1, v23
	;; [unrolled: 2-line block ×8, first 2 shown]
	v_and_b32_e32 v18, 1, v18
	s_waitcnt vmcnt(11)
	v_xor_b32_e32 v17, -1, v17
	s_waitcnt vmcnt(10)
	v_xor_b32_e32 v26, -1, v32
	;; [unrolled: 2-line block ×12, first 2 shown]
	v_and_b32_e32 v19, 1, v19
	v_and_b32_e32 v20, 1, v20
	;; [unrolled: 1-line block ×19, first 2 shown]
	ds_write_b8 v0, v18
	ds_write_b8 v0, v19 offset:256
	ds_write_b8 v0, v20 offset:512
	;; [unrolled: 1-line block ×19, first 2 shown]
	s_waitcnt lgkmcnt(0)
	s_barrier
.LBB3429_50:
	s_andn2_b64 vcc, exec, s[2:3]
	s_cbranch_vccnz .LBB3429_92
; %bb.51:
	v_cmp_gt_u32_e32 vcc, s33, v0
	v_mov_b32_e32 v17, 0
	v_mov_b32_e32 v18, 0
	s_and_saveexec_b64 s[2:3], vcc
	s_cbranch_execz .LBB3429_53
; %bb.52:
	v_readfirstlane_b32 s4, v16
	v_readfirstlane_b32 s5, v1
	s_nop 4
	global_load_ubyte v18, v30, s[4:5]
	s_waitcnt vmcnt(0)
	v_xor_b32_e32 v18, -1, v18
	v_and_b32_e32 v18, 1, v18
.LBB3429_53:
	s_or_b64 exec, exec, s[2:3]
	v_or_b32_e32 v19, 0x100, v0
	v_cmp_gt_u32_e32 vcc, s33, v19
	s_and_saveexec_b64 s[2:3], vcc
	s_cbranch_execz .LBB3429_55
; %bb.54:
	v_readfirstlane_b32 s4, v16
	v_readfirstlane_b32 s5, v1
	s_nop 4
	global_load_ubyte v17, v30, s[4:5] offset:512
	s_waitcnt vmcnt(0)
	v_xor_b32_e32 v17, -1, v17
	v_and_b32_e32 v17, 1, v17
.LBB3429_55:
	s_or_b64 exec, exec, s[2:3]
	v_or_b32_e32 v19, 0x200, v0
	v_cmp_gt_u32_e32 vcc, s33, v19
	v_mov_b32_e32 v19, 0
	v_mov_b32_e32 v20, 0
	s_and_saveexec_b64 s[2:3], vcc
	s_cbranch_execz .LBB3429_57
; %bb.56:
	v_readfirstlane_b32 s4, v16
	v_readfirstlane_b32 s5, v1
	s_nop 4
	global_load_ubyte v20, v30, s[4:5] offset:1024
	s_waitcnt vmcnt(0)
	v_xor_b32_e32 v20, -1, v20
	v_and_b32_e32 v20, 1, v20
.LBB3429_57:
	s_or_b64 exec, exec, s[2:3]
	v_or_b32_e32 v21, 0x300, v0
	v_cmp_gt_u32_e32 vcc, s33, v21
	s_and_saveexec_b64 s[2:3], vcc
	s_cbranch_execz .LBB3429_59
; %bb.58:
	v_readfirstlane_b32 s4, v16
	v_readfirstlane_b32 s5, v1
	s_nop 4
	global_load_ubyte v19, v30, s[4:5] offset:1536
	s_waitcnt vmcnt(0)
	v_xor_b32_e32 v19, -1, v19
	v_and_b32_e32 v19, 1, v19
.LBB3429_59:
	s_or_b64 exec, exec, s[2:3]
	v_or_b32_e32 v21, 0x400, v0
	v_cmp_gt_u32_e32 vcc, s33, v21
	v_mov_b32_e32 v21, 0
	v_mov_b32_e32 v22, 0
	s_and_saveexec_b64 s[2:3], vcc
	s_cbranch_execz .LBB3429_61
; %bb.60:
	v_readfirstlane_b32 s4, v16
	v_readfirstlane_b32 s5, v1
	s_nop 4
	global_load_ubyte v22, v30, s[4:5] offset:2048
	s_waitcnt vmcnt(0)
	v_xor_b32_e32 v22, -1, v22
	v_and_b32_e32 v22, 1, v22
.LBB3429_61:
	;; [unrolled: 30-line block ×3, first 2 shown]
	s_or_b64 exec, exec, s[2:3]
	v_or_b32_e32 v25, 0x700, v0
	v_cmp_gt_u32_e32 vcc, s33, v25
	s_and_saveexec_b64 s[2:3], vcc
	s_cbranch_execz .LBB3429_67
; %bb.66:
	v_readfirstlane_b32 s4, v16
	v_readfirstlane_b32 s5, v1
	s_nop 4
	global_load_ubyte v23, v30, s[4:5] offset:3584
	s_waitcnt vmcnt(0)
	v_xor_b32_e32 v23, -1, v23
	v_and_b32_e32 v23, 1, v23
.LBB3429_67:
	s_or_b64 exec, exec, s[2:3]
	v_or_b32_e32 v27, 0x800, v0
	v_cmp_gt_u32_e32 vcc, s33, v27
	v_mov_b32_e32 v25, 0
	v_mov_b32_e32 v26, 0
	s_and_saveexec_b64 s[2:3], vcc
	s_cbranch_execz .LBB3429_69
; %bb.68:
	v_lshlrev_b32_e32 v26, 1, v27
	v_readfirstlane_b32 s4, v16
	v_readfirstlane_b32 s5, v1
	s_nop 4
	global_load_ubyte v26, v26, s[4:5]
	s_waitcnt vmcnt(0)
	v_xor_b32_e32 v26, -1, v26
	v_and_b32_e32 v26, 1, v26
.LBB3429_69:
	s_or_b64 exec, exec, s[2:3]
	v_or_b32_e32 v27, 0x900, v0
	v_cmp_gt_u32_e32 vcc, s33, v27
	s_and_saveexec_b64 s[2:3], vcc
	s_cbranch_execz .LBB3429_71
; %bb.70:
	v_lshlrev_b32_e32 v25, 1, v27
	v_readfirstlane_b32 s4, v16
	v_readfirstlane_b32 s5, v1
	s_nop 4
	global_load_ubyte v25, v25, s[4:5]
	s_waitcnt vmcnt(0)
	v_xor_b32_e32 v25, -1, v25
	v_and_b32_e32 v25, 1, v25
.LBB3429_71:
	s_or_b64 exec, exec, s[2:3]
	v_or_b32_e32 v29, 0xa00, v0
	v_cmp_gt_u32_e32 vcc, s33, v29
	v_mov_b32_e32 v27, 0
	v_mov_b32_e32 v28, 0
	s_and_saveexec_b64 s[2:3], vcc
	s_cbranch_execz .LBB3429_73
; %bb.72:
	v_lshlrev_b32_e32 v28, 1, v29
	v_readfirstlane_b32 s4, v16
	v_readfirstlane_b32 s5, v1
	s_nop 4
	global_load_ubyte v28, v28, s[4:5]
	s_waitcnt vmcnt(0)
	v_xor_b32_e32 v28, -1, v28
	v_and_b32_e32 v28, 1, v28
.LBB3429_73:
	s_or_b64 exec, exec, s[2:3]
	v_or_b32_e32 v29, 0xb00, v0
	v_cmp_gt_u32_e32 vcc, s33, v29
	s_and_saveexec_b64 s[2:3], vcc
	s_cbranch_execz .LBB3429_75
; %bb.74:
	v_lshlrev_b32_e32 v27, 1, v29
	v_readfirstlane_b32 s4, v16
	v_readfirstlane_b32 s5, v1
	s_nop 4
	global_load_ubyte v27, v27, s[4:5]
	s_waitcnt vmcnt(0)
	v_xor_b32_e32 v27, -1, v27
	v_and_b32_e32 v27, 1, v27
.LBB3429_75:
	;; [unrolled: 32-line block ×6, first 2 shown]
	s_or_b64 exec, exec, s[2:3]
	ds_write_b8 v0, v18
	ds_write_b8 v0, v17 offset:256
	ds_write_b8 v0, v20 offset:512
	;; [unrolled: 1-line block ×19, first 2 shown]
	s_waitcnt lgkmcnt(0)
	s_barrier
.LBB3429_92:
	ds_read2_b32 v[20:21], v31 offset1:1
	ds_read2_b32 v[18:19], v31 offset0:2 offset1:3
	ds_read_b32 v32, v31 offset:16
	s_cmp_lg_u32 s38, 0
	v_lshrrev_b32_e32 v51, 6, v0
	s_waitcnt lgkmcnt(2)
	v_lshrrev_b32_e32 v37, 24, v20
	v_bfe_u32 v49, v20, 16, 8
	v_add_u32_sdwa v16, v20, v20 dst_sel:DWORD dst_unused:UNUSED_PAD src0_sel:BYTE_1 src1_sel:BYTE_0
	v_and_b32_e32 v46, 0xff, v21
	v_bfe_u32 v47, v21, 8, 8
	v_add3_u32 v16, v16, v49, v37
	v_lshrrev_b32_e32 v36, 24, v21
	v_bfe_u32 v48, v21, 16, 8
	v_add3_u32 v16, v16, v46, v47
	s_waitcnt lgkmcnt(1)
	v_and_b32_e32 v43, 0xff, v18
	v_bfe_u32 v44, v18, 8, 8
	v_add3_u32 v16, v16, v48, v36
	v_lshrrev_b32_e32 v35, 24, v18
	v_bfe_u32 v45, v18, 16, 8
	v_add3_u32 v16, v16, v43, v44
	v_and_b32_e32 v40, 0xff, v19
	v_bfe_u32 v41, v19, 8, 8
	v_add3_u32 v16, v16, v45, v35
	v_lshrrev_b32_e32 v34, 24, v19
	v_bfe_u32 v42, v19, 16, 8
	v_add3_u32 v16, v16, v40, v41
	s_waitcnt lgkmcnt(0)
	v_and_b32_e32 v38, 0xff, v32
	v_bfe_u32 v39, v32, 8, 8
	v_add3_u32 v16, v16, v42, v34
	v_lshrrev_b32_e32 v1, 24, v32
	v_bfe_u32 v33, v32, 16, 8
	v_add3_u32 v16, v16, v38, v39
	v_add3_u32 v52, v16, v33, v1
	v_mbcnt_lo_u32_b32 v16, -1, 0
	v_mbcnt_hi_u32_b32 v50, -1, v16
	v_and_b32_e32 v16, 15, v50
	v_cmp_eq_u32_e64 s[14:15], 0, v16
	v_cmp_lt_u32_e64 s[12:13], 1, v16
	v_cmp_lt_u32_e64 s[10:11], 3, v16
	;; [unrolled: 1-line block ×3, first 2 shown]
	v_and_b32_e32 v16, 16, v50
	v_cmp_eq_u32_e64 s[6:7], 0, v16
	v_or_b32_e32 v16, 63, v0
	v_cmp_lt_u32_e64 s[2:3], 31, v50
	v_cmp_eq_u32_e64 s[4:5], v16, v0
	s_barrier
	s_cbranch_scc0 .LBB3429_123
; %bb.93:
	v_mov_b32_dpp v16, v52 row_shr:1 row_mask:0xf bank_mask:0xf
	v_cndmask_b32_e64 v16, v16, 0, s[14:15]
	v_add_u32_e32 v16, v16, v52
	s_nop 1
	v_mov_b32_dpp v17, v16 row_shr:2 row_mask:0xf bank_mask:0xf
	v_cndmask_b32_e64 v17, 0, v17, s[12:13]
	v_add_u32_e32 v16, v16, v17
	s_nop 1
	;; [unrolled: 4-line block ×4, first 2 shown]
	v_mov_b32_dpp v17, v16 row_bcast:15 row_mask:0xf bank_mask:0xf
	v_cndmask_b32_e64 v17, v17, 0, s[6:7]
	v_add_u32_e32 v16, v16, v17
	s_nop 1
	v_mov_b32_dpp v17, v16 row_bcast:31 row_mask:0xf bank_mask:0xf
	v_cndmask_b32_e64 v17, 0, v17, s[2:3]
	v_add_u32_e32 v16, v16, v17
	s_and_saveexec_b64 s[16:17], s[4:5]
	s_cbranch_execz .LBB3429_95
; %bb.94:
	v_lshlrev_b32_e32 v17, 2, v51
	ds_write_b32 v17, v16
.LBB3429_95:
	s_or_b64 exec, exec, s[16:17]
	v_cmp_gt_u32_e32 vcc, 4, v0
	s_waitcnt lgkmcnt(0)
	s_barrier
	s_and_saveexec_b64 s[16:17], vcc
	s_cbranch_execz .LBB3429_97
; %bb.96:
	v_lshlrev_b32_e32 v17, 2, v0
	ds_read_b32 v22, v17
	v_and_b32_e32 v23, 3, v50
	v_cmp_ne_u32_e32 vcc, 0, v23
	s_waitcnt lgkmcnt(0)
	v_mov_b32_dpp v24, v22 row_shr:1 row_mask:0xf bank_mask:0xf
	v_cndmask_b32_e32 v24, 0, v24, vcc
	v_add_u32_e32 v22, v24, v22
	v_cmp_lt_u32_e32 vcc, 1, v23
	s_nop 0
	v_mov_b32_dpp v24, v22 row_shr:2 row_mask:0xf bank_mask:0xf
	v_cndmask_b32_e32 v23, 0, v24, vcc
	v_add_u32_e32 v22, v22, v23
	ds_write_b32 v17, v22
.LBB3429_97:
	s_or_b64 exec, exec, s[16:17]
	v_cmp_gt_u32_e32 vcc, 64, v0
	v_cmp_lt_u32_e64 s[16:17], 63, v0
	s_waitcnt lgkmcnt(0)
	s_barrier
	s_waitcnt lgkmcnt(0)
                                        ; implicit-def: $vgpr53
	s_and_saveexec_b64 s[30:31], s[16:17]
	s_cbranch_execz .LBB3429_99
; %bb.98:
	v_lshl_add_u32 v17, v51, 2, -4
	ds_read_b32 v53, v17
	s_waitcnt lgkmcnt(0)
	v_add_u32_e32 v16, v53, v16
.LBB3429_99:
	s_or_b64 exec, exec, s[30:31]
	v_add_u32_e32 v17, -1, v50
	v_and_b32_e32 v22, 64, v50
	v_cmp_lt_i32_e64 s[16:17], v17, v22
	v_cndmask_b32_e64 v17, v17, v50, s[16:17]
	v_lshlrev_b32_e32 v17, 2, v17
	ds_bpermute_b32 v54, v17, v16
	v_cmp_eq_u32_e64 s[16:17], 0, v50
	s_and_saveexec_b64 s[30:31], vcc
	s_cbranch_execz .LBB3429_122
; %bb.100:
	v_mov_b32_e32 v29, 0
	ds_read_b32 v16, v29 offset:12
	s_and_saveexec_b64 s[34:35], s[16:17]
	s_cbranch_execz .LBB3429_102
; %bb.101:
	s_add_i32 s36, s38, 64
	s_mov_b32 s37, 0
	s_lshl_b64 s[36:37], s[36:37], 3
	s_add_u32 s36, s28, s36
	v_mov_b32_e32 v17, 1
	s_addc_u32 s37, s29, s37
	s_waitcnt lgkmcnt(0)
	global_store_dwordx2 v29, v[16:17], s[36:37]
.LBB3429_102:
	s_or_b64 exec, exec, s[34:35]
	v_xad_u32 v22, v50, -1, s38
	v_add_u32_e32 v28, 64, v22
	v_lshlrev_b64 v[24:25], 3, v[28:29]
	v_mov_b32_e32 v17, s29
	v_add_co_u32_e32 v24, vcc, s28, v24
	v_addc_co_u32_e32 v25, vcc, v17, v25, vcc
	global_load_dwordx2 v[26:27], v[24:25], off glc
	s_waitcnt vmcnt(0)
	v_cmp_eq_u16_sdwa s[36:37], v27, v29 src0_sel:BYTE_0 src1_sel:DWORD
	s_and_saveexec_b64 s[34:35], s[36:37]
	s_cbranch_execz .LBB3429_108
; %bb.103:
	s_mov_b32 s39, 1
	s_mov_b64 s[36:37], 0
	v_mov_b32_e32 v17, 0
.LBB3429_104:                           ; =>This Loop Header: Depth=1
                                        ;     Child Loop BB3429_105 Depth 2
	s_max_u32 s40, s39, 1
.LBB3429_105:                           ;   Parent Loop BB3429_104 Depth=1
                                        ; =>  This Inner Loop Header: Depth=2
	s_add_i32 s40, s40, -1
	s_cmp_eq_u32 s40, 0
	s_sleep 1
	s_cbranch_scc0 .LBB3429_105
; %bb.106:                              ;   in Loop: Header=BB3429_104 Depth=1
	global_load_dwordx2 v[26:27], v[24:25], off glc
	s_cmp_lt_u32 s39, 32
	s_cselect_b64 s[40:41], -1, 0
	s_cmp_lg_u64 s[40:41], 0
	s_addc_u32 s39, s39, 0
	s_waitcnt vmcnt(0)
	v_cmp_ne_u16_sdwa s[40:41], v27, v17 src0_sel:BYTE_0 src1_sel:DWORD
	s_or_b64 s[36:37], s[40:41], s[36:37]
	s_andn2_b64 exec, exec, s[36:37]
	s_cbranch_execnz .LBB3429_104
; %bb.107:
	s_or_b64 exec, exec, s[36:37]
.LBB3429_108:
	s_or_b64 exec, exec, s[34:35]
	v_and_b32_e32 v56, 63, v50
	v_mov_b32_e32 v55, 2
	v_cmp_ne_u32_e32 vcc, 63, v56
	v_cmp_eq_u16_sdwa s[34:35], v27, v55 src0_sel:BYTE_0 src1_sel:DWORD
	v_lshlrev_b64 v[24:25], v50, -1
	v_addc_co_u32_e32 v28, vcc, 0, v50, vcc
	v_and_b32_e32 v17, s35, v25
	v_lshlrev_b32_e32 v57, 2, v28
	v_or_b32_e32 v17, 0x80000000, v17
	ds_bpermute_b32 v28, v57, v26
	v_and_b32_e32 v23, s34, v24
	v_ffbl_b32_e32 v17, v17
	v_add_u32_e32 v17, 32, v17
	v_ffbl_b32_e32 v23, v23
	v_min_u32_e32 v17, v23, v17
	v_cmp_lt_u32_e32 vcc, v56, v17
	s_waitcnt lgkmcnt(0)
	v_cndmask_b32_e32 v23, 0, v28, vcc
	v_cmp_gt_u32_e32 vcc, 62, v56
	v_add_u32_e32 v23, v23, v26
	v_cndmask_b32_e64 v26, 0, 1, vcc
	v_lshlrev_b32_e32 v26, 1, v26
	v_add_lshl_u32 v58, v26, v50, 2
	ds_bpermute_b32 v26, v58, v23
	v_add_u32_e32 v59, 2, v56
	v_cmp_le_u32_e32 vcc, v59, v17
	v_add_u32_e32 v61, 4, v56
	v_add_u32_e32 v63, 8, v56
	s_waitcnt lgkmcnt(0)
	v_cndmask_b32_e32 v26, 0, v26, vcc
	v_cmp_gt_u32_e32 vcc, 60, v56
	v_add_u32_e32 v23, v23, v26
	v_cndmask_b32_e64 v26, 0, 1, vcc
	v_lshlrev_b32_e32 v26, 2, v26
	v_add_lshl_u32 v60, v26, v50, 2
	ds_bpermute_b32 v26, v60, v23
	v_cmp_le_u32_e32 vcc, v61, v17
	v_add_u32_e32 v65, 16, v56
	v_add_u32_e32 v67, 32, v56
	s_waitcnt lgkmcnt(0)
	v_cndmask_b32_e32 v26, 0, v26, vcc
	v_cmp_gt_u32_e32 vcc, 56, v56
	v_add_u32_e32 v23, v23, v26
	v_cndmask_b32_e64 v26, 0, 1, vcc
	v_lshlrev_b32_e32 v26, 3, v26
	v_add_lshl_u32 v62, v26, v50, 2
	ds_bpermute_b32 v26, v62, v23
	v_cmp_le_u32_e32 vcc, v63, v17
	s_waitcnt lgkmcnt(0)
	v_cndmask_b32_e32 v26, 0, v26, vcc
	v_cmp_gt_u32_e32 vcc, 48, v56
	v_add_u32_e32 v23, v23, v26
	v_cndmask_b32_e64 v26, 0, 1, vcc
	v_lshlrev_b32_e32 v26, 4, v26
	v_add_lshl_u32 v64, v26, v50, 2
	ds_bpermute_b32 v26, v64, v23
	v_cmp_le_u32_e32 vcc, v65, v17
	;; [unrolled: 9-line block ×3, first 2 shown]
	s_waitcnt lgkmcnt(0)
	v_cndmask_b32_e32 v17, 0, v26, vcc
	v_add_u32_e32 v26, v23, v17
	v_mov_b32_e32 v23, 0
	s_branch .LBB3429_110
.LBB3429_109:                           ;   in Loop: Header=BB3429_110 Depth=1
	s_or_b64 exec, exec, s[34:35]
	v_cmp_eq_u16_sdwa s[34:35], v27, v55 src0_sel:BYTE_0 src1_sel:DWORD
	v_and_b32_e32 v28, s35, v25
	v_or_b32_e32 v28, 0x80000000, v28
	ds_bpermute_b32 v68, v57, v26
	v_and_b32_e32 v29, s34, v24
	v_ffbl_b32_e32 v28, v28
	v_add_u32_e32 v28, 32, v28
	v_ffbl_b32_e32 v29, v29
	v_min_u32_e32 v28, v29, v28
	v_cmp_lt_u32_e32 vcc, v56, v28
	s_waitcnt lgkmcnt(0)
	v_cndmask_b32_e32 v29, 0, v68, vcc
	v_add_u32_e32 v26, v29, v26
	ds_bpermute_b32 v29, v58, v26
	v_cmp_le_u32_e32 vcc, v59, v28
	v_subrev_u32_e32 v22, 64, v22
	s_waitcnt lgkmcnt(0)
	v_cndmask_b32_e32 v29, 0, v29, vcc
	v_add_u32_e32 v26, v26, v29
	ds_bpermute_b32 v29, v60, v26
	v_cmp_le_u32_e32 vcc, v61, v28
	s_waitcnt lgkmcnt(0)
	v_cndmask_b32_e32 v29, 0, v29, vcc
	v_add_u32_e32 v26, v26, v29
	ds_bpermute_b32 v29, v62, v26
	v_cmp_le_u32_e32 vcc, v63, v28
	;; [unrolled: 5-line block ×4, first 2 shown]
	s_waitcnt lgkmcnt(0)
	v_cndmask_b32_e32 v28, 0, v29, vcc
	v_add3_u32 v26, v28, v17, v26
.LBB3429_110:                           ; =>This Loop Header: Depth=1
                                        ;     Child Loop BB3429_113 Depth 2
                                        ;       Child Loop BB3429_114 Depth 3
	v_cmp_ne_u16_sdwa s[34:35], v27, v55 src0_sel:BYTE_0 src1_sel:DWORD
	v_cndmask_b32_e64 v17, 0, 1, s[34:35]
	;;#ASMSTART
	;;#ASMEND
	v_cmp_ne_u32_e32 vcc, 0, v17
	s_cmp_lg_u64 vcc, exec
	v_mov_b32_e32 v17, v26
	s_cbranch_scc1 .LBB3429_117
; %bb.111:                              ;   in Loop: Header=BB3429_110 Depth=1
	v_lshlrev_b64 v[26:27], 3, v[22:23]
	v_mov_b32_e32 v29, s29
	v_add_co_u32_e32 v28, vcc, s28, v26
	v_addc_co_u32_e32 v29, vcc, v29, v27, vcc
	global_load_dwordx2 v[26:27], v[28:29], off glc
	s_waitcnt vmcnt(0)
	v_cmp_eq_u16_sdwa s[36:37], v27, v23 src0_sel:BYTE_0 src1_sel:DWORD
	s_and_saveexec_b64 s[34:35], s[36:37]
	s_cbranch_execz .LBB3429_109
; %bb.112:                              ;   in Loop: Header=BB3429_110 Depth=1
	s_mov_b32 s39, 1
	s_mov_b64 s[36:37], 0
.LBB3429_113:                           ;   Parent Loop BB3429_110 Depth=1
                                        ; =>  This Loop Header: Depth=2
                                        ;       Child Loop BB3429_114 Depth 3
	s_max_u32 s40, s39, 1
.LBB3429_114:                           ;   Parent Loop BB3429_110 Depth=1
                                        ;     Parent Loop BB3429_113 Depth=2
                                        ; =>    This Inner Loop Header: Depth=3
	s_add_i32 s40, s40, -1
	s_cmp_eq_u32 s40, 0
	s_sleep 1
	s_cbranch_scc0 .LBB3429_114
; %bb.115:                              ;   in Loop: Header=BB3429_113 Depth=2
	global_load_dwordx2 v[26:27], v[28:29], off glc
	s_cmp_lt_u32 s39, 32
	s_cselect_b64 s[40:41], -1, 0
	s_cmp_lg_u64 s[40:41], 0
	s_addc_u32 s39, s39, 0
	s_waitcnt vmcnt(0)
	v_cmp_ne_u16_sdwa s[40:41], v27, v23 src0_sel:BYTE_0 src1_sel:DWORD
	s_or_b64 s[36:37], s[40:41], s[36:37]
	s_andn2_b64 exec, exec, s[36:37]
	s_cbranch_execnz .LBB3429_113
; %bb.116:                              ;   in Loop: Header=BB3429_110 Depth=1
	s_or_b64 exec, exec, s[36:37]
	s_branch .LBB3429_109
.LBB3429_117:                           ;   in Loop: Header=BB3429_110 Depth=1
                                        ; implicit-def: $vgpr26
                                        ; implicit-def: $vgpr27
	s_cbranch_execz .LBB3429_110
; %bb.118:
	s_and_saveexec_b64 s[34:35], s[16:17]
	s_cbranch_execz .LBB3429_120
; %bb.119:
	s_add_i32 s36, s38, 64
	s_mov_b32 s37, 0
	s_lshl_b64 s[36:37], s[36:37], 3
	s_add_u32 s36, s28, s36
	v_add_u32_e32 v22, v17, v16
	v_mov_b32_e32 v23, 2
	s_addc_u32 s37, s29, s37
	v_mov_b32_e32 v24, 0
	global_store_dwordx2 v24, v[22:23], s[36:37]
	ds_write_b64 v24, v[16:17] offset:10240
.LBB3429_120:
	s_or_b64 exec, exec, s[34:35]
	s_and_b64 exec, exec, s[0:1]
	s_cbranch_execz .LBB3429_122
; %bb.121:
	v_mov_b32_e32 v16, 0
	ds_write_b32 v16, v17 offset:12
.LBB3429_122:
	s_or_b64 exec, exec, s[30:31]
	v_mov_b32_e32 v16, 0
	s_waitcnt lgkmcnt(0)
	s_barrier
	ds_read_b32 v22, v16 offset:12
	s_waitcnt lgkmcnt(0)
	s_barrier
	ds_read_b64 v[16:17], v16 offset:10240
	v_cndmask_b32_e64 v23, v54, v53, s[16:17]
	v_cndmask_b32_e64 v23, v23, 0, s[0:1]
	v_add_u32_e32 v26, v22, v23
	s_branch .LBB3429_133
.LBB3429_123:
                                        ; implicit-def: $vgpr17
                                        ; implicit-def: $vgpr26
	s_cbranch_execz .LBB3429_133
; %bb.124:
	s_waitcnt lgkmcnt(0)
	v_mov_b32_dpp v16, v52 row_shr:1 row_mask:0xf bank_mask:0xf
	v_cndmask_b32_e64 v16, v16, 0, s[14:15]
	v_add_u32_e32 v16, v16, v52
	s_nop 1
	v_mov_b32_dpp v17, v16 row_shr:2 row_mask:0xf bank_mask:0xf
	v_cndmask_b32_e64 v17, 0, v17, s[12:13]
	v_add_u32_e32 v16, v16, v17
	s_nop 1
	;; [unrolled: 4-line block ×4, first 2 shown]
	v_mov_b32_dpp v17, v16 row_bcast:15 row_mask:0xf bank_mask:0xf
	v_cndmask_b32_e64 v17, v17, 0, s[6:7]
	v_add_u32_e32 v16, v16, v17
	s_nop 1
	v_mov_b32_dpp v17, v16 row_bcast:31 row_mask:0xf bank_mask:0xf
	v_cndmask_b32_e64 v17, 0, v17, s[2:3]
	v_add_u32_e32 v16, v16, v17
	s_and_saveexec_b64 s[2:3], s[4:5]
	s_cbranch_execz .LBB3429_126
; %bb.125:
	v_lshlrev_b32_e32 v17, 2, v51
	ds_write_b32 v17, v16
.LBB3429_126:
	s_or_b64 exec, exec, s[2:3]
	v_cmp_gt_u32_e32 vcc, 4, v0
	s_waitcnt lgkmcnt(0)
	s_barrier
	s_and_saveexec_b64 s[2:3], vcc
	s_cbranch_execz .LBB3429_128
; %bb.127:
	v_lshlrev_b32_e32 v17, 2, v0
	ds_read_b32 v22, v17
	v_and_b32_e32 v23, 3, v50
	v_cmp_ne_u32_e32 vcc, 0, v23
	s_waitcnt lgkmcnt(0)
	v_mov_b32_dpp v24, v22 row_shr:1 row_mask:0xf bank_mask:0xf
	v_cndmask_b32_e32 v24, 0, v24, vcc
	v_add_u32_e32 v22, v24, v22
	v_cmp_lt_u32_e32 vcc, 1, v23
	s_nop 0
	v_mov_b32_dpp v24, v22 row_shr:2 row_mask:0xf bank_mask:0xf
	v_cndmask_b32_e32 v23, 0, v24, vcc
	v_add_u32_e32 v22, v22, v23
	ds_write_b32 v17, v22
.LBB3429_128:
	s_or_b64 exec, exec, s[2:3]
	v_cmp_lt_u32_e32 vcc, 63, v0
	v_mov_b32_e32 v17, 0
	v_mov_b32_e32 v22, 0
	s_waitcnt lgkmcnt(0)
	s_barrier
	s_and_saveexec_b64 s[2:3], vcc
	s_cbranch_execz .LBB3429_130
; %bb.129:
	v_lshl_add_u32 v22, v51, 2, -4
	ds_read_b32 v22, v22
.LBB3429_130:
	s_or_b64 exec, exec, s[2:3]
	v_add_u32_e32 v23, -1, v50
	v_and_b32_e32 v24, 64, v50
	v_cmp_lt_i32_e32 vcc, v23, v24
	v_cndmask_b32_e32 v23, v23, v50, vcc
	s_waitcnt lgkmcnt(0)
	v_add_u32_e32 v16, v22, v16
	v_lshlrev_b32_e32 v23, 2, v23
	ds_bpermute_b32 v23, v23, v16
	ds_read_b32 v16, v17 offset:12
	s_and_saveexec_b64 s[2:3], s[0:1]
	s_cbranch_execz .LBB3429_132
; %bb.131:
	v_mov_b32_e32 v24, 0
	v_mov_b32_e32 v17, 2
	s_waitcnt lgkmcnt(0)
	global_store_dwordx2 v24, v[16:17], s[28:29] offset:512
.LBB3429_132:
	s_or_b64 exec, exec, s[2:3]
	v_cmp_eq_u32_e32 vcc, 0, v50
	s_waitcnt lgkmcnt(1)
	v_cndmask_b32_e32 v22, v23, v22, vcc
	v_mov_b32_e32 v17, 0
	v_cndmask_b32_e64 v26, v22, 0, s[0:1]
	s_waitcnt lgkmcnt(0)
	s_barrier
.LBB3429_133:
	v_add_u32_sdwa v28, v26, v20 dst_sel:DWORD dst_unused:UNUSED_PAD src0_sel:DWORD src1_sel:BYTE_0
	s_waitcnt lgkmcnt(0)
	v_add_u32_e32 v31, v16, v31
	v_sub_u32_e32 v26, v26, v17
	v_and_b32_e32 v55, 1, v20
	v_sub_u32_e32 v54, v31, v26
	v_cmp_eq_u32_e32 vcc, 1, v55
	v_cndmask_b32_e32 v26, v54, v26, vcc
	v_lshlrev_b32_e32 v26, 1, v26
	v_lshrrev_b32_e32 v27, 8, v20
	ds_write_b16 v26, v6
	v_sub_u32_e32 v26, v28, v17
	v_add_u32_sdwa v29, v28, v20 dst_sel:DWORD dst_unused:UNUSED_PAD src0_sel:DWORD src1_sel:BYTE_1
	v_sub_u32_e32 v28, v31, v26
	v_and_b32_e32 v27, 1, v27
	v_add_u32_e32 v28, 1, v28
	v_cmp_eq_u32_e32 vcc, 1, v27
	v_cndmask_b32_e32 v26, v28, v26, vcc
	v_lshlrev_b32_e32 v26, 1, v26
	ds_write_b16_d16_hi v26, v6
	v_sub_u32_e32 v6, v29, v17
	v_mov_b32_e32 v27, 1
	v_sub_u32_e32 v26, v31, v6
	v_and_b32_sdwa v20, v27, v20 dst_sel:DWORD dst_unused:UNUSED_PAD src0_sel:DWORD src1_sel:WORD_1
	v_add_u32_e32 v26, 2, v26
	v_cmp_eq_u32_e32 vcc, 1, v20
	v_cndmask_b32_e32 v6, v26, v6, vcc
	v_add_u32_e32 v49, v29, v49
	v_lshlrev_b32_e32 v6, 1, v6
	ds_write_b16 v6, v7
	v_sub_u32_e32 v6, v49, v17
	v_sub_u32_e32 v20, v31, v6
	v_and_b32_e32 v26, 1, v37
	v_add_u32_e32 v20, 3, v20
	v_cmp_eq_u32_e32 vcc, 1, v26
	v_cndmask_b32_e32 v6, v20, v6, vcc
	v_add_u32_e32 v50, v49, v37
	v_lshlrev_b32_e32 v6, 1, v6
	ds_write_b16_d16_hi v6, v7
	v_sub_u32_e32 v6, v50, v17
	v_sub_u32_e32 v7, v31, v6
	v_and_b32_e32 v20, 1, v21
	v_add_u32_e32 v7, 4, v7
	v_cmp_eq_u32_e32 vcc, 1, v20
	v_cndmask_b32_e32 v6, v7, v6, vcc
	v_add_u32_e32 v46, v50, v46
	v_lshlrev_b32_e32 v6, 1, v6
	v_lshrrev_b32_e32 v25, 8, v21
	ds_write_b16 v6, v8
	v_sub_u32_e32 v6, v46, v17
	v_sub_u32_e32 v7, v31, v6
	v_and_b32_e32 v20, 1, v25
	v_add_u32_e32 v7, 5, v7
	v_cmp_eq_u32_e32 vcc, 1, v20
	v_cndmask_b32_e32 v6, v7, v6, vcc
	v_add_u32_e32 v47, v46, v47
	v_lshlrev_b32_e32 v6, 1, v6
	ds_write_b16_d16_hi v6, v8
	v_sub_u32_e32 v6, v47, v17
	v_sub_u32_e32 v7, v31, v6
	v_and_b32_sdwa v8, v27, v21 dst_sel:DWORD dst_unused:UNUSED_PAD src0_sel:DWORD src1_sel:WORD_1
	v_add_u32_e32 v7, 6, v7
	v_cmp_eq_u32_e32 vcc, 1, v8
	v_cndmask_b32_e32 v6, v7, v6, vcc
	v_add_u32_e32 v48, v47, v48
	v_lshlrev_b32_e32 v6, 1, v6
	ds_write_b16 v6, v9
	v_sub_u32_e32 v6, v48, v17
	v_sub_u32_e32 v7, v31, v6
	v_and_b32_e32 v8, 1, v36
	v_add_u32_e32 v7, 7, v7
	v_cmp_eq_u32_e32 vcc, 1, v8
	v_cndmask_b32_e32 v6, v7, v6, vcc
	v_add_u32_e32 v51, v48, v36
	v_lshlrev_b32_e32 v6, 1, v6
	ds_write_b16_d16_hi v6, v9
	v_sub_u32_e32 v6, v51, v17
	v_sub_u32_e32 v7, v31, v6
	v_and_b32_e32 v8, 1, v18
	v_add_u32_e32 v7, 8, v7
	v_cmp_eq_u32_e32 vcc, 1, v8
	v_cndmask_b32_e32 v6, v7, v6, vcc
	v_add_u32_e32 v43, v51, v43
	v_lshlrev_b32_e32 v6, 1, v6
	v_lshrrev_b32_e32 v24, 8, v18
	ds_write_b16 v6, v2
	v_sub_u32_e32 v6, v43, v17
	v_sub_u32_e32 v7, v31, v6
	v_and_b32_e32 v8, 1, v24
	v_add_u32_e32 v7, 9, v7
	v_cmp_eq_u32_e32 vcc, 1, v8
	v_cndmask_b32_e32 v6, v7, v6, vcc
	v_add_u32_e32 v44, v43, v44
	v_lshlrev_b32_e32 v6, 1, v6
	ds_write_b16_d16_hi v6, v2
	v_sub_u32_e32 v2, v44, v17
	;; [unrolled: 37-line block ×4, first 2 shown]
	v_sub_u32_e32 v3, v31, v2
	v_and_b32_sdwa v4, v27, v32 dst_sel:DWORD dst_unused:UNUSED_PAD src0_sel:DWORD src1_sel:WORD_1
	v_add_u32_e32 v3, 18, v3
	v_cmp_eq_u32_e32 vcc, 1, v4
	v_cndmask_b32_e32 v2, v3, v2, vcc
	v_lshlrev_b32_e32 v2, 1, v2
	ds_write_b16 v2, v15
	v_sub_u32_e32 v2, v33, v17
	v_add_u32_e32 v2, v39, v2
	v_sub_u32_e32 v3, v31, v2
	v_and_b32_e32 v1, 1, v1
	v_add_u32_e32 v3, 19, v3
	v_cmp_eq_u32_e32 vcc, 1, v1
	v_cndmask_b32_e32 v1, v3, v2, vcc
	v_lshlrev_b32_e32 v1, 1, v1
	ds_write_b16_d16_hi v1, v15
	s_waitcnt vmcnt(0)
	v_add_co_u32_e32 v1, vcc, v10, v16
	s_waitcnt lgkmcnt(0)
	s_barrier
	ds_read_u16 v50, v30
	ds_read_u16 v49, v30 offset:512
	ds_read_u16 v47, v30 offset:1024
	;; [unrolled: 1-line block ×15, first 2 shown]
	v_addc_co_u32_e32 v3, vcc, 0, v11, vcc
	v_add_co_u32_e32 v2, vcc, v1, v17
	v_addc_co_u32_e32 v3, vcc, 0, v3, vcc
	v_mov_b32_e32 v1, s19
	v_sub_co_u32_e32 v10, vcc, s18, v2
	ds_read_u16 v18, v30 offset:8192
	ds_read_u16 v14, v30 offset:8704
	;; [unrolled: 1-line block ×4, first 2 shown]
	v_subb_co_u32_e32 v11, vcc, v1, v3, vcc
	v_lshlrev_b64 v[10:11], 1, v[10:11]
	v_mov_b32_e32 v1, s25
	v_add_co_u32_e32 v4, vcc, s24, v10
	v_addc_co_u32_e32 v1, vcc, v1, v11, vcc
	v_add_co_u32_e32 v4, vcc, v4, v12
	v_addc_co_u32_e32 v1, vcc, v1, v13, vcc
	v_or_b32_e32 v48, 0x100, v0
	v_or_b32_e32 v46, 0x200, v0
	;; [unrolled: 1-line block ×19, first 2 shown]
	s_andn2_b64 vcc, exec, s[26:27]
	v_cmp_ge_u32_e64 s[2:3], v0, v16
	s_cbranch_vccnz .LBB3429_155
; %bb.134:
	s_and_saveexec_b64 s[4:5], s[2:3]
	s_cbranch_execnz .LBB3429_200
; %bb.135:
	s_or_b64 exec, exec, s[4:5]
	v_cmp_ge_u32_e32 vcc, v48, v16
	s_and_saveexec_b64 s[2:3], vcc
	s_cbranch_execnz .LBB3429_201
.LBB3429_136:
	s_or_b64 exec, exec, s[2:3]
	v_cmp_ge_u32_e32 vcc, v46, v16
	s_and_saveexec_b64 s[2:3], vcc
	s_cbranch_execnz .LBB3429_202
.LBB3429_137:
	s_or_b64 exec, exec, s[2:3]
	v_cmp_ge_u32_e32 vcc, v44, v16
	s_and_saveexec_b64 s[2:3], vcc
	s_cbranch_execnz .LBB3429_203
.LBB3429_138:
	s_or_b64 exec, exec, s[2:3]
	v_cmp_ge_u32_e32 vcc, v43, v16
	s_and_saveexec_b64 s[2:3], vcc
	s_cbranch_execnz .LBB3429_204
.LBB3429_139:
	s_or_b64 exec, exec, s[2:3]
	v_cmp_ge_u32_e32 vcc, v41, v16
	s_and_saveexec_b64 s[2:3], vcc
	s_cbranch_execnz .LBB3429_205
.LBB3429_140:
	s_or_b64 exec, exec, s[2:3]
	v_cmp_ge_u32_e32 vcc, v39, v16
	s_and_saveexec_b64 s[2:3], vcc
	s_cbranch_execnz .LBB3429_206
.LBB3429_141:
	s_or_b64 exec, exec, s[2:3]
	v_cmp_ge_u32_e32 vcc, v37, v16
	s_and_saveexec_b64 s[2:3], vcc
	s_cbranch_execnz .LBB3429_207
.LBB3429_142:
	s_or_b64 exec, exec, s[2:3]
	v_cmp_ge_u32_e32 vcc, v34, v16
	s_and_saveexec_b64 s[2:3], vcc
	s_cbranch_execnz .LBB3429_208
.LBB3429_143:
	s_or_b64 exec, exec, s[2:3]
	v_cmp_ge_u32_e32 vcc, v32, v16
	s_and_saveexec_b64 s[2:3], vcc
	s_cbranch_execnz .LBB3429_209
.LBB3429_144:
	s_or_b64 exec, exec, s[2:3]
	v_cmp_ge_u32_e32 vcc, v29, v16
	s_and_saveexec_b64 s[2:3], vcc
	s_cbranch_execnz .LBB3429_210
.LBB3429_145:
	s_or_b64 exec, exec, s[2:3]
	v_cmp_ge_u32_e32 vcc, v27, v16
	s_and_saveexec_b64 s[2:3], vcc
	s_cbranch_execnz .LBB3429_211
.LBB3429_146:
	s_or_b64 exec, exec, s[2:3]
	v_cmp_ge_u32_e32 vcc, v25, v16
	s_and_saveexec_b64 s[2:3], vcc
	s_cbranch_execnz .LBB3429_212
.LBB3429_147:
	s_or_b64 exec, exec, s[2:3]
	v_cmp_ge_u32_e32 vcc, v23, v16
	s_and_saveexec_b64 s[2:3], vcc
	s_cbranch_execnz .LBB3429_213
.LBB3429_148:
	s_or_b64 exec, exec, s[2:3]
	v_cmp_ge_u32_e32 vcc, v21, v16
	s_and_saveexec_b64 s[2:3], vcc
	s_cbranch_execnz .LBB3429_214
.LBB3429_149:
	s_or_b64 exec, exec, s[2:3]
	v_cmp_ge_u32_e32 vcc, v19, v16
	s_and_saveexec_b64 s[2:3], vcc
	s_cbranch_execnz .LBB3429_215
.LBB3429_150:
	s_or_b64 exec, exec, s[2:3]
	v_cmp_ge_u32_e32 vcc, v15, v16
	s_and_saveexec_b64 s[2:3], vcc
	s_cbranch_execnz .LBB3429_216
.LBB3429_151:
	s_or_b64 exec, exec, s[2:3]
	v_cmp_ge_u32_e32 vcc, v9, v16
	s_and_saveexec_b64 s[2:3], vcc
	s_cbranch_execnz .LBB3429_217
.LBB3429_152:
	s_or_b64 exec, exec, s[2:3]
	v_cmp_ge_u32_e32 vcc, v8, v16
	s_and_saveexec_b64 s[2:3], vcc
	s_cbranch_execz .LBB3429_154
.LBB3429_153:
	v_lshlrev_b32_e32 v10, 1, v8
	v_readfirstlane_b32 s4, v4
	v_readfirstlane_b32 s5, v1
	s_waitcnt lgkmcnt(1)
	s_nop 3
	global_store_short v10, v7, s[4:5]
.LBB3429_154:
	s_or_b64 exec, exec, s[2:3]
	v_cmp_ge_u32_e64 s[2:3], v6, v16
	s_branch .LBB3429_195
.LBB3429_155:
	s_mov_b64 s[2:3], 0
	s_cbranch_execz .LBB3429_195
; %bb.156:
	v_cmp_gt_u32_e32 vcc, s33, v0
	v_cmp_ge_u32_e64 s[2:3], v0, v16
	s_and_b64 s[4:5], vcc, s[2:3]
	s_and_saveexec_b64 s[2:3], s[4:5]
	s_cbranch_execz .LBB3429_158
; %bb.157:
	v_readfirstlane_b32 s4, v4
	v_readfirstlane_b32 s5, v1
	s_waitcnt lgkmcnt(14)
	s_nop 3
	global_store_short v30, v50, s[4:5]
.LBB3429_158:
	s_or_b64 exec, exec, s[2:3]
	v_cmp_gt_u32_e32 vcc, s33, v48
	v_cmp_ge_u32_e64 s[2:3], v48, v16
	s_and_b64 s[4:5], vcc, s[2:3]
	s_and_saveexec_b64 s[2:3], s[4:5]
	s_cbranch_execz .LBB3429_160
; %bb.159:
	v_readfirstlane_b32 s4, v4
	v_readfirstlane_b32 s5, v1
	s_waitcnt lgkmcnt(14)
	s_nop 3
	global_store_short v30, v49, s[4:5] offset:512
.LBB3429_160:
	s_or_b64 exec, exec, s[2:3]
	v_cmp_gt_u32_e32 vcc, s33, v46
	v_cmp_ge_u32_e64 s[2:3], v46, v16
	s_and_b64 s[4:5], vcc, s[2:3]
	s_and_saveexec_b64 s[2:3], s[4:5]
	s_cbranch_execz .LBB3429_162
; %bb.161:
	v_readfirstlane_b32 s4, v4
	v_readfirstlane_b32 s5, v1
	s_waitcnt lgkmcnt(14)
	s_nop 3
	global_store_short v30, v47, s[4:5] offset:1024
.LBB3429_162:
	;; [unrolled: 13-line block ×7, first 2 shown]
	s_or_b64 exec, exec, s[2:3]
	v_cmp_gt_u32_e32 vcc, s33, v34
	v_cmp_ge_u32_e64 s[2:3], v34, v16
	s_and_b64 s[4:5], vcc, s[2:3]
	s_and_saveexec_b64 s[2:3], s[4:5]
	s_cbranch_execz .LBB3429_174
; %bb.173:
	v_lshlrev_b32_e32 v0, 1, v34
	v_readfirstlane_b32 s4, v4
	v_readfirstlane_b32 s5, v1
	s_waitcnt lgkmcnt(11)
	s_nop 3
	global_store_short v0, v35, s[4:5]
.LBB3429_174:
	s_or_b64 exec, exec, s[2:3]
	v_cmp_gt_u32_e32 vcc, s33, v32
	v_cmp_ge_u32_e64 s[2:3], v32, v16
	s_and_b64 s[4:5], vcc, s[2:3]
	s_and_saveexec_b64 s[2:3], s[4:5]
	s_cbranch_execz .LBB3429_176
; %bb.175:
	v_lshlrev_b32_e32 v0, 1, v32
	v_readfirstlane_b32 s4, v4
	v_readfirstlane_b32 s5, v1
	s_waitcnt lgkmcnt(10)
	s_nop 3
	global_store_short v0, v33, s[4:5]
.LBB3429_176:
	;; [unrolled: 14-line block ×11, first 2 shown]
	s_or_b64 exec, exec, s[2:3]
	v_cmp_gt_u32_e32 vcc, s33, v6
	v_cmp_ge_u32_e64 s[2:3], v6, v16
	s_and_b64 s[2:3], vcc, s[2:3]
.LBB3429_195:
	s_and_saveexec_b64 s[4:5], s[2:3]
	s_cbranch_execnz .LBB3429_198
; %bb.196:
	s_or_b64 exec, exec, s[4:5]
	s_and_b64 s[0:1], s[0:1], s[22:23]
	s_and_saveexec_b64 s[2:3], s[0:1]
	s_cbranch_execnz .LBB3429_199
.LBB3429_197:
	s_endpgm
.LBB3429_198:
	v_lshlrev_b32_e32 v0, 1, v6
	v_readfirstlane_b32 s2, v4
	v_readfirstlane_b32 s3, v1
	s_waitcnt lgkmcnt(0)
	s_nop 3
	global_store_short v0, v5, s[2:3]
	s_or_b64 exec, exec, s[4:5]
	s_and_b64 s[0:1], s[0:1], s[22:23]
	s_and_saveexec_b64 s[2:3], s[0:1]
	s_cbranch_execz .LBB3429_197
.LBB3429_199:
	v_mov_b32_e32 v0, 0
	global_store_dwordx2 v0, v[2:3], s[20:21]
	s_endpgm
.LBB3429_200:
	v_readfirstlane_b32 s2, v4
	v_readfirstlane_b32 s3, v1
	s_waitcnt lgkmcnt(14)
	s_nop 3
	global_store_short v30, v50, s[2:3]
	s_or_b64 exec, exec, s[4:5]
	v_cmp_ge_u32_e32 vcc, v48, v16
	s_and_saveexec_b64 s[2:3], vcc
	s_cbranch_execz .LBB3429_136
.LBB3429_201:
	v_readfirstlane_b32 s4, v4
	v_readfirstlane_b32 s5, v1
	s_waitcnt lgkmcnt(14)
	s_nop 3
	global_store_short v30, v49, s[4:5] offset:512
	s_or_b64 exec, exec, s[2:3]
	v_cmp_ge_u32_e32 vcc, v46, v16
	s_and_saveexec_b64 s[2:3], vcc
	s_cbranch_execz .LBB3429_137
.LBB3429_202:
	v_readfirstlane_b32 s4, v4
	v_readfirstlane_b32 s5, v1
	s_waitcnt lgkmcnt(14)
	s_nop 3
	global_store_short v30, v47, s[4:5] offset:1024
	s_or_b64 exec, exec, s[2:3]
	v_cmp_ge_u32_e32 vcc, v44, v16
	s_and_saveexec_b64 s[2:3], vcc
	s_cbranch_execz .LBB3429_138
.LBB3429_203:
	v_readfirstlane_b32 s4, v4
	v_readfirstlane_b32 s5, v1
	s_waitcnt lgkmcnt(14)
	s_nop 3
	global_store_short v30, v45, s[4:5] offset:1536
	s_or_b64 exec, exec, s[2:3]
	v_cmp_ge_u32_e32 vcc, v43, v16
	s_and_saveexec_b64 s[2:3], vcc
	s_cbranch_execz .LBB3429_139
.LBB3429_204:
	v_readfirstlane_b32 s4, v4
	v_readfirstlane_b32 s5, v1
	s_waitcnt lgkmcnt(14)
	s_nop 3
	global_store_short v30, v42, s[4:5] offset:2048
	s_or_b64 exec, exec, s[2:3]
	v_cmp_ge_u32_e32 vcc, v41, v16
	s_and_saveexec_b64 s[2:3], vcc
	s_cbranch_execz .LBB3429_140
.LBB3429_205:
	v_readfirstlane_b32 s4, v4
	v_readfirstlane_b32 s5, v1
	s_waitcnt lgkmcnt(14)
	s_nop 3
	global_store_short v30, v40, s[4:5] offset:2560
	s_or_b64 exec, exec, s[2:3]
	v_cmp_ge_u32_e32 vcc, v39, v16
	s_and_saveexec_b64 s[2:3], vcc
	s_cbranch_execz .LBB3429_141
.LBB3429_206:
	v_readfirstlane_b32 s4, v4
	v_readfirstlane_b32 s5, v1
	s_waitcnt lgkmcnt(13)
	s_nop 3
	global_store_short v30, v38, s[4:5] offset:3072
	s_or_b64 exec, exec, s[2:3]
	v_cmp_ge_u32_e32 vcc, v37, v16
	s_and_saveexec_b64 s[2:3], vcc
	s_cbranch_execz .LBB3429_142
.LBB3429_207:
	v_readfirstlane_b32 s4, v4
	v_readfirstlane_b32 s5, v1
	s_waitcnt lgkmcnt(12)
	s_nop 3
	global_store_short v30, v36, s[4:5] offset:3584
	s_or_b64 exec, exec, s[2:3]
	v_cmp_ge_u32_e32 vcc, v34, v16
	s_and_saveexec_b64 s[2:3], vcc
	s_cbranch_execz .LBB3429_143
.LBB3429_208:
	v_lshlrev_b32_e32 v10, 1, v34
	v_readfirstlane_b32 s4, v4
	v_readfirstlane_b32 s5, v1
	s_waitcnt lgkmcnt(11)
	s_nop 3
	global_store_short v10, v35, s[4:5]
	s_or_b64 exec, exec, s[2:3]
	v_cmp_ge_u32_e32 vcc, v32, v16
	s_and_saveexec_b64 s[2:3], vcc
	s_cbranch_execz .LBB3429_144
.LBB3429_209:
	v_lshlrev_b32_e32 v10, 1, v32
	v_readfirstlane_b32 s4, v4
	v_readfirstlane_b32 s5, v1
	s_waitcnt lgkmcnt(10)
	s_nop 3
	global_store_short v10, v33, s[4:5]
	s_or_b64 exec, exec, s[2:3]
	v_cmp_ge_u32_e32 vcc, v29, v16
	s_and_saveexec_b64 s[2:3], vcc
	s_cbranch_execz .LBB3429_145
.LBB3429_210:
	v_lshlrev_b32_e32 v10, 1, v29
	v_readfirstlane_b32 s4, v4
	v_readfirstlane_b32 s5, v1
	s_waitcnt lgkmcnt(9)
	s_nop 3
	global_store_short v10, v31, s[4:5]
	s_or_b64 exec, exec, s[2:3]
	v_cmp_ge_u32_e32 vcc, v27, v16
	s_and_saveexec_b64 s[2:3], vcc
	s_cbranch_execz .LBB3429_146
.LBB3429_211:
	v_lshlrev_b32_e32 v10, 1, v27
	v_readfirstlane_b32 s4, v4
	v_readfirstlane_b32 s5, v1
	s_waitcnt lgkmcnt(8)
	s_nop 3
	global_store_short v10, v28, s[4:5]
	s_or_b64 exec, exec, s[2:3]
	v_cmp_ge_u32_e32 vcc, v25, v16
	s_and_saveexec_b64 s[2:3], vcc
	s_cbranch_execz .LBB3429_147
.LBB3429_212:
	v_lshlrev_b32_e32 v10, 1, v25
	v_readfirstlane_b32 s4, v4
	v_readfirstlane_b32 s5, v1
	s_waitcnt lgkmcnt(7)
	s_nop 3
	global_store_short v10, v26, s[4:5]
	s_or_b64 exec, exec, s[2:3]
	v_cmp_ge_u32_e32 vcc, v23, v16
	s_and_saveexec_b64 s[2:3], vcc
	s_cbranch_execz .LBB3429_148
.LBB3429_213:
	v_lshlrev_b32_e32 v10, 1, v23
	v_readfirstlane_b32 s4, v4
	v_readfirstlane_b32 s5, v1
	s_waitcnt lgkmcnt(6)
	s_nop 3
	global_store_short v10, v24, s[4:5]
	s_or_b64 exec, exec, s[2:3]
	v_cmp_ge_u32_e32 vcc, v21, v16
	s_and_saveexec_b64 s[2:3], vcc
	s_cbranch_execz .LBB3429_149
.LBB3429_214:
	v_lshlrev_b32_e32 v10, 1, v21
	v_readfirstlane_b32 s4, v4
	v_readfirstlane_b32 s5, v1
	s_waitcnt lgkmcnt(5)
	s_nop 3
	global_store_short v10, v22, s[4:5]
	s_or_b64 exec, exec, s[2:3]
	v_cmp_ge_u32_e32 vcc, v19, v16
	s_and_saveexec_b64 s[2:3], vcc
	s_cbranch_execz .LBB3429_150
.LBB3429_215:
	v_lshlrev_b32_e32 v10, 1, v19
	v_readfirstlane_b32 s4, v4
	v_readfirstlane_b32 s5, v1
	s_waitcnt lgkmcnt(4)
	s_nop 3
	global_store_short v10, v20, s[4:5]
	s_or_b64 exec, exec, s[2:3]
	v_cmp_ge_u32_e32 vcc, v15, v16
	s_and_saveexec_b64 s[2:3], vcc
	s_cbranch_execz .LBB3429_151
.LBB3429_216:
	v_lshlrev_b32_e32 v10, 1, v15
	v_readfirstlane_b32 s4, v4
	v_readfirstlane_b32 s5, v1
	s_waitcnt lgkmcnt(3)
	s_nop 3
	global_store_short v10, v18, s[4:5]
	s_or_b64 exec, exec, s[2:3]
	v_cmp_ge_u32_e32 vcc, v9, v16
	s_and_saveexec_b64 s[2:3], vcc
	s_cbranch_execz .LBB3429_152
.LBB3429_217:
	v_lshlrev_b32_e32 v10, 1, v9
	v_readfirstlane_b32 s4, v4
	v_readfirstlane_b32 s5, v1
	s_waitcnt lgkmcnt(2)
	s_nop 3
	global_store_short v10, v14, s[4:5]
	s_or_b64 exec, exec, s[2:3]
	v_cmp_ge_u32_e32 vcc, v8, v16
	s_and_saveexec_b64 s[2:3], vcc
	s_cbranch_execnz .LBB3429_153
	s_branch .LBB3429_154
	.section	.rodata,"a",@progbits
	.p2align	6, 0x0
	.amdhsa_kernel _ZN7rocprim17ROCPRIM_400000_NS6detail17trampoline_kernelINS0_14default_configENS1_25partition_config_selectorILNS1_17partition_subalgoE1EsNS0_10empty_typeEbEEZZNS1_14partition_implILS5_1ELb0ES3_jN6thrust23THRUST_200600_302600_NS6detail15normal_iteratorINSA_10device_ptrIsEEEEPS6_NSA_18transform_iteratorI7is_evenIsESF_NSA_11use_defaultESK_EENS0_5tupleIJNSA_16discard_iteratorISK_EESF_EEENSM_IJSG_SG_EEES6_PlJS6_EEE10hipError_tPvRmT3_T4_T5_T6_T7_T9_mT8_P12ihipStream_tbDpT10_ENKUlT_T0_E_clISt17integral_constantIbLb1EES1B_EEDaS16_S17_EUlS16_E_NS1_11comp_targetILNS1_3genE4ELNS1_11target_archE910ELNS1_3gpuE8ELNS1_3repE0EEENS1_30default_config_static_selectorELNS0_4arch9wavefront6targetE1EEEvT1_
		.amdhsa_group_segment_fixed_size 10248
		.amdhsa_private_segment_fixed_size 0
		.amdhsa_kernarg_size 152
		.amdhsa_user_sgpr_count 6
		.amdhsa_user_sgpr_private_segment_buffer 1
		.amdhsa_user_sgpr_dispatch_ptr 0
		.amdhsa_user_sgpr_queue_ptr 0
		.amdhsa_user_sgpr_kernarg_segment_ptr 1
		.amdhsa_user_sgpr_dispatch_id 0
		.amdhsa_user_sgpr_flat_scratch_init 0
		.amdhsa_user_sgpr_kernarg_preload_length 0
		.amdhsa_user_sgpr_kernarg_preload_offset 0
		.amdhsa_user_sgpr_private_segment_size 0
		.amdhsa_uses_dynamic_stack 0
		.amdhsa_system_sgpr_private_segment_wavefront_offset 0
		.amdhsa_system_sgpr_workgroup_id_x 1
		.amdhsa_system_sgpr_workgroup_id_y 0
		.amdhsa_system_sgpr_workgroup_id_z 0
		.amdhsa_system_sgpr_workgroup_info 0
		.amdhsa_system_vgpr_workitem_id 0
		.amdhsa_next_free_vgpr 69
		.amdhsa_next_free_sgpr 42
		.amdhsa_accum_offset 72
		.amdhsa_reserve_vcc 1
		.amdhsa_reserve_flat_scratch 0
		.amdhsa_float_round_mode_32 0
		.amdhsa_float_round_mode_16_64 0
		.amdhsa_float_denorm_mode_32 3
		.amdhsa_float_denorm_mode_16_64 3
		.amdhsa_dx10_clamp 1
		.amdhsa_ieee_mode 1
		.amdhsa_fp16_overflow 0
		.amdhsa_tg_split 0
		.amdhsa_exception_fp_ieee_invalid_op 0
		.amdhsa_exception_fp_denorm_src 0
		.amdhsa_exception_fp_ieee_div_zero 0
		.amdhsa_exception_fp_ieee_overflow 0
		.amdhsa_exception_fp_ieee_underflow 0
		.amdhsa_exception_fp_ieee_inexact 0
		.amdhsa_exception_int_div_zero 0
	.end_amdhsa_kernel
	.section	.text._ZN7rocprim17ROCPRIM_400000_NS6detail17trampoline_kernelINS0_14default_configENS1_25partition_config_selectorILNS1_17partition_subalgoE1EsNS0_10empty_typeEbEEZZNS1_14partition_implILS5_1ELb0ES3_jN6thrust23THRUST_200600_302600_NS6detail15normal_iteratorINSA_10device_ptrIsEEEEPS6_NSA_18transform_iteratorI7is_evenIsESF_NSA_11use_defaultESK_EENS0_5tupleIJNSA_16discard_iteratorISK_EESF_EEENSM_IJSG_SG_EEES6_PlJS6_EEE10hipError_tPvRmT3_T4_T5_T6_T7_T9_mT8_P12ihipStream_tbDpT10_ENKUlT_T0_E_clISt17integral_constantIbLb1EES1B_EEDaS16_S17_EUlS16_E_NS1_11comp_targetILNS1_3genE4ELNS1_11target_archE910ELNS1_3gpuE8ELNS1_3repE0EEENS1_30default_config_static_selectorELNS0_4arch9wavefront6targetE1EEEvT1_,"axG",@progbits,_ZN7rocprim17ROCPRIM_400000_NS6detail17trampoline_kernelINS0_14default_configENS1_25partition_config_selectorILNS1_17partition_subalgoE1EsNS0_10empty_typeEbEEZZNS1_14partition_implILS5_1ELb0ES3_jN6thrust23THRUST_200600_302600_NS6detail15normal_iteratorINSA_10device_ptrIsEEEEPS6_NSA_18transform_iteratorI7is_evenIsESF_NSA_11use_defaultESK_EENS0_5tupleIJNSA_16discard_iteratorISK_EESF_EEENSM_IJSG_SG_EEES6_PlJS6_EEE10hipError_tPvRmT3_T4_T5_T6_T7_T9_mT8_P12ihipStream_tbDpT10_ENKUlT_T0_E_clISt17integral_constantIbLb1EES1B_EEDaS16_S17_EUlS16_E_NS1_11comp_targetILNS1_3genE4ELNS1_11target_archE910ELNS1_3gpuE8ELNS1_3repE0EEENS1_30default_config_static_selectorELNS0_4arch9wavefront6targetE1EEEvT1_,comdat
.Lfunc_end3429:
	.size	_ZN7rocprim17ROCPRIM_400000_NS6detail17trampoline_kernelINS0_14default_configENS1_25partition_config_selectorILNS1_17partition_subalgoE1EsNS0_10empty_typeEbEEZZNS1_14partition_implILS5_1ELb0ES3_jN6thrust23THRUST_200600_302600_NS6detail15normal_iteratorINSA_10device_ptrIsEEEEPS6_NSA_18transform_iteratorI7is_evenIsESF_NSA_11use_defaultESK_EENS0_5tupleIJNSA_16discard_iteratorISK_EESF_EEENSM_IJSG_SG_EEES6_PlJS6_EEE10hipError_tPvRmT3_T4_T5_T6_T7_T9_mT8_P12ihipStream_tbDpT10_ENKUlT_T0_E_clISt17integral_constantIbLb1EES1B_EEDaS16_S17_EUlS16_E_NS1_11comp_targetILNS1_3genE4ELNS1_11target_archE910ELNS1_3gpuE8ELNS1_3repE0EEENS1_30default_config_static_selectorELNS0_4arch9wavefront6targetE1EEEvT1_, .Lfunc_end3429-_ZN7rocprim17ROCPRIM_400000_NS6detail17trampoline_kernelINS0_14default_configENS1_25partition_config_selectorILNS1_17partition_subalgoE1EsNS0_10empty_typeEbEEZZNS1_14partition_implILS5_1ELb0ES3_jN6thrust23THRUST_200600_302600_NS6detail15normal_iteratorINSA_10device_ptrIsEEEEPS6_NSA_18transform_iteratorI7is_evenIsESF_NSA_11use_defaultESK_EENS0_5tupleIJNSA_16discard_iteratorISK_EESF_EEENSM_IJSG_SG_EEES6_PlJS6_EEE10hipError_tPvRmT3_T4_T5_T6_T7_T9_mT8_P12ihipStream_tbDpT10_ENKUlT_T0_E_clISt17integral_constantIbLb1EES1B_EEDaS16_S17_EUlS16_E_NS1_11comp_targetILNS1_3genE4ELNS1_11target_archE910ELNS1_3gpuE8ELNS1_3repE0EEENS1_30default_config_static_selectorELNS0_4arch9wavefront6targetE1EEEvT1_
                                        ; -- End function
	.section	.AMDGPU.csdata,"",@progbits
; Kernel info:
; codeLenInByte = 9540
; NumSgprs: 46
; NumVgprs: 69
; NumAgprs: 0
; TotalNumVgprs: 69
; ScratchSize: 0
; MemoryBound: 0
; FloatMode: 240
; IeeeMode: 1
; LDSByteSize: 10248 bytes/workgroup (compile time only)
; SGPRBlocks: 5
; VGPRBlocks: 8
; NumSGPRsForWavesPerEU: 46
; NumVGPRsForWavesPerEU: 69
; AccumOffset: 72
; Occupancy: 6
; WaveLimiterHint : 1
; COMPUTE_PGM_RSRC2:SCRATCH_EN: 0
; COMPUTE_PGM_RSRC2:USER_SGPR: 6
; COMPUTE_PGM_RSRC2:TRAP_HANDLER: 0
; COMPUTE_PGM_RSRC2:TGID_X_EN: 1
; COMPUTE_PGM_RSRC2:TGID_Y_EN: 0
; COMPUTE_PGM_RSRC2:TGID_Z_EN: 0
; COMPUTE_PGM_RSRC2:TIDIG_COMP_CNT: 0
; COMPUTE_PGM_RSRC3_GFX90A:ACCUM_OFFSET: 17
; COMPUTE_PGM_RSRC3_GFX90A:TG_SPLIT: 0
	.section	.text._ZN7rocprim17ROCPRIM_400000_NS6detail17trampoline_kernelINS0_14default_configENS1_25partition_config_selectorILNS1_17partition_subalgoE1EsNS0_10empty_typeEbEEZZNS1_14partition_implILS5_1ELb0ES3_jN6thrust23THRUST_200600_302600_NS6detail15normal_iteratorINSA_10device_ptrIsEEEEPS6_NSA_18transform_iteratorI7is_evenIsESF_NSA_11use_defaultESK_EENS0_5tupleIJNSA_16discard_iteratorISK_EESF_EEENSM_IJSG_SG_EEES6_PlJS6_EEE10hipError_tPvRmT3_T4_T5_T6_T7_T9_mT8_P12ihipStream_tbDpT10_ENKUlT_T0_E_clISt17integral_constantIbLb1EES1B_EEDaS16_S17_EUlS16_E_NS1_11comp_targetILNS1_3genE3ELNS1_11target_archE908ELNS1_3gpuE7ELNS1_3repE0EEENS1_30default_config_static_selectorELNS0_4arch9wavefront6targetE1EEEvT1_,"axG",@progbits,_ZN7rocprim17ROCPRIM_400000_NS6detail17trampoline_kernelINS0_14default_configENS1_25partition_config_selectorILNS1_17partition_subalgoE1EsNS0_10empty_typeEbEEZZNS1_14partition_implILS5_1ELb0ES3_jN6thrust23THRUST_200600_302600_NS6detail15normal_iteratorINSA_10device_ptrIsEEEEPS6_NSA_18transform_iteratorI7is_evenIsESF_NSA_11use_defaultESK_EENS0_5tupleIJNSA_16discard_iteratorISK_EESF_EEENSM_IJSG_SG_EEES6_PlJS6_EEE10hipError_tPvRmT3_T4_T5_T6_T7_T9_mT8_P12ihipStream_tbDpT10_ENKUlT_T0_E_clISt17integral_constantIbLb1EES1B_EEDaS16_S17_EUlS16_E_NS1_11comp_targetILNS1_3genE3ELNS1_11target_archE908ELNS1_3gpuE7ELNS1_3repE0EEENS1_30default_config_static_selectorELNS0_4arch9wavefront6targetE1EEEvT1_,comdat
	.protected	_ZN7rocprim17ROCPRIM_400000_NS6detail17trampoline_kernelINS0_14default_configENS1_25partition_config_selectorILNS1_17partition_subalgoE1EsNS0_10empty_typeEbEEZZNS1_14partition_implILS5_1ELb0ES3_jN6thrust23THRUST_200600_302600_NS6detail15normal_iteratorINSA_10device_ptrIsEEEEPS6_NSA_18transform_iteratorI7is_evenIsESF_NSA_11use_defaultESK_EENS0_5tupleIJNSA_16discard_iteratorISK_EESF_EEENSM_IJSG_SG_EEES6_PlJS6_EEE10hipError_tPvRmT3_T4_T5_T6_T7_T9_mT8_P12ihipStream_tbDpT10_ENKUlT_T0_E_clISt17integral_constantIbLb1EES1B_EEDaS16_S17_EUlS16_E_NS1_11comp_targetILNS1_3genE3ELNS1_11target_archE908ELNS1_3gpuE7ELNS1_3repE0EEENS1_30default_config_static_selectorELNS0_4arch9wavefront6targetE1EEEvT1_ ; -- Begin function _ZN7rocprim17ROCPRIM_400000_NS6detail17trampoline_kernelINS0_14default_configENS1_25partition_config_selectorILNS1_17partition_subalgoE1EsNS0_10empty_typeEbEEZZNS1_14partition_implILS5_1ELb0ES3_jN6thrust23THRUST_200600_302600_NS6detail15normal_iteratorINSA_10device_ptrIsEEEEPS6_NSA_18transform_iteratorI7is_evenIsESF_NSA_11use_defaultESK_EENS0_5tupleIJNSA_16discard_iteratorISK_EESF_EEENSM_IJSG_SG_EEES6_PlJS6_EEE10hipError_tPvRmT3_T4_T5_T6_T7_T9_mT8_P12ihipStream_tbDpT10_ENKUlT_T0_E_clISt17integral_constantIbLb1EES1B_EEDaS16_S17_EUlS16_E_NS1_11comp_targetILNS1_3genE3ELNS1_11target_archE908ELNS1_3gpuE7ELNS1_3repE0EEENS1_30default_config_static_selectorELNS0_4arch9wavefront6targetE1EEEvT1_
	.globl	_ZN7rocprim17ROCPRIM_400000_NS6detail17trampoline_kernelINS0_14default_configENS1_25partition_config_selectorILNS1_17partition_subalgoE1EsNS0_10empty_typeEbEEZZNS1_14partition_implILS5_1ELb0ES3_jN6thrust23THRUST_200600_302600_NS6detail15normal_iteratorINSA_10device_ptrIsEEEEPS6_NSA_18transform_iteratorI7is_evenIsESF_NSA_11use_defaultESK_EENS0_5tupleIJNSA_16discard_iteratorISK_EESF_EEENSM_IJSG_SG_EEES6_PlJS6_EEE10hipError_tPvRmT3_T4_T5_T6_T7_T9_mT8_P12ihipStream_tbDpT10_ENKUlT_T0_E_clISt17integral_constantIbLb1EES1B_EEDaS16_S17_EUlS16_E_NS1_11comp_targetILNS1_3genE3ELNS1_11target_archE908ELNS1_3gpuE7ELNS1_3repE0EEENS1_30default_config_static_selectorELNS0_4arch9wavefront6targetE1EEEvT1_
	.p2align	8
	.type	_ZN7rocprim17ROCPRIM_400000_NS6detail17trampoline_kernelINS0_14default_configENS1_25partition_config_selectorILNS1_17partition_subalgoE1EsNS0_10empty_typeEbEEZZNS1_14partition_implILS5_1ELb0ES3_jN6thrust23THRUST_200600_302600_NS6detail15normal_iteratorINSA_10device_ptrIsEEEEPS6_NSA_18transform_iteratorI7is_evenIsESF_NSA_11use_defaultESK_EENS0_5tupleIJNSA_16discard_iteratorISK_EESF_EEENSM_IJSG_SG_EEES6_PlJS6_EEE10hipError_tPvRmT3_T4_T5_T6_T7_T9_mT8_P12ihipStream_tbDpT10_ENKUlT_T0_E_clISt17integral_constantIbLb1EES1B_EEDaS16_S17_EUlS16_E_NS1_11comp_targetILNS1_3genE3ELNS1_11target_archE908ELNS1_3gpuE7ELNS1_3repE0EEENS1_30default_config_static_selectorELNS0_4arch9wavefront6targetE1EEEvT1_,@function
_ZN7rocprim17ROCPRIM_400000_NS6detail17trampoline_kernelINS0_14default_configENS1_25partition_config_selectorILNS1_17partition_subalgoE1EsNS0_10empty_typeEbEEZZNS1_14partition_implILS5_1ELb0ES3_jN6thrust23THRUST_200600_302600_NS6detail15normal_iteratorINSA_10device_ptrIsEEEEPS6_NSA_18transform_iteratorI7is_evenIsESF_NSA_11use_defaultESK_EENS0_5tupleIJNSA_16discard_iteratorISK_EESF_EEENSM_IJSG_SG_EEES6_PlJS6_EEE10hipError_tPvRmT3_T4_T5_T6_T7_T9_mT8_P12ihipStream_tbDpT10_ENKUlT_T0_E_clISt17integral_constantIbLb1EES1B_EEDaS16_S17_EUlS16_E_NS1_11comp_targetILNS1_3genE3ELNS1_11target_archE908ELNS1_3gpuE7ELNS1_3repE0EEENS1_30default_config_static_selectorELNS0_4arch9wavefront6targetE1EEEvT1_: ; @_ZN7rocprim17ROCPRIM_400000_NS6detail17trampoline_kernelINS0_14default_configENS1_25partition_config_selectorILNS1_17partition_subalgoE1EsNS0_10empty_typeEbEEZZNS1_14partition_implILS5_1ELb0ES3_jN6thrust23THRUST_200600_302600_NS6detail15normal_iteratorINSA_10device_ptrIsEEEEPS6_NSA_18transform_iteratorI7is_evenIsESF_NSA_11use_defaultESK_EENS0_5tupleIJNSA_16discard_iteratorISK_EESF_EEENSM_IJSG_SG_EEES6_PlJS6_EEE10hipError_tPvRmT3_T4_T5_T6_T7_T9_mT8_P12ihipStream_tbDpT10_ENKUlT_T0_E_clISt17integral_constantIbLb1EES1B_EEDaS16_S17_EUlS16_E_NS1_11comp_targetILNS1_3genE3ELNS1_11target_archE908ELNS1_3gpuE7ELNS1_3repE0EEENS1_30default_config_static_selectorELNS0_4arch9wavefront6targetE1EEEvT1_
; %bb.0:
	.section	.rodata,"a",@progbits
	.p2align	6, 0x0
	.amdhsa_kernel _ZN7rocprim17ROCPRIM_400000_NS6detail17trampoline_kernelINS0_14default_configENS1_25partition_config_selectorILNS1_17partition_subalgoE1EsNS0_10empty_typeEbEEZZNS1_14partition_implILS5_1ELb0ES3_jN6thrust23THRUST_200600_302600_NS6detail15normal_iteratorINSA_10device_ptrIsEEEEPS6_NSA_18transform_iteratorI7is_evenIsESF_NSA_11use_defaultESK_EENS0_5tupleIJNSA_16discard_iteratorISK_EESF_EEENSM_IJSG_SG_EEES6_PlJS6_EEE10hipError_tPvRmT3_T4_T5_T6_T7_T9_mT8_P12ihipStream_tbDpT10_ENKUlT_T0_E_clISt17integral_constantIbLb1EES1B_EEDaS16_S17_EUlS16_E_NS1_11comp_targetILNS1_3genE3ELNS1_11target_archE908ELNS1_3gpuE7ELNS1_3repE0EEENS1_30default_config_static_selectorELNS0_4arch9wavefront6targetE1EEEvT1_
		.amdhsa_group_segment_fixed_size 0
		.amdhsa_private_segment_fixed_size 0
		.amdhsa_kernarg_size 152
		.amdhsa_user_sgpr_count 6
		.amdhsa_user_sgpr_private_segment_buffer 1
		.amdhsa_user_sgpr_dispatch_ptr 0
		.amdhsa_user_sgpr_queue_ptr 0
		.amdhsa_user_sgpr_kernarg_segment_ptr 1
		.amdhsa_user_sgpr_dispatch_id 0
		.amdhsa_user_sgpr_flat_scratch_init 0
		.amdhsa_user_sgpr_kernarg_preload_length 0
		.amdhsa_user_sgpr_kernarg_preload_offset 0
		.amdhsa_user_sgpr_private_segment_size 0
		.amdhsa_uses_dynamic_stack 0
		.amdhsa_system_sgpr_private_segment_wavefront_offset 0
		.amdhsa_system_sgpr_workgroup_id_x 1
		.amdhsa_system_sgpr_workgroup_id_y 0
		.amdhsa_system_sgpr_workgroup_id_z 0
		.amdhsa_system_sgpr_workgroup_info 0
		.amdhsa_system_vgpr_workitem_id 0
		.amdhsa_next_free_vgpr 1
		.amdhsa_next_free_sgpr 0
		.amdhsa_accum_offset 4
		.amdhsa_reserve_vcc 0
		.amdhsa_reserve_flat_scratch 0
		.amdhsa_float_round_mode_32 0
		.amdhsa_float_round_mode_16_64 0
		.amdhsa_float_denorm_mode_32 3
		.amdhsa_float_denorm_mode_16_64 3
		.amdhsa_dx10_clamp 1
		.amdhsa_ieee_mode 1
		.amdhsa_fp16_overflow 0
		.amdhsa_tg_split 0
		.amdhsa_exception_fp_ieee_invalid_op 0
		.amdhsa_exception_fp_denorm_src 0
		.amdhsa_exception_fp_ieee_div_zero 0
		.amdhsa_exception_fp_ieee_overflow 0
		.amdhsa_exception_fp_ieee_underflow 0
		.amdhsa_exception_fp_ieee_inexact 0
		.amdhsa_exception_int_div_zero 0
	.end_amdhsa_kernel
	.section	.text._ZN7rocprim17ROCPRIM_400000_NS6detail17trampoline_kernelINS0_14default_configENS1_25partition_config_selectorILNS1_17partition_subalgoE1EsNS0_10empty_typeEbEEZZNS1_14partition_implILS5_1ELb0ES3_jN6thrust23THRUST_200600_302600_NS6detail15normal_iteratorINSA_10device_ptrIsEEEEPS6_NSA_18transform_iteratorI7is_evenIsESF_NSA_11use_defaultESK_EENS0_5tupleIJNSA_16discard_iteratorISK_EESF_EEENSM_IJSG_SG_EEES6_PlJS6_EEE10hipError_tPvRmT3_T4_T5_T6_T7_T9_mT8_P12ihipStream_tbDpT10_ENKUlT_T0_E_clISt17integral_constantIbLb1EES1B_EEDaS16_S17_EUlS16_E_NS1_11comp_targetILNS1_3genE3ELNS1_11target_archE908ELNS1_3gpuE7ELNS1_3repE0EEENS1_30default_config_static_selectorELNS0_4arch9wavefront6targetE1EEEvT1_,"axG",@progbits,_ZN7rocprim17ROCPRIM_400000_NS6detail17trampoline_kernelINS0_14default_configENS1_25partition_config_selectorILNS1_17partition_subalgoE1EsNS0_10empty_typeEbEEZZNS1_14partition_implILS5_1ELb0ES3_jN6thrust23THRUST_200600_302600_NS6detail15normal_iteratorINSA_10device_ptrIsEEEEPS6_NSA_18transform_iteratorI7is_evenIsESF_NSA_11use_defaultESK_EENS0_5tupleIJNSA_16discard_iteratorISK_EESF_EEENSM_IJSG_SG_EEES6_PlJS6_EEE10hipError_tPvRmT3_T4_T5_T6_T7_T9_mT8_P12ihipStream_tbDpT10_ENKUlT_T0_E_clISt17integral_constantIbLb1EES1B_EEDaS16_S17_EUlS16_E_NS1_11comp_targetILNS1_3genE3ELNS1_11target_archE908ELNS1_3gpuE7ELNS1_3repE0EEENS1_30default_config_static_selectorELNS0_4arch9wavefront6targetE1EEEvT1_,comdat
.Lfunc_end3430:
	.size	_ZN7rocprim17ROCPRIM_400000_NS6detail17trampoline_kernelINS0_14default_configENS1_25partition_config_selectorILNS1_17partition_subalgoE1EsNS0_10empty_typeEbEEZZNS1_14partition_implILS5_1ELb0ES3_jN6thrust23THRUST_200600_302600_NS6detail15normal_iteratorINSA_10device_ptrIsEEEEPS6_NSA_18transform_iteratorI7is_evenIsESF_NSA_11use_defaultESK_EENS0_5tupleIJNSA_16discard_iteratorISK_EESF_EEENSM_IJSG_SG_EEES6_PlJS6_EEE10hipError_tPvRmT3_T4_T5_T6_T7_T9_mT8_P12ihipStream_tbDpT10_ENKUlT_T0_E_clISt17integral_constantIbLb1EES1B_EEDaS16_S17_EUlS16_E_NS1_11comp_targetILNS1_3genE3ELNS1_11target_archE908ELNS1_3gpuE7ELNS1_3repE0EEENS1_30default_config_static_selectorELNS0_4arch9wavefront6targetE1EEEvT1_, .Lfunc_end3430-_ZN7rocprim17ROCPRIM_400000_NS6detail17trampoline_kernelINS0_14default_configENS1_25partition_config_selectorILNS1_17partition_subalgoE1EsNS0_10empty_typeEbEEZZNS1_14partition_implILS5_1ELb0ES3_jN6thrust23THRUST_200600_302600_NS6detail15normal_iteratorINSA_10device_ptrIsEEEEPS6_NSA_18transform_iteratorI7is_evenIsESF_NSA_11use_defaultESK_EENS0_5tupleIJNSA_16discard_iteratorISK_EESF_EEENSM_IJSG_SG_EEES6_PlJS6_EEE10hipError_tPvRmT3_T4_T5_T6_T7_T9_mT8_P12ihipStream_tbDpT10_ENKUlT_T0_E_clISt17integral_constantIbLb1EES1B_EEDaS16_S17_EUlS16_E_NS1_11comp_targetILNS1_3genE3ELNS1_11target_archE908ELNS1_3gpuE7ELNS1_3repE0EEENS1_30default_config_static_selectorELNS0_4arch9wavefront6targetE1EEEvT1_
                                        ; -- End function
	.section	.AMDGPU.csdata,"",@progbits
; Kernel info:
; codeLenInByte = 0
; NumSgprs: 4
; NumVgprs: 0
; NumAgprs: 0
; TotalNumVgprs: 0
; ScratchSize: 0
; MemoryBound: 0
; FloatMode: 240
; IeeeMode: 1
; LDSByteSize: 0 bytes/workgroup (compile time only)
; SGPRBlocks: 0
; VGPRBlocks: 0
; NumSGPRsForWavesPerEU: 4
; NumVGPRsForWavesPerEU: 1
; AccumOffset: 4
; Occupancy: 8
; WaveLimiterHint : 0
; COMPUTE_PGM_RSRC2:SCRATCH_EN: 0
; COMPUTE_PGM_RSRC2:USER_SGPR: 6
; COMPUTE_PGM_RSRC2:TRAP_HANDLER: 0
; COMPUTE_PGM_RSRC2:TGID_X_EN: 1
; COMPUTE_PGM_RSRC2:TGID_Y_EN: 0
; COMPUTE_PGM_RSRC2:TGID_Z_EN: 0
; COMPUTE_PGM_RSRC2:TIDIG_COMP_CNT: 0
; COMPUTE_PGM_RSRC3_GFX90A:ACCUM_OFFSET: 0
; COMPUTE_PGM_RSRC3_GFX90A:TG_SPLIT: 0
	.section	.text._ZN7rocprim17ROCPRIM_400000_NS6detail17trampoline_kernelINS0_14default_configENS1_25partition_config_selectorILNS1_17partition_subalgoE1EsNS0_10empty_typeEbEEZZNS1_14partition_implILS5_1ELb0ES3_jN6thrust23THRUST_200600_302600_NS6detail15normal_iteratorINSA_10device_ptrIsEEEEPS6_NSA_18transform_iteratorI7is_evenIsESF_NSA_11use_defaultESK_EENS0_5tupleIJNSA_16discard_iteratorISK_EESF_EEENSM_IJSG_SG_EEES6_PlJS6_EEE10hipError_tPvRmT3_T4_T5_T6_T7_T9_mT8_P12ihipStream_tbDpT10_ENKUlT_T0_E_clISt17integral_constantIbLb1EES1B_EEDaS16_S17_EUlS16_E_NS1_11comp_targetILNS1_3genE2ELNS1_11target_archE906ELNS1_3gpuE6ELNS1_3repE0EEENS1_30default_config_static_selectorELNS0_4arch9wavefront6targetE1EEEvT1_,"axG",@progbits,_ZN7rocprim17ROCPRIM_400000_NS6detail17trampoline_kernelINS0_14default_configENS1_25partition_config_selectorILNS1_17partition_subalgoE1EsNS0_10empty_typeEbEEZZNS1_14partition_implILS5_1ELb0ES3_jN6thrust23THRUST_200600_302600_NS6detail15normal_iteratorINSA_10device_ptrIsEEEEPS6_NSA_18transform_iteratorI7is_evenIsESF_NSA_11use_defaultESK_EENS0_5tupleIJNSA_16discard_iteratorISK_EESF_EEENSM_IJSG_SG_EEES6_PlJS6_EEE10hipError_tPvRmT3_T4_T5_T6_T7_T9_mT8_P12ihipStream_tbDpT10_ENKUlT_T0_E_clISt17integral_constantIbLb1EES1B_EEDaS16_S17_EUlS16_E_NS1_11comp_targetILNS1_3genE2ELNS1_11target_archE906ELNS1_3gpuE6ELNS1_3repE0EEENS1_30default_config_static_selectorELNS0_4arch9wavefront6targetE1EEEvT1_,comdat
	.protected	_ZN7rocprim17ROCPRIM_400000_NS6detail17trampoline_kernelINS0_14default_configENS1_25partition_config_selectorILNS1_17partition_subalgoE1EsNS0_10empty_typeEbEEZZNS1_14partition_implILS5_1ELb0ES3_jN6thrust23THRUST_200600_302600_NS6detail15normal_iteratorINSA_10device_ptrIsEEEEPS6_NSA_18transform_iteratorI7is_evenIsESF_NSA_11use_defaultESK_EENS0_5tupleIJNSA_16discard_iteratorISK_EESF_EEENSM_IJSG_SG_EEES6_PlJS6_EEE10hipError_tPvRmT3_T4_T5_T6_T7_T9_mT8_P12ihipStream_tbDpT10_ENKUlT_T0_E_clISt17integral_constantIbLb1EES1B_EEDaS16_S17_EUlS16_E_NS1_11comp_targetILNS1_3genE2ELNS1_11target_archE906ELNS1_3gpuE6ELNS1_3repE0EEENS1_30default_config_static_selectorELNS0_4arch9wavefront6targetE1EEEvT1_ ; -- Begin function _ZN7rocprim17ROCPRIM_400000_NS6detail17trampoline_kernelINS0_14default_configENS1_25partition_config_selectorILNS1_17partition_subalgoE1EsNS0_10empty_typeEbEEZZNS1_14partition_implILS5_1ELb0ES3_jN6thrust23THRUST_200600_302600_NS6detail15normal_iteratorINSA_10device_ptrIsEEEEPS6_NSA_18transform_iteratorI7is_evenIsESF_NSA_11use_defaultESK_EENS0_5tupleIJNSA_16discard_iteratorISK_EESF_EEENSM_IJSG_SG_EEES6_PlJS6_EEE10hipError_tPvRmT3_T4_T5_T6_T7_T9_mT8_P12ihipStream_tbDpT10_ENKUlT_T0_E_clISt17integral_constantIbLb1EES1B_EEDaS16_S17_EUlS16_E_NS1_11comp_targetILNS1_3genE2ELNS1_11target_archE906ELNS1_3gpuE6ELNS1_3repE0EEENS1_30default_config_static_selectorELNS0_4arch9wavefront6targetE1EEEvT1_
	.globl	_ZN7rocprim17ROCPRIM_400000_NS6detail17trampoline_kernelINS0_14default_configENS1_25partition_config_selectorILNS1_17partition_subalgoE1EsNS0_10empty_typeEbEEZZNS1_14partition_implILS5_1ELb0ES3_jN6thrust23THRUST_200600_302600_NS6detail15normal_iteratorINSA_10device_ptrIsEEEEPS6_NSA_18transform_iteratorI7is_evenIsESF_NSA_11use_defaultESK_EENS0_5tupleIJNSA_16discard_iteratorISK_EESF_EEENSM_IJSG_SG_EEES6_PlJS6_EEE10hipError_tPvRmT3_T4_T5_T6_T7_T9_mT8_P12ihipStream_tbDpT10_ENKUlT_T0_E_clISt17integral_constantIbLb1EES1B_EEDaS16_S17_EUlS16_E_NS1_11comp_targetILNS1_3genE2ELNS1_11target_archE906ELNS1_3gpuE6ELNS1_3repE0EEENS1_30default_config_static_selectorELNS0_4arch9wavefront6targetE1EEEvT1_
	.p2align	8
	.type	_ZN7rocprim17ROCPRIM_400000_NS6detail17trampoline_kernelINS0_14default_configENS1_25partition_config_selectorILNS1_17partition_subalgoE1EsNS0_10empty_typeEbEEZZNS1_14partition_implILS5_1ELb0ES3_jN6thrust23THRUST_200600_302600_NS6detail15normal_iteratorINSA_10device_ptrIsEEEEPS6_NSA_18transform_iteratorI7is_evenIsESF_NSA_11use_defaultESK_EENS0_5tupleIJNSA_16discard_iteratorISK_EESF_EEENSM_IJSG_SG_EEES6_PlJS6_EEE10hipError_tPvRmT3_T4_T5_T6_T7_T9_mT8_P12ihipStream_tbDpT10_ENKUlT_T0_E_clISt17integral_constantIbLb1EES1B_EEDaS16_S17_EUlS16_E_NS1_11comp_targetILNS1_3genE2ELNS1_11target_archE906ELNS1_3gpuE6ELNS1_3repE0EEENS1_30default_config_static_selectorELNS0_4arch9wavefront6targetE1EEEvT1_,@function
_ZN7rocprim17ROCPRIM_400000_NS6detail17trampoline_kernelINS0_14default_configENS1_25partition_config_selectorILNS1_17partition_subalgoE1EsNS0_10empty_typeEbEEZZNS1_14partition_implILS5_1ELb0ES3_jN6thrust23THRUST_200600_302600_NS6detail15normal_iteratorINSA_10device_ptrIsEEEEPS6_NSA_18transform_iteratorI7is_evenIsESF_NSA_11use_defaultESK_EENS0_5tupleIJNSA_16discard_iteratorISK_EESF_EEENSM_IJSG_SG_EEES6_PlJS6_EEE10hipError_tPvRmT3_T4_T5_T6_T7_T9_mT8_P12ihipStream_tbDpT10_ENKUlT_T0_E_clISt17integral_constantIbLb1EES1B_EEDaS16_S17_EUlS16_E_NS1_11comp_targetILNS1_3genE2ELNS1_11target_archE906ELNS1_3gpuE6ELNS1_3repE0EEENS1_30default_config_static_selectorELNS0_4arch9wavefront6targetE1EEEvT1_: ; @_ZN7rocprim17ROCPRIM_400000_NS6detail17trampoline_kernelINS0_14default_configENS1_25partition_config_selectorILNS1_17partition_subalgoE1EsNS0_10empty_typeEbEEZZNS1_14partition_implILS5_1ELb0ES3_jN6thrust23THRUST_200600_302600_NS6detail15normal_iteratorINSA_10device_ptrIsEEEEPS6_NSA_18transform_iteratorI7is_evenIsESF_NSA_11use_defaultESK_EENS0_5tupleIJNSA_16discard_iteratorISK_EESF_EEENSM_IJSG_SG_EEES6_PlJS6_EEE10hipError_tPvRmT3_T4_T5_T6_T7_T9_mT8_P12ihipStream_tbDpT10_ENKUlT_T0_E_clISt17integral_constantIbLb1EES1B_EEDaS16_S17_EUlS16_E_NS1_11comp_targetILNS1_3genE2ELNS1_11target_archE906ELNS1_3gpuE6ELNS1_3repE0EEENS1_30default_config_static_selectorELNS0_4arch9wavefront6targetE1EEEvT1_
; %bb.0:
	.section	.rodata,"a",@progbits
	.p2align	6, 0x0
	.amdhsa_kernel _ZN7rocprim17ROCPRIM_400000_NS6detail17trampoline_kernelINS0_14default_configENS1_25partition_config_selectorILNS1_17partition_subalgoE1EsNS0_10empty_typeEbEEZZNS1_14partition_implILS5_1ELb0ES3_jN6thrust23THRUST_200600_302600_NS6detail15normal_iteratorINSA_10device_ptrIsEEEEPS6_NSA_18transform_iteratorI7is_evenIsESF_NSA_11use_defaultESK_EENS0_5tupleIJNSA_16discard_iteratorISK_EESF_EEENSM_IJSG_SG_EEES6_PlJS6_EEE10hipError_tPvRmT3_T4_T5_T6_T7_T9_mT8_P12ihipStream_tbDpT10_ENKUlT_T0_E_clISt17integral_constantIbLb1EES1B_EEDaS16_S17_EUlS16_E_NS1_11comp_targetILNS1_3genE2ELNS1_11target_archE906ELNS1_3gpuE6ELNS1_3repE0EEENS1_30default_config_static_selectorELNS0_4arch9wavefront6targetE1EEEvT1_
		.amdhsa_group_segment_fixed_size 0
		.amdhsa_private_segment_fixed_size 0
		.amdhsa_kernarg_size 152
		.amdhsa_user_sgpr_count 6
		.amdhsa_user_sgpr_private_segment_buffer 1
		.amdhsa_user_sgpr_dispatch_ptr 0
		.amdhsa_user_sgpr_queue_ptr 0
		.amdhsa_user_sgpr_kernarg_segment_ptr 1
		.amdhsa_user_sgpr_dispatch_id 0
		.amdhsa_user_sgpr_flat_scratch_init 0
		.amdhsa_user_sgpr_kernarg_preload_length 0
		.amdhsa_user_sgpr_kernarg_preload_offset 0
		.amdhsa_user_sgpr_private_segment_size 0
		.amdhsa_uses_dynamic_stack 0
		.amdhsa_system_sgpr_private_segment_wavefront_offset 0
		.amdhsa_system_sgpr_workgroup_id_x 1
		.amdhsa_system_sgpr_workgroup_id_y 0
		.amdhsa_system_sgpr_workgroup_id_z 0
		.amdhsa_system_sgpr_workgroup_info 0
		.amdhsa_system_vgpr_workitem_id 0
		.amdhsa_next_free_vgpr 1
		.amdhsa_next_free_sgpr 0
		.amdhsa_accum_offset 4
		.amdhsa_reserve_vcc 0
		.amdhsa_reserve_flat_scratch 0
		.amdhsa_float_round_mode_32 0
		.amdhsa_float_round_mode_16_64 0
		.amdhsa_float_denorm_mode_32 3
		.amdhsa_float_denorm_mode_16_64 3
		.amdhsa_dx10_clamp 1
		.amdhsa_ieee_mode 1
		.amdhsa_fp16_overflow 0
		.amdhsa_tg_split 0
		.amdhsa_exception_fp_ieee_invalid_op 0
		.amdhsa_exception_fp_denorm_src 0
		.amdhsa_exception_fp_ieee_div_zero 0
		.amdhsa_exception_fp_ieee_overflow 0
		.amdhsa_exception_fp_ieee_underflow 0
		.amdhsa_exception_fp_ieee_inexact 0
		.amdhsa_exception_int_div_zero 0
	.end_amdhsa_kernel
	.section	.text._ZN7rocprim17ROCPRIM_400000_NS6detail17trampoline_kernelINS0_14default_configENS1_25partition_config_selectorILNS1_17partition_subalgoE1EsNS0_10empty_typeEbEEZZNS1_14partition_implILS5_1ELb0ES3_jN6thrust23THRUST_200600_302600_NS6detail15normal_iteratorINSA_10device_ptrIsEEEEPS6_NSA_18transform_iteratorI7is_evenIsESF_NSA_11use_defaultESK_EENS0_5tupleIJNSA_16discard_iteratorISK_EESF_EEENSM_IJSG_SG_EEES6_PlJS6_EEE10hipError_tPvRmT3_T4_T5_T6_T7_T9_mT8_P12ihipStream_tbDpT10_ENKUlT_T0_E_clISt17integral_constantIbLb1EES1B_EEDaS16_S17_EUlS16_E_NS1_11comp_targetILNS1_3genE2ELNS1_11target_archE906ELNS1_3gpuE6ELNS1_3repE0EEENS1_30default_config_static_selectorELNS0_4arch9wavefront6targetE1EEEvT1_,"axG",@progbits,_ZN7rocprim17ROCPRIM_400000_NS6detail17trampoline_kernelINS0_14default_configENS1_25partition_config_selectorILNS1_17partition_subalgoE1EsNS0_10empty_typeEbEEZZNS1_14partition_implILS5_1ELb0ES3_jN6thrust23THRUST_200600_302600_NS6detail15normal_iteratorINSA_10device_ptrIsEEEEPS6_NSA_18transform_iteratorI7is_evenIsESF_NSA_11use_defaultESK_EENS0_5tupleIJNSA_16discard_iteratorISK_EESF_EEENSM_IJSG_SG_EEES6_PlJS6_EEE10hipError_tPvRmT3_T4_T5_T6_T7_T9_mT8_P12ihipStream_tbDpT10_ENKUlT_T0_E_clISt17integral_constantIbLb1EES1B_EEDaS16_S17_EUlS16_E_NS1_11comp_targetILNS1_3genE2ELNS1_11target_archE906ELNS1_3gpuE6ELNS1_3repE0EEENS1_30default_config_static_selectorELNS0_4arch9wavefront6targetE1EEEvT1_,comdat
.Lfunc_end3431:
	.size	_ZN7rocprim17ROCPRIM_400000_NS6detail17trampoline_kernelINS0_14default_configENS1_25partition_config_selectorILNS1_17partition_subalgoE1EsNS0_10empty_typeEbEEZZNS1_14partition_implILS5_1ELb0ES3_jN6thrust23THRUST_200600_302600_NS6detail15normal_iteratorINSA_10device_ptrIsEEEEPS6_NSA_18transform_iteratorI7is_evenIsESF_NSA_11use_defaultESK_EENS0_5tupleIJNSA_16discard_iteratorISK_EESF_EEENSM_IJSG_SG_EEES6_PlJS6_EEE10hipError_tPvRmT3_T4_T5_T6_T7_T9_mT8_P12ihipStream_tbDpT10_ENKUlT_T0_E_clISt17integral_constantIbLb1EES1B_EEDaS16_S17_EUlS16_E_NS1_11comp_targetILNS1_3genE2ELNS1_11target_archE906ELNS1_3gpuE6ELNS1_3repE0EEENS1_30default_config_static_selectorELNS0_4arch9wavefront6targetE1EEEvT1_, .Lfunc_end3431-_ZN7rocprim17ROCPRIM_400000_NS6detail17trampoline_kernelINS0_14default_configENS1_25partition_config_selectorILNS1_17partition_subalgoE1EsNS0_10empty_typeEbEEZZNS1_14partition_implILS5_1ELb0ES3_jN6thrust23THRUST_200600_302600_NS6detail15normal_iteratorINSA_10device_ptrIsEEEEPS6_NSA_18transform_iteratorI7is_evenIsESF_NSA_11use_defaultESK_EENS0_5tupleIJNSA_16discard_iteratorISK_EESF_EEENSM_IJSG_SG_EEES6_PlJS6_EEE10hipError_tPvRmT3_T4_T5_T6_T7_T9_mT8_P12ihipStream_tbDpT10_ENKUlT_T0_E_clISt17integral_constantIbLb1EES1B_EEDaS16_S17_EUlS16_E_NS1_11comp_targetILNS1_3genE2ELNS1_11target_archE906ELNS1_3gpuE6ELNS1_3repE0EEENS1_30default_config_static_selectorELNS0_4arch9wavefront6targetE1EEEvT1_
                                        ; -- End function
	.section	.AMDGPU.csdata,"",@progbits
; Kernel info:
; codeLenInByte = 0
; NumSgprs: 4
; NumVgprs: 0
; NumAgprs: 0
; TotalNumVgprs: 0
; ScratchSize: 0
; MemoryBound: 0
; FloatMode: 240
; IeeeMode: 1
; LDSByteSize: 0 bytes/workgroup (compile time only)
; SGPRBlocks: 0
; VGPRBlocks: 0
; NumSGPRsForWavesPerEU: 4
; NumVGPRsForWavesPerEU: 1
; AccumOffset: 4
; Occupancy: 8
; WaveLimiterHint : 0
; COMPUTE_PGM_RSRC2:SCRATCH_EN: 0
; COMPUTE_PGM_RSRC2:USER_SGPR: 6
; COMPUTE_PGM_RSRC2:TRAP_HANDLER: 0
; COMPUTE_PGM_RSRC2:TGID_X_EN: 1
; COMPUTE_PGM_RSRC2:TGID_Y_EN: 0
; COMPUTE_PGM_RSRC2:TGID_Z_EN: 0
; COMPUTE_PGM_RSRC2:TIDIG_COMP_CNT: 0
; COMPUTE_PGM_RSRC3_GFX90A:ACCUM_OFFSET: 0
; COMPUTE_PGM_RSRC3_GFX90A:TG_SPLIT: 0
	.section	.text._ZN7rocprim17ROCPRIM_400000_NS6detail17trampoline_kernelINS0_14default_configENS1_25partition_config_selectorILNS1_17partition_subalgoE1EsNS0_10empty_typeEbEEZZNS1_14partition_implILS5_1ELb0ES3_jN6thrust23THRUST_200600_302600_NS6detail15normal_iteratorINSA_10device_ptrIsEEEEPS6_NSA_18transform_iteratorI7is_evenIsESF_NSA_11use_defaultESK_EENS0_5tupleIJNSA_16discard_iteratorISK_EESF_EEENSM_IJSG_SG_EEES6_PlJS6_EEE10hipError_tPvRmT3_T4_T5_T6_T7_T9_mT8_P12ihipStream_tbDpT10_ENKUlT_T0_E_clISt17integral_constantIbLb1EES1B_EEDaS16_S17_EUlS16_E_NS1_11comp_targetILNS1_3genE10ELNS1_11target_archE1200ELNS1_3gpuE4ELNS1_3repE0EEENS1_30default_config_static_selectorELNS0_4arch9wavefront6targetE1EEEvT1_,"axG",@progbits,_ZN7rocprim17ROCPRIM_400000_NS6detail17trampoline_kernelINS0_14default_configENS1_25partition_config_selectorILNS1_17partition_subalgoE1EsNS0_10empty_typeEbEEZZNS1_14partition_implILS5_1ELb0ES3_jN6thrust23THRUST_200600_302600_NS6detail15normal_iteratorINSA_10device_ptrIsEEEEPS6_NSA_18transform_iteratorI7is_evenIsESF_NSA_11use_defaultESK_EENS0_5tupleIJNSA_16discard_iteratorISK_EESF_EEENSM_IJSG_SG_EEES6_PlJS6_EEE10hipError_tPvRmT3_T4_T5_T6_T7_T9_mT8_P12ihipStream_tbDpT10_ENKUlT_T0_E_clISt17integral_constantIbLb1EES1B_EEDaS16_S17_EUlS16_E_NS1_11comp_targetILNS1_3genE10ELNS1_11target_archE1200ELNS1_3gpuE4ELNS1_3repE0EEENS1_30default_config_static_selectorELNS0_4arch9wavefront6targetE1EEEvT1_,comdat
	.protected	_ZN7rocprim17ROCPRIM_400000_NS6detail17trampoline_kernelINS0_14default_configENS1_25partition_config_selectorILNS1_17partition_subalgoE1EsNS0_10empty_typeEbEEZZNS1_14partition_implILS5_1ELb0ES3_jN6thrust23THRUST_200600_302600_NS6detail15normal_iteratorINSA_10device_ptrIsEEEEPS6_NSA_18transform_iteratorI7is_evenIsESF_NSA_11use_defaultESK_EENS0_5tupleIJNSA_16discard_iteratorISK_EESF_EEENSM_IJSG_SG_EEES6_PlJS6_EEE10hipError_tPvRmT3_T4_T5_T6_T7_T9_mT8_P12ihipStream_tbDpT10_ENKUlT_T0_E_clISt17integral_constantIbLb1EES1B_EEDaS16_S17_EUlS16_E_NS1_11comp_targetILNS1_3genE10ELNS1_11target_archE1200ELNS1_3gpuE4ELNS1_3repE0EEENS1_30default_config_static_selectorELNS0_4arch9wavefront6targetE1EEEvT1_ ; -- Begin function _ZN7rocprim17ROCPRIM_400000_NS6detail17trampoline_kernelINS0_14default_configENS1_25partition_config_selectorILNS1_17partition_subalgoE1EsNS0_10empty_typeEbEEZZNS1_14partition_implILS5_1ELb0ES3_jN6thrust23THRUST_200600_302600_NS6detail15normal_iteratorINSA_10device_ptrIsEEEEPS6_NSA_18transform_iteratorI7is_evenIsESF_NSA_11use_defaultESK_EENS0_5tupleIJNSA_16discard_iteratorISK_EESF_EEENSM_IJSG_SG_EEES6_PlJS6_EEE10hipError_tPvRmT3_T4_T5_T6_T7_T9_mT8_P12ihipStream_tbDpT10_ENKUlT_T0_E_clISt17integral_constantIbLb1EES1B_EEDaS16_S17_EUlS16_E_NS1_11comp_targetILNS1_3genE10ELNS1_11target_archE1200ELNS1_3gpuE4ELNS1_3repE0EEENS1_30default_config_static_selectorELNS0_4arch9wavefront6targetE1EEEvT1_
	.globl	_ZN7rocprim17ROCPRIM_400000_NS6detail17trampoline_kernelINS0_14default_configENS1_25partition_config_selectorILNS1_17partition_subalgoE1EsNS0_10empty_typeEbEEZZNS1_14partition_implILS5_1ELb0ES3_jN6thrust23THRUST_200600_302600_NS6detail15normal_iteratorINSA_10device_ptrIsEEEEPS6_NSA_18transform_iteratorI7is_evenIsESF_NSA_11use_defaultESK_EENS0_5tupleIJNSA_16discard_iteratorISK_EESF_EEENSM_IJSG_SG_EEES6_PlJS6_EEE10hipError_tPvRmT3_T4_T5_T6_T7_T9_mT8_P12ihipStream_tbDpT10_ENKUlT_T0_E_clISt17integral_constantIbLb1EES1B_EEDaS16_S17_EUlS16_E_NS1_11comp_targetILNS1_3genE10ELNS1_11target_archE1200ELNS1_3gpuE4ELNS1_3repE0EEENS1_30default_config_static_selectorELNS0_4arch9wavefront6targetE1EEEvT1_
	.p2align	8
	.type	_ZN7rocprim17ROCPRIM_400000_NS6detail17trampoline_kernelINS0_14default_configENS1_25partition_config_selectorILNS1_17partition_subalgoE1EsNS0_10empty_typeEbEEZZNS1_14partition_implILS5_1ELb0ES3_jN6thrust23THRUST_200600_302600_NS6detail15normal_iteratorINSA_10device_ptrIsEEEEPS6_NSA_18transform_iteratorI7is_evenIsESF_NSA_11use_defaultESK_EENS0_5tupleIJNSA_16discard_iteratorISK_EESF_EEENSM_IJSG_SG_EEES6_PlJS6_EEE10hipError_tPvRmT3_T4_T5_T6_T7_T9_mT8_P12ihipStream_tbDpT10_ENKUlT_T0_E_clISt17integral_constantIbLb1EES1B_EEDaS16_S17_EUlS16_E_NS1_11comp_targetILNS1_3genE10ELNS1_11target_archE1200ELNS1_3gpuE4ELNS1_3repE0EEENS1_30default_config_static_selectorELNS0_4arch9wavefront6targetE1EEEvT1_,@function
_ZN7rocprim17ROCPRIM_400000_NS6detail17trampoline_kernelINS0_14default_configENS1_25partition_config_selectorILNS1_17partition_subalgoE1EsNS0_10empty_typeEbEEZZNS1_14partition_implILS5_1ELb0ES3_jN6thrust23THRUST_200600_302600_NS6detail15normal_iteratorINSA_10device_ptrIsEEEEPS6_NSA_18transform_iteratorI7is_evenIsESF_NSA_11use_defaultESK_EENS0_5tupleIJNSA_16discard_iteratorISK_EESF_EEENSM_IJSG_SG_EEES6_PlJS6_EEE10hipError_tPvRmT3_T4_T5_T6_T7_T9_mT8_P12ihipStream_tbDpT10_ENKUlT_T0_E_clISt17integral_constantIbLb1EES1B_EEDaS16_S17_EUlS16_E_NS1_11comp_targetILNS1_3genE10ELNS1_11target_archE1200ELNS1_3gpuE4ELNS1_3repE0EEENS1_30default_config_static_selectorELNS0_4arch9wavefront6targetE1EEEvT1_: ; @_ZN7rocprim17ROCPRIM_400000_NS6detail17trampoline_kernelINS0_14default_configENS1_25partition_config_selectorILNS1_17partition_subalgoE1EsNS0_10empty_typeEbEEZZNS1_14partition_implILS5_1ELb0ES3_jN6thrust23THRUST_200600_302600_NS6detail15normal_iteratorINSA_10device_ptrIsEEEEPS6_NSA_18transform_iteratorI7is_evenIsESF_NSA_11use_defaultESK_EENS0_5tupleIJNSA_16discard_iteratorISK_EESF_EEENSM_IJSG_SG_EEES6_PlJS6_EEE10hipError_tPvRmT3_T4_T5_T6_T7_T9_mT8_P12ihipStream_tbDpT10_ENKUlT_T0_E_clISt17integral_constantIbLb1EES1B_EEDaS16_S17_EUlS16_E_NS1_11comp_targetILNS1_3genE10ELNS1_11target_archE1200ELNS1_3gpuE4ELNS1_3repE0EEENS1_30default_config_static_selectorELNS0_4arch9wavefront6targetE1EEEvT1_
; %bb.0:
	.section	.rodata,"a",@progbits
	.p2align	6, 0x0
	.amdhsa_kernel _ZN7rocprim17ROCPRIM_400000_NS6detail17trampoline_kernelINS0_14default_configENS1_25partition_config_selectorILNS1_17partition_subalgoE1EsNS0_10empty_typeEbEEZZNS1_14partition_implILS5_1ELb0ES3_jN6thrust23THRUST_200600_302600_NS6detail15normal_iteratorINSA_10device_ptrIsEEEEPS6_NSA_18transform_iteratorI7is_evenIsESF_NSA_11use_defaultESK_EENS0_5tupleIJNSA_16discard_iteratorISK_EESF_EEENSM_IJSG_SG_EEES6_PlJS6_EEE10hipError_tPvRmT3_T4_T5_T6_T7_T9_mT8_P12ihipStream_tbDpT10_ENKUlT_T0_E_clISt17integral_constantIbLb1EES1B_EEDaS16_S17_EUlS16_E_NS1_11comp_targetILNS1_3genE10ELNS1_11target_archE1200ELNS1_3gpuE4ELNS1_3repE0EEENS1_30default_config_static_selectorELNS0_4arch9wavefront6targetE1EEEvT1_
		.amdhsa_group_segment_fixed_size 0
		.amdhsa_private_segment_fixed_size 0
		.amdhsa_kernarg_size 152
		.amdhsa_user_sgpr_count 6
		.amdhsa_user_sgpr_private_segment_buffer 1
		.amdhsa_user_sgpr_dispatch_ptr 0
		.amdhsa_user_sgpr_queue_ptr 0
		.amdhsa_user_sgpr_kernarg_segment_ptr 1
		.amdhsa_user_sgpr_dispatch_id 0
		.amdhsa_user_sgpr_flat_scratch_init 0
		.amdhsa_user_sgpr_kernarg_preload_length 0
		.amdhsa_user_sgpr_kernarg_preload_offset 0
		.amdhsa_user_sgpr_private_segment_size 0
		.amdhsa_uses_dynamic_stack 0
		.amdhsa_system_sgpr_private_segment_wavefront_offset 0
		.amdhsa_system_sgpr_workgroup_id_x 1
		.amdhsa_system_sgpr_workgroup_id_y 0
		.amdhsa_system_sgpr_workgroup_id_z 0
		.amdhsa_system_sgpr_workgroup_info 0
		.amdhsa_system_vgpr_workitem_id 0
		.amdhsa_next_free_vgpr 1
		.amdhsa_next_free_sgpr 0
		.amdhsa_accum_offset 4
		.amdhsa_reserve_vcc 0
		.amdhsa_reserve_flat_scratch 0
		.amdhsa_float_round_mode_32 0
		.amdhsa_float_round_mode_16_64 0
		.amdhsa_float_denorm_mode_32 3
		.amdhsa_float_denorm_mode_16_64 3
		.amdhsa_dx10_clamp 1
		.amdhsa_ieee_mode 1
		.amdhsa_fp16_overflow 0
		.amdhsa_tg_split 0
		.amdhsa_exception_fp_ieee_invalid_op 0
		.amdhsa_exception_fp_denorm_src 0
		.amdhsa_exception_fp_ieee_div_zero 0
		.amdhsa_exception_fp_ieee_overflow 0
		.amdhsa_exception_fp_ieee_underflow 0
		.amdhsa_exception_fp_ieee_inexact 0
		.amdhsa_exception_int_div_zero 0
	.end_amdhsa_kernel
	.section	.text._ZN7rocprim17ROCPRIM_400000_NS6detail17trampoline_kernelINS0_14default_configENS1_25partition_config_selectorILNS1_17partition_subalgoE1EsNS0_10empty_typeEbEEZZNS1_14partition_implILS5_1ELb0ES3_jN6thrust23THRUST_200600_302600_NS6detail15normal_iteratorINSA_10device_ptrIsEEEEPS6_NSA_18transform_iteratorI7is_evenIsESF_NSA_11use_defaultESK_EENS0_5tupleIJNSA_16discard_iteratorISK_EESF_EEENSM_IJSG_SG_EEES6_PlJS6_EEE10hipError_tPvRmT3_T4_T5_T6_T7_T9_mT8_P12ihipStream_tbDpT10_ENKUlT_T0_E_clISt17integral_constantIbLb1EES1B_EEDaS16_S17_EUlS16_E_NS1_11comp_targetILNS1_3genE10ELNS1_11target_archE1200ELNS1_3gpuE4ELNS1_3repE0EEENS1_30default_config_static_selectorELNS0_4arch9wavefront6targetE1EEEvT1_,"axG",@progbits,_ZN7rocprim17ROCPRIM_400000_NS6detail17trampoline_kernelINS0_14default_configENS1_25partition_config_selectorILNS1_17partition_subalgoE1EsNS0_10empty_typeEbEEZZNS1_14partition_implILS5_1ELb0ES3_jN6thrust23THRUST_200600_302600_NS6detail15normal_iteratorINSA_10device_ptrIsEEEEPS6_NSA_18transform_iteratorI7is_evenIsESF_NSA_11use_defaultESK_EENS0_5tupleIJNSA_16discard_iteratorISK_EESF_EEENSM_IJSG_SG_EEES6_PlJS6_EEE10hipError_tPvRmT3_T4_T5_T6_T7_T9_mT8_P12ihipStream_tbDpT10_ENKUlT_T0_E_clISt17integral_constantIbLb1EES1B_EEDaS16_S17_EUlS16_E_NS1_11comp_targetILNS1_3genE10ELNS1_11target_archE1200ELNS1_3gpuE4ELNS1_3repE0EEENS1_30default_config_static_selectorELNS0_4arch9wavefront6targetE1EEEvT1_,comdat
.Lfunc_end3432:
	.size	_ZN7rocprim17ROCPRIM_400000_NS6detail17trampoline_kernelINS0_14default_configENS1_25partition_config_selectorILNS1_17partition_subalgoE1EsNS0_10empty_typeEbEEZZNS1_14partition_implILS5_1ELb0ES3_jN6thrust23THRUST_200600_302600_NS6detail15normal_iteratorINSA_10device_ptrIsEEEEPS6_NSA_18transform_iteratorI7is_evenIsESF_NSA_11use_defaultESK_EENS0_5tupleIJNSA_16discard_iteratorISK_EESF_EEENSM_IJSG_SG_EEES6_PlJS6_EEE10hipError_tPvRmT3_T4_T5_T6_T7_T9_mT8_P12ihipStream_tbDpT10_ENKUlT_T0_E_clISt17integral_constantIbLb1EES1B_EEDaS16_S17_EUlS16_E_NS1_11comp_targetILNS1_3genE10ELNS1_11target_archE1200ELNS1_3gpuE4ELNS1_3repE0EEENS1_30default_config_static_selectorELNS0_4arch9wavefront6targetE1EEEvT1_, .Lfunc_end3432-_ZN7rocprim17ROCPRIM_400000_NS6detail17trampoline_kernelINS0_14default_configENS1_25partition_config_selectorILNS1_17partition_subalgoE1EsNS0_10empty_typeEbEEZZNS1_14partition_implILS5_1ELb0ES3_jN6thrust23THRUST_200600_302600_NS6detail15normal_iteratorINSA_10device_ptrIsEEEEPS6_NSA_18transform_iteratorI7is_evenIsESF_NSA_11use_defaultESK_EENS0_5tupleIJNSA_16discard_iteratorISK_EESF_EEENSM_IJSG_SG_EEES6_PlJS6_EEE10hipError_tPvRmT3_T4_T5_T6_T7_T9_mT8_P12ihipStream_tbDpT10_ENKUlT_T0_E_clISt17integral_constantIbLb1EES1B_EEDaS16_S17_EUlS16_E_NS1_11comp_targetILNS1_3genE10ELNS1_11target_archE1200ELNS1_3gpuE4ELNS1_3repE0EEENS1_30default_config_static_selectorELNS0_4arch9wavefront6targetE1EEEvT1_
                                        ; -- End function
	.section	.AMDGPU.csdata,"",@progbits
; Kernel info:
; codeLenInByte = 0
; NumSgprs: 4
; NumVgprs: 0
; NumAgprs: 0
; TotalNumVgprs: 0
; ScratchSize: 0
; MemoryBound: 0
; FloatMode: 240
; IeeeMode: 1
; LDSByteSize: 0 bytes/workgroup (compile time only)
; SGPRBlocks: 0
; VGPRBlocks: 0
; NumSGPRsForWavesPerEU: 4
; NumVGPRsForWavesPerEU: 1
; AccumOffset: 4
; Occupancy: 8
; WaveLimiterHint : 0
; COMPUTE_PGM_RSRC2:SCRATCH_EN: 0
; COMPUTE_PGM_RSRC2:USER_SGPR: 6
; COMPUTE_PGM_RSRC2:TRAP_HANDLER: 0
; COMPUTE_PGM_RSRC2:TGID_X_EN: 1
; COMPUTE_PGM_RSRC2:TGID_Y_EN: 0
; COMPUTE_PGM_RSRC2:TGID_Z_EN: 0
; COMPUTE_PGM_RSRC2:TIDIG_COMP_CNT: 0
; COMPUTE_PGM_RSRC3_GFX90A:ACCUM_OFFSET: 0
; COMPUTE_PGM_RSRC3_GFX90A:TG_SPLIT: 0
	.section	.text._ZN7rocprim17ROCPRIM_400000_NS6detail17trampoline_kernelINS0_14default_configENS1_25partition_config_selectorILNS1_17partition_subalgoE1EsNS0_10empty_typeEbEEZZNS1_14partition_implILS5_1ELb0ES3_jN6thrust23THRUST_200600_302600_NS6detail15normal_iteratorINSA_10device_ptrIsEEEEPS6_NSA_18transform_iteratorI7is_evenIsESF_NSA_11use_defaultESK_EENS0_5tupleIJNSA_16discard_iteratorISK_EESF_EEENSM_IJSG_SG_EEES6_PlJS6_EEE10hipError_tPvRmT3_T4_T5_T6_T7_T9_mT8_P12ihipStream_tbDpT10_ENKUlT_T0_E_clISt17integral_constantIbLb1EES1B_EEDaS16_S17_EUlS16_E_NS1_11comp_targetILNS1_3genE9ELNS1_11target_archE1100ELNS1_3gpuE3ELNS1_3repE0EEENS1_30default_config_static_selectorELNS0_4arch9wavefront6targetE1EEEvT1_,"axG",@progbits,_ZN7rocprim17ROCPRIM_400000_NS6detail17trampoline_kernelINS0_14default_configENS1_25partition_config_selectorILNS1_17partition_subalgoE1EsNS0_10empty_typeEbEEZZNS1_14partition_implILS5_1ELb0ES3_jN6thrust23THRUST_200600_302600_NS6detail15normal_iteratorINSA_10device_ptrIsEEEEPS6_NSA_18transform_iteratorI7is_evenIsESF_NSA_11use_defaultESK_EENS0_5tupleIJNSA_16discard_iteratorISK_EESF_EEENSM_IJSG_SG_EEES6_PlJS6_EEE10hipError_tPvRmT3_T4_T5_T6_T7_T9_mT8_P12ihipStream_tbDpT10_ENKUlT_T0_E_clISt17integral_constantIbLb1EES1B_EEDaS16_S17_EUlS16_E_NS1_11comp_targetILNS1_3genE9ELNS1_11target_archE1100ELNS1_3gpuE3ELNS1_3repE0EEENS1_30default_config_static_selectorELNS0_4arch9wavefront6targetE1EEEvT1_,comdat
	.protected	_ZN7rocprim17ROCPRIM_400000_NS6detail17trampoline_kernelINS0_14default_configENS1_25partition_config_selectorILNS1_17partition_subalgoE1EsNS0_10empty_typeEbEEZZNS1_14partition_implILS5_1ELb0ES3_jN6thrust23THRUST_200600_302600_NS6detail15normal_iteratorINSA_10device_ptrIsEEEEPS6_NSA_18transform_iteratorI7is_evenIsESF_NSA_11use_defaultESK_EENS0_5tupleIJNSA_16discard_iteratorISK_EESF_EEENSM_IJSG_SG_EEES6_PlJS6_EEE10hipError_tPvRmT3_T4_T5_T6_T7_T9_mT8_P12ihipStream_tbDpT10_ENKUlT_T0_E_clISt17integral_constantIbLb1EES1B_EEDaS16_S17_EUlS16_E_NS1_11comp_targetILNS1_3genE9ELNS1_11target_archE1100ELNS1_3gpuE3ELNS1_3repE0EEENS1_30default_config_static_selectorELNS0_4arch9wavefront6targetE1EEEvT1_ ; -- Begin function _ZN7rocprim17ROCPRIM_400000_NS6detail17trampoline_kernelINS0_14default_configENS1_25partition_config_selectorILNS1_17partition_subalgoE1EsNS0_10empty_typeEbEEZZNS1_14partition_implILS5_1ELb0ES3_jN6thrust23THRUST_200600_302600_NS6detail15normal_iteratorINSA_10device_ptrIsEEEEPS6_NSA_18transform_iteratorI7is_evenIsESF_NSA_11use_defaultESK_EENS0_5tupleIJNSA_16discard_iteratorISK_EESF_EEENSM_IJSG_SG_EEES6_PlJS6_EEE10hipError_tPvRmT3_T4_T5_T6_T7_T9_mT8_P12ihipStream_tbDpT10_ENKUlT_T0_E_clISt17integral_constantIbLb1EES1B_EEDaS16_S17_EUlS16_E_NS1_11comp_targetILNS1_3genE9ELNS1_11target_archE1100ELNS1_3gpuE3ELNS1_3repE0EEENS1_30default_config_static_selectorELNS0_4arch9wavefront6targetE1EEEvT1_
	.globl	_ZN7rocprim17ROCPRIM_400000_NS6detail17trampoline_kernelINS0_14default_configENS1_25partition_config_selectorILNS1_17partition_subalgoE1EsNS0_10empty_typeEbEEZZNS1_14partition_implILS5_1ELb0ES3_jN6thrust23THRUST_200600_302600_NS6detail15normal_iteratorINSA_10device_ptrIsEEEEPS6_NSA_18transform_iteratorI7is_evenIsESF_NSA_11use_defaultESK_EENS0_5tupleIJNSA_16discard_iteratorISK_EESF_EEENSM_IJSG_SG_EEES6_PlJS6_EEE10hipError_tPvRmT3_T4_T5_T6_T7_T9_mT8_P12ihipStream_tbDpT10_ENKUlT_T0_E_clISt17integral_constantIbLb1EES1B_EEDaS16_S17_EUlS16_E_NS1_11comp_targetILNS1_3genE9ELNS1_11target_archE1100ELNS1_3gpuE3ELNS1_3repE0EEENS1_30default_config_static_selectorELNS0_4arch9wavefront6targetE1EEEvT1_
	.p2align	8
	.type	_ZN7rocprim17ROCPRIM_400000_NS6detail17trampoline_kernelINS0_14default_configENS1_25partition_config_selectorILNS1_17partition_subalgoE1EsNS0_10empty_typeEbEEZZNS1_14partition_implILS5_1ELb0ES3_jN6thrust23THRUST_200600_302600_NS6detail15normal_iteratorINSA_10device_ptrIsEEEEPS6_NSA_18transform_iteratorI7is_evenIsESF_NSA_11use_defaultESK_EENS0_5tupleIJNSA_16discard_iteratorISK_EESF_EEENSM_IJSG_SG_EEES6_PlJS6_EEE10hipError_tPvRmT3_T4_T5_T6_T7_T9_mT8_P12ihipStream_tbDpT10_ENKUlT_T0_E_clISt17integral_constantIbLb1EES1B_EEDaS16_S17_EUlS16_E_NS1_11comp_targetILNS1_3genE9ELNS1_11target_archE1100ELNS1_3gpuE3ELNS1_3repE0EEENS1_30default_config_static_selectorELNS0_4arch9wavefront6targetE1EEEvT1_,@function
_ZN7rocprim17ROCPRIM_400000_NS6detail17trampoline_kernelINS0_14default_configENS1_25partition_config_selectorILNS1_17partition_subalgoE1EsNS0_10empty_typeEbEEZZNS1_14partition_implILS5_1ELb0ES3_jN6thrust23THRUST_200600_302600_NS6detail15normal_iteratorINSA_10device_ptrIsEEEEPS6_NSA_18transform_iteratorI7is_evenIsESF_NSA_11use_defaultESK_EENS0_5tupleIJNSA_16discard_iteratorISK_EESF_EEENSM_IJSG_SG_EEES6_PlJS6_EEE10hipError_tPvRmT3_T4_T5_T6_T7_T9_mT8_P12ihipStream_tbDpT10_ENKUlT_T0_E_clISt17integral_constantIbLb1EES1B_EEDaS16_S17_EUlS16_E_NS1_11comp_targetILNS1_3genE9ELNS1_11target_archE1100ELNS1_3gpuE3ELNS1_3repE0EEENS1_30default_config_static_selectorELNS0_4arch9wavefront6targetE1EEEvT1_: ; @_ZN7rocprim17ROCPRIM_400000_NS6detail17trampoline_kernelINS0_14default_configENS1_25partition_config_selectorILNS1_17partition_subalgoE1EsNS0_10empty_typeEbEEZZNS1_14partition_implILS5_1ELb0ES3_jN6thrust23THRUST_200600_302600_NS6detail15normal_iteratorINSA_10device_ptrIsEEEEPS6_NSA_18transform_iteratorI7is_evenIsESF_NSA_11use_defaultESK_EENS0_5tupleIJNSA_16discard_iteratorISK_EESF_EEENSM_IJSG_SG_EEES6_PlJS6_EEE10hipError_tPvRmT3_T4_T5_T6_T7_T9_mT8_P12ihipStream_tbDpT10_ENKUlT_T0_E_clISt17integral_constantIbLb1EES1B_EEDaS16_S17_EUlS16_E_NS1_11comp_targetILNS1_3genE9ELNS1_11target_archE1100ELNS1_3gpuE3ELNS1_3repE0EEENS1_30default_config_static_selectorELNS0_4arch9wavefront6targetE1EEEvT1_
; %bb.0:
	.section	.rodata,"a",@progbits
	.p2align	6, 0x0
	.amdhsa_kernel _ZN7rocprim17ROCPRIM_400000_NS6detail17trampoline_kernelINS0_14default_configENS1_25partition_config_selectorILNS1_17partition_subalgoE1EsNS0_10empty_typeEbEEZZNS1_14partition_implILS5_1ELb0ES3_jN6thrust23THRUST_200600_302600_NS6detail15normal_iteratorINSA_10device_ptrIsEEEEPS6_NSA_18transform_iteratorI7is_evenIsESF_NSA_11use_defaultESK_EENS0_5tupleIJNSA_16discard_iteratorISK_EESF_EEENSM_IJSG_SG_EEES6_PlJS6_EEE10hipError_tPvRmT3_T4_T5_T6_T7_T9_mT8_P12ihipStream_tbDpT10_ENKUlT_T0_E_clISt17integral_constantIbLb1EES1B_EEDaS16_S17_EUlS16_E_NS1_11comp_targetILNS1_3genE9ELNS1_11target_archE1100ELNS1_3gpuE3ELNS1_3repE0EEENS1_30default_config_static_selectorELNS0_4arch9wavefront6targetE1EEEvT1_
		.amdhsa_group_segment_fixed_size 0
		.amdhsa_private_segment_fixed_size 0
		.amdhsa_kernarg_size 152
		.amdhsa_user_sgpr_count 6
		.amdhsa_user_sgpr_private_segment_buffer 1
		.amdhsa_user_sgpr_dispatch_ptr 0
		.amdhsa_user_sgpr_queue_ptr 0
		.amdhsa_user_sgpr_kernarg_segment_ptr 1
		.amdhsa_user_sgpr_dispatch_id 0
		.amdhsa_user_sgpr_flat_scratch_init 0
		.amdhsa_user_sgpr_kernarg_preload_length 0
		.amdhsa_user_sgpr_kernarg_preload_offset 0
		.amdhsa_user_sgpr_private_segment_size 0
		.amdhsa_uses_dynamic_stack 0
		.amdhsa_system_sgpr_private_segment_wavefront_offset 0
		.amdhsa_system_sgpr_workgroup_id_x 1
		.amdhsa_system_sgpr_workgroup_id_y 0
		.amdhsa_system_sgpr_workgroup_id_z 0
		.amdhsa_system_sgpr_workgroup_info 0
		.amdhsa_system_vgpr_workitem_id 0
		.amdhsa_next_free_vgpr 1
		.amdhsa_next_free_sgpr 0
		.amdhsa_accum_offset 4
		.amdhsa_reserve_vcc 0
		.amdhsa_reserve_flat_scratch 0
		.amdhsa_float_round_mode_32 0
		.amdhsa_float_round_mode_16_64 0
		.amdhsa_float_denorm_mode_32 3
		.amdhsa_float_denorm_mode_16_64 3
		.amdhsa_dx10_clamp 1
		.amdhsa_ieee_mode 1
		.amdhsa_fp16_overflow 0
		.amdhsa_tg_split 0
		.amdhsa_exception_fp_ieee_invalid_op 0
		.amdhsa_exception_fp_denorm_src 0
		.amdhsa_exception_fp_ieee_div_zero 0
		.amdhsa_exception_fp_ieee_overflow 0
		.amdhsa_exception_fp_ieee_underflow 0
		.amdhsa_exception_fp_ieee_inexact 0
		.amdhsa_exception_int_div_zero 0
	.end_amdhsa_kernel
	.section	.text._ZN7rocprim17ROCPRIM_400000_NS6detail17trampoline_kernelINS0_14default_configENS1_25partition_config_selectorILNS1_17partition_subalgoE1EsNS0_10empty_typeEbEEZZNS1_14partition_implILS5_1ELb0ES3_jN6thrust23THRUST_200600_302600_NS6detail15normal_iteratorINSA_10device_ptrIsEEEEPS6_NSA_18transform_iteratorI7is_evenIsESF_NSA_11use_defaultESK_EENS0_5tupleIJNSA_16discard_iteratorISK_EESF_EEENSM_IJSG_SG_EEES6_PlJS6_EEE10hipError_tPvRmT3_T4_T5_T6_T7_T9_mT8_P12ihipStream_tbDpT10_ENKUlT_T0_E_clISt17integral_constantIbLb1EES1B_EEDaS16_S17_EUlS16_E_NS1_11comp_targetILNS1_3genE9ELNS1_11target_archE1100ELNS1_3gpuE3ELNS1_3repE0EEENS1_30default_config_static_selectorELNS0_4arch9wavefront6targetE1EEEvT1_,"axG",@progbits,_ZN7rocprim17ROCPRIM_400000_NS6detail17trampoline_kernelINS0_14default_configENS1_25partition_config_selectorILNS1_17partition_subalgoE1EsNS0_10empty_typeEbEEZZNS1_14partition_implILS5_1ELb0ES3_jN6thrust23THRUST_200600_302600_NS6detail15normal_iteratorINSA_10device_ptrIsEEEEPS6_NSA_18transform_iteratorI7is_evenIsESF_NSA_11use_defaultESK_EENS0_5tupleIJNSA_16discard_iteratorISK_EESF_EEENSM_IJSG_SG_EEES6_PlJS6_EEE10hipError_tPvRmT3_T4_T5_T6_T7_T9_mT8_P12ihipStream_tbDpT10_ENKUlT_T0_E_clISt17integral_constantIbLb1EES1B_EEDaS16_S17_EUlS16_E_NS1_11comp_targetILNS1_3genE9ELNS1_11target_archE1100ELNS1_3gpuE3ELNS1_3repE0EEENS1_30default_config_static_selectorELNS0_4arch9wavefront6targetE1EEEvT1_,comdat
.Lfunc_end3433:
	.size	_ZN7rocprim17ROCPRIM_400000_NS6detail17trampoline_kernelINS0_14default_configENS1_25partition_config_selectorILNS1_17partition_subalgoE1EsNS0_10empty_typeEbEEZZNS1_14partition_implILS5_1ELb0ES3_jN6thrust23THRUST_200600_302600_NS6detail15normal_iteratorINSA_10device_ptrIsEEEEPS6_NSA_18transform_iteratorI7is_evenIsESF_NSA_11use_defaultESK_EENS0_5tupleIJNSA_16discard_iteratorISK_EESF_EEENSM_IJSG_SG_EEES6_PlJS6_EEE10hipError_tPvRmT3_T4_T5_T6_T7_T9_mT8_P12ihipStream_tbDpT10_ENKUlT_T0_E_clISt17integral_constantIbLb1EES1B_EEDaS16_S17_EUlS16_E_NS1_11comp_targetILNS1_3genE9ELNS1_11target_archE1100ELNS1_3gpuE3ELNS1_3repE0EEENS1_30default_config_static_selectorELNS0_4arch9wavefront6targetE1EEEvT1_, .Lfunc_end3433-_ZN7rocprim17ROCPRIM_400000_NS6detail17trampoline_kernelINS0_14default_configENS1_25partition_config_selectorILNS1_17partition_subalgoE1EsNS0_10empty_typeEbEEZZNS1_14partition_implILS5_1ELb0ES3_jN6thrust23THRUST_200600_302600_NS6detail15normal_iteratorINSA_10device_ptrIsEEEEPS6_NSA_18transform_iteratorI7is_evenIsESF_NSA_11use_defaultESK_EENS0_5tupleIJNSA_16discard_iteratorISK_EESF_EEENSM_IJSG_SG_EEES6_PlJS6_EEE10hipError_tPvRmT3_T4_T5_T6_T7_T9_mT8_P12ihipStream_tbDpT10_ENKUlT_T0_E_clISt17integral_constantIbLb1EES1B_EEDaS16_S17_EUlS16_E_NS1_11comp_targetILNS1_3genE9ELNS1_11target_archE1100ELNS1_3gpuE3ELNS1_3repE0EEENS1_30default_config_static_selectorELNS0_4arch9wavefront6targetE1EEEvT1_
                                        ; -- End function
	.section	.AMDGPU.csdata,"",@progbits
; Kernel info:
; codeLenInByte = 0
; NumSgprs: 4
; NumVgprs: 0
; NumAgprs: 0
; TotalNumVgprs: 0
; ScratchSize: 0
; MemoryBound: 0
; FloatMode: 240
; IeeeMode: 1
; LDSByteSize: 0 bytes/workgroup (compile time only)
; SGPRBlocks: 0
; VGPRBlocks: 0
; NumSGPRsForWavesPerEU: 4
; NumVGPRsForWavesPerEU: 1
; AccumOffset: 4
; Occupancy: 8
; WaveLimiterHint : 0
; COMPUTE_PGM_RSRC2:SCRATCH_EN: 0
; COMPUTE_PGM_RSRC2:USER_SGPR: 6
; COMPUTE_PGM_RSRC2:TRAP_HANDLER: 0
; COMPUTE_PGM_RSRC2:TGID_X_EN: 1
; COMPUTE_PGM_RSRC2:TGID_Y_EN: 0
; COMPUTE_PGM_RSRC2:TGID_Z_EN: 0
; COMPUTE_PGM_RSRC2:TIDIG_COMP_CNT: 0
; COMPUTE_PGM_RSRC3_GFX90A:ACCUM_OFFSET: 0
; COMPUTE_PGM_RSRC3_GFX90A:TG_SPLIT: 0
	.section	.text._ZN7rocprim17ROCPRIM_400000_NS6detail17trampoline_kernelINS0_14default_configENS1_25partition_config_selectorILNS1_17partition_subalgoE1EsNS0_10empty_typeEbEEZZNS1_14partition_implILS5_1ELb0ES3_jN6thrust23THRUST_200600_302600_NS6detail15normal_iteratorINSA_10device_ptrIsEEEEPS6_NSA_18transform_iteratorI7is_evenIsESF_NSA_11use_defaultESK_EENS0_5tupleIJNSA_16discard_iteratorISK_EESF_EEENSM_IJSG_SG_EEES6_PlJS6_EEE10hipError_tPvRmT3_T4_T5_T6_T7_T9_mT8_P12ihipStream_tbDpT10_ENKUlT_T0_E_clISt17integral_constantIbLb1EES1B_EEDaS16_S17_EUlS16_E_NS1_11comp_targetILNS1_3genE8ELNS1_11target_archE1030ELNS1_3gpuE2ELNS1_3repE0EEENS1_30default_config_static_selectorELNS0_4arch9wavefront6targetE1EEEvT1_,"axG",@progbits,_ZN7rocprim17ROCPRIM_400000_NS6detail17trampoline_kernelINS0_14default_configENS1_25partition_config_selectorILNS1_17partition_subalgoE1EsNS0_10empty_typeEbEEZZNS1_14partition_implILS5_1ELb0ES3_jN6thrust23THRUST_200600_302600_NS6detail15normal_iteratorINSA_10device_ptrIsEEEEPS6_NSA_18transform_iteratorI7is_evenIsESF_NSA_11use_defaultESK_EENS0_5tupleIJNSA_16discard_iteratorISK_EESF_EEENSM_IJSG_SG_EEES6_PlJS6_EEE10hipError_tPvRmT3_T4_T5_T6_T7_T9_mT8_P12ihipStream_tbDpT10_ENKUlT_T0_E_clISt17integral_constantIbLb1EES1B_EEDaS16_S17_EUlS16_E_NS1_11comp_targetILNS1_3genE8ELNS1_11target_archE1030ELNS1_3gpuE2ELNS1_3repE0EEENS1_30default_config_static_selectorELNS0_4arch9wavefront6targetE1EEEvT1_,comdat
	.protected	_ZN7rocprim17ROCPRIM_400000_NS6detail17trampoline_kernelINS0_14default_configENS1_25partition_config_selectorILNS1_17partition_subalgoE1EsNS0_10empty_typeEbEEZZNS1_14partition_implILS5_1ELb0ES3_jN6thrust23THRUST_200600_302600_NS6detail15normal_iteratorINSA_10device_ptrIsEEEEPS6_NSA_18transform_iteratorI7is_evenIsESF_NSA_11use_defaultESK_EENS0_5tupleIJNSA_16discard_iteratorISK_EESF_EEENSM_IJSG_SG_EEES6_PlJS6_EEE10hipError_tPvRmT3_T4_T5_T6_T7_T9_mT8_P12ihipStream_tbDpT10_ENKUlT_T0_E_clISt17integral_constantIbLb1EES1B_EEDaS16_S17_EUlS16_E_NS1_11comp_targetILNS1_3genE8ELNS1_11target_archE1030ELNS1_3gpuE2ELNS1_3repE0EEENS1_30default_config_static_selectorELNS0_4arch9wavefront6targetE1EEEvT1_ ; -- Begin function _ZN7rocprim17ROCPRIM_400000_NS6detail17trampoline_kernelINS0_14default_configENS1_25partition_config_selectorILNS1_17partition_subalgoE1EsNS0_10empty_typeEbEEZZNS1_14partition_implILS5_1ELb0ES3_jN6thrust23THRUST_200600_302600_NS6detail15normal_iteratorINSA_10device_ptrIsEEEEPS6_NSA_18transform_iteratorI7is_evenIsESF_NSA_11use_defaultESK_EENS0_5tupleIJNSA_16discard_iteratorISK_EESF_EEENSM_IJSG_SG_EEES6_PlJS6_EEE10hipError_tPvRmT3_T4_T5_T6_T7_T9_mT8_P12ihipStream_tbDpT10_ENKUlT_T0_E_clISt17integral_constantIbLb1EES1B_EEDaS16_S17_EUlS16_E_NS1_11comp_targetILNS1_3genE8ELNS1_11target_archE1030ELNS1_3gpuE2ELNS1_3repE0EEENS1_30default_config_static_selectorELNS0_4arch9wavefront6targetE1EEEvT1_
	.globl	_ZN7rocprim17ROCPRIM_400000_NS6detail17trampoline_kernelINS0_14default_configENS1_25partition_config_selectorILNS1_17partition_subalgoE1EsNS0_10empty_typeEbEEZZNS1_14partition_implILS5_1ELb0ES3_jN6thrust23THRUST_200600_302600_NS6detail15normal_iteratorINSA_10device_ptrIsEEEEPS6_NSA_18transform_iteratorI7is_evenIsESF_NSA_11use_defaultESK_EENS0_5tupleIJNSA_16discard_iteratorISK_EESF_EEENSM_IJSG_SG_EEES6_PlJS6_EEE10hipError_tPvRmT3_T4_T5_T6_T7_T9_mT8_P12ihipStream_tbDpT10_ENKUlT_T0_E_clISt17integral_constantIbLb1EES1B_EEDaS16_S17_EUlS16_E_NS1_11comp_targetILNS1_3genE8ELNS1_11target_archE1030ELNS1_3gpuE2ELNS1_3repE0EEENS1_30default_config_static_selectorELNS0_4arch9wavefront6targetE1EEEvT1_
	.p2align	8
	.type	_ZN7rocprim17ROCPRIM_400000_NS6detail17trampoline_kernelINS0_14default_configENS1_25partition_config_selectorILNS1_17partition_subalgoE1EsNS0_10empty_typeEbEEZZNS1_14partition_implILS5_1ELb0ES3_jN6thrust23THRUST_200600_302600_NS6detail15normal_iteratorINSA_10device_ptrIsEEEEPS6_NSA_18transform_iteratorI7is_evenIsESF_NSA_11use_defaultESK_EENS0_5tupleIJNSA_16discard_iteratorISK_EESF_EEENSM_IJSG_SG_EEES6_PlJS6_EEE10hipError_tPvRmT3_T4_T5_T6_T7_T9_mT8_P12ihipStream_tbDpT10_ENKUlT_T0_E_clISt17integral_constantIbLb1EES1B_EEDaS16_S17_EUlS16_E_NS1_11comp_targetILNS1_3genE8ELNS1_11target_archE1030ELNS1_3gpuE2ELNS1_3repE0EEENS1_30default_config_static_selectorELNS0_4arch9wavefront6targetE1EEEvT1_,@function
_ZN7rocprim17ROCPRIM_400000_NS6detail17trampoline_kernelINS0_14default_configENS1_25partition_config_selectorILNS1_17partition_subalgoE1EsNS0_10empty_typeEbEEZZNS1_14partition_implILS5_1ELb0ES3_jN6thrust23THRUST_200600_302600_NS6detail15normal_iteratorINSA_10device_ptrIsEEEEPS6_NSA_18transform_iteratorI7is_evenIsESF_NSA_11use_defaultESK_EENS0_5tupleIJNSA_16discard_iteratorISK_EESF_EEENSM_IJSG_SG_EEES6_PlJS6_EEE10hipError_tPvRmT3_T4_T5_T6_T7_T9_mT8_P12ihipStream_tbDpT10_ENKUlT_T0_E_clISt17integral_constantIbLb1EES1B_EEDaS16_S17_EUlS16_E_NS1_11comp_targetILNS1_3genE8ELNS1_11target_archE1030ELNS1_3gpuE2ELNS1_3repE0EEENS1_30default_config_static_selectorELNS0_4arch9wavefront6targetE1EEEvT1_: ; @_ZN7rocprim17ROCPRIM_400000_NS6detail17trampoline_kernelINS0_14default_configENS1_25partition_config_selectorILNS1_17partition_subalgoE1EsNS0_10empty_typeEbEEZZNS1_14partition_implILS5_1ELb0ES3_jN6thrust23THRUST_200600_302600_NS6detail15normal_iteratorINSA_10device_ptrIsEEEEPS6_NSA_18transform_iteratorI7is_evenIsESF_NSA_11use_defaultESK_EENS0_5tupleIJNSA_16discard_iteratorISK_EESF_EEENSM_IJSG_SG_EEES6_PlJS6_EEE10hipError_tPvRmT3_T4_T5_T6_T7_T9_mT8_P12ihipStream_tbDpT10_ENKUlT_T0_E_clISt17integral_constantIbLb1EES1B_EEDaS16_S17_EUlS16_E_NS1_11comp_targetILNS1_3genE8ELNS1_11target_archE1030ELNS1_3gpuE2ELNS1_3repE0EEENS1_30default_config_static_selectorELNS0_4arch9wavefront6targetE1EEEvT1_
; %bb.0:
	.section	.rodata,"a",@progbits
	.p2align	6, 0x0
	.amdhsa_kernel _ZN7rocprim17ROCPRIM_400000_NS6detail17trampoline_kernelINS0_14default_configENS1_25partition_config_selectorILNS1_17partition_subalgoE1EsNS0_10empty_typeEbEEZZNS1_14partition_implILS5_1ELb0ES3_jN6thrust23THRUST_200600_302600_NS6detail15normal_iteratorINSA_10device_ptrIsEEEEPS6_NSA_18transform_iteratorI7is_evenIsESF_NSA_11use_defaultESK_EENS0_5tupleIJNSA_16discard_iteratorISK_EESF_EEENSM_IJSG_SG_EEES6_PlJS6_EEE10hipError_tPvRmT3_T4_T5_T6_T7_T9_mT8_P12ihipStream_tbDpT10_ENKUlT_T0_E_clISt17integral_constantIbLb1EES1B_EEDaS16_S17_EUlS16_E_NS1_11comp_targetILNS1_3genE8ELNS1_11target_archE1030ELNS1_3gpuE2ELNS1_3repE0EEENS1_30default_config_static_selectorELNS0_4arch9wavefront6targetE1EEEvT1_
		.amdhsa_group_segment_fixed_size 0
		.amdhsa_private_segment_fixed_size 0
		.amdhsa_kernarg_size 152
		.amdhsa_user_sgpr_count 6
		.amdhsa_user_sgpr_private_segment_buffer 1
		.amdhsa_user_sgpr_dispatch_ptr 0
		.amdhsa_user_sgpr_queue_ptr 0
		.amdhsa_user_sgpr_kernarg_segment_ptr 1
		.amdhsa_user_sgpr_dispatch_id 0
		.amdhsa_user_sgpr_flat_scratch_init 0
		.amdhsa_user_sgpr_kernarg_preload_length 0
		.amdhsa_user_sgpr_kernarg_preload_offset 0
		.amdhsa_user_sgpr_private_segment_size 0
		.amdhsa_uses_dynamic_stack 0
		.amdhsa_system_sgpr_private_segment_wavefront_offset 0
		.amdhsa_system_sgpr_workgroup_id_x 1
		.amdhsa_system_sgpr_workgroup_id_y 0
		.amdhsa_system_sgpr_workgroup_id_z 0
		.amdhsa_system_sgpr_workgroup_info 0
		.amdhsa_system_vgpr_workitem_id 0
		.amdhsa_next_free_vgpr 1
		.amdhsa_next_free_sgpr 0
		.amdhsa_accum_offset 4
		.amdhsa_reserve_vcc 0
		.amdhsa_reserve_flat_scratch 0
		.amdhsa_float_round_mode_32 0
		.amdhsa_float_round_mode_16_64 0
		.amdhsa_float_denorm_mode_32 3
		.amdhsa_float_denorm_mode_16_64 3
		.amdhsa_dx10_clamp 1
		.amdhsa_ieee_mode 1
		.amdhsa_fp16_overflow 0
		.amdhsa_tg_split 0
		.amdhsa_exception_fp_ieee_invalid_op 0
		.amdhsa_exception_fp_denorm_src 0
		.amdhsa_exception_fp_ieee_div_zero 0
		.amdhsa_exception_fp_ieee_overflow 0
		.amdhsa_exception_fp_ieee_underflow 0
		.amdhsa_exception_fp_ieee_inexact 0
		.amdhsa_exception_int_div_zero 0
	.end_amdhsa_kernel
	.section	.text._ZN7rocprim17ROCPRIM_400000_NS6detail17trampoline_kernelINS0_14default_configENS1_25partition_config_selectorILNS1_17partition_subalgoE1EsNS0_10empty_typeEbEEZZNS1_14partition_implILS5_1ELb0ES3_jN6thrust23THRUST_200600_302600_NS6detail15normal_iteratorINSA_10device_ptrIsEEEEPS6_NSA_18transform_iteratorI7is_evenIsESF_NSA_11use_defaultESK_EENS0_5tupleIJNSA_16discard_iteratorISK_EESF_EEENSM_IJSG_SG_EEES6_PlJS6_EEE10hipError_tPvRmT3_T4_T5_T6_T7_T9_mT8_P12ihipStream_tbDpT10_ENKUlT_T0_E_clISt17integral_constantIbLb1EES1B_EEDaS16_S17_EUlS16_E_NS1_11comp_targetILNS1_3genE8ELNS1_11target_archE1030ELNS1_3gpuE2ELNS1_3repE0EEENS1_30default_config_static_selectorELNS0_4arch9wavefront6targetE1EEEvT1_,"axG",@progbits,_ZN7rocprim17ROCPRIM_400000_NS6detail17trampoline_kernelINS0_14default_configENS1_25partition_config_selectorILNS1_17partition_subalgoE1EsNS0_10empty_typeEbEEZZNS1_14partition_implILS5_1ELb0ES3_jN6thrust23THRUST_200600_302600_NS6detail15normal_iteratorINSA_10device_ptrIsEEEEPS6_NSA_18transform_iteratorI7is_evenIsESF_NSA_11use_defaultESK_EENS0_5tupleIJNSA_16discard_iteratorISK_EESF_EEENSM_IJSG_SG_EEES6_PlJS6_EEE10hipError_tPvRmT3_T4_T5_T6_T7_T9_mT8_P12ihipStream_tbDpT10_ENKUlT_T0_E_clISt17integral_constantIbLb1EES1B_EEDaS16_S17_EUlS16_E_NS1_11comp_targetILNS1_3genE8ELNS1_11target_archE1030ELNS1_3gpuE2ELNS1_3repE0EEENS1_30default_config_static_selectorELNS0_4arch9wavefront6targetE1EEEvT1_,comdat
.Lfunc_end3434:
	.size	_ZN7rocprim17ROCPRIM_400000_NS6detail17trampoline_kernelINS0_14default_configENS1_25partition_config_selectorILNS1_17partition_subalgoE1EsNS0_10empty_typeEbEEZZNS1_14partition_implILS5_1ELb0ES3_jN6thrust23THRUST_200600_302600_NS6detail15normal_iteratorINSA_10device_ptrIsEEEEPS6_NSA_18transform_iteratorI7is_evenIsESF_NSA_11use_defaultESK_EENS0_5tupleIJNSA_16discard_iteratorISK_EESF_EEENSM_IJSG_SG_EEES6_PlJS6_EEE10hipError_tPvRmT3_T4_T5_T6_T7_T9_mT8_P12ihipStream_tbDpT10_ENKUlT_T0_E_clISt17integral_constantIbLb1EES1B_EEDaS16_S17_EUlS16_E_NS1_11comp_targetILNS1_3genE8ELNS1_11target_archE1030ELNS1_3gpuE2ELNS1_3repE0EEENS1_30default_config_static_selectorELNS0_4arch9wavefront6targetE1EEEvT1_, .Lfunc_end3434-_ZN7rocprim17ROCPRIM_400000_NS6detail17trampoline_kernelINS0_14default_configENS1_25partition_config_selectorILNS1_17partition_subalgoE1EsNS0_10empty_typeEbEEZZNS1_14partition_implILS5_1ELb0ES3_jN6thrust23THRUST_200600_302600_NS6detail15normal_iteratorINSA_10device_ptrIsEEEEPS6_NSA_18transform_iteratorI7is_evenIsESF_NSA_11use_defaultESK_EENS0_5tupleIJNSA_16discard_iteratorISK_EESF_EEENSM_IJSG_SG_EEES6_PlJS6_EEE10hipError_tPvRmT3_T4_T5_T6_T7_T9_mT8_P12ihipStream_tbDpT10_ENKUlT_T0_E_clISt17integral_constantIbLb1EES1B_EEDaS16_S17_EUlS16_E_NS1_11comp_targetILNS1_3genE8ELNS1_11target_archE1030ELNS1_3gpuE2ELNS1_3repE0EEENS1_30default_config_static_selectorELNS0_4arch9wavefront6targetE1EEEvT1_
                                        ; -- End function
	.section	.AMDGPU.csdata,"",@progbits
; Kernel info:
; codeLenInByte = 0
; NumSgprs: 4
; NumVgprs: 0
; NumAgprs: 0
; TotalNumVgprs: 0
; ScratchSize: 0
; MemoryBound: 0
; FloatMode: 240
; IeeeMode: 1
; LDSByteSize: 0 bytes/workgroup (compile time only)
; SGPRBlocks: 0
; VGPRBlocks: 0
; NumSGPRsForWavesPerEU: 4
; NumVGPRsForWavesPerEU: 1
; AccumOffset: 4
; Occupancy: 8
; WaveLimiterHint : 0
; COMPUTE_PGM_RSRC2:SCRATCH_EN: 0
; COMPUTE_PGM_RSRC2:USER_SGPR: 6
; COMPUTE_PGM_RSRC2:TRAP_HANDLER: 0
; COMPUTE_PGM_RSRC2:TGID_X_EN: 1
; COMPUTE_PGM_RSRC2:TGID_Y_EN: 0
; COMPUTE_PGM_RSRC2:TGID_Z_EN: 0
; COMPUTE_PGM_RSRC2:TIDIG_COMP_CNT: 0
; COMPUTE_PGM_RSRC3_GFX90A:ACCUM_OFFSET: 0
; COMPUTE_PGM_RSRC3_GFX90A:TG_SPLIT: 0
	.section	.text._ZN7rocprim17ROCPRIM_400000_NS6detail17trampoline_kernelINS0_14default_configENS1_25partition_config_selectorILNS1_17partition_subalgoE1EsNS0_10empty_typeEbEEZZNS1_14partition_implILS5_1ELb0ES3_jN6thrust23THRUST_200600_302600_NS6detail15normal_iteratorINSA_10device_ptrIsEEEEPS6_NSA_18transform_iteratorI7is_evenIsESF_NSA_11use_defaultESK_EENS0_5tupleIJNSA_16discard_iteratorISK_EESF_EEENSM_IJSG_SG_EEES6_PlJS6_EEE10hipError_tPvRmT3_T4_T5_T6_T7_T9_mT8_P12ihipStream_tbDpT10_ENKUlT_T0_E_clISt17integral_constantIbLb1EES1A_IbLb0EEEEDaS16_S17_EUlS16_E_NS1_11comp_targetILNS1_3genE0ELNS1_11target_archE4294967295ELNS1_3gpuE0ELNS1_3repE0EEENS1_30default_config_static_selectorELNS0_4arch9wavefront6targetE1EEEvT1_,"axG",@progbits,_ZN7rocprim17ROCPRIM_400000_NS6detail17trampoline_kernelINS0_14default_configENS1_25partition_config_selectorILNS1_17partition_subalgoE1EsNS0_10empty_typeEbEEZZNS1_14partition_implILS5_1ELb0ES3_jN6thrust23THRUST_200600_302600_NS6detail15normal_iteratorINSA_10device_ptrIsEEEEPS6_NSA_18transform_iteratorI7is_evenIsESF_NSA_11use_defaultESK_EENS0_5tupleIJNSA_16discard_iteratorISK_EESF_EEENSM_IJSG_SG_EEES6_PlJS6_EEE10hipError_tPvRmT3_T4_T5_T6_T7_T9_mT8_P12ihipStream_tbDpT10_ENKUlT_T0_E_clISt17integral_constantIbLb1EES1A_IbLb0EEEEDaS16_S17_EUlS16_E_NS1_11comp_targetILNS1_3genE0ELNS1_11target_archE4294967295ELNS1_3gpuE0ELNS1_3repE0EEENS1_30default_config_static_selectorELNS0_4arch9wavefront6targetE1EEEvT1_,comdat
	.protected	_ZN7rocprim17ROCPRIM_400000_NS6detail17trampoline_kernelINS0_14default_configENS1_25partition_config_selectorILNS1_17partition_subalgoE1EsNS0_10empty_typeEbEEZZNS1_14partition_implILS5_1ELb0ES3_jN6thrust23THRUST_200600_302600_NS6detail15normal_iteratorINSA_10device_ptrIsEEEEPS6_NSA_18transform_iteratorI7is_evenIsESF_NSA_11use_defaultESK_EENS0_5tupleIJNSA_16discard_iteratorISK_EESF_EEENSM_IJSG_SG_EEES6_PlJS6_EEE10hipError_tPvRmT3_T4_T5_T6_T7_T9_mT8_P12ihipStream_tbDpT10_ENKUlT_T0_E_clISt17integral_constantIbLb1EES1A_IbLb0EEEEDaS16_S17_EUlS16_E_NS1_11comp_targetILNS1_3genE0ELNS1_11target_archE4294967295ELNS1_3gpuE0ELNS1_3repE0EEENS1_30default_config_static_selectorELNS0_4arch9wavefront6targetE1EEEvT1_ ; -- Begin function _ZN7rocprim17ROCPRIM_400000_NS6detail17trampoline_kernelINS0_14default_configENS1_25partition_config_selectorILNS1_17partition_subalgoE1EsNS0_10empty_typeEbEEZZNS1_14partition_implILS5_1ELb0ES3_jN6thrust23THRUST_200600_302600_NS6detail15normal_iteratorINSA_10device_ptrIsEEEEPS6_NSA_18transform_iteratorI7is_evenIsESF_NSA_11use_defaultESK_EENS0_5tupleIJNSA_16discard_iteratorISK_EESF_EEENSM_IJSG_SG_EEES6_PlJS6_EEE10hipError_tPvRmT3_T4_T5_T6_T7_T9_mT8_P12ihipStream_tbDpT10_ENKUlT_T0_E_clISt17integral_constantIbLb1EES1A_IbLb0EEEEDaS16_S17_EUlS16_E_NS1_11comp_targetILNS1_3genE0ELNS1_11target_archE4294967295ELNS1_3gpuE0ELNS1_3repE0EEENS1_30default_config_static_selectorELNS0_4arch9wavefront6targetE1EEEvT1_
	.globl	_ZN7rocprim17ROCPRIM_400000_NS6detail17trampoline_kernelINS0_14default_configENS1_25partition_config_selectorILNS1_17partition_subalgoE1EsNS0_10empty_typeEbEEZZNS1_14partition_implILS5_1ELb0ES3_jN6thrust23THRUST_200600_302600_NS6detail15normal_iteratorINSA_10device_ptrIsEEEEPS6_NSA_18transform_iteratorI7is_evenIsESF_NSA_11use_defaultESK_EENS0_5tupleIJNSA_16discard_iteratorISK_EESF_EEENSM_IJSG_SG_EEES6_PlJS6_EEE10hipError_tPvRmT3_T4_T5_T6_T7_T9_mT8_P12ihipStream_tbDpT10_ENKUlT_T0_E_clISt17integral_constantIbLb1EES1A_IbLb0EEEEDaS16_S17_EUlS16_E_NS1_11comp_targetILNS1_3genE0ELNS1_11target_archE4294967295ELNS1_3gpuE0ELNS1_3repE0EEENS1_30default_config_static_selectorELNS0_4arch9wavefront6targetE1EEEvT1_
	.p2align	8
	.type	_ZN7rocprim17ROCPRIM_400000_NS6detail17trampoline_kernelINS0_14default_configENS1_25partition_config_selectorILNS1_17partition_subalgoE1EsNS0_10empty_typeEbEEZZNS1_14partition_implILS5_1ELb0ES3_jN6thrust23THRUST_200600_302600_NS6detail15normal_iteratorINSA_10device_ptrIsEEEEPS6_NSA_18transform_iteratorI7is_evenIsESF_NSA_11use_defaultESK_EENS0_5tupleIJNSA_16discard_iteratorISK_EESF_EEENSM_IJSG_SG_EEES6_PlJS6_EEE10hipError_tPvRmT3_T4_T5_T6_T7_T9_mT8_P12ihipStream_tbDpT10_ENKUlT_T0_E_clISt17integral_constantIbLb1EES1A_IbLb0EEEEDaS16_S17_EUlS16_E_NS1_11comp_targetILNS1_3genE0ELNS1_11target_archE4294967295ELNS1_3gpuE0ELNS1_3repE0EEENS1_30default_config_static_selectorELNS0_4arch9wavefront6targetE1EEEvT1_,@function
_ZN7rocprim17ROCPRIM_400000_NS6detail17trampoline_kernelINS0_14default_configENS1_25partition_config_selectorILNS1_17partition_subalgoE1EsNS0_10empty_typeEbEEZZNS1_14partition_implILS5_1ELb0ES3_jN6thrust23THRUST_200600_302600_NS6detail15normal_iteratorINSA_10device_ptrIsEEEEPS6_NSA_18transform_iteratorI7is_evenIsESF_NSA_11use_defaultESK_EENS0_5tupleIJNSA_16discard_iteratorISK_EESF_EEENSM_IJSG_SG_EEES6_PlJS6_EEE10hipError_tPvRmT3_T4_T5_T6_T7_T9_mT8_P12ihipStream_tbDpT10_ENKUlT_T0_E_clISt17integral_constantIbLb1EES1A_IbLb0EEEEDaS16_S17_EUlS16_E_NS1_11comp_targetILNS1_3genE0ELNS1_11target_archE4294967295ELNS1_3gpuE0ELNS1_3repE0EEENS1_30default_config_static_selectorELNS0_4arch9wavefront6targetE1EEEvT1_: ; @_ZN7rocprim17ROCPRIM_400000_NS6detail17trampoline_kernelINS0_14default_configENS1_25partition_config_selectorILNS1_17partition_subalgoE1EsNS0_10empty_typeEbEEZZNS1_14partition_implILS5_1ELb0ES3_jN6thrust23THRUST_200600_302600_NS6detail15normal_iteratorINSA_10device_ptrIsEEEEPS6_NSA_18transform_iteratorI7is_evenIsESF_NSA_11use_defaultESK_EENS0_5tupleIJNSA_16discard_iteratorISK_EESF_EEENSM_IJSG_SG_EEES6_PlJS6_EEE10hipError_tPvRmT3_T4_T5_T6_T7_T9_mT8_P12ihipStream_tbDpT10_ENKUlT_T0_E_clISt17integral_constantIbLb1EES1A_IbLb0EEEEDaS16_S17_EUlS16_E_NS1_11comp_targetILNS1_3genE0ELNS1_11target_archE4294967295ELNS1_3gpuE0ELNS1_3repE0EEENS1_30default_config_static_selectorELNS0_4arch9wavefront6targetE1EEEvT1_
; %bb.0:
	.section	.rodata,"a",@progbits
	.p2align	6, 0x0
	.amdhsa_kernel _ZN7rocprim17ROCPRIM_400000_NS6detail17trampoline_kernelINS0_14default_configENS1_25partition_config_selectorILNS1_17partition_subalgoE1EsNS0_10empty_typeEbEEZZNS1_14partition_implILS5_1ELb0ES3_jN6thrust23THRUST_200600_302600_NS6detail15normal_iteratorINSA_10device_ptrIsEEEEPS6_NSA_18transform_iteratorI7is_evenIsESF_NSA_11use_defaultESK_EENS0_5tupleIJNSA_16discard_iteratorISK_EESF_EEENSM_IJSG_SG_EEES6_PlJS6_EEE10hipError_tPvRmT3_T4_T5_T6_T7_T9_mT8_P12ihipStream_tbDpT10_ENKUlT_T0_E_clISt17integral_constantIbLb1EES1A_IbLb0EEEEDaS16_S17_EUlS16_E_NS1_11comp_targetILNS1_3genE0ELNS1_11target_archE4294967295ELNS1_3gpuE0ELNS1_3repE0EEENS1_30default_config_static_selectorELNS0_4arch9wavefront6targetE1EEEvT1_
		.amdhsa_group_segment_fixed_size 0
		.amdhsa_private_segment_fixed_size 0
		.amdhsa_kernarg_size 136
		.amdhsa_user_sgpr_count 6
		.amdhsa_user_sgpr_private_segment_buffer 1
		.amdhsa_user_sgpr_dispatch_ptr 0
		.amdhsa_user_sgpr_queue_ptr 0
		.amdhsa_user_sgpr_kernarg_segment_ptr 1
		.amdhsa_user_sgpr_dispatch_id 0
		.amdhsa_user_sgpr_flat_scratch_init 0
		.amdhsa_user_sgpr_kernarg_preload_length 0
		.amdhsa_user_sgpr_kernarg_preload_offset 0
		.amdhsa_user_sgpr_private_segment_size 0
		.amdhsa_uses_dynamic_stack 0
		.amdhsa_system_sgpr_private_segment_wavefront_offset 0
		.amdhsa_system_sgpr_workgroup_id_x 1
		.amdhsa_system_sgpr_workgroup_id_y 0
		.amdhsa_system_sgpr_workgroup_id_z 0
		.amdhsa_system_sgpr_workgroup_info 0
		.amdhsa_system_vgpr_workitem_id 0
		.amdhsa_next_free_vgpr 1
		.amdhsa_next_free_sgpr 0
		.amdhsa_accum_offset 4
		.amdhsa_reserve_vcc 0
		.amdhsa_reserve_flat_scratch 0
		.amdhsa_float_round_mode_32 0
		.amdhsa_float_round_mode_16_64 0
		.amdhsa_float_denorm_mode_32 3
		.amdhsa_float_denorm_mode_16_64 3
		.amdhsa_dx10_clamp 1
		.amdhsa_ieee_mode 1
		.amdhsa_fp16_overflow 0
		.amdhsa_tg_split 0
		.amdhsa_exception_fp_ieee_invalid_op 0
		.amdhsa_exception_fp_denorm_src 0
		.amdhsa_exception_fp_ieee_div_zero 0
		.amdhsa_exception_fp_ieee_overflow 0
		.amdhsa_exception_fp_ieee_underflow 0
		.amdhsa_exception_fp_ieee_inexact 0
		.amdhsa_exception_int_div_zero 0
	.end_amdhsa_kernel
	.section	.text._ZN7rocprim17ROCPRIM_400000_NS6detail17trampoline_kernelINS0_14default_configENS1_25partition_config_selectorILNS1_17partition_subalgoE1EsNS0_10empty_typeEbEEZZNS1_14partition_implILS5_1ELb0ES3_jN6thrust23THRUST_200600_302600_NS6detail15normal_iteratorINSA_10device_ptrIsEEEEPS6_NSA_18transform_iteratorI7is_evenIsESF_NSA_11use_defaultESK_EENS0_5tupleIJNSA_16discard_iteratorISK_EESF_EEENSM_IJSG_SG_EEES6_PlJS6_EEE10hipError_tPvRmT3_T4_T5_T6_T7_T9_mT8_P12ihipStream_tbDpT10_ENKUlT_T0_E_clISt17integral_constantIbLb1EES1A_IbLb0EEEEDaS16_S17_EUlS16_E_NS1_11comp_targetILNS1_3genE0ELNS1_11target_archE4294967295ELNS1_3gpuE0ELNS1_3repE0EEENS1_30default_config_static_selectorELNS0_4arch9wavefront6targetE1EEEvT1_,"axG",@progbits,_ZN7rocprim17ROCPRIM_400000_NS6detail17trampoline_kernelINS0_14default_configENS1_25partition_config_selectorILNS1_17partition_subalgoE1EsNS0_10empty_typeEbEEZZNS1_14partition_implILS5_1ELb0ES3_jN6thrust23THRUST_200600_302600_NS6detail15normal_iteratorINSA_10device_ptrIsEEEEPS6_NSA_18transform_iteratorI7is_evenIsESF_NSA_11use_defaultESK_EENS0_5tupleIJNSA_16discard_iteratorISK_EESF_EEENSM_IJSG_SG_EEES6_PlJS6_EEE10hipError_tPvRmT3_T4_T5_T6_T7_T9_mT8_P12ihipStream_tbDpT10_ENKUlT_T0_E_clISt17integral_constantIbLb1EES1A_IbLb0EEEEDaS16_S17_EUlS16_E_NS1_11comp_targetILNS1_3genE0ELNS1_11target_archE4294967295ELNS1_3gpuE0ELNS1_3repE0EEENS1_30default_config_static_selectorELNS0_4arch9wavefront6targetE1EEEvT1_,comdat
.Lfunc_end3435:
	.size	_ZN7rocprim17ROCPRIM_400000_NS6detail17trampoline_kernelINS0_14default_configENS1_25partition_config_selectorILNS1_17partition_subalgoE1EsNS0_10empty_typeEbEEZZNS1_14partition_implILS5_1ELb0ES3_jN6thrust23THRUST_200600_302600_NS6detail15normal_iteratorINSA_10device_ptrIsEEEEPS6_NSA_18transform_iteratorI7is_evenIsESF_NSA_11use_defaultESK_EENS0_5tupleIJNSA_16discard_iteratorISK_EESF_EEENSM_IJSG_SG_EEES6_PlJS6_EEE10hipError_tPvRmT3_T4_T5_T6_T7_T9_mT8_P12ihipStream_tbDpT10_ENKUlT_T0_E_clISt17integral_constantIbLb1EES1A_IbLb0EEEEDaS16_S17_EUlS16_E_NS1_11comp_targetILNS1_3genE0ELNS1_11target_archE4294967295ELNS1_3gpuE0ELNS1_3repE0EEENS1_30default_config_static_selectorELNS0_4arch9wavefront6targetE1EEEvT1_, .Lfunc_end3435-_ZN7rocprim17ROCPRIM_400000_NS6detail17trampoline_kernelINS0_14default_configENS1_25partition_config_selectorILNS1_17partition_subalgoE1EsNS0_10empty_typeEbEEZZNS1_14partition_implILS5_1ELb0ES3_jN6thrust23THRUST_200600_302600_NS6detail15normal_iteratorINSA_10device_ptrIsEEEEPS6_NSA_18transform_iteratorI7is_evenIsESF_NSA_11use_defaultESK_EENS0_5tupleIJNSA_16discard_iteratorISK_EESF_EEENSM_IJSG_SG_EEES6_PlJS6_EEE10hipError_tPvRmT3_T4_T5_T6_T7_T9_mT8_P12ihipStream_tbDpT10_ENKUlT_T0_E_clISt17integral_constantIbLb1EES1A_IbLb0EEEEDaS16_S17_EUlS16_E_NS1_11comp_targetILNS1_3genE0ELNS1_11target_archE4294967295ELNS1_3gpuE0ELNS1_3repE0EEENS1_30default_config_static_selectorELNS0_4arch9wavefront6targetE1EEEvT1_
                                        ; -- End function
	.section	.AMDGPU.csdata,"",@progbits
; Kernel info:
; codeLenInByte = 0
; NumSgprs: 4
; NumVgprs: 0
; NumAgprs: 0
; TotalNumVgprs: 0
; ScratchSize: 0
; MemoryBound: 0
; FloatMode: 240
; IeeeMode: 1
; LDSByteSize: 0 bytes/workgroup (compile time only)
; SGPRBlocks: 0
; VGPRBlocks: 0
; NumSGPRsForWavesPerEU: 4
; NumVGPRsForWavesPerEU: 1
; AccumOffset: 4
; Occupancy: 8
; WaveLimiterHint : 0
; COMPUTE_PGM_RSRC2:SCRATCH_EN: 0
; COMPUTE_PGM_RSRC2:USER_SGPR: 6
; COMPUTE_PGM_RSRC2:TRAP_HANDLER: 0
; COMPUTE_PGM_RSRC2:TGID_X_EN: 1
; COMPUTE_PGM_RSRC2:TGID_Y_EN: 0
; COMPUTE_PGM_RSRC2:TGID_Z_EN: 0
; COMPUTE_PGM_RSRC2:TIDIG_COMP_CNT: 0
; COMPUTE_PGM_RSRC3_GFX90A:ACCUM_OFFSET: 0
; COMPUTE_PGM_RSRC3_GFX90A:TG_SPLIT: 0
	.section	.text._ZN7rocprim17ROCPRIM_400000_NS6detail17trampoline_kernelINS0_14default_configENS1_25partition_config_selectorILNS1_17partition_subalgoE1EsNS0_10empty_typeEbEEZZNS1_14partition_implILS5_1ELb0ES3_jN6thrust23THRUST_200600_302600_NS6detail15normal_iteratorINSA_10device_ptrIsEEEEPS6_NSA_18transform_iteratorI7is_evenIsESF_NSA_11use_defaultESK_EENS0_5tupleIJNSA_16discard_iteratorISK_EESF_EEENSM_IJSG_SG_EEES6_PlJS6_EEE10hipError_tPvRmT3_T4_T5_T6_T7_T9_mT8_P12ihipStream_tbDpT10_ENKUlT_T0_E_clISt17integral_constantIbLb1EES1A_IbLb0EEEEDaS16_S17_EUlS16_E_NS1_11comp_targetILNS1_3genE5ELNS1_11target_archE942ELNS1_3gpuE9ELNS1_3repE0EEENS1_30default_config_static_selectorELNS0_4arch9wavefront6targetE1EEEvT1_,"axG",@progbits,_ZN7rocprim17ROCPRIM_400000_NS6detail17trampoline_kernelINS0_14default_configENS1_25partition_config_selectorILNS1_17partition_subalgoE1EsNS0_10empty_typeEbEEZZNS1_14partition_implILS5_1ELb0ES3_jN6thrust23THRUST_200600_302600_NS6detail15normal_iteratorINSA_10device_ptrIsEEEEPS6_NSA_18transform_iteratorI7is_evenIsESF_NSA_11use_defaultESK_EENS0_5tupleIJNSA_16discard_iteratorISK_EESF_EEENSM_IJSG_SG_EEES6_PlJS6_EEE10hipError_tPvRmT3_T4_T5_T6_T7_T9_mT8_P12ihipStream_tbDpT10_ENKUlT_T0_E_clISt17integral_constantIbLb1EES1A_IbLb0EEEEDaS16_S17_EUlS16_E_NS1_11comp_targetILNS1_3genE5ELNS1_11target_archE942ELNS1_3gpuE9ELNS1_3repE0EEENS1_30default_config_static_selectorELNS0_4arch9wavefront6targetE1EEEvT1_,comdat
	.protected	_ZN7rocprim17ROCPRIM_400000_NS6detail17trampoline_kernelINS0_14default_configENS1_25partition_config_selectorILNS1_17partition_subalgoE1EsNS0_10empty_typeEbEEZZNS1_14partition_implILS5_1ELb0ES3_jN6thrust23THRUST_200600_302600_NS6detail15normal_iteratorINSA_10device_ptrIsEEEEPS6_NSA_18transform_iteratorI7is_evenIsESF_NSA_11use_defaultESK_EENS0_5tupleIJNSA_16discard_iteratorISK_EESF_EEENSM_IJSG_SG_EEES6_PlJS6_EEE10hipError_tPvRmT3_T4_T5_T6_T7_T9_mT8_P12ihipStream_tbDpT10_ENKUlT_T0_E_clISt17integral_constantIbLb1EES1A_IbLb0EEEEDaS16_S17_EUlS16_E_NS1_11comp_targetILNS1_3genE5ELNS1_11target_archE942ELNS1_3gpuE9ELNS1_3repE0EEENS1_30default_config_static_selectorELNS0_4arch9wavefront6targetE1EEEvT1_ ; -- Begin function _ZN7rocprim17ROCPRIM_400000_NS6detail17trampoline_kernelINS0_14default_configENS1_25partition_config_selectorILNS1_17partition_subalgoE1EsNS0_10empty_typeEbEEZZNS1_14partition_implILS5_1ELb0ES3_jN6thrust23THRUST_200600_302600_NS6detail15normal_iteratorINSA_10device_ptrIsEEEEPS6_NSA_18transform_iteratorI7is_evenIsESF_NSA_11use_defaultESK_EENS0_5tupleIJNSA_16discard_iteratorISK_EESF_EEENSM_IJSG_SG_EEES6_PlJS6_EEE10hipError_tPvRmT3_T4_T5_T6_T7_T9_mT8_P12ihipStream_tbDpT10_ENKUlT_T0_E_clISt17integral_constantIbLb1EES1A_IbLb0EEEEDaS16_S17_EUlS16_E_NS1_11comp_targetILNS1_3genE5ELNS1_11target_archE942ELNS1_3gpuE9ELNS1_3repE0EEENS1_30default_config_static_selectorELNS0_4arch9wavefront6targetE1EEEvT1_
	.globl	_ZN7rocprim17ROCPRIM_400000_NS6detail17trampoline_kernelINS0_14default_configENS1_25partition_config_selectorILNS1_17partition_subalgoE1EsNS0_10empty_typeEbEEZZNS1_14partition_implILS5_1ELb0ES3_jN6thrust23THRUST_200600_302600_NS6detail15normal_iteratorINSA_10device_ptrIsEEEEPS6_NSA_18transform_iteratorI7is_evenIsESF_NSA_11use_defaultESK_EENS0_5tupleIJNSA_16discard_iteratorISK_EESF_EEENSM_IJSG_SG_EEES6_PlJS6_EEE10hipError_tPvRmT3_T4_T5_T6_T7_T9_mT8_P12ihipStream_tbDpT10_ENKUlT_T0_E_clISt17integral_constantIbLb1EES1A_IbLb0EEEEDaS16_S17_EUlS16_E_NS1_11comp_targetILNS1_3genE5ELNS1_11target_archE942ELNS1_3gpuE9ELNS1_3repE0EEENS1_30default_config_static_selectorELNS0_4arch9wavefront6targetE1EEEvT1_
	.p2align	8
	.type	_ZN7rocprim17ROCPRIM_400000_NS6detail17trampoline_kernelINS0_14default_configENS1_25partition_config_selectorILNS1_17partition_subalgoE1EsNS0_10empty_typeEbEEZZNS1_14partition_implILS5_1ELb0ES3_jN6thrust23THRUST_200600_302600_NS6detail15normal_iteratorINSA_10device_ptrIsEEEEPS6_NSA_18transform_iteratorI7is_evenIsESF_NSA_11use_defaultESK_EENS0_5tupleIJNSA_16discard_iteratorISK_EESF_EEENSM_IJSG_SG_EEES6_PlJS6_EEE10hipError_tPvRmT3_T4_T5_T6_T7_T9_mT8_P12ihipStream_tbDpT10_ENKUlT_T0_E_clISt17integral_constantIbLb1EES1A_IbLb0EEEEDaS16_S17_EUlS16_E_NS1_11comp_targetILNS1_3genE5ELNS1_11target_archE942ELNS1_3gpuE9ELNS1_3repE0EEENS1_30default_config_static_selectorELNS0_4arch9wavefront6targetE1EEEvT1_,@function
_ZN7rocprim17ROCPRIM_400000_NS6detail17trampoline_kernelINS0_14default_configENS1_25partition_config_selectorILNS1_17partition_subalgoE1EsNS0_10empty_typeEbEEZZNS1_14partition_implILS5_1ELb0ES3_jN6thrust23THRUST_200600_302600_NS6detail15normal_iteratorINSA_10device_ptrIsEEEEPS6_NSA_18transform_iteratorI7is_evenIsESF_NSA_11use_defaultESK_EENS0_5tupleIJNSA_16discard_iteratorISK_EESF_EEENSM_IJSG_SG_EEES6_PlJS6_EEE10hipError_tPvRmT3_T4_T5_T6_T7_T9_mT8_P12ihipStream_tbDpT10_ENKUlT_T0_E_clISt17integral_constantIbLb1EES1A_IbLb0EEEEDaS16_S17_EUlS16_E_NS1_11comp_targetILNS1_3genE5ELNS1_11target_archE942ELNS1_3gpuE9ELNS1_3repE0EEENS1_30default_config_static_selectorELNS0_4arch9wavefront6targetE1EEEvT1_: ; @_ZN7rocprim17ROCPRIM_400000_NS6detail17trampoline_kernelINS0_14default_configENS1_25partition_config_selectorILNS1_17partition_subalgoE1EsNS0_10empty_typeEbEEZZNS1_14partition_implILS5_1ELb0ES3_jN6thrust23THRUST_200600_302600_NS6detail15normal_iteratorINSA_10device_ptrIsEEEEPS6_NSA_18transform_iteratorI7is_evenIsESF_NSA_11use_defaultESK_EENS0_5tupleIJNSA_16discard_iteratorISK_EESF_EEENSM_IJSG_SG_EEES6_PlJS6_EEE10hipError_tPvRmT3_T4_T5_T6_T7_T9_mT8_P12ihipStream_tbDpT10_ENKUlT_T0_E_clISt17integral_constantIbLb1EES1A_IbLb0EEEEDaS16_S17_EUlS16_E_NS1_11comp_targetILNS1_3genE5ELNS1_11target_archE942ELNS1_3gpuE9ELNS1_3repE0EEENS1_30default_config_static_selectorELNS0_4arch9wavefront6targetE1EEEvT1_
; %bb.0:
	.section	.rodata,"a",@progbits
	.p2align	6, 0x0
	.amdhsa_kernel _ZN7rocprim17ROCPRIM_400000_NS6detail17trampoline_kernelINS0_14default_configENS1_25partition_config_selectorILNS1_17partition_subalgoE1EsNS0_10empty_typeEbEEZZNS1_14partition_implILS5_1ELb0ES3_jN6thrust23THRUST_200600_302600_NS6detail15normal_iteratorINSA_10device_ptrIsEEEEPS6_NSA_18transform_iteratorI7is_evenIsESF_NSA_11use_defaultESK_EENS0_5tupleIJNSA_16discard_iteratorISK_EESF_EEENSM_IJSG_SG_EEES6_PlJS6_EEE10hipError_tPvRmT3_T4_T5_T6_T7_T9_mT8_P12ihipStream_tbDpT10_ENKUlT_T0_E_clISt17integral_constantIbLb1EES1A_IbLb0EEEEDaS16_S17_EUlS16_E_NS1_11comp_targetILNS1_3genE5ELNS1_11target_archE942ELNS1_3gpuE9ELNS1_3repE0EEENS1_30default_config_static_selectorELNS0_4arch9wavefront6targetE1EEEvT1_
		.amdhsa_group_segment_fixed_size 0
		.amdhsa_private_segment_fixed_size 0
		.amdhsa_kernarg_size 136
		.amdhsa_user_sgpr_count 6
		.amdhsa_user_sgpr_private_segment_buffer 1
		.amdhsa_user_sgpr_dispatch_ptr 0
		.amdhsa_user_sgpr_queue_ptr 0
		.amdhsa_user_sgpr_kernarg_segment_ptr 1
		.amdhsa_user_sgpr_dispatch_id 0
		.amdhsa_user_sgpr_flat_scratch_init 0
		.amdhsa_user_sgpr_kernarg_preload_length 0
		.amdhsa_user_sgpr_kernarg_preload_offset 0
		.amdhsa_user_sgpr_private_segment_size 0
		.amdhsa_uses_dynamic_stack 0
		.amdhsa_system_sgpr_private_segment_wavefront_offset 0
		.amdhsa_system_sgpr_workgroup_id_x 1
		.amdhsa_system_sgpr_workgroup_id_y 0
		.amdhsa_system_sgpr_workgroup_id_z 0
		.amdhsa_system_sgpr_workgroup_info 0
		.amdhsa_system_vgpr_workitem_id 0
		.amdhsa_next_free_vgpr 1
		.amdhsa_next_free_sgpr 0
		.amdhsa_accum_offset 4
		.amdhsa_reserve_vcc 0
		.amdhsa_reserve_flat_scratch 0
		.amdhsa_float_round_mode_32 0
		.amdhsa_float_round_mode_16_64 0
		.amdhsa_float_denorm_mode_32 3
		.amdhsa_float_denorm_mode_16_64 3
		.amdhsa_dx10_clamp 1
		.amdhsa_ieee_mode 1
		.amdhsa_fp16_overflow 0
		.amdhsa_tg_split 0
		.amdhsa_exception_fp_ieee_invalid_op 0
		.amdhsa_exception_fp_denorm_src 0
		.amdhsa_exception_fp_ieee_div_zero 0
		.amdhsa_exception_fp_ieee_overflow 0
		.amdhsa_exception_fp_ieee_underflow 0
		.amdhsa_exception_fp_ieee_inexact 0
		.amdhsa_exception_int_div_zero 0
	.end_amdhsa_kernel
	.section	.text._ZN7rocprim17ROCPRIM_400000_NS6detail17trampoline_kernelINS0_14default_configENS1_25partition_config_selectorILNS1_17partition_subalgoE1EsNS0_10empty_typeEbEEZZNS1_14partition_implILS5_1ELb0ES3_jN6thrust23THRUST_200600_302600_NS6detail15normal_iteratorINSA_10device_ptrIsEEEEPS6_NSA_18transform_iteratorI7is_evenIsESF_NSA_11use_defaultESK_EENS0_5tupleIJNSA_16discard_iteratorISK_EESF_EEENSM_IJSG_SG_EEES6_PlJS6_EEE10hipError_tPvRmT3_T4_T5_T6_T7_T9_mT8_P12ihipStream_tbDpT10_ENKUlT_T0_E_clISt17integral_constantIbLb1EES1A_IbLb0EEEEDaS16_S17_EUlS16_E_NS1_11comp_targetILNS1_3genE5ELNS1_11target_archE942ELNS1_3gpuE9ELNS1_3repE0EEENS1_30default_config_static_selectorELNS0_4arch9wavefront6targetE1EEEvT1_,"axG",@progbits,_ZN7rocprim17ROCPRIM_400000_NS6detail17trampoline_kernelINS0_14default_configENS1_25partition_config_selectorILNS1_17partition_subalgoE1EsNS0_10empty_typeEbEEZZNS1_14partition_implILS5_1ELb0ES3_jN6thrust23THRUST_200600_302600_NS6detail15normal_iteratorINSA_10device_ptrIsEEEEPS6_NSA_18transform_iteratorI7is_evenIsESF_NSA_11use_defaultESK_EENS0_5tupleIJNSA_16discard_iteratorISK_EESF_EEENSM_IJSG_SG_EEES6_PlJS6_EEE10hipError_tPvRmT3_T4_T5_T6_T7_T9_mT8_P12ihipStream_tbDpT10_ENKUlT_T0_E_clISt17integral_constantIbLb1EES1A_IbLb0EEEEDaS16_S17_EUlS16_E_NS1_11comp_targetILNS1_3genE5ELNS1_11target_archE942ELNS1_3gpuE9ELNS1_3repE0EEENS1_30default_config_static_selectorELNS0_4arch9wavefront6targetE1EEEvT1_,comdat
.Lfunc_end3436:
	.size	_ZN7rocprim17ROCPRIM_400000_NS6detail17trampoline_kernelINS0_14default_configENS1_25partition_config_selectorILNS1_17partition_subalgoE1EsNS0_10empty_typeEbEEZZNS1_14partition_implILS5_1ELb0ES3_jN6thrust23THRUST_200600_302600_NS6detail15normal_iteratorINSA_10device_ptrIsEEEEPS6_NSA_18transform_iteratorI7is_evenIsESF_NSA_11use_defaultESK_EENS0_5tupleIJNSA_16discard_iteratorISK_EESF_EEENSM_IJSG_SG_EEES6_PlJS6_EEE10hipError_tPvRmT3_T4_T5_T6_T7_T9_mT8_P12ihipStream_tbDpT10_ENKUlT_T0_E_clISt17integral_constantIbLb1EES1A_IbLb0EEEEDaS16_S17_EUlS16_E_NS1_11comp_targetILNS1_3genE5ELNS1_11target_archE942ELNS1_3gpuE9ELNS1_3repE0EEENS1_30default_config_static_selectorELNS0_4arch9wavefront6targetE1EEEvT1_, .Lfunc_end3436-_ZN7rocprim17ROCPRIM_400000_NS6detail17trampoline_kernelINS0_14default_configENS1_25partition_config_selectorILNS1_17partition_subalgoE1EsNS0_10empty_typeEbEEZZNS1_14partition_implILS5_1ELb0ES3_jN6thrust23THRUST_200600_302600_NS6detail15normal_iteratorINSA_10device_ptrIsEEEEPS6_NSA_18transform_iteratorI7is_evenIsESF_NSA_11use_defaultESK_EENS0_5tupleIJNSA_16discard_iteratorISK_EESF_EEENSM_IJSG_SG_EEES6_PlJS6_EEE10hipError_tPvRmT3_T4_T5_T6_T7_T9_mT8_P12ihipStream_tbDpT10_ENKUlT_T0_E_clISt17integral_constantIbLb1EES1A_IbLb0EEEEDaS16_S17_EUlS16_E_NS1_11comp_targetILNS1_3genE5ELNS1_11target_archE942ELNS1_3gpuE9ELNS1_3repE0EEENS1_30default_config_static_selectorELNS0_4arch9wavefront6targetE1EEEvT1_
                                        ; -- End function
	.section	.AMDGPU.csdata,"",@progbits
; Kernel info:
; codeLenInByte = 0
; NumSgprs: 4
; NumVgprs: 0
; NumAgprs: 0
; TotalNumVgprs: 0
; ScratchSize: 0
; MemoryBound: 0
; FloatMode: 240
; IeeeMode: 1
; LDSByteSize: 0 bytes/workgroup (compile time only)
; SGPRBlocks: 0
; VGPRBlocks: 0
; NumSGPRsForWavesPerEU: 4
; NumVGPRsForWavesPerEU: 1
; AccumOffset: 4
; Occupancy: 8
; WaveLimiterHint : 0
; COMPUTE_PGM_RSRC2:SCRATCH_EN: 0
; COMPUTE_PGM_RSRC2:USER_SGPR: 6
; COMPUTE_PGM_RSRC2:TRAP_HANDLER: 0
; COMPUTE_PGM_RSRC2:TGID_X_EN: 1
; COMPUTE_PGM_RSRC2:TGID_Y_EN: 0
; COMPUTE_PGM_RSRC2:TGID_Z_EN: 0
; COMPUTE_PGM_RSRC2:TIDIG_COMP_CNT: 0
; COMPUTE_PGM_RSRC3_GFX90A:ACCUM_OFFSET: 0
; COMPUTE_PGM_RSRC3_GFX90A:TG_SPLIT: 0
	.section	.text._ZN7rocprim17ROCPRIM_400000_NS6detail17trampoline_kernelINS0_14default_configENS1_25partition_config_selectorILNS1_17partition_subalgoE1EsNS0_10empty_typeEbEEZZNS1_14partition_implILS5_1ELb0ES3_jN6thrust23THRUST_200600_302600_NS6detail15normal_iteratorINSA_10device_ptrIsEEEEPS6_NSA_18transform_iteratorI7is_evenIsESF_NSA_11use_defaultESK_EENS0_5tupleIJNSA_16discard_iteratorISK_EESF_EEENSM_IJSG_SG_EEES6_PlJS6_EEE10hipError_tPvRmT3_T4_T5_T6_T7_T9_mT8_P12ihipStream_tbDpT10_ENKUlT_T0_E_clISt17integral_constantIbLb1EES1A_IbLb0EEEEDaS16_S17_EUlS16_E_NS1_11comp_targetILNS1_3genE4ELNS1_11target_archE910ELNS1_3gpuE8ELNS1_3repE0EEENS1_30default_config_static_selectorELNS0_4arch9wavefront6targetE1EEEvT1_,"axG",@progbits,_ZN7rocprim17ROCPRIM_400000_NS6detail17trampoline_kernelINS0_14default_configENS1_25partition_config_selectorILNS1_17partition_subalgoE1EsNS0_10empty_typeEbEEZZNS1_14partition_implILS5_1ELb0ES3_jN6thrust23THRUST_200600_302600_NS6detail15normal_iteratorINSA_10device_ptrIsEEEEPS6_NSA_18transform_iteratorI7is_evenIsESF_NSA_11use_defaultESK_EENS0_5tupleIJNSA_16discard_iteratorISK_EESF_EEENSM_IJSG_SG_EEES6_PlJS6_EEE10hipError_tPvRmT3_T4_T5_T6_T7_T9_mT8_P12ihipStream_tbDpT10_ENKUlT_T0_E_clISt17integral_constantIbLb1EES1A_IbLb0EEEEDaS16_S17_EUlS16_E_NS1_11comp_targetILNS1_3genE4ELNS1_11target_archE910ELNS1_3gpuE8ELNS1_3repE0EEENS1_30default_config_static_selectorELNS0_4arch9wavefront6targetE1EEEvT1_,comdat
	.protected	_ZN7rocprim17ROCPRIM_400000_NS6detail17trampoline_kernelINS0_14default_configENS1_25partition_config_selectorILNS1_17partition_subalgoE1EsNS0_10empty_typeEbEEZZNS1_14partition_implILS5_1ELb0ES3_jN6thrust23THRUST_200600_302600_NS6detail15normal_iteratorINSA_10device_ptrIsEEEEPS6_NSA_18transform_iteratorI7is_evenIsESF_NSA_11use_defaultESK_EENS0_5tupleIJNSA_16discard_iteratorISK_EESF_EEENSM_IJSG_SG_EEES6_PlJS6_EEE10hipError_tPvRmT3_T4_T5_T6_T7_T9_mT8_P12ihipStream_tbDpT10_ENKUlT_T0_E_clISt17integral_constantIbLb1EES1A_IbLb0EEEEDaS16_S17_EUlS16_E_NS1_11comp_targetILNS1_3genE4ELNS1_11target_archE910ELNS1_3gpuE8ELNS1_3repE0EEENS1_30default_config_static_selectorELNS0_4arch9wavefront6targetE1EEEvT1_ ; -- Begin function _ZN7rocprim17ROCPRIM_400000_NS6detail17trampoline_kernelINS0_14default_configENS1_25partition_config_selectorILNS1_17partition_subalgoE1EsNS0_10empty_typeEbEEZZNS1_14partition_implILS5_1ELb0ES3_jN6thrust23THRUST_200600_302600_NS6detail15normal_iteratorINSA_10device_ptrIsEEEEPS6_NSA_18transform_iteratorI7is_evenIsESF_NSA_11use_defaultESK_EENS0_5tupleIJNSA_16discard_iteratorISK_EESF_EEENSM_IJSG_SG_EEES6_PlJS6_EEE10hipError_tPvRmT3_T4_T5_T6_T7_T9_mT8_P12ihipStream_tbDpT10_ENKUlT_T0_E_clISt17integral_constantIbLb1EES1A_IbLb0EEEEDaS16_S17_EUlS16_E_NS1_11comp_targetILNS1_3genE4ELNS1_11target_archE910ELNS1_3gpuE8ELNS1_3repE0EEENS1_30default_config_static_selectorELNS0_4arch9wavefront6targetE1EEEvT1_
	.globl	_ZN7rocprim17ROCPRIM_400000_NS6detail17trampoline_kernelINS0_14default_configENS1_25partition_config_selectorILNS1_17partition_subalgoE1EsNS0_10empty_typeEbEEZZNS1_14partition_implILS5_1ELb0ES3_jN6thrust23THRUST_200600_302600_NS6detail15normal_iteratorINSA_10device_ptrIsEEEEPS6_NSA_18transform_iteratorI7is_evenIsESF_NSA_11use_defaultESK_EENS0_5tupleIJNSA_16discard_iteratorISK_EESF_EEENSM_IJSG_SG_EEES6_PlJS6_EEE10hipError_tPvRmT3_T4_T5_T6_T7_T9_mT8_P12ihipStream_tbDpT10_ENKUlT_T0_E_clISt17integral_constantIbLb1EES1A_IbLb0EEEEDaS16_S17_EUlS16_E_NS1_11comp_targetILNS1_3genE4ELNS1_11target_archE910ELNS1_3gpuE8ELNS1_3repE0EEENS1_30default_config_static_selectorELNS0_4arch9wavefront6targetE1EEEvT1_
	.p2align	8
	.type	_ZN7rocprim17ROCPRIM_400000_NS6detail17trampoline_kernelINS0_14default_configENS1_25partition_config_selectorILNS1_17partition_subalgoE1EsNS0_10empty_typeEbEEZZNS1_14partition_implILS5_1ELb0ES3_jN6thrust23THRUST_200600_302600_NS6detail15normal_iteratorINSA_10device_ptrIsEEEEPS6_NSA_18transform_iteratorI7is_evenIsESF_NSA_11use_defaultESK_EENS0_5tupleIJNSA_16discard_iteratorISK_EESF_EEENSM_IJSG_SG_EEES6_PlJS6_EEE10hipError_tPvRmT3_T4_T5_T6_T7_T9_mT8_P12ihipStream_tbDpT10_ENKUlT_T0_E_clISt17integral_constantIbLb1EES1A_IbLb0EEEEDaS16_S17_EUlS16_E_NS1_11comp_targetILNS1_3genE4ELNS1_11target_archE910ELNS1_3gpuE8ELNS1_3repE0EEENS1_30default_config_static_selectorELNS0_4arch9wavefront6targetE1EEEvT1_,@function
_ZN7rocprim17ROCPRIM_400000_NS6detail17trampoline_kernelINS0_14default_configENS1_25partition_config_selectorILNS1_17partition_subalgoE1EsNS0_10empty_typeEbEEZZNS1_14partition_implILS5_1ELb0ES3_jN6thrust23THRUST_200600_302600_NS6detail15normal_iteratorINSA_10device_ptrIsEEEEPS6_NSA_18transform_iteratorI7is_evenIsESF_NSA_11use_defaultESK_EENS0_5tupleIJNSA_16discard_iteratorISK_EESF_EEENSM_IJSG_SG_EEES6_PlJS6_EEE10hipError_tPvRmT3_T4_T5_T6_T7_T9_mT8_P12ihipStream_tbDpT10_ENKUlT_T0_E_clISt17integral_constantIbLb1EES1A_IbLb0EEEEDaS16_S17_EUlS16_E_NS1_11comp_targetILNS1_3genE4ELNS1_11target_archE910ELNS1_3gpuE8ELNS1_3repE0EEENS1_30default_config_static_selectorELNS0_4arch9wavefront6targetE1EEEvT1_: ; @_ZN7rocprim17ROCPRIM_400000_NS6detail17trampoline_kernelINS0_14default_configENS1_25partition_config_selectorILNS1_17partition_subalgoE1EsNS0_10empty_typeEbEEZZNS1_14partition_implILS5_1ELb0ES3_jN6thrust23THRUST_200600_302600_NS6detail15normal_iteratorINSA_10device_ptrIsEEEEPS6_NSA_18transform_iteratorI7is_evenIsESF_NSA_11use_defaultESK_EENS0_5tupleIJNSA_16discard_iteratorISK_EESF_EEENSM_IJSG_SG_EEES6_PlJS6_EEE10hipError_tPvRmT3_T4_T5_T6_T7_T9_mT8_P12ihipStream_tbDpT10_ENKUlT_T0_E_clISt17integral_constantIbLb1EES1A_IbLb0EEEEDaS16_S17_EUlS16_E_NS1_11comp_targetILNS1_3genE4ELNS1_11target_archE910ELNS1_3gpuE8ELNS1_3repE0EEENS1_30default_config_static_selectorELNS0_4arch9wavefront6targetE1EEEvT1_
; %bb.0:
	s_load_dwordx2 s[0:1], s[4:5], 0x68
	s_load_dwordx4 s[24:27], s[4:5], 0x8
	s_load_dwordx2 s[2:3], s[4:5], 0x20
	s_load_dwordx4 s[20:23], s[4:5], 0x58
	s_mul_i32 s10, s6, 0x1400
	s_waitcnt lgkmcnt(0)
	v_mov_b32_e32 v3, s1
	s_load_dword s1, s[4:5], 0x80
	s_lshl_b64 s[8:9], s[26:27], 1
	s_add_u32 s7, s24, s8
	s_addc_u32 s12, s25, s9
	v_mov_b32_e32 v2, s0
	s_waitcnt lgkmcnt(0)
	s_add_i32 s13, s1, -1
	s_mulk_i32 s1, 0x1400
	s_add_i32 s11, s1, s26
	s_sub_i32 s33, s0, s11
	s_addk_i32 s33, 0x1400
	s_add_u32 s0, s26, s1
	s_addc_u32 s1, s27, 0
	s_cmp_eq_u32 s6, s13
	s_load_dwordx2 s[28:29], s[22:23], 0x0
	s_cselect_b64 s[22:23], -1, 0
	s_cmp_lg_u32 s6, s13
	s_mov_b32 s11, 0
	v_cmp_lt_u64_e32 vcc, s[0:1], v[2:3]
	s_cselect_b64 s[0:1], -1, 0
	s_or_b64 s[24:25], s[0:1], vcc
	s_lshl_b64 s[30:31], s[10:11], 1
	s_add_u32 s7, s7, s30
	s_addc_u32 s12, s12, s31
	s_mov_b64 s[0:1], -1
	s_and_b64 vcc, exec, s[24:25]
	v_lshlrev_b32_e32 v26, 1, v0
	s_cbranch_vccz .LBB3437_2
; %bb.1:
	v_mov_b32_e32 v1, s12
	v_add_co_u32_e32 v2, vcc, s7, v26
	v_addc_co_u32_e32 v3, vcc, 0, v1, vcc
	v_add_co_u32_e32 v4, vcc, 0x1000, v2
	v_addc_co_u32_e32 v5, vcc, 0, v3, vcc
	flat_load_ushort v1, v[2:3]
	flat_load_ushort v6, v[2:3] offset:512
	flat_load_ushort v7, v[2:3] offset:1024
	;; [unrolled: 1-line block ×7, first 2 shown]
	v_add_co_u32_e32 v2, vcc, 0x2000, v2
	v_addc_co_u32_e32 v3, vcc, 0, v3, vcc
	flat_load_ushort v13, v[4:5]
	flat_load_ushort v14, v[4:5] offset:512
	flat_load_ushort v15, v[4:5] offset:1024
	;; [unrolled: 1-line block ×7, first 2 shown]
	s_nop 0
	flat_load_ushort v4, v[2:3]
	flat_load_ushort v5, v[2:3] offset:512
	flat_load_ushort v21, v[2:3] offset:1024
	;; [unrolled: 1-line block ×3, first 2 shown]
	s_mov_b64 s[0:1], 0
	s_waitcnt vmcnt(0) lgkmcnt(0)
	ds_write_b16 v26, v1
	ds_write_b16 v26, v6 offset:512
	ds_write_b16 v26, v7 offset:1024
	;; [unrolled: 1-line block ×19, first 2 shown]
	s_waitcnt lgkmcnt(0)
	s_barrier
.LBB3437_2:
	s_andn2_b64 vcc, exec, s[0:1]
	v_cmp_gt_u32_e64 s[0:1], s33, v0
	s_cbranch_vccnz .LBB3437_44
; %bb.3:
                                        ; implicit-def: $vgpr1
	s_and_saveexec_b64 s[10:11], s[0:1]
	s_cbranch_execz .LBB3437_5
; %bb.4:
	v_mov_b32_e32 v1, s12
	v_add_co_u32_e32 v2, vcc, s7, v26
	v_addc_co_u32_e32 v3, vcc, 0, v1, vcc
	flat_load_ushort v1, v[2:3]
.LBB3437_5:
	s_or_b64 exec, exec, s[10:11]
	v_or_b32_e32 v2, 0x100, v0
	v_cmp_gt_u32_e32 vcc, s33, v2
                                        ; implicit-def: $vgpr2
	s_and_saveexec_b64 s[0:1], vcc
	s_cbranch_execz .LBB3437_7
; %bb.6:
	v_mov_b32_e32 v3, s12
	v_add_co_u32_e32 v2, vcc, s7, v26
	v_addc_co_u32_e32 v3, vcc, 0, v3, vcc
	flat_load_ushort v2, v[2:3] offset:512
.LBB3437_7:
	s_or_b64 exec, exec, s[0:1]
	v_or_b32_e32 v3, 0x200, v0
	v_cmp_gt_u32_e32 vcc, s33, v3
                                        ; implicit-def: $vgpr3
	s_and_saveexec_b64 s[0:1], vcc
	s_cbranch_execz .LBB3437_9
; %bb.8:
	v_mov_b32_e32 v3, s12
	v_add_co_u32_e32 v4, vcc, s7, v26
	v_addc_co_u32_e32 v5, vcc, 0, v3, vcc
	flat_load_ushort v3, v[4:5] offset:1024
.LBB3437_9:
	s_or_b64 exec, exec, s[0:1]
	v_or_b32_e32 v4, 0x300, v0
	v_cmp_gt_u32_e32 vcc, s33, v4
                                        ; implicit-def: $vgpr4
	s_and_saveexec_b64 s[0:1], vcc
	s_cbranch_execz .LBB3437_11
; %bb.10:
	v_mov_b32_e32 v5, s12
	v_add_co_u32_e32 v4, vcc, s7, v26
	v_addc_co_u32_e32 v5, vcc, 0, v5, vcc
	flat_load_ushort v4, v[4:5] offset:1536
.LBB3437_11:
	s_or_b64 exec, exec, s[0:1]
	v_or_b32_e32 v5, 0x400, v0
	v_cmp_gt_u32_e32 vcc, s33, v5
                                        ; implicit-def: $vgpr5
	s_and_saveexec_b64 s[0:1], vcc
	s_cbranch_execz .LBB3437_13
; %bb.12:
	v_mov_b32_e32 v5, s12
	v_add_co_u32_e32 v6, vcc, s7, v26
	v_addc_co_u32_e32 v7, vcc, 0, v5, vcc
	flat_load_ushort v5, v[6:7] offset:2048
.LBB3437_13:
	s_or_b64 exec, exec, s[0:1]
	v_or_b32_e32 v6, 0x500, v0
	v_cmp_gt_u32_e32 vcc, s33, v6
                                        ; implicit-def: $vgpr6
	s_and_saveexec_b64 s[0:1], vcc
	s_cbranch_execz .LBB3437_15
; %bb.14:
	v_mov_b32_e32 v7, s12
	v_add_co_u32_e32 v6, vcc, s7, v26
	v_addc_co_u32_e32 v7, vcc, 0, v7, vcc
	flat_load_ushort v6, v[6:7] offset:2560
.LBB3437_15:
	s_or_b64 exec, exec, s[0:1]
	v_or_b32_e32 v7, 0x600, v0
	v_cmp_gt_u32_e32 vcc, s33, v7
                                        ; implicit-def: $vgpr7
	s_and_saveexec_b64 s[0:1], vcc
	s_cbranch_execz .LBB3437_17
; %bb.16:
	v_mov_b32_e32 v7, s12
	v_add_co_u32_e32 v8, vcc, s7, v26
	v_addc_co_u32_e32 v9, vcc, 0, v7, vcc
	flat_load_ushort v7, v[8:9] offset:3072
.LBB3437_17:
	s_or_b64 exec, exec, s[0:1]
	v_or_b32_e32 v8, 0x700, v0
	v_cmp_gt_u32_e32 vcc, s33, v8
                                        ; implicit-def: $vgpr8
	s_and_saveexec_b64 s[0:1], vcc
	s_cbranch_execz .LBB3437_19
; %bb.18:
	v_mov_b32_e32 v9, s12
	v_add_co_u32_e32 v8, vcc, s7, v26
	v_addc_co_u32_e32 v9, vcc, 0, v9, vcc
	flat_load_ushort v8, v[8:9] offset:3584
.LBB3437_19:
	s_or_b64 exec, exec, s[0:1]
	v_or_b32_e32 v10, 0x800, v0
	v_cmp_gt_u32_e32 vcc, s33, v10
                                        ; implicit-def: $vgpr9
	s_and_saveexec_b64 s[0:1], vcc
	s_cbranch_execz .LBB3437_21
; %bb.20:
	v_lshlrev_b32_e32 v9, 1, v10
	v_mov_b32_e32 v11, s12
	v_add_co_u32_e32 v10, vcc, s7, v9
	v_addc_co_u32_e32 v11, vcc, 0, v11, vcc
	flat_load_ushort v9, v[10:11]
.LBB3437_21:
	s_or_b64 exec, exec, s[0:1]
	v_or_b32_e32 v11, 0x900, v0
	v_cmp_gt_u32_e32 vcc, s33, v11
                                        ; implicit-def: $vgpr10
	s_and_saveexec_b64 s[0:1], vcc
	s_cbranch_execz .LBB3437_23
; %bb.22:
	v_lshlrev_b32_e32 v10, 1, v11
	v_mov_b32_e32 v11, s12
	v_add_co_u32_e32 v10, vcc, s7, v10
	v_addc_co_u32_e32 v11, vcc, 0, v11, vcc
	flat_load_ushort v10, v[10:11]
.LBB3437_23:
	s_or_b64 exec, exec, s[0:1]
	v_or_b32_e32 v12, 0xa00, v0
	v_cmp_gt_u32_e32 vcc, s33, v12
                                        ; implicit-def: $vgpr11
	s_and_saveexec_b64 s[0:1], vcc
	s_cbranch_execz .LBB3437_25
; %bb.24:
	v_lshlrev_b32_e32 v11, 1, v12
	v_mov_b32_e32 v13, s12
	v_add_co_u32_e32 v12, vcc, s7, v11
	v_addc_co_u32_e32 v13, vcc, 0, v13, vcc
	flat_load_ushort v11, v[12:13]
.LBB3437_25:
	s_or_b64 exec, exec, s[0:1]
	v_or_b32_e32 v13, 0xb00, v0
	v_cmp_gt_u32_e32 vcc, s33, v13
                                        ; implicit-def: $vgpr12
	s_and_saveexec_b64 s[0:1], vcc
	s_cbranch_execz .LBB3437_27
; %bb.26:
	v_lshlrev_b32_e32 v12, 1, v13
	v_mov_b32_e32 v13, s12
	v_add_co_u32_e32 v12, vcc, s7, v12
	v_addc_co_u32_e32 v13, vcc, 0, v13, vcc
	flat_load_ushort v12, v[12:13]
.LBB3437_27:
	s_or_b64 exec, exec, s[0:1]
	v_or_b32_e32 v14, 0xc00, v0
	v_cmp_gt_u32_e32 vcc, s33, v14
                                        ; implicit-def: $vgpr13
	s_and_saveexec_b64 s[0:1], vcc
	s_cbranch_execz .LBB3437_29
; %bb.28:
	v_lshlrev_b32_e32 v13, 1, v14
	v_mov_b32_e32 v15, s12
	v_add_co_u32_e32 v14, vcc, s7, v13
	v_addc_co_u32_e32 v15, vcc, 0, v15, vcc
	flat_load_ushort v13, v[14:15]
.LBB3437_29:
	s_or_b64 exec, exec, s[0:1]
	v_or_b32_e32 v15, 0xd00, v0
	v_cmp_gt_u32_e32 vcc, s33, v15
                                        ; implicit-def: $vgpr14
	s_and_saveexec_b64 s[0:1], vcc
	s_cbranch_execz .LBB3437_31
; %bb.30:
	v_lshlrev_b32_e32 v14, 1, v15
	v_mov_b32_e32 v15, s12
	v_add_co_u32_e32 v14, vcc, s7, v14
	v_addc_co_u32_e32 v15, vcc, 0, v15, vcc
	flat_load_ushort v14, v[14:15]
.LBB3437_31:
	s_or_b64 exec, exec, s[0:1]
	v_or_b32_e32 v16, 0xe00, v0
	v_cmp_gt_u32_e32 vcc, s33, v16
                                        ; implicit-def: $vgpr15
	s_and_saveexec_b64 s[0:1], vcc
	s_cbranch_execz .LBB3437_33
; %bb.32:
	v_lshlrev_b32_e32 v15, 1, v16
	v_mov_b32_e32 v17, s12
	v_add_co_u32_e32 v16, vcc, s7, v15
	v_addc_co_u32_e32 v17, vcc, 0, v17, vcc
	flat_load_ushort v15, v[16:17]
.LBB3437_33:
	s_or_b64 exec, exec, s[0:1]
	v_or_b32_e32 v17, 0xf00, v0
	v_cmp_gt_u32_e32 vcc, s33, v17
                                        ; implicit-def: $vgpr16
	s_and_saveexec_b64 s[0:1], vcc
	s_cbranch_execz .LBB3437_35
; %bb.34:
	v_lshlrev_b32_e32 v16, 1, v17
	v_mov_b32_e32 v17, s12
	v_add_co_u32_e32 v16, vcc, s7, v16
	v_addc_co_u32_e32 v17, vcc, 0, v17, vcc
	flat_load_ushort v16, v[16:17]
.LBB3437_35:
	s_or_b64 exec, exec, s[0:1]
	v_or_b32_e32 v18, 0x1000, v0
	v_cmp_gt_u32_e32 vcc, s33, v18
                                        ; implicit-def: $vgpr17
	s_and_saveexec_b64 s[0:1], vcc
	s_cbranch_execz .LBB3437_37
; %bb.36:
	v_lshlrev_b32_e32 v17, 1, v18
	v_mov_b32_e32 v19, s12
	v_add_co_u32_e32 v18, vcc, s7, v17
	v_addc_co_u32_e32 v19, vcc, 0, v19, vcc
	flat_load_ushort v17, v[18:19]
.LBB3437_37:
	s_or_b64 exec, exec, s[0:1]
	v_or_b32_e32 v19, 0x1100, v0
	v_cmp_gt_u32_e32 vcc, s33, v19
                                        ; implicit-def: $vgpr18
	s_and_saveexec_b64 s[0:1], vcc
	s_cbranch_execz .LBB3437_39
; %bb.38:
	v_lshlrev_b32_e32 v18, 1, v19
	v_mov_b32_e32 v19, s12
	v_add_co_u32_e32 v18, vcc, s7, v18
	v_addc_co_u32_e32 v19, vcc, 0, v19, vcc
	flat_load_ushort v18, v[18:19]
.LBB3437_39:
	s_or_b64 exec, exec, s[0:1]
	v_or_b32_e32 v20, 0x1200, v0
	v_cmp_gt_u32_e32 vcc, s33, v20
                                        ; implicit-def: $vgpr19
	s_and_saveexec_b64 s[0:1], vcc
	s_cbranch_execz .LBB3437_41
; %bb.40:
	v_lshlrev_b32_e32 v19, 1, v20
	v_mov_b32_e32 v21, s12
	v_add_co_u32_e32 v20, vcc, s7, v19
	v_addc_co_u32_e32 v21, vcc, 0, v21, vcc
	flat_load_ushort v19, v[20:21]
.LBB3437_41:
	s_or_b64 exec, exec, s[0:1]
	v_or_b32_e32 v21, 0x1300, v0
	v_cmp_gt_u32_e32 vcc, s33, v21
                                        ; implicit-def: $vgpr20
	s_and_saveexec_b64 s[0:1], vcc
	s_cbranch_execz .LBB3437_43
; %bb.42:
	v_lshlrev_b32_e32 v20, 1, v21
	v_mov_b32_e32 v21, s12
	v_add_co_u32_e32 v20, vcc, s7, v20
	v_addc_co_u32_e32 v21, vcc, 0, v21, vcc
	flat_load_ushort v20, v[20:21]
.LBB3437_43:
	s_or_b64 exec, exec, s[0:1]
	s_waitcnt vmcnt(0) lgkmcnt(0)
	ds_write_b16 v26, v1
	ds_write_b16 v26, v2 offset:512
	ds_write_b16 v26, v3 offset:1024
	;; [unrolled: 1-line block ×19, first 2 shown]
	s_waitcnt lgkmcnt(0)
	s_barrier
.LBB3437_44:
	v_mul_u32_u24_e32 v1, 20, v0
	v_lshlrev_b32_e32 v6, 1, v1
	s_waitcnt lgkmcnt(0)
	ds_read_b64 v[10:11], v6 offset:32
	ds_read2_b64 v[2:5], v6 offset0:2 offset1:3
	ds_read2_b64 v[6:9], v6 offset1:1
	s_add_u32 s0, s2, s8
	s_addc_u32 s1, s3, s9
	s_add_u32 s0, s0, s30
	s_addc_u32 s1, s1, s31
	s_mov_b64 s[2:3], -1
	s_and_b64 vcc, exec, s[24:25]
	s_waitcnt lgkmcnt(0)
	s_barrier
	s_cbranch_vccz .LBB3437_46
; %bb.45:
	v_mov_b32_e32 v12, s1
	v_add_co_u32_e32 v14, vcc, s0, v26
	s_movk_i32 s2, 0x1000
	v_addc_co_u32_e32 v15, vcc, 0, v12, vcc
	v_add_co_u32_e32 v12, vcc, s2, v14
	s_movk_i32 s3, 0x2000
	v_addc_co_u32_e32 v13, vcc, 0, v15, vcc
	global_load_ubyte v16, v26, s[0:1]
	global_load_ubyte v17, v26, s[0:1] offset:512
	global_load_ubyte v18, v26, s[0:1] offset:1024
	;; [unrolled: 1-line block ×7, first 2 shown]
	v_add_co_u32_e32 v14, vcc, s3, v14
	v_addc_co_u32_e32 v15, vcc, 0, v15, vcc
	global_load_ubyte v24, v[14:15], off offset:-4096
	global_load_ubyte v25, v[12:13], off offset:512
	global_load_ubyte v27, v[12:13], off offset:1024
	;; [unrolled: 1-line block ×7, first 2 shown]
	global_load_ubyte v33, v[14:15], off
	global_load_ubyte v34, v[14:15], off offset:512
	global_load_ubyte v35, v[14:15], off offset:1024
	;; [unrolled: 1-line block ×3, first 2 shown]
	s_mov_b64 s[2:3], 0
	s_waitcnt vmcnt(19)
	v_xor_b32_e32 v12, -1, v16
	s_waitcnt vmcnt(18)
	v_xor_b32_e32 v13, -1, v17
	;; [unrolled: 2-line block ×8, first 2 shown]
	v_and_b32_e32 v12, 1, v12
	v_and_b32_e32 v13, 1, v13
	;; [unrolled: 1-line block ×8, first 2 shown]
	ds_write_b8 v0, v12
	ds_write_b8 v0, v13 offset:256
	ds_write_b8 v0, v14 offset:512
	;; [unrolled: 1-line block ×7, first 2 shown]
	s_waitcnt vmcnt(11)
	v_xor_b32_e32 v12, -1, v24
	s_waitcnt vmcnt(10)
	v_xor_b32_e32 v13, -1, v25
	;; [unrolled: 2-line block ×12, first 2 shown]
	v_and_b32_e32 v12, 1, v12
	v_and_b32_e32 v13, 1, v13
	;; [unrolled: 1-line block ×12, first 2 shown]
	ds_write_b8 v0, v12 offset:2048
	ds_write_b8 v0, v13 offset:2304
	;; [unrolled: 1-line block ×12, first 2 shown]
	s_waitcnt lgkmcnt(0)
	s_barrier
.LBB3437_46:
	s_load_dwordx2 s[34:35], s[4:5], 0x78
	s_andn2_b64 vcc, exec, s[2:3]
	s_cbranch_vccnz .LBB3437_88
; %bb.47:
	v_cmp_gt_u32_e32 vcc, s33, v0
	v_mov_b32_e32 v12, 0
	v_mov_b32_e32 v13, 0
	s_and_saveexec_b64 s[2:3], vcc
	s_cbranch_execz .LBB3437_49
; %bb.48:
	global_load_ubyte v13, v26, s[0:1]
	s_waitcnt vmcnt(0)
	v_xor_b32_e32 v13, -1, v13
	v_and_b32_e32 v13, 1, v13
.LBB3437_49:
	s_or_b64 exec, exec, s[2:3]
	v_or_b32_e32 v14, 0x100, v0
	v_cmp_gt_u32_e32 vcc, s33, v14
	s_and_saveexec_b64 s[2:3], vcc
	s_cbranch_execz .LBB3437_51
; %bb.50:
	global_load_ubyte v12, v26, s[0:1] offset:512
	s_waitcnt vmcnt(0)
	v_xor_b32_e32 v12, -1, v12
	v_and_b32_e32 v12, 1, v12
.LBB3437_51:
	s_or_b64 exec, exec, s[2:3]
	v_or_b32_e32 v14, 0x200, v0
	v_cmp_gt_u32_e32 vcc, s33, v14
	v_mov_b32_e32 v14, 0
	v_mov_b32_e32 v15, 0
	s_and_saveexec_b64 s[2:3], vcc
	s_cbranch_execz .LBB3437_53
; %bb.52:
	global_load_ubyte v15, v26, s[0:1] offset:1024
	s_waitcnt vmcnt(0)
	v_xor_b32_e32 v15, -1, v15
	v_and_b32_e32 v15, 1, v15
.LBB3437_53:
	s_or_b64 exec, exec, s[2:3]
	v_or_b32_e32 v16, 0x300, v0
	v_cmp_gt_u32_e32 vcc, s33, v16
	s_and_saveexec_b64 s[2:3], vcc
	s_cbranch_execz .LBB3437_55
; %bb.54:
	global_load_ubyte v14, v26, s[0:1] offset:1536
	s_waitcnt vmcnt(0)
	v_xor_b32_e32 v14, -1, v14
	v_and_b32_e32 v14, 1, v14
.LBB3437_55:
	s_or_b64 exec, exec, s[2:3]
	v_or_b32_e32 v16, 0x400, v0
	v_cmp_gt_u32_e32 vcc, s33, v16
	v_mov_b32_e32 v16, 0
	v_mov_b32_e32 v17, 0
	s_and_saveexec_b64 s[2:3], vcc
	s_cbranch_execz .LBB3437_57
; %bb.56:
	global_load_ubyte v17, v26, s[0:1] offset:2048
	s_waitcnt vmcnt(0)
	v_xor_b32_e32 v17, -1, v17
	v_and_b32_e32 v17, 1, v17
.LBB3437_57:
	;; [unrolled: 24-line block ×3, first 2 shown]
	s_or_b64 exec, exec, s[2:3]
	v_or_b32_e32 v20, 0x700, v0
	v_cmp_gt_u32_e32 vcc, s33, v20
	s_and_saveexec_b64 s[2:3], vcc
	s_cbranch_execz .LBB3437_63
; %bb.62:
	global_load_ubyte v18, v26, s[0:1] offset:3584
	s_waitcnt vmcnt(0)
	v_xor_b32_e32 v18, -1, v18
	v_and_b32_e32 v18, 1, v18
.LBB3437_63:
	s_or_b64 exec, exec, s[2:3]
	v_or_b32_e32 v22, 0x800, v0
	v_cmp_gt_u32_e32 vcc, s33, v22
	v_mov_b32_e32 v20, 0
	v_mov_b32_e32 v21, 0
	s_and_saveexec_b64 s[2:3], vcc
	s_cbranch_execz .LBB3437_65
; %bb.64:
	v_lshlrev_b32_e32 v21, 1, v22
	global_load_ubyte v21, v21, s[0:1]
	s_waitcnt vmcnt(0)
	v_xor_b32_e32 v21, -1, v21
	v_and_b32_e32 v21, 1, v21
.LBB3437_65:
	s_or_b64 exec, exec, s[2:3]
	v_or_b32_e32 v22, 0x900, v0
	v_cmp_gt_u32_e32 vcc, s33, v22
	s_and_saveexec_b64 s[2:3], vcc
	s_cbranch_execz .LBB3437_67
; %bb.66:
	v_lshlrev_b32_e32 v20, 1, v22
	global_load_ubyte v20, v20, s[0:1]
	s_waitcnt vmcnt(0)
	v_xor_b32_e32 v20, -1, v20
	v_and_b32_e32 v20, 1, v20
.LBB3437_67:
	s_or_b64 exec, exec, s[2:3]
	v_or_b32_e32 v24, 0xa00, v0
	v_cmp_gt_u32_e32 vcc, s33, v24
	v_mov_b32_e32 v22, 0
	v_mov_b32_e32 v23, 0
	s_and_saveexec_b64 s[2:3], vcc
	s_cbranch_execz .LBB3437_69
; %bb.68:
	v_lshlrev_b32_e32 v23, 1, v24
	global_load_ubyte v23, v23, s[0:1]
	s_waitcnt vmcnt(0)
	v_xor_b32_e32 v23, -1, v23
	v_and_b32_e32 v23, 1, v23
.LBB3437_69:
	s_or_b64 exec, exec, s[2:3]
	v_or_b32_e32 v24, 0xb00, v0
	v_cmp_gt_u32_e32 vcc, s33, v24
	s_and_saveexec_b64 s[2:3], vcc
	s_cbranch_execz .LBB3437_71
; %bb.70:
	v_lshlrev_b32_e32 v22, 1, v24
	global_load_ubyte v22, v22, s[0:1]
	s_waitcnt vmcnt(0)
	v_xor_b32_e32 v22, -1, v22
	v_and_b32_e32 v22, 1, v22
.LBB3437_71:
	;; [unrolled: 26-line block ×6, first 2 shown]
	s_or_b64 exec, exec, s[2:3]
	ds_write_b8 v0, v13
	ds_write_b8 v0, v12 offset:256
	ds_write_b8 v0, v15 offset:512
	;; [unrolled: 1-line block ×19, first 2 shown]
	s_waitcnt lgkmcnt(0)
	s_barrier
.LBB3437_88:
	s_waitcnt lgkmcnt(0)
	ds_read2_b32 v[16:17], v1 offset1:1
	ds_read2_b32 v[14:15], v1 offset0:2 offset1:3
	ds_read_b32 v28, v1 offset:16
	s_cmp_lg_u32 s6, 0
	v_lshrrev_b32_e32 v47, 6, v0
	s_waitcnt lgkmcnt(2)
	v_lshrrev_b32_e32 v33, 24, v16
	v_bfe_u32 v45, v16, 16, 8
	v_add_u32_sdwa v12, v16, v16 dst_sel:DWORD dst_unused:UNUSED_PAD src0_sel:BYTE_1 src1_sel:BYTE_0
	v_and_b32_e32 v42, 0xff, v17
	v_bfe_u32 v43, v17, 8, 8
	v_add3_u32 v12, v12, v45, v33
	v_lshrrev_b32_e32 v32, 24, v17
	v_bfe_u32 v44, v17, 16, 8
	v_add3_u32 v12, v12, v42, v43
	s_waitcnt lgkmcnt(1)
	v_and_b32_e32 v39, 0xff, v14
	v_bfe_u32 v40, v14, 8, 8
	v_add3_u32 v12, v12, v44, v32
	v_lshrrev_b32_e32 v31, 24, v14
	v_bfe_u32 v41, v14, 16, 8
	v_add3_u32 v12, v12, v39, v40
	v_and_b32_e32 v36, 0xff, v15
	v_bfe_u32 v37, v15, 8, 8
	v_add3_u32 v12, v12, v41, v31
	v_lshrrev_b32_e32 v30, 24, v15
	v_bfe_u32 v38, v15, 16, 8
	v_add3_u32 v12, v12, v36, v37
	s_waitcnt lgkmcnt(0)
	v_and_b32_e32 v34, 0xff, v28
	v_bfe_u32 v35, v28, 8, 8
	v_add3_u32 v12, v12, v38, v30
	v_lshrrev_b32_e32 v27, 24, v28
	v_bfe_u32 v29, v28, 16, 8
	v_add3_u32 v12, v12, v34, v35
	v_add3_u32 v48, v12, v29, v27
	v_mbcnt_lo_u32_b32 v12, -1, 0
	v_mbcnt_hi_u32_b32 v46, -1, v12
	v_and_b32_e32 v12, 15, v46
	v_cmp_eq_u32_e64 s[14:15], 0, v12
	v_cmp_lt_u32_e64 s[12:13], 1, v12
	v_cmp_lt_u32_e64 s[10:11], 3, v12
	;; [unrolled: 1-line block ×3, first 2 shown]
	v_and_b32_e32 v12, 16, v46
	v_cmp_eq_u32_e64 s[18:19], 0, v12
	v_or_b32_e32 v12, 63, v0
	v_cmp_lt_u32_e64 s[0:1], 31, v46
	v_cmp_eq_u32_e64 s[2:3], v12, v0
	s_barrier
	s_cbranch_scc0 .LBB3437_119
; %bb.89:
	v_mov_b32_dpp v12, v48 row_shr:1 row_mask:0xf bank_mask:0xf
	v_cndmask_b32_e64 v12, v12, 0, s[14:15]
	v_add_u32_e32 v12, v12, v48
	s_nop 1
	v_mov_b32_dpp v13, v12 row_shr:2 row_mask:0xf bank_mask:0xf
	v_cndmask_b32_e64 v13, 0, v13, s[12:13]
	v_add_u32_e32 v12, v12, v13
	s_nop 1
	;; [unrolled: 4-line block ×4, first 2 shown]
	v_mov_b32_dpp v13, v12 row_bcast:15 row_mask:0xf bank_mask:0xf
	v_cndmask_b32_e64 v13, v13, 0, s[18:19]
	v_add_u32_e32 v12, v12, v13
	s_nop 1
	v_mov_b32_dpp v13, v12 row_bcast:31 row_mask:0xf bank_mask:0xf
	v_cndmask_b32_e64 v13, 0, v13, s[0:1]
	v_add_u32_e32 v12, v12, v13
	s_and_saveexec_b64 s[16:17], s[2:3]
	s_cbranch_execz .LBB3437_91
; %bb.90:
	v_lshlrev_b32_e32 v13, 2, v47
	ds_write_b32 v13, v12
.LBB3437_91:
	s_or_b64 exec, exec, s[16:17]
	v_cmp_gt_u32_e32 vcc, 4, v0
	s_waitcnt lgkmcnt(0)
	s_barrier
	s_and_saveexec_b64 s[16:17], vcc
	s_cbranch_execz .LBB3437_93
; %bb.92:
	v_lshlrev_b32_e32 v13, 2, v0
	ds_read_b32 v18, v13
	v_and_b32_e32 v19, 3, v46
	v_cmp_ne_u32_e32 vcc, 0, v19
	s_waitcnt lgkmcnt(0)
	v_mov_b32_dpp v20, v18 row_shr:1 row_mask:0xf bank_mask:0xf
	v_cndmask_b32_e32 v20, 0, v20, vcc
	v_add_u32_e32 v18, v20, v18
	v_cmp_lt_u32_e32 vcc, 1, v19
	s_nop 0
	v_mov_b32_dpp v20, v18 row_shr:2 row_mask:0xf bank_mask:0xf
	v_cndmask_b32_e32 v19, 0, v20, vcc
	v_add_u32_e32 v18, v18, v19
	ds_write_b32 v13, v18
.LBB3437_93:
	s_or_b64 exec, exec, s[16:17]
	v_cmp_gt_u32_e32 vcc, 64, v0
	v_cmp_lt_u32_e64 s[16:17], 63, v0
	s_waitcnt lgkmcnt(0)
	s_barrier
	s_waitcnt lgkmcnt(0)
                                        ; implicit-def: $vgpr49
	s_and_saveexec_b64 s[36:37], s[16:17]
	s_cbranch_execz .LBB3437_95
; %bb.94:
	v_lshl_add_u32 v13, v47, 2, -4
	ds_read_b32 v49, v13
	s_waitcnt lgkmcnt(0)
	v_add_u32_e32 v12, v49, v12
.LBB3437_95:
	s_or_b64 exec, exec, s[36:37]
	v_add_u32_e32 v13, -1, v46
	v_and_b32_e32 v18, 64, v46
	v_cmp_lt_i32_e64 s[16:17], v13, v18
	v_cndmask_b32_e64 v13, v13, v46, s[16:17]
	v_lshlrev_b32_e32 v13, 2, v13
	ds_bpermute_b32 v50, v13, v12
	v_cmp_eq_u32_e64 s[16:17], 0, v46
	s_and_saveexec_b64 s[36:37], vcc
	s_cbranch_execz .LBB3437_118
; %bb.96:
	v_mov_b32_e32 v25, 0
	ds_read_b32 v12, v25 offset:12
	s_and_saveexec_b64 s[38:39], s[16:17]
	s_cbranch_execz .LBB3437_98
; %bb.97:
	s_add_i32 s40, s6, 64
	s_mov_b32 s41, 0
	s_lshl_b64 s[40:41], s[40:41], 3
	s_add_u32 s40, s34, s40
	v_mov_b32_e32 v13, 1
	s_addc_u32 s41, s35, s41
	s_waitcnt lgkmcnt(0)
	global_store_dwordx2 v25, v[12:13], s[40:41]
.LBB3437_98:
	s_or_b64 exec, exec, s[38:39]
	v_xad_u32 v18, v46, -1, s6
	v_add_u32_e32 v24, 64, v18
	v_lshlrev_b64 v[20:21], 3, v[24:25]
	v_mov_b32_e32 v13, s35
	v_add_co_u32_e32 v20, vcc, s34, v20
	v_addc_co_u32_e32 v21, vcc, v13, v21, vcc
	global_load_dwordx2 v[22:23], v[20:21], off glc
	s_waitcnt vmcnt(0)
	v_cmp_eq_u16_sdwa s[40:41], v23, v25 src0_sel:BYTE_0 src1_sel:DWORD
	s_and_saveexec_b64 s[38:39], s[40:41]
	s_cbranch_execz .LBB3437_104
; %bb.99:
	s_mov_b32 s7, 1
	s_mov_b64 s[40:41], 0
	v_mov_b32_e32 v13, 0
.LBB3437_100:                           ; =>This Loop Header: Depth=1
                                        ;     Child Loop BB3437_101 Depth 2
	s_max_u32 s42, s7, 1
.LBB3437_101:                           ;   Parent Loop BB3437_100 Depth=1
                                        ; =>  This Inner Loop Header: Depth=2
	s_add_i32 s42, s42, -1
	s_cmp_eq_u32 s42, 0
	s_sleep 1
	s_cbranch_scc0 .LBB3437_101
; %bb.102:                              ;   in Loop: Header=BB3437_100 Depth=1
	global_load_dwordx2 v[22:23], v[20:21], off glc
	s_cmp_lt_u32 s7, 32
	s_cselect_b64 s[42:43], -1, 0
	s_cmp_lg_u64 s[42:43], 0
	s_addc_u32 s7, s7, 0
	s_waitcnt vmcnt(0)
	v_cmp_ne_u16_sdwa s[42:43], v23, v13 src0_sel:BYTE_0 src1_sel:DWORD
	s_or_b64 s[40:41], s[42:43], s[40:41]
	s_andn2_b64 exec, exec, s[40:41]
	s_cbranch_execnz .LBB3437_100
; %bb.103:
	s_or_b64 exec, exec, s[40:41]
.LBB3437_104:
	s_or_b64 exec, exec, s[38:39]
	v_and_b32_e32 v52, 63, v46
	v_mov_b32_e32 v51, 2
	v_cmp_ne_u32_e32 vcc, 63, v52
	v_cmp_eq_u16_sdwa s[38:39], v23, v51 src0_sel:BYTE_0 src1_sel:DWORD
	v_lshlrev_b64 v[20:21], v46, -1
	v_addc_co_u32_e32 v24, vcc, 0, v46, vcc
	v_and_b32_e32 v13, s39, v21
	v_lshlrev_b32_e32 v53, 2, v24
	v_or_b32_e32 v13, 0x80000000, v13
	ds_bpermute_b32 v24, v53, v22
	v_and_b32_e32 v19, s38, v20
	v_ffbl_b32_e32 v13, v13
	v_add_u32_e32 v13, 32, v13
	v_ffbl_b32_e32 v19, v19
	v_min_u32_e32 v13, v19, v13
	v_cmp_lt_u32_e32 vcc, v52, v13
	s_waitcnt lgkmcnt(0)
	v_cndmask_b32_e32 v19, 0, v24, vcc
	v_cmp_gt_u32_e32 vcc, 62, v52
	v_add_u32_e32 v19, v19, v22
	v_cndmask_b32_e64 v22, 0, 1, vcc
	v_lshlrev_b32_e32 v22, 1, v22
	v_add_lshl_u32 v54, v22, v46, 2
	ds_bpermute_b32 v22, v54, v19
	v_add_u32_e32 v55, 2, v52
	v_cmp_le_u32_e32 vcc, v55, v13
	v_add_u32_e32 v57, 4, v52
	v_add_u32_e32 v59, 8, v52
	s_waitcnt lgkmcnt(0)
	v_cndmask_b32_e32 v22, 0, v22, vcc
	v_cmp_gt_u32_e32 vcc, 60, v52
	v_add_u32_e32 v19, v19, v22
	v_cndmask_b32_e64 v22, 0, 1, vcc
	v_lshlrev_b32_e32 v22, 2, v22
	v_add_lshl_u32 v56, v22, v46, 2
	ds_bpermute_b32 v22, v56, v19
	v_cmp_le_u32_e32 vcc, v57, v13
	v_add_u32_e32 v61, 16, v52
	v_add_u32_e32 v63, 32, v52
	s_waitcnt lgkmcnt(0)
	v_cndmask_b32_e32 v22, 0, v22, vcc
	v_cmp_gt_u32_e32 vcc, 56, v52
	v_add_u32_e32 v19, v19, v22
	v_cndmask_b32_e64 v22, 0, 1, vcc
	v_lshlrev_b32_e32 v22, 3, v22
	v_add_lshl_u32 v58, v22, v46, 2
	ds_bpermute_b32 v22, v58, v19
	v_cmp_le_u32_e32 vcc, v59, v13
	s_waitcnt lgkmcnt(0)
	v_cndmask_b32_e32 v22, 0, v22, vcc
	v_cmp_gt_u32_e32 vcc, 48, v52
	v_add_u32_e32 v19, v19, v22
	v_cndmask_b32_e64 v22, 0, 1, vcc
	v_lshlrev_b32_e32 v22, 4, v22
	v_add_lshl_u32 v60, v22, v46, 2
	ds_bpermute_b32 v22, v60, v19
	v_cmp_le_u32_e32 vcc, v61, v13
	;; [unrolled: 9-line block ×3, first 2 shown]
	s_waitcnt lgkmcnt(0)
	v_cndmask_b32_e32 v13, 0, v22, vcc
	v_add_u32_e32 v22, v19, v13
	v_mov_b32_e32 v19, 0
	s_branch .LBB3437_106
.LBB3437_105:                           ;   in Loop: Header=BB3437_106 Depth=1
	s_or_b64 exec, exec, s[38:39]
	v_cmp_eq_u16_sdwa s[38:39], v23, v51 src0_sel:BYTE_0 src1_sel:DWORD
	v_and_b32_e32 v24, s39, v21
	v_or_b32_e32 v24, 0x80000000, v24
	ds_bpermute_b32 v64, v53, v22
	v_and_b32_e32 v25, s38, v20
	v_ffbl_b32_e32 v24, v24
	v_add_u32_e32 v24, 32, v24
	v_ffbl_b32_e32 v25, v25
	v_min_u32_e32 v24, v25, v24
	v_cmp_lt_u32_e32 vcc, v52, v24
	s_waitcnt lgkmcnt(0)
	v_cndmask_b32_e32 v25, 0, v64, vcc
	v_add_u32_e32 v22, v25, v22
	ds_bpermute_b32 v25, v54, v22
	v_cmp_le_u32_e32 vcc, v55, v24
	v_subrev_u32_e32 v18, 64, v18
	s_waitcnt lgkmcnt(0)
	v_cndmask_b32_e32 v25, 0, v25, vcc
	v_add_u32_e32 v22, v22, v25
	ds_bpermute_b32 v25, v56, v22
	v_cmp_le_u32_e32 vcc, v57, v24
	s_waitcnt lgkmcnt(0)
	v_cndmask_b32_e32 v25, 0, v25, vcc
	v_add_u32_e32 v22, v22, v25
	ds_bpermute_b32 v25, v58, v22
	v_cmp_le_u32_e32 vcc, v59, v24
	;; [unrolled: 5-line block ×4, first 2 shown]
	s_waitcnt lgkmcnt(0)
	v_cndmask_b32_e32 v24, 0, v25, vcc
	v_add3_u32 v22, v24, v13, v22
.LBB3437_106:                           ; =>This Loop Header: Depth=1
                                        ;     Child Loop BB3437_109 Depth 2
                                        ;       Child Loop BB3437_110 Depth 3
	v_cmp_ne_u16_sdwa s[38:39], v23, v51 src0_sel:BYTE_0 src1_sel:DWORD
	v_cndmask_b32_e64 v13, 0, 1, s[38:39]
	;;#ASMSTART
	;;#ASMEND
	v_cmp_ne_u32_e32 vcc, 0, v13
	s_cmp_lg_u64 vcc, exec
	v_mov_b32_e32 v13, v22
	s_cbranch_scc1 .LBB3437_113
; %bb.107:                              ;   in Loop: Header=BB3437_106 Depth=1
	v_lshlrev_b64 v[22:23], 3, v[18:19]
	v_mov_b32_e32 v25, s35
	v_add_co_u32_e32 v24, vcc, s34, v22
	v_addc_co_u32_e32 v25, vcc, v25, v23, vcc
	global_load_dwordx2 v[22:23], v[24:25], off glc
	s_waitcnt vmcnt(0)
	v_cmp_eq_u16_sdwa s[40:41], v23, v19 src0_sel:BYTE_0 src1_sel:DWORD
	s_and_saveexec_b64 s[38:39], s[40:41]
	s_cbranch_execz .LBB3437_105
; %bb.108:                              ;   in Loop: Header=BB3437_106 Depth=1
	s_mov_b32 s7, 1
	s_mov_b64 s[40:41], 0
.LBB3437_109:                           ;   Parent Loop BB3437_106 Depth=1
                                        ; =>  This Loop Header: Depth=2
                                        ;       Child Loop BB3437_110 Depth 3
	s_max_u32 s42, s7, 1
.LBB3437_110:                           ;   Parent Loop BB3437_106 Depth=1
                                        ;     Parent Loop BB3437_109 Depth=2
                                        ; =>    This Inner Loop Header: Depth=3
	s_add_i32 s42, s42, -1
	s_cmp_eq_u32 s42, 0
	s_sleep 1
	s_cbranch_scc0 .LBB3437_110
; %bb.111:                              ;   in Loop: Header=BB3437_109 Depth=2
	global_load_dwordx2 v[22:23], v[24:25], off glc
	s_cmp_lt_u32 s7, 32
	s_cselect_b64 s[42:43], -1, 0
	s_cmp_lg_u64 s[42:43], 0
	s_addc_u32 s7, s7, 0
	s_waitcnt vmcnt(0)
	v_cmp_ne_u16_sdwa s[42:43], v23, v19 src0_sel:BYTE_0 src1_sel:DWORD
	s_or_b64 s[40:41], s[42:43], s[40:41]
	s_andn2_b64 exec, exec, s[40:41]
	s_cbranch_execnz .LBB3437_109
; %bb.112:                              ;   in Loop: Header=BB3437_106 Depth=1
	s_or_b64 exec, exec, s[40:41]
	s_branch .LBB3437_105
.LBB3437_113:                           ;   in Loop: Header=BB3437_106 Depth=1
                                        ; implicit-def: $vgpr22
                                        ; implicit-def: $vgpr23
	s_cbranch_execz .LBB3437_106
; %bb.114:
	s_and_saveexec_b64 s[38:39], s[16:17]
	s_cbranch_execz .LBB3437_116
; %bb.115:
	s_add_i32 s6, s6, 64
	s_mov_b32 s7, 0
	s_lshl_b64 s[6:7], s[6:7], 3
	s_add_u32 s6, s34, s6
	v_add_u32_e32 v18, v13, v12
	v_mov_b32_e32 v19, 2
	s_addc_u32 s7, s35, s7
	v_mov_b32_e32 v20, 0
	global_store_dwordx2 v20, v[18:19], s[6:7]
	ds_write_b64 v20, v[12:13] offset:10240
.LBB3437_116:
	s_or_b64 exec, exec, s[38:39]
	v_cmp_eq_u32_e32 vcc, 0, v0
	s_and_b64 exec, exec, vcc
	s_cbranch_execz .LBB3437_118
; %bb.117:
	v_mov_b32_e32 v12, 0
	ds_write_b32 v12, v13 offset:12
.LBB3437_118:
	s_or_b64 exec, exec, s[36:37]
	v_mov_b32_e32 v12, 0
	s_waitcnt lgkmcnt(0)
	s_barrier
	ds_read_b32 v19, v12 offset:12
	s_waitcnt lgkmcnt(0)
	s_barrier
	ds_read_b64 v[12:13], v12 offset:10240
	v_cndmask_b32_e64 v18, v50, v49, s[16:17]
	v_cmp_ne_u32_e32 vcc, 0, v0
	v_cndmask_b32_e32 v18, 0, v18, vcc
	v_add_u32_e32 v22, v19, v18
	s_load_dwordx2 s[4:5], s[4:5], 0x40
	s_branch .LBB3437_129
.LBB3437_119:
                                        ; implicit-def: $vgpr13
                                        ; implicit-def: $vgpr22
	s_load_dwordx2 s[4:5], s[4:5], 0x40
	s_cbranch_execz .LBB3437_129
; %bb.120:
	s_waitcnt lgkmcnt(0)
	v_mov_b32_dpp v12, v48 row_shr:1 row_mask:0xf bank_mask:0xf
	v_cndmask_b32_e64 v12, v12, 0, s[14:15]
	v_add_u32_e32 v12, v12, v48
	s_nop 1
	v_mov_b32_dpp v13, v12 row_shr:2 row_mask:0xf bank_mask:0xf
	v_cndmask_b32_e64 v13, 0, v13, s[12:13]
	v_add_u32_e32 v12, v12, v13
	s_nop 1
	;; [unrolled: 4-line block ×4, first 2 shown]
	v_mov_b32_dpp v13, v12 row_bcast:15 row_mask:0xf bank_mask:0xf
	v_cndmask_b32_e64 v13, v13, 0, s[18:19]
	v_add_u32_e32 v12, v12, v13
	s_nop 1
	v_mov_b32_dpp v13, v12 row_bcast:31 row_mask:0xf bank_mask:0xf
	v_cndmask_b32_e64 v13, 0, v13, s[0:1]
	v_add_u32_e32 v12, v12, v13
	s_and_saveexec_b64 s[0:1], s[2:3]
	s_cbranch_execz .LBB3437_122
; %bb.121:
	v_lshlrev_b32_e32 v13, 2, v47
	ds_write_b32 v13, v12
.LBB3437_122:
	s_or_b64 exec, exec, s[0:1]
	v_cmp_gt_u32_e32 vcc, 4, v0
	s_waitcnt lgkmcnt(0)
	s_barrier
	s_and_saveexec_b64 s[0:1], vcc
	s_cbranch_execz .LBB3437_124
; %bb.123:
	v_lshlrev_b32_e32 v13, 2, v0
	ds_read_b32 v18, v13
	v_and_b32_e32 v19, 3, v46
	v_cmp_ne_u32_e32 vcc, 0, v19
	s_waitcnt lgkmcnt(0)
	v_mov_b32_dpp v20, v18 row_shr:1 row_mask:0xf bank_mask:0xf
	v_cndmask_b32_e32 v20, 0, v20, vcc
	v_add_u32_e32 v18, v20, v18
	v_cmp_lt_u32_e32 vcc, 1, v19
	s_nop 0
	v_mov_b32_dpp v20, v18 row_shr:2 row_mask:0xf bank_mask:0xf
	v_cndmask_b32_e32 v19, 0, v20, vcc
	v_add_u32_e32 v18, v18, v19
	ds_write_b32 v13, v18
.LBB3437_124:
	s_or_b64 exec, exec, s[0:1]
	v_cmp_lt_u32_e32 vcc, 63, v0
	v_mov_b32_e32 v13, 0
	v_mov_b32_e32 v18, 0
	s_waitcnt lgkmcnt(0)
	s_barrier
	s_and_saveexec_b64 s[0:1], vcc
	s_cbranch_execz .LBB3437_126
; %bb.125:
	v_lshl_add_u32 v18, v47, 2, -4
	ds_read_b32 v18, v18
.LBB3437_126:
	s_or_b64 exec, exec, s[0:1]
	v_add_u32_e32 v19, -1, v46
	v_and_b32_e32 v20, 64, v46
	v_cmp_lt_i32_e32 vcc, v19, v20
	v_cndmask_b32_e32 v19, v19, v46, vcc
	s_waitcnt lgkmcnt(0)
	v_add_u32_e32 v12, v18, v12
	v_lshlrev_b32_e32 v19, 2, v19
	ds_bpermute_b32 v19, v19, v12
	ds_read_b32 v12, v13 offset:12
	v_cmp_eq_u32_e32 vcc, 0, v0
	s_and_saveexec_b64 s[0:1], vcc
	s_cbranch_execz .LBB3437_128
; %bb.127:
	v_mov_b32_e32 v20, 0
	v_mov_b32_e32 v13, 2
	s_waitcnt lgkmcnt(0)
	global_store_dwordx2 v20, v[12:13], s[34:35] offset:512
.LBB3437_128:
	s_or_b64 exec, exec, s[0:1]
	v_cmp_eq_u32_e64 s[0:1], 0, v46
	s_waitcnt lgkmcnt(1)
	v_cndmask_b32_e64 v18, v19, v18, s[0:1]
	v_mov_b32_e32 v13, 0
	v_cndmask_b32_e64 v22, v18, 0, vcc
	s_waitcnt lgkmcnt(0)
	s_barrier
.LBB3437_129:
	v_add_u32_sdwa v24, v22, v16 dst_sel:DWORD dst_unused:UNUSED_PAD src0_sel:DWORD src1_sel:BYTE_0
	s_waitcnt lgkmcnt(0)
	v_add_u32_e32 v1, v12, v1
	v_sub_u32_e32 v22, v22, v13
	v_and_b32_e32 v51, 1, v16
	v_sub_u32_e32 v50, v1, v22
	v_cmp_eq_u32_e32 vcc, 1, v51
	v_cndmask_b32_e32 v22, v50, v22, vcc
	v_lshlrev_b32_e32 v22, 1, v22
	v_lshrrev_b32_e32 v23, 8, v16
	ds_write_b16 v22, v6
	v_sub_u32_e32 v22, v24, v13
	v_add_u32_sdwa v25, v24, v16 dst_sel:DWORD dst_unused:UNUSED_PAD src0_sel:DWORD src1_sel:BYTE_1
	v_sub_u32_e32 v24, v1, v22
	v_and_b32_e32 v23, 1, v23
	v_add_u32_e32 v24, 1, v24
	v_cmp_eq_u32_e32 vcc, 1, v23
	v_cndmask_b32_e32 v22, v24, v22, vcc
	v_lshlrev_b32_e32 v22, 1, v22
	ds_write_b16_d16_hi v22, v6
	v_sub_u32_e32 v6, v25, v13
	v_mov_b32_e32 v23, 1
	v_sub_u32_e32 v22, v1, v6
	v_and_b32_sdwa v16, v23, v16 dst_sel:DWORD dst_unused:UNUSED_PAD src0_sel:DWORD src1_sel:WORD_1
	v_add_u32_e32 v22, 2, v22
	v_cmp_eq_u32_e32 vcc, 1, v16
	v_cndmask_b32_e32 v6, v22, v6, vcc
	v_add_u32_e32 v45, v25, v45
	v_lshlrev_b32_e32 v6, 1, v6
	ds_write_b16 v6, v7
	v_sub_u32_e32 v6, v45, v13
	v_sub_u32_e32 v16, v1, v6
	v_and_b32_e32 v22, 1, v33
	v_add_u32_e32 v16, 3, v16
	v_cmp_eq_u32_e32 vcc, 1, v22
	v_cndmask_b32_e32 v6, v16, v6, vcc
	v_add_u32_e32 v46, v45, v33
	v_lshlrev_b32_e32 v6, 1, v6
	ds_write_b16_d16_hi v6, v7
	v_sub_u32_e32 v6, v46, v13
	v_sub_u32_e32 v7, v1, v6
	v_and_b32_e32 v16, 1, v17
	v_add_u32_e32 v7, 4, v7
	v_cmp_eq_u32_e32 vcc, 1, v16
	v_cndmask_b32_e32 v6, v7, v6, vcc
	v_add_u32_e32 v42, v46, v42
	v_lshlrev_b32_e32 v6, 1, v6
	v_lshrrev_b32_e32 v21, 8, v17
	ds_write_b16 v6, v8
	v_sub_u32_e32 v6, v42, v13
	v_sub_u32_e32 v7, v1, v6
	v_and_b32_e32 v16, 1, v21
	v_add_u32_e32 v7, 5, v7
	v_cmp_eq_u32_e32 vcc, 1, v16
	v_cndmask_b32_e32 v6, v7, v6, vcc
	v_add_u32_e32 v43, v42, v43
	v_lshlrev_b32_e32 v6, 1, v6
	ds_write_b16_d16_hi v6, v8
	v_sub_u32_e32 v6, v43, v13
	v_sub_u32_e32 v7, v1, v6
	v_and_b32_sdwa v8, v23, v17 dst_sel:DWORD dst_unused:UNUSED_PAD src0_sel:DWORD src1_sel:WORD_1
	v_add_u32_e32 v7, 6, v7
	v_cmp_eq_u32_e32 vcc, 1, v8
	v_cndmask_b32_e32 v6, v7, v6, vcc
	v_add_u32_e32 v44, v43, v44
	v_lshlrev_b32_e32 v6, 1, v6
	ds_write_b16 v6, v9
	v_sub_u32_e32 v6, v44, v13
	v_sub_u32_e32 v7, v1, v6
	v_and_b32_e32 v8, 1, v32
	v_add_u32_e32 v7, 7, v7
	v_cmp_eq_u32_e32 vcc, 1, v8
	v_cndmask_b32_e32 v6, v7, v6, vcc
	v_add_u32_e32 v47, v44, v32
	v_lshlrev_b32_e32 v6, 1, v6
	ds_write_b16_d16_hi v6, v9
	v_sub_u32_e32 v6, v47, v13
	v_sub_u32_e32 v7, v1, v6
	v_and_b32_e32 v8, 1, v14
	v_add_u32_e32 v7, 8, v7
	v_cmp_eq_u32_e32 vcc, 1, v8
	v_cndmask_b32_e32 v6, v7, v6, vcc
	v_add_u32_e32 v39, v47, v39
	v_lshlrev_b32_e32 v6, 1, v6
	v_lshrrev_b32_e32 v20, 8, v14
	ds_write_b16 v6, v2
	v_sub_u32_e32 v6, v39, v13
	v_sub_u32_e32 v7, v1, v6
	v_and_b32_e32 v8, 1, v20
	v_add_u32_e32 v7, 9, v7
	v_cmp_eq_u32_e32 vcc, 1, v8
	v_cndmask_b32_e32 v6, v7, v6, vcc
	v_add_u32_e32 v40, v39, v40
	v_lshlrev_b32_e32 v6, 1, v6
	ds_write_b16_d16_hi v6, v2
	v_sub_u32_e32 v2, v40, v13
	;; [unrolled: 37-line block ×4, first 2 shown]
	v_sub_u32_e32 v3, v1, v2
	v_and_b32_sdwa v4, v23, v28 dst_sel:DWORD dst_unused:UNUSED_PAD src0_sel:DWORD src1_sel:WORD_1
	v_add_u32_e32 v3, 18, v3
	v_cmp_eq_u32_e32 vcc, 1, v4
	v_cndmask_b32_e32 v2, v3, v2, vcc
	v_lshlrev_b32_e32 v2, 1, v2
	ds_write_b16 v2, v11
	v_sub_u32_e32 v2, v29, v13
	v_add_u32_e32 v2, v35, v2
	v_sub_u32_e32 v1, v1, v2
	v_and_b32_e32 v3, 1, v27
	v_add_u32_e32 v1, 19, v1
	v_cmp_eq_u32_e32 vcc, 1, v3
	v_cndmask_b32_e32 v1, v1, v2, vcc
	v_lshlrev_b32_e32 v1, 1, v1
	ds_write_b16_d16_hi v1, v11
	v_mov_b32_e32 v1, s29
	v_add_co_u32_e32 v2, vcc, s28, v12
	s_waitcnt lgkmcnt(0)
	s_barrier
	ds_read_u16 v46, v26
	ds_read_u16 v45, v26 offset:512
	ds_read_u16 v43, v26 offset:1024
	ds_read_u16 v41, v26 offset:1536
	ds_read_u16 v38, v26 offset:2048
	ds_read_u16 v36, v26 offset:2560
	ds_read_u16 v34, v26 offset:3072
	ds_read_u16 v32, v26 offset:3584
	ds_read_u16 v31, v26 offset:4096
	ds_read_u16 v29, v26 offset:4608
	ds_read_u16 v27, v26 offset:5120
	ds_read_u16 v24, v26 offset:5632
	ds_read_u16 v22, v26 offset:6144
	ds_read_u16 v20, v26 offset:6656
	ds_read_u16 v18, v26 offset:7168
	ds_read_u16 v16, v26 offset:7680
	v_addc_co_u32_e32 v1, vcc, 0, v1, vcc
	v_add_co_u32_e32 v2, vcc, v2, v13
	v_addc_co_u32_e32 v3, vcc, 0, v1, vcc
	v_mov_b32_e32 v1, s27
	v_sub_co_u32_e32 v48, vcc, s26, v2
	ds_read_u16 v14, v26 offset:8192
	ds_read_u16 v10, v26 offset:8704
	;; [unrolled: 1-line block ×4, first 2 shown]
	v_subb_co_u32_e32 v49, vcc, v1, v3, vcc
	v_lshlrev_b64 v[48:49], 1, v[48:49]
	v_mov_b32_e32 v1, s5
	v_add_co_u32_e32 v4, vcc, s4, v48
	v_addc_co_u32_e32 v1, vcc, v1, v49, vcc
	v_mov_b32_e32 v13, s31
	v_add_co_u32_e32 v4, vcc, s30, v4
	v_addc_co_u32_e32 v1, vcc, v1, v13, vcc
	v_or_b32_e32 v44, 0x100, v0
	v_or_b32_e32 v42, 0x200, v0
	;; [unrolled: 1-line block ×19, first 2 shown]
	s_andn2_b64 vcc, exec, s[24:25]
	v_cmp_ge_u32_e64 s[0:1], v0, v12
	s_cbranch_vccnz .LBB3437_151
; %bb.130:
	s_and_saveexec_b64 s[2:3], s[0:1]
	s_cbranch_execnz .LBB3437_196
; %bb.131:
	s_or_b64 exec, exec, s[2:3]
	v_cmp_ge_u32_e32 vcc, v44, v12
	s_and_saveexec_b64 s[0:1], vcc
	s_cbranch_execnz .LBB3437_197
.LBB3437_132:
	s_or_b64 exec, exec, s[0:1]
	v_cmp_ge_u32_e32 vcc, v42, v12
	s_and_saveexec_b64 s[0:1], vcc
	s_cbranch_execnz .LBB3437_198
.LBB3437_133:
	s_or_b64 exec, exec, s[0:1]
	v_cmp_ge_u32_e32 vcc, v40, v12
	s_and_saveexec_b64 s[0:1], vcc
	s_cbranch_execnz .LBB3437_199
.LBB3437_134:
	s_or_b64 exec, exec, s[0:1]
	v_cmp_ge_u32_e32 vcc, v39, v12
	s_and_saveexec_b64 s[0:1], vcc
	s_cbranch_execnz .LBB3437_200
.LBB3437_135:
	s_or_b64 exec, exec, s[0:1]
	v_cmp_ge_u32_e32 vcc, v37, v12
	s_and_saveexec_b64 s[0:1], vcc
	s_cbranch_execnz .LBB3437_201
.LBB3437_136:
	s_or_b64 exec, exec, s[0:1]
	v_cmp_ge_u32_e32 vcc, v35, v12
	s_and_saveexec_b64 s[0:1], vcc
	s_cbranch_execnz .LBB3437_202
.LBB3437_137:
	s_or_b64 exec, exec, s[0:1]
	v_cmp_ge_u32_e32 vcc, v33, v12
	s_and_saveexec_b64 s[0:1], vcc
	s_cbranch_execnz .LBB3437_203
.LBB3437_138:
	s_or_b64 exec, exec, s[0:1]
	v_cmp_ge_u32_e32 vcc, v30, v12
	s_and_saveexec_b64 s[0:1], vcc
	s_cbranch_execnz .LBB3437_204
.LBB3437_139:
	s_or_b64 exec, exec, s[0:1]
	v_cmp_ge_u32_e32 vcc, v28, v12
	s_and_saveexec_b64 s[0:1], vcc
	s_cbranch_execnz .LBB3437_205
.LBB3437_140:
	s_or_b64 exec, exec, s[0:1]
	v_cmp_ge_u32_e32 vcc, v25, v12
	s_and_saveexec_b64 s[0:1], vcc
	s_cbranch_execnz .LBB3437_206
.LBB3437_141:
	s_or_b64 exec, exec, s[0:1]
	v_cmp_ge_u32_e32 vcc, v23, v12
	s_and_saveexec_b64 s[0:1], vcc
	s_cbranch_execnz .LBB3437_207
.LBB3437_142:
	s_or_b64 exec, exec, s[0:1]
	v_cmp_ge_u32_e32 vcc, v21, v12
	s_and_saveexec_b64 s[0:1], vcc
	s_cbranch_execnz .LBB3437_208
.LBB3437_143:
	s_or_b64 exec, exec, s[0:1]
	v_cmp_ge_u32_e32 vcc, v19, v12
	s_and_saveexec_b64 s[0:1], vcc
	s_cbranch_execnz .LBB3437_209
.LBB3437_144:
	s_or_b64 exec, exec, s[0:1]
	v_cmp_ge_u32_e32 vcc, v17, v12
	s_and_saveexec_b64 s[0:1], vcc
	s_cbranch_execnz .LBB3437_210
.LBB3437_145:
	s_or_b64 exec, exec, s[0:1]
	v_cmp_ge_u32_e32 vcc, v15, v12
	s_and_saveexec_b64 s[0:1], vcc
	s_cbranch_execnz .LBB3437_211
.LBB3437_146:
	s_or_b64 exec, exec, s[0:1]
	v_cmp_ge_u32_e32 vcc, v11, v12
	s_and_saveexec_b64 s[0:1], vcc
	s_cbranch_execnz .LBB3437_212
.LBB3437_147:
	s_or_b64 exec, exec, s[0:1]
	v_cmp_ge_u32_e32 vcc, v9, v12
	s_and_saveexec_b64 s[0:1], vcc
	s_cbranch_execnz .LBB3437_213
.LBB3437_148:
	s_or_b64 exec, exec, s[0:1]
	v_cmp_ge_u32_e32 vcc, v8, v12
	s_and_saveexec_b64 s[0:1], vcc
	s_cbranch_execz .LBB3437_150
.LBB3437_149:
	v_lshlrev_b32_e32 v13, 1, v8
	v_readfirstlane_b32 s2, v4
	v_readfirstlane_b32 s3, v1
	s_waitcnt lgkmcnt(1)
	s_nop 3
	global_store_short v13, v7, s[2:3]
.LBB3437_150:
	s_or_b64 exec, exec, s[0:1]
	v_cmp_ge_u32_e64 s[0:1], v6, v12
	s_branch .LBB3437_191
.LBB3437_151:
	s_mov_b64 s[0:1], 0
	s_cbranch_execz .LBB3437_191
; %bb.152:
	v_cmp_gt_u32_e32 vcc, s33, v0
	v_cmp_ge_u32_e64 s[0:1], v0, v12
	s_and_b64 s[2:3], vcc, s[0:1]
	s_and_saveexec_b64 s[0:1], s[2:3]
	s_cbranch_execz .LBB3437_154
; %bb.153:
	v_readfirstlane_b32 s2, v4
	v_readfirstlane_b32 s3, v1
	s_waitcnt lgkmcnt(14)
	s_nop 3
	global_store_short v26, v46, s[2:3]
.LBB3437_154:
	s_or_b64 exec, exec, s[0:1]
	v_cmp_gt_u32_e32 vcc, s33, v44
	v_cmp_ge_u32_e64 s[0:1], v44, v12
	s_and_b64 s[2:3], vcc, s[0:1]
	s_and_saveexec_b64 s[0:1], s[2:3]
	s_cbranch_execz .LBB3437_156
; %bb.155:
	v_readfirstlane_b32 s2, v4
	v_readfirstlane_b32 s3, v1
	s_waitcnt lgkmcnt(14)
	s_nop 3
	global_store_short v26, v45, s[2:3] offset:512
.LBB3437_156:
	s_or_b64 exec, exec, s[0:1]
	v_cmp_gt_u32_e32 vcc, s33, v42
	v_cmp_ge_u32_e64 s[0:1], v42, v12
	s_and_b64 s[2:3], vcc, s[0:1]
	s_and_saveexec_b64 s[0:1], s[2:3]
	s_cbranch_execz .LBB3437_158
; %bb.157:
	v_readfirstlane_b32 s2, v4
	v_readfirstlane_b32 s3, v1
	s_waitcnt lgkmcnt(14)
	s_nop 3
	global_store_short v26, v43, s[2:3] offset:1024
.LBB3437_158:
	;; [unrolled: 13-line block ×7, first 2 shown]
	s_or_b64 exec, exec, s[0:1]
	v_cmp_gt_u32_e32 vcc, s33, v30
	v_cmp_ge_u32_e64 s[0:1], v30, v12
	s_and_b64 s[2:3], vcc, s[0:1]
	s_and_saveexec_b64 s[0:1], s[2:3]
	s_cbranch_execz .LBB3437_170
; %bb.169:
	v_lshlrev_b32_e32 v13, 1, v30
	v_readfirstlane_b32 s2, v4
	v_readfirstlane_b32 s3, v1
	s_waitcnt lgkmcnt(11)
	s_nop 3
	global_store_short v13, v31, s[2:3]
.LBB3437_170:
	s_or_b64 exec, exec, s[0:1]
	v_cmp_gt_u32_e32 vcc, s33, v28
	v_cmp_ge_u32_e64 s[0:1], v28, v12
	s_and_b64 s[2:3], vcc, s[0:1]
	s_and_saveexec_b64 s[0:1], s[2:3]
	s_cbranch_execz .LBB3437_172
; %bb.171:
	v_lshlrev_b32_e32 v13, 1, v28
	v_readfirstlane_b32 s2, v4
	v_readfirstlane_b32 s3, v1
	s_waitcnt lgkmcnt(10)
	s_nop 3
	global_store_short v13, v29, s[2:3]
.LBB3437_172:
	;; [unrolled: 14-line block ×11, first 2 shown]
	s_or_b64 exec, exec, s[0:1]
	v_cmp_gt_u32_e32 vcc, s33, v6
	v_cmp_ge_u32_e64 s[0:1], v6, v12
	s_and_b64 s[0:1], vcc, s[0:1]
.LBB3437_191:
	s_and_saveexec_b64 s[2:3], s[0:1]
	s_cbranch_execz .LBB3437_193
; %bb.192:
	v_lshlrev_b32_e32 v6, 1, v6
	v_readfirstlane_b32 s0, v4
	v_readfirstlane_b32 s1, v1
	s_waitcnt lgkmcnt(0)
	s_nop 3
	global_store_short v6, v5, s[0:1]
.LBB3437_193:
	s_or_b64 exec, exec, s[2:3]
	v_cmp_eq_u32_e32 vcc, 0, v0
	s_and_b64 s[0:1], vcc, s[22:23]
	s_and_saveexec_b64 s[2:3], s[0:1]
	s_cbranch_execz .LBB3437_195
; %bb.194:
	v_mov_b32_e32 v0, 0
	global_store_dwordx2 v0, v[2:3], s[20:21]
.LBB3437_195:
	s_endpgm
.LBB3437_196:
	v_readfirstlane_b32 s0, v4
	v_readfirstlane_b32 s1, v1
	s_waitcnt lgkmcnt(14)
	s_nop 3
	global_store_short v26, v46, s[0:1]
	s_or_b64 exec, exec, s[2:3]
	v_cmp_ge_u32_e32 vcc, v44, v12
	s_and_saveexec_b64 s[0:1], vcc
	s_cbranch_execz .LBB3437_132
.LBB3437_197:
	v_readfirstlane_b32 s2, v4
	v_readfirstlane_b32 s3, v1
	s_waitcnt lgkmcnt(14)
	s_nop 3
	global_store_short v26, v45, s[2:3] offset:512
	s_or_b64 exec, exec, s[0:1]
	v_cmp_ge_u32_e32 vcc, v42, v12
	s_and_saveexec_b64 s[0:1], vcc
	s_cbranch_execz .LBB3437_133
.LBB3437_198:
	v_readfirstlane_b32 s2, v4
	v_readfirstlane_b32 s3, v1
	s_waitcnt lgkmcnt(14)
	s_nop 3
	global_store_short v26, v43, s[2:3] offset:1024
	s_or_b64 exec, exec, s[0:1]
	v_cmp_ge_u32_e32 vcc, v40, v12
	s_and_saveexec_b64 s[0:1], vcc
	s_cbranch_execz .LBB3437_134
.LBB3437_199:
	v_readfirstlane_b32 s2, v4
	v_readfirstlane_b32 s3, v1
	s_waitcnt lgkmcnt(14)
	s_nop 3
	global_store_short v26, v41, s[2:3] offset:1536
	s_or_b64 exec, exec, s[0:1]
	v_cmp_ge_u32_e32 vcc, v39, v12
	s_and_saveexec_b64 s[0:1], vcc
	s_cbranch_execz .LBB3437_135
.LBB3437_200:
	v_readfirstlane_b32 s2, v4
	v_readfirstlane_b32 s3, v1
	s_waitcnt lgkmcnt(14)
	s_nop 3
	global_store_short v26, v38, s[2:3] offset:2048
	s_or_b64 exec, exec, s[0:1]
	v_cmp_ge_u32_e32 vcc, v37, v12
	s_and_saveexec_b64 s[0:1], vcc
	s_cbranch_execz .LBB3437_136
.LBB3437_201:
	v_readfirstlane_b32 s2, v4
	v_readfirstlane_b32 s3, v1
	s_waitcnt lgkmcnt(14)
	s_nop 3
	global_store_short v26, v36, s[2:3] offset:2560
	s_or_b64 exec, exec, s[0:1]
	v_cmp_ge_u32_e32 vcc, v35, v12
	s_and_saveexec_b64 s[0:1], vcc
	s_cbranch_execz .LBB3437_137
.LBB3437_202:
	v_readfirstlane_b32 s2, v4
	v_readfirstlane_b32 s3, v1
	s_waitcnt lgkmcnt(13)
	s_nop 3
	global_store_short v26, v34, s[2:3] offset:3072
	s_or_b64 exec, exec, s[0:1]
	v_cmp_ge_u32_e32 vcc, v33, v12
	s_and_saveexec_b64 s[0:1], vcc
	s_cbranch_execz .LBB3437_138
.LBB3437_203:
	v_readfirstlane_b32 s2, v4
	v_readfirstlane_b32 s3, v1
	s_waitcnt lgkmcnt(12)
	s_nop 3
	global_store_short v26, v32, s[2:3] offset:3584
	s_or_b64 exec, exec, s[0:1]
	v_cmp_ge_u32_e32 vcc, v30, v12
	s_and_saveexec_b64 s[0:1], vcc
	s_cbranch_execz .LBB3437_139
.LBB3437_204:
	v_lshlrev_b32_e32 v13, 1, v30
	v_readfirstlane_b32 s2, v4
	v_readfirstlane_b32 s3, v1
	s_waitcnt lgkmcnt(11)
	s_nop 3
	global_store_short v13, v31, s[2:3]
	s_or_b64 exec, exec, s[0:1]
	v_cmp_ge_u32_e32 vcc, v28, v12
	s_and_saveexec_b64 s[0:1], vcc
	s_cbranch_execz .LBB3437_140
.LBB3437_205:
	v_lshlrev_b32_e32 v13, 1, v28
	v_readfirstlane_b32 s2, v4
	v_readfirstlane_b32 s3, v1
	s_waitcnt lgkmcnt(10)
	s_nop 3
	global_store_short v13, v29, s[2:3]
	s_or_b64 exec, exec, s[0:1]
	v_cmp_ge_u32_e32 vcc, v25, v12
	s_and_saveexec_b64 s[0:1], vcc
	s_cbranch_execz .LBB3437_141
.LBB3437_206:
	v_lshlrev_b32_e32 v13, 1, v25
	v_readfirstlane_b32 s2, v4
	v_readfirstlane_b32 s3, v1
	s_waitcnt lgkmcnt(9)
	s_nop 3
	global_store_short v13, v27, s[2:3]
	s_or_b64 exec, exec, s[0:1]
	v_cmp_ge_u32_e32 vcc, v23, v12
	s_and_saveexec_b64 s[0:1], vcc
	s_cbranch_execz .LBB3437_142
.LBB3437_207:
	v_lshlrev_b32_e32 v13, 1, v23
	v_readfirstlane_b32 s2, v4
	v_readfirstlane_b32 s3, v1
	s_waitcnt lgkmcnt(8)
	s_nop 3
	global_store_short v13, v24, s[2:3]
	s_or_b64 exec, exec, s[0:1]
	v_cmp_ge_u32_e32 vcc, v21, v12
	s_and_saveexec_b64 s[0:1], vcc
	s_cbranch_execz .LBB3437_143
.LBB3437_208:
	v_lshlrev_b32_e32 v13, 1, v21
	v_readfirstlane_b32 s2, v4
	v_readfirstlane_b32 s3, v1
	s_waitcnt lgkmcnt(7)
	s_nop 3
	global_store_short v13, v22, s[2:3]
	s_or_b64 exec, exec, s[0:1]
	v_cmp_ge_u32_e32 vcc, v19, v12
	s_and_saveexec_b64 s[0:1], vcc
	s_cbranch_execz .LBB3437_144
.LBB3437_209:
	v_lshlrev_b32_e32 v13, 1, v19
	v_readfirstlane_b32 s2, v4
	v_readfirstlane_b32 s3, v1
	s_waitcnt lgkmcnt(6)
	s_nop 3
	global_store_short v13, v20, s[2:3]
	s_or_b64 exec, exec, s[0:1]
	v_cmp_ge_u32_e32 vcc, v17, v12
	s_and_saveexec_b64 s[0:1], vcc
	s_cbranch_execz .LBB3437_145
.LBB3437_210:
	v_lshlrev_b32_e32 v13, 1, v17
	v_readfirstlane_b32 s2, v4
	v_readfirstlane_b32 s3, v1
	s_waitcnt lgkmcnt(5)
	s_nop 3
	global_store_short v13, v18, s[2:3]
	s_or_b64 exec, exec, s[0:1]
	v_cmp_ge_u32_e32 vcc, v15, v12
	s_and_saveexec_b64 s[0:1], vcc
	s_cbranch_execz .LBB3437_146
.LBB3437_211:
	v_lshlrev_b32_e32 v13, 1, v15
	v_readfirstlane_b32 s2, v4
	v_readfirstlane_b32 s3, v1
	s_waitcnt lgkmcnt(4)
	s_nop 3
	global_store_short v13, v16, s[2:3]
	s_or_b64 exec, exec, s[0:1]
	v_cmp_ge_u32_e32 vcc, v11, v12
	s_and_saveexec_b64 s[0:1], vcc
	s_cbranch_execz .LBB3437_147
.LBB3437_212:
	v_lshlrev_b32_e32 v13, 1, v11
	v_readfirstlane_b32 s2, v4
	v_readfirstlane_b32 s3, v1
	s_waitcnt lgkmcnt(3)
	s_nop 3
	global_store_short v13, v14, s[2:3]
	s_or_b64 exec, exec, s[0:1]
	v_cmp_ge_u32_e32 vcc, v9, v12
	s_and_saveexec_b64 s[0:1], vcc
	s_cbranch_execz .LBB3437_148
.LBB3437_213:
	v_lshlrev_b32_e32 v13, 1, v9
	v_readfirstlane_b32 s2, v4
	v_readfirstlane_b32 s3, v1
	s_waitcnt lgkmcnt(2)
	s_nop 3
	global_store_short v13, v10, s[2:3]
	s_or_b64 exec, exec, s[0:1]
	v_cmp_ge_u32_e32 vcc, v8, v12
	s_and_saveexec_b64 s[0:1], vcc
	s_cbranch_execnz .LBB3437_149
	s_branch .LBB3437_150
	.section	.rodata,"a",@progbits
	.p2align	6, 0x0
	.amdhsa_kernel _ZN7rocprim17ROCPRIM_400000_NS6detail17trampoline_kernelINS0_14default_configENS1_25partition_config_selectorILNS1_17partition_subalgoE1EsNS0_10empty_typeEbEEZZNS1_14partition_implILS5_1ELb0ES3_jN6thrust23THRUST_200600_302600_NS6detail15normal_iteratorINSA_10device_ptrIsEEEEPS6_NSA_18transform_iteratorI7is_evenIsESF_NSA_11use_defaultESK_EENS0_5tupleIJNSA_16discard_iteratorISK_EESF_EEENSM_IJSG_SG_EEES6_PlJS6_EEE10hipError_tPvRmT3_T4_T5_T6_T7_T9_mT8_P12ihipStream_tbDpT10_ENKUlT_T0_E_clISt17integral_constantIbLb1EES1A_IbLb0EEEEDaS16_S17_EUlS16_E_NS1_11comp_targetILNS1_3genE4ELNS1_11target_archE910ELNS1_3gpuE8ELNS1_3repE0EEENS1_30default_config_static_selectorELNS0_4arch9wavefront6targetE1EEEvT1_
		.amdhsa_group_segment_fixed_size 10248
		.amdhsa_private_segment_fixed_size 0
		.amdhsa_kernarg_size 136
		.amdhsa_user_sgpr_count 6
		.amdhsa_user_sgpr_private_segment_buffer 1
		.amdhsa_user_sgpr_dispatch_ptr 0
		.amdhsa_user_sgpr_queue_ptr 0
		.amdhsa_user_sgpr_kernarg_segment_ptr 1
		.amdhsa_user_sgpr_dispatch_id 0
		.amdhsa_user_sgpr_flat_scratch_init 0
		.amdhsa_user_sgpr_kernarg_preload_length 0
		.amdhsa_user_sgpr_kernarg_preload_offset 0
		.amdhsa_user_sgpr_private_segment_size 0
		.amdhsa_uses_dynamic_stack 0
		.amdhsa_system_sgpr_private_segment_wavefront_offset 0
		.amdhsa_system_sgpr_workgroup_id_x 1
		.amdhsa_system_sgpr_workgroup_id_y 0
		.amdhsa_system_sgpr_workgroup_id_z 0
		.amdhsa_system_sgpr_workgroup_info 0
		.amdhsa_system_vgpr_workitem_id 0
		.amdhsa_next_free_vgpr 65
		.amdhsa_next_free_sgpr 44
		.amdhsa_accum_offset 68
		.amdhsa_reserve_vcc 1
		.amdhsa_reserve_flat_scratch 0
		.amdhsa_float_round_mode_32 0
		.amdhsa_float_round_mode_16_64 0
		.amdhsa_float_denorm_mode_32 3
		.amdhsa_float_denorm_mode_16_64 3
		.amdhsa_dx10_clamp 1
		.amdhsa_ieee_mode 1
		.amdhsa_fp16_overflow 0
		.amdhsa_tg_split 0
		.amdhsa_exception_fp_ieee_invalid_op 0
		.amdhsa_exception_fp_denorm_src 0
		.amdhsa_exception_fp_ieee_div_zero 0
		.amdhsa_exception_fp_ieee_overflow 0
		.amdhsa_exception_fp_ieee_underflow 0
		.amdhsa_exception_fp_ieee_inexact 0
		.amdhsa_exception_int_div_zero 0
	.end_amdhsa_kernel
	.section	.text._ZN7rocprim17ROCPRIM_400000_NS6detail17trampoline_kernelINS0_14default_configENS1_25partition_config_selectorILNS1_17partition_subalgoE1EsNS0_10empty_typeEbEEZZNS1_14partition_implILS5_1ELb0ES3_jN6thrust23THRUST_200600_302600_NS6detail15normal_iteratorINSA_10device_ptrIsEEEEPS6_NSA_18transform_iteratorI7is_evenIsESF_NSA_11use_defaultESK_EENS0_5tupleIJNSA_16discard_iteratorISK_EESF_EEENSM_IJSG_SG_EEES6_PlJS6_EEE10hipError_tPvRmT3_T4_T5_T6_T7_T9_mT8_P12ihipStream_tbDpT10_ENKUlT_T0_E_clISt17integral_constantIbLb1EES1A_IbLb0EEEEDaS16_S17_EUlS16_E_NS1_11comp_targetILNS1_3genE4ELNS1_11target_archE910ELNS1_3gpuE8ELNS1_3repE0EEENS1_30default_config_static_selectorELNS0_4arch9wavefront6targetE1EEEvT1_,"axG",@progbits,_ZN7rocprim17ROCPRIM_400000_NS6detail17trampoline_kernelINS0_14default_configENS1_25partition_config_selectorILNS1_17partition_subalgoE1EsNS0_10empty_typeEbEEZZNS1_14partition_implILS5_1ELb0ES3_jN6thrust23THRUST_200600_302600_NS6detail15normal_iteratorINSA_10device_ptrIsEEEEPS6_NSA_18transform_iteratorI7is_evenIsESF_NSA_11use_defaultESK_EENS0_5tupleIJNSA_16discard_iteratorISK_EESF_EEENSM_IJSG_SG_EEES6_PlJS6_EEE10hipError_tPvRmT3_T4_T5_T6_T7_T9_mT8_P12ihipStream_tbDpT10_ENKUlT_T0_E_clISt17integral_constantIbLb1EES1A_IbLb0EEEEDaS16_S17_EUlS16_E_NS1_11comp_targetILNS1_3genE4ELNS1_11target_archE910ELNS1_3gpuE8ELNS1_3repE0EEENS1_30default_config_static_selectorELNS0_4arch9wavefront6targetE1EEEvT1_,comdat
.Lfunc_end3437:
	.size	_ZN7rocprim17ROCPRIM_400000_NS6detail17trampoline_kernelINS0_14default_configENS1_25partition_config_selectorILNS1_17partition_subalgoE1EsNS0_10empty_typeEbEEZZNS1_14partition_implILS5_1ELb0ES3_jN6thrust23THRUST_200600_302600_NS6detail15normal_iteratorINSA_10device_ptrIsEEEEPS6_NSA_18transform_iteratorI7is_evenIsESF_NSA_11use_defaultESK_EENS0_5tupleIJNSA_16discard_iteratorISK_EESF_EEENSM_IJSG_SG_EEES6_PlJS6_EEE10hipError_tPvRmT3_T4_T5_T6_T7_T9_mT8_P12ihipStream_tbDpT10_ENKUlT_T0_E_clISt17integral_constantIbLb1EES1A_IbLb0EEEEDaS16_S17_EUlS16_E_NS1_11comp_targetILNS1_3genE4ELNS1_11target_archE910ELNS1_3gpuE8ELNS1_3repE0EEENS1_30default_config_static_selectorELNS0_4arch9wavefront6targetE1EEEvT1_, .Lfunc_end3437-_ZN7rocprim17ROCPRIM_400000_NS6detail17trampoline_kernelINS0_14default_configENS1_25partition_config_selectorILNS1_17partition_subalgoE1EsNS0_10empty_typeEbEEZZNS1_14partition_implILS5_1ELb0ES3_jN6thrust23THRUST_200600_302600_NS6detail15normal_iteratorINSA_10device_ptrIsEEEEPS6_NSA_18transform_iteratorI7is_evenIsESF_NSA_11use_defaultESK_EENS0_5tupleIJNSA_16discard_iteratorISK_EESF_EEENSM_IJSG_SG_EEES6_PlJS6_EEE10hipError_tPvRmT3_T4_T5_T6_T7_T9_mT8_P12ihipStream_tbDpT10_ENKUlT_T0_E_clISt17integral_constantIbLb1EES1A_IbLb0EEEEDaS16_S17_EUlS16_E_NS1_11comp_targetILNS1_3genE4ELNS1_11target_archE910ELNS1_3gpuE8ELNS1_3repE0EEENS1_30default_config_static_selectorELNS0_4arch9wavefront6targetE1EEEvT1_
                                        ; -- End function
	.section	.AMDGPU.csdata,"",@progbits
; Kernel info:
; codeLenInByte = 9244
; NumSgprs: 48
; NumVgprs: 65
; NumAgprs: 0
; TotalNumVgprs: 65
; ScratchSize: 0
; MemoryBound: 0
; FloatMode: 240
; IeeeMode: 1
; LDSByteSize: 10248 bytes/workgroup (compile time only)
; SGPRBlocks: 5
; VGPRBlocks: 8
; NumSGPRsForWavesPerEU: 48
; NumVGPRsForWavesPerEU: 65
; AccumOffset: 68
; Occupancy: 6
; WaveLimiterHint : 1
; COMPUTE_PGM_RSRC2:SCRATCH_EN: 0
; COMPUTE_PGM_RSRC2:USER_SGPR: 6
; COMPUTE_PGM_RSRC2:TRAP_HANDLER: 0
; COMPUTE_PGM_RSRC2:TGID_X_EN: 1
; COMPUTE_PGM_RSRC2:TGID_Y_EN: 0
; COMPUTE_PGM_RSRC2:TGID_Z_EN: 0
; COMPUTE_PGM_RSRC2:TIDIG_COMP_CNT: 0
; COMPUTE_PGM_RSRC3_GFX90A:ACCUM_OFFSET: 16
; COMPUTE_PGM_RSRC3_GFX90A:TG_SPLIT: 0
	.section	.text._ZN7rocprim17ROCPRIM_400000_NS6detail17trampoline_kernelINS0_14default_configENS1_25partition_config_selectorILNS1_17partition_subalgoE1EsNS0_10empty_typeEbEEZZNS1_14partition_implILS5_1ELb0ES3_jN6thrust23THRUST_200600_302600_NS6detail15normal_iteratorINSA_10device_ptrIsEEEEPS6_NSA_18transform_iteratorI7is_evenIsESF_NSA_11use_defaultESK_EENS0_5tupleIJNSA_16discard_iteratorISK_EESF_EEENSM_IJSG_SG_EEES6_PlJS6_EEE10hipError_tPvRmT3_T4_T5_T6_T7_T9_mT8_P12ihipStream_tbDpT10_ENKUlT_T0_E_clISt17integral_constantIbLb1EES1A_IbLb0EEEEDaS16_S17_EUlS16_E_NS1_11comp_targetILNS1_3genE3ELNS1_11target_archE908ELNS1_3gpuE7ELNS1_3repE0EEENS1_30default_config_static_selectorELNS0_4arch9wavefront6targetE1EEEvT1_,"axG",@progbits,_ZN7rocprim17ROCPRIM_400000_NS6detail17trampoline_kernelINS0_14default_configENS1_25partition_config_selectorILNS1_17partition_subalgoE1EsNS0_10empty_typeEbEEZZNS1_14partition_implILS5_1ELb0ES3_jN6thrust23THRUST_200600_302600_NS6detail15normal_iteratorINSA_10device_ptrIsEEEEPS6_NSA_18transform_iteratorI7is_evenIsESF_NSA_11use_defaultESK_EENS0_5tupleIJNSA_16discard_iteratorISK_EESF_EEENSM_IJSG_SG_EEES6_PlJS6_EEE10hipError_tPvRmT3_T4_T5_T6_T7_T9_mT8_P12ihipStream_tbDpT10_ENKUlT_T0_E_clISt17integral_constantIbLb1EES1A_IbLb0EEEEDaS16_S17_EUlS16_E_NS1_11comp_targetILNS1_3genE3ELNS1_11target_archE908ELNS1_3gpuE7ELNS1_3repE0EEENS1_30default_config_static_selectorELNS0_4arch9wavefront6targetE1EEEvT1_,comdat
	.protected	_ZN7rocprim17ROCPRIM_400000_NS6detail17trampoline_kernelINS0_14default_configENS1_25partition_config_selectorILNS1_17partition_subalgoE1EsNS0_10empty_typeEbEEZZNS1_14partition_implILS5_1ELb0ES3_jN6thrust23THRUST_200600_302600_NS6detail15normal_iteratorINSA_10device_ptrIsEEEEPS6_NSA_18transform_iteratorI7is_evenIsESF_NSA_11use_defaultESK_EENS0_5tupleIJNSA_16discard_iteratorISK_EESF_EEENSM_IJSG_SG_EEES6_PlJS6_EEE10hipError_tPvRmT3_T4_T5_T6_T7_T9_mT8_P12ihipStream_tbDpT10_ENKUlT_T0_E_clISt17integral_constantIbLb1EES1A_IbLb0EEEEDaS16_S17_EUlS16_E_NS1_11comp_targetILNS1_3genE3ELNS1_11target_archE908ELNS1_3gpuE7ELNS1_3repE0EEENS1_30default_config_static_selectorELNS0_4arch9wavefront6targetE1EEEvT1_ ; -- Begin function _ZN7rocprim17ROCPRIM_400000_NS6detail17trampoline_kernelINS0_14default_configENS1_25partition_config_selectorILNS1_17partition_subalgoE1EsNS0_10empty_typeEbEEZZNS1_14partition_implILS5_1ELb0ES3_jN6thrust23THRUST_200600_302600_NS6detail15normal_iteratorINSA_10device_ptrIsEEEEPS6_NSA_18transform_iteratorI7is_evenIsESF_NSA_11use_defaultESK_EENS0_5tupleIJNSA_16discard_iteratorISK_EESF_EEENSM_IJSG_SG_EEES6_PlJS6_EEE10hipError_tPvRmT3_T4_T5_T6_T7_T9_mT8_P12ihipStream_tbDpT10_ENKUlT_T0_E_clISt17integral_constantIbLb1EES1A_IbLb0EEEEDaS16_S17_EUlS16_E_NS1_11comp_targetILNS1_3genE3ELNS1_11target_archE908ELNS1_3gpuE7ELNS1_3repE0EEENS1_30default_config_static_selectorELNS0_4arch9wavefront6targetE1EEEvT1_
	.globl	_ZN7rocprim17ROCPRIM_400000_NS6detail17trampoline_kernelINS0_14default_configENS1_25partition_config_selectorILNS1_17partition_subalgoE1EsNS0_10empty_typeEbEEZZNS1_14partition_implILS5_1ELb0ES3_jN6thrust23THRUST_200600_302600_NS6detail15normal_iteratorINSA_10device_ptrIsEEEEPS6_NSA_18transform_iteratorI7is_evenIsESF_NSA_11use_defaultESK_EENS0_5tupleIJNSA_16discard_iteratorISK_EESF_EEENSM_IJSG_SG_EEES6_PlJS6_EEE10hipError_tPvRmT3_T4_T5_T6_T7_T9_mT8_P12ihipStream_tbDpT10_ENKUlT_T0_E_clISt17integral_constantIbLb1EES1A_IbLb0EEEEDaS16_S17_EUlS16_E_NS1_11comp_targetILNS1_3genE3ELNS1_11target_archE908ELNS1_3gpuE7ELNS1_3repE0EEENS1_30default_config_static_selectorELNS0_4arch9wavefront6targetE1EEEvT1_
	.p2align	8
	.type	_ZN7rocprim17ROCPRIM_400000_NS6detail17trampoline_kernelINS0_14default_configENS1_25partition_config_selectorILNS1_17partition_subalgoE1EsNS0_10empty_typeEbEEZZNS1_14partition_implILS5_1ELb0ES3_jN6thrust23THRUST_200600_302600_NS6detail15normal_iteratorINSA_10device_ptrIsEEEEPS6_NSA_18transform_iteratorI7is_evenIsESF_NSA_11use_defaultESK_EENS0_5tupleIJNSA_16discard_iteratorISK_EESF_EEENSM_IJSG_SG_EEES6_PlJS6_EEE10hipError_tPvRmT3_T4_T5_T6_T7_T9_mT8_P12ihipStream_tbDpT10_ENKUlT_T0_E_clISt17integral_constantIbLb1EES1A_IbLb0EEEEDaS16_S17_EUlS16_E_NS1_11comp_targetILNS1_3genE3ELNS1_11target_archE908ELNS1_3gpuE7ELNS1_3repE0EEENS1_30default_config_static_selectorELNS0_4arch9wavefront6targetE1EEEvT1_,@function
_ZN7rocprim17ROCPRIM_400000_NS6detail17trampoline_kernelINS0_14default_configENS1_25partition_config_selectorILNS1_17partition_subalgoE1EsNS0_10empty_typeEbEEZZNS1_14partition_implILS5_1ELb0ES3_jN6thrust23THRUST_200600_302600_NS6detail15normal_iteratorINSA_10device_ptrIsEEEEPS6_NSA_18transform_iteratorI7is_evenIsESF_NSA_11use_defaultESK_EENS0_5tupleIJNSA_16discard_iteratorISK_EESF_EEENSM_IJSG_SG_EEES6_PlJS6_EEE10hipError_tPvRmT3_T4_T5_T6_T7_T9_mT8_P12ihipStream_tbDpT10_ENKUlT_T0_E_clISt17integral_constantIbLb1EES1A_IbLb0EEEEDaS16_S17_EUlS16_E_NS1_11comp_targetILNS1_3genE3ELNS1_11target_archE908ELNS1_3gpuE7ELNS1_3repE0EEENS1_30default_config_static_selectorELNS0_4arch9wavefront6targetE1EEEvT1_: ; @_ZN7rocprim17ROCPRIM_400000_NS6detail17trampoline_kernelINS0_14default_configENS1_25partition_config_selectorILNS1_17partition_subalgoE1EsNS0_10empty_typeEbEEZZNS1_14partition_implILS5_1ELb0ES3_jN6thrust23THRUST_200600_302600_NS6detail15normal_iteratorINSA_10device_ptrIsEEEEPS6_NSA_18transform_iteratorI7is_evenIsESF_NSA_11use_defaultESK_EENS0_5tupleIJNSA_16discard_iteratorISK_EESF_EEENSM_IJSG_SG_EEES6_PlJS6_EEE10hipError_tPvRmT3_T4_T5_T6_T7_T9_mT8_P12ihipStream_tbDpT10_ENKUlT_T0_E_clISt17integral_constantIbLb1EES1A_IbLb0EEEEDaS16_S17_EUlS16_E_NS1_11comp_targetILNS1_3genE3ELNS1_11target_archE908ELNS1_3gpuE7ELNS1_3repE0EEENS1_30default_config_static_selectorELNS0_4arch9wavefront6targetE1EEEvT1_
; %bb.0:
	.section	.rodata,"a",@progbits
	.p2align	6, 0x0
	.amdhsa_kernel _ZN7rocprim17ROCPRIM_400000_NS6detail17trampoline_kernelINS0_14default_configENS1_25partition_config_selectorILNS1_17partition_subalgoE1EsNS0_10empty_typeEbEEZZNS1_14partition_implILS5_1ELb0ES3_jN6thrust23THRUST_200600_302600_NS6detail15normal_iteratorINSA_10device_ptrIsEEEEPS6_NSA_18transform_iteratorI7is_evenIsESF_NSA_11use_defaultESK_EENS0_5tupleIJNSA_16discard_iteratorISK_EESF_EEENSM_IJSG_SG_EEES6_PlJS6_EEE10hipError_tPvRmT3_T4_T5_T6_T7_T9_mT8_P12ihipStream_tbDpT10_ENKUlT_T0_E_clISt17integral_constantIbLb1EES1A_IbLb0EEEEDaS16_S17_EUlS16_E_NS1_11comp_targetILNS1_3genE3ELNS1_11target_archE908ELNS1_3gpuE7ELNS1_3repE0EEENS1_30default_config_static_selectorELNS0_4arch9wavefront6targetE1EEEvT1_
		.amdhsa_group_segment_fixed_size 0
		.amdhsa_private_segment_fixed_size 0
		.amdhsa_kernarg_size 136
		.amdhsa_user_sgpr_count 6
		.amdhsa_user_sgpr_private_segment_buffer 1
		.amdhsa_user_sgpr_dispatch_ptr 0
		.amdhsa_user_sgpr_queue_ptr 0
		.amdhsa_user_sgpr_kernarg_segment_ptr 1
		.amdhsa_user_sgpr_dispatch_id 0
		.amdhsa_user_sgpr_flat_scratch_init 0
		.amdhsa_user_sgpr_kernarg_preload_length 0
		.amdhsa_user_sgpr_kernarg_preload_offset 0
		.amdhsa_user_sgpr_private_segment_size 0
		.amdhsa_uses_dynamic_stack 0
		.amdhsa_system_sgpr_private_segment_wavefront_offset 0
		.amdhsa_system_sgpr_workgroup_id_x 1
		.amdhsa_system_sgpr_workgroup_id_y 0
		.amdhsa_system_sgpr_workgroup_id_z 0
		.amdhsa_system_sgpr_workgroup_info 0
		.amdhsa_system_vgpr_workitem_id 0
		.amdhsa_next_free_vgpr 1
		.amdhsa_next_free_sgpr 0
		.amdhsa_accum_offset 4
		.amdhsa_reserve_vcc 0
		.amdhsa_reserve_flat_scratch 0
		.amdhsa_float_round_mode_32 0
		.amdhsa_float_round_mode_16_64 0
		.amdhsa_float_denorm_mode_32 3
		.amdhsa_float_denorm_mode_16_64 3
		.amdhsa_dx10_clamp 1
		.amdhsa_ieee_mode 1
		.amdhsa_fp16_overflow 0
		.amdhsa_tg_split 0
		.amdhsa_exception_fp_ieee_invalid_op 0
		.amdhsa_exception_fp_denorm_src 0
		.amdhsa_exception_fp_ieee_div_zero 0
		.amdhsa_exception_fp_ieee_overflow 0
		.amdhsa_exception_fp_ieee_underflow 0
		.amdhsa_exception_fp_ieee_inexact 0
		.amdhsa_exception_int_div_zero 0
	.end_amdhsa_kernel
	.section	.text._ZN7rocprim17ROCPRIM_400000_NS6detail17trampoline_kernelINS0_14default_configENS1_25partition_config_selectorILNS1_17partition_subalgoE1EsNS0_10empty_typeEbEEZZNS1_14partition_implILS5_1ELb0ES3_jN6thrust23THRUST_200600_302600_NS6detail15normal_iteratorINSA_10device_ptrIsEEEEPS6_NSA_18transform_iteratorI7is_evenIsESF_NSA_11use_defaultESK_EENS0_5tupleIJNSA_16discard_iteratorISK_EESF_EEENSM_IJSG_SG_EEES6_PlJS6_EEE10hipError_tPvRmT3_T4_T5_T6_T7_T9_mT8_P12ihipStream_tbDpT10_ENKUlT_T0_E_clISt17integral_constantIbLb1EES1A_IbLb0EEEEDaS16_S17_EUlS16_E_NS1_11comp_targetILNS1_3genE3ELNS1_11target_archE908ELNS1_3gpuE7ELNS1_3repE0EEENS1_30default_config_static_selectorELNS0_4arch9wavefront6targetE1EEEvT1_,"axG",@progbits,_ZN7rocprim17ROCPRIM_400000_NS6detail17trampoline_kernelINS0_14default_configENS1_25partition_config_selectorILNS1_17partition_subalgoE1EsNS0_10empty_typeEbEEZZNS1_14partition_implILS5_1ELb0ES3_jN6thrust23THRUST_200600_302600_NS6detail15normal_iteratorINSA_10device_ptrIsEEEEPS6_NSA_18transform_iteratorI7is_evenIsESF_NSA_11use_defaultESK_EENS0_5tupleIJNSA_16discard_iteratorISK_EESF_EEENSM_IJSG_SG_EEES6_PlJS6_EEE10hipError_tPvRmT3_T4_T5_T6_T7_T9_mT8_P12ihipStream_tbDpT10_ENKUlT_T0_E_clISt17integral_constantIbLb1EES1A_IbLb0EEEEDaS16_S17_EUlS16_E_NS1_11comp_targetILNS1_3genE3ELNS1_11target_archE908ELNS1_3gpuE7ELNS1_3repE0EEENS1_30default_config_static_selectorELNS0_4arch9wavefront6targetE1EEEvT1_,comdat
.Lfunc_end3438:
	.size	_ZN7rocprim17ROCPRIM_400000_NS6detail17trampoline_kernelINS0_14default_configENS1_25partition_config_selectorILNS1_17partition_subalgoE1EsNS0_10empty_typeEbEEZZNS1_14partition_implILS5_1ELb0ES3_jN6thrust23THRUST_200600_302600_NS6detail15normal_iteratorINSA_10device_ptrIsEEEEPS6_NSA_18transform_iteratorI7is_evenIsESF_NSA_11use_defaultESK_EENS0_5tupleIJNSA_16discard_iteratorISK_EESF_EEENSM_IJSG_SG_EEES6_PlJS6_EEE10hipError_tPvRmT3_T4_T5_T6_T7_T9_mT8_P12ihipStream_tbDpT10_ENKUlT_T0_E_clISt17integral_constantIbLb1EES1A_IbLb0EEEEDaS16_S17_EUlS16_E_NS1_11comp_targetILNS1_3genE3ELNS1_11target_archE908ELNS1_3gpuE7ELNS1_3repE0EEENS1_30default_config_static_selectorELNS0_4arch9wavefront6targetE1EEEvT1_, .Lfunc_end3438-_ZN7rocprim17ROCPRIM_400000_NS6detail17trampoline_kernelINS0_14default_configENS1_25partition_config_selectorILNS1_17partition_subalgoE1EsNS0_10empty_typeEbEEZZNS1_14partition_implILS5_1ELb0ES3_jN6thrust23THRUST_200600_302600_NS6detail15normal_iteratorINSA_10device_ptrIsEEEEPS6_NSA_18transform_iteratorI7is_evenIsESF_NSA_11use_defaultESK_EENS0_5tupleIJNSA_16discard_iteratorISK_EESF_EEENSM_IJSG_SG_EEES6_PlJS6_EEE10hipError_tPvRmT3_T4_T5_T6_T7_T9_mT8_P12ihipStream_tbDpT10_ENKUlT_T0_E_clISt17integral_constantIbLb1EES1A_IbLb0EEEEDaS16_S17_EUlS16_E_NS1_11comp_targetILNS1_3genE3ELNS1_11target_archE908ELNS1_3gpuE7ELNS1_3repE0EEENS1_30default_config_static_selectorELNS0_4arch9wavefront6targetE1EEEvT1_
                                        ; -- End function
	.section	.AMDGPU.csdata,"",@progbits
; Kernel info:
; codeLenInByte = 0
; NumSgprs: 4
; NumVgprs: 0
; NumAgprs: 0
; TotalNumVgprs: 0
; ScratchSize: 0
; MemoryBound: 0
; FloatMode: 240
; IeeeMode: 1
; LDSByteSize: 0 bytes/workgroup (compile time only)
; SGPRBlocks: 0
; VGPRBlocks: 0
; NumSGPRsForWavesPerEU: 4
; NumVGPRsForWavesPerEU: 1
; AccumOffset: 4
; Occupancy: 8
; WaveLimiterHint : 0
; COMPUTE_PGM_RSRC2:SCRATCH_EN: 0
; COMPUTE_PGM_RSRC2:USER_SGPR: 6
; COMPUTE_PGM_RSRC2:TRAP_HANDLER: 0
; COMPUTE_PGM_RSRC2:TGID_X_EN: 1
; COMPUTE_PGM_RSRC2:TGID_Y_EN: 0
; COMPUTE_PGM_RSRC2:TGID_Z_EN: 0
; COMPUTE_PGM_RSRC2:TIDIG_COMP_CNT: 0
; COMPUTE_PGM_RSRC3_GFX90A:ACCUM_OFFSET: 0
; COMPUTE_PGM_RSRC3_GFX90A:TG_SPLIT: 0
	.section	.text._ZN7rocprim17ROCPRIM_400000_NS6detail17trampoline_kernelINS0_14default_configENS1_25partition_config_selectorILNS1_17partition_subalgoE1EsNS0_10empty_typeEbEEZZNS1_14partition_implILS5_1ELb0ES3_jN6thrust23THRUST_200600_302600_NS6detail15normal_iteratorINSA_10device_ptrIsEEEEPS6_NSA_18transform_iteratorI7is_evenIsESF_NSA_11use_defaultESK_EENS0_5tupleIJNSA_16discard_iteratorISK_EESF_EEENSM_IJSG_SG_EEES6_PlJS6_EEE10hipError_tPvRmT3_T4_T5_T6_T7_T9_mT8_P12ihipStream_tbDpT10_ENKUlT_T0_E_clISt17integral_constantIbLb1EES1A_IbLb0EEEEDaS16_S17_EUlS16_E_NS1_11comp_targetILNS1_3genE2ELNS1_11target_archE906ELNS1_3gpuE6ELNS1_3repE0EEENS1_30default_config_static_selectorELNS0_4arch9wavefront6targetE1EEEvT1_,"axG",@progbits,_ZN7rocprim17ROCPRIM_400000_NS6detail17trampoline_kernelINS0_14default_configENS1_25partition_config_selectorILNS1_17partition_subalgoE1EsNS0_10empty_typeEbEEZZNS1_14partition_implILS5_1ELb0ES3_jN6thrust23THRUST_200600_302600_NS6detail15normal_iteratorINSA_10device_ptrIsEEEEPS6_NSA_18transform_iteratorI7is_evenIsESF_NSA_11use_defaultESK_EENS0_5tupleIJNSA_16discard_iteratorISK_EESF_EEENSM_IJSG_SG_EEES6_PlJS6_EEE10hipError_tPvRmT3_T4_T5_T6_T7_T9_mT8_P12ihipStream_tbDpT10_ENKUlT_T0_E_clISt17integral_constantIbLb1EES1A_IbLb0EEEEDaS16_S17_EUlS16_E_NS1_11comp_targetILNS1_3genE2ELNS1_11target_archE906ELNS1_3gpuE6ELNS1_3repE0EEENS1_30default_config_static_selectorELNS0_4arch9wavefront6targetE1EEEvT1_,comdat
	.protected	_ZN7rocprim17ROCPRIM_400000_NS6detail17trampoline_kernelINS0_14default_configENS1_25partition_config_selectorILNS1_17partition_subalgoE1EsNS0_10empty_typeEbEEZZNS1_14partition_implILS5_1ELb0ES3_jN6thrust23THRUST_200600_302600_NS6detail15normal_iteratorINSA_10device_ptrIsEEEEPS6_NSA_18transform_iteratorI7is_evenIsESF_NSA_11use_defaultESK_EENS0_5tupleIJNSA_16discard_iteratorISK_EESF_EEENSM_IJSG_SG_EEES6_PlJS6_EEE10hipError_tPvRmT3_T4_T5_T6_T7_T9_mT8_P12ihipStream_tbDpT10_ENKUlT_T0_E_clISt17integral_constantIbLb1EES1A_IbLb0EEEEDaS16_S17_EUlS16_E_NS1_11comp_targetILNS1_3genE2ELNS1_11target_archE906ELNS1_3gpuE6ELNS1_3repE0EEENS1_30default_config_static_selectorELNS0_4arch9wavefront6targetE1EEEvT1_ ; -- Begin function _ZN7rocprim17ROCPRIM_400000_NS6detail17trampoline_kernelINS0_14default_configENS1_25partition_config_selectorILNS1_17partition_subalgoE1EsNS0_10empty_typeEbEEZZNS1_14partition_implILS5_1ELb0ES3_jN6thrust23THRUST_200600_302600_NS6detail15normal_iteratorINSA_10device_ptrIsEEEEPS6_NSA_18transform_iteratorI7is_evenIsESF_NSA_11use_defaultESK_EENS0_5tupleIJNSA_16discard_iteratorISK_EESF_EEENSM_IJSG_SG_EEES6_PlJS6_EEE10hipError_tPvRmT3_T4_T5_T6_T7_T9_mT8_P12ihipStream_tbDpT10_ENKUlT_T0_E_clISt17integral_constantIbLb1EES1A_IbLb0EEEEDaS16_S17_EUlS16_E_NS1_11comp_targetILNS1_3genE2ELNS1_11target_archE906ELNS1_3gpuE6ELNS1_3repE0EEENS1_30default_config_static_selectorELNS0_4arch9wavefront6targetE1EEEvT1_
	.globl	_ZN7rocprim17ROCPRIM_400000_NS6detail17trampoline_kernelINS0_14default_configENS1_25partition_config_selectorILNS1_17partition_subalgoE1EsNS0_10empty_typeEbEEZZNS1_14partition_implILS5_1ELb0ES3_jN6thrust23THRUST_200600_302600_NS6detail15normal_iteratorINSA_10device_ptrIsEEEEPS6_NSA_18transform_iteratorI7is_evenIsESF_NSA_11use_defaultESK_EENS0_5tupleIJNSA_16discard_iteratorISK_EESF_EEENSM_IJSG_SG_EEES6_PlJS6_EEE10hipError_tPvRmT3_T4_T5_T6_T7_T9_mT8_P12ihipStream_tbDpT10_ENKUlT_T0_E_clISt17integral_constantIbLb1EES1A_IbLb0EEEEDaS16_S17_EUlS16_E_NS1_11comp_targetILNS1_3genE2ELNS1_11target_archE906ELNS1_3gpuE6ELNS1_3repE0EEENS1_30default_config_static_selectorELNS0_4arch9wavefront6targetE1EEEvT1_
	.p2align	8
	.type	_ZN7rocprim17ROCPRIM_400000_NS6detail17trampoline_kernelINS0_14default_configENS1_25partition_config_selectorILNS1_17partition_subalgoE1EsNS0_10empty_typeEbEEZZNS1_14partition_implILS5_1ELb0ES3_jN6thrust23THRUST_200600_302600_NS6detail15normal_iteratorINSA_10device_ptrIsEEEEPS6_NSA_18transform_iteratorI7is_evenIsESF_NSA_11use_defaultESK_EENS0_5tupleIJNSA_16discard_iteratorISK_EESF_EEENSM_IJSG_SG_EEES6_PlJS6_EEE10hipError_tPvRmT3_T4_T5_T6_T7_T9_mT8_P12ihipStream_tbDpT10_ENKUlT_T0_E_clISt17integral_constantIbLb1EES1A_IbLb0EEEEDaS16_S17_EUlS16_E_NS1_11comp_targetILNS1_3genE2ELNS1_11target_archE906ELNS1_3gpuE6ELNS1_3repE0EEENS1_30default_config_static_selectorELNS0_4arch9wavefront6targetE1EEEvT1_,@function
_ZN7rocprim17ROCPRIM_400000_NS6detail17trampoline_kernelINS0_14default_configENS1_25partition_config_selectorILNS1_17partition_subalgoE1EsNS0_10empty_typeEbEEZZNS1_14partition_implILS5_1ELb0ES3_jN6thrust23THRUST_200600_302600_NS6detail15normal_iteratorINSA_10device_ptrIsEEEEPS6_NSA_18transform_iteratorI7is_evenIsESF_NSA_11use_defaultESK_EENS0_5tupleIJNSA_16discard_iteratorISK_EESF_EEENSM_IJSG_SG_EEES6_PlJS6_EEE10hipError_tPvRmT3_T4_T5_T6_T7_T9_mT8_P12ihipStream_tbDpT10_ENKUlT_T0_E_clISt17integral_constantIbLb1EES1A_IbLb0EEEEDaS16_S17_EUlS16_E_NS1_11comp_targetILNS1_3genE2ELNS1_11target_archE906ELNS1_3gpuE6ELNS1_3repE0EEENS1_30default_config_static_selectorELNS0_4arch9wavefront6targetE1EEEvT1_: ; @_ZN7rocprim17ROCPRIM_400000_NS6detail17trampoline_kernelINS0_14default_configENS1_25partition_config_selectorILNS1_17partition_subalgoE1EsNS0_10empty_typeEbEEZZNS1_14partition_implILS5_1ELb0ES3_jN6thrust23THRUST_200600_302600_NS6detail15normal_iteratorINSA_10device_ptrIsEEEEPS6_NSA_18transform_iteratorI7is_evenIsESF_NSA_11use_defaultESK_EENS0_5tupleIJNSA_16discard_iteratorISK_EESF_EEENSM_IJSG_SG_EEES6_PlJS6_EEE10hipError_tPvRmT3_T4_T5_T6_T7_T9_mT8_P12ihipStream_tbDpT10_ENKUlT_T0_E_clISt17integral_constantIbLb1EES1A_IbLb0EEEEDaS16_S17_EUlS16_E_NS1_11comp_targetILNS1_3genE2ELNS1_11target_archE906ELNS1_3gpuE6ELNS1_3repE0EEENS1_30default_config_static_selectorELNS0_4arch9wavefront6targetE1EEEvT1_
; %bb.0:
	.section	.rodata,"a",@progbits
	.p2align	6, 0x0
	.amdhsa_kernel _ZN7rocprim17ROCPRIM_400000_NS6detail17trampoline_kernelINS0_14default_configENS1_25partition_config_selectorILNS1_17partition_subalgoE1EsNS0_10empty_typeEbEEZZNS1_14partition_implILS5_1ELb0ES3_jN6thrust23THRUST_200600_302600_NS6detail15normal_iteratorINSA_10device_ptrIsEEEEPS6_NSA_18transform_iteratorI7is_evenIsESF_NSA_11use_defaultESK_EENS0_5tupleIJNSA_16discard_iteratorISK_EESF_EEENSM_IJSG_SG_EEES6_PlJS6_EEE10hipError_tPvRmT3_T4_T5_T6_T7_T9_mT8_P12ihipStream_tbDpT10_ENKUlT_T0_E_clISt17integral_constantIbLb1EES1A_IbLb0EEEEDaS16_S17_EUlS16_E_NS1_11comp_targetILNS1_3genE2ELNS1_11target_archE906ELNS1_3gpuE6ELNS1_3repE0EEENS1_30default_config_static_selectorELNS0_4arch9wavefront6targetE1EEEvT1_
		.amdhsa_group_segment_fixed_size 0
		.amdhsa_private_segment_fixed_size 0
		.amdhsa_kernarg_size 136
		.amdhsa_user_sgpr_count 6
		.amdhsa_user_sgpr_private_segment_buffer 1
		.amdhsa_user_sgpr_dispatch_ptr 0
		.amdhsa_user_sgpr_queue_ptr 0
		.amdhsa_user_sgpr_kernarg_segment_ptr 1
		.amdhsa_user_sgpr_dispatch_id 0
		.amdhsa_user_sgpr_flat_scratch_init 0
		.amdhsa_user_sgpr_kernarg_preload_length 0
		.amdhsa_user_sgpr_kernarg_preload_offset 0
		.amdhsa_user_sgpr_private_segment_size 0
		.amdhsa_uses_dynamic_stack 0
		.amdhsa_system_sgpr_private_segment_wavefront_offset 0
		.amdhsa_system_sgpr_workgroup_id_x 1
		.amdhsa_system_sgpr_workgroup_id_y 0
		.amdhsa_system_sgpr_workgroup_id_z 0
		.amdhsa_system_sgpr_workgroup_info 0
		.amdhsa_system_vgpr_workitem_id 0
		.amdhsa_next_free_vgpr 1
		.amdhsa_next_free_sgpr 0
		.amdhsa_accum_offset 4
		.amdhsa_reserve_vcc 0
		.amdhsa_reserve_flat_scratch 0
		.amdhsa_float_round_mode_32 0
		.amdhsa_float_round_mode_16_64 0
		.amdhsa_float_denorm_mode_32 3
		.amdhsa_float_denorm_mode_16_64 3
		.amdhsa_dx10_clamp 1
		.amdhsa_ieee_mode 1
		.amdhsa_fp16_overflow 0
		.amdhsa_tg_split 0
		.amdhsa_exception_fp_ieee_invalid_op 0
		.amdhsa_exception_fp_denorm_src 0
		.amdhsa_exception_fp_ieee_div_zero 0
		.amdhsa_exception_fp_ieee_overflow 0
		.amdhsa_exception_fp_ieee_underflow 0
		.amdhsa_exception_fp_ieee_inexact 0
		.amdhsa_exception_int_div_zero 0
	.end_amdhsa_kernel
	.section	.text._ZN7rocprim17ROCPRIM_400000_NS6detail17trampoline_kernelINS0_14default_configENS1_25partition_config_selectorILNS1_17partition_subalgoE1EsNS0_10empty_typeEbEEZZNS1_14partition_implILS5_1ELb0ES3_jN6thrust23THRUST_200600_302600_NS6detail15normal_iteratorINSA_10device_ptrIsEEEEPS6_NSA_18transform_iteratorI7is_evenIsESF_NSA_11use_defaultESK_EENS0_5tupleIJNSA_16discard_iteratorISK_EESF_EEENSM_IJSG_SG_EEES6_PlJS6_EEE10hipError_tPvRmT3_T4_T5_T6_T7_T9_mT8_P12ihipStream_tbDpT10_ENKUlT_T0_E_clISt17integral_constantIbLb1EES1A_IbLb0EEEEDaS16_S17_EUlS16_E_NS1_11comp_targetILNS1_3genE2ELNS1_11target_archE906ELNS1_3gpuE6ELNS1_3repE0EEENS1_30default_config_static_selectorELNS0_4arch9wavefront6targetE1EEEvT1_,"axG",@progbits,_ZN7rocprim17ROCPRIM_400000_NS6detail17trampoline_kernelINS0_14default_configENS1_25partition_config_selectorILNS1_17partition_subalgoE1EsNS0_10empty_typeEbEEZZNS1_14partition_implILS5_1ELb0ES3_jN6thrust23THRUST_200600_302600_NS6detail15normal_iteratorINSA_10device_ptrIsEEEEPS6_NSA_18transform_iteratorI7is_evenIsESF_NSA_11use_defaultESK_EENS0_5tupleIJNSA_16discard_iteratorISK_EESF_EEENSM_IJSG_SG_EEES6_PlJS6_EEE10hipError_tPvRmT3_T4_T5_T6_T7_T9_mT8_P12ihipStream_tbDpT10_ENKUlT_T0_E_clISt17integral_constantIbLb1EES1A_IbLb0EEEEDaS16_S17_EUlS16_E_NS1_11comp_targetILNS1_3genE2ELNS1_11target_archE906ELNS1_3gpuE6ELNS1_3repE0EEENS1_30default_config_static_selectorELNS0_4arch9wavefront6targetE1EEEvT1_,comdat
.Lfunc_end3439:
	.size	_ZN7rocprim17ROCPRIM_400000_NS6detail17trampoline_kernelINS0_14default_configENS1_25partition_config_selectorILNS1_17partition_subalgoE1EsNS0_10empty_typeEbEEZZNS1_14partition_implILS5_1ELb0ES3_jN6thrust23THRUST_200600_302600_NS6detail15normal_iteratorINSA_10device_ptrIsEEEEPS6_NSA_18transform_iteratorI7is_evenIsESF_NSA_11use_defaultESK_EENS0_5tupleIJNSA_16discard_iteratorISK_EESF_EEENSM_IJSG_SG_EEES6_PlJS6_EEE10hipError_tPvRmT3_T4_T5_T6_T7_T9_mT8_P12ihipStream_tbDpT10_ENKUlT_T0_E_clISt17integral_constantIbLb1EES1A_IbLb0EEEEDaS16_S17_EUlS16_E_NS1_11comp_targetILNS1_3genE2ELNS1_11target_archE906ELNS1_3gpuE6ELNS1_3repE0EEENS1_30default_config_static_selectorELNS0_4arch9wavefront6targetE1EEEvT1_, .Lfunc_end3439-_ZN7rocprim17ROCPRIM_400000_NS6detail17trampoline_kernelINS0_14default_configENS1_25partition_config_selectorILNS1_17partition_subalgoE1EsNS0_10empty_typeEbEEZZNS1_14partition_implILS5_1ELb0ES3_jN6thrust23THRUST_200600_302600_NS6detail15normal_iteratorINSA_10device_ptrIsEEEEPS6_NSA_18transform_iteratorI7is_evenIsESF_NSA_11use_defaultESK_EENS0_5tupleIJNSA_16discard_iteratorISK_EESF_EEENSM_IJSG_SG_EEES6_PlJS6_EEE10hipError_tPvRmT3_T4_T5_T6_T7_T9_mT8_P12ihipStream_tbDpT10_ENKUlT_T0_E_clISt17integral_constantIbLb1EES1A_IbLb0EEEEDaS16_S17_EUlS16_E_NS1_11comp_targetILNS1_3genE2ELNS1_11target_archE906ELNS1_3gpuE6ELNS1_3repE0EEENS1_30default_config_static_selectorELNS0_4arch9wavefront6targetE1EEEvT1_
                                        ; -- End function
	.section	.AMDGPU.csdata,"",@progbits
; Kernel info:
; codeLenInByte = 0
; NumSgprs: 4
; NumVgprs: 0
; NumAgprs: 0
; TotalNumVgprs: 0
; ScratchSize: 0
; MemoryBound: 0
; FloatMode: 240
; IeeeMode: 1
; LDSByteSize: 0 bytes/workgroup (compile time only)
; SGPRBlocks: 0
; VGPRBlocks: 0
; NumSGPRsForWavesPerEU: 4
; NumVGPRsForWavesPerEU: 1
; AccumOffset: 4
; Occupancy: 8
; WaveLimiterHint : 0
; COMPUTE_PGM_RSRC2:SCRATCH_EN: 0
; COMPUTE_PGM_RSRC2:USER_SGPR: 6
; COMPUTE_PGM_RSRC2:TRAP_HANDLER: 0
; COMPUTE_PGM_RSRC2:TGID_X_EN: 1
; COMPUTE_PGM_RSRC2:TGID_Y_EN: 0
; COMPUTE_PGM_RSRC2:TGID_Z_EN: 0
; COMPUTE_PGM_RSRC2:TIDIG_COMP_CNT: 0
; COMPUTE_PGM_RSRC3_GFX90A:ACCUM_OFFSET: 0
; COMPUTE_PGM_RSRC3_GFX90A:TG_SPLIT: 0
	.section	.text._ZN7rocprim17ROCPRIM_400000_NS6detail17trampoline_kernelINS0_14default_configENS1_25partition_config_selectorILNS1_17partition_subalgoE1EsNS0_10empty_typeEbEEZZNS1_14partition_implILS5_1ELb0ES3_jN6thrust23THRUST_200600_302600_NS6detail15normal_iteratorINSA_10device_ptrIsEEEEPS6_NSA_18transform_iteratorI7is_evenIsESF_NSA_11use_defaultESK_EENS0_5tupleIJNSA_16discard_iteratorISK_EESF_EEENSM_IJSG_SG_EEES6_PlJS6_EEE10hipError_tPvRmT3_T4_T5_T6_T7_T9_mT8_P12ihipStream_tbDpT10_ENKUlT_T0_E_clISt17integral_constantIbLb1EES1A_IbLb0EEEEDaS16_S17_EUlS16_E_NS1_11comp_targetILNS1_3genE10ELNS1_11target_archE1200ELNS1_3gpuE4ELNS1_3repE0EEENS1_30default_config_static_selectorELNS0_4arch9wavefront6targetE1EEEvT1_,"axG",@progbits,_ZN7rocprim17ROCPRIM_400000_NS6detail17trampoline_kernelINS0_14default_configENS1_25partition_config_selectorILNS1_17partition_subalgoE1EsNS0_10empty_typeEbEEZZNS1_14partition_implILS5_1ELb0ES3_jN6thrust23THRUST_200600_302600_NS6detail15normal_iteratorINSA_10device_ptrIsEEEEPS6_NSA_18transform_iteratorI7is_evenIsESF_NSA_11use_defaultESK_EENS0_5tupleIJNSA_16discard_iteratorISK_EESF_EEENSM_IJSG_SG_EEES6_PlJS6_EEE10hipError_tPvRmT3_T4_T5_T6_T7_T9_mT8_P12ihipStream_tbDpT10_ENKUlT_T0_E_clISt17integral_constantIbLb1EES1A_IbLb0EEEEDaS16_S17_EUlS16_E_NS1_11comp_targetILNS1_3genE10ELNS1_11target_archE1200ELNS1_3gpuE4ELNS1_3repE0EEENS1_30default_config_static_selectorELNS0_4arch9wavefront6targetE1EEEvT1_,comdat
	.protected	_ZN7rocprim17ROCPRIM_400000_NS6detail17trampoline_kernelINS0_14default_configENS1_25partition_config_selectorILNS1_17partition_subalgoE1EsNS0_10empty_typeEbEEZZNS1_14partition_implILS5_1ELb0ES3_jN6thrust23THRUST_200600_302600_NS6detail15normal_iteratorINSA_10device_ptrIsEEEEPS6_NSA_18transform_iteratorI7is_evenIsESF_NSA_11use_defaultESK_EENS0_5tupleIJNSA_16discard_iteratorISK_EESF_EEENSM_IJSG_SG_EEES6_PlJS6_EEE10hipError_tPvRmT3_T4_T5_T6_T7_T9_mT8_P12ihipStream_tbDpT10_ENKUlT_T0_E_clISt17integral_constantIbLb1EES1A_IbLb0EEEEDaS16_S17_EUlS16_E_NS1_11comp_targetILNS1_3genE10ELNS1_11target_archE1200ELNS1_3gpuE4ELNS1_3repE0EEENS1_30default_config_static_selectorELNS0_4arch9wavefront6targetE1EEEvT1_ ; -- Begin function _ZN7rocprim17ROCPRIM_400000_NS6detail17trampoline_kernelINS0_14default_configENS1_25partition_config_selectorILNS1_17partition_subalgoE1EsNS0_10empty_typeEbEEZZNS1_14partition_implILS5_1ELb0ES3_jN6thrust23THRUST_200600_302600_NS6detail15normal_iteratorINSA_10device_ptrIsEEEEPS6_NSA_18transform_iteratorI7is_evenIsESF_NSA_11use_defaultESK_EENS0_5tupleIJNSA_16discard_iteratorISK_EESF_EEENSM_IJSG_SG_EEES6_PlJS6_EEE10hipError_tPvRmT3_T4_T5_T6_T7_T9_mT8_P12ihipStream_tbDpT10_ENKUlT_T0_E_clISt17integral_constantIbLb1EES1A_IbLb0EEEEDaS16_S17_EUlS16_E_NS1_11comp_targetILNS1_3genE10ELNS1_11target_archE1200ELNS1_3gpuE4ELNS1_3repE0EEENS1_30default_config_static_selectorELNS0_4arch9wavefront6targetE1EEEvT1_
	.globl	_ZN7rocprim17ROCPRIM_400000_NS6detail17trampoline_kernelINS0_14default_configENS1_25partition_config_selectorILNS1_17partition_subalgoE1EsNS0_10empty_typeEbEEZZNS1_14partition_implILS5_1ELb0ES3_jN6thrust23THRUST_200600_302600_NS6detail15normal_iteratorINSA_10device_ptrIsEEEEPS6_NSA_18transform_iteratorI7is_evenIsESF_NSA_11use_defaultESK_EENS0_5tupleIJNSA_16discard_iteratorISK_EESF_EEENSM_IJSG_SG_EEES6_PlJS6_EEE10hipError_tPvRmT3_T4_T5_T6_T7_T9_mT8_P12ihipStream_tbDpT10_ENKUlT_T0_E_clISt17integral_constantIbLb1EES1A_IbLb0EEEEDaS16_S17_EUlS16_E_NS1_11comp_targetILNS1_3genE10ELNS1_11target_archE1200ELNS1_3gpuE4ELNS1_3repE0EEENS1_30default_config_static_selectorELNS0_4arch9wavefront6targetE1EEEvT1_
	.p2align	8
	.type	_ZN7rocprim17ROCPRIM_400000_NS6detail17trampoline_kernelINS0_14default_configENS1_25partition_config_selectorILNS1_17partition_subalgoE1EsNS0_10empty_typeEbEEZZNS1_14partition_implILS5_1ELb0ES3_jN6thrust23THRUST_200600_302600_NS6detail15normal_iteratorINSA_10device_ptrIsEEEEPS6_NSA_18transform_iteratorI7is_evenIsESF_NSA_11use_defaultESK_EENS0_5tupleIJNSA_16discard_iteratorISK_EESF_EEENSM_IJSG_SG_EEES6_PlJS6_EEE10hipError_tPvRmT3_T4_T5_T6_T7_T9_mT8_P12ihipStream_tbDpT10_ENKUlT_T0_E_clISt17integral_constantIbLb1EES1A_IbLb0EEEEDaS16_S17_EUlS16_E_NS1_11comp_targetILNS1_3genE10ELNS1_11target_archE1200ELNS1_3gpuE4ELNS1_3repE0EEENS1_30default_config_static_selectorELNS0_4arch9wavefront6targetE1EEEvT1_,@function
_ZN7rocprim17ROCPRIM_400000_NS6detail17trampoline_kernelINS0_14default_configENS1_25partition_config_selectorILNS1_17partition_subalgoE1EsNS0_10empty_typeEbEEZZNS1_14partition_implILS5_1ELb0ES3_jN6thrust23THRUST_200600_302600_NS6detail15normal_iteratorINSA_10device_ptrIsEEEEPS6_NSA_18transform_iteratorI7is_evenIsESF_NSA_11use_defaultESK_EENS0_5tupleIJNSA_16discard_iteratorISK_EESF_EEENSM_IJSG_SG_EEES6_PlJS6_EEE10hipError_tPvRmT3_T4_T5_T6_T7_T9_mT8_P12ihipStream_tbDpT10_ENKUlT_T0_E_clISt17integral_constantIbLb1EES1A_IbLb0EEEEDaS16_S17_EUlS16_E_NS1_11comp_targetILNS1_3genE10ELNS1_11target_archE1200ELNS1_3gpuE4ELNS1_3repE0EEENS1_30default_config_static_selectorELNS0_4arch9wavefront6targetE1EEEvT1_: ; @_ZN7rocprim17ROCPRIM_400000_NS6detail17trampoline_kernelINS0_14default_configENS1_25partition_config_selectorILNS1_17partition_subalgoE1EsNS0_10empty_typeEbEEZZNS1_14partition_implILS5_1ELb0ES3_jN6thrust23THRUST_200600_302600_NS6detail15normal_iteratorINSA_10device_ptrIsEEEEPS6_NSA_18transform_iteratorI7is_evenIsESF_NSA_11use_defaultESK_EENS0_5tupleIJNSA_16discard_iteratorISK_EESF_EEENSM_IJSG_SG_EEES6_PlJS6_EEE10hipError_tPvRmT3_T4_T5_T6_T7_T9_mT8_P12ihipStream_tbDpT10_ENKUlT_T0_E_clISt17integral_constantIbLb1EES1A_IbLb0EEEEDaS16_S17_EUlS16_E_NS1_11comp_targetILNS1_3genE10ELNS1_11target_archE1200ELNS1_3gpuE4ELNS1_3repE0EEENS1_30default_config_static_selectorELNS0_4arch9wavefront6targetE1EEEvT1_
; %bb.0:
	.section	.rodata,"a",@progbits
	.p2align	6, 0x0
	.amdhsa_kernel _ZN7rocprim17ROCPRIM_400000_NS6detail17trampoline_kernelINS0_14default_configENS1_25partition_config_selectorILNS1_17partition_subalgoE1EsNS0_10empty_typeEbEEZZNS1_14partition_implILS5_1ELb0ES3_jN6thrust23THRUST_200600_302600_NS6detail15normal_iteratorINSA_10device_ptrIsEEEEPS6_NSA_18transform_iteratorI7is_evenIsESF_NSA_11use_defaultESK_EENS0_5tupleIJNSA_16discard_iteratorISK_EESF_EEENSM_IJSG_SG_EEES6_PlJS6_EEE10hipError_tPvRmT3_T4_T5_T6_T7_T9_mT8_P12ihipStream_tbDpT10_ENKUlT_T0_E_clISt17integral_constantIbLb1EES1A_IbLb0EEEEDaS16_S17_EUlS16_E_NS1_11comp_targetILNS1_3genE10ELNS1_11target_archE1200ELNS1_3gpuE4ELNS1_3repE0EEENS1_30default_config_static_selectorELNS0_4arch9wavefront6targetE1EEEvT1_
		.amdhsa_group_segment_fixed_size 0
		.amdhsa_private_segment_fixed_size 0
		.amdhsa_kernarg_size 136
		.amdhsa_user_sgpr_count 6
		.amdhsa_user_sgpr_private_segment_buffer 1
		.amdhsa_user_sgpr_dispatch_ptr 0
		.amdhsa_user_sgpr_queue_ptr 0
		.amdhsa_user_sgpr_kernarg_segment_ptr 1
		.amdhsa_user_sgpr_dispatch_id 0
		.amdhsa_user_sgpr_flat_scratch_init 0
		.amdhsa_user_sgpr_kernarg_preload_length 0
		.amdhsa_user_sgpr_kernarg_preload_offset 0
		.amdhsa_user_sgpr_private_segment_size 0
		.amdhsa_uses_dynamic_stack 0
		.amdhsa_system_sgpr_private_segment_wavefront_offset 0
		.amdhsa_system_sgpr_workgroup_id_x 1
		.amdhsa_system_sgpr_workgroup_id_y 0
		.amdhsa_system_sgpr_workgroup_id_z 0
		.amdhsa_system_sgpr_workgroup_info 0
		.amdhsa_system_vgpr_workitem_id 0
		.amdhsa_next_free_vgpr 1
		.amdhsa_next_free_sgpr 0
		.amdhsa_accum_offset 4
		.amdhsa_reserve_vcc 0
		.amdhsa_reserve_flat_scratch 0
		.amdhsa_float_round_mode_32 0
		.amdhsa_float_round_mode_16_64 0
		.amdhsa_float_denorm_mode_32 3
		.amdhsa_float_denorm_mode_16_64 3
		.amdhsa_dx10_clamp 1
		.amdhsa_ieee_mode 1
		.amdhsa_fp16_overflow 0
		.amdhsa_tg_split 0
		.amdhsa_exception_fp_ieee_invalid_op 0
		.amdhsa_exception_fp_denorm_src 0
		.amdhsa_exception_fp_ieee_div_zero 0
		.amdhsa_exception_fp_ieee_overflow 0
		.amdhsa_exception_fp_ieee_underflow 0
		.amdhsa_exception_fp_ieee_inexact 0
		.amdhsa_exception_int_div_zero 0
	.end_amdhsa_kernel
	.section	.text._ZN7rocprim17ROCPRIM_400000_NS6detail17trampoline_kernelINS0_14default_configENS1_25partition_config_selectorILNS1_17partition_subalgoE1EsNS0_10empty_typeEbEEZZNS1_14partition_implILS5_1ELb0ES3_jN6thrust23THRUST_200600_302600_NS6detail15normal_iteratorINSA_10device_ptrIsEEEEPS6_NSA_18transform_iteratorI7is_evenIsESF_NSA_11use_defaultESK_EENS0_5tupleIJNSA_16discard_iteratorISK_EESF_EEENSM_IJSG_SG_EEES6_PlJS6_EEE10hipError_tPvRmT3_T4_T5_T6_T7_T9_mT8_P12ihipStream_tbDpT10_ENKUlT_T0_E_clISt17integral_constantIbLb1EES1A_IbLb0EEEEDaS16_S17_EUlS16_E_NS1_11comp_targetILNS1_3genE10ELNS1_11target_archE1200ELNS1_3gpuE4ELNS1_3repE0EEENS1_30default_config_static_selectorELNS0_4arch9wavefront6targetE1EEEvT1_,"axG",@progbits,_ZN7rocprim17ROCPRIM_400000_NS6detail17trampoline_kernelINS0_14default_configENS1_25partition_config_selectorILNS1_17partition_subalgoE1EsNS0_10empty_typeEbEEZZNS1_14partition_implILS5_1ELb0ES3_jN6thrust23THRUST_200600_302600_NS6detail15normal_iteratorINSA_10device_ptrIsEEEEPS6_NSA_18transform_iteratorI7is_evenIsESF_NSA_11use_defaultESK_EENS0_5tupleIJNSA_16discard_iteratorISK_EESF_EEENSM_IJSG_SG_EEES6_PlJS6_EEE10hipError_tPvRmT3_T4_T5_T6_T7_T9_mT8_P12ihipStream_tbDpT10_ENKUlT_T0_E_clISt17integral_constantIbLb1EES1A_IbLb0EEEEDaS16_S17_EUlS16_E_NS1_11comp_targetILNS1_3genE10ELNS1_11target_archE1200ELNS1_3gpuE4ELNS1_3repE0EEENS1_30default_config_static_selectorELNS0_4arch9wavefront6targetE1EEEvT1_,comdat
.Lfunc_end3440:
	.size	_ZN7rocprim17ROCPRIM_400000_NS6detail17trampoline_kernelINS0_14default_configENS1_25partition_config_selectorILNS1_17partition_subalgoE1EsNS0_10empty_typeEbEEZZNS1_14partition_implILS5_1ELb0ES3_jN6thrust23THRUST_200600_302600_NS6detail15normal_iteratorINSA_10device_ptrIsEEEEPS6_NSA_18transform_iteratorI7is_evenIsESF_NSA_11use_defaultESK_EENS0_5tupleIJNSA_16discard_iteratorISK_EESF_EEENSM_IJSG_SG_EEES6_PlJS6_EEE10hipError_tPvRmT3_T4_T5_T6_T7_T9_mT8_P12ihipStream_tbDpT10_ENKUlT_T0_E_clISt17integral_constantIbLb1EES1A_IbLb0EEEEDaS16_S17_EUlS16_E_NS1_11comp_targetILNS1_3genE10ELNS1_11target_archE1200ELNS1_3gpuE4ELNS1_3repE0EEENS1_30default_config_static_selectorELNS0_4arch9wavefront6targetE1EEEvT1_, .Lfunc_end3440-_ZN7rocprim17ROCPRIM_400000_NS6detail17trampoline_kernelINS0_14default_configENS1_25partition_config_selectorILNS1_17partition_subalgoE1EsNS0_10empty_typeEbEEZZNS1_14partition_implILS5_1ELb0ES3_jN6thrust23THRUST_200600_302600_NS6detail15normal_iteratorINSA_10device_ptrIsEEEEPS6_NSA_18transform_iteratorI7is_evenIsESF_NSA_11use_defaultESK_EENS0_5tupleIJNSA_16discard_iteratorISK_EESF_EEENSM_IJSG_SG_EEES6_PlJS6_EEE10hipError_tPvRmT3_T4_T5_T6_T7_T9_mT8_P12ihipStream_tbDpT10_ENKUlT_T0_E_clISt17integral_constantIbLb1EES1A_IbLb0EEEEDaS16_S17_EUlS16_E_NS1_11comp_targetILNS1_3genE10ELNS1_11target_archE1200ELNS1_3gpuE4ELNS1_3repE0EEENS1_30default_config_static_selectorELNS0_4arch9wavefront6targetE1EEEvT1_
                                        ; -- End function
	.section	.AMDGPU.csdata,"",@progbits
; Kernel info:
; codeLenInByte = 0
; NumSgprs: 4
; NumVgprs: 0
; NumAgprs: 0
; TotalNumVgprs: 0
; ScratchSize: 0
; MemoryBound: 0
; FloatMode: 240
; IeeeMode: 1
; LDSByteSize: 0 bytes/workgroup (compile time only)
; SGPRBlocks: 0
; VGPRBlocks: 0
; NumSGPRsForWavesPerEU: 4
; NumVGPRsForWavesPerEU: 1
; AccumOffset: 4
; Occupancy: 8
; WaveLimiterHint : 0
; COMPUTE_PGM_RSRC2:SCRATCH_EN: 0
; COMPUTE_PGM_RSRC2:USER_SGPR: 6
; COMPUTE_PGM_RSRC2:TRAP_HANDLER: 0
; COMPUTE_PGM_RSRC2:TGID_X_EN: 1
; COMPUTE_PGM_RSRC2:TGID_Y_EN: 0
; COMPUTE_PGM_RSRC2:TGID_Z_EN: 0
; COMPUTE_PGM_RSRC2:TIDIG_COMP_CNT: 0
; COMPUTE_PGM_RSRC3_GFX90A:ACCUM_OFFSET: 0
; COMPUTE_PGM_RSRC3_GFX90A:TG_SPLIT: 0
	.section	.text._ZN7rocprim17ROCPRIM_400000_NS6detail17trampoline_kernelINS0_14default_configENS1_25partition_config_selectorILNS1_17partition_subalgoE1EsNS0_10empty_typeEbEEZZNS1_14partition_implILS5_1ELb0ES3_jN6thrust23THRUST_200600_302600_NS6detail15normal_iteratorINSA_10device_ptrIsEEEEPS6_NSA_18transform_iteratorI7is_evenIsESF_NSA_11use_defaultESK_EENS0_5tupleIJNSA_16discard_iteratorISK_EESF_EEENSM_IJSG_SG_EEES6_PlJS6_EEE10hipError_tPvRmT3_T4_T5_T6_T7_T9_mT8_P12ihipStream_tbDpT10_ENKUlT_T0_E_clISt17integral_constantIbLb1EES1A_IbLb0EEEEDaS16_S17_EUlS16_E_NS1_11comp_targetILNS1_3genE9ELNS1_11target_archE1100ELNS1_3gpuE3ELNS1_3repE0EEENS1_30default_config_static_selectorELNS0_4arch9wavefront6targetE1EEEvT1_,"axG",@progbits,_ZN7rocprim17ROCPRIM_400000_NS6detail17trampoline_kernelINS0_14default_configENS1_25partition_config_selectorILNS1_17partition_subalgoE1EsNS0_10empty_typeEbEEZZNS1_14partition_implILS5_1ELb0ES3_jN6thrust23THRUST_200600_302600_NS6detail15normal_iteratorINSA_10device_ptrIsEEEEPS6_NSA_18transform_iteratorI7is_evenIsESF_NSA_11use_defaultESK_EENS0_5tupleIJNSA_16discard_iteratorISK_EESF_EEENSM_IJSG_SG_EEES6_PlJS6_EEE10hipError_tPvRmT3_T4_T5_T6_T7_T9_mT8_P12ihipStream_tbDpT10_ENKUlT_T0_E_clISt17integral_constantIbLb1EES1A_IbLb0EEEEDaS16_S17_EUlS16_E_NS1_11comp_targetILNS1_3genE9ELNS1_11target_archE1100ELNS1_3gpuE3ELNS1_3repE0EEENS1_30default_config_static_selectorELNS0_4arch9wavefront6targetE1EEEvT1_,comdat
	.protected	_ZN7rocprim17ROCPRIM_400000_NS6detail17trampoline_kernelINS0_14default_configENS1_25partition_config_selectorILNS1_17partition_subalgoE1EsNS0_10empty_typeEbEEZZNS1_14partition_implILS5_1ELb0ES3_jN6thrust23THRUST_200600_302600_NS6detail15normal_iteratorINSA_10device_ptrIsEEEEPS6_NSA_18transform_iteratorI7is_evenIsESF_NSA_11use_defaultESK_EENS0_5tupleIJNSA_16discard_iteratorISK_EESF_EEENSM_IJSG_SG_EEES6_PlJS6_EEE10hipError_tPvRmT3_T4_T5_T6_T7_T9_mT8_P12ihipStream_tbDpT10_ENKUlT_T0_E_clISt17integral_constantIbLb1EES1A_IbLb0EEEEDaS16_S17_EUlS16_E_NS1_11comp_targetILNS1_3genE9ELNS1_11target_archE1100ELNS1_3gpuE3ELNS1_3repE0EEENS1_30default_config_static_selectorELNS0_4arch9wavefront6targetE1EEEvT1_ ; -- Begin function _ZN7rocprim17ROCPRIM_400000_NS6detail17trampoline_kernelINS0_14default_configENS1_25partition_config_selectorILNS1_17partition_subalgoE1EsNS0_10empty_typeEbEEZZNS1_14partition_implILS5_1ELb0ES3_jN6thrust23THRUST_200600_302600_NS6detail15normal_iteratorINSA_10device_ptrIsEEEEPS6_NSA_18transform_iteratorI7is_evenIsESF_NSA_11use_defaultESK_EENS0_5tupleIJNSA_16discard_iteratorISK_EESF_EEENSM_IJSG_SG_EEES6_PlJS6_EEE10hipError_tPvRmT3_T4_T5_T6_T7_T9_mT8_P12ihipStream_tbDpT10_ENKUlT_T0_E_clISt17integral_constantIbLb1EES1A_IbLb0EEEEDaS16_S17_EUlS16_E_NS1_11comp_targetILNS1_3genE9ELNS1_11target_archE1100ELNS1_3gpuE3ELNS1_3repE0EEENS1_30default_config_static_selectorELNS0_4arch9wavefront6targetE1EEEvT1_
	.globl	_ZN7rocprim17ROCPRIM_400000_NS6detail17trampoline_kernelINS0_14default_configENS1_25partition_config_selectorILNS1_17partition_subalgoE1EsNS0_10empty_typeEbEEZZNS1_14partition_implILS5_1ELb0ES3_jN6thrust23THRUST_200600_302600_NS6detail15normal_iteratorINSA_10device_ptrIsEEEEPS6_NSA_18transform_iteratorI7is_evenIsESF_NSA_11use_defaultESK_EENS0_5tupleIJNSA_16discard_iteratorISK_EESF_EEENSM_IJSG_SG_EEES6_PlJS6_EEE10hipError_tPvRmT3_T4_T5_T6_T7_T9_mT8_P12ihipStream_tbDpT10_ENKUlT_T0_E_clISt17integral_constantIbLb1EES1A_IbLb0EEEEDaS16_S17_EUlS16_E_NS1_11comp_targetILNS1_3genE9ELNS1_11target_archE1100ELNS1_3gpuE3ELNS1_3repE0EEENS1_30default_config_static_selectorELNS0_4arch9wavefront6targetE1EEEvT1_
	.p2align	8
	.type	_ZN7rocprim17ROCPRIM_400000_NS6detail17trampoline_kernelINS0_14default_configENS1_25partition_config_selectorILNS1_17partition_subalgoE1EsNS0_10empty_typeEbEEZZNS1_14partition_implILS5_1ELb0ES3_jN6thrust23THRUST_200600_302600_NS6detail15normal_iteratorINSA_10device_ptrIsEEEEPS6_NSA_18transform_iteratorI7is_evenIsESF_NSA_11use_defaultESK_EENS0_5tupleIJNSA_16discard_iteratorISK_EESF_EEENSM_IJSG_SG_EEES6_PlJS6_EEE10hipError_tPvRmT3_T4_T5_T6_T7_T9_mT8_P12ihipStream_tbDpT10_ENKUlT_T0_E_clISt17integral_constantIbLb1EES1A_IbLb0EEEEDaS16_S17_EUlS16_E_NS1_11comp_targetILNS1_3genE9ELNS1_11target_archE1100ELNS1_3gpuE3ELNS1_3repE0EEENS1_30default_config_static_selectorELNS0_4arch9wavefront6targetE1EEEvT1_,@function
_ZN7rocprim17ROCPRIM_400000_NS6detail17trampoline_kernelINS0_14default_configENS1_25partition_config_selectorILNS1_17partition_subalgoE1EsNS0_10empty_typeEbEEZZNS1_14partition_implILS5_1ELb0ES3_jN6thrust23THRUST_200600_302600_NS6detail15normal_iteratorINSA_10device_ptrIsEEEEPS6_NSA_18transform_iteratorI7is_evenIsESF_NSA_11use_defaultESK_EENS0_5tupleIJNSA_16discard_iteratorISK_EESF_EEENSM_IJSG_SG_EEES6_PlJS6_EEE10hipError_tPvRmT3_T4_T5_T6_T7_T9_mT8_P12ihipStream_tbDpT10_ENKUlT_T0_E_clISt17integral_constantIbLb1EES1A_IbLb0EEEEDaS16_S17_EUlS16_E_NS1_11comp_targetILNS1_3genE9ELNS1_11target_archE1100ELNS1_3gpuE3ELNS1_3repE0EEENS1_30default_config_static_selectorELNS0_4arch9wavefront6targetE1EEEvT1_: ; @_ZN7rocprim17ROCPRIM_400000_NS6detail17trampoline_kernelINS0_14default_configENS1_25partition_config_selectorILNS1_17partition_subalgoE1EsNS0_10empty_typeEbEEZZNS1_14partition_implILS5_1ELb0ES3_jN6thrust23THRUST_200600_302600_NS6detail15normal_iteratorINSA_10device_ptrIsEEEEPS6_NSA_18transform_iteratorI7is_evenIsESF_NSA_11use_defaultESK_EENS0_5tupleIJNSA_16discard_iteratorISK_EESF_EEENSM_IJSG_SG_EEES6_PlJS6_EEE10hipError_tPvRmT3_T4_T5_T6_T7_T9_mT8_P12ihipStream_tbDpT10_ENKUlT_T0_E_clISt17integral_constantIbLb1EES1A_IbLb0EEEEDaS16_S17_EUlS16_E_NS1_11comp_targetILNS1_3genE9ELNS1_11target_archE1100ELNS1_3gpuE3ELNS1_3repE0EEENS1_30default_config_static_selectorELNS0_4arch9wavefront6targetE1EEEvT1_
; %bb.0:
	.section	.rodata,"a",@progbits
	.p2align	6, 0x0
	.amdhsa_kernel _ZN7rocprim17ROCPRIM_400000_NS6detail17trampoline_kernelINS0_14default_configENS1_25partition_config_selectorILNS1_17partition_subalgoE1EsNS0_10empty_typeEbEEZZNS1_14partition_implILS5_1ELb0ES3_jN6thrust23THRUST_200600_302600_NS6detail15normal_iteratorINSA_10device_ptrIsEEEEPS6_NSA_18transform_iteratorI7is_evenIsESF_NSA_11use_defaultESK_EENS0_5tupleIJNSA_16discard_iteratorISK_EESF_EEENSM_IJSG_SG_EEES6_PlJS6_EEE10hipError_tPvRmT3_T4_T5_T6_T7_T9_mT8_P12ihipStream_tbDpT10_ENKUlT_T0_E_clISt17integral_constantIbLb1EES1A_IbLb0EEEEDaS16_S17_EUlS16_E_NS1_11comp_targetILNS1_3genE9ELNS1_11target_archE1100ELNS1_3gpuE3ELNS1_3repE0EEENS1_30default_config_static_selectorELNS0_4arch9wavefront6targetE1EEEvT1_
		.amdhsa_group_segment_fixed_size 0
		.amdhsa_private_segment_fixed_size 0
		.amdhsa_kernarg_size 136
		.amdhsa_user_sgpr_count 6
		.amdhsa_user_sgpr_private_segment_buffer 1
		.amdhsa_user_sgpr_dispatch_ptr 0
		.amdhsa_user_sgpr_queue_ptr 0
		.amdhsa_user_sgpr_kernarg_segment_ptr 1
		.amdhsa_user_sgpr_dispatch_id 0
		.amdhsa_user_sgpr_flat_scratch_init 0
		.amdhsa_user_sgpr_kernarg_preload_length 0
		.amdhsa_user_sgpr_kernarg_preload_offset 0
		.amdhsa_user_sgpr_private_segment_size 0
		.amdhsa_uses_dynamic_stack 0
		.amdhsa_system_sgpr_private_segment_wavefront_offset 0
		.amdhsa_system_sgpr_workgroup_id_x 1
		.amdhsa_system_sgpr_workgroup_id_y 0
		.amdhsa_system_sgpr_workgroup_id_z 0
		.amdhsa_system_sgpr_workgroup_info 0
		.amdhsa_system_vgpr_workitem_id 0
		.amdhsa_next_free_vgpr 1
		.amdhsa_next_free_sgpr 0
		.amdhsa_accum_offset 4
		.amdhsa_reserve_vcc 0
		.amdhsa_reserve_flat_scratch 0
		.amdhsa_float_round_mode_32 0
		.amdhsa_float_round_mode_16_64 0
		.amdhsa_float_denorm_mode_32 3
		.amdhsa_float_denorm_mode_16_64 3
		.amdhsa_dx10_clamp 1
		.amdhsa_ieee_mode 1
		.amdhsa_fp16_overflow 0
		.amdhsa_tg_split 0
		.amdhsa_exception_fp_ieee_invalid_op 0
		.amdhsa_exception_fp_denorm_src 0
		.amdhsa_exception_fp_ieee_div_zero 0
		.amdhsa_exception_fp_ieee_overflow 0
		.amdhsa_exception_fp_ieee_underflow 0
		.amdhsa_exception_fp_ieee_inexact 0
		.amdhsa_exception_int_div_zero 0
	.end_amdhsa_kernel
	.section	.text._ZN7rocprim17ROCPRIM_400000_NS6detail17trampoline_kernelINS0_14default_configENS1_25partition_config_selectorILNS1_17partition_subalgoE1EsNS0_10empty_typeEbEEZZNS1_14partition_implILS5_1ELb0ES3_jN6thrust23THRUST_200600_302600_NS6detail15normal_iteratorINSA_10device_ptrIsEEEEPS6_NSA_18transform_iteratorI7is_evenIsESF_NSA_11use_defaultESK_EENS0_5tupleIJNSA_16discard_iteratorISK_EESF_EEENSM_IJSG_SG_EEES6_PlJS6_EEE10hipError_tPvRmT3_T4_T5_T6_T7_T9_mT8_P12ihipStream_tbDpT10_ENKUlT_T0_E_clISt17integral_constantIbLb1EES1A_IbLb0EEEEDaS16_S17_EUlS16_E_NS1_11comp_targetILNS1_3genE9ELNS1_11target_archE1100ELNS1_3gpuE3ELNS1_3repE0EEENS1_30default_config_static_selectorELNS0_4arch9wavefront6targetE1EEEvT1_,"axG",@progbits,_ZN7rocprim17ROCPRIM_400000_NS6detail17trampoline_kernelINS0_14default_configENS1_25partition_config_selectorILNS1_17partition_subalgoE1EsNS0_10empty_typeEbEEZZNS1_14partition_implILS5_1ELb0ES3_jN6thrust23THRUST_200600_302600_NS6detail15normal_iteratorINSA_10device_ptrIsEEEEPS6_NSA_18transform_iteratorI7is_evenIsESF_NSA_11use_defaultESK_EENS0_5tupleIJNSA_16discard_iteratorISK_EESF_EEENSM_IJSG_SG_EEES6_PlJS6_EEE10hipError_tPvRmT3_T4_T5_T6_T7_T9_mT8_P12ihipStream_tbDpT10_ENKUlT_T0_E_clISt17integral_constantIbLb1EES1A_IbLb0EEEEDaS16_S17_EUlS16_E_NS1_11comp_targetILNS1_3genE9ELNS1_11target_archE1100ELNS1_3gpuE3ELNS1_3repE0EEENS1_30default_config_static_selectorELNS0_4arch9wavefront6targetE1EEEvT1_,comdat
.Lfunc_end3441:
	.size	_ZN7rocprim17ROCPRIM_400000_NS6detail17trampoline_kernelINS0_14default_configENS1_25partition_config_selectorILNS1_17partition_subalgoE1EsNS0_10empty_typeEbEEZZNS1_14partition_implILS5_1ELb0ES3_jN6thrust23THRUST_200600_302600_NS6detail15normal_iteratorINSA_10device_ptrIsEEEEPS6_NSA_18transform_iteratorI7is_evenIsESF_NSA_11use_defaultESK_EENS0_5tupleIJNSA_16discard_iteratorISK_EESF_EEENSM_IJSG_SG_EEES6_PlJS6_EEE10hipError_tPvRmT3_T4_T5_T6_T7_T9_mT8_P12ihipStream_tbDpT10_ENKUlT_T0_E_clISt17integral_constantIbLb1EES1A_IbLb0EEEEDaS16_S17_EUlS16_E_NS1_11comp_targetILNS1_3genE9ELNS1_11target_archE1100ELNS1_3gpuE3ELNS1_3repE0EEENS1_30default_config_static_selectorELNS0_4arch9wavefront6targetE1EEEvT1_, .Lfunc_end3441-_ZN7rocprim17ROCPRIM_400000_NS6detail17trampoline_kernelINS0_14default_configENS1_25partition_config_selectorILNS1_17partition_subalgoE1EsNS0_10empty_typeEbEEZZNS1_14partition_implILS5_1ELb0ES3_jN6thrust23THRUST_200600_302600_NS6detail15normal_iteratorINSA_10device_ptrIsEEEEPS6_NSA_18transform_iteratorI7is_evenIsESF_NSA_11use_defaultESK_EENS0_5tupleIJNSA_16discard_iteratorISK_EESF_EEENSM_IJSG_SG_EEES6_PlJS6_EEE10hipError_tPvRmT3_T4_T5_T6_T7_T9_mT8_P12ihipStream_tbDpT10_ENKUlT_T0_E_clISt17integral_constantIbLb1EES1A_IbLb0EEEEDaS16_S17_EUlS16_E_NS1_11comp_targetILNS1_3genE9ELNS1_11target_archE1100ELNS1_3gpuE3ELNS1_3repE0EEENS1_30default_config_static_selectorELNS0_4arch9wavefront6targetE1EEEvT1_
                                        ; -- End function
	.section	.AMDGPU.csdata,"",@progbits
; Kernel info:
; codeLenInByte = 0
; NumSgprs: 4
; NumVgprs: 0
; NumAgprs: 0
; TotalNumVgprs: 0
; ScratchSize: 0
; MemoryBound: 0
; FloatMode: 240
; IeeeMode: 1
; LDSByteSize: 0 bytes/workgroup (compile time only)
; SGPRBlocks: 0
; VGPRBlocks: 0
; NumSGPRsForWavesPerEU: 4
; NumVGPRsForWavesPerEU: 1
; AccumOffset: 4
; Occupancy: 8
; WaveLimiterHint : 0
; COMPUTE_PGM_RSRC2:SCRATCH_EN: 0
; COMPUTE_PGM_RSRC2:USER_SGPR: 6
; COMPUTE_PGM_RSRC2:TRAP_HANDLER: 0
; COMPUTE_PGM_RSRC2:TGID_X_EN: 1
; COMPUTE_PGM_RSRC2:TGID_Y_EN: 0
; COMPUTE_PGM_RSRC2:TGID_Z_EN: 0
; COMPUTE_PGM_RSRC2:TIDIG_COMP_CNT: 0
; COMPUTE_PGM_RSRC3_GFX90A:ACCUM_OFFSET: 0
; COMPUTE_PGM_RSRC3_GFX90A:TG_SPLIT: 0
	.section	.text._ZN7rocprim17ROCPRIM_400000_NS6detail17trampoline_kernelINS0_14default_configENS1_25partition_config_selectorILNS1_17partition_subalgoE1EsNS0_10empty_typeEbEEZZNS1_14partition_implILS5_1ELb0ES3_jN6thrust23THRUST_200600_302600_NS6detail15normal_iteratorINSA_10device_ptrIsEEEEPS6_NSA_18transform_iteratorI7is_evenIsESF_NSA_11use_defaultESK_EENS0_5tupleIJNSA_16discard_iteratorISK_EESF_EEENSM_IJSG_SG_EEES6_PlJS6_EEE10hipError_tPvRmT3_T4_T5_T6_T7_T9_mT8_P12ihipStream_tbDpT10_ENKUlT_T0_E_clISt17integral_constantIbLb1EES1A_IbLb0EEEEDaS16_S17_EUlS16_E_NS1_11comp_targetILNS1_3genE8ELNS1_11target_archE1030ELNS1_3gpuE2ELNS1_3repE0EEENS1_30default_config_static_selectorELNS0_4arch9wavefront6targetE1EEEvT1_,"axG",@progbits,_ZN7rocprim17ROCPRIM_400000_NS6detail17trampoline_kernelINS0_14default_configENS1_25partition_config_selectorILNS1_17partition_subalgoE1EsNS0_10empty_typeEbEEZZNS1_14partition_implILS5_1ELb0ES3_jN6thrust23THRUST_200600_302600_NS6detail15normal_iteratorINSA_10device_ptrIsEEEEPS6_NSA_18transform_iteratorI7is_evenIsESF_NSA_11use_defaultESK_EENS0_5tupleIJNSA_16discard_iteratorISK_EESF_EEENSM_IJSG_SG_EEES6_PlJS6_EEE10hipError_tPvRmT3_T4_T5_T6_T7_T9_mT8_P12ihipStream_tbDpT10_ENKUlT_T0_E_clISt17integral_constantIbLb1EES1A_IbLb0EEEEDaS16_S17_EUlS16_E_NS1_11comp_targetILNS1_3genE8ELNS1_11target_archE1030ELNS1_3gpuE2ELNS1_3repE0EEENS1_30default_config_static_selectorELNS0_4arch9wavefront6targetE1EEEvT1_,comdat
	.protected	_ZN7rocprim17ROCPRIM_400000_NS6detail17trampoline_kernelINS0_14default_configENS1_25partition_config_selectorILNS1_17partition_subalgoE1EsNS0_10empty_typeEbEEZZNS1_14partition_implILS5_1ELb0ES3_jN6thrust23THRUST_200600_302600_NS6detail15normal_iteratorINSA_10device_ptrIsEEEEPS6_NSA_18transform_iteratorI7is_evenIsESF_NSA_11use_defaultESK_EENS0_5tupleIJNSA_16discard_iteratorISK_EESF_EEENSM_IJSG_SG_EEES6_PlJS6_EEE10hipError_tPvRmT3_T4_T5_T6_T7_T9_mT8_P12ihipStream_tbDpT10_ENKUlT_T0_E_clISt17integral_constantIbLb1EES1A_IbLb0EEEEDaS16_S17_EUlS16_E_NS1_11comp_targetILNS1_3genE8ELNS1_11target_archE1030ELNS1_3gpuE2ELNS1_3repE0EEENS1_30default_config_static_selectorELNS0_4arch9wavefront6targetE1EEEvT1_ ; -- Begin function _ZN7rocprim17ROCPRIM_400000_NS6detail17trampoline_kernelINS0_14default_configENS1_25partition_config_selectorILNS1_17partition_subalgoE1EsNS0_10empty_typeEbEEZZNS1_14partition_implILS5_1ELb0ES3_jN6thrust23THRUST_200600_302600_NS6detail15normal_iteratorINSA_10device_ptrIsEEEEPS6_NSA_18transform_iteratorI7is_evenIsESF_NSA_11use_defaultESK_EENS0_5tupleIJNSA_16discard_iteratorISK_EESF_EEENSM_IJSG_SG_EEES6_PlJS6_EEE10hipError_tPvRmT3_T4_T5_T6_T7_T9_mT8_P12ihipStream_tbDpT10_ENKUlT_T0_E_clISt17integral_constantIbLb1EES1A_IbLb0EEEEDaS16_S17_EUlS16_E_NS1_11comp_targetILNS1_3genE8ELNS1_11target_archE1030ELNS1_3gpuE2ELNS1_3repE0EEENS1_30default_config_static_selectorELNS0_4arch9wavefront6targetE1EEEvT1_
	.globl	_ZN7rocprim17ROCPRIM_400000_NS6detail17trampoline_kernelINS0_14default_configENS1_25partition_config_selectorILNS1_17partition_subalgoE1EsNS0_10empty_typeEbEEZZNS1_14partition_implILS5_1ELb0ES3_jN6thrust23THRUST_200600_302600_NS6detail15normal_iteratorINSA_10device_ptrIsEEEEPS6_NSA_18transform_iteratorI7is_evenIsESF_NSA_11use_defaultESK_EENS0_5tupleIJNSA_16discard_iteratorISK_EESF_EEENSM_IJSG_SG_EEES6_PlJS6_EEE10hipError_tPvRmT3_T4_T5_T6_T7_T9_mT8_P12ihipStream_tbDpT10_ENKUlT_T0_E_clISt17integral_constantIbLb1EES1A_IbLb0EEEEDaS16_S17_EUlS16_E_NS1_11comp_targetILNS1_3genE8ELNS1_11target_archE1030ELNS1_3gpuE2ELNS1_3repE0EEENS1_30default_config_static_selectorELNS0_4arch9wavefront6targetE1EEEvT1_
	.p2align	8
	.type	_ZN7rocprim17ROCPRIM_400000_NS6detail17trampoline_kernelINS0_14default_configENS1_25partition_config_selectorILNS1_17partition_subalgoE1EsNS0_10empty_typeEbEEZZNS1_14partition_implILS5_1ELb0ES3_jN6thrust23THRUST_200600_302600_NS6detail15normal_iteratorINSA_10device_ptrIsEEEEPS6_NSA_18transform_iteratorI7is_evenIsESF_NSA_11use_defaultESK_EENS0_5tupleIJNSA_16discard_iteratorISK_EESF_EEENSM_IJSG_SG_EEES6_PlJS6_EEE10hipError_tPvRmT3_T4_T5_T6_T7_T9_mT8_P12ihipStream_tbDpT10_ENKUlT_T0_E_clISt17integral_constantIbLb1EES1A_IbLb0EEEEDaS16_S17_EUlS16_E_NS1_11comp_targetILNS1_3genE8ELNS1_11target_archE1030ELNS1_3gpuE2ELNS1_3repE0EEENS1_30default_config_static_selectorELNS0_4arch9wavefront6targetE1EEEvT1_,@function
_ZN7rocprim17ROCPRIM_400000_NS6detail17trampoline_kernelINS0_14default_configENS1_25partition_config_selectorILNS1_17partition_subalgoE1EsNS0_10empty_typeEbEEZZNS1_14partition_implILS5_1ELb0ES3_jN6thrust23THRUST_200600_302600_NS6detail15normal_iteratorINSA_10device_ptrIsEEEEPS6_NSA_18transform_iteratorI7is_evenIsESF_NSA_11use_defaultESK_EENS0_5tupleIJNSA_16discard_iteratorISK_EESF_EEENSM_IJSG_SG_EEES6_PlJS6_EEE10hipError_tPvRmT3_T4_T5_T6_T7_T9_mT8_P12ihipStream_tbDpT10_ENKUlT_T0_E_clISt17integral_constantIbLb1EES1A_IbLb0EEEEDaS16_S17_EUlS16_E_NS1_11comp_targetILNS1_3genE8ELNS1_11target_archE1030ELNS1_3gpuE2ELNS1_3repE0EEENS1_30default_config_static_selectorELNS0_4arch9wavefront6targetE1EEEvT1_: ; @_ZN7rocprim17ROCPRIM_400000_NS6detail17trampoline_kernelINS0_14default_configENS1_25partition_config_selectorILNS1_17partition_subalgoE1EsNS0_10empty_typeEbEEZZNS1_14partition_implILS5_1ELb0ES3_jN6thrust23THRUST_200600_302600_NS6detail15normal_iteratorINSA_10device_ptrIsEEEEPS6_NSA_18transform_iteratorI7is_evenIsESF_NSA_11use_defaultESK_EENS0_5tupleIJNSA_16discard_iteratorISK_EESF_EEENSM_IJSG_SG_EEES6_PlJS6_EEE10hipError_tPvRmT3_T4_T5_T6_T7_T9_mT8_P12ihipStream_tbDpT10_ENKUlT_T0_E_clISt17integral_constantIbLb1EES1A_IbLb0EEEEDaS16_S17_EUlS16_E_NS1_11comp_targetILNS1_3genE8ELNS1_11target_archE1030ELNS1_3gpuE2ELNS1_3repE0EEENS1_30default_config_static_selectorELNS0_4arch9wavefront6targetE1EEEvT1_
; %bb.0:
	.section	.rodata,"a",@progbits
	.p2align	6, 0x0
	.amdhsa_kernel _ZN7rocprim17ROCPRIM_400000_NS6detail17trampoline_kernelINS0_14default_configENS1_25partition_config_selectorILNS1_17partition_subalgoE1EsNS0_10empty_typeEbEEZZNS1_14partition_implILS5_1ELb0ES3_jN6thrust23THRUST_200600_302600_NS6detail15normal_iteratorINSA_10device_ptrIsEEEEPS6_NSA_18transform_iteratorI7is_evenIsESF_NSA_11use_defaultESK_EENS0_5tupleIJNSA_16discard_iteratorISK_EESF_EEENSM_IJSG_SG_EEES6_PlJS6_EEE10hipError_tPvRmT3_T4_T5_T6_T7_T9_mT8_P12ihipStream_tbDpT10_ENKUlT_T0_E_clISt17integral_constantIbLb1EES1A_IbLb0EEEEDaS16_S17_EUlS16_E_NS1_11comp_targetILNS1_3genE8ELNS1_11target_archE1030ELNS1_3gpuE2ELNS1_3repE0EEENS1_30default_config_static_selectorELNS0_4arch9wavefront6targetE1EEEvT1_
		.amdhsa_group_segment_fixed_size 0
		.amdhsa_private_segment_fixed_size 0
		.amdhsa_kernarg_size 136
		.amdhsa_user_sgpr_count 6
		.amdhsa_user_sgpr_private_segment_buffer 1
		.amdhsa_user_sgpr_dispatch_ptr 0
		.amdhsa_user_sgpr_queue_ptr 0
		.amdhsa_user_sgpr_kernarg_segment_ptr 1
		.amdhsa_user_sgpr_dispatch_id 0
		.amdhsa_user_sgpr_flat_scratch_init 0
		.amdhsa_user_sgpr_kernarg_preload_length 0
		.amdhsa_user_sgpr_kernarg_preload_offset 0
		.amdhsa_user_sgpr_private_segment_size 0
		.amdhsa_uses_dynamic_stack 0
		.amdhsa_system_sgpr_private_segment_wavefront_offset 0
		.amdhsa_system_sgpr_workgroup_id_x 1
		.amdhsa_system_sgpr_workgroup_id_y 0
		.amdhsa_system_sgpr_workgroup_id_z 0
		.amdhsa_system_sgpr_workgroup_info 0
		.amdhsa_system_vgpr_workitem_id 0
		.amdhsa_next_free_vgpr 1
		.amdhsa_next_free_sgpr 0
		.amdhsa_accum_offset 4
		.amdhsa_reserve_vcc 0
		.amdhsa_reserve_flat_scratch 0
		.amdhsa_float_round_mode_32 0
		.amdhsa_float_round_mode_16_64 0
		.amdhsa_float_denorm_mode_32 3
		.amdhsa_float_denorm_mode_16_64 3
		.amdhsa_dx10_clamp 1
		.amdhsa_ieee_mode 1
		.amdhsa_fp16_overflow 0
		.amdhsa_tg_split 0
		.amdhsa_exception_fp_ieee_invalid_op 0
		.amdhsa_exception_fp_denorm_src 0
		.amdhsa_exception_fp_ieee_div_zero 0
		.amdhsa_exception_fp_ieee_overflow 0
		.amdhsa_exception_fp_ieee_underflow 0
		.amdhsa_exception_fp_ieee_inexact 0
		.amdhsa_exception_int_div_zero 0
	.end_amdhsa_kernel
	.section	.text._ZN7rocprim17ROCPRIM_400000_NS6detail17trampoline_kernelINS0_14default_configENS1_25partition_config_selectorILNS1_17partition_subalgoE1EsNS0_10empty_typeEbEEZZNS1_14partition_implILS5_1ELb0ES3_jN6thrust23THRUST_200600_302600_NS6detail15normal_iteratorINSA_10device_ptrIsEEEEPS6_NSA_18transform_iteratorI7is_evenIsESF_NSA_11use_defaultESK_EENS0_5tupleIJNSA_16discard_iteratorISK_EESF_EEENSM_IJSG_SG_EEES6_PlJS6_EEE10hipError_tPvRmT3_T4_T5_T6_T7_T9_mT8_P12ihipStream_tbDpT10_ENKUlT_T0_E_clISt17integral_constantIbLb1EES1A_IbLb0EEEEDaS16_S17_EUlS16_E_NS1_11comp_targetILNS1_3genE8ELNS1_11target_archE1030ELNS1_3gpuE2ELNS1_3repE0EEENS1_30default_config_static_selectorELNS0_4arch9wavefront6targetE1EEEvT1_,"axG",@progbits,_ZN7rocprim17ROCPRIM_400000_NS6detail17trampoline_kernelINS0_14default_configENS1_25partition_config_selectorILNS1_17partition_subalgoE1EsNS0_10empty_typeEbEEZZNS1_14partition_implILS5_1ELb0ES3_jN6thrust23THRUST_200600_302600_NS6detail15normal_iteratorINSA_10device_ptrIsEEEEPS6_NSA_18transform_iteratorI7is_evenIsESF_NSA_11use_defaultESK_EENS0_5tupleIJNSA_16discard_iteratorISK_EESF_EEENSM_IJSG_SG_EEES6_PlJS6_EEE10hipError_tPvRmT3_T4_T5_T6_T7_T9_mT8_P12ihipStream_tbDpT10_ENKUlT_T0_E_clISt17integral_constantIbLb1EES1A_IbLb0EEEEDaS16_S17_EUlS16_E_NS1_11comp_targetILNS1_3genE8ELNS1_11target_archE1030ELNS1_3gpuE2ELNS1_3repE0EEENS1_30default_config_static_selectorELNS0_4arch9wavefront6targetE1EEEvT1_,comdat
.Lfunc_end3442:
	.size	_ZN7rocprim17ROCPRIM_400000_NS6detail17trampoline_kernelINS0_14default_configENS1_25partition_config_selectorILNS1_17partition_subalgoE1EsNS0_10empty_typeEbEEZZNS1_14partition_implILS5_1ELb0ES3_jN6thrust23THRUST_200600_302600_NS6detail15normal_iteratorINSA_10device_ptrIsEEEEPS6_NSA_18transform_iteratorI7is_evenIsESF_NSA_11use_defaultESK_EENS0_5tupleIJNSA_16discard_iteratorISK_EESF_EEENSM_IJSG_SG_EEES6_PlJS6_EEE10hipError_tPvRmT3_T4_T5_T6_T7_T9_mT8_P12ihipStream_tbDpT10_ENKUlT_T0_E_clISt17integral_constantIbLb1EES1A_IbLb0EEEEDaS16_S17_EUlS16_E_NS1_11comp_targetILNS1_3genE8ELNS1_11target_archE1030ELNS1_3gpuE2ELNS1_3repE0EEENS1_30default_config_static_selectorELNS0_4arch9wavefront6targetE1EEEvT1_, .Lfunc_end3442-_ZN7rocprim17ROCPRIM_400000_NS6detail17trampoline_kernelINS0_14default_configENS1_25partition_config_selectorILNS1_17partition_subalgoE1EsNS0_10empty_typeEbEEZZNS1_14partition_implILS5_1ELb0ES3_jN6thrust23THRUST_200600_302600_NS6detail15normal_iteratorINSA_10device_ptrIsEEEEPS6_NSA_18transform_iteratorI7is_evenIsESF_NSA_11use_defaultESK_EENS0_5tupleIJNSA_16discard_iteratorISK_EESF_EEENSM_IJSG_SG_EEES6_PlJS6_EEE10hipError_tPvRmT3_T4_T5_T6_T7_T9_mT8_P12ihipStream_tbDpT10_ENKUlT_T0_E_clISt17integral_constantIbLb1EES1A_IbLb0EEEEDaS16_S17_EUlS16_E_NS1_11comp_targetILNS1_3genE8ELNS1_11target_archE1030ELNS1_3gpuE2ELNS1_3repE0EEENS1_30default_config_static_selectorELNS0_4arch9wavefront6targetE1EEEvT1_
                                        ; -- End function
	.section	.AMDGPU.csdata,"",@progbits
; Kernel info:
; codeLenInByte = 0
; NumSgprs: 4
; NumVgprs: 0
; NumAgprs: 0
; TotalNumVgprs: 0
; ScratchSize: 0
; MemoryBound: 0
; FloatMode: 240
; IeeeMode: 1
; LDSByteSize: 0 bytes/workgroup (compile time only)
; SGPRBlocks: 0
; VGPRBlocks: 0
; NumSGPRsForWavesPerEU: 4
; NumVGPRsForWavesPerEU: 1
; AccumOffset: 4
; Occupancy: 8
; WaveLimiterHint : 0
; COMPUTE_PGM_RSRC2:SCRATCH_EN: 0
; COMPUTE_PGM_RSRC2:USER_SGPR: 6
; COMPUTE_PGM_RSRC2:TRAP_HANDLER: 0
; COMPUTE_PGM_RSRC2:TGID_X_EN: 1
; COMPUTE_PGM_RSRC2:TGID_Y_EN: 0
; COMPUTE_PGM_RSRC2:TGID_Z_EN: 0
; COMPUTE_PGM_RSRC2:TIDIG_COMP_CNT: 0
; COMPUTE_PGM_RSRC3_GFX90A:ACCUM_OFFSET: 0
; COMPUTE_PGM_RSRC3_GFX90A:TG_SPLIT: 0
	.section	.text._ZN7rocprim17ROCPRIM_400000_NS6detail17trampoline_kernelINS0_14default_configENS1_25partition_config_selectorILNS1_17partition_subalgoE1EsNS0_10empty_typeEbEEZZNS1_14partition_implILS5_1ELb0ES3_jN6thrust23THRUST_200600_302600_NS6detail15normal_iteratorINSA_10device_ptrIsEEEEPS6_NSA_18transform_iteratorI7is_evenIsESF_NSA_11use_defaultESK_EENS0_5tupleIJNSA_16discard_iteratorISK_EESF_EEENSM_IJSG_SG_EEES6_PlJS6_EEE10hipError_tPvRmT3_T4_T5_T6_T7_T9_mT8_P12ihipStream_tbDpT10_ENKUlT_T0_E_clISt17integral_constantIbLb0EES1A_IbLb1EEEEDaS16_S17_EUlS16_E_NS1_11comp_targetILNS1_3genE0ELNS1_11target_archE4294967295ELNS1_3gpuE0ELNS1_3repE0EEENS1_30default_config_static_selectorELNS0_4arch9wavefront6targetE1EEEvT1_,"axG",@progbits,_ZN7rocprim17ROCPRIM_400000_NS6detail17trampoline_kernelINS0_14default_configENS1_25partition_config_selectorILNS1_17partition_subalgoE1EsNS0_10empty_typeEbEEZZNS1_14partition_implILS5_1ELb0ES3_jN6thrust23THRUST_200600_302600_NS6detail15normal_iteratorINSA_10device_ptrIsEEEEPS6_NSA_18transform_iteratorI7is_evenIsESF_NSA_11use_defaultESK_EENS0_5tupleIJNSA_16discard_iteratorISK_EESF_EEENSM_IJSG_SG_EEES6_PlJS6_EEE10hipError_tPvRmT3_T4_T5_T6_T7_T9_mT8_P12ihipStream_tbDpT10_ENKUlT_T0_E_clISt17integral_constantIbLb0EES1A_IbLb1EEEEDaS16_S17_EUlS16_E_NS1_11comp_targetILNS1_3genE0ELNS1_11target_archE4294967295ELNS1_3gpuE0ELNS1_3repE0EEENS1_30default_config_static_selectorELNS0_4arch9wavefront6targetE1EEEvT1_,comdat
	.protected	_ZN7rocprim17ROCPRIM_400000_NS6detail17trampoline_kernelINS0_14default_configENS1_25partition_config_selectorILNS1_17partition_subalgoE1EsNS0_10empty_typeEbEEZZNS1_14partition_implILS5_1ELb0ES3_jN6thrust23THRUST_200600_302600_NS6detail15normal_iteratorINSA_10device_ptrIsEEEEPS6_NSA_18transform_iteratorI7is_evenIsESF_NSA_11use_defaultESK_EENS0_5tupleIJNSA_16discard_iteratorISK_EESF_EEENSM_IJSG_SG_EEES6_PlJS6_EEE10hipError_tPvRmT3_T4_T5_T6_T7_T9_mT8_P12ihipStream_tbDpT10_ENKUlT_T0_E_clISt17integral_constantIbLb0EES1A_IbLb1EEEEDaS16_S17_EUlS16_E_NS1_11comp_targetILNS1_3genE0ELNS1_11target_archE4294967295ELNS1_3gpuE0ELNS1_3repE0EEENS1_30default_config_static_selectorELNS0_4arch9wavefront6targetE1EEEvT1_ ; -- Begin function _ZN7rocprim17ROCPRIM_400000_NS6detail17trampoline_kernelINS0_14default_configENS1_25partition_config_selectorILNS1_17partition_subalgoE1EsNS0_10empty_typeEbEEZZNS1_14partition_implILS5_1ELb0ES3_jN6thrust23THRUST_200600_302600_NS6detail15normal_iteratorINSA_10device_ptrIsEEEEPS6_NSA_18transform_iteratorI7is_evenIsESF_NSA_11use_defaultESK_EENS0_5tupleIJNSA_16discard_iteratorISK_EESF_EEENSM_IJSG_SG_EEES6_PlJS6_EEE10hipError_tPvRmT3_T4_T5_T6_T7_T9_mT8_P12ihipStream_tbDpT10_ENKUlT_T0_E_clISt17integral_constantIbLb0EES1A_IbLb1EEEEDaS16_S17_EUlS16_E_NS1_11comp_targetILNS1_3genE0ELNS1_11target_archE4294967295ELNS1_3gpuE0ELNS1_3repE0EEENS1_30default_config_static_selectorELNS0_4arch9wavefront6targetE1EEEvT1_
	.globl	_ZN7rocprim17ROCPRIM_400000_NS6detail17trampoline_kernelINS0_14default_configENS1_25partition_config_selectorILNS1_17partition_subalgoE1EsNS0_10empty_typeEbEEZZNS1_14partition_implILS5_1ELb0ES3_jN6thrust23THRUST_200600_302600_NS6detail15normal_iteratorINSA_10device_ptrIsEEEEPS6_NSA_18transform_iteratorI7is_evenIsESF_NSA_11use_defaultESK_EENS0_5tupleIJNSA_16discard_iteratorISK_EESF_EEENSM_IJSG_SG_EEES6_PlJS6_EEE10hipError_tPvRmT3_T4_T5_T6_T7_T9_mT8_P12ihipStream_tbDpT10_ENKUlT_T0_E_clISt17integral_constantIbLb0EES1A_IbLb1EEEEDaS16_S17_EUlS16_E_NS1_11comp_targetILNS1_3genE0ELNS1_11target_archE4294967295ELNS1_3gpuE0ELNS1_3repE0EEENS1_30default_config_static_selectorELNS0_4arch9wavefront6targetE1EEEvT1_
	.p2align	8
	.type	_ZN7rocprim17ROCPRIM_400000_NS6detail17trampoline_kernelINS0_14default_configENS1_25partition_config_selectorILNS1_17partition_subalgoE1EsNS0_10empty_typeEbEEZZNS1_14partition_implILS5_1ELb0ES3_jN6thrust23THRUST_200600_302600_NS6detail15normal_iteratorINSA_10device_ptrIsEEEEPS6_NSA_18transform_iteratorI7is_evenIsESF_NSA_11use_defaultESK_EENS0_5tupleIJNSA_16discard_iteratorISK_EESF_EEENSM_IJSG_SG_EEES6_PlJS6_EEE10hipError_tPvRmT3_T4_T5_T6_T7_T9_mT8_P12ihipStream_tbDpT10_ENKUlT_T0_E_clISt17integral_constantIbLb0EES1A_IbLb1EEEEDaS16_S17_EUlS16_E_NS1_11comp_targetILNS1_3genE0ELNS1_11target_archE4294967295ELNS1_3gpuE0ELNS1_3repE0EEENS1_30default_config_static_selectorELNS0_4arch9wavefront6targetE1EEEvT1_,@function
_ZN7rocprim17ROCPRIM_400000_NS6detail17trampoline_kernelINS0_14default_configENS1_25partition_config_selectorILNS1_17partition_subalgoE1EsNS0_10empty_typeEbEEZZNS1_14partition_implILS5_1ELb0ES3_jN6thrust23THRUST_200600_302600_NS6detail15normal_iteratorINSA_10device_ptrIsEEEEPS6_NSA_18transform_iteratorI7is_evenIsESF_NSA_11use_defaultESK_EENS0_5tupleIJNSA_16discard_iteratorISK_EESF_EEENSM_IJSG_SG_EEES6_PlJS6_EEE10hipError_tPvRmT3_T4_T5_T6_T7_T9_mT8_P12ihipStream_tbDpT10_ENKUlT_T0_E_clISt17integral_constantIbLb0EES1A_IbLb1EEEEDaS16_S17_EUlS16_E_NS1_11comp_targetILNS1_3genE0ELNS1_11target_archE4294967295ELNS1_3gpuE0ELNS1_3repE0EEENS1_30default_config_static_selectorELNS0_4arch9wavefront6targetE1EEEvT1_: ; @_ZN7rocprim17ROCPRIM_400000_NS6detail17trampoline_kernelINS0_14default_configENS1_25partition_config_selectorILNS1_17partition_subalgoE1EsNS0_10empty_typeEbEEZZNS1_14partition_implILS5_1ELb0ES3_jN6thrust23THRUST_200600_302600_NS6detail15normal_iteratorINSA_10device_ptrIsEEEEPS6_NSA_18transform_iteratorI7is_evenIsESF_NSA_11use_defaultESK_EENS0_5tupleIJNSA_16discard_iteratorISK_EESF_EEENSM_IJSG_SG_EEES6_PlJS6_EEE10hipError_tPvRmT3_T4_T5_T6_T7_T9_mT8_P12ihipStream_tbDpT10_ENKUlT_T0_E_clISt17integral_constantIbLb0EES1A_IbLb1EEEEDaS16_S17_EUlS16_E_NS1_11comp_targetILNS1_3genE0ELNS1_11target_archE4294967295ELNS1_3gpuE0ELNS1_3repE0EEENS1_30default_config_static_selectorELNS0_4arch9wavefront6targetE1EEEvT1_
; %bb.0:
	.section	.rodata,"a",@progbits
	.p2align	6, 0x0
	.amdhsa_kernel _ZN7rocprim17ROCPRIM_400000_NS6detail17trampoline_kernelINS0_14default_configENS1_25partition_config_selectorILNS1_17partition_subalgoE1EsNS0_10empty_typeEbEEZZNS1_14partition_implILS5_1ELb0ES3_jN6thrust23THRUST_200600_302600_NS6detail15normal_iteratorINSA_10device_ptrIsEEEEPS6_NSA_18transform_iteratorI7is_evenIsESF_NSA_11use_defaultESK_EENS0_5tupleIJNSA_16discard_iteratorISK_EESF_EEENSM_IJSG_SG_EEES6_PlJS6_EEE10hipError_tPvRmT3_T4_T5_T6_T7_T9_mT8_P12ihipStream_tbDpT10_ENKUlT_T0_E_clISt17integral_constantIbLb0EES1A_IbLb1EEEEDaS16_S17_EUlS16_E_NS1_11comp_targetILNS1_3genE0ELNS1_11target_archE4294967295ELNS1_3gpuE0ELNS1_3repE0EEENS1_30default_config_static_selectorELNS0_4arch9wavefront6targetE1EEEvT1_
		.amdhsa_group_segment_fixed_size 0
		.amdhsa_private_segment_fixed_size 0
		.amdhsa_kernarg_size 152
		.amdhsa_user_sgpr_count 6
		.amdhsa_user_sgpr_private_segment_buffer 1
		.amdhsa_user_sgpr_dispatch_ptr 0
		.amdhsa_user_sgpr_queue_ptr 0
		.amdhsa_user_sgpr_kernarg_segment_ptr 1
		.amdhsa_user_sgpr_dispatch_id 0
		.amdhsa_user_sgpr_flat_scratch_init 0
		.amdhsa_user_sgpr_kernarg_preload_length 0
		.amdhsa_user_sgpr_kernarg_preload_offset 0
		.amdhsa_user_sgpr_private_segment_size 0
		.amdhsa_uses_dynamic_stack 0
		.amdhsa_system_sgpr_private_segment_wavefront_offset 0
		.amdhsa_system_sgpr_workgroup_id_x 1
		.amdhsa_system_sgpr_workgroup_id_y 0
		.amdhsa_system_sgpr_workgroup_id_z 0
		.amdhsa_system_sgpr_workgroup_info 0
		.amdhsa_system_vgpr_workitem_id 0
		.amdhsa_next_free_vgpr 1
		.amdhsa_next_free_sgpr 0
		.amdhsa_accum_offset 4
		.amdhsa_reserve_vcc 0
		.amdhsa_reserve_flat_scratch 0
		.amdhsa_float_round_mode_32 0
		.amdhsa_float_round_mode_16_64 0
		.amdhsa_float_denorm_mode_32 3
		.amdhsa_float_denorm_mode_16_64 3
		.amdhsa_dx10_clamp 1
		.amdhsa_ieee_mode 1
		.amdhsa_fp16_overflow 0
		.amdhsa_tg_split 0
		.amdhsa_exception_fp_ieee_invalid_op 0
		.amdhsa_exception_fp_denorm_src 0
		.amdhsa_exception_fp_ieee_div_zero 0
		.amdhsa_exception_fp_ieee_overflow 0
		.amdhsa_exception_fp_ieee_underflow 0
		.amdhsa_exception_fp_ieee_inexact 0
		.amdhsa_exception_int_div_zero 0
	.end_amdhsa_kernel
	.section	.text._ZN7rocprim17ROCPRIM_400000_NS6detail17trampoline_kernelINS0_14default_configENS1_25partition_config_selectorILNS1_17partition_subalgoE1EsNS0_10empty_typeEbEEZZNS1_14partition_implILS5_1ELb0ES3_jN6thrust23THRUST_200600_302600_NS6detail15normal_iteratorINSA_10device_ptrIsEEEEPS6_NSA_18transform_iteratorI7is_evenIsESF_NSA_11use_defaultESK_EENS0_5tupleIJNSA_16discard_iteratorISK_EESF_EEENSM_IJSG_SG_EEES6_PlJS6_EEE10hipError_tPvRmT3_T4_T5_T6_T7_T9_mT8_P12ihipStream_tbDpT10_ENKUlT_T0_E_clISt17integral_constantIbLb0EES1A_IbLb1EEEEDaS16_S17_EUlS16_E_NS1_11comp_targetILNS1_3genE0ELNS1_11target_archE4294967295ELNS1_3gpuE0ELNS1_3repE0EEENS1_30default_config_static_selectorELNS0_4arch9wavefront6targetE1EEEvT1_,"axG",@progbits,_ZN7rocprim17ROCPRIM_400000_NS6detail17trampoline_kernelINS0_14default_configENS1_25partition_config_selectorILNS1_17partition_subalgoE1EsNS0_10empty_typeEbEEZZNS1_14partition_implILS5_1ELb0ES3_jN6thrust23THRUST_200600_302600_NS6detail15normal_iteratorINSA_10device_ptrIsEEEEPS6_NSA_18transform_iteratorI7is_evenIsESF_NSA_11use_defaultESK_EENS0_5tupleIJNSA_16discard_iteratorISK_EESF_EEENSM_IJSG_SG_EEES6_PlJS6_EEE10hipError_tPvRmT3_T4_T5_T6_T7_T9_mT8_P12ihipStream_tbDpT10_ENKUlT_T0_E_clISt17integral_constantIbLb0EES1A_IbLb1EEEEDaS16_S17_EUlS16_E_NS1_11comp_targetILNS1_3genE0ELNS1_11target_archE4294967295ELNS1_3gpuE0ELNS1_3repE0EEENS1_30default_config_static_selectorELNS0_4arch9wavefront6targetE1EEEvT1_,comdat
.Lfunc_end3443:
	.size	_ZN7rocprim17ROCPRIM_400000_NS6detail17trampoline_kernelINS0_14default_configENS1_25partition_config_selectorILNS1_17partition_subalgoE1EsNS0_10empty_typeEbEEZZNS1_14partition_implILS5_1ELb0ES3_jN6thrust23THRUST_200600_302600_NS6detail15normal_iteratorINSA_10device_ptrIsEEEEPS6_NSA_18transform_iteratorI7is_evenIsESF_NSA_11use_defaultESK_EENS0_5tupleIJNSA_16discard_iteratorISK_EESF_EEENSM_IJSG_SG_EEES6_PlJS6_EEE10hipError_tPvRmT3_T4_T5_T6_T7_T9_mT8_P12ihipStream_tbDpT10_ENKUlT_T0_E_clISt17integral_constantIbLb0EES1A_IbLb1EEEEDaS16_S17_EUlS16_E_NS1_11comp_targetILNS1_3genE0ELNS1_11target_archE4294967295ELNS1_3gpuE0ELNS1_3repE0EEENS1_30default_config_static_selectorELNS0_4arch9wavefront6targetE1EEEvT1_, .Lfunc_end3443-_ZN7rocprim17ROCPRIM_400000_NS6detail17trampoline_kernelINS0_14default_configENS1_25partition_config_selectorILNS1_17partition_subalgoE1EsNS0_10empty_typeEbEEZZNS1_14partition_implILS5_1ELb0ES3_jN6thrust23THRUST_200600_302600_NS6detail15normal_iteratorINSA_10device_ptrIsEEEEPS6_NSA_18transform_iteratorI7is_evenIsESF_NSA_11use_defaultESK_EENS0_5tupleIJNSA_16discard_iteratorISK_EESF_EEENSM_IJSG_SG_EEES6_PlJS6_EEE10hipError_tPvRmT3_T4_T5_T6_T7_T9_mT8_P12ihipStream_tbDpT10_ENKUlT_T0_E_clISt17integral_constantIbLb0EES1A_IbLb1EEEEDaS16_S17_EUlS16_E_NS1_11comp_targetILNS1_3genE0ELNS1_11target_archE4294967295ELNS1_3gpuE0ELNS1_3repE0EEENS1_30default_config_static_selectorELNS0_4arch9wavefront6targetE1EEEvT1_
                                        ; -- End function
	.section	.AMDGPU.csdata,"",@progbits
; Kernel info:
; codeLenInByte = 0
; NumSgprs: 4
; NumVgprs: 0
; NumAgprs: 0
; TotalNumVgprs: 0
; ScratchSize: 0
; MemoryBound: 0
; FloatMode: 240
; IeeeMode: 1
; LDSByteSize: 0 bytes/workgroup (compile time only)
; SGPRBlocks: 0
; VGPRBlocks: 0
; NumSGPRsForWavesPerEU: 4
; NumVGPRsForWavesPerEU: 1
; AccumOffset: 4
; Occupancy: 8
; WaveLimiterHint : 0
; COMPUTE_PGM_RSRC2:SCRATCH_EN: 0
; COMPUTE_PGM_RSRC2:USER_SGPR: 6
; COMPUTE_PGM_RSRC2:TRAP_HANDLER: 0
; COMPUTE_PGM_RSRC2:TGID_X_EN: 1
; COMPUTE_PGM_RSRC2:TGID_Y_EN: 0
; COMPUTE_PGM_RSRC2:TGID_Z_EN: 0
; COMPUTE_PGM_RSRC2:TIDIG_COMP_CNT: 0
; COMPUTE_PGM_RSRC3_GFX90A:ACCUM_OFFSET: 0
; COMPUTE_PGM_RSRC3_GFX90A:TG_SPLIT: 0
	.section	.text._ZN7rocprim17ROCPRIM_400000_NS6detail17trampoline_kernelINS0_14default_configENS1_25partition_config_selectorILNS1_17partition_subalgoE1EsNS0_10empty_typeEbEEZZNS1_14partition_implILS5_1ELb0ES3_jN6thrust23THRUST_200600_302600_NS6detail15normal_iteratorINSA_10device_ptrIsEEEEPS6_NSA_18transform_iteratorI7is_evenIsESF_NSA_11use_defaultESK_EENS0_5tupleIJNSA_16discard_iteratorISK_EESF_EEENSM_IJSG_SG_EEES6_PlJS6_EEE10hipError_tPvRmT3_T4_T5_T6_T7_T9_mT8_P12ihipStream_tbDpT10_ENKUlT_T0_E_clISt17integral_constantIbLb0EES1A_IbLb1EEEEDaS16_S17_EUlS16_E_NS1_11comp_targetILNS1_3genE5ELNS1_11target_archE942ELNS1_3gpuE9ELNS1_3repE0EEENS1_30default_config_static_selectorELNS0_4arch9wavefront6targetE1EEEvT1_,"axG",@progbits,_ZN7rocprim17ROCPRIM_400000_NS6detail17trampoline_kernelINS0_14default_configENS1_25partition_config_selectorILNS1_17partition_subalgoE1EsNS0_10empty_typeEbEEZZNS1_14partition_implILS5_1ELb0ES3_jN6thrust23THRUST_200600_302600_NS6detail15normal_iteratorINSA_10device_ptrIsEEEEPS6_NSA_18transform_iteratorI7is_evenIsESF_NSA_11use_defaultESK_EENS0_5tupleIJNSA_16discard_iteratorISK_EESF_EEENSM_IJSG_SG_EEES6_PlJS6_EEE10hipError_tPvRmT3_T4_T5_T6_T7_T9_mT8_P12ihipStream_tbDpT10_ENKUlT_T0_E_clISt17integral_constantIbLb0EES1A_IbLb1EEEEDaS16_S17_EUlS16_E_NS1_11comp_targetILNS1_3genE5ELNS1_11target_archE942ELNS1_3gpuE9ELNS1_3repE0EEENS1_30default_config_static_selectorELNS0_4arch9wavefront6targetE1EEEvT1_,comdat
	.protected	_ZN7rocprim17ROCPRIM_400000_NS6detail17trampoline_kernelINS0_14default_configENS1_25partition_config_selectorILNS1_17partition_subalgoE1EsNS0_10empty_typeEbEEZZNS1_14partition_implILS5_1ELb0ES3_jN6thrust23THRUST_200600_302600_NS6detail15normal_iteratorINSA_10device_ptrIsEEEEPS6_NSA_18transform_iteratorI7is_evenIsESF_NSA_11use_defaultESK_EENS0_5tupleIJNSA_16discard_iteratorISK_EESF_EEENSM_IJSG_SG_EEES6_PlJS6_EEE10hipError_tPvRmT3_T4_T5_T6_T7_T9_mT8_P12ihipStream_tbDpT10_ENKUlT_T0_E_clISt17integral_constantIbLb0EES1A_IbLb1EEEEDaS16_S17_EUlS16_E_NS1_11comp_targetILNS1_3genE5ELNS1_11target_archE942ELNS1_3gpuE9ELNS1_3repE0EEENS1_30default_config_static_selectorELNS0_4arch9wavefront6targetE1EEEvT1_ ; -- Begin function _ZN7rocprim17ROCPRIM_400000_NS6detail17trampoline_kernelINS0_14default_configENS1_25partition_config_selectorILNS1_17partition_subalgoE1EsNS0_10empty_typeEbEEZZNS1_14partition_implILS5_1ELb0ES3_jN6thrust23THRUST_200600_302600_NS6detail15normal_iteratorINSA_10device_ptrIsEEEEPS6_NSA_18transform_iteratorI7is_evenIsESF_NSA_11use_defaultESK_EENS0_5tupleIJNSA_16discard_iteratorISK_EESF_EEENSM_IJSG_SG_EEES6_PlJS6_EEE10hipError_tPvRmT3_T4_T5_T6_T7_T9_mT8_P12ihipStream_tbDpT10_ENKUlT_T0_E_clISt17integral_constantIbLb0EES1A_IbLb1EEEEDaS16_S17_EUlS16_E_NS1_11comp_targetILNS1_3genE5ELNS1_11target_archE942ELNS1_3gpuE9ELNS1_3repE0EEENS1_30default_config_static_selectorELNS0_4arch9wavefront6targetE1EEEvT1_
	.globl	_ZN7rocprim17ROCPRIM_400000_NS6detail17trampoline_kernelINS0_14default_configENS1_25partition_config_selectorILNS1_17partition_subalgoE1EsNS0_10empty_typeEbEEZZNS1_14partition_implILS5_1ELb0ES3_jN6thrust23THRUST_200600_302600_NS6detail15normal_iteratorINSA_10device_ptrIsEEEEPS6_NSA_18transform_iteratorI7is_evenIsESF_NSA_11use_defaultESK_EENS0_5tupleIJNSA_16discard_iteratorISK_EESF_EEENSM_IJSG_SG_EEES6_PlJS6_EEE10hipError_tPvRmT3_T4_T5_T6_T7_T9_mT8_P12ihipStream_tbDpT10_ENKUlT_T0_E_clISt17integral_constantIbLb0EES1A_IbLb1EEEEDaS16_S17_EUlS16_E_NS1_11comp_targetILNS1_3genE5ELNS1_11target_archE942ELNS1_3gpuE9ELNS1_3repE0EEENS1_30default_config_static_selectorELNS0_4arch9wavefront6targetE1EEEvT1_
	.p2align	8
	.type	_ZN7rocprim17ROCPRIM_400000_NS6detail17trampoline_kernelINS0_14default_configENS1_25partition_config_selectorILNS1_17partition_subalgoE1EsNS0_10empty_typeEbEEZZNS1_14partition_implILS5_1ELb0ES3_jN6thrust23THRUST_200600_302600_NS6detail15normal_iteratorINSA_10device_ptrIsEEEEPS6_NSA_18transform_iteratorI7is_evenIsESF_NSA_11use_defaultESK_EENS0_5tupleIJNSA_16discard_iteratorISK_EESF_EEENSM_IJSG_SG_EEES6_PlJS6_EEE10hipError_tPvRmT3_T4_T5_T6_T7_T9_mT8_P12ihipStream_tbDpT10_ENKUlT_T0_E_clISt17integral_constantIbLb0EES1A_IbLb1EEEEDaS16_S17_EUlS16_E_NS1_11comp_targetILNS1_3genE5ELNS1_11target_archE942ELNS1_3gpuE9ELNS1_3repE0EEENS1_30default_config_static_selectorELNS0_4arch9wavefront6targetE1EEEvT1_,@function
_ZN7rocprim17ROCPRIM_400000_NS6detail17trampoline_kernelINS0_14default_configENS1_25partition_config_selectorILNS1_17partition_subalgoE1EsNS0_10empty_typeEbEEZZNS1_14partition_implILS5_1ELb0ES3_jN6thrust23THRUST_200600_302600_NS6detail15normal_iteratorINSA_10device_ptrIsEEEEPS6_NSA_18transform_iteratorI7is_evenIsESF_NSA_11use_defaultESK_EENS0_5tupleIJNSA_16discard_iteratorISK_EESF_EEENSM_IJSG_SG_EEES6_PlJS6_EEE10hipError_tPvRmT3_T4_T5_T6_T7_T9_mT8_P12ihipStream_tbDpT10_ENKUlT_T0_E_clISt17integral_constantIbLb0EES1A_IbLb1EEEEDaS16_S17_EUlS16_E_NS1_11comp_targetILNS1_3genE5ELNS1_11target_archE942ELNS1_3gpuE9ELNS1_3repE0EEENS1_30default_config_static_selectorELNS0_4arch9wavefront6targetE1EEEvT1_: ; @_ZN7rocprim17ROCPRIM_400000_NS6detail17trampoline_kernelINS0_14default_configENS1_25partition_config_selectorILNS1_17partition_subalgoE1EsNS0_10empty_typeEbEEZZNS1_14partition_implILS5_1ELb0ES3_jN6thrust23THRUST_200600_302600_NS6detail15normal_iteratorINSA_10device_ptrIsEEEEPS6_NSA_18transform_iteratorI7is_evenIsESF_NSA_11use_defaultESK_EENS0_5tupleIJNSA_16discard_iteratorISK_EESF_EEENSM_IJSG_SG_EEES6_PlJS6_EEE10hipError_tPvRmT3_T4_T5_T6_T7_T9_mT8_P12ihipStream_tbDpT10_ENKUlT_T0_E_clISt17integral_constantIbLb0EES1A_IbLb1EEEEDaS16_S17_EUlS16_E_NS1_11comp_targetILNS1_3genE5ELNS1_11target_archE942ELNS1_3gpuE9ELNS1_3repE0EEENS1_30default_config_static_selectorELNS0_4arch9wavefront6targetE1EEEvT1_
; %bb.0:
	.section	.rodata,"a",@progbits
	.p2align	6, 0x0
	.amdhsa_kernel _ZN7rocprim17ROCPRIM_400000_NS6detail17trampoline_kernelINS0_14default_configENS1_25partition_config_selectorILNS1_17partition_subalgoE1EsNS0_10empty_typeEbEEZZNS1_14partition_implILS5_1ELb0ES3_jN6thrust23THRUST_200600_302600_NS6detail15normal_iteratorINSA_10device_ptrIsEEEEPS6_NSA_18transform_iteratorI7is_evenIsESF_NSA_11use_defaultESK_EENS0_5tupleIJNSA_16discard_iteratorISK_EESF_EEENSM_IJSG_SG_EEES6_PlJS6_EEE10hipError_tPvRmT3_T4_T5_T6_T7_T9_mT8_P12ihipStream_tbDpT10_ENKUlT_T0_E_clISt17integral_constantIbLb0EES1A_IbLb1EEEEDaS16_S17_EUlS16_E_NS1_11comp_targetILNS1_3genE5ELNS1_11target_archE942ELNS1_3gpuE9ELNS1_3repE0EEENS1_30default_config_static_selectorELNS0_4arch9wavefront6targetE1EEEvT1_
		.amdhsa_group_segment_fixed_size 0
		.amdhsa_private_segment_fixed_size 0
		.amdhsa_kernarg_size 152
		.amdhsa_user_sgpr_count 6
		.amdhsa_user_sgpr_private_segment_buffer 1
		.amdhsa_user_sgpr_dispatch_ptr 0
		.amdhsa_user_sgpr_queue_ptr 0
		.amdhsa_user_sgpr_kernarg_segment_ptr 1
		.amdhsa_user_sgpr_dispatch_id 0
		.amdhsa_user_sgpr_flat_scratch_init 0
		.amdhsa_user_sgpr_kernarg_preload_length 0
		.amdhsa_user_sgpr_kernarg_preload_offset 0
		.amdhsa_user_sgpr_private_segment_size 0
		.amdhsa_uses_dynamic_stack 0
		.amdhsa_system_sgpr_private_segment_wavefront_offset 0
		.amdhsa_system_sgpr_workgroup_id_x 1
		.amdhsa_system_sgpr_workgroup_id_y 0
		.amdhsa_system_sgpr_workgroup_id_z 0
		.amdhsa_system_sgpr_workgroup_info 0
		.amdhsa_system_vgpr_workitem_id 0
		.amdhsa_next_free_vgpr 1
		.amdhsa_next_free_sgpr 0
		.amdhsa_accum_offset 4
		.amdhsa_reserve_vcc 0
		.amdhsa_reserve_flat_scratch 0
		.amdhsa_float_round_mode_32 0
		.amdhsa_float_round_mode_16_64 0
		.amdhsa_float_denorm_mode_32 3
		.amdhsa_float_denorm_mode_16_64 3
		.amdhsa_dx10_clamp 1
		.amdhsa_ieee_mode 1
		.amdhsa_fp16_overflow 0
		.amdhsa_tg_split 0
		.amdhsa_exception_fp_ieee_invalid_op 0
		.amdhsa_exception_fp_denorm_src 0
		.amdhsa_exception_fp_ieee_div_zero 0
		.amdhsa_exception_fp_ieee_overflow 0
		.amdhsa_exception_fp_ieee_underflow 0
		.amdhsa_exception_fp_ieee_inexact 0
		.amdhsa_exception_int_div_zero 0
	.end_amdhsa_kernel
	.section	.text._ZN7rocprim17ROCPRIM_400000_NS6detail17trampoline_kernelINS0_14default_configENS1_25partition_config_selectorILNS1_17partition_subalgoE1EsNS0_10empty_typeEbEEZZNS1_14partition_implILS5_1ELb0ES3_jN6thrust23THRUST_200600_302600_NS6detail15normal_iteratorINSA_10device_ptrIsEEEEPS6_NSA_18transform_iteratorI7is_evenIsESF_NSA_11use_defaultESK_EENS0_5tupleIJNSA_16discard_iteratorISK_EESF_EEENSM_IJSG_SG_EEES6_PlJS6_EEE10hipError_tPvRmT3_T4_T5_T6_T7_T9_mT8_P12ihipStream_tbDpT10_ENKUlT_T0_E_clISt17integral_constantIbLb0EES1A_IbLb1EEEEDaS16_S17_EUlS16_E_NS1_11comp_targetILNS1_3genE5ELNS1_11target_archE942ELNS1_3gpuE9ELNS1_3repE0EEENS1_30default_config_static_selectorELNS0_4arch9wavefront6targetE1EEEvT1_,"axG",@progbits,_ZN7rocprim17ROCPRIM_400000_NS6detail17trampoline_kernelINS0_14default_configENS1_25partition_config_selectorILNS1_17partition_subalgoE1EsNS0_10empty_typeEbEEZZNS1_14partition_implILS5_1ELb0ES3_jN6thrust23THRUST_200600_302600_NS6detail15normal_iteratorINSA_10device_ptrIsEEEEPS6_NSA_18transform_iteratorI7is_evenIsESF_NSA_11use_defaultESK_EENS0_5tupleIJNSA_16discard_iteratorISK_EESF_EEENSM_IJSG_SG_EEES6_PlJS6_EEE10hipError_tPvRmT3_T4_T5_T6_T7_T9_mT8_P12ihipStream_tbDpT10_ENKUlT_T0_E_clISt17integral_constantIbLb0EES1A_IbLb1EEEEDaS16_S17_EUlS16_E_NS1_11comp_targetILNS1_3genE5ELNS1_11target_archE942ELNS1_3gpuE9ELNS1_3repE0EEENS1_30default_config_static_selectorELNS0_4arch9wavefront6targetE1EEEvT1_,comdat
.Lfunc_end3444:
	.size	_ZN7rocprim17ROCPRIM_400000_NS6detail17trampoline_kernelINS0_14default_configENS1_25partition_config_selectorILNS1_17partition_subalgoE1EsNS0_10empty_typeEbEEZZNS1_14partition_implILS5_1ELb0ES3_jN6thrust23THRUST_200600_302600_NS6detail15normal_iteratorINSA_10device_ptrIsEEEEPS6_NSA_18transform_iteratorI7is_evenIsESF_NSA_11use_defaultESK_EENS0_5tupleIJNSA_16discard_iteratorISK_EESF_EEENSM_IJSG_SG_EEES6_PlJS6_EEE10hipError_tPvRmT3_T4_T5_T6_T7_T9_mT8_P12ihipStream_tbDpT10_ENKUlT_T0_E_clISt17integral_constantIbLb0EES1A_IbLb1EEEEDaS16_S17_EUlS16_E_NS1_11comp_targetILNS1_3genE5ELNS1_11target_archE942ELNS1_3gpuE9ELNS1_3repE0EEENS1_30default_config_static_selectorELNS0_4arch9wavefront6targetE1EEEvT1_, .Lfunc_end3444-_ZN7rocprim17ROCPRIM_400000_NS6detail17trampoline_kernelINS0_14default_configENS1_25partition_config_selectorILNS1_17partition_subalgoE1EsNS0_10empty_typeEbEEZZNS1_14partition_implILS5_1ELb0ES3_jN6thrust23THRUST_200600_302600_NS6detail15normal_iteratorINSA_10device_ptrIsEEEEPS6_NSA_18transform_iteratorI7is_evenIsESF_NSA_11use_defaultESK_EENS0_5tupleIJNSA_16discard_iteratorISK_EESF_EEENSM_IJSG_SG_EEES6_PlJS6_EEE10hipError_tPvRmT3_T4_T5_T6_T7_T9_mT8_P12ihipStream_tbDpT10_ENKUlT_T0_E_clISt17integral_constantIbLb0EES1A_IbLb1EEEEDaS16_S17_EUlS16_E_NS1_11comp_targetILNS1_3genE5ELNS1_11target_archE942ELNS1_3gpuE9ELNS1_3repE0EEENS1_30default_config_static_selectorELNS0_4arch9wavefront6targetE1EEEvT1_
                                        ; -- End function
	.section	.AMDGPU.csdata,"",@progbits
; Kernel info:
; codeLenInByte = 0
; NumSgprs: 4
; NumVgprs: 0
; NumAgprs: 0
; TotalNumVgprs: 0
; ScratchSize: 0
; MemoryBound: 0
; FloatMode: 240
; IeeeMode: 1
; LDSByteSize: 0 bytes/workgroup (compile time only)
; SGPRBlocks: 0
; VGPRBlocks: 0
; NumSGPRsForWavesPerEU: 4
; NumVGPRsForWavesPerEU: 1
; AccumOffset: 4
; Occupancy: 8
; WaveLimiterHint : 0
; COMPUTE_PGM_RSRC2:SCRATCH_EN: 0
; COMPUTE_PGM_RSRC2:USER_SGPR: 6
; COMPUTE_PGM_RSRC2:TRAP_HANDLER: 0
; COMPUTE_PGM_RSRC2:TGID_X_EN: 1
; COMPUTE_PGM_RSRC2:TGID_Y_EN: 0
; COMPUTE_PGM_RSRC2:TGID_Z_EN: 0
; COMPUTE_PGM_RSRC2:TIDIG_COMP_CNT: 0
; COMPUTE_PGM_RSRC3_GFX90A:ACCUM_OFFSET: 0
; COMPUTE_PGM_RSRC3_GFX90A:TG_SPLIT: 0
	.section	.text._ZN7rocprim17ROCPRIM_400000_NS6detail17trampoline_kernelINS0_14default_configENS1_25partition_config_selectorILNS1_17partition_subalgoE1EsNS0_10empty_typeEbEEZZNS1_14partition_implILS5_1ELb0ES3_jN6thrust23THRUST_200600_302600_NS6detail15normal_iteratorINSA_10device_ptrIsEEEEPS6_NSA_18transform_iteratorI7is_evenIsESF_NSA_11use_defaultESK_EENS0_5tupleIJNSA_16discard_iteratorISK_EESF_EEENSM_IJSG_SG_EEES6_PlJS6_EEE10hipError_tPvRmT3_T4_T5_T6_T7_T9_mT8_P12ihipStream_tbDpT10_ENKUlT_T0_E_clISt17integral_constantIbLb0EES1A_IbLb1EEEEDaS16_S17_EUlS16_E_NS1_11comp_targetILNS1_3genE4ELNS1_11target_archE910ELNS1_3gpuE8ELNS1_3repE0EEENS1_30default_config_static_selectorELNS0_4arch9wavefront6targetE1EEEvT1_,"axG",@progbits,_ZN7rocprim17ROCPRIM_400000_NS6detail17trampoline_kernelINS0_14default_configENS1_25partition_config_selectorILNS1_17partition_subalgoE1EsNS0_10empty_typeEbEEZZNS1_14partition_implILS5_1ELb0ES3_jN6thrust23THRUST_200600_302600_NS6detail15normal_iteratorINSA_10device_ptrIsEEEEPS6_NSA_18transform_iteratorI7is_evenIsESF_NSA_11use_defaultESK_EENS0_5tupleIJNSA_16discard_iteratorISK_EESF_EEENSM_IJSG_SG_EEES6_PlJS6_EEE10hipError_tPvRmT3_T4_T5_T6_T7_T9_mT8_P12ihipStream_tbDpT10_ENKUlT_T0_E_clISt17integral_constantIbLb0EES1A_IbLb1EEEEDaS16_S17_EUlS16_E_NS1_11comp_targetILNS1_3genE4ELNS1_11target_archE910ELNS1_3gpuE8ELNS1_3repE0EEENS1_30default_config_static_selectorELNS0_4arch9wavefront6targetE1EEEvT1_,comdat
	.protected	_ZN7rocprim17ROCPRIM_400000_NS6detail17trampoline_kernelINS0_14default_configENS1_25partition_config_selectorILNS1_17partition_subalgoE1EsNS0_10empty_typeEbEEZZNS1_14partition_implILS5_1ELb0ES3_jN6thrust23THRUST_200600_302600_NS6detail15normal_iteratorINSA_10device_ptrIsEEEEPS6_NSA_18transform_iteratorI7is_evenIsESF_NSA_11use_defaultESK_EENS0_5tupleIJNSA_16discard_iteratorISK_EESF_EEENSM_IJSG_SG_EEES6_PlJS6_EEE10hipError_tPvRmT3_T4_T5_T6_T7_T9_mT8_P12ihipStream_tbDpT10_ENKUlT_T0_E_clISt17integral_constantIbLb0EES1A_IbLb1EEEEDaS16_S17_EUlS16_E_NS1_11comp_targetILNS1_3genE4ELNS1_11target_archE910ELNS1_3gpuE8ELNS1_3repE0EEENS1_30default_config_static_selectorELNS0_4arch9wavefront6targetE1EEEvT1_ ; -- Begin function _ZN7rocprim17ROCPRIM_400000_NS6detail17trampoline_kernelINS0_14default_configENS1_25partition_config_selectorILNS1_17partition_subalgoE1EsNS0_10empty_typeEbEEZZNS1_14partition_implILS5_1ELb0ES3_jN6thrust23THRUST_200600_302600_NS6detail15normal_iteratorINSA_10device_ptrIsEEEEPS6_NSA_18transform_iteratorI7is_evenIsESF_NSA_11use_defaultESK_EENS0_5tupleIJNSA_16discard_iteratorISK_EESF_EEENSM_IJSG_SG_EEES6_PlJS6_EEE10hipError_tPvRmT3_T4_T5_T6_T7_T9_mT8_P12ihipStream_tbDpT10_ENKUlT_T0_E_clISt17integral_constantIbLb0EES1A_IbLb1EEEEDaS16_S17_EUlS16_E_NS1_11comp_targetILNS1_3genE4ELNS1_11target_archE910ELNS1_3gpuE8ELNS1_3repE0EEENS1_30default_config_static_selectorELNS0_4arch9wavefront6targetE1EEEvT1_
	.globl	_ZN7rocprim17ROCPRIM_400000_NS6detail17trampoline_kernelINS0_14default_configENS1_25partition_config_selectorILNS1_17partition_subalgoE1EsNS0_10empty_typeEbEEZZNS1_14partition_implILS5_1ELb0ES3_jN6thrust23THRUST_200600_302600_NS6detail15normal_iteratorINSA_10device_ptrIsEEEEPS6_NSA_18transform_iteratorI7is_evenIsESF_NSA_11use_defaultESK_EENS0_5tupleIJNSA_16discard_iteratorISK_EESF_EEENSM_IJSG_SG_EEES6_PlJS6_EEE10hipError_tPvRmT3_T4_T5_T6_T7_T9_mT8_P12ihipStream_tbDpT10_ENKUlT_T0_E_clISt17integral_constantIbLb0EES1A_IbLb1EEEEDaS16_S17_EUlS16_E_NS1_11comp_targetILNS1_3genE4ELNS1_11target_archE910ELNS1_3gpuE8ELNS1_3repE0EEENS1_30default_config_static_selectorELNS0_4arch9wavefront6targetE1EEEvT1_
	.p2align	8
	.type	_ZN7rocprim17ROCPRIM_400000_NS6detail17trampoline_kernelINS0_14default_configENS1_25partition_config_selectorILNS1_17partition_subalgoE1EsNS0_10empty_typeEbEEZZNS1_14partition_implILS5_1ELb0ES3_jN6thrust23THRUST_200600_302600_NS6detail15normal_iteratorINSA_10device_ptrIsEEEEPS6_NSA_18transform_iteratorI7is_evenIsESF_NSA_11use_defaultESK_EENS0_5tupleIJNSA_16discard_iteratorISK_EESF_EEENSM_IJSG_SG_EEES6_PlJS6_EEE10hipError_tPvRmT3_T4_T5_T6_T7_T9_mT8_P12ihipStream_tbDpT10_ENKUlT_T0_E_clISt17integral_constantIbLb0EES1A_IbLb1EEEEDaS16_S17_EUlS16_E_NS1_11comp_targetILNS1_3genE4ELNS1_11target_archE910ELNS1_3gpuE8ELNS1_3repE0EEENS1_30default_config_static_selectorELNS0_4arch9wavefront6targetE1EEEvT1_,@function
_ZN7rocprim17ROCPRIM_400000_NS6detail17trampoline_kernelINS0_14default_configENS1_25partition_config_selectorILNS1_17partition_subalgoE1EsNS0_10empty_typeEbEEZZNS1_14partition_implILS5_1ELb0ES3_jN6thrust23THRUST_200600_302600_NS6detail15normal_iteratorINSA_10device_ptrIsEEEEPS6_NSA_18transform_iteratorI7is_evenIsESF_NSA_11use_defaultESK_EENS0_5tupleIJNSA_16discard_iteratorISK_EESF_EEENSM_IJSG_SG_EEES6_PlJS6_EEE10hipError_tPvRmT3_T4_T5_T6_T7_T9_mT8_P12ihipStream_tbDpT10_ENKUlT_T0_E_clISt17integral_constantIbLb0EES1A_IbLb1EEEEDaS16_S17_EUlS16_E_NS1_11comp_targetILNS1_3genE4ELNS1_11target_archE910ELNS1_3gpuE8ELNS1_3repE0EEENS1_30default_config_static_selectorELNS0_4arch9wavefront6targetE1EEEvT1_: ; @_ZN7rocprim17ROCPRIM_400000_NS6detail17trampoline_kernelINS0_14default_configENS1_25partition_config_selectorILNS1_17partition_subalgoE1EsNS0_10empty_typeEbEEZZNS1_14partition_implILS5_1ELb0ES3_jN6thrust23THRUST_200600_302600_NS6detail15normal_iteratorINSA_10device_ptrIsEEEEPS6_NSA_18transform_iteratorI7is_evenIsESF_NSA_11use_defaultESK_EENS0_5tupleIJNSA_16discard_iteratorISK_EESF_EEENSM_IJSG_SG_EEES6_PlJS6_EEE10hipError_tPvRmT3_T4_T5_T6_T7_T9_mT8_P12ihipStream_tbDpT10_ENKUlT_T0_E_clISt17integral_constantIbLb0EES1A_IbLb1EEEEDaS16_S17_EUlS16_E_NS1_11comp_targetILNS1_3genE4ELNS1_11target_archE910ELNS1_3gpuE8ELNS1_3repE0EEENS1_30default_config_static_selectorELNS0_4arch9wavefront6targetE1EEEvT1_
; %bb.0:
	s_load_dwordx2 s[6:7], s[4:5], 0x20
	s_load_dwordx2 s[24:25], s[4:5], 0x40
	;; [unrolled: 1-line block ×3, first 2 shown]
	s_load_dwordx4 s[20:23], s[4:5], 0x58
	s_load_dwordx2 s[28:29], s[4:5], 0x78
	v_cmp_eq_u32_e64 s[0:1], 0, v0
	s_and_saveexec_b64 s[8:9], s[0:1]
	s_cbranch_execz .LBB3445_4
; %bb.1:
	s_mov_b64 s[12:13], exec
	v_mbcnt_lo_u32_b32 v1, s12, 0
	v_mbcnt_hi_u32_b32 v1, s13, v1
	v_cmp_eq_u32_e32 vcc, 0, v1
                                        ; implicit-def: $vgpr2
	s_and_saveexec_b64 s[10:11], vcc
	s_cbranch_execz .LBB3445_3
; %bb.2:
	s_load_dwordx2 s[14:15], s[4:5], 0x88
	s_bcnt1_i32_b64 s12, s[12:13]
	v_mov_b32_e32 v2, 0
	v_mov_b32_e32 v3, s12
	s_waitcnt lgkmcnt(0)
	global_atomic_add v2, v2, v3, s[14:15] glc
.LBB3445_3:
	s_or_b64 exec, exec, s[10:11]
	s_waitcnt vmcnt(0)
	v_readfirstlane_b32 s10, v2
	v_add_u32_e32 v1, s10, v1
	v_mov_b32_e32 v2, 0
	ds_write_b32 v2, v1
.LBB3445_4:
	s_or_b64 exec, exec, s[8:9]
	v_mov_b32_e32 v3, 0
	s_load_dwordx4 s[16:19], s[4:5], 0x8
	s_load_dword s8, s[4:5], 0x80
	s_waitcnt lgkmcnt(0)
	s_barrier
	ds_read_b32 v1, v3
	s_waitcnt lgkmcnt(0)
	s_barrier
	global_load_dwordx2 v[10:11], v3, s[22:23]
	v_mov_b32_e32 v5, s3
	s_lshl_b64 s[4:5], s[18:19], 1
	s_movk_i32 s3, 0x1400
	s_add_u32 s9, s16, s4
	v_mul_lo_u32 v2, v1, s3
	s_mul_i32 s3, s8, 0x1400
	s_addc_u32 s10, s17, s5
	s_add_i32 s11, s8, -1
	s_add_i32 s8, s3, s18
	s_sub_i32 s33, s2, s8
	s_addk_i32 s33, 0x1400
	v_mov_b32_e32 v4, s2
	s_add_u32 s2, s18, s3
	v_readfirstlane_b32 s38, v1
	s_addc_u32 s3, s19, 0
	s_cmp_eq_u32 s38, s11
	s_cselect_b64 s[22:23], -1, 0
	s_cmp_lg_u32 s38, s11
	v_cmp_lt_u64_e32 vcc, s[2:3], v[4:5]
	s_cselect_b64 s[2:3], -1, 0
	v_lshlrev_b64 v[12:13], 1, v[2:3]
	s_or_b64 s[26:27], vcc, s[2:3]
	v_mov_b32_e32 v2, s10
	v_add_co_u32_e32 v1, vcc, s9, v12
	v_addc_co_u32_e32 v2, vcc, v2, v13, vcc
	s_mov_b64 s[2:3], -1
	s_and_b64 vcc, exec, s[26:27]
	v_lshlrev_b32_e32 v30, 1, v0
	s_cbranch_vccz .LBB3445_6
; %bb.5:
	v_add_co_u32_e32 v4, vcc, v1, v30
	v_addc_co_u32_e32 v5, vcc, 0, v2, vcc
	v_add_co_u32_e32 v6, vcc, 0x1000, v4
	v_addc_co_u32_e32 v7, vcc, 0, v5, vcc
	flat_load_ushort v3, v[4:5]
	flat_load_ushort v8, v[4:5] offset:512
	flat_load_ushort v9, v[4:5] offset:1024
	;; [unrolled: 1-line block ×7, first 2 shown]
	v_add_co_u32_e32 v4, vcc, 0x2000, v4
	v_addc_co_u32_e32 v5, vcc, 0, v5, vcc
	flat_load_ushort v19, v[6:7]
	flat_load_ushort v20, v[6:7] offset:512
	flat_load_ushort v21, v[6:7] offset:1024
	;; [unrolled: 1-line block ×7, first 2 shown]
	s_nop 0
	flat_load_ushort v6, v[4:5]
	flat_load_ushort v7, v[4:5] offset:512
	flat_load_ushort v27, v[4:5] offset:1024
	;; [unrolled: 1-line block ×3, first 2 shown]
	s_mov_b64 s[2:3], 0
	s_waitcnt vmcnt(0) lgkmcnt(0)
	ds_write_b16 v30, v3
	ds_write_b16 v30, v8 offset:512
	ds_write_b16 v30, v9 offset:1024
	ds_write_b16 v30, v14 offset:1536
	ds_write_b16 v30, v15 offset:2048
	ds_write_b16 v30, v16 offset:2560
	ds_write_b16 v30, v17 offset:3072
	ds_write_b16 v30, v18 offset:3584
	ds_write_b16 v30, v19 offset:4096
	ds_write_b16 v30, v20 offset:4608
	ds_write_b16 v30, v21 offset:5120
	ds_write_b16 v30, v22 offset:5632
	ds_write_b16 v30, v23 offset:6144
	ds_write_b16 v30, v24 offset:6656
	ds_write_b16 v30, v25 offset:7168
	ds_write_b16 v30, v26 offset:7680
	ds_write_b16 v30, v6 offset:8192
	ds_write_b16 v30, v7 offset:8704
	ds_write_b16 v30, v27 offset:9216
	ds_write_b16 v30, v28 offset:9728
	s_waitcnt lgkmcnt(0)
	s_barrier
.LBB3445_6:
	s_andn2_b64 vcc, exec, s[2:3]
	v_cmp_gt_u32_e64 s[2:3], s33, v0
	s_cbranch_vccnz .LBB3445_48
; %bb.7:
                                        ; implicit-def: $vgpr3
	s_and_saveexec_b64 s[8:9], s[2:3]
	s_cbranch_execz .LBB3445_9
; %bb.8:
	v_add_co_u32_e32 v4, vcc, v1, v30
	v_addc_co_u32_e32 v5, vcc, 0, v2, vcc
	flat_load_ushort v3, v[4:5]
.LBB3445_9:
	s_or_b64 exec, exec, s[8:9]
	v_or_b32_e32 v4, 0x100, v0
	v_cmp_gt_u32_e32 vcc, s33, v4
                                        ; implicit-def: $vgpr4
	s_and_saveexec_b64 s[2:3], vcc
	s_cbranch_execz .LBB3445_11
; %bb.10:
	v_add_co_u32_e32 v4, vcc, v1, v30
	v_addc_co_u32_e32 v5, vcc, 0, v2, vcc
	flat_load_ushort v4, v[4:5] offset:512
.LBB3445_11:
	s_or_b64 exec, exec, s[2:3]
	v_or_b32_e32 v5, 0x200, v0
	v_cmp_gt_u32_e32 vcc, s33, v5
                                        ; implicit-def: $vgpr5
	s_and_saveexec_b64 s[2:3], vcc
	s_cbranch_execz .LBB3445_13
; %bb.12:
	v_add_co_u32_e32 v6, vcc, v1, v30
	v_addc_co_u32_e32 v7, vcc, 0, v2, vcc
	flat_load_ushort v5, v[6:7] offset:1024
.LBB3445_13:
	s_or_b64 exec, exec, s[2:3]
	v_or_b32_e32 v6, 0x300, v0
	v_cmp_gt_u32_e32 vcc, s33, v6
                                        ; implicit-def: $vgpr6
	s_and_saveexec_b64 s[2:3], vcc
	s_cbranch_execz .LBB3445_15
; %bb.14:
	v_add_co_u32_e32 v6, vcc, v1, v30
	v_addc_co_u32_e32 v7, vcc, 0, v2, vcc
	flat_load_ushort v6, v[6:7] offset:1536
.LBB3445_15:
	s_or_b64 exec, exec, s[2:3]
	v_or_b32_e32 v7, 0x400, v0
	v_cmp_gt_u32_e32 vcc, s33, v7
                                        ; implicit-def: $vgpr7
	s_and_saveexec_b64 s[2:3], vcc
	s_cbranch_execz .LBB3445_17
; %bb.16:
	v_add_co_u32_e32 v8, vcc, v1, v30
	v_addc_co_u32_e32 v9, vcc, 0, v2, vcc
	flat_load_ushort v7, v[8:9] offset:2048
.LBB3445_17:
	s_or_b64 exec, exec, s[2:3]
	v_or_b32_e32 v8, 0x500, v0
	v_cmp_gt_u32_e32 vcc, s33, v8
                                        ; implicit-def: $vgpr8
	s_and_saveexec_b64 s[2:3], vcc
	s_cbranch_execz .LBB3445_19
; %bb.18:
	v_add_co_u32_e32 v8, vcc, v1, v30
	v_addc_co_u32_e32 v9, vcc, 0, v2, vcc
	flat_load_ushort v8, v[8:9] offset:2560
.LBB3445_19:
	s_or_b64 exec, exec, s[2:3]
	v_or_b32_e32 v9, 0x600, v0
	v_cmp_gt_u32_e32 vcc, s33, v9
                                        ; implicit-def: $vgpr9
	s_and_saveexec_b64 s[2:3], vcc
	s_cbranch_execz .LBB3445_21
; %bb.20:
	v_add_co_u32_e32 v14, vcc, v1, v30
	v_addc_co_u32_e32 v15, vcc, 0, v2, vcc
	flat_load_ushort v9, v[14:15] offset:3072
.LBB3445_21:
	s_or_b64 exec, exec, s[2:3]
	v_or_b32_e32 v14, 0x700, v0
	v_cmp_gt_u32_e32 vcc, s33, v14
                                        ; implicit-def: $vgpr14
	s_and_saveexec_b64 s[2:3], vcc
	s_cbranch_execz .LBB3445_23
; %bb.22:
	v_add_co_u32_e32 v14, vcc, v1, v30
	v_addc_co_u32_e32 v15, vcc, 0, v2, vcc
	flat_load_ushort v14, v[14:15] offset:3584
.LBB3445_23:
	s_or_b64 exec, exec, s[2:3]
	v_or_b32_e32 v16, 0x800, v0
	v_cmp_gt_u32_e32 vcc, s33, v16
                                        ; implicit-def: $vgpr15
	s_and_saveexec_b64 s[2:3], vcc
	s_cbranch_execz .LBB3445_25
; %bb.24:
	v_lshlrev_b32_e32 v15, 1, v16
	v_add_co_u32_e32 v16, vcc, v1, v15
	v_addc_co_u32_e32 v17, vcc, 0, v2, vcc
	flat_load_ushort v15, v[16:17]
.LBB3445_25:
	s_or_b64 exec, exec, s[2:3]
	v_or_b32_e32 v17, 0x900, v0
	v_cmp_gt_u32_e32 vcc, s33, v17
                                        ; implicit-def: $vgpr16
	s_and_saveexec_b64 s[2:3], vcc
	s_cbranch_execz .LBB3445_27
; %bb.26:
	v_lshlrev_b32_e32 v16, 1, v17
	v_add_co_u32_e32 v16, vcc, v1, v16
	v_addc_co_u32_e32 v17, vcc, 0, v2, vcc
	flat_load_ushort v16, v[16:17]
.LBB3445_27:
	s_or_b64 exec, exec, s[2:3]
	v_or_b32_e32 v18, 0xa00, v0
	v_cmp_gt_u32_e32 vcc, s33, v18
                                        ; implicit-def: $vgpr17
	s_and_saveexec_b64 s[2:3], vcc
	s_cbranch_execz .LBB3445_29
; %bb.28:
	v_lshlrev_b32_e32 v17, 1, v18
	v_add_co_u32_e32 v18, vcc, v1, v17
	v_addc_co_u32_e32 v19, vcc, 0, v2, vcc
	flat_load_ushort v17, v[18:19]
.LBB3445_29:
	s_or_b64 exec, exec, s[2:3]
	v_or_b32_e32 v19, 0xb00, v0
	v_cmp_gt_u32_e32 vcc, s33, v19
                                        ; implicit-def: $vgpr18
	s_and_saveexec_b64 s[2:3], vcc
	s_cbranch_execz .LBB3445_31
; %bb.30:
	v_lshlrev_b32_e32 v18, 1, v19
	v_add_co_u32_e32 v18, vcc, v1, v18
	v_addc_co_u32_e32 v19, vcc, 0, v2, vcc
	flat_load_ushort v18, v[18:19]
.LBB3445_31:
	s_or_b64 exec, exec, s[2:3]
	v_or_b32_e32 v20, 0xc00, v0
	v_cmp_gt_u32_e32 vcc, s33, v20
                                        ; implicit-def: $vgpr19
	s_and_saveexec_b64 s[2:3], vcc
	s_cbranch_execz .LBB3445_33
; %bb.32:
	v_lshlrev_b32_e32 v19, 1, v20
	v_add_co_u32_e32 v20, vcc, v1, v19
	v_addc_co_u32_e32 v21, vcc, 0, v2, vcc
	flat_load_ushort v19, v[20:21]
.LBB3445_33:
	s_or_b64 exec, exec, s[2:3]
	v_or_b32_e32 v21, 0xd00, v0
	v_cmp_gt_u32_e32 vcc, s33, v21
                                        ; implicit-def: $vgpr20
	s_and_saveexec_b64 s[2:3], vcc
	s_cbranch_execz .LBB3445_35
; %bb.34:
	v_lshlrev_b32_e32 v20, 1, v21
	v_add_co_u32_e32 v20, vcc, v1, v20
	v_addc_co_u32_e32 v21, vcc, 0, v2, vcc
	flat_load_ushort v20, v[20:21]
.LBB3445_35:
	s_or_b64 exec, exec, s[2:3]
	v_or_b32_e32 v22, 0xe00, v0
	v_cmp_gt_u32_e32 vcc, s33, v22
                                        ; implicit-def: $vgpr21
	s_and_saveexec_b64 s[2:3], vcc
	s_cbranch_execz .LBB3445_37
; %bb.36:
	v_lshlrev_b32_e32 v21, 1, v22
	v_add_co_u32_e32 v22, vcc, v1, v21
	v_addc_co_u32_e32 v23, vcc, 0, v2, vcc
	flat_load_ushort v21, v[22:23]
.LBB3445_37:
	s_or_b64 exec, exec, s[2:3]
	v_or_b32_e32 v23, 0xf00, v0
	v_cmp_gt_u32_e32 vcc, s33, v23
                                        ; implicit-def: $vgpr22
	s_and_saveexec_b64 s[2:3], vcc
	s_cbranch_execz .LBB3445_39
; %bb.38:
	v_lshlrev_b32_e32 v22, 1, v23
	v_add_co_u32_e32 v22, vcc, v1, v22
	v_addc_co_u32_e32 v23, vcc, 0, v2, vcc
	flat_load_ushort v22, v[22:23]
.LBB3445_39:
	s_or_b64 exec, exec, s[2:3]
	v_or_b32_e32 v24, 0x1000, v0
	v_cmp_gt_u32_e32 vcc, s33, v24
                                        ; implicit-def: $vgpr23
	s_and_saveexec_b64 s[2:3], vcc
	s_cbranch_execz .LBB3445_41
; %bb.40:
	v_lshlrev_b32_e32 v23, 1, v24
	v_add_co_u32_e32 v24, vcc, v1, v23
	v_addc_co_u32_e32 v25, vcc, 0, v2, vcc
	flat_load_ushort v23, v[24:25]
.LBB3445_41:
	s_or_b64 exec, exec, s[2:3]
	v_or_b32_e32 v25, 0x1100, v0
	v_cmp_gt_u32_e32 vcc, s33, v25
                                        ; implicit-def: $vgpr24
	s_and_saveexec_b64 s[2:3], vcc
	s_cbranch_execz .LBB3445_43
; %bb.42:
	v_lshlrev_b32_e32 v24, 1, v25
	v_add_co_u32_e32 v24, vcc, v1, v24
	v_addc_co_u32_e32 v25, vcc, 0, v2, vcc
	flat_load_ushort v24, v[24:25]
.LBB3445_43:
	s_or_b64 exec, exec, s[2:3]
	v_or_b32_e32 v26, 0x1200, v0
	v_cmp_gt_u32_e32 vcc, s33, v26
                                        ; implicit-def: $vgpr25
	s_and_saveexec_b64 s[2:3], vcc
	s_cbranch_execz .LBB3445_45
; %bb.44:
	v_lshlrev_b32_e32 v25, 1, v26
	v_add_co_u32_e32 v26, vcc, v1, v25
	v_addc_co_u32_e32 v27, vcc, 0, v2, vcc
	flat_load_ushort v25, v[26:27]
.LBB3445_45:
	s_or_b64 exec, exec, s[2:3]
	v_or_b32_e32 v27, 0x1300, v0
	v_cmp_gt_u32_e32 vcc, s33, v27
                                        ; implicit-def: $vgpr26
	s_and_saveexec_b64 s[2:3], vcc
	s_cbranch_execz .LBB3445_47
; %bb.46:
	v_lshlrev_b32_e32 v26, 1, v27
	v_add_co_u32_e32 v26, vcc, v1, v26
	v_addc_co_u32_e32 v27, vcc, 0, v2, vcc
	flat_load_ushort v26, v[26:27]
.LBB3445_47:
	s_or_b64 exec, exec, s[2:3]
	s_waitcnt vmcnt(0) lgkmcnt(0)
	ds_write_b16 v30, v3
	ds_write_b16 v30, v4 offset:512
	ds_write_b16 v30, v5 offset:1024
	;; [unrolled: 1-line block ×19, first 2 shown]
	s_waitcnt lgkmcnt(0)
	s_barrier
.LBB3445_48:
	v_mul_u32_u24_e32 v31, 20, v0
	v_lshlrev_b32_e32 v1, 1, v31
	ds_read_b64 v[14:15], v1 offset:32
	ds_read2_b64 v[2:5], v1 offset0:2 offset1:3
	ds_read2_b64 v[6:9], v1 offset1:1
	s_add_u32 s2, s6, s4
	s_addc_u32 s3, s7, s5
	v_mov_b32_e32 v1, s3
	v_add_co_u32_e32 v16, vcc, s2, v12
	v_addc_co_u32_e32 v1, vcc, v1, v13, vcc
	s_mov_b64 s[2:3], -1
	s_and_b64 vcc, exec, s[26:27]
	s_waitcnt lgkmcnt(0)
	s_barrier
	s_cbranch_vccz .LBB3445_50
; %bb.49:
	v_add_co_u32_e32 v17, vcc, v16, v30
	v_readfirstlane_b32 s2, v16
	v_readfirstlane_b32 s3, v1
	v_addc_co_u32_e32 v21, vcc, 0, v1, vcc
	s_nop 3
	global_load_ubyte v22, v30, s[2:3]
	global_load_ubyte v23, v30, s[2:3] offset:512
	global_load_ubyte v24, v30, s[2:3] offset:1024
	;; [unrolled: 1-line block ×7, first 2 shown]
	s_movk_i32 s2, 0x1000
	v_add_co_u32_e32 v18, vcc, s2, v17
	v_addc_co_u32_e32 v19, vcc, 0, v21, vcc
	s_movk_i32 s2, 0x2000
	v_add_co_u32_e32 v20, vcc, s2, v17
	v_addc_co_u32_e32 v21, vcc, 0, v21, vcc
	global_load_ubyte v17, v[20:21], off offset:-4096
	global_load_ubyte v32, v[18:19], off offset:512
	global_load_ubyte v33, v[18:19], off offset:1024
	;; [unrolled: 1-line block ×7, first 2 shown]
	global_load_ubyte v39, v[20:21], off
	global_load_ubyte v40, v[20:21], off offset:512
	global_load_ubyte v41, v[20:21], off offset:1024
	;; [unrolled: 1-line block ×3, first 2 shown]
	s_mov_b64 s[2:3], 0
	s_waitcnt vmcnt(19)
	v_xor_b32_e32 v18, -1, v22
	s_waitcnt vmcnt(18)
	v_xor_b32_e32 v19, -1, v23
	;; [unrolled: 2-line block ×8, first 2 shown]
	v_and_b32_e32 v18, 1, v18
	s_waitcnt vmcnt(11)
	v_xor_b32_e32 v17, -1, v17
	s_waitcnt vmcnt(10)
	v_xor_b32_e32 v26, -1, v32
	;; [unrolled: 2-line block ×12, first 2 shown]
	v_and_b32_e32 v19, 1, v19
	v_and_b32_e32 v20, 1, v20
	;; [unrolled: 1-line block ×19, first 2 shown]
	ds_write_b8 v0, v18
	ds_write_b8 v0, v19 offset:256
	ds_write_b8 v0, v20 offset:512
	;; [unrolled: 1-line block ×19, first 2 shown]
	s_waitcnt lgkmcnt(0)
	s_barrier
.LBB3445_50:
	s_andn2_b64 vcc, exec, s[2:3]
	s_cbranch_vccnz .LBB3445_92
; %bb.51:
	v_cmp_gt_u32_e32 vcc, s33, v0
	v_mov_b32_e32 v17, 0
	v_mov_b32_e32 v18, 0
	s_and_saveexec_b64 s[2:3], vcc
	s_cbranch_execz .LBB3445_53
; %bb.52:
	v_readfirstlane_b32 s4, v16
	v_readfirstlane_b32 s5, v1
	s_nop 4
	global_load_ubyte v18, v30, s[4:5]
	s_waitcnt vmcnt(0)
	v_xor_b32_e32 v18, -1, v18
	v_and_b32_e32 v18, 1, v18
.LBB3445_53:
	s_or_b64 exec, exec, s[2:3]
	v_or_b32_e32 v19, 0x100, v0
	v_cmp_gt_u32_e32 vcc, s33, v19
	s_and_saveexec_b64 s[2:3], vcc
	s_cbranch_execz .LBB3445_55
; %bb.54:
	v_readfirstlane_b32 s4, v16
	v_readfirstlane_b32 s5, v1
	s_nop 4
	global_load_ubyte v17, v30, s[4:5] offset:512
	s_waitcnt vmcnt(0)
	v_xor_b32_e32 v17, -1, v17
	v_and_b32_e32 v17, 1, v17
.LBB3445_55:
	s_or_b64 exec, exec, s[2:3]
	v_or_b32_e32 v19, 0x200, v0
	v_cmp_gt_u32_e32 vcc, s33, v19
	v_mov_b32_e32 v19, 0
	v_mov_b32_e32 v20, 0
	s_and_saveexec_b64 s[2:3], vcc
	s_cbranch_execz .LBB3445_57
; %bb.56:
	v_readfirstlane_b32 s4, v16
	v_readfirstlane_b32 s5, v1
	s_nop 4
	global_load_ubyte v20, v30, s[4:5] offset:1024
	s_waitcnt vmcnt(0)
	v_xor_b32_e32 v20, -1, v20
	v_and_b32_e32 v20, 1, v20
.LBB3445_57:
	s_or_b64 exec, exec, s[2:3]
	v_or_b32_e32 v21, 0x300, v0
	v_cmp_gt_u32_e32 vcc, s33, v21
	s_and_saveexec_b64 s[2:3], vcc
	s_cbranch_execz .LBB3445_59
; %bb.58:
	v_readfirstlane_b32 s4, v16
	v_readfirstlane_b32 s5, v1
	s_nop 4
	global_load_ubyte v19, v30, s[4:5] offset:1536
	s_waitcnt vmcnt(0)
	v_xor_b32_e32 v19, -1, v19
	v_and_b32_e32 v19, 1, v19
.LBB3445_59:
	s_or_b64 exec, exec, s[2:3]
	v_or_b32_e32 v21, 0x400, v0
	v_cmp_gt_u32_e32 vcc, s33, v21
	v_mov_b32_e32 v21, 0
	v_mov_b32_e32 v22, 0
	s_and_saveexec_b64 s[2:3], vcc
	s_cbranch_execz .LBB3445_61
; %bb.60:
	v_readfirstlane_b32 s4, v16
	v_readfirstlane_b32 s5, v1
	s_nop 4
	global_load_ubyte v22, v30, s[4:5] offset:2048
	s_waitcnt vmcnt(0)
	v_xor_b32_e32 v22, -1, v22
	v_and_b32_e32 v22, 1, v22
.LBB3445_61:
	;; [unrolled: 30-line block ×3, first 2 shown]
	s_or_b64 exec, exec, s[2:3]
	v_or_b32_e32 v25, 0x700, v0
	v_cmp_gt_u32_e32 vcc, s33, v25
	s_and_saveexec_b64 s[2:3], vcc
	s_cbranch_execz .LBB3445_67
; %bb.66:
	v_readfirstlane_b32 s4, v16
	v_readfirstlane_b32 s5, v1
	s_nop 4
	global_load_ubyte v23, v30, s[4:5] offset:3584
	s_waitcnt vmcnt(0)
	v_xor_b32_e32 v23, -1, v23
	v_and_b32_e32 v23, 1, v23
.LBB3445_67:
	s_or_b64 exec, exec, s[2:3]
	v_or_b32_e32 v27, 0x800, v0
	v_cmp_gt_u32_e32 vcc, s33, v27
	v_mov_b32_e32 v25, 0
	v_mov_b32_e32 v26, 0
	s_and_saveexec_b64 s[2:3], vcc
	s_cbranch_execz .LBB3445_69
; %bb.68:
	v_lshlrev_b32_e32 v26, 1, v27
	v_readfirstlane_b32 s4, v16
	v_readfirstlane_b32 s5, v1
	s_nop 4
	global_load_ubyte v26, v26, s[4:5]
	s_waitcnt vmcnt(0)
	v_xor_b32_e32 v26, -1, v26
	v_and_b32_e32 v26, 1, v26
.LBB3445_69:
	s_or_b64 exec, exec, s[2:3]
	v_or_b32_e32 v27, 0x900, v0
	v_cmp_gt_u32_e32 vcc, s33, v27
	s_and_saveexec_b64 s[2:3], vcc
	s_cbranch_execz .LBB3445_71
; %bb.70:
	v_lshlrev_b32_e32 v25, 1, v27
	v_readfirstlane_b32 s4, v16
	v_readfirstlane_b32 s5, v1
	s_nop 4
	global_load_ubyte v25, v25, s[4:5]
	s_waitcnt vmcnt(0)
	v_xor_b32_e32 v25, -1, v25
	v_and_b32_e32 v25, 1, v25
.LBB3445_71:
	s_or_b64 exec, exec, s[2:3]
	v_or_b32_e32 v29, 0xa00, v0
	v_cmp_gt_u32_e32 vcc, s33, v29
	v_mov_b32_e32 v27, 0
	v_mov_b32_e32 v28, 0
	s_and_saveexec_b64 s[2:3], vcc
	s_cbranch_execz .LBB3445_73
; %bb.72:
	v_lshlrev_b32_e32 v28, 1, v29
	v_readfirstlane_b32 s4, v16
	v_readfirstlane_b32 s5, v1
	s_nop 4
	global_load_ubyte v28, v28, s[4:5]
	s_waitcnt vmcnt(0)
	v_xor_b32_e32 v28, -1, v28
	v_and_b32_e32 v28, 1, v28
.LBB3445_73:
	s_or_b64 exec, exec, s[2:3]
	v_or_b32_e32 v29, 0xb00, v0
	v_cmp_gt_u32_e32 vcc, s33, v29
	s_and_saveexec_b64 s[2:3], vcc
	s_cbranch_execz .LBB3445_75
; %bb.74:
	v_lshlrev_b32_e32 v27, 1, v29
	v_readfirstlane_b32 s4, v16
	v_readfirstlane_b32 s5, v1
	s_nop 4
	global_load_ubyte v27, v27, s[4:5]
	s_waitcnt vmcnt(0)
	v_xor_b32_e32 v27, -1, v27
	v_and_b32_e32 v27, 1, v27
.LBB3445_75:
	;; [unrolled: 32-line block ×6, first 2 shown]
	s_or_b64 exec, exec, s[2:3]
	ds_write_b8 v0, v18
	ds_write_b8 v0, v17 offset:256
	ds_write_b8 v0, v20 offset:512
	;; [unrolled: 1-line block ×19, first 2 shown]
	s_waitcnt lgkmcnt(0)
	s_barrier
.LBB3445_92:
	ds_read2_b32 v[20:21], v31 offset1:1
	ds_read2_b32 v[18:19], v31 offset0:2 offset1:3
	ds_read_b32 v32, v31 offset:16
	s_cmp_lg_u32 s38, 0
	v_lshrrev_b32_e32 v51, 6, v0
	s_waitcnt lgkmcnt(2)
	v_lshrrev_b32_e32 v37, 24, v20
	v_bfe_u32 v49, v20, 16, 8
	v_add_u32_sdwa v16, v20, v20 dst_sel:DWORD dst_unused:UNUSED_PAD src0_sel:BYTE_1 src1_sel:BYTE_0
	v_and_b32_e32 v46, 0xff, v21
	v_bfe_u32 v47, v21, 8, 8
	v_add3_u32 v16, v16, v49, v37
	v_lshrrev_b32_e32 v36, 24, v21
	v_bfe_u32 v48, v21, 16, 8
	v_add3_u32 v16, v16, v46, v47
	s_waitcnt lgkmcnt(1)
	v_and_b32_e32 v43, 0xff, v18
	v_bfe_u32 v44, v18, 8, 8
	v_add3_u32 v16, v16, v48, v36
	v_lshrrev_b32_e32 v35, 24, v18
	v_bfe_u32 v45, v18, 16, 8
	v_add3_u32 v16, v16, v43, v44
	v_and_b32_e32 v40, 0xff, v19
	v_bfe_u32 v41, v19, 8, 8
	v_add3_u32 v16, v16, v45, v35
	v_lshrrev_b32_e32 v34, 24, v19
	v_bfe_u32 v42, v19, 16, 8
	v_add3_u32 v16, v16, v40, v41
	s_waitcnt lgkmcnt(0)
	v_and_b32_e32 v38, 0xff, v32
	v_bfe_u32 v39, v32, 8, 8
	v_add3_u32 v16, v16, v42, v34
	v_lshrrev_b32_e32 v1, 24, v32
	v_bfe_u32 v33, v32, 16, 8
	v_add3_u32 v16, v16, v38, v39
	v_add3_u32 v52, v16, v33, v1
	v_mbcnt_lo_u32_b32 v16, -1, 0
	v_mbcnt_hi_u32_b32 v50, -1, v16
	v_and_b32_e32 v16, 15, v50
	v_cmp_eq_u32_e64 s[14:15], 0, v16
	v_cmp_lt_u32_e64 s[12:13], 1, v16
	v_cmp_lt_u32_e64 s[10:11], 3, v16
	;; [unrolled: 1-line block ×3, first 2 shown]
	v_and_b32_e32 v16, 16, v50
	v_cmp_eq_u32_e64 s[6:7], 0, v16
	v_or_b32_e32 v16, 63, v0
	v_cmp_lt_u32_e64 s[2:3], 31, v50
	v_cmp_eq_u32_e64 s[4:5], v16, v0
	s_barrier
	s_cbranch_scc0 .LBB3445_119
; %bb.93:
	v_mov_b32_dpp v16, v52 row_shr:1 row_mask:0xf bank_mask:0xf
	v_cndmask_b32_e64 v16, v16, 0, s[14:15]
	v_add_u32_e32 v16, v16, v52
	s_nop 1
	v_mov_b32_dpp v17, v16 row_shr:2 row_mask:0xf bank_mask:0xf
	v_cndmask_b32_e64 v17, 0, v17, s[12:13]
	v_add_u32_e32 v16, v16, v17
	s_nop 1
	;; [unrolled: 4-line block ×4, first 2 shown]
	v_mov_b32_dpp v17, v16 row_bcast:15 row_mask:0xf bank_mask:0xf
	v_cndmask_b32_e64 v17, v17, 0, s[6:7]
	v_add_u32_e32 v16, v16, v17
	s_nop 1
	v_mov_b32_dpp v17, v16 row_bcast:31 row_mask:0xf bank_mask:0xf
	v_cndmask_b32_e64 v17, 0, v17, s[2:3]
	v_add_u32_e32 v16, v16, v17
	s_and_saveexec_b64 s[16:17], s[4:5]
	s_cbranch_execz .LBB3445_95
; %bb.94:
	v_lshlrev_b32_e32 v17, 2, v51
	ds_write_b32 v17, v16
.LBB3445_95:
	s_or_b64 exec, exec, s[16:17]
	v_cmp_gt_u32_e32 vcc, 4, v0
	s_waitcnt lgkmcnt(0)
	s_barrier
	s_and_saveexec_b64 s[16:17], vcc
	s_cbranch_execz .LBB3445_97
; %bb.96:
	v_lshlrev_b32_e32 v17, 2, v0
	ds_read_b32 v22, v17
	v_and_b32_e32 v23, 3, v50
	v_cmp_ne_u32_e32 vcc, 0, v23
	s_waitcnt lgkmcnt(0)
	v_mov_b32_dpp v24, v22 row_shr:1 row_mask:0xf bank_mask:0xf
	v_cndmask_b32_e32 v24, 0, v24, vcc
	v_add_u32_e32 v22, v24, v22
	v_cmp_lt_u32_e32 vcc, 1, v23
	s_nop 0
	v_mov_b32_dpp v24, v22 row_shr:2 row_mask:0xf bank_mask:0xf
	v_cndmask_b32_e32 v23, 0, v24, vcc
	v_add_u32_e32 v22, v22, v23
	ds_write_b32 v17, v22
.LBB3445_97:
	s_or_b64 exec, exec, s[16:17]
	v_cmp_gt_u32_e32 vcc, 64, v0
	v_cmp_lt_u32_e64 s[16:17], 63, v0
	s_waitcnt lgkmcnt(0)
	s_barrier
	s_waitcnt lgkmcnt(0)
                                        ; implicit-def: $vgpr53
	s_and_saveexec_b64 s[30:31], s[16:17]
	s_cbranch_execz .LBB3445_99
; %bb.98:
	v_lshl_add_u32 v17, v51, 2, -4
	ds_read_b32 v53, v17
	s_waitcnt lgkmcnt(0)
	v_add_u32_e32 v16, v53, v16
.LBB3445_99:
	s_or_b64 exec, exec, s[30:31]
	v_add_u32_e32 v17, -1, v50
	v_and_b32_e32 v22, 64, v50
	v_cmp_lt_i32_e64 s[16:17], v17, v22
	v_cndmask_b32_e64 v17, v17, v50, s[16:17]
	v_lshlrev_b32_e32 v17, 2, v17
	ds_bpermute_b32 v54, v17, v16
	v_cmp_eq_u32_e64 s[16:17], 0, v50
	s_and_saveexec_b64 s[30:31], vcc
	s_cbranch_execz .LBB3445_118
; %bb.100:
	v_mov_b32_e32 v27, 0
	ds_read_b32 v16, v27 offset:12
	s_and_saveexec_b64 s[34:35], s[16:17]
	s_cbranch_execz .LBB3445_102
; %bb.101:
	s_add_i32 s36, s38, 64
	s_mov_b32 s37, 0
	s_lshl_b64 s[36:37], s[36:37], 3
	s_add_u32 s36, s28, s36
	v_mov_b32_e32 v17, 1
	s_addc_u32 s37, s29, s37
	s_waitcnt lgkmcnt(0)
	global_store_dwordx2 v27, v[16:17], s[36:37]
.LBB3445_102:
	s_or_b64 exec, exec, s[34:35]
	v_xad_u32 v22, v50, -1, s38
	v_add_u32_e32 v26, 64, v22
	v_lshlrev_b64 v[24:25], 3, v[26:27]
	v_mov_b32_e32 v17, s29
	v_add_co_u32_e32 v28, vcc, s28, v24
	v_addc_co_u32_e32 v29, vcc, v17, v25, vcc
	global_load_dwordx2 v[24:25], v[28:29], off glc
	s_waitcnt vmcnt(0)
	v_cmp_eq_u16_sdwa s[36:37], v25, v27 src0_sel:BYTE_0 src1_sel:DWORD
	s_and_saveexec_b64 s[34:35], s[36:37]
	s_cbranch_execz .LBB3445_106
; %bb.103:
	s_mov_b64 s[36:37], 0
	v_mov_b32_e32 v17, 0
.LBB3445_104:                           ; =>This Inner Loop Header: Depth=1
	global_load_dwordx2 v[24:25], v[28:29], off glc
	s_waitcnt vmcnt(0)
	v_cmp_ne_u16_sdwa s[40:41], v25, v17 src0_sel:BYTE_0 src1_sel:DWORD
	s_or_b64 s[36:37], s[40:41], s[36:37]
	s_andn2_b64 exec, exec, s[36:37]
	s_cbranch_execnz .LBB3445_104
; %bb.105:
	s_or_b64 exec, exec, s[36:37]
.LBB3445_106:
	s_or_b64 exec, exec, s[34:35]
	v_and_b32_e32 v56, 63, v50
	v_mov_b32_e32 v55, 2
	v_cmp_ne_u32_e32 vcc, 63, v56
	v_cmp_eq_u16_sdwa s[34:35], v25, v55 src0_sel:BYTE_0 src1_sel:DWORD
	v_lshlrev_b64 v[26:27], v50, -1
	v_addc_co_u32_e32 v28, vcc, 0, v50, vcc
	v_and_b32_e32 v17, s35, v27
	v_lshlrev_b32_e32 v57, 2, v28
	v_or_b32_e32 v17, 0x80000000, v17
	ds_bpermute_b32 v28, v57, v24
	v_and_b32_e32 v23, s34, v26
	v_ffbl_b32_e32 v17, v17
	v_add_u32_e32 v17, 32, v17
	v_ffbl_b32_e32 v23, v23
	v_min_u32_e32 v17, v23, v17
	v_cmp_lt_u32_e32 vcc, v56, v17
	s_waitcnt lgkmcnt(0)
	v_cndmask_b32_e32 v23, 0, v28, vcc
	v_cmp_gt_u32_e32 vcc, 62, v56
	v_add_u32_e32 v23, v23, v24
	v_cndmask_b32_e64 v24, 0, 1, vcc
	v_lshlrev_b32_e32 v24, 1, v24
	v_add_lshl_u32 v58, v24, v50, 2
	ds_bpermute_b32 v24, v58, v23
	v_add_u32_e32 v59, 2, v56
	v_cmp_le_u32_e32 vcc, v59, v17
	v_add_u32_e32 v61, 4, v56
	v_add_u32_e32 v63, 8, v56
	s_waitcnt lgkmcnt(0)
	v_cndmask_b32_e32 v24, 0, v24, vcc
	v_cmp_gt_u32_e32 vcc, 60, v56
	v_add_u32_e32 v23, v23, v24
	v_cndmask_b32_e64 v24, 0, 1, vcc
	v_lshlrev_b32_e32 v24, 2, v24
	v_add_lshl_u32 v60, v24, v50, 2
	ds_bpermute_b32 v24, v60, v23
	v_cmp_le_u32_e32 vcc, v61, v17
	v_add_u32_e32 v65, 16, v56
	v_add_u32_e32 v67, 32, v56
	s_waitcnt lgkmcnt(0)
	v_cndmask_b32_e32 v24, 0, v24, vcc
	v_cmp_gt_u32_e32 vcc, 56, v56
	v_add_u32_e32 v23, v23, v24
	v_cndmask_b32_e64 v24, 0, 1, vcc
	v_lshlrev_b32_e32 v24, 3, v24
	v_add_lshl_u32 v62, v24, v50, 2
	ds_bpermute_b32 v24, v62, v23
	v_cmp_le_u32_e32 vcc, v63, v17
	s_waitcnt lgkmcnt(0)
	v_cndmask_b32_e32 v24, 0, v24, vcc
	v_cmp_gt_u32_e32 vcc, 48, v56
	v_add_u32_e32 v23, v23, v24
	v_cndmask_b32_e64 v24, 0, 1, vcc
	v_lshlrev_b32_e32 v24, 4, v24
	v_add_lshl_u32 v64, v24, v50, 2
	ds_bpermute_b32 v24, v64, v23
	v_cmp_le_u32_e32 vcc, v65, v17
	;; [unrolled: 9-line block ×3, first 2 shown]
	s_waitcnt lgkmcnt(0)
	v_cndmask_b32_e32 v17, 0, v24, vcc
	v_add_u32_e32 v24, v23, v17
	v_mov_b32_e32 v23, 0
	s_branch .LBB3445_108
.LBB3445_107:                           ;   in Loop: Header=BB3445_108 Depth=1
	s_or_b64 exec, exec, s[34:35]
	v_cmp_eq_u16_sdwa s[34:35], v25, v55 src0_sel:BYTE_0 src1_sel:DWORD
	v_and_b32_e32 v28, s35, v27
	v_or_b32_e32 v28, 0x80000000, v28
	ds_bpermute_b32 v68, v57, v24
	v_and_b32_e32 v29, s34, v26
	v_ffbl_b32_e32 v28, v28
	v_add_u32_e32 v28, 32, v28
	v_ffbl_b32_e32 v29, v29
	v_min_u32_e32 v28, v29, v28
	v_cmp_lt_u32_e32 vcc, v56, v28
	s_waitcnt lgkmcnt(0)
	v_cndmask_b32_e32 v29, 0, v68, vcc
	v_add_u32_e32 v24, v29, v24
	ds_bpermute_b32 v29, v58, v24
	v_cmp_le_u32_e32 vcc, v59, v28
	v_subrev_u32_e32 v22, 64, v22
	s_waitcnt lgkmcnt(0)
	v_cndmask_b32_e32 v29, 0, v29, vcc
	v_add_u32_e32 v24, v24, v29
	ds_bpermute_b32 v29, v60, v24
	v_cmp_le_u32_e32 vcc, v61, v28
	s_waitcnt lgkmcnt(0)
	v_cndmask_b32_e32 v29, 0, v29, vcc
	v_add_u32_e32 v24, v24, v29
	ds_bpermute_b32 v29, v62, v24
	v_cmp_le_u32_e32 vcc, v63, v28
	;; [unrolled: 5-line block ×4, first 2 shown]
	s_waitcnt lgkmcnt(0)
	v_cndmask_b32_e32 v28, 0, v29, vcc
	v_add3_u32 v24, v28, v17, v24
.LBB3445_108:                           ; =>This Loop Header: Depth=1
                                        ;     Child Loop BB3445_111 Depth 2
	v_cmp_ne_u16_sdwa s[34:35], v25, v55 src0_sel:BYTE_0 src1_sel:DWORD
	v_cndmask_b32_e64 v17, 0, 1, s[34:35]
	;;#ASMSTART
	;;#ASMEND
	v_cmp_ne_u32_e32 vcc, 0, v17
	s_cmp_lg_u64 vcc, exec
	v_mov_b32_e32 v17, v24
	s_cbranch_scc1 .LBB3445_113
; %bb.109:                              ;   in Loop: Header=BB3445_108 Depth=1
	v_lshlrev_b64 v[24:25], 3, v[22:23]
	v_mov_b32_e32 v29, s29
	v_add_co_u32_e32 v28, vcc, s28, v24
	v_addc_co_u32_e32 v29, vcc, v29, v25, vcc
	global_load_dwordx2 v[24:25], v[28:29], off glc
	s_waitcnt vmcnt(0)
	v_cmp_eq_u16_sdwa s[36:37], v25, v23 src0_sel:BYTE_0 src1_sel:DWORD
	s_and_saveexec_b64 s[34:35], s[36:37]
	s_cbranch_execz .LBB3445_107
; %bb.110:                              ;   in Loop: Header=BB3445_108 Depth=1
	s_mov_b64 s[36:37], 0
.LBB3445_111:                           ;   Parent Loop BB3445_108 Depth=1
                                        ; =>  This Inner Loop Header: Depth=2
	global_load_dwordx2 v[24:25], v[28:29], off glc
	s_waitcnt vmcnt(0)
	v_cmp_ne_u16_sdwa s[40:41], v25, v23 src0_sel:BYTE_0 src1_sel:DWORD
	s_or_b64 s[36:37], s[40:41], s[36:37]
	s_andn2_b64 exec, exec, s[36:37]
	s_cbranch_execnz .LBB3445_111
; %bb.112:                              ;   in Loop: Header=BB3445_108 Depth=1
	s_or_b64 exec, exec, s[36:37]
	s_branch .LBB3445_107
.LBB3445_113:                           ;   in Loop: Header=BB3445_108 Depth=1
                                        ; implicit-def: $vgpr24
                                        ; implicit-def: $vgpr25
	s_cbranch_execz .LBB3445_108
; %bb.114:
	s_and_saveexec_b64 s[34:35], s[16:17]
	s_cbranch_execz .LBB3445_116
; %bb.115:
	s_add_i32 s36, s38, 64
	s_mov_b32 s37, 0
	s_lshl_b64 s[36:37], s[36:37], 3
	s_add_u32 s36, s28, s36
	v_add_u32_e32 v22, v17, v16
	v_mov_b32_e32 v23, 2
	s_addc_u32 s37, s29, s37
	v_mov_b32_e32 v24, 0
	global_store_dwordx2 v24, v[22:23], s[36:37]
	ds_write_b64 v24, v[16:17] offset:10240
.LBB3445_116:
	s_or_b64 exec, exec, s[34:35]
	s_and_b64 exec, exec, s[0:1]
	s_cbranch_execz .LBB3445_118
; %bb.117:
	v_mov_b32_e32 v16, 0
	ds_write_b32 v16, v17 offset:12
.LBB3445_118:
	s_or_b64 exec, exec, s[30:31]
	v_mov_b32_e32 v16, 0
	s_waitcnt lgkmcnt(0)
	s_barrier
	ds_read_b32 v22, v16 offset:12
	s_waitcnt lgkmcnt(0)
	s_barrier
	ds_read_b64 v[16:17], v16 offset:10240
	v_cndmask_b32_e64 v23, v54, v53, s[16:17]
	v_cndmask_b32_e64 v23, v23, 0, s[0:1]
	v_add_u32_e32 v26, v22, v23
	s_branch .LBB3445_129
.LBB3445_119:
                                        ; implicit-def: $vgpr17
                                        ; implicit-def: $vgpr26
	s_cbranch_execz .LBB3445_129
; %bb.120:
	s_waitcnt lgkmcnt(0)
	v_mov_b32_dpp v16, v52 row_shr:1 row_mask:0xf bank_mask:0xf
	v_cndmask_b32_e64 v16, v16, 0, s[14:15]
	v_add_u32_e32 v16, v16, v52
	s_nop 1
	v_mov_b32_dpp v17, v16 row_shr:2 row_mask:0xf bank_mask:0xf
	v_cndmask_b32_e64 v17, 0, v17, s[12:13]
	v_add_u32_e32 v16, v16, v17
	s_nop 1
	;; [unrolled: 4-line block ×4, first 2 shown]
	v_mov_b32_dpp v17, v16 row_bcast:15 row_mask:0xf bank_mask:0xf
	v_cndmask_b32_e64 v17, v17, 0, s[6:7]
	v_add_u32_e32 v16, v16, v17
	s_nop 1
	v_mov_b32_dpp v17, v16 row_bcast:31 row_mask:0xf bank_mask:0xf
	v_cndmask_b32_e64 v17, 0, v17, s[2:3]
	v_add_u32_e32 v16, v16, v17
	s_and_saveexec_b64 s[2:3], s[4:5]
	s_cbranch_execz .LBB3445_122
; %bb.121:
	v_lshlrev_b32_e32 v17, 2, v51
	ds_write_b32 v17, v16
.LBB3445_122:
	s_or_b64 exec, exec, s[2:3]
	v_cmp_gt_u32_e32 vcc, 4, v0
	s_waitcnt lgkmcnt(0)
	s_barrier
	s_and_saveexec_b64 s[2:3], vcc
	s_cbranch_execz .LBB3445_124
; %bb.123:
	v_lshlrev_b32_e32 v17, 2, v0
	ds_read_b32 v22, v17
	v_and_b32_e32 v23, 3, v50
	v_cmp_ne_u32_e32 vcc, 0, v23
	s_waitcnt lgkmcnt(0)
	v_mov_b32_dpp v24, v22 row_shr:1 row_mask:0xf bank_mask:0xf
	v_cndmask_b32_e32 v24, 0, v24, vcc
	v_add_u32_e32 v22, v24, v22
	v_cmp_lt_u32_e32 vcc, 1, v23
	s_nop 0
	v_mov_b32_dpp v24, v22 row_shr:2 row_mask:0xf bank_mask:0xf
	v_cndmask_b32_e32 v23, 0, v24, vcc
	v_add_u32_e32 v22, v22, v23
	ds_write_b32 v17, v22
.LBB3445_124:
	s_or_b64 exec, exec, s[2:3]
	v_cmp_lt_u32_e32 vcc, 63, v0
	v_mov_b32_e32 v17, 0
	v_mov_b32_e32 v22, 0
	s_waitcnt lgkmcnt(0)
	s_barrier
	s_and_saveexec_b64 s[2:3], vcc
	s_cbranch_execz .LBB3445_126
; %bb.125:
	v_lshl_add_u32 v22, v51, 2, -4
	ds_read_b32 v22, v22
.LBB3445_126:
	s_or_b64 exec, exec, s[2:3]
	v_add_u32_e32 v23, -1, v50
	v_and_b32_e32 v24, 64, v50
	v_cmp_lt_i32_e32 vcc, v23, v24
	v_cndmask_b32_e32 v23, v23, v50, vcc
	s_waitcnt lgkmcnt(0)
	v_add_u32_e32 v16, v22, v16
	v_lshlrev_b32_e32 v23, 2, v23
	ds_bpermute_b32 v23, v23, v16
	ds_read_b32 v16, v17 offset:12
	s_and_saveexec_b64 s[2:3], s[0:1]
	s_cbranch_execz .LBB3445_128
; %bb.127:
	v_mov_b32_e32 v24, 0
	v_mov_b32_e32 v17, 2
	s_waitcnt lgkmcnt(0)
	global_store_dwordx2 v24, v[16:17], s[28:29] offset:512
.LBB3445_128:
	s_or_b64 exec, exec, s[2:3]
	v_cmp_eq_u32_e32 vcc, 0, v50
	s_waitcnt lgkmcnt(1)
	v_cndmask_b32_e32 v22, v23, v22, vcc
	v_mov_b32_e32 v17, 0
	v_cndmask_b32_e64 v26, v22, 0, s[0:1]
	s_waitcnt lgkmcnt(0)
	s_barrier
.LBB3445_129:
	v_add_u32_sdwa v28, v26, v20 dst_sel:DWORD dst_unused:UNUSED_PAD src0_sel:DWORD src1_sel:BYTE_0
	s_waitcnt lgkmcnt(0)
	v_add_u32_e32 v31, v16, v31
	v_sub_u32_e32 v26, v26, v17
	v_and_b32_e32 v55, 1, v20
	v_sub_u32_e32 v54, v31, v26
	v_cmp_eq_u32_e32 vcc, 1, v55
	v_cndmask_b32_e32 v26, v54, v26, vcc
	v_lshlrev_b32_e32 v26, 1, v26
	v_lshrrev_b32_e32 v27, 8, v20
	ds_write_b16 v26, v6
	v_sub_u32_e32 v26, v28, v17
	v_add_u32_sdwa v29, v28, v20 dst_sel:DWORD dst_unused:UNUSED_PAD src0_sel:DWORD src1_sel:BYTE_1
	v_sub_u32_e32 v28, v31, v26
	v_and_b32_e32 v27, 1, v27
	v_add_u32_e32 v28, 1, v28
	v_cmp_eq_u32_e32 vcc, 1, v27
	v_cndmask_b32_e32 v26, v28, v26, vcc
	v_lshlrev_b32_e32 v26, 1, v26
	ds_write_b16_d16_hi v26, v6
	v_sub_u32_e32 v6, v29, v17
	v_mov_b32_e32 v27, 1
	v_sub_u32_e32 v26, v31, v6
	v_and_b32_sdwa v20, v27, v20 dst_sel:DWORD dst_unused:UNUSED_PAD src0_sel:DWORD src1_sel:WORD_1
	v_add_u32_e32 v26, 2, v26
	v_cmp_eq_u32_e32 vcc, 1, v20
	v_cndmask_b32_e32 v6, v26, v6, vcc
	v_add_u32_e32 v49, v29, v49
	v_lshlrev_b32_e32 v6, 1, v6
	ds_write_b16 v6, v7
	v_sub_u32_e32 v6, v49, v17
	v_sub_u32_e32 v20, v31, v6
	v_and_b32_e32 v26, 1, v37
	v_add_u32_e32 v20, 3, v20
	v_cmp_eq_u32_e32 vcc, 1, v26
	v_cndmask_b32_e32 v6, v20, v6, vcc
	v_add_u32_e32 v50, v49, v37
	v_lshlrev_b32_e32 v6, 1, v6
	ds_write_b16_d16_hi v6, v7
	v_sub_u32_e32 v6, v50, v17
	v_sub_u32_e32 v7, v31, v6
	v_and_b32_e32 v20, 1, v21
	v_add_u32_e32 v7, 4, v7
	v_cmp_eq_u32_e32 vcc, 1, v20
	v_cndmask_b32_e32 v6, v7, v6, vcc
	v_add_u32_e32 v46, v50, v46
	v_lshlrev_b32_e32 v6, 1, v6
	v_lshrrev_b32_e32 v25, 8, v21
	ds_write_b16 v6, v8
	v_sub_u32_e32 v6, v46, v17
	v_sub_u32_e32 v7, v31, v6
	v_and_b32_e32 v20, 1, v25
	v_add_u32_e32 v7, 5, v7
	v_cmp_eq_u32_e32 vcc, 1, v20
	v_cndmask_b32_e32 v6, v7, v6, vcc
	v_add_u32_e32 v47, v46, v47
	v_lshlrev_b32_e32 v6, 1, v6
	ds_write_b16_d16_hi v6, v8
	v_sub_u32_e32 v6, v47, v17
	v_sub_u32_e32 v7, v31, v6
	v_and_b32_sdwa v8, v27, v21 dst_sel:DWORD dst_unused:UNUSED_PAD src0_sel:DWORD src1_sel:WORD_1
	v_add_u32_e32 v7, 6, v7
	v_cmp_eq_u32_e32 vcc, 1, v8
	v_cndmask_b32_e32 v6, v7, v6, vcc
	v_add_u32_e32 v48, v47, v48
	v_lshlrev_b32_e32 v6, 1, v6
	ds_write_b16 v6, v9
	v_sub_u32_e32 v6, v48, v17
	v_sub_u32_e32 v7, v31, v6
	v_and_b32_e32 v8, 1, v36
	v_add_u32_e32 v7, 7, v7
	v_cmp_eq_u32_e32 vcc, 1, v8
	v_cndmask_b32_e32 v6, v7, v6, vcc
	v_add_u32_e32 v51, v48, v36
	v_lshlrev_b32_e32 v6, 1, v6
	ds_write_b16_d16_hi v6, v9
	v_sub_u32_e32 v6, v51, v17
	v_sub_u32_e32 v7, v31, v6
	v_and_b32_e32 v8, 1, v18
	v_add_u32_e32 v7, 8, v7
	v_cmp_eq_u32_e32 vcc, 1, v8
	v_cndmask_b32_e32 v6, v7, v6, vcc
	v_add_u32_e32 v43, v51, v43
	v_lshlrev_b32_e32 v6, 1, v6
	v_lshrrev_b32_e32 v24, 8, v18
	ds_write_b16 v6, v2
	v_sub_u32_e32 v6, v43, v17
	v_sub_u32_e32 v7, v31, v6
	v_and_b32_e32 v8, 1, v24
	v_add_u32_e32 v7, 9, v7
	v_cmp_eq_u32_e32 vcc, 1, v8
	v_cndmask_b32_e32 v6, v7, v6, vcc
	v_add_u32_e32 v44, v43, v44
	v_lshlrev_b32_e32 v6, 1, v6
	ds_write_b16_d16_hi v6, v2
	v_sub_u32_e32 v2, v44, v17
	;; [unrolled: 37-line block ×4, first 2 shown]
	v_sub_u32_e32 v3, v31, v2
	v_and_b32_sdwa v4, v27, v32 dst_sel:DWORD dst_unused:UNUSED_PAD src0_sel:DWORD src1_sel:WORD_1
	v_add_u32_e32 v3, 18, v3
	v_cmp_eq_u32_e32 vcc, 1, v4
	v_cndmask_b32_e32 v2, v3, v2, vcc
	v_lshlrev_b32_e32 v2, 1, v2
	ds_write_b16 v2, v15
	v_sub_u32_e32 v2, v33, v17
	v_add_u32_e32 v2, v39, v2
	v_sub_u32_e32 v3, v31, v2
	v_and_b32_e32 v1, 1, v1
	v_add_u32_e32 v3, 19, v3
	v_cmp_eq_u32_e32 vcc, 1, v1
	v_cndmask_b32_e32 v1, v3, v2, vcc
	v_lshlrev_b32_e32 v1, 1, v1
	ds_write_b16_d16_hi v1, v15
	s_waitcnt vmcnt(0)
	v_add_co_u32_e32 v1, vcc, v10, v16
	s_waitcnt lgkmcnt(0)
	s_barrier
	ds_read_u16 v50, v30
	ds_read_u16 v49, v30 offset:512
	ds_read_u16 v47, v30 offset:1024
	;; [unrolled: 1-line block ×15, first 2 shown]
	v_addc_co_u32_e32 v3, vcc, 0, v11, vcc
	v_add_co_u32_e32 v2, vcc, v1, v17
	v_addc_co_u32_e32 v3, vcc, 0, v3, vcc
	v_mov_b32_e32 v1, s19
	v_sub_co_u32_e32 v10, vcc, s18, v2
	ds_read_u16 v18, v30 offset:8192
	ds_read_u16 v14, v30 offset:8704
	;; [unrolled: 1-line block ×4, first 2 shown]
	v_subb_co_u32_e32 v11, vcc, v1, v3, vcc
	v_lshlrev_b64 v[10:11], 1, v[10:11]
	v_mov_b32_e32 v1, s25
	v_add_co_u32_e32 v4, vcc, s24, v10
	v_addc_co_u32_e32 v1, vcc, v1, v11, vcc
	v_add_co_u32_e32 v4, vcc, v4, v12
	v_addc_co_u32_e32 v1, vcc, v1, v13, vcc
	v_or_b32_e32 v48, 0x100, v0
	v_or_b32_e32 v46, 0x200, v0
	v_or_b32_e32 v44, 0x300, v0
	v_or_b32_e32 v43, 0x400, v0
	v_or_b32_e32 v41, 0x500, v0
	v_or_b32_e32 v39, 0x600, v0
	v_or_b32_e32 v37, 0x700, v0
	v_or_b32_e32 v34, 0x800, v0
	v_or_b32_e32 v32, 0x900, v0
	v_or_b32_e32 v29, 0xa00, v0
	v_or_b32_e32 v27, 0xb00, v0
	v_or_b32_e32 v25, 0xc00, v0
	v_or_b32_e32 v23, 0xd00, v0
	v_or_b32_e32 v21, 0xe00, v0
	v_or_b32_e32 v19, 0xf00, v0
	v_or_b32_e32 v15, 0x1000, v0
	v_or_b32_e32 v9, 0x1100, v0
	v_or_b32_e32 v8, 0x1200, v0
	v_or_b32_e32 v6, 0x1300, v0
	s_andn2_b64 vcc, exec, s[26:27]
	v_cmp_ge_u32_e64 s[2:3], v0, v16
	s_cbranch_vccnz .LBB3445_151
; %bb.130:
	s_and_saveexec_b64 s[4:5], s[2:3]
	s_cbranch_execnz .LBB3445_196
; %bb.131:
	s_or_b64 exec, exec, s[4:5]
	v_cmp_ge_u32_e32 vcc, v48, v16
	s_and_saveexec_b64 s[2:3], vcc
	s_cbranch_execnz .LBB3445_197
.LBB3445_132:
	s_or_b64 exec, exec, s[2:3]
	v_cmp_ge_u32_e32 vcc, v46, v16
	s_and_saveexec_b64 s[2:3], vcc
	s_cbranch_execnz .LBB3445_198
.LBB3445_133:
	s_or_b64 exec, exec, s[2:3]
	v_cmp_ge_u32_e32 vcc, v44, v16
	s_and_saveexec_b64 s[2:3], vcc
	s_cbranch_execnz .LBB3445_199
.LBB3445_134:
	s_or_b64 exec, exec, s[2:3]
	v_cmp_ge_u32_e32 vcc, v43, v16
	s_and_saveexec_b64 s[2:3], vcc
	s_cbranch_execnz .LBB3445_200
.LBB3445_135:
	s_or_b64 exec, exec, s[2:3]
	v_cmp_ge_u32_e32 vcc, v41, v16
	s_and_saveexec_b64 s[2:3], vcc
	s_cbranch_execnz .LBB3445_201
.LBB3445_136:
	s_or_b64 exec, exec, s[2:3]
	v_cmp_ge_u32_e32 vcc, v39, v16
	s_and_saveexec_b64 s[2:3], vcc
	s_cbranch_execnz .LBB3445_202
.LBB3445_137:
	s_or_b64 exec, exec, s[2:3]
	v_cmp_ge_u32_e32 vcc, v37, v16
	s_and_saveexec_b64 s[2:3], vcc
	s_cbranch_execnz .LBB3445_203
.LBB3445_138:
	s_or_b64 exec, exec, s[2:3]
	v_cmp_ge_u32_e32 vcc, v34, v16
	s_and_saveexec_b64 s[2:3], vcc
	s_cbranch_execnz .LBB3445_204
.LBB3445_139:
	s_or_b64 exec, exec, s[2:3]
	v_cmp_ge_u32_e32 vcc, v32, v16
	s_and_saveexec_b64 s[2:3], vcc
	s_cbranch_execnz .LBB3445_205
.LBB3445_140:
	s_or_b64 exec, exec, s[2:3]
	v_cmp_ge_u32_e32 vcc, v29, v16
	s_and_saveexec_b64 s[2:3], vcc
	s_cbranch_execnz .LBB3445_206
.LBB3445_141:
	s_or_b64 exec, exec, s[2:3]
	v_cmp_ge_u32_e32 vcc, v27, v16
	s_and_saveexec_b64 s[2:3], vcc
	s_cbranch_execnz .LBB3445_207
.LBB3445_142:
	s_or_b64 exec, exec, s[2:3]
	v_cmp_ge_u32_e32 vcc, v25, v16
	s_and_saveexec_b64 s[2:3], vcc
	s_cbranch_execnz .LBB3445_208
.LBB3445_143:
	s_or_b64 exec, exec, s[2:3]
	v_cmp_ge_u32_e32 vcc, v23, v16
	s_and_saveexec_b64 s[2:3], vcc
	s_cbranch_execnz .LBB3445_209
.LBB3445_144:
	s_or_b64 exec, exec, s[2:3]
	v_cmp_ge_u32_e32 vcc, v21, v16
	s_and_saveexec_b64 s[2:3], vcc
	s_cbranch_execnz .LBB3445_210
.LBB3445_145:
	s_or_b64 exec, exec, s[2:3]
	v_cmp_ge_u32_e32 vcc, v19, v16
	s_and_saveexec_b64 s[2:3], vcc
	s_cbranch_execnz .LBB3445_211
.LBB3445_146:
	s_or_b64 exec, exec, s[2:3]
	v_cmp_ge_u32_e32 vcc, v15, v16
	s_and_saveexec_b64 s[2:3], vcc
	s_cbranch_execnz .LBB3445_212
.LBB3445_147:
	s_or_b64 exec, exec, s[2:3]
	v_cmp_ge_u32_e32 vcc, v9, v16
	s_and_saveexec_b64 s[2:3], vcc
	s_cbranch_execnz .LBB3445_213
.LBB3445_148:
	s_or_b64 exec, exec, s[2:3]
	v_cmp_ge_u32_e32 vcc, v8, v16
	s_and_saveexec_b64 s[2:3], vcc
	s_cbranch_execz .LBB3445_150
.LBB3445_149:
	v_lshlrev_b32_e32 v10, 1, v8
	v_readfirstlane_b32 s4, v4
	v_readfirstlane_b32 s5, v1
	s_waitcnt lgkmcnt(1)
	s_nop 3
	global_store_short v10, v7, s[4:5]
.LBB3445_150:
	s_or_b64 exec, exec, s[2:3]
	v_cmp_ge_u32_e64 s[2:3], v6, v16
	s_branch .LBB3445_191
.LBB3445_151:
	s_mov_b64 s[2:3], 0
	s_cbranch_execz .LBB3445_191
; %bb.152:
	v_cmp_gt_u32_e32 vcc, s33, v0
	v_cmp_ge_u32_e64 s[2:3], v0, v16
	s_and_b64 s[4:5], vcc, s[2:3]
	s_and_saveexec_b64 s[2:3], s[4:5]
	s_cbranch_execz .LBB3445_154
; %bb.153:
	v_readfirstlane_b32 s4, v4
	v_readfirstlane_b32 s5, v1
	s_waitcnt lgkmcnt(14)
	s_nop 3
	global_store_short v30, v50, s[4:5]
.LBB3445_154:
	s_or_b64 exec, exec, s[2:3]
	v_cmp_gt_u32_e32 vcc, s33, v48
	v_cmp_ge_u32_e64 s[2:3], v48, v16
	s_and_b64 s[4:5], vcc, s[2:3]
	s_and_saveexec_b64 s[2:3], s[4:5]
	s_cbranch_execz .LBB3445_156
; %bb.155:
	v_readfirstlane_b32 s4, v4
	v_readfirstlane_b32 s5, v1
	s_waitcnt lgkmcnt(14)
	s_nop 3
	global_store_short v30, v49, s[4:5] offset:512
.LBB3445_156:
	s_or_b64 exec, exec, s[2:3]
	v_cmp_gt_u32_e32 vcc, s33, v46
	v_cmp_ge_u32_e64 s[2:3], v46, v16
	s_and_b64 s[4:5], vcc, s[2:3]
	s_and_saveexec_b64 s[2:3], s[4:5]
	s_cbranch_execz .LBB3445_158
; %bb.157:
	v_readfirstlane_b32 s4, v4
	v_readfirstlane_b32 s5, v1
	s_waitcnt lgkmcnt(14)
	s_nop 3
	global_store_short v30, v47, s[4:5] offset:1024
.LBB3445_158:
	;; [unrolled: 13-line block ×7, first 2 shown]
	s_or_b64 exec, exec, s[2:3]
	v_cmp_gt_u32_e32 vcc, s33, v34
	v_cmp_ge_u32_e64 s[2:3], v34, v16
	s_and_b64 s[4:5], vcc, s[2:3]
	s_and_saveexec_b64 s[2:3], s[4:5]
	s_cbranch_execz .LBB3445_170
; %bb.169:
	v_lshlrev_b32_e32 v0, 1, v34
	v_readfirstlane_b32 s4, v4
	v_readfirstlane_b32 s5, v1
	s_waitcnt lgkmcnt(11)
	s_nop 3
	global_store_short v0, v35, s[4:5]
.LBB3445_170:
	s_or_b64 exec, exec, s[2:3]
	v_cmp_gt_u32_e32 vcc, s33, v32
	v_cmp_ge_u32_e64 s[2:3], v32, v16
	s_and_b64 s[4:5], vcc, s[2:3]
	s_and_saveexec_b64 s[2:3], s[4:5]
	s_cbranch_execz .LBB3445_172
; %bb.171:
	v_lshlrev_b32_e32 v0, 1, v32
	v_readfirstlane_b32 s4, v4
	v_readfirstlane_b32 s5, v1
	s_waitcnt lgkmcnt(10)
	s_nop 3
	global_store_short v0, v33, s[4:5]
.LBB3445_172:
	;; [unrolled: 14-line block ×11, first 2 shown]
	s_or_b64 exec, exec, s[2:3]
	v_cmp_gt_u32_e32 vcc, s33, v6
	v_cmp_ge_u32_e64 s[2:3], v6, v16
	s_and_b64 s[2:3], vcc, s[2:3]
.LBB3445_191:
	s_and_saveexec_b64 s[4:5], s[2:3]
	s_cbranch_execnz .LBB3445_194
; %bb.192:
	s_or_b64 exec, exec, s[4:5]
	s_and_b64 s[0:1], s[0:1], s[22:23]
	s_and_saveexec_b64 s[2:3], s[0:1]
	s_cbranch_execnz .LBB3445_195
.LBB3445_193:
	s_endpgm
.LBB3445_194:
	v_lshlrev_b32_e32 v0, 1, v6
	v_readfirstlane_b32 s2, v4
	v_readfirstlane_b32 s3, v1
	s_waitcnt lgkmcnt(0)
	s_nop 3
	global_store_short v0, v5, s[2:3]
	s_or_b64 exec, exec, s[4:5]
	s_and_b64 s[0:1], s[0:1], s[22:23]
	s_and_saveexec_b64 s[2:3], s[0:1]
	s_cbranch_execz .LBB3445_193
.LBB3445_195:
	v_mov_b32_e32 v0, 0
	global_store_dwordx2 v0, v[2:3], s[20:21]
	s_endpgm
.LBB3445_196:
	v_readfirstlane_b32 s2, v4
	v_readfirstlane_b32 s3, v1
	s_waitcnt lgkmcnt(14)
	s_nop 3
	global_store_short v30, v50, s[2:3]
	s_or_b64 exec, exec, s[4:5]
	v_cmp_ge_u32_e32 vcc, v48, v16
	s_and_saveexec_b64 s[2:3], vcc
	s_cbranch_execz .LBB3445_132
.LBB3445_197:
	v_readfirstlane_b32 s4, v4
	v_readfirstlane_b32 s5, v1
	s_waitcnt lgkmcnt(14)
	s_nop 3
	global_store_short v30, v49, s[4:5] offset:512
	s_or_b64 exec, exec, s[2:3]
	v_cmp_ge_u32_e32 vcc, v46, v16
	s_and_saveexec_b64 s[2:3], vcc
	s_cbranch_execz .LBB3445_133
.LBB3445_198:
	v_readfirstlane_b32 s4, v4
	v_readfirstlane_b32 s5, v1
	s_waitcnt lgkmcnt(14)
	s_nop 3
	global_store_short v30, v47, s[4:5] offset:1024
	s_or_b64 exec, exec, s[2:3]
	v_cmp_ge_u32_e32 vcc, v44, v16
	s_and_saveexec_b64 s[2:3], vcc
	s_cbranch_execz .LBB3445_134
.LBB3445_199:
	v_readfirstlane_b32 s4, v4
	v_readfirstlane_b32 s5, v1
	s_waitcnt lgkmcnt(14)
	s_nop 3
	global_store_short v30, v45, s[4:5] offset:1536
	s_or_b64 exec, exec, s[2:3]
	v_cmp_ge_u32_e32 vcc, v43, v16
	s_and_saveexec_b64 s[2:3], vcc
	s_cbranch_execz .LBB3445_135
.LBB3445_200:
	v_readfirstlane_b32 s4, v4
	v_readfirstlane_b32 s5, v1
	s_waitcnt lgkmcnt(14)
	s_nop 3
	global_store_short v30, v42, s[4:5] offset:2048
	s_or_b64 exec, exec, s[2:3]
	v_cmp_ge_u32_e32 vcc, v41, v16
	s_and_saveexec_b64 s[2:3], vcc
	s_cbranch_execz .LBB3445_136
.LBB3445_201:
	v_readfirstlane_b32 s4, v4
	v_readfirstlane_b32 s5, v1
	s_waitcnt lgkmcnt(14)
	s_nop 3
	global_store_short v30, v40, s[4:5] offset:2560
	s_or_b64 exec, exec, s[2:3]
	v_cmp_ge_u32_e32 vcc, v39, v16
	s_and_saveexec_b64 s[2:3], vcc
	s_cbranch_execz .LBB3445_137
.LBB3445_202:
	v_readfirstlane_b32 s4, v4
	v_readfirstlane_b32 s5, v1
	s_waitcnt lgkmcnt(13)
	s_nop 3
	global_store_short v30, v38, s[4:5] offset:3072
	s_or_b64 exec, exec, s[2:3]
	v_cmp_ge_u32_e32 vcc, v37, v16
	s_and_saveexec_b64 s[2:3], vcc
	s_cbranch_execz .LBB3445_138
.LBB3445_203:
	v_readfirstlane_b32 s4, v4
	v_readfirstlane_b32 s5, v1
	s_waitcnt lgkmcnt(12)
	s_nop 3
	global_store_short v30, v36, s[4:5] offset:3584
	s_or_b64 exec, exec, s[2:3]
	v_cmp_ge_u32_e32 vcc, v34, v16
	s_and_saveexec_b64 s[2:3], vcc
	s_cbranch_execz .LBB3445_139
.LBB3445_204:
	v_lshlrev_b32_e32 v10, 1, v34
	v_readfirstlane_b32 s4, v4
	v_readfirstlane_b32 s5, v1
	s_waitcnt lgkmcnt(11)
	s_nop 3
	global_store_short v10, v35, s[4:5]
	s_or_b64 exec, exec, s[2:3]
	v_cmp_ge_u32_e32 vcc, v32, v16
	s_and_saveexec_b64 s[2:3], vcc
	s_cbranch_execz .LBB3445_140
.LBB3445_205:
	v_lshlrev_b32_e32 v10, 1, v32
	v_readfirstlane_b32 s4, v4
	v_readfirstlane_b32 s5, v1
	s_waitcnt lgkmcnt(10)
	s_nop 3
	global_store_short v10, v33, s[4:5]
	s_or_b64 exec, exec, s[2:3]
	v_cmp_ge_u32_e32 vcc, v29, v16
	s_and_saveexec_b64 s[2:3], vcc
	s_cbranch_execz .LBB3445_141
.LBB3445_206:
	v_lshlrev_b32_e32 v10, 1, v29
	v_readfirstlane_b32 s4, v4
	v_readfirstlane_b32 s5, v1
	s_waitcnt lgkmcnt(9)
	s_nop 3
	global_store_short v10, v31, s[4:5]
	s_or_b64 exec, exec, s[2:3]
	v_cmp_ge_u32_e32 vcc, v27, v16
	s_and_saveexec_b64 s[2:3], vcc
	s_cbranch_execz .LBB3445_142
.LBB3445_207:
	v_lshlrev_b32_e32 v10, 1, v27
	v_readfirstlane_b32 s4, v4
	v_readfirstlane_b32 s5, v1
	s_waitcnt lgkmcnt(8)
	s_nop 3
	global_store_short v10, v28, s[4:5]
	s_or_b64 exec, exec, s[2:3]
	v_cmp_ge_u32_e32 vcc, v25, v16
	s_and_saveexec_b64 s[2:3], vcc
	s_cbranch_execz .LBB3445_143
.LBB3445_208:
	v_lshlrev_b32_e32 v10, 1, v25
	v_readfirstlane_b32 s4, v4
	v_readfirstlane_b32 s5, v1
	s_waitcnt lgkmcnt(7)
	s_nop 3
	global_store_short v10, v26, s[4:5]
	s_or_b64 exec, exec, s[2:3]
	v_cmp_ge_u32_e32 vcc, v23, v16
	s_and_saveexec_b64 s[2:3], vcc
	s_cbranch_execz .LBB3445_144
.LBB3445_209:
	v_lshlrev_b32_e32 v10, 1, v23
	v_readfirstlane_b32 s4, v4
	v_readfirstlane_b32 s5, v1
	s_waitcnt lgkmcnt(6)
	s_nop 3
	global_store_short v10, v24, s[4:5]
	s_or_b64 exec, exec, s[2:3]
	v_cmp_ge_u32_e32 vcc, v21, v16
	s_and_saveexec_b64 s[2:3], vcc
	s_cbranch_execz .LBB3445_145
.LBB3445_210:
	v_lshlrev_b32_e32 v10, 1, v21
	v_readfirstlane_b32 s4, v4
	v_readfirstlane_b32 s5, v1
	s_waitcnt lgkmcnt(5)
	s_nop 3
	global_store_short v10, v22, s[4:5]
	s_or_b64 exec, exec, s[2:3]
	v_cmp_ge_u32_e32 vcc, v19, v16
	s_and_saveexec_b64 s[2:3], vcc
	s_cbranch_execz .LBB3445_146
.LBB3445_211:
	v_lshlrev_b32_e32 v10, 1, v19
	v_readfirstlane_b32 s4, v4
	v_readfirstlane_b32 s5, v1
	s_waitcnt lgkmcnt(4)
	s_nop 3
	global_store_short v10, v20, s[4:5]
	s_or_b64 exec, exec, s[2:3]
	v_cmp_ge_u32_e32 vcc, v15, v16
	s_and_saveexec_b64 s[2:3], vcc
	s_cbranch_execz .LBB3445_147
.LBB3445_212:
	v_lshlrev_b32_e32 v10, 1, v15
	v_readfirstlane_b32 s4, v4
	v_readfirstlane_b32 s5, v1
	s_waitcnt lgkmcnt(3)
	s_nop 3
	global_store_short v10, v18, s[4:5]
	s_or_b64 exec, exec, s[2:3]
	v_cmp_ge_u32_e32 vcc, v9, v16
	s_and_saveexec_b64 s[2:3], vcc
	s_cbranch_execz .LBB3445_148
.LBB3445_213:
	v_lshlrev_b32_e32 v10, 1, v9
	v_readfirstlane_b32 s4, v4
	v_readfirstlane_b32 s5, v1
	s_waitcnt lgkmcnt(2)
	s_nop 3
	global_store_short v10, v14, s[4:5]
	s_or_b64 exec, exec, s[2:3]
	v_cmp_ge_u32_e32 vcc, v8, v16
	s_and_saveexec_b64 s[2:3], vcc
	s_cbranch_execnz .LBB3445_149
	s_branch .LBB3445_150
	.section	.rodata,"a",@progbits
	.p2align	6, 0x0
	.amdhsa_kernel _ZN7rocprim17ROCPRIM_400000_NS6detail17trampoline_kernelINS0_14default_configENS1_25partition_config_selectorILNS1_17partition_subalgoE1EsNS0_10empty_typeEbEEZZNS1_14partition_implILS5_1ELb0ES3_jN6thrust23THRUST_200600_302600_NS6detail15normal_iteratorINSA_10device_ptrIsEEEEPS6_NSA_18transform_iteratorI7is_evenIsESF_NSA_11use_defaultESK_EENS0_5tupleIJNSA_16discard_iteratorISK_EESF_EEENSM_IJSG_SG_EEES6_PlJS6_EEE10hipError_tPvRmT3_T4_T5_T6_T7_T9_mT8_P12ihipStream_tbDpT10_ENKUlT_T0_E_clISt17integral_constantIbLb0EES1A_IbLb1EEEEDaS16_S17_EUlS16_E_NS1_11comp_targetILNS1_3genE4ELNS1_11target_archE910ELNS1_3gpuE8ELNS1_3repE0EEENS1_30default_config_static_selectorELNS0_4arch9wavefront6targetE1EEEvT1_
		.amdhsa_group_segment_fixed_size 10248
		.amdhsa_private_segment_fixed_size 0
		.amdhsa_kernarg_size 152
		.amdhsa_user_sgpr_count 6
		.amdhsa_user_sgpr_private_segment_buffer 1
		.amdhsa_user_sgpr_dispatch_ptr 0
		.amdhsa_user_sgpr_queue_ptr 0
		.amdhsa_user_sgpr_kernarg_segment_ptr 1
		.amdhsa_user_sgpr_dispatch_id 0
		.amdhsa_user_sgpr_flat_scratch_init 0
		.amdhsa_user_sgpr_kernarg_preload_length 0
		.amdhsa_user_sgpr_kernarg_preload_offset 0
		.amdhsa_user_sgpr_private_segment_size 0
		.amdhsa_uses_dynamic_stack 0
		.amdhsa_system_sgpr_private_segment_wavefront_offset 0
		.amdhsa_system_sgpr_workgroup_id_x 1
		.amdhsa_system_sgpr_workgroup_id_y 0
		.amdhsa_system_sgpr_workgroup_id_z 0
		.amdhsa_system_sgpr_workgroup_info 0
		.amdhsa_system_vgpr_workitem_id 0
		.amdhsa_next_free_vgpr 69
		.amdhsa_next_free_sgpr 42
		.amdhsa_accum_offset 72
		.amdhsa_reserve_vcc 1
		.amdhsa_reserve_flat_scratch 0
		.amdhsa_float_round_mode_32 0
		.amdhsa_float_round_mode_16_64 0
		.amdhsa_float_denorm_mode_32 3
		.amdhsa_float_denorm_mode_16_64 3
		.amdhsa_dx10_clamp 1
		.amdhsa_ieee_mode 1
		.amdhsa_fp16_overflow 0
		.amdhsa_tg_split 0
		.amdhsa_exception_fp_ieee_invalid_op 0
		.amdhsa_exception_fp_denorm_src 0
		.amdhsa_exception_fp_ieee_div_zero 0
		.amdhsa_exception_fp_ieee_overflow 0
		.amdhsa_exception_fp_ieee_underflow 0
		.amdhsa_exception_fp_ieee_inexact 0
		.amdhsa_exception_int_div_zero 0
	.end_amdhsa_kernel
	.section	.text._ZN7rocprim17ROCPRIM_400000_NS6detail17trampoline_kernelINS0_14default_configENS1_25partition_config_selectorILNS1_17partition_subalgoE1EsNS0_10empty_typeEbEEZZNS1_14partition_implILS5_1ELb0ES3_jN6thrust23THRUST_200600_302600_NS6detail15normal_iteratorINSA_10device_ptrIsEEEEPS6_NSA_18transform_iteratorI7is_evenIsESF_NSA_11use_defaultESK_EENS0_5tupleIJNSA_16discard_iteratorISK_EESF_EEENSM_IJSG_SG_EEES6_PlJS6_EEE10hipError_tPvRmT3_T4_T5_T6_T7_T9_mT8_P12ihipStream_tbDpT10_ENKUlT_T0_E_clISt17integral_constantIbLb0EES1A_IbLb1EEEEDaS16_S17_EUlS16_E_NS1_11comp_targetILNS1_3genE4ELNS1_11target_archE910ELNS1_3gpuE8ELNS1_3repE0EEENS1_30default_config_static_selectorELNS0_4arch9wavefront6targetE1EEEvT1_,"axG",@progbits,_ZN7rocprim17ROCPRIM_400000_NS6detail17trampoline_kernelINS0_14default_configENS1_25partition_config_selectorILNS1_17partition_subalgoE1EsNS0_10empty_typeEbEEZZNS1_14partition_implILS5_1ELb0ES3_jN6thrust23THRUST_200600_302600_NS6detail15normal_iteratorINSA_10device_ptrIsEEEEPS6_NSA_18transform_iteratorI7is_evenIsESF_NSA_11use_defaultESK_EENS0_5tupleIJNSA_16discard_iteratorISK_EESF_EEENSM_IJSG_SG_EEES6_PlJS6_EEE10hipError_tPvRmT3_T4_T5_T6_T7_T9_mT8_P12ihipStream_tbDpT10_ENKUlT_T0_E_clISt17integral_constantIbLb0EES1A_IbLb1EEEEDaS16_S17_EUlS16_E_NS1_11comp_targetILNS1_3genE4ELNS1_11target_archE910ELNS1_3gpuE8ELNS1_3repE0EEENS1_30default_config_static_selectorELNS0_4arch9wavefront6targetE1EEEvT1_,comdat
.Lfunc_end3445:
	.size	_ZN7rocprim17ROCPRIM_400000_NS6detail17trampoline_kernelINS0_14default_configENS1_25partition_config_selectorILNS1_17partition_subalgoE1EsNS0_10empty_typeEbEEZZNS1_14partition_implILS5_1ELb0ES3_jN6thrust23THRUST_200600_302600_NS6detail15normal_iteratorINSA_10device_ptrIsEEEEPS6_NSA_18transform_iteratorI7is_evenIsESF_NSA_11use_defaultESK_EENS0_5tupleIJNSA_16discard_iteratorISK_EESF_EEENSM_IJSG_SG_EEES6_PlJS6_EEE10hipError_tPvRmT3_T4_T5_T6_T7_T9_mT8_P12ihipStream_tbDpT10_ENKUlT_T0_E_clISt17integral_constantIbLb0EES1A_IbLb1EEEEDaS16_S17_EUlS16_E_NS1_11comp_targetILNS1_3genE4ELNS1_11target_archE910ELNS1_3gpuE8ELNS1_3repE0EEENS1_30default_config_static_selectorELNS0_4arch9wavefront6targetE1EEEvT1_, .Lfunc_end3445-_ZN7rocprim17ROCPRIM_400000_NS6detail17trampoline_kernelINS0_14default_configENS1_25partition_config_selectorILNS1_17partition_subalgoE1EsNS0_10empty_typeEbEEZZNS1_14partition_implILS5_1ELb0ES3_jN6thrust23THRUST_200600_302600_NS6detail15normal_iteratorINSA_10device_ptrIsEEEEPS6_NSA_18transform_iteratorI7is_evenIsESF_NSA_11use_defaultESK_EENS0_5tupleIJNSA_16discard_iteratorISK_EESF_EEENSM_IJSG_SG_EEES6_PlJS6_EEE10hipError_tPvRmT3_T4_T5_T6_T7_T9_mT8_P12ihipStream_tbDpT10_ENKUlT_T0_E_clISt17integral_constantIbLb0EES1A_IbLb1EEEEDaS16_S17_EUlS16_E_NS1_11comp_targetILNS1_3genE4ELNS1_11target_archE910ELNS1_3gpuE8ELNS1_3repE0EEENS1_30default_config_static_selectorELNS0_4arch9wavefront6targetE1EEEvT1_
                                        ; -- End function
	.section	.AMDGPU.csdata,"",@progbits
; Kernel info:
; codeLenInByte = 9460
; NumSgprs: 46
; NumVgprs: 69
; NumAgprs: 0
; TotalNumVgprs: 69
; ScratchSize: 0
; MemoryBound: 0
; FloatMode: 240
; IeeeMode: 1
; LDSByteSize: 10248 bytes/workgroup (compile time only)
; SGPRBlocks: 5
; VGPRBlocks: 8
; NumSGPRsForWavesPerEU: 46
; NumVGPRsForWavesPerEU: 69
; AccumOffset: 72
; Occupancy: 6
; WaveLimiterHint : 1
; COMPUTE_PGM_RSRC2:SCRATCH_EN: 0
; COMPUTE_PGM_RSRC2:USER_SGPR: 6
; COMPUTE_PGM_RSRC2:TRAP_HANDLER: 0
; COMPUTE_PGM_RSRC2:TGID_X_EN: 1
; COMPUTE_PGM_RSRC2:TGID_Y_EN: 0
; COMPUTE_PGM_RSRC2:TGID_Z_EN: 0
; COMPUTE_PGM_RSRC2:TIDIG_COMP_CNT: 0
; COMPUTE_PGM_RSRC3_GFX90A:ACCUM_OFFSET: 17
; COMPUTE_PGM_RSRC3_GFX90A:TG_SPLIT: 0
	.section	.text._ZN7rocprim17ROCPRIM_400000_NS6detail17trampoline_kernelINS0_14default_configENS1_25partition_config_selectorILNS1_17partition_subalgoE1EsNS0_10empty_typeEbEEZZNS1_14partition_implILS5_1ELb0ES3_jN6thrust23THRUST_200600_302600_NS6detail15normal_iteratorINSA_10device_ptrIsEEEEPS6_NSA_18transform_iteratorI7is_evenIsESF_NSA_11use_defaultESK_EENS0_5tupleIJNSA_16discard_iteratorISK_EESF_EEENSM_IJSG_SG_EEES6_PlJS6_EEE10hipError_tPvRmT3_T4_T5_T6_T7_T9_mT8_P12ihipStream_tbDpT10_ENKUlT_T0_E_clISt17integral_constantIbLb0EES1A_IbLb1EEEEDaS16_S17_EUlS16_E_NS1_11comp_targetILNS1_3genE3ELNS1_11target_archE908ELNS1_3gpuE7ELNS1_3repE0EEENS1_30default_config_static_selectorELNS0_4arch9wavefront6targetE1EEEvT1_,"axG",@progbits,_ZN7rocprim17ROCPRIM_400000_NS6detail17trampoline_kernelINS0_14default_configENS1_25partition_config_selectorILNS1_17partition_subalgoE1EsNS0_10empty_typeEbEEZZNS1_14partition_implILS5_1ELb0ES3_jN6thrust23THRUST_200600_302600_NS6detail15normal_iteratorINSA_10device_ptrIsEEEEPS6_NSA_18transform_iteratorI7is_evenIsESF_NSA_11use_defaultESK_EENS0_5tupleIJNSA_16discard_iteratorISK_EESF_EEENSM_IJSG_SG_EEES6_PlJS6_EEE10hipError_tPvRmT3_T4_T5_T6_T7_T9_mT8_P12ihipStream_tbDpT10_ENKUlT_T0_E_clISt17integral_constantIbLb0EES1A_IbLb1EEEEDaS16_S17_EUlS16_E_NS1_11comp_targetILNS1_3genE3ELNS1_11target_archE908ELNS1_3gpuE7ELNS1_3repE0EEENS1_30default_config_static_selectorELNS0_4arch9wavefront6targetE1EEEvT1_,comdat
	.protected	_ZN7rocprim17ROCPRIM_400000_NS6detail17trampoline_kernelINS0_14default_configENS1_25partition_config_selectorILNS1_17partition_subalgoE1EsNS0_10empty_typeEbEEZZNS1_14partition_implILS5_1ELb0ES3_jN6thrust23THRUST_200600_302600_NS6detail15normal_iteratorINSA_10device_ptrIsEEEEPS6_NSA_18transform_iteratorI7is_evenIsESF_NSA_11use_defaultESK_EENS0_5tupleIJNSA_16discard_iteratorISK_EESF_EEENSM_IJSG_SG_EEES6_PlJS6_EEE10hipError_tPvRmT3_T4_T5_T6_T7_T9_mT8_P12ihipStream_tbDpT10_ENKUlT_T0_E_clISt17integral_constantIbLb0EES1A_IbLb1EEEEDaS16_S17_EUlS16_E_NS1_11comp_targetILNS1_3genE3ELNS1_11target_archE908ELNS1_3gpuE7ELNS1_3repE0EEENS1_30default_config_static_selectorELNS0_4arch9wavefront6targetE1EEEvT1_ ; -- Begin function _ZN7rocprim17ROCPRIM_400000_NS6detail17trampoline_kernelINS0_14default_configENS1_25partition_config_selectorILNS1_17partition_subalgoE1EsNS0_10empty_typeEbEEZZNS1_14partition_implILS5_1ELb0ES3_jN6thrust23THRUST_200600_302600_NS6detail15normal_iteratorINSA_10device_ptrIsEEEEPS6_NSA_18transform_iteratorI7is_evenIsESF_NSA_11use_defaultESK_EENS0_5tupleIJNSA_16discard_iteratorISK_EESF_EEENSM_IJSG_SG_EEES6_PlJS6_EEE10hipError_tPvRmT3_T4_T5_T6_T7_T9_mT8_P12ihipStream_tbDpT10_ENKUlT_T0_E_clISt17integral_constantIbLb0EES1A_IbLb1EEEEDaS16_S17_EUlS16_E_NS1_11comp_targetILNS1_3genE3ELNS1_11target_archE908ELNS1_3gpuE7ELNS1_3repE0EEENS1_30default_config_static_selectorELNS0_4arch9wavefront6targetE1EEEvT1_
	.globl	_ZN7rocprim17ROCPRIM_400000_NS6detail17trampoline_kernelINS0_14default_configENS1_25partition_config_selectorILNS1_17partition_subalgoE1EsNS0_10empty_typeEbEEZZNS1_14partition_implILS5_1ELb0ES3_jN6thrust23THRUST_200600_302600_NS6detail15normal_iteratorINSA_10device_ptrIsEEEEPS6_NSA_18transform_iteratorI7is_evenIsESF_NSA_11use_defaultESK_EENS0_5tupleIJNSA_16discard_iteratorISK_EESF_EEENSM_IJSG_SG_EEES6_PlJS6_EEE10hipError_tPvRmT3_T4_T5_T6_T7_T9_mT8_P12ihipStream_tbDpT10_ENKUlT_T0_E_clISt17integral_constantIbLb0EES1A_IbLb1EEEEDaS16_S17_EUlS16_E_NS1_11comp_targetILNS1_3genE3ELNS1_11target_archE908ELNS1_3gpuE7ELNS1_3repE0EEENS1_30default_config_static_selectorELNS0_4arch9wavefront6targetE1EEEvT1_
	.p2align	8
	.type	_ZN7rocprim17ROCPRIM_400000_NS6detail17trampoline_kernelINS0_14default_configENS1_25partition_config_selectorILNS1_17partition_subalgoE1EsNS0_10empty_typeEbEEZZNS1_14partition_implILS5_1ELb0ES3_jN6thrust23THRUST_200600_302600_NS6detail15normal_iteratorINSA_10device_ptrIsEEEEPS6_NSA_18transform_iteratorI7is_evenIsESF_NSA_11use_defaultESK_EENS0_5tupleIJNSA_16discard_iteratorISK_EESF_EEENSM_IJSG_SG_EEES6_PlJS6_EEE10hipError_tPvRmT3_T4_T5_T6_T7_T9_mT8_P12ihipStream_tbDpT10_ENKUlT_T0_E_clISt17integral_constantIbLb0EES1A_IbLb1EEEEDaS16_S17_EUlS16_E_NS1_11comp_targetILNS1_3genE3ELNS1_11target_archE908ELNS1_3gpuE7ELNS1_3repE0EEENS1_30default_config_static_selectorELNS0_4arch9wavefront6targetE1EEEvT1_,@function
_ZN7rocprim17ROCPRIM_400000_NS6detail17trampoline_kernelINS0_14default_configENS1_25partition_config_selectorILNS1_17partition_subalgoE1EsNS0_10empty_typeEbEEZZNS1_14partition_implILS5_1ELb0ES3_jN6thrust23THRUST_200600_302600_NS6detail15normal_iteratorINSA_10device_ptrIsEEEEPS6_NSA_18transform_iteratorI7is_evenIsESF_NSA_11use_defaultESK_EENS0_5tupleIJNSA_16discard_iteratorISK_EESF_EEENSM_IJSG_SG_EEES6_PlJS6_EEE10hipError_tPvRmT3_T4_T5_T6_T7_T9_mT8_P12ihipStream_tbDpT10_ENKUlT_T0_E_clISt17integral_constantIbLb0EES1A_IbLb1EEEEDaS16_S17_EUlS16_E_NS1_11comp_targetILNS1_3genE3ELNS1_11target_archE908ELNS1_3gpuE7ELNS1_3repE0EEENS1_30default_config_static_selectorELNS0_4arch9wavefront6targetE1EEEvT1_: ; @_ZN7rocprim17ROCPRIM_400000_NS6detail17trampoline_kernelINS0_14default_configENS1_25partition_config_selectorILNS1_17partition_subalgoE1EsNS0_10empty_typeEbEEZZNS1_14partition_implILS5_1ELb0ES3_jN6thrust23THRUST_200600_302600_NS6detail15normal_iteratorINSA_10device_ptrIsEEEEPS6_NSA_18transform_iteratorI7is_evenIsESF_NSA_11use_defaultESK_EENS0_5tupleIJNSA_16discard_iteratorISK_EESF_EEENSM_IJSG_SG_EEES6_PlJS6_EEE10hipError_tPvRmT3_T4_T5_T6_T7_T9_mT8_P12ihipStream_tbDpT10_ENKUlT_T0_E_clISt17integral_constantIbLb0EES1A_IbLb1EEEEDaS16_S17_EUlS16_E_NS1_11comp_targetILNS1_3genE3ELNS1_11target_archE908ELNS1_3gpuE7ELNS1_3repE0EEENS1_30default_config_static_selectorELNS0_4arch9wavefront6targetE1EEEvT1_
; %bb.0:
	.section	.rodata,"a",@progbits
	.p2align	6, 0x0
	.amdhsa_kernel _ZN7rocprim17ROCPRIM_400000_NS6detail17trampoline_kernelINS0_14default_configENS1_25partition_config_selectorILNS1_17partition_subalgoE1EsNS0_10empty_typeEbEEZZNS1_14partition_implILS5_1ELb0ES3_jN6thrust23THRUST_200600_302600_NS6detail15normal_iteratorINSA_10device_ptrIsEEEEPS6_NSA_18transform_iteratorI7is_evenIsESF_NSA_11use_defaultESK_EENS0_5tupleIJNSA_16discard_iteratorISK_EESF_EEENSM_IJSG_SG_EEES6_PlJS6_EEE10hipError_tPvRmT3_T4_T5_T6_T7_T9_mT8_P12ihipStream_tbDpT10_ENKUlT_T0_E_clISt17integral_constantIbLb0EES1A_IbLb1EEEEDaS16_S17_EUlS16_E_NS1_11comp_targetILNS1_3genE3ELNS1_11target_archE908ELNS1_3gpuE7ELNS1_3repE0EEENS1_30default_config_static_selectorELNS0_4arch9wavefront6targetE1EEEvT1_
		.amdhsa_group_segment_fixed_size 0
		.amdhsa_private_segment_fixed_size 0
		.amdhsa_kernarg_size 152
		.amdhsa_user_sgpr_count 6
		.amdhsa_user_sgpr_private_segment_buffer 1
		.amdhsa_user_sgpr_dispatch_ptr 0
		.amdhsa_user_sgpr_queue_ptr 0
		.amdhsa_user_sgpr_kernarg_segment_ptr 1
		.amdhsa_user_sgpr_dispatch_id 0
		.amdhsa_user_sgpr_flat_scratch_init 0
		.amdhsa_user_sgpr_kernarg_preload_length 0
		.amdhsa_user_sgpr_kernarg_preload_offset 0
		.amdhsa_user_sgpr_private_segment_size 0
		.amdhsa_uses_dynamic_stack 0
		.amdhsa_system_sgpr_private_segment_wavefront_offset 0
		.amdhsa_system_sgpr_workgroup_id_x 1
		.amdhsa_system_sgpr_workgroup_id_y 0
		.amdhsa_system_sgpr_workgroup_id_z 0
		.amdhsa_system_sgpr_workgroup_info 0
		.amdhsa_system_vgpr_workitem_id 0
		.amdhsa_next_free_vgpr 1
		.amdhsa_next_free_sgpr 0
		.amdhsa_accum_offset 4
		.amdhsa_reserve_vcc 0
		.amdhsa_reserve_flat_scratch 0
		.amdhsa_float_round_mode_32 0
		.amdhsa_float_round_mode_16_64 0
		.amdhsa_float_denorm_mode_32 3
		.amdhsa_float_denorm_mode_16_64 3
		.amdhsa_dx10_clamp 1
		.amdhsa_ieee_mode 1
		.amdhsa_fp16_overflow 0
		.amdhsa_tg_split 0
		.amdhsa_exception_fp_ieee_invalid_op 0
		.amdhsa_exception_fp_denorm_src 0
		.amdhsa_exception_fp_ieee_div_zero 0
		.amdhsa_exception_fp_ieee_overflow 0
		.amdhsa_exception_fp_ieee_underflow 0
		.amdhsa_exception_fp_ieee_inexact 0
		.amdhsa_exception_int_div_zero 0
	.end_amdhsa_kernel
	.section	.text._ZN7rocprim17ROCPRIM_400000_NS6detail17trampoline_kernelINS0_14default_configENS1_25partition_config_selectorILNS1_17partition_subalgoE1EsNS0_10empty_typeEbEEZZNS1_14partition_implILS5_1ELb0ES3_jN6thrust23THRUST_200600_302600_NS6detail15normal_iteratorINSA_10device_ptrIsEEEEPS6_NSA_18transform_iteratorI7is_evenIsESF_NSA_11use_defaultESK_EENS0_5tupleIJNSA_16discard_iteratorISK_EESF_EEENSM_IJSG_SG_EEES6_PlJS6_EEE10hipError_tPvRmT3_T4_T5_T6_T7_T9_mT8_P12ihipStream_tbDpT10_ENKUlT_T0_E_clISt17integral_constantIbLb0EES1A_IbLb1EEEEDaS16_S17_EUlS16_E_NS1_11comp_targetILNS1_3genE3ELNS1_11target_archE908ELNS1_3gpuE7ELNS1_3repE0EEENS1_30default_config_static_selectorELNS0_4arch9wavefront6targetE1EEEvT1_,"axG",@progbits,_ZN7rocprim17ROCPRIM_400000_NS6detail17trampoline_kernelINS0_14default_configENS1_25partition_config_selectorILNS1_17partition_subalgoE1EsNS0_10empty_typeEbEEZZNS1_14partition_implILS5_1ELb0ES3_jN6thrust23THRUST_200600_302600_NS6detail15normal_iteratorINSA_10device_ptrIsEEEEPS6_NSA_18transform_iteratorI7is_evenIsESF_NSA_11use_defaultESK_EENS0_5tupleIJNSA_16discard_iteratorISK_EESF_EEENSM_IJSG_SG_EEES6_PlJS6_EEE10hipError_tPvRmT3_T4_T5_T6_T7_T9_mT8_P12ihipStream_tbDpT10_ENKUlT_T0_E_clISt17integral_constantIbLb0EES1A_IbLb1EEEEDaS16_S17_EUlS16_E_NS1_11comp_targetILNS1_3genE3ELNS1_11target_archE908ELNS1_3gpuE7ELNS1_3repE0EEENS1_30default_config_static_selectorELNS0_4arch9wavefront6targetE1EEEvT1_,comdat
.Lfunc_end3446:
	.size	_ZN7rocprim17ROCPRIM_400000_NS6detail17trampoline_kernelINS0_14default_configENS1_25partition_config_selectorILNS1_17partition_subalgoE1EsNS0_10empty_typeEbEEZZNS1_14partition_implILS5_1ELb0ES3_jN6thrust23THRUST_200600_302600_NS6detail15normal_iteratorINSA_10device_ptrIsEEEEPS6_NSA_18transform_iteratorI7is_evenIsESF_NSA_11use_defaultESK_EENS0_5tupleIJNSA_16discard_iteratorISK_EESF_EEENSM_IJSG_SG_EEES6_PlJS6_EEE10hipError_tPvRmT3_T4_T5_T6_T7_T9_mT8_P12ihipStream_tbDpT10_ENKUlT_T0_E_clISt17integral_constantIbLb0EES1A_IbLb1EEEEDaS16_S17_EUlS16_E_NS1_11comp_targetILNS1_3genE3ELNS1_11target_archE908ELNS1_3gpuE7ELNS1_3repE0EEENS1_30default_config_static_selectorELNS0_4arch9wavefront6targetE1EEEvT1_, .Lfunc_end3446-_ZN7rocprim17ROCPRIM_400000_NS6detail17trampoline_kernelINS0_14default_configENS1_25partition_config_selectorILNS1_17partition_subalgoE1EsNS0_10empty_typeEbEEZZNS1_14partition_implILS5_1ELb0ES3_jN6thrust23THRUST_200600_302600_NS6detail15normal_iteratorINSA_10device_ptrIsEEEEPS6_NSA_18transform_iteratorI7is_evenIsESF_NSA_11use_defaultESK_EENS0_5tupleIJNSA_16discard_iteratorISK_EESF_EEENSM_IJSG_SG_EEES6_PlJS6_EEE10hipError_tPvRmT3_T4_T5_T6_T7_T9_mT8_P12ihipStream_tbDpT10_ENKUlT_T0_E_clISt17integral_constantIbLb0EES1A_IbLb1EEEEDaS16_S17_EUlS16_E_NS1_11comp_targetILNS1_3genE3ELNS1_11target_archE908ELNS1_3gpuE7ELNS1_3repE0EEENS1_30default_config_static_selectorELNS0_4arch9wavefront6targetE1EEEvT1_
                                        ; -- End function
	.section	.AMDGPU.csdata,"",@progbits
; Kernel info:
; codeLenInByte = 0
; NumSgprs: 4
; NumVgprs: 0
; NumAgprs: 0
; TotalNumVgprs: 0
; ScratchSize: 0
; MemoryBound: 0
; FloatMode: 240
; IeeeMode: 1
; LDSByteSize: 0 bytes/workgroup (compile time only)
; SGPRBlocks: 0
; VGPRBlocks: 0
; NumSGPRsForWavesPerEU: 4
; NumVGPRsForWavesPerEU: 1
; AccumOffset: 4
; Occupancy: 8
; WaveLimiterHint : 0
; COMPUTE_PGM_RSRC2:SCRATCH_EN: 0
; COMPUTE_PGM_RSRC2:USER_SGPR: 6
; COMPUTE_PGM_RSRC2:TRAP_HANDLER: 0
; COMPUTE_PGM_RSRC2:TGID_X_EN: 1
; COMPUTE_PGM_RSRC2:TGID_Y_EN: 0
; COMPUTE_PGM_RSRC2:TGID_Z_EN: 0
; COMPUTE_PGM_RSRC2:TIDIG_COMP_CNT: 0
; COMPUTE_PGM_RSRC3_GFX90A:ACCUM_OFFSET: 0
; COMPUTE_PGM_RSRC3_GFX90A:TG_SPLIT: 0
	.section	.text._ZN7rocprim17ROCPRIM_400000_NS6detail17trampoline_kernelINS0_14default_configENS1_25partition_config_selectorILNS1_17partition_subalgoE1EsNS0_10empty_typeEbEEZZNS1_14partition_implILS5_1ELb0ES3_jN6thrust23THRUST_200600_302600_NS6detail15normal_iteratorINSA_10device_ptrIsEEEEPS6_NSA_18transform_iteratorI7is_evenIsESF_NSA_11use_defaultESK_EENS0_5tupleIJNSA_16discard_iteratorISK_EESF_EEENSM_IJSG_SG_EEES6_PlJS6_EEE10hipError_tPvRmT3_T4_T5_T6_T7_T9_mT8_P12ihipStream_tbDpT10_ENKUlT_T0_E_clISt17integral_constantIbLb0EES1A_IbLb1EEEEDaS16_S17_EUlS16_E_NS1_11comp_targetILNS1_3genE2ELNS1_11target_archE906ELNS1_3gpuE6ELNS1_3repE0EEENS1_30default_config_static_selectorELNS0_4arch9wavefront6targetE1EEEvT1_,"axG",@progbits,_ZN7rocprim17ROCPRIM_400000_NS6detail17trampoline_kernelINS0_14default_configENS1_25partition_config_selectorILNS1_17partition_subalgoE1EsNS0_10empty_typeEbEEZZNS1_14partition_implILS5_1ELb0ES3_jN6thrust23THRUST_200600_302600_NS6detail15normal_iteratorINSA_10device_ptrIsEEEEPS6_NSA_18transform_iteratorI7is_evenIsESF_NSA_11use_defaultESK_EENS0_5tupleIJNSA_16discard_iteratorISK_EESF_EEENSM_IJSG_SG_EEES6_PlJS6_EEE10hipError_tPvRmT3_T4_T5_T6_T7_T9_mT8_P12ihipStream_tbDpT10_ENKUlT_T0_E_clISt17integral_constantIbLb0EES1A_IbLb1EEEEDaS16_S17_EUlS16_E_NS1_11comp_targetILNS1_3genE2ELNS1_11target_archE906ELNS1_3gpuE6ELNS1_3repE0EEENS1_30default_config_static_selectorELNS0_4arch9wavefront6targetE1EEEvT1_,comdat
	.protected	_ZN7rocprim17ROCPRIM_400000_NS6detail17trampoline_kernelINS0_14default_configENS1_25partition_config_selectorILNS1_17partition_subalgoE1EsNS0_10empty_typeEbEEZZNS1_14partition_implILS5_1ELb0ES3_jN6thrust23THRUST_200600_302600_NS6detail15normal_iteratorINSA_10device_ptrIsEEEEPS6_NSA_18transform_iteratorI7is_evenIsESF_NSA_11use_defaultESK_EENS0_5tupleIJNSA_16discard_iteratorISK_EESF_EEENSM_IJSG_SG_EEES6_PlJS6_EEE10hipError_tPvRmT3_T4_T5_T6_T7_T9_mT8_P12ihipStream_tbDpT10_ENKUlT_T0_E_clISt17integral_constantIbLb0EES1A_IbLb1EEEEDaS16_S17_EUlS16_E_NS1_11comp_targetILNS1_3genE2ELNS1_11target_archE906ELNS1_3gpuE6ELNS1_3repE0EEENS1_30default_config_static_selectorELNS0_4arch9wavefront6targetE1EEEvT1_ ; -- Begin function _ZN7rocprim17ROCPRIM_400000_NS6detail17trampoline_kernelINS0_14default_configENS1_25partition_config_selectorILNS1_17partition_subalgoE1EsNS0_10empty_typeEbEEZZNS1_14partition_implILS5_1ELb0ES3_jN6thrust23THRUST_200600_302600_NS6detail15normal_iteratorINSA_10device_ptrIsEEEEPS6_NSA_18transform_iteratorI7is_evenIsESF_NSA_11use_defaultESK_EENS0_5tupleIJNSA_16discard_iteratorISK_EESF_EEENSM_IJSG_SG_EEES6_PlJS6_EEE10hipError_tPvRmT3_T4_T5_T6_T7_T9_mT8_P12ihipStream_tbDpT10_ENKUlT_T0_E_clISt17integral_constantIbLb0EES1A_IbLb1EEEEDaS16_S17_EUlS16_E_NS1_11comp_targetILNS1_3genE2ELNS1_11target_archE906ELNS1_3gpuE6ELNS1_3repE0EEENS1_30default_config_static_selectorELNS0_4arch9wavefront6targetE1EEEvT1_
	.globl	_ZN7rocprim17ROCPRIM_400000_NS6detail17trampoline_kernelINS0_14default_configENS1_25partition_config_selectorILNS1_17partition_subalgoE1EsNS0_10empty_typeEbEEZZNS1_14partition_implILS5_1ELb0ES3_jN6thrust23THRUST_200600_302600_NS6detail15normal_iteratorINSA_10device_ptrIsEEEEPS6_NSA_18transform_iteratorI7is_evenIsESF_NSA_11use_defaultESK_EENS0_5tupleIJNSA_16discard_iteratorISK_EESF_EEENSM_IJSG_SG_EEES6_PlJS6_EEE10hipError_tPvRmT3_T4_T5_T6_T7_T9_mT8_P12ihipStream_tbDpT10_ENKUlT_T0_E_clISt17integral_constantIbLb0EES1A_IbLb1EEEEDaS16_S17_EUlS16_E_NS1_11comp_targetILNS1_3genE2ELNS1_11target_archE906ELNS1_3gpuE6ELNS1_3repE0EEENS1_30default_config_static_selectorELNS0_4arch9wavefront6targetE1EEEvT1_
	.p2align	8
	.type	_ZN7rocprim17ROCPRIM_400000_NS6detail17trampoline_kernelINS0_14default_configENS1_25partition_config_selectorILNS1_17partition_subalgoE1EsNS0_10empty_typeEbEEZZNS1_14partition_implILS5_1ELb0ES3_jN6thrust23THRUST_200600_302600_NS6detail15normal_iteratorINSA_10device_ptrIsEEEEPS6_NSA_18transform_iteratorI7is_evenIsESF_NSA_11use_defaultESK_EENS0_5tupleIJNSA_16discard_iteratorISK_EESF_EEENSM_IJSG_SG_EEES6_PlJS6_EEE10hipError_tPvRmT3_T4_T5_T6_T7_T9_mT8_P12ihipStream_tbDpT10_ENKUlT_T0_E_clISt17integral_constantIbLb0EES1A_IbLb1EEEEDaS16_S17_EUlS16_E_NS1_11comp_targetILNS1_3genE2ELNS1_11target_archE906ELNS1_3gpuE6ELNS1_3repE0EEENS1_30default_config_static_selectorELNS0_4arch9wavefront6targetE1EEEvT1_,@function
_ZN7rocprim17ROCPRIM_400000_NS6detail17trampoline_kernelINS0_14default_configENS1_25partition_config_selectorILNS1_17partition_subalgoE1EsNS0_10empty_typeEbEEZZNS1_14partition_implILS5_1ELb0ES3_jN6thrust23THRUST_200600_302600_NS6detail15normal_iteratorINSA_10device_ptrIsEEEEPS6_NSA_18transform_iteratorI7is_evenIsESF_NSA_11use_defaultESK_EENS0_5tupleIJNSA_16discard_iteratorISK_EESF_EEENSM_IJSG_SG_EEES6_PlJS6_EEE10hipError_tPvRmT3_T4_T5_T6_T7_T9_mT8_P12ihipStream_tbDpT10_ENKUlT_T0_E_clISt17integral_constantIbLb0EES1A_IbLb1EEEEDaS16_S17_EUlS16_E_NS1_11comp_targetILNS1_3genE2ELNS1_11target_archE906ELNS1_3gpuE6ELNS1_3repE0EEENS1_30default_config_static_selectorELNS0_4arch9wavefront6targetE1EEEvT1_: ; @_ZN7rocprim17ROCPRIM_400000_NS6detail17trampoline_kernelINS0_14default_configENS1_25partition_config_selectorILNS1_17partition_subalgoE1EsNS0_10empty_typeEbEEZZNS1_14partition_implILS5_1ELb0ES3_jN6thrust23THRUST_200600_302600_NS6detail15normal_iteratorINSA_10device_ptrIsEEEEPS6_NSA_18transform_iteratorI7is_evenIsESF_NSA_11use_defaultESK_EENS0_5tupleIJNSA_16discard_iteratorISK_EESF_EEENSM_IJSG_SG_EEES6_PlJS6_EEE10hipError_tPvRmT3_T4_T5_T6_T7_T9_mT8_P12ihipStream_tbDpT10_ENKUlT_T0_E_clISt17integral_constantIbLb0EES1A_IbLb1EEEEDaS16_S17_EUlS16_E_NS1_11comp_targetILNS1_3genE2ELNS1_11target_archE906ELNS1_3gpuE6ELNS1_3repE0EEENS1_30default_config_static_selectorELNS0_4arch9wavefront6targetE1EEEvT1_
; %bb.0:
	.section	.rodata,"a",@progbits
	.p2align	6, 0x0
	.amdhsa_kernel _ZN7rocprim17ROCPRIM_400000_NS6detail17trampoline_kernelINS0_14default_configENS1_25partition_config_selectorILNS1_17partition_subalgoE1EsNS0_10empty_typeEbEEZZNS1_14partition_implILS5_1ELb0ES3_jN6thrust23THRUST_200600_302600_NS6detail15normal_iteratorINSA_10device_ptrIsEEEEPS6_NSA_18transform_iteratorI7is_evenIsESF_NSA_11use_defaultESK_EENS0_5tupleIJNSA_16discard_iteratorISK_EESF_EEENSM_IJSG_SG_EEES6_PlJS6_EEE10hipError_tPvRmT3_T4_T5_T6_T7_T9_mT8_P12ihipStream_tbDpT10_ENKUlT_T0_E_clISt17integral_constantIbLb0EES1A_IbLb1EEEEDaS16_S17_EUlS16_E_NS1_11comp_targetILNS1_3genE2ELNS1_11target_archE906ELNS1_3gpuE6ELNS1_3repE0EEENS1_30default_config_static_selectorELNS0_4arch9wavefront6targetE1EEEvT1_
		.amdhsa_group_segment_fixed_size 0
		.amdhsa_private_segment_fixed_size 0
		.amdhsa_kernarg_size 152
		.amdhsa_user_sgpr_count 6
		.amdhsa_user_sgpr_private_segment_buffer 1
		.amdhsa_user_sgpr_dispatch_ptr 0
		.amdhsa_user_sgpr_queue_ptr 0
		.amdhsa_user_sgpr_kernarg_segment_ptr 1
		.amdhsa_user_sgpr_dispatch_id 0
		.amdhsa_user_sgpr_flat_scratch_init 0
		.amdhsa_user_sgpr_kernarg_preload_length 0
		.amdhsa_user_sgpr_kernarg_preload_offset 0
		.amdhsa_user_sgpr_private_segment_size 0
		.amdhsa_uses_dynamic_stack 0
		.amdhsa_system_sgpr_private_segment_wavefront_offset 0
		.amdhsa_system_sgpr_workgroup_id_x 1
		.amdhsa_system_sgpr_workgroup_id_y 0
		.amdhsa_system_sgpr_workgroup_id_z 0
		.amdhsa_system_sgpr_workgroup_info 0
		.amdhsa_system_vgpr_workitem_id 0
		.amdhsa_next_free_vgpr 1
		.amdhsa_next_free_sgpr 0
		.amdhsa_accum_offset 4
		.amdhsa_reserve_vcc 0
		.amdhsa_reserve_flat_scratch 0
		.amdhsa_float_round_mode_32 0
		.amdhsa_float_round_mode_16_64 0
		.amdhsa_float_denorm_mode_32 3
		.amdhsa_float_denorm_mode_16_64 3
		.amdhsa_dx10_clamp 1
		.amdhsa_ieee_mode 1
		.amdhsa_fp16_overflow 0
		.amdhsa_tg_split 0
		.amdhsa_exception_fp_ieee_invalid_op 0
		.amdhsa_exception_fp_denorm_src 0
		.amdhsa_exception_fp_ieee_div_zero 0
		.amdhsa_exception_fp_ieee_overflow 0
		.amdhsa_exception_fp_ieee_underflow 0
		.amdhsa_exception_fp_ieee_inexact 0
		.amdhsa_exception_int_div_zero 0
	.end_amdhsa_kernel
	.section	.text._ZN7rocprim17ROCPRIM_400000_NS6detail17trampoline_kernelINS0_14default_configENS1_25partition_config_selectorILNS1_17partition_subalgoE1EsNS0_10empty_typeEbEEZZNS1_14partition_implILS5_1ELb0ES3_jN6thrust23THRUST_200600_302600_NS6detail15normal_iteratorINSA_10device_ptrIsEEEEPS6_NSA_18transform_iteratorI7is_evenIsESF_NSA_11use_defaultESK_EENS0_5tupleIJNSA_16discard_iteratorISK_EESF_EEENSM_IJSG_SG_EEES6_PlJS6_EEE10hipError_tPvRmT3_T4_T5_T6_T7_T9_mT8_P12ihipStream_tbDpT10_ENKUlT_T0_E_clISt17integral_constantIbLb0EES1A_IbLb1EEEEDaS16_S17_EUlS16_E_NS1_11comp_targetILNS1_3genE2ELNS1_11target_archE906ELNS1_3gpuE6ELNS1_3repE0EEENS1_30default_config_static_selectorELNS0_4arch9wavefront6targetE1EEEvT1_,"axG",@progbits,_ZN7rocprim17ROCPRIM_400000_NS6detail17trampoline_kernelINS0_14default_configENS1_25partition_config_selectorILNS1_17partition_subalgoE1EsNS0_10empty_typeEbEEZZNS1_14partition_implILS5_1ELb0ES3_jN6thrust23THRUST_200600_302600_NS6detail15normal_iteratorINSA_10device_ptrIsEEEEPS6_NSA_18transform_iteratorI7is_evenIsESF_NSA_11use_defaultESK_EENS0_5tupleIJNSA_16discard_iteratorISK_EESF_EEENSM_IJSG_SG_EEES6_PlJS6_EEE10hipError_tPvRmT3_T4_T5_T6_T7_T9_mT8_P12ihipStream_tbDpT10_ENKUlT_T0_E_clISt17integral_constantIbLb0EES1A_IbLb1EEEEDaS16_S17_EUlS16_E_NS1_11comp_targetILNS1_3genE2ELNS1_11target_archE906ELNS1_3gpuE6ELNS1_3repE0EEENS1_30default_config_static_selectorELNS0_4arch9wavefront6targetE1EEEvT1_,comdat
.Lfunc_end3447:
	.size	_ZN7rocprim17ROCPRIM_400000_NS6detail17trampoline_kernelINS0_14default_configENS1_25partition_config_selectorILNS1_17partition_subalgoE1EsNS0_10empty_typeEbEEZZNS1_14partition_implILS5_1ELb0ES3_jN6thrust23THRUST_200600_302600_NS6detail15normal_iteratorINSA_10device_ptrIsEEEEPS6_NSA_18transform_iteratorI7is_evenIsESF_NSA_11use_defaultESK_EENS0_5tupleIJNSA_16discard_iteratorISK_EESF_EEENSM_IJSG_SG_EEES6_PlJS6_EEE10hipError_tPvRmT3_T4_T5_T6_T7_T9_mT8_P12ihipStream_tbDpT10_ENKUlT_T0_E_clISt17integral_constantIbLb0EES1A_IbLb1EEEEDaS16_S17_EUlS16_E_NS1_11comp_targetILNS1_3genE2ELNS1_11target_archE906ELNS1_3gpuE6ELNS1_3repE0EEENS1_30default_config_static_selectorELNS0_4arch9wavefront6targetE1EEEvT1_, .Lfunc_end3447-_ZN7rocprim17ROCPRIM_400000_NS6detail17trampoline_kernelINS0_14default_configENS1_25partition_config_selectorILNS1_17partition_subalgoE1EsNS0_10empty_typeEbEEZZNS1_14partition_implILS5_1ELb0ES3_jN6thrust23THRUST_200600_302600_NS6detail15normal_iteratorINSA_10device_ptrIsEEEEPS6_NSA_18transform_iteratorI7is_evenIsESF_NSA_11use_defaultESK_EENS0_5tupleIJNSA_16discard_iteratorISK_EESF_EEENSM_IJSG_SG_EEES6_PlJS6_EEE10hipError_tPvRmT3_T4_T5_T6_T7_T9_mT8_P12ihipStream_tbDpT10_ENKUlT_T0_E_clISt17integral_constantIbLb0EES1A_IbLb1EEEEDaS16_S17_EUlS16_E_NS1_11comp_targetILNS1_3genE2ELNS1_11target_archE906ELNS1_3gpuE6ELNS1_3repE0EEENS1_30default_config_static_selectorELNS0_4arch9wavefront6targetE1EEEvT1_
                                        ; -- End function
	.section	.AMDGPU.csdata,"",@progbits
; Kernel info:
; codeLenInByte = 0
; NumSgprs: 4
; NumVgprs: 0
; NumAgprs: 0
; TotalNumVgprs: 0
; ScratchSize: 0
; MemoryBound: 0
; FloatMode: 240
; IeeeMode: 1
; LDSByteSize: 0 bytes/workgroup (compile time only)
; SGPRBlocks: 0
; VGPRBlocks: 0
; NumSGPRsForWavesPerEU: 4
; NumVGPRsForWavesPerEU: 1
; AccumOffset: 4
; Occupancy: 8
; WaveLimiterHint : 0
; COMPUTE_PGM_RSRC2:SCRATCH_EN: 0
; COMPUTE_PGM_RSRC2:USER_SGPR: 6
; COMPUTE_PGM_RSRC2:TRAP_HANDLER: 0
; COMPUTE_PGM_RSRC2:TGID_X_EN: 1
; COMPUTE_PGM_RSRC2:TGID_Y_EN: 0
; COMPUTE_PGM_RSRC2:TGID_Z_EN: 0
; COMPUTE_PGM_RSRC2:TIDIG_COMP_CNT: 0
; COMPUTE_PGM_RSRC3_GFX90A:ACCUM_OFFSET: 0
; COMPUTE_PGM_RSRC3_GFX90A:TG_SPLIT: 0
	.section	.text._ZN7rocprim17ROCPRIM_400000_NS6detail17trampoline_kernelINS0_14default_configENS1_25partition_config_selectorILNS1_17partition_subalgoE1EsNS0_10empty_typeEbEEZZNS1_14partition_implILS5_1ELb0ES3_jN6thrust23THRUST_200600_302600_NS6detail15normal_iteratorINSA_10device_ptrIsEEEEPS6_NSA_18transform_iteratorI7is_evenIsESF_NSA_11use_defaultESK_EENS0_5tupleIJNSA_16discard_iteratorISK_EESF_EEENSM_IJSG_SG_EEES6_PlJS6_EEE10hipError_tPvRmT3_T4_T5_T6_T7_T9_mT8_P12ihipStream_tbDpT10_ENKUlT_T0_E_clISt17integral_constantIbLb0EES1A_IbLb1EEEEDaS16_S17_EUlS16_E_NS1_11comp_targetILNS1_3genE10ELNS1_11target_archE1200ELNS1_3gpuE4ELNS1_3repE0EEENS1_30default_config_static_selectorELNS0_4arch9wavefront6targetE1EEEvT1_,"axG",@progbits,_ZN7rocprim17ROCPRIM_400000_NS6detail17trampoline_kernelINS0_14default_configENS1_25partition_config_selectorILNS1_17partition_subalgoE1EsNS0_10empty_typeEbEEZZNS1_14partition_implILS5_1ELb0ES3_jN6thrust23THRUST_200600_302600_NS6detail15normal_iteratorINSA_10device_ptrIsEEEEPS6_NSA_18transform_iteratorI7is_evenIsESF_NSA_11use_defaultESK_EENS0_5tupleIJNSA_16discard_iteratorISK_EESF_EEENSM_IJSG_SG_EEES6_PlJS6_EEE10hipError_tPvRmT3_T4_T5_T6_T7_T9_mT8_P12ihipStream_tbDpT10_ENKUlT_T0_E_clISt17integral_constantIbLb0EES1A_IbLb1EEEEDaS16_S17_EUlS16_E_NS1_11comp_targetILNS1_3genE10ELNS1_11target_archE1200ELNS1_3gpuE4ELNS1_3repE0EEENS1_30default_config_static_selectorELNS0_4arch9wavefront6targetE1EEEvT1_,comdat
	.protected	_ZN7rocprim17ROCPRIM_400000_NS6detail17trampoline_kernelINS0_14default_configENS1_25partition_config_selectorILNS1_17partition_subalgoE1EsNS0_10empty_typeEbEEZZNS1_14partition_implILS5_1ELb0ES3_jN6thrust23THRUST_200600_302600_NS6detail15normal_iteratorINSA_10device_ptrIsEEEEPS6_NSA_18transform_iteratorI7is_evenIsESF_NSA_11use_defaultESK_EENS0_5tupleIJNSA_16discard_iteratorISK_EESF_EEENSM_IJSG_SG_EEES6_PlJS6_EEE10hipError_tPvRmT3_T4_T5_T6_T7_T9_mT8_P12ihipStream_tbDpT10_ENKUlT_T0_E_clISt17integral_constantIbLb0EES1A_IbLb1EEEEDaS16_S17_EUlS16_E_NS1_11comp_targetILNS1_3genE10ELNS1_11target_archE1200ELNS1_3gpuE4ELNS1_3repE0EEENS1_30default_config_static_selectorELNS0_4arch9wavefront6targetE1EEEvT1_ ; -- Begin function _ZN7rocprim17ROCPRIM_400000_NS6detail17trampoline_kernelINS0_14default_configENS1_25partition_config_selectorILNS1_17partition_subalgoE1EsNS0_10empty_typeEbEEZZNS1_14partition_implILS5_1ELb0ES3_jN6thrust23THRUST_200600_302600_NS6detail15normal_iteratorINSA_10device_ptrIsEEEEPS6_NSA_18transform_iteratorI7is_evenIsESF_NSA_11use_defaultESK_EENS0_5tupleIJNSA_16discard_iteratorISK_EESF_EEENSM_IJSG_SG_EEES6_PlJS6_EEE10hipError_tPvRmT3_T4_T5_T6_T7_T9_mT8_P12ihipStream_tbDpT10_ENKUlT_T0_E_clISt17integral_constantIbLb0EES1A_IbLb1EEEEDaS16_S17_EUlS16_E_NS1_11comp_targetILNS1_3genE10ELNS1_11target_archE1200ELNS1_3gpuE4ELNS1_3repE0EEENS1_30default_config_static_selectorELNS0_4arch9wavefront6targetE1EEEvT1_
	.globl	_ZN7rocprim17ROCPRIM_400000_NS6detail17trampoline_kernelINS0_14default_configENS1_25partition_config_selectorILNS1_17partition_subalgoE1EsNS0_10empty_typeEbEEZZNS1_14partition_implILS5_1ELb0ES3_jN6thrust23THRUST_200600_302600_NS6detail15normal_iteratorINSA_10device_ptrIsEEEEPS6_NSA_18transform_iteratorI7is_evenIsESF_NSA_11use_defaultESK_EENS0_5tupleIJNSA_16discard_iteratorISK_EESF_EEENSM_IJSG_SG_EEES6_PlJS6_EEE10hipError_tPvRmT3_T4_T5_T6_T7_T9_mT8_P12ihipStream_tbDpT10_ENKUlT_T0_E_clISt17integral_constantIbLb0EES1A_IbLb1EEEEDaS16_S17_EUlS16_E_NS1_11comp_targetILNS1_3genE10ELNS1_11target_archE1200ELNS1_3gpuE4ELNS1_3repE0EEENS1_30default_config_static_selectorELNS0_4arch9wavefront6targetE1EEEvT1_
	.p2align	8
	.type	_ZN7rocprim17ROCPRIM_400000_NS6detail17trampoline_kernelINS0_14default_configENS1_25partition_config_selectorILNS1_17partition_subalgoE1EsNS0_10empty_typeEbEEZZNS1_14partition_implILS5_1ELb0ES3_jN6thrust23THRUST_200600_302600_NS6detail15normal_iteratorINSA_10device_ptrIsEEEEPS6_NSA_18transform_iteratorI7is_evenIsESF_NSA_11use_defaultESK_EENS0_5tupleIJNSA_16discard_iteratorISK_EESF_EEENSM_IJSG_SG_EEES6_PlJS6_EEE10hipError_tPvRmT3_T4_T5_T6_T7_T9_mT8_P12ihipStream_tbDpT10_ENKUlT_T0_E_clISt17integral_constantIbLb0EES1A_IbLb1EEEEDaS16_S17_EUlS16_E_NS1_11comp_targetILNS1_3genE10ELNS1_11target_archE1200ELNS1_3gpuE4ELNS1_3repE0EEENS1_30default_config_static_selectorELNS0_4arch9wavefront6targetE1EEEvT1_,@function
_ZN7rocprim17ROCPRIM_400000_NS6detail17trampoline_kernelINS0_14default_configENS1_25partition_config_selectorILNS1_17partition_subalgoE1EsNS0_10empty_typeEbEEZZNS1_14partition_implILS5_1ELb0ES3_jN6thrust23THRUST_200600_302600_NS6detail15normal_iteratorINSA_10device_ptrIsEEEEPS6_NSA_18transform_iteratorI7is_evenIsESF_NSA_11use_defaultESK_EENS0_5tupleIJNSA_16discard_iteratorISK_EESF_EEENSM_IJSG_SG_EEES6_PlJS6_EEE10hipError_tPvRmT3_T4_T5_T6_T7_T9_mT8_P12ihipStream_tbDpT10_ENKUlT_T0_E_clISt17integral_constantIbLb0EES1A_IbLb1EEEEDaS16_S17_EUlS16_E_NS1_11comp_targetILNS1_3genE10ELNS1_11target_archE1200ELNS1_3gpuE4ELNS1_3repE0EEENS1_30default_config_static_selectorELNS0_4arch9wavefront6targetE1EEEvT1_: ; @_ZN7rocprim17ROCPRIM_400000_NS6detail17trampoline_kernelINS0_14default_configENS1_25partition_config_selectorILNS1_17partition_subalgoE1EsNS0_10empty_typeEbEEZZNS1_14partition_implILS5_1ELb0ES3_jN6thrust23THRUST_200600_302600_NS6detail15normal_iteratorINSA_10device_ptrIsEEEEPS6_NSA_18transform_iteratorI7is_evenIsESF_NSA_11use_defaultESK_EENS0_5tupleIJNSA_16discard_iteratorISK_EESF_EEENSM_IJSG_SG_EEES6_PlJS6_EEE10hipError_tPvRmT3_T4_T5_T6_T7_T9_mT8_P12ihipStream_tbDpT10_ENKUlT_T0_E_clISt17integral_constantIbLb0EES1A_IbLb1EEEEDaS16_S17_EUlS16_E_NS1_11comp_targetILNS1_3genE10ELNS1_11target_archE1200ELNS1_3gpuE4ELNS1_3repE0EEENS1_30default_config_static_selectorELNS0_4arch9wavefront6targetE1EEEvT1_
; %bb.0:
	.section	.rodata,"a",@progbits
	.p2align	6, 0x0
	.amdhsa_kernel _ZN7rocprim17ROCPRIM_400000_NS6detail17trampoline_kernelINS0_14default_configENS1_25partition_config_selectorILNS1_17partition_subalgoE1EsNS0_10empty_typeEbEEZZNS1_14partition_implILS5_1ELb0ES3_jN6thrust23THRUST_200600_302600_NS6detail15normal_iteratorINSA_10device_ptrIsEEEEPS6_NSA_18transform_iteratorI7is_evenIsESF_NSA_11use_defaultESK_EENS0_5tupleIJNSA_16discard_iteratorISK_EESF_EEENSM_IJSG_SG_EEES6_PlJS6_EEE10hipError_tPvRmT3_T4_T5_T6_T7_T9_mT8_P12ihipStream_tbDpT10_ENKUlT_T0_E_clISt17integral_constantIbLb0EES1A_IbLb1EEEEDaS16_S17_EUlS16_E_NS1_11comp_targetILNS1_3genE10ELNS1_11target_archE1200ELNS1_3gpuE4ELNS1_3repE0EEENS1_30default_config_static_selectorELNS0_4arch9wavefront6targetE1EEEvT1_
		.amdhsa_group_segment_fixed_size 0
		.amdhsa_private_segment_fixed_size 0
		.amdhsa_kernarg_size 152
		.amdhsa_user_sgpr_count 6
		.amdhsa_user_sgpr_private_segment_buffer 1
		.amdhsa_user_sgpr_dispatch_ptr 0
		.amdhsa_user_sgpr_queue_ptr 0
		.amdhsa_user_sgpr_kernarg_segment_ptr 1
		.amdhsa_user_sgpr_dispatch_id 0
		.amdhsa_user_sgpr_flat_scratch_init 0
		.amdhsa_user_sgpr_kernarg_preload_length 0
		.amdhsa_user_sgpr_kernarg_preload_offset 0
		.amdhsa_user_sgpr_private_segment_size 0
		.amdhsa_uses_dynamic_stack 0
		.amdhsa_system_sgpr_private_segment_wavefront_offset 0
		.amdhsa_system_sgpr_workgroup_id_x 1
		.amdhsa_system_sgpr_workgroup_id_y 0
		.amdhsa_system_sgpr_workgroup_id_z 0
		.amdhsa_system_sgpr_workgroup_info 0
		.amdhsa_system_vgpr_workitem_id 0
		.amdhsa_next_free_vgpr 1
		.amdhsa_next_free_sgpr 0
		.amdhsa_accum_offset 4
		.amdhsa_reserve_vcc 0
		.amdhsa_reserve_flat_scratch 0
		.amdhsa_float_round_mode_32 0
		.amdhsa_float_round_mode_16_64 0
		.amdhsa_float_denorm_mode_32 3
		.amdhsa_float_denorm_mode_16_64 3
		.amdhsa_dx10_clamp 1
		.amdhsa_ieee_mode 1
		.amdhsa_fp16_overflow 0
		.amdhsa_tg_split 0
		.amdhsa_exception_fp_ieee_invalid_op 0
		.amdhsa_exception_fp_denorm_src 0
		.amdhsa_exception_fp_ieee_div_zero 0
		.amdhsa_exception_fp_ieee_overflow 0
		.amdhsa_exception_fp_ieee_underflow 0
		.amdhsa_exception_fp_ieee_inexact 0
		.amdhsa_exception_int_div_zero 0
	.end_amdhsa_kernel
	.section	.text._ZN7rocprim17ROCPRIM_400000_NS6detail17trampoline_kernelINS0_14default_configENS1_25partition_config_selectorILNS1_17partition_subalgoE1EsNS0_10empty_typeEbEEZZNS1_14partition_implILS5_1ELb0ES3_jN6thrust23THRUST_200600_302600_NS6detail15normal_iteratorINSA_10device_ptrIsEEEEPS6_NSA_18transform_iteratorI7is_evenIsESF_NSA_11use_defaultESK_EENS0_5tupleIJNSA_16discard_iteratorISK_EESF_EEENSM_IJSG_SG_EEES6_PlJS6_EEE10hipError_tPvRmT3_T4_T5_T6_T7_T9_mT8_P12ihipStream_tbDpT10_ENKUlT_T0_E_clISt17integral_constantIbLb0EES1A_IbLb1EEEEDaS16_S17_EUlS16_E_NS1_11comp_targetILNS1_3genE10ELNS1_11target_archE1200ELNS1_3gpuE4ELNS1_3repE0EEENS1_30default_config_static_selectorELNS0_4arch9wavefront6targetE1EEEvT1_,"axG",@progbits,_ZN7rocprim17ROCPRIM_400000_NS6detail17trampoline_kernelINS0_14default_configENS1_25partition_config_selectorILNS1_17partition_subalgoE1EsNS0_10empty_typeEbEEZZNS1_14partition_implILS5_1ELb0ES3_jN6thrust23THRUST_200600_302600_NS6detail15normal_iteratorINSA_10device_ptrIsEEEEPS6_NSA_18transform_iteratorI7is_evenIsESF_NSA_11use_defaultESK_EENS0_5tupleIJNSA_16discard_iteratorISK_EESF_EEENSM_IJSG_SG_EEES6_PlJS6_EEE10hipError_tPvRmT3_T4_T5_T6_T7_T9_mT8_P12ihipStream_tbDpT10_ENKUlT_T0_E_clISt17integral_constantIbLb0EES1A_IbLb1EEEEDaS16_S17_EUlS16_E_NS1_11comp_targetILNS1_3genE10ELNS1_11target_archE1200ELNS1_3gpuE4ELNS1_3repE0EEENS1_30default_config_static_selectorELNS0_4arch9wavefront6targetE1EEEvT1_,comdat
.Lfunc_end3448:
	.size	_ZN7rocprim17ROCPRIM_400000_NS6detail17trampoline_kernelINS0_14default_configENS1_25partition_config_selectorILNS1_17partition_subalgoE1EsNS0_10empty_typeEbEEZZNS1_14partition_implILS5_1ELb0ES3_jN6thrust23THRUST_200600_302600_NS6detail15normal_iteratorINSA_10device_ptrIsEEEEPS6_NSA_18transform_iteratorI7is_evenIsESF_NSA_11use_defaultESK_EENS0_5tupleIJNSA_16discard_iteratorISK_EESF_EEENSM_IJSG_SG_EEES6_PlJS6_EEE10hipError_tPvRmT3_T4_T5_T6_T7_T9_mT8_P12ihipStream_tbDpT10_ENKUlT_T0_E_clISt17integral_constantIbLb0EES1A_IbLb1EEEEDaS16_S17_EUlS16_E_NS1_11comp_targetILNS1_3genE10ELNS1_11target_archE1200ELNS1_3gpuE4ELNS1_3repE0EEENS1_30default_config_static_selectorELNS0_4arch9wavefront6targetE1EEEvT1_, .Lfunc_end3448-_ZN7rocprim17ROCPRIM_400000_NS6detail17trampoline_kernelINS0_14default_configENS1_25partition_config_selectorILNS1_17partition_subalgoE1EsNS0_10empty_typeEbEEZZNS1_14partition_implILS5_1ELb0ES3_jN6thrust23THRUST_200600_302600_NS6detail15normal_iteratorINSA_10device_ptrIsEEEEPS6_NSA_18transform_iteratorI7is_evenIsESF_NSA_11use_defaultESK_EENS0_5tupleIJNSA_16discard_iteratorISK_EESF_EEENSM_IJSG_SG_EEES6_PlJS6_EEE10hipError_tPvRmT3_T4_T5_T6_T7_T9_mT8_P12ihipStream_tbDpT10_ENKUlT_T0_E_clISt17integral_constantIbLb0EES1A_IbLb1EEEEDaS16_S17_EUlS16_E_NS1_11comp_targetILNS1_3genE10ELNS1_11target_archE1200ELNS1_3gpuE4ELNS1_3repE0EEENS1_30default_config_static_selectorELNS0_4arch9wavefront6targetE1EEEvT1_
                                        ; -- End function
	.section	.AMDGPU.csdata,"",@progbits
; Kernel info:
; codeLenInByte = 0
; NumSgprs: 4
; NumVgprs: 0
; NumAgprs: 0
; TotalNumVgprs: 0
; ScratchSize: 0
; MemoryBound: 0
; FloatMode: 240
; IeeeMode: 1
; LDSByteSize: 0 bytes/workgroup (compile time only)
; SGPRBlocks: 0
; VGPRBlocks: 0
; NumSGPRsForWavesPerEU: 4
; NumVGPRsForWavesPerEU: 1
; AccumOffset: 4
; Occupancy: 8
; WaveLimiterHint : 0
; COMPUTE_PGM_RSRC2:SCRATCH_EN: 0
; COMPUTE_PGM_RSRC2:USER_SGPR: 6
; COMPUTE_PGM_RSRC2:TRAP_HANDLER: 0
; COMPUTE_PGM_RSRC2:TGID_X_EN: 1
; COMPUTE_PGM_RSRC2:TGID_Y_EN: 0
; COMPUTE_PGM_RSRC2:TGID_Z_EN: 0
; COMPUTE_PGM_RSRC2:TIDIG_COMP_CNT: 0
; COMPUTE_PGM_RSRC3_GFX90A:ACCUM_OFFSET: 0
; COMPUTE_PGM_RSRC3_GFX90A:TG_SPLIT: 0
	.section	.text._ZN7rocprim17ROCPRIM_400000_NS6detail17trampoline_kernelINS0_14default_configENS1_25partition_config_selectorILNS1_17partition_subalgoE1EsNS0_10empty_typeEbEEZZNS1_14partition_implILS5_1ELb0ES3_jN6thrust23THRUST_200600_302600_NS6detail15normal_iteratorINSA_10device_ptrIsEEEEPS6_NSA_18transform_iteratorI7is_evenIsESF_NSA_11use_defaultESK_EENS0_5tupleIJNSA_16discard_iteratorISK_EESF_EEENSM_IJSG_SG_EEES6_PlJS6_EEE10hipError_tPvRmT3_T4_T5_T6_T7_T9_mT8_P12ihipStream_tbDpT10_ENKUlT_T0_E_clISt17integral_constantIbLb0EES1A_IbLb1EEEEDaS16_S17_EUlS16_E_NS1_11comp_targetILNS1_3genE9ELNS1_11target_archE1100ELNS1_3gpuE3ELNS1_3repE0EEENS1_30default_config_static_selectorELNS0_4arch9wavefront6targetE1EEEvT1_,"axG",@progbits,_ZN7rocprim17ROCPRIM_400000_NS6detail17trampoline_kernelINS0_14default_configENS1_25partition_config_selectorILNS1_17partition_subalgoE1EsNS0_10empty_typeEbEEZZNS1_14partition_implILS5_1ELb0ES3_jN6thrust23THRUST_200600_302600_NS6detail15normal_iteratorINSA_10device_ptrIsEEEEPS6_NSA_18transform_iteratorI7is_evenIsESF_NSA_11use_defaultESK_EENS0_5tupleIJNSA_16discard_iteratorISK_EESF_EEENSM_IJSG_SG_EEES6_PlJS6_EEE10hipError_tPvRmT3_T4_T5_T6_T7_T9_mT8_P12ihipStream_tbDpT10_ENKUlT_T0_E_clISt17integral_constantIbLb0EES1A_IbLb1EEEEDaS16_S17_EUlS16_E_NS1_11comp_targetILNS1_3genE9ELNS1_11target_archE1100ELNS1_3gpuE3ELNS1_3repE0EEENS1_30default_config_static_selectorELNS0_4arch9wavefront6targetE1EEEvT1_,comdat
	.protected	_ZN7rocprim17ROCPRIM_400000_NS6detail17trampoline_kernelINS0_14default_configENS1_25partition_config_selectorILNS1_17partition_subalgoE1EsNS0_10empty_typeEbEEZZNS1_14partition_implILS5_1ELb0ES3_jN6thrust23THRUST_200600_302600_NS6detail15normal_iteratorINSA_10device_ptrIsEEEEPS6_NSA_18transform_iteratorI7is_evenIsESF_NSA_11use_defaultESK_EENS0_5tupleIJNSA_16discard_iteratorISK_EESF_EEENSM_IJSG_SG_EEES6_PlJS6_EEE10hipError_tPvRmT3_T4_T5_T6_T7_T9_mT8_P12ihipStream_tbDpT10_ENKUlT_T0_E_clISt17integral_constantIbLb0EES1A_IbLb1EEEEDaS16_S17_EUlS16_E_NS1_11comp_targetILNS1_3genE9ELNS1_11target_archE1100ELNS1_3gpuE3ELNS1_3repE0EEENS1_30default_config_static_selectorELNS0_4arch9wavefront6targetE1EEEvT1_ ; -- Begin function _ZN7rocprim17ROCPRIM_400000_NS6detail17trampoline_kernelINS0_14default_configENS1_25partition_config_selectorILNS1_17partition_subalgoE1EsNS0_10empty_typeEbEEZZNS1_14partition_implILS5_1ELb0ES3_jN6thrust23THRUST_200600_302600_NS6detail15normal_iteratorINSA_10device_ptrIsEEEEPS6_NSA_18transform_iteratorI7is_evenIsESF_NSA_11use_defaultESK_EENS0_5tupleIJNSA_16discard_iteratorISK_EESF_EEENSM_IJSG_SG_EEES6_PlJS6_EEE10hipError_tPvRmT3_T4_T5_T6_T7_T9_mT8_P12ihipStream_tbDpT10_ENKUlT_T0_E_clISt17integral_constantIbLb0EES1A_IbLb1EEEEDaS16_S17_EUlS16_E_NS1_11comp_targetILNS1_3genE9ELNS1_11target_archE1100ELNS1_3gpuE3ELNS1_3repE0EEENS1_30default_config_static_selectorELNS0_4arch9wavefront6targetE1EEEvT1_
	.globl	_ZN7rocprim17ROCPRIM_400000_NS6detail17trampoline_kernelINS0_14default_configENS1_25partition_config_selectorILNS1_17partition_subalgoE1EsNS0_10empty_typeEbEEZZNS1_14partition_implILS5_1ELb0ES3_jN6thrust23THRUST_200600_302600_NS6detail15normal_iteratorINSA_10device_ptrIsEEEEPS6_NSA_18transform_iteratorI7is_evenIsESF_NSA_11use_defaultESK_EENS0_5tupleIJNSA_16discard_iteratorISK_EESF_EEENSM_IJSG_SG_EEES6_PlJS6_EEE10hipError_tPvRmT3_T4_T5_T6_T7_T9_mT8_P12ihipStream_tbDpT10_ENKUlT_T0_E_clISt17integral_constantIbLb0EES1A_IbLb1EEEEDaS16_S17_EUlS16_E_NS1_11comp_targetILNS1_3genE9ELNS1_11target_archE1100ELNS1_3gpuE3ELNS1_3repE0EEENS1_30default_config_static_selectorELNS0_4arch9wavefront6targetE1EEEvT1_
	.p2align	8
	.type	_ZN7rocprim17ROCPRIM_400000_NS6detail17trampoline_kernelINS0_14default_configENS1_25partition_config_selectorILNS1_17partition_subalgoE1EsNS0_10empty_typeEbEEZZNS1_14partition_implILS5_1ELb0ES3_jN6thrust23THRUST_200600_302600_NS6detail15normal_iteratorINSA_10device_ptrIsEEEEPS6_NSA_18transform_iteratorI7is_evenIsESF_NSA_11use_defaultESK_EENS0_5tupleIJNSA_16discard_iteratorISK_EESF_EEENSM_IJSG_SG_EEES6_PlJS6_EEE10hipError_tPvRmT3_T4_T5_T6_T7_T9_mT8_P12ihipStream_tbDpT10_ENKUlT_T0_E_clISt17integral_constantIbLb0EES1A_IbLb1EEEEDaS16_S17_EUlS16_E_NS1_11comp_targetILNS1_3genE9ELNS1_11target_archE1100ELNS1_3gpuE3ELNS1_3repE0EEENS1_30default_config_static_selectorELNS0_4arch9wavefront6targetE1EEEvT1_,@function
_ZN7rocprim17ROCPRIM_400000_NS6detail17trampoline_kernelINS0_14default_configENS1_25partition_config_selectorILNS1_17partition_subalgoE1EsNS0_10empty_typeEbEEZZNS1_14partition_implILS5_1ELb0ES3_jN6thrust23THRUST_200600_302600_NS6detail15normal_iteratorINSA_10device_ptrIsEEEEPS6_NSA_18transform_iteratorI7is_evenIsESF_NSA_11use_defaultESK_EENS0_5tupleIJNSA_16discard_iteratorISK_EESF_EEENSM_IJSG_SG_EEES6_PlJS6_EEE10hipError_tPvRmT3_T4_T5_T6_T7_T9_mT8_P12ihipStream_tbDpT10_ENKUlT_T0_E_clISt17integral_constantIbLb0EES1A_IbLb1EEEEDaS16_S17_EUlS16_E_NS1_11comp_targetILNS1_3genE9ELNS1_11target_archE1100ELNS1_3gpuE3ELNS1_3repE0EEENS1_30default_config_static_selectorELNS0_4arch9wavefront6targetE1EEEvT1_: ; @_ZN7rocprim17ROCPRIM_400000_NS6detail17trampoline_kernelINS0_14default_configENS1_25partition_config_selectorILNS1_17partition_subalgoE1EsNS0_10empty_typeEbEEZZNS1_14partition_implILS5_1ELb0ES3_jN6thrust23THRUST_200600_302600_NS6detail15normal_iteratorINSA_10device_ptrIsEEEEPS6_NSA_18transform_iteratorI7is_evenIsESF_NSA_11use_defaultESK_EENS0_5tupleIJNSA_16discard_iteratorISK_EESF_EEENSM_IJSG_SG_EEES6_PlJS6_EEE10hipError_tPvRmT3_T4_T5_T6_T7_T9_mT8_P12ihipStream_tbDpT10_ENKUlT_T0_E_clISt17integral_constantIbLb0EES1A_IbLb1EEEEDaS16_S17_EUlS16_E_NS1_11comp_targetILNS1_3genE9ELNS1_11target_archE1100ELNS1_3gpuE3ELNS1_3repE0EEENS1_30default_config_static_selectorELNS0_4arch9wavefront6targetE1EEEvT1_
; %bb.0:
	.section	.rodata,"a",@progbits
	.p2align	6, 0x0
	.amdhsa_kernel _ZN7rocprim17ROCPRIM_400000_NS6detail17trampoline_kernelINS0_14default_configENS1_25partition_config_selectorILNS1_17partition_subalgoE1EsNS0_10empty_typeEbEEZZNS1_14partition_implILS5_1ELb0ES3_jN6thrust23THRUST_200600_302600_NS6detail15normal_iteratorINSA_10device_ptrIsEEEEPS6_NSA_18transform_iteratorI7is_evenIsESF_NSA_11use_defaultESK_EENS0_5tupleIJNSA_16discard_iteratorISK_EESF_EEENSM_IJSG_SG_EEES6_PlJS6_EEE10hipError_tPvRmT3_T4_T5_T6_T7_T9_mT8_P12ihipStream_tbDpT10_ENKUlT_T0_E_clISt17integral_constantIbLb0EES1A_IbLb1EEEEDaS16_S17_EUlS16_E_NS1_11comp_targetILNS1_3genE9ELNS1_11target_archE1100ELNS1_3gpuE3ELNS1_3repE0EEENS1_30default_config_static_selectorELNS0_4arch9wavefront6targetE1EEEvT1_
		.amdhsa_group_segment_fixed_size 0
		.amdhsa_private_segment_fixed_size 0
		.amdhsa_kernarg_size 152
		.amdhsa_user_sgpr_count 6
		.amdhsa_user_sgpr_private_segment_buffer 1
		.amdhsa_user_sgpr_dispatch_ptr 0
		.amdhsa_user_sgpr_queue_ptr 0
		.amdhsa_user_sgpr_kernarg_segment_ptr 1
		.amdhsa_user_sgpr_dispatch_id 0
		.amdhsa_user_sgpr_flat_scratch_init 0
		.amdhsa_user_sgpr_kernarg_preload_length 0
		.amdhsa_user_sgpr_kernarg_preload_offset 0
		.amdhsa_user_sgpr_private_segment_size 0
		.amdhsa_uses_dynamic_stack 0
		.amdhsa_system_sgpr_private_segment_wavefront_offset 0
		.amdhsa_system_sgpr_workgroup_id_x 1
		.amdhsa_system_sgpr_workgroup_id_y 0
		.amdhsa_system_sgpr_workgroup_id_z 0
		.amdhsa_system_sgpr_workgroup_info 0
		.amdhsa_system_vgpr_workitem_id 0
		.amdhsa_next_free_vgpr 1
		.amdhsa_next_free_sgpr 0
		.amdhsa_accum_offset 4
		.amdhsa_reserve_vcc 0
		.amdhsa_reserve_flat_scratch 0
		.amdhsa_float_round_mode_32 0
		.amdhsa_float_round_mode_16_64 0
		.amdhsa_float_denorm_mode_32 3
		.amdhsa_float_denorm_mode_16_64 3
		.amdhsa_dx10_clamp 1
		.amdhsa_ieee_mode 1
		.amdhsa_fp16_overflow 0
		.amdhsa_tg_split 0
		.amdhsa_exception_fp_ieee_invalid_op 0
		.amdhsa_exception_fp_denorm_src 0
		.amdhsa_exception_fp_ieee_div_zero 0
		.amdhsa_exception_fp_ieee_overflow 0
		.amdhsa_exception_fp_ieee_underflow 0
		.amdhsa_exception_fp_ieee_inexact 0
		.amdhsa_exception_int_div_zero 0
	.end_amdhsa_kernel
	.section	.text._ZN7rocprim17ROCPRIM_400000_NS6detail17trampoline_kernelINS0_14default_configENS1_25partition_config_selectorILNS1_17partition_subalgoE1EsNS0_10empty_typeEbEEZZNS1_14partition_implILS5_1ELb0ES3_jN6thrust23THRUST_200600_302600_NS6detail15normal_iteratorINSA_10device_ptrIsEEEEPS6_NSA_18transform_iteratorI7is_evenIsESF_NSA_11use_defaultESK_EENS0_5tupleIJNSA_16discard_iteratorISK_EESF_EEENSM_IJSG_SG_EEES6_PlJS6_EEE10hipError_tPvRmT3_T4_T5_T6_T7_T9_mT8_P12ihipStream_tbDpT10_ENKUlT_T0_E_clISt17integral_constantIbLb0EES1A_IbLb1EEEEDaS16_S17_EUlS16_E_NS1_11comp_targetILNS1_3genE9ELNS1_11target_archE1100ELNS1_3gpuE3ELNS1_3repE0EEENS1_30default_config_static_selectorELNS0_4arch9wavefront6targetE1EEEvT1_,"axG",@progbits,_ZN7rocprim17ROCPRIM_400000_NS6detail17trampoline_kernelINS0_14default_configENS1_25partition_config_selectorILNS1_17partition_subalgoE1EsNS0_10empty_typeEbEEZZNS1_14partition_implILS5_1ELb0ES3_jN6thrust23THRUST_200600_302600_NS6detail15normal_iteratorINSA_10device_ptrIsEEEEPS6_NSA_18transform_iteratorI7is_evenIsESF_NSA_11use_defaultESK_EENS0_5tupleIJNSA_16discard_iteratorISK_EESF_EEENSM_IJSG_SG_EEES6_PlJS6_EEE10hipError_tPvRmT3_T4_T5_T6_T7_T9_mT8_P12ihipStream_tbDpT10_ENKUlT_T0_E_clISt17integral_constantIbLb0EES1A_IbLb1EEEEDaS16_S17_EUlS16_E_NS1_11comp_targetILNS1_3genE9ELNS1_11target_archE1100ELNS1_3gpuE3ELNS1_3repE0EEENS1_30default_config_static_selectorELNS0_4arch9wavefront6targetE1EEEvT1_,comdat
.Lfunc_end3449:
	.size	_ZN7rocprim17ROCPRIM_400000_NS6detail17trampoline_kernelINS0_14default_configENS1_25partition_config_selectorILNS1_17partition_subalgoE1EsNS0_10empty_typeEbEEZZNS1_14partition_implILS5_1ELb0ES3_jN6thrust23THRUST_200600_302600_NS6detail15normal_iteratorINSA_10device_ptrIsEEEEPS6_NSA_18transform_iteratorI7is_evenIsESF_NSA_11use_defaultESK_EENS0_5tupleIJNSA_16discard_iteratorISK_EESF_EEENSM_IJSG_SG_EEES6_PlJS6_EEE10hipError_tPvRmT3_T4_T5_T6_T7_T9_mT8_P12ihipStream_tbDpT10_ENKUlT_T0_E_clISt17integral_constantIbLb0EES1A_IbLb1EEEEDaS16_S17_EUlS16_E_NS1_11comp_targetILNS1_3genE9ELNS1_11target_archE1100ELNS1_3gpuE3ELNS1_3repE0EEENS1_30default_config_static_selectorELNS0_4arch9wavefront6targetE1EEEvT1_, .Lfunc_end3449-_ZN7rocprim17ROCPRIM_400000_NS6detail17trampoline_kernelINS0_14default_configENS1_25partition_config_selectorILNS1_17partition_subalgoE1EsNS0_10empty_typeEbEEZZNS1_14partition_implILS5_1ELb0ES3_jN6thrust23THRUST_200600_302600_NS6detail15normal_iteratorINSA_10device_ptrIsEEEEPS6_NSA_18transform_iteratorI7is_evenIsESF_NSA_11use_defaultESK_EENS0_5tupleIJNSA_16discard_iteratorISK_EESF_EEENSM_IJSG_SG_EEES6_PlJS6_EEE10hipError_tPvRmT3_T4_T5_T6_T7_T9_mT8_P12ihipStream_tbDpT10_ENKUlT_T0_E_clISt17integral_constantIbLb0EES1A_IbLb1EEEEDaS16_S17_EUlS16_E_NS1_11comp_targetILNS1_3genE9ELNS1_11target_archE1100ELNS1_3gpuE3ELNS1_3repE0EEENS1_30default_config_static_selectorELNS0_4arch9wavefront6targetE1EEEvT1_
                                        ; -- End function
	.section	.AMDGPU.csdata,"",@progbits
; Kernel info:
; codeLenInByte = 0
; NumSgprs: 4
; NumVgprs: 0
; NumAgprs: 0
; TotalNumVgprs: 0
; ScratchSize: 0
; MemoryBound: 0
; FloatMode: 240
; IeeeMode: 1
; LDSByteSize: 0 bytes/workgroup (compile time only)
; SGPRBlocks: 0
; VGPRBlocks: 0
; NumSGPRsForWavesPerEU: 4
; NumVGPRsForWavesPerEU: 1
; AccumOffset: 4
; Occupancy: 8
; WaveLimiterHint : 0
; COMPUTE_PGM_RSRC2:SCRATCH_EN: 0
; COMPUTE_PGM_RSRC2:USER_SGPR: 6
; COMPUTE_PGM_RSRC2:TRAP_HANDLER: 0
; COMPUTE_PGM_RSRC2:TGID_X_EN: 1
; COMPUTE_PGM_RSRC2:TGID_Y_EN: 0
; COMPUTE_PGM_RSRC2:TGID_Z_EN: 0
; COMPUTE_PGM_RSRC2:TIDIG_COMP_CNT: 0
; COMPUTE_PGM_RSRC3_GFX90A:ACCUM_OFFSET: 0
; COMPUTE_PGM_RSRC3_GFX90A:TG_SPLIT: 0
	.section	.text._ZN7rocprim17ROCPRIM_400000_NS6detail17trampoline_kernelINS0_14default_configENS1_25partition_config_selectorILNS1_17partition_subalgoE1EsNS0_10empty_typeEbEEZZNS1_14partition_implILS5_1ELb0ES3_jN6thrust23THRUST_200600_302600_NS6detail15normal_iteratorINSA_10device_ptrIsEEEEPS6_NSA_18transform_iteratorI7is_evenIsESF_NSA_11use_defaultESK_EENS0_5tupleIJNSA_16discard_iteratorISK_EESF_EEENSM_IJSG_SG_EEES6_PlJS6_EEE10hipError_tPvRmT3_T4_T5_T6_T7_T9_mT8_P12ihipStream_tbDpT10_ENKUlT_T0_E_clISt17integral_constantIbLb0EES1A_IbLb1EEEEDaS16_S17_EUlS16_E_NS1_11comp_targetILNS1_3genE8ELNS1_11target_archE1030ELNS1_3gpuE2ELNS1_3repE0EEENS1_30default_config_static_selectorELNS0_4arch9wavefront6targetE1EEEvT1_,"axG",@progbits,_ZN7rocprim17ROCPRIM_400000_NS6detail17trampoline_kernelINS0_14default_configENS1_25partition_config_selectorILNS1_17partition_subalgoE1EsNS0_10empty_typeEbEEZZNS1_14partition_implILS5_1ELb0ES3_jN6thrust23THRUST_200600_302600_NS6detail15normal_iteratorINSA_10device_ptrIsEEEEPS6_NSA_18transform_iteratorI7is_evenIsESF_NSA_11use_defaultESK_EENS0_5tupleIJNSA_16discard_iteratorISK_EESF_EEENSM_IJSG_SG_EEES6_PlJS6_EEE10hipError_tPvRmT3_T4_T5_T6_T7_T9_mT8_P12ihipStream_tbDpT10_ENKUlT_T0_E_clISt17integral_constantIbLb0EES1A_IbLb1EEEEDaS16_S17_EUlS16_E_NS1_11comp_targetILNS1_3genE8ELNS1_11target_archE1030ELNS1_3gpuE2ELNS1_3repE0EEENS1_30default_config_static_selectorELNS0_4arch9wavefront6targetE1EEEvT1_,comdat
	.protected	_ZN7rocprim17ROCPRIM_400000_NS6detail17trampoline_kernelINS0_14default_configENS1_25partition_config_selectorILNS1_17partition_subalgoE1EsNS0_10empty_typeEbEEZZNS1_14partition_implILS5_1ELb0ES3_jN6thrust23THRUST_200600_302600_NS6detail15normal_iteratorINSA_10device_ptrIsEEEEPS6_NSA_18transform_iteratorI7is_evenIsESF_NSA_11use_defaultESK_EENS0_5tupleIJNSA_16discard_iteratorISK_EESF_EEENSM_IJSG_SG_EEES6_PlJS6_EEE10hipError_tPvRmT3_T4_T5_T6_T7_T9_mT8_P12ihipStream_tbDpT10_ENKUlT_T0_E_clISt17integral_constantIbLb0EES1A_IbLb1EEEEDaS16_S17_EUlS16_E_NS1_11comp_targetILNS1_3genE8ELNS1_11target_archE1030ELNS1_3gpuE2ELNS1_3repE0EEENS1_30default_config_static_selectorELNS0_4arch9wavefront6targetE1EEEvT1_ ; -- Begin function _ZN7rocprim17ROCPRIM_400000_NS6detail17trampoline_kernelINS0_14default_configENS1_25partition_config_selectorILNS1_17partition_subalgoE1EsNS0_10empty_typeEbEEZZNS1_14partition_implILS5_1ELb0ES3_jN6thrust23THRUST_200600_302600_NS6detail15normal_iteratorINSA_10device_ptrIsEEEEPS6_NSA_18transform_iteratorI7is_evenIsESF_NSA_11use_defaultESK_EENS0_5tupleIJNSA_16discard_iteratorISK_EESF_EEENSM_IJSG_SG_EEES6_PlJS6_EEE10hipError_tPvRmT3_T4_T5_T6_T7_T9_mT8_P12ihipStream_tbDpT10_ENKUlT_T0_E_clISt17integral_constantIbLb0EES1A_IbLb1EEEEDaS16_S17_EUlS16_E_NS1_11comp_targetILNS1_3genE8ELNS1_11target_archE1030ELNS1_3gpuE2ELNS1_3repE0EEENS1_30default_config_static_selectorELNS0_4arch9wavefront6targetE1EEEvT1_
	.globl	_ZN7rocprim17ROCPRIM_400000_NS6detail17trampoline_kernelINS0_14default_configENS1_25partition_config_selectorILNS1_17partition_subalgoE1EsNS0_10empty_typeEbEEZZNS1_14partition_implILS5_1ELb0ES3_jN6thrust23THRUST_200600_302600_NS6detail15normal_iteratorINSA_10device_ptrIsEEEEPS6_NSA_18transform_iteratorI7is_evenIsESF_NSA_11use_defaultESK_EENS0_5tupleIJNSA_16discard_iteratorISK_EESF_EEENSM_IJSG_SG_EEES6_PlJS6_EEE10hipError_tPvRmT3_T4_T5_T6_T7_T9_mT8_P12ihipStream_tbDpT10_ENKUlT_T0_E_clISt17integral_constantIbLb0EES1A_IbLb1EEEEDaS16_S17_EUlS16_E_NS1_11comp_targetILNS1_3genE8ELNS1_11target_archE1030ELNS1_3gpuE2ELNS1_3repE0EEENS1_30default_config_static_selectorELNS0_4arch9wavefront6targetE1EEEvT1_
	.p2align	8
	.type	_ZN7rocprim17ROCPRIM_400000_NS6detail17trampoline_kernelINS0_14default_configENS1_25partition_config_selectorILNS1_17partition_subalgoE1EsNS0_10empty_typeEbEEZZNS1_14partition_implILS5_1ELb0ES3_jN6thrust23THRUST_200600_302600_NS6detail15normal_iteratorINSA_10device_ptrIsEEEEPS6_NSA_18transform_iteratorI7is_evenIsESF_NSA_11use_defaultESK_EENS0_5tupleIJNSA_16discard_iteratorISK_EESF_EEENSM_IJSG_SG_EEES6_PlJS6_EEE10hipError_tPvRmT3_T4_T5_T6_T7_T9_mT8_P12ihipStream_tbDpT10_ENKUlT_T0_E_clISt17integral_constantIbLb0EES1A_IbLb1EEEEDaS16_S17_EUlS16_E_NS1_11comp_targetILNS1_3genE8ELNS1_11target_archE1030ELNS1_3gpuE2ELNS1_3repE0EEENS1_30default_config_static_selectorELNS0_4arch9wavefront6targetE1EEEvT1_,@function
_ZN7rocprim17ROCPRIM_400000_NS6detail17trampoline_kernelINS0_14default_configENS1_25partition_config_selectorILNS1_17partition_subalgoE1EsNS0_10empty_typeEbEEZZNS1_14partition_implILS5_1ELb0ES3_jN6thrust23THRUST_200600_302600_NS6detail15normal_iteratorINSA_10device_ptrIsEEEEPS6_NSA_18transform_iteratorI7is_evenIsESF_NSA_11use_defaultESK_EENS0_5tupleIJNSA_16discard_iteratorISK_EESF_EEENSM_IJSG_SG_EEES6_PlJS6_EEE10hipError_tPvRmT3_T4_T5_T6_T7_T9_mT8_P12ihipStream_tbDpT10_ENKUlT_T0_E_clISt17integral_constantIbLb0EES1A_IbLb1EEEEDaS16_S17_EUlS16_E_NS1_11comp_targetILNS1_3genE8ELNS1_11target_archE1030ELNS1_3gpuE2ELNS1_3repE0EEENS1_30default_config_static_selectorELNS0_4arch9wavefront6targetE1EEEvT1_: ; @_ZN7rocprim17ROCPRIM_400000_NS6detail17trampoline_kernelINS0_14default_configENS1_25partition_config_selectorILNS1_17partition_subalgoE1EsNS0_10empty_typeEbEEZZNS1_14partition_implILS5_1ELb0ES3_jN6thrust23THRUST_200600_302600_NS6detail15normal_iteratorINSA_10device_ptrIsEEEEPS6_NSA_18transform_iteratorI7is_evenIsESF_NSA_11use_defaultESK_EENS0_5tupleIJNSA_16discard_iteratorISK_EESF_EEENSM_IJSG_SG_EEES6_PlJS6_EEE10hipError_tPvRmT3_T4_T5_T6_T7_T9_mT8_P12ihipStream_tbDpT10_ENKUlT_T0_E_clISt17integral_constantIbLb0EES1A_IbLb1EEEEDaS16_S17_EUlS16_E_NS1_11comp_targetILNS1_3genE8ELNS1_11target_archE1030ELNS1_3gpuE2ELNS1_3repE0EEENS1_30default_config_static_selectorELNS0_4arch9wavefront6targetE1EEEvT1_
; %bb.0:
	.section	.rodata,"a",@progbits
	.p2align	6, 0x0
	.amdhsa_kernel _ZN7rocprim17ROCPRIM_400000_NS6detail17trampoline_kernelINS0_14default_configENS1_25partition_config_selectorILNS1_17partition_subalgoE1EsNS0_10empty_typeEbEEZZNS1_14partition_implILS5_1ELb0ES3_jN6thrust23THRUST_200600_302600_NS6detail15normal_iteratorINSA_10device_ptrIsEEEEPS6_NSA_18transform_iteratorI7is_evenIsESF_NSA_11use_defaultESK_EENS0_5tupleIJNSA_16discard_iteratorISK_EESF_EEENSM_IJSG_SG_EEES6_PlJS6_EEE10hipError_tPvRmT3_T4_T5_T6_T7_T9_mT8_P12ihipStream_tbDpT10_ENKUlT_T0_E_clISt17integral_constantIbLb0EES1A_IbLb1EEEEDaS16_S17_EUlS16_E_NS1_11comp_targetILNS1_3genE8ELNS1_11target_archE1030ELNS1_3gpuE2ELNS1_3repE0EEENS1_30default_config_static_selectorELNS0_4arch9wavefront6targetE1EEEvT1_
		.amdhsa_group_segment_fixed_size 0
		.amdhsa_private_segment_fixed_size 0
		.amdhsa_kernarg_size 152
		.amdhsa_user_sgpr_count 6
		.amdhsa_user_sgpr_private_segment_buffer 1
		.amdhsa_user_sgpr_dispatch_ptr 0
		.amdhsa_user_sgpr_queue_ptr 0
		.amdhsa_user_sgpr_kernarg_segment_ptr 1
		.amdhsa_user_sgpr_dispatch_id 0
		.amdhsa_user_sgpr_flat_scratch_init 0
		.amdhsa_user_sgpr_kernarg_preload_length 0
		.amdhsa_user_sgpr_kernarg_preload_offset 0
		.amdhsa_user_sgpr_private_segment_size 0
		.amdhsa_uses_dynamic_stack 0
		.amdhsa_system_sgpr_private_segment_wavefront_offset 0
		.amdhsa_system_sgpr_workgroup_id_x 1
		.amdhsa_system_sgpr_workgroup_id_y 0
		.amdhsa_system_sgpr_workgroup_id_z 0
		.amdhsa_system_sgpr_workgroup_info 0
		.amdhsa_system_vgpr_workitem_id 0
		.amdhsa_next_free_vgpr 1
		.amdhsa_next_free_sgpr 0
		.amdhsa_accum_offset 4
		.amdhsa_reserve_vcc 0
		.amdhsa_reserve_flat_scratch 0
		.amdhsa_float_round_mode_32 0
		.amdhsa_float_round_mode_16_64 0
		.amdhsa_float_denorm_mode_32 3
		.amdhsa_float_denorm_mode_16_64 3
		.amdhsa_dx10_clamp 1
		.amdhsa_ieee_mode 1
		.amdhsa_fp16_overflow 0
		.amdhsa_tg_split 0
		.amdhsa_exception_fp_ieee_invalid_op 0
		.amdhsa_exception_fp_denorm_src 0
		.amdhsa_exception_fp_ieee_div_zero 0
		.amdhsa_exception_fp_ieee_overflow 0
		.amdhsa_exception_fp_ieee_underflow 0
		.amdhsa_exception_fp_ieee_inexact 0
		.amdhsa_exception_int_div_zero 0
	.end_amdhsa_kernel
	.section	.text._ZN7rocprim17ROCPRIM_400000_NS6detail17trampoline_kernelINS0_14default_configENS1_25partition_config_selectorILNS1_17partition_subalgoE1EsNS0_10empty_typeEbEEZZNS1_14partition_implILS5_1ELb0ES3_jN6thrust23THRUST_200600_302600_NS6detail15normal_iteratorINSA_10device_ptrIsEEEEPS6_NSA_18transform_iteratorI7is_evenIsESF_NSA_11use_defaultESK_EENS0_5tupleIJNSA_16discard_iteratorISK_EESF_EEENSM_IJSG_SG_EEES6_PlJS6_EEE10hipError_tPvRmT3_T4_T5_T6_T7_T9_mT8_P12ihipStream_tbDpT10_ENKUlT_T0_E_clISt17integral_constantIbLb0EES1A_IbLb1EEEEDaS16_S17_EUlS16_E_NS1_11comp_targetILNS1_3genE8ELNS1_11target_archE1030ELNS1_3gpuE2ELNS1_3repE0EEENS1_30default_config_static_selectorELNS0_4arch9wavefront6targetE1EEEvT1_,"axG",@progbits,_ZN7rocprim17ROCPRIM_400000_NS6detail17trampoline_kernelINS0_14default_configENS1_25partition_config_selectorILNS1_17partition_subalgoE1EsNS0_10empty_typeEbEEZZNS1_14partition_implILS5_1ELb0ES3_jN6thrust23THRUST_200600_302600_NS6detail15normal_iteratorINSA_10device_ptrIsEEEEPS6_NSA_18transform_iteratorI7is_evenIsESF_NSA_11use_defaultESK_EENS0_5tupleIJNSA_16discard_iteratorISK_EESF_EEENSM_IJSG_SG_EEES6_PlJS6_EEE10hipError_tPvRmT3_T4_T5_T6_T7_T9_mT8_P12ihipStream_tbDpT10_ENKUlT_T0_E_clISt17integral_constantIbLb0EES1A_IbLb1EEEEDaS16_S17_EUlS16_E_NS1_11comp_targetILNS1_3genE8ELNS1_11target_archE1030ELNS1_3gpuE2ELNS1_3repE0EEENS1_30default_config_static_selectorELNS0_4arch9wavefront6targetE1EEEvT1_,comdat
.Lfunc_end3450:
	.size	_ZN7rocprim17ROCPRIM_400000_NS6detail17trampoline_kernelINS0_14default_configENS1_25partition_config_selectorILNS1_17partition_subalgoE1EsNS0_10empty_typeEbEEZZNS1_14partition_implILS5_1ELb0ES3_jN6thrust23THRUST_200600_302600_NS6detail15normal_iteratorINSA_10device_ptrIsEEEEPS6_NSA_18transform_iteratorI7is_evenIsESF_NSA_11use_defaultESK_EENS0_5tupleIJNSA_16discard_iteratorISK_EESF_EEENSM_IJSG_SG_EEES6_PlJS6_EEE10hipError_tPvRmT3_T4_T5_T6_T7_T9_mT8_P12ihipStream_tbDpT10_ENKUlT_T0_E_clISt17integral_constantIbLb0EES1A_IbLb1EEEEDaS16_S17_EUlS16_E_NS1_11comp_targetILNS1_3genE8ELNS1_11target_archE1030ELNS1_3gpuE2ELNS1_3repE0EEENS1_30default_config_static_selectorELNS0_4arch9wavefront6targetE1EEEvT1_, .Lfunc_end3450-_ZN7rocprim17ROCPRIM_400000_NS6detail17trampoline_kernelINS0_14default_configENS1_25partition_config_selectorILNS1_17partition_subalgoE1EsNS0_10empty_typeEbEEZZNS1_14partition_implILS5_1ELb0ES3_jN6thrust23THRUST_200600_302600_NS6detail15normal_iteratorINSA_10device_ptrIsEEEEPS6_NSA_18transform_iteratorI7is_evenIsESF_NSA_11use_defaultESK_EENS0_5tupleIJNSA_16discard_iteratorISK_EESF_EEENSM_IJSG_SG_EEES6_PlJS6_EEE10hipError_tPvRmT3_T4_T5_T6_T7_T9_mT8_P12ihipStream_tbDpT10_ENKUlT_T0_E_clISt17integral_constantIbLb0EES1A_IbLb1EEEEDaS16_S17_EUlS16_E_NS1_11comp_targetILNS1_3genE8ELNS1_11target_archE1030ELNS1_3gpuE2ELNS1_3repE0EEENS1_30default_config_static_selectorELNS0_4arch9wavefront6targetE1EEEvT1_
                                        ; -- End function
	.section	.AMDGPU.csdata,"",@progbits
; Kernel info:
; codeLenInByte = 0
; NumSgprs: 4
; NumVgprs: 0
; NumAgprs: 0
; TotalNumVgprs: 0
; ScratchSize: 0
; MemoryBound: 0
; FloatMode: 240
; IeeeMode: 1
; LDSByteSize: 0 bytes/workgroup (compile time only)
; SGPRBlocks: 0
; VGPRBlocks: 0
; NumSGPRsForWavesPerEU: 4
; NumVGPRsForWavesPerEU: 1
; AccumOffset: 4
; Occupancy: 8
; WaveLimiterHint : 0
; COMPUTE_PGM_RSRC2:SCRATCH_EN: 0
; COMPUTE_PGM_RSRC2:USER_SGPR: 6
; COMPUTE_PGM_RSRC2:TRAP_HANDLER: 0
; COMPUTE_PGM_RSRC2:TGID_X_EN: 1
; COMPUTE_PGM_RSRC2:TGID_Y_EN: 0
; COMPUTE_PGM_RSRC2:TGID_Z_EN: 0
; COMPUTE_PGM_RSRC2:TIDIG_COMP_CNT: 0
; COMPUTE_PGM_RSRC3_GFX90A:ACCUM_OFFSET: 0
; COMPUTE_PGM_RSRC3_GFX90A:TG_SPLIT: 0
	.section	.text._ZN6thrust23THRUST_200600_302600_NS11hip_rocprim14__parallel_for6kernelILj256ENS1_10for_each_fINS0_7pointerINS0_5tupleIxxNS0_9null_typeES7_S7_S7_S7_S7_S7_S7_EENS1_3tagENS0_11use_defaultESA_EENS0_6detail16wrapped_functionINSC_23allocator_traits_detail24construct1_via_allocatorINSC_18no_throw_allocatorINSC_19temporary_allocatorIS8_S9_EEEEEEvEEEEmLj1EEEvT0_T1_SO_,"axG",@progbits,_ZN6thrust23THRUST_200600_302600_NS11hip_rocprim14__parallel_for6kernelILj256ENS1_10for_each_fINS0_7pointerINS0_5tupleIxxNS0_9null_typeES7_S7_S7_S7_S7_S7_S7_EENS1_3tagENS0_11use_defaultESA_EENS0_6detail16wrapped_functionINSC_23allocator_traits_detail24construct1_via_allocatorINSC_18no_throw_allocatorINSC_19temporary_allocatorIS8_S9_EEEEEEvEEEEmLj1EEEvT0_T1_SO_,comdat
	.protected	_ZN6thrust23THRUST_200600_302600_NS11hip_rocprim14__parallel_for6kernelILj256ENS1_10for_each_fINS0_7pointerINS0_5tupleIxxNS0_9null_typeES7_S7_S7_S7_S7_S7_S7_EENS1_3tagENS0_11use_defaultESA_EENS0_6detail16wrapped_functionINSC_23allocator_traits_detail24construct1_via_allocatorINSC_18no_throw_allocatorINSC_19temporary_allocatorIS8_S9_EEEEEEvEEEEmLj1EEEvT0_T1_SO_ ; -- Begin function _ZN6thrust23THRUST_200600_302600_NS11hip_rocprim14__parallel_for6kernelILj256ENS1_10for_each_fINS0_7pointerINS0_5tupleIxxNS0_9null_typeES7_S7_S7_S7_S7_S7_S7_EENS1_3tagENS0_11use_defaultESA_EENS0_6detail16wrapped_functionINSC_23allocator_traits_detail24construct1_via_allocatorINSC_18no_throw_allocatorINSC_19temporary_allocatorIS8_S9_EEEEEEvEEEEmLj1EEEvT0_T1_SO_
	.globl	_ZN6thrust23THRUST_200600_302600_NS11hip_rocprim14__parallel_for6kernelILj256ENS1_10for_each_fINS0_7pointerINS0_5tupleIxxNS0_9null_typeES7_S7_S7_S7_S7_S7_S7_EENS1_3tagENS0_11use_defaultESA_EENS0_6detail16wrapped_functionINSC_23allocator_traits_detail24construct1_via_allocatorINSC_18no_throw_allocatorINSC_19temporary_allocatorIS8_S9_EEEEEEvEEEEmLj1EEEvT0_T1_SO_
	.p2align	8
	.type	_ZN6thrust23THRUST_200600_302600_NS11hip_rocprim14__parallel_for6kernelILj256ENS1_10for_each_fINS0_7pointerINS0_5tupleIxxNS0_9null_typeES7_S7_S7_S7_S7_S7_S7_EENS1_3tagENS0_11use_defaultESA_EENS0_6detail16wrapped_functionINSC_23allocator_traits_detail24construct1_via_allocatorINSC_18no_throw_allocatorINSC_19temporary_allocatorIS8_S9_EEEEEEvEEEEmLj1EEEvT0_T1_SO_,@function
_ZN6thrust23THRUST_200600_302600_NS11hip_rocprim14__parallel_for6kernelILj256ENS1_10for_each_fINS0_7pointerINS0_5tupleIxxNS0_9null_typeES7_S7_S7_S7_S7_S7_S7_EENS1_3tagENS0_11use_defaultESA_EENS0_6detail16wrapped_functionINSC_23allocator_traits_detail24construct1_via_allocatorINSC_18no_throw_allocatorINSC_19temporary_allocatorIS8_S9_EEEEEEvEEEEmLj1EEEvT0_T1_SO_: ; @_ZN6thrust23THRUST_200600_302600_NS11hip_rocprim14__parallel_for6kernelILj256ENS1_10for_each_fINS0_7pointerINS0_5tupleIxxNS0_9null_typeES7_S7_S7_S7_S7_S7_S7_EENS1_3tagENS0_11use_defaultESA_EENS0_6detail16wrapped_functionINSC_23allocator_traits_detail24construct1_via_allocatorINSC_18no_throw_allocatorINSC_19temporary_allocatorIS8_S9_EEEEEEvEEEEmLj1EEEvT0_T1_SO_
; %bb.0:
	s_load_dwordx4 s[8:11], s[4:5], 0x10
	s_load_dwordx2 s[0:1], s[4:5], 0x0
	s_lshl_b32 s2, s6, 8
	v_mov_b32_e32 v2, 0x100
	v_mov_b32_e32 v3, 0
	s_waitcnt lgkmcnt(0)
	s_add_u32 s4, s2, s10
	s_addc_u32 s5, 0, s11
	s_sub_u32 s2, s8, s4
	s_subb_u32 s3, s9, s5
	v_cmp_lt_u64_e32 vcc, s[2:3], v[2:3]
	s_cbranch_vccz .LBB3451_4
; %bb.1:
	v_cmp_gt_u32_e32 vcc, s2, v0
	s_mov_b64 s[6:7], 0
	s_mov_b64 s[2:3], 0
                                        ; implicit-def: $vgpr2_vgpr3
	s_and_saveexec_b64 s[8:9], vcc
	s_xor_b64 s[8:9], exec, s[8:9]
; %bb.2:
	s_lshl_b64 s[10:11], s[4:5], 4
	s_add_u32 s10, s0, s10
	s_addc_u32 s11, s1, s11
	v_lshlrev_b32_e32 v1, 4, v0
	v_mov_b32_e32 v3, s11
	v_add_co_u32_e32 v2, vcc, s10, v1
	s_mov_b64 s[2:3], exec
	v_addc_co_u32_e32 v3, vcc, 0, v3, vcc
; %bb.3:
	s_or_b64 exec, exec, s[8:9]
	s_and_b64 vcc, exec, s[6:7]
	s_cbranch_vccnz .LBB3451_5
	s_branch .LBB3451_6
.LBB3451_4:
	s_mov_b64 s[2:3], 0
                                        ; implicit-def: $vgpr2_vgpr3
	s_cbranch_execz .LBB3451_6
.LBB3451_5:
	s_lshl_b64 s[4:5], s[4:5], 4
	s_add_u32 s0, s0, s4
	s_addc_u32 s1, s1, s5
	v_lshlrev_b32_e32 v0, 4, v0
	v_mov_b32_e32 v1, s1
	v_add_co_u32_e32 v2, vcc, s0, v0
	v_addc_co_u32_e32 v3, vcc, 0, v1, vcc
	s_or_b64 s[2:3], s[2:3], exec
.LBB3451_6:
	s_and_saveexec_b64 s[0:1], s[2:3]
	s_cbranch_execnz .LBB3451_8
; %bb.7:
	s_endpgm
.LBB3451_8:
	v_mov_b32_e32 v4, 0
	v_mov_b32_e32 v5, v4
	;; [unrolled: 1-line block ×4, first 2 shown]
	flat_store_dwordx4 v[2:3], v[4:7]
	s_endpgm
	.section	.rodata,"a",@progbits
	.p2align	6, 0x0
	.amdhsa_kernel _ZN6thrust23THRUST_200600_302600_NS11hip_rocprim14__parallel_for6kernelILj256ENS1_10for_each_fINS0_7pointerINS0_5tupleIxxNS0_9null_typeES7_S7_S7_S7_S7_S7_S7_EENS1_3tagENS0_11use_defaultESA_EENS0_6detail16wrapped_functionINSC_23allocator_traits_detail24construct1_via_allocatorINSC_18no_throw_allocatorINSC_19temporary_allocatorIS8_S9_EEEEEEvEEEEmLj1EEEvT0_T1_SO_
		.amdhsa_group_segment_fixed_size 0
		.amdhsa_private_segment_fixed_size 0
		.amdhsa_kernarg_size 32
		.amdhsa_user_sgpr_count 6
		.amdhsa_user_sgpr_private_segment_buffer 1
		.amdhsa_user_sgpr_dispatch_ptr 0
		.amdhsa_user_sgpr_queue_ptr 0
		.amdhsa_user_sgpr_kernarg_segment_ptr 1
		.amdhsa_user_sgpr_dispatch_id 0
		.amdhsa_user_sgpr_flat_scratch_init 0
		.amdhsa_user_sgpr_kernarg_preload_length 0
		.amdhsa_user_sgpr_kernarg_preload_offset 0
		.amdhsa_user_sgpr_private_segment_size 0
		.amdhsa_uses_dynamic_stack 0
		.amdhsa_system_sgpr_private_segment_wavefront_offset 0
		.amdhsa_system_sgpr_workgroup_id_x 1
		.amdhsa_system_sgpr_workgroup_id_y 0
		.amdhsa_system_sgpr_workgroup_id_z 0
		.amdhsa_system_sgpr_workgroup_info 0
		.amdhsa_system_vgpr_workitem_id 0
		.amdhsa_next_free_vgpr 8
		.amdhsa_next_free_sgpr 12
		.amdhsa_accum_offset 8
		.amdhsa_reserve_vcc 1
		.amdhsa_reserve_flat_scratch 0
		.amdhsa_float_round_mode_32 0
		.amdhsa_float_round_mode_16_64 0
		.amdhsa_float_denorm_mode_32 3
		.amdhsa_float_denorm_mode_16_64 3
		.amdhsa_dx10_clamp 1
		.amdhsa_ieee_mode 1
		.amdhsa_fp16_overflow 0
		.amdhsa_tg_split 0
		.amdhsa_exception_fp_ieee_invalid_op 0
		.amdhsa_exception_fp_denorm_src 0
		.amdhsa_exception_fp_ieee_div_zero 0
		.amdhsa_exception_fp_ieee_overflow 0
		.amdhsa_exception_fp_ieee_underflow 0
		.amdhsa_exception_fp_ieee_inexact 0
		.amdhsa_exception_int_div_zero 0
	.end_amdhsa_kernel
	.section	.text._ZN6thrust23THRUST_200600_302600_NS11hip_rocprim14__parallel_for6kernelILj256ENS1_10for_each_fINS0_7pointerINS0_5tupleIxxNS0_9null_typeES7_S7_S7_S7_S7_S7_S7_EENS1_3tagENS0_11use_defaultESA_EENS0_6detail16wrapped_functionINSC_23allocator_traits_detail24construct1_via_allocatorINSC_18no_throw_allocatorINSC_19temporary_allocatorIS8_S9_EEEEEEvEEEEmLj1EEEvT0_T1_SO_,"axG",@progbits,_ZN6thrust23THRUST_200600_302600_NS11hip_rocprim14__parallel_for6kernelILj256ENS1_10for_each_fINS0_7pointerINS0_5tupleIxxNS0_9null_typeES7_S7_S7_S7_S7_S7_S7_EENS1_3tagENS0_11use_defaultESA_EENS0_6detail16wrapped_functionINSC_23allocator_traits_detail24construct1_via_allocatorINSC_18no_throw_allocatorINSC_19temporary_allocatorIS8_S9_EEEEEEvEEEEmLj1EEEvT0_T1_SO_,comdat
.Lfunc_end3451:
	.size	_ZN6thrust23THRUST_200600_302600_NS11hip_rocprim14__parallel_for6kernelILj256ENS1_10for_each_fINS0_7pointerINS0_5tupleIxxNS0_9null_typeES7_S7_S7_S7_S7_S7_S7_EENS1_3tagENS0_11use_defaultESA_EENS0_6detail16wrapped_functionINSC_23allocator_traits_detail24construct1_via_allocatorINSC_18no_throw_allocatorINSC_19temporary_allocatorIS8_S9_EEEEEEvEEEEmLj1EEEvT0_T1_SO_, .Lfunc_end3451-_ZN6thrust23THRUST_200600_302600_NS11hip_rocprim14__parallel_for6kernelILj256ENS1_10for_each_fINS0_7pointerINS0_5tupleIxxNS0_9null_typeES7_S7_S7_S7_S7_S7_S7_EENS1_3tagENS0_11use_defaultESA_EENS0_6detail16wrapped_functionINSC_23allocator_traits_detail24construct1_via_allocatorINSC_18no_throw_allocatorINSC_19temporary_allocatorIS8_S9_EEEEEEvEEEEmLj1EEEvT0_T1_SO_
                                        ; -- End function
	.section	.AMDGPU.csdata,"",@progbits
; Kernel info:
; codeLenInByte = 208
; NumSgprs: 16
; NumVgprs: 8
; NumAgprs: 0
; TotalNumVgprs: 8
; ScratchSize: 0
; MemoryBound: 0
; FloatMode: 240
; IeeeMode: 1
; LDSByteSize: 0 bytes/workgroup (compile time only)
; SGPRBlocks: 1
; VGPRBlocks: 0
; NumSGPRsForWavesPerEU: 16
; NumVGPRsForWavesPerEU: 8
; AccumOffset: 8
; Occupancy: 8
; WaveLimiterHint : 0
; COMPUTE_PGM_RSRC2:SCRATCH_EN: 0
; COMPUTE_PGM_RSRC2:USER_SGPR: 6
; COMPUTE_PGM_RSRC2:TRAP_HANDLER: 0
; COMPUTE_PGM_RSRC2:TGID_X_EN: 1
; COMPUTE_PGM_RSRC2:TGID_Y_EN: 0
; COMPUTE_PGM_RSRC2:TGID_Z_EN: 0
; COMPUTE_PGM_RSRC2:TIDIG_COMP_CNT: 0
; COMPUTE_PGM_RSRC3_GFX90A:ACCUM_OFFSET: 1
; COMPUTE_PGM_RSRC3_GFX90A:TG_SPLIT: 0
	.section	.text._ZN6thrust23THRUST_200600_302600_NS11hip_rocprim14__parallel_for6kernelILj256ENS1_10for_each_fINS0_7pointerINS0_5tupleIxxNS0_9null_typeES7_S7_S7_S7_S7_S7_S7_EENS1_3tagENS0_11use_defaultESA_EENS0_6detail16wrapped_functionINSC_23allocator_traits_detail5gozerEvEEEElLj1EEEvT0_T1_SJ_,"axG",@progbits,_ZN6thrust23THRUST_200600_302600_NS11hip_rocprim14__parallel_for6kernelILj256ENS1_10for_each_fINS0_7pointerINS0_5tupleIxxNS0_9null_typeES7_S7_S7_S7_S7_S7_S7_EENS1_3tagENS0_11use_defaultESA_EENS0_6detail16wrapped_functionINSC_23allocator_traits_detail5gozerEvEEEElLj1EEEvT0_T1_SJ_,comdat
	.protected	_ZN6thrust23THRUST_200600_302600_NS11hip_rocprim14__parallel_for6kernelILj256ENS1_10for_each_fINS0_7pointerINS0_5tupleIxxNS0_9null_typeES7_S7_S7_S7_S7_S7_S7_EENS1_3tagENS0_11use_defaultESA_EENS0_6detail16wrapped_functionINSC_23allocator_traits_detail5gozerEvEEEElLj1EEEvT0_T1_SJ_ ; -- Begin function _ZN6thrust23THRUST_200600_302600_NS11hip_rocprim14__parallel_for6kernelILj256ENS1_10for_each_fINS0_7pointerINS0_5tupleIxxNS0_9null_typeES7_S7_S7_S7_S7_S7_S7_EENS1_3tagENS0_11use_defaultESA_EENS0_6detail16wrapped_functionINSC_23allocator_traits_detail5gozerEvEEEElLj1EEEvT0_T1_SJ_
	.globl	_ZN6thrust23THRUST_200600_302600_NS11hip_rocprim14__parallel_for6kernelILj256ENS1_10for_each_fINS0_7pointerINS0_5tupleIxxNS0_9null_typeES7_S7_S7_S7_S7_S7_S7_EENS1_3tagENS0_11use_defaultESA_EENS0_6detail16wrapped_functionINSC_23allocator_traits_detail5gozerEvEEEElLj1EEEvT0_T1_SJ_
	.p2align	8
	.type	_ZN6thrust23THRUST_200600_302600_NS11hip_rocprim14__parallel_for6kernelILj256ENS1_10for_each_fINS0_7pointerINS0_5tupleIxxNS0_9null_typeES7_S7_S7_S7_S7_S7_S7_EENS1_3tagENS0_11use_defaultESA_EENS0_6detail16wrapped_functionINSC_23allocator_traits_detail5gozerEvEEEElLj1EEEvT0_T1_SJ_,@function
_ZN6thrust23THRUST_200600_302600_NS11hip_rocprim14__parallel_for6kernelILj256ENS1_10for_each_fINS0_7pointerINS0_5tupleIxxNS0_9null_typeES7_S7_S7_S7_S7_S7_S7_EENS1_3tagENS0_11use_defaultESA_EENS0_6detail16wrapped_functionINSC_23allocator_traits_detail5gozerEvEEEElLj1EEEvT0_T1_SJ_: ; @_ZN6thrust23THRUST_200600_302600_NS11hip_rocprim14__parallel_for6kernelILj256ENS1_10for_each_fINS0_7pointerINS0_5tupleIxxNS0_9null_typeES7_S7_S7_S7_S7_S7_S7_EENS1_3tagENS0_11use_defaultESA_EENS0_6detail16wrapped_functionINSC_23allocator_traits_detail5gozerEvEEEElLj1EEEvT0_T1_SJ_
; %bb.0:
	s_endpgm
	.section	.rodata,"a",@progbits
	.p2align	6, 0x0
	.amdhsa_kernel _ZN6thrust23THRUST_200600_302600_NS11hip_rocprim14__parallel_for6kernelILj256ENS1_10for_each_fINS0_7pointerINS0_5tupleIxxNS0_9null_typeES7_S7_S7_S7_S7_S7_S7_EENS1_3tagENS0_11use_defaultESA_EENS0_6detail16wrapped_functionINSC_23allocator_traits_detail5gozerEvEEEElLj1EEEvT0_T1_SJ_
		.amdhsa_group_segment_fixed_size 0
		.amdhsa_private_segment_fixed_size 0
		.amdhsa_kernarg_size 32
		.amdhsa_user_sgpr_count 6
		.amdhsa_user_sgpr_private_segment_buffer 1
		.amdhsa_user_sgpr_dispatch_ptr 0
		.amdhsa_user_sgpr_queue_ptr 0
		.amdhsa_user_sgpr_kernarg_segment_ptr 1
		.amdhsa_user_sgpr_dispatch_id 0
		.amdhsa_user_sgpr_flat_scratch_init 0
		.amdhsa_user_sgpr_kernarg_preload_length 0
		.amdhsa_user_sgpr_kernarg_preload_offset 0
		.amdhsa_user_sgpr_private_segment_size 0
		.amdhsa_uses_dynamic_stack 0
		.amdhsa_system_sgpr_private_segment_wavefront_offset 0
		.amdhsa_system_sgpr_workgroup_id_x 1
		.amdhsa_system_sgpr_workgroup_id_y 0
		.amdhsa_system_sgpr_workgroup_id_z 0
		.amdhsa_system_sgpr_workgroup_info 0
		.amdhsa_system_vgpr_workitem_id 0
		.amdhsa_next_free_vgpr 1
		.amdhsa_next_free_sgpr 0
		.amdhsa_accum_offset 4
		.amdhsa_reserve_vcc 0
		.amdhsa_reserve_flat_scratch 0
		.amdhsa_float_round_mode_32 0
		.amdhsa_float_round_mode_16_64 0
		.amdhsa_float_denorm_mode_32 3
		.amdhsa_float_denorm_mode_16_64 3
		.amdhsa_dx10_clamp 1
		.amdhsa_ieee_mode 1
		.amdhsa_fp16_overflow 0
		.amdhsa_tg_split 0
		.amdhsa_exception_fp_ieee_invalid_op 0
		.amdhsa_exception_fp_denorm_src 0
		.amdhsa_exception_fp_ieee_div_zero 0
		.amdhsa_exception_fp_ieee_overflow 0
		.amdhsa_exception_fp_ieee_underflow 0
		.amdhsa_exception_fp_ieee_inexact 0
		.amdhsa_exception_int_div_zero 0
	.end_amdhsa_kernel
	.section	.text._ZN6thrust23THRUST_200600_302600_NS11hip_rocprim14__parallel_for6kernelILj256ENS1_10for_each_fINS0_7pointerINS0_5tupleIxxNS0_9null_typeES7_S7_S7_S7_S7_S7_S7_EENS1_3tagENS0_11use_defaultESA_EENS0_6detail16wrapped_functionINSC_23allocator_traits_detail5gozerEvEEEElLj1EEEvT0_T1_SJ_,"axG",@progbits,_ZN6thrust23THRUST_200600_302600_NS11hip_rocprim14__parallel_for6kernelILj256ENS1_10for_each_fINS0_7pointerINS0_5tupleIxxNS0_9null_typeES7_S7_S7_S7_S7_S7_S7_EENS1_3tagENS0_11use_defaultESA_EENS0_6detail16wrapped_functionINSC_23allocator_traits_detail5gozerEvEEEElLj1EEEvT0_T1_SJ_,comdat
.Lfunc_end3452:
	.size	_ZN6thrust23THRUST_200600_302600_NS11hip_rocprim14__parallel_for6kernelILj256ENS1_10for_each_fINS0_7pointerINS0_5tupleIxxNS0_9null_typeES7_S7_S7_S7_S7_S7_S7_EENS1_3tagENS0_11use_defaultESA_EENS0_6detail16wrapped_functionINSC_23allocator_traits_detail5gozerEvEEEElLj1EEEvT0_T1_SJ_, .Lfunc_end3452-_ZN6thrust23THRUST_200600_302600_NS11hip_rocprim14__parallel_for6kernelILj256ENS1_10for_each_fINS0_7pointerINS0_5tupleIxxNS0_9null_typeES7_S7_S7_S7_S7_S7_S7_EENS1_3tagENS0_11use_defaultESA_EENS0_6detail16wrapped_functionINSC_23allocator_traits_detail5gozerEvEEEElLj1EEEvT0_T1_SJ_
                                        ; -- End function
	.section	.AMDGPU.csdata,"",@progbits
; Kernel info:
; codeLenInByte = 4
; NumSgprs: 4
; NumVgprs: 0
; NumAgprs: 0
; TotalNumVgprs: 0
; ScratchSize: 0
; MemoryBound: 0
; FloatMode: 240
; IeeeMode: 1
; LDSByteSize: 0 bytes/workgroup (compile time only)
; SGPRBlocks: 0
; VGPRBlocks: 0
; NumSGPRsForWavesPerEU: 4
; NumVGPRsForWavesPerEU: 1
; AccumOffset: 4
; Occupancy: 8
; WaveLimiterHint : 0
; COMPUTE_PGM_RSRC2:SCRATCH_EN: 0
; COMPUTE_PGM_RSRC2:USER_SGPR: 6
; COMPUTE_PGM_RSRC2:TRAP_HANDLER: 0
; COMPUTE_PGM_RSRC2:TGID_X_EN: 1
; COMPUTE_PGM_RSRC2:TGID_Y_EN: 0
; COMPUTE_PGM_RSRC2:TGID_Z_EN: 0
; COMPUTE_PGM_RSRC2:TIDIG_COMP_CNT: 0
; COMPUTE_PGM_RSRC3_GFX90A:ACCUM_OFFSET: 0
; COMPUTE_PGM_RSRC3_GFX90A:TG_SPLIT: 0
	.section	.text._ZN6thrust23THRUST_200600_302600_NS11hip_rocprim14__parallel_for6kernelILj256ENS1_20__uninitialized_copy7functorINS0_12zip_iteratorINS0_5tupleINS0_6detail15normal_iteratorINS0_10device_ptrIxEEEESC_NS0_9null_typeESD_SD_SD_SD_SD_SD_SD_EEEENS9_INS0_7pointerINS7_IxxSD_SD_SD_SD_SD_SD_SD_SD_EENS1_3tagENS0_11use_defaultESJ_EEEEEElLj1EEEvT0_T1_SO_,"axG",@progbits,_ZN6thrust23THRUST_200600_302600_NS11hip_rocprim14__parallel_for6kernelILj256ENS1_20__uninitialized_copy7functorINS0_12zip_iteratorINS0_5tupleINS0_6detail15normal_iteratorINS0_10device_ptrIxEEEESC_NS0_9null_typeESD_SD_SD_SD_SD_SD_SD_EEEENS9_INS0_7pointerINS7_IxxSD_SD_SD_SD_SD_SD_SD_SD_EENS1_3tagENS0_11use_defaultESJ_EEEEEElLj1EEEvT0_T1_SO_,comdat
	.protected	_ZN6thrust23THRUST_200600_302600_NS11hip_rocprim14__parallel_for6kernelILj256ENS1_20__uninitialized_copy7functorINS0_12zip_iteratorINS0_5tupleINS0_6detail15normal_iteratorINS0_10device_ptrIxEEEESC_NS0_9null_typeESD_SD_SD_SD_SD_SD_SD_EEEENS9_INS0_7pointerINS7_IxxSD_SD_SD_SD_SD_SD_SD_SD_EENS1_3tagENS0_11use_defaultESJ_EEEEEElLj1EEEvT0_T1_SO_ ; -- Begin function _ZN6thrust23THRUST_200600_302600_NS11hip_rocprim14__parallel_for6kernelILj256ENS1_20__uninitialized_copy7functorINS0_12zip_iteratorINS0_5tupleINS0_6detail15normal_iteratorINS0_10device_ptrIxEEEESC_NS0_9null_typeESD_SD_SD_SD_SD_SD_SD_EEEENS9_INS0_7pointerINS7_IxxSD_SD_SD_SD_SD_SD_SD_SD_EENS1_3tagENS0_11use_defaultESJ_EEEEEElLj1EEEvT0_T1_SO_
	.globl	_ZN6thrust23THRUST_200600_302600_NS11hip_rocprim14__parallel_for6kernelILj256ENS1_20__uninitialized_copy7functorINS0_12zip_iteratorINS0_5tupleINS0_6detail15normal_iteratorINS0_10device_ptrIxEEEESC_NS0_9null_typeESD_SD_SD_SD_SD_SD_SD_EEEENS9_INS0_7pointerINS7_IxxSD_SD_SD_SD_SD_SD_SD_SD_EENS1_3tagENS0_11use_defaultESJ_EEEEEElLj1EEEvT0_T1_SO_
	.p2align	8
	.type	_ZN6thrust23THRUST_200600_302600_NS11hip_rocprim14__parallel_for6kernelILj256ENS1_20__uninitialized_copy7functorINS0_12zip_iteratorINS0_5tupleINS0_6detail15normal_iteratorINS0_10device_ptrIxEEEESC_NS0_9null_typeESD_SD_SD_SD_SD_SD_SD_EEEENS9_INS0_7pointerINS7_IxxSD_SD_SD_SD_SD_SD_SD_SD_EENS1_3tagENS0_11use_defaultESJ_EEEEEElLj1EEEvT0_T1_SO_,@function
_ZN6thrust23THRUST_200600_302600_NS11hip_rocprim14__parallel_for6kernelILj256ENS1_20__uninitialized_copy7functorINS0_12zip_iteratorINS0_5tupleINS0_6detail15normal_iteratorINS0_10device_ptrIxEEEESC_NS0_9null_typeESD_SD_SD_SD_SD_SD_SD_EEEENS9_INS0_7pointerINS7_IxxSD_SD_SD_SD_SD_SD_SD_SD_EENS1_3tagENS0_11use_defaultESJ_EEEEEElLj1EEEvT0_T1_SO_: ; @_ZN6thrust23THRUST_200600_302600_NS11hip_rocprim14__parallel_for6kernelILj256ENS1_20__uninitialized_copy7functorINS0_12zip_iteratorINS0_5tupleINS0_6detail15normal_iteratorINS0_10device_ptrIxEEEESC_NS0_9null_typeESD_SD_SD_SD_SD_SD_SD_EEEENS9_INS0_7pointerINS7_IxxSD_SD_SD_SD_SD_SD_SD_SD_EENS1_3tagENS0_11use_defaultESJ_EEEEEElLj1EEEvT0_T1_SO_
; %bb.0:
	s_load_dwordx2 s[0:1], s[4:5], 0x20
	s_load_dwordx8 s[8:15], s[4:5], 0x0
	s_lshl_b32 s2, s6, 8
	v_mov_b32_e32 v2, 0x100
	v_mov_b32_e32 v3, 0
	s_waitcnt lgkmcnt(0)
	s_add_u32 s2, s2, s0
	s_addc_u32 s3, 0, s1
	s_sub_u32 s0, s14, s2
	s_subb_u32 s1, s15, s3
	v_cmp_lt_i64_e32 vcc, s[0:1], v[2:3]
	s_and_b64 s[4:5], vcc, exec
	s_cselect_b32 s4, s0, 0x100
	s_cmpk_lg_i32 s4, 0x100
	s_mov_b64 s[0:1], -1
	s_cbranch_scc1 .LBB3453_3
; %bb.1:
	s_andn2_b64 vcc, exec, s[0:1]
	s_cbranch_vccz .LBB3453_6
.LBB3453_2:
	s_endpgm
.LBB3453_3:
	v_cmp_gt_u32_e32 vcc, s4, v0
	s_and_saveexec_b64 s[0:1], vcc
	s_cbranch_execz .LBB3453_5
; %bb.4:
	v_mov_b32_e32 v1, s3
	v_add_co_u32_e32 v6, vcc, s2, v0
	v_addc_co_u32_e32 v7, vcc, 0, v1, vcc
	v_lshlrev_b64 v[2:3], 3, v[6:7]
	v_mov_b32_e32 v1, s11
	v_add_co_u32_e32 v8, vcc, s10, v2
	v_addc_co_u32_e32 v9, vcc, v1, v3, vcc
	v_mov_b32_e32 v1, s9
	v_add_co_u32_e32 v10, vcc, s8, v2
	v_addc_co_u32_e32 v11, vcc, v1, v3, vcc
	global_load_dwordx2 v[2:3], v[10:11], off
	global_load_dwordx2 v[4:5], v[8:9], off
	v_lshlrev_b64 v[6:7], 4, v[6:7]
	v_mov_b32_e32 v1, s13
	v_add_co_u32_e32 v6, vcc, s12, v6
	v_addc_co_u32_e32 v7, vcc, v1, v7, vcc
	s_waitcnt vmcnt(0)
	flat_store_dwordx4 v[6:7], v[2:5]
.LBB3453_5:
	s_or_b64 exec, exec, s[0:1]
	s_cbranch_execnz .LBB3453_2
.LBB3453_6:
	v_mov_b32_e32 v1, s3
	v_add_co_u32_e32 v4, vcc, s2, v0
	v_addc_co_u32_e32 v5, vcc, 0, v1, vcc
	v_lshlrev_b64 v[0:1], 3, v[4:5]
	v_mov_b32_e32 v2, s9
	v_add_co_u32_e32 v6, vcc, s8, v0
	v_addc_co_u32_e32 v7, vcc, v2, v1, vcc
	v_mov_b32_e32 v2, s11
	v_add_co_u32_e32 v8, vcc, s10, v0
	v_addc_co_u32_e32 v9, vcc, v2, v1, vcc
	global_load_dwordx2 v[0:1], v[6:7], off
	global_load_dwordx2 v[2:3], v[8:9], off
	v_lshlrev_b64 v[4:5], 4, v[4:5]
	v_mov_b32_e32 v6, s13
	v_add_co_u32_e32 v4, vcc, s12, v4
	v_addc_co_u32_e32 v5, vcc, v6, v5, vcc
	s_waitcnt vmcnt(0)
	flat_store_dwordx4 v[4:5], v[0:3]
	s_endpgm
	.section	.rodata,"a",@progbits
	.p2align	6, 0x0
	.amdhsa_kernel _ZN6thrust23THRUST_200600_302600_NS11hip_rocprim14__parallel_for6kernelILj256ENS1_20__uninitialized_copy7functorINS0_12zip_iteratorINS0_5tupleINS0_6detail15normal_iteratorINS0_10device_ptrIxEEEESC_NS0_9null_typeESD_SD_SD_SD_SD_SD_SD_EEEENS9_INS0_7pointerINS7_IxxSD_SD_SD_SD_SD_SD_SD_SD_EENS1_3tagENS0_11use_defaultESJ_EEEEEElLj1EEEvT0_T1_SO_
		.amdhsa_group_segment_fixed_size 0
		.amdhsa_private_segment_fixed_size 0
		.amdhsa_kernarg_size 40
		.amdhsa_user_sgpr_count 6
		.amdhsa_user_sgpr_private_segment_buffer 1
		.amdhsa_user_sgpr_dispatch_ptr 0
		.amdhsa_user_sgpr_queue_ptr 0
		.amdhsa_user_sgpr_kernarg_segment_ptr 1
		.amdhsa_user_sgpr_dispatch_id 0
		.amdhsa_user_sgpr_flat_scratch_init 0
		.amdhsa_user_sgpr_kernarg_preload_length 0
		.amdhsa_user_sgpr_kernarg_preload_offset 0
		.amdhsa_user_sgpr_private_segment_size 0
		.amdhsa_uses_dynamic_stack 0
		.amdhsa_system_sgpr_private_segment_wavefront_offset 0
		.amdhsa_system_sgpr_workgroup_id_x 1
		.amdhsa_system_sgpr_workgroup_id_y 0
		.amdhsa_system_sgpr_workgroup_id_z 0
		.amdhsa_system_sgpr_workgroup_info 0
		.amdhsa_system_vgpr_workitem_id 0
		.amdhsa_next_free_vgpr 12
		.amdhsa_next_free_sgpr 16
		.amdhsa_accum_offset 12
		.amdhsa_reserve_vcc 1
		.amdhsa_reserve_flat_scratch 0
		.amdhsa_float_round_mode_32 0
		.amdhsa_float_round_mode_16_64 0
		.amdhsa_float_denorm_mode_32 3
		.amdhsa_float_denorm_mode_16_64 3
		.amdhsa_dx10_clamp 1
		.amdhsa_ieee_mode 1
		.amdhsa_fp16_overflow 0
		.amdhsa_tg_split 0
		.amdhsa_exception_fp_ieee_invalid_op 0
		.amdhsa_exception_fp_denorm_src 0
		.amdhsa_exception_fp_ieee_div_zero 0
		.amdhsa_exception_fp_ieee_overflow 0
		.amdhsa_exception_fp_ieee_underflow 0
		.amdhsa_exception_fp_ieee_inexact 0
		.amdhsa_exception_int_div_zero 0
	.end_amdhsa_kernel
	.section	.text._ZN6thrust23THRUST_200600_302600_NS11hip_rocprim14__parallel_for6kernelILj256ENS1_20__uninitialized_copy7functorINS0_12zip_iteratorINS0_5tupleINS0_6detail15normal_iteratorINS0_10device_ptrIxEEEESC_NS0_9null_typeESD_SD_SD_SD_SD_SD_SD_EEEENS9_INS0_7pointerINS7_IxxSD_SD_SD_SD_SD_SD_SD_SD_EENS1_3tagENS0_11use_defaultESJ_EEEEEElLj1EEEvT0_T1_SO_,"axG",@progbits,_ZN6thrust23THRUST_200600_302600_NS11hip_rocprim14__parallel_for6kernelILj256ENS1_20__uninitialized_copy7functorINS0_12zip_iteratorINS0_5tupleINS0_6detail15normal_iteratorINS0_10device_ptrIxEEEESC_NS0_9null_typeESD_SD_SD_SD_SD_SD_SD_EEEENS9_INS0_7pointerINS7_IxxSD_SD_SD_SD_SD_SD_SD_SD_EENS1_3tagENS0_11use_defaultESJ_EEEEEElLj1EEEvT0_T1_SO_,comdat
.Lfunc_end3453:
	.size	_ZN6thrust23THRUST_200600_302600_NS11hip_rocprim14__parallel_for6kernelILj256ENS1_20__uninitialized_copy7functorINS0_12zip_iteratorINS0_5tupleINS0_6detail15normal_iteratorINS0_10device_ptrIxEEEESC_NS0_9null_typeESD_SD_SD_SD_SD_SD_SD_EEEENS9_INS0_7pointerINS7_IxxSD_SD_SD_SD_SD_SD_SD_SD_EENS1_3tagENS0_11use_defaultESJ_EEEEEElLj1EEEvT0_T1_SO_, .Lfunc_end3453-_ZN6thrust23THRUST_200600_302600_NS11hip_rocprim14__parallel_for6kernelILj256ENS1_20__uninitialized_copy7functorINS0_12zip_iteratorINS0_5tupleINS0_6detail15normal_iteratorINS0_10device_ptrIxEEEESC_NS0_9null_typeESD_SD_SD_SD_SD_SD_SD_EEEENS9_INS0_7pointerINS7_IxxSD_SD_SD_SD_SD_SD_SD_SD_EENS1_3tagENS0_11use_defaultESJ_EEEEEElLj1EEEvT0_T1_SO_
                                        ; -- End function
	.section	.AMDGPU.csdata,"",@progbits
; Kernel info:
; codeLenInByte = 300
; NumSgprs: 20
; NumVgprs: 12
; NumAgprs: 0
; TotalNumVgprs: 12
; ScratchSize: 0
; MemoryBound: 0
; FloatMode: 240
; IeeeMode: 1
; LDSByteSize: 0 bytes/workgroup (compile time only)
; SGPRBlocks: 2
; VGPRBlocks: 1
; NumSGPRsForWavesPerEU: 20
; NumVGPRsForWavesPerEU: 12
; AccumOffset: 12
; Occupancy: 8
; WaveLimiterHint : 0
; COMPUTE_PGM_RSRC2:SCRATCH_EN: 0
; COMPUTE_PGM_RSRC2:USER_SGPR: 6
; COMPUTE_PGM_RSRC2:TRAP_HANDLER: 0
; COMPUTE_PGM_RSRC2:TGID_X_EN: 1
; COMPUTE_PGM_RSRC2:TGID_Y_EN: 0
; COMPUTE_PGM_RSRC2:TGID_Z_EN: 0
; COMPUTE_PGM_RSRC2:TIDIG_COMP_CNT: 0
; COMPUTE_PGM_RSRC3_GFX90A:ACCUM_OFFSET: 2
; COMPUTE_PGM_RSRC3_GFX90A:TG_SPLIT: 0
	.section	.text._ZN7rocprim17ROCPRIM_400000_NS6detail17trampoline_kernelINS0_14default_configENS1_25partition_config_selectorILNS1_17partition_subalgoE3EN6thrust23THRUST_200600_302600_NS5tupleIxxNS7_9null_typeES9_S9_S9_S9_S9_S9_S9_EENS0_10empty_typeEbEEZZNS1_14partition_implILS5_3ELb0ES3_jNS7_6detail15normal_iteratorINS7_7pointerISA_NS7_11hip_rocprim3tagENS7_11use_defaultESJ_EEEEPSB_SM_NS0_5tupleIJPSA_SM_EEENSN_IJSM_SM_EEESB_PlJ10is_orderedEEE10hipError_tPvRmT3_T4_T5_T6_T7_T9_mT8_P12ihipStream_tbDpT10_ENKUlT_T0_E_clISt17integral_constantIbLb0EES1C_EEDaS17_S18_EUlS17_E_NS1_11comp_targetILNS1_3genE0ELNS1_11target_archE4294967295ELNS1_3gpuE0ELNS1_3repE0EEENS1_30default_config_static_selectorELNS0_4arch9wavefront6targetE1EEEvT1_,"axG",@progbits,_ZN7rocprim17ROCPRIM_400000_NS6detail17trampoline_kernelINS0_14default_configENS1_25partition_config_selectorILNS1_17partition_subalgoE3EN6thrust23THRUST_200600_302600_NS5tupleIxxNS7_9null_typeES9_S9_S9_S9_S9_S9_S9_EENS0_10empty_typeEbEEZZNS1_14partition_implILS5_3ELb0ES3_jNS7_6detail15normal_iteratorINS7_7pointerISA_NS7_11hip_rocprim3tagENS7_11use_defaultESJ_EEEEPSB_SM_NS0_5tupleIJPSA_SM_EEENSN_IJSM_SM_EEESB_PlJ10is_orderedEEE10hipError_tPvRmT3_T4_T5_T6_T7_T9_mT8_P12ihipStream_tbDpT10_ENKUlT_T0_E_clISt17integral_constantIbLb0EES1C_EEDaS17_S18_EUlS17_E_NS1_11comp_targetILNS1_3genE0ELNS1_11target_archE4294967295ELNS1_3gpuE0ELNS1_3repE0EEENS1_30default_config_static_selectorELNS0_4arch9wavefront6targetE1EEEvT1_,comdat
	.protected	_ZN7rocprim17ROCPRIM_400000_NS6detail17trampoline_kernelINS0_14default_configENS1_25partition_config_selectorILNS1_17partition_subalgoE3EN6thrust23THRUST_200600_302600_NS5tupleIxxNS7_9null_typeES9_S9_S9_S9_S9_S9_S9_EENS0_10empty_typeEbEEZZNS1_14partition_implILS5_3ELb0ES3_jNS7_6detail15normal_iteratorINS7_7pointerISA_NS7_11hip_rocprim3tagENS7_11use_defaultESJ_EEEEPSB_SM_NS0_5tupleIJPSA_SM_EEENSN_IJSM_SM_EEESB_PlJ10is_orderedEEE10hipError_tPvRmT3_T4_T5_T6_T7_T9_mT8_P12ihipStream_tbDpT10_ENKUlT_T0_E_clISt17integral_constantIbLb0EES1C_EEDaS17_S18_EUlS17_E_NS1_11comp_targetILNS1_3genE0ELNS1_11target_archE4294967295ELNS1_3gpuE0ELNS1_3repE0EEENS1_30default_config_static_selectorELNS0_4arch9wavefront6targetE1EEEvT1_ ; -- Begin function _ZN7rocprim17ROCPRIM_400000_NS6detail17trampoline_kernelINS0_14default_configENS1_25partition_config_selectorILNS1_17partition_subalgoE3EN6thrust23THRUST_200600_302600_NS5tupleIxxNS7_9null_typeES9_S9_S9_S9_S9_S9_S9_EENS0_10empty_typeEbEEZZNS1_14partition_implILS5_3ELb0ES3_jNS7_6detail15normal_iteratorINS7_7pointerISA_NS7_11hip_rocprim3tagENS7_11use_defaultESJ_EEEEPSB_SM_NS0_5tupleIJPSA_SM_EEENSN_IJSM_SM_EEESB_PlJ10is_orderedEEE10hipError_tPvRmT3_T4_T5_T6_T7_T9_mT8_P12ihipStream_tbDpT10_ENKUlT_T0_E_clISt17integral_constantIbLb0EES1C_EEDaS17_S18_EUlS17_E_NS1_11comp_targetILNS1_3genE0ELNS1_11target_archE4294967295ELNS1_3gpuE0ELNS1_3repE0EEENS1_30default_config_static_selectorELNS0_4arch9wavefront6targetE1EEEvT1_
	.globl	_ZN7rocprim17ROCPRIM_400000_NS6detail17trampoline_kernelINS0_14default_configENS1_25partition_config_selectorILNS1_17partition_subalgoE3EN6thrust23THRUST_200600_302600_NS5tupleIxxNS7_9null_typeES9_S9_S9_S9_S9_S9_S9_EENS0_10empty_typeEbEEZZNS1_14partition_implILS5_3ELb0ES3_jNS7_6detail15normal_iteratorINS7_7pointerISA_NS7_11hip_rocprim3tagENS7_11use_defaultESJ_EEEEPSB_SM_NS0_5tupleIJPSA_SM_EEENSN_IJSM_SM_EEESB_PlJ10is_orderedEEE10hipError_tPvRmT3_T4_T5_T6_T7_T9_mT8_P12ihipStream_tbDpT10_ENKUlT_T0_E_clISt17integral_constantIbLb0EES1C_EEDaS17_S18_EUlS17_E_NS1_11comp_targetILNS1_3genE0ELNS1_11target_archE4294967295ELNS1_3gpuE0ELNS1_3repE0EEENS1_30default_config_static_selectorELNS0_4arch9wavefront6targetE1EEEvT1_
	.p2align	8
	.type	_ZN7rocprim17ROCPRIM_400000_NS6detail17trampoline_kernelINS0_14default_configENS1_25partition_config_selectorILNS1_17partition_subalgoE3EN6thrust23THRUST_200600_302600_NS5tupleIxxNS7_9null_typeES9_S9_S9_S9_S9_S9_S9_EENS0_10empty_typeEbEEZZNS1_14partition_implILS5_3ELb0ES3_jNS7_6detail15normal_iteratorINS7_7pointerISA_NS7_11hip_rocprim3tagENS7_11use_defaultESJ_EEEEPSB_SM_NS0_5tupleIJPSA_SM_EEENSN_IJSM_SM_EEESB_PlJ10is_orderedEEE10hipError_tPvRmT3_T4_T5_T6_T7_T9_mT8_P12ihipStream_tbDpT10_ENKUlT_T0_E_clISt17integral_constantIbLb0EES1C_EEDaS17_S18_EUlS17_E_NS1_11comp_targetILNS1_3genE0ELNS1_11target_archE4294967295ELNS1_3gpuE0ELNS1_3repE0EEENS1_30default_config_static_selectorELNS0_4arch9wavefront6targetE1EEEvT1_,@function
_ZN7rocprim17ROCPRIM_400000_NS6detail17trampoline_kernelINS0_14default_configENS1_25partition_config_selectorILNS1_17partition_subalgoE3EN6thrust23THRUST_200600_302600_NS5tupleIxxNS7_9null_typeES9_S9_S9_S9_S9_S9_S9_EENS0_10empty_typeEbEEZZNS1_14partition_implILS5_3ELb0ES3_jNS7_6detail15normal_iteratorINS7_7pointerISA_NS7_11hip_rocprim3tagENS7_11use_defaultESJ_EEEEPSB_SM_NS0_5tupleIJPSA_SM_EEENSN_IJSM_SM_EEESB_PlJ10is_orderedEEE10hipError_tPvRmT3_T4_T5_T6_T7_T9_mT8_P12ihipStream_tbDpT10_ENKUlT_T0_E_clISt17integral_constantIbLb0EES1C_EEDaS17_S18_EUlS17_E_NS1_11comp_targetILNS1_3genE0ELNS1_11target_archE4294967295ELNS1_3gpuE0ELNS1_3repE0EEENS1_30default_config_static_selectorELNS0_4arch9wavefront6targetE1EEEvT1_: ; @_ZN7rocprim17ROCPRIM_400000_NS6detail17trampoline_kernelINS0_14default_configENS1_25partition_config_selectorILNS1_17partition_subalgoE3EN6thrust23THRUST_200600_302600_NS5tupleIxxNS7_9null_typeES9_S9_S9_S9_S9_S9_S9_EENS0_10empty_typeEbEEZZNS1_14partition_implILS5_3ELb0ES3_jNS7_6detail15normal_iteratorINS7_7pointerISA_NS7_11hip_rocprim3tagENS7_11use_defaultESJ_EEEEPSB_SM_NS0_5tupleIJPSA_SM_EEENSN_IJSM_SM_EEESB_PlJ10is_orderedEEE10hipError_tPvRmT3_T4_T5_T6_T7_T9_mT8_P12ihipStream_tbDpT10_ENKUlT_T0_E_clISt17integral_constantIbLb0EES1C_EEDaS17_S18_EUlS17_E_NS1_11comp_targetILNS1_3genE0ELNS1_11target_archE4294967295ELNS1_3gpuE0ELNS1_3repE0EEENS1_30default_config_static_selectorELNS0_4arch9wavefront6targetE1EEEvT1_
; %bb.0:
	.section	.rodata,"a",@progbits
	.p2align	6, 0x0
	.amdhsa_kernel _ZN7rocprim17ROCPRIM_400000_NS6detail17trampoline_kernelINS0_14default_configENS1_25partition_config_selectorILNS1_17partition_subalgoE3EN6thrust23THRUST_200600_302600_NS5tupleIxxNS7_9null_typeES9_S9_S9_S9_S9_S9_S9_EENS0_10empty_typeEbEEZZNS1_14partition_implILS5_3ELb0ES3_jNS7_6detail15normal_iteratorINS7_7pointerISA_NS7_11hip_rocprim3tagENS7_11use_defaultESJ_EEEEPSB_SM_NS0_5tupleIJPSA_SM_EEENSN_IJSM_SM_EEESB_PlJ10is_orderedEEE10hipError_tPvRmT3_T4_T5_T6_T7_T9_mT8_P12ihipStream_tbDpT10_ENKUlT_T0_E_clISt17integral_constantIbLb0EES1C_EEDaS17_S18_EUlS17_E_NS1_11comp_targetILNS1_3genE0ELNS1_11target_archE4294967295ELNS1_3gpuE0ELNS1_3repE0EEENS1_30default_config_static_selectorELNS0_4arch9wavefront6targetE1EEEvT1_
		.amdhsa_group_segment_fixed_size 0
		.amdhsa_private_segment_fixed_size 0
		.amdhsa_kernarg_size 120
		.amdhsa_user_sgpr_count 6
		.amdhsa_user_sgpr_private_segment_buffer 1
		.amdhsa_user_sgpr_dispatch_ptr 0
		.amdhsa_user_sgpr_queue_ptr 0
		.amdhsa_user_sgpr_kernarg_segment_ptr 1
		.amdhsa_user_sgpr_dispatch_id 0
		.amdhsa_user_sgpr_flat_scratch_init 0
		.amdhsa_user_sgpr_kernarg_preload_length 0
		.amdhsa_user_sgpr_kernarg_preload_offset 0
		.amdhsa_user_sgpr_private_segment_size 0
		.amdhsa_uses_dynamic_stack 0
		.amdhsa_system_sgpr_private_segment_wavefront_offset 0
		.amdhsa_system_sgpr_workgroup_id_x 1
		.amdhsa_system_sgpr_workgroup_id_y 0
		.amdhsa_system_sgpr_workgroup_id_z 0
		.amdhsa_system_sgpr_workgroup_info 0
		.amdhsa_system_vgpr_workitem_id 0
		.amdhsa_next_free_vgpr 1
		.amdhsa_next_free_sgpr 0
		.amdhsa_accum_offset 4
		.amdhsa_reserve_vcc 0
		.amdhsa_reserve_flat_scratch 0
		.amdhsa_float_round_mode_32 0
		.amdhsa_float_round_mode_16_64 0
		.amdhsa_float_denorm_mode_32 3
		.amdhsa_float_denorm_mode_16_64 3
		.amdhsa_dx10_clamp 1
		.amdhsa_ieee_mode 1
		.amdhsa_fp16_overflow 0
		.amdhsa_tg_split 0
		.amdhsa_exception_fp_ieee_invalid_op 0
		.amdhsa_exception_fp_denorm_src 0
		.amdhsa_exception_fp_ieee_div_zero 0
		.amdhsa_exception_fp_ieee_overflow 0
		.amdhsa_exception_fp_ieee_underflow 0
		.amdhsa_exception_fp_ieee_inexact 0
		.amdhsa_exception_int_div_zero 0
	.end_amdhsa_kernel
	.section	.text._ZN7rocprim17ROCPRIM_400000_NS6detail17trampoline_kernelINS0_14default_configENS1_25partition_config_selectorILNS1_17partition_subalgoE3EN6thrust23THRUST_200600_302600_NS5tupleIxxNS7_9null_typeES9_S9_S9_S9_S9_S9_S9_EENS0_10empty_typeEbEEZZNS1_14partition_implILS5_3ELb0ES3_jNS7_6detail15normal_iteratorINS7_7pointerISA_NS7_11hip_rocprim3tagENS7_11use_defaultESJ_EEEEPSB_SM_NS0_5tupleIJPSA_SM_EEENSN_IJSM_SM_EEESB_PlJ10is_orderedEEE10hipError_tPvRmT3_T4_T5_T6_T7_T9_mT8_P12ihipStream_tbDpT10_ENKUlT_T0_E_clISt17integral_constantIbLb0EES1C_EEDaS17_S18_EUlS17_E_NS1_11comp_targetILNS1_3genE0ELNS1_11target_archE4294967295ELNS1_3gpuE0ELNS1_3repE0EEENS1_30default_config_static_selectorELNS0_4arch9wavefront6targetE1EEEvT1_,"axG",@progbits,_ZN7rocprim17ROCPRIM_400000_NS6detail17trampoline_kernelINS0_14default_configENS1_25partition_config_selectorILNS1_17partition_subalgoE3EN6thrust23THRUST_200600_302600_NS5tupleIxxNS7_9null_typeES9_S9_S9_S9_S9_S9_S9_EENS0_10empty_typeEbEEZZNS1_14partition_implILS5_3ELb0ES3_jNS7_6detail15normal_iteratorINS7_7pointerISA_NS7_11hip_rocprim3tagENS7_11use_defaultESJ_EEEEPSB_SM_NS0_5tupleIJPSA_SM_EEENSN_IJSM_SM_EEESB_PlJ10is_orderedEEE10hipError_tPvRmT3_T4_T5_T6_T7_T9_mT8_P12ihipStream_tbDpT10_ENKUlT_T0_E_clISt17integral_constantIbLb0EES1C_EEDaS17_S18_EUlS17_E_NS1_11comp_targetILNS1_3genE0ELNS1_11target_archE4294967295ELNS1_3gpuE0ELNS1_3repE0EEENS1_30default_config_static_selectorELNS0_4arch9wavefront6targetE1EEEvT1_,comdat
.Lfunc_end3454:
	.size	_ZN7rocprim17ROCPRIM_400000_NS6detail17trampoline_kernelINS0_14default_configENS1_25partition_config_selectorILNS1_17partition_subalgoE3EN6thrust23THRUST_200600_302600_NS5tupleIxxNS7_9null_typeES9_S9_S9_S9_S9_S9_S9_EENS0_10empty_typeEbEEZZNS1_14partition_implILS5_3ELb0ES3_jNS7_6detail15normal_iteratorINS7_7pointerISA_NS7_11hip_rocprim3tagENS7_11use_defaultESJ_EEEEPSB_SM_NS0_5tupleIJPSA_SM_EEENSN_IJSM_SM_EEESB_PlJ10is_orderedEEE10hipError_tPvRmT3_T4_T5_T6_T7_T9_mT8_P12ihipStream_tbDpT10_ENKUlT_T0_E_clISt17integral_constantIbLb0EES1C_EEDaS17_S18_EUlS17_E_NS1_11comp_targetILNS1_3genE0ELNS1_11target_archE4294967295ELNS1_3gpuE0ELNS1_3repE0EEENS1_30default_config_static_selectorELNS0_4arch9wavefront6targetE1EEEvT1_, .Lfunc_end3454-_ZN7rocprim17ROCPRIM_400000_NS6detail17trampoline_kernelINS0_14default_configENS1_25partition_config_selectorILNS1_17partition_subalgoE3EN6thrust23THRUST_200600_302600_NS5tupleIxxNS7_9null_typeES9_S9_S9_S9_S9_S9_S9_EENS0_10empty_typeEbEEZZNS1_14partition_implILS5_3ELb0ES3_jNS7_6detail15normal_iteratorINS7_7pointerISA_NS7_11hip_rocprim3tagENS7_11use_defaultESJ_EEEEPSB_SM_NS0_5tupleIJPSA_SM_EEENSN_IJSM_SM_EEESB_PlJ10is_orderedEEE10hipError_tPvRmT3_T4_T5_T6_T7_T9_mT8_P12ihipStream_tbDpT10_ENKUlT_T0_E_clISt17integral_constantIbLb0EES1C_EEDaS17_S18_EUlS17_E_NS1_11comp_targetILNS1_3genE0ELNS1_11target_archE4294967295ELNS1_3gpuE0ELNS1_3repE0EEENS1_30default_config_static_selectorELNS0_4arch9wavefront6targetE1EEEvT1_
                                        ; -- End function
	.section	.AMDGPU.csdata,"",@progbits
; Kernel info:
; codeLenInByte = 0
; NumSgprs: 4
; NumVgprs: 0
; NumAgprs: 0
; TotalNumVgprs: 0
; ScratchSize: 0
; MemoryBound: 0
; FloatMode: 240
; IeeeMode: 1
; LDSByteSize: 0 bytes/workgroup (compile time only)
; SGPRBlocks: 0
; VGPRBlocks: 0
; NumSGPRsForWavesPerEU: 4
; NumVGPRsForWavesPerEU: 1
; AccumOffset: 4
; Occupancy: 8
; WaveLimiterHint : 0
; COMPUTE_PGM_RSRC2:SCRATCH_EN: 0
; COMPUTE_PGM_RSRC2:USER_SGPR: 6
; COMPUTE_PGM_RSRC2:TRAP_HANDLER: 0
; COMPUTE_PGM_RSRC2:TGID_X_EN: 1
; COMPUTE_PGM_RSRC2:TGID_Y_EN: 0
; COMPUTE_PGM_RSRC2:TGID_Z_EN: 0
; COMPUTE_PGM_RSRC2:TIDIG_COMP_CNT: 0
; COMPUTE_PGM_RSRC3_GFX90A:ACCUM_OFFSET: 0
; COMPUTE_PGM_RSRC3_GFX90A:TG_SPLIT: 0
	.section	.text._ZN7rocprim17ROCPRIM_400000_NS6detail17trampoline_kernelINS0_14default_configENS1_25partition_config_selectorILNS1_17partition_subalgoE3EN6thrust23THRUST_200600_302600_NS5tupleIxxNS7_9null_typeES9_S9_S9_S9_S9_S9_S9_EENS0_10empty_typeEbEEZZNS1_14partition_implILS5_3ELb0ES3_jNS7_6detail15normal_iteratorINS7_7pointerISA_NS7_11hip_rocprim3tagENS7_11use_defaultESJ_EEEEPSB_SM_NS0_5tupleIJPSA_SM_EEENSN_IJSM_SM_EEESB_PlJ10is_orderedEEE10hipError_tPvRmT3_T4_T5_T6_T7_T9_mT8_P12ihipStream_tbDpT10_ENKUlT_T0_E_clISt17integral_constantIbLb0EES1C_EEDaS17_S18_EUlS17_E_NS1_11comp_targetILNS1_3genE5ELNS1_11target_archE942ELNS1_3gpuE9ELNS1_3repE0EEENS1_30default_config_static_selectorELNS0_4arch9wavefront6targetE1EEEvT1_,"axG",@progbits,_ZN7rocprim17ROCPRIM_400000_NS6detail17trampoline_kernelINS0_14default_configENS1_25partition_config_selectorILNS1_17partition_subalgoE3EN6thrust23THRUST_200600_302600_NS5tupleIxxNS7_9null_typeES9_S9_S9_S9_S9_S9_S9_EENS0_10empty_typeEbEEZZNS1_14partition_implILS5_3ELb0ES3_jNS7_6detail15normal_iteratorINS7_7pointerISA_NS7_11hip_rocprim3tagENS7_11use_defaultESJ_EEEEPSB_SM_NS0_5tupleIJPSA_SM_EEENSN_IJSM_SM_EEESB_PlJ10is_orderedEEE10hipError_tPvRmT3_T4_T5_T6_T7_T9_mT8_P12ihipStream_tbDpT10_ENKUlT_T0_E_clISt17integral_constantIbLb0EES1C_EEDaS17_S18_EUlS17_E_NS1_11comp_targetILNS1_3genE5ELNS1_11target_archE942ELNS1_3gpuE9ELNS1_3repE0EEENS1_30default_config_static_selectorELNS0_4arch9wavefront6targetE1EEEvT1_,comdat
	.protected	_ZN7rocprim17ROCPRIM_400000_NS6detail17trampoline_kernelINS0_14default_configENS1_25partition_config_selectorILNS1_17partition_subalgoE3EN6thrust23THRUST_200600_302600_NS5tupleIxxNS7_9null_typeES9_S9_S9_S9_S9_S9_S9_EENS0_10empty_typeEbEEZZNS1_14partition_implILS5_3ELb0ES3_jNS7_6detail15normal_iteratorINS7_7pointerISA_NS7_11hip_rocprim3tagENS7_11use_defaultESJ_EEEEPSB_SM_NS0_5tupleIJPSA_SM_EEENSN_IJSM_SM_EEESB_PlJ10is_orderedEEE10hipError_tPvRmT3_T4_T5_T6_T7_T9_mT8_P12ihipStream_tbDpT10_ENKUlT_T0_E_clISt17integral_constantIbLb0EES1C_EEDaS17_S18_EUlS17_E_NS1_11comp_targetILNS1_3genE5ELNS1_11target_archE942ELNS1_3gpuE9ELNS1_3repE0EEENS1_30default_config_static_selectorELNS0_4arch9wavefront6targetE1EEEvT1_ ; -- Begin function _ZN7rocprim17ROCPRIM_400000_NS6detail17trampoline_kernelINS0_14default_configENS1_25partition_config_selectorILNS1_17partition_subalgoE3EN6thrust23THRUST_200600_302600_NS5tupleIxxNS7_9null_typeES9_S9_S9_S9_S9_S9_S9_EENS0_10empty_typeEbEEZZNS1_14partition_implILS5_3ELb0ES3_jNS7_6detail15normal_iteratorINS7_7pointerISA_NS7_11hip_rocprim3tagENS7_11use_defaultESJ_EEEEPSB_SM_NS0_5tupleIJPSA_SM_EEENSN_IJSM_SM_EEESB_PlJ10is_orderedEEE10hipError_tPvRmT3_T4_T5_T6_T7_T9_mT8_P12ihipStream_tbDpT10_ENKUlT_T0_E_clISt17integral_constantIbLb0EES1C_EEDaS17_S18_EUlS17_E_NS1_11comp_targetILNS1_3genE5ELNS1_11target_archE942ELNS1_3gpuE9ELNS1_3repE0EEENS1_30default_config_static_selectorELNS0_4arch9wavefront6targetE1EEEvT1_
	.globl	_ZN7rocprim17ROCPRIM_400000_NS6detail17trampoline_kernelINS0_14default_configENS1_25partition_config_selectorILNS1_17partition_subalgoE3EN6thrust23THRUST_200600_302600_NS5tupleIxxNS7_9null_typeES9_S9_S9_S9_S9_S9_S9_EENS0_10empty_typeEbEEZZNS1_14partition_implILS5_3ELb0ES3_jNS7_6detail15normal_iteratorINS7_7pointerISA_NS7_11hip_rocprim3tagENS7_11use_defaultESJ_EEEEPSB_SM_NS0_5tupleIJPSA_SM_EEENSN_IJSM_SM_EEESB_PlJ10is_orderedEEE10hipError_tPvRmT3_T4_T5_T6_T7_T9_mT8_P12ihipStream_tbDpT10_ENKUlT_T0_E_clISt17integral_constantIbLb0EES1C_EEDaS17_S18_EUlS17_E_NS1_11comp_targetILNS1_3genE5ELNS1_11target_archE942ELNS1_3gpuE9ELNS1_3repE0EEENS1_30default_config_static_selectorELNS0_4arch9wavefront6targetE1EEEvT1_
	.p2align	8
	.type	_ZN7rocprim17ROCPRIM_400000_NS6detail17trampoline_kernelINS0_14default_configENS1_25partition_config_selectorILNS1_17partition_subalgoE3EN6thrust23THRUST_200600_302600_NS5tupleIxxNS7_9null_typeES9_S9_S9_S9_S9_S9_S9_EENS0_10empty_typeEbEEZZNS1_14partition_implILS5_3ELb0ES3_jNS7_6detail15normal_iteratorINS7_7pointerISA_NS7_11hip_rocprim3tagENS7_11use_defaultESJ_EEEEPSB_SM_NS0_5tupleIJPSA_SM_EEENSN_IJSM_SM_EEESB_PlJ10is_orderedEEE10hipError_tPvRmT3_T4_T5_T6_T7_T9_mT8_P12ihipStream_tbDpT10_ENKUlT_T0_E_clISt17integral_constantIbLb0EES1C_EEDaS17_S18_EUlS17_E_NS1_11comp_targetILNS1_3genE5ELNS1_11target_archE942ELNS1_3gpuE9ELNS1_3repE0EEENS1_30default_config_static_selectorELNS0_4arch9wavefront6targetE1EEEvT1_,@function
_ZN7rocprim17ROCPRIM_400000_NS6detail17trampoline_kernelINS0_14default_configENS1_25partition_config_selectorILNS1_17partition_subalgoE3EN6thrust23THRUST_200600_302600_NS5tupleIxxNS7_9null_typeES9_S9_S9_S9_S9_S9_S9_EENS0_10empty_typeEbEEZZNS1_14partition_implILS5_3ELb0ES3_jNS7_6detail15normal_iteratorINS7_7pointerISA_NS7_11hip_rocprim3tagENS7_11use_defaultESJ_EEEEPSB_SM_NS0_5tupleIJPSA_SM_EEENSN_IJSM_SM_EEESB_PlJ10is_orderedEEE10hipError_tPvRmT3_T4_T5_T6_T7_T9_mT8_P12ihipStream_tbDpT10_ENKUlT_T0_E_clISt17integral_constantIbLb0EES1C_EEDaS17_S18_EUlS17_E_NS1_11comp_targetILNS1_3genE5ELNS1_11target_archE942ELNS1_3gpuE9ELNS1_3repE0EEENS1_30default_config_static_selectorELNS0_4arch9wavefront6targetE1EEEvT1_: ; @_ZN7rocprim17ROCPRIM_400000_NS6detail17trampoline_kernelINS0_14default_configENS1_25partition_config_selectorILNS1_17partition_subalgoE3EN6thrust23THRUST_200600_302600_NS5tupleIxxNS7_9null_typeES9_S9_S9_S9_S9_S9_S9_EENS0_10empty_typeEbEEZZNS1_14partition_implILS5_3ELb0ES3_jNS7_6detail15normal_iteratorINS7_7pointerISA_NS7_11hip_rocprim3tagENS7_11use_defaultESJ_EEEEPSB_SM_NS0_5tupleIJPSA_SM_EEENSN_IJSM_SM_EEESB_PlJ10is_orderedEEE10hipError_tPvRmT3_T4_T5_T6_T7_T9_mT8_P12ihipStream_tbDpT10_ENKUlT_T0_E_clISt17integral_constantIbLb0EES1C_EEDaS17_S18_EUlS17_E_NS1_11comp_targetILNS1_3genE5ELNS1_11target_archE942ELNS1_3gpuE9ELNS1_3repE0EEENS1_30default_config_static_selectorELNS0_4arch9wavefront6targetE1EEEvT1_
; %bb.0:
	.section	.rodata,"a",@progbits
	.p2align	6, 0x0
	.amdhsa_kernel _ZN7rocprim17ROCPRIM_400000_NS6detail17trampoline_kernelINS0_14default_configENS1_25partition_config_selectorILNS1_17partition_subalgoE3EN6thrust23THRUST_200600_302600_NS5tupleIxxNS7_9null_typeES9_S9_S9_S9_S9_S9_S9_EENS0_10empty_typeEbEEZZNS1_14partition_implILS5_3ELb0ES3_jNS7_6detail15normal_iteratorINS7_7pointerISA_NS7_11hip_rocprim3tagENS7_11use_defaultESJ_EEEEPSB_SM_NS0_5tupleIJPSA_SM_EEENSN_IJSM_SM_EEESB_PlJ10is_orderedEEE10hipError_tPvRmT3_T4_T5_T6_T7_T9_mT8_P12ihipStream_tbDpT10_ENKUlT_T0_E_clISt17integral_constantIbLb0EES1C_EEDaS17_S18_EUlS17_E_NS1_11comp_targetILNS1_3genE5ELNS1_11target_archE942ELNS1_3gpuE9ELNS1_3repE0EEENS1_30default_config_static_selectorELNS0_4arch9wavefront6targetE1EEEvT1_
		.amdhsa_group_segment_fixed_size 0
		.amdhsa_private_segment_fixed_size 0
		.amdhsa_kernarg_size 120
		.amdhsa_user_sgpr_count 6
		.amdhsa_user_sgpr_private_segment_buffer 1
		.amdhsa_user_sgpr_dispatch_ptr 0
		.amdhsa_user_sgpr_queue_ptr 0
		.amdhsa_user_sgpr_kernarg_segment_ptr 1
		.amdhsa_user_sgpr_dispatch_id 0
		.amdhsa_user_sgpr_flat_scratch_init 0
		.amdhsa_user_sgpr_kernarg_preload_length 0
		.amdhsa_user_sgpr_kernarg_preload_offset 0
		.amdhsa_user_sgpr_private_segment_size 0
		.amdhsa_uses_dynamic_stack 0
		.amdhsa_system_sgpr_private_segment_wavefront_offset 0
		.amdhsa_system_sgpr_workgroup_id_x 1
		.amdhsa_system_sgpr_workgroup_id_y 0
		.amdhsa_system_sgpr_workgroup_id_z 0
		.amdhsa_system_sgpr_workgroup_info 0
		.amdhsa_system_vgpr_workitem_id 0
		.amdhsa_next_free_vgpr 1
		.amdhsa_next_free_sgpr 0
		.amdhsa_accum_offset 4
		.amdhsa_reserve_vcc 0
		.amdhsa_reserve_flat_scratch 0
		.amdhsa_float_round_mode_32 0
		.amdhsa_float_round_mode_16_64 0
		.amdhsa_float_denorm_mode_32 3
		.amdhsa_float_denorm_mode_16_64 3
		.amdhsa_dx10_clamp 1
		.amdhsa_ieee_mode 1
		.amdhsa_fp16_overflow 0
		.amdhsa_tg_split 0
		.amdhsa_exception_fp_ieee_invalid_op 0
		.amdhsa_exception_fp_denorm_src 0
		.amdhsa_exception_fp_ieee_div_zero 0
		.amdhsa_exception_fp_ieee_overflow 0
		.amdhsa_exception_fp_ieee_underflow 0
		.amdhsa_exception_fp_ieee_inexact 0
		.amdhsa_exception_int_div_zero 0
	.end_amdhsa_kernel
	.section	.text._ZN7rocprim17ROCPRIM_400000_NS6detail17trampoline_kernelINS0_14default_configENS1_25partition_config_selectorILNS1_17partition_subalgoE3EN6thrust23THRUST_200600_302600_NS5tupleIxxNS7_9null_typeES9_S9_S9_S9_S9_S9_S9_EENS0_10empty_typeEbEEZZNS1_14partition_implILS5_3ELb0ES3_jNS7_6detail15normal_iteratorINS7_7pointerISA_NS7_11hip_rocprim3tagENS7_11use_defaultESJ_EEEEPSB_SM_NS0_5tupleIJPSA_SM_EEENSN_IJSM_SM_EEESB_PlJ10is_orderedEEE10hipError_tPvRmT3_T4_T5_T6_T7_T9_mT8_P12ihipStream_tbDpT10_ENKUlT_T0_E_clISt17integral_constantIbLb0EES1C_EEDaS17_S18_EUlS17_E_NS1_11comp_targetILNS1_3genE5ELNS1_11target_archE942ELNS1_3gpuE9ELNS1_3repE0EEENS1_30default_config_static_selectorELNS0_4arch9wavefront6targetE1EEEvT1_,"axG",@progbits,_ZN7rocprim17ROCPRIM_400000_NS6detail17trampoline_kernelINS0_14default_configENS1_25partition_config_selectorILNS1_17partition_subalgoE3EN6thrust23THRUST_200600_302600_NS5tupleIxxNS7_9null_typeES9_S9_S9_S9_S9_S9_S9_EENS0_10empty_typeEbEEZZNS1_14partition_implILS5_3ELb0ES3_jNS7_6detail15normal_iteratorINS7_7pointerISA_NS7_11hip_rocprim3tagENS7_11use_defaultESJ_EEEEPSB_SM_NS0_5tupleIJPSA_SM_EEENSN_IJSM_SM_EEESB_PlJ10is_orderedEEE10hipError_tPvRmT3_T4_T5_T6_T7_T9_mT8_P12ihipStream_tbDpT10_ENKUlT_T0_E_clISt17integral_constantIbLb0EES1C_EEDaS17_S18_EUlS17_E_NS1_11comp_targetILNS1_3genE5ELNS1_11target_archE942ELNS1_3gpuE9ELNS1_3repE0EEENS1_30default_config_static_selectorELNS0_4arch9wavefront6targetE1EEEvT1_,comdat
.Lfunc_end3455:
	.size	_ZN7rocprim17ROCPRIM_400000_NS6detail17trampoline_kernelINS0_14default_configENS1_25partition_config_selectorILNS1_17partition_subalgoE3EN6thrust23THRUST_200600_302600_NS5tupleIxxNS7_9null_typeES9_S9_S9_S9_S9_S9_S9_EENS0_10empty_typeEbEEZZNS1_14partition_implILS5_3ELb0ES3_jNS7_6detail15normal_iteratorINS7_7pointerISA_NS7_11hip_rocprim3tagENS7_11use_defaultESJ_EEEEPSB_SM_NS0_5tupleIJPSA_SM_EEENSN_IJSM_SM_EEESB_PlJ10is_orderedEEE10hipError_tPvRmT3_T4_T5_T6_T7_T9_mT8_P12ihipStream_tbDpT10_ENKUlT_T0_E_clISt17integral_constantIbLb0EES1C_EEDaS17_S18_EUlS17_E_NS1_11comp_targetILNS1_3genE5ELNS1_11target_archE942ELNS1_3gpuE9ELNS1_3repE0EEENS1_30default_config_static_selectorELNS0_4arch9wavefront6targetE1EEEvT1_, .Lfunc_end3455-_ZN7rocprim17ROCPRIM_400000_NS6detail17trampoline_kernelINS0_14default_configENS1_25partition_config_selectorILNS1_17partition_subalgoE3EN6thrust23THRUST_200600_302600_NS5tupleIxxNS7_9null_typeES9_S9_S9_S9_S9_S9_S9_EENS0_10empty_typeEbEEZZNS1_14partition_implILS5_3ELb0ES3_jNS7_6detail15normal_iteratorINS7_7pointerISA_NS7_11hip_rocprim3tagENS7_11use_defaultESJ_EEEEPSB_SM_NS0_5tupleIJPSA_SM_EEENSN_IJSM_SM_EEESB_PlJ10is_orderedEEE10hipError_tPvRmT3_T4_T5_T6_T7_T9_mT8_P12ihipStream_tbDpT10_ENKUlT_T0_E_clISt17integral_constantIbLb0EES1C_EEDaS17_S18_EUlS17_E_NS1_11comp_targetILNS1_3genE5ELNS1_11target_archE942ELNS1_3gpuE9ELNS1_3repE0EEENS1_30default_config_static_selectorELNS0_4arch9wavefront6targetE1EEEvT1_
                                        ; -- End function
	.section	.AMDGPU.csdata,"",@progbits
; Kernel info:
; codeLenInByte = 0
; NumSgprs: 4
; NumVgprs: 0
; NumAgprs: 0
; TotalNumVgprs: 0
; ScratchSize: 0
; MemoryBound: 0
; FloatMode: 240
; IeeeMode: 1
; LDSByteSize: 0 bytes/workgroup (compile time only)
; SGPRBlocks: 0
; VGPRBlocks: 0
; NumSGPRsForWavesPerEU: 4
; NumVGPRsForWavesPerEU: 1
; AccumOffset: 4
; Occupancy: 8
; WaveLimiterHint : 0
; COMPUTE_PGM_RSRC2:SCRATCH_EN: 0
; COMPUTE_PGM_RSRC2:USER_SGPR: 6
; COMPUTE_PGM_RSRC2:TRAP_HANDLER: 0
; COMPUTE_PGM_RSRC2:TGID_X_EN: 1
; COMPUTE_PGM_RSRC2:TGID_Y_EN: 0
; COMPUTE_PGM_RSRC2:TGID_Z_EN: 0
; COMPUTE_PGM_RSRC2:TIDIG_COMP_CNT: 0
; COMPUTE_PGM_RSRC3_GFX90A:ACCUM_OFFSET: 0
; COMPUTE_PGM_RSRC3_GFX90A:TG_SPLIT: 0
	.section	.text._ZN7rocprim17ROCPRIM_400000_NS6detail17trampoline_kernelINS0_14default_configENS1_25partition_config_selectorILNS1_17partition_subalgoE3EN6thrust23THRUST_200600_302600_NS5tupleIxxNS7_9null_typeES9_S9_S9_S9_S9_S9_S9_EENS0_10empty_typeEbEEZZNS1_14partition_implILS5_3ELb0ES3_jNS7_6detail15normal_iteratorINS7_7pointerISA_NS7_11hip_rocprim3tagENS7_11use_defaultESJ_EEEEPSB_SM_NS0_5tupleIJPSA_SM_EEENSN_IJSM_SM_EEESB_PlJ10is_orderedEEE10hipError_tPvRmT3_T4_T5_T6_T7_T9_mT8_P12ihipStream_tbDpT10_ENKUlT_T0_E_clISt17integral_constantIbLb0EES1C_EEDaS17_S18_EUlS17_E_NS1_11comp_targetILNS1_3genE4ELNS1_11target_archE910ELNS1_3gpuE8ELNS1_3repE0EEENS1_30default_config_static_selectorELNS0_4arch9wavefront6targetE1EEEvT1_,"axG",@progbits,_ZN7rocprim17ROCPRIM_400000_NS6detail17trampoline_kernelINS0_14default_configENS1_25partition_config_selectorILNS1_17partition_subalgoE3EN6thrust23THRUST_200600_302600_NS5tupleIxxNS7_9null_typeES9_S9_S9_S9_S9_S9_S9_EENS0_10empty_typeEbEEZZNS1_14partition_implILS5_3ELb0ES3_jNS7_6detail15normal_iteratorINS7_7pointerISA_NS7_11hip_rocprim3tagENS7_11use_defaultESJ_EEEEPSB_SM_NS0_5tupleIJPSA_SM_EEENSN_IJSM_SM_EEESB_PlJ10is_orderedEEE10hipError_tPvRmT3_T4_T5_T6_T7_T9_mT8_P12ihipStream_tbDpT10_ENKUlT_T0_E_clISt17integral_constantIbLb0EES1C_EEDaS17_S18_EUlS17_E_NS1_11comp_targetILNS1_3genE4ELNS1_11target_archE910ELNS1_3gpuE8ELNS1_3repE0EEENS1_30default_config_static_selectorELNS0_4arch9wavefront6targetE1EEEvT1_,comdat
	.protected	_ZN7rocprim17ROCPRIM_400000_NS6detail17trampoline_kernelINS0_14default_configENS1_25partition_config_selectorILNS1_17partition_subalgoE3EN6thrust23THRUST_200600_302600_NS5tupleIxxNS7_9null_typeES9_S9_S9_S9_S9_S9_S9_EENS0_10empty_typeEbEEZZNS1_14partition_implILS5_3ELb0ES3_jNS7_6detail15normal_iteratorINS7_7pointerISA_NS7_11hip_rocprim3tagENS7_11use_defaultESJ_EEEEPSB_SM_NS0_5tupleIJPSA_SM_EEENSN_IJSM_SM_EEESB_PlJ10is_orderedEEE10hipError_tPvRmT3_T4_T5_T6_T7_T9_mT8_P12ihipStream_tbDpT10_ENKUlT_T0_E_clISt17integral_constantIbLb0EES1C_EEDaS17_S18_EUlS17_E_NS1_11comp_targetILNS1_3genE4ELNS1_11target_archE910ELNS1_3gpuE8ELNS1_3repE0EEENS1_30default_config_static_selectorELNS0_4arch9wavefront6targetE1EEEvT1_ ; -- Begin function _ZN7rocprim17ROCPRIM_400000_NS6detail17trampoline_kernelINS0_14default_configENS1_25partition_config_selectorILNS1_17partition_subalgoE3EN6thrust23THRUST_200600_302600_NS5tupleIxxNS7_9null_typeES9_S9_S9_S9_S9_S9_S9_EENS0_10empty_typeEbEEZZNS1_14partition_implILS5_3ELb0ES3_jNS7_6detail15normal_iteratorINS7_7pointerISA_NS7_11hip_rocprim3tagENS7_11use_defaultESJ_EEEEPSB_SM_NS0_5tupleIJPSA_SM_EEENSN_IJSM_SM_EEESB_PlJ10is_orderedEEE10hipError_tPvRmT3_T4_T5_T6_T7_T9_mT8_P12ihipStream_tbDpT10_ENKUlT_T0_E_clISt17integral_constantIbLb0EES1C_EEDaS17_S18_EUlS17_E_NS1_11comp_targetILNS1_3genE4ELNS1_11target_archE910ELNS1_3gpuE8ELNS1_3repE0EEENS1_30default_config_static_selectorELNS0_4arch9wavefront6targetE1EEEvT1_
	.globl	_ZN7rocprim17ROCPRIM_400000_NS6detail17trampoline_kernelINS0_14default_configENS1_25partition_config_selectorILNS1_17partition_subalgoE3EN6thrust23THRUST_200600_302600_NS5tupleIxxNS7_9null_typeES9_S9_S9_S9_S9_S9_S9_EENS0_10empty_typeEbEEZZNS1_14partition_implILS5_3ELb0ES3_jNS7_6detail15normal_iteratorINS7_7pointerISA_NS7_11hip_rocprim3tagENS7_11use_defaultESJ_EEEEPSB_SM_NS0_5tupleIJPSA_SM_EEENSN_IJSM_SM_EEESB_PlJ10is_orderedEEE10hipError_tPvRmT3_T4_T5_T6_T7_T9_mT8_P12ihipStream_tbDpT10_ENKUlT_T0_E_clISt17integral_constantIbLb0EES1C_EEDaS17_S18_EUlS17_E_NS1_11comp_targetILNS1_3genE4ELNS1_11target_archE910ELNS1_3gpuE8ELNS1_3repE0EEENS1_30default_config_static_selectorELNS0_4arch9wavefront6targetE1EEEvT1_
	.p2align	8
	.type	_ZN7rocprim17ROCPRIM_400000_NS6detail17trampoline_kernelINS0_14default_configENS1_25partition_config_selectorILNS1_17partition_subalgoE3EN6thrust23THRUST_200600_302600_NS5tupleIxxNS7_9null_typeES9_S9_S9_S9_S9_S9_S9_EENS0_10empty_typeEbEEZZNS1_14partition_implILS5_3ELb0ES3_jNS7_6detail15normal_iteratorINS7_7pointerISA_NS7_11hip_rocprim3tagENS7_11use_defaultESJ_EEEEPSB_SM_NS0_5tupleIJPSA_SM_EEENSN_IJSM_SM_EEESB_PlJ10is_orderedEEE10hipError_tPvRmT3_T4_T5_T6_T7_T9_mT8_P12ihipStream_tbDpT10_ENKUlT_T0_E_clISt17integral_constantIbLb0EES1C_EEDaS17_S18_EUlS17_E_NS1_11comp_targetILNS1_3genE4ELNS1_11target_archE910ELNS1_3gpuE8ELNS1_3repE0EEENS1_30default_config_static_selectorELNS0_4arch9wavefront6targetE1EEEvT1_,@function
_ZN7rocprim17ROCPRIM_400000_NS6detail17trampoline_kernelINS0_14default_configENS1_25partition_config_selectorILNS1_17partition_subalgoE3EN6thrust23THRUST_200600_302600_NS5tupleIxxNS7_9null_typeES9_S9_S9_S9_S9_S9_S9_EENS0_10empty_typeEbEEZZNS1_14partition_implILS5_3ELb0ES3_jNS7_6detail15normal_iteratorINS7_7pointerISA_NS7_11hip_rocprim3tagENS7_11use_defaultESJ_EEEEPSB_SM_NS0_5tupleIJPSA_SM_EEENSN_IJSM_SM_EEESB_PlJ10is_orderedEEE10hipError_tPvRmT3_T4_T5_T6_T7_T9_mT8_P12ihipStream_tbDpT10_ENKUlT_T0_E_clISt17integral_constantIbLb0EES1C_EEDaS17_S18_EUlS17_E_NS1_11comp_targetILNS1_3genE4ELNS1_11target_archE910ELNS1_3gpuE8ELNS1_3repE0EEENS1_30default_config_static_selectorELNS0_4arch9wavefront6targetE1EEEvT1_: ; @_ZN7rocprim17ROCPRIM_400000_NS6detail17trampoline_kernelINS0_14default_configENS1_25partition_config_selectorILNS1_17partition_subalgoE3EN6thrust23THRUST_200600_302600_NS5tupleIxxNS7_9null_typeES9_S9_S9_S9_S9_S9_S9_EENS0_10empty_typeEbEEZZNS1_14partition_implILS5_3ELb0ES3_jNS7_6detail15normal_iteratorINS7_7pointerISA_NS7_11hip_rocprim3tagENS7_11use_defaultESJ_EEEEPSB_SM_NS0_5tupleIJPSA_SM_EEENSN_IJSM_SM_EEESB_PlJ10is_orderedEEE10hipError_tPvRmT3_T4_T5_T6_T7_T9_mT8_P12ihipStream_tbDpT10_ENKUlT_T0_E_clISt17integral_constantIbLb0EES1C_EEDaS17_S18_EUlS17_E_NS1_11comp_targetILNS1_3genE4ELNS1_11target_archE910ELNS1_3gpuE8ELNS1_3repE0EEENS1_30default_config_static_selectorELNS0_4arch9wavefront6targetE1EEEvT1_
; %bb.0:
	s_load_dwordx4 s[20:23], s[4:5], 0x8
	s_load_dwordx4 s[24:27], s[4:5], 0x48
	s_load_dwordx2 s[28:29], s[4:5], 0x58
	s_load_dword s2, s[4:5], 0x70
	s_mov_b32 s35, 0
	s_waitcnt lgkmcnt(0)
	s_lshl_b64 s[0:1], s[22:23], 4
	s_add_u32 s7, s20, s0
	s_addc_u32 s8, s21, s1
	s_mul_i32 s0, s2, 0x300
	s_add_i32 s1, s0, s22
	s_sub_i32 s33, s28, s1
	s_add_i32 s3, s2, -1
	s_addk_i32 s33, 0x300
	s_add_u32 s0, s22, s0
	s_addc_u32 s1, s23, 0
	s_cmp_eq_u32 s6, s3
	s_load_dwordx2 s[30:31], s[26:27], 0x0
	s_cselect_b64 s[26:27], -1, 0
	s_cmp_lg_u32 s6, s3
	v_pk_mov_b32 v[2:3], s[28:29], s[28:29] op_sel:[0,1]
	s_cselect_b64 s[2:3], -1, 0
	s_mul_i32 s34, s6, 0x300
	v_cmp_lt_u64_e32 vcc, s[0:1], v[2:3]
	s_or_b64 s[2:3], s[2:3], vcc
	s_lshl_b64 s[0:1], s[34:35], 4
	s_add_u32 s7, s7, s0
	s_addc_u32 s10, s8, s1
	s_mov_b64 s[0:1], -1
	s_and_b64 vcc, exec, s[2:3]
	v_lshlrev_b32_e32 v1, 4, v0
	s_cbranch_vccz .LBB3456_2
; %bb.1:
	v_mov_b32_e32 v2, s10
	v_add_co_u32_e32 v10, vcc, s7, v1
	v_addc_co_u32_e32 v11, vcc, 0, v2, vcc
	v_add_co_u32_e32 v12, vcc, 0x1000, v10
	v_addc_co_u32_e32 v13, vcc, 0, v11, vcc
	flat_load_dwordx4 v[2:5], v[10:11]
	flat_load_dwordx4 v[6:9], v[12:13]
	v_add_co_u32_e32 v10, vcc, 0x2000, v10
	v_addc_co_u32_e32 v11, vcc, 0, v11, vcc
	flat_load_dwordx4 v[10:13], v[10:11]
	s_mov_b64 s[0:1], 0
	s_waitcnt vmcnt(0) lgkmcnt(0)
	ds_write_b128 v1, v[2:5]
	ds_write_b128 v1, v[6:9] offset:4096
	ds_write_b128 v1, v[10:13] offset:8192
	s_waitcnt lgkmcnt(0)
	s_barrier
.LBB3456_2:
	s_andn2_b64 vcc, exec, s[0:1]
	v_cmp_gt_u32_e64 s[0:1], s33, v0
	s_cbranch_vccnz .LBB3456_10
; %bb.3:
	v_pk_mov_b32 v[4:5], 0, 0
	v_pk_mov_b32 v[8:9], v[4:5], v[4:5] op_sel:[0,1]
	v_pk_mov_b32 v[6:7], v[4:5], v[4:5] op_sel:[0,1]
	s_and_saveexec_b64 s[8:9], s[0:1]
	s_cbranch_execz .LBB3456_5
; %bb.4:
	v_mov_b32_e32 v3, s10
	v_add_co_u32_e32 v2, vcc, s7, v1
	v_addc_co_u32_e32 v3, vcc, 0, v3, vcc
	flat_load_dwordx4 v[6:9], v[2:3]
.LBB3456_5:
	s_or_b64 exec, exec, s[8:9]
	v_or_b32_e32 v10, 0x100, v0
	v_cmp_gt_u32_e32 vcc, s33, v10
	v_pk_mov_b32 v[2:3], v[4:5], v[4:5] op_sel:[0,1]
	s_and_saveexec_b64 s[0:1], vcc
	s_cbranch_execz .LBB3456_7
; %bb.6:
	v_lshlrev_b32_e32 v2, 4, v10
	v_mov_b32_e32 v3, s10
	v_add_co_u32_e32 v2, vcc, s7, v2
	v_addc_co_u32_e32 v3, vcc, 0, v3, vcc
	flat_load_dwordx4 v[2:5], v[2:3]
.LBB3456_7:
	s_or_b64 exec, exec, s[0:1]
	v_or_b32_e32 v14, 0x200, v0
	v_pk_mov_b32 v[12:13], 0, 0
	v_cmp_gt_u32_e32 vcc, s33, v14
	v_pk_mov_b32 v[10:11], v[12:13], v[12:13] op_sel:[0,1]
	s_and_saveexec_b64 s[0:1], vcc
	s_cbranch_execz .LBB3456_9
; %bb.8:
	v_lshlrev_b32_e32 v10, 4, v14
	v_mov_b32_e32 v11, s10
	v_add_co_u32_e32 v10, vcc, s7, v10
	v_addc_co_u32_e32 v11, vcc, 0, v11, vcc
	flat_load_dwordx4 v[10:13], v[10:11]
.LBB3456_9:
	s_or_b64 exec, exec, s[0:1]
	s_waitcnt vmcnt(0) lgkmcnt(0)
	ds_write_b128 v1, v[6:9]
	ds_write_b128 v1, v[2:5] offset:4096
	ds_write_b128 v1, v[10:13] offset:8192
	s_waitcnt lgkmcnt(0)
	s_barrier
.LBB3456_10:
	v_mul_u32_u24_e32 v24, 3, v0
	v_lshlrev_b32_e32 v26, 4, v24
	s_waitcnt lgkmcnt(0)
	ds_read_b128 v[10:13], v26
	ds_read_b128 v[6:9], v26 offset:16
	ds_read_b128 v[2:5], v26 offset:32
	v_cndmask_b32_e64 v14, 0, 1, s[2:3]
	v_cmp_ne_u32_e64 s[0:1], 1, v14
	s_andn2_b64 vcc, exec, s[2:3]
	s_waitcnt lgkmcnt(2)
	v_cmp_le_i64_e64 s[10:11], v[10:11], v[12:13]
	s_waitcnt lgkmcnt(1)
	v_cmp_le_i64_e64 s[8:9], v[6:7], v[8:9]
	;; [unrolled: 2-line block ×3, first 2 shown]
	s_barrier
	s_cbranch_vccnz .LBB3456_12
; %bb.11:
	v_cndmask_b32_e64 v15, 0, 1, s[8:9]
	v_cndmask_b32_e64 v14, 0, 1, s[10:11]
	v_lshlrev_b16_e32 v15, 8, v15
	v_or_b32_e32 v14, v14, v15
	v_and_b32_e32 v25, 0xffff, v14
	s_and_b64 s[36:37], s[2:3], exec
	s_load_dwordx2 s[38:39], s[4:5], 0x68
	s_cbranch_execz .LBB3456_13
	s_branch .LBB3456_14
.LBB3456_12:
                                        ; implicit-def: $sgpr36_sgpr37
                                        ; implicit-def: $vgpr25
	s_load_dwordx2 s[38:39], s[4:5], 0x68
.LBB3456_13:
	v_cmp_gt_u32_e32 vcc, s33, v24
	v_cmp_le_i64_e64 s[2:3], v[10:11], v[12:13]
	v_add_u32_e32 v14, 1, v24
	s_and_b64 s[2:3], vcc, s[2:3]
	v_cndmask_b32_e64 v16, 0, 1, s[2:3]
	v_cmp_gt_u32_e32 vcc, s33, v14
	v_cmp_le_i64_e64 s[2:3], v[6:7], v[8:9]
	v_add_u32_e32 v15, 2, v24
	s_and_b64 s[2:3], vcc, s[2:3]
	v_cndmask_b32_e64 v14, 0, 1, s[2:3]
	v_cmp_gt_u32_e32 vcc, s33, v15
	v_cmp_le_i64_e64 s[2:3], v[2:3], v[4:5]
	v_lshlrev_b16_e32 v14, 8, v14
	s_and_b64 s[2:3], vcc, s[2:3]
	v_or_b32_e32 v14, v16, v14
	s_andn2_b64 s[8:9], s[36:37], exec
	s_and_b64 s[2:3], s[2:3], exec
	v_and_b32_e32 v25, 0xffff, v14
	s_or_b64 s[36:37], s[8:9], s[2:3]
.LBB3456_14:
	v_and_b32_e32 v27, 0xff, v25
	v_bfe_u32 v28, v25, 8, 8
	v_cndmask_b32_e64 v14, 0, 1, s[36:37]
	v_add3_u32 v31, v27, v14, v28
	v_mbcnt_lo_u32_b32 v14, -1, 0
	v_mbcnt_hi_u32_b32 v29, -1, v14
	v_and_b32_e32 v14, 15, v29
	v_cmp_eq_u32_e64 s[16:17], 0, v14
	v_cmp_lt_u32_e64 s[14:15], 1, v14
	v_cmp_lt_u32_e64 s[12:13], 3, v14
	;; [unrolled: 1-line block ×3, first 2 shown]
	v_and_b32_e32 v14, 16, v29
	v_cmp_eq_u32_e64 s[8:9], 0, v14
	v_or_b32_e32 v14, 63, v0
	s_cmp_lg_u32 s6, 0
	v_cmp_lt_u32_e64 s[2:3], 31, v29
	v_lshrrev_b32_e32 v30, 6, v0
	v_cmp_eq_u32_e64 s[20:21], v14, v0
	s_cbranch_scc0 .LBB3456_41
; %bb.15:
	v_mov_b32_dpp v14, v31 row_shr:1 row_mask:0xf bank_mask:0xf
	v_cndmask_b32_e64 v14, v14, 0, s[16:17]
	v_add_u32_e32 v14, v14, v31
	s_nop 1
	v_mov_b32_dpp v15, v14 row_shr:2 row_mask:0xf bank_mask:0xf
	v_cndmask_b32_e64 v15, 0, v15, s[14:15]
	v_add_u32_e32 v14, v14, v15
	s_nop 1
	;; [unrolled: 4-line block ×4, first 2 shown]
	v_mov_b32_dpp v15, v14 row_bcast:15 row_mask:0xf bank_mask:0xf
	v_cndmask_b32_e64 v15, v15, 0, s[8:9]
	v_add_u32_e32 v14, v14, v15
	s_nop 1
	v_mov_b32_dpp v15, v14 row_bcast:31 row_mask:0xf bank_mask:0xf
	v_cndmask_b32_e64 v15, 0, v15, s[2:3]
	v_add_u32_e32 v14, v14, v15
	s_and_saveexec_b64 s[18:19], s[20:21]
	s_cbranch_execz .LBB3456_17
; %bb.16:
	v_lshlrev_b32_e32 v15, 2, v30
	ds_write_b32 v15, v14
.LBB3456_17:
	s_or_b64 exec, exec, s[18:19]
	v_cmp_gt_u32_e32 vcc, 4, v0
	s_waitcnt lgkmcnt(0)
	s_barrier
	s_and_saveexec_b64 s[18:19], vcc
	s_cbranch_execz .LBB3456_19
; %bb.18:
	v_lshlrev_b32_e32 v15, 2, v0
	ds_read_b32 v16, v15
	v_and_b32_e32 v17, 3, v29
	v_cmp_ne_u32_e32 vcc, 0, v17
	s_waitcnt lgkmcnt(0)
	v_mov_b32_dpp v18, v16 row_shr:1 row_mask:0xf bank_mask:0xf
	v_cndmask_b32_e32 v18, 0, v18, vcc
	v_add_u32_e32 v16, v18, v16
	v_cmp_lt_u32_e32 vcc, 1, v17
	s_nop 0
	v_mov_b32_dpp v18, v16 row_shr:2 row_mask:0xf bank_mask:0xf
	v_cndmask_b32_e32 v17, 0, v18, vcc
	v_add_u32_e32 v16, v16, v17
	ds_write_b32 v15, v16
.LBB3456_19:
	s_or_b64 exec, exec, s[18:19]
	v_cmp_gt_u32_e32 vcc, 64, v0
	v_cmp_lt_u32_e64 s[18:19], 63, v0
	s_waitcnt lgkmcnt(0)
	s_barrier
	s_waitcnt lgkmcnt(0)
                                        ; implicit-def: $vgpr32
	s_and_saveexec_b64 s[40:41], s[18:19]
	s_cbranch_execz .LBB3456_21
; %bb.20:
	v_lshl_add_u32 v15, v30, 2, -4
	ds_read_b32 v32, v15
	s_waitcnt lgkmcnt(0)
	v_add_u32_e32 v14, v32, v14
.LBB3456_21:
	s_or_b64 exec, exec, s[40:41]
	v_add_u32_e32 v15, -1, v29
	v_and_b32_e32 v16, 64, v29
	v_cmp_lt_i32_e64 s[18:19], v15, v16
	v_cndmask_b32_e64 v15, v15, v29, s[18:19]
	v_lshlrev_b32_e32 v15, 2, v15
	ds_bpermute_b32 v33, v15, v14
	v_cmp_eq_u32_e64 s[18:19], 0, v29
	s_and_saveexec_b64 s[40:41], vcc
	s_cbranch_execz .LBB3456_40
; %bb.22:
	v_mov_b32_e32 v21, 0
	ds_read_b32 v14, v21 offset:12
	s_and_saveexec_b64 s[42:43], s[18:19]
	s_cbranch_execz .LBB3456_24
; %bb.23:
	s_add_i32 s44, s6, 64
	s_mov_b32 s45, 0
	s_lshl_b64 s[44:45], s[44:45], 3
	s_add_u32 s44, s38, s44
	v_mov_b32_e32 v15, 1
	s_addc_u32 s45, s39, s45
	s_waitcnt lgkmcnt(0)
	global_store_dwordx2 v21, v[14:15], s[44:45]
.LBB3456_24:
	s_or_b64 exec, exec, s[42:43]
	v_xad_u32 v16, v29, -1, s6
	v_add_u32_e32 v20, 64, v16
	v_lshlrev_b64 v[18:19], 3, v[20:21]
	v_mov_b32_e32 v15, s39
	v_add_co_u32_e32 v22, vcc, s38, v18
	v_addc_co_u32_e32 v23, vcc, v15, v19, vcc
	global_load_dwordx2 v[18:19], v[22:23], off glc
	s_waitcnt vmcnt(0)
	v_cmp_eq_u16_sdwa s[44:45], v19, v21 src0_sel:BYTE_0 src1_sel:DWORD
	s_and_saveexec_b64 s[42:43], s[44:45]
	s_cbranch_execz .LBB3456_28
; %bb.25:
	s_mov_b64 s[44:45], 0
	v_mov_b32_e32 v15, 0
.LBB3456_26:                            ; =>This Inner Loop Header: Depth=1
	global_load_dwordx2 v[18:19], v[22:23], off glc
	s_waitcnt vmcnt(0)
	v_cmp_ne_u16_sdwa s[46:47], v19, v15 src0_sel:BYTE_0 src1_sel:DWORD
	s_or_b64 s[44:45], s[46:47], s[44:45]
	s_andn2_b64 exec, exec, s[44:45]
	s_cbranch_execnz .LBB3456_26
; %bb.27:
	s_or_b64 exec, exec, s[44:45]
.LBB3456_28:
	s_or_b64 exec, exec, s[42:43]
	v_and_b32_e32 v35, 63, v29
	v_mov_b32_e32 v34, 2
	v_cmp_ne_u32_e32 vcc, 63, v35
	v_cmp_eq_u16_sdwa s[42:43], v19, v34 src0_sel:BYTE_0 src1_sel:DWORD
	v_lshlrev_b64 v[20:21], v29, -1
	v_addc_co_u32_e32 v22, vcc, 0, v29, vcc
	v_and_b32_e32 v15, s43, v21
	v_lshlrev_b32_e32 v36, 2, v22
	v_or_b32_e32 v15, 0x80000000, v15
	ds_bpermute_b32 v22, v36, v18
	v_and_b32_e32 v17, s42, v20
	v_ffbl_b32_e32 v15, v15
	v_add_u32_e32 v15, 32, v15
	v_ffbl_b32_e32 v17, v17
	v_min_u32_e32 v15, v17, v15
	v_cmp_lt_u32_e32 vcc, v35, v15
	s_waitcnt lgkmcnt(0)
	v_cndmask_b32_e32 v17, 0, v22, vcc
	v_cmp_gt_u32_e32 vcc, 62, v35
	v_add_u32_e32 v17, v17, v18
	v_cndmask_b32_e64 v18, 0, 1, vcc
	v_lshlrev_b32_e32 v18, 1, v18
	v_add_lshl_u32 v37, v18, v29, 2
	ds_bpermute_b32 v18, v37, v17
	v_add_u32_e32 v38, 2, v35
	v_cmp_le_u32_e32 vcc, v38, v15
	v_add_u32_e32 v40, 4, v35
	v_add_u32_e32 v42, 8, v35
	s_waitcnt lgkmcnt(0)
	v_cndmask_b32_e32 v18, 0, v18, vcc
	v_cmp_gt_u32_e32 vcc, 60, v35
	v_add_u32_e32 v17, v17, v18
	v_cndmask_b32_e64 v18, 0, 1, vcc
	v_lshlrev_b32_e32 v18, 2, v18
	v_add_lshl_u32 v39, v18, v29, 2
	ds_bpermute_b32 v18, v39, v17
	v_cmp_le_u32_e32 vcc, v40, v15
	v_add_u32_e32 v44, 16, v35
	v_add_u32_e32 v46, 32, v35
	s_waitcnt lgkmcnt(0)
	v_cndmask_b32_e32 v18, 0, v18, vcc
	v_cmp_gt_u32_e32 vcc, 56, v35
	v_add_u32_e32 v17, v17, v18
	v_cndmask_b32_e64 v18, 0, 1, vcc
	v_lshlrev_b32_e32 v18, 3, v18
	v_add_lshl_u32 v41, v18, v29, 2
	ds_bpermute_b32 v18, v41, v17
	v_cmp_le_u32_e32 vcc, v42, v15
	s_waitcnt lgkmcnt(0)
	v_cndmask_b32_e32 v18, 0, v18, vcc
	v_cmp_gt_u32_e32 vcc, 48, v35
	v_add_u32_e32 v17, v17, v18
	v_cndmask_b32_e64 v18, 0, 1, vcc
	v_lshlrev_b32_e32 v18, 4, v18
	v_add_lshl_u32 v43, v18, v29, 2
	ds_bpermute_b32 v18, v43, v17
	v_cmp_le_u32_e32 vcc, v44, v15
	;; [unrolled: 9-line block ×3, first 2 shown]
	s_waitcnt lgkmcnt(0)
	v_cndmask_b32_e32 v15, 0, v18, vcc
	v_add_u32_e32 v18, v17, v15
	v_mov_b32_e32 v17, 0
	s_branch .LBB3456_30
.LBB3456_29:                            ;   in Loop: Header=BB3456_30 Depth=1
	s_or_b64 exec, exec, s[42:43]
	v_cmp_eq_u16_sdwa s[42:43], v19, v34 src0_sel:BYTE_0 src1_sel:DWORD
	v_and_b32_e32 v22, s43, v21
	v_or_b32_e32 v22, 0x80000000, v22
	ds_bpermute_b32 v47, v36, v18
	v_and_b32_e32 v23, s42, v20
	v_ffbl_b32_e32 v22, v22
	v_add_u32_e32 v22, 32, v22
	v_ffbl_b32_e32 v23, v23
	v_min_u32_e32 v22, v23, v22
	v_cmp_lt_u32_e32 vcc, v35, v22
	s_waitcnt lgkmcnt(0)
	v_cndmask_b32_e32 v23, 0, v47, vcc
	v_add_u32_e32 v18, v23, v18
	ds_bpermute_b32 v23, v37, v18
	v_cmp_le_u32_e32 vcc, v38, v22
	v_subrev_u32_e32 v16, 64, v16
	s_waitcnt lgkmcnt(0)
	v_cndmask_b32_e32 v23, 0, v23, vcc
	v_add_u32_e32 v18, v18, v23
	ds_bpermute_b32 v23, v39, v18
	v_cmp_le_u32_e32 vcc, v40, v22
	s_waitcnt lgkmcnt(0)
	v_cndmask_b32_e32 v23, 0, v23, vcc
	v_add_u32_e32 v18, v18, v23
	ds_bpermute_b32 v23, v41, v18
	v_cmp_le_u32_e32 vcc, v42, v22
	;; [unrolled: 5-line block ×4, first 2 shown]
	s_waitcnt lgkmcnt(0)
	v_cndmask_b32_e32 v22, 0, v23, vcc
	v_add3_u32 v18, v22, v15, v18
.LBB3456_30:                            ; =>This Loop Header: Depth=1
                                        ;     Child Loop BB3456_33 Depth 2
	v_cmp_ne_u16_sdwa s[42:43], v19, v34 src0_sel:BYTE_0 src1_sel:DWORD
	v_cndmask_b32_e64 v15, 0, 1, s[42:43]
	;;#ASMSTART
	;;#ASMEND
	v_cmp_ne_u32_e32 vcc, 0, v15
	s_cmp_lg_u64 vcc, exec
	v_mov_b32_e32 v15, v18
	s_cbranch_scc1 .LBB3456_35
; %bb.31:                               ;   in Loop: Header=BB3456_30 Depth=1
	v_lshlrev_b64 v[18:19], 3, v[16:17]
	v_mov_b32_e32 v23, s39
	v_add_co_u32_e32 v22, vcc, s38, v18
	v_addc_co_u32_e32 v23, vcc, v23, v19, vcc
	global_load_dwordx2 v[18:19], v[22:23], off glc
	s_waitcnt vmcnt(0)
	v_cmp_eq_u16_sdwa s[44:45], v19, v17 src0_sel:BYTE_0 src1_sel:DWORD
	s_and_saveexec_b64 s[42:43], s[44:45]
	s_cbranch_execz .LBB3456_29
; %bb.32:                               ;   in Loop: Header=BB3456_30 Depth=1
	s_mov_b64 s[44:45], 0
.LBB3456_33:                            ;   Parent Loop BB3456_30 Depth=1
                                        ; =>  This Inner Loop Header: Depth=2
	global_load_dwordx2 v[18:19], v[22:23], off glc
	s_waitcnt vmcnt(0)
	v_cmp_ne_u16_sdwa s[46:47], v19, v17 src0_sel:BYTE_0 src1_sel:DWORD
	s_or_b64 s[44:45], s[46:47], s[44:45]
	s_andn2_b64 exec, exec, s[44:45]
	s_cbranch_execnz .LBB3456_33
; %bb.34:                               ;   in Loop: Header=BB3456_30 Depth=1
	s_or_b64 exec, exec, s[44:45]
	s_branch .LBB3456_29
.LBB3456_35:                            ;   in Loop: Header=BB3456_30 Depth=1
                                        ; implicit-def: $vgpr18
                                        ; implicit-def: $vgpr19
	s_cbranch_execz .LBB3456_30
; %bb.36:
	s_and_saveexec_b64 s[42:43], s[18:19]
	s_cbranch_execz .LBB3456_38
; %bb.37:
	s_add_i32 s6, s6, 64
	s_mov_b32 s7, 0
	s_lshl_b64 s[6:7], s[6:7], 3
	s_add_u32 s6, s38, s6
	v_add_u32_e32 v16, v15, v14
	v_mov_b32_e32 v17, 2
	s_addc_u32 s7, s39, s7
	v_mov_b32_e32 v18, 0
	global_store_dwordx2 v18, v[16:17], s[6:7]
	ds_write_b64 v18, v[14:15] offset:12288
.LBB3456_38:
	s_or_b64 exec, exec, s[42:43]
	v_cmp_eq_u32_e32 vcc, 0, v0
	s_and_b64 exec, exec, vcc
	s_cbranch_execz .LBB3456_40
; %bb.39:
	v_mov_b32_e32 v14, 0
	ds_write_b32 v14, v15 offset:12
.LBB3456_40:
	s_or_b64 exec, exec, s[40:41]
	v_mov_b32_e32 v15, 0
	s_waitcnt lgkmcnt(0)
	s_barrier
	ds_read_b32 v16, v15 offset:12
	v_cndmask_b32_e64 v14, v33, v32, s[18:19]
	v_cmp_ne_u32_e32 vcc, 0, v0
	v_cndmask_b32_e32 v17, 0, v14, vcc
	s_waitcnt lgkmcnt(0)
	s_barrier
	ds_read_b64 v[14:15], v15 offset:12288
	v_add_u32_e32 v18, v16, v17
	v_add_u32_e32 v17, v18, v27
	;; [unrolled: 1-line block ×3, first 2 shown]
	s_load_dwordx2 s[4:5], s[4:5], 0x28
	s_branch .LBB3456_51
.LBB3456_41:
                                        ; implicit-def: $vgpr15
                                        ; implicit-def: $vgpr16
                                        ; implicit-def: $vgpr17
                                        ; implicit-def: $vgpr18
	s_load_dwordx2 s[4:5], s[4:5], 0x28
	s_cbranch_execz .LBB3456_51
; %bb.42:
	s_waitcnt lgkmcnt(0)
	v_mov_b32_dpp v14, v31 row_shr:1 row_mask:0xf bank_mask:0xf
	v_cndmask_b32_e64 v14, v14, 0, s[16:17]
	v_add_u32_e32 v14, v14, v31
	s_nop 1
	v_mov_b32_dpp v15, v14 row_shr:2 row_mask:0xf bank_mask:0xf
	v_cndmask_b32_e64 v15, 0, v15, s[14:15]
	v_add_u32_e32 v14, v14, v15
	s_nop 1
	;; [unrolled: 4-line block ×4, first 2 shown]
	v_mov_b32_dpp v15, v14 row_bcast:15 row_mask:0xf bank_mask:0xf
	v_cndmask_b32_e64 v15, v15, 0, s[8:9]
	v_add_u32_e32 v14, v14, v15
	s_nop 1
	v_mov_b32_dpp v15, v14 row_bcast:31 row_mask:0xf bank_mask:0xf
	v_cndmask_b32_e64 v15, 0, v15, s[2:3]
	v_add_u32_e32 v14, v14, v15
	s_and_saveexec_b64 s[2:3], s[20:21]
	s_cbranch_execz .LBB3456_44
; %bb.43:
	v_lshlrev_b32_e32 v15, 2, v30
	ds_write_b32 v15, v14
.LBB3456_44:
	s_or_b64 exec, exec, s[2:3]
	v_cmp_gt_u32_e32 vcc, 4, v0
	s_waitcnt lgkmcnt(0)
	s_barrier
	s_and_saveexec_b64 s[2:3], vcc
	s_cbranch_execz .LBB3456_46
; %bb.45:
	s_movk_i32 s6, 0xffd4
	v_mad_i32_i24 v15, v0, s6, v26
	ds_read_b32 v16, v15
	v_and_b32_e32 v17, 3, v29
	v_cmp_ne_u32_e32 vcc, 0, v17
	s_waitcnt lgkmcnt(0)
	v_mov_b32_dpp v18, v16 row_shr:1 row_mask:0xf bank_mask:0xf
	v_cndmask_b32_e32 v18, 0, v18, vcc
	v_add_u32_e32 v16, v18, v16
	v_cmp_lt_u32_e32 vcc, 1, v17
	s_nop 0
	v_mov_b32_dpp v18, v16 row_shr:2 row_mask:0xf bank_mask:0xf
	v_cndmask_b32_e32 v17, 0, v18, vcc
	v_add_u32_e32 v16, v16, v17
	ds_write_b32 v15, v16
.LBB3456_46:
	s_or_b64 exec, exec, s[2:3]
	v_cmp_lt_u32_e32 vcc, 63, v0
	v_mov_b32_e32 v15, 0
	v_mov_b32_e32 v16, 0
	s_waitcnt lgkmcnt(0)
	s_barrier
	s_and_saveexec_b64 s[2:3], vcc
	s_cbranch_execz .LBB3456_48
; %bb.47:
	v_lshl_add_u32 v16, v30, 2, -4
	ds_read_b32 v16, v16
.LBB3456_48:
	s_or_b64 exec, exec, s[2:3]
	v_add_u32_e32 v17, -1, v29
	v_and_b32_e32 v18, 64, v29
	v_cmp_lt_i32_e32 vcc, v17, v18
	v_cndmask_b32_e32 v17, v17, v29, vcc
	s_waitcnt lgkmcnt(0)
	v_add_u32_e32 v14, v16, v14
	v_lshlrev_b32_e32 v17, 2, v17
	ds_bpermute_b32 v17, v17, v14
	ds_read_b32 v14, v15 offset:12
	v_cmp_eq_u32_e32 vcc, 0, v0
	s_and_saveexec_b64 s[2:3], vcc
	s_cbranch_execz .LBB3456_50
; %bb.49:
	v_mov_b32_e32 v18, 0
	v_mov_b32_e32 v15, 2
	s_waitcnt lgkmcnt(0)
	global_store_dwordx2 v18, v[14:15], s[38:39] offset:512
.LBB3456_50:
	s_or_b64 exec, exec, s[2:3]
	v_cmp_eq_u32_e64 s[2:3], 0, v29
	s_waitcnt lgkmcnt(1)
	v_cndmask_b32_e64 v16, v17, v16, s[2:3]
	v_cndmask_b32_e64 v18, v16, 0, vcc
	v_add_u32_e32 v17, v18, v27
	v_mov_b32_e32 v15, 0
	v_add_u32_e32 v16, v17, v28
	s_waitcnt lgkmcnt(0)
	s_barrier
.LBB3456_51:
	s_waitcnt lgkmcnt(0)
	v_add_u32_e32 v20, v14, v24
	v_sub_u32_e32 v18, v18, v15
	v_and_b32_e32 v22, 1, v25
	v_sub_u32_e32 v21, v20, v18
	v_cmp_eq_u32_e32 vcc, 1, v22
	v_cndmask_b32_e32 v18, v21, v18, vcc
	v_lshlrev_b32_e32 v18, 4, v18
	v_lshrrev_b32_e32 v19, 8, v25
	ds_write_b128 v18, v[10:13]
	v_sub_u32_e32 v10, v17, v15
	v_sub_u32_e32 v11, v20, v10
	v_and_b32_e32 v12, 1, v19
	v_add_u32_e32 v11, 1, v11
	v_cmp_eq_u32_e32 vcc, 1, v12
	v_cndmask_b32_e32 v10, v11, v10, vcc
	v_lshlrev_b32_e32 v10, 4, v10
	ds_write_b128 v10, v[6:9]
	v_sub_u32_e32 v6, v16, v15
	v_sub_u32_e32 v7, v20, v6
	v_add_u32_e32 v7, 2, v7
	v_cndmask_b32_e64 v6, v7, v6, s[36:37]
	s_add_u32 s2, s22, s34
	v_lshlrev_b32_e32 v6, 4, v6
	s_addc_u32 s3, s23, 0
	ds_write_b128 v6, v[2:5]
	s_waitcnt lgkmcnt(0)
	s_barrier
	ds_read_b128 v[10:13], v1
	ds_read_b128 v[6:9], v1 offset:4096
	ds_read_b128 v[2:5], v1 offset:8192
	v_mov_b32_e32 v16, s31
	v_add_co_u32_e32 v1, vcc, s30, v15
	s_sub_u32 s2, s28, s2
	v_addc_co_u32_e32 v15, vcc, 0, v16, vcc
	s_subb_u32 s3, s29, s3
	v_mov_b32_e32 v16, s3
	v_add_co_u32_e32 v17, vcc, s2, v14
	v_addc_co_u32_e32 v16, vcc, 0, v16, vcc
	s_and_b64 vcc, exec, s[0:1]
	v_add_co_u32_e64 v19, s[0:1], v17, v1
	v_or_b32_e32 v21, 0x100, v0
	v_or_b32_e32 v18, 0x200, v0
	v_addc_co_u32_e64 v20, s[0:1], v16, v15, s[0:1]
	s_cbranch_vccnz .LBB3456_65
; %bb.52:
	v_cmp_ge_u32_e32 vcc, v0, v14
                                        ; implicit-def: $vgpr16_vgpr17
	s_and_saveexec_b64 s[0:1], vcc
	s_xor_b64 s[0:1], exec, s[0:1]
; %bb.53:
	v_not_b32_e32 v16, v0
	v_ashrrev_i32_e32 v17, 31, v16
	v_add_co_u32_e32 v16, vcc, v19, v16
	v_addc_co_u32_e32 v17, vcc, v20, v17, vcc
; %bb.54:
	s_andn2_saveexec_b64 s[0:1], s[0:1]
; %bb.55:
	v_add_co_u32_e32 v16, vcc, v1, v0
	v_addc_co_u32_e32 v17, vcc, 0, v15, vcc
; %bb.56:
	s_or_b64 exec, exec, s[0:1]
	v_lshlrev_b64 v[16:17], 4, v[16:17]
	v_mov_b32_e32 v22, s5
	v_add_co_u32_e32 v16, vcc, s4, v16
	v_addc_co_u32_e32 v17, vcc, v22, v17, vcc
	v_cmp_ge_u32_e32 vcc, v21, v14
	s_waitcnt lgkmcnt(2)
	global_store_dwordx4 v[16:17], v[10:13], off
                                        ; implicit-def: $vgpr16_vgpr17
	s_and_saveexec_b64 s[0:1], vcc
	s_xor_b64 s[0:1], exec, s[0:1]
; %bb.57:
	v_xor_b32_e32 v16, 0xfffffeff, v0
	v_ashrrev_i32_e32 v17, 31, v16
	v_add_co_u32_e32 v16, vcc, v19, v16
	v_addc_co_u32_e32 v17, vcc, v20, v17, vcc
; %bb.58:
	s_andn2_saveexec_b64 s[0:1], s[0:1]
; %bb.59:
	v_add_co_u32_e32 v16, vcc, v1, v21
	v_addc_co_u32_e32 v17, vcc, 0, v15, vcc
; %bb.60:
	s_or_b64 exec, exec, s[0:1]
	v_lshlrev_b64 v[16:17], 4, v[16:17]
	v_mov_b32_e32 v22, s5
	v_add_co_u32_e32 v16, vcc, s4, v16
	v_addc_co_u32_e32 v17, vcc, v22, v17, vcc
	v_cmp_ge_u32_e32 vcc, v18, v14
	s_waitcnt lgkmcnt(1)
	global_store_dwordx4 v[16:17], v[6:9], off
                                        ; implicit-def: $vgpr16_vgpr17
	s_and_saveexec_b64 s[0:1], vcc
	s_xor_b64 s[0:1], exec, s[0:1]
; %bb.61:
	v_xor_b32_e32 v16, 0xfffffdff, v0
	v_ashrrev_i32_e32 v17, 31, v16
	v_add_co_u32_e32 v16, vcc, v19, v16
	v_addc_co_u32_e32 v17, vcc, v20, v17, vcc
; %bb.62:
	s_andn2_saveexec_b64 s[0:1], s[0:1]
; %bb.63:
	v_add_co_u32_e32 v16, vcc, v1, v18
	v_addc_co_u32_e32 v17, vcc, 0, v15, vcc
; %bb.64:
	s_or_b64 exec, exec, s[0:1]
	s_mov_b64 s[0:1], -1
	s_branch .LBB3456_85
.LBB3456_65:
	s_mov_b64 s[0:1], 0
                                        ; implicit-def: $vgpr16_vgpr17
	s_cbranch_execz .LBB3456_85
; %bb.66:
	v_cmp_gt_u32_e32 vcc, s33, v0
	s_and_saveexec_b64 s[2:3], vcc
	s_cbranch_execz .LBB3456_72
; %bb.67:
	v_cmp_ge_u32_e32 vcc, v0, v14
                                        ; implicit-def: $vgpr16_vgpr17
	s_and_saveexec_b64 s[6:7], vcc
	s_xor_b64 s[6:7], exec, s[6:7]
; %bb.68:
	v_not_b32_e32 v16, v0
	v_ashrrev_i32_e32 v17, 31, v16
	v_add_co_u32_e32 v16, vcc, v19, v16
	v_addc_co_u32_e32 v17, vcc, v20, v17, vcc
; %bb.69:
	s_andn2_saveexec_b64 s[6:7], s[6:7]
; %bb.70:
	v_add_co_u32_e32 v16, vcc, v1, v0
	v_addc_co_u32_e32 v17, vcc, 0, v15, vcc
; %bb.71:
	s_or_b64 exec, exec, s[6:7]
	v_lshlrev_b64 v[16:17], 4, v[16:17]
	v_mov_b32_e32 v22, s5
	v_add_co_u32_e32 v16, vcc, s4, v16
	v_addc_co_u32_e32 v17, vcc, v22, v17, vcc
	s_waitcnt lgkmcnt(2)
	global_store_dwordx4 v[16:17], v[10:13], off
	s_or_b64 exec, exec, s[2:3]
	v_cmp_gt_u32_e32 vcc, s33, v21
	s_and_saveexec_b64 s[2:3], vcc
	s_cbranch_execz .LBB3456_78
	s_branch .LBB3456_73
.LBB3456_72:
	s_or_b64 exec, exec, s[2:3]
	v_cmp_gt_u32_e32 vcc, s33, v21
	s_and_saveexec_b64 s[2:3], vcc
	s_cbranch_execz .LBB3456_78
.LBB3456_73:
	v_cmp_ge_u32_e32 vcc, v21, v14
                                        ; implicit-def: $vgpr10_vgpr11
	s_and_saveexec_b64 s[6:7], vcc
	s_xor_b64 s[6:7], exec, s[6:7]
	s_cbranch_execz .LBB3456_75
; %bb.74:
	s_waitcnt lgkmcnt(2)
	v_xor_b32_e32 v10, 0xfffffeff, v0
	v_ashrrev_i32_e32 v11, 31, v10
	v_add_co_u32_e32 v10, vcc, v19, v10
	v_addc_co_u32_e32 v11, vcc, v20, v11, vcc
                                        ; implicit-def: $vgpr21
.LBB3456_75:
	s_andn2_saveexec_b64 s[6:7], s[6:7]
	s_cbranch_execz .LBB3456_77
; %bb.76:
	s_waitcnt lgkmcnt(2)
	v_add_co_u32_e32 v10, vcc, v1, v21
	v_addc_co_u32_e32 v11, vcc, 0, v15, vcc
.LBB3456_77:
	s_or_b64 exec, exec, s[6:7]
	s_waitcnt lgkmcnt(2)
	v_lshlrev_b64 v[10:11], 4, v[10:11]
	v_mov_b32_e32 v12, s5
	v_add_co_u32_e32 v10, vcc, s4, v10
	v_addc_co_u32_e32 v11, vcc, v12, v11, vcc
	s_waitcnt lgkmcnt(1)
	global_store_dwordx4 v[10:11], v[6:9], off
.LBB3456_78:
	s_or_b64 exec, exec, s[2:3]
	v_cmp_gt_u32_e32 vcc, s33, v18
                                        ; implicit-def: $vgpr16_vgpr17
	s_and_saveexec_b64 s[2:3], vcc
	s_cbranch_execz .LBB3456_84
; %bb.79:
	v_cmp_ge_u32_e32 vcc, v18, v14
                                        ; implicit-def: $vgpr16_vgpr17
	s_and_saveexec_b64 s[6:7], vcc
	s_xor_b64 s[6:7], exec, s[6:7]
	s_cbranch_execz .LBB3456_81
; %bb.80:
	s_waitcnt lgkmcnt(1)
	v_xor_b32_e32 v6, 0xfffffdff, v0
	v_ashrrev_i32_e32 v7, 31, v6
	v_add_co_u32_e32 v16, vcc, v19, v6
	v_addc_co_u32_e32 v17, vcc, v20, v7, vcc
                                        ; implicit-def: $vgpr18
.LBB3456_81:
	s_andn2_saveexec_b64 s[6:7], s[6:7]
; %bb.82:
	v_add_co_u32_e32 v16, vcc, v1, v18
	v_addc_co_u32_e32 v17, vcc, 0, v15, vcc
; %bb.83:
	s_or_b64 exec, exec, s[6:7]
	s_or_b64 s[0:1], s[0:1], exec
.LBB3456_84:
	s_or_b64 exec, exec, s[2:3]
.LBB3456_85:
	s_and_saveexec_b64 s[2:3], s[0:1]
	s_cbranch_execz .LBB3456_87
; %bb.86:
	s_waitcnt lgkmcnt(1)
	v_lshlrev_b64 v[6:7], 4, v[16:17]
	v_mov_b32_e32 v8, s5
	v_add_co_u32_e32 v6, vcc, s4, v6
	v_addc_co_u32_e32 v7, vcc, v8, v7, vcc
	s_waitcnt lgkmcnt(0)
	global_store_dwordx4 v[6:7], v[2:5], off
.LBB3456_87:
	s_or_b64 exec, exec, s[2:3]
	v_cmp_eq_u32_e32 vcc, 0, v0
	s_and_b64 s[0:1], vcc, s[26:27]
	s_and_saveexec_b64 s[2:3], s[0:1]
	s_cbranch_execz .LBB3456_89
; %bb.88:
	v_add_co_u32_e32 v0, vcc, v1, v14
	s_waitcnt lgkmcnt(0)
	v_mov_b32_e32 v2, 0
	v_addc_co_u32_e32 v1, vcc, 0, v15, vcc
	global_store_dwordx2 v2, v[0:1], s[24:25]
.LBB3456_89:
	s_endpgm
	.section	.rodata,"a",@progbits
	.p2align	6, 0x0
	.amdhsa_kernel _ZN7rocprim17ROCPRIM_400000_NS6detail17trampoline_kernelINS0_14default_configENS1_25partition_config_selectorILNS1_17partition_subalgoE3EN6thrust23THRUST_200600_302600_NS5tupleIxxNS7_9null_typeES9_S9_S9_S9_S9_S9_S9_EENS0_10empty_typeEbEEZZNS1_14partition_implILS5_3ELb0ES3_jNS7_6detail15normal_iteratorINS7_7pointerISA_NS7_11hip_rocprim3tagENS7_11use_defaultESJ_EEEEPSB_SM_NS0_5tupleIJPSA_SM_EEENSN_IJSM_SM_EEESB_PlJ10is_orderedEEE10hipError_tPvRmT3_T4_T5_T6_T7_T9_mT8_P12ihipStream_tbDpT10_ENKUlT_T0_E_clISt17integral_constantIbLb0EES1C_EEDaS17_S18_EUlS17_E_NS1_11comp_targetILNS1_3genE4ELNS1_11target_archE910ELNS1_3gpuE8ELNS1_3repE0EEENS1_30default_config_static_selectorELNS0_4arch9wavefront6targetE1EEEvT1_
		.amdhsa_group_segment_fixed_size 12296
		.amdhsa_private_segment_fixed_size 0
		.amdhsa_kernarg_size 120
		.amdhsa_user_sgpr_count 6
		.amdhsa_user_sgpr_private_segment_buffer 1
		.amdhsa_user_sgpr_dispatch_ptr 0
		.amdhsa_user_sgpr_queue_ptr 0
		.amdhsa_user_sgpr_kernarg_segment_ptr 1
		.amdhsa_user_sgpr_dispatch_id 0
		.amdhsa_user_sgpr_flat_scratch_init 0
		.amdhsa_user_sgpr_kernarg_preload_length 0
		.amdhsa_user_sgpr_kernarg_preload_offset 0
		.amdhsa_user_sgpr_private_segment_size 0
		.amdhsa_uses_dynamic_stack 0
		.amdhsa_system_sgpr_private_segment_wavefront_offset 0
		.amdhsa_system_sgpr_workgroup_id_x 1
		.amdhsa_system_sgpr_workgroup_id_y 0
		.amdhsa_system_sgpr_workgroup_id_z 0
		.amdhsa_system_sgpr_workgroup_info 0
		.amdhsa_system_vgpr_workitem_id 0
		.amdhsa_next_free_vgpr 48
		.amdhsa_next_free_sgpr 48
		.amdhsa_accum_offset 48
		.amdhsa_reserve_vcc 1
		.amdhsa_reserve_flat_scratch 0
		.amdhsa_float_round_mode_32 0
		.amdhsa_float_round_mode_16_64 0
		.amdhsa_float_denorm_mode_32 3
		.amdhsa_float_denorm_mode_16_64 3
		.amdhsa_dx10_clamp 1
		.amdhsa_ieee_mode 1
		.amdhsa_fp16_overflow 0
		.amdhsa_tg_split 0
		.amdhsa_exception_fp_ieee_invalid_op 0
		.amdhsa_exception_fp_denorm_src 0
		.amdhsa_exception_fp_ieee_div_zero 0
		.amdhsa_exception_fp_ieee_overflow 0
		.amdhsa_exception_fp_ieee_underflow 0
		.amdhsa_exception_fp_ieee_inexact 0
		.amdhsa_exception_int_div_zero 0
	.end_amdhsa_kernel
	.section	.text._ZN7rocprim17ROCPRIM_400000_NS6detail17trampoline_kernelINS0_14default_configENS1_25partition_config_selectorILNS1_17partition_subalgoE3EN6thrust23THRUST_200600_302600_NS5tupleIxxNS7_9null_typeES9_S9_S9_S9_S9_S9_S9_EENS0_10empty_typeEbEEZZNS1_14partition_implILS5_3ELb0ES3_jNS7_6detail15normal_iteratorINS7_7pointerISA_NS7_11hip_rocprim3tagENS7_11use_defaultESJ_EEEEPSB_SM_NS0_5tupleIJPSA_SM_EEENSN_IJSM_SM_EEESB_PlJ10is_orderedEEE10hipError_tPvRmT3_T4_T5_T6_T7_T9_mT8_P12ihipStream_tbDpT10_ENKUlT_T0_E_clISt17integral_constantIbLb0EES1C_EEDaS17_S18_EUlS17_E_NS1_11comp_targetILNS1_3genE4ELNS1_11target_archE910ELNS1_3gpuE8ELNS1_3repE0EEENS1_30default_config_static_selectorELNS0_4arch9wavefront6targetE1EEEvT1_,"axG",@progbits,_ZN7rocprim17ROCPRIM_400000_NS6detail17trampoline_kernelINS0_14default_configENS1_25partition_config_selectorILNS1_17partition_subalgoE3EN6thrust23THRUST_200600_302600_NS5tupleIxxNS7_9null_typeES9_S9_S9_S9_S9_S9_S9_EENS0_10empty_typeEbEEZZNS1_14partition_implILS5_3ELb0ES3_jNS7_6detail15normal_iteratorINS7_7pointerISA_NS7_11hip_rocprim3tagENS7_11use_defaultESJ_EEEEPSB_SM_NS0_5tupleIJPSA_SM_EEENSN_IJSM_SM_EEESB_PlJ10is_orderedEEE10hipError_tPvRmT3_T4_T5_T6_T7_T9_mT8_P12ihipStream_tbDpT10_ENKUlT_T0_E_clISt17integral_constantIbLb0EES1C_EEDaS17_S18_EUlS17_E_NS1_11comp_targetILNS1_3genE4ELNS1_11target_archE910ELNS1_3gpuE8ELNS1_3repE0EEENS1_30default_config_static_selectorELNS0_4arch9wavefront6targetE1EEEvT1_,comdat
.Lfunc_end3456:
	.size	_ZN7rocprim17ROCPRIM_400000_NS6detail17trampoline_kernelINS0_14default_configENS1_25partition_config_selectorILNS1_17partition_subalgoE3EN6thrust23THRUST_200600_302600_NS5tupleIxxNS7_9null_typeES9_S9_S9_S9_S9_S9_S9_EENS0_10empty_typeEbEEZZNS1_14partition_implILS5_3ELb0ES3_jNS7_6detail15normal_iteratorINS7_7pointerISA_NS7_11hip_rocprim3tagENS7_11use_defaultESJ_EEEEPSB_SM_NS0_5tupleIJPSA_SM_EEENSN_IJSM_SM_EEESB_PlJ10is_orderedEEE10hipError_tPvRmT3_T4_T5_T6_T7_T9_mT8_P12ihipStream_tbDpT10_ENKUlT_T0_E_clISt17integral_constantIbLb0EES1C_EEDaS17_S18_EUlS17_E_NS1_11comp_targetILNS1_3genE4ELNS1_11target_archE910ELNS1_3gpuE8ELNS1_3repE0EEENS1_30default_config_static_selectorELNS0_4arch9wavefront6targetE1EEEvT1_, .Lfunc_end3456-_ZN7rocprim17ROCPRIM_400000_NS6detail17trampoline_kernelINS0_14default_configENS1_25partition_config_selectorILNS1_17partition_subalgoE3EN6thrust23THRUST_200600_302600_NS5tupleIxxNS7_9null_typeES9_S9_S9_S9_S9_S9_S9_EENS0_10empty_typeEbEEZZNS1_14partition_implILS5_3ELb0ES3_jNS7_6detail15normal_iteratorINS7_7pointerISA_NS7_11hip_rocprim3tagENS7_11use_defaultESJ_EEEEPSB_SM_NS0_5tupleIJPSA_SM_EEENSN_IJSM_SM_EEESB_PlJ10is_orderedEEE10hipError_tPvRmT3_T4_T5_T6_T7_T9_mT8_P12ihipStream_tbDpT10_ENKUlT_T0_E_clISt17integral_constantIbLb0EES1C_EEDaS17_S18_EUlS17_E_NS1_11comp_targetILNS1_3genE4ELNS1_11target_archE910ELNS1_3gpuE8ELNS1_3repE0EEENS1_30default_config_static_selectorELNS0_4arch9wavefront6targetE1EEEvT1_
                                        ; -- End function
	.section	.AMDGPU.csdata,"",@progbits
; Kernel info:
; codeLenInByte = 3564
; NumSgprs: 52
; NumVgprs: 48
; NumAgprs: 0
; TotalNumVgprs: 48
; ScratchSize: 0
; MemoryBound: 1
; FloatMode: 240
; IeeeMode: 1
; LDSByteSize: 12296 bytes/workgroup (compile time only)
; SGPRBlocks: 6
; VGPRBlocks: 5
; NumSGPRsForWavesPerEU: 52
; NumVGPRsForWavesPerEU: 48
; AccumOffset: 48
; Occupancy: 5
; WaveLimiterHint : 1
; COMPUTE_PGM_RSRC2:SCRATCH_EN: 0
; COMPUTE_PGM_RSRC2:USER_SGPR: 6
; COMPUTE_PGM_RSRC2:TRAP_HANDLER: 0
; COMPUTE_PGM_RSRC2:TGID_X_EN: 1
; COMPUTE_PGM_RSRC2:TGID_Y_EN: 0
; COMPUTE_PGM_RSRC2:TGID_Z_EN: 0
; COMPUTE_PGM_RSRC2:TIDIG_COMP_CNT: 0
; COMPUTE_PGM_RSRC3_GFX90A:ACCUM_OFFSET: 11
; COMPUTE_PGM_RSRC3_GFX90A:TG_SPLIT: 0
	.section	.text._ZN6thrust23THRUST_200600_302600_NS11hip_rocprim14__parallel_for6kernelILj256ENS1_20__uninitialized_copy7functorINS0_7pointerINS0_5tupleIxxNS0_9null_typeES8_S8_S8_S8_S8_S8_S8_EENS1_3tagENS0_11use_defaultESB_EESC_EEmLj1EEEvT0_T1_SF_,"axG",@progbits,_ZN6thrust23THRUST_200600_302600_NS11hip_rocprim14__parallel_for6kernelILj256ENS1_20__uninitialized_copy7functorINS0_7pointerINS0_5tupleIxxNS0_9null_typeES8_S8_S8_S8_S8_S8_S8_EENS1_3tagENS0_11use_defaultESB_EESC_EEmLj1EEEvT0_T1_SF_,comdat
	.protected	_ZN6thrust23THRUST_200600_302600_NS11hip_rocprim14__parallel_for6kernelILj256ENS1_20__uninitialized_copy7functorINS0_7pointerINS0_5tupleIxxNS0_9null_typeES8_S8_S8_S8_S8_S8_S8_EENS1_3tagENS0_11use_defaultESB_EESC_EEmLj1EEEvT0_T1_SF_ ; -- Begin function _ZN6thrust23THRUST_200600_302600_NS11hip_rocprim14__parallel_for6kernelILj256ENS1_20__uninitialized_copy7functorINS0_7pointerINS0_5tupleIxxNS0_9null_typeES8_S8_S8_S8_S8_S8_S8_EENS1_3tagENS0_11use_defaultESB_EESC_EEmLj1EEEvT0_T1_SF_
	.globl	_ZN6thrust23THRUST_200600_302600_NS11hip_rocprim14__parallel_for6kernelILj256ENS1_20__uninitialized_copy7functorINS0_7pointerINS0_5tupleIxxNS0_9null_typeES8_S8_S8_S8_S8_S8_S8_EENS1_3tagENS0_11use_defaultESB_EESC_EEmLj1EEEvT0_T1_SF_
	.p2align	8
	.type	_ZN6thrust23THRUST_200600_302600_NS11hip_rocprim14__parallel_for6kernelILj256ENS1_20__uninitialized_copy7functorINS0_7pointerINS0_5tupleIxxNS0_9null_typeES8_S8_S8_S8_S8_S8_S8_EENS1_3tagENS0_11use_defaultESB_EESC_EEmLj1EEEvT0_T1_SF_,@function
_ZN6thrust23THRUST_200600_302600_NS11hip_rocprim14__parallel_for6kernelILj256ENS1_20__uninitialized_copy7functorINS0_7pointerINS0_5tupleIxxNS0_9null_typeES8_S8_S8_S8_S8_S8_S8_EENS1_3tagENS0_11use_defaultESB_EESC_EEmLj1EEEvT0_T1_SF_: ; @_ZN6thrust23THRUST_200600_302600_NS11hip_rocprim14__parallel_for6kernelILj256ENS1_20__uninitialized_copy7functorINS0_7pointerINS0_5tupleIxxNS0_9null_typeES8_S8_S8_S8_S8_S8_S8_EENS1_3tagENS0_11use_defaultESB_EESC_EEmLj1EEEvT0_T1_SF_
; %bb.0:
	s_load_dwordx8 s[8:15], s[4:5], 0x0
	s_lshl_b32 s0, s6, 8
	v_mov_b32_e32 v2, 0x100
	v_mov_b32_e32 v3, 0
	s_waitcnt lgkmcnt(0)
	s_add_u32 s4, s0, s14
	s_addc_u32 s5, 0, s15
	s_sub_u32 s2, s12, s4
	s_subb_u32 s3, s13, s5
	v_cmp_lt_u64_e32 vcc, s[2:3], v[2:3]
	s_mov_b64 s[0:1], -1
	s_cbranch_vccnz .LBB3457_3
; %bb.1:
	s_andn2_b64 vcc, exec, s[0:1]
	s_cbranch_vccz .LBB3457_6
.LBB3457_2:
	s_endpgm
.LBB3457_3:
	v_cmp_gt_u32_e32 vcc, s2, v0
	s_and_saveexec_b64 s[0:1], vcc
	s_cbranch_execz .LBB3457_5
; %bb.4:
	v_mov_b32_e32 v1, s5
	v_add_co_u32_e32 v2, vcc, s4, v0
	v_addc_co_u32_e32 v3, vcc, 0, v1, vcc
	v_lshlrev_b64 v[6:7], 4, v[2:3]
	v_mov_b32_e32 v1, s9
	v_add_co_u32_e32 v2, vcc, s8, v6
	v_addc_co_u32_e32 v3, vcc, v1, v7, vcc
	flat_load_dwordx4 v[2:5], v[2:3]
	v_mov_b32_e32 v1, s11
	v_add_co_u32_e32 v6, vcc, s10, v6
	v_addc_co_u32_e32 v7, vcc, v1, v7, vcc
	s_waitcnt vmcnt(0) lgkmcnt(0)
	flat_store_dwordx4 v[6:7], v[2:5]
.LBB3457_5:
	s_or_b64 exec, exec, s[0:1]
	s_cbranch_execnz .LBB3457_2
.LBB3457_6:
	v_mov_b32_e32 v1, s5
	v_add_co_u32_e32 v0, vcc, s4, v0
	v_addc_co_u32_e32 v1, vcc, 0, v1, vcc
	v_lshlrev_b64 v[4:5], 4, v[0:1]
	v_mov_b32_e32 v1, s9
	v_add_co_u32_e32 v0, vcc, s8, v4
	v_addc_co_u32_e32 v1, vcc, v1, v5, vcc
	flat_load_dwordx4 v[0:3], v[0:1]
	v_mov_b32_e32 v6, s11
	v_add_co_u32_e32 v4, vcc, s10, v4
	v_addc_co_u32_e32 v5, vcc, v6, v5, vcc
	s_waitcnt vmcnt(0) lgkmcnt(0)
	flat_store_dwordx4 v[4:5], v[0:3]
	s_endpgm
	.section	.rodata,"a",@progbits
	.p2align	6, 0x0
	.amdhsa_kernel _ZN6thrust23THRUST_200600_302600_NS11hip_rocprim14__parallel_for6kernelILj256ENS1_20__uninitialized_copy7functorINS0_7pointerINS0_5tupleIxxNS0_9null_typeES8_S8_S8_S8_S8_S8_S8_EENS1_3tagENS0_11use_defaultESB_EESC_EEmLj1EEEvT0_T1_SF_
		.amdhsa_group_segment_fixed_size 0
		.amdhsa_private_segment_fixed_size 0
		.amdhsa_kernarg_size 32
		.amdhsa_user_sgpr_count 6
		.amdhsa_user_sgpr_private_segment_buffer 1
		.amdhsa_user_sgpr_dispatch_ptr 0
		.amdhsa_user_sgpr_queue_ptr 0
		.amdhsa_user_sgpr_kernarg_segment_ptr 1
		.amdhsa_user_sgpr_dispatch_id 0
		.amdhsa_user_sgpr_flat_scratch_init 0
		.amdhsa_user_sgpr_kernarg_preload_length 0
		.amdhsa_user_sgpr_kernarg_preload_offset 0
		.amdhsa_user_sgpr_private_segment_size 0
		.amdhsa_uses_dynamic_stack 0
		.amdhsa_system_sgpr_private_segment_wavefront_offset 0
		.amdhsa_system_sgpr_workgroup_id_x 1
		.amdhsa_system_sgpr_workgroup_id_y 0
		.amdhsa_system_sgpr_workgroup_id_z 0
		.amdhsa_system_sgpr_workgroup_info 0
		.amdhsa_system_vgpr_workitem_id 0
		.amdhsa_next_free_vgpr 8
		.amdhsa_next_free_sgpr 16
		.amdhsa_accum_offset 8
		.amdhsa_reserve_vcc 1
		.amdhsa_reserve_flat_scratch 0
		.amdhsa_float_round_mode_32 0
		.amdhsa_float_round_mode_16_64 0
		.amdhsa_float_denorm_mode_32 3
		.amdhsa_float_denorm_mode_16_64 3
		.amdhsa_dx10_clamp 1
		.amdhsa_ieee_mode 1
		.amdhsa_fp16_overflow 0
		.amdhsa_tg_split 0
		.amdhsa_exception_fp_ieee_invalid_op 0
		.amdhsa_exception_fp_denorm_src 0
		.amdhsa_exception_fp_ieee_div_zero 0
		.amdhsa_exception_fp_ieee_overflow 0
		.amdhsa_exception_fp_ieee_underflow 0
		.amdhsa_exception_fp_ieee_inexact 0
		.amdhsa_exception_int_div_zero 0
	.end_amdhsa_kernel
	.section	.text._ZN6thrust23THRUST_200600_302600_NS11hip_rocprim14__parallel_for6kernelILj256ENS1_20__uninitialized_copy7functorINS0_7pointerINS0_5tupleIxxNS0_9null_typeES8_S8_S8_S8_S8_S8_S8_EENS1_3tagENS0_11use_defaultESB_EESC_EEmLj1EEEvT0_T1_SF_,"axG",@progbits,_ZN6thrust23THRUST_200600_302600_NS11hip_rocprim14__parallel_for6kernelILj256ENS1_20__uninitialized_copy7functorINS0_7pointerINS0_5tupleIxxNS0_9null_typeES8_S8_S8_S8_S8_S8_S8_EENS1_3tagENS0_11use_defaultESB_EESC_EEmLj1EEEvT0_T1_SF_,comdat
.Lfunc_end3457:
	.size	_ZN6thrust23THRUST_200600_302600_NS11hip_rocprim14__parallel_for6kernelILj256ENS1_20__uninitialized_copy7functorINS0_7pointerINS0_5tupleIxxNS0_9null_typeES8_S8_S8_S8_S8_S8_S8_EENS1_3tagENS0_11use_defaultESB_EESC_EEmLj1EEEvT0_T1_SF_, .Lfunc_end3457-_ZN6thrust23THRUST_200600_302600_NS11hip_rocprim14__parallel_for6kernelILj256ENS1_20__uninitialized_copy7functorINS0_7pointerINS0_5tupleIxxNS0_9null_typeES8_S8_S8_S8_S8_S8_S8_EENS1_3tagENS0_11use_defaultESB_EESC_EEmLj1EEEvT0_T1_SF_
                                        ; -- End function
	.section	.AMDGPU.csdata,"",@progbits
; Kernel info:
; codeLenInByte = 220
; NumSgprs: 20
; NumVgprs: 8
; NumAgprs: 0
; TotalNumVgprs: 8
; ScratchSize: 0
; MemoryBound: 0
; FloatMode: 240
; IeeeMode: 1
; LDSByteSize: 0 bytes/workgroup (compile time only)
; SGPRBlocks: 2
; VGPRBlocks: 0
; NumSGPRsForWavesPerEU: 20
; NumVGPRsForWavesPerEU: 8
; AccumOffset: 8
; Occupancy: 8
; WaveLimiterHint : 0
; COMPUTE_PGM_RSRC2:SCRATCH_EN: 0
; COMPUTE_PGM_RSRC2:USER_SGPR: 6
; COMPUTE_PGM_RSRC2:TRAP_HANDLER: 0
; COMPUTE_PGM_RSRC2:TGID_X_EN: 1
; COMPUTE_PGM_RSRC2:TGID_Y_EN: 0
; COMPUTE_PGM_RSRC2:TGID_Z_EN: 0
; COMPUTE_PGM_RSRC2:TIDIG_COMP_CNT: 0
; COMPUTE_PGM_RSRC3_GFX90A:ACCUM_OFFSET: 1
; COMPUTE_PGM_RSRC3_GFX90A:TG_SPLIT: 0
	.section	.text._ZN7rocprim17ROCPRIM_400000_NS6detail17trampoline_kernelINS0_14default_configENS1_25partition_config_selectorILNS1_17partition_subalgoE3EN6thrust23THRUST_200600_302600_NS5tupleIxxNS7_9null_typeES9_S9_S9_S9_S9_S9_S9_EENS0_10empty_typeEbEEZZNS1_14partition_implILS5_3ELb0ES3_jNS7_6detail15normal_iteratorINS7_7pointerISA_NS7_11hip_rocprim3tagENS7_11use_defaultESJ_EEEEPSB_SM_NS0_5tupleIJPSA_SM_EEENSN_IJSM_SM_EEESB_PlJ10is_orderedEEE10hipError_tPvRmT3_T4_T5_T6_T7_T9_mT8_P12ihipStream_tbDpT10_ENKUlT_T0_E_clISt17integral_constantIbLb0EES1C_EEDaS17_S18_EUlS17_E_NS1_11comp_targetILNS1_3genE3ELNS1_11target_archE908ELNS1_3gpuE7ELNS1_3repE0EEENS1_30default_config_static_selectorELNS0_4arch9wavefront6targetE1EEEvT1_,"axG",@progbits,_ZN7rocprim17ROCPRIM_400000_NS6detail17trampoline_kernelINS0_14default_configENS1_25partition_config_selectorILNS1_17partition_subalgoE3EN6thrust23THRUST_200600_302600_NS5tupleIxxNS7_9null_typeES9_S9_S9_S9_S9_S9_S9_EENS0_10empty_typeEbEEZZNS1_14partition_implILS5_3ELb0ES3_jNS7_6detail15normal_iteratorINS7_7pointerISA_NS7_11hip_rocprim3tagENS7_11use_defaultESJ_EEEEPSB_SM_NS0_5tupleIJPSA_SM_EEENSN_IJSM_SM_EEESB_PlJ10is_orderedEEE10hipError_tPvRmT3_T4_T5_T6_T7_T9_mT8_P12ihipStream_tbDpT10_ENKUlT_T0_E_clISt17integral_constantIbLb0EES1C_EEDaS17_S18_EUlS17_E_NS1_11comp_targetILNS1_3genE3ELNS1_11target_archE908ELNS1_3gpuE7ELNS1_3repE0EEENS1_30default_config_static_selectorELNS0_4arch9wavefront6targetE1EEEvT1_,comdat
	.protected	_ZN7rocprim17ROCPRIM_400000_NS6detail17trampoline_kernelINS0_14default_configENS1_25partition_config_selectorILNS1_17partition_subalgoE3EN6thrust23THRUST_200600_302600_NS5tupleIxxNS7_9null_typeES9_S9_S9_S9_S9_S9_S9_EENS0_10empty_typeEbEEZZNS1_14partition_implILS5_3ELb0ES3_jNS7_6detail15normal_iteratorINS7_7pointerISA_NS7_11hip_rocprim3tagENS7_11use_defaultESJ_EEEEPSB_SM_NS0_5tupleIJPSA_SM_EEENSN_IJSM_SM_EEESB_PlJ10is_orderedEEE10hipError_tPvRmT3_T4_T5_T6_T7_T9_mT8_P12ihipStream_tbDpT10_ENKUlT_T0_E_clISt17integral_constantIbLb0EES1C_EEDaS17_S18_EUlS17_E_NS1_11comp_targetILNS1_3genE3ELNS1_11target_archE908ELNS1_3gpuE7ELNS1_3repE0EEENS1_30default_config_static_selectorELNS0_4arch9wavefront6targetE1EEEvT1_ ; -- Begin function _ZN7rocprim17ROCPRIM_400000_NS6detail17trampoline_kernelINS0_14default_configENS1_25partition_config_selectorILNS1_17partition_subalgoE3EN6thrust23THRUST_200600_302600_NS5tupleIxxNS7_9null_typeES9_S9_S9_S9_S9_S9_S9_EENS0_10empty_typeEbEEZZNS1_14partition_implILS5_3ELb0ES3_jNS7_6detail15normal_iteratorINS7_7pointerISA_NS7_11hip_rocprim3tagENS7_11use_defaultESJ_EEEEPSB_SM_NS0_5tupleIJPSA_SM_EEENSN_IJSM_SM_EEESB_PlJ10is_orderedEEE10hipError_tPvRmT3_T4_T5_T6_T7_T9_mT8_P12ihipStream_tbDpT10_ENKUlT_T0_E_clISt17integral_constantIbLb0EES1C_EEDaS17_S18_EUlS17_E_NS1_11comp_targetILNS1_3genE3ELNS1_11target_archE908ELNS1_3gpuE7ELNS1_3repE0EEENS1_30default_config_static_selectorELNS0_4arch9wavefront6targetE1EEEvT1_
	.globl	_ZN7rocprim17ROCPRIM_400000_NS6detail17trampoline_kernelINS0_14default_configENS1_25partition_config_selectorILNS1_17partition_subalgoE3EN6thrust23THRUST_200600_302600_NS5tupleIxxNS7_9null_typeES9_S9_S9_S9_S9_S9_S9_EENS0_10empty_typeEbEEZZNS1_14partition_implILS5_3ELb0ES3_jNS7_6detail15normal_iteratorINS7_7pointerISA_NS7_11hip_rocprim3tagENS7_11use_defaultESJ_EEEEPSB_SM_NS0_5tupleIJPSA_SM_EEENSN_IJSM_SM_EEESB_PlJ10is_orderedEEE10hipError_tPvRmT3_T4_T5_T6_T7_T9_mT8_P12ihipStream_tbDpT10_ENKUlT_T0_E_clISt17integral_constantIbLb0EES1C_EEDaS17_S18_EUlS17_E_NS1_11comp_targetILNS1_3genE3ELNS1_11target_archE908ELNS1_3gpuE7ELNS1_3repE0EEENS1_30default_config_static_selectorELNS0_4arch9wavefront6targetE1EEEvT1_
	.p2align	8
	.type	_ZN7rocprim17ROCPRIM_400000_NS6detail17trampoline_kernelINS0_14default_configENS1_25partition_config_selectorILNS1_17partition_subalgoE3EN6thrust23THRUST_200600_302600_NS5tupleIxxNS7_9null_typeES9_S9_S9_S9_S9_S9_S9_EENS0_10empty_typeEbEEZZNS1_14partition_implILS5_3ELb0ES3_jNS7_6detail15normal_iteratorINS7_7pointerISA_NS7_11hip_rocprim3tagENS7_11use_defaultESJ_EEEEPSB_SM_NS0_5tupleIJPSA_SM_EEENSN_IJSM_SM_EEESB_PlJ10is_orderedEEE10hipError_tPvRmT3_T4_T5_T6_T7_T9_mT8_P12ihipStream_tbDpT10_ENKUlT_T0_E_clISt17integral_constantIbLb0EES1C_EEDaS17_S18_EUlS17_E_NS1_11comp_targetILNS1_3genE3ELNS1_11target_archE908ELNS1_3gpuE7ELNS1_3repE0EEENS1_30default_config_static_selectorELNS0_4arch9wavefront6targetE1EEEvT1_,@function
_ZN7rocprim17ROCPRIM_400000_NS6detail17trampoline_kernelINS0_14default_configENS1_25partition_config_selectorILNS1_17partition_subalgoE3EN6thrust23THRUST_200600_302600_NS5tupleIxxNS7_9null_typeES9_S9_S9_S9_S9_S9_S9_EENS0_10empty_typeEbEEZZNS1_14partition_implILS5_3ELb0ES3_jNS7_6detail15normal_iteratorINS7_7pointerISA_NS7_11hip_rocprim3tagENS7_11use_defaultESJ_EEEEPSB_SM_NS0_5tupleIJPSA_SM_EEENSN_IJSM_SM_EEESB_PlJ10is_orderedEEE10hipError_tPvRmT3_T4_T5_T6_T7_T9_mT8_P12ihipStream_tbDpT10_ENKUlT_T0_E_clISt17integral_constantIbLb0EES1C_EEDaS17_S18_EUlS17_E_NS1_11comp_targetILNS1_3genE3ELNS1_11target_archE908ELNS1_3gpuE7ELNS1_3repE0EEENS1_30default_config_static_selectorELNS0_4arch9wavefront6targetE1EEEvT1_: ; @_ZN7rocprim17ROCPRIM_400000_NS6detail17trampoline_kernelINS0_14default_configENS1_25partition_config_selectorILNS1_17partition_subalgoE3EN6thrust23THRUST_200600_302600_NS5tupleIxxNS7_9null_typeES9_S9_S9_S9_S9_S9_S9_EENS0_10empty_typeEbEEZZNS1_14partition_implILS5_3ELb0ES3_jNS7_6detail15normal_iteratorINS7_7pointerISA_NS7_11hip_rocprim3tagENS7_11use_defaultESJ_EEEEPSB_SM_NS0_5tupleIJPSA_SM_EEENSN_IJSM_SM_EEESB_PlJ10is_orderedEEE10hipError_tPvRmT3_T4_T5_T6_T7_T9_mT8_P12ihipStream_tbDpT10_ENKUlT_T0_E_clISt17integral_constantIbLb0EES1C_EEDaS17_S18_EUlS17_E_NS1_11comp_targetILNS1_3genE3ELNS1_11target_archE908ELNS1_3gpuE7ELNS1_3repE0EEENS1_30default_config_static_selectorELNS0_4arch9wavefront6targetE1EEEvT1_
; %bb.0:
	.section	.rodata,"a",@progbits
	.p2align	6, 0x0
	.amdhsa_kernel _ZN7rocprim17ROCPRIM_400000_NS6detail17trampoline_kernelINS0_14default_configENS1_25partition_config_selectorILNS1_17partition_subalgoE3EN6thrust23THRUST_200600_302600_NS5tupleIxxNS7_9null_typeES9_S9_S9_S9_S9_S9_S9_EENS0_10empty_typeEbEEZZNS1_14partition_implILS5_3ELb0ES3_jNS7_6detail15normal_iteratorINS7_7pointerISA_NS7_11hip_rocprim3tagENS7_11use_defaultESJ_EEEEPSB_SM_NS0_5tupleIJPSA_SM_EEENSN_IJSM_SM_EEESB_PlJ10is_orderedEEE10hipError_tPvRmT3_T4_T5_T6_T7_T9_mT8_P12ihipStream_tbDpT10_ENKUlT_T0_E_clISt17integral_constantIbLb0EES1C_EEDaS17_S18_EUlS17_E_NS1_11comp_targetILNS1_3genE3ELNS1_11target_archE908ELNS1_3gpuE7ELNS1_3repE0EEENS1_30default_config_static_selectorELNS0_4arch9wavefront6targetE1EEEvT1_
		.amdhsa_group_segment_fixed_size 0
		.amdhsa_private_segment_fixed_size 0
		.amdhsa_kernarg_size 120
		.amdhsa_user_sgpr_count 6
		.amdhsa_user_sgpr_private_segment_buffer 1
		.amdhsa_user_sgpr_dispatch_ptr 0
		.amdhsa_user_sgpr_queue_ptr 0
		.amdhsa_user_sgpr_kernarg_segment_ptr 1
		.amdhsa_user_sgpr_dispatch_id 0
		.amdhsa_user_sgpr_flat_scratch_init 0
		.amdhsa_user_sgpr_kernarg_preload_length 0
		.amdhsa_user_sgpr_kernarg_preload_offset 0
		.amdhsa_user_sgpr_private_segment_size 0
		.amdhsa_uses_dynamic_stack 0
		.amdhsa_system_sgpr_private_segment_wavefront_offset 0
		.amdhsa_system_sgpr_workgroup_id_x 1
		.amdhsa_system_sgpr_workgroup_id_y 0
		.amdhsa_system_sgpr_workgroup_id_z 0
		.amdhsa_system_sgpr_workgroup_info 0
		.amdhsa_system_vgpr_workitem_id 0
		.amdhsa_next_free_vgpr 1
		.amdhsa_next_free_sgpr 0
		.amdhsa_accum_offset 4
		.amdhsa_reserve_vcc 0
		.amdhsa_reserve_flat_scratch 0
		.amdhsa_float_round_mode_32 0
		.amdhsa_float_round_mode_16_64 0
		.amdhsa_float_denorm_mode_32 3
		.amdhsa_float_denorm_mode_16_64 3
		.amdhsa_dx10_clamp 1
		.amdhsa_ieee_mode 1
		.amdhsa_fp16_overflow 0
		.amdhsa_tg_split 0
		.amdhsa_exception_fp_ieee_invalid_op 0
		.amdhsa_exception_fp_denorm_src 0
		.amdhsa_exception_fp_ieee_div_zero 0
		.amdhsa_exception_fp_ieee_overflow 0
		.amdhsa_exception_fp_ieee_underflow 0
		.amdhsa_exception_fp_ieee_inexact 0
		.amdhsa_exception_int_div_zero 0
	.end_amdhsa_kernel
	.section	.text._ZN7rocprim17ROCPRIM_400000_NS6detail17trampoline_kernelINS0_14default_configENS1_25partition_config_selectorILNS1_17partition_subalgoE3EN6thrust23THRUST_200600_302600_NS5tupleIxxNS7_9null_typeES9_S9_S9_S9_S9_S9_S9_EENS0_10empty_typeEbEEZZNS1_14partition_implILS5_3ELb0ES3_jNS7_6detail15normal_iteratorINS7_7pointerISA_NS7_11hip_rocprim3tagENS7_11use_defaultESJ_EEEEPSB_SM_NS0_5tupleIJPSA_SM_EEENSN_IJSM_SM_EEESB_PlJ10is_orderedEEE10hipError_tPvRmT3_T4_T5_T6_T7_T9_mT8_P12ihipStream_tbDpT10_ENKUlT_T0_E_clISt17integral_constantIbLb0EES1C_EEDaS17_S18_EUlS17_E_NS1_11comp_targetILNS1_3genE3ELNS1_11target_archE908ELNS1_3gpuE7ELNS1_3repE0EEENS1_30default_config_static_selectorELNS0_4arch9wavefront6targetE1EEEvT1_,"axG",@progbits,_ZN7rocprim17ROCPRIM_400000_NS6detail17trampoline_kernelINS0_14default_configENS1_25partition_config_selectorILNS1_17partition_subalgoE3EN6thrust23THRUST_200600_302600_NS5tupleIxxNS7_9null_typeES9_S9_S9_S9_S9_S9_S9_EENS0_10empty_typeEbEEZZNS1_14partition_implILS5_3ELb0ES3_jNS7_6detail15normal_iteratorINS7_7pointerISA_NS7_11hip_rocprim3tagENS7_11use_defaultESJ_EEEEPSB_SM_NS0_5tupleIJPSA_SM_EEENSN_IJSM_SM_EEESB_PlJ10is_orderedEEE10hipError_tPvRmT3_T4_T5_T6_T7_T9_mT8_P12ihipStream_tbDpT10_ENKUlT_T0_E_clISt17integral_constantIbLb0EES1C_EEDaS17_S18_EUlS17_E_NS1_11comp_targetILNS1_3genE3ELNS1_11target_archE908ELNS1_3gpuE7ELNS1_3repE0EEENS1_30default_config_static_selectorELNS0_4arch9wavefront6targetE1EEEvT1_,comdat
.Lfunc_end3458:
	.size	_ZN7rocprim17ROCPRIM_400000_NS6detail17trampoline_kernelINS0_14default_configENS1_25partition_config_selectorILNS1_17partition_subalgoE3EN6thrust23THRUST_200600_302600_NS5tupleIxxNS7_9null_typeES9_S9_S9_S9_S9_S9_S9_EENS0_10empty_typeEbEEZZNS1_14partition_implILS5_3ELb0ES3_jNS7_6detail15normal_iteratorINS7_7pointerISA_NS7_11hip_rocprim3tagENS7_11use_defaultESJ_EEEEPSB_SM_NS0_5tupleIJPSA_SM_EEENSN_IJSM_SM_EEESB_PlJ10is_orderedEEE10hipError_tPvRmT3_T4_T5_T6_T7_T9_mT8_P12ihipStream_tbDpT10_ENKUlT_T0_E_clISt17integral_constantIbLb0EES1C_EEDaS17_S18_EUlS17_E_NS1_11comp_targetILNS1_3genE3ELNS1_11target_archE908ELNS1_3gpuE7ELNS1_3repE0EEENS1_30default_config_static_selectorELNS0_4arch9wavefront6targetE1EEEvT1_, .Lfunc_end3458-_ZN7rocprim17ROCPRIM_400000_NS6detail17trampoline_kernelINS0_14default_configENS1_25partition_config_selectorILNS1_17partition_subalgoE3EN6thrust23THRUST_200600_302600_NS5tupleIxxNS7_9null_typeES9_S9_S9_S9_S9_S9_S9_EENS0_10empty_typeEbEEZZNS1_14partition_implILS5_3ELb0ES3_jNS7_6detail15normal_iteratorINS7_7pointerISA_NS7_11hip_rocprim3tagENS7_11use_defaultESJ_EEEEPSB_SM_NS0_5tupleIJPSA_SM_EEENSN_IJSM_SM_EEESB_PlJ10is_orderedEEE10hipError_tPvRmT3_T4_T5_T6_T7_T9_mT8_P12ihipStream_tbDpT10_ENKUlT_T0_E_clISt17integral_constantIbLb0EES1C_EEDaS17_S18_EUlS17_E_NS1_11comp_targetILNS1_3genE3ELNS1_11target_archE908ELNS1_3gpuE7ELNS1_3repE0EEENS1_30default_config_static_selectorELNS0_4arch9wavefront6targetE1EEEvT1_
                                        ; -- End function
	.section	.AMDGPU.csdata,"",@progbits
; Kernel info:
; codeLenInByte = 0
; NumSgprs: 4
; NumVgprs: 0
; NumAgprs: 0
; TotalNumVgprs: 0
; ScratchSize: 0
; MemoryBound: 0
; FloatMode: 240
; IeeeMode: 1
; LDSByteSize: 0 bytes/workgroup (compile time only)
; SGPRBlocks: 0
; VGPRBlocks: 0
; NumSGPRsForWavesPerEU: 4
; NumVGPRsForWavesPerEU: 1
; AccumOffset: 4
; Occupancy: 8
; WaveLimiterHint : 0
; COMPUTE_PGM_RSRC2:SCRATCH_EN: 0
; COMPUTE_PGM_RSRC2:USER_SGPR: 6
; COMPUTE_PGM_RSRC2:TRAP_HANDLER: 0
; COMPUTE_PGM_RSRC2:TGID_X_EN: 1
; COMPUTE_PGM_RSRC2:TGID_Y_EN: 0
; COMPUTE_PGM_RSRC2:TGID_Z_EN: 0
; COMPUTE_PGM_RSRC2:TIDIG_COMP_CNT: 0
; COMPUTE_PGM_RSRC3_GFX90A:ACCUM_OFFSET: 0
; COMPUTE_PGM_RSRC3_GFX90A:TG_SPLIT: 0
	.section	.text._ZN7rocprim17ROCPRIM_400000_NS6detail17trampoline_kernelINS0_14default_configENS1_25partition_config_selectorILNS1_17partition_subalgoE3EN6thrust23THRUST_200600_302600_NS5tupleIxxNS7_9null_typeES9_S9_S9_S9_S9_S9_S9_EENS0_10empty_typeEbEEZZNS1_14partition_implILS5_3ELb0ES3_jNS7_6detail15normal_iteratorINS7_7pointerISA_NS7_11hip_rocprim3tagENS7_11use_defaultESJ_EEEEPSB_SM_NS0_5tupleIJPSA_SM_EEENSN_IJSM_SM_EEESB_PlJ10is_orderedEEE10hipError_tPvRmT3_T4_T5_T6_T7_T9_mT8_P12ihipStream_tbDpT10_ENKUlT_T0_E_clISt17integral_constantIbLb0EES1C_EEDaS17_S18_EUlS17_E_NS1_11comp_targetILNS1_3genE2ELNS1_11target_archE906ELNS1_3gpuE6ELNS1_3repE0EEENS1_30default_config_static_selectorELNS0_4arch9wavefront6targetE1EEEvT1_,"axG",@progbits,_ZN7rocprim17ROCPRIM_400000_NS6detail17trampoline_kernelINS0_14default_configENS1_25partition_config_selectorILNS1_17partition_subalgoE3EN6thrust23THRUST_200600_302600_NS5tupleIxxNS7_9null_typeES9_S9_S9_S9_S9_S9_S9_EENS0_10empty_typeEbEEZZNS1_14partition_implILS5_3ELb0ES3_jNS7_6detail15normal_iteratorINS7_7pointerISA_NS7_11hip_rocprim3tagENS7_11use_defaultESJ_EEEEPSB_SM_NS0_5tupleIJPSA_SM_EEENSN_IJSM_SM_EEESB_PlJ10is_orderedEEE10hipError_tPvRmT3_T4_T5_T6_T7_T9_mT8_P12ihipStream_tbDpT10_ENKUlT_T0_E_clISt17integral_constantIbLb0EES1C_EEDaS17_S18_EUlS17_E_NS1_11comp_targetILNS1_3genE2ELNS1_11target_archE906ELNS1_3gpuE6ELNS1_3repE0EEENS1_30default_config_static_selectorELNS0_4arch9wavefront6targetE1EEEvT1_,comdat
	.protected	_ZN7rocprim17ROCPRIM_400000_NS6detail17trampoline_kernelINS0_14default_configENS1_25partition_config_selectorILNS1_17partition_subalgoE3EN6thrust23THRUST_200600_302600_NS5tupleIxxNS7_9null_typeES9_S9_S9_S9_S9_S9_S9_EENS0_10empty_typeEbEEZZNS1_14partition_implILS5_3ELb0ES3_jNS7_6detail15normal_iteratorINS7_7pointerISA_NS7_11hip_rocprim3tagENS7_11use_defaultESJ_EEEEPSB_SM_NS0_5tupleIJPSA_SM_EEENSN_IJSM_SM_EEESB_PlJ10is_orderedEEE10hipError_tPvRmT3_T4_T5_T6_T7_T9_mT8_P12ihipStream_tbDpT10_ENKUlT_T0_E_clISt17integral_constantIbLb0EES1C_EEDaS17_S18_EUlS17_E_NS1_11comp_targetILNS1_3genE2ELNS1_11target_archE906ELNS1_3gpuE6ELNS1_3repE0EEENS1_30default_config_static_selectorELNS0_4arch9wavefront6targetE1EEEvT1_ ; -- Begin function _ZN7rocprim17ROCPRIM_400000_NS6detail17trampoline_kernelINS0_14default_configENS1_25partition_config_selectorILNS1_17partition_subalgoE3EN6thrust23THRUST_200600_302600_NS5tupleIxxNS7_9null_typeES9_S9_S9_S9_S9_S9_S9_EENS0_10empty_typeEbEEZZNS1_14partition_implILS5_3ELb0ES3_jNS7_6detail15normal_iteratorINS7_7pointerISA_NS7_11hip_rocprim3tagENS7_11use_defaultESJ_EEEEPSB_SM_NS0_5tupleIJPSA_SM_EEENSN_IJSM_SM_EEESB_PlJ10is_orderedEEE10hipError_tPvRmT3_T4_T5_T6_T7_T9_mT8_P12ihipStream_tbDpT10_ENKUlT_T0_E_clISt17integral_constantIbLb0EES1C_EEDaS17_S18_EUlS17_E_NS1_11comp_targetILNS1_3genE2ELNS1_11target_archE906ELNS1_3gpuE6ELNS1_3repE0EEENS1_30default_config_static_selectorELNS0_4arch9wavefront6targetE1EEEvT1_
	.globl	_ZN7rocprim17ROCPRIM_400000_NS6detail17trampoline_kernelINS0_14default_configENS1_25partition_config_selectorILNS1_17partition_subalgoE3EN6thrust23THRUST_200600_302600_NS5tupleIxxNS7_9null_typeES9_S9_S9_S9_S9_S9_S9_EENS0_10empty_typeEbEEZZNS1_14partition_implILS5_3ELb0ES3_jNS7_6detail15normal_iteratorINS7_7pointerISA_NS7_11hip_rocprim3tagENS7_11use_defaultESJ_EEEEPSB_SM_NS0_5tupleIJPSA_SM_EEENSN_IJSM_SM_EEESB_PlJ10is_orderedEEE10hipError_tPvRmT3_T4_T5_T6_T7_T9_mT8_P12ihipStream_tbDpT10_ENKUlT_T0_E_clISt17integral_constantIbLb0EES1C_EEDaS17_S18_EUlS17_E_NS1_11comp_targetILNS1_3genE2ELNS1_11target_archE906ELNS1_3gpuE6ELNS1_3repE0EEENS1_30default_config_static_selectorELNS0_4arch9wavefront6targetE1EEEvT1_
	.p2align	8
	.type	_ZN7rocprim17ROCPRIM_400000_NS6detail17trampoline_kernelINS0_14default_configENS1_25partition_config_selectorILNS1_17partition_subalgoE3EN6thrust23THRUST_200600_302600_NS5tupleIxxNS7_9null_typeES9_S9_S9_S9_S9_S9_S9_EENS0_10empty_typeEbEEZZNS1_14partition_implILS5_3ELb0ES3_jNS7_6detail15normal_iteratorINS7_7pointerISA_NS7_11hip_rocprim3tagENS7_11use_defaultESJ_EEEEPSB_SM_NS0_5tupleIJPSA_SM_EEENSN_IJSM_SM_EEESB_PlJ10is_orderedEEE10hipError_tPvRmT3_T4_T5_T6_T7_T9_mT8_P12ihipStream_tbDpT10_ENKUlT_T0_E_clISt17integral_constantIbLb0EES1C_EEDaS17_S18_EUlS17_E_NS1_11comp_targetILNS1_3genE2ELNS1_11target_archE906ELNS1_3gpuE6ELNS1_3repE0EEENS1_30default_config_static_selectorELNS0_4arch9wavefront6targetE1EEEvT1_,@function
_ZN7rocprim17ROCPRIM_400000_NS6detail17trampoline_kernelINS0_14default_configENS1_25partition_config_selectorILNS1_17partition_subalgoE3EN6thrust23THRUST_200600_302600_NS5tupleIxxNS7_9null_typeES9_S9_S9_S9_S9_S9_S9_EENS0_10empty_typeEbEEZZNS1_14partition_implILS5_3ELb0ES3_jNS7_6detail15normal_iteratorINS7_7pointerISA_NS7_11hip_rocprim3tagENS7_11use_defaultESJ_EEEEPSB_SM_NS0_5tupleIJPSA_SM_EEENSN_IJSM_SM_EEESB_PlJ10is_orderedEEE10hipError_tPvRmT3_T4_T5_T6_T7_T9_mT8_P12ihipStream_tbDpT10_ENKUlT_T0_E_clISt17integral_constantIbLb0EES1C_EEDaS17_S18_EUlS17_E_NS1_11comp_targetILNS1_3genE2ELNS1_11target_archE906ELNS1_3gpuE6ELNS1_3repE0EEENS1_30default_config_static_selectorELNS0_4arch9wavefront6targetE1EEEvT1_: ; @_ZN7rocprim17ROCPRIM_400000_NS6detail17trampoline_kernelINS0_14default_configENS1_25partition_config_selectorILNS1_17partition_subalgoE3EN6thrust23THRUST_200600_302600_NS5tupleIxxNS7_9null_typeES9_S9_S9_S9_S9_S9_S9_EENS0_10empty_typeEbEEZZNS1_14partition_implILS5_3ELb0ES3_jNS7_6detail15normal_iteratorINS7_7pointerISA_NS7_11hip_rocprim3tagENS7_11use_defaultESJ_EEEEPSB_SM_NS0_5tupleIJPSA_SM_EEENSN_IJSM_SM_EEESB_PlJ10is_orderedEEE10hipError_tPvRmT3_T4_T5_T6_T7_T9_mT8_P12ihipStream_tbDpT10_ENKUlT_T0_E_clISt17integral_constantIbLb0EES1C_EEDaS17_S18_EUlS17_E_NS1_11comp_targetILNS1_3genE2ELNS1_11target_archE906ELNS1_3gpuE6ELNS1_3repE0EEENS1_30default_config_static_selectorELNS0_4arch9wavefront6targetE1EEEvT1_
; %bb.0:
	.section	.rodata,"a",@progbits
	.p2align	6, 0x0
	.amdhsa_kernel _ZN7rocprim17ROCPRIM_400000_NS6detail17trampoline_kernelINS0_14default_configENS1_25partition_config_selectorILNS1_17partition_subalgoE3EN6thrust23THRUST_200600_302600_NS5tupleIxxNS7_9null_typeES9_S9_S9_S9_S9_S9_S9_EENS0_10empty_typeEbEEZZNS1_14partition_implILS5_3ELb0ES3_jNS7_6detail15normal_iteratorINS7_7pointerISA_NS7_11hip_rocprim3tagENS7_11use_defaultESJ_EEEEPSB_SM_NS0_5tupleIJPSA_SM_EEENSN_IJSM_SM_EEESB_PlJ10is_orderedEEE10hipError_tPvRmT3_T4_T5_T6_T7_T9_mT8_P12ihipStream_tbDpT10_ENKUlT_T0_E_clISt17integral_constantIbLb0EES1C_EEDaS17_S18_EUlS17_E_NS1_11comp_targetILNS1_3genE2ELNS1_11target_archE906ELNS1_3gpuE6ELNS1_3repE0EEENS1_30default_config_static_selectorELNS0_4arch9wavefront6targetE1EEEvT1_
		.amdhsa_group_segment_fixed_size 0
		.amdhsa_private_segment_fixed_size 0
		.amdhsa_kernarg_size 120
		.amdhsa_user_sgpr_count 6
		.amdhsa_user_sgpr_private_segment_buffer 1
		.amdhsa_user_sgpr_dispatch_ptr 0
		.amdhsa_user_sgpr_queue_ptr 0
		.amdhsa_user_sgpr_kernarg_segment_ptr 1
		.amdhsa_user_sgpr_dispatch_id 0
		.amdhsa_user_sgpr_flat_scratch_init 0
		.amdhsa_user_sgpr_kernarg_preload_length 0
		.amdhsa_user_sgpr_kernarg_preload_offset 0
		.amdhsa_user_sgpr_private_segment_size 0
		.amdhsa_uses_dynamic_stack 0
		.amdhsa_system_sgpr_private_segment_wavefront_offset 0
		.amdhsa_system_sgpr_workgroup_id_x 1
		.amdhsa_system_sgpr_workgroup_id_y 0
		.amdhsa_system_sgpr_workgroup_id_z 0
		.amdhsa_system_sgpr_workgroup_info 0
		.amdhsa_system_vgpr_workitem_id 0
		.amdhsa_next_free_vgpr 1
		.amdhsa_next_free_sgpr 0
		.amdhsa_accum_offset 4
		.amdhsa_reserve_vcc 0
		.amdhsa_reserve_flat_scratch 0
		.amdhsa_float_round_mode_32 0
		.amdhsa_float_round_mode_16_64 0
		.amdhsa_float_denorm_mode_32 3
		.amdhsa_float_denorm_mode_16_64 3
		.amdhsa_dx10_clamp 1
		.amdhsa_ieee_mode 1
		.amdhsa_fp16_overflow 0
		.amdhsa_tg_split 0
		.amdhsa_exception_fp_ieee_invalid_op 0
		.amdhsa_exception_fp_denorm_src 0
		.amdhsa_exception_fp_ieee_div_zero 0
		.amdhsa_exception_fp_ieee_overflow 0
		.amdhsa_exception_fp_ieee_underflow 0
		.amdhsa_exception_fp_ieee_inexact 0
		.amdhsa_exception_int_div_zero 0
	.end_amdhsa_kernel
	.section	.text._ZN7rocprim17ROCPRIM_400000_NS6detail17trampoline_kernelINS0_14default_configENS1_25partition_config_selectorILNS1_17partition_subalgoE3EN6thrust23THRUST_200600_302600_NS5tupleIxxNS7_9null_typeES9_S9_S9_S9_S9_S9_S9_EENS0_10empty_typeEbEEZZNS1_14partition_implILS5_3ELb0ES3_jNS7_6detail15normal_iteratorINS7_7pointerISA_NS7_11hip_rocprim3tagENS7_11use_defaultESJ_EEEEPSB_SM_NS0_5tupleIJPSA_SM_EEENSN_IJSM_SM_EEESB_PlJ10is_orderedEEE10hipError_tPvRmT3_T4_T5_T6_T7_T9_mT8_P12ihipStream_tbDpT10_ENKUlT_T0_E_clISt17integral_constantIbLb0EES1C_EEDaS17_S18_EUlS17_E_NS1_11comp_targetILNS1_3genE2ELNS1_11target_archE906ELNS1_3gpuE6ELNS1_3repE0EEENS1_30default_config_static_selectorELNS0_4arch9wavefront6targetE1EEEvT1_,"axG",@progbits,_ZN7rocprim17ROCPRIM_400000_NS6detail17trampoline_kernelINS0_14default_configENS1_25partition_config_selectorILNS1_17partition_subalgoE3EN6thrust23THRUST_200600_302600_NS5tupleIxxNS7_9null_typeES9_S9_S9_S9_S9_S9_S9_EENS0_10empty_typeEbEEZZNS1_14partition_implILS5_3ELb0ES3_jNS7_6detail15normal_iteratorINS7_7pointerISA_NS7_11hip_rocprim3tagENS7_11use_defaultESJ_EEEEPSB_SM_NS0_5tupleIJPSA_SM_EEENSN_IJSM_SM_EEESB_PlJ10is_orderedEEE10hipError_tPvRmT3_T4_T5_T6_T7_T9_mT8_P12ihipStream_tbDpT10_ENKUlT_T0_E_clISt17integral_constantIbLb0EES1C_EEDaS17_S18_EUlS17_E_NS1_11comp_targetILNS1_3genE2ELNS1_11target_archE906ELNS1_3gpuE6ELNS1_3repE0EEENS1_30default_config_static_selectorELNS0_4arch9wavefront6targetE1EEEvT1_,comdat
.Lfunc_end3459:
	.size	_ZN7rocprim17ROCPRIM_400000_NS6detail17trampoline_kernelINS0_14default_configENS1_25partition_config_selectorILNS1_17partition_subalgoE3EN6thrust23THRUST_200600_302600_NS5tupleIxxNS7_9null_typeES9_S9_S9_S9_S9_S9_S9_EENS0_10empty_typeEbEEZZNS1_14partition_implILS5_3ELb0ES3_jNS7_6detail15normal_iteratorINS7_7pointerISA_NS7_11hip_rocprim3tagENS7_11use_defaultESJ_EEEEPSB_SM_NS0_5tupleIJPSA_SM_EEENSN_IJSM_SM_EEESB_PlJ10is_orderedEEE10hipError_tPvRmT3_T4_T5_T6_T7_T9_mT8_P12ihipStream_tbDpT10_ENKUlT_T0_E_clISt17integral_constantIbLb0EES1C_EEDaS17_S18_EUlS17_E_NS1_11comp_targetILNS1_3genE2ELNS1_11target_archE906ELNS1_3gpuE6ELNS1_3repE0EEENS1_30default_config_static_selectorELNS0_4arch9wavefront6targetE1EEEvT1_, .Lfunc_end3459-_ZN7rocprim17ROCPRIM_400000_NS6detail17trampoline_kernelINS0_14default_configENS1_25partition_config_selectorILNS1_17partition_subalgoE3EN6thrust23THRUST_200600_302600_NS5tupleIxxNS7_9null_typeES9_S9_S9_S9_S9_S9_S9_EENS0_10empty_typeEbEEZZNS1_14partition_implILS5_3ELb0ES3_jNS7_6detail15normal_iteratorINS7_7pointerISA_NS7_11hip_rocprim3tagENS7_11use_defaultESJ_EEEEPSB_SM_NS0_5tupleIJPSA_SM_EEENSN_IJSM_SM_EEESB_PlJ10is_orderedEEE10hipError_tPvRmT3_T4_T5_T6_T7_T9_mT8_P12ihipStream_tbDpT10_ENKUlT_T0_E_clISt17integral_constantIbLb0EES1C_EEDaS17_S18_EUlS17_E_NS1_11comp_targetILNS1_3genE2ELNS1_11target_archE906ELNS1_3gpuE6ELNS1_3repE0EEENS1_30default_config_static_selectorELNS0_4arch9wavefront6targetE1EEEvT1_
                                        ; -- End function
	.section	.AMDGPU.csdata,"",@progbits
; Kernel info:
; codeLenInByte = 0
; NumSgprs: 4
; NumVgprs: 0
; NumAgprs: 0
; TotalNumVgprs: 0
; ScratchSize: 0
; MemoryBound: 0
; FloatMode: 240
; IeeeMode: 1
; LDSByteSize: 0 bytes/workgroup (compile time only)
; SGPRBlocks: 0
; VGPRBlocks: 0
; NumSGPRsForWavesPerEU: 4
; NumVGPRsForWavesPerEU: 1
; AccumOffset: 4
; Occupancy: 8
; WaveLimiterHint : 0
; COMPUTE_PGM_RSRC2:SCRATCH_EN: 0
; COMPUTE_PGM_RSRC2:USER_SGPR: 6
; COMPUTE_PGM_RSRC2:TRAP_HANDLER: 0
; COMPUTE_PGM_RSRC2:TGID_X_EN: 1
; COMPUTE_PGM_RSRC2:TGID_Y_EN: 0
; COMPUTE_PGM_RSRC2:TGID_Z_EN: 0
; COMPUTE_PGM_RSRC2:TIDIG_COMP_CNT: 0
; COMPUTE_PGM_RSRC3_GFX90A:ACCUM_OFFSET: 0
; COMPUTE_PGM_RSRC3_GFX90A:TG_SPLIT: 0
	.section	.text._ZN7rocprim17ROCPRIM_400000_NS6detail17trampoline_kernelINS0_14default_configENS1_25partition_config_selectorILNS1_17partition_subalgoE3EN6thrust23THRUST_200600_302600_NS5tupleIxxNS7_9null_typeES9_S9_S9_S9_S9_S9_S9_EENS0_10empty_typeEbEEZZNS1_14partition_implILS5_3ELb0ES3_jNS7_6detail15normal_iteratorINS7_7pointerISA_NS7_11hip_rocprim3tagENS7_11use_defaultESJ_EEEEPSB_SM_NS0_5tupleIJPSA_SM_EEENSN_IJSM_SM_EEESB_PlJ10is_orderedEEE10hipError_tPvRmT3_T4_T5_T6_T7_T9_mT8_P12ihipStream_tbDpT10_ENKUlT_T0_E_clISt17integral_constantIbLb0EES1C_EEDaS17_S18_EUlS17_E_NS1_11comp_targetILNS1_3genE10ELNS1_11target_archE1200ELNS1_3gpuE4ELNS1_3repE0EEENS1_30default_config_static_selectorELNS0_4arch9wavefront6targetE1EEEvT1_,"axG",@progbits,_ZN7rocprim17ROCPRIM_400000_NS6detail17trampoline_kernelINS0_14default_configENS1_25partition_config_selectorILNS1_17partition_subalgoE3EN6thrust23THRUST_200600_302600_NS5tupleIxxNS7_9null_typeES9_S9_S9_S9_S9_S9_S9_EENS0_10empty_typeEbEEZZNS1_14partition_implILS5_3ELb0ES3_jNS7_6detail15normal_iteratorINS7_7pointerISA_NS7_11hip_rocprim3tagENS7_11use_defaultESJ_EEEEPSB_SM_NS0_5tupleIJPSA_SM_EEENSN_IJSM_SM_EEESB_PlJ10is_orderedEEE10hipError_tPvRmT3_T4_T5_T6_T7_T9_mT8_P12ihipStream_tbDpT10_ENKUlT_T0_E_clISt17integral_constantIbLb0EES1C_EEDaS17_S18_EUlS17_E_NS1_11comp_targetILNS1_3genE10ELNS1_11target_archE1200ELNS1_3gpuE4ELNS1_3repE0EEENS1_30default_config_static_selectorELNS0_4arch9wavefront6targetE1EEEvT1_,comdat
	.protected	_ZN7rocprim17ROCPRIM_400000_NS6detail17trampoline_kernelINS0_14default_configENS1_25partition_config_selectorILNS1_17partition_subalgoE3EN6thrust23THRUST_200600_302600_NS5tupleIxxNS7_9null_typeES9_S9_S9_S9_S9_S9_S9_EENS0_10empty_typeEbEEZZNS1_14partition_implILS5_3ELb0ES3_jNS7_6detail15normal_iteratorINS7_7pointerISA_NS7_11hip_rocprim3tagENS7_11use_defaultESJ_EEEEPSB_SM_NS0_5tupleIJPSA_SM_EEENSN_IJSM_SM_EEESB_PlJ10is_orderedEEE10hipError_tPvRmT3_T4_T5_T6_T7_T9_mT8_P12ihipStream_tbDpT10_ENKUlT_T0_E_clISt17integral_constantIbLb0EES1C_EEDaS17_S18_EUlS17_E_NS1_11comp_targetILNS1_3genE10ELNS1_11target_archE1200ELNS1_3gpuE4ELNS1_3repE0EEENS1_30default_config_static_selectorELNS0_4arch9wavefront6targetE1EEEvT1_ ; -- Begin function _ZN7rocprim17ROCPRIM_400000_NS6detail17trampoline_kernelINS0_14default_configENS1_25partition_config_selectorILNS1_17partition_subalgoE3EN6thrust23THRUST_200600_302600_NS5tupleIxxNS7_9null_typeES9_S9_S9_S9_S9_S9_S9_EENS0_10empty_typeEbEEZZNS1_14partition_implILS5_3ELb0ES3_jNS7_6detail15normal_iteratorINS7_7pointerISA_NS7_11hip_rocprim3tagENS7_11use_defaultESJ_EEEEPSB_SM_NS0_5tupleIJPSA_SM_EEENSN_IJSM_SM_EEESB_PlJ10is_orderedEEE10hipError_tPvRmT3_T4_T5_T6_T7_T9_mT8_P12ihipStream_tbDpT10_ENKUlT_T0_E_clISt17integral_constantIbLb0EES1C_EEDaS17_S18_EUlS17_E_NS1_11comp_targetILNS1_3genE10ELNS1_11target_archE1200ELNS1_3gpuE4ELNS1_3repE0EEENS1_30default_config_static_selectorELNS0_4arch9wavefront6targetE1EEEvT1_
	.globl	_ZN7rocprim17ROCPRIM_400000_NS6detail17trampoline_kernelINS0_14default_configENS1_25partition_config_selectorILNS1_17partition_subalgoE3EN6thrust23THRUST_200600_302600_NS5tupleIxxNS7_9null_typeES9_S9_S9_S9_S9_S9_S9_EENS0_10empty_typeEbEEZZNS1_14partition_implILS5_3ELb0ES3_jNS7_6detail15normal_iteratorINS7_7pointerISA_NS7_11hip_rocprim3tagENS7_11use_defaultESJ_EEEEPSB_SM_NS0_5tupleIJPSA_SM_EEENSN_IJSM_SM_EEESB_PlJ10is_orderedEEE10hipError_tPvRmT3_T4_T5_T6_T7_T9_mT8_P12ihipStream_tbDpT10_ENKUlT_T0_E_clISt17integral_constantIbLb0EES1C_EEDaS17_S18_EUlS17_E_NS1_11comp_targetILNS1_3genE10ELNS1_11target_archE1200ELNS1_3gpuE4ELNS1_3repE0EEENS1_30default_config_static_selectorELNS0_4arch9wavefront6targetE1EEEvT1_
	.p2align	8
	.type	_ZN7rocprim17ROCPRIM_400000_NS6detail17trampoline_kernelINS0_14default_configENS1_25partition_config_selectorILNS1_17partition_subalgoE3EN6thrust23THRUST_200600_302600_NS5tupleIxxNS7_9null_typeES9_S9_S9_S9_S9_S9_S9_EENS0_10empty_typeEbEEZZNS1_14partition_implILS5_3ELb0ES3_jNS7_6detail15normal_iteratorINS7_7pointerISA_NS7_11hip_rocprim3tagENS7_11use_defaultESJ_EEEEPSB_SM_NS0_5tupleIJPSA_SM_EEENSN_IJSM_SM_EEESB_PlJ10is_orderedEEE10hipError_tPvRmT3_T4_T5_T6_T7_T9_mT8_P12ihipStream_tbDpT10_ENKUlT_T0_E_clISt17integral_constantIbLb0EES1C_EEDaS17_S18_EUlS17_E_NS1_11comp_targetILNS1_3genE10ELNS1_11target_archE1200ELNS1_3gpuE4ELNS1_3repE0EEENS1_30default_config_static_selectorELNS0_4arch9wavefront6targetE1EEEvT1_,@function
_ZN7rocprim17ROCPRIM_400000_NS6detail17trampoline_kernelINS0_14default_configENS1_25partition_config_selectorILNS1_17partition_subalgoE3EN6thrust23THRUST_200600_302600_NS5tupleIxxNS7_9null_typeES9_S9_S9_S9_S9_S9_S9_EENS0_10empty_typeEbEEZZNS1_14partition_implILS5_3ELb0ES3_jNS7_6detail15normal_iteratorINS7_7pointerISA_NS7_11hip_rocprim3tagENS7_11use_defaultESJ_EEEEPSB_SM_NS0_5tupleIJPSA_SM_EEENSN_IJSM_SM_EEESB_PlJ10is_orderedEEE10hipError_tPvRmT3_T4_T5_T6_T7_T9_mT8_P12ihipStream_tbDpT10_ENKUlT_T0_E_clISt17integral_constantIbLb0EES1C_EEDaS17_S18_EUlS17_E_NS1_11comp_targetILNS1_3genE10ELNS1_11target_archE1200ELNS1_3gpuE4ELNS1_3repE0EEENS1_30default_config_static_selectorELNS0_4arch9wavefront6targetE1EEEvT1_: ; @_ZN7rocprim17ROCPRIM_400000_NS6detail17trampoline_kernelINS0_14default_configENS1_25partition_config_selectorILNS1_17partition_subalgoE3EN6thrust23THRUST_200600_302600_NS5tupleIxxNS7_9null_typeES9_S9_S9_S9_S9_S9_S9_EENS0_10empty_typeEbEEZZNS1_14partition_implILS5_3ELb0ES3_jNS7_6detail15normal_iteratorINS7_7pointerISA_NS7_11hip_rocprim3tagENS7_11use_defaultESJ_EEEEPSB_SM_NS0_5tupleIJPSA_SM_EEENSN_IJSM_SM_EEESB_PlJ10is_orderedEEE10hipError_tPvRmT3_T4_T5_T6_T7_T9_mT8_P12ihipStream_tbDpT10_ENKUlT_T0_E_clISt17integral_constantIbLb0EES1C_EEDaS17_S18_EUlS17_E_NS1_11comp_targetILNS1_3genE10ELNS1_11target_archE1200ELNS1_3gpuE4ELNS1_3repE0EEENS1_30default_config_static_selectorELNS0_4arch9wavefront6targetE1EEEvT1_
; %bb.0:
	.section	.rodata,"a",@progbits
	.p2align	6, 0x0
	.amdhsa_kernel _ZN7rocprim17ROCPRIM_400000_NS6detail17trampoline_kernelINS0_14default_configENS1_25partition_config_selectorILNS1_17partition_subalgoE3EN6thrust23THRUST_200600_302600_NS5tupleIxxNS7_9null_typeES9_S9_S9_S9_S9_S9_S9_EENS0_10empty_typeEbEEZZNS1_14partition_implILS5_3ELb0ES3_jNS7_6detail15normal_iteratorINS7_7pointerISA_NS7_11hip_rocprim3tagENS7_11use_defaultESJ_EEEEPSB_SM_NS0_5tupleIJPSA_SM_EEENSN_IJSM_SM_EEESB_PlJ10is_orderedEEE10hipError_tPvRmT3_T4_T5_T6_T7_T9_mT8_P12ihipStream_tbDpT10_ENKUlT_T0_E_clISt17integral_constantIbLb0EES1C_EEDaS17_S18_EUlS17_E_NS1_11comp_targetILNS1_3genE10ELNS1_11target_archE1200ELNS1_3gpuE4ELNS1_3repE0EEENS1_30default_config_static_selectorELNS0_4arch9wavefront6targetE1EEEvT1_
		.amdhsa_group_segment_fixed_size 0
		.amdhsa_private_segment_fixed_size 0
		.amdhsa_kernarg_size 120
		.amdhsa_user_sgpr_count 6
		.amdhsa_user_sgpr_private_segment_buffer 1
		.amdhsa_user_sgpr_dispatch_ptr 0
		.amdhsa_user_sgpr_queue_ptr 0
		.amdhsa_user_sgpr_kernarg_segment_ptr 1
		.amdhsa_user_sgpr_dispatch_id 0
		.amdhsa_user_sgpr_flat_scratch_init 0
		.amdhsa_user_sgpr_kernarg_preload_length 0
		.amdhsa_user_sgpr_kernarg_preload_offset 0
		.amdhsa_user_sgpr_private_segment_size 0
		.amdhsa_uses_dynamic_stack 0
		.amdhsa_system_sgpr_private_segment_wavefront_offset 0
		.amdhsa_system_sgpr_workgroup_id_x 1
		.amdhsa_system_sgpr_workgroup_id_y 0
		.amdhsa_system_sgpr_workgroup_id_z 0
		.amdhsa_system_sgpr_workgroup_info 0
		.amdhsa_system_vgpr_workitem_id 0
		.amdhsa_next_free_vgpr 1
		.amdhsa_next_free_sgpr 0
		.amdhsa_accum_offset 4
		.amdhsa_reserve_vcc 0
		.amdhsa_reserve_flat_scratch 0
		.amdhsa_float_round_mode_32 0
		.amdhsa_float_round_mode_16_64 0
		.amdhsa_float_denorm_mode_32 3
		.amdhsa_float_denorm_mode_16_64 3
		.amdhsa_dx10_clamp 1
		.amdhsa_ieee_mode 1
		.amdhsa_fp16_overflow 0
		.amdhsa_tg_split 0
		.amdhsa_exception_fp_ieee_invalid_op 0
		.amdhsa_exception_fp_denorm_src 0
		.amdhsa_exception_fp_ieee_div_zero 0
		.amdhsa_exception_fp_ieee_overflow 0
		.amdhsa_exception_fp_ieee_underflow 0
		.amdhsa_exception_fp_ieee_inexact 0
		.amdhsa_exception_int_div_zero 0
	.end_amdhsa_kernel
	.section	.text._ZN7rocprim17ROCPRIM_400000_NS6detail17trampoline_kernelINS0_14default_configENS1_25partition_config_selectorILNS1_17partition_subalgoE3EN6thrust23THRUST_200600_302600_NS5tupleIxxNS7_9null_typeES9_S9_S9_S9_S9_S9_S9_EENS0_10empty_typeEbEEZZNS1_14partition_implILS5_3ELb0ES3_jNS7_6detail15normal_iteratorINS7_7pointerISA_NS7_11hip_rocprim3tagENS7_11use_defaultESJ_EEEEPSB_SM_NS0_5tupleIJPSA_SM_EEENSN_IJSM_SM_EEESB_PlJ10is_orderedEEE10hipError_tPvRmT3_T4_T5_T6_T7_T9_mT8_P12ihipStream_tbDpT10_ENKUlT_T0_E_clISt17integral_constantIbLb0EES1C_EEDaS17_S18_EUlS17_E_NS1_11comp_targetILNS1_3genE10ELNS1_11target_archE1200ELNS1_3gpuE4ELNS1_3repE0EEENS1_30default_config_static_selectorELNS0_4arch9wavefront6targetE1EEEvT1_,"axG",@progbits,_ZN7rocprim17ROCPRIM_400000_NS6detail17trampoline_kernelINS0_14default_configENS1_25partition_config_selectorILNS1_17partition_subalgoE3EN6thrust23THRUST_200600_302600_NS5tupleIxxNS7_9null_typeES9_S9_S9_S9_S9_S9_S9_EENS0_10empty_typeEbEEZZNS1_14partition_implILS5_3ELb0ES3_jNS7_6detail15normal_iteratorINS7_7pointerISA_NS7_11hip_rocprim3tagENS7_11use_defaultESJ_EEEEPSB_SM_NS0_5tupleIJPSA_SM_EEENSN_IJSM_SM_EEESB_PlJ10is_orderedEEE10hipError_tPvRmT3_T4_T5_T6_T7_T9_mT8_P12ihipStream_tbDpT10_ENKUlT_T0_E_clISt17integral_constantIbLb0EES1C_EEDaS17_S18_EUlS17_E_NS1_11comp_targetILNS1_3genE10ELNS1_11target_archE1200ELNS1_3gpuE4ELNS1_3repE0EEENS1_30default_config_static_selectorELNS0_4arch9wavefront6targetE1EEEvT1_,comdat
.Lfunc_end3460:
	.size	_ZN7rocprim17ROCPRIM_400000_NS6detail17trampoline_kernelINS0_14default_configENS1_25partition_config_selectorILNS1_17partition_subalgoE3EN6thrust23THRUST_200600_302600_NS5tupleIxxNS7_9null_typeES9_S9_S9_S9_S9_S9_S9_EENS0_10empty_typeEbEEZZNS1_14partition_implILS5_3ELb0ES3_jNS7_6detail15normal_iteratorINS7_7pointerISA_NS7_11hip_rocprim3tagENS7_11use_defaultESJ_EEEEPSB_SM_NS0_5tupleIJPSA_SM_EEENSN_IJSM_SM_EEESB_PlJ10is_orderedEEE10hipError_tPvRmT3_T4_T5_T6_T7_T9_mT8_P12ihipStream_tbDpT10_ENKUlT_T0_E_clISt17integral_constantIbLb0EES1C_EEDaS17_S18_EUlS17_E_NS1_11comp_targetILNS1_3genE10ELNS1_11target_archE1200ELNS1_3gpuE4ELNS1_3repE0EEENS1_30default_config_static_selectorELNS0_4arch9wavefront6targetE1EEEvT1_, .Lfunc_end3460-_ZN7rocprim17ROCPRIM_400000_NS6detail17trampoline_kernelINS0_14default_configENS1_25partition_config_selectorILNS1_17partition_subalgoE3EN6thrust23THRUST_200600_302600_NS5tupleIxxNS7_9null_typeES9_S9_S9_S9_S9_S9_S9_EENS0_10empty_typeEbEEZZNS1_14partition_implILS5_3ELb0ES3_jNS7_6detail15normal_iteratorINS7_7pointerISA_NS7_11hip_rocprim3tagENS7_11use_defaultESJ_EEEEPSB_SM_NS0_5tupleIJPSA_SM_EEENSN_IJSM_SM_EEESB_PlJ10is_orderedEEE10hipError_tPvRmT3_T4_T5_T6_T7_T9_mT8_P12ihipStream_tbDpT10_ENKUlT_T0_E_clISt17integral_constantIbLb0EES1C_EEDaS17_S18_EUlS17_E_NS1_11comp_targetILNS1_3genE10ELNS1_11target_archE1200ELNS1_3gpuE4ELNS1_3repE0EEENS1_30default_config_static_selectorELNS0_4arch9wavefront6targetE1EEEvT1_
                                        ; -- End function
	.section	.AMDGPU.csdata,"",@progbits
; Kernel info:
; codeLenInByte = 0
; NumSgprs: 4
; NumVgprs: 0
; NumAgprs: 0
; TotalNumVgprs: 0
; ScratchSize: 0
; MemoryBound: 0
; FloatMode: 240
; IeeeMode: 1
; LDSByteSize: 0 bytes/workgroup (compile time only)
; SGPRBlocks: 0
; VGPRBlocks: 0
; NumSGPRsForWavesPerEU: 4
; NumVGPRsForWavesPerEU: 1
; AccumOffset: 4
; Occupancy: 8
; WaveLimiterHint : 0
; COMPUTE_PGM_RSRC2:SCRATCH_EN: 0
; COMPUTE_PGM_RSRC2:USER_SGPR: 6
; COMPUTE_PGM_RSRC2:TRAP_HANDLER: 0
; COMPUTE_PGM_RSRC2:TGID_X_EN: 1
; COMPUTE_PGM_RSRC2:TGID_Y_EN: 0
; COMPUTE_PGM_RSRC2:TGID_Z_EN: 0
; COMPUTE_PGM_RSRC2:TIDIG_COMP_CNT: 0
; COMPUTE_PGM_RSRC3_GFX90A:ACCUM_OFFSET: 0
; COMPUTE_PGM_RSRC3_GFX90A:TG_SPLIT: 0
	.section	.text._ZN7rocprim17ROCPRIM_400000_NS6detail17trampoline_kernelINS0_14default_configENS1_25partition_config_selectorILNS1_17partition_subalgoE3EN6thrust23THRUST_200600_302600_NS5tupleIxxNS7_9null_typeES9_S9_S9_S9_S9_S9_S9_EENS0_10empty_typeEbEEZZNS1_14partition_implILS5_3ELb0ES3_jNS7_6detail15normal_iteratorINS7_7pointerISA_NS7_11hip_rocprim3tagENS7_11use_defaultESJ_EEEEPSB_SM_NS0_5tupleIJPSA_SM_EEENSN_IJSM_SM_EEESB_PlJ10is_orderedEEE10hipError_tPvRmT3_T4_T5_T6_T7_T9_mT8_P12ihipStream_tbDpT10_ENKUlT_T0_E_clISt17integral_constantIbLb0EES1C_EEDaS17_S18_EUlS17_E_NS1_11comp_targetILNS1_3genE9ELNS1_11target_archE1100ELNS1_3gpuE3ELNS1_3repE0EEENS1_30default_config_static_selectorELNS0_4arch9wavefront6targetE1EEEvT1_,"axG",@progbits,_ZN7rocprim17ROCPRIM_400000_NS6detail17trampoline_kernelINS0_14default_configENS1_25partition_config_selectorILNS1_17partition_subalgoE3EN6thrust23THRUST_200600_302600_NS5tupleIxxNS7_9null_typeES9_S9_S9_S9_S9_S9_S9_EENS0_10empty_typeEbEEZZNS1_14partition_implILS5_3ELb0ES3_jNS7_6detail15normal_iteratorINS7_7pointerISA_NS7_11hip_rocprim3tagENS7_11use_defaultESJ_EEEEPSB_SM_NS0_5tupleIJPSA_SM_EEENSN_IJSM_SM_EEESB_PlJ10is_orderedEEE10hipError_tPvRmT3_T4_T5_T6_T7_T9_mT8_P12ihipStream_tbDpT10_ENKUlT_T0_E_clISt17integral_constantIbLb0EES1C_EEDaS17_S18_EUlS17_E_NS1_11comp_targetILNS1_3genE9ELNS1_11target_archE1100ELNS1_3gpuE3ELNS1_3repE0EEENS1_30default_config_static_selectorELNS0_4arch9wavefront6targetE1EEEvT1_,comdat
	.protected	_ZN7rocprim17ROCPRIM_400000_NS6detail17trampoline_kernelINS0_14default_configENS1_25partition_config_selectorILNS1_17partition_subalgoE3EN6thrust23THRUST_200600_302600_NS5tupleIxxNS7_9null_typeES9_S9_S9_S9_S9_S9_S9_EENS0_10empty_typeEbEEZZNS1_14partition_implILS5_3ELb0ES3_jNS7_6detail15normal_iteratorINS7_7pointerISA_NS7_11hip_rocprim3tagENS7_11use_defaultESJ_EEEEPSB_SM_NS0_5tupleIJPSA_SM_EEENSN_IJSM_SM_EEESB_PlJ10is_orderedEEE10hipError_tPvRmT3_T4_T5_T6_T7_T9_mT8_P12ihipStream_tbDpT10_ENKUlT_T0_E_clISt17integral_constantIbLb0EES1C_EEDaS17_S18_EUlS17_E_NS1_11comp_targetILNS1_3genE9ELNS1_11target_archE1100ELNS1_3gpuE3ELNS1_3repE0EEENS1_30default_config_static_selectorELNS0_4arch9wavefront6targetE1EEEvT1_ ; -- Begin function _ZN7rocprim17ROCPRIM_400000_NS6detail17trampoline_kernelINS0_14default_configENS1_25partition_config_selectorILNS1_17partition_subalgoE3EN6thrust23THRUST_200600_302600_NS5tupleIxxNS7_9null_typeES9_S9_S9_S9_S9_S9_S9_EENS0_10empty_typeEbEEZZNS1_14partition_implILS5_3ELb0ES3_jNS7_6detail15normal_iteratorINS7_7pointerISA_NS7_11hip_rocprim3tagENS7_11use_defaultESJ_EEEEPSB_SM_NS0_5tupleIJPSA_SM_EEENSN_IJSM_SM_EEESB_PlJ10is_orderedEEE10hipError_tPvRmT3_T4_T5_T6_T7_T9_mT8_P12ihipStream_tbDpT10_ENKUlT_T0_E_clISt17integral_constantIbLb0EES1C_EEDaS17_S18_EUlS17_E_NS1_11comp_targetILNS1_3genE9ELNS1_11target_archE1100ELNS1_3gpuE3ELNS1_3repE0EEENS1_30default_config_static_selectorELNS0_4arch9wavefront6targetE1EEEvT1_
	.globl	_ZN7rocprim17ROCPRIM_400000_NS6detail17trampoline_kernelINS0_14default_configENS1_25partition_config_selectorILNS1_17partition_subalgoE3EN6thrust23THRUST_200600_302600_NS5tupleIxxNS7_9null_typeES9_S9_S9_S9_S9_S9_S9_EENS0_10empty_typeEbEEZZNS1_14partition_implILS5_3ELb0ES3_jNS7_6detail15normal_iteratorINS7_7pointerISA_NS7_11hip_rocprim3tagENS7_11use_defaultESJ_EEEEPSB_SM_NS0_5tupleIJPSA_SM_EEENSN_IJSM_SM_EEESB_PlJ10is_orderedEEE10hipError_tPvRmT3_T4_T5_T6_T7_T9_mT8_P12ihipStream_tbDpT10_ENKUlT_T0_E_clISt17integral_constantIbLb0EES1C_EEDaS17_S18_EUlS17_E_NS1_11comp_targetILNS1_3genE9ELNS1_11target_archE1100ELNS1_3gpuE3ELNS1_3repE0EEENS1_30default_config_static_selectorELNS0_4arch9wavefront6targetE1EEEvT1_
	.p2align	8
	.type	_ZN7rocprim17ROCPRIM_400000_NS6detail17trampoline_kernelINS0_14default_configENS1_25partition_config_selectorILNS1_17partition_subalgoE3EN6thrust23THRUST_200600_302600_NS5tupleIxxNS7_9null_typeES9_S9_S9_S9_S9_S9_S9_EENS0_10empty_typeEbEEZZNS1_14partition_implILS5_3ELb0ES3_jNS7_6detail15normal_iteratorINS7_7pointerISA_NS7_11hip_rocprim3tagENS7_11use_defaultESJ_EEEEPSB_SM_NS0_5tupleIJPSA_SM_EEENSN_IJSM_SM_EEESB_PlJ10is_orderedEEE10hipError_tPvRmT3_T4_T5_T6_T7_T9_mT8_P12ihipStream_tbDpT10_ENKUlT_T0_E_clISt17integral_constantIbLb0EES1C_EEDaS17_S18_EUlS17_E_NS1_11comp_targetILNS1_3genE9ELNS1_11target_archE1100ELNS1_3gpuE3ELNS1_3repE0EEENS1_30default_config_static_selectorELNS0_4arch9wavefront6targetE1EEEvT1_,@function
_ZN7rocprim17ROCPRIM_400000_NS6detail17trampoline_kernelINS0_14default_configENS1_25partition_config_selectorILNS1_17partition_subalgoE3EN6thrust23THRUST_200600_302600_NS5tupleIxxNS7_9null_typeES9_S9_S9_S9_S9_S9_S9_EENS0_10empty_typeEbEEZZNS1_14partition_implILS5_3ELb0ES3_jNS7_6detail15normal_iteratorINS7_7pointerISA_NS7_11hip_rocprim3tagENS7_11use_defaultESJ_EEEEPSB_SM_NS0_5tupleIJPSA_SM_EEENSN_IJSM_SM_EEESB_PlJ10is_orderedEEE10hipError_tPvRmT3_T4_T5_T6_T7_T9_mT8_P12ihipStream_tbDpT10_ENKUlT_T0_E_clISt17integral_constantIbLb0EES1C_EEDaS17_S18_EUlS17_E_NS1_11comp_targetILNS1_3genE9ELNS1_11target_archE1100ELNS1_3gpuE3ELNS1_3repE0EEENS1_30default_config_static_selectorELNS0_4arch9wavefront6targetE1EEEvT1_: ; @_ZN7rocprim17ROCPRIM_400000_NS6detail17trampoline_kernelINS0_14default_configENS1_25partition_config_selectorILNS1_17partition_subalgoE3EN6thrust23THRUST_200600_302600_NS5tupleIxxNS7_9null_typeES9_S9_S9_S9_S9_S9_S9_EENS0_10empty_typeEbEEZZNS1_14partition_implILS5_3ELb0ES3_jNS7_6detail15normal_iteratorINS7_7pointerISA_NS7_11hip_rocprim3tagENS7_11use_defaultESJ_EEEEPSB_SM_NS0_5tupleIJPSA_SM_EEENSN_IJSM_SM_EEESB_PlJ10is_orderedEEE10hipError_tPvRmT3_T4_T5_T6_T7_T9_mT8_P12ihipStream_tbDpT10_ENKUlT_T0_E_clISt17integral_constantIbLb0EES1C_EEDaS17_S18_EUlS17_E_NS1_11comp_targetILNS1_3genE9ELNS1_11target_archE1100ELNS1_3gpuE3ELNS1_3repE0EEENS1_30default_config_static_selectorELNS0_4arch9wavefront6targetE1EEEvT1_
; %bb.0:
	.section	.rodata,"a",@progbits
	.p2align	6, 0x0
	.amdhsa_kernel _ZN7rocprim17ROCPRIM_400000_NS6detail17trampoline_kernelINS0_14default_configENS1_25partition_config_selectorILNS1_17partition_subalgoE3EN6thrust23THRUST_200600_302600_NS5tupleIxxNS7_9null_typeES9_S9_S9_S9_S9_S9_S9_EENS0_10empty_typeEbEEZZNS1_14partition_implILS5_3ELb0ES3_jNS7_6detail15normal_iteratorINS7_7pointerISA_NS7_11hip_rocprim3tagENS7_11use_defaultESJ_EEEEPSB_SM_NS0_5tupleIJPSA_SM_EEENSN_IJSM_SM_EEESB_PlJ10is_orderedEEE10hipError_tPvRmT3_T4_T5_T6_T7_T9_mT8_P12ihipStream_tbDpT10_ENKUlT_T0_E_clISt17integral_constantIbLb0EES1C_EEDaS17_S18_EUlS17_E_NS1_11comp_targetILNS1_3genE9ELNS1_11target_archE1100ELNS1_3gpuE3ELNS1_3repE0EEENS1_30default_config_static_selectorELNS0_4arch9wavefront6targetE1EEEvT1_
		.amdhsa_group_segment_fixed_size 0
		.amdhsa_private_segment_fixed_size 0
		.amdhsa_kernarg_size 120
		.amdhsa_user_sgpr_count 6
		.amdhsa_user_sgpr_private_segment_buffer 1
		.amdhsa_user_sgpr_dispatch_ptr 0
		.amdhsa_user_sgpr_queue_ptr 0
		.amdhsa_user_sgpr_kernarg_segment_ptr 1
		.amdhsa_user_sgpr_dispatch_id 0
		.amdhsa_user_sgpr_flat_scratch_init 0
		.amdhsa_user_sgpr_kernarg_preload_length 0
		.amdhsa_user_sgpr_kernarg_preload_offset 0
		.amdhsa_user_sgpr_private_segment_size 0
		.amdhsa_uses_dynamic_stack 0
		.amdhsa_system_sgpr_private_segment_wavefront_offset 0
		.amdhsa_system_sgpr_workgroup_id_x 1
		.amdhsa_system_sgpr_workgroup_id_y 0
		.amdhsa_system_sgpr_workgroup_id_z 0
		.amdhsa_system_sgpr_workgroup_info 0
		.amdhsa_system_vgpr_workitem_id 0
		.amdhsa_next_free_vgpr 1
		.amdhsa_next_free_sgpr 0
		.amdhsa_accum_offset 4
		.amdhsa_reserve_vcc 0
		.amdhsa_reserve_flat_scratch 0
		.amdhsa_float_round_mode_32 0
		.amdhsa_float_round_mode_16_64 0
		.amdhsa_float_denorm_mode_32 3
		.amdhsa_float_denorm_mode_16_64 3
		.amdhsa_dx10_clamp 1
		.amdhsa_ieee_mode 1
		.amdhsa_fp16_overflow 0
		.amdhsa_tg_split 0
		.amdhsa_exception_fp_ieee_invalid_op 0
		.amdhsa_exception_fp_denorm_src 0
		.amdhsa_exception_fp_ieee_div_zero 0
		.amdhsa_exception_fp_ieee_overflow 0
		.amdhsa_exception_fp_ieee_underflow 0
		.amdhsa_exception_fp_ieee_inexact 0
		.amdhsa_exception_int_div_zero 0
	.end_amdhsa_kernel
	.section	.text._ZN7rocprim17ROCPRIM_400000_NS6detail17trampoline_kernelINS0_14default_configENS1_25partition_config_selectorILNS1_17partition_subalgoE3EN6thrust23THRUST_200600_302600_NS5tupleIxxNS7_9null_typeES9_S9_S9_S9_S9_S9_S9_EENS0_10empty_typeEbEEZZNS1_14partition_implILS5_3ELb0ES3_jNS7_6detail15normal_iteratorINS7_7pointerISA_NS7_11hip_rocprim3tagENS7_11use_defaultESJ_EEEEPSB_SM_NS0_5tupleIJPSA_SM_EEENSN_IJSM_SM_EEESB_PlJ10is_orderedEEE10hipError_tPvRmT3_T4_T5_T6_T7_T9_mT8_P12ihipStream_tbDpT10_ENKUlT_T0_E_clISt17integral_constantIbLb0EES1C_EEDaS17_S18_EUlS17_E_NS1_11comp_targetILNS1_3genE9ELNS1_11target_archE1100ELNS1_3gpuE3ELNS1_3repE0EEENS1_30default_config_static_selectorELNS0_4arch9wavefront6targetE1EEEvT1_,"axG",@progbits,_ZN7rocprim17ROCPRIM_400000_NS6detail17trampoline_kernelINS0_14default_configENS1_25partition_config_selectorILNS1_17partition_subalgoE3EN6thrust23THRUST_200600_302600_NS5tupleIxxNS7_9null_typeES9_S9_S9_S9_S9_S9_S9_EENS0_10empty_typeEbEEZZNS1_14partition_implILS5_3ELb0ES3_jNS7_6detail15normal_iteratorINS7_7pointerISA_NS7_11hip_rocprim3tagENS7_11use_defaultESJ_EEEEPSB_SM_NS0_5tupleIJPSA_SM_EEENSN_IJSM_SM_EEESB_PlJ10is_orderedEEE10hipError_tPvRmT3_T4_T5_T6_T7_T9_mT8_P12ihipStream_tbDpT10_ENKUlT_T0_E_clISt17integral_constantIbLb0EES1C_EEDaS17_S18_EUlS17_E_NS1_11comp_targetILNS1_3genE9ELNS1_11target_archE1100ELNS1_3gpuE3ELNS1_3repE0EEENS1_30default_config_static_selectorELNS0_4arch9wavefront6targetE1EEEvT1_,comdat
.Lfunc_end3461:
	.size	_ZN7rocprim17ROCPRIM_400000_NS6detail17trampoline_kernelINS0_14default_configENS1_25partition_config_selectorILNS1_17partition_subalgoE3EN6thrust23THRUST_200600_302600_NS5tupleIxxNS7_9null_typeES9_S9_S9_S9_S9_S9_S9_EENS0_10empty_typeEbEEZZNS1_14partition_implILS5_3ELb0ES3_jNS7_6detail15normal_iteratorINS7_7pointerISA_NS7_11hip_rocprim3tagENS7_11use_defaultESJ_EEEEPSB_SM_NS0_5tupleIJPSA_SM_EEENSN_IJSM_SM_EEESB_PlJ10is_orderedEEE10hipError_tPvRmT3_T4_T5_T6_T7_T9_mT8_P12ihipStream_tbDpT10_ENKUlT_T0_E_clISt17integral_constantIbLb0EES1C_EEDaS17_S18_EUlS17_E_NS1_11comp_targetILNS1_3genE9ELNS1_11target_archE1100ELNS1_3gpuE3ELNS1_3repE0EEENS1_30default_config_static_selectorELNS0_4arch9wavefront6targetE1EEEvT1_, .Lfunc_end3461-_ZN7rocprim17ROCPRIM_400000_NS6detail17trampoline_kernelINS0_14default_configENS1_25partition_config_selectorILNS1_17partition_subalgoE3EN6thrust23THRUST_200600_302600_NS5tupleIxxNS7_9null_typeES9_S9_S9_S9_S9_S9_S9_EENS0_10empty_typeEbEEZZNS1_14partition_implILS5_3ELb0ES3_jNS7_6detail15normal_iteratorINS7_7pointerISA_NS7_11hip_rocprim3tagENS7_11use_defaultESJ_EEEEPSB_SM_NS0_5tupleIJPSA_SM_EEENSN_IJSM_SM_EEESB_PlJ10is_orderedEEE10hipError_tPvRmT3_T4_T5_T6_T7_T9_mT8_P12ihipStream_tbDpT10_ENKUlT_T0_E_clISt17integral_constantIbLb0EES1C_EEDaS17_S18_EUlS17_E_NS1_11comp_targetILNS1_3genE9ELNS1_11target_archE1100ELNS1_3gpuE3ELNS1_3repE0EEENS1_30default_config_static_selectorELNS0_4arch9wavefront6targetE1EEEvT1_
                                        ; -- End function
	.section	.AMDGPU.csdata,"",@progbits
; Kernel info:
; codeLenInByte = 0
; NumSgprs: 4
; NumVgprs: 0
; NumAgprs: 0
; TotalNumVgprs: 0
; ScratchSize: 0
; MemoryBound: 0
; FloatMode: 240
; IeeeMode: 1
; LDSByteSize: 0 bytes/workgroup (compile time only)
; SGPRBlocks: 0
; VGPRBlocks: 0
; NumSGPRsForWavesPerEU: 4
; NumVGPRsForWavesPerEU: 1
; AccumOffset: 4
; Occupancy: 8
; WaveLimiterHint : 0
; COMPUTE_PGM_RSRC2:SCRATCH_EN: 0
; COMPUTE_PGM_RSRC2:USER_SGPR: 6
; COMPUTE_PGM_RSRC2:TRAP_HANDLER: 0
; COMPUTE_PGM_RSRC2:TGID_X_EN: 1
; COMPUTE_PGM_RSRC2:TGID_Y_EN: 0
; COMPUTE_PGM_RSRC2:TGID_Z_EN: 0
; COMPUTE_PGM_RSRC2:TIDIG_COMP_CNT: 0
; COMPUTE_PGM_RSRC3_GFX90A:ACCUM_OFFSET: 0
; COMPUTE_PGM_RSRC3_GFX90A:TG_SPLIT: 0
	.section	.text._ZN7rocprim17ROCPRIM_400000_NS6detail17trampoline_kernelINS0_14default_configENS1_25partition_config_selectorILNS1_17partition_subalgoE3EN6thrust23THRUST_200600_302600_NS5tupleIxxNS7_9null_typeES9_S9_S9_S9_S9_S9_S9_EENS0_10empty_typeEbEEZZNS1_14partition_implILS5_3ELb0ES3_jNS7_6detail15normal_iteratorINS7_7pointerISA_NS7_11hip_rocprim3tagENS7_11use_defaultESJ_EEEEPSB_SM_NS0_5tupleIJPSA_SM_EEENSN_IJSM_SM_EEESB_PlJ10is_orderedEEE10hipError_tPvRmT3_T4_T5_T6_T7_T9_mT8_P12ihipStream_tbDpT10_ENKUlT_T0_E_clISt17integral_constantIbLb0EES1C_EEDaS17_S18_EUlS17_E_NS1_11comp_targetILNS1_3genE8ELNS1_11target_archE1030ELNS1_3gpuE2ELNS1_3repE0EEENS1_30default_config_static_selectorELNS0_4arch9wavefront6targetE1EEEvT1_,"axG",@progbits,_ZN7rocprim17ROCPRIM_400000_NS6detail17trampoline_kernelINS0_14default_configENS1_25partition_config_selectorILNS1_17partition_subalgoE3EN6thrust23THRUST_200600_302600_NS5tupleIxxNS7_9null_typeES9_S9_S9_S9_S9_S9_S9_EENS0_10empty_typeEbEEZZNS1_14partition_implILS5_3ELb0ES3_jNS7_6detail15normal_iteratorINS7_7pointerISA_NS7_11hip_rocprim3tagENS7_11use_defaultESJ_EEEEPSB_SM_NS0_5tupleIJPSA_SM_EEENSN_IJSM_SM_EEESB_PlJ10is_orderedEEE10hipError_tPvRmT3_T4_T5_T6_T7_T9_mT8_P12ihipStream_tbDpT10_ENKUlT_T0_E_clISt17integral_constantIbLb0EES1C_EEDaS17_S18_EUlS17_E_NS1_11comp_targetILNS1_3genE8ELNS1_11target_archE1030ELNS1_3gpuE2ELNS1_3repE0EEENS1_30default_config_static_selectorELNS0_4arch9wavefront6targetE1EEEvT1_,comdat
	.protected	_ZN7rocprim17ROCPRIM_400000_NS6detail17trampoline_kernelINS0_14default_configENS1_25partition_config_selectorILNS1_17partition_subalgoE3EN6thrust23THRUST_200600_302600_NS5tupleIxxNS7_9null_typeES9_S9_S9_S9_S9_S9_S9_EENS0_10empty_typeEbEEZZNS1_14partition_implILS5_3ELb0ES3_jNS7_6detail15normal_iteratorINS7_7pointerISA_NS7_11hip_rocprim3tagENS7_11use_defaultESJ_EEEEPSB_SM_NS0_5tupleIJPSA_SM_EEENSN_IJSM_SM_EEESB_PlJ10is_orderedEEE10hipError_tPvRmT3_T4_T5_T6_T7_T9_mT8_P12ihipStream_tbDpT10_ENKUlT_T0_E_clISt17integral_constantIbLb0EES1C_EEDaS17_S18_EUlS17_E_NS1_11comp_targetILNS1_3genE8ELNS1_11target_archE1030ELNS1_3gpuE2ELNS1_3repE0EEENS1_30default_config_static_selectorELNS0_4arch9wavefront6targetE1EEEvT1_ ; -- Begin function _ZN7rocprim17ROCPRIM_400000_NS6detail17trampoline_kernelINS0_14default_configENS1_25partition_config_selectorILNS1_17partition_subalgoE3EN6thrust23THRUST_200600_302600_NS5tupleIxxNS7_9null_typeES9_S9_S9_S9_S9_S9_S9_EENS0_10empty_typeEbEEZZNS1_14partition_implILS5_3ELb0ES3_jNS7_6detail15normal_iteratorINS7_7pointerISA_NS7_11hip_rocprim3tagENS7_11use_defaultESJ_EEEEPSB_SM_NS0_5tupleIJPSA_SM_EEENSN_IJSM_SM_EEESB_PlJ10is_orderedEEE10hipError_tPvRmT3_T4_T5_T6_T7_T9_mT8_P12ihipStream_tbDpT10_ENKUlT_T0_E_clISt17integral_constantIbLb0EES1C_EEDaS17_S18_EUlS17_E_NS1_11comp_targetILNS1_3genE8ELNS1_11target_archE1030ELNS1_3gpuE2ELNS1_3repE0EEENS1_30default_config_static_selectorELNS0_4arch9wavefront6targetE1EEEvT1_
	.globl	_ZN7rocprim17ROCPRIM_400000_NS6detail17trampoline_kernelINS0_14default_configENS1_25partition_config_selectorILNS1_17partition_subalgoE3EN6thrust23THRUST_200600_302600_NS5tupleIxxNS7_9null_typeES9_S9_S9_S9_S9_S9_S9_EENS0_10empty_typeEbEEZZNS1_14partition_implILS5_3ELb0ES3_jNS7_6detail15normal_iteratorINS7_7pointerISA_NS7_11hip_rocprim3tagENS7_11use_defaultESJ_EEEEPSB_SM_NS0_5tupleIJPSA_SM_EEENSN_IJSM_SM_EEESB_PlJ10is_orderedEEE10hipError_tPvRmT3_T4_T5_T6_T7_T9_mT8_P12ihipStream_tbDpT10_ENKUlT_T0_E_clISt17integral_constantIbLb0EES1C_EEDaS17_S18_EUlS17_E_NS1_11comp_targetILNS1_3genE8ELNS1_11target_archE1030ELNS1_3gpuE2ELNS1_3repE0EEENS1_30default_config_static_selectorELNS0_4arch9wavefront6targetE1EEEvT1_
	.p2align	8
	.type	_ZN7rocprim17ROCPRIM_400000_NS6detail17trampoline_kernelINS0_14default_configENS1_25partition_config_selectorILNS1_17partition_subalgoE3EN6thrust23THRUST_200600_302600_NS5tupleIxxNS7_9null_typeES9_S9_S9_S9_S9_S9_S9_EENS0_10empty_typeEbEEZZNS1_14partition_implILS5_3ELb0ES3_jNS7_6detail15normal_iteratorINS7_7pointerISA_NS7_11hip_rocprim3tagENS7_11use_defaultESJ_EEEEPSB_SM_NS0_5tupleIJPSA_SM_EEENSN_IJSM_SM_EEESB_PlJ10is_orderedEEE10hipError_tPvRmT3_T4_T5_T6_T7_T9_mT8_P12ihipStream_tbDpT10_ENKUlT_T0_E_clISt17integral_constantIbLb0EES1C_EEDaS17_S18_EUlS17_E_NS1_11comp_targetILNS1_3genE8ELNS1_11target_archE1030ELNS1_3gpuE2ELNS1_3repE0EEENS1_30default_config_static_selectorELNS0_4arch9wavefront6targetE1EEEvT1_,@function
_ZN7rocprim17ROCPRIM_400000_NS6detail17trampoline_kernelINS0_14default_configENS1_25partition_config_selectorILNS1_17partition_subalgoE3EN6thrust23THRUST_200600_302600_NS5tupleIxxNS7_9null_typeES9_S9_S9_S9_S9_S9_S9_EENS0_10empty_typeEbEEZZNS1_14partition_implILS5_3ELb0ES3_jNS7_6detail15normal_iteratorINS7_7pointerISA_NS7_11hip_rocprim3tagENS7_11use_defaultESJ_EEEEPSB_SM_NS0_5tupleIJPSA_SM_EEENSN_IJSM_SM_EEESB_PlJ10is_orderedEEE10hipError_tPvRmT3_T4_T5_T6_T7_T9_mT8_P12ihipStream_tbDpT10_ENKUlT_T0_E_clISt17integral_constantIbLb0EES1C_EEDaS17_S18_EUlS17_E_NS1_11comp_targetILNS1_3genE8ELNS1_11target_archE1030ELNS1_3gpuE2ELNS1_3repE0EEENS1_30default_config_static_selectorELNS0_4arch9wavefront6targetE1EEEvT1_: ; @_ZN7rocprim17ROCPRIM_400000_NS6detail17trampoline_kernelINS0_14default_configENS1_25partition_config_selectorILNS1_17partition_subalgoE3EN6thrust23THRUST_200600_302600_NS5tupleIxxNS7_9null_typeES9_S9_S9_S9_S9_S9_S9_EENS0_10empty_typeEbEEZZNS1_14partition_implILS5_3ELb0ES3_jNS7_6detail15normal_iteratorINS7_7pointerISA_NS7_11hip_rocprim3tagENS7_11use_defaultESJ_EEEEPSB_SM_NS0_5tupleIJPSA_SM_EEENSN_IJSM_SM_EEESB_PlJ10is_orderedEEE10hipError_tPvRmT3_T4_T5_T6_T7_T9_mT8_P12ihipStream_tbDpT10_ENKUlT_T0_E_clISt17integral_constantIbLb0EES1C_EEDaS17_S18_EUlS17_E_NS1_11comp_targetILNS1_3genE8ELNS1_11target_archE1030ELNS1_3gpuE2ELNS1_3repE0EEENS1_30default_config_static_selectorELNS0_4arch9wavefront6targetE1EEEvT1_
; %bb.0:
	.section	.rodata,"a",@progbits
	.p2align	6, 0x0
	.amdhsa_kernel _ZN7rocprim17ROCPRIM_400000_NS6detail17trampoline_kernelINS0_14default_configENS1_25partition_config_selectorILNS1_17partition_subalgoE3EN6thrust23THRUST_200600_302600_NS5tupleIxxNS7_9null_typeES9_S9_S9_S9_S9_S9_S9_EENS0_10empty_typeEbEEZZNS1_14partition_implILS5_3ELb0ES3_jNS7_6detail15normal_iteratorINS7_7pointerISA_NS7_11hip_rocprim3tagENS7_11use_defaultESJ_EEEEPSB_SM_NS0_5tupleIJPSA_SM_EEENSN_IJSM_SM_EEESB_PlJ10is_orderedEEE10hipError_tPvRmT3_T4_T5_T6_T7_T9_mT8_P12ihipStream_tbDpT10_ENKUlT_T0_E_clISt17integral_constantIbLb0EES1C_EEDaS17_S18_EUlS17_E_NS1_11comp_targetILNS1_3genE8ELNS1_11target_archE1030ELNS1_3gpuE2ELNS1_3repE0EEENS1_30default_config_static_selectorELNS0_4arch9wavefront6targetE1EEEvT1_
		.amdhsa_group_segment_fixed_size 0
		.amdhsa_private_segment_fixed_size 0
		.amdhsa_kernarg_size 120
		.amdhsa_user_sgpr_count 6
		.amdhsa_user_sgpr_private_segment_buffer 1
		.amdhsa_user_sgpr_dispatch_ptr 0
		.amdhsa_user_sgpr_queue_ptr 0
		.amdhsa_user_sgpr_kernarg_segment_ptr 1
		.amdhsa_user_sgpr_dispatch_id 0
		.amdhsa_user_sgpr_flat_scratch_init 0
		.amdhsa_user_sgpr_kernarg_preload_length 0
		.amdhsa_user_sgpr_kernarg_preload_offset 0
		.amdhsa_user_sgpr_private_segment_size 0
		.amdhsa_uses_dynamic_stack 0
		.amdhsa_system_sgpr_private_segment_wavefront_offset 0
		.amdhsa_system_sgpr_workgroup_id_x 1
		.amdhsa_system_sgpr_workgroup_id_y 0
		.amdhsa_system_sgpr_workgroup_id_z 0
		.amdhsa_system_sgpr_workgroup_info 0
		.amdhsa_system_vgpr_workitem_id 0
		.amdhsa_next_free_vgpr 1
		.amdhsa_next_free_sgpr 0
		.amdhsa_accum_offset 4
		.amdhsa_reserve_vcc 0
		.amdhsa_reserve_flat_scratch 0
		.amdhsa_float_round_mode_32 0
		.amdhsa_float_round_mode_16_64 0
		.amdhsa_float_denorm_mode_32 3
		.amdhsa_float_denorm_mode_16_64 3
		.amdhsa_dx10_clamp 1
		.amdhsa_ieee_mode 1
		.amdhsa_fp16_overflow 0
		.amdhsa_tg_split 0
		.amdhsa_exception_fp_ieee_invalid_op 0
		.amdhsa_exception_fp_denorm_src 0
		.amdhsa_exception_fp_ieee_div_zero 0
		.amdhsa_exception_fp_ieee_overflow 0
		.amdhsa_exception_fp_ieee_underflow 0
		.amdhsa_exception_fp_ieee_inexact 0
		.amdhsa_exception_int_div_zero 0
	.end_amdhsa_kernel
	.section	.text._ZN7rocprim17ROCPRIM_400000_NS6detail17trampoline_kernelINS0_14default_configENS1_25partition_config_selectorILNS1_17partition_subalgoE3EN6thrust23THRUST_200600_302600_NS5tupleIxxNS7_9null_typeES9_S9_S9_S9_S9_S9_S9_EENS0_10empty_typeEbEEZZNS1_14partition_implILS5_3ELb0ES3_jNS7_6detail15normal_iteratorINS7_7pointerISA_NS7_11hip_rocprim3tagENS7_11use_defaultESJ_EEEEPSB_SM_NS0_5tupleIJPSA_SM_EEENSN_IJSM_SM_EEESB_PlJ10is_orderedEEE10hipError_tPvRmT3_T4_T5_T6_T7_T9_mT8_P12ihipStream_tbDpT10_ENKUlT_T0_E_clISt17integral_constantIbLb0EES1C_EEDaS17_S18_EUlS17_E_NS1_11comp_targetILNS1_3genE8ELNS1_11target_archE1030ELNS1_3gpuE2ELNS1_3repE0EEENS1_30default_config_static_selectorELNS0_4arch9wavefront6targetE1EEEvT1_,"axG",@progbits,_ZN7rocprim17ROCPRIM_400000_NS6detail17trampoline_kernelINS0_14default_configENS1_25partition_config_selectorILNS1_17partition_subalgoE3EN6thrust23THRUST_200600_302600_NS5tupleIxxNS7_9null_typeES9_S9_S9_S9_S9_S9_S9_EENS0_10empty_typeEbEEZZNS1_14partition_implILS5_3ELb0ES3_jNS7_6detail15normal_iteratorINS7_7pointerISA_NS7_11hip_rocprim3tagENS7_11use_defaultESJ_EEEEPSB_SM_NS0_5tupleIJPSA_SM_EEENSN_IJSM_SM_EEESB_PlJ10is_orderedEEE10hipError_tPvRmT3_T4_T5_T6_T7_T9_mT8_P12ihipStream_tbDpT10_ENKUlT_T0_E_clISt17integral_constantIbLb0EES1C_EEDaS17_S18_EUlS17_E_NS1_11comp_targetILNS1_3genE8ELNS1_11target_archE1030ELNS1_3gpuE2ELNS1_3repE0EEENS1_30default_config_static_selectorELNS0_4arch9wavefront6targetE1EEEvT1_,comdat
.Lfunc_end3462:
	.size	_ZN7rocprim17ROCPRIM_400000_NS6detail17trampoline_kernelINS0_14default_configENS1_25partition_config_selectorILNS1_17partition_subalgoE3EN6thrust23THRUST_200600_302600_NS5tupleIxxNS7_9null_typeES9_S9_S9_S9_S9_S9_S9_EENS0_10empty_typeEbEEZZNS1_14partition_implILS5_3ELb0ES3_jNS7_6detail15normal_iteratorINS7_7pointerISA_NS7_11hip_rocprim3tagENS7_11use_defaultESJ_EEEEPSB_SM_NS0_5tupleIJPSA_SM_EEENSN_IJSM_SM_EEESB_PlJ10is_orderedEEE10hipError_tPvRmT3_T4_T5_T6_T7_T9_mT8_P12ihipStream_tbDpT10_ENKUlT_T0_E_clISt17integral_constantIbLb0EES1C_EEDaS17_S18_EUlS17_E_NS1_11comp_targetILNS1_3genE8ELNS1_11target_archE1030ELNS1_3gpuE2ELNS1_3repE0EEENS1_30default_config_static_selectorELNS0_4arch9wavefront6targetE1EEEvT1_, .Lfunc_end3462-_ZN7rocprim17ROCPRIM_400000_NS6detail17trampoline_kernelINS0_14default_configENS1_25partition_config_selectorILNS1_17partition_subalgoE3EN6thrust23THRUST_200600_302600_NS5tupleIxxNS7_9null_typeES9_S9_S9_S9_S9_S9_S9_EENS0_10empty_typeEbEEZZNS1_14partition_implILS5_3ELb0ES3_jNS7_6detail15normal_iteratorINS7_7pointerISA_NS7_11hip_rocprim3tagENS7_11use_defaultESJ_EEEEPSB_SM_NS0_5tupleIJPSA_SM_EEENSN_IJSM_SM_EEESB_PlJ10is_orderedEEE10hipError_tPvRmT3_T4_T5_T6_T7_T9_mT8_P12ihipStream_tbDpT10_ENKUlT_T0_E_clISt17integral_constantIbLb0EES1C_EEDaS17_S18_EUlS17_E_NS1_11comp_targetILNS1_3genE8ELNS1_11target_archE1030ELNS1_3gpuE2ELNS1_3repE0EEENS1_30default_config_static_selectorELNS0_4arch9wavefront6targetE1EEEvT1_
                                        ; -- End function
	.section	.AMDGPU.csdata,"",@progbits
; Kernel info:
; codeLenInByte = 0
; NumSgprs: 4
; NumVgprs: 0
; NumAgprs: 0
; TotalNumVgprs: 0
; ScratchSize: 0
; MemoryBound: 0
; FloatMode: 240
; IeeeMode: 1
; LDSByteSize: 0 bytes/workgroup (compile time only)
; SGPRBlocks: 0
; VGPRBlocks: 0
; NumSGPRsForWavesPerEU: 4
; NumVGPRsForWavesPerEU: 1
; AccumOffset: 4
; Occupancy: 8
; WaveLimiterHint : 0
; COMPUTE_PGM_RSRC2:SCRATCH_EN: 0
; COMPUTE_PGM_RSRC2:USER_SGPR: 6
; COMPUTE_PGM_RSRC2:TRAP_HANDLER: 0
; COMPUTE_PGM_RSRC2:TGID_X_EN: 1
; COMPUTE_PGM_RSRC2:TGID_Y_EN: 0
; COMPUTE_PGM_RSRC2:TGID_Z_EN: 0
; COMPUTE_PGM_RSRC2:TIDIG_COMP_CNT: 0
; COMPUTE_PGM_RSRC3_GFX90A:ACCUM_OFFSET: 0
; COMPUTE_PGM_RSRC3_GFX90A:TG_SPLIT: 0
	.section	.text._ZN7rocprim17ROCPRIM_400000_NS6detail17trampoline_kernelINS0_14default_configENS1_25partition_config_selectorILNS1_17partition_subalgoE3EN6thrust23THRUST_200600_302600_NS5tupleIxxNS7_9null_typeES9_S9_S9_S9_S9_S9_S9_EENS0_10empty_typeEbEEZZNS1_14partition_implILS5_3ELb0ES3_jNS7_6detail15normal_iteratorINS7_7pointerISA_NS7_11hip_rocprim3tagENS7_11use_defaultESJ_EEEEPSB_SM_NS0_5tupleIJPSA_SM_EEENSN_IJSM_SM_EEESB_PlJ10is_orderedEEE10hipError_tPvRmT3_T4_T5_T6_T7_T9_mT8_P12ihipStream_tbDpT10_ENKUlT_T0_E_clISt17integral_constantIbLb1EES1C_EEDaS17_S18_EUlS17_E_NS1_11comp_targetILNS1_3genE0ELNS1_11target_archE4294967295ELNS1_3gpuE0ELNS1_3repE0EEENS1_30default_config_static_selectorELNS0_4arch9wavefront6targetE1EEEvT1_,"axG",@progbits,_ZN7rocprim17ROCPRIM_400000_NS6detail17trampoline_kernelINS0_14default_configENS1_25partition_config_selectorILNS1_17partition_subalgoE3EN6thrust23THRUST_200600_302600_NS5tupleIxxNS7_9null_typeES9_S9_S9_S9_S9_S9_S9_EENS0_10empty_typeEbEEZZNS1_14partition_implILS5_3ELb0ES3_jNS7_6detail15normal_iteratorINS7_7pointerISA_NS7_11hip_rocprim3tagENS7_11use_defaultESJ_EEEEPSB_SM_NS0_5tupleIJPSA_SM_EEENSN_IJSM_SM_EEESB_PlJ10is_orderedEEE10hipError_tPvRmT3_T4_T5_T6_T7_T9_mT8_P12ihipStream_tbDpT10_ENKUlT_T0_E_clISt17integral_constantIbLb1EES1C_EEDaS17_S18_EUlS17_E_NS1_11comp_targetILNS1_3genE0ELNS1_11target_archE4294967295ELNS1_3gpuE0ELNS1_3repE0EEENS1_30default_config_static_selectorELNS0_4arch9wavefront6targetE1EEEvT1_,comdat
	.protected	_ZN7rocprim17ROCPRIM_400000_NS6detail17trampoline_kernelINS0_14default_configENS1_25partition_config_selectorILNS1_17partition_subalgoE3EN6thrust23THRUST_200600_302600_NS5tupleIxxNS7_9null_typeES9_S9_S9_S9_S9_S9_S9_EENS0_10empty_typeEbEEZZNS1_14partition_implILS5_3ELb0ES3_jNS7_6detail15normal_iteratorINS7_7pointerISA_NS7_11hip_rocprim3tagENS7_11use_defaultESJ_EEEEPSB_SM_NS0_5tupleIJPSA_SM_EEENSN_IJSM_SM_EEESB_PlJ10is_orderedEEE10hipError_tPvRmT3_T4_T5_T6_T7_T9_mT8_P12ihipStream_tbDpT10_ENKUlT_T0_E_clISt17integral_constantIbLb1EES1C_EEDaS17_S18_EUlS17_E_NS1_11comp_targetILNS1_3genE0ELNS1_11target_archE4294967295ELNS1_3gpuE0ELNS1_3repE0EEENS1_30default_config_static_selectorELNS0_4arch9wavefront6targetE1EEEvT1_ ; -- Begin function _ZN7rocprim17ROCPRIM_400000_NS6detail17trampoline_kernelINS0_14default_configENS1_25partition_config_selectorILNS1_17partition_subalgoE3EN6thrust23THRUST_200600_302600_NS5tupleIxxNS7_9null_typeES9_S9_S9_S9_S9_S9_S9_EENS0_10empty_typeEbEEZZNS1_14partition_implILS5_3ELb0ES3_jNS7_6detail15normal_iteratorINS7_7pointerISA_NS7_11hip_rocprim3tagENS7_11use_defaultESJ_EEEEPSB_SM_NS0_5tupleIJPSA_SM_EEENSN_IJSM_SM_EEESB_PlJ10is_orderedEEE10hipError_tPvRmT3_T4_T5_T6_T7_T9_mT8_P12ihipStream_tbDpT10_ENKUlT_T0_E_clISt17integral_constantIbLb1EES1C_EEDaS17_S18_EUlS17_E_NS1_11comp_targetILNS1_3genE0ELNS1_11target_archE4294967295ELNS1_3gpuE0ELNS1_3repE0EEENS1_30default_config_static_selectorELNS0_4arch9wavefront6targetE1EEEvT1_
	.globl	_ZN7rocprim17ROCPRIM_400000_NS6detail17trampoline_kernelINS0_14default_configENS1_25partition_config_selectorILNS1_17partition_subalgoE3EN6thrust23THRUST_200600_302600_NS5tupleIxxNS7_9null_typeES9_S9_S9_S9_S9_S9_S9_EENS0_10empty_typeEbEEZZNS1_14partition_implILS5_3ELb0ES3_jNS7_6detail15normal_iteratorINS7_7pointerISA_NS7_11hip_rocprim3tagENS7_11use_defaultESJ_EEEEPSB_SM_NS0_5tupleIJPSA_SM_EEENSN_IJSM_SM_EEESB_PlJ10is_orderedEEE10hipError_tPvRmT3_T4_T5_T6_T7_T9_mT8_P12ihipStream_tbDpT10_ENKUlT_T0_E_clISt17integral_constantIbLb1EES1C_EEDaS17_S18_EUlS17_E_NS1_11comp_targetILNS1_3genE0ELNS1_11target_archE4294967295ELNS1_3gpuE0ELNS1_3repE0EEENS1_30default_config_static_selectorELNS0_4arch9wavefront6targetE1EEEvT1_
	.p2align	8
	.type	_ZN7rocprim17ROCPRIM_400000_NS6detail17trampoline_kernelINS0_14default_configENS1_25partition_config_selectorILNS1_17partition_subalgoE3EN6thrust23THRUST_200600_302600_NS5tupleIxxNS7_9null_typeES9_S9_S9_S9_S9_S9_S9_EENS0_10empty_typeEbEEZZNS1_14partition_implILS5_3ELb0ES3_jNS7_6detail15normal_iteratorINS7_7pointerISA_NS7_11hip_rocprim3tagENS7_11use_defaultESJ_EEEEPSB_SM_NS0_5tupleIJPSA_SM_EEENSN_IJSM_SM_EEESB_PlJ10is_orderedEEE10hipError_tPvRmT3_T4_T5_T6_T7_T9_mT8_P12ihipStream_tbDpT10_ENKUlT_T0_E_clISt17integral_constantIbLb1EES1C_EEDaS17_S18_EUlS17_E_NS1_11comp_targetILNS1_3genE0ELNS1_11target_archE4294967295ELNS1_3gpuE0ELNS1_3repE0EEENS1_30default_config_static_selectorELNS0_4arch9wavefront6targetE1EEEvT1_,@function
_ZN7rocprim17ROCPRIM_400000_NS6detail17trampoline_kernelINS0_14default_configENS1_25partition_config_selectorILNS1_17partition_subalgoE3EN6thrust23THRUST_200600_302600_NS5tupleIxxNS7_9null_typeES9_S9_S9_S9_S9_S9_S9_EENS0_10empty_typeEbEEZZNS1_14partition_implILS5_3ELb0ES3_jNS7_6detail15normal_iteratorINS7_7pointerISA_NS7_11hip_rocprim3tagENS7_11use_defaultESJ_EEEEPSB_SM_NS0_5tupleIJPSA_SM_EEENSN_IJSM_SM_EEESB_PlJ10is_orderedEEE10hipError_tPvRmT3_T4_T5_T6_T7_T9_mT8_P12ihipStream_tbDpT10_ENKUlT_T0_E_clISt17integral_constantIbLb1EES1C_EEDaS17_S18_EUlS17_E_NS1_11comp_targetILNS1_3genE0ELNS1_11target_archE4294967295ELNS1_3gpuE0ELNS1_3repE0EEENS1_30default_config_static_selectorELNS0_4arch9wavefront6targetE1EEEvT1_: ; @_ZN7rocprim17ROCPRIM_400000_NS6detail17trampoline_kernelINS0_14default_configENS1_25partition_config_selectorILNS1_17partition_subalgoE3EN6thrust23THRUST_200600_302600_NS5tupleIxxNS7_9null_typeES9_S9_S9_S9_S9_S9_S9_EENS0_10empty_typeEbEEZZNS1_14partition_implILS5_3ELb0ES3_jNS7_6detail15normal_iteratorINS7_7pointerISA_NS7_11hip_rocprim3tagENS7_11use_defaultESJ_EEEEPSB_SM_NS0_5tupleIJPSA_SM_EEENSN_IJSM_SM_EEESB_PlJ10is_orderedEEE10hipError_tPvRmT3_T4_T5_T6_T7_T9_mT8_P12ihipStream_tbDpT10_ENKUlT_T0_E_clISt17integral_constantIbLb1EES1C_EEDaS17_S18_EUlS17_E_NS1_11comp_targetILNS1_3genE0ELNS1_11target_archE4294967295ELNS1_3gpuE0ELNS1_3repE0EEENS1_30default_config_static_selectorELNS0_4arch9wavefront6targetE1EEEvT1_
; %bb.0:
	.section	.rodata,"a",@progbits
	.p2align	6, 0x0
	.amdhsa_kernel _ZN7rocprim17ROCPRIM_400000_NS6detail17trampoline_kernelINS0_14default_configENS1_25partition_config_selectorILNS1_17partition_subalgoE3EN6thrust23THRUST_200600_302600_NS5tupleIxxNS7_9null_typeES9_S9_S9_S9_S9_S9_S9_EENS0_10empty_typeEbEEZZNS1_14partition_implILS5_3ELb0ES3_jNS7_6detail15normal_iteratorINS7_7pointerISA_NS7_11hip_rocprim3tagENS7_11use_defaultESJ_EEEEPSB_SM_NS0_5tupleIJPSA_SM_EEENSN_IJSM_SM_EEESB_PlJ10is_orderedEEE10hipError_tPvRmT3_T4_T5_T6_T7_T9_mT8_P12ihipStream_tbDpT10_ENKUlT_T0_E_clISt17integral_constantIbLb1EES1C_EEDaS17_S18_EUlS17_E_NS1_11comp_targetILNS1_3genE0ELNS1_11target_archE4294967295ELNS1_3gpuE0ELNS1_3repE0EEENS1_30default_config_static_selectorELNS0_4arch9wavefront6targetE1EEEvT1_
		.amdhsa_group_segment_fixed_size 0
		.amdhsa_private_segment_fixed_size 0
		.amdhsa_kernarg_size 136
		.amdhsa_user_sgpr_count 6
		.amdhsa_user_sgpr_private_segment_buffer 1
		.amdhsa_user_sgpr_dispatch_ptr 0
		.amdhsa_user_sgpr_queue_ptr 0
		.amdhsa_user_sgpr_kernarg_segment_ptr 1
		.amdhsa_user_sgpr_dispatch_id 0
		.amdhsa_user_sgpr_flat_scratch_init 0
		.amdhsa_user_sgpr_kernarg_preload_length 0
		.amdhsa_user_sgpr_kernarg_preload_offset 0
		.amdhsa_user_sgpr_private_segment_size 0
		.amdhsa_uses_dynamic_stack 0
		.amdhsa_system_sgpr_private_segment_wavefront_offset 0
		.amdhsa_system_sgpr_workgroup_id_x 1
		.amdhsa_system_sgpr_workgroup_id_y 0
		.amdhsa_system_sgpr_workgroup_id_z 0
		.amdhsa_system_sgpr_workgroup_info 0
		.amdhsa_system_vgpr_workitem_id 0
		.amdhsa_next_free_vgpr 1
		.amdhsa_next_free_sgpr 0
		.amdhsa_accum_offset 4
		.amdhsa_reserve_vcc 0
		.amdhsa_reserve_flat_scratch 0
		.amdhsa_float_round_mode_32 0
		.amdhsa_float_round_mode_16_64 0
		.amdhsa_float_denorm_mode_32 3
		.amdhsa_float_denorm_mode_16_64 3
		.amdhsa_dx10_clamp 1
		.amdhsa_ieee_mode 1
		.amdhsa_fp16_overflow 0
		.amdhsa_tg_split 0
		.amdhsa_exception_fp_ieee_invalid_op 0
		.amdhsa_exception_fp_denorm_src 0
		.amdhsa_exception_fp_ieee_div_zero 0
		.amdhsa_exception_fp_ieee_overflow 0
		.amdhsa_exception_fp_ieee_underflow 0
		.amdhsa_exception_fp_ieee_inexact 0
		.amdhsa_exception_int_div_zero 0
	.end_amdhsa_kernel
	.section	.text._ZN7rocprim17ROCPRIM_400000_NS6detail17trampoline_kernelINS0_14default_configENS1_25partition_config_selectorILNS1_17partition_subalgoE3EN6thrust23THRUST_200600_302600_NS5tupleIxxNS7_9null_typeES9_S9_S9_S9_S9_S9_S9_EENS0_10empty_typeEbEEZZNS1_14partition_implILS5_3ELb0ES3_jNS7_6detail15normal_iteratorINS7_7pointerISA_NS7_11hip_rocprim3tagENS7_11use_defaultESJ_EEEEPSB_SM_NS0_5tupleIJPSA_SM_EEENSN_IJSM_SM_EEESB_PlJ10is_orderedEEE10hipError_tPvRmT3_T4_T5_T6_T7_T9_mT8_P12ihipStream_tbDpT10_ENKUlT_T0_E_clISt17integral_constantIbLb1EES1C_EEDaS17_S18_EUlS17_E_NS1_11comp_targetILNS1_3genE0ELNS1_11target_archE4294967295ELNS1_3gpuE0ELNS1_3repE0EEENS1_30default_config_static_selectorELNS0_4arch9wavefront6targetE1EEEvT1_,"axG",@progbits,_ZN7rocprim17ROCPRIM_400000_NS6detail17trampoline_kernelINS0_14default_configENS1_25partition_config_selectorILNS1_17partition_subalgoE3EN6thrust23THRUST_200600_302600_NS5tupleIxxNS7_9null_typeES9_S9_S9_S9_S9_S9_S9_EENS0_10empty_typeEbEEZZNS1_14partition_implILS5_3ELb0ES3_jNS7_6detail15normal_iteratorINS7_7pointerISA_NS7_11hip_rocprim3tagENS7_11use_defaultESJ_EEEEPSB_SM_NS0_5tupleIJPSA_SM_EEENSN_IJSM_SM_EEESB_PlJ10is_orderedEEE10hipError_tPvRmT3_T4_T5_T6_T7_T9_mT8_P12ihipStream_tbDpT10_ENKUlT_T0_E_clISt17integral_constantIbLb1EES1C_EEDaS17_S18_EUlS17_E_NS1_11comp_targetILNS1_3genE0ELNS1_11target_archE4294967295ELNS1_3gpuE0ELNS1_3repE0EEENS1_30default_config_static_selectorELNS0_4arch9wavefront6targetE1EEEvT1_,comdat
.Lfunc_end3463:
	.size	_ZN7rocprim17ROCPRIM_400000_NS6detail17trampoline_kernelINS0_14default_configENS1_25partition_config_selectorILNS1_17partition_subalgoE3EN6thrust23THRUST_200600_302600_NS5tupleIxxNS7_9null_typeES9_S9_S9_S9_S9_S9_S9_EENS0_10empty_typeEbEEZZNS1_14partition_implILS5_3ELb0ES3_jNS7_6detail15normal_iteratorINS7_7pointerISA_NS7_11hip_rocprim3tagENS7_11use_defaultESJ_EEEEPSB_SM_NS0_5tupleIJPSA_SM_EEENSN_IJSM_SM_EEESB_PlJ10is_orderedEEE10hipError_tPvRmT3_T4_T5_T6_T7_T9_mT8_P12ihipStream_tbDpT10_ENKUlT_T0_E_clISt17integral_constantIbLb1EES1C_EEDaS17_S18_EUlS17_E_NS1_11comp_targetILNS1_3genE0ELNS1_11target_archE4294967295ELNS1_3gpuE0ELNS1_3repE0EEENS1_30default_config_static_selectorELNS0_4arch9wavefront6targetE1EEEvT1_, .Lfunc_end3463-_ZN7rocprim17ROCPRIM_400000_NS6detail17trampoline_kernelINS0_14default_configENS1_25partition_config_selectorILNS1_17partition_subalgoE3EN6thrust23THRUST_200600_302600_NS5tupleIxxNS7_9null_typeES9_S9_S9_S9_S9_S9_S9_EENS0_10empty_typeEbEEZZNS1_14partition_implILS5_3ELb0ES3_jNS7_6detail15normal_iteratorINS7_7pointerISA_NS7_11hip_rocprim3tagENS7_11use_defaultESJ_EEEEPSB_SM_NS0_5tupleIJPSA_SM_EEENSN_IJSM_SM_EEESB_PlJ10is_orderedEEE10hipError_tPvRmT3_T4_T5_T6_T7_T9_mT8_P12ihipStream_tbDpT10_ENKUlT_T0_E_clISt17integral_constantIbLb1EES1C_EEDaS17_S18_EUlS17_E_NS1_11comp_targetILNS1_3genE0ELNS1_11target_archE4294967295ELNS1_3gpuE0ELNS1_3repE0EEENS1_30default_config_static_selectorELNS0_4arch9wavefront6targetE1EEEvT1_
                                        ; -- End function
	.section	.AMDGPU.csdata,"",@progbits
; Kernel info:
; codeLenInByte = 0
; NumSgprs: 4
; NumVgprs: 0
; NumAgprs: 0
; TotalNumVgprs: 0
; ScratchSize: 0
; MemoryBound: 0
; FloatMode: 240
; IeeeMode: 1
; LDSByteSize: 0 bytes/workgroup (compile time only)
; SGPRBlocks: 0
; VGPRBlocks: 0
; NumSGPRsForWavesPerEU: 4
; NumVGPRsForWavesPerEU: 1
; AccumOffset: 4
; Occupancy: 8
; WaveLimiterHint : 0
; COMPUTE_PGM_RSRC2:SCRATCH_EN: 0
; COMPUTE_PGM_RSRC2:USER_SGPR: 6
; COMPUTE_PGM_RSRC2:TRAP_HANDLER: 0
; COMPUTE_PGM_RSRC2:TGID_X_EN: 1
; COMPUTE_PGM_RSRC2:TGID_Y_EN: 0
; COMPUTE_PGM_RSRC2:TGID_Z_EN: 0
; COMPUTE_PGM_RSRC2:TIDIG_COMP_CNT: 0
; COMPUTE_PGM_RSRC3_GFX90A:ACCUM_OFFSET: 0
; COMPUTE_PGM_RSRC3_GFX90A:TG_SPLIT: 0
	.section	.text._ZN7rocprim17ROCPRIM_400000_NS6detail17trampoline_kernelINS0_14default_configENS1_25partition_config_selectorILNS1_17partition_subalgoE3EN6thrust23THRUST_200600_302600_NS5tupleIxxNS7_9null_typeES9_S9_S9_S9_S9_S9_S9_EENS0_10empty_typeEbEEZZNS1_14partition_implILS5_3ELb0ES3_jNS7_6detail15normal_iteratorINS7_7pointerISA_NS7_11hip_rocprim3tagENS7_11use_defaultESJ_EEEEPSB_SM_NS0_5tupleIJPSA_SM_EEENSN_IJSM_SM_EEESB_PlJ10is_orderedEEE10hipError_tPvRmT3_T4_T5_T6_T7_T9_mT8_P12ihipStream_tbDpT10_ENKUlT_T0_E_clISt17integral_constantIbLb1EES1C_EEDaS17_S18_EUlS17_E_NS1_11comp_targetILNS1_3genE5ELNS1_11target_archE942ELNS1_3gpuE9ELNS1_3repE0EEENS1_30default_config_static_selectorELNS0_4arch9wavefront6targetE1EEEvT1_,"axG",@progbits,_ZN7rocprim17ROCPRIM_400000_NS6detail17trampoline_kernelINS0_14default_configENS1_25partition_config_selectorILNS1_17partition_subalgoE3EN6thrust23THRUST_200600_302600_NS5tupleIxxNS7_9null_typeES9_S9_S9_S9_S9_S9_S9_EENS0_10empty_typeEbEEZZNS1_14partition_implILS5_3ELb0ES3_jNS7_6detail15normal_iteratorINS7_7pointerISA_NS7_11hip_rocprim3tagENS7_11use_defaultESJ_EEEEPSB_SM_NS0_5tupleIJPSA_SM_EEENSN_IJSM_SM_EEESB_PlJ10is_orderedEEE10hipError_tPvRmT3_T4_T5_T6_T7_T9_mT8_P12ihipStream_tbDpT10_ENKUlT_T0_E_clISt17integral_constantIbLb1EES1C_EEDaS17_S18_EUlS17_E_NS1_11comp_targetILNS1_3genE5ELNS1_11target_archE942ELNS1_3gpuE9ELNS1_3repE0EEENS1_30default_config_static_selectorELNS0_4arch9wavefront6targetE1EEEvT1_,comdat
	.protected	_ZN7rocprim17ROCPRIM_400000_NS6detail17trampoline_kernelINS0_14default_configENS1_25partition_config_selectorILNS1_17partition_subalgoE3EN6thrust23THRUST_200600_302600_NS5tupleIxxNS7_9null_typeES9_S9_S9_S9_S9_S9_S9_EENS0_10empty_typeEbEEZZNS1_14partition_implILS5_3ELb0ES3_jNS7_6detail15normal_iteratorINS7_7pointerISA_NS7_11hip_rocprim3tagENS7_11use_defaultESJ_EEEEPSB_SM_NS0_5tupleIJPSA_SM_EEENSN_IJSM_SM_EEESB_PlJ10is_orderedEEE10hipError_tPvRmT3_T4_T5_T6_T7_T9_mT8_P12ihipStream_tbDpT10_ENKUlT_T0_E_clISt17integral_constantIbLb1EES1C_EEDaS17_S18_EUlS17_E_NS1_11comp_targetILNS1_3genE5ELNS1_11target_archE942ELNS1_3gpuE9ELNS1_3repE0EEENS1_30default_config_static_selectorELNS0_4arch9wavefront6targetE1EEEvT1_ ; -- Begin function _ZN7rocprim17ROCPRIM_400000_NS6detail17trampoline_kernelINS0_14default_configENS1_25partition_config_selectorILNS1_17partition_subalgoE3EN6thrust23THRUST_200600_302600_NS5tupleIxxNS7_9null_typeES9_S9_S9_S9_S9_S9_S9_EENS0_10empty_typeEbEEZZNS1_14partition_implILS5_3ELb0ES3_jNS7_6detail15normal_iteratorINS7_7pointerISA_NS7_11hip_rocprim3tagENS7_11use_defaultESJ_EEEEPSB_SM_NS0_5tupleIJPSA_SM_EEENSN_IJSM_SM_EEESB_PlJ10is_orderedEEE10hipError_tPvRmT3_T4_T5_T6_T7_T9_mT8_P12ihipStream_tbDpT10_ENKUlT_T0_E_clISt17integral_constantIbLb1EES1C_EEDaS17_S18_EUlS17_E_NS1_11comp_targetILNS1_3genE5ELNS1_11target_archE942ELNS1_3gpuE9ELNS1_3repE0EEENS1_30default_config_static_selectorELNS0_4arch9wavefront6targetE1EEEvT1_
	.globl	_ZN7rocprim17ROCPRIM_400000_NS6detail17trampoline_kernelINS0_14default_configENS1_25partition_config_selectorILNS1_17partition_subalgoE3EN6thrust23THRUST_200600_302600_NS5tupleIxxNS7_9null_typeES9_S9_S9_S9_S9_S9_S9_EENS0_10empty_typeEbEEZZNS1_14partition_implILS5_3ELb0ES3_jNS7_6detail15normal_iteratorINS7_7pointerISA_NS7_11hip_rocprim3tagENS7_11use_defaultESJ_EEEEPSB_SM_NS0_5tupleIJPSA_SM_EEENSN_IJSM_SM_EEESB_PlJ10is_orderedEEE10hipError_tPvRmT3_T4_T5_T6_T7_T9_mT8_P12ihipStream_tbDpT10_ENKUlT_T0_E_clISt17integral_constantIbLb1EES1C_EEDaS17_S18_EUlS17_E_NS1_11comp_targetILNS1_3genE5ELNS1_11target_archE942ELNS1_3gpuE9ELNS1_3repE0EEENS1_30default_config_static_selectorELNS0_4arch9wavefront6targetE1EEEvT1_
	.p2align	8
	.type	_ZN7rocprim17ROCPRIM_400000_NS6detail17trampoline_kernelINS0_14default_configENS1_25partition_config_selectorILNS1_17partition_subalgoE3EN6thrust23THRUST_200600_302600_NS5tupleIxxNS7_9null_typeES9_S9_S9_S9_S9_S9_S9_EENS0_10empty_typeEbEEZZNS1_14partition_implILS5_3ELb0ES3_jNS7_6detail15normal_iteratorINS7_7pointerISA_NS7_11hip_rocprim3tagENS7_11use_defaultESJ_EEEEPSB_SM_NS0_5tupleIJPSA_SM_EEENSN_IJSM_SM_EEESB_PlJ10is_orderedEEE10hipError_tPvRmT3_T4_T5_T6_T7_T9_mT8_P12ihipStream_tbDpT10_ENKUlT_T0_E_clISt17integral_constantIbLb1EES1C_EEDaS17_S18_EUlS17_E_NS1_11comp_targetILNS1_3genE5ELNS1_11target_archE942ELNS1_3gpuE9ELNS1_3repE0EEENS1_30default_config_static_selectorELNS0_4arch9wavefront6targetE1EEEvT1_,@function
_ZN7rocprim17ROCPRIM_400000_NS6detail17trampoline_kernelINS0_14default_configENS1_25partition_config_selectorILNS1_17partition_subalgoE3EN6thrust23THRUST_200600_302600_NS5tupleIxxNS7_9null_typeES9_S9_S9_S9_S9_S9_S9_EENS0_10empty_typeEbEEZZNS1_14partition_implILS5_3ELb0ES3_jNS7_6detail15normal_iteratorINS7_7pointerISA_NS7_11hip_rocprim3tagENS7_11use_defaultESJ_EEEEPSB_SM_NS0_5tupleIJPSA_SM_EEENSN_IJSM_SM_EEESB_PlJ10is_orderedEEE10hipError_tPvRmT3_T4_T5_T6_T7_T9_mT8_P12ihipStream_tbDpT10_ENKUlT_T0_E_clISt17integral_constantIbLb1EES1C_EEDaS17_S18_EUlS17_E_NS1_11comp_targetILNS1_3genE5ELNS1_11target_archE942ELNS1_3gpuE9ELNS1_3repE0EEENS1_30default_config_static_selectorELNS0_4arch9wavefront6targetE1EEEvT1_: ; @_ZN7rocprim17ROCPRIM_400000_NS6detail17trampoline_kernelINS0_14default_configENS1_25partition_config_selectorILNS1_17partition_subalgoE3EN6thrust23THRUST_200600_302600_NS5tupleIxxNS7_9null_typeES9_S9_S9_S9_S9_S9_S9_EENS0_10empty_typeEbEEZZNS1_14partition_implILS5_3ELb0ES3_jNS7_6detail15normal_iteratorINS7_7pointerISA_NS7_11hip_rocprim3tagENS7_11use_defaultESJ_EEEEPSB_SM_NS0_5tupleIJPSA_SM_EEENSN_IJSM_SM_EEESB_PlJ10is_orderedEEE10hipError_tPvRmT3_T4_T5_T6_T7_T9_mT8_P12ihipStream_tbDpT10_ENKUlT_T0_E_clISt17integral_constantIbLb1EES1C_EEDaS17_S18_EUlS17_E_NS1_11comp_targetILNS1_3genE5ELNS1_11target_archE942ELNS1_3gpuE9ELNS1_3repE0EEENS1_30default_config_static_selectorELNS0_4arch9wavefront6targetE1EEEvT1_
; %bb.0:
	.section	.rodata,"a",@progbits
	.p2align	6, 0x0
	.amdhsa_kernel _ZN7rocprim17ROCPRIM_400000_NS6detail17trampoline_kernelINS0_14default_configENS1_25partition_config_selectorILNS1_17partition_subalgoE3EN6thrust23THRUST_200600_302600_NS5tupleIxxNS7_9null_typeES9_S9_S9_S9_S9_S9_S9_EENS0_10empty_typeEbEEZZNS1_14partition_implILS5_3ELb0ES3_jNS7_6detail15normal_iteratorINS7_7pointerISA_NS7_11hip_rocprim3tagENS7_11use_defaultESJ_EEEEPSB_SM_NS0_5tupleIJPSA_SM_EEENSN_IJSM_SM_EEESB_PlJ10is_orderedEEE10hipError_tPvRmT3_T4_T5_T6_T7_T9_mT8_P12ihipStream_tbDpT10_ENKUlT_T0_E_clISt17integral_constantIbLb1EES1C_EEDaS17_S18_EUlS17_E_NS1_11comp_targetILNS1_3genE5ELNS1_11target_archE942ELNS1_3gpuE9ELNS1_3repE0EEENS1_30default_config_static_selectorELNS0_4arch9wavefront6targetE1EEEvT1_
		.amdhsa_group_segment_fixed_size 0
		.amdhsa_private_segment_fixed_size 0
		.amdhsa_kernarg_size 136
		.amdhsa_user_sgpr_count 6
		.amdhsa_user_sgpr_private_segment_buffer 1
		.amdhsa_user_sgpr_dispatch_ptr 0
		.amdhsa_user_sgpr_queue_ptr 0
		.amdhsa_user_sgpr_kernarg_segment_ptr 1
		.amdhsa_user_sgpr_dispatch_id 0
		.amdhsa_user_sgpr_flat_scratch_init 0
		.amdhsa_user_sgpr_kernarg_preload_length 0
		.amdhsa_user_sgpr_kernarg_preload_offset 0
		.amdhsa_user_sgpr_private_segment_size 0
		.amdhsa_uses_dynamic_stack 0
		.amdhsa_system_sgpr_private_segment_wavefront_offset 0
		.amdhsa_system_sgpr_workgroup_id_x 1
		.amdhsa_system_sgpr_workgroup_id_y 0
		.amdhsa_system_sgpr_workgroup_id_z 0
		.amdhsa_system_sgpr_workgroup_info 0
		.amdhsa_system_vgpr_workitem_id 0
		.amdhsa_next_free_vgpr 1
		.amdhsa_next_free_sgpr 0
		.amdhsa_accum_offset 4
		.amdhsa_reserve_vcc 0
		.amdhsa_reserve_flat_scratch 0
		.amdhsa_float_round_mode_32 0
		.amdhsa_float_round_mode_16_64 0
		.amdhsa_float_denorm_mode_32 3
		.amdhsa_float_denorm_mode_16_64 3
		.amdhsa_dx10_clamp 1
		.amdhsa_ieee_mode 1
		.amdhsa_fp16_overflow 0
		.amdhsa_tg_split 0
		.amdhsa_exception_fp_ieee_invalid_op 0
		.amdhsa_exception_fp_denorm_src 0
		.amdhsa_exception_fp_ieee_div_zero 0
		.amdhsa_exception_fp_ieee_overflow 0
		.amdhsa_exception_fp_ieee_underflow 0
		.amdhsa_exception_fp_ieee_inexact 0
		.amdhsa_exception_int_div_zero 0
	.end_amdhsa_kernel
	.section	.text._ZN7rocprim17ROCPRIM_400000_NS6detail17trampoline_kernelINS0_14default_configENS1_25partition_config_selectorILNS1_17partition_subalgoE3EN6thrust23THRUST_200600_302600_NS5tupleIxxNS7_9null_typeES9_S9_S9_S9_S9_S9_S9_EENS0_10empty_typeEbEEZZNS1_14partition_implILS5_3ELb0ES3_jNS7_6detail15normal_iteratorINS7_7pointerISA_NS7_11hip_rocprim3tagENS7_11use_defaultESJ_EEEEPSB_SM_NS0_5tupleIJPSA_SM_EEENSN_IJSM_SM_EEESB_PlJ10is_orderedEEE10hipError_tPvRmT3_T4_T5_T6_T7_T9_mT8_P12ihipStream_tbDpT10_ENKUlT_T0_E_clISt17integral_constantIbLb1EES1C_EEDaS17_S18_EUlS17_E_NS1_11comp_targetILNS1_3genE5ELNS1_11target_archE942ELNS1_3gpuE9ELNS1_3repE0EEENS1_30default_config_static_selectorELNS0_4arch9wavefront6targetE1EEEvT1_,"axG",@progbits,_ZN7rocprim17ROCPRIM_400000_NS6detail17trampoline_kernelINS0_14default_configENS1_25partition_config_selectorILNS1_17partition_subalgoE3EN6thrust23THRUST_200600_302600_NS5tupleIxxNS7_9null_typeES9_S9_S9_S9_S9_S9_S9_EENS0_10empty_typeEbEEZZNS1_14partition_implILS5_3ELb0ES3_jNS7_6detail15normal_iteratorINS7_7pointerISA_NS7_11hip_rocprim3tagENS7_11use_defaultESJ_EEEEPSB_SM_NS0_5tupleIJPSA_SM_EEENSN_IJSM_SM_EEESB_PlJ10is_orderedEEE10hipError_tPvRmT3_T4_T5_T6_T7_T9_mT8_P12ihipStream_tbDpT10_ENKUlT_T0_E_clISt17integral_constantIbLb1EES1C_EEDaS17_S18_EUlS17_E_NS1_11comp_targetILNS1_3genE5ELNS1_11target_archE942ELNS1_3gpuE9ELNS1_3repE0EEENS1_30default_config_static_selectorELNS0_4arch9wavefront6targetE1EEEvT1_,comdat
.Lfunc_end3464:
	.size	_ZN7rocprim17ROCPRIM_400000_NS6detail17trampoline_kernelINS0_14default_configENS1_25partition_config_selectorILNS1_17partition_subalgoE3EN6thrust23THRUST_200600_302600_NS5tupleIxxNS7_9null_typeES9_S9_S9_S9_S9_S9_S9_EENS0_10empty_typeEbEEZZNS1_14partition_implILS5_3ELb0ES3_jNS7_6detail15normal_iteratorINS7_7pointerISA_NS7_11hip_rocprim3tagENS7_11use_defaultESJ_EEEEPSB_SM_NS0_5tupleIJPSA_SM_EEENSN_IJSM_SM_EEESB_PlJ10is_orderedEEE10hipError_tPvRmT3_T4_T5_T6_T7_T9_mT8_P12ihipStream_tbDpT10_ENKUlT_T0_E_clISt17integral_constantIbLb1EES1C_EEDaS17_S18_EUlS17_E_NS1_11comp_targetILNS1_3genE5ELNS1_11target_archE942ELNS1_3gpuE9ELNS1_3repE0EEENS1_30default_config_static_selectorELNS0_4arch9wavefront6targetE1EEEvT1_, .Lfunc_end3464-_ZN7rocprim17ROCPRIM_400000_NS6detail17trampoline_kernelINS0_14default_configENS1_25partition_config_selectorILNS1_17partition_subalgoE3EN6thrust23THRUST_200600_302600_NS5tupleIxxNS7_9null_typeES9_S9_S9_S9_S9_S9_S9_EENS0_10empty_typeEbEEZZNS1_14partition_implILS5_3ELb0ES3_jNS7_6detail15normal_iteratorINS7_7pointerISA_NS7_11hip_rocprim3tagENS7_11use_defaultESJ_EEEEPSB_SM_NS0_5tupleIJPSA_SM_EEENSN_IJSM_SM_EEESB_PlJ10is_orderedEEE10hipError_tPvRmT3_T4_T5_T6_T7_T9_mT8_P12ihipStream_tbDpT10_ENKUlT_T0_E_clISt17integral_constantIbLb1EES1C_EEDaS17_S18_EUlS17_E_NS1_11comp_targetILNS1_3genE5ELNS1_11target_archE942ELNS1_3gpuE9ELNS1_3repE0EEENS1_30default_config_static_selectorELNS0_4arch9wavefront6targetE1EEEvT1_
                                        ; -- End function
	.section	.AMDGPU.csdata,"",@progbits
; Kernel info:
; codeLenInByte = 0
; NumSgprs: 4
; NumVgprs: 0
; NumAgprs: 0
; TotalNumVgprs: 0
; ScratchSize: 0
; MemoryBound: 0
; FloatMode: 240
; IeeeMode: 1
; LDSByteSize: 0 bytes/workgroup (compile time only)
; SGPRBlocks: 0
; VGPRBlocks: 0
; NumSGPRsForWavesPerEU: 4
; NumVGPRsForWavesPerEU: 1
; AccumOffset: 4
; Occupancy: 8
; WaveLimiterHint : 0
; COMPUTE_PGM_RSRC2:SCRATCH_EN: 0
; COMPUTE_PGM_RSRC2:USER_SGPR: 6
; COMPUTE_PGM_RSRC2:TRAP_HANDLER: 0
; COMPUTE_PGM_RSRC2:TGID_X_EN: 1
; COMPUTE_PGM_RSRC2:TGID_Y_EN: 0
; COMPUTE_PGM_RSRC2:TGID_Z_EN: 0
; COMPUTE_PGM_RSRC2:TIDIG_COMP_CNT: 0
; COMPUTE_PGM_RSRC3_GFX90A:ACCUM_OFFSET: 0
; COMPUTE_PGM_RSRC3_GFX90A:TG_SPLIT: 0
	.section	.text._ZN7rocprim17ROCPRIM_400000_NS6detail17trampoline_kernelINS0_14default_configENS1_25partition_config_selectorILNS1_17partition_subalgoE3EN6thrust23THRUST_200600_302600_NS5tupleIxxNS7_9null_typeES9_S9_S9_S9_S9_S9_S9_EENS0_10empty_typeEbEEZZNS1_14partition_implILS5_3ELb0ES3_jNS7_6detail15normal_iteratorINS7_7pointerISA_NS7_11hip_rocprim3tagENS7_11use_defaultESJ_EEEEPSB_SM_NS0_5tupleIJPSA_SM_EEENSN_IJSM_SM_EEESB_PlJ10is_orderedEEE10hipError_tPvRmT3_T4_T5_T6_T7_T9_mT8_P12ihipStream_tbDpT10_ENKUlT_T0_E_clISt17integral_constantIbLb1EES1C_EEDaS17_S18_EUlS17_E_NS1_11comp_targetILNS1_3genE4ELNS1_11target_archE910ELNS1_3gpuE8ELNS1_3repE0EEENS1_30default_config_static_selectorELNS0_4arch9wavefront6targetE1EEEvT1_,"axG",@progbits,_ZN7rocprim17ROCPRIM_400000_NS6detail17trampoline_kernelINS0_14default_configENS1_25partition_config_selectorILNS1_17partition_subalgoE3EN6thrust23THRUST_200600_302600_NS5tupleIxxNS7_9null_typeES9_S9_S9_S9_S9_S9_S9_EENS0_10empty_typeEbEEZZNS1_14partition_implILS5_3ELb0ES3_jNS7_6detail15normal_iteratorINS7_7pointerISA_NS7_11hip_rocprim3tagENS7_11use_defaultESJ_EEEEPSB_SM_NS0_5tupleIJPSA_SM_EEENSN_IJSM_SM_EEESB_PlJ10is_orderedEEE10hipError_tPvRmT3_T4_T5_T6_T7_T9_mT8_P12ihipStream_tbDpT10_ENKUlT_T0_E_clISt17integral_constantIbLb1EES1C_EEDaS17_S18_EUlS17_E_NS1_11comp_targetILNS1_3genE4ELNS1_11target_archE910ELNS1_3gpuE8ELNS1_3repE0EEENS1_30default_config_static_selectorELNS0_4arch9wavefront6targetE1EEEvT1_,comdat
	.protected	_ZN7rocprim17ROCPRIM_400000_NS6detail17trampoline_kernelINS0_14default_configENS1_25partition_config_selectorILNS1_17partition_subalgoE3EN6thrust23THRUST_200600_302600_NS5tupleIxxNS7_9null_typeES9_S9_S9_S9_S9_S9_S9_EENS0_10empty_typeEbEEZZNS1_14partition_implILS5_3ELb0ES3_jNS7_6detail15normal_iteratorINS7_7pointerISA_NS7_11hip_rocprim3tagENS7_11use_defaultESJ_EEEEPSB_SM_NS0_5tupleIJPSA_SM_EEENSN_IJSM_SM_EEESB_PlJ10is_orderedEEE10hipError_tPvRmT3_T4_T5_T6_T7_T9_mT8_P12ihipStream_tbDpT10_ENKUlT_T0_E_clISt17integral_constantIbLb1EES1C_EEDaS17_S18_EUlS17_E_NS1_11comp_targetILNS1_3genE4ELNS1_11target_archE910ELNS1_3gpuE8ELNS1_3repE0EEENS1_30default_config_static_selectorELNS0_4arch9wavefront6targetE1EEEvT1_ ; -- Begin function _ZN7rocprim17ROCPRIM_400000_NS6detail17trampoline_kernelINS0_14default_configENS1_25partition_config_selectorILNS1_17partition_subalgoE3EN6thrust23THRUST_200600_302600_NS5tupleIxxNS7_9null_typeES9_S9_S9_S9_S9_S9_S9_EENS0_10empty_typeEbEEZZNS1_14partition_implILS5_3ELb0ES3_jNS7_6detail15normal_iteratorINS7_7pointerISA_NS7_11hip_rocprim3tagENS7_11use_defaultESJ_EEEEPSB_SM_NS0_5tupleIJPSA_SM_EEENSN_IJSM_SM_EEESB_PlJ10is_orderedEEE10hipError_tPvRmT3_T4_T5_T6_T7_T9_mT8_P12ihipStream_tbDpT10_ENKUlT_T0_E_clISt17integral_constantIbLb1EES1C_EEDaS17_S18_EUlS17_E_NS1_11comp_targetILNS1_3genE4ELNS1_11target_archE910ELNS1_3gpuE8ELNS1_3repE0EEENS1_30default_config_static_selectorELNS0_4arch9wavefront6targetE1EEEvT1_
	.globl	_ZN7rocprim17ROCPRIM_400000_NS6detail17trampoline_kernelINS0_14default_configENS1_25partition_config_selectorILNS1_17partition_subalgoE3EN6thrust23THRUST_200600_302600_NS5tupleIxxNS7_9null_typeES9_S9_S9_S9_S9_S9_S9_EENS0_10empty_typeEbEEZZNS1_14partition_implILS5_3ELb0ES3_jNS7_6detail15normal_iteratorINS7_7pointerISA_NS7_11hip_rocprim3tagENS7_11use_defaultESJ_EEEEPSB_SM_NS0_5tupleIJPSA_SM_EEENSN_IJSM_SM_EEESB_PlJ10is_orderedEEE10hipError_tPvRmT3_T4_T5_T6_T7_T9_mT8_P12ihipStream_tbDpT10_ENKUlT_T0_E_clISt17integral_constantIbLb1EES1C_EEDaS17_S18_EUlS17_E_NS1_11comp_targetILNS1_3genE4ELNS1_11target_archE910ELNS1_3gpuE8ELNS1_3repE0EEENS1_30default_config_static_selectorELNS0_4arch9wavefront6targetE1EEEvT1_
	.p2align	8
	.type	_ZN7rocprim17ROCPRIM_400000_NS6detail17trampoline_kernelINS0_14default_configENS1_25partition_config_selectorILNS1_17partition_subalgoE3EN6thrust23THRUST_200600_302600_NS5tupleIxxNS7_9null_typeES9_S9_S9_S9_S9_S9_S9_EENS0_10empty_typeEbEEZZNS1_14partition_implILS5_3ELb0ES3_jNS7_6detail15normal_iteratorINS7_7pointerISA_NS7_11hip_rocprim3tagENS7_11use_defaultESJ_EEEEPSB_SM_NS0_5tupleIJPSA_SM_EEENSN_IJSM_SM_EEESB_PlJ10is_orderedEEE10hipError_tPvRmT3_T4_T5_T6_T7_T9_mT8_P12ihipStream_tbDpT10_ENKUlT_T0_E_clISt17integral_constantIbLb1EES1C_EEDaS17_S18_EUlS17_E_NS1_11comp_targetILNS1_3genE4ELNS1_11target_archE910ELNS1_3gpuE8ELNS1_3repE0EEENS1_30default_config_static_selectorELNS0_4arch9wavefront6targetE1EEEvT1_,@function
_ZN7rocprim17ROCPRIM_400000_NS6detail17trampoline_kernelINS0_14default_configENS1_25partition_config_selectorILNS1_17partition_subalgoE3EN6thrust23THRUST_200600_302600_NS5tupleIxxNS7_9null_typeES9_S9_S9_S9_S9_S9_S9_EENS0_10empty_typeEbEEZZNS1_14partition_implILS5_3ELb0ES3_jNS7_6detail15normal_iteratorINS7_7pointerISA_NS7_11hip_rocprim3tagENS7_11use_defaultESJ_EEEEPSB_SM_NS0_5tupleIJPSA_SM_EEENSN_IJSM_SM_EEESB_PlJ10is_orderedEEE10hipError_tPvRmT3_T4_T5_T6_T7_T9_mT8_P12ihipStream_tbDpT10_ENKUlT_T0_E_clISt17integral_constantIbLb1EES1C_EEDaS17_S18_EUlS17_E_NS1_11comp_targetILNS1_3genE4ELNS1_11target_archE910ELNS1_3gpuE8ELNS1_3repE0EEENS1_30default_config_static_selectorELNS0_4arch9wavefront6targetE1EEEvT1_: ; @_ZN7rocprim17ROCPRIM_400000_NS6detail17trampoline_kernelINS0_14default_configENS1_25partition_config_selectorILNS1_17partition_subalgoE3EN6thrust23THRUST_200600_302600_NS5tupleIxxNS7_9null_typeES9_S9_S9_S9_S9_S9_S9_EENS0_10empty_typeEbEEZZNS1_14partition_implILS5_3ELb0ES3_jNS7_6detail15normal_iteratorINS7_7pointerISA_NS7_11hip_rocprim3tagENS7_11use_defaultESJ_EEEEPSB_SM_NS0_5tupleIJPSA_SM_EEENSN_IJSM_SM_EEESB_PlJ10is_orderedEEE10hipError_tPvRmT3_T4_T5_T6_T7_T9_mT8_P12ihipStream_tbDpT10_ENKUlT_T0_E_clISt17integral_constantIbLb1EES1C_EEDaS17_S18_EUlS17_E_NS1_11comp_targetILNS1_3genE4ELNS1_11target_archE910ELNS1_3gpuE8ELNS1_3repE0EEENS1_30default_config_static_selectorELNS0_4arch9wavefront6targetE1EEEvT1_
; %bb.0:
	s_load_dwordx2 s[28:29], s[4:5], 0x28
	s_load_dwordx4 s[20:23], s[4:5], 0x48
	s_load_dwordx2 s[30:31], s[4:5], 0x58
	s_load_dwordx2 s[34:35], s[4:5], 0x68
	v_cmp_eq_u32_e64 s[0:1], 0, v0
	s_and_saveexec_b64 s[2:3], s[0:1]
	s_cbranch_execz .LBB3465_4
; %bb.1:
	s_mov_b64 s[8:9], exec
	v_mbcnt_lo_u32_b32 v1, s8, 0
	v_mbcnt_hi_u32_b32 v1, s9, v1
	v_cmp_eq_u32_e32 vcc, 0, v1
                                        ; implicit-def: $vgpr2
	s_and_saveexec_b64 s[6:7], vcc
	s_cbranch_execz .LBB3465_3
; %bb.2:
	s_load_dwordx2 s[10:11], s[4:5], 0x78
	s_bcnt1_i32_b64 s8, s[8:9]
	v_mov_b32_e32 v2, 0
	v_mov_b32_e32 v3, s8
	s_waitcnt lgkmcnt(0)
	global_atomic_add v2, v2, v3, s[10:11] glc
.LBB3465_3:
	s_or_b64 exec, exec, s[6:7]
	s_waitcnt vmcnt(0)
	v_readfirstlane_b32 s6, v2
	v_add_u32_e32 v1, s6, v1
	v_mov_b32_e32 v2, 0
	ds_write_b32 v2, v1
.LBB3465_4:
	s_or_b64 exec, exec, s[2:3]
	v_mov_b32_e32 v15, 0
	s_load_dwordx4 s[24:27], s[4:5], 0x8
	s_load_dword s2, s[4:5], 0x70
	s_waitcnt lgkmcnt(0)
	s_barrier
	ds_read_b32 v1, v15
	s_waitcnt lgkmcnt(0)
	s_barrier
	global_load_dwordx2 v[16:17], v15, s[22:23]
	s_lshl_b64 s[4:5], s[26:27], 4
	s_add_u32 s6, s24, s4
	s_addc_u32 s7, s25, s5
	s_add_i32 s4, s2, -1
	s_mulk_i32 s2, 0x300
	s_add_i32 s3, s2, s26
	s_sub_i32 s33, s30, s3
	s_addk_i32 s33, 0x300
	s_add_u32 s2, s26, s2
	v_readfirstlane_b32 s42, v1
	s_addc_u32 s3, s27, 0
	s_movk_i32 s8, 0x300
	s_cmp_eq_u32 s42, s4
	s_cselect_b64 s[22:23], -1, 0
	s_cmp_lg_u32 s42, s4
	v_mul_lo_u32 v14, v1, s8
	v_pk_mov_b32 v[2:3], s[30:31], s[30:31] op_sel:[0,1]
	s_cselect_b64 s[4:5], -1, 0
	v_cmp_lt_u64_e32 vcc, s[2:3], v[2:3]
	v_lshlrev_b64 v[2:3], 4, v[14:15]
	s_or_b64 s[4:5], vcc, s[4:5]
	v_mov_b32_e32 v1, s7
	v_add_co_u32_e32 v15, vcc, s6, v2
	v_addc_co_u32_e32 v18, vcc, v1, v3, vcc
	s_mov_b64 s[2:3], -1
	s_and_b64 vcc, exec, s[4:5]
	v_lshlrev_b32_e32 v1, 4, v0
	s_cbranch_vccz .LBB3465_6
; %bb.5:
	v_add_co_u32_e32 v10, vcc, v15, v1
	v_addc_co_u32_e32 v11, vcc, 0, v18, vcc
	v_add_co_u32_e32 v12, vcc, 0x1000, v10
	v_addc_co_u32_e32 v13, vcc, 0, v11, vcc
	flat_load_dwordx4 v[2:5], v[10:11]
	flat_load_dwordx4 v[6:9], v[12:13]
	v_add_co_u32_e32 v10, vcc, 0x2000, v10
	v_addc_co_u32_e32 v11, vcc, 0, v11, vcc
	flat_load_dwordx4 v[10:13], v[10:11]
	s_mov_b64 s[2:3], 0
	s_waitcnt vmcnt(0) lgkmcnt(0)
	ds_write_b128 v1, v[2:5]
	ds_write_b128 v1, v[6:9] offset:4096
	ds_write_b128 v1, v[10:13] offset:8192
	s_waitcnt lgkmcnt(0)
	s_barrier
.LBB3465_6:
	s_andn2_b64 vcc, exec, s[2:3]
	v_cmp_gt_u32_e64 s[2:3], s33, v0
	s_cbranch_vccnz .LBB3465_14
; %bb.7:
	v_pk_mov_b32 v[4:5], 0, 0
	v_pk_mov_b32 v[8:9], v[4:5], v[4:5] op_sel:[0,1]
	v_pk_mov_b32 v[6:7], v[4:5], v[4:5] op_sel:[0,1]
	s_and_saveexec_b64 s[6:7], s[2:3]
	s_cbranch_execz .LBB3465_9
; %bb.8:
	v_add_co_u32_e32 v2, vcc, v15, v1
	v_addc_co_u32_e32 v3, vcc, 0, v18, vcc
	flat_load_dwordx4 v[6:9], v[2:3]
.LBB3465_9:
	s_or_b64 exec, exec, s[6:7]
	v_or_b32_e32 v10, 0x100, v0
	v_cmp_gt_u32_e32 vcc, s33, v10
	v_pk_mov_b32 v[2:3], v[4:5], v[4:5] op_sel:[0,1]
	s_and_saveexec_b64 s[2:3], vcc
	s_cbranch_execz .LBB3465_11
; %bb.10:
	v_lshlrev_b32_e32 v2, 4, v10
	v_add_co_u32_e32 v2, vcc, v15, v2
	v_addc_co_u32_e32 v3, vcc, 0, v18, vcc
	flat_load_dwordx4 v[2:5], v[2:3]
.LBB3465_11:
	s_or_b64 exec, exec, s[2:3]
	v_or_b32_e32 v19, 0x200, v0
	v_pk_mov_b32 v[12:13], 0, 0
	v_cmp_gt_u32_e32 vcc, s33, v19
	v_pk_mov_b32 v[10:11], v[12:13], v[12:13] op_sel:[0,1]
	s_and_saveexec_b64 s[2:3], vcc
	s_cbranch_execz .LBB3465_13
; %bb.12:
	v_lshlrev_b32_e32 v10, 4, v19
	v_add_co_u32_e32 v10, vcc, v15, v10
	v_addc_co_u32_e32 v11, vcc, 0, v18, vcc
	flat_load_dwordx4 v[10:13], v[10:11]
.LBB3465_13:
	s_or_b64 exec, exec, s[2:3]
	s_waitcnt vmcnt(0) lgkmcnt(0)
	ds_write_b128 v1, v[6:9]
	ds_write_b128 v1, v[2:5] offset:4096
	ds_write_b128 v1, v[10:13] offset:8192
	s_waitcnt lgkmcnt(0)
	s_barrier
.LBB3465_14:
	v_mul_u32_u24_e32 v15, 3, v0
	v_lshlrev_b32_e32 v29, 4, v15
	ds_read_b128 v[10:13], v29
	ds_read_b128 v[6:9], v29 offset:16
	ds_read_b128 v[2:5], v29 offset:32
	v_cndmask_b32_e64 v18, 0, 1, s[4:5]
	v_cmp_ne_u32_e64 s[2:3], 1, v18
	s_andn2_b64 vcc, exec, s[4:5]
	s_waitcnt lgkmcnt(2)
	v_cmp_le_i64_e64 s[6:7], v[10:11], v[12:13]
	s_waitcnt lgkmcnt(1)
	v_cmp_le_i64_e64 s[8:9], v[6:7], v[8:9]
	s_waitcnt lgkmcnt(0)
	v_cmp_le_i64_e64 s[4:5], v[2:3], v[4:5]
	s_barrier
	s_cbranch_vccnz .LBB3465_16
; %bb.15:
	v_cndmask_b32_e64 v19, 0, 1, s[8:9]
	v_cndmask_b32_e64 v18, 0, 1, s[6:7]
	v_lshlrev_b16_e32 v19, 8, v19
	v_or_b32_e32 v18, v18, v19
	v_and_b32_e32 v28, 0xffff, v18
	s_and_b64 s[24:25], s[4:5], exec
	s_cbranch_execz .LBB3465_17
	s_branch .LBB3465_18
.LBB3465_16:
                                        ; implicit-def: $sgpr24_sgpr25
                                        ; implicit-def: $vgpr28
.LBB3465_17:
	v_cmp_gt_u32_e32 vcc, s33, v15
	v_cmp_le_i64_e64 s[4:5], v[10:11], v[12:13]
	v_add_u32_e32 v18, 1, v15
	s_and_b64 s[4:5], vcc, s[4:5]
	v_cndmask_b32_e64 v20, 0, 1, s[4:5]
	v_cmp_gt_u32_e32 vcc, s33, v18
	v_cmp_le_i64_e64 s[4:5], v[6:7], v[8:9]
	v_add_u32_e32 v19, 2, v15
	s_and_b64 s[4:5], vcc, s[4:5]
	v_cndmask_b32_e64 v18, 0, 1, s[4:5]
	v_cmp_gt_u32_e32 vcc, s33, v19
	v_cmp_le_i64_e64 s[4:5], v[2:3], v[4:5]
	v_lshlrev_b16_e32 v18, 8, v18
	s_and_b64 s[4:5], vcc, s[4:5]
	v_or_b32_e32 v18, v20, v18
	s_andn2_b64 s[6:7], s[24:25], exec
	s_and_b64 s[4:5], s[4:5], exec
	v_and_b32_e32 v28, 0xffff, v18
	s_or_b64 s[24:25], s[6:7], s[4:5]
.LBB3465_18:
	v_and_b32_e32 v30, 0xff, v28
	v_bfe_u32 v31, v28, 8, 8
	v_cndmask_b32_e64 v18, 0, 1, s[24:25]
	v_add3_u32 v34, v30, v18, v31
	v_mbcnt_lo_u32_b32 v18, -1, 0
	v_mbcnt_hi_u32_b32 v32, -1, v18
	v_and_b32_e32 v18, 15, v32
	v_cmp_eq_u32_e64 s[16:17], 0, v18
	v_cmp_lt_u32_e64 s[14:15], 1, v18
	v_cmp_lt_u32_e64 s[12:13], 3, v18
	v_cmp_lt_u32_e64 s[10:11], 7, v18
	v_and_b32_e32 v18, 16, v32
	v_cmp_eq_u32_e64 s[8:9], 0, v18
	v_or_b32_e32 v18, 63, v0
	s_cmp_lg_u32 s42, 0
	v_cmp_lt_u32_e64 s[4:5], 31, v32
	v_lshrrev_b32_e32 v33, 6, v0
	v_cmp_eq_u32_e64 s[6:7], v18, v0
	s_cbranch_scc0 .LBB3465_49
; %bb.19:
	v_mov_b32_dpp v18, v34 row_shr:1 row_mask:0xf bank_mask:0xf
	v_cndmask_b32_e64 v18, v18, 0, s[16:17]
	v_add_u32_e32 v18, v18, v34
	s_nop 1
	v_mov_b32_dpp v19, v18 row_shr:2 row_mask:0xf bank_mask:0xf
	v_cndmask_b32_e64 v19, 0, v19, s[14:15]
	v_add_u32_e32 v18, v18, v19
	s_nop 1
	;; [unrolled: 4-line block ×4, first 2 shown]
	v_mov_b32_dpp v19, v18 row_bcast:15 row_mask:0xf bank_mask:0xf
	v_cndmask_b32_e64 v19, v19, 0, s[8:9]
	v_add_u32_e32 v18, v18, v19
	s_nop 1
	v_mov_b32_dpp v19, v18 row_bcast:31 row_mask:0xf bank_mask:0xf
	v_cndmask_b32_e64 v19, 0, v19, s[4:5]
	v_add_u32_e32 v18, v18, v19
	s_and_saveexec_b64 s[18:19], s[6:7]
	s_cbranch_execz .LBB3465_21
; %bb.20:
	v_lshlrev_b32_e32 v19, 2, v33
	ds_write_b32 v19, v18
.LBB3465_21:
	s_or_b64 exec, exec, s[18:19]
	v_cmp_gt_u32_e32 vcc, 4, v0
	s_waitcnt lgkmcnt(0)
	s_barrier
	s_and_saveexec_b64 s[18:19], vcc
	s_cbranch_execz .LBB3465_23
; %bb.22:
	v_lshlrev_b32_e32 v19, 2, v0
	ds_read_b32 v20, v19
	v_and_b32_e32 v21, 3, v32
	v_cmp_ne_u32_e32 vcc, 0, v21
	s_waitcnt lgkmcnt(0)
	v_mov_b32_dpp v22, v20 row_shr:1 row_mask:0xf bank_mask:0xf
	v_cndmask_b32_e32 v22, 0, v22, vcc
	v_add_u32_e32 v20, v22, v20
	v_cmp_lt_u32_e32 vcc, 1, v21
	s_nop 0
	v_mov_b32_dpp v22, v20 row_shr:2 row_mask:0xf bank_mask:0xf
	v_cndmask_b32_e32 v21, 0, v22, vcc
	v_add_u32_e32 v20, v20, v21
	ds_write_b32 v19, v20
.LBB3465_23:
	s_or_b64 exec, exec, s[18:19]
	v_cmp_gt_u32_e32 vcc, 64, v0
	v_cmp_lt_u32_e64 s[18:19], 63, v0
	s_waitcnt lgkmcnt(0)
	s_barrier
	s_waitcnt lgkmcnt(0)
                                        ; implicit-def: $vgpr35
	s_and_saveexec_b64 s[36:37], s[18:19]
	s_cbranch_execz .LBB3465_25
; %bb.24:
	v_lshl_add_u32 v19, v33, 2, -4
	ds_read_b32 v35, v19
	s_waitcnt lgkmcnt(0)
	v_add_u32_e32 v18, v35, v18
.LBB3465_25:
	s_or_b64 exec, exec, s[36:37]
	v_add_u32_e32 v19, -1, v32
	v_and_b32_e32 v20, 64, v32
	v_cmp_lt_i32_e64 s[18:19], v19, v20
	v_cndmask_b32_e64 v19, v19, v32, s[18:19]
	v_lshlrev_b32_e32 v19, 2, v19
	ds_bpermute_b32 v36, v19, v18
	v_cmp_eq_u32_e64 s[18:19], 0, v32
	s_and_saveexec_b64 s[36:37], vcc
	s_cbranch_execz .LBB3465_48
; %bb.26:
	v_mov_b32_e32 v27, 0
	ds_read_b32 v18, v27 offset:12
	s_and_saveexec_b64 s[38:39], s[18:19]
	s_cbranch_execz .LBB3465_28
; %bb.27:
	s_add_i32 s40, s42, 64
	s_mov_b32 s41, 0
	s_lshl_b64 s[40:41], s[40:41], 3
	s_add_u32 s40, s34, s40
	v_mov_b32_e32 v19, 1
	s_addc_u32 s41, s35, s41
	s_waitcnt lgkmcnt(0)
	global_store_dwordx2 v27, v[18:19], s[40:41]
.LBB3465_28:
	s_or_b64 exec, exec, s[38:39]
	v_xad_u32 v20, v32, -1, s42
	v_add_u32_e32 v26, 64, v20
	v_lshlrev_b64 v[22:23], 3, v[26:27]
	v_mov_b32_e32 v19, s35
	v_add_co_u32_e32 v22, vcc, s34, v22
	v_addc_co_u32_e32 v23, vcc, v19, v23, vcc
	global_load_dwordx2 v[24:25], v[22:23], off glc
	s_waitcnt vmcnt(0)
	v_cmp_eq_u16_sdwa s[40:41], v25, v27 src0_sel:BYTE_0 src1_sel:DWORD
	s_and_saveexec_b64 s[38:39], s[40:41]
	s_cbranch_execz .LBB3465_34
; %bb.29:
	s_mov_b32 s43, 1
	s_mov_b64 s[40:41], 0
	v_mov_b32_e32 v19, 0
.LBB3465_30:                            ; =>This Loop Header: Depth=1
                                        ;     Child Loop BB3465_31 Depth 2
	s_max_u32 s44, s43, 1
.LBB3465_31:                            ;   Parent Loop BB3465_30 Depth=1
                                        ; =>  This Inner Loop Header: Depth=2
	s_add_i32 s44, s44, -1
	s_cmp_eq_u32 s44, 0
	s_sleep 1
	s_cbranch_scc0 .LBB3465_31
; %bb.32:                               ;   in Loop: Header=BB3465_30 Depth=1
	global_load_dwordx2 v[24:25], v[22:23], off glc
	s_cmp_lt_u32 s43, 32
	s_cselect_b64 s[44:45], -1, 0
	s_cmp_lg_u64 s[44:45], 0
	s_addc_u32 s43, s43, 0
	s_waitcnt vmcnt(0)
	v_cmp_ne_u16_sdwa s[44:45], v25, v19 src0_sel:BYTE_0 src1_sel:DWORD
	s_or_b64 s[40:41], s[44:45], s[40:41]
	s_andn2_b64 exec, exec, s[40:41]
	s_cbranch_execnz .LBB3465_30
; %bb.33:
	s_or_b64 exec, exec, s[40:41]
.LBB3465_34:
	s_or_b64 exec, exec, s[38:39]
	v_and_b32_e32 v38, 63, v32
	v_mov_b32_e32 v37, 2
	v_cmp_ne_u32_e32 vcc, 63, v38
	v_cmp_eq_u16_sdwa s[38:39], v25, v37 src0_sel:BYTE_0 src1_sel:DWORD
	v_lshlrev_b64 v[22:23], v32, -1
	v_addc_co_u32_e32 v26, vcc, 0, v32, vcc
	v_and_b32_e32 v19, s39, v23
	v_lshlrev_b32_e32 v39, 2, v26
	v_or_b32_e32 v19, 0x80000000, v19
	ds_bpermute_b32 v26, v39, v24
	v_and_b32_e32 v21, s38, v22
	v_ffbl_b32_e32 v19, v19
	v_add_u32_e32 v19, 32, v19
	v_ffbl_b32_e32 v21, v21
	v_min_u32_e32 v19, v21, v19
	v_cmp_lt_u32_e32 vcc, v38, v19
	s_waitcnt lgkmcnt(0)
	v_cndmask_b32_e32 v21, 0, v26, vcc
	v_cmp_gt_u32_e32 vcc, 62, v38
	v_add_u32_e32 v21, v21, v24
	v_cndmask_b32_e64 v24, 0, 1, vcc
	v_lshlrev_b32_e32 v24, 1, v24
	v_add_lshl_u32 v40, v24, v32, 2
	ds_bpermute_b32 v24, v40, v21
	v_add_u32_e32 v41, 2, v38
	v_cmp_le_u32_e32 vcc, v41, v19
	v_add_u32_e32 v43, 4, v38
	v_add_u32_e32 v45, 8, v38
	s_waitcnt lgkmcnt(0)
	v_cndmask_b32_e32 v24, 0, v24, vcc
	v_cmp_gt_u32_e32 vcc, 60, v38
	v_add_u32_e32 v21, v21, v24
	v_cndmask_b32_e64 v24, 0, 1, vcc
	v_lshlrev_b32_e32 v24, 2, v24
	v_add_lshl_u32 v42, v24, v32, 2
	ds_bpermute_b32 v24, v42, v21
	v_cmp_le_u32_e32 vcc, v43, v19
	v_add_u32_e32 v47, 16, v38
	v_add_u32_e32 v49, 32, v38
	s_waitcnt lgkmcnt(0)
	v_cndmask_b32_e32 v24, 0, v24, vcc
	v_cmp_gt_u32_e32 vcc, 56, v38
	v_add_u32_e32 v21, v21, v24
	v_cndmask_b32_e64 v24, 0, 1, vcc
	v_lshlrev_b32_e32 v24, 3, v24
	v_add_lshl_u32 v44, v24, v32, 2
	ds_bpermute_b32 v24, v44, v21
	v_cmp_le_u32_e32 vcc, v45, v19
	s_waitcnt lgkmcnt(0)
	v_cndmask_b32_e32 v24, 0, v24, vcc
	v_cmp_gt_u32_e32 vcc, 48, v38
	v_add_u32_e32 v21, v21, v24
	v_cndmask_b32_e64 v24, 0, 1, vcc
	v_lshlrev_b32_e32 v24, 4, v24
	v_add_lshl_u32 v46, v24, v32, 2
	ds_bpermute_b32 v24, v46, v21
	v_cmp_le_u32_e32 vcc, v47, v19
	;; [unrolled: 9-line block ×3, first 2 shown]
	s_waitcnt lgkmcnt(0)
	v_cndmask_b32_e32 v19, 0, v24, vcc
	v_add_u32_e32 v24, v21, v19
	v_mov_b32_e32 v21, 0
	s_branch .LBB3465_36
.LBB3465_35:                            ;   in Loop: Header=BB3465_36 Depth=1
	s_or_b64 exec, exec, s[38:39]
	v_cmp_eq_u16_sdwa s[38:39], v25, v37 src0_sel:BYTE_0 src1_sel:DWORD
	v_and_b32_e32 v26, s39, v23
	v_or_b32_e32 v26, 0x80000000, v26
	ds_bpermute_b32 v50, v39, v24
	v_and_b32_e32 v27, s38, v22
	v_ffbl_b32_e32 v26, v26
	v_add_u32_e32 v26, 32, v26
	v_ffbl_b32_e32 v27, v27
	v_min_u32_e32 v26, v27, v26
	v_cmp_lt_u32_e32 vcc, v38, v26
	s_waitcnt lgkmcnt(0)
	v_cndmask_b32_e32 v27, 0, v50, vcc
	v_add_u32_e32 v24, v27, v24
	ds_bpermute_b32 v27, v40, v24
	v_cmp_le_u32_e32 vcc, v41, v26
	v_subrev_u32_e32 v20, 64, v20
	s_waitcnt lgkmcnt(0)
	v_cndmask_b32_e32 v27, 0, v27, vcc
	v_add_u32_e32 v24, v24, v27
	ds_bpermute_b32 v27, v42, v24
	v_cmp_le_u32_e32 vcc, v43, v26
	s_waitcnt lgkmcnt(0)
	v_cndmask_b32_e32 v27, 0, v27, vcc
	v_add_u32_e32 v24, v24, v27
	ds_bpermute_b32 v27, v44, v24
	v_cmp_le_u32_e32 vcc, v45, v26
	;; [unrolled: 5-line block ×4, first 2 shown]
	s_waitcnt lgkmcnt(0)
	v_cndmask_b32_e32 v26, 0, v27, vcc
	v_add3_u32 v24, v26, v19, v24
.LBB3465_36:                            ; =>This Loop Header: Depth=1
                                        ;     Child Loop BB3465_39 Depth 2
                                        ;       Child Loop BB3465_40 Depth 3
	v_cmp_ne_u16_sdwa s[38:39], v25, v37 src0_sel:BYTE_0 src1_sel:DWORD
	v_cndmask_b32_e64 v19, 0, 1, s[38:39]
	;;#ASMSTART
	;;#ASMEND
	v_cmp_ne_u32_e32 vcc, 0, v19
	s_cmp_lg_u64 vcc, exec
	v_mov_b32_e32 v19, v24
	s_cbranch_scc1 .LBB3465_43
; %bb.37:                               ;   in Loop: Header=BB3465_36 Depth=1
	v_lshlrev_b64 v[24:25], 3, v[20:21]
	v_mov_b32_e32 v27, s35
	v_add_co_u32_e32 v26, vcc, s34, v24
	v_addc_co_u32_e32 v27, vcc, v27, v25, vcc
	global_load_dwordx2 v[24:25], v[26:27], off glc
	s_waitcnt vmcnt(0)
	v_cmp_eq_u16_sdwa s[40:41], v25, v21 src0_sel:BYTE_0 src1_sel:DWORD
	s_and_saveexec_b64 s[38:39], s[40:41]
	s_cbranch_execz .LBB3465_35
; %bb.38:                               ;   in Loop: Header=BB3465_36 Depth=1
	s_mov_b32 s43, 1
	s_mov_b64 s[40:41], 0
.LBB3465_39:                            ;   Parent Loop BB3465_36 Depth=1
                                        ; =>  This Loop Header: Depth=2
                                        ;       Child Loop BB3465_40 Depth 3
	s_max_u32 s44, s43, 1
.LBB3465_40:                            ;   Parent Loop BB3465_36 Depth=1
                                        ;     Parent Loop BB3465_39 Depth=2
                                        ; =>    This Inner Loop Header: Depth=3
	s_add_i32 s44, s44, -1
	s_cmp_eq_u32 s44, 0
	s_sleep 1
	s_cbranch_scc0 .LBB3465_40
; %bb.41:                               ;   in Loop: Header=BB3465_39 Depth=2
	global_load_dwordx2 v[24:25], v[26:27], off glc
	s_cmp_lt_u32 s43, 32
	s_cselect_b64 s[44:45], -1, 0
	s_cmp_lg_u64 s[44:45], 0
	s_addc_u32 s43, s43, 0
	s_waitcnt vmcnt(0)
	v_cmp_ne_u16_sdwa s[44:45], v25, v21 src0_sel:BYTE_0 src1_sel:DWORD
	s_or_b64 s[40:41], s[44:45], s[40:41]
	s_andn2_b64 exec, exec, s[40:41]
	s_cbranch_execnz .LBB3465_39
; %bb.42:                               ;   in Loop: Header=BB3465_36 Depth=1
	s_or_b64 exec, exec, s[40:41]
	s_branch .LBB3465_35
.LBB3465_43:                            ;   in Loop: Header=BB3465_36 Depth=1
                                        ; implicit-def: $vgpr24
                                        ; implicit-def: $vgpr25
	s_cbranch_execz .LBB3465_36
; %bb.44:
	s_and_saveexec_b64 s[38:39], s[18:19]
	s_cbranch_execz .LBB3465_46
; %bb.45:
	s_add_i32 s40, s42, 64
	s_mov_b32 s41, 0
	s_lshl_b64 s[40:41], s[40:41], 3
	s_add_u32 s40, s34, s40
	v_add_u32_e32 v20, v19, v18
	v_mov_b32_e32 v21, 2
	s_addc_u32 s41, s35, s41
	v_mov_b32_e32 v22, 0
	global_store_dwordx2 v22, v[20:21], s[40:41]
	ds_write_b64 v22, v[18:19] offset:12288
.LBB3465_46:
	s_or_b64 exec, exec, s[38:39]
	s_and_b64 exec, exec, s[0:1]
	s_cbranch_execz .LBB3465_48
; %bb.47:
	v_mov_b32_e32 v18, 0
	ds_write_b32 v18, v19 offset:12
.LBB3465_48:
	s_or_b64 exec, exec, s[36:37]
	v_mov_b32_e32 v19, 0
	s_waitcnt lgkmcnt(0)
	s_barrier
	ds_read_b32 v20, v19 offset:12
	v_cndmask_b32_e64 v18, v36, v35, s[18:19]
	v_cndmask_b32_e64 v21, v18, 0, s[0:1]
	s_waitcnt lgkmcnt(0)
	s_barrier
	ds_read_b64 v[18:19], v19 offset:12288
	v_add_u32_e32 v22, v20, v21
	v_add_u32_e32 v21, v22, v30
	;; [unrolled: 1-line block ×3, first 2 shown]
	s_branch .LBB3465_59
.LBB3465_49:
                                        ; implicit-def: $vgpr19
                                        ; implicit-def: $vgpr20
                                        ; implicit-def: $vgpr21
                                        ; implicit-def: $vgpr22
	s_cbranch_execz .LBB3465_59
; %bb.50:
	s_waitcnt lgkmcnt(0)
	v_mov_b32_dpp v18, v34 row_shr:1 row_mask:0xf bank_mask:0xf
	v_cndmask_b32_e64 v18, v18, 0, s[16:17]
	v_add_u32_e32 v18, v18, v34
	s_nop 1
	v_mov_b32_dpp v19, v18 row_shr:2 row_mask:0xf bank_mask:0xf
	v_cndmask_b32_e64 v19, 0, v19, s[14:15]
	v_add_u32_e32 v18, v18, v19
	s_nop 1
	;; [unrolled: 4-line block ×4, first 2 shown]
	v_mov_b32_dpp v19, v18 row_bcast:15 row_mask:0xf bank_mask:0xf
	v_cndmask_b32_e64 v19, v19, 0, s[8:9]
	v_add_u32_e32 v18, v18, v19
	s_nop 1
	v_mov_b32_dpp v19, v18 row_bcast:31 row_mask:0xf bank_mask:0xf
	v_cndmask_b32_e64 v19, 0, v19, s[4:5]
	v_add_u32_e32 v18, v18, v19
	s_and_saveexec_b64 s[4:5], s[6:7]
	s_cbranch_execz .LBB3465_52
; %bb.51:
	v_lshlrev_b32_e32 v19, 2, v33
	ds_write_b32 v19, v18
.LBB3465_52:
	s_or_b64 exec, exec, s[4:5]
	v_cmp_gt_u32_e32 vcc, 4, v0
	s_waitcnt lgkmcnt(0)
	s_barrier
	s_and_saveexec_b64 s[4:5], vcc
	s_cbranch_execz .LBB3465_54
; %bb.53:
	s_movk_i32 s6, 0xffd4
	v_mad_i32_i24 v19, v0, s6, v29
	ds_read_b32 v20, v19
	v_and_b32_e32 v21, 3, v32
	v_cmp_ne_u32_e32 vcc, 0, v21
	s_waitcnt lgkmcnt(0)
	v_mov_b32_dpp v22, v20 row_shr:1 row_mask:0xf bank_mask:0xf
	v_cndmask_b32_e32 v22, 0, v22, vcc
	v_add_u32_e32 v20, v22, v20
	v_cmp_lt_u32_e32 vcc, 1, v21
	s_nop 0
	v_mov_b32_dpp v22, v20 row_shr:2 row_mask:0xf bank_mask:0xf
	v_cndmask_b32_e32 v21, 0, v22, vcc
	v_add_u32_e32 v20, v20, v21
	ds_write_b32 v19, v20
.LBB3465_54:
	s_or_b64 exec, exec, s[4:5]
	v_cmp_lt_u32_e32 vcc, 63, v0
	v_mov_b32_e32 v19, 0
	v_mov_b32_e32 v20, 0
	s_waitcnt lgkmcnt(0)
	s_barrier
	s_and_saveexec_b64 s[4:5], vcc
	s_cbranch_execz .LBB3465_56
; %bb.55:
	v_lshl_add_u32 v20, v33, 2, -4
	ds_read_b32 v20, v20
.LBB3465_56:
	s_or_b64 exec, exec, s[4:5]
	v_add_u32_e32 v21, -1, v32
	v_and_b32_e32 v22, 64, v32
	v_cmp_lt_i32_e32 vcc, v21, v22
	v_cndmask_b32_e32 v21, v21, v32, vcc
	s_waitcnt lgkmcnt(0)
	v_add_u32_e32 v18, v20, v18
	v_lshlrev_b32_e32 v21, 2, v21
	ds_bpermute_b32 v21, v21, v18
	ds_read_b32 v18, v19 offset:12
	s_and_saveexec_b64 s[4:5], s[0:1]
	s_cbranch_execz .LBB3465_58
; %bb.57:
	v_mov_b32_e32 v22, 0
	v_mov_b32_e32 v19, 2
	s_waitcnt lgkmcnt(0)
	global_store_dwordx2 v22, v[18:19], s[34:35] offset:512
.LBB3465_58:
	s_or_b64 exec, exec, s[4:5]
	v_cmp_eq_u32_e32 vcc, 0, v32
	s_waitcnt lgkmcnt(1)
	v_cndmask_b32_e32 v20, v21, v20, vcc
	v_cndmask_b32_e64 v22, v20, 0, s[0:1]
	v_add_u32_e32 v21, v22, v30
	v_mov_b32_e32 v19, 0
	v_add_u32_e32 v20, v21, v31
	s_waitcnt lgkmcnt(0)
	s_barrier
.LBB3465_59:
	s_waitcnt lgkmcnt(0)
	v_add_u32_e32 v15, v18, v15
	v_sub_u32_e32 v22, v22, v19
	v_and_b32_e32 v25, 1, v28
	v_sub_u32_e32 v24, v15, v22
	v_cmp_eq_u32_e32 vcc, 1, v25
	v_cndmask_b32_e32 v22, v24, v22, vcc
	v_lshlrev_b32_e32 v22, 4, v22
	v_lshrrev_b32_e32 v23, 8, v28
	ds_write_b128 v22, v[10:13]
	v_sub_u32_e32 v10, v21, v19
	v_sub_u32_e32 v11, v15, v10
	v_and_b32_e32 v12, 1, v23
	v_add_u32_e32 v11, 1, v11
	v_cmp_eq_u32_e32 vcc, 1, v12
	v_cndmask_b32_e32 v10, v11, v10, vcc
	v_lshlrev_b32_e32 v10, 4, v10
	ds_write_b128 v10, v[6:9]
	v_sub_u32_e32 v6, v20, v19
	v_sub_u32_e32 v7, v15, v6
	v_add_u32_e32 v7, 2, v7
	v_cndmask_b32_e64 v6, v7, v6, s[24:25]
	v_lshlrev_b32_e32 v6, 4, v6
	ds_write_b128 v6, v[2:5]
	s_waitcnt lgkmcnt(0)
	s_barrier
	ds_read_b128 v[10:13], v1
	ds_read_b128 v[6:9], v1 offset:4096
	ds_read_b128 v[2:5], v1 offset:8192
	s_waitcnt vmcnt(0)
	v_add_co_u32_e32 v1, vcc, v16, v19
	v_addc_co_u32_e32 v16, vcc, 0, v17, vcc
	v_mov_b32_e32 v15, s27
	v_add_co_u32_e32 v14, vcc, s26, v14
	v_addc_co_u32_e32 v15, vcc, 0, v15, vcc
	v_mov_b32_e32 v17, s31
	v_sub_co_u32_e32 v14, vcc, s30, v14
	v_subb_co_u32_e32 v15, vcc, v17, v15, vcc
	v_add_co_u32_e32 v14, vcc, v14, v18
	v_addc_co_u32_e32 v15, vcc, 0, v15, vcc
	s_and_b64 vcc, exec, s[2:3]
	v_add_co_u32_e64 v17, s[2:3], v14, v1
	v_or_b32_e32 v21, 0x100, v0
	v_or_b32_e32 v20, 0x200, v0
	v_addc_co_u32_e64 v19, s[2:3], v15, v16, s[2:3]
	s_cbranch_vccnz .LBB3465_76
; %bb.60:
	v_cmp_ge_u32_e32 vcc, v0, v18
                                        ; implicit-def: $vgpr14_vgpr15
	s_and_saveexec_b64 s[2:3], vcc
	s_xor_b64 s[2:3], exec, s[2:3]
; %bb.61:
	v_not_b32_e32 v14, v0
	v_ashrrev_i32_e32 v15, 31, v14
	v_add_co_u32_e32 v14, vcc, v17, v14
	v_addc_co_u32_e32 v15, vcc, v19, v15, vcc
; %bb.62:
	s_andn2_saveexec_b64 s[2:3], s[2:3]
; %bb.63:
	v_add_co_u32_e32 v14, vcc, v1, v0
	v_addc_co_u32_e32 v15, vcc, 0, v16, vcc
; %bb.64:
	s_or_b64 exec, exec, s[2:3]
	v_lshlrev_b64 v[14:15], 4, v[14:15]
	v_mov_b32_e32 v22, s29
	v_add_co_u32_e32 v14, vcc, s28, v14
	v_addc_co_u32_e32 v15, vcc, v22, v15, vcc
	v_cmp_ge_u32_e32 vcc, v21, v18
	s_waitcnt lgkmcnt(2)
	global_store_dwordx4 v[14:15], v[10:13], off
                                        ; implicit-def: $vgpr14_vgpr15
	s_and_saveexec_b64 s[2:3], vcc
	s_xor_b64 s[2:3], exec, s[2:3]
; %bb.65:
	v_xor_b32_e32 v14, 0xfffffeff, v0
	v_ashrrev_i32_e32 v15, 31, v14
	v_add_co_u32_e32 v14, vcc, v17, v14
	v_addc_co_u32_e32 v15, vcc, v19, v15, vcc
; %bb.66:
	s_andn2_saveexec_b64 s[2:3], s[2:3]
; %bb.67:
	v_add_co_u32_e32 v14, vcc, v1, v21
	v_addc_co_u32_e32 v15, vcc, 0, v16, vcc
; %bb.68:
	s_or_b64 exec, exec, s[2:3]
	v_lshlrev_b64 v[14:15], 4, v[14:15]
	v_mov_b32_e32 v22, s29
	v_add_co_u32_e32 v14, vcc, s28, v14
	v_addc_co_u32_e32 v15, vcc, v22, v15, vcc
	v_cmp_ge_u32_e32 vcc, v20, v18
	s_waitcnt lgkmcnt(1)
	global_store_dwordx4 v[14:15], v[6:9], off
                                        ; implicit-def: $vgpr14_vgpr15
	s_and_saveexec_b64 s[2:3], vcc
	s_xor_b64 s[2:3], exec, s[2:3]
; %bb.69:
	v_xor_b32_e32 v14, 0xfffffdff, v0
	v_ashrrev_i32_e32 v15, 31, v14
	v_add_co_u32_e32 v14, vcc, v17, v14
	v_addc_co_u32_e32 v15, vcc, v19, v15, vcc
; %bb.70:
	s_andn2_saveexec_b64 s[2:3], s[2:3]
; %bb.71:
	v_add_co_u32_e32 v14, vcc, v1, v20
	v_addc_co_u32_e32 v15, vcc, 0, v16, vcc
; %bb.72:
	s_or_b64 exec, exec, s[2:3]
	s_mov_b64 s[2:3], -1
.LBB3465_73:
	s_and_saveexec_b64 s[4:5], s[2:3]
	s_cbranch_execz .LBB3465_96
.LBB3465_74:
	s_waitcnt lgkmcnt(1)
	v_lshlrev_b64 v[6:7], 4, v[14:15]
	v_mov_b32_e32 v0, s29
	v_add_co_u32_e32 v6, vcc, s28, v6
	v_addc_co_u32_e32 v7, vcc, v0, v7, vcc
	s_waitcnt lgkmcnt(0)
	global_store_dwordx4 v[6:7], v[2:5], off
	s_or_b64 exec, exec, s[4:5]
	s_and_b64 s[0:1], s[0:1], s[22:23]
	s_and_saveexec_b64 s[2:3], s[0:1]
	s_cbranch_execnz .LBB3465_97
.LBB3465_75:
	s_endpgm
.LBB3465_76:
	s_mov_b64 s[2:3], 0
                                        ; implicit-def: $vgpr14_vgpr15
	s_cbranch_execz .LBB3465_73
; %bb.77:
	v_cmp_gt_u32_e32 vcc, s33, v0
	s_and_saveexec_b64 s[4:5], vcc
	s_cbranch_execz .LBB3465_83
; %bb.78:
	v_cmp_ge_u32_e32 vcc, v0, v18
                                        ; implicit-def: $vgpr14_vgpr15
	s_and_saveexec_b64 s[6:7], vcc
	s_xor_b64 s[6:7], exec, s[6:7]
; %bb.79:
	v_not_b32_e32 v14, v0
	v_ashrrev_i32_e32 v15, 31, v14
	v_add_co_u32_e32 v14, vcc, v17, v14
	v_addc_co_u32_e32 v15, vcc, v19, v15, vcc
; %bb.80:
	s_andn2_saveexec_b64 s[6:7], s[6:7]
; %bb.81:
	v_add_co_u32_e32 v14, vcc, v1, v0
	v_addc_co_u32_e32 v15, vcc, 0, v16, vcc
; %bb.82:
	s_or_b64 exec, exec, s[6:7]
	v_lshlrev_b64 v[14:15], 4, v[14:15]
	v_mov_b32_e32 v22, s29
	v_add_co_u32_e32 v14, vcc, s28, v14
	v_addc_co_u32_e32 v15, vcc, v22, v15, vcc
	s_waitcnt lgkmcnt(2)
	global_store_dwordx4 v[14:15], v[10:13], off
	s_or_b64 exec, exec, s[4:5]
	v_cmp_gt_u32_e32 vcc, s33, v21
	s_and_saveexec_b64 s[4:5], vcc
	s_cbranch_execz .LBB3465_89
	s_branch .LBB3465_84
.LBB3465_83:
	s_or_b64 exec, exec, s[4:5]
	v_cmp_gt_u32_e32 vcc, s33, v21
	s_and_saveexec_b64 s[4:5], vcc
	s_cbranch_execz .LBB3465_89
.LBB3465_84:
	v_cmp_ge_u32_e32 vcc, v21, v18
                                        ; implicit-def: $vgpr10_vgpr11
	s_and_saveexec_b64 s[6:7], vcc
	s_xor_b64 s[6:7], exec, s[6:7]
	s_cbranch_execz .LBB3465_86
; %bb.85:
	s_waitcnt lgkmcnt(2)
	v_xor_b32_e32 v10, 0xfffffeff, v0
	v_ashrrev_i32_e32 v11, 31, v10
	v_add_co_u32_e32 v10, vcc, v17, v10
	v_addc_co_u32_e32 v11, vcc, v19, v11, vcc
                                        ; implicit-def: $vgpr21
.LBB3465_86:
	s_andn2_saveexec_b64 s[6:7], s[6:7]
	s_cbranch_execz .LBB3465_88
; %bb.87:
	s_waitcnt lgkmcnt(2)
	v_add_co_u32_e32 v10, vcc, v1, v21
	v_addc_co_u32_e32 v11, vcc, 0, v16, vcc
.LBB3465_88:
	s_or_b64 exec, exec, s[6:7]
	s_waitcnt lgkmcnt(2)
	v_lshlrev_b64 v[10:11], 4, v[10:11]
	v_mov_b32_e32 v12, s29
	v_add_co_u32_e32 v10, vcc, s28, v10
	v_addc_co_u32_e32 v11, vcc, v12, v11, vcc
	s_waitcnt lgkmcnt(1)
	global_store_dwordx4 v[10:11], v[6:9], off
.LBB3465_89:
	s_or_b64 exec, exec, s[4:5]
	v_cmp_gt_u32_e32 vcc, s33, v20
                                        ; implicit-def: $vgpr14_vgpr15
	s_and_saveexec_b64 s[4:5], vcc
	s_cbranch_execz .LBB3465_95
; %bb.90:
	v_cmp_ge_u32_e32 vcc, v20, v18
                                        ; implicit-def: $vgpr14_vgpr15
	s_and_saveexec_b64 s[6:7], vcc
	s_xor_b64 s[6:7], exec, s[6:7]
	s_cbranch_execz .LBB3465_92
; %bb.91:
	v_xor_b32_e32 v0, 0xfffffdff, v0
	s_waitcnt lgkmcnt(1)
	v_ashrrev_i32_e32 v6, 31, v0
	v_add_co_u32_e32 v14, vcc, v17, v0
	v_addc_co_u32_e32 v15, vcc, v19, v6, vcc
                                        ; implicit-def: $vgpr20
.LBB3465_92:
	s_andn2_saveexec_b64 s[6:7], s[6:7]
; %bb.93:
	v_add_co_u32_e32 v14, vcc, v1, v20
	v_addc_co_u32_e32 v15, vcc, 0, v16, vcc
; %bb.94:
	s_or_b64 exec, exec, s[6:7]
	s_or_b64 s[2:3], s[2:3], exec
.LBB3465_95:
	s_or_b64 exec, exec, s[4:5]
	s_and_saveexec_b64 s[4:5], s[2:3]
	s_cbranch_execnz .LBB3465_74
.LBB3465_96:
	s_or_b64 exec, exec, s[4:5]
	s_and_b64 s[0:1], s[0:1], s[22:23]
	s_and_saveexec_b64 s[2:3], s[0:1]
	s_cbranch_execz .LBB3465_75
.LBB3465_97:
	v_add_co_u32_e32 v0, vcc, v1, v18
	s_waitcnt lgkmcnt(0)
	v_mov_b32_e32 v2, 0
	v_addc_co_u32_e32 v1, vcc, 0, v16, vcc
	global_store_dwordx2 v2, v[0:1], s[20:21]
	s_endpgm
	.section	.rodata,"a",@progbits
	.p2align	6, 0x0
	.amdhsa_kernel _ZN7rocprim17ROCPRIM_400000_NS6detail17trampoline_kernelINS0_14default_configENS1_25partition_config_selectorILNS1_17partition_subalgoE3EN6thrust23THRUST_200600_302600_NS5tupleIxxNS7_9null_typeES9_S9_S9_S9_S9_S9_S9_EENS0_10empty_typeEbEEZZNS1_14partition_implILS5_3ELb0ES3_jNS7_6detail15normal_iteratorINS7_7pointerISA_NS7_11hip_rocprim3tagENS7_11use_defaultESJ_EEEEPSB_SM_NS0_5tupleIJPSA_SM_EEENSN_IJSM_SM_EEESB_PlJ10is_orderedEEE10hipError_tPvRmT3_T4_T5_T6_T7_T9_mT8_P12ihipStream_tbDpT10_ENKUlT_T0_E_clISt17integral_constantIbLb1EES1C_EEDaS17_S18_EUlS17_E_NS1_11comp_targetILNS1_3genE4ELNS1_11target_archE910ELNS1_3gpuE8ELNS1_3repE0EEENS1_30default_config_static_selectorELNS0_4arch9wavefront6targetE1EEEvT1_
		.amdhsa_group_segment_fixed_size 12296
		.amdhsa_private_segment_fixed_size 0
		.amdhsa_kernarg_size 136
		.amdhsa_user_sgpr_count 6
		.amdhsa_user_sgpr_private_segment_buffer 1
		.amdhsa_user_sgpr_dispatch_ptr 0
		.amdhsa_user_sgpr_queue_ptr 0
		.amdhsa_user_sgpr_kernarg_segment_ptr 1
		.amdhsa_user_sgpr_dispatch_id 0
		.amdhsa_user_sgpr_flat_scratch_init 0
		.amdhsa_user_sgpr_kernarg_preload_length 0
		.amdhsa_user_sgpr_kernarg_preload_offset 0
		.amdhsa_user_sgpr_private_segment_size 0
		.amdhsa_uses_dynamic_stack 0
		.amdhsa_system_sgpr_private_segment_wavefront_offset 0
		.amdhsa_system_sgpr_workgroup_id_x 1
		.amdhsa_system_sgpr_workgroup_id_y 0
		.amdhsa_system_sgpr_workgroup_id_z 0
		.amdhsa_system_sgpr_workgroup_info 0
		.amdhsa_system_vgpr_workitem_id 0
		.amdhsa_next_free_vgpr 51
		.amdhsa_next_free_sgpr 46
		.amdhsa_accum_offset 52
		.amdhsa_reserve_vcc 1
		.amdhsa_reserve_flat_scratch 0
		.amdhsa_float_round_mode_32 0
		.amdhsa_float_round_mode_16_64 0
		.amdhsa_float_denorm_mode_32 3
		.amdhsa_float_denorm_mode_16_64 3
		.amdhsa_dx10_clamp 1
		.amdhsa_ieee_mode 1
		.amdhsa_fp16_overflow 0
		.amdhsa_tg_split 0
		.amdhsa_exception_fp_ieee_invalid_op 0
		.amdhsa_exception_fp_denorm_src 0
		.amdhsa_exception_fp_ieee_div_zero 0
		.amdhsa_exception_fp_ieee_overflow 0
		.amdhsa_exception_fp_ieee_underflow 0
		.amdhsa_exception_fp_ieee_inexact 0
		.amdhsa_exception_int_div_zero 0
	.end_amdhsa_kernel
	.section	.text._ZN7rocprim17ROCPRIM_400000_NS6detail17trampoline_kernelINS0_14default_configENS1_25partition_config_selectorILNS1_17partition_subalgoE3EN6thrust23THRUST_200600_302600_NS5tupleIxxNS7_9null_typeES9_S9_S9_S9_S9_S9_S9_EENS0_10empty_typeEbEEZZNS1_14partition_implILS5_3ELb0ES3_jNS7_6detail15normal_iteratorINS7_7pointerISA_NS7_11hip_rocprim3tagENS7_11use_defaultESJ_EEEEPSB_SM_NS0_5tupleIJPSA_SM_EEENSN_IJSM_SM_EEESB_PlJ10is_orderedEEE10hipError_tPvRmT3_T4_T5_T6_T7_T9_mT8_P12ihipStream_tbDpT10_ENKUlT_T0_E_clISt17integral_constantIbLb1EES1C_EEDaS17_S18_EUlS17_E_NS1_11comp_targetILNS1_3genE4ELNS1_11target_archE910ELNS1_3gpuE8ELNS1_3repE0EEENS1_30default_config_static_selectorELNS0_4arch9wavefront6targetE1EEEvT1_,"axG",@progbits,_ZN7rocprim17ROCPRIM_400000_NS6detail17trampoline_kernelINS0_14default_configENS1_25partition_config_selectorILNS1_17partition_subalgoE3EN6thrust23THRUST_200600_302600_NS5tupleIxxNS7_9null_typeES9_S9_S9_S9_S9_S9_S9_EENS0_10empty_typeEbEEZZNS1_14partition_implILS5_3ELb0ES3_jNS7_6detail15normal_iteratorINS7_7pointerISA_NS7_11hip_rocprim3tagENS7_11use_defaultESJ_EEEEPSB_SM_NS0_5tupleIJPSA_SM_EEENSN_IJSM_SM_EEESB_PlJ10is_orderedEEE10hipError_tPvRmT3_T4_T5_T6_T7_T9_mT8_P12ihipStream_tbDpT10_ENKUlT_T0_E_clISt17integral_constantIbLb1EES1C_EEDaS17_S18_EUlS17_E_NS1_11comp_targetILNS1_3genE4ELNS1_11target_archE910ELNS1_3gpuE8ELNS1_3repE0EEENS1_30default_config_static_selectorELNS0_4arch9wavefront6targetE1EEEvT1_,comdat
.Lfunc_end3465:
	.size	_ZN7rocprim17ROCPRIM_400000_NS6detail17trampoline_kernelINS0_14default_configENS1_25partition_config_selectorILNS1_17partition_subalgoE3EN6thrust23THRUST_200600_302600_NS5tupleIxxNS7_9null_typeES9_S9_S9_S9_S9_S9_S9_EENS0_10empty_typeEbEEZZNS1_14partition_implILS5_3ELb0ES3_jNS7_6detail15normal_iteratorINS7_7pointerISA_NS7_11hip_rocprim3tagENS7_11use_defaultESJ_EEEEPSB_SM_NS0_5tupleIJPSA_SM_EEENSN_IJSM_SM_EEESB_PlJ10is_orderedEEE10hipError_tPvRmT3_T4_T5_T6_T7_T9_mT8_P12ihipStream_tbDpT10_ENKUlT_T0_E_clISt17integral_constantIbLb1EES1C_EEDaS17_S18_EUlS17_E_NS1_11comp_targetILNS1_3genE4ELNS1_11target_archE910ELNS1_3gpuE8ELNS1_3repE0EEENS1_30default_config_static_selectorELNS0_4arch9wavefront6targetE1EEEvT1_, .Lfunc_end3465-_ZN7rocprim17ROCPRIM_400000_NS6detail17trampoline_kernelINS0_14default_configENS1_25partition_config_selectorILNS1_17partition_subalgoE3EN6thrust23THRUST_200600_302600_NS5tupleIxxNS7_9null_typeES9_S9_S9_S9_S9_S9_S9_EENS0_10empty_typeEbEEZZNS1_14partition_implILS5_3ELb0ES3_jNS7_6detail15normal_iteratorINS7_7pointerISA_NS7_11hip_rocprim3tagENS7_11use_defaultESJ_EEEEPSB_SM_NS0_5tupleIJPSA_SM_EEENSN_IJSM_SM_EEESB_PlJ10is_orderedEEE10hipError_tPvRmT3_T4_T5_T6_T7_T9_mT8_P12ihipStream_tbDpT10_ENKUlT_T0_E_clISt17integral_constantIbLb1EES1C_EEDaS17_S18_EUlS17_E_NS1_11comp_targetILNS1_3genE4ELNS1_11target_archE910ELNS1_3gpuE8ELNS1_3repE0EEENS1_30default_config_static_selectorELNS0_4arch9wavefront6targetE1EEEvT1_
                                        ; -- End function
	.section	.AMDGPU.csdata,"",@progbits
; Kernel info:
; codeLenInByte = 3760
; NumSgprs: 50
; NumVgprs: 51
; NumAgprs: 0
; TotalNumVgprs: 51
; ScratchSize: 0
; MemoryBound: 1
; FloatMode: 240
; IeeeMode: 1
; LDSByteSize: 12296 bytes/workgroup (compile time only)
; SGPRBlocks: 6
; VGPRBlocks: 6
; NumSGPRsForWavesPerEU: 50
; NumVGPRsForWavesPerEU: 51
; AccumOffset: 52
; Occupancy: 5
; WaveLimiterHint : 1
; COMPUTE_PGM_RSRC2:SCRATCH_EN: 0
; COMPUTE_PGM_RSRC2:USER_SGPR: 6
; COMPUTE_PGM_RSRC2:TRAP_HANDLER: 0
; COMPUTE_PGM_RSRC2:TGID_X_EN: 1
; COMPUTE_PGM_RSRC2:TGID_Y_EN: 0
; COMPUTE_PGM_RSRC2:TGID_Z_EN: 0
; COMPUTE_PGM_RSRC2:TIDIG_COMP_CNT: 0
; COMPUTE_PGM_RSRC3_GFX90A:ACCUM_OFFSET: 12
; COMPUTE_PGM_RSRC3_GFX90A:TG_SPLIT: 0
	.section	.text._ZN7rocprim17ROCPRIM_400000_NS6detail17trampoline_kernelINS0_14default_configENS1_25partition_config_selectorILNS1_17partition_subalgoE3EN6thrust23THRUST_200600_302600_NS5tupleIxxNS7_9null_typeES9_S9_S9_S9_S9_S9_S9_EENS0_10empty_typeEbEEZZNS1_14partition_implILS5_3ELb0ES3_jNS7_6detail15normal_iteratorINS7_7pointerISA_NS7_11hip_rocprim3tagENS7_11use_defaultESJ_EEEEPSB_SM_NS0_5tupleIJPSA_SM_EEENSN_IJSM_SM_EEESB_PlJ10is_orderedEEE10hipError_tPvRmT3_T4_T5_T6_T7_T9_mT8_P12ihipStream_tbDpT10_ENKUlT_T0_E_clISt17integral_constantIbLb1EES1C_EEDaS17_S18_EUlS17_E_NS1_11comp_targetILNS1_3genE3ELNS1_11target_archE908ELNS1_3gpuE7ELNS1_3repE0EEENS1_30default_config_static_selectorELNS0_4arch9wavefront6targetE1EEEvT1_,"axG",@progbits,_ZN7rocprim17ROCPRIM_400000_NS6detail17trampoline_kernelINS0_14default_configENS1_25partition_config_selectorILNS1_17partition_subalgoE3EN6thrust23THRUST_200600_302600_NS5tupleIxxNS7_9null_typeES9_S9_S9_S9_S9_S9_S9_EENS0_10empty_typeEbEEZZNS1_14partition_implILS5_3ELb0ES3_jNS7_6detail15normal_iteratorINS7_7pointerISA_NS7_11hip_rocprim3tagENS7_11use_defaultESJ_EEEEPSB_SM_NS0_5tupleIJPSA_SM_EEENSN_IJSM_SM_EEESB_PlJ10is_orderedEEE10hipError_tPvRmT3_T4_T5_T6_T7_T9_mT8_P12ihipStream_tbDpT10_ENKUlT_T0_E_clISt17integral_constantIbLb1EES1C_EEDaS17_S18_EUlS17_E_NS1_11comp_targetILNS1_3genE3ELNS1_11target_archE908ELNS1_3gpuE7ELNS1_3repE0EEENS1_30default_config_static_selectorELNS0_4arch9wavefront6targetE1EEEvT1_,comdat
	.protected	_ZN7rocprim17ROCPRIM_400000_NS6detail17trampoline_kernelINS0_14default_configENS1_25partition_config_selectorILNS1_17partition_subalgoE3EN6thrust23THRUST_200600_302600_NS5tupleIxxNS7_9null_typeES9_S9_S9_S9_S9_S9_S9_EENS0_10empty_typeEbEEZZNS1_14partition_implILS5_3ELb0ES3_jNS7_6detail15normal_iteratorINS7_7pointerISA_NS7_11hip_rocprim3tagENS7_11use_defaultESJ_EEEEPSB_SM_NS0_5tupleIJPSA_SM_EEENSN_IJSM_SM_EEESB_PlJ10is_orderedEEE10hipError_tPvRmT3_T4_T5_T6_T7_T9_mT8_P12ihipStream_tbDpT10_ENKUlT_T0_E_clISt17integral_constantIbLb1EES1C_EEDaS17_S18_EUlS17_E_NS1_11comp_targetILNS1_3genE3ELNS1_11target_archE908ELNS1_3gpuE7ELNS1_3repE0EEENS1_30default_config_static_selectorELNS0_4arch9wavefront6targetE1EEEvT1_ ; -- Begin function _ZN7rocprim17ROCPRIM_400000_NS6detail17trampoline_kernelINS0_14default_configENS1_25partition_config_selectorILNS1_17partition_subalgoE3EN6thrust23THRUST_200600_302600_NS5tupleIxxNS7_9null_typeES9_S9_S9_S9_S9_S9_S9_EENS0_10empty_typeEbEEZZNS1_14partition_implILS5_3ELb0ES3_jNS7_6detail15normal_iteratorINS7_7pointerISA_NS7_11hip_rocprim3tagENS7_11use_defaultESJ_EEEEPSB_SM_NS0_5tupleIJPSA_SM_EEENSN_IJSM_SM_EEESB_PlJ10is_orderedEEE10hipError_tPvRmT3_T4_T5_T6_T7_T9_mT8_P12ihipStream_tbDpT10_ENKUlT_T0_E_clISt17integral_constantIbLb1EES1C_EEDaS17_S18_EUlS17_E_NS1_11comp_targetILNS1_3genE3ELNS1_11target_archE908ELNS1_3gpuE7ELNS1_3repE0EEENS1_30default_config_static_selectorELNS0_4arch9wavefront6targetE1EEEvT1_
	.globl	_ZN7rocprim17ROCPRIM_400000_NS6detail17trampoline_kernelINS0_14default_configENS1_25partition_config_selectorILNS1_17partition_subalgoE3EN6thrust23THRUST_200600_302600_NS5tupleIxxNS7_9null_typeES9_S9_S9_S9_S9_S9_S9_EENS0_10empty_typeEbEEZZNS1_14partition_implILS5_3ELb0ES3_jNS7_6detail15normal_iteratorINS7_7pointerISA_NS7_11hip_rocprim3tagENS7_11use_defaultESJ_EEEEPSB_SM_NS0_5tupleIJPSA_SM_EEENSN_IJSM_SM_EEESB_PlJ10is_orderedEEE10hipError_tPvRmT3_T4_T5_T6_T7_T9_mT8_P12ihipStream_tbDpT10_ENKUlT_T0_E_clISt17integral_constantIbLb1EES1C_EEDaS17_S18_EUlS17_E_NS1_11comp_targetILNS1_3genE3ELNS1_11target_archE908ELNS1_3gpuE7ELNS1_3repE0EEENS1_30default_config_static_selectorELNS0_4arch9wavefront6targetE1EEEvT1_
	.p2align	8
	.type	_ZN7rocprim17ROCPRIM_400000_NS6detail17trampoline_kernelINS0_14default_configENS1_25partition_config_selectorILNS1_17partition_subalgoE3EN6thrust23THRUST_200600_302600_NS5tupleIxxNS7_9null_typeES9_S9_S9_S9_S9_S9_S9_EENS0_10empty_typeEbEEZZNS1_14partition_implILS5_3ELb0ES3_jNS7_6detail15normal_iteratorINS7_7pointerISA_NS7_11hip_rocprim3tagENS7_11use_defaultESJ_EEEEPSB_SM_NS0_5tupleIJPSA_SM_EEENSN_IJSM_SM_EEESB_PlJ10is_orderedEEE10hipError_tPvRmT3_T4_T5_T6_T7_T9_mT8_P12ihipStream_tbDpT10_ENKUlT_T0_E_clISt17integral_constantIbLb1EES1C_EEDaS17_S18_EUlS17_E_NS1_11comp_targetILNS1_3genE3ELNS1_11target_archE908ELNS1_3gpuE7ELNS1_3repE0EEENS1_30default_config_static_selectorELNS0_4arch9wavefront6targetE1EEEvT1_,@function
_ZN7rocprim17ROCPRIM_400000_NS6detail17trampoline_kernelINS0_14default_configENS1_25partition_config_selectorILNS1_17partition_subalgoE3EN6thrust23THRUST_200600_302600_NS5tupleIxxNS7_9null_typeES9_S9_S9_S9_S9_S9_S9_EENS0_10empty_typeEbEEZZNS1_14partition_implILS5_3ELb0ES3_jNS7_6detail15normal_iteratorINS7_7pointerISA_NS7_11hip_rocprim3tagENS7_11use_defaultESJ_EEEEPSB_SM_NS0_5tupleIJPSA_SM_EEENSN_IJSM_SM_EEESB_PlJ10is_orderedEEE10hipError_tPvRmT3_T4_T5_T6_T7_T9_mT8_P12ihipStream_tbDpT10_ENKUlT_T0_E_clISt17integral_constantIbLb1EES1C_EEDaS17_S18_EUlS17_E_NS1_11comp_targetILNS1_3genE3ELNS1_11target_archE908ELNS1_3gpuE7ELNS1_3repE0EEENS1_30default_config_static_selectorELNS0_4arch9wavefront6targetE1EEEvT1_: ; @_ZN7rocprim17ROCPRIM_400000_NS6detail17trampoline_kernelINS0_14default_configENS1_25partition_config_selectorILNS1_17partition_subalgoE3EN6thrust23THRUST_200600_302600_NS5tupleIxxNS7_9null_typeES9_S9_S9_S9_S9_S9_S9_EENS0_10empty_typeEbEEZZNS1_14partition_implILS5_3ELb0ES3_jNS7_6detail15normal_iteratorINS7_7pointerISA_NS7_11hip_rocprim3tagENS7_11use_defaultESJ_EEEEPSB_SM_NS0_5tupleIJPSA_SM_EEENSN_IJSM_SM_EEESB_PlJ10is_orderedEEE10hipError_tPvRmT3_T4_T5_T6_T7_T9_mT8_P12ihipStream_tbDpT10_ENKUlT_T0_E_clISt17integral_constantIbLb1EES1C_EEDaS17_S18_EUlS17_E_NS1_11comp_targetILNS1_3genE3ELNS1_11target_archE908ELNS1_3gpuE7ELNS1_3repE0EEENS1_30default_config_static_selectorELNS0_4arch9wavefront6targetE1EEEvT1_
; %bb.0:
	.section	.rodata,"a",@progbits
	.p2align	6, 0x0
	.amdhsa_kernel _ZN7rocprim17ROCPRIM_400000_NS6detail17trampoline_kernelINS0_14default_configENS1_25partition_config_selectorILNS1_17partition_subalgoE3EN6thrust23THRUST_200600_302600_NS5tupleIxxNS7_9null_typeES9_S9_S9_S9_S9_S9_S9_EENS0_10empty_typeEbEEZZNS1_14partition_implILS5_3ELb0ES3_jNS7_6detail15normal_iteratorINS7_7pointerISA_NS7_11hip_rocprim3tagENS7_11use_defaultESJ_EEEEPSB_SM_NS0_5tupleIJPSA_SM_EEENSN_IJSM_SM_EEESB_PlJ10is_orderedEEE10hipError_tPvRmT3_T4_T5_T6_T7_T9_mT8_P12ihipStream_tbDpT10_ENKUlT_T0_E_clISt17integral_constantIbLb1EES1C_EEDaS17_S18_EUlS17_E_NS1_11comp_targetILNS1_3genE3ELNS1_11target_archE908ELNS1_3gpuE7ELNS1_3repE0EEENS1_30default_config_static_selectorELNS0_4arch9wavefront6targetE1EEEvT1_
		.amdhsa_group_segment_fixed_size 0
		.amdhsa_private_segment_fixed_size 0
		.amdhsa_kernarg_size 136
		.amdhsa_user_sgpr_count 6
		.amdhsa_user_sgpr_private_segment_buffer 1
		.amdhsa_user_sgpr_dispatch_ptr 0
		.amdhsa_user_sgpr_queue_ptr 0
		.amdhsa_user_sgpr_kernarg_segment_ptr 1
		.amdhsa_user_sgpr_dispatch_id 0
		.amdhsa_user_sgpr_flat_scratch_init 0
		.amdhsa_user_sgpr_kernarg_preload_length 0
		.amdhsa_user_sgpr_kernarg_preload_offset 0
		.amdhsa_user_sgpr_private_segment_size 0
		.amdhsa_uses_dynamic_stack 0
		.amdhsa_system_sgpr_private_segment_wavefront_offset 0
		.amdhsa_system_sgpr_workgroup_id_x 1
		.amdhsa_system_sgpr_workgroup_id_y 0
		.amdhsa_system_sgpr_workgroup_id_z 0
		.amdhsa_system_sgpr_workgroup_info 0
		.amdhsa_system_vgpr_workitem_id 0
		.amdhsa_next_free_vgpr 1
		.amdhsa_next_free_sgpr 0
		.amdhsa_accum_offset 4
		.amdhsa_reserve_vcc 0
		.amdhsa_reserve_flat_scratch 0
		.amdhsa_float_round_mode_32 0
		.amdhsa_float_round_mode_16_64 0
		.amdhsa_float_denorm_mode_32 3
		.amdhsa_float_denorm_mode_16_64 3
		.amdhsa_dx10_clamp 1
		.amdhsa_ieee_mode 1
		.amdhsa_fp16_overflow 0
		.amdhsa_tg_split 0
		.amdhsa_exception_fp_ieee_invalid_op 0
		.amdhsa_exception_fp_denorm_src 0
		.amdhsa_exception_fp_ieee_div_zero 0
		.amdhsa_exception_fp_ieee_overflow 0
		.amdhsa_exception_fp_ieee_underflow 0
		.amdhsa_exception_fp_ieee_inexact 0
		.amdhsa_exception_int_div_zero 0
	.end_amdhsa_kernel
	.section	.text._ZN7rocprim17ROCPRIM_400000_NS6detail17trampoline_kernelINS0_14default_configENS1_25partition_config_selectorILNS1_17partition_subalgoE3EN6thrust23THRUST_200600_302600_NS5tupleIxxNS7_9null_typeES9_S9_S9_S9_S9_S9_S9_EENS0_10empty_typeEbEEZZNS1_14partition_implILS5_3ELb0ES3_jNS7_6detail15normal_iteratorINS7_7pointerISA_NS7_11hip_rocprim3tagENS7_11use_defaultESJ_EEEEPSB_SM_NS0_5tupleIJPSA_SM_EEENSN_IJSM_SM_EEESB_PlJ10is_orderedEEE10hipError_tPvRmT3_T4_T5_T6_T7_T9_mT8_P12ihipStream_tbDpT10_ENKUlT_T0_E_clISt17integral_constantIbLb1EES1C_EEDaS17_S18_EUlS17_E_NS1_11comp_targetILNS1_3genE3ELNS1_11target_archE908ELNS1_3gpuE7ELNS1_3repE0EEENS1_30default_config_static_selectorELNS0_4arch9wavefront6targetE1EEEvT1_,"axG",@progbits,_ZN7rocprim17ROCPRIM_400000_NS6detail17trampoline_kernelINS0_14default_configENS1_25partition_config_selectorILNS1_17partition_subalgoE3EN6thrust23THRUST_200600_302600_NS5tupleIxxNS7_9null_typeES9_S9_S9_S9_S9_S9_S9_EENS0_10empty_typeEbEEZZNS1_14partition_implILS5_3ELb0ES3_jNS7_6detail15normal_iteratorINS7_7pointerISA_NS7_11hip_rocprim3tagENS7_11use_defaultESJ_EEEEPSB_SM_NS0_5tupleIJPSA_SM_EEENSN_IJSM_SM_EEESB_PlJ10is_orderedEEE10hipError_tPvRmT3_T4_T5_T6_T7_T9_mT8_P12ihipStream_tbDpT10_ENKUlT_T0_E_clISt17integral_constantIbLb1EES1C_EEDaS17_S18_EUlS17_E_NS1_11comp_targetILNS1_3genE3ELNS1_11target_archE908ELNS1_3gpuE7ELNS1_3repE0EEENS1_30default_config_static_selectorELNS0_4arch9wavefront6targetE1EEEvT1_,comdat
.Lfunc_end3466:
	.size	_ZN7rocprim17ROCPRIM_400000_NS6detail17trampoline_kernelINS0_14default_configENS1_25partition_config_selectorILNS1_17partition_subalgoE3EN6thrust23THRUST_200600_302600_NS5tupleIxxNS7_9null_typeES9_S9_S9_S9_S9_S9_S9_EENS0_10empty_typeEbEEZZNS1_14partition_implILS5_3ELb0ES3_jNS7_6detail15normal_iteratorINS7_7pointerISA_NS7_11hip_rocprim3tagENS7_11use_defaultESJ_EEEEPSB_SM_NS0_5tupleIJPSA_SM_EEENSN_IJSM_SM_EEESB_PlJ10is_orderedEEE10hipError_tPvRmT3_T4_T5_T6_T7_T9_mT8_P12ihipStream_tbDpT10_ENKUlT_T0_E_clISt17integral_constantIbLb1EES1C_EEDaS17_S18_EUlS17_E_NS1_11comp_targetILNS1_3genE3ELNS1_11target_archE908ELNS1_3gpuE7ELNS1_3repE0EEENS1_30default_config_static_selectorELNS0_4arch9wavefront6targetE1EEEvT1_, .Lfunc_end3466-_ZN7rocprim17ROCPRIM_400000_NS6detail17trampoline_kernelINS0_14default_configENS1_25partition_config_selectorILNS1_17partition_subalgoE3EN6thrust23THRUST_200600_302600_NS5tupleIxxNS7_9null_typeES9_S9_S9_S9_S9_S9_S9_EENS0_10empty_typeEbEEZZNS1_14partition_implILS5_3ELb0ES3_jNS7_6detail15normal_iteratorINS7_7pointerISA_NS7_11hip_rocprim3tagENS7_11use_defaultESJ_EEEEPSB_SM_NS0_5tupleIJPSA_SM_EEENSN_IJSM_SM_EEESB_PlJ10is_orderedEEE10hipError_tPvRmT3_T4_T5_T6_T7_T9_mT8_P12ihipStream_tbDpT10_ENKUlT_T0_E_clISt17integral_constantIbLb1EES1C_EEDaS17_S18_EUlS17_E_NS1_11comp_targetILNS1_3genE3ELNS1_11target_archE908ELNS1_3gpuE7ELNS1_3repE0EEENS1_30default_config_static_selectorELNS0_4arch9wavefront6targetE1EEEvT1_
                                        ; -- End function
	.section	.AMDGPU.csdata,"",@progbits
; Kernel info:
; codeLenInByte = 0
; NumSgprs: 4
; NumVgprs: 0
; NumAgprs: 0
; TotalNumVgprs: 0
; ScratchSize: 0
; MemoryBound: 0
; FloatMode: 240
; IeeeMode: 1
; LDSByteSize: 0 bytes/workgroup (compile time only)
; SGPRBlocks: 0
; VGPRBlocks: 0
; NumSGPRsForWavesPerEU: 4
; NumVGPRsForWavesPerEU: 1
; AccumOffset: 4
; Occupancy: 8
; WaveLimiterHint : 0
; COMPUTE_PGM_RSRC2:SCRATCH_EN: 0
; COMPUTE_PGM_RSRC2:USER_SGPR: 6
; COMPUTE_PGM_RSRC2:TRAP_HANDLER: 0
; COMPUTE_PGM_RSRC2:TGID_X_EN: 1
; COMPUTE_PGM_RSRC2:TGID_Y_EN: 0
; COMPUTE_PGM_RSRC2:TGID_Z_EN: 0
; COMPUTE_PGM_RSRC2:TIDIG_COMP_CNT: 0
; COMPUTE_PGM_RSRC3_GFX90A:ACCUM_OFFSET: 0
; COMPUTE_PGM_RSRC3_GFX90A:TG_SPLIT: 0
	.section	.text._ZN7rocprim17ROCPRIM_400000_NS6detail17trampoline_kernelINS0_14default_configENS1_25partition_config_selectorILNS1_17partition_subalgoE3EN6thrust23THRUST_200600_302600_NS5tupleIxxNS7_9null_typeES9_S9_S9_S9_S9_S9_S9_EENS0_10empty_typeEbEEZZNS1_14partition_implILS5_3ELb0ES3_jNS7_6detail15normal_iteratorINS7_7pointerISA_NS7_11hip_rocprim3tagENS7_11use_defaultESJ_EEEEPSB_SM_NS0_5tupleIJPSA_SM_EEENSN_IJSM_SM_EEESB_PlJ10is_orderedEEE10hipError_tPvRmT3_T4_T5_T6_T7_T9_mT8_P12ihipStream_tbDpT10_ENKUlT_T0_E_clISt17integral_constantIbLb1EES1C_EEDaS17_S18_EUlS17_E_NS1_11comp_targetILNS1_3genE2ELNS1_11target_archE906ELNS1_3gpuE6ELNS1_3repE0EEENS1_30default_config_static_selectorELNS0_4arch9wavefront6targetE1EEEvT1_,"axG",@progbits,_ZN7rocprim17ROCPRIM_400000_NS6detail17trampoline_kernelINS0_14default_configENS1_25partition_config_selectorILNS1_17partition_subalgoE3EN6thrust23THRUST_200600_302600_NS5tupleIxxNS7_9null_typeES9_S9_S9_S9_S9_S9_S9_EENS0_10empty_typeEbEEZZNS1_14partition_implILS5_3ELb0ES3_jNS7_6detail15normal_iteratorINS7_7pointerISA_NS7_11hip_rocprim3tagENS7_11use_defaultESJ_EEEEPSB_SM_NS0_5tupleIJPSA_SM_EEENSN_IJSM_SM_EEESB_PlJ10is_orderedEEE10hipError_tPvRmT3_T4_T5_T6_T7_T9_mT8_P12ihipStream_tbDpT10_ENKUlT_T0_E_clISt17integral_constantIbLb1EES1C_EEDaS17_S18_EUlS17_E_NS1_11comp_targetILNS1_3genE2ELNS1_11target_archE906ELNS1_3gpuE6ELNS1_3repE0EEENS1_30default_config_static_selectorELNS0_4arch9wavefront6targetE1EEEvT1_,comdat
	.protected	_ZN7rocprim17ROCPRIM_400000_NS6detail17trampoline_kernelINS0_14default_configENS1_25partition_config_selectorILNS1_17partition_subalgoE3EN6thrust23THRUST_200600_302600_NS5tupleIxxNS7_9null_typeES9_S9_S9_S9_S9_S9_S9_EENS0_10empty_typeEbEEZZNS1_14partition_implILS5_3ELb0ES3_jNS7_6detail15normal_iteratorINS7_7pointerISA_NS7_11hip_rocprim3tagENS7_11use_defaultESJ_EEEEPSB_SM_NS0_5tupleIJPSA_SM_EEENSN_IJSM_SM_EEESB_PlJ10is_orderedEEE10hipError_tPvRmT3_T4_T5_T6_T7_T9_mT8_P12ihipStream_tbDpT10_ENKUlT_T0_E_clISt17integral_constantIbLb1EES1C_EEDaS17_S18_EUlS17_E_NS1_11comp_targetILNS1_3genE2ELNS1_11target_archE906ELNS1_3gpuE6ELNS1_3repE0EEENS1_30default_config_static_selectorELNS0_4arch9wavefront6targetE1EEEvT1_ ; -- Begin function _ZN7rocprim17ROCPRIM_400000_NS6detail17trampoline_kernelINS0_14default_configENS1_25partition_config_selectorILNS1_17partition_subalgoE3EN6thrust23THRUST_200600_302600_NS5tupleIxxNS7_9null_typeES9_S9_S9_S9_S9_S9_S9_EENS0_10empty_typeEbEEZZNS1_14partition_implILS5_3ELb0ES3_jNS7_6detail15normal_iteratorINS7_7pointerISA_NS7_11hip_rocprim3tagENS7_11use_defaultESJ_EEEEPSB_SM_NS0_5tupleIJPSA_SM_EEENSN_IJSM_SM_EEESB_PlJ10is_orderedEEE10hipError_tPvRmT3_T4_T5_T6_T7_T9_mT8_P12ihipStream_tbDpT10_ENKUlT_T0_E_clISt17integral_constantIbLb1EES1C_EEDaS17_S18_EUlS17_E_NS1_11comp_targetILNS1_3genE2ELNS1_11target_archE906ELNS1_3gpuE6ELNS1_3repE0EEENS1_30default_config_static_selectorELNS0_4arch9wavefront6targetE1EEEvT1_
	.globl	_ZN7rocprim17ROCPRIM_400000_NS6detail17trampoline_kernelINS0_14default_configENS1_25partition_config_selectorILNS1_17partition_subalgoE3EN6thrust23THRUST_200600_302600_NS5tupleIxxNS7_9null_typeES9_S9_S9_S9_S9_S9_S9_EENS0_10empty_typeEbEEZZNS1_14partition_implILS5_3ELb0ES3_jNS7_6detail15normal_iteratorINS7_7pointerISA_NS7_11hip_rocprim3tagENS7_11use_defaultESJ_EEEEPSB_SM_NS0_5tupleIJPSA_SM_EEENSN_IJSM_SM_EEESB_PlJ10is_orderedEEE10hipError_tPvRmT3_T4_T5_T6_T7_T9_mT8_P12ihipStream_tbDpT10_ENKUlT_T0_E_clISt17integral_constantIbLb1EES1C_EEDaS17_S18_EUlS17_E_NS1_11comp_targetILNS1_3genE2ELNS1_11target_archE906ELNS1_3gpuE6ELNS1_3repE0EEENS1_30default_config_static_selectorELNS0_4arch9wavefront6targetE1EEEvT1_
	.p2align	8
	.type	_ZN7rocprim17ROCPRIM_400000_NS6detail17trampoline_kernelINS0_14default_configENS1_25partition_config_selectorILNS1_17partition_subalgoE3EN6thrust23THRUST_200600_302600_NS5tupleIxxNS7_9null_typeES9_S9_S9_S9_S9_S9_S9_EENS0_10empty_typeEbEEZZNS1_14partition_implILS5_3ELb0ES3_jNS7_6detail15normal_iteratorINS7_7pointerISA_NS7_11hip_rocprim3tagENS7_11use_defaultESJ_EEEEPSB_SM_NS0_5tupleIJPSA_SM_EEENSN_IJSM_SM_EEESB_PlJ10is_orderedEEE10hipError_tPvRmT3_T4_T5_T6_T7_T9_mT8_P12ihipStream_tbDpT10_ENKUlT_T0_E_clISt17integral_constantIbLb1EES1C_EEDaS17_S18_EUlS17_E_NS1_11comp_targetILNS1_3genE2ELNS1_11target_archE906ELNS1_3gpuE6ELNS1_3repE0EEENS1_30default_config_static_selectorELNS0_4arch9wavefront6targetE1EEEvT1_,@function
_ZN7rocprim17ROCPRIM_400000_NS6detail17trampoline_kernelINS0_14default_configENS1_25partition_config_selectorILNS1_17partition_subalgoE3EN6thrust23THRUST_200600_302600_NS5tupleIxxNS7_9null_typeES9_S9_S9_S9_S9_S9_S9_EENS0_10empty_typeEbEEZZNS1_14partition_implILS5_3ELb0ES3_jNS7_6detail15normal_iteratorINS7_7pointerISA_NS7_11hip_rocprim3tagENS7_11use_defaultESJ_EEEEPSB_SM_NS0_5tupleIJPSA_SM_EEENSN_IJSM_SM_EEESB_PlJ10is_orderedEEE10hipError_tPvRmT3_T4_T5_T6_T7_T9_mT8_P12ihipStream_tbDpT10_ENKUlT_T0_E_clISt17integral_constantIbLb1EES1C_EEDaS17_S18_EUlS17_E_NS1_11comp_targetILNS1_3genE2ELNS1_11target_archE906ELNS1_3gpuE6ELNS1_3repE0EEENS1_30default_config_static_selectorELNS0_4arch9wavefront6targetE1EEEvT1_: ; @_ZN7rocprim17ROCPRIM_400000_NS6detail17trampoline_kernelINS0_14default_configENS1_25partition_config_selectorILNS1_17partition_subalgoE3EN6thrust23THRUST_200600_302600_NS5tupleIxxNS7_9null_typeES9_S9_S9_S9_S9_S9_S9_EENS0_10empty_typeEbEEZZNS1_14partition_implILS5_3ELb0ES3_jNS7_6detail15normal_iteratorINS7_7pointerISA_NS7_11hip_rocprim3tagENS7_11use_defaultESJ_EEEEPSB_SM_NS0_5tupleIJPSA_SM_EEENSN_IJSM_SM_EEESB_PlJ10is_orderedEEE10hipError_tPvRmT3_T4_T5_T6_T7_T9_mT8_P12ihipStream_tbDpT10_ENKUlT_T0_E_clISt17integral_constantIbLb1EES1C_EEDaS17_S18_EUlS17_E_NS1_11comp_targetILNS1_3genE2ELNS1_11target_archE906ELNS1_3gpuE6ELNS1_3repE0EEENS1_30default_config_static_selectorELNS0_4arch9wavefront6targetE1EEEvT1_
; %bb.0:
	.section	.rodata,"a",@progbits
	.p2align	6, 0x0
	.amdhsa_kernel _ZN7rocprim17ROCPRIM_400000_NS6detail17trampoline_kernelINS0_14default_configENS1_25partition_config_selectorILNS1_17partition_subalgoE3EN6thrust23THRUST_200600_302600_NS5tupleIxxNS7_9null_typeES9_S9_S9_S9_S9_S9_S9_EENS0_10empty_typeEbEEZZNS1_14partition_implILS5_3ELb0ES3_jNS7_6detail15normal_iteratorINS7_7pointerISA_NS7_11hip_rocprim3tagENS7_11use_defaultESJ_EEEEPSB_SM_NS0_5tupleIJPSA_SM_EEENSN_IJSM_SM_EEESB_PlJ10is_orderedEEE10hipError_tPvRmT3_T4_T5_T6_T7_T9_mT8_P12ihipStream_tbDpT10_ENKUlT_T0_E_clISt17integral_constantIbLb1EES1C_EEDaS17_S18_EUlS17_E_NS1_11comp_targetILNS1_3genE2ELNS1_11target_archE906ELNS1_3gpuE6ELNS1_3repE0EEENS1_30default_config_static_selectorELNS0_4arch9wavefront6targetE1EEEvT1_
		.amdhsa_group_segment_fixed_size 0
		.amdhsa_private_segment_fixed_size 0
		.amdhsa_kernarg_size 136
		.amdhsa_user_sgpr_count 6
		.amdhsa_user_sgpr_private_segment_buffer 1
		.amdhsa_user_sgpr_dispatch_ptr 0
		.amdhsa_user_sgpr_queue_ptr 0
		.amdhsa_user_sgpr_kernarg_segment_ptr 1
		.amdhsa_user_sgpr_dispatch_id 0
		.amdhsa_user_sgpr_flat_scratch_init 0
		.amdhsa_user_sgpr_kernarg_preload_length 0
		.amdhsa_user_sgpr_kernarg_preload_offset 0
		.amdhsa_user_sgpr_private_segment_size 0
		.amdhsa_uses_dynamic_stack 0
		.amdhsa_system_sgpr_private_segment_wavefront_offset 0
		.amdhsa_system_sgpr_workgroup_id_x 1
		.amdhsa_system_sgpr_workgroup_id_y 0
		.amdhsa_system_sgpr_workgroup_id_z 0
		.amdhsa_system_sgpr_workgroup_info 0
		.amdhsa_system_vgpr_workitem_id 0
		.amdhsa_next_free_vgpr 1
		.amdhsa_next_free_sgpr 0
		.amdhsa_accum_offset 4
		.amdhsa_reserve_vcc 0
		.amdhsa_reserve_flat_scratch 0
		.amdhsa_float_round_mode_32 0
		.amdhsa_float_round_mode_16_64 0
		.amdhsa_float_denorm_mode_32 3
		.amdhsa_float_denorm_mode_16_64 3
		.amdhsa_dx10_clamp 1
		.amdhsa_ieee_mode 1
		.amdhsa_fp16_overflow 0
		.amdhsa_tg_split 0
		.amdhsa_exception_fp_ieee_invalid_op 0
		.amdhsa_exception_fp_denorm_src 0
		.amdhsa_exception_fp_ieee_div_zero 0
		.amdhsa_exception_fp_ieee_overflow 0
		.amdhsa_exception_fp_ieee_underflow 0
		.amdhsa_exception_fp_ieee_inexact 0
		.amdhsa_exception_int_div_zero 0
	.end_amdhsa_kernel
	.section	.text._ZN7rocprim17ROCPRIM_400000_NS6detail17trampoline_kernelINS0_14default_configENS1_25partition_config_selectorILNS1_17partition_subalgoE3EN6thrust23THRUST_200600_302600_NS5tupleIxxNS7_9null_typeES9_S9_S9_S9_S9_S9_S9_EENS0_10empty_typeEbEEZZNS1_14partition_implILS5_3ELb0ES3_jNS7_6detail15normal_iteratorINS7_7pointerISA_NS7_11hip_rocprim3tagENS7_11use_defaultESJ_EEEEPSB_SM_NS0_5tupleIJPSA_SM_EEENSN_IJSM_SM_EEESB_PlJ10is_orderedEEE10hipError_tPvRmT3_T4_T5_T6_T7_T9_mT8_P12ihipStream_tbDpT10_ENKUlT_T0_E_clISt17integral_constantIbLb1EES1C_EEDaS17_S18_EUlS17_E_NS1_11comp_targetILNS1_3genE2ELNS1_11target_archE906ELNS1_3gpuE6ELNS1_3repE0EEENS1_30default_config_static_selectorELNS0_4arch9wavefront6targetE1EEEvT1_,"axG",@progbits,_ZN7rocprim17ROCPRIM_400000_NS6detail17trampoline_kernelINS0_14default_configENS1_25partition_config_selectorILNS1_17partition_subalgoE3EN6thrust23THRUST_200600_302600_NS5tupleIxxNS7_9null_typeES9_S9_S9_S9_S9_S9_S9_EENS0_10empty_typeEbEEZZNS1_14partition_implILS5_3ELb0ES3_jNS7_6detail15normal_iteratorINS7_7pointerISA_NS7_11hip_rocprim3tagENS7_11use_defaultESJ_EEEEPSB_SM_NS0_5tupleIJPSA_SM_EEENSN_IJSM_SM_EEESB_PlJ10is_orderedEEE10hipError_tPvRmT3_T4_T5_T6_T7_T9_mT8_P12ihipStream_tbDpT10_ENKUlT_T0_E_clISt17integral_constantIbLb1EES1C_EEDaS17_S18_EUlS17_E_NS1_11comp_targetILNS1_3genE2ELNS1_11target_archE906ELNS1_3gpuE6ELNS1_3repE0EEENS1_30default_config_static_selectorELNS0_4arch9wavefront6targetE1EEEvT1_,comdat
.Lfunc_end3467:
	.size	_ZN7rocprim17ROCPRIM_400000_NS6detail17trampoline_kernelINS0_14default_configENS1_25partition_config_selectorILNS1_17partition_subalgoE3EN6thrust23THRUST_200600_302600_NS5tupleIxxNS7_9null_typeES9_S9_S9_S9_S9_S9_S9_EENS0_10empty_typeEbEEZZNS1_14partition_implILS5_3ELb0ES3_jNS7_6detail15normal_iteratorINS7_7pointerISA_NS7_11hip_rocprim3tagENS7_11use_defaultESJ_EEEEPSB_SM_NS0_5tupleIJPSA_SM_EEENSN_IJSM_SM_EEESB_PlJ10is_orderedEEE10hipError_tPvRmT3_T4_T5_T6_T7_T9_mT8_P12ihipStream_tbDpT10_ENKUlT_T0_E_clISt17integral_constantIbLb1EES1C_EEDaS17_S18_EUlS17_E_NS1_11comp_targetILNS1_3genE2ELNS1_11target_archE906ELNS1_3gpuE6ELNS1_3repE0EEENS1_30default_config_static_selectorELNS0_4arch9wavefront6targetE1EEEvT1_, .Lfunc_end3467-_ZN7rocprim17ROCPRIM_400000_NS6detail17trampoline_kernelINS0_14default_configENS1_25partition_config_selectorILNS1_17partition_subalgoE3EN6thrust23THRUST_200600_302600_NS5tupleIxxNS7_9null_typeES9_S9_S9_S9_S9_S9_S9_EENS0_10empty_typeEbEEZZNS1_14partition_implILS5_3ELb0ES3_jNS7_6detail15normal_iteratorINS7_7pointerISA_NS7_11hip_rocprim3tagENS7_11use_defaultESJ_EEEEPSB_SM_NS0_5tupleIJPSA_SM_EEENSN_IJSM_SM_EEESB_PlJ10is_orderedEEE10hipError_tPvRmT3_T4_T5_T6_T7_T9_mT8_P12ihipStream_tbDpT10_ENKUlT_T0_E_clISt17integral_constantIbLb1EES1C_EEDaS17_S18_EUlS17_E_NS1_11comp_targetILNS1_3genE2ELNS1_11target_archE906ELNS1_3gpuE6ELNS1_3repE0EEENS1_30default_config_static_selectorELNS0_4arch9wavefront6targetE1EEEvT1_
                                        ; -- End function
	.section	.AMDGPU.csdata,"",@progbits
; Kernel info:
; codeLenInByte = 0
; NumSgprs: 4
; NumVgprs: 0
; NumAgprs: 0
; TotalNumVgprs: 0
; ScratchSize: 0
; MemoryBound: 0
; FloatMode: 240
; IeeeMode: 1
; LDSByteSize: 0 bytes/workgroup (compile time only)
; SGPRBlocks: 0
; VGPRBlocks: 0
; NumSGPRsForWavesPerEU: 4
; NumVGPRsForWavesPerEU: 1
; AccumOffset: 4
; Occupancy: 8
; WaveLimiterHint : 0
; COMPUTE_PGM_RSRC2:SCRATCH_EN: 0
; COMPUTE_PGM_RSRC2:USER_SGPR: 6
; COMPUTE_PGM_RSRC2:TRAP_HANDLER: 0
; COMPUTE_PGM_RSRC2:TGID_X_EN: 1
; COMPUTE_PGM_RSRC2:TGID_Y_EN: 0
; COMPUTE_PGM_RSRC2:TGID_Z_EN: 0
; COMPUTE_PGM_RSRC2:TIDIG_COMP_CNT: 0
; COMPUTE_PGM_RSRC3_GFX90A:ACCUM_OFFSET: 0
; COMPUTE_PGM_RSRC3_GFX90A:TG_SPLIT: 0
	.section	.text._ZN7rocprim17ROCPRIM_400000_NS6detail17trampoline_kernelINS0_14default_configENS1_25partition_config_selectorILNS1_17partition_subalgoE3EN6thrust23THRUST_200600_302600_NS5tupleIxxNS7_9null_typeES9_S9_S9_S9_S9_S9_S9_EENS0_10empty_typeEbEEZZNS1_14partition_implILS5_3ELb0ES3_jNS7_6detail15normal_iteratorINS7_7pointerISA_NS7_11hip_rocprim3tagENS7_11use_defaultESJ_EEEEPSB_SM_NS0_5tupleIJPSA_SM_EEENSN_IJSM_SM_EEESB_PlJ10is_orderedEEE10hipError_tPvRmT3_T4_T5_T6_T7_T9_mT8_P12ihipStream_tbDpT10_ENKUlT_T0_E_clISt17integral_constantIbLb1EES1C_EEDaS17_S18_EUlS17_E_NS1_11comp_targetILNS1_3genE10ELNS1_11target_archE1200ELNS1_3gpuE4ELNS1_3repE0EEENS1_30default_config_static_selectorELNS0_4arch9wavefront6targetE1EEEvT1_,"axG",@progbits,_ZN7rocprim17ROCPRIM_400000_NS6detail17trampoline_kernelINS0_14default_configENS1_25partition_config_selectorILNS1_17partition_subalgoE3EN6thrust23THRUST_200600_302600_NS5tupleIxxNS7_9null_typeES9_S9_S9_S9_S9_S9_S9_EENS0_10empty_typeEbEEZZNS1_14partition_implILS5_3ELb0ES3_jNS7_6detail15normal_iteratorINS7_7pointerISA_NS7_11hip_rocprim3tagENS7_11use_defaultESJ_EEEEPSB_SM_NS0_5tupleIJPSA_SM_EEENSN_IJSM_SM_EEESB_PlJ10is_orderedEEE10hipError_tPvRmT3_T4_T5_T6_T7_T9_mT8_P12ihipStream_tbDpT10_ENKUlT_T0_E_clISt17integral_constantIbLb1EES1C_EEDaS17_S18_EUlS17_E_NS1_11comp_targetILNS1_3genE10ELNS1_11target_archE1200ELNS1_3gpuE4ELNS1_3repE0EEENS1_30default_config_static_selectorELNS0_4arch9wavefront6targetE1EEEvT1_,comdat
	.protected	_ZN7rocprim17ROCPRIM_400000_NS6detail17trampoline_kernelINS0_14default_configENS1_25partition_config_selectorILNS1_17partition_subalgoE3EN6thrust23THRUST_200600_302600_NS5tupleIxxNS7_9null_typeES9_S9_S9_S9_S9_S9_S9_EENS0_10empty_typeEbEEZZNS1_14partition_implILS5_3ELb0ES3_jNS7_6detail15normal_iteratorINS7_7pointerISA_NS7_11hip_rocprim3tagENS7_11use_defaultESJ_EEEEPSB_SM_NS0_5tupleIJPSA_SM_EEENSN_IJSM_SM_EEESB_PlJ10is_orderedEEE10hipError_tPvRmT3_T4_T5_T6_T7_T9_mT8_P12ihipStream_tbDpT10_ENKUlT_T0_E_clISt17integral_constantIbLb1EES1C_EEDaS17_S18_EUlS17_E_NS1_11comp_targetILNS1_3genE10ELNS1_11target_archE1200ELNS1_3gpuE4ELNS1_3repE0EEENS1_30default_config_static_selectorELNS0_4arch9wavefront6targetE1EEEvT1_ ; -- Begin function _ZN7rocprim17ROCPRIM_400000_NS6detail17trampoline_kernelINS0_14default_configENS1_25partition_config_selectorILNS1_17partition_subalgoE3EN6thrust23THRUST_200600_302600_NS5tupleIxxNS7_9null_typeES9_S9_S9_S9_S9_S9_S9_EENS0_10empty_typeEbEEZZNS1_14partition_implILS5_3ELb0ES3_jNS7_6detail15normal_iteratorINS7_7pointerISA_NS7_11hip_rocprim3tagENS7_11use_defaultESJ_EEEEPSB_SM_NS0_5tupleIJPSA_SM_EEENSN_IJSM_SM_EEESB_PlJ10is_orderedEEE10hipError_tPvRmT3_T4_T5_T6_T7_T9_mT8_P12ihipStream_tbDpT10_ENKUlT_T0_E_clISt17integral_constantIbLb1EES1C_EEDaS17_S18_EUlS17_E_NS1_11comp_targetILNS1_3genE10ELNS1_11target_archE1200ELNS1_3gpuE4ELNS1_3repE0EEENS1_30default_config_static_selectorELNS0_4arch9wavefront6targetE1EEEvT1_
	.globl	_ZN7rocprim17ROCPRIM_400000_NS6detail17trampoline_kernelINS0_14default_configENS1_25partition_config_selectorILNS1_17partition_subalgoE3EN6thrust23THRUST_200600_302600_NS5tupleIxxNS7_9null_typeES9_S9_S9_S9_S9_S9_S9_EENS0_10empty_typeEbEEZZNS1_14partition_implILS5_3ELb0ES3_jNS7_6detail15normal_iteratorINS7_7pointerISA_NS7_11hip_rocprim3tagENS7_11use_defaultESJ_EEEEPSB_SM_NS0_5tupleIJPSA_SM_EEENSN_IJSM_SM_EEESB_PlJ10is_orderedEEE10hipError_tPvRmT3_T4_T5_T6_T7_T9_mT8_P12ihipStream_tbDpT10_ENKUlT_T0_E_clISt17integral_constantIbLb1EES1C_EEDaS17_S18_EUlS17_E_NS1_11comp_targetILNS1_3genE10ELNS1_11target_archE1200ELNS1_3gpuE4ELNS1_3repE0EEENS1_30default_config_static_selectorELNS0_4arch9wavefront6targetE1EEEvT1_
	.p2align	8
	.type	_ZN7rocprim17ROCPRIM_400000_NS6detail17trampoline_kernelINS0_14default_configENS1_25partition_config_selectorILNS1_17partition_subalgoE3EN6thrust23THRUST_200600_302600_NS5tupleIxxNS7_9null_typeES9_S9_S9_S9_S9_S9_S9_EENS0_10empty_typeEbEEZZNS1_14partition_implILS5_3ELb0ES3_jNS7_6detail15normal_iteratorINS7_7pointerISA_NS7_11hip_rocprim3tagENS7_11use_defaultESJ_EEEEPSB_SM_NS0_5tupleIJPSA_SM_EEENSN_IJSM_SM_EEESB_PlJ10is_orderedEEE10hipError_tPvRmT3_T4_T5_T6_T7_T9_mT8_P12ihipStream_tbDpT10_ENKUlT_T0_E_clISt17integral_constantIbLb1EES1C_EEDaS17_S18_EUlS17_E_NS1_11comp_targetILNS1_3genE10ELNS1_11target_archE1200ELNS1_3gpuE4ELNS1_3repE0EEENS1_30default_config_static_selectorELNS0_4arch9wavefront6targetE1EEEvT1_,@function
_ZN7rocprim17ROCPRIM_400000_NS6detail17trampoline_kernelINS0_14default_configENS1_25partition_config_selectorILNS1_17partition_subalgoE3EN6thrust23THRUST_200600_302600_NS5tupleIxxNS7_9null_typeES9_S9_S9_S9_S9_S9_S9_EENS0_10empty_typeEbEEZZNS1_14partition_implILS5_3ELb0ES3_jNS7_6detail15normal_iteratorINS7_7pointerISA_NS7_11hip_rocprim3tagENS7_11use_defaultESJ_EEEEPSB_SM_NS0_5tupleIJPSA_SM_EEENSN_IJSM_SM_EEESB_PlJ10is_orderedEEE10hipError_tPvRmT3_T4_T5_T6_T7_T9_mT8_P12ihipStream_tbDpT10_ENKUlT_T0_E_clISt17integral_constantIbLb1EES1C_EEDaS17_S18_EUlS17_E_NS1_11comp_targetILNS1_3genE10ELNS1_11target_archE1200ELNS1_3gpuE4ELNS1_3repE0EEENS1_30default_config_static_selectorELNS0_4arch9wavefront6targetE1EEEvT1_: ; @_ZN7rocprim17ROCPRIM_400000_NS6detail17trampoline_kernelINS0_14default_configENS1_25partition_config_selectorILNS1_17partition_subalgoE3EN6thrust23THRUST_200600_302600_NS5tupleIxxNS7_9null_typeES9_S9_S9_S9_S9_S9_S9_EENS0_10empty_typeEbEEZZNS1_14partition_implILS5_3ELb0ES3_jNS7_6detail15normal_iteratorINS7_7pointerISA_NS7_11hip_rocprim3tagENS7_11use_defaultESJ_EEEEPSB_SM_NS0_5tupleIJPSA_SM_EEENSN_IJSM_SM_EEESB_PlJ10is_orderedEEE10hipError_tPvRmT3_T4_T5_T6_T7_T9_mT8_P12ihipStream_tbDpT10_ENKUlT_T0_E_clISt17integral_constantIbLb1EES1C_EEDaS17_S18_EUlS17_E_NS1_11comp_targetILNS1_3genE10ELNS1_11target_archE1200ELNS1_3gpuE4ELNS1_3repE0EEENS1_30default_config_static_selectorELNS0_4arch9wavefront6targetE1EEEvT1_
; %bb.0:
	.section	.rodata,"a",@progbits
	.p2align	6, 0x0
	.amdhsa_kernel _ZN7rocprim17ROCPRIM_400000_NS6detail17trampoline_kernelINS0_14default_configENS1_25partition_config_selectorILNS1_17partition_subalgoE3EN6thrust23THRUST_200600_302600_NS5tupleIxxNS7_9null_typeES9_S9_S9_S9_S9_S9_S9_EENS0_10empty_typeEbEEZZNS1_14partition_implILS5_3ELb0ES3_jNS7_6detail15normal_iteratorINS7_7pointerISA_NS7_11hip_rocprim3tagENS7_11use_defaultESJ_EEEEPSB_SM_NS0_5tupleIJPSA_SM_EEENSN_IJSM_SM_EEESB_PlJ10is_orderedEEE10hipError_tPvRmT3_T4_T5_T6_T7_T9_mT8_P12ihipStream_tbDpT10_ENKUlT_T0_E_clISt17integral_constantIbLb1EES1C_EEDaS17_S18_EUlS17_E_NS1_11comp_targetILNS1_3genE10ELNS1_11target_archE1200ELNS1_3gpuE4ELNS1_3repE0EEENS1_30default_config_static_selectorELNS0_4arch9wavefront6targetE1EEEvT1_
		.amdhsa_group_segment_fixed_size 0
		.amdhsa_private_segment_fixed_size 0
		.amdhsa_kernarg_size 136
		.amdhsa_user_sgpr_count 6
		.amdhsa_user_sgpr_private_segment_buffer 1
		.amdhsa_user_sgpr_dispatch_ptr 0
		.amdhsa_user_sgpr_queue_ptr 0
		.amdhsa_user_sgpr_kernarg_segment_ptr 1
		.amdhsa_user_sgpr_dispatch_id 0
		.amdhsa_user_sgpr_flat_scratch_init 0
		.amdhsa_user_sgpr_kernarg_preload_length 0
		.amdhsa_user_sgpr_kernarg_preload_offset 0
		.amdhsa_user_sgpr_private_segment_size 0
		.amdhsa_uses_dynamic_stack 0
		.amdhsa_system_sgpr_private_segment_wavefront_offset 0
		.amdhsa_system_sgpr_workgroup_id_x 1
		.amdhsa_system_sgpr_workgroup_id_y 0
		.amdhsa_system_sgpr_workgroup_id_z 0
		.amdhsa_system_sgpr_workgroup_info 0
		.amdhsa_system_vgpr_workitem_id 0
		.amdhsa_next_free_vgpr 1
		.amdhsa_next_free_sgpr 0
		.amdhsa_accum_offset 4
		.amdhsa_reserve_vcc 0
		.amdhsa_reserve_flat_scratch 0
		.amdhsa_float_round_mode_32 0
		.amdhsa_float_round_mode_16_64 0
		.amdhsa_float_denorm_mode_32 3
		.amdhsa_float_denorm_mode_16_64 3
		.amdhsa_dx10_clamp 1
		.amdhsa_ieee_mode 1
		.amdhsa_fp16_overflow 0
		.amdhsa_tg_split 0
		.amdhsa_exception_fp_ieee_invalid_op 0
		.amdhsa_exception_fp_denorm_src 0
		.amdhsa_exception_fp_ieee_div_zero 0
		.amdhsa_exception_fp_ieee_overflow 0
		.amdhsa_exception_fp_ieee_underflow 0
		.amdhsa_exception_fp_ieee_inexact 0
		.amdhsa_exception_int_div_zero 0
	.end_amdhsa_kernel
	.section	.text._ZN7rocprim17ROCPRIM_400000_NS6detail17trampoline_kernelINS0_14default_configENS1_25partition_config_selectorILNS1_17partition_subalgoE3EN6thrust23THRUST_200600_302600_NS5tupleIxxNS7_9null_typeES9_S9_S9_S9_S9_S9_S9_EENS0_10empty_typeEbEEZZNS1_14partition_implILS5_3ELb0ES3_jNS7_6detail15normal_iteratorINS7_7pointerISA_NS7_11hip_rocprim3tagENS7_11use_defaultESJ_EEEEPSB_SM_NS0_5tupleIJPSA_SM_EEENSN_IJSM_SM_EEESB_PlJ10is_orderedEEE10hipError_tPvRmT3_T4_T5_T6_T7_T9_mT8_P12ihipStream_tbDpT10_ENKUlT_T0_E_clISt17integral_constantIbLb1EES1C_EEDaS17_S18_EUlS17_E_NS1_11comp_targetILNS1_3genE10ELNS1_11target_archE1200ELNS1_3gpuE4ELNS1_3repE0EEENS1_30default_config_static_selectorELNS0_4arch9wavefront6targetE1EEEvT1_,"axG",@progbits,_ZN7rocprim17ROCPRIM_400000_NS6detail17trampoline_kernelINS0_14default_configENS1_25partition_config_selectorILNS1_17partition_subalgoE3EN6thrust23THRUST_200600_302600_NS5tupleIxxNS7_9null_typeES9_S9_S9_S9_S9_S9_S9_EENS0_10empty_typeEbEEZZNS1_14partition_implILS5_3ELb0ES3_jNS7_6detail15normal_iteratorINS7_7pointerISA_NS7_11hip_rocprim3tagENS7_11use_defaultESJ_EEEEPSB_SM_NS0_5tupleIJPSA_SM_EEENSN_IJSM_SM_EEESB_PlJ10is_orderedEEE10hipError_tPvRmT3_T4_T5_T6_T7_T9_mT8_P12ihipStream_tbDpT10_ENKUlT_T0_E_clISt17integral_constantIbLb1EES1C_EEDaS17_S18_EUlS17_E_NS1_11comp_targetILNS1_3genE10ELNS1_11target_archE1200ELNS1_3gpuE4ELNS1_3repE0EEENS1_30default_config_static_selectorELNS0_4arch9wavefront6targetE1EEEvT1_,comdat
.Lfunc_end3468:
	.size	_ZN7rocprim17ROCPRIM_400000_NS6detail17trampoline_kernelINS0_14default_configENS1_25partition_config_selectorILNS1_17partition_subalgoE3EN6thrust23THRUST_200600_302600_NS5tupleIxxNS7_9null_typeES9_S9_S9_S9_S9_S9_S9_EENS0_10empty_typeEbEEZZNS1_14partition_implILS5_3ELb0ES3_jNS7_6detail15normal_iteratorINS7_7pointerISA_NS7_11hip_rocprim3tagENS7_11use_defaultESJ_EEEEPSB_SM_NS0_5tupleIJPSA_SM_EEENSN_IJSM_SM_EEESB_PlJ10is_orderedEEE10hipError_tPvRmT3_T4_T5_T6_T7_T9_mT8_P12ihipStream_tbDpT10_ENKUlT_T0_E_clISt17integral_constantIbLb1EES1C_EEDaS17_S18_EUlS17_E_NS1_11comp_targetILNS1_3genE10ELNS1_11target_archE1200ELNS1_3gpuE4ELNS1_3repE0EEENS1_30default_config_static_selectorELNS0_4arch9wavefront6targetE1EEEvT1_, .Lfunc_end3468-_ZN7rocprim17ROCPRIM_400000_NS6detail17trampoline_kernelINS0_14default_configENS1_25partition_config_selectorILNS1_17partition_subalgoE3EN6thrust23THRUST_200600_302600_NS5tupleIxxNS7_9null_typeES9_S9_S9_S9_S9_S9_S9_EENS0_10empty_typeEbEEZZNS1_14partition_implILS5_3ELb0ES3_jNS7_6detail15normal_iteratorINS7_7pointerISA_NS7_11hip_rocprim3tagENS7_11use_defaultESJ_EEEEPSB_SM_NS0_5tupleIJPSA_SM_EEENSN_IJSM_SM_EEESB_PlJ10is_orderedEEE10hipError_tPvRmT3_T4_T5_T6_T7_T9_mT8_P12ihipStream_tbDpT10_ENKUlT_T0_E_clISt17integral_constantIbLb1EES1C_EEDaS17_S18_EUlS17_E_NS1_11comp_targetILNS1_3genE10ELNS1_11target_archE1200ELNS1_3gpuE4ELNS1_3repE0EEENS1_30default_config_static_selectorELNS0_4arch9wavefront6targetE1EEEvT1_
                                        ; -- End function
	.section	.AMDGPU.csdata,"",@progbits
; Kernel info:
; codeLenInByte = 0
; NumSgprs: 4
; NumVgprs: 0
; NumAgprs: 0
; TotalNumVgprs: 0
; ScratchSize: 0
; MemoryBound: 0
; FloatMode: 240
; IeeeMode: 1
; LDSByteSize: 0 bytes/workgroup (compile time only)
; SGPRBlocks: 0
; VGPRBlocks: 0
; NumSGPRsForWavesPerEU: 4
; NumVGPRsForWavesPerEU: 1
; AccumOffset: 4
; Occupancy: 8
; WaveLimiterHint : 0
; COMPUTE_PGM_RSRC2:SCRATCH_EN: 0
; COMPUTE_PGM_RSRC2:USER_SGPR: 6
; COMPUTE_PGM_RSRC2:TRAP_HANDLER: 0
; COMPUTE_PGM_RSRC2:TGID_X_EN: 1
; COMPUTE_PGM_RSRC2:TGID_Y_EN: 0
; COMPUTE_PGM_RSRC2:TGID_Z_EN: 0
; COMPUTE_PGM_RSRC2:TIDIG_COMP_CNT: 0
; COMPUTE_PGM_RSRC3_GFX90A:ACCUM_OFFSET: 0
; COMPUTE_PGM_RSRC3_GFX90A:TG_SPLIT: 0
	.section	.text._ZN7rocprim17ROCPRIM_400000_NS6detail17trampoline_kernelINS0_14default_configENS1_25partition_config_selectorILNS1_17partition_subalgoE3EN6thrust23THRUST_200600_302600_NS5tupleIxxNS7_9null_typeES9_S9_S9_S9_S9_S9_S9_EENS0_10empty_typeEbEEZZNS1_14partition_implILS5_3ELb0ES3_jNS7_6detail15normal_iteratorINS7_7pointerISA_NS7_11hip_rocprim3tagENS7_11use_defaultESJ_EEEEPSB_SM_NS0_5tupleIJPSA_SM_EEENSN_IJSM_SM_EEESB_PlJ10is_orderedEEE10hipError_tPvRmT3_T4_T5_T6_T7_T9_mT8_P12ihipStream_tbDpT10_ENKUlT_T0_E_clISt17integral_constantIbLb1EES1C_EEDaS17_S18_EUlS17_E_NS1_11comp_targetILNS1_3genE9ELNS1_11target_archE1100ELNS1_3gpuE3ELNS1_3repE0EEENS1_30default_config_static_selectorELNS0_4arch9wavefront6targetE1EEEvT1_,"axG",@progbits,_ZN7rocprim17ROCPRIM_400000_NS6detail17trampoline_kernelINS0_14default_configENS1_25partition_config_selectorILNS1_17partition_subalgoE3EN6thrust23THRUST_200600_302600_NS5tupleIxxNS7_9null_typeES9_S9_S9_S9_S9_S9_S9_EENS0_10empty_typeEbEEZZNS1_14partition_implILS5_3ELb0ES3_jNS7_6detail15normal_iteratorINS7_7pointerISA_NS7_11hip_rocprim3tagENS7_11use_defaultESJ_EEEEPSB_SM_NS0_5tupleIJPSA_SM_EEENSN_IJSM_SM_EEESB_PlJ10is_orderedEEE10hipError_tPvRmT3_T4_T5_T6_T7_T9_mT8_P12ihipStream_tbDpT10_ENKUlT_T0_E_clISt17integral_constantIbLb1EES1C_EEDaS17_S18_EUlS17_E_NS1_11comp_targetILNS1_3genE9ELNS1_11target_archE1100ELNS1_3gpuE3ELNS1_3repE0EEENS1_30default_config_static_selectorELNS0_4arch9wavefront6targetE1EEEvT1_,comdat
	.protected	_ZN7rocprim17ROCPRIM_400000_NS6detail17trampoline_kernelINS0_14default_configENS1_25partition_config_selectorILNS1_17partition_subalgoE3EN6thrust23THRUST_200600_302600_NS5tupleIxxNS7_9null_typeES9_S9_S9_S9_S9_S9_S9_EENS0_10empty_typeEbEEZZNS1_14partition_implILS5_3ELb0ES3_jNS7_6detail15normal_iteratorINS7_7pointerISA_NS7_11hip_rocprim3tagENS7_11use_defaultESJ_EEEEPSB_SM_NS0_5tupleIJPSA_SM_EEENSN_IJSM_SM_EEESB_PlJ10is_orderedEEE10hipError_tPvRmT3_T4_T5_T6_T7_T9_mT8_P12ihipStream_tbDpT10_ENKUlT_T0_E_clISt17integral_constantIbLb1EES1C_EEDaS17_S18_EUlS17_E_NS1_11comp_targetILNS1_3genE9ELNS1_11target_archE1100ELNS1_3gpuE3ELNS1_3repE0EEENS1_30default_config_static_selectorELNS0_4arch9wavefront6targetE1EEEvT1_ ; -- Begin function _ZN7rocprim17ROCPRIM_400000_NS6detail17trampoline_kernelINS0_14default_configENS1_25partition_config_selectorILNS1_17partition_subalgoE3EN6thrust23THRUST_200600_302600_NS5tupleIxxNS7_9null_typeES9_S9_S9_S9_S9_S9_S9_EENS0_10empty_typeEbEEZZNS1_14partition_implILS5_3ELb0ES3_jNS7_6detail15normal_iteratorINS7_7pointerISA_NS7_11hip_rocprim3tagENS7_11use_defaultESJ_EEEEPSB_SM_NS0_5tupleIJPSA_SM_EEENSN_IJSM_SM_EEESB_PlJ10is_orderedEEE10hipError_tPvRmT3_T4_T5_T6_T7_T9_mT8_P12ihipStream_tbDpT10_ENKUlT_T0_E_clISt17integral_constantIbLb1EES1C_EEDaS17_S18_EUlS17_E_NS1_11comp_targetILNS1_3genE9ELNS1_11target_archE1100ELNS1_3gpuE3ELNS1_3repE0EEENS1_30default_config_static_selectorELNS0_4arch9wavefront6targetE1EEEvT1_
	.globl	_ZN7rocprim17ROCPRIM_400000_NS6detail17trampoline_kernelINS0_14default_configENS1_25partition_config_selectorILNS1_17partition_subalgoE3EN6thrust23THRUST_200600_302600_NS5tupleIxxNS7_9null_typeES9_S9_S9_S9_S9_S9_S9_EENS0_10empty_typeEbEEZZNS1_14partition_implILS5_3ELb0ES3_jNS7_6detail15normal_iteratorINS7_7pointerISA_NS7_11hip_rocprim3tagENS7_11use_defaultESJ_EEEEPSB_SM_NS0_5tupleIJPSA_SM_EEENSN_IJSM_SM_EEESB_PlJ10is_orderedEEE10hipError_tPvRmT3_T4_T5_T6_T7_T9_mT8_P12ihipStream_tbDpT10_ENKUlT_T0_E_clISt17integral_constantIbLb1EES1C_EEDaS17_S18_EUlS17_E_NS1_11comp_targetILNS1_3genE9ELNS1_11target_archE1100ELNS1_3gpuE3ELNS1_3repE0EEENS1_30default_config_static_selectorELNS0_4arch9wavefront6targetE1EEEvT1_
	.p2align	8
	.type	_ZN7rocprim17ROCPRIM_400000_NS6detail17trampoline_kernelINS0_14default_configENS1_25partition_config_selectorILNS1_17partition_subalgoE3EN6thrust23THRUST_200600_302600_NS5tupleIxxNS7_9null_typeES9_S9_S9_S9_S9_S9_S9_EENS0_10empty_typeEbEEZZNS1_14partition_implILS5_3ELb0ES3_jNS7_6detail15normal_iteratorINS7_7pointerISA_NS7_11hip_rocprim3tagENS7_11use_defaultESJ_EEEEPSB_SM_NS0_5tupleIJPSA_SM_EEENSN_IJSM_SM_EEESB_PlJ10is_orderedEEE10hipError_tPvRmT3_T4_T5_T6_T7_T9_mT8_P12ihipStream_tbDpT10_ENKUlT_T0_E_clISt17integral_constantIbLb1EES1C_EEDaS17_S18_EUlS17_E_NS1_11comp_targetILNS1_3genE9ELNS1_11target_archE1100ELNS1_3gpuE3ELNS1_3repE0EEENS1_30default_config_static_selectorELNS0_4arch9wavefront6targetE1EEEvT1_,@function
_ZN7rocprim17ROCPRIM_400000_NS6detail17trampoline_kernelINS0_14default_configENS1_25partition_config_selectorILNS1_17partition_subalgoE3EN6thrust23THRUST_200600_302600_NS5tupleIxxNS7_9null_typeES9_S9_S9_S9_S9_S9_S9_EENS0_10empty_typeEbEEZZNS1_14partition_implILS5_3ELb0ES3_jNS7_6detail15normal_iteratorINS7_7pointerISA_NS7_11hip_rocprim3tagENS7_11use_defaultESJ_EEEEPSB_SM_NS0_5tupleIJPSA_SM_EEENSN_IJSM_SM_EEESB_PlJ10is_orderedEEE10hipError_tPvRmT3_T4_T5_T6_T7_T9_mT8_P12ihipStream_tbDpT10_ENKUlT_T0_E_clISt17integral_constantIbLb1EES1C_EEDaS17_S18_EUlS17_E_NS1_11comp_targetILNS1_3genE9ELNS1_11target_archE1100ELNS1_3gpuE3ELNS1_3repE0EEENS1_30default_config_static_selectorELNS0_4arch9wavefront6targetE1EEEvT1_: ; @_ZN7rocprim17ROCPRIM_400000_NS6detail17trampoline_kernelINS0_14default_configENS1_25partition_config_selectorILNS1_17partition_subalgoE3EN6thrust23THRUST_200600_302600_NS5tupleIxxNS7_9null_typeES9_S9_S9_S9_S9_S9_S9_EENS0_10empty_typeEbEEZZNS1_14partition_implILS5_3ELb0ES3_jNS7_6detail15normal_iteratorINS7_7pointerISA_NS7_11hip_rocprim3tagENS7_11use_defaultESJ_EEEEPSB_SM_NS0_5tupleIJPSA_SM_EEENSN_IJSM_SM_EEESB_PlJ10is_orderedEEE10hipError_tPvRmT3_T4_T5_T6_T7_T9_mT8_P12ihipStream_tbDpT10_ENKUlT_T0_E_clISt17integral_constantIbLb1EES1C_EEDaS17_S18_EUlS17_E_NS1_11comp_targetILNS1_3genE9ELNS1_11target_archE1100ELNS1_3gpuE3ELNS1_3repE0EEENS1_30default_config_static_selectorELNS0_4arch9wavefront6targetE1EEEvT1_
; %bb.0:
	.section	.rodata,"a",@progbits
	.p2align	6, 0x0
	.amdhsa_kernel _ZN7rocprim17ROCPRIM_400000_NS6detail17trampoline_kernelINS0_14default_configENS1_25partition_config_selectorILNS1_17partition_subalgoE3EN6thrust23THRUST_200600_302600_NS5tupleIxxNS7_9null_typeES9_S9_S9_S9_S9_S9_S9_EENS0_10empty_typeEbEEZZNS1_14partition_implILS5_3ELb0ES3_jNS7_6detail15normal_iteratorINS7_7pointerISA_NS7_11hip_rocprim3tagENS7_11use_defaultESJ_EEEEPSB_SM_NS0_5tupleIJPSA_SM_EEENSN_IJSM_SM_EEESB_PlJ10is_orderedEEE10hipError_tPvRmT3_T4_T5_T6_T7_T9_mT8_P12ihipStream_tbDpT10_ENKUlT_T0_E_clISt17integral_constantIbLb1EES1C_EEDaS17_S18_EUlS17_E_NS1_11comp_targetILNS1_3genE9ELNS1_11target_archE1100ELNS1_3gpuE3ELNS1_3repE0EEENS1_30default_config_static_selectorELNS0_4arch9wavefront6targetE1EEEvT1_
		.amdhsa_group_segment_fixed_size 0
		.amdhsa_private_segment_fixed_size 0
		.amdhsa_kernarg_size 136
		.amdhsa_user_sgpr_count 6
		.amdhsa_user_sgpr_private_segment_buffer 1
		.amdhsa_user_sgpr_dispatch_ptr 0
		.amdhsa_user_sgpr_queue_ptr 0
		.amdhsa_user_sgpr_kernarg_segment_ptr 1
		.amdhsa_user_sgpr_dispatch_id 0
		.amdhsa_user_sgpr_flat_scratch_init 0
		.amdhsa_user_sgpr_kernarg_preload_length 0
		.amdhsa_user_sgpr_kernarg_preload_offset 0
		.amdhsa_user_sgpr_private_segment_size 0
		.amdhsa_uses_dynamic_stack 0
		.amdhsa_system_sgpr_private_segment_wavefront_offset 0
		.amdhsa_system_sgpr_workgroup_id_x 1
		.amdhsa_system_sgpr_workgroup_id_y 0
		.amdhsa_system_sgpr_workgroup_id_z 0
		.amdhsa_system_sgpr_workgroup_info 0
		.amdhsa_system_vgpr_workitem_id 0
		.amdhsa_next_free_vgpr 1
		.amdhsa_next_free_sgpr 0
		.amdhsa_accum_offset 4
		.amdhsa_reserve_vcc 0
		.amdhsa_reserve_flat_scratch 0
		.amdhsa_float_round_mode_32 0
		.amdhsa_float_round_mode_16_64 0
		.amdhsa_float_denorm_mode_32 3
		.amdhsa_float_denorm_mode_16_64 3
		.amdhsa_dx10_clamp 1
		.amdhsa_ieee_mode 1
		.amdhsa_fp16_overflow 0
		.amdhsa_tg_split 0
		.amdhsa_exception_fp_ieee_invalid_op 0
		.amdhsa_exception_fp_denorm_src 0
		.amdhsa_exception_fp_ieee_div_zero 0
		.amdhsa_exception_fp_ieee_overflow 0
		.amdhsa_exception_fp_ieee_underflow 0
		.amdhsa_exception_fp_ieee_inexact 0
		.amdhsa_exception_int_div_zero 0
	.end_amdhsa_kernel
	.section	.text._ZN7rocprim17ROCPRIM_400000_NS6detail17trampoline_kernelINS0_14default_configENS1_25partition_config_selectorILNS1_17partition_subalgoE3EN6thrust23THRUST_200600_302600_NS5tupleIxxNS7_9null_typeES9_S9_S9_S9_S9_S9_S9_EENS0_10empty_typeEbEEZZNS1_14partition_implILS5_3ELb0ES3_jNS7_6detail15normal_iteratorINS7_7pointerISA_NS7_11hip_rocprim3tagENS7_11use_defaultESJ_EEEEPSB_SM_NS0_5tupleIJPSA_SM_EEENSN_IJSM_SM_EEESB_PlJ10is_orderedEEE10hipError_tPvRmT3_T4_T5_T6_T7_T9_mT8_P12ihipStream_tbDpT10_ENKUlT_T0_E_clISt17integral_constantIbLb1EES1C_EEDaS17_S18_EUlS17_E_NS1_11comp_targetILNS1_3genE9ELNS1_11target_archE1100ELNS1_3gpuE3ELNS1_3repE0EEENS1_30default_config_static_selectorELNS0_4arch9wavefront6targetE1EEEvT1_,"axG",@progbits,_ZN7rocprim17ROCPRIM_400000_NS6detail17trampoline_kernelINS0_14default_configENS1_25partition_config_selectorILNS1_17partition_subalgoE3EN6thrust23THRUST_200600_302600_NS5tupleIxxNS7_9null_typeES9_S9_S9_S9_S9_S9_S9_EENS0_10empty_typeEbEEZZNS1_14partition_implILS5_3ELb0ES3_jNS7_6detail15normal_iteratorINS7_7pointerISA_NS7_11hip_rocprim3tagENS7_11use_defaultESJ_EEEEPSB_SM_NS0_5tupleIJPSA_SM_EEENSN_IJSM_SM_EEESB_PlJ10is_orderedEEE10hipError_tPvRmT3_T4_T5_T6_T7_T9_mT8_P12ihipStream_tbDpT10_ENKUlT_T0_E_clISt17integral_constantIbLb1EES1C_EEDaS17_S18_EUlS17_E_NS1_11comp_targetILNS1_3genE9ELNS1_11target_archE1100ELNS1_3gpuE3ELNS1_3repE0EEENS1_30default_config_static_selectorELNS0_4arch9wavefront6targetE1EEEvT1_,comdat
.Lfunc_end3469:
	.size	_ZN7rocprim17ROCPRIM_400000_NS6detail17trampoline_kernelINS0_14default_configENS1_25partition_config_selectorILNS1_17partition_subalgoE3EN6thrust23THRUST_200600_302600_NS5tupleIxxNS7_9null_typeES9_S9_S9_S9_S9_S9_S9_EENS0_10empty_typeEbEEZZNS1_14partition_implILS5_3ELb0ES3_jNS7_6detail15normal_iteratorINS7_7pointerISA_NS7_11hip_rocprim3tagENS7_11use_defaultESJ_EEEEPSB_SM_NS0_5tupleIJPSA_SM_EEENSN_IJSM_SM_EEESB_PlJ10is_orderedEEE10hipError_tPvRmT3_T4_T5_T6_T7_T9_mT8_P12ihipStream_tbDpT10_ENKUlT_T0_E_clISt17integral_constantIbLb1EES1C_EEDaS17_S18_EUlS17_E_NS1_11comp_targetILNS1_3genE9ELNS1_11target_archE1100ELNS1_3gpuE3ELNS1_3repE0EEENS1_30default_config_static_selectorELNS0_4arch9wavefront6targetE1EEEvT1_, .Lfunc_end3469-_ZN7rocprim17ROCPRIM_400000_NS6detail17trampoline_kernelINS0_14default_configENS1_25partition_config_selectorILNS1_17partition_subalgoE3EN6thrust23THRUST_200600_302600_NS5tupleIxxNS7_9null_typeES9_S9_S9_S9_S9_S9_S9_EENS0_10empty_typeEbEEZZNS1_14partition_implILS5_3ELb0ES3_jNS7_6detail15normal_iteratorINS7_7pointerISA_NS7_11hip_rocprim3tagENS7_11use_defaultESJ_EEEEPSB_SM_NS0_5tupleIJPSA_SM_EEENSN_IJSM_SM_EEESB_PlJ10is_orderedEEE10hipError_tPvRmT3_T4_T5_T6_T7_T9_mT8_P12ihipStream_tbDpT10_ENKUlT_T0_E_clISt17integral_constantIbLb1EES1C_EEDaS17_S18_EUlS17_E_NS1_11comp_targetILNS1_3genE9ELNS1_11target_archE1100ELNS1_3gpuE3ELNS1_3repE0EEENS1_30default_config_static_selectorELNS0_4arch9wavefront6targetE1EEEvT1_
                                        ; -- End function
	.section	.AMDGPU.csdata,"",@progbits
; Kernel info:
; codeLenInByte = 0
; NumSgprs: 4
; NumVgprs: 0
; NumAgprs: 0
; TotalNumVgprs: 0
; ScratchSize: 0
; MemoryBound: 0
; FloatMode: 240
; IeeeMode: 1
; LDSByteSize: 0 bytes/workgroup (compile time only)
; SGPRBlocks: 0
; VGPRBlocks: 0
; NumSGPRsForWavesPerEU: 4
; NumVGPRsForWavesPerEU: 1
; AccumOffset: 4
; Occupancy: 8
; WaveLimiterHint : 0
; COMPUTE_PGM_RSRC2:SCRATCH_EN: 0
; COMPUTE_PGM_RSRC2:USER_SGPR: 6
; COMPUTE_PGM_RSRC2:TRAP_HANDLER: 0
; COMPUTE_PGM_RSRC2:TGID_X_EN: 1
; COMPUTE_PGM_RSRC2:TGID_Y_EN: 0
; COMPUTE_PGM_RSRC2:TGID_Z_EN: 0
; COMPUTE_PGM_RSRC2:TIDIG_COMP_CNT: 0
; COMPUTE_PGM_RSRC3_GFX90A:ACCUM_OFFSET: 0
; COMPUTE_PGM_RSRC3_GFX90A:TG_SPLIT: 0
	.section	.text._ZN7rocprim17ROCPRIM_400000_NS6detail17trampoline_kernelINS0_14default_configENS1_25partition_config_selectorILNS1_17partition_subalgoE3EN6thrust23THRUST_200600_302600_NS5tupleIxxNS7_9null_typeES9_S9_S9_S9_S9_S9_S9_EENS0_10empty_typeEbEEZZNS1_14partition_implILS5_3ELb0ES3_jNS7_6detail15normal_iteratorINS7_7pointerISA_NS7_11hip_rocprim3tagENS7_11use_defaultESJ_EEEEPSB_SM_NS0_5tupleIJPSA_SM_EEENSN_IJSM_SM_EEESB_PlJ10is_orderedEEE10hipError_tPvRmT3_T4_T5_T6_T7_T9_mT8_P12ihipStream_tbDpT10_ENKUlT_T0_E_clISt17integral_constantIbLb1EES1C_EEDaS17_S18_EUlS17_E_NS1_11comp_targetILNS1_3genE8ELNS1_11target_archE1030ELNS1_3gpuE2ELNS1_3repE0EEENS1_30default_config_static_selectorELNS0_4arch9wavefront6targetE1EEEvT1_,"axG",@progbits,_ZN7rocprim17ROCPRIM_400000_NS6detail17trampoline_kernelINS0_14default_configENS1_25partition_config_selectorILNS1_17partition_subalgoE3EN6thrust23THRUST_200600_302600_NS5tupleIxxNS7_9null_typeES9_S9_S9_S9_S9_S9_S9_EENS0_10empty_typeEbEEZZNS1_14partition_implILS5_3ELb0ES3_jNS7_6detail15normal_iteratorINS7_7pointerISA_NS7_11hip_rocprim3tagENS7_11use_defaultESJ_EEEEPSB_SM_NS0_5tupleIJPSA_SM_EEENSN_IJSM_SM_EEESB_PlJ10is_orderedEEE10hipError_tPvRmT3_T4_T5_T6_T7_T9_mT8_P12ihipStream_tbDpT10_ENKUlT_T0_E_clISt17integral_constantIbLb1EES1C_EEDaS17_S18_EUlS17_E_NS1_11comp_targetILNS1_3genE8ELNS1_11target_archE1030ELNS1_3gpuE2ELNS1_3repE0EEENS1_30default_config_static_selectorELNS0_4arch9wavefront6targetE1EEEvT1_,comdat
	.protected	_ZN7rocprim17ROCPRIM_400000_NS6detail17trampoline_kernelINS0_14default_configENS1_25partition_config_selectorILNS1_17partition_subalgoE3EN6thrust23THRUST_200600_302600_NS5tupleIxxNS7_9null_typeES9_S9_S9_S9_S9_S9_S9_EENS0_10empty_typeEbEEZZNS1_14partition_implILS5_3ELb0ES3_jNS7_6detail15normal_iteratorINS7_7pointerISA_NS7_11hip_rocprim3tagENS7_11use_defaultESJ_EEEEPSB_SM_NS0_5tupleIJPSA_SM_EEENSN_IJSM_SM_EEESB_PlJ10is_orderedEEE10hipError_tPvRmT3_T4_T5_T6_T7_T9_mT8_P12ihipStream_tbDpT10_ENKUlT_T0_E_clISt17integral_constantIbLb1EES1C_EEDaS17_S18_EUlS17_E_NS1_11comp_targetILNS1_3genE8ELNS1_11target_archE1030ELNS1_3gpuE2ELNS1_3repE0EEENS1_30default_config_static_selectorELNS0_4arch9wavefront6targetE1EEEvT1_ ; -- Begin function _ZN7rocprim17ROCPRIM_400000_NS6detail17trampoline_kernelINS0_14default_configENS1_25partition_config_selectorILNS1_17partition_subalgoE3EN6thrust23THRUST_200600_302600_NS5tupleIxxNS7_9null_typeES9_S9_S9_S9_S9_S9_S9_EENS0_10empty_typeEbEEZZNS1_14partition_implILS5_3ELb0ES3_jNS7_6detail15normal_iteratorINS7_7pointerISA_NS7_11hip_rocprim3tagENS7_11use_defaultESJ_EEEEPSB_SM_NS0_5tupleIJPSA_SM_EEENSN_IJSM_SM_EEESB_PlJ10is_orderedEEE10hipError_tPvRmT3_T4_T5_T6_T7_T9_mT8_P12ihipStream_tbDpT10_ENKUlT_T0_E_clISt17integral_constantIbLb1EES1C_EEDaS17_S18_EUlS17_E_NS1_11comp_targetILNS1_3genE8ELNS1_11target_archE1030ELNS1_3gpuE2ELNS1_3repE0EEENS1_30default_config_static_selectorELNS0_4arch9wavefront6targetE1EEEvT1_
	.globl	_ZN7rocprim17ROCPRIM_400000_NS6detail17trampoline_kernelINS0_14default_configENS1_25partition_config_selectorILNS1_17partition_subalgoE3EN6thrust23THRUST_200600_302600_NS5tupleIxxNS7_9null_typeES9_S9_S9_S9_S9_S9_S9_EENS0_10empty_typeEbEEZZNS1_14partition_implILS5_3ELb0ES3_jNS7_6detail15normal_iteratorINS7_7pointerISA_NS7_11hip_rocprim3tagENS7_11use_defaultESJ_EEEEPSB_SM_NS0_5tupleIJPSA_SM_EEENSN_IJSM_SM_EEESB_PlJ10is_orderedEEE10hipError_tPvRmT3_T4_T5_T6_T7_T9_mT8_P12ihipStream_tbDpT10_ENKUlT_T0_E_clISt17integral_constantIbLb1EES1C_EEDaS17_S18_EUlS17_E_NS1_11comp_targetILNS1_3genE8ELNS1_11target_archE1030ELNS1_3gpuE2ELNS1_3repE0EEENS1_30default_config_static_selectorELNS0_4arch9wavefront6targetE1EEEvT1_
	.p2align	8
	.type	_ZN7rocprim17ROCPRIM_400000_NS6detail17trampoline_kernelINS0_14default_configENS1_25partition_config_selectorILNS1_17partition_subalgoE3EN6thrust23THRUST_200600_302600_NS5tupleIxxNS7_9null_typeES9_S9_S9_S9_S9_S9_S9_EENS0_10empty_typeEbEEZZNS1_14partition_implILS5_3ELb0ES3_jNS7_6detail15normal_iteratorINS7_7pointerISA_NS7_11hip_rocprim3tagENS7_11use_defaultESJ_EEEEPSB_SM_NS0_5tupleIJPSA_SM_EEENSN_IJSM_SM_EEESB_PlJ10is_orderedEEE10hipError_tPvRmT3_T4_T5_T6_T7_T9_mT8_P12ihipStream_tbDpT10_ENKUlT_T0_E_clISt17integral_constantIbLb1EES1C_EEDaS17_S18_EUlS17_E_NS1_11comp_targetILNS1_3genE8ELNS1_11target_archE1030ELNS1_3gpuE2ELNS1_3repE0EEENS1_30default_config_static_selectorELNS0_4arch9wavefront6targetE1EEEvT1_,@function
_ZN7rocprim17ROCPRIM_400000_NS6detail17trampoline_kernelINS0_14default_configENS1_25partition_config_selectorILNS1_17partition_subalgoE3EN6thrust23THRUST_200600_302600_NS5tupleIxxNS7_9null_typeES9_S9_S9_S9_S9_S9_S9_EENS0_10empty_typeEbEEZZNS1_14partition_implILS5_3ELb0ES3_jNS7_6detail15normal_iteratorINS7_7pointerISA_NS7_11hip_rocprim3tagENS7_11use_defaultESJ_EEEEPSB_SM_NS0_5tupleIJPSA_SM_EEENSN_IJSM_SM_EEESB_PlJ10is_orderedEEE10hipError_tPvRmT3_T4_T5_T6_T7_T9_mT8_P12ihipStream_tbDpT10_ENKUlT_T0_E_clISt17integral_constantIbLb1EES1C_EEDaS17_S18_EUlS17_E_NS1_11comp_targetILNS1_3genE8ELNS1_11target_archE1030ELNS1_3gpuE2ELNS1_3repE0EEENS1_30default_config_static_selectorELNS0_4arch9wavefront6targetE1EEEvT1_: ; @_ZN7rocprim17ROCPRIM_400000_NS6detail17trampoline_kernelINS0_14default_configENS1_25partition_config_selectorILNS1_17partition_subalgoE3EN6thrust23THRUST_200600_302600_NS5tupleIxxNS7_9null_typeES9_S9_S9_S9_S9_S9_S9_EENS0_10empty_typeEbEEZZNS1_14partition_implILS5_3ELb0ES3_jNS7_6detail15normal_iteratorINS7_7pointerISA_NS7_11hip_rocprim3tagENS7_11use_defaultESJ_EEEEPSB_SM_NS0_5tupleIJPSA_SM_EEENSN_IJSM_SM_EEESB_PlJ10is_orderedEEE10hipError_tPvRmT3_T4_T5_T6_T7_T9_mT8_P12ihipStream_tbDpT10_ENKUlT_T0_E_clISt17integral_constantIbLb1EES1C_EEDaS17_S18_EUlS17_E_NS1_11comp_targetILNS1_3genE8ELNS1_11target_archE1030ELNS1_3gpuE2ELNS1_3repE0EEENS1_30default_config_static_selectorELNS0_4arch9wavefront6targetE1EEEvT1_
; %bb.0:
	.section	.rodata,"a",@progbits
	.p2align	6, 0x0
	.amdhsa_kernel _ZN7rocprim17ROCPRIM_400000_NS6detail17trampoline_kernelINS0_14default_configENS1_25partition_config_selectorILNS1_17partition_subalgoE3EN6thrust23THRUST_200600_302600_NS5tupleIxxNS7_9null_typeES9_S9_S9_S9_S9_S9_S9_EENS0_10empty_typeEbEEZZNS1_14partition_implILS5_3ELb0ES3_jNS7_6detail15normal_iteratorINS7_7pointerISA_NS7_11hip_rocprim3tagENS7_11use_defaultESJ_EEEEPSB_SM_NS0_5tupleIJPSA_SM_EEENSN_IJSM_SM_EEESB_PlJ10is_orderedEEE10hipError_tPvRmT3_T4_T5_T6_T7_T9_mT8_P12ihipStream_tbDpT10_ENKUlT_T0_E_clISt17integral_constantIbLb1EES1C_EEDaS17_S18_EUlS17_E_NS1_11comp_targetILNS1_3genE8ELNS1_11target_archE1030ELNS1_3gpuE2ELNS1_3repE0EEENS1_30default_config_static_selectorELNS0_4arch9wavefront6targetE1EEEvT1_
		.amdhsa_group_segment_fixed_size 0
		.amdhsa_private_segment_fixed_size 0
		.amdhsa_kernarg_size 136
		.amdhsa_user_sgpr_count 6
		.amdhsa_user_sgpr_private_segment_buffer 1
		.amdhsa_user_sgpr_dispatch_ptr 0
		.amdhsa_user_sgpr_queue_ptr 0
		.amdhsa_user_sgpr_kernarg_segment_ptr 1
		.amdhsa_user_sgpr_dispatch_id 0
		.amdhsa_user_sgpr_flat_scratch_init 0
		.amdhsa_user_sgpr_kernarg_preload_length 0
		.amdhsa_user_sgpr_kernarg_preload_offset 0
		.amdhsa_user_sgpr_private_segment_size 0
		.amdhsa_uses_dynamic_stack 0
		.amdhsa_system_sgpr_private_segment_wavefront_offset 0
		.amdhsa_system_sgpr_workgroup_id_x 1
		.amdhsa_system_sgpr_workgroup_id_y 0
		.amdhsa_system_sgpr_workgroup_id_z 0
		.amdhsa_system_sgpr_workgroup_info 0
		.amdhsa_system_vgpr_workitem_id 0
		.amdhsa_next_free_vgpr 1
		.amdhsa_next_free_sgpr 0
		.amdhsa_accum_offset 4
		.amdhsa_reserve_vcc 0
		.amdhsa_reserve_flat_scratch 0
		.amdhsa_float_round_mode_32 0
		.amdhsa_float_round_mode_16_64 0
		.amdhsa_float_denorm_mode_32 3
		.amdhsa_float_denorm_mode_16_64 3
		.amdhsa_dx10_clamp 1
		.amdhsa_ieee_mode 1
		.amdhsa_fp16_overflow 0
		.amdhsa_tg_split 0
		.amdhsa_exception_fp_ieee_invalid_op 0
		.amdhsa_exception_fp_denorm_src 0
		.amdhsa_exception_fp_ieee_div_zero 0
		.amdhsa_exception_fp_ieee_overflow 0
		.amdhsa_exception_fp_ieee_underflow 0
		.amdhsa_exception_fp_ieee_inexact 0
		.amdhsa_exception_int_div_zero 0
	.end_amdhsa_kernel
	.section	.text._ZN7rocprim17ROCPRIM_400000_NS6detail17trampoline_kernelINS0_14default_configENS1_25partition_config_selectorILNS1_17partition_subalgoE3EN6thrust23THRUST_200600_302600_NS5tupleIxxNS7_9null_typeES9_S9_S9_S9_S9_S9_S9_EENS0_10empty_typeEbEEZZNS1_14partition_implILS5_3ELb0ES3_jNS7_6detail15normal_iteratorINS7_7pointerISA_NS7_11hip_rocprim3tagENS7_11use_defaultESJ_EEEEPSB_SM_NS0_5tupleIJPSA_SM_EEENSN_IJSM_SM_EEESB_PlJ10is_orderedEEE10hipError_tPvRmT3_T4_T5_T6_T7_T9_mT8_P12ihipStream_tbDpT10_ENKUlT_T0_E_clISt17integral_constantIbLb1EES1C_EEDaS17_S18_EUlS17_E_NS1_11comp_targetILNS1_3genE8ELNS1_11target_archE1030ELNS1_3gpuE2ELNS1_3repE0EEENS1_30default_config_static_selectorELNS0_4arch9wavefront6targetE1EEEvT1_,"axG",@progbits,_ZN7rocprim17ROCPRIM_400000_NS6detail17trampoline_kernelINS0_14default_configENS1_25partition_config_selectorILNS1_17partition_subalgoE3EN6thrust23THRUST_200600_302600_NS5tupleIxxNS7_9null_typeES9_S9_S9_S9_S9_S9_S9_EENS0_10empty_typeEbEEZZNS1_14partition_implILS5_3ELb0ES3_jNS7_6detail15normal_iteratorINS7_7pointerISA_NS7_11hip_rocprim3tagENS7_11use_defaultESJ_EEEEPSB_SM_NS0_5tupleIJPSA_SM_EEENSN_IJSM_SM_EEESB_PlJ10is_orderedEEE10hipError_tPvRmT3_T4_T5_T6_T7_T9_mT8_P12ihipStream_tbDpT10_ENKUlT_T0_E_clISt17integral_constantIbLb1EES1C_EEDaS17_S18_EUlS17_E_NS1_11comp_targetILNS1_3genE8ELNS1_11target_archE1030ELNS1_3gpuE2ELNS1_3repE0EEENS1_30default_config_static_selectorELNS0_4arch9wavefront6targetE1EEEvT1_,comdat
.Lfunc_end3470:
	.size	_ZN7rocprim17ROCPRIM_400000_NS6detail17trampoline_kernelINS0_14default_configENS1_25partition_config_selectorILNS1_17partition_subalgoE3EN6thrust23THRUST_200600_302600_NS5tupleIxxNS7_9null_typeES9_S9_S9_S9_S9_S9_S9_EENS0_10empty_typeEbEEZZNS1_14partition_implILS5_3ELb0ES3_jNS7_6detail15normal_iteratorINS7_7pointerISA_NS7_11hip_rocprim3tagENS7_11use_defaultESJ_EEEEPSB_SM_NS0_5tupleIJPSA_SM_EEENSN_IJSM_SM_EEESB_PlJ10is_orderedEEE10hipError_tPvRmT3_T4_T5_T6_T7_T9_mT8_P12ihipStream_tbDpT10_ENKUlT_T0_E_clISt17integral_constantIbLb1EES1C_EEDaS17_S18_EUlS17_E_NS1_11comp_targetILNS1_3genE8ELNS1_11target_archE1030ELNS1_3gpuE2ELNS1_3repE0EEENS1_30default_config_static_selectorELNS0_4arch9wavefront6targetE1EEEvT1_, .Lfunc_end3470-_ZN7rocprim17ROCPRIM_400000_NS6detail17trampoline_kernelINS0_14default_configENS1_25partition_config_selectorILNS1_17partition_subalgoE3EN6thrust23THRUST_200600_302600_NS5tupleIxxNS7_9null_typeES9_S9_S9_S9_S9_S9_S9_EENS0_10empty_typeEbEEZZNS1_14partition_implILS5_3ELb0ES3_jNS7_6detail15normal_iteratorINS7_7pointerISA_NS7_11hip_rocprim3tagENS7_11use_defaultESJ_EEEEPSB_SM_NS0_5tupleIJPSA_SM_EEENSN_IJSM_SM_EEESB_PlJ10is_orderedEEE10hipError_tPvRmT3_T4_T5_T6_T7_T9_mT8_P12ihipStream_tbDpT10_ENKUlT_T0_E_clISt17integral_constantIbLb1EES1C_EEDaS17_S18_EUlS17_E_NS1_11comp_targetILNS1_3genE8ELNS1_11target_archE1030ELNS1_3gpuE2ELNS1_3repE0EEENS1_30default_config_static_selectorELNS0_4arch9wavefront6targetE1EEEvT1_
                                        ; -- End function
	.section	.AMDGPU.csdata,"",@progbits
; Kernel info:
; codeLenInByte = 0
; NumSgprs: 4
; NumVgprs: 0
; NumAgprs: 0
; TotalNumVgprs: 0
; ScratchSize: 0
; MemoryBound: 0
; FloatMode: 240
; IeeeMode: 1
; LDSByteSize: 0 bytes/workgroup (compile time only)
; SGPRBlocks: 0
; VGPRBlocks: 0
; NumSGPRsForWavesPerEU: 4
; NumVGPRsForWavesPerEU: 1
; AccumOffset: 4
; Occupancy: 8
; WaveLimiterHint : 0
; COMPUTE_PGM_RSRC2:SCRATCH_EN: 0
; COMPUTE_PGM_RSRC2:USER_SGPR: 6
; COMPUTE_PGM_RSRC2:TRAP_HANDLER: 0
; COMPUTE_PGM_RSRC2:TGID_X_EN: 1
; COMPUTE_PGM_RSRC2:TGID_Y_EN: 0
; COMPUTE_PGM_RSRC2:TGID_Z_EN: 0
; COMPUTE_PGM_RSRC2:TIDIG_COMP_CNT: 0
; COMPUTE_PGM_RSRC3_GFX90A:ACCUM_OFFSET: 0
; COMPUTE_PGM_RSRC3_GFX90A:TG_SPLIT: 0
	.section	.text._ZN7rocprim17ROCPRIM_400000_NS6detail17trampoline_kernelINS0_14default_configENS1_25partition_config_selectorILNS1_17partition_subalgoE3EN6thrust23THRUST_200600_302600_NS5tupleIxxNS7_9null_typeES9_S9_S9_S9_S9_S9_S9_EENS0_10empty_typeEbEEZZNS1_14partition_implILS5_3ELb0ES3_jNS7_6detail15normal_iteratorINS7_7pointerISA_NS7_11hip_rocprim3tagENS7_11use_defaultESJ_EEEEPSB_SM_NS0_5tupleIJPSA_SM_EEENSN_IJSM_SM_EEESB_PlJ10is_orderedEEE10hipError_tPvRmT3_T4_T5_T6_T7_T9_mT8_P12ihipStream_tbDpT10_ENKUlT_T0_E_clISt17integral_constantIbLb1EES1B_IbLb0EEEEDaS17_S18_EUlS17_E_NS1_11comp_targetILNS1_3genE0ELNS1_11target_archE4294967295ELNS1_3gpuE0ELNS1_3repE0EEENS1_30default_config_static_selectorELNS0_4arch9wavefront6targetE1EEEvT1_,"axG",@progbits,_ZN7rocprim17ROCPRIM_400000_NS6detail17trampoline_kernelINS0_14default_configENS1_25partition_config_selectorILNS1_17partition_subalgoE3EN6thrust23THRUST_200600_302600_NS5tupleIxxNS7_9null_typeES9_S9_S9_S9_S9_S9_S9_EENS0_10empty_typeEbEEZZNS1_14partition_implILS5_3ELb0ES3_jNS7_6detail15normal_iteratorINS7_7pointerISA_NS7_11hip_rocprim3tagENS7_11use_defaultESJ_EEEEPSB_SM_NS0_5tupleIJPSA_SM_EEENSN_IJSM_SM_EEESB_PlJ10is_orderedEEE10hipError_tPvRmT3_T4_T5_T6_T7_T9_mT8_P12ihipStream_tbDpT10_ENKUlT_T0_E_clISt17integral_constantIbLb1EES1B_IbLb0EEEEDaS17_S18_EUlS17_E_NS1_11comp_targetILNS1_3genE0ELNS1_11target_archE4294967295ELNS1_3gpuE0ELNS1_3repE0EEENS1_30default_config_static_selectorELNS0_4arch9wavefront6targetE1EEEvT1_,comdat
	.protected	_ZN7rocprim17ROCPRIM_400000_NS6detail17trampoline_kernelINS0_14default_configENS1_25partition_config_selectorILNS1_17partition_subalgoE3EN6thrust23THRUST_200600_302600_NS5tupleIxxNS7_9null_typeES9_S9_S9_S9_S9_S9_S9_EENS0_10empty_typeEbEEZZNS1_14partition_implILS5_3ELb0ES3_jNS7_6detail15normal_iteratorINS7_7pointerISA_NS7_11hip_rocprim3tagENS7_11use_defaultESJ_EEEEPSB_SM_NS0_5tupleIJPSA_SM_EEENSN_IJSM_SM_EEESB_PlJ10is_orderedEEE10hipError_tPvRmT3_T4_T5_T6_T7_T9_mT8_P12ihipStream_tbDpT10_ENKUlT_T0_E_clISt17integral_constantIbLb1EES1B_IbLb0EEEEDaS17_S18_EUlS17_E_NS1_11comp_targetILNS1_3genE0ELNS1_11target_archE4294967295ELNS1_3gpuE0ELNS1_3repE0EEENS1_30default_config_static_selectorELNS0_4arch9wavefront6targetE1EEEvT1_ ; -- Begin function _ZN7rocprim17ROCPRIM_400000_NS6detail17trampoline_kernelINS0_14default_configENS1_25partition_config_selectorILNS1_17partition_subalgoE3EN6thrust23THRUST_200600_302600_NS5tupleIxxNS7_9null_typeES9_S9_S9_S9_S9_S9_S9_EENS0_10empty_typeEbEEZZNS1_14partition_implILS5_3ELb0ES3_jNS7_6detail15normal_iteratorINS7_7pointerISA_NS7_11hip_rocprim3tagENS7_11use_defaultESJ_EEEEPSB_SM_NS0_5tupleIJPSA_SM_EEENSN_IJSM_SM_EEESB_PlJ10is_orderedEEE10hipError_tPvRmT3_T4_T5_T6_T7_T9_mT8_P12ihipStream_tbDpT10_ENKUlT_T0_E_clISt17integral_constantIbLb1EES1B_IbLb0EEEEDaS17_S18_EUlS17_E_NS1_11comp_targetILNS1_3genE0ELNS1_11target_archE4294967295ELNS1_3gpuE0ELNS1_3repE0EEENS1_30default_config_static_selectorELNS0_4arch9wavefront6targetE1EEEvT1_
	.globl	_ZN7rocprim17ROCPRIM_400000_NS6detail17trampoline_kernelINS0_14default_configENS1_25partition_config_selectorILNS1_17partition_subalgoE3EN6thrust23THRUST_200600_302600_NS5tupleIxxNS7_9null_typeES9_S9_S9_S9_S9_S9_S9_EENS0_10empty_typeEbEEZZNS1_14partition_implILS5_3ELb0ES3_jNS7_6detail15normal_iteratorINS7_7pointerISA_NS7_11hip_rocprim3tagENS7_11use_defaultESJ_EEEEPSB_SM_NS0_5tupleIJPSA_SM_EEENSN_IJSM_SM_EEESB_PlJ10is_orderedEEE10hipError_tPvRmT3_T4_T5_T6_T7_T9_mT8_P12ihipStream_tbDpT10_ENKUlT_T0_E_clISt17integral_constantIbLb1EES1B_IbLb0EEEEDaS17_S18_EUlS17_E_NS1_11comp_targetILNS1_3genE0ELNS1_11target_archE4294967295ELNS1_3gpuE0ELNS1_3repE0EEENS1_30default_config_static_selectorELNS0_4arch9wavefront6targetE1EEEvT1_
	.p2align	8
	.type	_ZN7rocprim17ROCPRIM_400000_NS6detail17trampoline_kernelINS0_14default_configENS1_25partition_config_selectorILNS1_17partition_subalgoE3EN6thrust23THRUST_200600_302600_NS5tupleIxxNS7_9null_typeES9_S9_S9_S9_S9_S9_S9_EENS0_10empty_typeEbEEZZNS1_14partition_implILS5_3ELb0ES3_jNS7_6detail15normal_iteratorINS7_7pointerISA_NS7_11hip_rocprim3tagENS7_11use_defaultESJ_EEEEPSB_SM_NS0_5tupleIJPSA_SM_EEENSN_IJSM_SM_EEESB_PlJ10is_orderedEEE10hipError_tPvRmT3_T4_T5_T6_T7_T9_mT8_P12ihipStream_tbDpT10_ENKUlT_T0_E_clISt17integral_constantIbLb1EES1B_IbLb0EEEEDaS17_S18_EUlS17_E_NS1_11comp_targetILNS1_3genE0ELNS1_11target_archE4294967295ELNS1_3gpuE0ELNS1_3repE0EEENS1_30default_config_static_selectorELNS0_4arch9wavefront6targetE1EEEvT1_,@function
_ZN7rocprim17ROCPRIM_400000_NS6detail17trampoline_kernelINS0_14default_configENS1_25partition_config_selectorILNS1_17partition_subalgoE3EN6thrust23THRUST_200600_302600_NS5tupleIxxNS7_9null_typeES9_S9_S9_S9_S9_S9_S9_EENS0_10empty_typeEbEEZZNS1_14partition_implILS5_3ELb0ES3_jNS7_6detail15normal_iteratorINS7_7pointerISA_NS7_11hip_rocprim3tagENS7_11use_defaultESJ_EEEEPSB_SM_NS0_5tupleIJPSA_SM_EEENSN_IJSM_SM_EEESB_PlJ10is_orderedEEE10hipError_tPvRmT3_T4_T5_T6_T7_T9_mT8_P12ihipStream_tbDpT10_ENKUlT_T0_E_clISt17integral_constantIbLb1EES1B_IbLb0EEEEDaS17_S18_EUlS17_E_NS1_11comp_targetILNS1_3genE0ELNS1_11target_archE4294967295ELNS1_3gpuE0ELNS1_3repE0EEENS1_30default_config_static_selectorELNS0_4arch9wavefront6targetE1EEEvT1_: ; @_ZN7rocprim17ROCPRIM_400000_NS6detail17trampoline_kernelINS0_14default_configENS1_25partition_config_selectorILNS1_17partition_subalgoE3EN6thrust23THRUST_200600_302600_NS5tupleIxxNS7_9null_typeES9_S9_S9_S9_S9_S9_S9_EENS0_10empty_typeEbEEZZNS1_14partition_implILS5_3ELb0ES3_jNS7_6detail15normal_iteratorINS7_7pointerISA_NS7_11hip_rocprim3tagENS7_11use_defaultESJ_EEEEPSB_SM_NS0_5tupleIJPSA_SM_EEENSN_IJSM_SM_EEESB_PlJ10is_orderedEEE10hipError_tPvRmT3_T4_T5_T6_T7_T9_mT8_P12ihipStream_tbDpT10_ENKUlT_T0_E_clISt17integral_constantIbLb1EES1B_IbLb0EEEEDaS17_S18_EUlS17_E_NS1_11comp_targetILNS1_3genE0ELNS1_11target_archE4294967295ELNS1_3gpuE0ELNS1_3repE0EEENS1_30default_config_static_selectorELNS0_4arch9wavefront6targetE1EEEvT1_
; %bb.0:
	.section	.rodata,"a",@progbits
	.p2align	6, 0x0
	.amdhsa_kernel _ZN7rocprim17ROCPRIM_400000_NS6detail17trampoline_kernelINS0_14default_configENS1_25partition_config_selectorILNS1_17partition_subalgoE3EN6thrust23THRUST_200600_302600_NS5tupleIxxNS7_9null_typeES9_S9_S9_S9_S9_S9_S9_EENS0_10empty_typeEbEEZZNS1_14partition_implILS5_3ELb0ES3_jNS7_6detail15normal_iteratorINS7_7pointerISA_NS7_11hip_rocprim3tagENS7_11use_defaultESJ_EEEEPSB_SM_NS0_5tupleIJPSA_SM_EEENSN_IJSM_SM_EEESB_PlJ10is_orderedEEE10hipError_tPvRmT3_T4_T5_T6_T7_T9_mT8_P12ihipStream_tbDpT10_ENKUlT_T0_E_clISt17integral_constantIbLb1EES1B_IbLb0EEEEDaS17_S18_EUlS17_E_NS1_11comp_targetILNS1_3genE0ELNS1_11target_archE4294967295ELNS1_3gpuE0ELNS1_3repE0EEENS1_30default_config_static_selectorELNS0_4arch9wavefront6targetE1EEEvT1_
		.amdhsa_group_segment_fixed_size 0
		.amdhsa_private_segment_fixed_size 0
		.amdhsa_kernarg_size 120
		.amdhsa_user_sgpr_count 6
		.amdhsa_user_sgpr_private_segment_buffer 1
		.amdhsa_user_sgpr_dispatch_ptr 0
		.amdhsa_user_sgpr_queue_ptr 0
		.amdhsa_user_sgpr_kernarg_segment_ptr 1
		.amdhsa_user_sgpr_dispatch_id 0
		.amdhsa_user_sgpr_flat_scratch_init 0
		.amdhsa_user_sgpr_kernarg_preload_length 0
		.amdhsa_user_sgpr_kernarg_preload_offset 0
		.amdhsa_user_sgpr_private_segment_size 0
		.amdhsa_uses_dynamic_stack 0
		.amdhsa_system_sgpr_private_segment_wavefront_offset 0
		.amdhsa_system_sgpr_workgroup_id_x 1
		.amdhsa_system_sgpr_workgroup_id_y 0
		.amdhsa_system_sgpr_workgroup_id_z 0
		.amdhsa_system_sgpr_workgroup_info 0
		.amdhsa_system_vgpr_workitem_id 0
		.amdhsa_next_free_vgpr 1
		.amdhsa_next_free_sgpr 0
		.amdhsa_accum_offset 4
		.amdhsa_reserve_vcc 0
		.amdhsa_reserve_flat_scratch 0
		.amdhsa_float_round_mode_32 0
		.amdhsa_float_round_mode_16_64 0
		.amdhsa_float_denorm_mode_32 3
		.amdhsa_float_denorm_mode_16_64 3
		.amdhsa_dx10_clamp 1
		.amdhsa_ieee_mode 1
		.amdhsa_fp16_overflow 0
		.amdhsa_tg_split 0
		.amdhsa_exception_fp_ieee_invalid_op 0
		.amdhsa_exception_fp_denorm_src 0
		.amdhsa_exception_fp_ieee_div_zero 0
		.amdhsa_exception_fp_ieee_overflow 0
		.amdhsa_exception_fp_ieee_underflow 0
		.amdhsa_exception_fp_ieee_inexact 0
		.amdhsa_exception_int_div_zero 0
	.end_amdhsa_kernel
	.section	.text._ZN7rocprim17ROCPRIM_400000_NS6detail17trampoline_kernelINS0_14default_configENS1_25partition_config_selectorILNS1_17partition_subalgoE3EN6thrust23THRUST_200600_302600_NS5tupleIxxNS7_9null_typeES9_S9_S9_S9_S9_S9_S9_EENS0_10empty_typeEbEEZZNS1_14partition_implILS5_3ELb0ES3_jNS7_6detail15normal_iteratorINS7_7pointerISA_NS7_11hip_rocprim3tagENS7_11use_defaultESJ_EEEEPSB_SM_NS0_5tupleIJPSA_SM_EEENSN_IJSM_SM_EEESB_PlJ10is_orderedEEE10hipError_tPvRmT3_T4_T5_T6_T7_T9_mT8_P12ihipStream_tbDpT10_ENKUlT_T0_E_clISt17integral_constantIbLb1EES1B_IbLb0EEEEDaS17_S18_EUlS17_E_NS1_11comp_targetILNS1_3genE0ELNS1_11target_archE4294967295ELNS1_3gpuE0ELNS1_3repE0EEENS1_30default_config_static_selectorELNS0_4arch9wavefront6targetE1EEEvT1_,"axG",@progbits,_ZN7rocprim17ROCPRIM_400000_NS6detail17trampoline_kernelINS0_14default_configENS1_25partition_config_selectorILNS1_17partition_subalgoE3EN6thrust23THRUST_200600_302600_NS5tupleIxxNS7_9null_typeES9_S9_S9_S9_S9_S9_S9_EENS0_10empty_typeEbEEZZNS1_14partition_implILS5_3ELb0ES3_jNS7_6detail15normal_iteratorINS7_7pointerISA_NS7_11hip_rocprim3tagENS7_11use_defaultESJ_EEEEPSB_SM_NS0_5tupleIJPSA_SM_EEENSN_IJSM_SM_EEESB_PlJ10is_orderedEEE10hipError_tPvRmT3_T4_T5_T6_T7_T9_mT8_P12ihipStream_tbDpT10_ENKUlT_T0_E_clISt17integral_constantIbLb1EES1B_IbLb0EEEEDaS17_S18_EUlS17_E_NS1_11comp_targetILNS1_3genE0ELNS1_11target_archE4294967295ELNS1_3gpuE0ELNS1_3repE0EEENS1_30default_config_static_selectorELNS0_4arch9wavefront6targetE1EEEvT1_,comdat
.Lfunc_end3471:
	.size	_ZN7rocprim17ROCPRIM_400000_NS6detail17trampoline_kernelINS0_14default_configENS1_25partition_config_selectorILNS1_17partition_subalgoE3EN6thrust23THRUST_200600_302600_NS5tupleIxxNS7_9null_typeES9_S9_S9_S9_S9_S9_S9_EENS0_10empty_typeEbEEZZNS1_14partition_implILS5_3ELb0ES3_jNS7_6detail15normal_iteratorINS7_7pointerISA_NS7_11hip_rocprim3tagENS7_11use_defaultESJ_EEEEPSB_SM_NS0_5tupleIJPSA_SM_EEENSN_IJSM_SM_EEESB_PlJ10is_orderedEEE10hipError_tPvRmT3_T4_T5_T6_T7_T9_mT8_P12ihipStream_tbDpT10_ENKUlT_T0_E_clISt17integral_constantIbLb1EES1B_IbLb0EEEEDaS17_S18_EUlS17_E_NS1_11comp_targetILNS1_3genE0ELNS1_11target_archE4294967295ELNS1_3gpuE0ELNS1_3repE0EEENS1_30default_config_static_selectorELNS0_4arch9wavefront6targetE1EEEvT1_, .Lfunc_end3471-_ZN7rocprim17ROCPRIM_400000_NS6detail17trampoline_kernelINS0_14default_configENS1_25partition_config_selectorILNS1_17partition_subalgoE3EN6thrust23THRUST_200600_302600_NS5tupleIxxNS7_9null_typeES9_S9_S9_S9_S9_S9_S9_EENS0_10empty_typeEbEEZZNS1_14partition_implILS5_3ELb0ES3_jNS7_6detail15normal_iteratorINS7_7pointerISA_NS7_11hip_rocprim3tagENS7_11use_defaultESJ_EEEEPSB_SM_NS0_5tupleIJPSA_SM_EEENSN_IJSM_SM_EEESB_PlJ10is_orderedEEE10hipError_tPvRmT3_T4_T5_T6_T7_T9_mT8_P12ihipStream_tbDpT10_ENKUlT_T0_E_clISt17integral_constantIbLb1EES1B_IbLb0EEEEDaS17_S18_EUlS17_E_NS1_11comp_targetILNS1_3genE0ELNS1_11target_archE4294967295ELNS1_3gpuE0ELNS1_3repE0EEENS1_30default_config_static_selectorELNS0_4arch9wavefront6targetE1EEEvT1_
                                        ; -- End function
	.section	.AMDGPU.csdata,"",@progbits
; Kernel info:
; codeLenInByte = 0
; NumSgprs: 4
; NumVgprs: 0
; NumAgprs: 0
; TotalNumVgprs: 0
; ScratchSize: 0
; MemoryBound: 0
; FloatMode: 240
; IeeeMode: 1
; LDSByteSize: 0 bytes/workgroup (compile time only)
; SGPRBlocks: 0
; VGPRBlocks: 0
; NumSGPRsForWavesPerEU: 4
; NumVGPRsForWavesPerEU: 1
; AccumOffset: 4
; Occupancy: 8
; WaveLimiterHint : 0
; COMPUTE_PGM_RSRC2:SCRATCH_EN: 0
; COMPUTE_PGM_RSRC2:USER_SGPR: 6
; COMPUTE_PGM_RSRC2:TRAP_HANDLER: 0
; COMPUTE_PGM_RSRC2:TGID_X_EN: 1
; COMPUTE_PGM_RSRC2:TGID_Y_EN: 0
; COMPUTE_PGM_RSRC2:TGID_Z_EN: 0
; COMPUTE_PGM_RSRC2:TIDIG_COMP_CNT: 0
; COMPUTE_PGM_RSRC3_GFX90A:ACCUM_OFFSET: 0
; COMPUTE_PGM_RSRC3_GFX90A:TG_SPLIT: 0
	.section	.text._ZN7rocprim17ROCPRIM_400000_NS6detail17trampoline_kernelINS0_14default_configENS1_25partition_config_selectorILNS1_17partition_subalgoE3EN6thrust23THRUST_200600_302600_NS5tupleIxxNS7_9null_typeES9_S9_S9_S9_S9_S9_S9_EENS0_10empty_typeEbEEZZNS1_14partition_implILS5_3ELb0ES3_jNS7_6detail15normal_iteratorINS7_7pointerISA_NS7_11hip_rocprim3tagENS7_11use_defaultESJ_EEEEPSB_SM_NS0_5tupleIJPSA_SM_EEENSN_IJSM_SM_EEESB_PlJ10is_orderedEEE10hipError_tPvRmT3_T4_T5_T6_T7_T9_mT8_P12ihipStream_tbDpT10_ENKUlT_T0_E_clISt17integral_constantIbLb1EES1B_IbLb0EEEEDaS17_S18_EUlS17_E_NS1_11comp_targetILNS1_3genE5ELNS1_11target_archE942ELNS1_3gpuE9ELNS1_3repE0EEENS1_30default_config_static_selectorELNS0_4arch9wavefront6targetE1EEEvT1_,"axG",@progbits,_ZN7rocprim17ROCPRIM_400000_NS6detail17trampoline_kernelINS0_14default_configENS1_25partition_config_selectorILNS1_17partition_subalgoE3EN6thrust23THRUST_200600_302600_NS5tupleIxxNS7_9null_typeES9_S9_S9_S9_S9_S9_S9_EENS0_10empty_typeEbEEZZNS1_14partition_implILS5_3ELb0ES3_jNS7_6detail15normal_iteratorINS7_7pointerISA_NS7_11hip_rocprim3tagENS7_11use_defaultESJ_EEEEPSB_SM_NS0_5tupleIJPSA_SM_EEENSN_IJSM_SM_EEESB_PlJ10is_orderedEEE10hipError_tPvRmT3_T4_T5_T6_T7_T9_mT8_P12ihipStream_tbDpT10_ENKUlT_T0_E_clISt17integral_constantIbLb1EES1B_IbLb0EEEEDaS17_S18_EUlS17_E_NS1_11comp_targetILNS1_3genE5ELNS1_11target_archE942ELNS1_3gpuE9ELNS1_3repE0EEENS1_30default_config_static_selectorELNS0_4arch9wavefront6targetE1EEEvT1_,comdat
	.protected	_ZN7rocprim17ROCPRIM_400000_NS6detail17trampoline_kernelINS0_14default_configENS1_25partition_config_selectorILNS1_17partition_subalgoE3EN6thrust23THRUST_200600_302600_NS5tupleIxxNS7_9null_typeES9_S9_S9_S9_S9_S9_S9_EENS0_10empty_typeEbEEZZNS1_14partition_implILS5_3ELb0ES3_jNS7_6detail15normal_iteratorINS7_7pointerISA_NS7_11hip_rocprim3tagENS7_11use_defaultESJ_EEEEPSB_SM_NS0_5tupleIJPSA_SM_EEENSN_IJSM_SM_EEESB_PlJ10is_orderedEEE10hipError_tPvRmT3_T4_T5_T6_T7_T9_mT8_P12ihipStream_tbDpT10_ENKUlT_T0_E_clISt17integral_constantIbLb1EES1B_IbLb0EEEEDaS17_S18_EUlS17_E_NS1_11comp_targetILNS1_3genE5ELNS1_11target_archE942ELNS1_3gpuE9ELNS1_3repE0EEENS1_30default_config_static_selectorELNS0_4arch9wavefront6targetE1EEEvT1_ ; -- Begin function _ZN7rocprim17ROCPRIM_400000_NS6detail17trampoline_kernelINS0_14default_configENS1_25partition_config_selectorILNS1_17partition_subalgoE3EN6thrust23THRUST_200600_302600_NS5tupleIxxNS7_9null_typeES9_S9_S9_S9_S9_S9_S9_EENS0_10empty_typeEbEEZZNS1_14partition_implILS5_3ELb0ES3_jNS7_6detail15normal_iteratorINS7_7pointerISA_NS7_11hip_rocprim3tagENS7_11use_defaultESJ_EEEEPSB_SM_NS0_5tupleIJPSA_SM_EEENSN_IJSM_SM_EEESB_PlJ10is_orderedEEE10hipError_tPvRmT3_T4_T5_T6_T7_T9_mT8_P12ihipStream_tbDpT10_ENKUlT_T0_E_clISt17integral_constantIbLb1EES1B_IbLb0EEEEDaS17_S18_EUlS17_E_NS1_11comp_targetILNS1_3genE5ELNS1_11target_archE942ELNS1_3gpuE9ELNS1_3repE0EEENS1_30default_config_static_selectorELNS0_4arch9wavefront6targetE1EEEvT1_
	.globl	_ZN7rocprim17ROCPRIM_400000_NS6detail17trampoline_kernelINS0_14default_configENS1_25partition_config_selectorILNS1_17partition_subalgoE3EN6thrust23THRUST_200600_302600_NS5tupleIxxNS7_9null_typeES9_S9_S9_S9_S9_S9_S9_EENS0_10empty_typeEbEEZZNS1_14partition_implILS5_3ELb0ES3_jNS7_6detail15normal_iteratorINS7_7pointerISA_NS7_11hip_rocprim3tagENS7_11use_defaultESJ_EEEEPSB_SM_NS0_5tupleIJPSA_SM_EEENSN_IJSM_SM_EEESB_PlJ10is_orderedEEE10hipError_tPvRmT3_T4_T5_T6_T7_T9_mT8_P12ihipStream_tbDpT10_ENKUlT_T0_E_clISt17integral_constantIbLb1EES1B_IbLb0EEEEDaS17_S18_EUlS17_E_NS1_11comp_targetILNS1_3genE5ELNS1_11target_archE942ELNS1_3gpuE9ELNS1_3repE0EEENS1_30default_config_static_selectorELNS0_4arch9wavefront6targetE1EEEvT1_
	.p2align	8
	.type	_ZN7rocprim17ROCPRIM_400000_NS6detail17trampoline_kernelINS0_14default_configENS1_25partition_config_selectorILNS1_17partition_subalgoE3EN6thrust23THRUST_200600_302600_NS5tupleIxxNS7_9null_typeES9_S9_S9_S9_S9_S9_S9_EENS0_10empty_typeEbEEZZNS1_14partition_implILS5_3ELb0ES3_jNS7_6detail15normal_iteratorINS7_7pointerISA_NS7_11hip_rocprim3tagENS7_11use_defaultESJ_EEEEPSB_SM_NS0_5tupleIJPSA_SM_EEENSN_IJSM_SM_EEESB_PlJ10is_orderedEEE10hipError_tPvRmT3_T4_T5_T6_T7_T9_mT8_P12ihipStream_tbDpT10_ENKUlT_T0_E_clISt17integral_constantIbLb1EES1B_IbLb0EEEEDaS17_S18_EUlS17_E_NS1_11comp_targetILNS1_3genE5ELNS1_11target_archE942ELNS1_3gpuE9ELNS1_3repE0EEENS1_30default_config_static_selectorELNS0_4arch9wavefront6targetE1EEEvT1_,@function
_ZN7rocprim17ROCPRIM_400000_NS6detail17trampoline_kernelINS0_14default_configENS1_25partition_config_selectorILNS1_17partition_subalgoE3EN6thrust23THRUST_200600_302600_NS5tupleIxxNS7_9null_typeES9_S9_S9_S9_S9_S9_S9_EENS0_10empty_typeEbEEZZNS1_14partition_implILS5_3ELb0ES3_jNS7_6detail15normal_iteratorINS7_7pointerISA_NS7_11hip_rocprim3tagENS7_11use_defaultESJ_EEEEPSB_SM_NS0_5tupleIJPSA_SM_EEENSN_IJSM_SM_EEESB_PlJ10is_orderedEEE10hipError_tPvRmT3_T4_T5_T6_T7_T9_mT8_P12ihipStream_tbDpT10_ENKUlT_T0_E_clISt17integral_constantIbLb1EES1B_IbLb0EEEEDaS17_S18_EUlS17_E_NS1_11comp_targetILNS1_3genE5ELNS1_11target_archE942ELNS1_3gpuE9ELNS1_3repE0EEENS1_30default_config_static_selectorELNS0_4arch9wavefront6targetE1EEEvT1_: ; @_ZN7rocprim17ROCPRIM_400000_NS6detail17trampoline_kernelINS0_14default_configENS1_25partition_config_selectorILNS1_17partition_subalgoE3EN6thrust23THRUST_200600_302600_NS5tupleIxxNS7_9null_typeES9_S9_S9_S9_S9_S9_S9_EENS0_10empty_typeEbEEZZNS1_14partition_implILS5_3ELb0ES3_jNS7_6detail15normal_iteratorINS7_7pointerISA_NS7_11hip_rocprim3tagENS7_11use_defaultESJ_EEEEPSB_SM_NS0_5tupleIJPSA_SM_EEENSN_IJSM_SM_EEESB_PlJ10is_orderedEEE10hipError_tPvRmT3_T4_T5_T6_T7_T9_mT8_P12ihipStream_tbDpT10_ENKUlT_T0_E_clISt17integral_constantIbLb1EES1B_IbLb0EEEEDaS17_S18_EUlS17_E_NS1_11comp_targetILNS1_3genE5ELNS1_11target_archE942ELNS1_3gpuE9ELNS1_3repE0EEENS1_30default_config_static_selectorELNS0_4arch9wavefront6targetE1EEEvT1_
; %bb.0:
	.section	.rodata,"a",@progbits
	.p2align	6, 0x0
	.amdhsa_kernel _ZN7rocprim17ROCPRIM_400000_NS6detail17trampoline_kernelINS0_14default_configENS1_25partition_config_selectorILNS1_17partition_subalgoE3EN6thrust23THRUST_200600_302600_NS5tupleIxxNS7_9null_typeES9_S9_S9_S9_S9_S9_S9_EENS0_10empty_typeEbEEZZNS1_14partition_implILS5_3ELb0ES3_jNS7_6detail15normal_iteratorINS7_7pointerISA_NS7_11hip_rocprim3tagENS7_11use_defaultESJ_EEEEPSB_SM_NS0_5tupleIJPSA_SM_EEENSN_IJSM_SM_EEESB_PlJ10is_orderedEEE10hipError_tPvRmT3_T4_T5_T6_T7_T9_mT8_P12ihipStream_tbDpT10_ENKUlT_T0_E_clISt17integral_constantIbLb1EES1B_IbLb0EEEEDaS17_S18_EUlS17_E_NS1_11comp_targetILNS1_3genE5ELNS1_11target_archE942ELNS1_3gpuE9ELNS1_3repE0EEENS1_30default_config_static_selectorELNS0_4arch9wavefront6targetE1EEEvT1_
		.amdhsa_group_segment_fixed_size 0
		.amdhsa_private_segment_fixed_size 0
		.amdhsa_kernarg_size 120
		.amdhsa_user_sgpr_count 6
		.amdhsa_user_sgpr_private_segment_buffer 1
		.amdhsa_user_sgpr_dispatch_ptr 0
		.amdhsa_user_sgpr_queue_ptr 0
		.amdhsa_user_sgpr_kernarg_segment_ptr 1
		.amdhsa_user_sgpr_dispatch_id 0
		.amdhsa_user_sgpr_flat_scratch_init 0
		.amdhsa_user_sgpr_kernarg_preload_length 0
		.amdhsa_user_sgpr_kernarg_preload_offset 0
		.amdhsa_user_sgpr_private_segment_size 0
		.amdhsa_uses_dynamic_stack 0
		.amdhsa_system_sgpr_private_segment_wavefront_offset 0
		.amdhsa_system_sgpr_workgroup_id_x 1
		.amdhsa_system_sgpr_workgroup_id_y 0
		.amdhsa_system_sgpr_workgroup_id_z 0
		.amdhsa_system_sgpr_workgroup_info 0
		.amdhsa_system_vgpr_workitem_id 0
		.amdhsa_next_free_vgpr 1
		.amdhsa_next_free_sgpr 0
		.amdhsa_accum_offset 4
		.amdhsa_reserve_vcc 0
		.amdhsa_reserve_flat_scratch 0
		.amdhsa_float_round_mode_32 0
		.amdhsa_float_round_mode_16_64 0
		.amdhsa_float_denorm_mode_32 3
		.amdhsa_float_denorm_mode_16_64 3
		.amdhsa_dx10_clamp 1
		.amdhsa_ieee_mode 1
		.amdhsa_fp16_overflow 0
		.amdhsa_tg_split 0
		.amdhsa_exception_fp_ieee_invalid_op 0
		.amdhsa_exception_fp_denorm_src 0
		.amdhsa_exception_fp_ieee_div_zero 0
		.amdhsa_exception_fp_ieee_overflow 0
		.amdhsa_exception_fp_ieee_underflow 0
		.amdhsa_exception_fp_ieee_inexact 0
		.amdhsa_exception_int_div_zero 0
	.end_amdhsa_kernel
	.section	.text._ZN7rocprim17ROCPRIM_400000_NS6detail17trampoline_kernelINS0_14default_configENS1_25partition_config_selectorILNS1_17partition_subalgoE3EN6thrust23THRUST_200600_302600_NS5tupleIxxNS7_9null_typeES9_S9_S9_S9_S9_S9_S9_EENS0_10empty_typeEbEEZZNS1_14partition_implILS5_3ELb0ES3_jNS7_6detail15normal_iteratorINS7_7pointerISA_NS7_11hip_rocprim3tagENS7_11use_defaultESJ_EEEEPSB_SM_NS0_5tupleIJPSA_SM_EEENSN_IJSM_SM_EEESB_PlJ10is_orderedEEE10hipError_tPvRmT3_T4_T5_T6_T7_T9_mT8_P12ihipStream_tbDpT10_ENKUlT_T0_E_clISt17integral_constantIbLb1EES1B_IbLb0EEEEDaS17_S18_EUlS17_E_NS1_11comp_targetILNS1_3genE5ELNS1_11target_archE942ELNS1_3gpuE9ELNS1_3repE0EEENS1_30default_config_static_selectorELNS0_4arch9wavefront6targetE1EEEvT1_,"axG",@progbits,_ZN7rocprim17ROCPRIM_400000_NS6detail17trampoline_kernelINS0_14default_configENS1_25partition_config_selectorILNS1_17partition_subalgoE3EN6thrust23THRUST_200600_302600_NS5tupleIxxNS7_9null_typeES9_S9_S9_S9_S9_S9_S9_EENS0_10empty_typeEbEEZZNS1_14partition_implILS5_3ELb0ES3_jNS7_6detail15normal_iteratorINS7_7pointerISA_NS7_11hip_rocprim3tagENS7_11use_defaultESJ_EEEEPSB_SM_NS0_5tupleIJPSA_SM_EEENSN_IJSM_SM_EEESB_PlJ10is_orderedEEE10hipError_tPvRmT3_T4_T5_T6_T7_T9_mT8_P12ihipStream_tbDpT10_ENKUlT_T0_E_clISt17integral_constantIbLb1EES1B_IbLb0EEEEDaS17_S18_EUlS17_E_NS1_11comp_targetILNS1_3genE5ELNS1_11target_archE942ELNS1_3gpuE9ELNS1_3repE0EEENS1_30default_config_static_selectorELNS0_4arch9wavefront6targetE1EEEvT1_,comdat
.Lfunc_end3472:
	.size	_ZN7rocprim17ROCPRIM_400000_NS6detail17trampoline_kernelINS0_14default_configENS1_25partition_config_selectorILNS1_17partition_subalgoE3EN6thrust23THRUST_200600_302600_NS5tupleIxxNS7_9null_typeES9_S9_S9_S9_S9_S9_S9_EENS0_10empty_typeEbEEZZNS1_14partition_implILS5_3ELb0ES3_jNS7_6detail15normal_iteratorINS7_7pointerISA_NS7_11hip_rocprim3tagENS7_11use_defaultESJ_EEEEPSB_SM_NS0_5tupleIJPSA_SM_EEENSN_IJSM_SM_EEESB_PlJ10is_orderedEEE10hipError_tPvRmT3_T4_T5_T6_T7_T9_mT8_P12ihipStream_tbDpT10_ENKUlT_T0_E_clISt17integral_constantIbLb1EES1B_IbLb0EEEEDaS17_S18_EUlS17_E_NS1_11comp_targetILNS1_3genE5ELNS1_11target_archE942ELNS1_3gpuE9ELNS1_3repE0EEENS1_30default_config_static_selectorELNS0_4arch9wavefront6targetE1EEEvT1_, .Lfunc_end3472-_ZN7rocprim17ROCPRIM_400000_NS6detail17trampoline_kernelINS0_14default_configENS1_25partition_config_selectorILNS1_17partition_subalgoE3EN6thrust23THRUST_200600_302600_NS5tupleIxxNS7_9null_typeES9_S9_S9_S9_S9_S9_S9_EENS0_10empty_typeEbEEZZNS1_14partition_implILS5_3ELb0ES3_jNS7_6detail15normal_iteratorINS7_7pointerISA_NS7_11hip_rocprim3tagENS7_11use_defaultESJ_EEEEPSB_SM_NS0_5tupleIJPSA_SM_EEENSN_IJSM_SM_EEESB_PlJ10is_orderedEEE10hipError_tPvRmT3_T4_T5_T6_T7_T9_mT8_P12ihipStream_tbDpT10_ENKUlT_T0_E_clISt17integral_constantIbLb1EES1B_IbLb0EEEEDaS17_S18_EUlS17_E_NS1_11comp_targetILNS1_3genE5ELNS1_11target_archE942ELNS1_3gpuE9ELNS1_3repE0EEENS1_30default_config_static_selectorELNS0_4arch9wavefront6targetE1EEEvT1_
                                        ; -- End function
	.section	.AMDGPU.csdata,"",@progbits
; Kernel info:
; codeLenInByte = 0
; NumSgprs: 4
; NumVgprs: 0
; NumAgprs: 0
; TotalNumVgprs: 0
; ScratchSize: 0
; MemoryBound: 0
; FloatMode: 240
; IeeeMode: 1
; LDSByteSize: 0 bytes/workgroup (compile time only)
; SGPRBlocks: 0
; VGPRBlocks: 0
; NumSGPRsForWavesPerEU: 4
; NumVGPRsForWavesPerEU: 1
; AccumOffset: 4
; Occupancy: 8
; WaveLimiterHint : 0
; COMPUTE_PGM_RSRC2:SCRATCH_EN: 0
; COMPUTE_PGM_RSRC2:USER_SGPR: 6
; COMPUTE_PGM_RSRC2:TRAP_HANDLER: 0
; COMPUTE_PGM_RSRC2:TGID_X_EN: 1
; COMPUTE_PGM_RSRC2:TGID_Y_EN: 0
; COMPUTE_PGM_RSRC2:TGID_Z_EN: 0
; COMPUTE_PGM_RSRC2:TIDIG_COMP_CNT: 0
; COMPUTE_PGM_RSRC3_GFX90A:ACCUM_OFFSET: 0
; COMPUTE_PGM_RSRC3_GFX90A:TG_SPLIT: 0
	.section	.text._ZN7rocprim17ROCPRIM_400000_NS6detail17trampoline_kernelINS0_14default_configENS1_25partition_config_selectorILNS1_17partition_subalgoE3EN6thrust23THRUST_200600_302600_NS5tupleIxxNS7_9null_typeES9_S9_S9_S9_S9_S9_S9_EENS0_10empty_typeEbEEZZNS1_14partition_implILS5_3ELb0ES3_jNS7_6detail15normal_iteratorINS7_7pointerISA_NS7_11hip_rocprim3tagENS7_11use_defaultESJ_EEEEPSB_SM_NS0_5tupleIJPSA_SM_EEENSN_IJSM_SM_EEESB_PlJ10is_orderedEEE10hipError_tPvRmT3_T4_T5_T6_T7_T9_mT8_P12ihipStream_tbDpT10_ENKUlT_T0_E_clISt17integral_constantIbLb1EES1B_IbLb0EEEEDaS17_S18_EUlS17_E_NS1_11comp_targetILNS1_3genE4ELNS1_11target_archE910ELNS1_3gpuE8ELNS1_3repE0EEENS1_30default_config_static_selectorELNS0_4arch9wavefront6targetE1EEEvT1_,"axG",@progbits,_ZN7rocprim17ROCPRIM_400000_NS6detail17trampoline_kernelINS0_14default_configENS1_25partition_config_selectorILNS1_17partition_subalgoE3EN6thrust23THRUST_200600_302600_NS5tupleIxxNS7_9null_typeES9_S9_S9_S9_S9_S9_S9_EENS0_10empty_typeEbEEZZNS1_14partition_implILS5_3ELb0ES3_jNS7_6detail15normal_iteratorINS7_7pointerISA_NS7_11hip_rocprim3tagENS7_11use_defaultESJ_EEEEPSB_SM_NS0_5tupleIJPSA_SM_EEENSN_IJSM_SM_EEESB_PlJ10is_orderedEEE10hipError_tPvRmT3_T4_T5_T6_T7_T9_mT8_P12ihipStream_tbDpT10_ENKUlT_T0_E_clISt17integral_constantIbLb1EES1B_IbLb0EEEEDaS17_S18_EUlS17_E_NS1_11comp_targetILNS1_3genE4ELNS1_11target_archE910ELNS1_3gpuE8ELNS1_3repE0EEENS1_30default_config_static_selectorELNS0_4arch9wavefront6targetE1EEEvT1_,comdat
	.protected	_ZN7rocprim17ROCPRIM_400000_NS6detail17trampoline_kernelINS0_14default_configENS1_25partition_config_selectorILNS1_17partition_subalgoE3EN6thrust23THRUST_200600_302600_NS5tupleIxxNS7_9null_typeES9_S9_S9_S9_S9_S9_S9_EENS0_10empty_typeEbEEZZNS1_14partition_implILS5_3ELb0ES3_jNS7_6detail15normal_iteratorINS7_7pointerISA_NS7_11hip_rocprim3tagENS7_11use_defaultESJ_EEEEPSB_SM_NS0_5tupleIJPSA_SM_EEENSN_IJSM_SM_EEESB_PlJ10is_orderedEEE10hipError_tPvRmT3_T4_T5_T6_T7_T9_mT8_P12ihipStream_tbDpT10_ENKUlT_T0_E_clISt17integral_constantIbLb1EES1B_IbLb0EEEEDaS17_S18_EUlS17_E_NS1_11comp_targetILNS1_3genE4ELNS1_11target_archE910ELNS1_3gpuE8ELNS1_3repE0EEENS1_30default_config_static_selectorELNS0_4arch9wavefront6targetE1EEEvT1_ ; -- Begin function _ZN7rocprim17ROCPRIM_400000_NS6detail17trampoline_kernelINS0_14default_configENS1_25partition_config_selectorILNS1_17partition_subalgoE3EN6thrust23THRUST_200600_302600_NS5tupleIxxNS7_9null_typeES9_S9_S9_S9_S9_S9_S9_EENS0_10empty_typeEbEEZZNS1_14partition_implILS5_3ELb0ES3_jNS7_6detail15normal_iteratorINS7_7pointerISA_NS7_11hip_rocprim3tagENS7_11use_defaultESJ_EEEEPSB_SM_NS0_5tupleIJPSA_SM_EEENSN_IJSM_SM_EEESB_PlJ10is_orderedEEE10hipError_tPvRmT3_T4_T5_T6_T7_T9_mT8_P12ihipStream_tbDpT10_ENKUlT_T0_E_clISt17integral_constantIbLb1EES1B_IbLb0EEEEDaS17_S18_EUlS17_E_NS1_11comp_targetILNS1_3genE4ELNS1_11target_archE910ELNS1_3gpuE8ELNS1_3repE0EEENS1_30default_config_static_selectorELNS0_4arch9wavefront6targetE1EEEvT1_
	.globl	_ZN7rocprim17ROCPRIM_400000_NS6detail17trampoline_kernelINS0_14default_configENS1_25partition_config_selectorILNS1_17partition_subalgoE3EN6thrust23THRUST_200600_302600_NS5tupleIxxNS7_9null_typeES9_S9_S9_S9_S9_S9_S9_EENS0_10empty_typeEbEEZZNS1_14partition_implILS5_3ELb0ES3_jNS7_6detail15normal_iteratorINS7_7pointerISA_NS7_11hip_rocprim3tagENS7_11use_defaultESJ_EEEEPSB_SM_NS0_5tupleIJPSA_SM_EEENSN_IJSM_SM_EEESB_PlJ10is_orderedEEE10hipError_tPvRmT3_T4_T5_T6_T7_T9_mT8_P12ihipStream_tbDpT10_ENKUlT_T0_E_clISt17integral_constantIbLb1EES1B_IbLb0EEEEDaS17_S18_EUlS17_E_NS1_11comp_targetILNS1_3genE4ELNS1_11target_archE910ELNS1_3gpuE8ELNS1_3repE0EEENS1_30default_config_static_selectorELNS0_4arch9wavefront6targetE1EEEvT1_
	.p2align	8
	.type	_ZN7rocprim17ROCPRIM_400000_NS6detail17trampoline_kernelINS0_14default_configENS1_25partition_config_selectorILNS1_17partition_subalgoE3EN6thrust23THRUST_200600_302600_NS5tupleIxxNS7_9null_typeES9_S9_S9_S9_S9_S9_S9_EENS0_10empty_typeEbEEZZNS1_14partition_implILS5_3ELb0ES3_jNS7_6detail15normal_iteratorINS7_7pointerISA_NS7_11hip_rocprim3tagENS7_11use_defaultESJ_EEEEPSB_SM_NS0_5tupleIJPSA_SM_EEENSN_IJSM_SM_EEESB_PlJ10is_orderedEEE10hipError_tPvRmT3_T4_T5_T6_T7_T9_mT8_P12ihipStream_tbDpT10_ENKUlT_T0_E_clISt17integral_constantIbLb1EES1B_IbLb0EEEEDaS17_S18_EUlS17_E_NS1_11comp_targetILNS1_3genE4ELNS1_11target_archE910ELNS1_3gpuE8ELNS1_3repE0EEENS1_30default_config_static_selectorELNS0_4arch9wavefront6targetE1EEEvT1_,@function
_ZN7rocprim17ROCPRIM_400000_NS6detail17trampoline_kernelINS0_14default_configENS1_25partition_config_selectorILNS1_17partition_subalgoE3EN6thrust23THRUST_200600_302600_NS5tupleIxxNS7_9null_typeES9_S9_S9_S9_S9_S9_S9_EENS0_10empty_typeEbEEZZNS1_14partition_implILS5_3ELb0ES3_jNS7_6detail15normal_iteratorINS7_7pointerISA_NS7_11hip_rocprim3tagENS7_11use_defaultESJ_EEEEPSB_SM_NS0_5tupleIJPSA_SM_EEENSN_IJSM_SM_EEESB_PlJ10is_orderedEEE10hipError_tPvRmT3_T4_T5_T6_T7_T9_mT8_P12ihipStream_tbDpT10_ENKUlT_T0_E_clISt17integral_constantIbLb1EES1B_IbLb0EEEEDaS17_S18_EUlS17_E_NS1_11comp_targetILNS1_3genE4ELNS1_11target_archE910ELNS1_3gpuE8ELNS1_3repE0EEENS1_30default_config_static_selectorELNS0_4arch9wavefront6targetE1EEEvT1_: ; @_ZN7rocprim17ROCPRIM_400000_NS6detail17trampoline_kernelINS0_14default_configENS1_25partition_config_selectorILNS1_17partition_subalgoE3EN6thrust23THRUST_200600_302600_NS5tupleIxxNS7_9null_typeES9_S9_S9_S9_S9_S9_S9_EENS0_10empty_typeEbEEZZNS1_14partition_implILS5_3ELb0ES3_jNS7_6detail15normal_iteratorINS7_7pointerISA_NS7_11hip_rocprim3tagENS7_11use_defaultESJ_EEEEPSB_SM_NS0_5tupleIJPSA_SM_EEENSN_IJSM_SM_EEESB_PlJ10is_orderedEEE10hipError_tPvRmT3_T4_T5_T6_T7_T9_mT8_P12ihipStream_tbDpT10_ENKUlT_T0_E_clISt17integral_constantIbLb1EES1B_IbLb0EEEEDaS17_S18_EUlS17_E_NS1_11comp_targetILNS1_3genE4ELNS1_11target_archE910ELNS1_3gpuE8ELNS1_3repE0EEENS1_30default_config_static_selectorELNS0_4arch9wavefront6targetE1EEEvT1_
; %bb.0:
	s_load_dwordx4 s[20:23], s[4:5], 0x8
	s_load_dwordx4 s[24:27], s[4:5], 0x48
	s_load_dwordx2 s[28:29], s[4:5], 0x58
	s_load_dword s2, s[4:5], 0x70
	s_mov_b32 s35, 0
	s_waitcnt lgkmcnt(0)
	s_lshl_b64 s[0:1], s[22:23], 4
	s_add_u32 s7, s20, s0
	s_addc_u32 s8, s21, s1
	s_mul_i32 s0, s2, 0x300
	s_add_i32 s1, s0, s22
	s_sub_i32 s33, s28, s1
	s_add_i32 s3, s2, -1
	s_addk_i32 s33, 0x300
	s_add_u32 s0, s22, s0
	s_addc_u32 s1, s23, 0
	s_cmp_eq_u32 s6, s3
	s_load_dwordx2 s[30:31], s[26:27], 0x0
	s_cselect_b64 s[26:27], -1, 0
	s_cmp_lg_u32 s6, s3
	v_pk_mov_b32 v[2:3], s[28:29], s[28:29] op_sel:[0,1]
	s_cselect_b64 s[2:3], -1, 0
	s_mul_i32 s34, s6, 0x300
	v_cmp_lt_u64_e32 vcc, s[0:1], v[2:3]
	s_or_b64 s[2:3], s[2:3], vcc
	s_lshl_b64 s[0:1], s[34:35], 4
	s_add_u32 s7, s7, s0
	s_addc_u32 s10, s8, s1
	s_mov_b64 s[0:1], -1
	s_and_b64 vcc, exec, s[2:3]
	v_lshlrev_b32_e32 v1, 4, v0
	s_cbranch_vccz .LBB3473_2
; %bb.1:
	v_mov_b32_e32 v2, s10
	v_add_co_u32_e32 v10, vcc, s7, v1
	v_addc_co_u32_e32 v11, vcc, 0, v2, vcc
	v_add_co_u32_e32 v12, vcc, 0x1000, v10
	v_addc_co_u32_e32 v13, vcc, 0, v11, vcc
	flat_load_dwordx4 v[2:5], v[10:11]
	flat_load_dwordx4 v[6:9], v[12:13]
	v_add_co_u32_e32 v10, vcc, 0x2000, v10
	v_addc_co_u32_e32 v11, vcc, 0, v11, vcc
	flat_load_dwordx4 v[10:13], v[10:11]
	s_mov_b64 s[0:1], 0
	s_waitcnt vmcnt(0) lgkmcnt(0)
	ds_write_b128 v1, v[2:5]
	ds_write_b128 v1, v[6:9] offset:4096
	ds_write_b128 v1, v[10:13] offset:8192
	s_waitcnt lgkmcnt(0)
	s_barrier
.LBB3473_2:
	s_andn2_b64 vcc, exec, s[0:1]
	v_cmp_gt_u32_e64 s[0:1], s33, v0
	s_cbranch_vccnz .LBB3473_10
; %bb.3:
	v_pk_mov_b32 v[4:5], 0, 0
	v_pk_mov_b32 v[8:9], v[4:5], v[4:5] op_sel:[0,1]
	v_pk_mov_b32 v[6:7], v[4:5], v[4:5] op_sel:[0,1]
	s_and_saveexec_b64 s[8:9], s[0:1]
	s_cbranch_execz .LBB3473_5
; %bb.4:
	v_mov_b32_e32 v3, s10
	v_add_co_u32_e32 v2, vcc, s7, v1
	v_addc_co_u32_e32 v3, vcc, 0, v3, vcc
	flat_load_dwordx4 v[6:9], v[2:3]
.LBB3473_5:
	s_or_b64 exec, exec, s[8:9]
	v_or_b32_e32 v10, 0x100, v0
	v_cmp_gt_u32_e32 vcc, s33, v10
	v_pk_mov_b32 v[2:3], v[4:5], v[4:5] op_sel:[0,1]
	s_and_saveexec_b64 s[0:1], vcc
	s_cbranch_execz .LBB3473_7
; %bb.6:
	v_lshlrev_b32_e32 v2, 4, v10
	v_mov_b32_e32 v3, s10
	v_add_co_u32_e32 v2, vcc, s7, v2
	v_addc_co_u32_e32 v3, vcc, 0, v3, vcc
	flat_load_dwordx4 v[2:5], v[2:3]
.LBB3473_7:
	s_or_b64 exec, exec, s[0:1]
	v_or_b32_e32 v14, 0x200, v0
	v_pk_mov_b32 v[12:13], 0, 0
	v_cmp_gt_u32_e32 vcc, s33, v14
	v_pk_mov_b32 v[10:11], v[12:13], v[12:13] op_sel:[0,1]
	s_and_saveexec_b64 s[0:1], vcc
	s_cbranch_execz .LBB3473_9
; %bb.8:
	v_lshlrev_b32_e32 v10, 4, v14
	v_mov_b32_e32 v11, s10
	v_add_co_u32_e32 v10, vcc, s7, v10
	v_addc_co_u32_e32 v11, vcc, 0, v11, vcc
	flat_load_dwordx4 v[10:13], v[10:11]
.LBB3473_9:
	s_or_b64 exec, exec, s[0:1]
	s_waitcnt vmcnt(0) lgkmcnt(0)
	ds_write_b128 v1, v[6:9]
	ds_write_b128 v1, v[2:5] offset:4096
	ds_write_b128 v1, v[10:13] offset:8192
	s_waitcnt lgkmcnt(0)
	s_barrier
.LBB3473_10:
	v_mul_u32_u24_e32 v24, 3, v0
	v_lshlrev_b32_e32 v26, 4, v24
	s_waitcnt lgkmcnt(0)
	ds_read_b128 v[10:13], v26
	ds_read_b128 v[6:9], v26 offset:16
	ds_read_b128 v[2:5], v26 offset:32
	v_cndmask_b32_e64 v14, 0, 1, s[2:3]
	v_cmp_ne_u32_e64 s[0:1], 1, v14
	s_andn2_b64 vcc, exec, s[2:3]
	s_waitcnt lgkmcnt(2)
	v_cmp_le_i64_e64 s[10:11], v[10:11], v[12:13]
	s_waitcnt lgkmcnt(1)
	v_cmp_le_i64_e64 s[8:9], v[6:7], v[8:9]
	;; [unrolled: 2-line block ×3, first 2 shown]
	s_barrier
	s_cbranch_vccnz .LBB3473_12
; %bb.11:
	v_cndmask_b32_e64 v15, 0, 1, s[8:9]
	v_cndmask_b32_e64 v14, 0, 1, s[10:11]
	v_lshlrev_b16_e32 v15, 8, v15
	v_or_b32_e32 v14, v14, v15
	v_and_b32_e32 v25, 0xffff, v14
	s_and_b64 s[36:37], s[2:3], exec
	s_load_dwordx2 s[38:39], s[4:5], 0x68
	s_cbranch_execz .LBB3473_13
	s_branch .LBB3473_14
.LBB3473_12:
                                        ; implicit-def: $sgpr36_sgpr37
                                        ; implicit-def: $vgpr25
	s_load_dwordx2 s[38:39], s[4:5], 0x68
.LBB3473_13:
	v_cmp_gt_u32_e32 vcc, s33, v24
	v_cmp_le_i64_e64 s[2:3], v[10:11], v[12:13]
	v_add_u32_e32 v14, 1, v24
	s_and_b64 s[2:3], vcc, s[2:3]
	v_cndmask_b32_e64 v16, 0, 1, s[2:3]
	v_cmp_gt_u32_e32 vcc, s33, v14
	v_cmp_le_i64_e64 s[2:3], v[6:7], v[8:9]
	v_add_u32_e32 v15, 2, v24
	s_and_b64 s[2:3], vcc, s[2:3]
	v_cndmask_b32_e64 v14, 0, 1, s[2:3]
	v_cmp_gt_u32_e32 vcc, s33, v15
	v_cmp_le_i64_e64 s[2:3], v[2:3], v[4:5]
	v_lshlrev_b16_e32 v14, 8, v14
	s_and_b64 s[2:3], vcc, s[2:3]
	v_or_b32_e32 v14, v16, v14
	s_andn2_b64 s[8:9], s[36:37], exec
	s_and_b64 s[2:3], s[2:3], exec
	v_and_b32_e32 v25, 0xffff, v14
	s_or_b64 s[36:37], s[8:9], s[2:3]
.LBB3473_14:
	v_and_b32_e32 v27, 0xff, v25
	v_bfe_u32 v28, v25, 8, 8
	v_cndmask_b32_e64 v14, 0, 1, s[36:37]
	v_add3_u32 v31, v27, v14, v28
	v_mbcnt_lo_u32_b32 v14, -1, 0
	v_mbcnt_hi_u32_b32 v29, -1, v14
	v_and_b32_e32 v14, 15, v29
	v_cmp_eq_u32_e64 s[16:17], 0, v14
	v_cmp_lt_u32_e64 s[14:15], 1, v14
	v_cmp_lt_u32_e64 s[12:13], 3, v14
	v_cmp_lt_u32_e64 s[10:11], 7, v14
	v_and_b32_e32 v14, 16, v29
	v_cmp_eq_u32_e64 s[8:9], 0, v14
	v_or_b32_e32 v14, 63, v0
	s_cmp_lg_u32 s6, 0
	v_cmp_lt_u32_e64 s[2:3], 31, v29
	v_lshrrev_b32_e32 v30, 6, v0
	v_cmp_eq_u32_e64 s[20:21], v14, v0
	s_cbranch_scc0 .LBB3473_45
; %bb.15:
	v_mov_b32_dpp v14, v31 row_shr:1 row_mask:0xf bank_mask:0xf
	v_cndmask_b32_e64 v14, v14, 0, s[16:17]
	v_add_u32_e32 v14, v14, v31
	s_nop 1
	v_mov_b32_dpp v15, v14 row_shr:2 row_mask:0xf bank_mask:0xf
	v_cndmask_b32_e64 v15, 0, v15, s[14:15]
	v_add_u32_e32 v14, v14, v15
	s_nop 1
	;; [unrolled: 4-line block ×4, first 2 shown]
	v_mov_b32_dpp v15, v14 row_bcast:15 row_mask:0xf bank_mask:0xf
	v_cndmask_b32_e64 v15, v15, 0, s[8:9]
	v_add_u32_e32 v14, v14, v15
	s_nop 1
	v_mov_b32_dpp v15, v14 row_bcast:31 row_mask:0xf bank_mask:0xf
	v_cndmask_b32_e64 v15, 0, v15, s[2:3]
	v_add_u32_e32 v14, v14, v15
	s_and_saveexec_b64 s[18:19], s[20:21]
	s_cbranch_execz .LBB3473_17
; %bb.16:
	v_lshlrev_b32_e32 v15, 2, v30
	ds_write_b32 v15, v14
.LBB3473_17:
	s_or_b64 exec, exec, s[18:19]
	v_cmp_gt_u32_e32 vcc, 4, v0
	s_waitcnt lgkmcnt(0)
	s_barrier
	s_and_saveexec_b64 s[18:19], vcc
	s_cbranch_execz .LBB3473_19
; %bb.18:
	v_lshlrev_b32_e32 v15, 2, v0
	ds_read_b32 v16, v15
	v_and_b32_e32 v17, 3, v29
	v_cmp_ne_u32_e32 vcc, 0, v17
	s_waitcnt lgkmcnt(0)
	v_mov_b32_dpp v18, v16 row_shr:1 row_mask:0xf bank_mask:0xf
	v_cndmask_b32_e32 v18, 0, v18, vcc
	v_add_u32_e32 v16, v18, v16
	v_cmp_lt_u32_e32 vcc, 1, v17
	s_nop 0
	v_mov_b32_dpp v18, v16 row_shr:2 row_mask:0xf bank_mask:0xf
	v_cndmask_b32_e32 v17, 0, v18, vcc
	v_add_u32_e32 v16, v16, v17
	ds_write_b32 v15, v16
.LBB3473_19:
	s_or_b64 exec, exec, s[18:19]
	v_cmp_gt_u32_e32 vcc, 64, v0
	v_cmp_lt_u32_e64 s[18:19], 63, v0
	s_waitcnt lgkmcnt(0)
	s_barrier
	s_waitcnt lgkmcnt(0)
                                        ; implicit-def: $vgpr32
	s_and_saveexec_b64 s[40:41], s[18:19]
	s_cbranch_execz .LBB3473_21
; %bb.20:
	v_lshl_add_u32 v15, v30, 2, -4
	ds_read_b32 v32, v15
	s_waitcnt lgkmcnt(0)
	v_add_u32_e32 v14, v32, v14
.LBB3473_21:
	s_or_b64 exec, exec, s[40:41]
	v_add_u32_e32 v15, -1, v29
	v_and_b32_e32 v16, 64, v29
	v_cmp_lt_i32_e64 s[18:19], v15, v16
	v_cndmask_b32_e64 v15, v15, v29, s[18:19]
	v_lshlrev_b32_e32 v15, 2, v15
	ds_bpermute_b32 v33, v15, v14
	v_cmp_eq_u32_e64 s[18:19], 0, v29
	s_and_saveexec_b64 s[40:41], vcc
	s_cbranch_execz .LBB3473_44
; %bb.22:
	v_mov_b32_e32 v23, 0
	ds_read_b32 v14, v23 offset:12
	s_and_saveexec_b64 s[42:43], s[18:19]
	s_cbranch_execz .LBB3473_24
; %bb.23:
	s_add_i32 s44, s6, 64
	s_mov_b32 s45, 0
	s_lshl_b64 s[44:45], s[44:45], 3
	s_add_u32 s44, s38, s44
	v_mov_b32_e32 v15, 1
	s_addc_u32 s45, s39, s45
	s_waitcnt lgkmcnt(0)
	global_store_dwordx2 v23, v[14:15], s[44:45]
.LBB3473_24:
	s_or_b64 exec, exec, s[42:43]
	v_xad_u32 v16, v29, -1, s6
	v_add_u32_e32 v22, 64, v16
	v_lshlrev_b64 v[18:19], 3, v[22:23]
	v_mov_b32_e32 v15, s39
	v_add_co_u32_e32 v18, vcc, s38, v18
	v_addc_co_u32_e32 v19, vcc, v15, v19, vcc
	global_load_dwordx2 v[20:21], v[18:19], off glc
	s_waitcnt vmcnt(0)
	v_cmp_eq_u16_sdwa s[44:45], v21, v23 src0_sel:BYTE_0 src1_sel:DWORD
	s_and_saveexec_b64 s[42:43], s[44:45]
	s_cbranch_execz .LBB3473_30
; %bb.25:
	s_mov_b32 s7, 1
	s_mov_b64 s[44:45], 0
	v_mov_b32_e32 v15, 0
.LBB3473_26:                            ; =>This Loop Header: Depth=1
                                        ;     Child Loop BB3473_27 Depth 2
	s_max_u32 s35, s7, 1
.LBB3473_27:                            ;   Parent Loop BB3473_26 Depth=1
                                        ; =>  This Inner Loop Header: Depth=2
	s_add_i32 s35, s35, -1
	s_cmp_eq_u32 s35, 0
	s_sleep 1
	s_cbranch_scc0 .LBB3473_27
; %bb.28:                               ;   in Loop: Header=BB3473_26 Depth=1
	global_load_dwordx2 v[20:21], v[18:19], off glc
	s_cmp_lt_u32 s7, 32
	s_cselect_b64 s[46:47], -1, 0
	s_cmp_lg_u64 s[46:47], 0
	s_addc_u32 s7, s7, 0
	s_waitcnt vmcnt(0)
	v_cmp_ne_u16_sdwa s[46:47], v21, v15 src0_sel:BYTE_0 src1_sel:DWORD
	s_or_b64 s[44:45], s[46:47], s[44:45]
	s_andn2_b64 exec, exec, s[44:45]
	s_cbranch_execnz .LBB3473_26
; %bb.29:
	s_or_b64 exec, exec, s[44:45]
.LBB3473_30:
	s_or_b64 exec, exec, s[42:43]
	v_and_b32_e32 v35, 63, v29
	v_mov_b32_e32 v34, 2
	v_cmp_ne_u32_e32 vcc, 63, v35
	v_cmp_eq_u16_sdwa s[42:43], v21, v34 src0_sel:BYTE_0 src1_sel:DWORD
	v_lshlrev_b64 v[18:19], v29, -1
	v_addc_co_u32_e32 v22, vcc, 0, v29, vcc
	v_and_b32_e32 v15, s43, v19
	v_lshlrev_b32_e32 v36, 2, v22
	v_or_b32_e32 v15, 0x80000000, v15
	ds_bpermute_b32 v22, v36, v20
	v_and_b32_e32 v17, s42, v18
	v_ffbl_b32_e32 v15, v15
	v_add_u32_e32 v15, 32, v15
	v_ffbl_b32_e32 v17, v17
	v_min_u32_e32 v15, v17, v15
	v_cmp_lt_u32_e32 vcc, v35, v15
	s_waitcnt lgkmcnt(0)
	v_cndmask_b32_e32 v17, 0, v22, vcc
	v_cmp_gt_u32_e32 vcc, 62, v35
	v_add_u32_e32 v17, v17, v20
	v_cndmask_b32_e64 v20, 0, 1, vcc
	v_lshlrev_b32_e32 v20, 1, v20
	v_add_lshl_u32 v37, v20, v29, 2
	ds_bpermute_b32 v20, v37, v17
	v_add_u32_e32 v38, 2, v35
	v_cmp_le_u32_e32 vcc, v38, v15
	v_add_u32_e32 v40, 4, v35
	v_add_u32_e32 v42, 8, v35
	s_waitcnt lgkmcnt(0)
	v_cndmask_b32_e32 v20, 0, v20, vcc
	v_cmp_gt_u32_e32 vcc, 60, v35
	v_add_u32_e32 v17, v17, v20
	v_cndmask_b32_e64 v20, 0, 1, vcc
	v_lshlrev_b32_e32 v20, 2, v20
	v_add_lshl_u32 v39, v20, v29, 2
	ds_bpermute_b32 v20, v39, v17
	v_cmp_le_u32_e32 vcc, v40, v15
	v_add_u32_e32 v44, 16, v35
	v_add_u32_e32 v46, 32, v35
	s_waitcnt lgkmcnt(0)
	v_cndmask_b32_e32 v20, 0, v20, vcc
	v_cmp_gt_u32_e32 vcc, 56, v35
	v_add_u32_e32 v17, v17, v20
	v_cndmask_b32_e64 v20, 0, 1, vcc
	v_lshlrev_b32_e32 v20, 3, v20
	v_add_lshl_u32 v41, v20, v29, 2
	ds_bpermute_b32 v20, v41, v17
	v_cmp_le_u32_e32 vcc, v42, v15
	s_waitcnt lgkmcnt(0)
	v_cndmask_b32_e32 v20, 0, v20, vcc
	v_cmp_gt_u32_e32 vcc, 48, v35
	v_add_u32_e32 v17, v17, v20
	v_cndmask_b32_e64 v20, 0, 1, vcc
	v_lshlrev_b32_e32 v20, 4, v20
	v_add_lshl_u32 v43, v20, v29, 2
	ds_bpermute_b32 v20, v43, v17
	v_cmp_le_u32_e32 vcc, v44, v15
	;; [unrolled: 9-line block ×3, first 2 shown]
	s_waitcnt lgkmcnt(0)
	v_cndmask_b32_e32 v15, 0, v20, vcc
	v_add_u32_e32 v20, v17, v15
	v_mov_b32_e32 v17, 0
	s_branch .LBB3473_32
.LBB3473_31:                            ;   in Loop: Header=BB3473_32 Depth=1
	s_or_b64 exec, exec, s[42:43]
	v_cmp_eq_u16_sdwa s[42:43], v21, v34 src0_sel:BYTE_0 src1_sel:DWORD
	v_and_b32_e32 v22, s43, v19
	v_or_b32_e32 v22, 0x80000000, v22
	ds_bpermute_b32 v47, v36, v20
	v_and_b32_e32 v23, s42, v18
	v_ffbl_b32_e32 v22, v22
	v_add_u32_e32 v22, 32, v22
	v_ffbl_b32_e32 v23, v23
	v_min_u32_e32 v22, v23, v22
	v_cmp_lt_u32_e32 vcc, v35, v22
	s_waitcnt lgkmcnt(0)
	v_cndmask_b32_e32 v23, 0, v47, vcc
	v_add_u32_e32 v20, v23, v20
	ds_bpermute_b32 v23, v37, v20
	v_cmp_le_u32_e32 vcc, v38, v22
	v_subrev_u32_e32 v16, 64, v16
	s_waitcnt lgkmcnt(0)
	v_cndmask_b32_e32 v23, 0, v23, vcc
	v_add_u32_e32 v20, v20, v23
	ds_bpermute_b32 v23, v39, v20
	v_cmp_le_u32_e32 vcc, v40, v22
	s_waitcnt lgkmcnt(0)
	v_cndmask_b32_e32 v23, 0, v23, vcc
	v_add_u32_e32 v20, v20, v23
	ds_bpermute_b32 v23, v41, v20
	v_cmp_le_u32_e32 vcc, v42, v22
	;; [unrolled: 5-line block ×4, first 2 shown]
	s_waitcnt lgkmcnt(0)
	v_cndmask_b32_e32 v22, 0, v23, vcc
	v_add3_u32 v20, v22, v15, v20
.LBB3473_32:                            ; =>This Loop Header: Depth=1
                                        ;     Child Loop BB3473_35 Depth 2
                                        ;       Child Loop BB3473_36 Depth 3
	v_cmp_ne_u16_sdwa s[42:43], v21, v34 src0_sel:BYTE_0 src1_sel:DWORD
	v_cndmask_b32_e64 v15, 0, 1, s[42:43]
	;;#ASMSTART
	;;#ASMEND
	v_cmp_ne_u32_e32 vcc, 0, v15
	s_cmp_lg_u64 vcc, exec
	v_mov_b32_e32 v15, v20
	s_cbranch_scc1 .LBB3473_39
; %bb.33:                               ;   in Loop: Header=BB3473_32 Depth=1
	v_lshlrev_b64 v[20:21], 3, v[16:17]
	v_mov_b32_e32 v23, s39
	v_add_co_u32_e32 v22, vcc, s38, v20
	v_addc_co_u32_e32 v23, vcc, v23, v21, vcc
	global_load_dwordx2 v[20:21], v[22:23], off glc
	s_waitcnt vmcnt(0)
	v_cmp_eq_u16_sdwa s[44:45], v21, v17 src0_sel:BYTE_0 src1_sel:DWORD
	s_and_saveexec_b64 s[42:43], s[44:45]
	s_cbranch_execz .LBB3473_31
; %bb.34:                               ;   in Loop: Header=BB3473_32 Depth=1
	s_mov_b32 s7, 1
	s_mov_b64 s[44:45], 0
.LBB3473_35:                            ;   Parent Loop BB3473_32 Depth=1
                                        ; =>  This Loop Header: Depth=2
                                        ;       Child Loop BB3473_36 Depth 3
	s_max_u32 s35, s7, 1
.LBB3473_36:                            ;   Parent Loop BB3473_32 Depth=1
                                        ;     Parent Loop BB3473_35 Depth=2
                                        ; =>    This Inner Loop Header: Depth=3
	s_add_i32 s35, s35, -1
	s_cmp_eq_u32 s35, 0
	s_sleep 1
	s_cbranch_scc0 .LBB3473_36
; %bb.37:                               ;   in Loop: Header=BB3473_35 Depth=2
	global_load_dwordx2 v[20:21], v[22:23], off glc
	s_cmp_lt_u32 s7, 32
	s_cselect_b64 s[46:47], -1, 0
	s_cmp_lg_u64 s[46:47], 0
	s_addc_u32 s7, s7, 0
	s_waitcnt vmcnt(0)
	v_cmp_ne_u16_sdwa s[46:47], v21, v17 src0_sel:BYTE_0 src1_sel:DWORD
	s_or_b64 s[44:45], s[46:47], s[44:45]
	s_andn2_b64 exec, exec, s[44:45]
	s_cbranch_execnz .LBB3473_35
; %bb.38:                               ;   in Loop: Header=BB3473_32 Depth=1
	s_or_b64 exec, exec, s[44:45]
	s_branch .LBB3473_31
.LBB3473_39:                            ;   in Loop: Header=BB3473_32 Depth=1
                                        ; implicit-def: $vgpr20
                                        ; implicit-def: $vgpr21
	s_cbranch_execz .LBB3473_32
; %bb.40:
	s_and_saveexec_b64 s[42:43], s[18:19]
	s_cbranch_execz .LBB3473_42
; %bb.41:
	s_add_i32 s6, s6, 64
	s_mov_b32 s7, 0
	s_lshl_b64 s[6:7], s[6:7], 3
	s_add_u32 s6, s38, s6
	v_add_u32_e32 v16, v15, v14
	v_mov_b32_e32 v17, 2
	s_addc_u32 s7, s39, s7
	v_mov_b32_e32 v18, 0
	global_store_dwordx2 v18, v[16:17], s[6:7]
	ds_write_b64 v18, v[14:15] offset:12288
.LBB3473_42:
	s_or_b64 exec, exec, s[42:43]
	v_cmp_eq_u32_e32 vcc, 0, v0
	s_and_b64 exec, exec, vcc
	s_cbranch_execz .LBB3473_44
; %bb.43:
	v_mov_b32_e32 v14, 0
	ds_write_b32 v14, v15 offset:12
.LBB3473_44:
	s_or_b64 exec, exec, s[40:41]
	v_mov_b32_e32 v15, 0
	s_waitcnt lgkmcnt(0)
	s_barrier
	ds_read_b32 v16, v15 offset:12
	v_cndmask_b32_e64 v14, v33, v32, s[18:19]
	v_cmp_ne_u32_e32 vcc, 0, v0
	v_cndmask_b32_e32 v17, 0, v14, vcc
	s_waitcnt lgkmcnt(0)
	s_barrier
	ds_read_b64 v[14:15], v15 offset:12288
	v_add_u32_e32 v18, v16, v17
	v_add_u32_e32 v17, v18, v27
	v_add_u32_e32 v16, v17, v28
	s_load_dwordx2 s[4:5], s[4:5], 0x28
	s_branch .LBB3473_55
.LBB3473_45:
                                        ; implicit-def: $vgpr15
                                        ; implicit-def: $vgpr16
                                        ; implicit-def: $vgpr17
                                        ; implicit-def: $vgpr18
	s_load_dwordx2 s[4:5], s[4:5], 0x28
	s_cbranch_execz .LBB3473_55
; %bb.46:
	s_waitcnt lgkmcnt(0)
	v_mov_b32_dpp v14, v31 row_shr:1 row_mask:0xf bank_mask:0xf
	v_cndmask_b32_e64 v14, v14, 0, s[16:17]
	v_add_u32_e32 v14, v14, v31
	s_nop 1
	v_mov_b32_dpp v15, v14 row_shr:2 row_mask:0xf bank_mask:0xf
	v_cndmask_b32_e64 v15, 0, v15, s[14:15]
	v_add_u32_e32 v14, v14, v15
	s_nop 1
	;; [unrolled: 4-line block ×4, first 2 shown]
	v_mov_b32_dpp v15, v14 row_bcast:15 row_mask:0xf bank_mask:0xf
	v_cndmask_b32_e64 v15, v15, 0, s[8:9]
	v_add_u32_e32 v14, v14, v15
	s_nop 1
	v_mov_b32_dpp v15, v14 row_bcast:31 row_mask:0xf bank_mask:0xf
	v_cndmask_b32_e64 v15, 0, v15, s[2:3]
	v_add_u32_e32 v14, v14, v15
	s_and_saveexec_b64 s[2:3], s[20:21]
	s_cbranch_execz .LBB3473_48
; %bb.47:
	v_lshlrev_b32_e32 v15, 2, v30
	ds_write_b32 v15, v14
.LBB3473_48:
	s_or_b64 exec, exec, s[2:3]
	v_cmp_gt_u32_e32 vcc, 4, v0
	s_waitcnt lgkmcnt(0)
	s_barrier
	s_and_saveexec_b64 s[2:3], vcc
	s_cbranch_execz .LBB3473_50
; %bb.49:
	s_movk_i32 s6, 0xffd4
	v_mad_i32_i24 v15, v0, s6, v26
	ds_read_b32 v16, v15
	v_and_b32_e32 v17, 3, v29
	v_cmp_ne_u32_e32 vcc, 0, v17
	s_waitcnt lgkmcnt(0)
	v_mov_b32_dpp v18, v16 row_shr:1 row_mask:0xf bank_mask:0xf
	v_cndmask_b32_e32 v18, 0, v18, vcc
	v_add_u32_e32 v16, v18, v16
	v_cmp_lt_u32_e32 vcc, 1, v17
	s_nop 0
	v_mov_b32_dpp v18, v16 row_shr:2 row_mask:0xf bank_mask:0xf
	v_cndmask_b32_e32 v17, 0, v18, vcc
	v_add_u32_e32 v16, v16, v17
	ds_write_b32 v15, v16
.LBB3473_50:
	s_or_b64 exec, exec, s[2:3]
	v_cmp_lt_u32_e32 vcc, 63, v0
	v_mov_b32_e32 v15, 0
	v_mov_b32_e32 v16, 0
	s_waitcnt lgkmcnt(0)
	s_barrier
	s_and_saveexec_b64 s[2:3], vcc
	s_cbranch_execz .LBB3473_52
; %bb.51:
	v_lshl_add_u32 v16, v30, 2, -4
	ds_read_b32 v16, v16
.LBB3473_52:
	s_or_b64 exec, exec, s[2:3]
	v_add_u32_e32 v17, -1, v29
	v_and_b32_e32 v18, 64, v29
	v_cmp_lt_i32_e32 vcc, v17, v18
	v_cndmask_b32_e32 v17, v17, v29, vcc
	s_waitcnt lgkmcnt(0)
	v_add_u32_e32 v14, v16, v14
	v_lshlrev_b32_e32 v17, 2, v17
	ds_bpermute_b32 v17, v17, v14
	ds_read_b32 v14, v15 offset:12
	v_cmp_eq_u32_e32 vcc, 0, v0
	s_and_saveexec_b64 s[2:3], vcc
	s_cbranch_execz .LBB3473_54
; %bb.53:
	v_mov_b32_e32 v18, 0
	v_mov_b32_e32 v15, 2
	s_waitcnt lgkmcnt(0)
	global_store_dwordx2 v18, v[14:15], s[38:39] offset:512
.LBB3473_54:
	s_or_b64 exec, exec, s[2:3]
	v_cmp_eq_u32_e64 s[2:3], 0, v29
	s_waitcnt lgkmcnt(1)
	v_cndmask_b32_e64 v16, v17, v16, s[2:3]
	v_cndmask_b32_e64 v18, v16, 0, vcc
	v_add_u32_e32 v17, v18, v27
	v_mov_b32_e32 v15, 0
	v_add_u32_e32 v16, v17, v28
	s_waitcnt lgkmcnt(0)
	s_barrier
.LBB3473_55:
	s_waitcnt lgkmcnt(0)
	v_add_u32_e32 v20, v14, v24
	v_sub_u32_e32 v18, v18, v15
	v_and_b32_e32 v22, 1, v25
	v_sub_u32_e32 v21, v20, v18
	v_cmp_eq_u32_e32 vcc, 1, v22
	v_cndmask_b32_e32 v18, v21, v18, vcc
	v_lshlrev_b32_e32 v18, 4, v18
	v_lshrrev_b32_e32 v19, 8, v25
	ds_write_b128 v18, v[10:13]
	v_sub_u32_e32 v10, v17, v15
	v_sub_u32_e32 v11, v20, v10
	v_and_b32_e32 v12, 1, v19
	v_add_u32_e32 v11, 1, v11
	v_cmp_eq_u32_e32 vcc, 1, v12
	v_cndmask_b32_e32 v10, v11, v10, vcc
	v_lshlrev_b32_e32 v10, 4, v10
	ds_write_b128 v10, v[6:9]
	v_sub_u32_e32 v6, v16, v15
	v_sub_u32_e32 v7, v20, v6
	v_add_u32_e32 v7, 2, v7
	v_cndmask_b32_e64 v6, v7, v6, s[36:37]
	s_add_u32 s2, s22, s34
	v_lshlrev_b32_e32 v6, 4, v6
	s_addc_u32 s3, s23, 0
	ds_write_b128 v6, v[2:5]
	s_waitcnt lgkmcnt(0)
	s_barrier
	ds_read_b128 v[10:13], v1
	ds_read_b128 v[6:9], v1 offset:4096
	ds_read_b128 v[2:5], v1 offset:8192
	v_mov_b32_e32 v16, s31
	v_add_co_u32_e32 v1, vcc, s30, v15
	s_sub_u32 s2, s28, s2
	v_addc_co_u32_e32 v15, vcc, 0, v16, vcc
	s_subb_u32 s3, s29, s3
	v_mov_b32_e32 v16, s3
	v_add_co_u32_e32 v17, vcc, s2, v14
	v_addc_co_u32_e32 v16, vcc, 0, v16, vcc
	s_and_b64 vcc, exec, s[0:1]
	v_add_co_u32_e64 v19, s[0:1], v17, v1
	v_or_b32_e32 v21, 0x100, v0
	v_or_b32_e32 v18, 0x200, v0
	v_addc_co_u32_e64 v20, s[0:1], v16, v15, s[0:1]
	s_cbranch_vccnz .LBB3473_69
; %bb.56:
	v_cmp_ge_u32_e32 vcc, v0, v14
                                        ; implicit-def: $vgpr16_vgpr17
	s_and_saveexec_b64 s[0:1], vcc
	s_xor_b64 s[0:1], exec, s[0:1]
; %bb.57:
	v_not_b32_e32 v16, v0
	v_ashrrev_i32_e32 v17, 31, v16
	v_add_co_u32_e32 v16, vcc, v19, v16
	v_addc_co_u32_e32 v17, vcc, v20, v17, vcc
; %bb.58:
	s_andn2_saveexec_b64 s[0:1], s[0:1]
; %bb.59:
	v_add_co_u32_e32 v16, vcc, v1, v0
	v_addc_co_u32_e32 v17, vcc, 0, v15, vcc
; %bb.60:
	s_or_b64 exec, exec, s[0:1]
	v_lshlrev_b64 v[16:17], 4, v[16:17]
	v_mov_b32_e32 v22, s5
	v_add_co_u32_e32 v16, vcc, s4, v16
	v_addc_co_u32_e32 v17, vcc, v22, v17, vcc
	v_cmp_ge_u32_e32 vcc, v21, v14
	s_waitcnt lgkmcnt(2)
	global_store_dwordx4 v[16:17], v[10:13], off
                                        ; implicit-def: $vgpr16_vgpr17
	s_and_saveexec_b64 s[0:1], vcc
	s_xor_b64 s[0:1], exec, s[0:1]
; %bb.61:
	v_xor_b32_e32 v16, 0xfffffeff, v0
	v_ashrrev_i32_e32 v17, 31, v16
	v_add_co_u32_e32 v16, vcc, v19, v16
	v_addc_co_u32_e32 v17, vcc, v20, v17, vcc
; %bb.62:
	s_andn2_saveexec_b64 s[0:1], s[0:1]
; %bb.63:
	v_add_co_u32_e32 v16, vcc, v1, v21
	v_addc_co_u32_e32 v17, vcc, 0, v15, vcc
; %bb.64:
	s_or_b64 exec, exec, s[0:1]
	v_lshlrev_b64 v[16:17], 4, v[16:17]
	v_mov_b32_e32 v22, s5
	v_add_co_u32_e32 v16, vcc, s4, v16
	v_addc_co_u32_e32 v17, vcc, v22, v17, vcc
	v_cmp_ge_u32_e32 vcc, v18, v14
	s_waitcnt lgkmcnt(1)
	global_store_dwordx4 v[16:17], v[6:9], off
                                        ; implicit-def: $vgpr16_vgpr17
	s_and_saveexec_b64 s[0:1], vcc
	s_xor_b64 s[0:1], exec, s[0:1]
; %bb.65:
	v_xor_b32_e32 v16, 0xfffffdff, v0
	v_ashrrev_i32_e32 v17, 31, v16
	v_add_co_u32_e32 v16, vcc, v19, v16
	v_addc_co_u32_e32 v17, vcc, v20, v17, vcc
; %bb.66:
	s_andn2_saveexec_b64 s[0:1], s[0:1]
; %bb.67:
	v_add_co_u32_e32 v16, vcc, v1, v18
	v_addc_co_u32_e32 v17, vcc, 0, v15, vcc
; %bb.68:
	s_or_b64 exec, exec, s[0:1]
	s_mov_b64 s[0:1], -1
	s_branch .LBB3473_89
.LBB3473_69:
	s_mov_b64 s[0:1], 0
                                        ; implicit-def: $vgpr16_vgpr17
	s_cbranch_execz .LBB3473_89
; %bb.70:
	v_cmp_gt_u32_e32 vcc, s33, v0
	s_and_saveexec_b64 s[2:3], vcc
	s_cbranch_execz .LBB3473_76
; %bb.71:
	v_cmp_ge_u32_e32 vcc, v0, v14
                                        ; implicit-def: $vgpr16_vgpr17
	s_and_saveexec_b64 s[6:7], vcc
	s_xor_b64 s[6:7], exec, s[6:7]
; %bb.72:
	v_not_b32_e32 v16, v0
	v_ashrrev_i32_e32 v17, 31, v16
	v_add_co_u32_e32 v16, vcc, v19, v16
	v_addc_co_u32_e32 v17, vcc, v20, v17, vcc
; %bb.73:
	s_andn2_saveexec_b64 s[6:7], s[6:7]
; %bb.74:
	v_add_co_u32_e32 v16, vcc, v1, v0
	v_addc_co_u32_e32 v17, vcc, 0, v15, vcc
; %bb.75:
	s_or_b64 exec, exec, s[6:7]
	v_lshlrev_b64 v[16:17], 4, v[16:17]
	v_mov_b32_e32 v22, s5
	v_add_co_u32_e32 v16, vcc, s4, v16
	v_addc_co_u32_e32 v17, vcc, v22, v17, vcc
	s_waitcnt lgkmcnt(2)
	global_store_dwordx4 v[16:17], v[10:13], off
	s_or_b64 exec, exec, s[2:3]
	v_cmp_gt_u32_e32 vcc, s33, v21
	s_and_saveexec_b64 s[2:3], vcc
	s_cbranch_execz .LBB3473_82
	s_branch .LBB3473_77
.LBB3473_76:
	s_or_b64 exec, exec, s[2:3]
	v_cmp_gt_u32_e32 vcc, s33, v21
	s_and_saveexec_b64 s[2:3], vcc
	s_cbranch_execz .LBB3473_82
.LBB3473_77:
	v_cmp_ge_u32_e32 vcc, v21, v14
                                        ; implicit-def: $vgpr10_vgpr11
	s_and_saveexec_b64 s[6:7], vcc
	s_xor_b64 s[6:7], exec, s[6:7]
	s_cbranch_execz .LBB3473_79
; %bb.78:
	s_waitcnt lgkmcnt(2)
	v_xor_b32_e32 v10, 0xfffffeff, v0
	v_ashrrev_i32_e32 v11, 31, v10
	v_add_co_u32_e32 v10, vcc, v19, v10
	v_addc_co_u32_e32 v11, vcc, v20, v11, vcc
                                        ; implicit-def: $vgpr21
.LBB3473_79:
	s_andn2_saveexec_b64 s[6:7], s[6:7]
	s_cbranch_execz .LBB3473_81
; %bb.80:
	s_waitcnt lgkmcnt(2)
	v_add_co_u32_e32 v10, vcc, v1, v21
	v_addc_co_u32_e32 v11, vcc, 0, v15, vcc
.LBB3473_81:
	s_or_b64 exec, exec, s[6:7]
	s_waitcnt lgkmcnt(2)
	v_lshlrev_b64 v[10:11], 4, v[10:11]
	v_mov_b32_e32 v12, s5
	v_add_co_u32_e32 v10, vcc, s4, v10
	v_addc_co_u32_e32 v11, vcc, v12, v11, vcc
	s_waitcnt lgkmcnt(1)
	global_store_dwordx4 v[10:11], v[6:9], off
.LBB3473_82:
	s_or_b64 exec, exec, s[2:3]
	v_cmp_gt_u32_e32 vcc, s33, v18
                                        ; implicit-def: $vgpr16_vgpr17
	s_and_saveexec_b64 s[2:3], vcc
	s_cbranch_execz .LBB3473_88
; %bb.83:
	v_cmp_ge_u32_e32 vcc, v18, v14
                                        ; implicit-def: $vgpr16_vgpr17
	s_and_saveexec_b64 s[6:7], vcc
	s_xor_b64 s[6:7], exec, s[6:7]
	s_cbranch_execz .LBB3473_85
; %bb.84:
	s_waitcnt lgkmcnt(1)
	v_xor_b32_e32 v6, 0xfffffdff, v0
	v_ashrrev_i32_e32 v7, 31, v6
	v_add_co_u32_e32 v16, vcc, v19, v6
	v_addc_co_u32_e32 v17, vcc, v20, v7, vcc
                                        ; implicit-def: $vgpr18
.LBB3473_85:
	s_andn2_saveexec_b64 s[6:7], s[6:7]
; %bb.86:
	v_add_co_u32_e32 v16, vcc, v1, v18
	v_addc_co_u32_e32 v17, vcc, 0, v15, vcc
; %bb.87:
	s_or_b64 exec, exec, s[6:7]
	s_or_b64 s[0:1], s[0:1], exec
.LBB3473_88:
	s_or_b64 exec, exec, s[2:3]
.LBB3473_89:
	s_and_saveexec_b64 s[2:3], s[0:1]
	s_cbranch_execz .LBB3473_91
; %bb.90:
	s_waitcnt lgkmcnt(1)
	v_lshlrev_b64 v[6:7], 4, v[16:17]
	v_mov_b32_e32 v8, s5
	v_add_co_u32_e32 v6, vcc, s4, v6
	v_addc_co_u32_e32 v7, vcc, v8, v7, vcc
	s_waitcnt lgkmcnt(0)
	global_store_dwordx4 v[6:7], v[2:5], off
.LBB3473_91:
	s_or_b64 exec, exec, s[2:3]
	v_cmp_eq_u32_e32 vcc, 0, v0
	s_and_b64 s[0:1], vcc, s[26:27]
	s_and_saveexec_b64 s[2:3], s[0:1]
	s_cbranch_execz .LBB3473_93
; %bb.92:
	v_add_co_u32_e32 v0, vcc, v1, v14
	s_waitcnt lgkmcnt(0)
	v_mov_b32_e32 v2, 0
	v_addc_co_u32_e32 v1, vcc, 0, v15, vcc
	global_store_dwordx2 v2, v[0:1], s[24:25]
.LBB3473_93:
	s_endpgm
	.section	.rodata,"a",@progbits
	.p2align	6, 0x0
	.amdhsa_kernel _ZN7rocprim17ROCPRIM_400000_NS6detail17trampoline_kernelINS0_14default_configENS1_25partition_config_selectorILNS1_17partition_subalgoE3EN6thrust23THRUST_200600_302600_NS5tupleIxxNS7_9null_typeES9_S9_S9_S9_S9_S9_S9_EENS0_10empty_typeEbEEZZNS1_14partition_implILS5_3ELb0ES3_jNS7_6detail15normal_iteratorINS7_7pointerISA_NS7_11hip_rocprim3tagENS7_11use_defaultESJ_EEEEPSB_SM_NS0_5tupleIJPSA_SM_EEENSN_IJSM_SM_EEESB_PlJ10is_orderedEEE10hipError_tPvRmT3_T4_T5_T6_T7_T9_mT8_P12ihipStream_tbDpT10_ENKUlT_T0_E_clISt17integral_constantIbLb1EES1B_IbLb0EEEEDaS17_S18_EUlS17_E_NS1_11comp_targetILNS1_3genE4ELNS1_11target_archE910ELNS1_3gpuE8ELNS1_3repE0EEENS1_30default_config_static_selectorELNS0_4arch9wavefront6targetE1EEEvT1_
		.amdhsa_group_segment_fixed_size 12296
		.amdhsa_private_segment_fixed_size 0
		.amdhsa_kernarg_size 120
		.amdhsa_user_sgpr_count 6
		.amdhsa_user_sgpr_private_segment_buffer 1
		.amdhsa_user_sgpr_dispatch_ptr 0
		.amdhsa_user_sgpr_queue_ptr 0
		.amdhsa_user_sgpr_kernarg_segment_ptr 1
		.amdhsa_user_sgpr_dispatch_id 0
		.amdhsa_user_sgpr_flat_scratch_init 0
		.amdhsa_user_sgpr_kernarg_preload_length 0
		.amdhsa_user_sgpr_kernarg_preload_offset 0
		.amdhsa_user_sgpr_private_segment_size 0
		.amdhsa_uses_dynamic_stack 0
		.amdhsa_system_sgpr_private_segment_wavefront_offset 0
		.amdhsa_system_sgpr_workgroup_id_x 1
		.amdhsa_system_sgpr_workgroup_id_y 0
		.amdhsa_system_sgpr_workgroup_id_z 0
		.amdhsa_system_sgpr_workgroup_info 0
		.amdhsa_system_vgpr_workitem_id 0
		.amdhsa_next_free_vgpr 48
		.amdhsa_next_free_sgpr 48
		.amdhsa_accum_offset 48
		.amdhsa_reserve_vcc 1
		.amdhsa_reserve_flat_scratch 0
		.amdhsa_float_round_mode_32 0
		.amdhsa_float_round_mode_16_64 0
		.amdhsa_float_denorm_mode_32 3
		.amdhsa_float_denorm_mode_16_64 3
		.amdhsa_dx10_clamp 1
		.amdhsa_ieee_mode 1
		.amdhsa_fp16_overflow 0
		.amdhsa_tg_split 0
		.amdhsa_exception_fp_ieee_invalid_op 0
		.amdhsa_exception_fp_denorm_src 0
		.amdhsa_exception_fp_ieee_div_zero 0
		.amdhsa_exception_fp_ieee_overflow 0
		.amdhsa_exception_fp_ieee_underflow 0
		.amdhsa_exception_fp_ieee_inexact 0
		.amdhsa_exception_int_div_zero 0
	.end_amdhsa_kernel
	.section	.text._ZN7rocprim17ROCPRIM_400000_NS6detail17trampoline_kernelINS0_14default_configENS1_25partition_config_selectorILNS1_17partition_subalgoE3EN6thrust23THRUST_200600_302600_NS5tupleIxxNS7_9null_typeES9_S9_S9_S9_S9_S9_S9_EENS0_10empty_typeEbEEZZNS1_14partition_implILS5_3ELb0ES3_jNS7_6detail15normal_iteratorINS7_7pointerISA_NS7_11hip_rocprim3tagENS7_11use_defaultESJ_EEEEPSB_SM_NS0_5tupleIJPSA_SM_EEENSN_IJSM_SM_EEESB_PlJ10is_orderedEEE10hipError_tPvRmT3_T4_T5_T6_T7_T9_mT8_P12ihipStream_tbDpT10_ENKUlT_T0_E_clISt17integral_constantIbLb1EES1B_IbLb0EEEEDaS17_S18_EUlS17_E_NS1_11comp_targetILNS1_3genE4ELNS1_11target_archE910ELNS1_3gpuE8ELNS1_3repE0EEENS1_30default_config_static_selectorELNS0_4arch9wavefront6targetE1EEEvT1_,"axG",@progbits,_ZN7rocprim17ROCPRIM_400000_NS6detail17trampoline_kernelINS0_14default_configENS1_25partition_config_selectorILNS1_17partition_subalgoE3EN6thrust23THRUST_200600_302600_NS5tupleIxxNS7_9null_typeES9_S9_S9_S9_S9_S9_S9_EENS0_10empty_typeEbEEZZNS1_14partition_implILS5_3ELb0ES3_jNS7_6detail15normal_iteratorINS7_7pointerISA_NS7_11hip_rocprim3tagENS7_11use_defaultESJ_EEEEPSB_SM_NS0_5tupleIJPSA_SM_EEENSN_IJSM_SM_EEESB_PlJ10is_orderedEEE10hipError_tPvRmT3_T4_T5_T6_T7_T9_mT8_P12ihipStream_tbDpT10_ENKUlT_T0_E_clISt17integral_constantIbLb1EES1B_IbLb0EEEEDaS17_S18_EUlS17_E_NS1_11comp_targetILNS1_3genE4ELNS1_11target_archE910ELNS1_3gpuE8ELNS1_3repE0EEENS1_30default_config_static_selectorELNS0_4arch9wavefront6targetE1EEEvT1_,comdat
.Lfunc_end3473:
	.size	_ZN7rocprim17ROCPRIM_400000_NS6detail17trampoline_kernelINS0_14default_configENS1_25partition_config_selectorILNS1_17partition_subalgoE3EN6thrust23THRUST_200600_302600_NS5tupleIxxNS7_9null_typeES9_S9_S9_S9_S9_S9_S9_EENS0_10empty_typeEbEEZZNS1_14partition_implILS5_3ELb0ES3_jNS7_6detail15normal_iteratorINS7_7pointerISA_NS7_11hip_rocprim3tagENS7_11use_defaultESJ_EEEEPSB_SM_NS0_5tupleIJPSA_SM_EEENSN_IJSM_SM_EEESB_PlJ10is_orderedEEE10hipError_tPvRmT3_T4_T5_T6_T7_T9_mT8_P12ihipStream_tbDpT10_ENKUlT_T0_E_clISt17integral_constantIbLb1EES1B_IbLb0EEEEDaS17_S18_EUlS17_E_NS1_11comp_targetILNS1_3genE4ELNS1_11target_archE910ELNS1_3gpuE8ELNS1_3repE0EEENS1_30default_config_static_selectorELNS0_4arch9wavefront6targetE1EEEvT1_, .Lfunc_end3473-_ZN7rocprim17ROCPRIM_400000_NS6detail17trampoline_kernelINS0_14default_configENS1_25partition_config_selectorILNS1_17partition_subalgoE3EN6thrust23THRUST_200600_302600_NS5tupleIxxNS7_9null_typeES9_S9_S9_S9_S9_S9_S9_EENS0_10empty_typeEbEEZZNS1_14partition_implILS5_3ELb0ES3_jNS7_6detail15normal_iteratorINS7_7pointerISA_NS7_11hip_rocprim3tagENS7_11use_defaultESJ_EEEEPSB_SM_NS0_5tupleIJPSA_SM_EEENSN_IJSM_SM_EEESB_PlJ10is_orderedEEE10hipError_tPvRmT3_T4_T5_T6_T7_T9_mT8_P12ihipStream_tbDpT10_ENKUlT_T0_E_clISt17integral_constantIbLb1EES1B_IbLb0EEEEDaS17_S18_EUlS17_E_NS1_11comp_targetILNS1_3genE4ELNS1_11target_archE910ELNS1_3gpuE8ELNS1_3repE0EEENS1_30default_config_static_selectorELNS0_4arch9wavefront6targetE1EEEvT1_
                                        ; -- End function
	.section	.AMDGPU.csdata,"",@progbits
; Kernel info:
; codeLenInByte = 3644
; NumSgprs: 52
; NumVgprs: 48
; NumAgprs: 0
; TotalNumVgprs: 48
; ScratchSize: 0
; MemoryBound: 1
; FloatMode: 240
; IeeeMode: 1
; LDSByteSize: 12296 bytes/workgroup (compile time only)
; SGPRBlocks: 6
; VGPRBlocks: 5
; NumSGPRsForWavesPerEU: 52
; NumVGPRsForWavesPerEU: 48
; AccumOffset: 48
; Occupancy: 5
; WaveLimiterHint : 1
; COMPUTE_PGM_RSRC2:SCRATCH_EN: 0
; COMPUTE_PGM_RSRC2:USER_SGPR: 6
; COMPUTE_PGM_RSRC2:TRAP_HANDLER: 0
; COMPUTE_PGM_RSRC2:TGID_X_EN: 1
; COMPUTE_PGM_RSRC2:TGID_Y_EN: 0
; COMPUTE_PGM_RSRC2:TGID_Z_EN: 0
; COMPUTE_PGM_RSRC2:TIDIG_COMP_CNT: 0
; COMPUTE_PGM_RSRC3_GFX90A:ACCUM_OFFSET: 11
; COMPUTE_PGM_RSRC3_GFX90A:TG_SPLIT: 0
	.section	.text._ZN7rocprim17ROCPRIM_400000_NS6detail17trampoline_kernelINS0_14default_configENS1_25partition_config_selectorILNS1_17partition_subalgoE3EN6thrust23THRUST_200600_302600_NS5tupleIxxNS7_9null_typeES9_S9_S9_S9_S9_S9_S9_EENS0_10empty_typeEbEEZZNS1_14partition_implILS5_3ELb0ES3_jNS7_6detail15normal_iteratorINS7_7pointerISA_NS7_11hip_rocprim3tagENS7_11use_defaultESJ_EEEEPSB_SM_NS0_5tupleIJPSA_SM_EEENSN_IJSM_SM_EEESB_PlJ10is_orderedEEE10hipError_tPvRmT3_T4_T5_T6_T7_T9_mT8_P12ihipStream_tbDpT10_ENKUlT_T0_E_clISt17integral_constantIbLb1EES1B_IbLb0EEEEDaS17_S18_EUlS17_E_NS1_11comp_targetILNS1_3genE3ELNS1_11target_archE908ELNS1_3gpuE7ELNS1_3repE0EEENS1_30default_config_static_selectorELNS0_4arch9wavefront6targetE1EEEvT1_,"axG",@progbits,_ZN7rocprim17ROCPRIM_400000_NS6detail17trampoline_kernelINS0_14default_configENS1_25partition_config_selectorILNS1_17partition_subalgoE3EN6thrust23THRUST_200600_302600_NS5tupleIxxNS7_9null_typeES9_S9_S9_S9_S9_S9_S9_EENS0_10empty_typeEbEEZZNS1_14partition_implILS5_3ELb0ES3_jNS7_6detail15normal_iteratorINS7_7pointerISA_NS7_11hip_rocprim3tagENS7_11use_defaultESJ_EEEEPSB_SM_NS0_5tupleIJPSA_SM_EEENSN_IJSM_SM_EEESB_PlJ10is_orderedEEE10hipError_tPvRmT3_T4_T5_T6_T7_T9_mT8_P12ihipStream_tbDpT10_ENKUlT_T0_E_clISt17integral_constantIbLb1EES1B_IbLb0EEEEDaS17_S18_EUlS17_E_NS1_11comp_targetILNS1_3genE3ELNS1_11target_archE908ELNS1_3gpuE7ELNS1_3repE0EEENS1_30default_config_static_selectorELNS0_4arch9wavefront6targetE1EEEvT1_,comdat
	.protected	_ZN7rocprim17ROCPRIM_400000_NS6detail17trampoline_kernelINS0_14default_configENS1_25partition_config_selectorILNS1_17partition_subalgoE3EN6thrust23THRUST_200600_302600_NS5tupleIxxNS7_9null_typeES9_S9_S9_S9_S9_S9_S9_EENS0_10empty_typeEbEEZZNS1_14partition_implILS5_3ELb0ES3_jNS7_6detail15normal_iteratorINS7_7pointerISA_NS7_11hip_rocprim3tagENS7_11use_defaultESJ_EEEEPSB_SM_NS0_5tupleIJPSA_SM_EEENSN_IJSM_SM_EEESB_PlJ10is_orderedEEE10hipError_tPvRmT3_T4_T5_T6_T7_T9_mT8_P12ihipStream_tbDpT10_ENKUlT_T0_E_clISt17integral_constantIbLb1EES1B_IbLb0EEEEDaS17_S18_EUlS17_E_NS1_11comp_targetILNS1_3genE3ELNS1_11target_archE908ELNS1_3gpuE7ELNS1_3repE0EEENS1_30default_config_static_selectorELNS0_4arch9wavefront6targetE1EEEvT1_ ; -- Begin function _ZN7rocprim17ROCPRIM_400000_NS6detail17trampoline_kernelINS0_14default_configENS1_25partition_config_selectorILNS1_17partition_subalgoE3EN6thrust23THRUST_200600_302600_NS5tupleIxxNS7_9null_typeES9_S9_S9_S9_S9_S9_S9_EENS0_10empty_typeEbEEZZNS1_14partition_implILS5_3ELb0ES3_jNS7_6detail15normal_iteratorINS7_7pointerISA_NS7_11hip_rocprim3tagENS7_11use_defaultESJ_EEEEPSB_SM_NS0_5tupleIJPSA_SM_EEENSN_IJSM_SM_EEESB_PlJ10is_orderedEEE10hipError_tPvRmT3_T4_T5_T6_T7_T9_mT8_P12ihipStream_tbDpT10_ENKUlT_T0_E_clISt17integral_constantIbLb1EES1B_IbLb0EEEEDaS17_S18_EUlS17_E_NS1_11comp_targetILNS1_3genE3ELNS1_11target_archE908ELNS1_3gpuE7ELNS1_3repE0EEENS1_30default_config_static_selectorELNS0_4arch9wavefront6targetE1EEEvT1_
	.globl	_ZN7rocprim17ROCPRIM_400000_NS6detail17trampoline_kernelINS0_14default_configENS1_25partition_config_selectorILNS1_17partition_subalgoE3EN6thrust23THRUST_200600_302600_NS5tupleIxxNS7_9null_typeES9_S9_S9_S9_S9_S9_S9_EENS0_10empty_typeEbEEZZNS1_14partition_implILS5_3ELb0ES3_jNS7_6detail15normal_iteratorINS7_7pointerISA_NS7_11hip_rocprim3tagENS7_11use_defaultESJ_EEEEPSB_SM_NS0_5tupleIJPSA_SM_EEENSN_IJSM_SM_EEESB_PlJ10is_orderedEEE10hipError_tPvRmT3_T4_T5_T6_T7_T9_mT8_P12ihipStream_tbDpT10_ENKUlT_T0_E_clISt17integral_constantIbLb1EES1B_IbLb0EEEEDaS17_S18_EUlS17_E_NS1_11comp_targetILNS1_3genE3ELNS1_11target_archE908ELNS1_3gpuE7ELNS1_3repE0EEENS1_30default_config_static_selectorELNS0_4arch9wavefront6targetE1EEEvT1_
	.p2align	8
	.type	_ZN7rocprim17ROCPRIM_400000_NS6detail17trampoline_kernelINS0_14default_configENS1_25partition_config_selectorILNS1_17partition_subalgoE3EN6thrust23THRUST_200600_302600_NS5tupleIxxNS7_9null_typeES9_S9_S9_S9_S9_S9_S9_EENS0_10empty_typeEbEEZZNS1_14partition_implILS5_3ELb0ES3_jNS7_6detail15normal_iteratorINS7_7pointerISA_NS7_11hip_rocprim3tagENS7_11use_defaultESJ_EEEEPSB_SM_NS0_5tupleIJPSA_SM_EEENSN_IJSM_SM_EEESB_PlJ10is_orderedEEE10hipError_tPvRmT3_T4_T5_T6_T7_T9_mT8_P12ihipStream_tbDpT10_ENKUlT_T0_E_clISt17integral_constantIbLb1EES1B_IbLb0EEEEDaS17_S18_EUlS17_E_NS1_11comp_targetILNS1_3genE3ELNS1_11target_archE908ELNS1_3gpuE7ELNS1_3repE0EEENS1_30default_config_static_selectorELNS0_4arch9wavefront6targetE1EEEvT1_,@function
_ZN7rocprim17ROCPRIM_400000_NS6detail17trampoline_kernelINS0_14default_configENS1_25partition_config_selectorILNS1_17partition_subalgoE3EN6thrust23THRUST_200600_302600_NS5tupleIxxNS7_9null_typeES9_S9_S9_S9_S9_S9_S9_EENS0_10empty_typeEbEEZZNS1_14partition_implILS5_3ELb0ES3_jNS7_6detail15normal_iteratorINS7_7pointerISA_NS7_11hip_rocprim3tagENS7_11use_defaultESJ_EEEEPSB_SM_NS0_5tupleIJPSA_SM_EEENSN_IJSM_SM_EEESB_PlJ10is_orderedEEE10hipError_tPvRmT3_T4_T5_T6_T7_T9_mT8_P12ihipStream_tbDpT10_ENKUlT_T0_E_clISt17integral_constantIbLb1EES1B_IbLb0EEEEDaS17_S18_EUlS17_E_NS1_11comp_targetILNS1_3genE3ELNS1_11target_archE908ELNS1_3gpuE7ELNS1_3repE0EEENS1_30default_config_static_selectorELNS0_4arch9wavefront6targetE1EEEvT1_: ; @_ZN7rocprim17ROCPRIM_400000_NS6detail17trampoline_kernelINS0_14default_configENS1_25partition_config_selectorILNS1_17partition_subalgoE3EN6thrust23THRUST_200600_302600_NS5tupleIxxNS7_9null_typeES9_S9_S9_S9_S9_S9_S9_EENS0_10empty_typeEbEEZZNS1_14partition_implILS5_3ELb0ES3_jNS7_6detail15normal_iteratorINS7_7pointerISA_NS7_11hip_rocprim3tagENS7_11use_defaultESJ_EEEEPSB_SM_NS0_5tupleIJPSA_SM_EEENSN_IJSM_SM_EEESB_PlJ10is_orderedEEE10hipError_tPvRmT3_T4_T5_T6_T7_T9_mT8_P12ihipStream_tbDpT10_ENKUlT_T0_E_clISt17integral_constantIbLb1EES1B_IbLb0EEEEDaS17_S18_EUlS17_E_NS1_11comp_targetILNS1_3genE3ELNS1_11target_archE908ELNS1_3gpuE7ELNS1_3repE0EEENS1_30default_config_static_selectorELNS0_4arch9wavefront6targetE1EEEvT1_
; %bb.0:
	.section	.rodata,"a",@progbits
	.p2align	6, 0x0
	.amdhsa_kernel _ZN7rocprim17ROCPRIM_400000_NS6detail17trampoline_kernelINS0_14default_configENS1_25partition_config_selectorILNS1_17partition_subalgoE3EN6thrust23THRUST_200600_302600_NS5tupleIxxNS7_9null_typeES9_S9_S9_S9_S9_S9_S9_EENS0_10empty_typeEbEEZZNS1_14partition_implILS5_3ELb0ES3_jNS7_6detail15normal_iteratorINS7_7pointerISA_NS7_11hip_rocprim3tagENS7_11use_defaultESJ_EEEEPSB_SM_NS0_5tupleIJPSA_SM_EEENSN_IJSM_SM_EEESB_PlJ10is_orderedEEE10hipError_tPvRmT3_T4_T5_T6_T7_T9_mT8_P12ihipStream_tbDpT10_ENKUlT_T0_E_clISt17integral_constantIbLb1EES1B_IbLb0EEEEDaS17_S18_EUlS17_E_NS1_11comp_targetILNS1_3genE3ELNS1_11target_archE908ELNS1_3gpuE7ELNS1_3repE0EEENS1_30default_config_static_selectorELNS0_4arch9wavefront6targetE1EEEvT1_
		.amdhsa_group_segment_fixed_size 0
		.amdhsa_private_segment_fixed_size 0
		.amdhsa_kernarg_size 120
		.amdhsa_user_sgpr_count 6
		.amdhsa_user_sgpr_private_segment_buffer 1
		.amdhsa_user_sgpr_dispatch_ptr 0
		.amdhsa_user_sgpr_queue_ptr 0
		.amdhsa_user_sgpr_kernarg_segment_ptr 1
		.amdhsa_user_sgpr_dispatch_id 0
		.amdhsa_user_sgpr_flat_scratch_init 0
		.amdhsa_user_sgpr_kernarg_preload_length 0
		.amdhsa_user_sgpr_kernarg_preload_offset 0
		.amdhsa_user_sgpr_private_segment_size 0
		.amdhsa_uses_dynamic_stack 0
		.amdhsa_system_sgpr_private_segment_wavefront_offset 0
		.amdhsa_system_sgpr_workgroup_id_x 1
		.amdhsa_system_sgpr_workgroup_id_y 0
		.amdhsa_system_sgpr_workgroup_id_z 0
		.amdhsa_system_sgpr_workgroup_info 0
		.amdhsa_system_vgpr_workitem_id 0
		.amdhsa_next_free_vgpr 1
		.amdhsa_next_free_sgpr 0
		.amdhsa_accum_offset 4
		.amdhsa_reserve_vcc 0
		.amdhsa_reserve_flat_scratch 0
		.amdhsa_float_round_mode_32 0
		.amdhsa_float_round_mode_16_64 0
		.amdhsa_float_denorm_mode_32 3
		.amdhsa_float_denorm_mode_16_64 3
		.amdhsa_dx10_clamp 1
		.amdhsa_ieee_mode 1
		.amdhsa_fp16_overflow 0
		.amdhsa_tg_split 0
		.amdhsa_exception_fp_ieee_invalid_op 0
		.amdhsa_exception_fp_denorm_src 0
		.amdhsa_exception_fp_ieee_div_zero 0
		.amdhsa_exception_fp_ieee_overflow 0
		.amdhsa_exception_fp_ieee_underflow 0
		.amdhsa_exception_fp_ieee_inexact 0
		.amdhsa_exception_int_div_zero 0
	.end_amdhsa_kernel
	.section	.text._ZN7rocprim17ROCPRIM_400000_NS6detail17trampoline_kernelINS0_14default_configENS1_25partition_config_selectorILNS1_17partition_subalgoE3EN6thrust23THRUST_200600_302600_NS5tupleIxxNS7_9null_typeES9_S9_S9_S9_S9_S9_S9_EENS0_10empty_typeEbEEZZNS1_14partition_implILS5_3ELb0ES3_jNS7_6detail15normal_iteratorINS7_7pointerISA_NS7_11hip_rocprim3tagENS7_11use_defaultESJ_EEEEPSB_SM_NS0_5tupleIJPSA_SM_EEENSN_IJSM_SM_EEESB_PlJ10is_orderedEEE10hipError_tPvRmT3_T4_T5_T6_T7_T9_mT8_P12ihipStream_tbDpT10_ENKUlT_T0_E_clISt17integral_constantIbLb1EES1B_IbLb0EEEEDaS17_S18_EUlS17_E_NS1_11comp_targetILNS1_3genE3ELNS1_11target_archE908ELNS1_3gpuE7ELNS1_3repE0EEENS1_30default_config_static_selectorELNS0_4arch9wavefront6targetE1EEEvT1_,"axG",@progbits,_ZN7rocprim17ROCPRIM_400000_NS6detail17trampoline_kernelINS0_14default_configENS1_25partition_config_selectorILNS1_17partition_subalgoE3EN6thrust23THRUST_200600_302600_NS5tupleIxxNS7_9null_typeES9_S9_S9_S9_S9_S9_S9_EENS0_10empty_typeEbEEZZNS1_14partition_implILS5_3ELb0ES3_jNS7_6detail15normal_iteratorINS7_7pointerISA_NS7_11hip_rocprim3tagENS7_11use_defaultESJ_EEEEPSB_SM_NS0_5tupleIJPSA_SM_EEENSN_IJSM_SM_EEESB_PlJ10is_orderedEEE10hipError_tPvRmT3_T4_T5_T6_T7_T9_mT8_P12ihipStream_tbDpT10_ENKUlT_T0_E_clISt17integral_constantIbLb1EES1B_IbLb0EEEEDaS17_S18_EUlS17_E_NS1_11comp_targetILNS1_3genE3ELNS1_11target_archE908ELNS1_3gpuE7ELNS1_3repE0EEENS1_30default_config_static_selectorELNS0_4arch9wavefront6targetE1EEEvT1_,comdat
.Lfunc_end3474:
	.size	_ZN7rocprim17ROCPRIM_400000_NS6detail17trampoline_kernelINS0_14default_configENS1_25partition_config_selectorILNS1_17partition_subalgoE3EN6thrust23THRUST_200600_302600_NS5tupleIxxNS7_9null_typeES9_S9_S9_S9_S9_S9_S9_EENS0_10empty_typeEbEEZZNS1_14partition_implILS5_3ELb0ES3_jNS7_6detail15normal_iteratorINS7_7pointerISA_NS7_11hip_rocprim3tagENS7_11use_defaultESJ_EEEEPSB_SM_NS0_5tupleIJPSA_SM_EEENSN_IJSM_SM_EEESB_PlJ10is_orderedEEE10hipError_tPvRmT3_T4_T5_T6_T7_T9_mT8_P12ihipStream_tbDpT10_ENKUlT_T0_E_clISt17integral_constantIbLb1EES1B_IbLb0EEEEDaS17_S18_EUlS17_E_NS1_11comp_targetILNS1_3genE3ELNS1_11target_archE908ELNS1_3gpuE7ELNS1_3repE0EEENS1_30default_config_static_selectorELNS0_4arch9wavefront6targetE1EEEvT1_, .Lfunc_end3474-_ZN7rocprim17ROCPRIM_400000_NS6detail17trampoline_kernelINS0_14default_configENS1_25partition_config_selectorILNS1_17partition_subalgoE3EN6thrust23THRUST_200600_302600_NS5tupleIxxNS7_9null_typeES9_S9_S9_S9_S9_S9_S9_EENS0_10empty_typeEbEEZZNS1_14partition_implILS5_3ELb0ES3_jNS7_6detail15normal_iteratorINS7_7pointerISA_NS7_11hip_rocprim3tagENS7_11use_defaultESJ_EEEEPSB_SM_NS0_5tupleIJPSA_SM_EEENSN_IJSM_SM_EEESB_PlJ10is_orderedEEE10hipError_tPvRmT3_T4_T5_T6_T7_T9_mT8_P12ihipStream_tbDpT10_ENKUlT_T0_E_clISt17integral_constantIbLb1EES1B_IbLb0EEEEDaS17_S18_EUlS17_E_NS1_11comp_targetILNS1_3genE3ELNS1_11target_archE908ELNS1_3gpuE7ELNS1_3repE0EEENS1_30default_config_static_selectorELNS0_4arch9wavefront6targetE1EEEvT1_
                                        ; -- End function
	.section	.AMDGPU.csdata,"",@progbits
; Kernel info:
; codeLenInByte = 0
; NumSgprs: 4
; NumVgprs: 0
; NumAgprs: 0
; TotalNumVgprs: 0
; ScratchSize: 0
; MemoryBound: 0
; FloatMode: 240
; IeeeMode: 1
; LDSByteSize: 0 bytes/workgroup (compile time only)
; SGPRBlocks: 0
; VGPRBlocks: 0
; NumSGPRsForWavesPerEU: 4
; NumVGPRsForWavesPerEU: 1
; AccumOffset: 4
; Occupancy: 8
; WaveLimiterHint : 0
; COMPUTE_PGM_RSRC2:SCRATCH_EN: 0
; COMPUTE_PGM_RSRC2:USER_SGPR: 6
; COMPUTE_PGM_RSRC2:TRAP_HANDLER: 0
; COMPUTE_PGM_RSRC2:TGID_X_EN: 1
; COMPUTE_PGM_RSRC2:TGID_Y_EN: 0
; COMPUTE_PGM_RSRC2:TGID_Z_EN: 0
; COMPUTE_PGM_RSRC2:TIDIG_COMP_CNT: 0
; COMPUTE_PGM_RSRC3_GFX90A:ACCUM_OFFSET: 0
; COMPUTE_PGM_RSRC3_GFX90A:TG_SPLIT: 0
	.section	.text._ZN7rocprim17ROCPRIM_400000_NS6detail17trampoline_kernelINS0_14default_configENS1_25partition_config_selectorILNS1_17partition_subalgoE3EN6thrust23THRUST_200600_302600_NS5tupleIxxNS7_9null_typeES9_S9_S9_S9_S9_S9_S9_EENS0_10empty_typeEbEEZZNS1_14partition_implILS5_3ELb0ES3_jNS7_6detail15normal_iteratorINS7_7pointerISA_NS7_11hip_rocprim3tagENS7_11use_defaultESJ_EEEEPSB_SM_NS0_5tupleIJPSA_SM_EEENSN_IJSM_SM_EEESB_PlJ10is_orderedEEE10hipError_tPvRmT3_T4_T5_T6_T7_T9_mT8_P12ihipStream_tbDpT10_ENKUlT_T0_E_clISt17integral_constantIbLb1EES1B_IbLb0EEEEDaS17_S18_EUlS17_E_NS1_11comp_targetILNS1_3genE2ELNS1_11target_archE906ELNS1_3gpuE6ELNS1_3repE0EEENS1_30default_config_static_selectorELNS0_4arch9wavefront6targetE1EEEvT1_,"axG",@progbits,_ZN7rocprim17ROCPRIM_400000_NS6detail17trampoline_kernelINS0_14default_configENS1_25partition_config_selectorILNS1_17partition_subalgoE3EN6thrust23THRUST_200600_302600_NS5tupleIxxNS7_9null_typeES9_S9_S9_S9_S9_S9_S9_EENS0_10empty_typeEbEEZZNS1_14partition_implILS5_3ELb0ES3_jNS7_6detail15normal_iteratorINS7_7pointerISA_NS7_11hip_rocprim3tagENS7_11use_defaultESJ_EEEEPSB_SM_NS0_5tupleIJPSA_SM_EEENSN_IJSM_SM_EEESB_PlJ10is_orderedEEE10hipError_tPvRmT3_T4_T5_T6_T7_T9_mT8_P12ihipStream_tbDpT10_ENKUlT_T0_E_clISt17integral_constantIbLb1EES1B_IbLb0EEEEDaS17_S18_EUlS17_E_NS1_11comp_targetILNS1_3genE2ELNS1_11target_archE906ELNS1_3gpuE6ELNS1_3repE0EEENS1_30default_config_static_selectorELNS0_4arch9wavefront6targetE1EEEvT1_,comdat
	.protected	_ZN7rocprim17ROCPRIM_400000_NS6detail17trampoline_kernelINS0_14default_configENS1_25partition_config_selectorILNS1_17partition_subalgoE3EN6thrust23THRUST_200600_302600_NS5tupleIxxNS7_9null_typeES9_S9_S9_S9_S9_S9_S9_EENS0_10empty_typeEbEEZZNS1_14partition_implILS5_3ELb0ES3_jNS7_6detail15normal_iteratorINS7_7pointerISA_NS7_11hip_rocprim3tagENS7_11use_defaultESJ_EEEEPSB_SM_NS0_5tupleIJPSA_SM_EEENSN_IJSM_SM_EEESB_PlJ10is_orderedEEE10hipError_tPvRmT3_T4_T5_T6_T7_T9_mT8_P12ihipStream_tbDpT10_ENKUlT_T0_E_clISt17integral_constantIbLb1EES1B_IbLb0EEEEDaS17_S18_EUlS17_E_NS1_11comp_targetILNS1_3genE2ELNS1_11target_archE906ELNS1_3gpuE6ELNS1_3repE0EEENS1_30default_config_static_selectorELNS0_4arch9wavefront6targetE1EEEvT1_ ; -- Begin function _ZN7rocprim17ROCPRIM_400000_NS6detail17trampoline_kernelINS0_14default_configENS1_25partition_config_selectorILNS1_17partition_subalgoE3EN6thrust23THRUST_200600_302600_NS5tupleIxxNS7_9null_typeES9_S9_S9_S9_S9_S9_S9_EENS0_10empty_typeEbEEZZNS1_14partition_implILS5_3ELb0ES3_jNS7_6detail15normal_iteratorINS7_7pointerISA_NS7_11hip_rocprim3tagENS7_11use_defaultESJ_EEEEPSB_SM_NS0_5tupleIJPSA_SM_EEENSN_IJSM_SM_EEESB_PlJ10is_orderedEEE10hipError_tPvRmT3_T4_T5_T6_T7_T9_mT8_P12ihipStream_tbDpT10_ENKUlT_T0_E_clISt17integral_constantIbLb1EES1B_IbLb0EEEEDaS17_S18_EUlS17_E_NS1_11comp_targetILNS1_3genE2ELNS1_11target_archE906ELNS1_3gpuE6ELNS1_3repE0EEENS1_30default_config_static_selectorELNS0_4arch9wavefront6targetE1EEEvT1_
	.globl	_ZN7rocprim17ROCPRIM_400000_NS6detail17trampoline_kernelINS0_14default_configENS1_25partition_config_selectorILNS1_17partition_subalgoE3EN6thrust23THRUST_200600_302600_NS5tupleIxxNS7_9null_typeES9_S9_S9_S9_S9_S9_S9_EENS0_10empty_typeEbEEZZNS1_14partition_implILS5_3ELb0ES3_jNS7_6detail15normal_iteratorINS7_7pointerISA_NS7_11hip_rocprim3tagENS7_11use_defaultESJ_EEEEPSB_SM_NS0_5tupleIJPSA_SM_EEENSN_IJSM_SM_EEESB_PlJ10is_orderedEEE10hipError_tPvRmT3_T4_T5_T6_T7_T9_mT8_P12ihipStream_tbDpT10_ENKUlT_T0_E_clISt17integral_constantIbLb1EES1B_IbLb0EEEEDaS17_S18_EUlS17_E_NS1_11comp_targetILNS1_3genE2ELNS1_11target_archE906ELNS1_3gpuE6ELNS1_3repE0EEENS1_30default_config_static_selectorELNS0_4arch9wavefront6targetE1EEEvT1_
	.p2align	8
	.type	_ZN7rocprim17ROCPRIM_400000_NS6detail17trampoline_kernelINS0_14default_configENS1_25partition_config_selectorILNS1_17partition_subalgoE3EN6thrust23THRUST_200600_302600_NS5tupleIxxNS7_9null_typeES9_S9_S9_S9_S9_S9_S9_EENS0_10empty_typeEbEEZZNS1_14partition_implILS5_3ELb0ES3_jNS7_6detail15normal_iteratorINS7_7pointerISA_NS7_11hip_rocprim3tagENS7_11use_defaultESJ_EEEEPSB_SM_NS0_5tupleIJPSA_SM_EEENSN_IJSM_SM_EEESB_PlJ10is_orderedEEE10hipError_tPvRmT3_T4_T5_T6_T7_T9_mT8_P12ihipStream_tbDpT10_ENKUlT_T0_E_clISt17integral_constantIbLb1EES1B_IbLb0EEEEDaS17_S18_EUlS17_E_NS1_11comp_targetILNS1_3genE2ELNS1_11target_archE906ELNS1_3gpuE6ELNS1_3repE0EEENS1_30default_config_static_selectorELNS0_4arch9wavefront6targetE1EEEvT1_,@function
_ZN7rocprim17ROCPRIM_400000_NS6detail17trampoline_kernelINS0_14default_configENS1_25partition_config_selectorILNS1_17partition_subalgoE3EN6thrust23THRUST_200600_302600_NS5tupleIxxNS7_9null_typeES9_S9_S9_S9_S9_S9_S9_EENS0_10empty_typeEbEEZZNS1_14partition_implILS5_3ELb0ES3_jNS7_6detail15normal_iteratorINS7_7pointerISA_NS7_11hip_rocprim3tagENS7_11use_defaultESJ_EEEEPSB_SM_NS0_5tupleIJPSA_SM_EEENSN_IJSM_SM_EEESB_PlJ10is_orderedEEE10hipError_tPvRmT3_T4_T5_T6_T7_T9_mT8_P12ihipStream_tbDpT10_ENKUlT_T0_E_clISt17integral_constantIbLb1EES1B_IbLb0EEEEDaS17_S18_EUlS17_E_NS1_11comp_targetILNS1_3genE2ELNS1_11target_archE906ELNS1_3gpuE6ELNS1_3repE0EEENS1_30default_config_static_selectorELNS0_4arch9wavefront6targetE1EEEvT1_: ; @_ZN7rocprim17ROCPRIM_400000_NS6detail17trampoline_kernelINS0_14default_configENS1_25partition_config_selectorILNS1_17partition_subalgoE3EN6thrust23THRUST_200600_302600_NS5tupleIxxNS7_9null_typeES9_S9_S9_S9_S9_S9_S9_EENS0_10empty_typeEbEEZZNS1_14partition_implILS5_3ELb0ES3_jNS7_6detail15normal_iteratorINS7_7pointerISA_NS7_11hip_rocprim3tagENS7_11use_defaultESJ_EEEEPSB_SM_NS0_5tupleIJPSA_SM_EEENSN_IJSM_SM_EEESB_PlJ10is_orderedEEE10hipError_tPvRmT3_T4_T5_T6_T7_T9_mT8_P12ihipStream_tbDpT10_ENKUlT_T0_E_clISt17integral_constantIbLb1EES1B_IbLb0EEEEDaS17_S18_EUlS17_E_NS1_11comp_targetILNS1_3genE2ELNS1_11target_archE906ELNS1_3gpuE6ELNS1_3repE0EEENS1_30default_config_static_selectorELNS0_4arch9wavefront6targetE1EEEvT1_
; %bb.0:
	.section	.rodata,"a",@progbits
	.p2align	6, 0x0
	.amdhsa_kernel _ZN7rocprim17ROCPRIM_400000_NS6detail17trampoline_kernelINS0_14default_configENS1_25partition_config_selectorILNS1_17partition_subalgoE3EN6thrust23THRUST_200600_302600_NS5tupleIxxNS7_9null_typeES9_S9_S9_S9_S9_S9_S9_EENS0_10empty_typeEbEEZZNS1_14partition_implILS5_3ELb0ES3_jNS7_6detail15normal_iteratorINS7_7pointerISA_NS7_11hip_rocprim3tagENS7_11use_defaultESJ_EEEEPSB_SM_NS0_5tupleIJPSA_SM_EEENSN_IJSM_SM_EEESB_PlJ10is_orderedEEE10hipError_tPvRmT3_T4_T5_T6_T7_T9_mT8_P12ihipStream_tbDpT10_ENKUlT_T0_E_clISt17integral_constantIbLb1EES1B_IbLb0EEEEDaS17_S18_EUlS17_E_NS1_11comp_targetILNS1_3genE2ELNS1_11target_archE906ELNS1_3gpuE6ELNS1_3repE0EEENS1_30default_config_static_selectorELNS0_4arch9wavefront6targetE1EEEvT1_
		.amdhsa_group_segment_fixed_size 0
		.amdhsa_private_segment_fixed_size 0
		.amdhsa_kernarg_size 120
		.amdhsa_user_sgpr_count 6
		.amdhsa_user_sgpr_private_segment_buffer 1
		.amdhsa_user_sgpr_dispatch_ptr 0
		.amdhsa_user_sgpr_queue_ptr 0
		.amdhsa_user_sgpr_kernarg_segment_ptr 1
		.amdhsa_user_sgpr_dispatch_id 0
		.amdhsa_user_sgpr_flat_scratch_init 0
		.amdhsa_user_sgpr_kernarg_preload_length 0
		.amdhsa_user_sgpr_kernarg_preload_offset 0
		.amdhsa_user_sgpr_private_segment_size 0
		.amdhsa_uses_dynamic_stack 0
		.amdhsa_system_sgpr_private_segment_wavefront_offset 0
		.amdhsa_system_sgpr_workgroup_id_x 1
		.amdhsa_system_sgpr_workgroup_id_y 0
		.amdhsa_system_sgpr_workgroup_id_z 0
		.amdhsa_system_sgpr_workgroup_info 0
		.amdhsa_system_vgpr_workitem_id 0
		.amdhsa_next_free_vgpr 1
		.amdhsa_next_free_sgpr 0
		.amdhsa_accum_offset 4
		.amdhsa_reserve_vcc 0
		.amdhsa_reserve_flat_scratch 0
		.amdhsa_float_round_mode_32 0
		.amdhsa_float_round_mode_16_64 0
		.amdhsa_float_denorm_mode_32 3
		.amdhsa_float_denorm_mode_16_64 3
		.amdhsa_dx10_clamp 1
		.amdhsa_ieee_mode 1
		.amdhsa_fp16_overflow 0
		.amdhsa_tg_split 0
		.amdhsa_exception_fp_ieee_invalid_op 0
		.amdhsa_exception_fp_denorm_src 0
		.amdhsa_exception_fp_ieee_div_zero 0
		.amdhsa_exception_fp_ieee_overflow 0
		.amdhsa_exception_fp_ieee_underflow 0
		.amdhsa_exception_fp_ieee_inexact 0
		.amdhsa_exception_int_div_zero 0
	.end_amdhsa_kernel
	.section	.text._ZN7rocprim17ROCPRIM_400000_NS6detail17trampoline_kernelINS0_14default_configENS1_25partition_config_selectorILNS1_17partition_subalgoE3EN6thrust23THRUST_200600_302600_NS5tupleIxxNS7_9null_typeES9_S9_S9_S9_S9_S9_S9_EENS0_10empty_typeEbEEZZNS1_14partition_implILS5_3ELb0ES3_jNS7_6detail15normal_iteratorINS7_7pointerISA_NS7_11hip_rocprim3tagENS7_11use_defaultESJ_EEEEPSB_SM_NS0_5tupleIJPSA_SM_EEENSN_IJSM_SM_EEESB_PlJ10is_orderedEEE10hipError_tPvRmT3_T4_T5_T6_T7_T9_mT8_P12ihipStream_tbDpT10_ENKUlT_T0_E_clISt17integral_constantIbLb1EES1B_IbLb0EEEEDaS17_S18_EUlS17_E_NS1_11comp_targetILNS1_3genE2ELNS1_11target_archE906ELNS1_3gpuE6ELNS1_3repE0EEENS1_30default_config_static_selectorELNS0_4arch9wavefront6targetE1EEEvT1_,"axG",@progbits,_ZN7rocprim17ROCPRIM_400000_NS6detail17trampoline_kernelINS0_14default_configENS1_25partition_config_selectorILNS1_17partition_subalgoE3EN6thrust23THRUST_200600_302600_NS5tupleIxxNS7_9null_typeES9_S9_S9_S9_S9_S9_S9_EENS0_10empty_typeEbEEZZNS1_14partition_implILS5_3ELb0ES3_jNS7_6detail15normal_iteratorINS7_7pointerISA_NS7_11hip_rocprim3tagENS7_11use_defaultESJ_EEEEPSB_SM_NS0_5tupleIJPSA_SM_EEENSN_IJSM_SM_EEESB_PlJ10is_orderedEEE10hipError_tPvRmT3_T4_T5_T6_T7_T9_mT8_P12ihipStream_tbDpT10_ENKUlT_T0_E_clISt17integral_constantIbLb1EES1B_IbLb0EEEEDaS17_S18_EUlS17_E_NS1_11comp_targetILNS1_3genE2ELNS1_11target_archE906ELNS1_3gpuE6ELNS1_3repE0EEENS1_30default_config_static_selectorELNS0_4arch9wavefront6targetE1EEEvT1_,comdat
.Lfunc_end3475:
	.size	_ZN7rocprim17ROCPRIM_400000_NS6detail17trampoline_kernelINS0_14default_configENS1_25partition_config_selectorILNS1_17partition_subalgoE3EN6thrust23THRUST_200600_302600_NS5tupleIxxNS7_9null_typeES9_S9_S9_S9_S9_S9_S9_EENS0_10empty_typeEbEEZZNS1_14partition_implILS5_3ELb0ES3_jNS7_6detail15normal_iteratorINS7_7pointerISA_NS7_11hip_rocprim3tagENS7_11use_defaultESJ_EEEEPSB_SM_NS0_5tupleIJPSA_SM_EEENSN_IJSM_SM_EEESB_PlJ10is_orderedEEE10hipError_tPvRmT3_T4_T5_T6_T7_T9_mT8_P12ihipStream_tbDpT10_ENKUlT_T0_E_clISt17integral_constantIbLb1EES1B_IbLb0EEEEDaS17_S18_EUlS17_E_NS1_11comp_targetILNS1_3genE2ELNS1_11target_archE906ELNS1_3gpuE6ELNS1_3repE0EEENS1_30default_config_static_selectorELNS0_4arch9wavefront6targetE1EEEvT1_, .Lfunc_end3475-_ZN7rocprim17ROCPRIM_400000_NS6detail17trampoline_kernelINS0_14default_configENS1_25partition_config_selectorILNS1_17partition_subalgoE3EN6thrust23THRUST_200600_302600_NS5tupleIxxNS7_9null_typeES9_S9_S9_S9_S9_S9_S9_EENS0_10empty_typeEbEEZZNS1_14partition_implILS5_3ELb0ES3_jNS7_6detail15normal_iteratorINS7_7pointerISA_NS7_11hip_rocprim3tagENS7_11use_defaultESJ_EEEEPSB_SM_NS0_5tupleIJPSA_SM_EEENSN_IJSM_SM_EEESB_PlJ10is_orderedEEE10hipError_tPvRmT3_T4_T5_T6_T7_T9_mT8_P12ihipStream_tbDpT10_ENKUlT_T0_E_clISt17integral_constantIbLb1EES1B_IbLb0EEEEDaS17_S18_EUlS17_E_NS1_11comp_targetILNS1_3genE2ELNS1_11target_archE906ELNS1_3gpuE6ELNS1_3repE0EEENS1_30default_config_static_selectorELNS0_4arch9wavefront6targetE1EEEvT1_
                                        ; -- End function
	.section	.AMDGPU.csdata,"",@progbits
; Kernel info:
; codeLenInByte = 0
; NumSgprs: 4
; NumVgprs: 0
; NumAgprs: 0
; TotalNumVgprs: 0
; ScratchSize: 0
; MemoryBound: 0
; FloatMode: 240
; IeeeMode: 1
; LDSByteSize: 0 bytes/workgroup (compile time only)
; SGPRBlocks: 0
; VGPRBlocks: 0
; NumSGPRsForWavesPerEU: 4
; NumVGPRsForWavesPerEU: 1
; AccumOffset: 4
; Occupancy: 8
; WaveLimiterHint : 0
; COMPUTE_PGM_RSRC2:SCRATCH_EN: 0
; COMPUTE_PGM_RSRC2:USER_SGPR: 6
; COMPUTE_PGM_RSRC2:TRAP_HANDLER: 0
; COMPUTE_PGM_RSRC2:TGID_X_EN: 1
; COMPUTE_PGM_RSRC2:TGID_Y_EN: 0
; COMPUTE_PGM_RSRC2:TGID_Z_EN: 0
; COMPUTE_PGM_RSRC2:TIDIG_COMP_CNT: 0
; COMPUTE_PGM_RSRC3_GFX90A:ACCUM_OFFSET: 0
; COMPUTE_PGM_RSRC3_GFX90A:TG_SPLIT: 0
	.section	.text._ZN7rocprim17ROCPRIM_400000_NS6detail17trampoline_kernelINS0_14default_configENS1_25partition_config_selectorILNS1_17partition_subalgoE3EN6thrust23THRUST_200600_302600_NS5tupleIxxNS7_9null_typeES9_S9_S9_S9_S9_S9_S9_EENS0_10empty_typeEbEEZZNS1_14partition_implILS5_3ELb0ES3_jNS7_6detail15normal_iteratorINS7_7pointerISA_NS7_11hip_rocprim3tagENS7_11use_defaultESJ_EEEEPSB_SM_NS0_5tupleIJPSA_SM_EEENSN_IJSM_SM_EEESB_PlJ10is_orderedEEE10hipError_tPvRmT3_T4_T5_T6_T7_T9_mT8_P12ihipStream_tbDpT10_ENKUlT_T0_E_clISt17integral_constantIbLb1EES1B_IbLb0EEEEDaS17_S18_EUlS17_E_NS1_11comp_targetILNS1_3genE10ELNS1_11target_archE1200ELNS1_3gpuE4ELNS1_3repE0EEENS1_30default_config_static_selectorELNS0_4arch9wavefront6targetE1EEEvT1_,"axG",@progbits,_ZN7rocprim17ROCPRIM_400000_NS6detail17trampoline_kernelINS0_14default_configENS1_25partition_config_selectorILNS1_17partition_subalgoE3EN6thrust23THRUST_200600_302600_NS5tupleIxxNS7_9null_typeES9_S9_S9_S9_S9_S9_S9_EENS0_10empty_typeEbEEZZNS1_14partition_implILS5_3ELb0ES3_jNS7_6detail15normal_iteratorINS7_7pointerISA_NS7_11hip_rocprim3tagENS7_11use_defaultESJ_EEEEPSB_SM_NS0_5tupleIJPSA_SM_EEENSN_IJSM_SM_EEESB_PlJ10is_orderedEEE10hipError_tPvRmT3_T4_T5_T6_T7_T9_mT8_P12ihipStream_tbDpT10_ENKUlT_T0_E_clISt17integral_constantIbLb1EES1B_IbLb0EEEEDaS17_S18_EUlS17_E_NS1_11comp_targetILNS1_3genE10ELNS1_11target_archE1200ELNS1_3gpuE4ELNS1_3repE0EEENS1_30default_config_static_selectorELNS0_4arch9wavefront6targetE1EEEvT1_,comdat
	.protected	_ZN7rocprim17ROCPRIM_400000_NS6detail17trampoline_kernelINS0_14default_configENS1_25partition_config_selectorILNS1_17partition_subalgoE3EN6thrust23THRUST_200600_302600_NS5tupleIxxNS7_9null_typeES9_S9_S9_S9_S9_S9_S9_EENS0_10empty_typeEbEEZZNS1_14partition_implILS5_3ELb0ES3_jNS7_6detail15normal_iteratorINS7_7pointerISA_NS7_11hip_rocprim3tagENS7_11use_defaultESJ_EEEEPSB_SM_NS0_5tupleIJPSA_SM_EEENSN_IJSM_SM_EEESB_PlJ10is_orderedEEE10hipError_tPvRmT3_T4_T5_T6_T7_T9_mT8_P12ihipStream_tbDpT10_ENKUlT_T0_E_clISt17integral_constantIbLb1EES1B_IbLb0EEEEDaS17_S18_EUlS17_E_NS1_11comp_targetILNS1_3genE10ELNS1_11target_archE1200ELNS1_3gpuE4ELNS1_3repE0EEENS1_30default_config_static_selectorELNS0_4arch9wavefront6targetE1EEEvT1_ ; -- Begin function _ZN7rocprim17ROCPRIM_400000_NS6detail17trampoline_kernelINS0_14default_configENS1_25partition_config_selectorILNS1_17partition_subalgoE3EN6thrust23THRUST_200600_302600_NS5tupleIxxNS7_9null_typeES9_S9_S9_S9_S9_S9_S9_EENS0_10empty_typeEbEEZZNS1_14partition_implILS5_3ELb0ES3_jNS7_6detail15normal_iteratorINS7_7pointerISA_NS7_11hip_rocprim3tagENS7_11use_defaultESJ_EEEEPSB_SM_NS0_5tupleIJPSA_SM_EEENSN_IJSM_SM_EEESB_PlJ10is_orderedEEE10hipError_tPvRmT3_T4_T5_T6_T7_T9_mT8_P12ihipStream_tbDpT10_ENKUlT_T0_E_clISt17integral_constantIbLb1EES1B_IbLb0EEEEDaS17_S18_EUlS17_E_NS1_11comp_targetILNS1_3genE10ELNS1_11target_archE1200ELNS1_3gpuE4ELNS1_3repE0EEENS1_30default_config_static_selectorELNS0_4arch9wavefront6targetE1EEEvT1_
	.globl	_ZN7rocprim17ROCPRIM_400000_NS6detail17trampoline_kernelINS0_14default_configENS1_25partition_config_selectorILNS1_17partition_subalgoE3EN6thrust23THRUST_200600_302600_NS5tupleIxxNS7_9null_typeES9_S9_S9_S9_S9_S9_S9_EENS0_10empty_typeEbEEZZNS1_14partition_implILS5_3ELb0ES3_jNS7_6detail15normal_iteratorINS7_7pointerISA_NS7_11hip_rocprim3tagENS7_11use_defaultESJ_EEEEPSB_SM_NS0_5tupleIJPSA_SM_EEENSN_IJSM_SM_EEESB_PlJ10is_orderedEEE10hipError_tPvRmT3_T4_T5_T6_T7_T9_mT8_P12ihipStream_tbDpT10_ENKUlT_T0_E_clISt17integral_constantIbLb1EES1B_IbLb0EEEEDaS17_S18_EUlS17_E_NS1_11comp_targetILNS1_3genE10ELNS1_11target_archE1200ELNS1_3gpuE4ELNS1_3repE0EEENS1_30default_config_static_selectorELNS0_4arch9wavefront6targetE1EEEvT1_
	.p2align	8
	.type	_ZN7rocprim17ROCPRIM_400000_NS6detail17trampoline_kernelINS0_14default_configENS1_25partition_config_selectorILNS1_17partition_subalgoE3EN6thrust23THRUST_200600_302600_NS5tupleIxxNS7_9null_typeES9_S9_S9_S9_S9_S9_S9_EENS0_10empty_typeEbEEZZNS1_14partition_implILS5_3ELb0ES3_jNS7_6detail15normal_iteratorINS7_7pointerISA_NS7_11hip_rocprim3tagENS7_11use_defaultESJ_EEEEPSB_SM_NS0_5tupleIJPSA_SM_EEENSN_IJSM_SM_EEESB_PlJ10is_orderedEEE10hipError_tPvRmT3_T4_T5_T6_T7_T9_mT8_P12ihipStream_tbDpT10_ENKUlT_T0_E_clISt17integral_constantIbLb1EES1B_IbLb0EEEEDaS17_S18_EUlS17_E_NS1_11comp_targetILNS1_3genE10ELNS1_11target_archE1200ELNS1_3gpuE4ELNS1_3repE0EEENS1_30default_config_static_selectorELNS0_4arch9wavefront6targetE1EEEvT1_,@function
_ZN7rocprim17ROCPRIM_400000_NS6detail17trampoline_kernelINS0_14default_configENS1_25partition_config_selectorILNS1_17partition_subalgoE3EN6thrust23THRUST_200600_302600_NS5tupleIxxNS7_9null_typeES9_S9_S9_S9_S9_S9_S9_EENS0_10empty_typeEbEEZZNS1_14partition_implILS5_3ELb0ES3_jNS7_6detail15normal_iteratorINS7_7pointerISA_NS7_11hip_rocprim3tagENS7_11use_defaultESJ_EEEEPSB_SM_NS0_5tupleIJPSA_SM_EEENSN_IJSM_SM_EEESB_PlJ10is_orderedEEE10hipError_tPvRmT3_T4_T5_T6_T7_T9_mT8_P12ihipStream_tbDpT10_ENKUlT_T0_E_clISt17integral_constantIbLb1EES1B_IbLb0EEEEDaS17_S18_EUlS17_E_NS1_11comp_targetILNS1_3genE10ELNS1_11target_archE1200ELNS1_3gpuE4ELNS1_3repE0EEENS1_30default_config_static_selectorELNS0_4arch9wavefront6targetE1EEEvT1_: ; @_ZN7rocprim17ROCPRIM_400000_NS6detail17trampoline_kernelINS0_14default_configENS1_25partition_config_selectorILNS1_17partition_subalgoE3EN6thrust23THRUST_200600_302600_NS5tupleIxxNS7_9null_typeES9_S9_S9_S9_S9_S9_S9_EENS0_10empty_typeEbEEZZNS1_14partition_implILS5_3ELb0ES3_jNS7_6detail15normal_iteratorINS7_7pointerISA_NS7_11hip_rocprim3tagENS7_11use_defaultESJ_EEEEPSB_SM_NS0_5tupleIJPSA_SM_EEENSN_IJSM_SM_EEESB_PlJ10is_orderedEEE10hipError_tPvRmT3_T4_T5_T6_T7_T9_mT8_P12ihipStream_tbDpT10_ENKUlT_T0_E_clISt17integral_constantIbLb1EES1B_IbLb0EEEEDaS17_S18_EUlS17_E_NS1_11comp_targetILNS1_3genE10ELNS1_11target_archE1200ELNS1_3gpuE4ELNS1_3repE0EEENS1_30default_config_static_selectorELNS0_4arch9wavefront6targetE1EEEvT1_
; %bb.0:
	.section	.rodata,"a",@progbits
	.p2align	6, 0x0
	.amdhsa_kernel _ZN7rocprim17ROCPRIM_400000_NS6detail17trampoline_kernelINS0_14default_configENS1_25partition_config_selectorILNS1_17partition_subalgoE3EN6thrust23THRUST_200600_302600_NS5tupleIxxNS7_9null_typeES9_S9_S9_S9_S9_S9_S9_EENS0_10empty_typeEbEEZZNS1_14partition_implILS5_3ELb0ES3_jNS7_6detail15normal_iteratorINS7_7pointerISA_NS7_11hip_rocprim3tagENS7_11use_defaultESJ_EEEEPSB_SM_NS0_5tupleIJPSA_SM_EEENSN_IJSM_SM_EEESB_PlJ10is_orderedEEE10hipError_tPvRmT3_T4_T5_T6_T7_T9_mT8_P12ihipStream_tbDpT10_ENKUlT_T0_E_clISt17integral_constantIbLb1EES1B_IbLb0EEEEDaS17_S18_EUlS17_E_NS1_11comp_targetILNS1_3genE10ELNS1_11target_archE1200ELNS1_3gpuE4ELNS1_3repE0EEENS1_30default_config_static_selectorELNS0_4arch9wavefront6targetE1EEEvT1_
		.amdhsa_group_segment_fixed_size 0
		.amdhsa_private_segment_fixed_size 0
		.amdhsa_kernarg_size 120
		.amdhsa_user_sgpr_count 6
		.amdhsa_user_sgpr_private_segment_buffer 1
		.amdhsa_user_sgpr_dispatch_ptr 0
		.amdhsa_user_sgpr_queue_ptr 0
		.amdhsa_user_sgpr_kernarg_segment_ptr 1
		.amdhsa_user_sgpr_dispatch_id 0
		.amdhsa_user_sgpr_flat_scratch_init 0
		.amdhsa_user_sgpr_kernarg_preload_length 0
		.amdhsa_user_sgpr_kernarg_preload_offset 0
		.amdhsa_user_sgpr_private_segment_size 0
		.amdhsa_uses_dynamic_stack 0
		.amdhsa_system_sgpr_private_segment_wavefront_offset 0
		.amdhsa_system_sgpr_workgroup_id_x 1
		.amdhsa_system_sgpr_workgroup_id_y 0
		.amdhsa_system_sgpr_workgroup_id_z 0
		.amdhsa_system_sgpr_workgroup_info 0
		.amdhsa_system_vgpr_workitem_id 0
		.amdhsa_next_free_vgpr 1
		.amdhsa_next_free_sgpr 0
		.amdhsa_accum_offset 4
		.amdhsa_reserve_vcc 0
		.amdhsa_reserve_flat_scratch 0
		.amdhsa_float_round_mode_32 0
		.amdhsa_float_round_mode_16_64 0
		.amdhsa_float_denorm_mode_32 3
		.amdhsa_float_denorm_mode_16_64 3
		.amdhsa_dx10_clamp 1
		.amdhsa_ieee_mode 1
		.amdhsa_fp16_overflow 0
		.amdhsa_tg_split 0
		.amdhsa_exception_fp_ieee_invalid_op 0
		.amdhsa_exception_fp_denorm_src 0
		.amdhsa_exception_fp_ieee_div_zero 0
		.amdhsa_exception_fp_ieee_overflow 0
		.amdhsa_exception_fp_ieee_underflow 0
		.amdhsa_exception_fp_ieee_inexact 0
		.amdhsa_exception_int_div_zero 0
	.end_amdhsa_kernel
	.section	.text._ZN7rocprim17ROCPRIM_400000_NS6detail17trampoline_kernelINS0_14default_configENS1_25partition_config_selectorILNS1_17partition_subalgoE3EN6thrust23THRUST_200600_302600_NS5tupleIxxNS7_9null_typeES9_S9_S9_S9_S9_S9_S9_EENS0_10empty_typeEbEEZZNS1_14partition_implILS5_3ELb0ES3_jNS7_6detail15normal_iteratorINS7_7pointerISA_NS7_11hip_rocprim3tagENS7_11use_defaultESJ_EEEEPSB_SM_NS0_5tupleIJPSA_SM_EEENSN_IJSM_SM_EEESB_PlJ10is_orderedEEE10hipError_tPvRmT3_T4_T5_T6_T7_T9_mT8_P12ihipStream_tbDpT10_ENKUlT_T0_E_clISt17integral_constantIbLb1EES1B_IbLb0EEEEDaS17_S18_EUlS17_E_NS1_11comp_targetILNS1_3genE10ELNS1_11target_archE1200ELNS1_3gpuE4ELNS1_3repE0EEENS1_30default_config_static_selectorELNS0_4arch9wavefront6targetE1EEEvT1_,"axG",@progbits,_ZN7rocprim17ROCPRIM_400000_NS6detail17trampoline_kernelINS0_14default_configENS1_25partition_config_selectorILNS1_17partition_subalgoE3EN6thrust23THRUST_200600_302600_NS5tupleIxxNS7_9null_typeES9_S9_S9_S9_S9_S9_S9_EENS0_10empty_typeEbEEZZNS1_14partition_implILS5_3ELb0ES3_jNS7_6detail15normal_iteratorINS7_7pointerISA_NS7_11hip_rocprim3tagENS7_11use_defaultESJ_EEEEPSB_SM_NS0_5tupleIJPSA_SM_EEENSN_IJSM_SM_EEESB_PlJ10is_orderedEEE10hipError_tPvRmT3_T4_T5_T6_T7_T9_mT8_P12ihipStream_tbDpT10_ENKUlT_T0_E_clISt17integral_constantIbLb1EES1B_IbLb0EEEEDaS17_S18_EUlS17_E_NS1_11comp_targetILNS1_3genE10ELNS1_11target_archE1200ELNS1_3gpuE4ELNS1_3repE0EEENS1_30default_config_static_selectorELNS0_4arch9wavefront6targetE1EEEvT1_,comdat
.Lfunc_end3476:
	.size	_ZN7rocprim17ROCPRIM_400000_NS6detail17trampoline_kernelINS0_14default_configENS1_25partition_config_selectorILNS1_17partition_subalgoE3EN6thrust23THRUST_200600_302600_NS5tupleIxxNS7_9null_typeES9_S9_S9_S9_S9_S9_S9_EENS0_10empty_typeEbEEZZNS1_14partition_implILS5_3ELb0ES3_jNS7_6detail15normal_iteratorINS7_7pointerISA_NS7_11hip_rocprim3tagENS7_11use_defaultESJ_EEEEPSB_SM_NS0_5tupleIJPSA_SM_EEENSN_IJSM_SM_EEESB_PlJ10is_orderedEEE10hipError_tPvRmT3_T4_T5_T6_T7_T9_mT8_P12ihipStream_tbDpT10_ENKUlT_T0_E_clISt17integral_constantIbLb1EES1B_IbLb0EEEEDaS17_S18_EUlS17_E_NS1_11comp_targetILNS1_3genE10ELNS1_11target_archE1200ELNS1_3gpuE4ELNS1_3repE0EEENS1_30default_config_static_selectorELNS0_4arch9wavefront6targetE1EEEvT1_, .Lfunc_end3476-_ZN7rocprim17ROCPRIM_400000_NS6detail17trampoline_kernelINS0_14default_configENS1_25partition_config_selectorILNS1_17partition_subalgoE3EN6thrust23THRUST_200600_302600_NS5tupleIxxNS7_9null_typeES9_S9_S9_S9_S9_S9_S9_EENS0_10empty_typeEbEEZZNS1_14partition_implILS5_3ELb0ES3_jNS7_6detail15normal_iteratorINS7_7pointerISA_NS7_11hip_rocprim3tagENS7_11use_defaultESJ_EEEEPSB_SM_NS0_5tupleIJPSA_SM_EEENSN_IJSM_SM_EEESB_PlJ10is_orderedEEE10hipError_tPvRmT3_T4_T5_T6_T7_T9_mT8_P12ihipStream_tbDpT10_ENKUlT_T0_E_clISt17integral_constantIbLb1EES1B_IbLb0EEEEDaS17_S18_EUlS17_E_NS1_11comp_targetILNS1_3genE10ELNS1_11target_archE1200ELNS1_3gpuE4ELNS1_3repE0EEENS1_30default_config_static_selectorELNS0_4arch9wavefront6targetE1EEEvT1_
                                        ; -- End function
	.section	.AMDGPU.csdata,"",@progbits
; Kernel info:
; codeLenInByte = 0
; NumSgprs: 4
; NumVgprs: 0
; NumAgprs: 0
; TotalNumVgprs: 0
; ScratchSize: 0
; MemoryBound: 0
; FloatMode: 240
; IeeeMode: 1
; LDSByteSize: 0 bytes/workgroup (compile time only)
; SGPRBlocks: 0
; VGPRBlocks: 0
; NumSGPRsForWavesPerEU: 4
; NumVGPRsForWavesPerEU: 1
; AccumOffset: 4
; Occupancy: 8
; WaveLimiterHint : 0
; COMPUTE_PGM_RSRC2:SCRATCH_EN: 0
; COMPUTE_PGM_RSRC2:USER_SGPR: 6
; COMPUTE_PGM_RSRC2:TRAP_HANDLER: 0
; COMPUTE_PGM_RSRC2:TGID_X_EN: 1
; COMPUTE_PGM_RSRC2:TGID_Y_EN: 0
; COMPUTE_PGM_RSRC2:TGID_Z_EN: 0
; COMPUTE_PGM_RSRC2:TIDIG_COMP_CNT: 0
; COMPUTE_PGM_RSRC3_GFX90A:ACCUM_OFFSET: 0
; COMPUTE_PGM_RSRC3_GFX90A:TG_SPLIT: 0
	.section	.text._ZN7rocprim17ROCPRIM_400000_NS6detail17trampoline_kernelINS0_14default_configENS1_25partition_config_selectorILNS1_17partition_subalgoE3EN6thrust23THRUST_200600_302600_NS5tupleIxxNS7_9null_typeES9_S9_S9_S9_S9_S9_S9_EENS0_10empty_typeEbEEZZNS1_14partition_implILS5_3ELb0ES3_jNS7_6detail15normal_iteratorINS7_7pointerISA_NS7_11hip_rocprim3tagENS7_11use_defaultESJ_EEEEPSB_SM_NS0_5tupleIJPSA_SM_EEENSN_IJSM_SM_EEESB_PlJ10is_orderedEEE10hipError_tPvRmT3_T4_T5_T6_T7_T9_mT8_P12ihipStream_tbDpT10_ENKUlT_T0_E_clISt17integral_constantIbLb1EES1B_IbLb0EEEEDaS17_S18_EUlS17_E_NS1_11comp_targetILNS1_3genE9ELNS1_11target_archE1100ELNS1_3gpuE3ELNS1_3repE0EEENS1_30default_config_static_selectorELNS0_4arch9wavefront6targetE1EEEvT1_,"axG",@progbits,_ZN7rocprim17ROCPRIM_400000_NS6detail17trampoline_kernelINS0_14default_configENS1_25partition_config_selectorILNS1_17partition_subalgoE3EN6thrust23THRUST_200600_302600_NS5tupleIxxNS7_9null_typeES9_S9_S9_S9_S9_S9_S9_EENS0_10empty_typeEbEEZZNS1_14partition_implILS5_3ELb0ES3_jNS7_6detail15normal_iteratorINS7_7pointerISA_NS7_11hip_rocprim3tagENS7_11use_defaultESJ_EEEEPSB_SM_NS0_5tupleIJPSA_SM_EEENSN_IJSM_SM_EEESB_PlJ10is_orderedEEE10hipError_tPvRmT3_T4_T5_T6_T7_T9_mT8_P12ihipStream_tbDpT10_ENKUlT_T0_E_clISt17integral_constantIbLb1EES1B_IbLb0EEEEDaS17_S18_EUlS17_E_NS1_11comp_targetILNS1_3genE9ELNS1_11target_archE1100ELNS1_3gpuE3ELNS1_3repE0EEENS1_30default_config_static_selectorELNS0_4arch9wavefront6targetE1EEEvT1_,comdat
	.protected	_ZN7rocprim17ROCPRIM_400000_NS6detail17trampoline_kernelINS0_14default_configENS1_25partition_config_selectorILNS1_17partition_subalgoE3EN6thrust23THRUST_200600_302600_NS5tupleIxxNS7_9null_typeES9_S9_S9_S9_S9_S9_S9_EENS0_10empty_typeEbEEZZNS1_14partition_implILS5_3ELb0ES3_jNS7_6detail15normal_iteratorINS7_7pointerISA_NS7_11hip_rocprim3tagENS7_11use_defaultESJ_EEEEPSB_SM_NS0_5tupleIJPSA_SM_EEENSN_IJSM_SM_EEESB_PlJ10is_orderedEEE10hipError_tPvRmT3_T4_T5_T6_T7_T9_mT8_P12ihipStream_tbDpT10_ENKUlT_T0_E_clISt17integral_constantIbLb1EES1B_IbLb0EEEEDaS17_S18_EUlS17_E_NS1_11comp_targetILNS1_3genE9ELNS1_11target_archE1100ELNS1_3gpuE3ELNS1_3repE0EEENS1_30default_config_static_selectorELNS0_4arch9wavefront6targetE1EEEvT1_ ; -- Begin function _ZN7rocprim17ROCPRIM_400000_NS6detail17trampoline_kernelINS0_14default_configENS1_25partition_config_selectorILNS1_17partition_subalgoE3EN6thrust23THRUST_200600_302600_NS5tupleIxxNS7_9null_typeES9_S9_S9_S9_S9_S9_S9_EENS0_10empty_typeEbEEZZNS1_14partition_implILS5_3ELb0ES3_jNS7_6detail15normal_iteratorINS7_7pointerISA_NS7_11hip_rocprim3tagENS7_11use_defaultESJ_EEEEPSB_SM_NS0_5tupleIJPSA_SM_EEENSN_IJSM_SM_EEESB_PlJ10is_orderedEEE10hipError_tPvRmT3_T4_T5_T6_T7_T9_mT8_P12ihipStream_tbDpT10_ENKUlT_T0_E_clISt17integral_constantIbLb1EES1B_IbLb0EEEEDaS17_S18_EUlS17_E_NS1_11comp_targetILNS1_3genE9ELNS1_11target_archE1100ELNS1_3gpuE3ELNS1_3repE0EEENS1_30default_config_static_selectorELNS0_4arch9wavefront6targetE1EEEvT1_
	.globl	_ZN7rocprim17ROCPRIM_400000_NS6detail17trampoline_kernelINS0_14default_configENS1_25partition_config_selectorILNS1_17partition_subalgoE3EN6thrust23THRUST_200600_302600_NS5tupleIxxNS7_9null_typeES9_S9_S9_S9_S9_S9_S9_EENS0_10empty_typeEbEEZZNS1_14partition_implILS5_3ELb0ES3_jNS7_6detail15normal_iteratorINS7_7pointerISA_NS7_11hip_rocprim3tagENS7_11use_defaultESJ_EEEEPSB_SM_NS0_5tupleIJPSA_SM_EEENSN_IJSM_SM_EEESB_PlJ10is_orderedEEE10hipError_tPvRmT3_T4_T5_T6_T7_T9_mT8_P12ihipStream_tbDpT10_ENKUlT_T0_E_clISt17integral_constantIbLb1EES1B_IbLb0EEEEDaS17_S18_EUlS17_E_NS1_11comp_targetILNS1_3genE9ELNS1_11target_archE1100ELNS1_3gpuE3ELNS1_3repE0EEENS1_30default_config_static_selectorELNS0_4arch9wavefront6targetE1EEEvT1_
	.p2align	8
	.type	_ZN7rocprim17ROCPRIM_400000_NS6detail17trampoline_kernelINS0_14default_configENS1_25partition_config_selectorILNS1_17partition_subalgoE3EN6thrust23THRUST_200600_302600_NS5tupleIxxNS7_9null_typeES9_S9_S9_S9_S9_S9_S9_EENS0_10empty_typeEbEEZZNS1_14partition_implILS5_3ELb0ES3_jNS7_6detail15normal_iteratorINS7_7pointerISA_NS7_11hip_rocprim3tagENS7_11use_defaultESJ_EEEEPSB_SM_NS0_5tupleIJPSA_SM_EEENSN_IJSM_SM_EEESB_PlJ10is_orderedEEE10hipError_tPvRmT3_T4_T5_T6_T7_T9_mT8_P12ihipStream_tbDpT10_ENKUlT_T0_E_clISt17integral_constantIbLb1EES1B_IbLb0EEEEDaS17_S18_EUlS17_E_NS1_11comp_targetILNS1_3genE9ELNS1_11target_archE1100ELNS1_3gpuE3ELNS1_3repE0EEENS1_30default_config_static_selectorELNS0_4arch9wavefront6targetE1EEEvT1_,@function
_ZN7rocprim17ROCPRIM_400000_NS6detail17trampoline_kernelINS0_14default_configENS1_25partition_config_selectorILNS1_17partition_subalgoE3EN6thrust23THRUST_200600_302600_NS5tupleIxxNS7_9null_typeES9_S9_S9_S9_S9_S9_S9_EENS0_10empty_typeEbEEZZNS1_14partition_implILS5_3ELb0ES3_jNS7_6detail15normal_iteratorINS7_7pointerISA_NS7_11hip_rocprim3tagENS7_11use_defaultESJ_EEEEPSB_SM_NS0_5tupleIJPSA_SM_EEENSN_IJSM_SM_EEESB_PlJ10is_orderedEEE10hipError_tPvRmT3_T4_T5_T6_T7_T9_mT8_P12ihipStream_tbDpT10_ENKUlT_T0_E_clISt17integral_constantIbLb1EES1B_IbLb0EEEEDaS17_S18_EUlS17_E_NS1_11comp_targetILNS1_3genE9ELNS1_11target_archE1100ELNS1_3gpuE3ELNS1_3repE0EEENS1_30default_config_static_selectorELNS0_4arch9wavefront6targetE1EEEvT1_: ; @_ZN7rocprim17ROCPRIM_400000_NS6detail17trampoline_kernelINS0_14default_configENS1_25partition_config_selectorILNS1_17partition_subalgoE3EN6thrust23THRUST_200600_302600_NS5tupleIxxNS7_9null_typeES9_S9_S9_S9_S9_S9_S9_EENS0_10empty_typeEbEEZZNS1_14partition_implILS5_3ELb0ES3_jNS7_6detail15normal_iteratorINS7_7pointerISA_NS7_11hip_rocprim3tagENS7_11use_defaultESJ_EEEEPSB_SM_NS0_5tupleIJPSA_SM_EEENSN_IJSM_SM_EEESB_PlJ10is_orderedEEE10hipError_tPvRmT3_T4_T5_T6_T7_T9_mT8_P12ihipStream_tbDpT10_ENKUlT_T0_E_clISt17integral_constantIbLb1EES1B_IbLb0EEEEDaS17_S18_EUlS17_E_NS1_11comp_targetILNS1_3genE9ELNS1_11target_archE1100ELNS1_3gpuE3ELNS1_3repE0EEENS1_30default_config_static_selectorELNS0_4arch9wavefront6targetE1EEEvT1_
; %bb.0:
	.section	.rodata,"a",@progbits
	.p2align	6, 0x0
	.amdhsa_kernel _ZN7rocprim17ROCPRIM_400000_NS6detail17trampoline_kernelINS0_14default_configENS1_25partition_config_selectorILNS1_17partition_subalgoE3EN6thrust23THRUST_200600_302600_NS5tupleIxxNS7_9null_typeES9_S9_S9_S9_S9_S9_S9_EENS0_10empty_typeEbEEZZNS1_14partition_implILS5_3ELb0ES3_jNS7_6detail15normal_iteratorINS7_7pointerISA_NS7_11hip_rocprim3tagENS7_11use_defaultESJ_EEEEPSB_SM_NS0_5tupleIJPSA_SM_EEENSN_IJSM_SM_EEESB_PlJ10is_orderedEEE10hipError_tPvRmT3_T4_T5_T6_T7_T9_mT8_P12ihipStream_tbDpT10_ENKUlT_T0_E_clISt17integral_constantIbLb1EES1B_IbLb0EEEEDaS17_S18_EUlS17_E_NS1_11comp_targetILNS1_3genE9ELNS1_11target_archE1100ELNS1_3gpuE3ELNS1_3repE0EEENS1_30default_config_static_selectorELNS0_4arch9wavefront6targetE1EEEvT1_
		.amdhsa_group_segment_fixed_size 0
		.amdhsa_private_segment_fixed_size 0
		.amdhsa_kernarg_size 120
		.amdhsa_user_sgpr_count 6
		.amdhsa_user_sgpr_private_segment_buffer 1
		.amdhsa_user_sgpr_dispatch_ptr 0
		.amdhsa_user_sgpr_queue_ptr 0
		.amdhsa_user_sgpr_kernarg_segment_ptr 1
		.amdhsa_user_sgpr_dispatch_id 0
		.amdhsa_user_sgpr_flat_scratch_init 0
		.amdhsa_user_sgpr_kernarg_preload_length 0
		.amdhsa_user_sgpr_kernarg_preload_offset 0
		.amdhsa_user_sgpr_private_segment_size 0
		.amdhsa_uses_dynamic_stack 0
		.amdhsa_system_sgpr_private_segment_wavefront_offset 0
		.amdhsa_system_sgpr_workgroup_id_x 1
		.amdhsa_system_sgpr_workgroup_id_y 0
		.amdhsa_system_sgpr_workgroup_id_z 0
		.amdhsa_system_sgpr_workgroup_info 0
		.amdhsa_system_vgpr_workitem_id 0
		.amdhsa_next_free_vgpr 1
		.amdhsa_next_free_sgpr 0
		.amdhsa_accum_offset 4
		.amdhsa_reserve_vcc 0
		.amdhsa_reserve_flat_scratch 0
		.amdhsa_float_round_mode_32 0
		.amdhsa_float_round_mode_16_64 0
		.amdhsa_float_denorm_mode_32 3
		.amdhsa_float_denorm_mode_16_64 3
		.amdhsa_dx10_clamp 1
		.amdhsa_ieee_mode 1
		.amdhsa_fp16_overflow 0
		.amdhsa_tg_split 0
		.amdhsa_exception_fp_ieee_invalid_op 0
		.amdhsa_exception_fp_denorm_src 0
		.amdhsa_exception_fp_ieee_div_zero 0
		.amdhsa_exception_fp_ieee_overflow 0
		.amdhsa_exception_fp_ieee_underflow 0
		.amdhsa_exception_fp_ieee_inexact 0
		.amdhsa_exception_int_div_zero 0
	.end_amdhsa_kernel
	.section	.text._ZN7rocprim17ROCPRIM_400000_NS6detail17trampoline_kernelINS0_14default_configENS1_25partition_config_selectorILNS1_17partition_subalgoE3EN6thrust23THRUST_200600_302600_NS5tupleIxxNS7_9null_typeES9_S9_S9_S9_S9_S9_S9_EENS0_10empty_typeEbEEZZNS1_14partition_implILS5_3ELb0ES3_jNS7_6detail15normal_iteratorINS7_7pointerISA_NS7_11hip_rocprim3tagENS7_11use_defaultESJ_EEEEPSB_SM_NS0_5tupleIJPSA_SM_EEENSN_IJSM_SM_EEESB_PlJ10is_orderedEEE10hipError_tPvRmT3_T4_T5_T6_T7_T9_mT8_P12ihipStream_tbDpT10_ENKUlT_T0_E_clISt17integral_constantIbLb1EES1B_IbLb0EEEEDaS17_S18_EUlS17_E_NS1_11comp_targetILNS1_3genE9ELNS1_11target_archE1100ELNS1_3gpuE3ELNS1_3repE0EEENS1_30default_config_static_selectorELNS0_4arch9wavefront6targetE1EEEvT1_,"axG",@progbits,_ZN7rocprim17ROCPRIM_400000_NS6detail17trampoline_kernelINS0_14default_configENS1_25partition_config_selectorILNS1_17partition_subalgoE3EN6thrust23THRUST_200600_302600_NS5tupleIxxNS7_9null_typeES9_S9_S9_S9_S9_S9_S9_EENS0_10empty_typeEbEEZZNS1_14partition_implILS5_3ELb0ES3_jNS7_6detail15normal_iteratorINS7_7pointerISA_NS7_11hip_rocprim3tagENS7_11use_defaultESJ_EEEEPSB_SM_NS0_5tupleIJPSA_SM_EEENSN_IJSM_SM_EEESB_PlJ10is_orderedEEE10hipError_tPvRmT3_T4_T5_T6_T7_T9_mT8_P12ihipStream_tbDpT10_ENKUlT_T0_E_clISt17integral_constantIbLb1EES1B_IbLb0EEEEDaS17_S18_EUlS17_E_NS1_11comp_targetILNS1_3genE9ELNS1_11target_archE1100ELNS1_3gpuE3ELNS1_3repE0EEENS1_30default_config_static_selectorELNS0_4arch9wavefront6targetE1EEEvT1_,comdat
.Lfunc_end3477:
	.size	_ZN7rocprim17ROCPRIM_400000_NS6detail17trampoline_kernelINS0_14default_configENS1_25partition_config_selectorILNS1_17partition_subalgoE3EN6thrust23THRUST_200600_302600_NS5tupleIxxNS7_9null_typeES9_S9_S9_S9_S9_S9_S9_EENS0_10empty_typeEbEEZZNS1_14partition_implILS5_3ELb0ES3_jNS7_6detail15normal_iteratorINS7_7pointerISA_NS7_11hip_rocprim3tagENS7_11use_defaultESJ_EEEEPSB_SM_NS0_5tupleIJPSA_SM_EEENSN_IJSM_SM_EEESB_PlJ10is_orderedEEE10hipError_tPvRmT3_T4_T5_T6_T7_T9_mT8_P12ihipStream_tbDpT10_ENKUlT_T0_E_clISt17integral_constantIbLb1EES1B_IbLb0EEEEDaS17_S18_EUlS17_E_NS1_11comp_targetILNS1_3genE9ELNS1_11target_archE1100ELNS1_3gpuE3ELNS1_3repE0EEENS1_30default_config_static_selectorELNS0_4arch9wavefront6targetE1EEEvT1_, .Lfunc_end3477-_ZN7rocprim17ROCPRIM_400000_NS6detail17trampoline_kernelINS0_14default_configENS1_25partition_config_selectorILNS1_17partition_subalgoE3EN6thrust23THRUST_200600_302600_NS5tupleIxxNS7_9null_typeES9_S9_S9_S9_S9_S9_S9_EENS0_10empty_typeEbEEZZNS1_14partition_implILS5_3ELb0ES3_jNS7_6detail15normal_iteratorINS7_7pointerISA_NS7_11hip_rocprim3tagENS7_11use_defaultESJ_EEEEPSB_SM_NS0_5tupleIJPSA_SM_EEENSN_IJSM_SM_EEESB_PlJ10is_orderedEEE10hipError_tPvRmT3_T4_T5_T6_T7_T9_mT8_P12ihipStream_tbDpT10_ENKUlT_T0_E_clISt17integral_constantIbLb1EES1B_IbLb0EEEEDaS17_S18_EUlS17_E_NS1_11comp_targetILNS1_3genE9ELNS1_11target_archE1100ELNS1_3gpuE3ELNS1_3repE0EEENS1_30default_config_static_selectorELNS0_4arch9wavefront6targetE1EEEvT1_
                                        ; -- End function
	.section	.AMDGPU.csdata,"",@progbits
; Kernel info:
; codeLenInByte = 0
; NumSgprs: 4
; NumVgprs: 0
; NumAgprs: 0
; TotalNumVgprs: 0
; ScratchSize: 0
; MemoryBound: 0
; FloatMode: 240
; IeeeMode: 1
; LDSByteSize: 0 bytes/workgroup (compile time only)
; SGPRBlocks: 0
; VGPRBlocks: 0
; NumSGPRsForWavesPerEU: 4
; NumVGPRsForWavesPerEU: 1
; AccumOffset: 4
; Occupancy: 8
; WaveLimiterHint : 0
; COMPUTE_PGM_RSRC2:SCRATCH_EN: 0
; COMPUTE_PGM_RSRC2:USER_SGPR: 6
; COMPUTE_PGM_RSRC2:TRAP_HANDLER: 0
; COMPUTE_PGM_RSRC2:TGID_X_EN: 1
; COMPUTE_PGM_RSRC2:TGID_Y_EN: 0
; COMPUTE_PGM_RSRC2:TGID_Z_EN: 0
; COMPUTE_PGM_RSRC2:TIDIG_COMP_CNT: 0
; COMPUTE_PGM_RSRC3_GFX90A:ACCUM_OFFSET: 0
; COMPUTE_PGM_RSRC3_GFX90A:TG_SPLIT: 0
	.section	.text._ZN7rocprim17ROCPRIM_400000_NS6detail17trampoline_kernelINS0_14default_configENS1_25partition_config_selectorILNS1_17partition_subalgoE3EN6thrust23THRUST_200600_302600_NS5tupleIxxNS7_9null_typeES9_S9_S9_S9_S9_S9_S9_EENS0_10empty_typeEbEEZZNS1_14partition_implILS5_3ELb0ES3_jNS7_6detail15normal_iteratorINS7_7pointerISA_NS7_11hip_rocprim3tagENS7_11use_defaultESJ_EEEEPSB_SM_NS0_5tupleIJPSA_SM_EEENSN_IJSM_SM_EEESB_PlJ10is_orderedEEE10hipError_tPvRmT3_T4_T5_T6_T7_T9_mT8_P12ihipStream_tbDpT10_ENKUlT_T0_E_clISt17integral_constantIbLb1EES1B_IbLb0EEEEDaS17_S18_EUlS17_E_NS1_11comp_targetILNS1_3genE8ELNS1_11target_archE1030ELNS1_3gpuE2ELNS1_3repE0EEENS1_30default_config_static_selectorELNS0_4arch9wavefront6targetE1EEEvT1_,"axG",@progbits,_ZN7rocprim17ROCPRIM_400000_NS6detail17trampoline_kernelINS0_14default_configENS1_25partition_config_selectorILNS1_17partition_subalgoE3EN6thrust23THRUST_200600_302600_NS5tupleIxxNS7_9null_typeES9_S9_S9_S9_S9_S9_S9_EENS0_10empty_typeEbEEZZNS1_14partition_implILS5_3ELb0ES3_jNS7_6detail15normal_iteratorINS7_7pointerISA_NS7_11hip_rocprim3tagENS7_11use_defaultESJ_EEEEPSB_SM_NS0_5tupleIJPSA_SM_EEENSN_IJSM_SM_EEESB_PlJ10is_orderedEEE10hipError_tPvRmT3_T4_T5_T6_T7_T9_mT8_P12ihipStream_tbDpT10_ENKUlT_T0_E_clISt17integral_constantIbLb1EES1B_IbLb0EEEEDaS17_S18_EUlS17_E_NS1_11comp_targetILNS1_3genE8ELNS1_11target_archE1030ELNS1_3gpuE2ELNS1_3repE0EEENS1_30default_config_static_selectorELNS0_4arch9wavefront6targetE1EEEvT1_,comdat
	.protected	_ZN7rocprim17ROCPRIM_400000_NS6detail17trampoline_kernelINS0_14default_configENS1_25partition_config_selectorILNS1_17partition_subalgoE3EN6thrust23THRUST_200600_302600_NS5tupleIxxNS7_9null_typeES9_S9_S9_S9_S9_S9_S9_EENS0_10empty_typeEbEEZZNS1_14partition_implILS5_3ELb0ES3_jNS7_6detail15normal_iteratorINS7_7pointerISA_NS7_11hip_rocprim3tagENS7_11use_defaultESJ_EEEEPSB_SM_NS0_5tupleIJPSA_SM_EEENSN_IJSM_SM_EEESB_PlJ10is_orderedEEE10hipError_tPvRmT3_T4_T5_T6_T7_T9_mT8_P12ihipStream_tbDpT10_ENKUlT_T0_E_clISt17integral_constantIbLb1EES1B_IbLb0EEEEDaS17_S18_EUlS17_E_NS1_11comp_targetILNS1_3genE8ELNS1_11target_archE1030ELNS1_3gpuE2ELNS1_3repE0EEENS1_30default_config_static_selectorELNS0_4arch9wavefront6targetE1EEEvT1_ ; -- Begin function _ZN7rocprim17ROCPRIM_400000_NS6detail17trampoline_kernelINS0_14default_configENS1_25partition_config_selectorILNS1_17partition_subalgoE3EN6thrust23THRUST_200600_302600_NS5tupleIxxNS7_9null_typeES9_S9_S9_S9_S9_S9_S9_EENS0_10empty_typeEbEEZZNS1_14partition_implILS5_3ELb0ES3_jNS7_6detail15normal_iteratorINS7_7pointerISA_NS7_11hip_rocprim3tagENS7_11use_defaultESJ_EEEEPSB_SM_NS0_5tupleIJPSA_SM_EEENSN_IJSM_SM_EEESB_PlJ10is_orderedEEE10hipError_tPvRmT3_T4_T5_T6_T7_T9_mT8_P12ihipStream_tbDpT10_ENKUlT_T0_E_clISt17integral_constantIbLb1EES1B_IbLb0EEEEDaS17_S18_EUlS17_E_NS1_11comp_targetILNS1_3genE8ELNS1_11target_archE1030ELNS1_3gpuE2ELNS1_3repE0EEENS1_30default_config_static_selectorELNS0_4arch9wavefront6targetE1EEEvT1_
	.globl	_ZN7rocprim17ROCPRIM_400000_NS6detail17trampoline_kernelINS0_14default_configENS1_25partition_config_selectorILNS1_17partition_subalgoE3EN6thrust23THRUST_200600_302600_NS5tupleIxxNS7_9null_typeES9_S9_S9_S9_S9_S9_S9_EENS0_10empty_typeEbEEZZNS1_14partition_implILS5_3ELb0ES3_jNS7_6detail15normal_iteratorINS7_7pointerISA_NS7_11hip_rocprim3tagENS7_11use_defaultESJ_EEEEPSB_SM_NS0_5tupleIJPSA_SM_EEENSN_IJSM_SM_EEESB_PlJ10is_orderedEEE10hipError_tPvRmT3_T4_T5_T6_T7_T9_mT8_P12ihipStream_tbDpT10_ENKUlT_T0_E_clISt17integral_constantIbLb1EES1B_IbLb0EEEEDaS17_S18_EUlS17_E_NS1_11comp_targetILNS1_3genE8ELNS1_11target_archE1030ELNS1_3gpuE2ELNS1_3repE0EEENS1_30default_config_static_selectorELNS0_4arch9wavefront6targetE1EEEvT1_
	.p2align	8
	.type	_ZN7rocprim17ROCPRIM_400000_NS6detail17trampoline_kernelINS0_14default_configENS1_25partition_config_selectorILNS1_17partition_subalgoE3EN6thrust23THRUST_200600_302600_NS5tupleIxxNS7_9null_typeES9_S9_S9_S9_S9_S9_S9_EENS0_10empty_typeEbEEZZNS1_14partition_implILS5_3ELb0ES3_jNS7_6detail15normal_iteratorINS7_7pointerISA_NS7_11hip_rocprim3tagENS7_11use_defaultESJ_EEEEPSB_SM_NS0_5tupleIJPSA_SM_EEENSN_IJSM_SM_EEESB_PlJ10is_orderedEEE10hipError_tPvRmT3_T4_T5_T6_T7_T9_mT8_P12ihipStream_tbDpT10_ENKUlT_T0_E_clISt17integral_constantIbLb1EES1B_IbLb0EEEEDaS17_S18_EUlS17_E_NS1_11comp_targetILNS1_3genE8ELNS1_11target_archE1030ELNS1_3gpuE2ELNS1_3repE0EEENS1_30default_config_static_selectorELNS0_4arch9wavefront6targetE1EEEvT1_,@function
_ZN7rocprim17ROCPRIM_400000_NS6detail17trampoline_kernelINS0_14default_configENS1_25partition_config_selectorILNS1_17partition_subalgoE3EN6thrust23THRUST_200600_302600_NS5tupleIxxNS7_9null_typeES9_S9_S9_S9_S9_S9_S9_EENS0_10empty_typeEbEEZZNS1_14partition_implILS5_3ELb0ES3_jNS7_6detail15normal_iteratorINS7_7pointerISA_NS7_11hip_rocprim3tagENS7_11use_defaultESJ_EEEEPSB_SM_NS0_5tupleIJPSA_SM_EEENSN_IJSM_SM_EEESB_PlJ10is_orderedEEE10hipError_tPvRmT3_T4_T5_T6_T7_T9_mT8_P12ihipStream_tbDpT10_ENKUlT_T0_E_clISt17integral_constantIbLb1EES1B_IbLb0EEEEDaS17_S18_EUlS17_E_NS1_11comp_targetILNS1_3genE8ELNS1_11target_archE1030ELNS1_3gpuE2ELNS1_3repE0EEENS1_30default_config_static_selectorELNS0_4arch9wavefront6targetE1EEEvT1_: ; @_ZN7rocprim17ROCPRIM_400000_NS6detail17trampoline_kernelINS0_14default_configENS1_25partition_config_selectorILNS1_17partition_subalgoE3EN6thrust23THRUST_200600_302600_NS5tupleIxxNS7_9null_typeES9_S9_S9_S9_S9_S9_S9_EENS0_10empty_typeEbEEZZNS1_14partition_implILS5_3ELb0ES3_jNS7_6detail15normal_iteratorINS7_7pointerISA_NS7_11hip_rocprim3tagENS7_11use_defaultESJ_EEEEPSB_SM_NS0_5tupleIJPSA_SM_EEENSN_IJSM_SM_EEESB_PlJ10is_orderedEEE10hipError_tPvRmT3_T4_T5_T6_T7_T9_mT8_P12ihipStream_tbDpT10_ENKUlT_T0_E_clISt17integral_constantIbLb1EES1B_IbLb0EEEEDaS17_S18_EUlS17_E_NS1_11comp_targetILNS1_3genE8ELNS1_11target_archE1030ELNS1_3gpuE2ELNS1_3repE0EEENS1_30default_config_static_selectorELNS0_4arch9wavefront6targetE1EEEvT1_
; %bb.0:
	.section	.rodata,"a",@progbits
	.p2align	6, 0x0
	.amdhsa_kernel _ZN7rocprim17ROCPRIM_400000_NS6detail17trampoline_kernelINS0_14default_configENS1_25partition_config_selectorILNS1_17partition_subalgoE3EN6thrust23THRUST_200600_302600_NS5tupleIxxNS7_9null_typeES9_S9_S9_S9_S9_S9_S9_EENS0_10empty_typeEbEEZZNS1_14partition_implILS5_3ELb0ES3_jNS7_6detail15normal_iteratorINS7_7pointerISA_NS7_11hip_rocprim3tagENS7_11use_defaultESJ_EEEEPSB_SM_NS0_5tupleIJPSA_SM_EEENSN_IJSM_SM_EEESB_PlJ10is_orderedEEE10hipError_tPvRmT3_T4_T5_T6_T7_T9_mT8_P12ihipStream_tbDpT10_ENKUlT_T0_E_clISt17integral_constantIbLb1EES1B_IbLb0EEEEDaS17_S18_EUlS17_E_NS1_11comp_targetILNS1_3genE8ELNS1_11target_archE1030ELNS1_3gpuE2ELNS1_3repE0EEENS1_30default_config_static_selectorELNS0_4arch9wavefront6targetE1EEEvT1_
		.amdhsa_group_segment_fixed_size 0
		.amdhsa_private_segment_fixed_size 0
		.amdhsa_kernarg_size 120
		.amdhsa_user_sgpr_count 6
		.amdhsa_user_sgpr_private_segment_buffer 1
		.amdhsa_user_sgpr_dispatch_ptr 0
		.amdhsa_user_sgpr_queue_ptr 0
		.amdhsa_user_sgpr_kernarg_segment_ptr 1
		.amdhsa_user_sgpr_dispatch_id 0
		.amdhsa_user_sgpr_flat_scratch_init 0
		.amdhsa_user_sgpr_kernarg_preload_length 0
		.amdhsa_user_sgpr_kernarg_preload_offset 0
		.amdhsa_user_sgpr_private_segment_size 0
		.amdhsa_uses_dynamic_stack 0
		.amdhsa_system_sgpr_private_segment_wavefront_offset 0
		.amdhsa_system_sgpr_workgroup_id_x 1
		.amdhsa_system_sgpr_workgroup_id_y 0
		.amdhsa_system_sgpr_workgroup_id_z 0
		.amdhsa_system_sgpr_workgroup_info 0
		.amdhsa_system_vgpr_workitem_id 0
		.amdhsa_next_free_vgpr 1
		.amdhsa_next_free_sgpr 0
		.amdhsa_accum_offset 4
		.amdhsa_reserve_vcc 0
		.amdhsa_reserve_flat_scratch 0
		.amdhsa_float_round_mode_32 0
		.amdhsa_float_round_mode_16_64 0
		.amdhsa_float_denorm_mode_32 3
		.amdhsa_float_denorm_mode_16_64 3
		.amdhsa_dx10_clamp 1
		.amdhsa_ieee_mode 1
		.amdhsa_fp16_overflow 0
		.amdhsa_tg_split 0
		.amdhsa_exception_fp_ieee_invalid_op 0
		.amdhsa_exception_fp_denorm_src 0
		.amdhsa_exception_fp_ieee_div_zero 0
		.amdhsa_exception_fp_ieee_overflow 0
		.amdhsa_exception_fp_ieee_underflow 0
		.amdhsa_exception_fp_ieee_inexact 0
		.amdhsa_exception_int_div_zero 0
	.end_amdhsa_kernel
	.section	.text._ZN7rocprim17ROCPRIM_400000_NS6detail17trampoline_kernelINS0_14default_configENS1_25partition_config_selectorILNS1_17partition_subalgoE3EN6thrust23THRUST_200600_302600_NS5tupleIxxNS7_9null_typeES9_S9_S9_S9_S9_S9_S9_EENS0_10empty_typeEbEEZZNS1_14partition_implILS5_3ELb0ES3_jNS7_6detail15normal_iteratorINS7_7pointerISA_NS7_11hip_rocprim3tagENS7_11use_defaultESJ_EEEEPSB_SM_NS0_5tupleIJPSA_SM_EEENSN_IJSM_SM_EEESB_PlJ10is_orderedEEE10hipError_tPvRmT3_T4_T5_T6_T7_T9_mT8_P12ihipStream_tbDpT10_ENKUlT_T0_E_clISt17integral_constantIbLb1EES1B_IbLb0EEEEDaS17_S18_EUlS17_E_NS1_11comp_targetILNS1_3genE8ELNS1_11target_archE1030ELNS1_3gpuE2ELNS1_3repE0EEENS1_30default_config_static_selectorELNS0_4arch9wavefront6targetE1EEEvT1_,"axG",@progbits,_ZN7rocprim17ROCPRIM_400000_NS6detail17trampoline_kernelINS0_14default_configENS1_25partition_config_selectorILNS1_17partition_subalgoE3EN6thrust23THRUST_200600_302600_NS5tupleIxxNS7_9null_typeES9_S9_S9_S9_S9_S9_S9_EENS0_10empty_typeEbEEZZNS1_14partition_implILS5_3ELb0ES3_jNS7_6detail15normal_iteratorINS7_7pointerISA_NS7_11hip_rocprim3tagENS7_11use_defaultESJ_EEEEPSB_SM_NS0_5tupleIJPSA_SM_EEENSN_IJSM_SM_EEESB_PlJ10is_orderedEEE10hipError_tPvRmT3_T4_T5_T6_T7_T9_mT8_P12ihipStream_tbDpT10_ENKUlT_T0_E_clISt17integral_constantIbLb1EES1B_IbLb0EEEEDaS17_S18_EUlS17_E_NS1_11comp_targetILNS1_3genE8ELNS1_11target_archE1030ELNS1_3gpuE2ELNS1_3repE0EEENS1_30default_config_static_selectorELNS0_4arch9wavefront6targetE1EEEvT1_,comdat
.Lfunc_end3478:
	.size	_ZN7rocprim17ROCPRIM_400000_NS6detail17trampoline_kernelINS0_14default_configENS1_25partition_config_selectorILNS1_17partition_subalgoE3EN6thrust23THRUST_200600_302600_NS5tupleIxxNS7_9null_typeES9_S9_S9_S9_S9_S9_S9_EENS0_10empty_typeEbEEZZNS1_14partition_implILS5_3ELb0ES3_jNS7_6detail15normal_iteratorINS7_7pointerISA_NS7_11hip_rocprim3tagENS7_11use_defaultESJ_EEEEPSB_SM_NS0_5tupleIJPSA_SM_EEENSN_IJSM_SM_EEESB_PlJ10is_orderedEEE10hipError_tPvRmT3_T4_T5_T6_T7_T9_mT8_P12ihipStream_tbDpT10_ENKUlT_T0_E_clISt17integral_constantIbLb1EES1B_IbLb0EEEEDaS17_S18_EUlS17_E_NS1_11comp_targetILNS1_3genE8ELNS1_11target_archE1030ELNS1_3gpuE2ELNS1_3repE0EEENS1_30default_config_static_selectorELNS0_4arch9wavefront6targetE1EEEvT1_, .Lfunc_end3478-_ZN7rocprim17ROCPRIM_400000_NS6detail17trampoline_kernelINS0_14default_configENS1_25partition_config_selectorILNS1_17partition_subalgoE3EN6thrust23THRUST_200600_302600_NS5tupleIxxNS7_9null_typeES9_S9_S9_S9_S9_S9_S9_EENS0_10empty_typeEbEEZZNS1_14partition_implILS5_3ELb0ES3_jNS7_6detail15normal_iteratorINS7_7pointerISA_NS7_11hip_rocprim3tagENS7_11use_defaultESJ_EEEEPSB_SM_NS0_5tupleIJPSA_SM_EEENSN_IJSM_SM_EEESB_PlJ10is_orderedEEE10hipError_tPvRmT3_T4_T5_T6_T7_T9_mT8_P12ihipStream_tbDpT10_ENKUlT_T0_E_clISt17integral_constantIbLb1EES1B_IbLb0EEEEDaS17_S18_EUlS17_E_NS1_11comp_targetILNS1_3genE8ELNS1_11target_archE1030ELNS1_3gpuE2ELNS1_3repE0EEENS1_30default_config_static_selectorELNS0_4arch9wavefront6targetE1EEEvT1_
                                        ; -- End function
	.section	.AMDGPU.csdata,"",@progbits
; Kernel info:
; codeLenInByte = 0
; NumSgprs: 4
; NumVgprs: 0
; NumAgprs: 0
; TotalNumVgprs: 0
; ScratchSize: 0
; MemoryBound: 0
; FloatMode: 240
; IeeeMode: 1
; LDSByteSize: 0 bytes/workgroup (compile time only)
; SGPRBlocks: 0
; VGPRBlocks: 0
; NumSGPRsForWavesPerEU: 4
; NumVGPRsForWavesPerEU: 1
; AccumOffset: 4
; Occupancy: 8
; WaveLimiterHint : 0
; COMPUTE_PGM_RSRC2:SCRATCH_EN: 0
; COMPUTE_PGM_RSRC2:USER_SGPR: 6
; COMPUTE_PGM_RSRC2:TRAP_HANDLER: 0
; COMPUTE_PGM_RSRC2:TGID_X_EN: 1
; COMPUTE_PGM_RSRC2:TGID_Y_EN: 0
; COMPUTE_PGM_RSRC2:TGID_Z_EN: 0
; COMPUTE_PGM_RSRC2:TIDIG_COMP_CNT: 0
; COMPUTE_PGM_RSRC3_GFX90A:ACCUM_OFFSET: 0
; COMPUTE_PGM_RSRC3_GFX90A:TG_SPLIT: 0
	.section	.text._ZN7rocprim17ROCPRIM_400000_NS6detail17trampoline_kernelINS0_14default_configENS1_25partition_config_selectorILNS1_17partition_subalgoE3EN6thrust23THRUST_200600_302600_NS5tupleIxxNS7_9null_typeES9_S9_S9_S9_S9_S9_S9_EENS0_10empty_typeEbEEZZNS1_14partition_implILS5_3ELb0ES3_jNS7_6detail15normal_iteratorINS7_7pointerISA_NS7_11hip_rocprim3tagENS7_11use_defaultESJ_EEEEPSB_SM_NS0_5tupleIJPSA_SM_EEENSN_IJSM_SM_EEESB_PlJ10is_orderedEEE10hipError_tPvRmT3_T4_T5_T6_T7_T9_mT8_P12ihipStream_tbDpT10_ENKUlT_T0_E_clISt17integral_constantIbLb0EES1B_IbLb1EEEEDaS17_S18_EUlS17_E_NS1_11comp_targetILNS1_3genE0ELNS1_11target_archE4294967295ELNS1_3gpuE0ELNS1_3repE0EEENS1_30default_config_static_selectorELNS0_4arch9wavefront6targetE1EEEvT1_,"axG",@progbits,_ZN7rocprim17ROCPRIM_400000_NS6detail17trampoline_kernelINS0_14default_configENS1_25partition_config_selectorILNS1_17partition_subalgoE3EN6thrust23THRUST_200600_302600_NS5tupleIxxNS7_9null_typeES9_S9_S9_S9_S9_S9_S9_EENS0_10empty_typeEbEEZZNS1_14partition_implILS5_3ELb0ES3_jNS7_6detail15normal_iteratorINS7_7pointerISA_NS7_11hip_rocprim3tagENS7_11use_defaultESJ_EEEEPSB_SM_NS0_5tupleIJPSA_SM_EEENSN_IJSM_SM_EEESB_PlJ10is_orderedEEE10hipError_tPvRmT3_T4_T5_T6_T7_T9_mT8_P12ihipStream_tbDpT10_ENKUlT_T0_E_clISt17integral_constantIbLb0EES1B_IbLb1EEEEDaS17_S18_EUlS17_E_NS1_11comp_targetILNS1_3genE0ELNS1_11target_archE4294967295ELNS1_3gpuE0ELNS1_3repE0EEENS1_30default_config_static_selectorELNS0_4arch9wavefront6targetE1EEEvT1_,comdat
	.protected	_ZN7rocprim17ROCPRIM_400000_NS6detail17trampoline_kernelINS0_14default_configENS1_25partition_config_selectorILNS1_17partition_subalgoE3EN6thrust23THRUST_200600_302600_NS5tupleIxxNS7_9null_typeES9_S9_S9_S9_S9_S9_S9_EENS0_10empty_typeEbEEZZNS1_14partition_implILS5_3ELb0ES3_jNS7_6detail15normal_iteratorINS7_7pointerISA_NS7_11hip_rocprim3tagENS7_11use_defaultESJ_EEEEPSB_SM_NS0_5tupleIJPSA_SM_EEENSN_IJSM_SM_EEESB_PlJ10is_orderedEEE10hipError_tPvRmT3_T4_T5_T6_T7_T9_mT8_P12ihipStream_tbDpT10_ENKUlT_T0_E_clISt17integral_constantIbLb0EES1B_IbLb1EEEEDaS17_S18_EUlS17_E_NS1_11comp_targetILNS1_3genE0ELNS1_11target_archE4294967295ELNS1_3gpuE0ELNS1_3repE0EEENS1_30default_config_static_selectorELNS0_4arch9wavefront6targetE1EEEvT1_ ; -- Begin function _ZN7rocprim17ROCPRIM_400000_NS6detail17trampoline_kernelINS0_14default_configENS1_25partition_config_selectorILNS1_17partition_subalgoE3EN6thrust23THRUST_200600_302600_NS5tupleIxxNS7_9null_typeES9_S9_S9_S9_S9_S9_S9_EENS0_10empty_typeEbEEZZNS1_14partition_implILS5_3ELb0ES3_jNS7_6detail15normal_iteratorINS7_7pointerISA_NS7_11hip_rocprim3tagENS7_11use_defaultESJ_EEEEPSB_SM_NS0_5tupleIJPSA_SM_EEENSN_IJSM_SM_EEESB_PlJ10is_orderedEEE10hipError_tPvRmT3_T4_T5_T6_T7_T9_mT8_P12ihipStream_tbDpT10_ENKUlT_T0_E_clISt17integral_constantIbLb0EES1B_IbLb1EEEEDaS17_S18_EUlS17_E_NS1_11comp_targetILNS1_3genE0ELNS1_11target_archE4294967295ELNS1_3gpuE0ELNS1_3repE0EEENS1_30default_config_static_selectorELNS0_4arch9wavefront6targetE1EEEvT1_
	.globl	_ZN7rocprim17ROCPRIM_400000_NS6detail17trampoline_kernelINS0_14default_configENS1_25partition_config_selectorILNS1_17partition_subalgoE3EN6thrust23THRUST_200600_302600_NS5tupleIxxNS7_9null_typeES9_S9_S9_S9_S9_S9_S9_EENS0_10empty_typeEbEEZZNS1_14partition_implILS5_3ELb0ES3_jNS7_6detail15normal_iteratorINS7_7pointerISA_NS7_11hip_rocprim3tagENS7_11use_defaultESJ_EEEEPSB_SM_NS0_5tupleIJPSA_SM_EEENSN_IJSM_SM_EEESB_PlJ10is_orderedEEE10hipError_tPvRmT3_T4_T5_T6_T7_T9_mT8_P12ihipStream_tbDpT10_ENKUlT_T0_E_clISt17integral_constantIbLb0EES1B_IbLb1EEEEDaS17_S18_EUlS17_E_NS1_11comp_targetILNS1_3genE0ELNS1_11target_archE4294967295ELNS1_3gpuE0ELNS1_3repE0EEENS1_30default_config_static_selectorELNS0_4arch9wavefront6targetE1EEEvT1_
	.p2align	8
	.type	_ZN7rocprim17ROCPRIM_400000_NS6detail17trampoline_kernelINS0_14default_configENS1_25partition_config_selectorILNS1_17partition_subalgoE3EN6thrust23THRUST_200600_302600_NS5tupleIxxNS7_9null_typeES9_S9_S9_S9_S9_S9_S9_EENS0_10empty_typeEbEEZZNS1_14partition_implILS5_3ELb0ES3_jNS7_6detail15normal_iteratorINS7_7pointerISA_NS7_11hip_rocprim3tagENS7_11use_defaultESJ_EEEEPSB_SM_NS0_5tupleIJPSA_SM_EEENSN_IJSM_SM_EEESB_PlJ10is_orderedEEE10hipError_tPvRmT3_T4_T5_T6_T7_T9_mT8_P12ihipStream_tbDpT10_ENKUlT_T0_E_clISt17integral_constantIbLb0EES1B_IbLb1EEEEDaS17_S18_EUlS17_E_NS1_11comp_targetILNS1_3genE0ELNS1_11target_archE4294967295ELNS1_3gpuE0ELNS1_3repE0EEENS1_30default_config_static_selectorELNS0_4arch9wavefront6targetE1EEEvT1_,@function
_ZN7rocprim17ROCPRIM_400000_NS6detail17trampoline_kernelINS0_14default_configENS1_25partition_config_selectorILNS1_17partition_subalgoE3EN6thrust23THRUST_200600_302600_NS5tupleIxxNS7_9null_typeES9_S9_S9_S9_S9_S9_S9_EENS0_10empty_typeEbEEZZNS1_14partition_implILS5_3ELb0ES3_jNS7_6detail15normal_iteratorINS7_7pointerISA_NS7_11hip_rocprim3tagENS7_11use_defaultESJ_EEEEPSB_SM_NS0_5tupleIJPSA_SM_EEENSN_IJSM_SM_EEESB_PlJ10is_orderedEEE10hipError_tPvRmT3_T4_T5_T6_T7_T9_mT8_P12ihipStream_tbDpT10_ENKUlT_T0_E_clISt17integral_constantIbLb0EES1B_IbLb1EEEEDaS17_S18_EUlS17_E_NS1_11comp_targetILNS1_3genE0ELNS1_11target_archE4294967295ELNS1_3gpuE0ELNS1_3repE0EEENS1_30default_config_static_selectorELNS0_4arch9wavefront6targetE1EEEvT1_: ; @_ZN7rocprim17ROCPRIM_400000_NS6detail17trampoline_kernelINS0_14default_configENS1_25partition_config_selectorILNS1_17partition_subalgoE3EN6thrust23THRUST_200600_302600_NS5tupleIxxNS7_9null_typeES9_S9_S9_S9_S9_S9_S9_EENS0_10empty_typeEbEEZZNS1_14partition_implILS5_3ELb0ES3_jNS7_6detail15normal_iteratorINS7_7pointerISA_NS7_11hip_rocprim3tagENS7_11use_defaultESJ_EEEEPSB_SM_NS0_5tupleIJPSA_SM_EEENSN_IJSM_SM_EEESB_PlJ10is_orderedEEE10hipError_tPvRmT3_T4_T5_T6_T7_T9_mT8_P12ihipStream_tbDpT10_ENKUlT_T0_E_clISt17integral_constantIbLb0EES1B_IbLb1EEEEDaS17_S18_EUlS17_E_NS1_11comp_targetILNS1_3genE0ELNS1_11target_archE4294967295ELNS1_3gpuE0ELNS1_3repE0EEENS1_30default_config_static_selectorELNS0_4arch9wavefront6targetE1EEEvT1_
; %bb.0:
	.section	.rodata,"a",@progbits
	.p2align	6, 0x0
	.amdhsa_kernel _ZN7rocprim17ROCPRIM_400000_NS6detail17trampoline_kernelINS0_14default_configENS1_25partition_config_selectorILNS1_17partition_subalgoE3EN6thrust23THRUST_200600_302600_NS5tupleIxxNS7_9null_typeES9_S9_S9_S9_S9_S9_S9_EENS0_10empty_typeEbEEZZNS1_14partition_implILS5_3ELb0ES3_jNS7_6detail15normal_iteratorINS7_7pointerISA_NS7_11hip_rocprim3tagENS7_11use_defaultESJ_EEEEPSB_SM_NS0_5tupleIJPSA_SM_EEENSN_IJSM_SM_EEESB_PlJ10is_orderedEEE10hipError_tPvRmT3_T4_T5_T6_T7_T9_mT8_P12ihipStream_tbDpT10_ENKUlT_T0_E_clISt17integral_constantIbLb0EES1B_IbLb1EEEEDaS17_S18_EUlS17_E_NS1_11comp_targetILNS1_3genE0ELNS1_11target_archE4294967295ELNS1_3gpuE0ELNS1_3repE0EEENS1_30default_config_static_selectorELNS0_4arch9wavefront6targetE1EEEvT1_
		.amdhsa_group_segment_fixed_size 0
		.amdhsa_private_segment_fixed_size 0
		.amdhsa_kernarg_size 136
		.amdhsa_user_sgpr_count 6
		.amdhsa_user_sgpr_private_segment_buffer 1
		.amdhsa_user_sgpr_dispatch_ptr 0
		.amdhsa_user_sgpr_queue_ptr 0
		.amdhsa_user_sgpr_kernarg_segment_ptr 1
		.amdhsa_user_sgpr_dispatch_id 0
		.amdhsa_user_sgpr_flat_scratch_init 0
		.amdhsa_user_sgpr_kernarg_preload_length 0
		.amdhsa_user_sgpr_kernarg_preload_offset 0
		.amdhsa_user_sgpr_private_segment_size 0
		.amdhsa_uses_dynamic_stack 0
		.amdhsa_system_sgpr_private_segment_wavefront_offset 0
		.amdhsa_system_sgpr_workgroup_id_x 1
		.amdhsa_system_sgpr_workgroup_id_y 0
		.amdhsa_system_sgpr_workgroup_id_z 0
		.amdhsa_system_sgpr_workgroup_info 0
		.amdhsa_system_vgpr_workitem_id 0
		.amdhsa_next_free_vgpr 1
		.amdhsa_next_free_sgpr 0
		.amdhsa_accum_offset 4
		.amdhsa_reserve_vcc 0
		.amdhsa_reserve_flat_scratch 0
		.amdhsa_float_round_mode_32 0
		.amdhsa_float_round_mode_16_64 0
		.amdhsa_float_denorm_mode_32 3
		.amdhsa_float_denorm_mode_16_64 3
		.amdhsa_dx10_clamp 1
		.amdhsa_ieee_mode 1
		.amdhsa_fp16_overflow 0
		.amdhsa_tg_split 0
		.amdhsa_exception_fp_ieee_invalid_op 0
		.amdhsa_exception_fp_denorm_src 0
		.amdhsa_exception_fp_ieee_div_zero 0
		.amdhsa_exception_fp_ieee_overflow 0
		.amdhsa_exception_fp_ieee_underflow 0
		.amdhsa_exception_fp_ieee_inexact 0
		.amdhsa_exception_int_div_zero 0
	.end_amdhsa_kernel
	.section	.text._ZN7rocprim17ROCPRIM_400000_NS6detail17trampoline_kernelINS0_14default_configENS1_25partition_config_selectorILNS1_17partition_subalgoE3EN6thrust23THRUST_200600_302600_NS5tupleIxxNS7_9null_typeES9_S9_S9_S9_S9_S9_S9_EENS0_10empty_typeEbEEZZNS1_14partition_implILS5_3ELb0ES3_jNS7_6detail15normal_iteratorINS7_7pointerISA_NS7_11hip_rocprim3tagENS7_11use_defaultESJ_EEEEPSB_SM_NS0_5tupleIJPSA_SM_EEENSN_IJSM_SM_EEESB_PlJ10is_orderedEEE10hipError_tPvRmT3_T4_T5_T6_T7_T9_mT8_P12ihipStream_tbDpT10_ENKUlT_T0_E_clISt17integral_constantIbLb0EES1B_IbLb1EEEEDaS17_S18_EUlS17_E_NS1_11comp_targetILNS1_3genE0ELNS1_11target_archE4294967295ELNS1_3gpuE0ELNS1_3repE0EEENS1_30default_config_static_selectorELNS0_4arch9wavefront6targetE1EEEvT1_,"axG",@progbits,_ZN7rocprim17ROCPRIM_400000_NS6detail17trampoline_kernelINS0_14default_configENS1_25partition_config_selectorILNS1_17partition_subalgoE3EN6thrust23THRUST_200600_302600_NS5tupleIxxNS7_9null_typeES9_S9_S9_S9_S9_S9_S9_EENS0_10empty_typeEbEEZZNS1_14partition_implILS5_3ELb0ES3_jNS7_6detail15normal_iteratorINS7_7pointerISA_NS7_11hip_rocprim3tagENS7_11use_defaultESJ_EEEEPSB_SM_NS0_5tupleIJPSA_SM_EEENSN_IJSM_SM_EEESB_PlJ10is_orderedEEE10hipError_tPvRmT3_T4_T5_T6_T7_T9_mT8_P12ihipStream_tbDpT10_ENKUlT_T0_E_clISt17integral_constantIbLb0EES1B_IbLb1EEEEDaS17_S18_EUlS17_E_NS1_11comp_targetILNS1_3genE0ELNS1_11target_archE4294967295ELNS1_3gpuE0ELNS1_3repE0EEENS1_30default_config_static_selectorELNS0_4arch9wavefront6targetE1EEEvT1_,comdat
.Lfunc_end3479:
	.size	_ZN7rocprim17ROCPRIM_400000_NS6detail17trampoline_kernelINS0_14default_configENS1_25partition_config_selectorILNS1_17partition_subalgoE3EN6thrust23THRUST_200600_302600_NS5tupleIxxNS7_9null_typeES9_S9_S9_S9_S9_S9_S9_EENS0_10empty_typeEbEEZZNS1_14partition_implILS5_3ELb0ES3_jNS7_6detail15normal_iteratorINS7_7pointerISA_NS7_11hip_rocprim3tagENS7_11use_defaultESJ_EEEEPSB_SM_NS0_5tupleIJPSA_SM_EEENSN_IJSM_SM_EEESB_PlJ10is_orderedEEE10hipError_tPvRmT3_T4_T5_T6_T7_T9_mT8_P12ihipStream_tbDpT10_ENKUlT_T0_E_clISt17integral_constantIbLb0EES1B_IbLb1EEEEDaS17_S18_EUlS17_E_NS1_11comp_targetILNS1_3genE0ELNS1_11target_archE4294967295ELNS1_3gpuE0ELNS1_3repE0EEENS1_30default_config_static_selectorELNS0_4arch9wavefront6targetE1EEEvT1_, .Lfunc_end3479-_ZN7rocprim17ROCPRIM_400000_NS6detail17trampoline_kernelINS0_14default_configENS1_25partition_config_selectorILNS1_17partition_subalgoE3EN6thrust23THRUST_200600_302600_NS5tupleIxxNS7_9null_typeES9_S9_S9_S9_S9_S9_S9_EENS0_10empty_typeEbEEZZNS1_14partition_implILS5_3ELb0ES3_jNS7_6detail15normal_iteratorINS7_7pointerISA_NS7_11hip_rocprim3tagENS7_11use_defaultESJ_EEEEPSB_SM_NS0_5tupleIJPSA_SM_EEENSN_IJSM_SM_EEESB_PlJ10is_orderedEEE10hipError_tPvRmT3_T4_T5_T6_T7_T9_mT8_P12ihipStream_tbDpT10_ENKUlT_T0_E_clISt17integral_constantIbLb0EES1B_IbLb1EEEEDaS17_S18_EUlS17_E_NS1_11comp_targetILNS1_3genE0ELNS1_11target_archE4294967295ELNS1_3gpuE0ELNS1_3repE0EEENS1_30default_config_static_selectorELNS0_4arch9wavefront6targetE1EEEvT1_
                                        ; -- End function
	.section	.AMDGPU.csdata,"",@progbits
; Kernel info:
; codeLenInByte = 0
; NumSgprs: 4
; NumVgprs: 0
; NumAgprs: 0
; TotalNumVgprs: 0
; ScratchSize: 0
; MemoryBound: 0
; FloatMode: 240
; IeeeMode: 1
; LDSByteSize: 0 bytes/workgroup (compile time only)
; SGPRBlocks: 0
; VGPRBlocks: 0
; NumSGPRsForWavesPerEU: 4
; NumVGPRsForWavesPerEU: 1
; AccumOffset: 4
; Occupancy: 8
; WaveLimiterHint : 0
; COMPUTE_PGM_RSRC2:SCRATCH_EN: 0
; COMPUTE_PGM_RSRC2:USER_SGPR: 6
; COMPUTE_PGM_RSRC2:TRAP_HANDLER: 0
; COMPUTE_PGM_RSRC2:TGID_X_EN: 1
; COMPUTE_PGM_RSRC2:TGID_Y_EN: 0
; COMPUTE_PGM_RSRC2:TGID_Z_EN: 0
; COMPUTE_PGM_RSRC2:TIDIG_COMP_CNT: 0
; COMPUTE_PGM_RSRC3_GFX90A:ACCUM_OFFSET: 0
; COMPUTE_PGM_RSRC3_GFX90A:TG_SPLIT: 0
	.section	.text._ZN7rocprim17ROCPRIM_400000_NS6detail17trampoline_kernelINS0_14default_configENS1_25partition_config_selectorILNS1_17partition_subalgoE3EN6thrust23THRUST_200600_302600_NS5tupleIxxNS7_9null_typeES9_S9_S9_S9_S9_S9_S9_EENS0_10empty_typeEbEEZZNS1_14partition_implILS5_3ELb0ES3_jNS7_6detail15normal_iteratorINS7_7pointerISA_NS7_11hip_rocprim3tagENS7_11use_defaultESJ_EEEEPSB_SM_NS0_5tupleIJPSA_SM_EEENSN_IJSM_SM_EEESB_PlJ10is_orderedEEE10hipError_tPvRmT3_T4_T5_T6_T7_T9_mT8_P12ihipStream_tbDpT10_ENKUlT_T0_E_clISt17integral_constantIbLb0EES1B_IbLb1EEEEDaS17_S18_EUlS17_E_NS1_11comp_targetILNS1_3genE5ELNS1_11target_archE942ELNS1_3gpuE9ELNS1_3repE0EEENS1_30default_config_static_selectorELNS0_4arch9wavefront6targetE1EEEvT1_,"axG",@progbits,_ZN7rocprim17ROCPRIM_400000_NS6detail17trampoline_kernelINS0_14default_configENS1_25partition_config_selectorILNS1_17partition_subalgoE3EN6thrust23THRUST_200600_302600_NS5tupleIxxNS7_9null_typeES9_S9_S9_S9_S9_S9_S9_EENS0_10empty_typeEbEEZZNS1_14partition_implILS5_3ELb0ES3_jNS7_6detail15normal_iteratorINS7_7pointerISA_NS7_11hip_rocprim3tagENS7_11use_defaultESJ_EEEEPSB_SM_NS0_5tupleIJPSA_SM_EEENSN_IJSM_SM_EEESB_PlJ10is_orderedEEE10hipError_tPvRmT3_T4_T5_T6_T7_T9_mT8_P12ihipStream_tbDpT10_ENKUlT_T0_E_clISt17integral_constantIbLb0EES1B_IbLb1EEEEDaS17_S18_EUlS17_E_NS1_11comp_targetILNS1_3genE5ELNS1_11target_archE942ELNS1_3gpuE9ELNS1_3repE0EEENS1_30default_config_static_selectorELNS0_4arch9wavefront6targetE1EEEvT1_,comdat
	.protected	_ZN7rocprim17ROCPRIM_400000_NS6detail17trampoline_kernelINS0_14default_configENS1_25partition_config_selectorILNS1_17partition_subalgoE3EN6thrust23THRUST_200600_302600_NS5tupleIxxNS7_9null_typeES9_S9_S9_S9_S9_S9_S9_EENS0_10empty_typeEbEEZZNS1_14partition_implILS5_3ELb0ES3_jNS7_6detail15normal_iteratorINS7_7pointerISA_NS7_11hip_rocprim3tagENS7_11use_defaultESJ_EEEEPSB_SM_NS0_5tupleIJPSA_SM_EEENSN_IJSM_SM_EEESB_PlJ10is_orderedEEE10hipError_tPvRmT3_T4_T5_T6_T7_T9_mT8_P12ihipStream_tbDpT10_ENKUlT_T0_E_clISt17integral_constantIbLb0EES1B_IbLb1EEEEDaS17_S18_EUlS17_E_NS1_11comp_targetILNS1_3genE5ELNS1_11target_archE942ELNS1_3gpuE9ELNS1_3repE0EEENS1_30default_config_static_selectorELNS0_4arch9wavefront6targetE1EEEvT1_ ; -- Begin function _ZN7rocprim17ROCPRIM_400000_NS6detail17trampoline_kernelINS0_14default_configENS1_25partition_config_selectorILNS1_17partition_subalgoE3EN6thrust23THRUST_200600_302600_NS5tupleIxxNS7_9null_typeES9_S9_S9_S9_S9_S9_S9_EENS0_10empty_typeEbEEZZNS1_14partition_implILS5_3ELb0ES3_jNS7_6detail15normal_iteratorINS7_7pointerISA_NS7_11hip_rocprim3tagENS7_11use_defaultESJ_EEEEPSB_SM_NS0_5tupleIJPSA_SM_EEENSN_IJSM_SM_EEESB_PlJ10is_orderedEEE10hipError_tPvRmT3_T4_T5_T6_T7_T9_mT8_P12ihipStream_tbDpT10_ENKUlT_T0_E_clISt17integral_constantIbLb0EES1B_IbLb1EEEEDaS17_S18_EUlS17_E_NS1_11comp_targetILNS1_3genE5ELNS1_11target_archE942ELNS1_3gpuE9ELNS1_3repE0EEENS1_30default_config_static_selectorELNS0_4arch9wavefront6targetE1EEEvT1_
	.globl	_ZN7rocprim17ROCPRIM_400000_NS6detail17trampoline_kernelINS0_14default_configENS1_25partition_config_selectorILNS1_17partition_subalgoE3EN6thrust23THRUST_200600_302600_NS5tupleIxxNS7_9null_typeES9_S9_S9_S9_S9_S9_S9_EENS0_10empty_typeEbEEZZNS1_14partition_implILS5_3ELb0ES3_jNS7_6detail15normal_iteratorINS7_7pointerISA_NS7_11hip_rocprim3tagENS7_11use_defaultESJ_EEEEPSB_SM_NS0_5tupleIJPSA_SM_EEENSN_IJSM_SM_EEESB_PlJ10is_orderedEEE10hipError_tPvRmT3_T4_T5_T6_T7_T9_mT8_P12ihipStream_tbDpT10_ENKUlT_T0_E_clISt17integral_constantIbLb0EES1B_IbLb1EEEEDaS17_S18_EUlS17_E_NS1_11comp_targetILNS1_3genE5ELNS1_11target_archE942ELNS1_3gpuE9ELNS1_3repE0EEENS1_30default_config_static_selectorELNS0_4arch9wavefront6targetE1EEEvT1_
	.p2align	8
	.type	_ZN7rocprim17ROCPRIM_400000_NS6detail17trampoline_kernelINS0_14default_configENS1_25partition_config_selectorILNS1_17partition_subalgoE3EN6thrust23THRUST_200600_302600_NS5tupleIxxNS7_9null_typeES9_S9_S9_S9_S9_S9_S9_EENS0_10empty_typeEbEEZZNS1_14partition_implILS5_3ELb0ES3_jNS7_6detail15normal_iteratorINS7_7pointerISA_NS7_11hip_rocprim3tagENS7_11use_defaultESJ_EEEEPSB_SM_NS0_5tupleIJPSA_SM_EEENSN_IJSM_SM_EEESB_PlJ10is_orderedEEE10hipError_tPvRmT3_T4_T5_T6_T7_T9_mT8_P12ihipStream_tbDpT10_ENKUlT_T0_E_clISt17integral_constantIbLb0EES1B_IbLb1EEEEDaS17_S18_EUlS17_E_NS1_11comp_targetILNS1_3genE5ELNS1_11target_archE942ELNS1_3gpuE9ELNS1_3repE0EEENS1_30default_config_static_selectorELNS0_4arch9wavefront6targetE1EEEvT1_,@function
_ZN7rocprim17ROCPRIM_400000_NS6detail17trampoline_kernelINS0_14default_configENS1_25partition_config_selectorILNS1_17partition_subalgoE3EN6thrust23THRUST_200600_302600_NS5tupleIxxNS7_9null_typeES9_S9_S9_S9_S9_S9_S9_EENS0_10empty_typeEbEEZZNS1_14partition_implILS5_3ELb0ES3_jNS7_6detail15normal_iteratorINS7_7pointerISA_NS7_11hip_rocprim3tagENS7_11use_defaultESJ_EEEEPSB_SM_NS0_5tupleIJPSA_SM_EEENSN_IJSM_SM_EEESB_PlJ10is_orderedEEE10hipError_tPvRmT3_T4_T5_T6_T7_T9_mT8_P12ihipStream_tbDpT10_ENKUlT_T0_E_clISt17integral_constantIbLb0EES1B_IbLb1EEEEDaS17_S18_EUlS17_E_NS1_11comp_targetILNS1_3genE5ELNS1_11target_archE942ELNS1_3gpuE9ELNS1_3repE0EEENS1_30default_config_static_selectorELNS0_4arch9wavefront6targetE1EEEvT1_: ; @_ZN7rocprim17ROCPRIM_400000_NS6detail17trampoline_kernelINS0_14default_configENS1_25partition_config_selectorILNS1_17partition_subalgoE3EN6thrust23THRUST_200600_302600_NS5tupleIxxNS7_9null_typeES9_S9_S9_S9_S9_S9_S9_EENS0_10empty_typeEbEEZZNS1_14partition_implILS5_3ELb0ES3_jNS7_6detail15normal_iteratorINS7_7pointerISA_NS7_11hip_rocprim3tagENS7_11use_defaultESJ_EEEEPSB_SM_NS0_5tupleIJPSA_SM_EEENSN_IJSM_SM_EEESB_PlJ10is_orderedEEE10hipError_tPvRmT3_T4_T5_T6_T7_T9_mT8_P12ihipStream_tbDpT10_ENKUlT_T0_E_clISt17integral_constantIbLb0EES1B_IbLb1EEEEDaS17_S18_EUlS17_E_NS1_11comp_targetILNS1_3genE5ELNS1_11target_archE942ELNS1_3gpuE9ELNS1_3repE0EEENS1_30default_config_static_selectorELNS0_4arch9wavefront6targetE1EEEvT1_
; %bb.0:
	.section	.rodata,"a",@progbits
	.p2align	6, 0x0
	.amdhsa_kernel _ZN7rocprim17ROCPRIM_400000_NS6detail17trampoline_kernelINS0_14default_configENS1_25partition_config_selectorILNS1_17partition_subalgoE3EN6thrust23THRUST_200600_302600_NS5tupleIxxNS7_9null_typeES9_S9_S9_S9_S9_S9_S9_EENS0_10empty_typeEbEEZZNS1_14partition_implILS5_3ELb0ES3_jNS7_6detail15normal_iteratorINS7_7pointerISA_NS7_11hip_rocprim3tagENS7_11use_defaultESJ_EEEEPSB_SM_NS0_5tupleIJPSA_SM_EEENSN_IJSM_SM_EEESB_PlJ10is_orderedEEE10hipError_tPvRmT3_T4_T5_T6_T7_T9_mT8_P12ihipStream_tbDpT10_ENKUlT_T0_E_clISt17integral_constantIbLb0EES1B_IbLb1EEEEDaS17_S18_EUlS17_E_NS1_11comp_targetILNS1_3genE5ELNS1_11target_archE942ELNS1_3gpuE9ELNS1_3repE0EEENS1_30default_config_static_selectorELNS0_4arch9wavefront6targetE1EEEvT1_
		.amdhsa_group_segment_fixed_size 0
		.amdhsa_private_segment_fixed_size 0
		.amdhsa_kernarg_size 136
		.amdhsa_user_sgpr_count 6
		.amdhsa_user_sgpr_private_segment_buffer 1
		.amdhsa_user_sgpr_dispatch_ptr 0
		.amdhsa_user_sgpr_queue_ptr 0
		.amdhsa_user_sgpr_kernarg_segment_ptr 1
		.amdhsa_user_sgpr_dispatch_id 0
		.amdhsa_user_sgpr_flat_scratch_init 0
		.amdhsa_user_sgpr_kernarg_preload_length 0
		.amdhsa_user_sgpr_kernarg_preload_offset 0
		.amdhsa_user_sgpr_private_segment_size 0
		.amdhsa_uses_dynamic_stack 0
		.amdhsa_system_sgpr_private_segment_wavefront_offset 0
		.amdhsa_system_sgpr_workgroup_id_x 1
		.amdhsa_system_sgpr_workgroup_id_y 0
		.amdhsa_system_sgpr_workgroup_id_z 0
		.amdhsa_system_sgpr_workgroup_info 0
		.amdhsa_system_vgpr_workitem_id 0
		.amdhsa_next_free_vgpr 1
		.amdhsa_next_free_sgpr 0
		.amdhsa_accum_offset 4
		.amdhsa_reserve_vcc 0
		.amdhsa_reserve_flat_scratch 0
		.amdhsa_float_round_mode_32 0
		.amdhsa_float_round_mode_16_64 0
		.amdhsa_float_denorm_mode_32 3
		.amdhsa_float_denorm_mode_16_64 3
		.amdhsa_dx10_clamp 1
		.amdhsa_ieee_mode 1
		.amdhsa_fp16_overflow 0
		.amdhsa_tg_split 0
		.amdhsa_exception_fp_ieee_invalid_op 0
		.amdhsa_exception_fp_denorm_src 0
		.amdhsa_exception_fp_ieee_div_zero 0
		.amdhsa_exception_fp_ieee_overflow 0
		.amdhsa_exception_fp_ieee_underflow 0
		.amdhsa_exception_fp_ieee_inexact 0
		.amdhsa_exception_int_div_zero 0
	.end_amdhsa_kernel
	.section	.text._ZN7rocprim17ROCPRIM_400000_NS6detail17trampoline_kernelINS0_14default_configENS1_25partition_config_selectorILNS1_17partition_subalgoE3EN6thrust23THRUST_200600_302600_NS5tupleIxxNS7_9null_typeES9_S9_S9_S9_S9_S9_S9_EENS0_10empty_typeEbEEZZNS1_14partition_implILS5_3ELb0ES3_jNS7_6detail15normal_iteratorINS7_7pointerISA_NS7_11hip_rocprim3tagENS7_11use_defaultESJ_EEEEPSB_SM_NS0_5tupleIJPSA_SM_EEENSN_IJSM_SM_EEESB_PlJ10is_orderedEEE10hipError_tPvRmT3_T4_T5_T6_T7_T9_mT8_P12ihipStream_tbDpT10_ENKUlT_T0_E_clISt17integral_constantIbLb0EES1B_IbLb1EEEEDaS17_S18_EUlS17_E_NS1_11comp_targetILNS1_3genE5ELNS1_11target_archE942ELNS1_3gpuE9ELNS1_3repE0EEENS1_30default_config_static_selectorELNS0_4arch9wavefront6targetE1EEEvT1_,"axG",@progbits,_ZN7rocprim17ROCPRIM_400000_NS6detail17trampoline_kernelINS0_14default_configENS1_25partition_config_selectorILNS1_17partition_subalgoE3EN6thrust23THRUST_200600_302600_NS5tupleIxxNS7_9null_typeES9_S9_S9_S9_S9_S9_S9_EENS0_10empty_typeEbEEZZNS1_14partition_implILS5_3ELb0ES3_jNS7_6detail15normal_iteratorINS7_7pointerISA_NS7_11hip_rocprim3tagENS7_11use_defaultESJ_EEEEPSB_SM_NS0_5tupleIJPSA_SM_EEENSN_IJSM_SM_EEESB_PlJ10is_orderedEEE10hipError_tPvRmT3_T4_T5_T6_T7_T9_mT8_P12ihipStream_tbDpT10_ENKUlT_T0_E_clISt17integral_constantIbLb0EES1B_IbLb1EEEEDaS17_S18_EUlS17_E_NS1_11comp_targetILNS1_3genE5ELNS1_11target_archE942ELNS1_3gpuE9ELNS1_3repE0EEENS1_30default_config_static_selectorELNS0_4arch9wavefront6targetE1EEEvT1_,comdat
.Lfunc_end3480:
	.size	_ZN7rocprim17ROCPRIM_400000_NS6detail17trampoline_kernelINS0_14default_configENS1_25partition_config_selectorILNS1_17partition_subalgoE3EN6thrust23THRUST_200600_302600_NS5tupleIxxNS7_9null_typeES9_S9_S9_S9_S9_S9_S9_EENS0_10empty_typeEbEEZZNS1_14partition_implILS5_3ELb0ES3_jNS7_6detail15normal_iteratorINS7_7pointerISA_NS7_11hip_rocprim3tagENS7_11use_defaultESJ_EEEEPSB_SM_NS0_5tupleIJPSA_SM_EEENSN_IJSM_SM_EEESB_PlJ10is_orderedEEE10hipError_tPvRmT3_T4_T5_T6_T7_T9_mT8_P12ihipStream_tbDpT10_ENKUlT_T0_E_clISt17integral_constantIbLb0EES1B_IbLb1EEEEDaS17_S18_EUlS17_E_NS1_11comp_targetILNS1_3genE5ELNS1_11target_archE942ELNS1_3gpuE9ELNS1_3repE0EEENS1_30default_config_static_selectorELNS0_4arch9wavefront6targetE1EEEvT1_, .Lfunc_end3480-_ZN7rocprim17ROCPRIM_400000_NS6detail17trampoline_kernelINS0_14default_configENS1_25partition_config_selectorILNS1_17partition_subalgoE3EN6thrust23THRUST_200600_302600_NS5tupleIxxNS7_9null_typeES9_S9_S9_S9_S9_S9_S9_EENS0_10empty_typeEbEEZZNS1_14partition_implILS5_3ELb0ES3_jNS7_6detail15normal_iteratorINS7_7pointerISA_NS7_11hip_rocprim3tagENS7_11use_defaultESJ_EEEEPSB_SM_NS0_5tupleIJPSA_SM_EEENSN_IJSM_SM_EEESB_PlJ10is_orderedEEE10hipError_tPvRmT3_T4_T5_T6_T7_T9_mT8_P12ihipStream_tbDpT10_ENKUlT_T0_E_clISt17integral_constantIbLb0EES1B_IbLb1EEEEDaS17_S18_EUlS17_E_NS1_11comp_targetILNS1_3genE5ELNS1_11target_archE942ELNS1_3gpuE9ELNS1_3repE0EEENS1_30default_config_static_selectorELNS0_4arch9wavefront6targetE1EEEvT1_
                                        ; -- End function
	.section	.AMDGPU.csdata,"",@progbits
; Kernel info:
; codeLenInByte = 0
; NumSgprs: 4
; NumVgprs: 0
; NumAgprs: 0
; TotalNumVgprs: 0
; ScratchSize: 0
; MemoryBound: 0
; FloatMode: 240
; IeeeMode: 1
; LDSByteSize: 0 bytes/workgroup (compile time only)
; SGPRBlocks: 0
; VGPRBlocks: 0
; NumSGPRsForWavesPerEU: 4
; NumVGPRsForWavesPerEU: 1
; AccumOffset: 4
; Occupancy: 8
; WaveLimiterHint : 0
; COMPUTE_PGM_RSRC2:SCRATCH_EN: 0
; COMPUTE_PGM_RSRC2:USER_SGPR: 6
; COMPUTE_PGM_RSRC2:TRAP_HANDLER: 0
; COMPUTE_PGM_RSRC2:TGID_X_EN: 1
; COMPUTE_PGM_RSRC2:TGID_Y_EN: 0
; COMPUTE_PGM_RSRC2:TGID_Z_EN: 0
; COMPUTE_PGM_RSRC2:TIDIG_COMP_CNT: 0
; COMPUTE_PGM_RSRC3_GFX90A:ACCUM_OFFSET: 0
; COMPUTE_PGM_RSRC3_GFX90A:TG_SPLIT: 0
	.section	.text._ZN7rocprim17ROCPRIM_400000_NS6detail17trampoline_kernelINS0_14default_configENS1_25partition_config_selectorILNS1_17partition_subalgoE3EN6thrust23THRUST_200600_302600_NS5tupleIxxNS7_9null_typeES9_S9_S9_S9_S9_S9_S9_EENS0_10empty_typeEbEEZZNS1_14partition_implILS5_3ELb0ES3_jNS7_6detail15normal_iteratorINS7_7pointerISA_NS7_11hip_rocprim3tagENS7_11use_defaultESJ_EEEEPSB_SM_NS0_5tupleIJPSA_SM_EEENSN_IJSM_SM_EEESB_PlJ10is_orderedEEE10hipError_tPvRmT3_T4_T5_T6_T7_T9_mT8_P12ihipStream_tbDpT10_ENKUlT_T0_E_clISt17integral_constantIbLb0EES1B_IbLb1EEEEDaS17_S18_EUlS17_E_NS1_11comp_targetILNS1_3genE4ELNS1_11target_archE910ELNS1_3gpuE8ELNS1_3repE0EEENS1_30default_config_static_selectorELNS0_4arch9wavefront6targetE1EEEvT1_,"axG",@progbits,_ZN7rocprim17ROCPRIM_400000_NS6detail17trampoline_kernelINS0_14default_configENS1_25partition_config_selectorILNS1_17partition_subalgoE3EN6thrust23THRUST_200600_302600_NS5tupleIxxNS7_9null_typeES9_S9_S9_S9_S9_S9_S9_EENS0_10empty_typeEbEEZZNS1_14partition_implILS5_3ELb0ES3_jNS7_6detail15normal_iteratorINS7_7pointerISA_NS7_11hip_rocprim3tagENS7_11use_defaultESJ_EEEEPSB_SM_NS0_5tupleIJPSA_SM_EEENSN_IJSM_SM_EEESB_PlJ10is_orderedEEE10hipError_tPvRmT3_T4_T5_T6_T7_T9_mT8_P12ihipStream_tbDpT10_ENKUlT_T0_E_clISt17integral_constantIbLb0EES1B_IbLb1EEEEDaS17_S18_EUlS17_E_NS1_11comp_targetILNS1_3genE4ELNS1_11target_archE910ELNS1_3gpuE8ELNS1_3repE0EEENS1_30default_config_static_selectorELNS0_4arch9wavefront6targetE1EEEvT1_,comdat
	.protected	_ZN7rocprim17ROCPRIM_400000_NS6detail17trampoline_kernelINS0_14default_configENS1_25partition_config_selectorILNS1_17partition_subalgoE3EN6thrust23THRUST_200600_302600_NS5tupleIxxNS7_9null_typeES9_S9_S9_S9_S9_S9_S9_EENS0_10empty_typeEbEEZZNS1_14partition_implILS5_3ELb0ES3_jNS7_6detail15normal_iteratorINS7_7pointerISA_NS7_11hip_rocprim3tagENS7_11use_defaultESJ_EEEEPSB_SM_NS0_5tupleIJPSA_SM_EEENSN_IJSM_SM_EEESB_PlJ10is_orderedEEE10hipError_tPvRmT3_T4_T5_T6_T7_T9_mT8_P12ihipStream_tbDpT10_ENKUlT_T0_E_clISt17integral_constantIbLb0EES1B_IbLb1EEEEDaS17_S18_EUlS17_E_NS1_11comp_targetILNS1_3genE4ELNS1_11target_archE910ELNS1_3gpuE8ELNS1_3repE0EEENS1_30default_config_static_selectorELNS0_4arch9wavefront6targetE1EEEvT1_ ; -- Begin function _ZN7rocprim17ROCPRIM_400000_NS6detail17trampoline_kernelINS0_14default_configENS1_25partition_config_selectorILNS1_17partition_subalgoE3EN6thrust23THRUST_200600_302600_NS5tupleIxxNS7_9null_typeES9_S9_S9_S9_S9_S9_S9_EENS0_10empty_typeEbEEZZNS1_14partition_implILS5_3ELb0ES3_jNS7_6detail15normal_iteratorINS7_7pointerISA_NS7_11hip_rocprim3tagENS7_11use_defaultESJ_EEEEPSB_SM_NS0_5tupleIJPSA_SM_EEENSN_IJSM_SM_EEESB_PlJ10is_orderedEEE10hipError_tPvRmT3_T4_T5_T6_T7_T9_mT8_P12ihipStream_tbDpT10_ENKUlT_T0_E_clISt17integral_constantIbLb0EES1B_IbLb1EEEEDaS17_S18_EUlS17_E_NS1_11comp_targetILNS1_3genE4ELNS1_11target_archE910ELNS1_3gpuE8ELNS1_3repE0EEENS1_30default_config_static_selectorELNS0_4arch9wavefront6targetE1EEEvT1_
	.globl	_ZN7rocprim17ROCPRIM_400000_NS6detail17trampoline_kernelINS0_14default_configENS1_25partition_config_selectorILNS1_17partition_subalgoE3EN6thrust23THRUST_200600_302600_NS5tupleIxxNS7_9null_typeES9_S9_S9_S9_S9_S9_S9_EENS0_10empty_typeEbEEZZNS1_14partition_implILS5_3ELb0ES3_jNS7_6detail15normal_iteratorINS7_7pointerISA_NS7_11hip_rocprim3tagENS7_11use_defaultESJ_EEEEPSB_SM_NS0_5tupleIJPSA_SM_EEENSN_IJSM_SM_EEESB_PlJ10is_orderedEEE10hipError_tPvRmT3_T4_T5_T6_T7_T9_mT8_P12ihipStream_tbDpT10_ENKUlT_T0_E_clISt17integral_constantIbLb0EES1B_IbLb1EEEEDaS17_S18_EUlS17_E_NS1_11comp_targetILNS1_3genE4ELNS1_11target_archE910ELNS1_3gpuE8ELNS1_3repE0EEENS1_30default_config_static_selectorELNS0_4arch9wavefront6targetE1EEEvT1_
	.p2align	8
	.type	_ZN7rocprim17ROCPRIM_400000_NS6detail17trampoline_kernelINS0_14default_configENS1_25partition_config_selectorILNS1_17partition_subalgoE3EN6thrust23THRUST_200600_302600_NS5tupleIxxNS7_9null_typeES9_S9_S9_S9_S9_S9_S9_EENS0_10empty_typeEbEEZZNS1_14partition_implILS5_3ELb0ES3_jNS7_6detail15normal_iteratorINS7_7pointerISA_NS7_11hip_rocprim3tagENS7_11use_defaultESJ_EEEEPSB_SM_NS0_5tupleIJPSA_SM_EEENSN_IJSM_SM_EEESB_PlJ10is_orderedEEE10hipError_tPvRmT3_T4_T5_T6_T7_T9_mT8_P12ihipStream_tbDpT10_ENKUlT_T0_E_clISt17integral_constantIbLb0EES1B_IbLb1EEEEDaS17_S18_EUlS17_E_NS1_11comp_targetILNS1_3genE4ELNS1_11target_archE910ELNS1_3gpuE8ELNS1_3repE0EEENS1_30default_config_static_selectorELNS0_4arch9wavefront6targetE1EEEvT1_,@function
_ZN7rocprim17ROCPRIM_400000_NS6detail17trampoline_kernelINS0_14default_configENS1_25partition_config_selectorILNS1_17partition_subalgoE3EN6thrust23THRUST_200600_302600_NS5tupleIxxNS7_9null_typeES9_S9_S9_S9_S9_S9_S9_EENS0_10empty_typeEbEEZZNS1_14partition_implILS5_3ELb0ES3_jNS7_6detail15normal_iteratorINS7_7pointerISA_NS7_11hip_rocprim3tagENS7_11use_defaultESJ_EEEEPSB_SM_NS0_5tupleIJPSA_SM_EEENSN_IJSM_SM_EEESB_PlJ10is_orderedEEE10hipError_tPvRmT3_T4_T5_T6_T7_T9_mT8_P12ihipStream_tbDpT10_ENKUlT_T0_E_clISt17integral_constantIbLb0EES1B_IbLb1EEEEDaS17_S18_EUlS17_E_NS1_11comp_targetILNS1_3genE4ELNS1_11target_archE910ELNS1_3gpuE8ELNS1_3repE0EEENS1_30default_config_static_selectorELNS0_4arch9wavefront6targetE1EEEvT1_: ; @_ZN7rocprim17ROCPRIM_400000_NS6detail17trampoline_kernelINS0_14default_configENS1_25partition_config_selectorILNS1_17partition_subalgoE3EN6thrust23THRUST_200600_302600_NS5tupleIxxNS7_9null_typeES9_S9_S9_S9_S9_S9_S9_EENS0_10empty_typeEbEEZZNS1_14partition_implILS5_3ELb0ES3_jNS7_6detail15normal_iteratorINS7_7pointerISA_NS7_11hip_rocprim3tagENS7_11use_defaultESJ_EEEEPSB_SM_NS0_5tupleIJPSA_SM_EEENSN_IJSM_SM_EEESB_PlJ10is_orderedEEE10hipError_tPvRmT3_T4_T5_T6_T7_T9_mT8_P12ihipStream_tbDpT10_ENKUlT_T0_E_clISt17integral_constantIbLb0EES1B_IbLb1EEEEDaS17_S18_EUlS17_E_NS1_11comp_targetILNS1_3genE4ELNS1_11target_archE910ELNS1_3gpuE8ELNS1_3repE0EEENS1_30default_config_static_selectorELNS0_4arch9wavefront6targetE1EEEvT1_
; %bb.0:
	s_load_dwordx2 s[28:29], s[4:5], 0x28
	s_load_dwordx4 s[20:23], s[4:5], 0x48
	s_load_dwordx2 s[30:31], s[4:5], 0x58
	s_load_dwordx2 s[34:35], s[4:5], 0x68
	v_cmp_eq_u32_e64 s[0:1], 0, v0
	s_and_saveexec_b64 s[2:3], s[0:1]
	s_cbranch_execz .LBB3481_4
; %bb.1:
	s_mov_b64 s[8:9], exec
	v_mbcnt_lo_u32_b32 v1, s8, 0
	v_mbcnt_hi_u32_b32 v1, s9, v1
	v_cmp_eq_u32_e32 vcc, 0, v1
                                        ; implicit-def: $vgpr2
	s_and_saveexec_b64 s[6:7], vcc
	s_cbranch_execz .LBB3481_3
; %bb.2:
	s_load_dwordx2 s[10:11], s[4:5], 0x78
	s_bcnt1_i32_b64 s8, s[8:9]
	v_mov_b32_e32 v2, 0
	v_mov_b32_e32 v3, s8
	s_waitcnt lgkmcnt(0)
	global_atomic_add v2, v2, v3, s[10:11] glc
.LBB3481_3:
	s_or_b64 exec, exec, s[6:7]
	s_waitcnt vmcnt(0)
	v_readfirstlane_b32 s6, v2
	v_add_u32_e32 v1, s6, v1
	v_mov_b32_e32 v2, 0
	ds_write_b32 v2, v1
.LBB3481_4:
	s_or_b64 exec, exec, s[2:3]
	v_mov_b32_e32 v15, 0
	s_load_dwordx4 s[24:27], s[4:5], 0x8
	s_load_dword s2, s[4:5], 0x70
	s_waitcnt lgkmcnt(0)
	s_barrier
	ds_read_b32 v1, v15
	s_waitcnt lgkmcnt(0)
	s_barrier
	global_load_dwordx2 v[16:17], v15, s[22:23]
	s_lshl_b64 s[4:5], s[26:27], 4
	s_add_u32 s6, s24, s4
	s_addc_u32 s7, s25, s5
	s_add_i32 s4, s2, -1
	s_mulk_i32 s2, 0x300
	s_add_i32 s3, s2, s26
	s_sub_i32 s33, s30, s3
	s_addk_i32 s33, 0x300
	s_add_u32 s2, s26, s2
	v_readfirstlane_b32 s42, v1
	s_addc_u32 s3, s27, 0
	s_movk_i32 s8, 0x300
	s_cmp_eq_u32 s42, s4
	s_cselect_b64 s[22:23], -1, 0
	s_cmp_lg_u32 s42, s4
	v_mul_lo_u32 v14, v1, s8
	v_pk_mov_b32 v[2:3], s[30:31], s[30:31] op_sel:[0,1]
	s_cselect_b64 s[4:5], -1, 0
	v_cmp_lt_u64_e32 vcc, s[2:3], v[2:3]
	v_lshlrev_b64 v[2:3], 4, v[14:15]
	s_or_b64 s[4:5], vcc, s[4:5]
	v_mov_b32_e32 v1, s7
	v_add_co_u32_e32 v15, vcc, s6, v2
	v_addc_co_u32_e32 v18, vcc, v1, v3, vcc
	s_mov_b64 s[2:3], -1
	s_and_b64 vcc, exec, s[4:5]
	v_lshlrev_b32_e32 v1, 4, v0
	s_cbranch_vccz .LBB3481_6
; %bb.5:
	v_add_co_u32_e32 v10, vcc, v15, v1
	v_addc_co_u32_e32 v11, vcc, 0, v18, vcc
	v_add_co_u32_e32 v12, vcc, 0x1000, v10
	v_addc_co_u32_e32 v13, vcc, 0, v11, vcc
	flat_load_dwordx4 v[2:5], v[10:11]
	flat_load_dwordx4 v[6:9], v[12:13]
	v_add_co_u32_e32 v10, vcc, 0x2000, v10
	v_addc_co_u32_e32 v11, vcc, 0, v11, vcc
	flat_load_dwordx4 v[10:13], v[10:11]
	s_mov_b64 s[2:3], 0
	s_waitcnt vmcnt(0) lgkmcnt(0)
	ds_write_b128 v1, v[2:5]
	ds_write_b128 v1, v[6:9] offset:4096
	ds_write_b128 v1, v[10:13] offset:8192
	s_waitcnt lgkmcnt(0)
	s_barrier
.LBB3481_6:
	s_andn2_b64 vcc, exec, s[2:3]
	v_cmp_gt_u32_e64 s[2:3], s33, v0
	s_cbranch_vccnz .LBB3481_14
; %bb.7:
	v_pk_mov_b32 v[4:5], 0, 0
	v_pk_mov_b32 v[8:9], v[4:5], v[4:5] op_sel:[0,1]
	v_pk_mov_b32 v[6:7], v[4:5], v[4:5] op_sel:[0,1]
	s_and_saveexec_b64 s[6:7], s[2:3]
	s_cbranch_execz .LBB3481_9
; %bb.8:
	v_add_co_u32_e32 v2, vcc, v15, v1
	v_addc_co_u32_e32 v3, vcc, 0, v18, vcc
	flat_load_dwordx4 v[6:9], v[2:3]
.LBB3481_9:
	s_or_b64 exec, exec, s[6:7]
	v_or_b32_e32 v10, 0x100, v0
	v_cmp_gt_u32_e32 vcc, s33, v10
	v_pk_mov_b32 v[2:3], v[4:5], v[4:5] op_sel:[0,1]
	s_and_saveexec_b64 s[2:3], vcc
	s_cbranch_execz .LBB3481_11
; %bb.10:
	v_lshlrev_b32_e32 v2, 4, v10
	v_add_co_u32_e32 v2, vcc, v15, v2
	v_addc_co_u32_e32 v3, vcc, 0, v18, vcc
	flat_load_dwordx4 v[2:5], v[2:3]
.LBB3481_11:
	s_or_b64 exec, exec, s[2:3]
	v_or_b32_e32 v19, 0x200, v0
	v_pk_mov_b32 v[12:13], 0, 0
	v_cmp_gt_u32_e32 vcc, s33, v19
	v_pk_mov_b32 v[10:11], v[12:13], v[12:13] op_sel:[0,1]
	s_and_saveexec_b64 s[2:3], vcc
	s_cbranch_execz .LBB3481_13
; %bb.12:
	v_lshlrev_b32_e32 v10, 4, v19
	v_add_co_u32_e32 v10, vcc, v15, v10
	v_addc_co_u32_e32 v11, vcc, 0, v18, vcc
	flat_load_dwordx4 v[10:13], v[10:11]
.LBB3481_13:
	s_or_b64 exec, exec, s[2:3]
	s_waitcnt vmcnt(0) lgkmcnt(0)
	ds_write_b128 v1, v[6:9]
	ds_write_b128 v1, v[2:5] offset:4096
	ds_write_b128 v1, v[10:13] offset:8192
	s_waitcnt lgkmcnt(0)
	s_barrier
.LBB3481_14:
	v_mul_u32_u24_e32 v15, 3, v0
	v_lshlrev_b32_e32 v29, 4, v15
	ds_read_b128 v[10:13], v29
	ds_read_b128 v[6:9], v29 offset:16
	ds_read_b128 v[2:5], v29 offset:32
	v_cndmask_b32_e64 v18, 0, 1, s[4:5]
	v_cmp_ne_u32_e64 s[2:3], 1, v18
	s_andn2_b64 vcc, exec, s[4:5]
	s_waitcnt lgkmcnt(2)
	v_cmp_le_i64_e64 s[6:7], v[10:11], v[12:13]
	s_waitcnt lgkmcnt(1)
	v_cmp_le_i64_e64 s[8:9], v[6:7], v[8:9]
	;; [unrolled: 2-line block ×3, first 2 shown]
	s_barrier
	s_cbranch_vccnz .LBB3481_16
; %bb.15:
	v_cndmask_b32_e64 v19, 0, 1, s[8:9]
	v_cndmask_b32_e64 v18, 0, 1, s[6:7]
	v_lshlrev_b16_e32 v19, 8, v19
	v_or_b32_e32 v18, v18, v19
	v_and_b32_e32 v28, 0xffff, v18
	s_and_b64 s[24:25], s[4:5], exec
	s_cbranch_execz .LBB3481_17
	s_branch .LBB3481_18
.LBB3481_16:
                                        ; implicit-def: $sgpr24_sgpr25
                                        ; implicit-def: $vgpr28
.LBB3481_17:
	v_cmp_gt_u32_e32 vcc, s33, v15
	v_cmp_le_i64_e64 s[4:5], v[10:11], v[12:13]
	v_add_u32_e32 v18, 1, v15
	s_and_b64 s[4:5], vcc, s[4:5]
	v_cndmask_b32_e64 v20, 0, 1, s[4:5]
	v_cmp_gt_u32_e32 vcc, s33, v18
	v_cmp_le_i64_e64 s[4:5], v[6:7], v[8:9]
	v_add_u32_e32 v19, 2, v15
	s_and_b64 s[4:5], vcc, s[4:5]
	v_cndmask_b32_e64 v18, 0, 1, s[4:5]
	v_cmp_gt_u32_e32 vcc, s33, v19
	v_cmp_le_i64_e64 s[4:5], v[2:3], v[4:5]
	v_lshlrev_b16_e32 v18, 8, v18
	s_and_b64 s[4:5], vcc, s[4:5]
	v_or_b32_e32 v18, v20, v18
	s_andn2_b64 s[6:7], s[24:25], exec
	s_and_b64 s[4:5], s[4:5], exec
	v_and_b32_e32 v28, 0xffff, v18
	s_or_b64 s[24:25], s[6:7], s[4:5]
.LBB3481_18:
	v_and_b32_e32 v30, 0xff, v28
	v_bfe_u32 v31, v28, 8, 8
	v_cndmask_b32_e64 v18, 0, 1, s[24:25]
	v_add3_u32 v34, v30, v18, v31
	v_mbcnt_lo_u32_b32 v18, -1, 0
	v_mbcnt_hi_u32_b32 v32, -1, v18
	v_and_b32_e32 v18, 15, v32
	v_cmp_eq_u32_e64 s[16:17], 0, v18
	v_cmp_lt_u32_e64 s[14:15], 1, v18
	v_cmp_lt_u32_e64 s[12:13], 3, v18
	;; [unrolled: 1-line block ×3, first 2 shown]
	v_and_b32_e32 v18, 16, v32
	v_cmp_eq_u32_e64 s[8:9], 0, v18
	v_or_b32_e32 v18, 63, v0
	s_cmp_lg_u32 s42, 0
	v_cmp_lt_u32_e64 s[4:5], 31, v32
	v_lshrrev_b32_e32 v33, 6, v0
	v_cmp_eq_u32_e64 s[6:7], v18, v0
	s_cbranch_scc0 .LBB3481_45
; %bb.19:
	v_mov_b32_dpp v18, v34 row_shr:1 row_mask:0xf bank_mask:0xf
	v_cndmask_b32_e64 v18, v18, 0, s[16:17]
	v_add_u32_e32 v18, v18, v34
	s_nop 1
	v_mov_b32_dpp v19, v18 row_shr:2 row_mask:0xf bank_mask:0xf
	v_cndmask_b32_e64 v19, 0, v19, s[14:15]
	v_add_u32_e32 v18, v18, v19
	s_nop 1
	;; [unrolled: 4-line block ×4, first 2 shown]
	v_mov_b32_dpp v19, v18 row_bcast:15 row_mask:0xf bank_mask:0xf
	v_cndmask_b32_e64 v19, v19, 0, s[8:9]
	v_add_u32_e32 v18, v18, v19
	s_nop 1
	v_mov_b32_dpp v19, v18 row_bcast:31 row_mask:0xf bank_mask:0xf
	v_cndmask_b32_e64 v19, 0, v19, s[4:5]
	v_add_u32_e32 v18, v18, v19
	s_and_saveexec_b64 s[18:19], s[6:7]
	s_cbranch_execz .LBB3481_21
; %bb.20:
	v_lshlrev_b32_e32 v19, 2, v33
	ds_write_b32 v19, v18
.LBB3481_21:
	s_or_b64 exec, exec, s[18:19]
	v_cmp_gt_u32_e32 vcc, 4, v0
	s_waitcnt lgkmcnt(0)
	s_barrier
	s_and_saveexec_b64 s[18:19], vcc
	s_cbranch_execz .LBB3481_23
; %bb.22:
	v_lshlrev_b32_e32 v19, 2, v0
	ds_read_b32 v20, v19
	v_and_b32_e32 v21, 3, v32
	v_cmp_ne_u32_e32 vcc, 0, v21
	s_waitcnt lgkmcnt(0)
	v_mov_b32_dpp v22, v20 row_shr:1 row_mask:0xf bank_mask:0xf
	v_cndmask_b32_e32 v22, 0, v22, vcc
	v_add_u32_e32 v20, v22, v20
	v_cmp_lt_u32_e32 vcc, 1, v21
	s_nop 0
	v_mov_b32_dpp v22, v20 row_shr:2 row_mask:0xf bank_mask:0xf
	v_cndmask_b32_e32 v21, 0, v22, vcc
	v_add_u32_e32 v20, v20, v21
	ds_write_b32 v19, v20
.LBB3481_23:
	s_or_b64 exec, exec, s[18:19]
	v_cmp_gt_u32_e32 vcc, 64, v0
	v_cmp_lt_u32_e64 s[18:19], 63, v0
	s_waitcnt lgkmcnt(0)
	s_barrier
	s_waitcnt lgkmcnt(0)
                                        ; implicit-def: $vgpr35
	s_and_saveexec_b64 s[36:37], s[18:19]
	s_cbranch_execz .LBB3481_25
; %bb.24:
	v_lshl_add_u32 v19, v33, 2, -4
	ds_read_b32 v35, v19
	s_waitcnt lgkmcnt(0)
	v_add_u32_e32 v18, v35, v18
.LBB3481_25:
	s_or_b64 exec, exec, s[36:37]
	v_add_u32_e32 v19, -1, v32
	v_and_b32_e32 v20, 64, v32
	v_cmp_lt_i32_e64 s[18:19], v19, v20
	v_cndmask_b32_e64 v19, v19, v32, s[18:19]
	v_lshlrev_b32_e32 v19, 2, v19
	ds_bpermute_b32 v36, v19, v18
	v_cmp_eq_u32_e64 s[18:19], 0, v32
	s_and_saveexec_b64 s[36:37], vcc
	s_cbranch_execz .LBB3481_44
; %bb.26:
	v_mov_b32_e32 v25, 0
	ds_read_b32 v18, v25 offset:12
	s_and_saveexec_b64 s[38:39], s[18:19]
	s_cbranch_execz .LBB3481_28
; %bb.27:
	s_add_i32 s40, s42, 64
	s_mov_b32 s41, 0
	s_lshl_b64 s[40:41], s[40:41], 3
	s_add_u32 s40, s34, s40
	v_mov_b32_e32 v19, 1
	s_addc_u32 s41, s35, s41
	s_waitcnt lgkmcnt(0)
	global_store_dwordx2 v25, v[18:19], s[40:41]
.LBB3481_28:
	s_or_b64 exec, exec, s[38:39]
	v_xad_u32 v20, v32, -1, s42
	v_add_u32_e32 v24, 64, v20
	v_lshlrev_b64 v[22:23], 3, v[24:25]
	v_mov_b32_e32 v19, s35
	v_add_co_u32_e32 v26, vcc, s34, v22
	v_addc_co_u32_e32 v27, vcc, v19, v23, vcc
	global_load_dwordx2 v[22:23], v[26:27], off glc
	s_waitcnt vmcnt(0)
	v_cmp_eq_u16_sdwa s[40:41], v23, v25 src0_sel:BYTE_0 src1_sel:DWORD
	s_and_saveexec_b64 s[38:39], s[40:41]
	s_cbranch_execz .LBB3481_32
; %bb.29:
	s_mov_b64 s[40:41], 0
	v_mov_b32_e32 v19, 0
.LBB3481_30:                            ; =>This Inner Loop Header: Depth=1
	global_load_dwordx2 v[22:23], v[26:27], off glc
	s_waitcnt vmcnt(0)
	v_cmp_ne_u16_sdwa s[44:45], v23, v19 src0_sel:BYTE_0 src1_sel:DWORD
	s_or_b64 s[40:41], s[44:45], s[40:41]
	s_andn2_b64 exec, exec, s[40:41]
	s_cbranch_execnz .LBB3481_30
; %bb.31:
	s_or_b64 exec, exec, s[40:41]
.LBB3481_32:
	s_or_b64 exec, exec, s[38:39]
	v_and_b32_e32 v38, 63, v32
	v_mov_b32_e32 v37, 2
	v_cmp_ne_u32_e32 vcc, 63, v38
	v_cmp_eq_u16_sdwa s[38:39], v23, v37 src0_sel:BYTE_0 src1_sel:DWORD
	v_lshlrev_b64 v[24:25], v32, -1
	v_addc_co_u32_e32 v26, vcc, 0, v32, vcc
	v_and_b32_e32 v19, s39, v25
	v_lshlrev_b32_e32 v39, 2, v26
	v_or_b32_e32 v19, 0x80000000, v19
	ds_bpermute_b32 v26, v39, v22
	v_and_b32_e32 v21, s38, v24
	v_ffbl_b32_e32 v19, v19
	v_add_u32_e32 v19, 32, v19
	v_ffbl_b32_e32 v21, v21
	v_min_u32_e32 v19, v21, v19
	v_cmp_lt_u32_e32 vcc, v38, v19
	s_waitcnt lgkmcnt(0)
	v_cndmask_b32_e32 v21, 0, v26, vcc
	v_cmp_gt_u32_e32 vcc, 62, v38
	v_add_u32_e32 v21, v21, v22
	v_cndmask_b32_e64 v22, 0, 1, vcc
	v_lshlrev_b32_e32 v22, 1, v22
	v_add_lshl_u32 v40, v22, v32, 2
	ds_bpermute_b32 v22, v40, v21
	v_add_u32_e32 v41, 2, v38
	v_cmp_le_u32_e32 vcc, v41, v19
	v_add_u32_e32 v43, 4, v38
	v_add_u32_e32 v45, 8, v38
	s_waitcnt lgkmcnt(0)
	v_cndmask_b32_e32 v22, 0, v22, vcc
	v_cmp_gt_u32_e32 vcc, 60, v38
	v_add_u32_e32 v21, v21, v22
	v_cndmask_b32_e64 v22, 0, 1, vcc
	v_lshlrev_b32_e32 v22, 2, v22
	v_add_lshl_u32 v42, v22, v32, 2
	ds_bpermute_b32 v22, v42, v21
	v_cmp_le_u32_e32 vcc, v43, v19
	v_add_u32_e32 v47, 16, v38
	v_add_u32_e32 v49, 32, v38
	s_waitcnt lgkmcnt(0)
	v_cndmask_b32_e32 v22, 0, v22, vcc
	v_cmp_gt_u32_e32 vcc, 56, v38
	v_add_u32_e32 v21, v21, v22
	v_cndmask_b32_e64 v22, 0, 1, vcc
	v_lshlrev_b32_e32 v22, 3, v22
	v_add_lshl_u32 v44, v22, v32, 2
	ds_bpermute_b32 v22, v44, v21
	v_cmp_le_u32_e32 vcc, v45, v19
	s_waitcnt lgkmcnt(0)
	v_cndmask_b32_e32 v22, 0, v22, vcc
	v_cmp_gt_u32_e32 vcc, 48, v38
	v_add_u32_e32 v21, v21, v22
	v_cndmask_b32_e64 v22, 0, 1, vcc
	v_lshlrev_b32_e32 v22, 4, v22
	v_add_lshl_u32 v46, v22, v32, 2
	ds_bpermute_b32 v22, v46, v21
	v_cmp_le_u32_e32 vcc, v47, v19
	;; [unrolled: 9-line block ×3, first 2 shown]
	s_waitcnt lgkmcnt(0)
	v_cndmask_b32_e32 v19, 0, v22, vcc
	v_add_u32_e32 v22, v21, v19
	v_mov_b32_e32 v21, 0
	s_branch .LBB3481_34
.LBB3481_33:                            ;   in Loop: Header=BB3481_34 Depth=1
	s_or_b64 exec, exec, s[38:39]
	v_cmp_eq_u16_sdwa s[38:39], v23, v37 src0_sel:BYTE_0 src1_sel:DWORD
	v_and_b32_e32 v26, s39, v25
	v_or_b32_e32 v26, 0x80000000, v26
	ds_bpermute_b32 v50, v39, v22
	v_and_b32_e32 v27, s38, v24
	v_ffbl_b32_e32 v26, v26
	v_add_u32_e32 v26, 32, v26
	v_ffbl_b32_e32 v27, v27
	v_min_u32_e32 v26, v27, v26
	v_cmp_lt_u32_e32 vcc, v38, v26
	s_waitcnt lgkmcnt(0)
	v_cndmask_b32_e32 v27, 0, v50, vcc
	v_add_u32_e32 v22, v27, v22
	ds_bpermute_b32 v27, v40, v22
	v_cmp_le_u32_e32 vcc, v41, v26
	v_subrev_u32_e32 v20, 64, v20
	s_waitcnt lgkmcnt(0)
	v_cndmask_b32_e32 v27, 0, v27, vcc
	v_add_u32_e32 v22, v22, v27
	ds_bpermute_b32 v27, v42, v22
	v_cmp_le_u32_e32 vcc, v43, v26
	s_waitcnt lgkmcnt(0)
	v_cndmask_b32_e32 v27, 0, v27, vcc
	v_add_u32_e32 v22, v22, v27
	ds_bpermute_b32 v27, v44, v22
	v_cmp_le_u32_e32 vcc, v45, v26
	;; [unrolled: 5-line block ×4, first 2 shown]
	s_waitcnt lgkmcnt(0)
	v_cndmask_b32_e32 v26, 0, v27, vcc
	v_add3_u32 v22, v26, v19, v22
.LBB3481_34:                            ; =>This Loop Header: Depth=1
                                        ;     Child Loop BB3481_37 Depth 2
	v_cmp_ne_u16_sdwa s[38:39], v23, v37 src0_sel:BYTE_0 src1_sel:DWORD
	v_cndmask_b32_e64 v19, 0, 1, s[38:39]
	;;#ASMSTART
	;;#ASMEND
	v_cmp_ne_u32_e32 vcc, 0, v19
	s_cmp_lg_u64 vcc, exec
	v_mov_b32_e32 v19, v22
	s_cbranch_scc1 .LBB3481_39
; %bb.35:                               ;   in Loop: Header=BB3481_34 Depth=1
	v_lshlrev_b64 v[22:23], 3, v[20:21]
	v_mov_b32_e32 v27, s35
	v_add_co_u32_e32 v26, vcc, s34, v22
	v_addc_co_u32_e32 v27, vcc, v27, v23, vcc
	global_load_dwordx2 v[22:23], v[26:27], off glc
	s_waitcnt vmcnt(0)
	v_cmp_eq_u16_sdwa s[40:41], v23, v21 src0_sel:BYTE_0 src1_sel:DWORD
	s_and_saveexec_b64 s[38:39], s[40:41]
	s_cbranch_execz .LBB3481_33
; %bb.36:                               ;   in Loop: Header=BB3481_34 Depth=1
	s_mov_b64 s[40:41], 0
.LBB3481_37:                            ;   Parent Loop BB3481_34 Depth=1
                                        ; =>  This Inner Loop Header: Depth=2
	global_load_dwordx2 v[22:23], v[26:27], off glc
	s_waitcnt vmcnt(0)
	v_cmp_ne_u16_sdwa s[44:45], v23, v21 src0_sel:BYTE_0 src1_sel:DWORD
	s_or_b64 s[40:41], s[44:45], s[40:41]
	s_andn2_b64 exec, exec, s[40:41]
	s_cbranch_execnz .LBB3481_37
; %bb.38:                               ;   in Loop: Header=BB3481_34 Depth=1
	s_or_b64 exec, exec, s[40:41]
	s_branch .LBB3481_33
.LBB3481_39:                            ;   in Loop: Header=BB3481_34 Depth=1
                                        ; implicit-def: $vgpr22
                                        ; implicit-def: $vgpr23
	s_cbranch_execz .LBB3481_34
; %bb.40:
	s_and_saveexec_b64 s[38:39], s[18:19]
	s_cbranch_execz .LBB3481_42
; %bb.41:
	s_add_i32 s40, s42, 64
	s_mov_b32 s41, 0
	s_lshl_b64 s[40:41], s[40:41], 3
	s_add_u32 s40, s34, s40
	v_add_u32_e32 v20, v19, v18
	v_mov_b32_e32 v21, 2
	s_addc_u32 s41, s35, s41
	v_mov_b32_e32 v22, 0
	global_store_dwordx2 v22, v[20:21], s[40:41]
	ds_write_b64 v22, v[18:19] offset:12288
.LBB3481_42:
	s_or_b64 exec, exec, s[38:39]
	s_and_b64 exec, exec, s[0:1]
	s_cbranch_execz .LBB3481_44
; %bb.43:
	v_mov_b32_e32 v18, 0
	ds_write_b32 v18, v19 offset:12
.LBB3481_44:
	s_or_b64 exec, exec, s[36:37]
	v_mov_b32_e32 v19, 0
	s_waitcnt lgkmcnt(0)
	s_barrier
	ds_read_b32 v20, v19 offset:12
	v_cndmask_b32_e64 v18, v36, v35, s[18:19]
	v_cndmask_b32_e64 v21, v18, 0, s[0:1]
	s_waitcnt lgkmcnt(0)
	s_barrier
	ds_read_b64 v[18:19], v19 offset:12288
	v_add_u32_e32 v22, v20, v21
	v_add_u32_e32 v21, v22, v30
	;; [unrolled: 1-line block ×3, first 2 shown]
	s_branch .LBB3481_55
.LBB3481_45:
                                        ; implicit-def: $vgpr19
                                        ; implicit-def: $vgpr20
                                        ; implicit-def: $vgpr21
                                        ; implicit-def: $vgpr22
	s_cbranch_execz .LBB3481_55
; %bb.46:
	s_waitcnt lgkmcnt(0)
	v_mov_b32_dpp v18, v34 row_shr:1 row_mask:0xf bank_mask:0xf
	v_cndmask_b32_e64 v18, v18, 0, s[16:17]
	v_add_u32_e32 v18, v18, v34
	s_nop 1
	v_mov_b32_dpp v19, v18 row_shr:2 row_mask:0xf bank_mask:0xf
	v_cndmask_b32_e64 v19, 0, v19, s[14:15]
	v_add_u32_e32 v18, v18, v19
	s_nop 1
	;; [unrolled: 4-line block ×4, first 2 shown]
	v_mov_b32_dpp v19, v18 row_bcast:15 row_mask:0xf bank_mask:0xf
	v_cndmask_b32_e64 v19, v19, 0, s[8:9]
	v_add_u32_e32 v18, v18, v19
	s_nop 1
	v_mov_b32_dpp v19, v18 row_bcast:31 row_mask:0xf bank_mask:0xf
	v_cndmask_b32_e64 v19, 0, v19, s[4:5]
	v_add_u32_e32 v18, v18, v19
	s_and_saveexec_b64 s[4:5], s[6:7]
	s_cbranch_execz .LBB3481_48
; %bb.47:
	v_lshlrev_b32_e32 v19, 2, v33
	ds_write_b32 v19, v18
.LBB3481_48:
	s_or_b64 exec, exec, s[4:5]
	v_cmp_gt_u32_e32 vcc, 4, v0
	s_waitcnt lgkmcnt(0)
	s_barrier
	s_and_saveexec_b64 s[4:5], vcc
	s_cbranch_execz .LBB3481_50
; %bb.49:
	s_movk_i32 s6, 0xffd4
	v_mad_i32_i24 v19, v0, s6, v29
	ds_read_b32 v20, v19
	v_and_b32_e32 v21, 3, v32
	v_cmp_ne_u32_e32 vcc, 0, v21
	s_waitcnt lgkmcnt(0)
	v_mov_b32_dpp v22, v20 row_shr:1 row_mask:0xf bank_mask:0xf
	v_cndmask_b32_e32 v22, 0, v22, vcc
	v_add_u32_e32 v20, v22, v20
	v_cmp_lt_u32_e32 vcc, 1, v21
	s_nop 0
	v_mov_b32_dpp v22, v20 row_shr:2 row_mask:0xf bank_mask:0xf
	v_cndmask_b32_e32 v21, 0, v22, vcc
	v_add_u32_e32 v20, v20, v21
	ds_write_b32 v19, v20
.LBB3481_50:
	s_or_b64 exec, exec, s[4:5]
	v_cmp_lt_u32_e32 vcc, 63, v0
	v_mov_b32_e32 v19, 0
	v_mov_b32_e32 v20, 0
	s_waitcnt lgkmcnt(0)
	s_barrier
	s_and_saveexec_b64 s[4:5], vcc
	s_cbranch_execz .LBB3481_52
; %bb.51:
	v_lshl_add_u32 v20, v33, 2, -4
	ds_read_b32 v20, v20
.LBB3481_52:
	s_or_b64 exec, exec, s[4:5]
	v_add_u32_e32 v21, -1, v32
	v_and_b32_e32 v22, 64, v32
	v_cmp_lt_i32_e32 vcc, v21, v22
	v_cndmask_b32_e32 v21, v21, v32, vcc
	s_waitcnt lgkmcnt(0)
	v_add_u32_e32 v18, v20, v18
	v_lshlrev_b32_e32 v21, 2, v21
	ds_bpermute_b32 v21, v21, v18
	ds_read_b32 v18, v19 offset:12
	s_and_saveexec_b64 s[4:5], s[0:1]
	s_cbranch_execz .LBB3481_54
; %bb.53:
	v_mov_b32_e32 v22, 0
	v_mov_b32_e32 v19, 2
	s_waitcnt lgkmcnt(0)
	global_store_dwordx2 v22, v[18:19], s[34:35] offset:512
.LBB3481_54:
	s_or_b64 exec, exec, s[4:5]
	v_cmp_eq_u32_e32 vcc, 0, v32
	s_waitcnt lgkmcnt(1)
	v_cndmask_b32_e32 v20, v21, v20, vcc
	v_cndmask_b32_e64 v22, v20, 0, s[0:1]
	v_add_u32_e32 v21, v22, v30
	v_mov_b32_e32 v19, 0
	v_add_u32_e32 v20, v21, v31
	s_waitcnt lgkmcnt(0)
	s_barrier
.LBB3481_55:
	s_waitcnt lgkmcnt(0)
	v_add_u32_e32 v15, v18, v15
	v_sub_u32_e32 v22, v22, v19
	v_and_b32_e32 v25, 1, v28
	v_sub_u32_e32 v24, v15, v22
	v_cmp_eq_u32_e32 vcc, 1, v25
	v_cndmask_b32_e32 v22, v24, v22, vcc
	v_lshlrev_b32_e32 v22, 4, v22
	v_lshrrev_b32_e32 v23, 8, v28
	ds_write_b128 v22, v[10:13]
	v_sub_u32_e32 v10, v21, v19
	v_sub_u32_e32 v11, v15, v10
	v_and_b32_e32 v12, 1, v23
	v_add_u32_e32 v11, 1, v11
	v_cmp_eq_u32_e32 vcc, 1, v12
	v_cndmask_b32_e32 v10, v11, v10, vcc
	v_lshlrev_b32_e32 v10, 4, v10
	ds_write_b128 v10, v[6:9]
	v_sub_u32_e32 v6, v20, v19
	v_sub_u32_e32 v7, v15, v6
	v_add_u32_e32 v7, 2, v7
	v_cndmask_b32_e64 v6, v7, v6, s[24:25]
	v_lshlrev_b32_e32 v6, 4, v6
	ds_write_b128 v6, v[2:5]
	s_waitcnt lgkmcnt(0)
	s_barrier
	ds_read_b128 v[10:13], v1
	ds_read_b128 v[6:9], v1 offset:4096
	ds_read_b128 v[2:5], v1 offset:8192
	s_waitcnt vmcnt(0)
	v_add_co_u32_e32 v1, vcc, v16, v19
	v_addc_co_u32_e32 v16, vcc, 0, v17, vcc
	v_mov_b32_e32 v15, s27
	v_add_co_u32_e32 v14, vcc, s26, v14
	v_addc_co_u32_e32 v15, vcc, 0, v15, vcc
	v_mov_b32_e32 v17, s31
	v_sub_co_u32_e32 v14, vcc, s30, v14
	v_subb_co_u32_e32 v15, vcc, v17, v15, vcc
	v_add_co_u32_e32 v14, vcc, v14, v18
	v_addc_co_u32_e32 v15, vcc, 0, v15, vcc
	s_and_b64 vcc, exec, s[2:3]
	v_add_co_u32_e64 v17, s[2:3], v14, v1
	v_or_b32_e32 v21, 0x100, v0
	v_or_b32_e32 v20, 0x200, v0
	v_addc_co_u32_e64 v19, s[2:3], v15, v16, s[2:3]
	s_cbranch_vccnz .LBB3481_72
; %bb.56:
	v_cmp_ge_u32_e32 vcc, v0, v18
                                        ; implicit-def: $vgpr14_vgpr15
	s_and_saveexec_b64 s[2:3], vcc
	s_xor_b64 s[2:3], exec, s[2:3]
; %bb.57:
	v_not_b32_e32 v14, v0
	v_ashrrev_i32_e32 v15, 31, v14
	v_add_co_u32_e32 v14, vcc, v17, v14
	v_addc_co_u32_e32 v15, vcc, v19, v15, vcc
; %bb.58:
	s_andn2_saveexec_b64 s[2:3], s[2:3]
; %bb.59:
	v_add_co_u32_e32 v14, vcc, v1, v0
	v_addc_co_u32_e32 v15, vcc, 0, v16, vcc
; %bb.60:
	s_or_b64 exec, exec, s[2:3]
	v_lshlrev_b64 v[14:15], 4, v[14:15]
	v_mov_b32_e32 v22, s29
	v_add_co_u32_e32 v14, vcc, s28, v14
	v_addc_co_u32_e32 v15, vcc, v22, v15, vcc
	v_cmp_ge_u32_e32 vcc, v21, v18
	s_waitcnt lgkmcnt(2)
	global_store_dwordx4 v[14:15], v[10:13], off
                                        ; implicit-def: $vgpr14_vgpr15
	s_and_saveexec_b64 s[2:3], vcc
	s_xor_b64 s[2:3], exec, s[2:3]
; %bb.61:
	v_xor_b32_e32 v14, 0xfffffeff, v0
	v_ashrrev_i32_e32 v15, 31, v14
	v_add_co_u32_e32 v14, vcc, v17, v14
	v_addc_co_u32_e32 v15, vcc, v19, v15, vcc
; %bb.62:
	s_andn2_saveexec_b64 s[2:3], s[2:3]
; %bb.63:
	v_add_co_u32_e32 v14, vcc, v1, v21
	v_addc_co_u32_e32 v15, vcc, 0, v16, vcc
; %bb.64:
	s_or_b64 exec, exec, s[2:3]
	v_lshlrev_b64 v[14:15], 4, v[14:15]
	v_mov_b32_e32 v22, s29
	v_add_co_u32_e32 v14, vcc, s28, v14
	v_addc_co_u32_e32 v15, vcc, v22, v15, vcc
	v_cmp_ge_u32_e32 vcc, v20, v18
	s_waitcnt lgkmcnt(1)
	global_store_dwordx4 v[14:15], v[6:9], off
                                        ; implicit-def: $vgpr14_vgpr15
	s_and_saveexec_b64 s[2:3], vcc
	s_xor_b64 s[2:3], exec, s[2:3]
; %bb.65:
	v_xor_b32_e32 v14, 0xfffffdff, v0
	v_ashrrev_i32_e32 v15, 31, v14
	v_add_co_u32_e32 v14, vcc, v17, v14
	v_addc_co_u32_e32 v15, vcc, v19, v15, vcc
; %bb.66:
	s_andn2_saveexec_b64 s[2:3], s[2:3]
; %bb.67:
	v_add_co_u32_e32 v14, vcc, v1, v20
	v_addc_co_u32_e32 v15, vcc, 0, v16, vcc
; %bb.68:
	s_or_b64 exec, exec, s[2:3]
	s_mov_b64 s[2:3], -1
.LBB3481_69:
	s_and_saveexec_b64 s[4:5], s[2:3]
	s_cbranch_execz .LBB3481_92
.LBB3481_70:
	s_waitcnt lgkmcnt(1)
	v_lshlrev_b64 v[6:7], 4, v[14:15]
	v_mov_b32_e32 v0, s29
	v_add_co_u32_e32 v6, vcc, s28, v6
	v_addc_co_u32_e32 v7, vcc, v0, v7, vcc
	s_waitcnt lgkmcnt(0)
	global_store_dwordx4 v[6:7], v[2:5], off
	s_or_b64 exec, exec, s[4:5]
	s_and_b64 s[0:1], s[0:1], s[22:23]
	s_and_saveexec_b64 s[2:3], s[0:1]
	s_cbranch_execnz .LBB3481_93
.LBB3481_71:
	s_endpgm
.LBB3481_72:
	s_mov_b64 s[2:3], 0
                                        ; implicit-def: $vgpr14_vgpr15
	s_cbranch_execz .LBB3481_69
; %bb.73:
	v_cmp_gt_u32_e32 vcc, s33, v0
	s_and_saveexec_b64 s[4:5], vcc
	s_cbranch_execz .LBB3481_79
; %bb.74:
	v_cmp_ge_u32_e32 vcc, v0, v18
                                        ; implicit-def: $vgpr14_vgpr15
	s_and_saveexec_b64 s[6:7], vcc
	s_xor_b64 s[6:7], exec, s[6:7]
; %bb.75:
	v_not_b32_e32 v14, v0
	v_ashrrev_i32_e32 v15, 31, v14
	v_add_co_u32_e32 v14, vcc, v17, v14
	v_addc_co_u32_e32 v15, vcc, v19, v15, vcc
; %bb.76:
	s_andn2_saveexec_b64 s[6:7], s[6:7]
; %bb.77:
	v_add_co_u32_e32 v14, vcc, v1, v0
	v_addc_co_u32_e32 v15, vcc, 0, v16, vcc
; %bb.78:
	s_or_b64 exec, exec, s[6:7]
	v_lshlrev_b64 v[14:15], 4, v[14:15]
	v_mov_b32_e32 v22, s29
	v_add_co_u32_e32 v14, vcc, s28, v14
	v_addc_co_u32_e32 v15, vcc, v22, v15, vcc
	s_waitcnt lgkmcnt(2)
	global_store_dwordx4 v[14:15], v[10:13], off
	s_or_b64 exec, exec, s[4:5]
	v_cmp_gt_u32_e32 vcc, s33, v21
	s_and_saveexec_b64 s[4:5], vcc
	s_cbranch_execz .LBB3481_85
	s_branch .LBB3481_80
.LBB3481_79:
	s_or_b64 exec, exec, s[4:5]
	v_cmp_gt_u32_e32 vcc, s33, v21
	s_and_saveexec_b64 s[4:5], vcc
	s_cbranch_execz .LBB3481_85
.LBB3481_80:
	v_cmp_ge_u32_e32 vcc, v21, v18
                                        ; implicit-def: $vgpr10_vgpr11
	s_and_saveexec_b64 s[6:7], vcc
	s_xor_b64 s[6:7], exec, s[6:7]
	s_cbranch_execz .LBB3481_82
; %bb.81:
	s_waitcnt lgkmcnt(2)
	v_xor_b32_e32 v10, 0xfffffeff, v0
	v_ashrrev_i32_e32 v11, 31, v10
	v_add_co_u32_e32 v10, vcc, v17, v10
	v_addc_co_u32_e32 v11, vcc, v19, v11, vcc
                                        ; implicit-def: $vgpr21
.LBB3481_82:
	s_andn2_saveexec_b64 s[6:7], s[6:7]
	s_cbranch_execz .LBB3481_84
; %bb.83:
	s_waitcnt lgkmcnt(2)
	v_add_co_u32_e32 v10, vcc, v1, v21
	v_addc_co_u32_e32 v11, vcc, 0, v16, vcc
.LBB3481_84:
	s_or_b64 exec, exec, s[6:7]
	s_waitcnt lgkmcnt(2)
	v_lshlrev_b64 v[10:11], 4, v[10:11]
	v_mov_b32_e32 v12, s29
	v_add_co_u32_e32 v10, vcc, s28, v10
	v_addc_co_u32_e32 v11, vcc, v12, v11, vcc
	s_waitcnt lgkmcnt(1)
	global_store_dwordx4 v[10:11], v[6:9], off
.LBB3481_85:
	s_or_b64 exec, exec, s[4:5]
	v_cmp_gt_u32_e32 vcc, s33, v20
                                        ; implicit-def: $vgpr14_vgpr15
	s_and_saveexec_b64 s[4:5], vcc
	s_cbranch_execz .LBB3481_91
; %bb.86:
	v_cmp_ge_u32_e32 vcc, v20, v18
                                        ; implicit-def: $vgpr14_vgpr15
	s_and_saveexec_b64 s[6:7], vcc
	s_xor_b64 s[6:7], exec, s[6:7]
	s_cbranch_execz .LBB3481_88
; %bb.87:
	v_xor_b32_e32 v0, 0xfffffdff, v0
	s_waitcnt lgkmcnt(1)
	v_ashrrev_i32_e32 v6, 31, v0
	v_add_co_u32_e32 v14, vcc, v17, v0
	v_addc_co_u32_e32 v15, vcc, v19, v6, vcc
                                        ; implicit-def: $vgpr20
.LBB3481_88:
	s_andn2_saveexec_b64 s[6:7], s[6:7]
; %bb.89:
	v_add_co_u32_e32 v14, vcc, v1, v20
	v_addc_co_u32_e32 v15, vcc, 0, v16, vcc
; %bb.90:
	s_or_b64 exec, exec, s[6:7]
	s_or_b64 s[2:3], s[2:3], exec
.LBB3481_91:
	s_or_b64 exec, exec, s[4:5]
	s_and_saveexec_b64 s[4:5], s[2:3]
	s_cbranch_execnz .LBB3481_70
.LBB3481_92:
	s_or_b64 exec, exec, s[4:5]
	s_and_b64 s[0:1], s[0:1], s[22:23]
	s_and_saveexec_b64 s[2:3], s[0:1]
	s_cbranch_execz .LBB3481_71
.LBB3481_93:
	v_add_co_u32_e32 v0, vcc, v1, v18
	s_waitcnt lgkmcnt(0)
	v_mov_b32_e32 v2, 0
	v_addc_co_u32_e32 v1, vcc, 0, v16, vcc
	global_store_dwordx2 v2, v[0:1], s[20:21]
	s_endpgm
	.section	.rodata,"a",@progbits
	.p2align	6, 0x0
	.amdhsa_kernel _ZN7rocprim17ROCPRIM_400000_NS6detail17trampoline_kernelINS0_14default_configENS1_25partition_config_selectorILNS1_17partition_subalgoE3EN6thrust23THRUST_200600_302600_NS5tupleIxxNS7_9null_typeES9_S9_S9_S9_S9_S9_S9_EENS0_10empty_typeEbEEZZNS1_14partition_implILS5_3ELb0ES3_jNS7_6detail15normal_iteratorINS7_7pointerISA_NS7_11hip_rocprim3tagENS7_11use_defaultESJ_EEEEPSB_SM_NS0_5tupleIJPSA_SM_EEENSN_IJSM_SM_EEESB_PlJ10is_orderedEEE10hipError_tPvRmT3_T4_T5_T6_T7_T9_mT8_P12ihipStream_tbDpT10_ENKUlT_T0_E_clISt17integral_constantIbLb0EES1B_IbLb1EEEEDaS17_S18_EUlS17_E_NS1_11comp_targetILNS1_3genE4ELNS1_11target_archE910ELNS1_3gpuE8ELNS1_3repE0EEENS1_30default_config_static_selectorELNS0_4arch9wavefront6targetE1EEEvT1_
		.amdhsa_group_segment_fixed_size 12296
		.amdhsa_private_segment_fixed_size 0
		.amdhsa_kernarg_size 136
		.amdhsa_user_sgpr_count 6
		.amdhsa_user_sgpr_private_segment_buffer 1
		.amdhsa_user_sgpr_dispatch_ptr 0
		.amdhsa_user_sgpr_queue_ptr 0
		.amdhsa_user_sgpr_kernarg_segment_ptr 1
		.amdhsa_user_sgpr_dispatch_id 0
		.amdhsa_user_sgpr_flat_scratch_init 0
		.amdhsa_user_sgpr_kernarg_preload_length 0
		.amdhsa_user_sgpr_kernarg_preload_offset 0
		.amdhsa_user_sgpr_private_segment_size 0
		.amdhsa_uses_dynamic_stack 0
		.amdhsa_system_sgpr_private_segment_wavefront_offset 0
		.amdhsa_system_sgpr_workgroup_id_x 1
		.amdhsa_system_sgpr_workgroup_id_y 0
		.amdhsa_system_sgpr_workgroup_id_z 0
		.amdhsa_system_sgpr_workgroup_info 0
		.amdhsa_system_vgpr_workitem_id 0
		.amdhsa_next_free_vgpr 51
		.amdhsa_next_free_sgpr 46
		.amdhsa_accum_offset 52
		.amdhsa_reserve_vcc 1
		.amdhsa_reserve_flat_scratch 0
		.amdhsa_float_round_mode_32 0
		.amdhsa_float_round_mode_16_64 0
		.amdhsa_float_denorm_mode_32 3
		.amdhsa_float_denorm_mode_16_64 3
		.amdhsa_dx10_clamp 1
		.amdhsa_ieee_mode 1
		.amdhsa_fp16_overflow 0
		.amdhsa_tg_split 0
		.amdhsa_exception_fp_ieee_invalid_op 0
		.amdhsa_exception_fp_denorm_src 0
		.amdhsa_exception_fp_ieee_div_zero 0
		.amdhsa_exception_fp_ieee_overflow 0
		.amdhsa_exception_fp_ieee_underflow 0
		.amdhsa_exception_fp_ieee_inexact 0
		.amdhsa_exception_int_div_zero 0
	.end_amdhsa_kernel
	.section	.text._ZN7rocprim17ROCPRIM_400000_NS6detail17trampoline_kernelINS0_14default_configENS1_25partition_config_selectorILNS1_17partition_subalgoE3EN6thrust23THRUST_200600_302600_NS5tupleIxxNS7_9null_typeES9_S9_S9_S9_S9_S9_S9_EENS0_10empty_typeEbEEZZNS1_14partition_implILS5_3ELb0ES3_jNS7_6detail15normal_iteratorINS7_7pointerISA_NS7_11hip_rocprim3tagENS7_11use_defaultESJ_EEEEPSB_SM_NS0_5tupleIJPSA_SM_EEENSN_IJSM_SM_EEESB_PlJ10is_orderedEEE10hipError_tPvRmT3_T4_T5_T6_T7_T9_mT8_P12ihipStream_tbDpT10_ENKUlT_T0_E_clISt17integral_constantIbLb0EES1B_IbLb1EEEEDaS17_S18_EUlS17_E_NS1_11comp_targetILNS1_3genE4ELNS1_11target_archE910ELNS1_3gpuE8ELNS1_3repE0EEENS1_30default_config_static_selectorELNS0_4arch9wavefront6targetE1EEEvT1_,"axG",@progbits,_ZN7rocprim17ROCPRIM_400000_NS6detail17trampoline_kernelINS0_14default_configENS1_25partition_config_selectorILNS1_17partition_subalgoE3EN6thrust23THRUST_200600_302600_NS5tupleIxxNS7_9null_typeES9_S9_S9_S9_S9_S9_S9_EENS0_10empty_typeEbEEZZNS1_14partition_implILS5_3ELb0ES3_jNS7_6detail15normal_iteratorINS7_7pointerISA_NS7_11hip_rocprim3tagENS7_11use_defaultESJ_EEEEPSB_SM_NS0_5tupleIJPSA_SM_EEENSN_IJSM_SM_EEESB_PlJ10is_orderedEEE10hipError_tPvRmT3_T4_T5_T6_T7_T9_mT8_P12ihipStream_tbDpT10_ENKUlT_T0_E_clISt17integral_constantIbLb0EES1B_IbLb1EEEEDaS17_S18_EUlS17_E_NS1_11comp_targetILNS1_3genE4ELNS1_11target_archE910ELNS1_3gpuE8ELNS1_3repE0EEENS1_30default_config_static_selectorELNS0_4arch9wavefront6targetE1EEEvT1_,comdat
.Lfunc_end3481:
	.size	_ZN7rocprim17ROCPRIM_400000_NS6detail17trampoline_kernelINS0_14default_configENS1_25partition_config_selectorILNS1_17partition_subalgoE3EN6thrust23THRUST_200600_302600_NS5tupleIxxNS7_9null_typeES9_S9_S9_S9_S9_S9_S9_EENS0_10empty_typeEbEEZZNS1_14partition_implILS5_3ELb0ES3_jNS7_6detail15normal_iteratorINS7_7pointerISA_NS7_11hip_rocprim3tagENS7_11use_defaultESJ_EEEEPSB_SM_NS0_5tupleIJPSA_SM_EEENSN_IJSM_SM_EEESB_PlJ10is_orderedEEE10hipError_tPvRmT3_T4_T5_T6_T7_T9_mT8_P12ihipStream_tbDpT10_ENKUlT_T0_E_clISt17integral_constantIbLb0EES1B_IbLb1EEEEDaS17_S18_EUlS17_E_NS1_11comp_targetILNS1_3genE4ELNS1_11target_archE910ELNS1_3gpuE8ELNS1_3repE0EEENS1_30default_config_static_selectorELNS0_4arch9wavefront6targetE1EEEvT1_, .Lfunc_end3481-_ZN7rocprim17ROCPRIM_400000_NS6detail17trampoline_kernelINS0_14default_configENS1_25partition_config_selectorILNS1_17partition_subalgoE3EN6thrust23THRUST_200600_302600_NS5tupleIxxNS7_9null_typeES9_S9_S9_S9_S9_S9_S9_EENS0_10empty_typeEbEEZZNS1_14partition_implILS5_3ELb0ES3_jNS7_6detail15normal_iteratorINS7_7pointerISA_NS7_11hip_rocprim3tagENS7_11use_defaultESJ_EEEEPSB_SM_NS0_5tupleIJPSA_SM_EEENSN_IJSM_SM_EEESB_PlJ10is_orderedEEE10hipError_tPvRmT3_T4_T5_T6_T7_T9_mT8_P12ihipStream_tbDpT10_ENKUlT_T0_E_clISt17integral_constantIbLb0EES1B_IbLb1EEEEDaS17_S18_EUlS17_E_NS1_11comp_targetILNS1_3genE4ELNS1_11target_archE910ELNS1_3gpuE8ELNS1_3repE0EEENS1_30default_config_static_selectorELNS0_4arch9wavefront6targetE1EEEvT1_
                                        ; -- End function
	.section	.AMDGPU.csdata,"",@progbits
; Kernel info:
; codeLenInByte = 3680
; NumSgprs: 50
; NumVgprs: 51
; NumAgprs: 0
; TotalNumVgprs: 51
; ScratchSize: 0
; MemoryBound: 1
; FloatMode: 240
; IeeeMode: 1
; LDSByteSize: 12296 bytes/workgroup (compile time only)
; SGPRBlocks: 6
; VGPRBlocks: 6
; NumSGPRsForWavesPerEU: 50
; NumVGPRsForWavesPerEU: 51
; AccumOffset: 52
; Occupancy: 5
; WaveLimiterHint : 1
; COMPUTE_PGM_RSRC2:SCRATCH_EN: 0
; COMPUTE_PGM_RSRC2:USER_SGPR: 6
; COMPUTE_PGM_RSRC2:TRAP_HANDLER: 0
; COMPUTE_PGM_RSRC2:TGID_X_EN: 1
; COMPUTE_PGM_RSRC2:TGID_Y_EN: 0
; COMPUTE_PGM_RSRC2:TGID_Z_EN: 0
; COMPUTE_PGM_RSRC2:TIDIG_COMP_CNT: 0
; COMPUTE_PGM_RSRC3_GFX90A:ACCUM_OFFSET: 12
; COMPUTE_PGM_RSRC3_GFX90A:TG_SPLIT: 0
	.section	.text._ZN7rocprim17ROCPRIM_400000_NS6detail17trampoline_kernelINS0_14default_configENS1_25partition_config_selectorILNS1_17partition_subalgoE3EN6thrust23THRUST_200600_302600_NS5tupleIxxNS7_9null_typeES9_S9_S9_S9_S9_S9_S9_EENS0_10empty_typeEbEEZZNS1_14partition_implILS5_3ELb0ES3_jNS7_6detail15normal_iteratorINS7_7pointerISA_NS7_11hip_rocprim3tagENS7_11use_defaultESJ_EEEEPSB_SM_NS0_5tupleIJPSA_SM_EEENSN_IJSM_SM_EEESB_PlJ10is_orderedEEE10hipError_tPvRmT3_T4_T5_T6_T7_T9_mT8_P12ihipStream_tbDpT10_ENKUlT_T0_E_clISt17integral_constantIbLb0EES1B_IbLb1EEEEDaS17_S18_EUlS17_E_NS1_11comp_targetILNS1_3genE3ELNS1_11target_archE908ELNS1_3gpuE7ELNS1_3repE0EEENS1_30default_config_static_selectorELNS0_4arch9wavefront6targetE1EEEvT1_,"axG",@progbits,_ZN7rocprim17ROCPRIM_400000_NS6detail17trampoline_kernelINS0_14default_configENS1_25partition_config_selectorILNS1_17partition_subalgoE3EN6thrust23THRUST_200600_302600_NS5tupleIxxNS7_9null_typeES9_S9_S9_S9_S9_S9_S9_EENS0_10empty_typeEbEEZZNS1_14partition_implILS5_3ELb0ES3_jNS7_6detail15normal_iteratorINS7_7pointerISA_NS7_11hip_rocprim3tagENS7_11use_defaultESJ_EEEEPSB_SM_NS0_5tupleIJPSA_SM_EEENSN_IJSM_SM_EEESB_PlJ10is_orderedEEE10hipError_tPvRmT3_T4_T5_T6_T7_T9_mT8_P12ihipStream_tbDpT10_ENKUlT_T0_E_clISt17integral_constantIbLb0EES1B_IbLb1EEEEDaS17_S18_EUlS17_E_NS1_11comp_targetILNS1_3genE3ELNS1_11target_archE908ELNS1_3gpuE7ELNS1_3repE0EEENS1_30default_config_static_selectorELNS0_4arch9wavefront6targetE1EEEvT1_,comdat
	.protected	_ZN7rocprim17ROCPRIM_400000_NS6detail17trampoline_kernelINS0_14default_configENS1_25partition_config_selectorILNS1_17partition_subalgoE3EN6thrust23THRUST_200600_302600_NS5tupleIxxNS7_9null_typeES9_S9_S9_S9_S9_S9_S9_EENS0_10empty_typeEbEEZZNS1_14partition_implILS5_3ELb0ES3_jNS7_6detail15normal_iteratorINS7_7pointerISA_NS7_11hip_rocprim3tagENS7_11use_defaultESJ_EEEEPSB_SM_NS0_5tupleIJPSA_SM_EEENSN_IJSM_SM_EEESB_PlJ10is_orderedEEE10hipError_tPvRmT3_T4_T5_T6_T7_T9_mT8_P12ihipStream_tbDpT10_ENKUlT_T0_E_clISt17integral_constantIbLb0EES1B_IbLb1EEEEDaS17_S18_EUlS17_E_NS1_11comp_targetILNS1_3genE3ELNS1_11target_archE908ELNS1_3gpuE7ELNS1_3repE0EEENS1_30default_config_static_selectorELNS0_4arch9wavefront6targetE1EEEvT1_ ; -- Begin function _ZN7rocprim17ROCPRIM_400000_NS6detail17trampoline_kernelINS0_14default_configENS1_25partition_config_selectorILNS1_17partition_subalgoE3EN6thrust23THRUST_200600_302600_NS5tupleIxxNS7_9null_typeES9_S9_S9_S9_S9_S9_S9_EENS0_10empty_typeEbEEZZNS1_14partition_implILS5_3ELb0ES3_jNS7_6detail15normal_iteratorINS7_7pointerISA_NS7_11hip_rocprim3tagENS7_11use_defaultESJ_EEEEPSB_SM_NS0_5tupleIJPSA_SM_EEENSN_IJSM_SM_EEESB_PlJ10is_orderedEEE10hipError_tPvRmT3_T4_T5_T6_T7_T9_mT8_P12ihipStream_tbDpT10_ENKUlT_T0_E_clISt17integral_constantIbLb0EES1B_IbLb1EEEEDaS17_S18_EUlS17_E_NS1_11comp_targetILNS1_3genE3ELNS1_11target_archE908ELNS1_3gpuE7ELNS1_3repE0EEENS1_30default_config_static_selectorELNS0_4arch9wavefront6targetE1EEEvT1_
	.globl	_ZN7rocprim17ROCPRIM_400000_NS6detail17trampoline_kernelINS0_14default_configENS1_25partition_config_selectorILNS1_17partition_subalgoE3EN6thrust23THRUST_200600_302600_NS5tupleIxxNS7_9null_typeES9_S9_S9_S9_S9_S9_S9_EENS0_10empty_typeEbEEZZNS1_14partition_implILS5_3ELb0ES3_jNS7_6detail15normal_iteratorINS7_7pointerISA_NS7_11hip_rocprim3tagENS7_11use_defaultESJ_EEEEPSB_SM_NS0_5tupleIJPSA_SM_EEENSN_IJSM_SM_EEESB_PlJ10is_orderedEEE10hipError_tPvRmT3_T4_T5_T6_T7_T9_mT8_P12ihipStream_tbDpT10_ENKUlT_T0_E_clISt17integral_constantIbLb0EES1B_IbLb1EEEEDaS17_S18_EUlS17_E_NS1_11comp_targetILNS1_3genE3ELNS1_11target_archE908ELNS1_3gpuE7ELNS1_3repE0EEENS1_30default_config_static_selectorELNS0_4arch9wavefront6targetE1EEEvT1_
	.p2align	8
	.type	_ZN7rocprim17ROCPRIM_400000_NS6detail17trampoline_kernelINS0_14default_configENS1_25partition_config_selectorILNS1_17partition_subalgoE3EN6thrust23THRUST_200600_302600_NS5tupleIxxNS7_9null_typeES9_S9_S9_S9_S9_S9_S9_EENS0_10empty_typeEbEEZZNS1_14partition_implILS5_3ELb0ES3_jNS7_6detail15normal_iteratorINS7_7pointerISA_NS7_11hip_rocprim3tagENS7_11use_defaultESJ_EEEEPSB_SM_NS0_5tupleIJPSA_SM_EEENSN_IJSM_SM_EEESB_PlJ10is_orderedEEE10hipError_tPvRmT3_T4_T5_T6_T7_T9_mT8_P12ihipStream_tbDpT10_ENKUlT_T0_E_clISt17integral_constantIbLb0EES1B_IbLb1EEEEDaS17_S18_EUlS17_E_NS1_11comp_targetILNS1_3genE3ELNS1_11target_archE908ELNS1_3gpuE7ELNS1_3repE0EEENS1_30default_config_static_selectorELNS0_4arch9wavefront6targetE1EEEvT1_,@function
_ZN7rocprim17ROCPRIM_400000_NS6detail17trampoline_kernelINS0_14default_configENS1_25partition_config_selectorILNS1_17partition_subalgoE3EN6thrust23THRUST_200600_302600_NS5tupleIxxNS7_9null_typeES9_S9_S9_S9_S9_S9_S9_EENS0_10empty_typeEbEEZZNS1_14partition_implILS5_3ELb0ES3_jNS7_6detail15normal_iteratorINS7_7pointerISA_NS7_11hip_rocprim3tagENS7_11use_defaultESJ_EEEEPSB_SM_NS0_5tupleIJPSA_SM_EEENSN_IJSM_SM_EEESB_PlJ10is_orderedEEE10hipError_tPvRmT3_T4_T5_T6_T7_T9_mT8_P12ihipStream_tbDpT10_ENKUlT_T0_E_clISt17integral_constantIbLb0EES1B_IbLb1EEEEDaS17_S18_EUlS17_E_NS1_11comp_targetILNS1_3genE3ELNS1_11target_archE908ELNS1_3gpuE7ELNS1_3repE0EEENS1_30default_config_static_selectorELNS0_4arch9wavefront6targetE1EEEvT1_: ; @_ZN7rocprim17ROCPRIM_400000_NS6detail17trampoline_kernelINS0_14default_configENS1_25partition_config_selectorILNS1_17partition_subalgoE3EN6thrust23THRUST_200600_302600_NS5tupleIxxNS7_9null_typeES9_S9_S9_S9_S9_S9_S9_EENS0_10empty_typeEbEEZZNS1_14partition_implILS5_3ELb0ES3_jNS7_6detail15normal_iteratorINS7_7pointerISA_NS7_11hip_rocprim3tagENS7_11use_defaultESJ_EEEEPSB_SM_NS0_5tupleIJPSA_SM_EEENSN_IJSM_SM_EEESB_PlJ10is_orderedEEE10hipError_tPvRmT3_T4_T5_T6_T7_T9_mT8_P12ihipStream_tbDpT10_ENKUlT_T0_E_clISt17integral_constantIbLb0EES1B_IbLb1EEEEDaS17_S18_EUlS17_E_NS1_11comp_targetILNS1_3genE3ELNS1_11target_archE908ELNS1_3gpuE7ELNS1_3repE0EEENS1_30default_config_static_selectorELNS0_4arch9wavefront6targetE1EEEvT1_
; %bb.0:
	.section	.rodata,"a",@progbits
	.p2align	6, 0x0
	.amdhsa_kernel _ZN7rocprim17ROCPRIM_400000_NS6detail17trampoline_kernelINS0_14default_configENS1_25partition_config_selectorILNS1_17partition_subalgoE3EN6thrust23THRUST_200600_302600_NS5tupleIxxNS7_9null_typeES9_S9_S9_S9_S9_S9_S9_EENS0_10empty_typeEbEEZZNS1_14partition_implILS5_3ELb0ES3_jNS7_6detail15normal_iteratorINS7_7pointerISA_NS7_11hip_rocprim3tagENS7_11use_defaultESJ_EEEEPSB_SM_NS0_5tupleIJPSA_SM_EEENSN_IJSM_SM_EEESB_PlJ10is_orderedEEE10hipError_tPvRmT3_T4_T5_T6_T7_T9_mT8_P12ihipStream_tbDpT10_ENKUlT_T0_E_clISt17integral_constantIbLb0EES1B_IbLb1EEEEDaS17_S18_EUlS17_E_NS1_11comp_targetILNS1_3genE3ELNS1_11target_archE908ELNS1_3gpuE7ELNS1_3repE0EEENS1_30default_config_static_selectorELNS0_4arch9wavefront6targetE1EEEvT1_
		.amdhsa_group_segment_fixed_size 0
		.amdhsa_private_segment_fixed_size 0
		.amdhsa_kernarg_size 136
		.amdhsa_user_sgpr_count 6
		.amdhsa_user_sgpr_private_segment_buffer 1
		.amdhsa_user_sgpr_dispatch_ptr 0
		.amdhsa_user_sgpr_queue_ptr 0
		.amdhsa_user_sgpr_kernarg_segment_ptr 1
		.amdhsa_user_sgpr_dispatch_id 0
		.amdhsa_user_sgpr_flat_scratch_init 0
		.amdhsa_user_sgpr_kernarg_preload_length 0
		.amdhsa_user_sgpr_kernarg_preload_offset 0
		.amdhsa_user_sgpr_private_segment_size 0
		.amdhsa_uses_dynamic_stack 0
		.amdhsa_system_sgpr_private_segment_wavefront_offset 0
		.amdhsa_system_sgpr_workgroup_id_x 1
		.amdhsa_system_sgpr_workgroup_id_y 0
		.amdhsa_system_sgpr_workgroup_id_z 0
		.amdhsa_system_sgpr_workgroup_info 0
		.amdhsa_system_vgpr_workitem_id 0
		.amdhsa_next_free_vgpr 1
		.amdhsa_next_free_sgpr 0
		.amdhsa_accum_offset 4
		.amdhsa_reserve_vcc 0
		.amdhsa_reserve_flat_scratch 0
		.amdhsa_float_round_mode_32 0
		.amdhsa_float_round_mode_16_64 0
		.amdhsa_float_denorm_mode_32 3
		.amdhsa_float_denorm_mode_16_64 3
		.amdhsa_dx10_clamp 1
		.amdhsa_ieee_mode 1
		.amdhsa_fp16_overflow 0
		.amdhsa_tg_split 0
		.amdhsa_exception_fp_ieee_invalid_op 0
		.amdhsa_exception_fp_denorm_src 0
		.amdhsa_exception_fp_ieee_div_zero 0
		.amdhsa_exception_fp_ieee_overflow 0
		.amdhsa_exception_fp_ieee_underflow 0
		.amdhsa_exception_fp_ieee_inexact 0
		.amdhsa_exception_int_div_zero 0
	.end_amdhsa_kernel
	.section	.text._ZN7rocprim17ROCPRIM_400000_NS6detail17trampoline_kernelINS0_14default_configENS1_25partition_config_selectorILNS1_17partition_subalgoE3EN6thrust23THRUST_200600_302600_NS5tupleIxxNS7_9null_typeES9_S9_S9_S9_S9_S9_S9_EENS0_10empty_typeEbEEZZNS1_14partition_implILS5_3ELb0ES3_jNS7_6detail15normal_iteratorINS7_7pointerISA_NS7_11hip_rocprim3tagENS7_11use_defaultESJ_EEEEPSB_SM_NS0_5tupleIJPSA_SM_EEENSN_IJSM_SM_EEESB_PlJ10is_orderedEEE10hipError_tPvRmT3_T4_T5_T6_T7_T9_mT8_P12ihipStream_tbDpT10_ENKUlT_T0_E_clISt17integral_constantIbLb0EES1B_IbLb1EEEEDaS17_S18_EUlS17_E_NS1_11comp_targetILNS1_3genE3ELNS1_11target_archE908ELNS1_3gpuE7ELNS1_3repE0EEENS1_30default_config_static_selectorELNS0_4arch9wavefront6targetE1EEEvT1_,"axG",@progbits,_ZN7rocprim17ROCPRIM_400000_NS6detail17trampoline_kernelINS0_14default_configENS1_25partition_config_selectorILNS1_17partition_subalgoE3EN6thrust23THRUST_200600_302600_NS5tupleIxxNS7_9null_typeES9_S9_S9_S9_S9_S9_S9_EENS0_10empty_typeEbEEZZNS1_14partition_implILS5_3ELb0ES3_jNS7_6detail15normal_iteratorINS7_7pointerISA_NS7_11hip_rocprim3tagENS7_11use_defaultESJ_EEEEPSB_SM_NS0_5tupleIJPSA_SM_EEENSN_IJSM_SM_EEESB_PlJ10is_orderedEEE10hipError_tPvRmT3_T4_T5_T6_T7_T9_mT8_P12ihipStream_tbDpT10_ENKUlT_T0_E_clISt17integral_constantIbLb0EES1B_IbLb1EEEEDaS17_S18_EUlS17_E_NS1_11comp_targetILNS1_3genE3ELNS1_11target_archE908ELNS1_3gpuE7ELNS1_3repE0EEENS1_30default_config_static_selectorELNS0_4arch9wavefront6targetE1EEEvT1_,comdat
.Lfunc_end3482:
	.size	_ZN7rocprim17ROCPRIM_400000_NS6detail17trampoline_kernelINS0_14default_configENS1_25partition_config_selectorILNS1_17partition_subalgoE3EN6thrust23THRUST_200600_302600_NS5tupleIxxNS7_9null_typeES9_S9_S9_S9_S9_S9_S9_EENS0_10empty_typeEbEEZZNS1_14partition_implILS5_3ELb0ES3_jNS7_6detail15normal_iteratorINS7_7pointerISA_NS7_11hip_rocprim3tagENS7_11use_defaultESJ_EEEEPSB_SM_NS0_5tupleIJPSA_SM_EEENSN_IJSM_SM_EEESB_PlJ10is_orderedEEE10hipError_tPvRmT3_T4_T5_T6_T7_T9_mT8_P12ihipStream_tbDpT10_ENKUlT_T0_E_clISt17integral_constantIbLb0EES1B_IbLb1EEEEDaS17_S18_EUlS17_E_NS1_11comp_targetILNS1_3genE3ELNS1_11target_archE908ELNS1_3gpuE7ELNS1_3repE0EEENS1_30default_config_static_selectorELNS0_4arch9wavefront6targetE1EEEvT1_, .Lfunc_end3482-_ZN7rocprim17ROCPRIM_400000_NS6detail17trampoline_kernelINS0_14default_configENS1_25partition_config_selectorILNS1_17partition_subalgoE3EN6thrust23THRUST_200600_302600_NS5tupleIxxNS7_9null_typeES9_S9_S9_S9_S9_S9_S9_EENS0_10empty_typeEbEEZZNS1_14partition_implILS5_3ELb0ES3_jNS7_6detail15normal_iteratorINS7_7pointerISA_NS7_11hip_rocprim3tagENS7_11use_defaultESJ_EEEEPSB_SM_NS0_5tupleIJPSA_SM_EEENSN_IJSM_SM_EEESB_PlJ10is_orderedEEE10hipError_tPvRmT3_T4_T5_T6_T7_T9_mT8_P12ihipStream_tbDpT10_ENKUlT_T0_E_clISt17integral_constantIbLb0EES1B_IbLb1EEEEDaS17_S18_EUlS17_E_NS1_11comp_targetILNS1_3genE3ELNS1_11target_archE908ELNS1_3gpuE7ELNS1_3repE0EEENS1_30default_config_static_selectorELNS0_4arch9wavefront6targetE1EEEvT1_
                                        ; -- End function
	.section	.AMDGPU.csdata,"",@progbits
; Kernel info:
; codeLenInByte = 0
; NumSgprs: 4
; NumVgprs: 0
; NumAgprs: 0
; TotalNumVgprs: 0
; ScratchSize: 0
; MemoryBound: 0
; FloatMode: 240
; IeeeMode: 1
; LDSByteSize: 0 bytes/workgroup (compile time only)
; SGPRBlocks: 0
; VGPRBlocks: 0
; NumSGPRsForWavesPerEU: 4
; NumVGPRsForWavesPerEU: 1
; AccumOffset: 4
; Occupancy: 8
; WaveLimiterHint : 0
; COMPUTE_PGM_RSRC2:SCRATCH_EN: 0
; COMPUTE_PGM_RSRC2:USER_SGPR: 6
; COMPUTE_PGM_RSRC2:TRAP_HANDLER: 0
; COMPUTE_PGM_RSRC2:TGID_X_EN: 1
; COMPUTE_PGM_RSRC2:TGID_Y_EN: 0
; COMPUTE_PGM_RSRC2:TGID_Z_EN: 0
; COMPUTE_PGM_RSRC2:TIDIG_COMP_CNT: 0
; COMPUTE_PGM_RSRC3_GFX90A:ACCUM_OFFSET: 0
; COMPUTE_PGM_RSRC3_GFX90A:TG_SPLIT: 0
	.section	.text._ZN7rocprim17ROCPRIM_400000_NS6detail17trampoline_kernelINS0_14default_configENS1_25partition_config_selectorILNS1_17partition_subalgoE3EN6thrust23THRUST_200600_302600_NS5tupleIxxNS7_9null_typeES9_S9_S9_S9_S9_S9_S9_EENS0_10empty_typeEbEEZZNS1_14partition_implILS5_3ELb0ES3_jNS7_6detail15normal_iteratorINS7_7pointerISA_NS7_11hip_rocprim3tagENS7_11use_defaultESJ_EEEEPSB_SM_NS0_5tupleIJPSA_SM_EEENSN_IJSM_SM_EEESB_PlJ10is_orderedEEE10hipError_tPvRmT3_T4_T5_T6_T7_T9_mT8_P12ihipStream_tbDpT10_ENKUlT_T0_E_clISt17integral_constantIbLb0EES1B_IbLb1EEEEDaS17_S18_EUlS17_E_NS1_11comp_targetILNS1_3genE2ELNS1_11target_archE906ELNS1_3gpuE6ELNS1_3repE0EEENS1_30default_config_static_selectorELNS0_4arch9wavefront6targetE1EEEvT1_,"axG",@progbits,_ZN7rocprim17ROCPRIM_400000_NS6detail17trampoline_kernelINS0_14default_configENS1_25partition_config_selectorILNS1_17partition_subalgoE3EN6thrust23THRUST_200600_302600_NS5tupleIxxNS7_9null_typeES9_S9_S9_S9_S9_S9_S9_EENS0_10empty_typeEbEEZZNS1_14partition_implILS5_3ELb0ES3_jNS7_6detail15normal_iteratorINS7_7pointerISA_NS7_11hip_rocprim3tagENS7_11use_defaultESJ_EEEEPSB_SM_NS0_5tupleIJPSA_SM_EEENSN_IJSM_SM_EEESB_PlJ10is_orderedEEE10hipError_tPvRmT3_T4_T5_T6_T7_T9_mT8_P12ihipStream_tbDpT10_ENKUlT_T0_E_clISt17integral_constantIbLb0EES1B_IbLb1EEEEDaS17_S18_EUlS17_E_NS1_11comp_targetILNS1_3genE2ELNS1_11target_archE906ELNS1_3gpuE6ELNS1_3repE0EEENS1_30default_config_static_selectorELNS0_4arch9wavefront6targetE1EEEvT1_,comdat
	.protected	_ZN7rocprim17ROCPRIM_400000_NS6detail17trampoline_kernelINS0_14default_configENS1_25partition_config_selectorILNS1_17partition_subalgoE3EN6thrust23THRUST_200600_302600_NS5tupleIxxNS7_9null_typeES9_S9_S9_S9_S9_S9_S9_EENS0_10empty_typeEbEEZZNS1_14partition_implILS5_3ELb0ES3_jNS7_6detail15normal_iteratorINS7_7pointerISA_NS7_11hip_rocprim3tagENS7_11use_defaultESJ_EEEEPSB_SM_NS0_5tupleIJPSA_SM_EEENSN_IJSM_SM_EEESB_PlJ10is_orderedEEE10hipError_tPvRmT3_T4_T5_T6_T7_T9_mT8_P12ihipStream_tbDpT10_ENKUlT_T0_E_clISt17integral_constantIbLb0EES1B_IbLb1EEEEDaS17_S18_EUlS17_E_NS1_11comp_targetILNS1_3genE2ELNS1_11target_archE906ELNS1_3gpuE6ELNS1_3repE0EEENS1_30default_config_static_selectorELNS0_4arch9wavefront6targetE1EEEvT1_ ; -- Begin function _ZN7rocprim17ROCPRIM_400000_NS6detail17trampoline_kernelINS0_14default_configENS1_25partition_config_selectorILNS1_17partition_subalgoE3EN6thrust23THRUST_200600_302600_NS5tupleIxxNS7_9null_typeES9_S9_S9_S9_S9_S9_S9_EENS0_10empty_typeEbEEZZNS1_14partition_implILS5_3ELb0ES3_jNS7_6detail15normal_iteratorINS7_7pointerISA_NS7_11hip_rocprim3tagENS7_11use_defaultESJ_EEEEPSB_SM_NS0_5tupleIJPSA_SM_EEENSN_IJSM_SM_EEESB_PlJ10is_orderedEEE10hipError_tPvRmT3_T4_T5_T6_T7_T9_mT8_P12ihipStream_tbDpT10_ENKUlT_T0_E_clISt17integral_constantIbLb0EES1B_IbLb1EEEEDaS17_S18_EUlS17_E_NS1_11comp_targetILNS1_3genE2ELNS1_11target_archE906ELNS1_3gpuE6ELNS1_3repE0EEENS1_30default_config_static_selectorELNS0_4arch9wavefront6targetE1EEEvT1_
	.globl	_ZN7rocprim17ROCPRIM_400000_NS6detail17trampoline_kernelINS0_14default_configENS1_25partition_config_selectorILNS1_17partition_subalgoE3EN6thrust23THRUST_200600_302600_NS5tupleIxxNS7_9null_typeES9_S9_S9_S9_S9_S9_S9_EENS0_10empty_typeEbEEZZNS1_14partition_implILS5_3ELb0ES3_jNS7_6detail15normal_iteratorINS7_7pointerISA_NS7_11hip_rocprim3tagENS7_11use_defaultESJ_EEEEPSB_SM_NS0_5tupleIJPSA_SM_EEENSN_IJSM_SM_EEESB_PlJ10is_orderedEEE10hipError_tPvRmT3_T4_T5_T6_T7_T9_mT8_P12ihipStream_tbDpT10_ENKUlT_T0_E_clISt17integral_constantIbLb0EES1B_IbLb1EEEEDaS17_S18_EUlS17_E_NS1_11comp_targetILNS1_3genE2ELNS1_11target_archE906ELNS1_3gpuE6ELNS1_3repE0EEENS1_30default_config_static_selectorELNS0_4arch9wavefront6targetE1EEEvT1_
	.p2align	8
	.type	_ZN7rocprim17ROCPRIM_400000_NS6detail17trampoline_kernelINS0_14default_configENS1_25partition_config_selectorILNS1_17partition_subalgoE3EN6thrust23THRUST_200600_302600_NS5tupleIxxNS7_9null_typeES9_S9_S9_S9_S9_S9_S9_EENS0_10empty_typeEbEEZZNS1_14partition_implILS5_3ELb0ES3_jNS7_6detail15normal_iteratorINS7_7pointerISA_NS7_11hip_rocprim3tagENS7_11use_defaultESJ_EEEEPSB_SM_NS0_5tupleIJPSA_SM_EEENSN_IJSM_SM_EEESB_PlJ10is_orderedEEE10hipError_tPvRmT3_T4_T5_T6_T7_T9_mT8_P12ihipStream_tbDpT10_ENKUlT_T0_E_clISt17integral_constantIbLb0EES1B_IbLb1EEEEDaS17_S18_EUlS17_E_NS1_11comp_targetILNS1_3genE2ELNS1_11target_archE906ELNS1_3gpuE6ELNS1_3repE0EEENS1_30default_config_static_selectorELNS0_4arch9wavefront6targetE1EEEvT1_,@function
_ZN7rocprim17ROCPRIM_400000_NS6detail17trampoline_kernelINS0_14default_configENS1_25partition_config_selectorILNS1_17partition_subalgoE3EN6thrust23THRUST_200600_302600_NS5tupleIxxNS7_9null_typeES9_S9_S9_S9_S9_S9_S9_EENS0_10empty_typeEbEEZZNS1_14partition_implILS5_3ELb0ES3_jNS7_6detail15normal_iteratorINS7_7pointerISA_NS7_11hip_rocprim3tagENS7_11use_defaultESJ_EEEEPSB_SM_NS0_5tupleIJPSA_SM_EEENSN_IJSM_SM_EEESB_PlJ10is_orderedEEE10hipError_tPvRmT3_T4_T5_T6_T7_T9_mT8_P12ihipStream_tbDpT10_ENKUlT_T0_E_clISt17integral_constantIbLb0EES1B_IbLb1EEEEDaS17_S18_EUlS17_E_NS1_11comp_targetILNS1_3genE2ELNS1_11target_archE906ELNS1_3gpuE6ELNS1_3repE0EEENS1_30default_config_static_selectorELNS0_4arch9wavefront6targetE1EEEvT1_: ; @_ZN7rocprim17ROCPRIM_400000_NS6detail17trampoline_kernelINS0_14default_configENS1_25partition_config_selectorILNS1_17partition_subalgoE3EN6thrust23THRUST_200600_302600_NS5tupleIxxNS7_9null_typeES9_S9_S9_S9_S9_S9_S9_EENS0_10empty_typeEbEEZZNS1_14partition_implILS5_3ELb0ES3_jNS7_6detail15normal_iteratorINS7_7pointerISA_NS7_11hip_rocprim3tagENS7_11use_defaultESJ_EEEEPSB_SM_NS0_5tupleIJPSA_SM_EEENSN_IJSM_SM_EEESB_PlJ10is_orderedEEE10hipError_tPvRmT3_T4_T5_T6_T7_T9_mT8_P12ihipStream_tbDpT10_ENKUlT_T0_E_clISt17integral_constantIbLb0EES1B_IbLb1EEEEDaS17_S18_EUlS17_E_NS1_11comp_targetILNS1_3genE2ELNS1_11target_archE906ELNS1_3gpuE6ELNS1_3repE0EEENS1_30default_config_static_selectorELNS0_4arch9wavefront6targetE1EEEvT1_
; %bb.0:
	.section	.rodata,"a",@progbits
	.p2align	6, 0x0
	.amdhsa_kernel _ZN7rocprim17ROCPRIM_400000_NS6detail17trampoline_kernelINS0_14default_configENS1_25partition_config_selectorILNS1_17partition_subalgoE3EN6thrust23THRUST_200600_302600_NS5tupleIxxNS7_9null_typeES9_S9_S9_S9_S9_S9_S9_EENS0_10empty_typeEbEEZZNS1_14partition_implILS5_3ELb0ES3_jNS7_6detail15normal_iteratorINS7_7pointerISA_NS7_11hip_rocprim3tagENS7_11use_defaultESJ_EEEEPSB_SM_NS0_5tupleIJPSA_SM_EEENSN_IJSM_SM_EEESB_PlJ10is_orderedEEE10hipError_tPvRmT3_T4_T5_T6_T7_T9_mT8_P12ihipStream_tbDpT10_ENKUlT_T0_E_clISt17integral_constantIbLb0EES1B_IbLb1EEEEDaS17_S18_EUlS17_E_NS1_11comp_targetILNS1_3genE2ELNS1_11target_archE906ELNS1_3gpuE6ELNS1_3repE0EEENS1_30default_config_static_selectorELNS0_4arch9wavefront6targetE1EEEvT1_
		.amdhsa_group_segment_fixed_size 0
		.amdhsa_private_segment_fixed_size 0
		.amdhsa_kernarg_size 136
		.amdhsa_user_sgpr_count 6
		.amdhsa_user_sgpr_private_segment_buffer 1
		.amdhsa_user_sgpr_dispatch_ptr 0
		.amdhsa_user_sgpr_queue_ptr 0
		.amdhsa_user_sgpr_kernarg_segment_ptr 1
		.amdhsa_user_sgpr_dispatch_id 0
		.amdhsa_user_sgpr_flat_scratch_init 0
		.amdhsa_user_sgpr_kernarg_preload_length 0
		.amdhsa_user_sgpr_kernarg_preload_offset 0
		.amdhsa_user_sgpr_private_segment_size 0
		.amdhsa_uses_dynamic_stack 0
		.amdhsa_system_sgpr_private_segment_wavefront_offset 0
		.amdhsa_system_sgpr_workgroup_id_x 1
		.amdhsa_system_sgpr_workgroup_id_y 0
		.amdhsa_system_sgpr_workgroup_id_z 0
		.amdhsa_system_sgpr_workgroup_info 0
		.amdhsa_system_vgpr_workitem_id 0
		.amdhsa_next_free_vgpr 1
		.amdhsa_next_free_sgpr 0
		.amdhsa_accum_offset 4
		.amdhsa_reserve_vcc 0
		.amdhsa_reserve_flat_scratch 0
		.amdhsa_float_round_mode_32 0
		.amdhsa_float_round_mode_16_64 0
		.amdhsa_float_denorm_mode_32 3
		.amdhsa_float_denorm_mode_16_64 3
		.amdhsa_dx10_clamp 1
		.amdhsa_ieee_mode 1
		.amdhsa_fp16_overflow 0
		.amdhsa_tg_split 0
		.amdhsa_exception_fp_ieee_invalid_op 0
		.amdhsa_exception_fp_denorm_src 0
		.amdhsa_exception_fp_ieee_div_zero 0
		.amdhsa_exception_fp_ieee_overflow 0
		.amdhsa_exception_fp_ieee_underflow 0
		.amdhsa_exception_fp_ieee_inexact 0
		.amdhsa_exception_int_div_zero 0
	.end_amdhsa_kernel
	.section	.text._ZN7rocprim17ROCPRIM_400000_NS6detail17trampoline_kernelINS0_14default_configENS1_25partition_config_selectorILNS1_17partition_subalgoE3EN6thrust23THRUST_200600_302600_NS5tupleIxxNS7_9null_typeES9_S9_S9_S9_S9_S9_S9_EENS0_10empty_typeEbEEZZNS1_14partition_implILS5_3ELb0ES3_jNS7_6detail15normal_iteratorINS7_7pointerISA_NS7_11hip_rocprim3tagENS7_11use_defaultESJ_EEEEPSB_SM_NS0_5tupleIJPSA_SM_EEENSN_IJSM_SM_EEESB_PlJ10is_orderedEEE10hipError_tPvRmT3_T4_T5_T6_T7_T9_mT8_P12ihipStream_tbDpT10_ENKUlT_T0_E_clISt17integral_constantIbLb0EES1B_IbLb1EEEEDaS17_S18_EUlS17_E_NS1_11comp_targetILNS1_3genE2ELNS1_11target_archE906ELNS1_3gpuE6ELNS1_3repE0EEENS1_30default_config_static_selectorELNS0_4arch9wavefront6targetE1EEEvT1_,"axG",@progbits,_ZN7rocprim17ROCPRIM_400000_NS6detail17trampoline_kernelINS0_14default_configENS1_25partition_config_selectorILNS1_17partition_subalgoE3EN6thrust23THRUST_200600_302600_NS5tupleIxxNS7_9null_typeES9_S9_S9_S9_S9_S9_S9_EENS0_10empty_typeEbEEZZNS1_14partition_implILS5_3ELb0ES3_jNS7_6detail15normal_iteratorINS7_7pointerISA_NS7_11hip_rocprim3tagENS7_11use_defaultESJ_EEEEPSB_SM_NS0_5tupleIJPSA_SM_EEENSN_IJSM_SM_EEESB_PlJ10is_orderedEEE10hipError_tPvRmT3_T4_T5_T6_T7_T9_mT8_P12ihipStream_tbDpT10_ENKUlT_T0_E_clISt17integral_constantIbLb0EES1B_IbLb1EEEEDaS17_S18_EUlS17_E_NS1_11comp_targetILNS1_3genE2ELNS1_11target_archE906ELNS1_3gpuE6ELNS1_3repE0EEENS1_30default_config_static_selectorELNS0_4arch9wavefront6targetE1EEEvT1_,comdat
.Lfunc_end3483:
	.size	_ZN7rocprim17ROCPRIM_400000_NS6detail17trampoline_kernelINS0_14default_configENS1_25partition_config_selectorILNS1_17partition_subalgoE3EN6thrust23THRUST_200600_302600_NS5tupleIxxNS7_9null_typeES9_S9_S9_S9_S9_S9_S9_EENS0_10empty_typeEbEEZZNS1_14partition_implILS5_3ELb0ES3_jNS7_6detail15normal_iteratorINS7_7pointerISA_NS7_11hip_rocprim3tagENS7_11use_defaultESJ_EEEEPSB_SM_NS0_5tupleIJPSA_SM_EEENSN_IJSM_SM_EEESB_PlJ10is_orderedEEE10hipError_tPvRmT3_T4_T5_T6_T7_T9_mT8_P12ihipStream_tbDpT10_ENKUlT_T0_E_clISt17integral_constantIbLb0EES1B_IbLb1EEEEDaS17_S18_EUlS17_E_NS1_11comp_targetILNS1_3genE2ELNS1_11target_archE906ELNS1_3gpuE6ELNS1_3repE0EEENS1_30default_config_static_selectorELNS0_4arch9wavefront6targetE1EEEvT1_, .Lfunc_end3483-_ZN7rocprim17ROCPRIM_400000_NS6detail17trampoline_kernelINS0_14default_configENS1_25partition_config_selectorILNS1_17partition_subalgoE3EN6thrust23THRUST_200600_302600_NS5tupleIxxNS7_9null_typeES9_S9_S9_S9_S9_S9_S9_EENS0_10empty_typeEbEEZZNS1_14partition_implILS5_3ELb0ES3_jNS7_6detail15normal_iteratorINS7_7pointerISA_NS7_11hip_rocprim3tagENS7_11use_defaultESJ_EEEEPSB_SM_NS0_5tupleIJPSA_SM_EEENSN_IJSM_SM_EEESB_PlJ10is_orderedEEE10hipError_tPvRmT3_T4_T5_T6_T7_T9_mT8_P12ihipStream_tbDpT10_ENKUlT_T0_E_clISt17integral_constantIbLb0EES1B_IbLb1EEEEDaS17_S18_EUlS17_E_NS1_11comp_targetILNS1_3genE2ELNS1_11target_archE906ELNS1_3gpuE6ELNS1_3repE0EEENS1_30default_config_static_selectorELNS0_4arch9wavefront6targetE1EEEvT1_
                                        ; -- End function
	.section	.AMDGPU.csdata,"",@progbits
; Kernel info:
; codeLenInByte = 0
; NumSgprs: 4
; NumVgprs: 0
; NumAgprs: 0
; TotalNumVgprs: 0
; ScratchSize: 0
; MemoryBound: 0
; FloatMode: 240
; IeeeMode: 1
; LDSByteSize: 0 bytes/workgroup (compile time only)
; SGPRBlocks: 0
; VGPRBlocks: 0
; NumSGPRsForWavesPerEU: 4
; NumVGPRsForWavesPerEU: 1
; AccumOffset: 4
; Occupancy: 8
; WaveLimiterHint : 0
; COMPUTE_PGM_RSRC2:SCRATCH_EN: 0
; COMPUTE_PGM_RSRC2:USER_SGPR: 6
; COMPUTE_PGM_RSRC2:TRAP_HANDLER: 0
; COMPUTE_PGM_RSRC2:TGID_X_EN: 1
; COMPUTE_PGM_RSRC2:TGID_Y_EN: 0
; COMPUTE_PGM_RSRC2:TGID_Z_EN: 0
; COMPUTE_PGM_RSRC2:TIDIG_COMP_CNT: 0
; COMPUTE_PGM_RSRC3_GFX90A:ACCUM_OFFSET: 0
; COMPUTE_PGM_RSRC3_GFX90A:TG_SPLIT: 0
	.section	.text._ZN7rocprim17ROCPRIM_400000_NS6detail17trampoline_kernelINS0_14default_configENS1_25partition_config_selectorILNS1_17partition_subalgoE3EN6thrust23THRUST_200600_302600_NS5tupleIxxNS7_9null_typeES9_S9_S9_S9_S9_S9_S9_EENS0_10empty_typeEbEEZZNS1_14partition_implILS5_3ELb0ES3_jNS7_6detail15normal_iteratorINS7_7pointerISA_NS7_11hip_rocprim3tagENS7_11use_defaultESJ_EEEEPSB_SM_NS0_5tupleIJPSA_SM_EEENSN_IJSM_SM_EEESB_PlJ10is_orderedEEE10hipError_tPvRmT3_T4_T5_T6_T7_T9_mT8_P12ihipStream_tbDpT10_ENKUlT_T0_E_clISt17integral_constantIbLb0EES1B_IbLb1EEEEDaS17_S18_EUlS17_E_NS1_11comp_targetILNS1_3genE10ELNS1_11target_archE1200ELNS1_3gpuE4ELNS1_3repE0EEENS1_30default_config_static_selectorELNS0_4arch9wavefront6targetE1EEEvT1_,"axG",@progbits,_ZN7rocprim17ROCPRIM_400000_NS6detail17trampoline_kernelINS0_14default_configENS1_25partition_config_selectorILNS1_17partition_subalgoE3EN6thrust23THRUST_200600_302600_NS5tupleIxxNS7_9null_typeES9_S9_S9_S9_S9_S9_S9_EENS0_10empty_typeEbEEZZNS1_14partition_implILS5_3ELb0ES3_jNS7_6detail15normal_iteratorINS7_7pointerISA_NS7_11hip_rocprim3tagENS7_11use_defaultESJ_EEEEPSB_SM_NS0_5tupleIJPSA_SM_EEENSN_IJSM_SM_EEESB_PlJ10is_orderedEEE10hipError_tPvRmT3_T4_T5_T6_T7_T9_mT8_P12ihipStream_tbDpT10_ENKUlT_T0_E_clISt17integral_constantIbLb0EES1B_IbLb1EEEEDaS17_S18_EUlS17_E_NS1_11comp_targetILNS1_3genE10ELNS1_11target_archE1200ELNS1_3gpuE4ELNS1_3repE0EEENS1_30default_config_static_selectorELNS0_4arch9wavefront6targetE1EEEvT1_,comdat
	.protected	_ZN7rocprim17ROCPRIM_400000_NS6detail17trampoline_kernelINS0_14default_configENS1_25partition_config_selectorILNS1_17partition_subalgoE3EN6thrust23THRUST_200600_302600_NS5tupleIxxNS7_9null_typeES9_S9_S9_S9_S9_S9_S9_EENS0_10empty_typeEbEEZZNS1_14partition_implILS5_3ELb0ES3_jNS7_6detail15normal_iteratorINS7_7pointerISA_NS7_11hip_rocprim3tagENS7_11use_defaultESJ_EEEEPSB_SM_NS0_5tupleIJPSA_SM_EEENSN_IJSM_SM_EEESB_PlJ10is_orderedEEE10hipError_tPvRmT3_T4_T5_T6_T7_T9_mT8_P12ihipStream_tbDpT10_ENKUlT_T0_E_clISt17integral_constantIbLb0EES1B_IbLb1EEEEDaS17_S18_EUlS17_E_NS1_11comp_targetILNS1_3genE10ELNS1_11target_archE1200ELNS1_3gpuE4ELNS1_3repE0EEENS1_30default_config_static_selectorELNS0_4arch9wavefront6targetE1EEEvT1_ ; -- Begin function _ZN7rocprim17ROCPRIM_400000_NS6detail17trampoline_kernelINS0_14default_configENS1_25partition_config_selectorILNS1_17partition_subalgoE3EN6thrust23THRUST_200600_302600_NS5tupleIxxNS7_9null_typeES9_S9_S9_S9_S9_S9_S9_EENS0_10empty_typeEbEEZZNS1_14partition_implILS5_3ELb0ES3_jNS7_6detail15normal_iteratorINS7_7pointerISA_NS7_11hip_rocprim3tagENS7_11use_defaultESJ_EEEEPSB_SM_NS0_5tupleIJPSA_SM_EEENSN_IJSM_SM_EEESB_PlJ10is_orderedEEE10hipError_tPvRmT3_T4_T5_T6_T7_T9_mT8_P12ihipStream_tbDpT10_ENKUlT_T0_E_clISt17integral_constantIbLb0EES1B_IbLb1EEEEDaS17_S18_EUlS17_E_NS1_11comp_targetILNS1_3genE10ELNS1_11target_archE1200ELNS1_3gpuE4ELNS1_3repE0EEENS1_30default_config_static_selectorELNS0_4arch9wavefront6targetE1EEEvT1_
	.globl	_ZN7rocprim17ROCPRIM_400000_NS6detail17trampoline_kernelINS0_14default_configENS1_25partition_config_selectorILNS1_17partition_subalgoE3EN6thrust23THRUST_200600_302600_NS5tupleIxxNS7_9null_typeES9_S9_S9_S9_S9_S9_S9_EENS0_10empty_typeEbEEZZNS1_14partition_implILS5_3ELb0ES3_jNS7_6detail15normal_iteratorINS7_7pointerISA_NS7_11hip_rocprim3tagENS7_11use_defaultESJ_EEEEPSB_SM_NS0_5tupleIJPSA_SM_EEENSN_IJSM_SM_EEESB_PlJ10is_orderedEEE10hipError_tPvRmT3_T4_T5_T6_T7_T9_mT8_P12ihipStream_tbDpT10_ENKUlT_T0_E_clISt17integral_constantIbLb0EES1B_IbLb1EEEEDaS17_S18_EUlS17_E_NS1_11comp_targetILNS1_3genE10ELNS1_11target_archE1200ELNS1_3gpuE4ELNS1_3repE0EEENS1_30default_config_static_selectorELNS0_4arch9wavefront6targetE1EEEvT1_
	.p2align	8
	.type	_ZN7rocprim17ROCPRIM_400000_NS6detail17trampoline_kernelINS0_14default_configENS1_25partition_config_selectorILNS1_17partition_subalgoE3EN6thrust23THRUST_200600_302600_NS5tupleIxxNS7_9null_typeES9_S9_S9_S9_S9_S9_S9_EENS0_10empty_typeEbEEZZNS1_14partition_implILS5_3ELb0ES3_jNS7_6detail15normal_iteratorINS7_7pointerISA_NS7_11hip_rocprim3tagENS7_11use_defaultESJ_EEEEPSB_SM_NS0_5tupleIJPSA_SM_EEENSN_IJSM_SM_EEESB_PlJ10is_orderedEEE10hipError_tPvRmT3_T4_T5_T6_T7_T9_mT8_P12ihipStream_tbDpT10_ENKUlT_T0_E_clISt17integral_constantIbLb0EES1B_IbLb1EEEEDaS17_S18_EUlS17_E_NS1_11comp_targetILNS1_3genE10ELNS1_11target_archE1200ELNS1_3gpuE4ELNS1_3repE0EEENS1_30default_config_static_selectorELNS0_4arch9wavefront6targetE1EEEvT1_,@function
_ZN7rocprim17ROCPRIM_400000_NS6detail17trampoline_kernelINS0_14default_configENS1_25partition_config_selectorILNS1_17partition_subalgoE3EN6thrust23THRUST_200600_302600_NS5tupleIxxNS7_9null_typeES9_S9_S9_S9_S9_S9_S9_EENS0_10empty_typeEbEEZZNS1_14partition_implILS5_3ELb0ES3_jNS7_6detail15normal_iteratorINS7_7pointerISA_NS7_11hip_rocprim3tagENS7_11use_defaultESJ_EEEEPSB_SM_NS0_5tupleIJPSA_SM_EEENSN_IJSM_SM_EEESB_PlJ10is_orderedEEE10hipError_tPvRmT3_T4_T5_T6_T7_T9_mT8_P12ihipStream_tbDpT10_ENKUlT_T0_E_clISt17integral_constantIbLb0EES1B_IbLb1EEEEDaS17_S18_EUlS17_E_NS1_11comp_targetILNS1_3genE10ELNS1_11target_archE1200ELNS1_3gpuE4ELNS1_3repE0EEENS1_30default_config_static_selectorELNS0_4arch9wavefront6targetE1EEEvT1_: ; @_ZN7rocprim17ROCPRIM_400000_NS6detail17trampoline_kernelINS0_14default_configENS1_25partition_config_selectorILNS1_17partition_subalgoE3EN6thrust23THRUST_200600_302600_NS5tupleIxxNS7_9null_typeES9_S9_S9_S9_S9_S9_S9_EENS0_10empty_typeEbEEZZNS1_14partition_implILS5_3ELb0ES3_jNS7_6detail15normal_iteratorINS7_7pointerISA_NS7_11hip_rocprim3tagENS7_11use_defaultESJ_EEEEPSB_SM_NS0_5tupleIJPSA_SM_EEENSN_IJSM_SM_EEESB_PlJ10is_orderedEEE10hipError_tPvRmT3_T4_T5_T6_T7_T9_mT8_P12ihipStream_tbDpT10_ENKUlT_T0_E_clISt17integral_constantIbLb0EES1B_IbLb1EEEEDaS17_S18_EUlS17_E_NS1_11comp_targetILNS1_3genE10ELNS1_11target_archE1200ELNS1_3gpuE4ELNS1_3repE0EEENS1_30default_config_static_selectorELNS0_4arch9wavefront6targetE1EEEvT1_
; %bb.0:
	.section	.rodata,"a",@progbits
	.p2align	6, 0x0
	.amdhsa_kernel _ZN7rocprim17ROCPRIM_400000_NS6detail17trampoline_kernelINS0_14default_configENS1_25partition_config_selectorILNS1_17partition_subalgoE3EN6thrust23THRUST_200600_302600_NS5tupleIxxNS7_9null_typeES9_S9_S9_S9_S9_S9_S9_EENS0_10empty_typeEbEEZZNS1_14partition_implILS5_3ELb0ES3_jNS7_6detail15normal_iteratorINS7_7pointerISA_NS7_11hip_rocprim3tagENS7_11use_defaultESJ_EEEEPSB_SM_NS0_5tupleIJPSA_SM_EEENSN_IJSM_SM_EEESB_PlJ10is_orderedEEE10hipError_tPvRmT3_T4_T5_T6_T7_T9_mT8_P12ihipStream_tbDpT10_ENKUlT_T0_E_clISt17integral_constantIbLb0EES1B_IbLb1EEEEDaS17_S18_EUlS17_E_NS1_11comp_targetILNS1_3genE10ELNS1_11target_archE1200ELNS1_3gpuE4ELNS1_3repE0EEENS1_30default_config_static_selectorELNS0_4arch9wavefront6targetE1EEEvT1_
		.amdhsa_group_segment_fixed_size 0
		.amdhsa_private_segment_fixed_size 0
		.amdhsa_kernarg_size 136
		.amdhsa_user_sgpr_count 6
		.amdhsa_user_sgpr_private_segment_buffer 1
		.amdhsa_user_sgpr_dispatch_ptr 0
		.amdhsa_user_sgpr_queue_ptr 0
		.amdhsa_user_sgpr_kernarg_segment_ptr 1
		.amdhsa_user_sgpr_dispatch_id 0
		.amdhsa_user_sgpr_flat_scratch_init 0
		.amdhsa_user_sgpr_kernarg_preload_length 0
		.amdhsa_user_sgpr_kernarg_preload_offset 0
		.amdhsa_user_sgpr_private_segment_size 0
		.amdhsa_uses_dynamic_stack 0
		.amdhsa_system_sgpr_private_segment_wavefront_offset 0
		.amdhsa_system_sgpr_workgroup_id_x 1
		.amdhsa_system_sgpr_workgroup_id_y 0
		.amdhsa_system_sgpr_workgroup_id_z 0
		.amdhsa_system_sgpr_workgroup_info 0
		.amdhsa_system_vgpr_workitem_id 0
		.amdhsa_next_free_vgpr 1
		.amdhsa_next_free_sgpr 0
		.amdhsa_accum_offset 4
		.amdhsa_reserve_vcc 0
		.amdhsa_reserve_flat_scratch 0
		.amdhsa_float_round_mode_32 0
		.amdhsa_float_round_mode_16_64 0
		.amdhsa_float_denorm_mode_32 3
		.amdhsa_float_denorm_mode_16_64 3
		.amdhsa_dx10_clamp 1
		.amdhsa_ieee_mode 1
		.amdhsa_fp16_overflow 0
		.amdhsa_tg_split 0
		.amdhsa_exception_fp_ieee_invalid_op 0
		.amdhsa_exception_fp_denorm_src 0
		.amdhsa_exception_fp_ieee_div_zero 0
		.amdhsa_exception_fp_ieee_overflow 0
		.amdhsa_exception_fp_ieee_underflow 0
		.amdhsa_exception_fp_ieee_inexact 0
		.amdhsa_exception_int_div_zero 0
	.end_amdhsa_kernel
	.section	.text._ZN7rocprim17ROCPRIM_400000_NS6detail17trampoline_kernelINS0_14default_configENS1_25partition_config_selectorILNS1_17partition_subalgoE3EN6thrust23THRUST_200600_302600_NS5tupleIxxNS7_9null_typeES9_S9_S9_S9_S9_S9_S9_EENS0_10empty_typeEbEEZZNS1_14partition_implILS5_3ELb0ES3_jNS7_6detail15normal_iteratorINS7_7pointerISA_NS7_11hip_rocprim3tagENS7_11use_defaultESJ_EEEEPSB_SM_NS0_5tupleIJPSA_SM_EEENSN_IJSM_SM_EEESB_PlJ10is_orderedEEE10hipError_tPvRmT3_T4_T5_T6_T7_T9_mT8_P12ihipStream_tbDpT10_ENKUlT_T0_E_clISt17integral_constantIbLb0EES1B_IbLb1EEEEDaS17_S18_EUlS17_E_NS1_11comp_targetILNS1_3genE10ELNS1_11target_archE1200ELNS1_3gpuE4ELNS1_3repE0EEENS1_30default_config_static_selectorELNS0_4arch9wavefront6targetE1EEEvT1_,"axG",@progbits,_ZN7rocprim17ROCPRIM_400000_NS6detail17trampoline_kernelINS0_14default_configENS1_25partition_config_selectorILNS1_17partition_subalgoE3EN6thrust23THRUST_200600_302600_NS5tupleIxxNS7_9null_typeES9_S9_S9_S9_S9_S9_S9_EENS0_10empty_typeEbEEZZNS1_14partition_implILS5_3ELb0ES3_jNS7_6detail15normal_iteratorINS7_7pointerISA_NS7_11hip_rocprim3tagENS7_11use_defaultESJ_EEEEPSB_SM_NS0_5tupleIJPSA_SM_EEENSN_IJSM_SM_EEESB_PlJ10is_orderedEEE10hipError_tPvRmT3_T4_T5_T6_T7_T9_mT8_P12ihipStream_tbDpT10_ENKUlT_T0_E_clISt17integral_constantIbLb0EES1B_IbLb1EEEEDaS17_S18_EUlS17_E_NS1_11comp_targetILNS1_3genE10ELNS1_11target_archE1200ELNS1_3gpuE4ELNS1_3repE0EEENS1_30default_config_static_selectorELNS0_4arch9wavefront6targetE1EEEvT1_,comdat
.Lfunc_end3484:
	.size	_ZN7rocprim17ROCPRIM_400000_NS6detail17trampoline_kernelINS0_14default_configENS1_25partition_config_selectorILNS1_17partition_subalgoE3EN6thrust23THRUST_200600_302600_NS5tupleIxxNS7_9null_typeES9_S9_S9_S9_S9_S9_S9_EENS0_10empty_typeEbEEZZNS1_14partition_implILS5_3ELb0ES3_jNS7_6detail15normal_iteratorINS7_7pointerISA_NS7_11hip_rocprim3tagENS7_11use_defaultESJ_EEEEPSB_SM_NS0_5tupleIJPSA_SM_EEENSN_IJSM_SM_EEESB_PlJ10is_orderedEEE10hipError_tPvRmT3_T4_T5_T6_T7_T9_mT8_P12ihipStream_tbDpT10_ENKUlT_T0_E_clISt17integral_constantIbLb0EES1B_IbLb1EEEEDaS17_S18_EUlS17_E_NS1_11comp_targetILNS1_3genE10ELNS1_11target_archE1200ELNS1_3gpuE4ELNS1_3repE0EEENS1_30default_config_static_selectorELNS0_4arch9wavefront6targetE1EEEvT1_, .Lfunc_end3484-_ZN7rocprim17ROCPRIM_400000_NS6detail17trampoline_kernelINS0_14default_configENS1_25partition_config_selectorILNS1_17partition_subalgoE3EN6thrust23THRUST_200600_302600_NS5tupleIxxNS7_9null_typeES9_S9_S9_S9_S9_S9_S9_EENS0_10empty_typeEbEEZZNS1_14partition_implILS5_3ELb0ES3_jNS7_6detail15normal_iteratorINS7_7pointerISA_NS7_11hip_rocprim3tagENS7_11use_defaultESJ_EEEEPSB_SM_NS0_5tupleIJPSA_SM_EEENSN_IJSM_SM_EEESB_PlJ10is_orderedEEE10hipError_tPvRmT3_T4_T5_T6_T7_T9_mT8_P12ihipStream_tbDpT10_ENKUlT_T0_E_clISt17integral_constantIbLb0EES1B_IbLb1EEEEDaS17_S18_EUlS17_E_NS1_11comp_targetILNS1_3genE10ELNS1_11target_archE1200ELNS1_3gpuE4ELNS1_3repE0EEENS1_30default_config_static_selectorELNS0_4arch9wavefront6targetE1EEEvT1_
                                        ; -- End function
	.section	.AMDGPU.csdata,"",@progbits
; Kernel info:
; codeLenInByte = 0
; NumSgprs: 4
; NumVgprs: 0
; NumAgprs: 0
; TotalNumVgprs: 0
; ScratchSize: 0
; MemoryBound: 0
; FloatMode: 240
; IeeeMode: 1
; LDSByteSize: 0 bytes/workgroup (compile time only)
; SGPRBlocks: 0
; VGPRBlocks: 0
; NumSGPRsForWavesPerEU: 4
; NumVGPRsForWavesPerEU: 1
; AccumOffset: 4
; Occupancy: 8
; WaveLimiterHint : 0
; COMPUTE_PGM_RSRC2:SCRATCH_EN: 0
; COMPUTE_PGM_RSRC2:USER_SGPR: 6
; COMPUTE_PGM_RSRC2:TRAP_HANDLER: 0
; COMPUTE_PGM_RSRC2:TGID_X_EN: 1
; COMPUTE_PGM_RSRC2:TGID_Y_EN: 0
; COMPUTE_PGM_RSRC2:TGID_Z_EN: 0
; COMPUTE_PGM_RSRC2:TIDIG_COMP_CNT: 0
; COMPUTE_PGM_RSRC3_GFX90A:ACCUM_OFFSET: 0
; COMPUTE_PGM_RSRC3_GFX90A:TG_SPLIT: 0
	.section	.text._ZN7rocprim17ROCPRIM_400000_NS6detail17trampoline_kernelINS0_14default_configENS1_25partition_config_selectorILNS1_17partition_subalgoE3EN6thrust23THRUST_200600_302600_NS5tupleIxxNS7_9null_typeES9_S9_S9_S9_S9_S9_S9_EENS0_10empty_typeEbEEZZNS1_14partition_implILS5_3ELb0ES3_jNS7_6detail15normal_iteratorINS7_7pointerISA_NS7_11hip_rocprim3tagENS7_11use_defaultESJ_EEEEPSB_SM_NS0_5tupleIJPSA_SM_EEENSN_IJSM_SM_EEESB_PlJ10is_orderedEEE10hipError_tPvRmT3_T4_T5_T6_T7_T9_mT8_P12ihipStream_tbDpT10_ENKUlT_T0_E_clISt17integral_constantIbLb0EES1B_IbLb1EEEEDaS17_S18_EUlS17_E_NS1_11comp_targetILNS1_3genE9ELNS1_11target_archE1100ELNS1_3gpuE3ELNS1_3repE0EEENS1_30default_config_static_selectorELNS0_4arch9wavefront6targetE1EEEvT1_,"axG",@progbits,_ZN7rocprim17ROCPRIM_400000_NS6detail17trampoline_kernelINS0_14default_configENS1_25partition_config_selectorILNS1_17partition_subalgoE3EN6thrust23THRUST_200600_302600_NS5tupleIxxNS7_9null_typeES9_S9_S9_S9_S9_S9_S9_EENS0_10empty_typeEbEEZZNS1_14partition_implILS5_3ELb0ES3_jNS7_6detail15normal_iteratorINS7_7pointerISA_NS7_11hip_rocprim3tagENS7_11use_defaultESJ_EEEEPSB_SM_NS0_5tupleIJPSA_SM_EEENSN_IJSM_SM_EEESB_PlJ10is_orderedEEE10hipError_tPvRmT3_T4_T5_T6_T7_T9_mT8_P12ihipStream_tbDpT10_ENKUlT_T0_E_clISt17integral_constantIbLb0EES1B_IbLb1EEEEDaS17_S18_EUlS17_E_NS1_11comp_targetILNS1_3genE9ELNS1_11target_archE1100ELNS1_3gpuE3ELNS1_3repE0EEENS1_30default_config_static_selectorELNS0_4arch9wavefront6targetE1EEEvT1_,comdat
	.protected	_ZN7rocprim17ROCPRIM_400000_NS6detail17trampoline_kernelINS0_14default_configENS1_25partition_config_selectorILNS1_17partition_subalgoE3EN6thrust23THRUST_200600_302600_NS5tupleIxxNS7_9null_typeES9_S9_S9_S9_S9_S9_S9_EENS0_10empty_typeEbEEZZNS1_14partition_implILS5_3ELb0ES3_jNS7_6detail15normal_iteratorINS7_7pointerISA_NS7_11hip_rocprim3tagENS7_11use_defaultESJ_EEEEPSB_SM_NS0_5tupleIJPSA_SM_EEENSN_IJSM_SM_EEESB_PlJ10is_orderedEEE10hipError_tPvRmT3_T4_T5_T6_T7_T9_mT8_P12ihipStream_tbDpT10_ENKUlT_T0_E_clISt17integral_constantIbLb0EES1B_IbLb1EEEEDaS17_S18_EUlS17_E_NS1_11comp_targetILNS1_3genE9ELNS1_11target_archE1100ELNS1_3gpuE3ELNS1_3repE0EEENS1_30default_config_static_selectorELNS0_4arch9wavefront6targetE1EEEvT1_ ; -- Begin function _ZN7rocprim17ROCPRIM_400000_NS6detail17trampoline_kernelINS0_14default_configENS1_25partition_config_selectorILNS1_17partition_subalgoE3EN6thrust23THRUST_200600_302600_NS5tupleIxxNS7_9null_typeES9_S9_S9_S9_S9_S9_S9_EENS0_10empty_typeEbEEZZNS1_14partition_implILS5_3ELb0ES3_jNS7_6detail15normal_iteratorINS7_7pointerISA_NS7_11hip_rocprim3tagENS7_11use_defaultESJ_EEEEPSB_SM_NS0_5tupleIJPSA_SM_EEENSN_IJSM_SM_EEESB_PlJ10is_orderedEEE10hipError_tPvRmT3_T4_T5_T6_T7_T9_mT8_P12ihipStream_tbDpT10_ENKUlT_T0_E_clISt17integral_constantIbLb0EES1B_IbLb1EEEEDaS17_S18_EUlS17_E_NS1_11comp_targetILNS1_3genE9ELNS1_11target_archE1100ELNS1_3gpuE3ELNS1_3repE0EEENS1_30default_config_static_selectorELNS0_4arch9wavefront6targetE1EEEvT1_
	.globl	_ZN7rocprim17ROCPRIM_400000_NS6detail17trampoline_kernelINS0_14default_configENS1_25partition_config_selectorILNS1_17partition_subalgoE3EN6thrust23THRUST_200600_302600_NS5tupleIxxNS7_9null_typeES9_S9_S9_S9_S9_S9_S9_EENS0_10empty_typeEbEEZZNS1_14partition_implILS5_3ELb0ES3_jNS7_6detail15normal_iteratorINS7_7pointerISA_NS7_11hip_rocprim3tagENS7_11use_defaultESJ_EEEEPSB_SM_NS0_5tupleIJPSA_SM_EEENSN_IJSM_SM_EEESB_PlJ10is_orderedEEE10hipError_tPvRmT3_T4_T5_T6_T7_T9_mT8_P12ihipStream_tbDpT10_ENKUlT_T0_E_clISt17integral_constantIbLb0EES1B_IbLb1EEEEDaS17_S18_EUlS17_E_NS1_11comp_targetILNS1_3genE9ELNS1_11target_archE1100ELNS1_3gpuE3ELNS1_3repE0EEENS1_30default_config_static_selectorELNS0_4arch9wavefront6targetE1EEEvT1_
	.p2align	8
	.type	_ZN7rocprim17ROCPRIM_400000_NS6detail17trampoline_kernelINS0_14default_configENS1_25partition_config_selectorILNS1_17partition_subalgoE3EN6thrust23THRUST_200600_302600_NS5tupleIxxNS7_9null_typeES9_S9_S9_S9_S9_S9_S9_EENS0_10empty_typeEbEEZZNS1_14partition_implILS5_3ELb0ES3_jNS7_6detail15normal_iteratorINS7_7pointerISA_NS7_11hip_rocprim3tagENS7_11use_defaultESJ_EEEEPSB_SM_NS0_5tupleIJPSA_SM_EEENSN_IJSM_SM_EEESB_PlJ10is_orderedEEE10hipError_tPvRmT3_T4_T5_T6_T7_T9_mT8_P12ihipStream_tbDpT10_ENKUlT_T0_E_clISt17integral_constantIbLb0EES1B_IbLb1EEEEDaS17_S18_EUlS17_E_NS1_11comp_targetILNS1_3genE9ELNS1_11target_archE1100ELNS1_3gpuE3ELNS1_3repE0EEENS1_30default_config_static_selectorELNS0_4arch9wavefront6targetE1EEEvT1_,@function
_ZN7rocprim17ROCPRIM_400000_NS6detail17trampoline_kernelINS0_14default_configENS1_25partition_config_selectorILNS1_17partition_subalgoE3EN6thrust23THRUST_200600_302600_NS5tupleIxxNS7_9null_typeES9_S9_S9_S9_S9_S9_S9_EENS0_10empty_typeEbEEZZNS1_14partition_implILS5_3ELb0ES3_jNS7_6detail15normal_iteratorINS7_7pointerISA_NS7_11hip_rocprim3tagENS7_11use_defaultESJ_EEEEPSB_SM_NS0_5tupleIJPSA_SM_EEENSN_IJSM_SM_EEESB_PlJ10is_orderedEEE10hipError_tPvRmT3_T4_T5_T6_T7_T9_mT8_P12ihipStream_tbDpT10_ENKUlT_T0_E_clISt17integral_constantIbLb0EES1B_IbLb1EEEEDaS17_S18_EUlS17_E_NS1_11comp_targetILNS1_3genE9ELNS1_11target_archE1100ELNS1_3gpuE3ELNS1_3repE0EEENS1_30default_config_static_selectorELNS0_4arch9wavefront6targetE1EEEvT1_: ; @_ZN7rocprim17ROCPRIM_400000_NS6detail17trampoline_kernelINS0_14default_configENS1_25partition_config_selectorILNS1_17partition_subalgoE3EN6thrust23THRUST_200600_302600_NS5tupleIxxNS7_9null_typeES9_S9_S9_S9_S9_S9_S9_EENS0_10empty_typeEbEEZZNS1_14partition_implILS5_3ELb0ES3_jNS7_6detail15normal_iteratorINS7_7pointerISA_NS7_11hip_rocprim3tagENS7_11use_defaultESJ_EEEEPSB_SM_NS0_5tupleIJPSA_SM_EEENSN_IJSM_SM_EEESB_PlJ10is_orderedEEE10hipError_tPvRmT3_T4_T5_T6_T7_T9_mT8_P12ihipStream_tbDpT10_ENKUlT_T0_E_clISt17integral_constantIbLb0EES1B_IbLb1EEEEDaS17_S18_EUlS17_E_NS1_11comp_targetILNS1_3genE9ELNS1_11target_archE1100ELNS1_3gpuE3ELNS1_3repE0EEENS1_30default_config_static_selectorELNS0_4arch9wavefront6targetE1EEEvT1_
; %bb.0:
	.section	.rodata,"a",@progbits
	.p2align	6, 0x0
	.amdhsa_kernel _ZN7rocprim17ROCPRIM_400000_NS6detail17trampoline_kernelINS0_14default_configENS1_25partition_config_selectorILNS1_17partition_subalgoE3EN6thrust23THRUST_200600_302600_NS5tupleIxxNS7_9null_typeES9_S9_S9_S9_S9_S9_S9_EENS0_10empty_typeEbEEZZNS1_14partition_implILS5_3ELb0ES3_jNS7_6detail15normal_iteratorINS7_7pointerISA_NS7_11hip_rocprim3tagENS7_11use_defaultESJ_EEEEPSB_SM_NS0_5tupleIJPSA_SM_EEENSN_IJSM_SM_EEESB_PlJ10is_orderedEEE10hipError_tPvRmT3_T4_T5_T6_T7_T9_mT8_P12ihipStream_tbDpT10_ENKUlT_T0_E_clISt17integral_constantIbLb0EES1B_IbLb1EEEEDaS17_S18_EUlS17_E_NS1_11comp_targetILNS1_3genE9ELNS1_11target_archE1100ELNS1_3gpuE3ELNS1_3repE0EEENS1_30default_config_static_selectorELNS0_4arch9wavefront6targetE1EEEvT1_
		.amdhsa_group_segment_fixed_size 0
		.amdhsa_private_segment_fixed_size 0
		.amdhsa_kernarg_size 136
		.amdhsa_user_sgpr_count 6
		.amdhsa_user_sgpr_private_segment_buffer 1
		.amdhsa_user_sgpr_dispatch_ptr 0
		.amdhsa_user_sgpr_queue_ptr 0
		.amdhsa_user_sgpr_kernarg_segment_ptr 1
		.amdhsa_user_sgpr_dispatch_id 0
		.amdhsa_user_sgpr_flat_scratch_init 0
		.amdhsa_user_sgpr_kernarg_preload_length 0
		.amdhsa_user_sgpr_kernarg_preload_offset 0
		.amdhsa_user_sgpr_private_segment_size 0
		.amdhsa_uses_dynamic_stack 0
		.amdhsa_system_sgpr_private_segment_wavefront_offset 0
		.amdhsa_system_sgpr_workgroup_id_x 1
		.amdhsa_system_sgpr_workgroup_id_y 0
		.amdhsa_system_sgpr_workgroup_id_z 0
		.amdhsa_system_sgpr_workgroup_info 0
		.amdhsa_system_vgpr_workitem_id 0
		.amdhsa_next_free_vgpr 1
		.amdhsa_next_free_sgpr 0
		.amdhsa_accum_offset 4
		.amdhsa_reserve_vcc 0
		.amdhsa_reserve_flat_scratch 0
		.amdhsa_float_round_mode_32 0
		.amdhsa_float_round_mode_16_64 0
		.amdhsa_float_denorm_mode_32 3
		.amdhsa_float_denorm_mode_16_64 3
		.amdhsa_dx10_clamp 1
		.amdhsa_ieee_mode 1
		.amdhsa_fp16_overflow 0
		.amdhsa_tg_split 0
		.amdhsa_exception_fp_ieee_invalid_op 0
		.amdhsa_exception_fp_denorm_src 0
		.amdhsa_exception_fp_ieee_div_zero 0
		.amdhsa_exception_fp_ieee_overflow 0
		.amdhsa_exception_fp_ieee_underflow 0
		.amdhsa_exception_fp_ieee_inexact 0
		.amdhsa_exception_int_div_zero 0
	.end_amdhsa_kernel
	.section	.text._ZN7rocprim17ROCPRIM_400000_NS6detail17trampoline_kernelINS0_14default_configENS1_25partition_config_selectorILNS1_17partition_subalgoE3EN6thrust23THRUST_200600_302600_NS5tupleIxxNS7_9null_typeES9_S9_S9_S9_S9_S9_S9_EENS0_10empty_typeEbEEZZNS1_14partition_implILS5_3ELb0ES3_jNS7_6detail15normal_iteratorINS7_7pointerISA_NS7_11hip_rocprim3tagENS7_11use_defaultESJ_EEEEPSB_SM_NS0_5tupleIJPSA_SM_EEENSN_IJSM_SM_EEESB_PlJ10is_orderedEEE10hipError_tPvRmT3_T4_T5_T6_T7_T9_mT8_P12ihipStream_tbDpT10_ENKUlT_T0_E_clISt17integral_constantIbLb0EES1B_IbLb1EEEEDaS17_S18_EUlS17_E_NS1_11comp_targetILNS1_3genE9ELNS1_11target_archE1100ELNS1_3gpuE3ELNS1_3repE0EEENS1_30default_config_static_selectorELNS0_4arch9wavefront6targetE1EEEvT1_,"axG",@progbits,_ZN7rocprim17ROCPRIM_400000_NS6detail17trampoline_kernelINS0_14default_configENS1_25partition_config_selectorILNS1_17partition_subalgoE3EN6thrust23THRUST_200600_302600_NS5tupleIxxNS7_9null_typeES9_S9_S9_S9_S9_S9_S9_EENS0_10empty_typeEbEEZZNS1_14partition_implILS5_3ELb0ES3_jNS7_6detail15normal_iteratorINS7_7pointerISA_NS7_11hip_rocprim3tagENS7_11use_defaultESJ_EEEEPSB_SM_NS0_5tupleIJPSA_SM_EEENSN_IJSM_SM_EEESB_PlJ10is_orderedEEE10hipError_tPvRmT3_T4_T5_T6_T7_T9_mT8_P12ihipStream_tbDpT10_ENKUlT_T0_E_clISt17integral_constantIbLb0EES1B_IbLb1EEEEDaS17_S18_EUlS17_E_NS1_11comp_targetILNS1_3genE9ELNS1_11target_archE1100ELNS1_3gpuE3ELNS1_3repE0EEENS1_30default_config_static_selectorELNS0_4arch9wavefront6targetE1EEEvT1_,comdat
.Lfunc_end3485:
	.size	_ZN7rocprim17ROCPRIM_400000_NS6detail17trampoline_kernelINS0_14default_configENS1_25partition_config_selectorILNS1_17partition_subalgoE3EN6thrust23THRUST_200600_302600_NS5tupleIxxNS7_9null_typeES9_S9_S9_S9_S9_S9_S9_EENS0_10empty_typeEbEEZZNS1_14partition_implILS5_3ELb0ES3_jNS7_6detail15normal_iteratorINS7_7pointerISA_NS7_11hip_rocprim3tagENS7_11use_defaultESJ_EEEEPSB_SM_NS0_5tupleIJPSA_SM_EEENSN_IJSM_SM_EEESB_PlJ10is_orderedEEE10hipError_tPvRmT3_T4_T5_T6_T7_T9_mT8_P12ihipStream_tbDpT10_ENKUlT_T0_E_clISt17integral_constantIbLb0EES1B_IbLb1EEEEDaS17_S18_EUlS17_E_NS1_11comp_targetILNS1_3genE9ELNS1_11target_archE1100ELNS1_3gpuE3ELNS1_3repE0EEENS1_30default_config_static_selectorELNS0_4arch9wavefront6targetE1EEEvT1_, .Lfunc_end3485-_ZN7rocprim17ROCPRIM_400000_NS6detail17trampoline_kernelINS0_14default_configENS1_25partition_config_selectorILNS1_17partition_subalgoE3EN6thrust23THRUST_200600_302600_NS5tupleIxxNS7_9null_typeES9_S9_S9_S9_S9_S9_S9_EENS0_10empty_typeEbEEZZNS1_14partition_implILS5_3ELb0ES3_jNS7_6detail15normal_iteratorINS7_7pointerISA_NS7_11hip_rocprim3tagENS7_11use_defaultESJ_EEEEPSB_SM_NS0_5tupleIJPSA_SM_EEENSN_IJSM_SM_EEESB_PlJ10is_orderedEEE10hipError_tPvRmT3_T4_T5_T6_T7_T9_mT8_P12ihipStream_tbDpT10_ENKUlT_T0_E_clISt17integral_constantIbLb0EES1B_IbLb1EEEEDaS17_S18_EUlS17_E_NS1_11comp_targetILNS1_3genE9ELNS1_11target_archE1100ELNS1_3gpuE3ELNS1_3repE0EEENS1_30default_config_static_selectorELNS0_4arch9wavefront6targetE1EEEvT1_
                                        ; -- End function
	.section	.AMDGPU.csdata,"",@progbits
; Kernel info:
; codeLenInByte = 0
; NumSgprs: 4
; NumVgprs: 0
; NumAgprs: 0
; TotalNumVgprs: 0
; ScratchSize: 0
; MemoryBound: 0
; FloatMode: 240
; IeeeMode: 1
; LDSByteSize: 0 bytes/workgroup (compile time only)
; SGPRBlocks: 0
; VGPRBlocks: 0
; NumSGPRsForWavesPerEU: 4
; NumVGPRsForWavesPerEU: 1
; AccumOffset: 4
; Occupancy: 8
; WaveLimiterHint : 0
; COMPUTE_PGM_RSRC2:SCRATCH_EN: 0
; COMPUTE_PGM_RSRC2:USER_SGPR: 6
; COMPUTE_PGM_RSRC2:TRAP_HANDLER: 0
; COMPUTE_PGM_RSRC2:TGID_X_EN: 1
; COMPUTE_PGM_RSRC2:TGID_Y_EN: 0
; COMPUTE_PGM_RSRC2:TGID_Z_EN: 0
; COMPUTE_PGM_RSRC2:TIDIG_COMP_CNT: 0
; COMPUTE_PGM_RSRC3_GFX90A:ACCUM_OFFSET: 0
; COMPUTE_PGM_RSRC3_GFX90A:TG_SPLIT: 0
	.section	.text._ZN7rocprim17ROCPRIM_400000_NS6detail17trampoline_kernelINS0_14default_configENS1_25partition_config_selectorILNS1_17partition_subalgoE3EN6thrust23THRUST_200600_302600_NS5tupleIxxNS7_9null_typeES9_S9_S9_S9_S9_S9_S9_EENS0_10empty_typeEbEEZZNS1_14partition_implILS5_3ELb0ES3_jNS7_6detail15normal_iteratorINS7_7pointerISA_NS7_11hip_rocprim3tagENS7_11use_defaultESJ_EEEEPSB_SM_NS0_5tupleIJPSA_SM_EEENSN_IJSM_SM_EEESB_PlJ10is_orderedEEE10hipError_tPvRmT3_T4_T5_T6_T7_T9_mT8_P12ihipStream_tbDpT10_ENKUlT_T0_E_clISt17integral_constantIbLb0EES1B_IbLb1EEEEDaS17_S18_EUlS17_E_NS1_11comp_targetILNS1_3genE8ELNS1_11target_archE1030ELNS1_3gpuE2ELNS1_3repE0EEENS1_30default_config_static_selectorELNS0_4arch9wavefront6targetE1EEEvT1_,"axG",@progbits,_ZN7rocprim17ROCPRIM_400000_NS6detail17trampoline_kernelINS0_14default_configENS1_25partition_config_selectorILNS1_17partition_subalgoE3EN6thrust23THRUST_200600_302600_NS5tupleIxxNS7_9null_typeES9_S9_S9_S9_S9_S9_S9_EENS0_10empty_typeEbEEZZNS1_14partition_implILS5_3ELb0ES3_jNS7_6detail15normal_iteratorINS7_7pointerISA_NS7_11hip_rocprim3tagENS7_11use_defaultESJ_EEEEPSB_SM_NS0_5tupleIJPSA_SM_EEENSN_IJSM_SM_EEESB_PlJ10is_orderedEEE10hipError_tPvRmT3_T4_T5_T6_T7_T9_mT8_P12ihipStream_tbDpT10_ENKUlT_T0_E_clISt17integral_constantIbLb0EES1B_IbLb1EEEEDaS17_S18_EUlS17_E_NS1_11comp_targetILNS1_3genE8ELNS1_11target_archE1030ELNS1_3gpuE2ELNS1_3repE0EEENS1_30default_config_static_selectorELNS0_4arch9wavefront6targetE1EEEvT1_,comdat
	.protected	_ZN7rocprim17ROCPRIM_400000_NS6detail17trampoline_kernelINS0_14default_configENS1_25partition_config_selectorILNS1_17partition_subalgoE3EN6thrust23THRUST_200600_302600_NS5tupleIxxNS7_9null_typeES9_S9_S9_S9_S9_S9_S9_EENS0_10empty_typeEbEEZZNS1_14partition_implILS5_3ELb0ES3_jNS7_6detail15normal_iteratorINS7_7pointerISA_NS7_11hip_rocprim3tagENS7_11use_defaultESJ_EEEEPSB_SM_NS0_5tupleIJPSA_SM_EEENSN_IJSM_SM_EEESB_PlJ10is_orderedEEE10hipError_tPvRmT3_T4_T5_T6_T7_T9_mT8_P12ihipStream_tbDpT10_ENKUlT_T0_E_clISt17integral_constantIbLb0EES1B_IbLb1EEEEDaS17_S18_EUlS17_E_NS1_11comp_targetILNS1_3genE8ELNS1_11target_archE1030ELNS1_3gpuE2ELNS1_3repE0EEENS1_30default_config_static_selectorELNS0_4arch9wavefront6targetE1EEEvT1_ ; -- Begin function _ZN7rocprim17ROCPRIM_400000_NS6detail17trampoline_kernelINS0_14default_configENS1_25partition_config_selectorILNS1_17partition_subalgoE3EN6thrust23THRUST_200600_302600_NS5tupleIxxNS7_9null_typeES9_S9_S9_S9_S9_S9_S9_EENS0_10empty_typeEbEEZZNS1_14partition_implILS5_3ELb0ES3_jNS7_6detail15normal_iteratorINS7_7pointerISA_NS7_11hip_rocprim3tagENS7_11use_defaultESJ_EEEEPSB_SM_NS0_5tupleIJPSA_SM_EEENSN_IJSM_SM_EEESB_PlJ10is_orderedEEE10hipError_tPvRmT3_T4_T5_T6_T7_T9_mT8_P12ihipStream_tbDpT10_ENKUlT_T0_E_clISt17integral_constantIbLb0EES1B_IbLb1EEEEDaS17_S18_EUlS17_E_NS1_11comp_targetILNS1_3genE8ELNS1_11target_archE1030ELNS1_3gpuE2ELNS1_3repE0EEENS1_30default_config_static_selectorELNS0_4arch9wavefront6targetE1EEEvT1_
	.globl	_ZN7rocprim17ROCPRIM_400000_NS6detail17trampoline_kernelINS0_14default_configENS1_25partition_config_selectorILNS1_17partition_subalgoE3EN6thrust23THRUST_200600_302600_NS5tupleIxxNS7_9null_typeES9_S9_S9_S9_S9_S9_S9_EENS0_10empty_typeEbEEZZNS1_14partition_implILS5_3ELb0ES3_jNS7_6detail15normal_iteratorINS7_7pointerISA_NS7_11hip_rocprim3tagENS7_11use_defaultESJ_EEEEPSB_SM_NS0_5tupleIJPSA_SM_EEENSN_IJSM_SM_EEESB_PlJ10is_orderedEEE10hipError_tPvRmT3_T4_T5_T6_T7_T9_mT8_P12ihipStream_tbDpT10_ENKUlT_T0_E_clISt17integral_constantIbLb0EES1B_IbLb1EEEEDaS17_S18_EUlS17_E_NS1_11comp_targetILNS1_3genE8ELNS1_11target_archE1030ELNS1_3gpuE2ELNS1_3repE0EEENS1_30default_config_static_selectorELNS0_4arch9wavefront6targetE1EEEvT1_
	.p2align	8
	.type	_ZN7rocprim17ROCPRIM_400000_NS6detail17trampoline_kernelINS0_14default_configENS1_25partition_config_selectorILNS1_17partition_subalgoE3EN6thrust23THRUST_200600_302600_NS5tupleIxxNS7_9null_typeES9_S9_S9_S9_S9_S9_S9_EENS0_10empty_typeEbEEZZNS1_14partition_implILS5_3ELb0ES3_jNS7_6detail15normal_iteratorINS7_7pointerISA_NS7_11hip_rocprim3tagENS7_11use_defaultESJ_EEEEPSB_SM_NS0_5tupleIJPSA_SM_EEENSN_IJSM_SM_EEESB_PlJ10is_orderedEEE10hipError_tPvRmT3_T4_T5_T6_T7_T9_mT8_P12ihipStream_tbDpT10_ENKUlT_T0_E_clISt17integral_constantIbLb0EES1B_IbLb1EEEEDaS17_S18_EUlS17_E_NS1_11comp_targetILNS1_3genE8ELNS1_11target_archE1030ELNS1_3gpuE2ELNS1_3repE0EEENS1_30default_config_static_selectorELNS0_4arch9wavefront6targetE1EEEvT1_,@function
_ZN7rocprim17ROCPRIM_400000_NS6detail17trampoline_kernelINS0_14default_configENS1_25partition_config_selectorILNS1_17partition_subalgoE3EN6thrust23THRUST_200600_302600_NS5tupleIxxNS7_9null_typeES9_S9_S9_S9_S9_S9_S9_EENS0_10empty_typeEbEEZZNS1_14partition_implILS5_3ELb0ES3_jNS7_6detail15normal_iteratorINS7_7pointerISA_NS7_11hip_rocprim3tagENS7_11use_defaultESJ_EEEEPSB_SM_NS0_5tupleIJPSA_SM_EEENSN_IJSM_SM_EEESB_PlJ10is_orderedEEE10hipError_tPvRmT3_T4_T5_T6_T7_T9_mT8_P12ihipStream_tbDpT10_ENKUlT_T0_E_clISt17integral_constantIbLb0EES1B_IbLb1EEEEDaS17_S18_EUlS17_E_NS1_11comp_targetILNS1_3genE8ELNS1_11target_archE1030ELNS1_3gpuE2ELNS1_3repE0EEENS1_30default_config_static_selectorELNS0_4arch9wavefront6targetE1EEEvT1_: ; @_ZN7rocprim17ROCPRIM_400000_NS6detail17trampoline_kernelINS0_14default_configENS1_25partition_config_selectorILNS1_17partition_subalgoE3EN6thrust23THRUST_200600_302600_NS5tupleIxxNS7_9null_typeES9_S9_S9_S9_S9_S9_S9_EENS0_10empty_typeEbEEZZNS1_14partition_implILS5_3ELb0ES3_jNS7_6detail15normal_iteratorINS7_7pointerISA_NS7_11hip_rocprim3tagENS7_11use_defaultESJ_EEEEPSB_SM_NS0_5tupleIJPSA_SM_EEENSN_IJSM_SM_EEESB_PlJ10is_orderedEEE10hipError_tPvRmT3_T4_T5_T6_T7_T9_mT8_P12ihipStream_tbDpT10_ENKUlT_T0_E_clISt17integral_constantIbLb0EES1B_IbLb1EEEEDaS17_S18_EUlS17_E_NS1_11comp_targetILNS1_3genE8ELNS1_11target_archE1030ELNS1_3gpuE2ELNS1_3repE0EEENS1_30default_config_static_selectorELNS0_4arch9wavefront6targetE1EEEvT1_
; %bb.0:
	.section	.rodata,"a",@progbits
	.p2align	6, 0x0
	.amdhsa_kernel _ZN7rocprim17ROCPRIM_400000_NS6detail17trampoline_kernelINS0_14default_configENS1_25partition_config_selectorILNS1_17partition_subalgoE3EN6thrust23THRUST_200600_302600_NS5tupleIxxNS7_9null_typeES9_S9_S9_S9_S9_S9_S9_EENS0_10empty_typeEbEEZZNS1_14partition_implILS5_3ELb0ES3_jNS7_6detail15normal_iteratorINS7_7pointerISA_NS7_11hip_rocprim3tagENS7_11use_defaultESJ_EEEEPSB_SM_NS0_5tupleIJPSA_SM_EEENSN_IJSM_SM_EEESB_PlJ10is_orderedEEE10hipError_tPvRmT3_T4_T5_T6_T7_T9_mT8_P12ihipStream_tbDpT10_ENKUlT_T0_E_clISt17integral_constantIbLb0EES1B_IbLb1EEEEDaS17_S18_EUlS17_E_NS1_11comp_targetILNS1_3genE8ELNS1_11target_archE1030ELNS1_3gpuE2ELNS1_3repE0EEENS1_30default_config_static_selectorELNS0_4arch9wavefront6targetE1EEEvT1_
		.amdhsa_group_segment_fixed_size 0
		.amdhsa_private_segment_fixed_size 0
		.amdhsa_kernarg_size 136
		.amdhsa_user_sgpr_count 6
		.amdhsa_user_sgpr_private_segment_buffer 1
		.amdhsa_user_sgpr_dispatch_ptr 0
		.amdhsa_user_sgpr_queue_ptr 0
		.amdhsa_user_sgpr_kernarg_segment_ptr 1
		.amdhsa_user_sgpr_dispatch_id 0
		.amdhsa_user_sgpr_flat_scratch_init 0
		.amdhsa_user_sgpr_kernarg_preload_length 0
		.amdhsa_user_sgpr_kernarg_preload_offset 0
		.amdhsa_user_sgpr_private_segment_size 0
		.amdhsa_uses_dynamic_stack 0
		.amdhsa_system_sgpr_private_segment_wavefront_offset 0
		.amdhsa_system_sgpr_workgroup_id_x 1
		.amdhsa_system_sgpr_workgroup_id_y 0
		.amdhsa_system_sgpr_workgroup_id_z 0
		.amdhsa_system_sgpr_workgroup_info 0
		.amdhsa_system_vgpr_workitem_id 0
		.amdhsa_next_free_vgpr 1
		.amdhsa_next_free_sgpr 0
		.amdhsa_accum_offset 4
		.amdhsa_reserve_vcc 0
		.amdhsa_reserve_flat_scratch 0
		.amdhsa_float_round_mode_32 0
		.amdhsa_float_round_mode_16_64 0
		.amdhsa_float_denorm_mode_32 3
		.amdhsa_float_denorm_mode_16_64 3
		.amdhsa_dx10_clamp 1
		.amdhsa_ieee_mode 1
		.amdhsa_fp16_overflow 0
		.amdhsa_tg_split 0
		.amdhsa_exception_fp_ieee_invalid_op 0
		.amdhsa_exception_fp_denorm_src 0
		.amdhsa_exception_fp_ieee_div_zero 0
		.amdhsa_exception_fp_ieee_overflow 0
		.amdhsa_exception_fp_ieee_underflow 0
		.amdhsa_exception_fp_ieee_inexact 0
		.amdhsa_exception_int_div_zero 0
	.end_amdhsa_kernel
	.section	.text._ZN7rocprim17ROCPRIM_400000_NS6detail17trampoline_kernelINS0_14default_configENS1_25partition_config_selectorILNS1_17partition_subalgoE3EN6thrust23THRUST_200600_302600_NS5tupleIxxNS7_9null_typeES9_S9_S9_S9_S9_S9_S9_EENS0_10empty_typeEbEEZZNS1_14partition_implILS5_3ELb0ES3_jNS7_6detail15normal_iteratorINS7_7pointerISA_NS7_11hip_rocprim3tagENS7_11use_defaultESJ_EEEEPSB_SM_NS0_5tupleIJPSA_SM_EEENSN_IJSM_SM_EEESB_PlJ10is_orderedEEE10hipError_tPvRmT3_T4_T5_T6_T7_T9_mT8_P12ihipStream_tbDpT10_ENKUlT_T0_E_clISt17integral_constantIbLb0EES1B_IbLb1EEEEDaS17_S18_EUlS17_E_NS1_11comp_targetILNS1_3genE8ELNS1_11target_archE1030ELNS1_3gpuE2ELNS1_3repE0EEENS1_30default_config_static_selectorELNS0_4arch9wavefront6targetE1EEEvT1_,"axG",@progbits,_ZN7rocprim17ROCPRIM_400000_NS6detail17trampoline_kernelINS0_14default_configENS1_25partition_config_selectorILNS1_17partition_subalgoE3EN6thrust23THRUST_200600_302600_NS5tupleIxxNS7_9null_typeES9_S9_S9_S9_S9_S9_S9_EENS0_10empty_typeEbEEZZNS1_14partition_implILS5_3ELb0ES3_jNS7_6detail15normal_iteratorINS7_7pointerISA_NS7_11hip_rocprim3tagENS7_11use_defaultESJ_EEEEPSB_SM_NS0_5tupleIJPSA_SM_EEENSN_IJSM_SM_EEESB_PlJ10is_orderedEEE10hipError_tPvRmT3_T4_T5_T6_T7_T9_mT8_P12ihipStream_tbDpT10_ENKUlT_T0_E_clISt17integral_constantIbLb0EES1B_IbLb1EEEEDaS17_S18_EUlS17_E_NS1_11comp_targetILNS1_3genE8ELNS1_11target_archE1030ELNS1_3gpuE2ELNS1_3repE0EEENS1_30default_config_static_selectorELNS0_4arch9wavefront6targetE1EEEvT1_,comdat
.Lfunc_end3486:
	.size	_ZN7rocprim17ROCPRIM_400000_NS6detail17trampoline_kernelINS0_14default_configENS1_25partition_config_selectorILNS1_17partition_subalgoE3EN6thrust23THRUST_200600_302600_NS5tupleIxxNS7_9null_typeES9_S9_S9_S9_S9_S9_S9_EENS0_10empty_typeEbEEZZNS1_14partition_implILS5_3ELb0ES3_jNS7_6detail15normal_iteratorINS7_7pointerISA_NS7_11hip_rocprim3tagENS7_11use_defaultESJ_EEEEPSB_SM_NS0_5tupleIJPSA_SM_EEENSN_IJSM_SM_EEESB_PlJ10is_orderedEEE10hipError_tPvRmT3_T4_T5_T6_T7_T9_mT8_P12ihipStream_tbDpT10_ENKUlT_T0_E_clISt17integral_constantIbLb0EES1B_IbLb1EEEEDaS17_S18_EUlS17_E_NS1_11comp_targetILNS1_3genE8ELNS1_11target_archE1030ELNS1_3gpuE2ELNS1_3repE0EEENS1_30default_config_static_selectorELNS0_4arch9wavefront6targetE1EEEvT1_, .Lfunc_end3486-_ZN7rocprim17ROCPRIM_400000_NS6detail17trampoline_kernelINS0_14default_configENS1_25partition_config_selectorILNS1_17partition_subalgoE3EN6thrust23THRUST_200600_302600_NS5tupleIxxNS7_9null_typeES9_S9_S9_S9_S9_S9_S9_EENS0_10empty_typeEbEEZZNS1_14partition_implILS5_3ELb0ES3_jNS7_6detail15normal_iteratorINS7_7pointerISA_NS7_11hip_rocprim3tagENS7_11use_defaultESJ_EEEEPSB_SM_NS0_5tupleIJPSA_SM_EEENSN_IJSM_SM_EEESB_PlJ10is_orderedEEE10hipError_tPvRmT3_T4_T5_T6_T7_T9_mT8_P12ihipStream_tbDpT10_ENKUlT_T0_E_clISt17integral_constantIbLb0EES1B_IbLb1EEEEDaS17_S18_EUlS17_E_NS1_11comp_targetILNS1_3genE8ELNS1_11target_archE1030ELNS1_3gpuE2ELNS1_3repE0EEENS1_30default_config_static_selectorELNS0_4arch9wavefront6targetE1EEEvT1_
                                        ; -- End function
	.section	.AMDGPU.csdata,"",@progbits
; Kernel info:
; codeLenInByte = 0
; NumSgprs: 4
; NumVgprs: 0
; NumAgprs: 0
; TotalNumVgprs: 0
; ScratchSize: 0
; MemoryBound: 0
; FloatMode: 240
; IeeeMode: 1
; LDSByteSize: 0 bytes/workgroup (compile time only)
; SGPRBlocks: 0
; VGPRBlocks: 0
; NumSGPRsForWavesPerEU: 4
; NumVGPRsForWavesPerEU: 1
; AccumOffset: 4
; Occupancy: 8
; WaveLimiterHint : 0
; COMPUTE_PGM_RSRC2:SCRATCH_EN: 0
; COMPUTE_PGM_RSRC2:USER_SGPR: 6
; COMPUTE_PGM_RSRC2:TRAP_HANDLER: 0
; COMPUTE_PGM_RSRC2:TGID_X_EN: 1
; COMPUTE_PGM_RSRC2:TGID_Y_EN: 0
; COMPUTE_PGM_RSRC2:TGID_Z_EN: 0
; COMPUTE_PGM_RSRC2:TIDIG_COMP_CNT: 0
; COMPUTE_PGM_RSRC3_GFX90A:ACCUM_OFFSET: 0
; COMPUTE_PGM_RSRC3_GFX90A:TG_SPLIT: 0
	.section	.text._ZN6thrust23THRUST_200600_302600_NS11hip_rocprim14__parallel_for6kernelILj256ENS1_11__transform17unary_transform_fIPNS0_5tupleIxxNS0_9null_typeES7_S7_S7_S7_S7_S7_S7_EENS0_12zip_iteratorINS6_INS0_6detail15normal_iteratorINS0_10device_ptrIxEEEESF_S7_S7_S7_S7_S7_S7_S7_S7_EEEENS4_14no_stencil_tagENS0_8identityIS8_EENS4_21always_true_predicateEEElLj1EEEvT0_T1_SO_,"axG",@progbits,_ZN6thrust23THRUST_200600_302600_NS11hip_rocprim14__parallel_for6kernelILj256ENS1_11__transform17unary_transform_fIPNS0_5tupleIxxNS0_9null_typeES7_S7_S7_S7_S7_S7_S7_EENS0_12zip_iteratorINS6_INS0_6detail15normal_iteratorINS0_10device_ptrIxEEEESF_S7_S7_S7_S7_S7_S7_S7_S7_EEEENS4_14no_stencil_tagENS0_8identityIS8_EENS4_21always_true_predicateEEElLj1EEEvT0_T1_SO_,comdat
	.protected	_ZN6thrust23THRUST_200600_302600_NS11hip_rocprim14__parallel_for6kernelILj256ENS1_11__transform17unary_transform_fIPNS0_5tupleIxxNS0_9null_typeES7_S7_S7_S7_S7_S7_S7_EENS0_12zip_iteratorINS6_INS0_6detail15normal_iteratorINS0_10device_ptrIxEEEESF_S7_S7_S7_S7_S7_S7_S7_S7_EEEENS4_14no_stencil_tagENS0_8identityIS8_EENS4_21always_true_predicateEEElLj1EEEvT0_T1_SO_ ; -- Begin function _ZN6thrust23THRUST_200600_302600_NS11hip_rocprim14__parallel_for6kernelILj256ENS1_11__transform17unary_transform_fIPNS0_5tupleIxxNS0_9null_typeES7_S7_S7_S7_S7_S7_S7_EENS0_12zip_iteratorINS6_INS0_6detail15normal_iteratorINS0_10device_ptrIxEEEESF_S7_S7_S7_S7_S7_S7_S7_S7_EEEENS4_14no_stencil_tagENS0_8identityIS8_EENS4_21always_true_predicateEEElLj1EEEvT0_T1_SO_
	.globl	_ZN6thrust23THRUST_200600_302600_NS11hip_rocprim14__parallel_for6kernelILj256ENS1_11__transform17unary_transform_fIPNS0_5tupleIxxNS0_9null_typeES7_S7_S7_S7_S7_S7_S7_EENS0_12zip_iteratorINS6_INS0_6detail15normal_iteratorINS0_10device_ptrIxEEEESF_S7_S7_S7_S7_S7_S7_S7_S7_EEEENS4_14no_stencil_tagENS0_8identityIS8_EENS4_21always_true_predicateEEElLj1EEEvT0_T1_SO_
	.p2align	8
	.type	_ZN6thrust23THRUST_200600_302600_NS11hip_rocprim14__parallel_for6kernelILj256ENS1_11__transform17unary_transform_fIPNS0_5tupleIxxNS0_9null_typeES7_S7_S7_S7_S7_S7_S7_EENS0_12zip_iteratorINS6_INS0_6detail15normal_iteratorINS0_10device_ptrIxEEEESF_S7_S7_S7_S7_S7_S7_S7_S7_EEEENS4_14no_stencil_tagENS0_8identityIS8_EENS4_21always_true_predicateEEElLj1EEEvT0_T1_SO_,@function
_ZN6thrust23THRUST_200600_302600_NS11hip_rocprim14__parallel_for6kernelILj256ENS1_11__transform17unary_transform_fIPNS0_5tupleIxxNS0_9null_typeES7_S7_S7_S7_S7_S7_S7_EENS0_12zip_iteratorINS6_INS0_6detail15normal_iteratorINS0_10device_ptrIxEEEESF_S7_S7_S7_S7_S7_S7_S7_S7_EEEENS4_14no_stencil_tagENS0_8identityIS8_EENS4_21always_true_predicateEEElLj1EEEvT0_T1_SO_: ; @_ZN6thrust23THRUST_200600_302600_NS11hip_rocprim14__parallel_for6kernelILj256ENS1_11__transform17unary_transform_fIPNS0_5tupleIxxNS0_9null_typeES7_S7_S7_S7_S7_S7_S7_EENS0_12zip_iteratorINS6_INS0_6detail15normal_iteratorINS0_10device_ptrIxEEEESF_S7_S7_S7_S7_S7_S7_S7_S7_EEEENS4_14no_stencil_tagENS0_8identityIS8_EENS4_21always_true_predicateEEElLj1EEEvT0_T1_SO_
; %bb.0:
	s_load_dwordx4 s[8:11], s[4:5], 0x20
	s_lshl_b32 s0, s6, 8
	v_mov_b32_e32 v2, 0x100
	v_mov_b32_e32 v3, 0
	s_waitcnt lgkmcnt(0)
	s_add_u32 s0, s0, s10
	s_addc_u32 s1, 0, s11
	s_sub_u32 s2, s8, s0
	s_subb_u32 s3, s9, s1
	v_cmp_lt_i64_e32 vcc, s[2:3], v[2:3]
	s_and_b64 s[6:7], vcc, exec
	s_cselect_b32 s6, s2, 0x100
	s_cmpk_eq_i32 s6, 0x100
	s_cselect_b64 s[2:3], -1, 0
	v_cmp_gt_u32_e32 vcc, s6, v0
	s_or_b64 s[2:3], s[2:3], vcc
	s_and_saveexec_b64 s[6:7], s[2:3]
	s_cbranch_execz .LBB3487_2
; %bb.1:
	s_load_dwordx4 s[8:11], s[4:5], 0x0
	s_load_dwordx2 s[2:3], s[4:5], 0x10
	v_mov_b32_e32 v1, s1
	v_add_co_u32_e32 v0, vcc, s0, v0
	v_addc_co_u32_e32 v1, vcc, 0, v1, vcc
	v_lshlrev_b64 v[2:3], 4, v[0:1]
	s_waitcnt lgkmcnt(0)
	v_mov_b32_e32 v4, s9
	v_add_co_u32_e32 v2, vcc, s8, v2
	v_addc_co_u32_e32 v3, vcc, v4, v3, vcc
	global_load_dwordx2 v[4:5], v[2:3], off
	v_lshlrev_b64 v[0:1], 3, v[0:1]
	v_mov_b32_e32 v7, s11
	v_add_co_u32_e32 v6, vcc, s10, v0
	v_addc_co_u32_e32 v7, vcc, v7, v1, vcc
	v_add_co_u32_e32 v0, vcc, s2, v0
	s_waitcnt vmcnt(0)
	global_store_dwordx2 v[6:7], v[4:5], off
	global_load_dwordx2 v[2:3], v[2:3], off offset:8
	v_mov_b32_e32 v4, s3
	v_addc_co_u32_e32 v1, vcc, v4, v1, vcc
	s_waitcnt vmcnt(0)
	global_store_dwordx2 v[0:1], v[2:3], off
.LBB3487_2:
	s_endpgm
	.section	.rodata,"a",@progbits
	.p2align	6, 0x0
	.amdhsa_kernel _ZN6thrust23THRUST_200600_302600_NS11hip_rocprim14__parallel_for6kernelILj256ENS1_11__transform17unary_transform_fIPNS0_5tupleIxxNS0_9null_typeES7_S7_S7_S7_S7_S7_S7_EENS0_12zip_iteratorINS6_INS0_6detail15normal_iteratorINS0_10device_ptrIxEEEESF_S7_S7_S7_S7_S7_S7_S7_S7_EEEENS4_14no_stencil_tagENS0_8identityIS8_EENS4_21always_true_predicateEEElLj1EEEvT0_T1_SO_
		.amdhsa_group_segment_fixed_size 0
		.amdhsa_private_segment_fixed_size 0
		.amdhsa_kernarg_size 48
		.amdhsa_user_sgpr_count 6
		.amdhsa_user_sgpr_private_segment_buffer 1
		.amdhsa_user_sgpr_dispatch_ptr 0
		.amdhsa_user_sgpr_queue_ptr 0
		.amdhsa_user_sgpr_kernarg_segment_ptr 1
		.amdhsa_user_sgpr_dispatch_id 0
		.amdhsa_user_sgpr_flat_scratch_init 0
		.amdhsa_user_sgpr_kernarg_preload_length 0
		.amdhsa_user_sgpr_kernarg_preload_offset 0
		.amdhsa_user_sgpr_private_segment_size 0
		.amdhsa_uses_dynamic_stack 0
		.amdhsa_system_sgpr_private_segment_wavefront_offset 0
		.amdhsa_system_sgpr_workgroup_id_x 1
		.amdhsa_system_sgpr_workgroup_id_y 0
		.amdhsa_system_sgpr_workgroup_id_z 0
		.amdhsa_system_sgpr_workgroup_info 0
		.amdhsa_system_vgpr_workitem_id 0
		.amdhsa_next_free_vgpr 8
		.amdhsa_next_free_sgpr 12
		.amdhsa_accum_offset 8
		.amdhsa_reserve_vcc 1
		.amdhsa_reserve_flat_scratch 0
		.amdhsa_float_round_mode_32 0
		.amdhsa_float_round_mode_16_64 0
		.amdhsa_float_denorm_mode_32 3
		.amdhsa_float_denorm_mode_16_64 3
		.amdhsa_dx10_clamp 1
		.amdhsa_ieee_mode 1
		.amdhsa_fp16_overflow 0
		.amdhsa_tg_split 0
		.amdhsa_exception_fp_ieee_invalid_op 0
		.amdhsa_exception_fp_denorm_src 0
		.amdhsa_exception_fp_ieee_div_zero 0
		.amdhsa_exception_fp_ieee_overflow 0
		.amdhsa_exception_fp_ieee_underflow 0
		.amdhsa_exception_fp_ieee_inexact 0
		.amdhsa_exception_int_div_zero 0
	.end_amdhsa_kernel
	.section	.text._ZN6thrust23THRUST_200600_302600_NS11hip_rocprim14__parallel_for6kernelILj256ENS1_11__transform17unary_transform_fIPNS0_5tupleIxxNS0_9null_typeES7_S7_S7_S7_S7_S7_S7_EENS0_12zip_iteratorINS6_INS0_6detail15normal_iteratorINS0_10device_ptrIxEEEESF_S7_S7_S7_S7_S7_S7_S7_S7_EEEENS4_14no_stencil_tagENS0_8identityIS8_EENS4_21always_true_predicateEEElLj1EEEvT0_T1_SO_,"axG",@progbits,_ZN6thrust23THRUST_200600_302600_NS11hip_rocprim14__parallel_for6kernelILj256ENS1_11__transform17unary_transform_fIPNS0_5tupleIxxNS0_9null_typeES7_S7_S7_S7_S7_S7_S7_EENS0_12zip_iteratorINS6_INS0_6detail15normal_iteratorINS0_10device_ptrIxEEEESF_S7_S7_S7_S7_S7_S7_S7_S7_EEEENS4_14no_stencil_tagENS0_8identityIS8_EENS4_21always_true_predicateEEElLj1EEEvT0_T1_SO_,comdat
.Lfunc_end3487:
	.size	_ZN6thrust23THRUST_200600_302600_NS11hip_rocprim14__parallel_for6kernelILj256ENS1_11__transform17unary_transform_fIPNS0_5tupleIxxNS0_9null_typeES7_S7_S7_S7_S7_S7_S7_EENS0_12zip_iteratorINS6_INS0_6detail15normal_iteratorINS0_10device_ptrIxEEEESF_S7_S7_S7_S7_S7_S7_S7_S7_EEEENS4_14no_stencil_tagENS0_8identityIS8_EENS4_21always_true_predicateEEElLj1EEEvT0_T1_SO_, .Lfunc_end3487-_ZN6thrust23THRUST_200600_302600_NS11hip_rocprim14__parallel_for6kernelILj256ENS1_11__transform17unary_transform_fIPNS0_5tupleIxxNS0_9null_typeES7_S7_S7_S7_S7_S7_S7_EENS0_12zip_iteratorINS6_INS0_6detail15normal_iteratorINS0_10device_ptrIxEEEESF_S7_S7_S7_S7_S7_S7_S7_S7_EEEENS4_14no_stencil_tagENS0_8identityIS8_EENS4_21always_true_predicateEEElLj1EEEvT0_T1_SO_
                                        ; -- End function
	.section	.AMDGPU.csdata,"",@progbits
; Kernel info:
; codeLenInByte = 212
; NumSgprs: 16
; NumVgprs: 8
; NumAgprs: 0
; TotalNumVgprs: 8
; ScratchSize: 0
; MemoryBound: 0
; FloatMode: 240
; IeeeMode: 1
; LDSByteSize: 0 bytes/workgroup (compile time only)
; SGPRBlocks: 1
; VGPRBlocks: 0
; NumSGPRsForWavesPerEU: 16
; NumVGPRsForWavesPerEU: 8
; AccumOffset: 8
; Occupancy: 8
; WaveLimiterHint : 0
; COMPUTE_PGM_RSRC2:SCRATCH_EN: 0
; COMPUTE_PGM_RSRC2:USER_SGPR: 6
; COMPUTE_PGM_RSRC2:TRAP_HANDLER: 0
; COMPUTE_PGM_RSRC2:TGID_X_EN: 1
; COMPUTE_PGM_RSRC2:TGID_Y_EN: 0
; COMPUTE_PGM_RSRC2:TGID_Z_EN: 0
; COMPUTE_PGM_RSRC2:TIDIG_COMP_CNT: 0
; COMPUTE_PGM_RSRC3_GFX90A:ACCUM_OFFSET: 1
; COMPUTE_PGM_RSRC3_GFX90A:TG_SPLIT: 0
	.section	.text._ZN6thrust23THRUST_200600_302600_NS11hip_rocprim14__parallel_for6kernelILj256ENS1_10for_each_fINS0_7pointerINS0_5tupleIiiNS0_9null_typeES7_S7_S7_S7_S7_S7_S7_EENS1_3tagENS0_11use_defaultESA_EENS0_6detail16wrapped_functionINSC_23allocator_traits_detail24construct1_via_allocatorINSC_18no_throw_allocatorINSC_19temporary_allocatorIS8_S9_EEEEEEvEEEEmLj1EEEvT0_T1_SO_,"axG",@progbits,_ZN6thrust23THRUST_200600_302600_NS11hip_rocprim14__parallel_for6kernelILj256ENS1_10for_each_fINS0_7pointerINS0_5tupleIiiNS0_9null_typeES7_S7_S7_S7_S7_S7_S7_EENS1_3tagENS0_11use_defaultESA_EENS0_6detail16wrapped_functionINSC_23allocator_traits_detail24construct1_via_allocatorINSC_18no_throw_allocatorINSC_19temporary_allocatorIS8_S9_EEEEEEvEEEEmLj1EEEvT0_T1_SO_,comdat
	.protected	_ZN6thrust23THRUST_200600_302600_NS11hip_rocprim14__parallel_for6kernelILj256ENS1_10for_each_fINS0_7pointerINS0_5tupleIiiNS0_9null_typeES7_S7_S7_S7_S7_S7_S7_EENS1_3tagENS0_11use_defaultESA_EENS0_6detail16wrapped_functionINSC_23allocator_traits_detail24construct1_via_allocatorINSC_18no_throw_allocatorINSC_19temporary_allocatorIS8_S9_EEEEEEvEEEEmLj1EEEvT0_T1_SO_ ; -- Begin function _ZN6thrust23THRUST_200600_302600_NS11hip_rocprim14__parallel_for6kernelILj256ENS1_10for_each_fINS0_7pointerINS0_5tupleIiiNS0_9null_typeES7_S7_S7_S7_S7_S7_S7_EENS1_3tagENS0_11use_defaultESA_EENS0_6detail16wrapped_functionINSC_23allocator_traits_detail24construct1_via_allocatorINSC_18no_throw_allocatorINSC_19temporary_allocatorIS8_S9_EEEEEEvEEEEmLj1EEEvT0_T1_SO_
	.globl	_ZN6thrust23THRUST_200600_302600_NS11hip_rocprim14__parallel_for6kernelILj256ENS1_10for_each_fINS0_7pointerINS0_5tupleIiiNS0_9null_typeES7_S7_S7_S7_S7_S7_S7_EENS1_3tagENS0_11use_defaultESA_EENS0_6detail16wrapped_functionINSC_23allocator_traits_detail24construct1_via_allocatorINSC_18no_throw_allocatorINSC_19temporary_allocatorIS8_S9_EEEEEEvEEEEmLj1EEEvT0_T1_SO_
	.p2align	8
	.type	_ZN6thrust23THRUST_200600_302600_NS11hip_rocprim14__parallel_for6kernelILj256ENS1_10for_each_fINS0_7pointerINS0_5tupleIiiNS0_9null_typeES7_S7_S7_S7_S7_S7_S7_EENS1_3tagENS0_11use_defaultESA_EENS0_6detail16wrapped_functionINSC_23allocator_traits_detail24construct1_via_allocatorINSC_18no_throw_allocatorINSC_19temporary_allocatorIS8_S9_EEEEEEvEEEEmLj1EEEvT0_T1_SO_,@function
_ZN6thrust23THRUST_200600_302600_NS11hip_rocprim14__parallel_for6kernelILj256ENS1_10for_each_fINS0_7pointerINS0_5tupleIiiNS0_9null_typeES7_S7_S7_S7_S7_S7_S7_EENS1_3tagENS0_11use_defaultESA_EENS0_6detail16wrapped_functionINSC_23allocator_traits_detail24construct1_via_allocatorINSC_18no_throw_allocatorINSC_19temporary_allocatorIS8_S9_EEEEEEvEEEEmLj1EEEvT0_T1_SO_: ; @_ZN6thrust23THRUST_200600_302600_NS11hip_rocprim14__parallel_for6kernelILj256ENS1_10for_each_fINS0_7pointerINS0_5tupleIiiNS0_9null_typeES7_S7_S7_S7_S7_S7_S7_EENS1_3tagENS0_11use_defaultESA_EENS0_6detail16wrapped_functionINSC_23allocator_traits_detail24construct1_via_allocatorINSC_18no_throw_allocatorINSC_19temporary_allocatorIS8_S9_EEEEEEvEEEEmLj1EEEvT0_T1_SO_
; %bb.0:
	s_load_dwordx4 s[8:11], s[4:5], 0x10
	s_load_dwordx2 s[0:1], s[4:5], 0x0
	s_lshl_b32 s2, s6, 8
	v_mov_b32_e32 v2, 0x100
	v_mov_b32_e32 v3, 0
	s_waitcnt lgkmcnt(0)
	s_add_u32 s4, s2, s10
	s_addc_u32 s5, 0, s11
	s_sub_u32 s2, s8, s4
	s_subb_u32 s3, s9, s5
	v_cmp_lt_u64_e32 vcc, s[2:3], v[2:3]
	s_cbranch_vccz .LBB3488_4
; %bb.1:
	v_cmp_gt_u32_e32 vcc, s2, v0
	s_mov_b64 s[6:7], 0
	s_mov_b64 s[2:3], 0
                                        ; implicit-def: $vgpr2_vgpr3
	s_and_saveexec_b64 s[8:9], vcc
	s_xor_b64 s[8:9], exec, s[8:9]
; %bb.2:
	s_lshl_b64 s[10:11], s[4:5], 3
	s_add_u32 s10, s0, s10
	s_addc_u32 s11, s1, s11
	v_lshlrev_b32_e32 v1, 3, v0
	v_mov_b32_e32 v3, s11
	v_add_co_u32_e32 v2, vcc, s10, v1
	s_mov_b64 s[2:3], exec
	v_addc_co_u32_e32 v3, vcc, 0, v3, vcc
; %bb.3:
	s_or_b64 exec, exec, s[8:9]
	s_and_b64 vcc, exec, s[6:7]
	s_cbranch_vccnz .LBB3488_5
	s_branch .LBB3488_6
.LBB3488_4:
	s_mov_b64 s[2:3], 0
                                        ; implicit-def: $vgpr2_vgpr3
	s_cbranch_execz .LBB3488_6
.LBB3488_5:
	s_lshl_b64 s[4:5], s[4:5], 3
	s_add_u32 s0, s0, s4
	s_addc_u32 s1, s1, s5
	v_lshlrev_b32_e32 v0, 3, v0
	v_mov_b32_e32 v1, s1
	v_add_co_u32_e32 v2, vcc, s0, v0
	v_addc_co_u32_e32 v3, vcc, 0, v1, vcc
	s_or_b64 s[2:3], s[2:3], exec
.LBB3488_6:
	s_and_saveexec_b64 s[0:1], s[2:3]
	s_cbranch_execnz .LBB3488_8
; %bb.7:
	s_endpgm
.LBB3488_8:
	v_mov_b32_e32 v0, 0
	v_mov_b32_e32 v1, v0
	flat_store_dwordx2 v[2:3], v[0:1]
	s_endpgm
	.section	.rodata,"a",@progbits
	.p2align	6, 0x0
	.amdhsa_kernel _ZN6thrust23THRUST_200600_302600_NS11hip_rocprim14__parallel_for6kernelILj256ENS1_10for_each_fINS0_7pointerINS0_5tupleIiiNS0_9null_typeES7_S7_S7_S7_S7_S7_S7_EENS1_3tagENS0_11use_defaultESA_EENS0_6detail16wrapped_functionINSC_23allocator_traits_detail24construct1_via_allocatorINSC_18no_throw_allocatorINSC_19temporary_allocatorIS8_S9_EEEEEEvEEEEmLj1EEEvT0_T1_SO_
		.amdhsa_group_segment_fixed_size 0
		.amdhsa_private_segment_fixed_size 0
		.amdhsa_kernarg_size 32
		.amdhsa_user_sgpr_count 6
		.amdhsa_user_sgpr_private_segment_buffer 1
		.amdhsa_user_sgpr_dispatch_ptr 0
		.amdhsa_user_sgpr_queue_ptr 0
		.amdhsa_user_sgpr_kernarg_segment_ptr 1
		.amdhsa_user_sgpr_dispatch_id 0
		.amdhsa_user_sgpr_flat_scratch_init 0
		.amdhsa_user_sgpr_kernarg_preload_length 0
		.amdhsa_user_sgpr_kernarg_preload_offset 0
		.amdhsa_user_sgpr_private_segment_size 0
		.amdhsa_uses_dynamic_stack 0
		.amdhsa_system_sgpr_private_segment_wavefront_offset 0
		.amdhsa_system_sgpr_workgroup_id_x 1
		.amdhsa_system_sgpr_workgroup_id_y 0
		.amdhsa_system_sgpr_workgroup_id_z 0
		.amdhsa_system_sgpr_workgroup_info 0
		.amdhsa_system_vgpr_workitem_id 0
		.amdhsa_next_free_vgpr 4
		.amdhsa_next_free_sgpr 12
		.amdhsa_accum_offset 4
		.amdhsa_reserve_vcc 1
		.amdhsa_reserve_flat_scratch 0
		.amdhsa_float_round_mode_32 0
		.amdhsa_float_round_mode_16_64 0
		.amdhsa_float_denorm_mode_32 3
		.amdhsa_float_denorm_mode_16_64 3
		.amdhsa_dx10_clamp 1
		.amdhsa_ieee_mode 1
		.amdhsa_fp16_overflow 0
		.amdhsa_tg_split 0
		.amdhsa_exception_fp_ieee_invalid_op 0
		.amdhsa_exception_fp_denorm_src 0
		.amdhsa_exception_fp_ieee_div_zero 0
		.amdhsa_exception_fp_ieee_overflow 0
		.amdhsa_exception_fp_ieee_underflow 0
		.amdhsa_exception_fp_ieee_inexact 0
		.amdhsa_exception_int_div_zero 0
	.end_amdhsa_kernel
	.section	.text._ZN6thrust23THRUST_200600_302600_NS11hip_rocprim14__parallel_for6kernelILj256ENS1_10for_each_fINS0_7pointerINS0_5tupleIiiNS0_9null_typeES7_S7_S7_S7_S7_S7_S7_EENS1_3tagENS0_11use_defaultESA_EENS0_6detail16wrapped_functionINSC_23allocator_traits_detail24construct1_via_allocatorINSC_18no_throw_allocatorINSC_19temporary_allocatorIS8_S9_EEEEEEvEEEEmLj1EEEvT0_T1_SO_,"axG",@progbits,_ZN6thrust23THRUST_200600_302600_NS11hip_rocprim14__parallel_for6kernelILj256ENS1_10for_each_fINS0_7pointerINS0_5tupleIiiNS0_9null_typeES7_S7_S7_S7_S7_S7_S7_EENS1_3tagENS0_11use_defaultESA_EENS0_6detail16wrapped_functionINSC_23allocator_traits_detail24construct1_via_allocatorINSC_18no_throw_allocatorINSC_19temporary_allocatorIS8_S9_EEEEEEvEEEEmLj1EEEvT0_T1_SO_,comdat
.Lfunc_end3488:
	.size	_ZN6thrust23THRUST_200600_302600_NS11hip_rocprim14__parallel_for6kernelILj256ENS1_10for_each_fINS0_7pointerINS0_5tupleIiiNS0_9null_typeES7_S7_S7_S7_S7_S7_S7_EENS1_3tagENS0_11use_defaultESA_EENS0_6detail16wrapped_functionINSC_23allocator_traits_detail24construct1_via_allocatorINSC_18no_throw_allocatorINSC_19temporary_allocatorIS8_S9_EEEEEEvEEEEmLj1EEEvT0_T1_SO_, .Lfunc_end3488-_ZN6thrust23THRUST_200600_302600_NS11hip_rocprim14__parallel_for6kernelILj256ENS1_10for_each_fINS0_7pointerINS0_5tupleIiiNS0_9null_typeES7_S7_S7_S7_S7_S7_S7_EENS1_3tagENS0_11use_defaultESA_EENS0_6detail16wrapped_functionINSC_23allocator_traits_detail24construct1_via_allocatorINSC_18no_throw_allocatorINSC_19temporary_allocatorIS8_S9_EEEEEEvEEEEmLj1EEEvT0_T1_SO_
                                        ; -- End function
	.section	.AMDGPU.csdata,"",@progbits
; Kernel info:
; codeLenInByte = 200
; NumSgprs: 16
; NumVgprs: 4
; NumAgprs: 0
; TotalNumVgprs: 4
; ScratchSize: 0
; MemoryBound: 0
; FloatMode: 240
; IeeeMode: 1
; LDSByteSize: 0 bytes/workgroup (compile time only)
; SGPRBlocks: 1
; VGPRBlocks: 0
; NumSGPRsForWavesPerEU: 16
; NumVGPRsForWavesPerEU: 4
; AccumOffset: 4
; Occupancy: 8
; WaveLimiterHint : 0
; COMPUTE_PGM_RSRC2:SCRATCH_EN: 0
; COMPUTE_PGM_RSRC2:USER_SGPR: 6
; COMPUTE_PGM_RSRC2:TRAP_HANDLER: 0
; COMPUTE_PGM_RSRC2:TGID_X_EN: 1
; COMPUTE_PGM_RSRC2:TGID_Y_EN: 0
; COMPUTE_PGM_RSRC2:TGID_Z_EN: 0
; COMPUTE_PGM_RSRC2:TIDIG_COMP_CNT: 0
; COMPUTE_PGM_RSRC3_GFX90A:ACCUM_OFFSET: 0
; COMPUTE_PGM_RSRC3_GFX90A:TG_SPLIT: 0
	.section	.text._ZN6thrust23THRUST_200600_302600_NS11hip_rocprim14__parallel_for6kernelILj256ENS1_10for_each_fINS0_7pointerINS0_5tupleIiiNS0_9null_typeES7_S7_S7_S7_S7_S7_S7_EENS1_3tagENS0_11use_defaultESA_EENS0_6detail16wrapped_functionINSC_23allocator_traits_detail5gozerEvEEEElLj1EEEvT0_T1_SJ_,"axG",@progbits,_ZN6thrust23THRUST_200600_302600_NS11hip_rocprim14__parallel_for6kernelILj256ENS1_10for_each_fINS0_7pointerINS0_5tupleIiiNS0_9null_typeES7_S7_S7_S7_S7_S7_S7_EENS1_3tagENS0_11use_defaultESA_EENS0_6detail16wrapped_functionINSC_23allocator_traits_detail5gozerEvEEEElLj1EEEvT0_T1_SJ_,comdat
	.protected	_ZN6thrust23THRUST_200600_302600_NS11hip_rocprim14__parallel_for6kernelILj256ENS1_10for_each_fINS0_7pointerINS0_5tupleIiiNS0_9null_typeES7_S7_S7_S7_S7_S7_S7_EENS1_3tagENS0_11use_defaultESA_EENS0_6detail16wrapped_functionINSC_23allocator_traits_detail5gozerEvEEEElLj1EEEvT0_T1_SJ_ ; -- Begin function _ZN6thrust23THRUST_200600_302600_NS11hip_rocprim14__parallel_for6kernelILj256ENS1_10for_each_fINS0_7pointerINS0_5tupleIiiNS0_9null_typeES7_S7_S7_S7_S7_S7_S7_EENS1_3tagENS0_11use_defaultESA_EENS0_6detail16wrapped_functionINSC_23allocator_traits_detail5gozerEvEEEElLj1EEEvT0_T1_SJ_
	.globl	_ZN6thrust23THRUST_200600_302600_NS11hip_rocprim14__parallel_for6kernelILj256ENS1_10for_each_fINS0_7pointerINS0_5tupleIiiNS0_9null_typeES7_S7_S7_S7_S7_S7_S7_EENS1_3tagENS0_11use_defaultESA_EENS0_6detail16wrapped_functionINSC_23allocator_traits_detail5gozerEvEEEElLj1EEEvT0_T1_SJ_
	.p2align	8
	.type	_ZN6thrust23THRUST_200600_302600_NS11hip_rocprim14__parallel_for6kernelILj256ENS1_10for_each_fINS0_7pointerINS0_5tupleIiiNS0_9null_typeES7_S7_S7_S7_S7_S7_S7_EENS1_3tagENS0_11use_defaultESA_EENS0_6detail16wrapped_functionINSC_23allocator_traits_detail5gozerEvEEEElLj1EEEvT0_T1_SJ_,@function
_ZN6thrust23THRUST_200600_302600_NS11hip_rocprim14__parallel_for6kernelILj256ENS1_10for_each_fINS0_7pointerINS0_5tupleIiiNS0_9null_typeES7_S7_S7_S7_S7_S7_S7_EENS1_3tagENS0_11use_defaultESA_EENS0_6detail16wrapped_functionINSC_23allocator_traits_detail5gozerEvEEEElLj1EEEvT0_T1_SJ_: ; @_ZN6thrust23THRUST_200600_302600_NS11hip_rocprim14__parallel_for6kernelILj256ENS1_10for_each_fINS0_7pointerINS0_5tupleIiiNS0_9null_typeES7_S7_S7_S7_S7_S7_S7_EENS1_3tagENS0_11use_defaultESA_EENS0_6detail16wrapped_functionINSC_23allocator_traits_detail5gozerEvEEEElLj1EEEvT0_T1_SJ_
; %bb.0:
	s_endpgm
	.section	.rodata,"a",@progbits
	.p2align	6, 0x0
	.amdhsa_kernel _ZN6thrust23THRUST_200600_302600_NS11hip_rocprim14__parallel_for6kernelILj256ENS1_10for_each_fINS0_7pointerINS0_5tupleIiiNS0_9null_typeES7_S7_S7_S7_S7_S7_S7_EENS1_3tagENS0_11use_defaultESA_EENS0_6detail16wrapped_functionINSC_23allocator_traits_detail5gozerEvEEEElLj1EEEvT0_T1_SJ_
		.amdhsa_group_segment_fixed_size 0
		.amdhsa_private_segment_fixed_size 0
		.amdhsa_kernarg_size 32
		.amdhsa_user_sgpr_count 6
		.amdhsa_user_sgpr_private_segment_buffer 1
		.amdhsa_user_sgpr_dispatch_ptr 0
		.amdhsa_user_sgpr_queue_ptr 0
		.amdhsa_user_sgpr_kernarg_segment_ptr 1
		.amdhsa_user_sgpr_dispatch_id 0
		.amdhsa_user_sgpr_flat_scratch_init 0
		.amdhsa_user_sgpr_kernarg_preload_length 0
		.amdhsa_user_sgpr_kernarg_preload_offset 0
		.amdhsa_user_sgpr_private_segment_size 0
		.amdhsa_uses_dynamic_stack 0
		.amdhsa_system_sgpr_private_segment_wavefront_offset 0
		.amdhsa_system_sgpr_workgroup_id_x 1
		.amdhsa_system_sgpr_workgroup_id_y 0
		.amdhsa_system_sgpr_workgroup_id_z 0
		.amdhsa_system_sgpr_workgroup_info 0
		.amdhsa_system_vgpr_workitem_id 0
		.amdhsa_next_free_vgpr 1
		.amdhsa_next_free_sgpr 0
		.amdhsa_accum_offset 4
		.amdhsa_reserve_vcc 0
		.amdhsa_reserve_flat_scratch 0
		.amdhsa_float_round_mode_32 0
		.amdhsa_float_round_mode_16_64 0
		.amdhsa_float_denorm_mode_32 3
		.amdhsa_float_denorm_mode_16_64 3
		.amdhsa_dx10_clamp 1
		.amdhsa_ieee_mode 1
		.amdhsa_fp16_overflow 0
		.amdhsa_tg_split 0
		.amdhsa_exception_fp_ieee_invalid_op 0
		.amdhsa_exception_fp_denorm_src 0
		.amdhsa_exception_fp_ieee_div_zero 0
		.amdhsa_exception_fp_ieee_overflow 0
		.amdhsa_exception_fp_ieee_underflow 0
		.amdhsa_exception_fp_ieee_inexact 0
		.amdhsa_exception_int_div_zero 0
	.end_amdhsa_kernel
	.section	.text._ZN6thrust23THRUST_200600_302600_NS11hip_rocprim14__parallel_for6kernelILj256ENS1_10for_each_fINS0_7pointerINS0_5tupleIiiNS0_9null_typeES7_S7_S7_S7_S7_S7_S7_EENS1_3tagENS0_11use_defaultESA_EENS0_6detail16wrapped_functionINSC_23allocator_traits_detail5gozerEvEEEElLj1EEEvT0_T1_SJ_,"axG",@progbits,_ZN6thrust23THRUST_200600_302600_NS11hip_rocprim14__parallel_for6kernelILj256ENS1_10for_each_fINS0_7pointerINS0_5tupleIiiNS0_9null_typeES7_S7_S7_S7_S7_S7_S7_EENS1_3tagENS0_11use_defaultESA_EENS0_6detail16wrapped_functionINSC_23allocator_traits_detail5gozerEvEEEElLj1EEEvT0_T1_SJ_,comdat
.Lfunc_end3489:
	.size	_ZN6thrust23THRUST_200600_302600_NS11hip_rocprim14__parallel_for6kernelILj256ENS1_10for_each_fINS0_7pointerINS0_5tupleIiiNS0_9null_typeES7_S7_S7_S7_S7_S7_S7_EENS1_3tagENS0_11use_defaultESA_EENS0_6detail16wrapped_functionINSC_23allocator_traits_detail5gozerEvEEEElLj1EEEvT0_T1_SJ_, .Lfunc_end3489-_ZN6thrust23THRUST_200600_302600_NS11hip_rocprim14__parallel_for6kernelILj256ENS1_10for_each_fINS0_7pointerINS0_5tupleIiiNS0_9null_typeES7_S7_S7_S7_S7_S7_S7_EENS1_3tagENS0_11use_defaultESA_EENS0_6detail16wrapped_functionINSC_23allocator_traits_detail5gozerEvEEEElLj1EEEvT0_T1_SJ_
                                        ; -- End function
	.section	.AMDGPU.csdata,"",@progbits
; Kernel info:
; codeLenInByte = 4
; NumSgprs: 4
; NumVgprs: 0
; NumAgprs: 0
; TotalNumVgprs: 0
; ScratchSize: 0
; MemoryBound: 0
; FloatMode: 240
; IeeeMode: 1
; LDSByteSize: 0 bytes/workgroup (compile time only)
; SGPRBlocks: 0
; VGPRBlocks: 0
; NumSGPRsForWavesPerEU: 4
; NumVGPRsForWavesPerEU: 1
; AccumOffset: 4
; Occupancy: 8
; WaveLimiterHint : 0
; COMPUTE_PGM_RSRC2:SCRATCH_EN: 0
; COMPUTE_PGM_RSRC2:USER_SGPR: 6
; COMPUTE_PGM_RSRC2:TRAP_HANDLER: 0
; COMPUTE_PGM_RSRC2:TGID_X_EN: 1
; COMPUTE_PGM_RSRC2:TGID_Y_EN: 0
; COMPUTE_PGM_RSRC2:TGID_Z_EN: 0
; COMPUTE_PGM_RSRC2:TIDIG_COMP_CNT: 0
; COMPUTE_PGM_RSRC3_GFX90A:ACCUM_OFFSET: 0
; COMPUTE_PGM_RSRC3_GFX90A:TG_SPLIT: 0
	.section	.text._ZN6thrust23THRUST_200600_302600_NS11hip_rocprim14__parallel_for6kernelILj256ENS1_20__uninitialized_copy7functorINS0_12zip_iteratorINS0_5tupleINS0_6detail15normal_iteratorINS0_10device_ptrIiEEEESC_NS0_9null_typeESD_SD_SD_SD_SD_SD_SD_EEEENS9_INS0_7pointerINS7_IiiSD_SD_SD_SD_SD_SD_SD_SD_EENS1_3tagENS0_11use_defaultESJ_EEEEEElLj1EEEvT0_T1_SO_,"axG",@progbits,_ZN6thrust23THRUST_200600_302600_NS11hip_rocprim14__parallel_for6kernelILj256ENS1_20__uninitialized_copy7functorINS0_12zip_iteratorINS0_5tupleINS0_6detail15normal_iteratorINS0_10device_ptrIiEEEESC_NS0_9null_typeESD_SD_SD_SD_SD_SD_SD_EEEENS9_INS0_7pointerINS7_IiiSD_SD_SD_SD_SD_SD_SD_SD_EENS1_3tagENS0_11use_defaultESJ_EEEEEElLj1EEEvT0_T1_SO_,comdat
	.protected	_ZN6thrust23THRUST_200600_302600_NS11hip_rocprim14__parallel_for6kernelILj256ENS1_20__uninitialized_copy7functorINS0_12zip_iteratorINS0_5tupleINS0_6detail15normal_iteratorINS0_10device_ptrIiEEEESC_NS0_9null_typeESD_SD_SD_SD_SD_SD_SD_EEEENS9_INS0_7pointerINS7_IiiSD_SD_SD_SD_SD_SD_SD_SD_EENS1_3tagENS0_11use_defaultESJ_EEEEEElLj1EEEvT0_T1_SO_ ; -- Begin function _ZN6thrust23THRUST_200600_302600_NS11hip_rocprim14__parallel_for6kernelILj256ENS1_20__uninitialized_copy7functorINS0_12zip_iteratorINS0_5tupleINS0_6detail15normal_iteratorINS0_10device_ptrIiEEEESC_NS0_9null_typeESD_SD_SD_SD_SD_SD_SD_EEEENS9_INS0_7pointerINS7_IiiSD_SD_SD_SD_SD_SD_SD_SD_EENS1_3tagENS0_11use_defaultESJ_EEEEEElLj1EEEvT0_T1_SO_
	.globl	_ZN6thrust23THRUST_200600_302600_NS11hip_rocprim14__parallel_for6kernelILj256ENS1_20__uninitialized_copy7functorINS0_12zip_iteratorINS0_5tupleINS0_6detail15normal_iteratorINS0_10device_ptrIiEEEESC_NS0_9null_typeESD_SD_SD_SD_SD_SD_SD_EEEENS9_INS0_7pointerINS7_IiiSD_SD_SD_SD_SD_SD_SD_SD_EENS1_3tagENS0_11use_defaultESJ_EEEEEElLj1EEEvT0_T1_SO_
	.p2align	8
	.type	_ZN6thrust23THRUST_200600_302600_NS11hip_rocprim14__parallel_for6kernelILj256ENS1_20__uninitialized_copy7functorINS0_12zip_iteratorINS0_5tupleINS0_6detail15normal_iteratorINS0_10device_ptrIiEEEESC_NS0_9null_typeESD_SD_SD_SD_SD_SD_SD_EEEENS9_INS0_7pointerINS7_IiiSD_SD_SD_SD_SD_SD_SD_SD_EENS1_3tagENS0_11use_defaultESJ_EEEEEElLj1EEEvT0_T1_SO_,@function
_ZN6thrust23THRUST_200600_302600_NS11hip_rocprim14__parallel_for6kernelILj256ENS1_20__uninitialized_copy7functorINS0_12zip_iteratorINS0_5tupleINS0_6detail15normal_iteratorINS0_10device_ptrIiEEEESC_NS0_9null_typeESD_SD_SD_SD_SD_SD_SD_EEEENS9_INS0_7pointerINS7_IiiSD_SD_SD_SD_SD_SD_SD_SD_EENS1_3tagENS0_11use_defaultESJ_EEEEEElLj1EEEvT0_T1_SO_: ; @_ZN6thrust23THRUST_200600_302600_NS11hip_rocprim14__parallel_for6kernelILj256ENS1_20__uninitialized_copy7functorINS0_12zip_iteratorINS0_5tupleINS0_6detail15normal_iteratorINS0_10device_ptrIiEEEESC_NS0_9null_typeESD_SD_SD_SD_SD_SD_SD_EEEENS9_INS0_7pointerINS7_IiiSD_SD_SD_SD_SD_SD_SD_SD_EENS1_3tagENS0_11use_defaultESJ_EEEEEElLj1EEEvT0_T1_SO_
; %bb.0:
	s_load_dwordx4 s[8:11], s[4:5], 0x18
	s_lshl_b32 s0, s6, 8
	v_mov_b32_e32 v2, 0x100
	v_mov_b32_e32 v3, 0
	s_waitcnt lgkmcnt(0)
	s_add_u32 s0, s0, s10
	s_addc_u32 s1, 0, s11
	s_sub_u32 s2, s8, s0
	s_subb_u32 s3, s9, s1
	v_cmp_lt_i64_e32 vcc, s[2:3], v[2:3]
	s_and_b64 s[6:7], vcc, exec
	s_cselect_b32 s6, s2, 0x100
	s_cmpk_eq_i32 s6, 0x100
	s_cselect_b64 s[2:3], -1, 0
	v_cmp_gt_u32_e32 vcc, s6, v0
	s_or_b64 s[2:3], s[2:3], vcc
	s_and_saveexec_b64 s[6:7], s[2:3]
	s_cbranch_execz .LBB3490_2
; %bb.1:
	s_load_dwordx4 s[8:11], s[4:5], 0x0
	s_load_dwordx2 s[2:3], s[4:5], 0x10
	v_mov_b32_e32 v1, s1
	v_add_co_u32_e32 v0, vcc, s0, v0
	v_addc_co_u32_e32 v1, vcc, 0, v1, vcc
	v_lshlrev_b64 v[2:3], 2, v[0:1]
	s_waitcnt lgkmcnt(0)
	v_mov_b32_e32 v5, s9
	v_add_co_u32_e32 v4, vcc, s8, v2
	v_addc_co_u32_e32 v5, vcc, v5, v3, vcc
	v_mov_b32_e32 v6, s11
	v_add_co_u32_e32 v2, vcc, s10, v2
	v_addc_co_u32_e32 v3, vcc, v6, v3, vcc
	global_load_dword v6, v[4:5], off
	global_load_dword v7, v[2:3], off
	v_lshlrev_b64 v[0:1], 3, v[0:1]
	v_mov_b32_e32 v2, s3
	v_add_co_u32_e32 v0, vcc, s2, v0
	v_addc_co_u32_e32 v1, vcc, v2, v1, vcc
	s_waitcnt vmcnt(0)
	flat_store_dwordx2 v[0:1], v[6:7]
.LBB3490_2:
	s_endpgm
	.section	.rodata,"a",@progbits
	.p2align	6, 0x0
	.amdhsa_kernel _ZN6thrust23THRUST_200600_302600_NS11hip_rocprim14__parallel_for6kernelILj256ENS1_20__uninitialized_copy7functorINS0_12zip_iteratorINS0_5tupleINS0_6detail15normal_iteratorINS0_10device_ptrIiEEEESC_NS0_9null_typeESD_SD_SD_SD_SD_SD_SD_EEEENS9_INS0_7pointerINS7_IiiSD_SD_SD_SD_SD_SD_SD_SD_EENS1_3tagENS0_11use_defaultESJ_EEEEEElLj1EEEvT0_T1_SO_
		.amdhsa_group_segment_fixed_size 0
		.amdhsa_private_segment_fixed_size 0
		.amdhsa_kernarg_size 40
		.amdhsa_user_sgpr_count 6
		.amdhsa_user_sgpr_private_segment_buffer 1
		.amdhsa_user_sgpr_dispatch_ptr 0
		.amdhsa_user_sgpr_queue_ptr 0
		.amdhsa_user_sgpr_kernarg_segment_ptr 1
		.amdhsa_user_sgpr_dispatch_id 0
		.amdhsa_user_sgpr_flat_scratch_init 0
		.amdhsa_user_sgpr_kernarg_preload_length 0
		.amdhsa_user_sgpr_kernarg_preload_offset 0
		.amdhsa_user_sgpr_private_segment_size 0
		.amdhsa_uses_dynamic_stack 0
		.amdhsa_system_sgpr_private_segment_wavefront_offset 0
		.amdhsa_system_sgpr_workgroup_id_x 1
		.amdhsa_system_sgpr_workgroup_id_y 0
		.amdhsa_system_sgpr_workgroup_id_z 0
		.amdhsa_system_sgpr_workgroup_info 0
		.amdhsa_system_vgpr_workitem_id 0
		.amdhsa_next_free_vgpr 8
		.amdhsa_next_free_sgpr 12
		.amdhsa_accum_offset 8
		.amdhsa_reserve_vcc 1
		.amdhsa_reserve_flat_scratch 0
		.amdhsa_float_round_mode_32 0
		.amdhsa_float_round_mode_16_64 0
		.amdhsa_float_denorm_mode_32 3
		.amdhsa_float_denorm_mode_16_64 3
		.amdhsa_dx10_clamp 1
		.amdhsa_ieee_mode 1
		.amdhsa_fp16_overflow 0
		.amdhsa_tg_split 0
		.amdhsa_exception_fp_ieee_invalid_op 0
		.amdhsa_exception_fp_denorm_src 0
		.amdhsa_exception_fp_ieee_div_zero 0
		.amdhsa_exception_fp_ieee_overflow 0
		.amdhsa_exception_fp_ieee_underflow 0
		.amdhsa_exception_fp_ieee_inexact 0
		.amdhsa_exception_int_div_zero 0
	.end_amdhsa_kernel
	.section	.text._ZN6thrust23THRUST_200600_302600_NS11hip_rocprim14__parallel_for6kernelILj256ENS1_20__uninitialized_copy7functorINS0_12zip_iteratorINS0_5tupleINS0_6detail15normal_iteratorINS0_10device_ptrIiEEEESC_NS0_9null_typeESD_SD_SD_SD_SD_SD_SD_EEEENS9_INS0_7pointerINS7_IiiSD_SD_SD_SD_SD_SD_SD_SD_EENS1_3tagENS0_11use_defaultESJ_EEEEEElLj1EEEvT0_T1_SO_,"axG",@progbits,_ZN6thrust23THRUST_200600_302600_NS11hip_rocprim14__parallel_for6kernelILj256ENS1_20__uninitialized_copy7functorINS0_12zip_iteratorINS0_5tupleINS0_6detail15normal_iteratorINS0_10device_ptrIiEEEESC_NS0_9null_typeESD_SD_SD_SD_SD_SD_SD_EEEENS9_INS0_7pointerINS7_IiiSD_SD_SD_SD_SD_SD_SD_SD_EENS1_3tagENS0_11use_defaultESJ_EEEEEElLj1EEEvT0_T1_SO_,comdat
.Lfunc_end3490:
	.size	_ZN6thrust23THRUST_200600_302600_NS11hip_rocprim14__parallel_for6kernelILj256ENS1_20__uninitialized_copy7functorINS0_12zip_iteratorINS0_5tupleINS0_6detail15normal_iteratorINS0_10device_ptrIiEEEESC_NS0_9null_typeESD_SD_SD_SD_SD_SD_SD_EEEENS9_INS0_7pointerINS7_IiiSD_SD_SD_SD_SD_SD_SD_SD_EENS1_3tagENS0_11use_defaultESJ_EEEEEElLj1EEEvT0_T1_SO_, .Lfunc_end3490-_ZN6thrust23THRUST_200600_302600_NS11hip_rocprim14__parallel_for6kernelILj256ENS1_20__uninitialized_copy7functorINS0_12zip_iteratorINS0_5tupleINS0_6detail15normal_iteratorINS0_10device_ptrIiEEEESC_NS0_9null_typeESD_SD_SD_SD_SD_SD_SD_EEEENS9_INS0_7pointerINS7_IiiSD_SD_SD_SD_SD_SD_SD_SD_EENS1_3tagENS0_11use_defaultESJ_EEEEEElLj1EEEvT0_T1_SO_
                                        ; -- End function
	.section	.AMDGPU.csdata,"",@progbits
; Kernel info:
; codeLenInByte = 200
; NumSgprs: 16
; NumVgprs: 8
; NumAgprs: 0
; TotalNumVgprs: 8
; ScratchSize: 0
; MemoryBound: 0
; FloatMode: 240
; IeeeMode: 1
; LDSByteSize: 0 bytes/workgroup (compile time only)
; SGPRBlocks: 1
; VGPRBlocks: 0
; NumSGPRsForWavesPerEU: 16
; NumVGPRsForWavesPerEU: 8
; AccumOffset: 8
; Occupancy: 8
; WaveLimiterHint : 0
; COMPUTE_PGM_RSRC2:SCRATCH_EN: 0
; COMPUTE_PGM_RSRC2:USER_SGPR: 6
; COMPUTE_PGM_RSRC2:TRAP_HANDLER: 0
; COMPUTE_PGM_RSRC2:TGID_X_EN: 1
; COMPUTE_PGM_RSRC2:TGID_Y_EN: 0
; COMPUTE_PGM_RSRC2:TGID_Z_EN: 0
; COMPUTE_PGM_RSRC2:TIDIG_COMP_CNT: 0
; COMPUTE_PGM_RSRC3_GFX90A:ACCUM_OFFSET: 1
; COMPUTE_PGM_RSRC3_GFX90A:TG_SPLIT: 0
	.section	.text._ZN7rocprim17ROCPRIM_400000_NS6detail17trampoline_kernelINS0_14default_configENS1_25partition_config_selectorILNS1_17partition_subalgoE3EN6thrust23THRUST_200600_302600_NS5tupleIiiNS7_9null_typeES9_S9_S9_S9_S9_S9_S9_EENS0_10empty_typeEbEEZZNS1_14partition_implILS5_3ELb0ES3_jNS7_6detail15normal_iteratorINS7_7pointerISA_NS7_11hip_rocprim3tagENS7_11use_defaultESJ_EEEEPSB_SM_NS0_5tupleIJPSA_SM_EEENSN_IJSM_SM_EEESB_PlJ10is_orderedEEE10hipError_tPvRmT3_T4_T5_T6_T7_T9_mT8_P12ihipStream_tbDpT10_ENKUlT_T0_E_clISt17integral_constantIbLb0EES1C_EEDaS17_S18_EUlS17_E_NS1_11comp_targetILNS1_3genE0ELNS1_11target_archE4294967295ELNS1_3gpuE0ELNS1_3repE0EEENS1_30default_config_static_selectorELNS0_4arch9wavefront6targetE1EEEvT1_,"axG",@progbits,_ZN7rocprim17ROCPRIM_400000_NS6detail17trampoline_kernelINS0_14default_configENS1_25partition_config_selectorILNS1_17partition_subalgoE3EN6thrust23THRUST_200600_302600_NS5tupleIiiNS7_9null_typeES9_S9_S9_S9_S9_S9_S9_EENS0_10empty_typeEbEEZZNS1_14partition_implILS5_3ELb0ES3_jNS7_6detail15normal_iteratorINS7_7pointerISA_NS7_11hip_rocprim3tagENS7_11use_defaultESJ_EEEEPSB_SM_NS0_5tupleIJPSA_SM_EEENSN_IJSM_SM_EEESB_PlJ10is_orderedEEE10hipError_tPvRmT3_T4_T5_T6_T7_T9_mT8_P12ihipStream_tbDpT10_ENKUlT_T0_E_clISt17integral_constantIbLb0EES1C_EEDaS17_S18_EUlS17_E_NS1_11comp_targetILNS1_3genE0ELNS1_11target_archE4294967295ELNS1_3gpuE0ELNS1_3repE0EEENS1_30default_config_static_selectorELNS0_4arch9wavefront6targetE1EEEvT1_,comdat
	.protected	_ZN7rocprim17ROCPRIM_400000_NS6detail17trampoline_kernelINS0_14default_configENS1_25partition_config_selectorILNS1_17partition_subalgoE3EN6thrust23THRUST_200600_302600_NS5tupleIiiNS7_9null_typeES9_S9_S9_S9_S9_S9_S9_EENS0_10empty_typeEbEEZZNS1_14partition_implILS5_3ELb0ES3_jNS7_6detail15normal_iteratorINS7_7pointerISA_NS7_11hip_rocprim3tagENS7_11use_defaultESJ_EEEEPSB_SM_NS0_5tupleIJPSA_SM_EEENSN_IJSM_SM_EEESB_PlJ10is_orderedEEE10hipError_tPvRmT3_T4_T5_T6_T7_T9_mT8_P12ihipStream_tbDpT10_ENKUlT_T0_E_clISt17integral_constantIbLb0EES1C_EEDaS17_S18_EUlS17_E_NS1_11comp_targetILNS1_3genE0ELNS1_11target_archE4294967295ELNS1_3gpuE0ELNS1_3repE0EEENS1_30default_config_static_selectorELNS0_4arch9wavefront6targetE1EEEvT1_ ; -- Begin function _ZN7rocprim17ROCPRIM_400000_NS6detail17trampoline_kernelINS0_14default_configENS1_25partition_config_selectorILNS1_17partition_subalgoE3EN6thrust23THRUST_200600_302600_NS5tupleIiiNS7_9null_typeES9_S9_S9_S9_S9_S9_S9_EENS0_10empty_typeEbEEZZNS1_14partition_implILS5_3ELb0ES3_jNS7_6detail15normal_iteratorINS7_7pointerISA_NS7_11hip_rocprim3tagENS7_11use_defaultESJ_EEEEPSB_SM_NS0_5tupleIJPSA_SM_EEENSN_IJSM_SM_EEESB_PlJ10is_orderedEEE10hipError_tPvRmT3_T4_T5_T6_T7_T9_mT8_P12ihipStream_tbDpT10_ENKUlT_T0_E_clISt17integral_constantIbLb0EES1C_EEDaS17_S18_EUlS17_E_NS1_11comp_targetILNS1_3genE0ELNS1_11target_archE4294967295ELNS1_3gpuE0ELNS1_3repE0EEENS1_30default_config_static_selectorELNS0_4arch9wavefront6targetE1EEEvT1_
	.globl	_ZN7rocprim17ROCPRIM_400000_NS6detail17trampoline_kernelINS0_14default_configENS1_25partition_config_selectorILNS1_17partition_subalgoE3EN6thrust23THRUST_200600_302600_NS5tupleIiiNS7_9null_typeES9_S9_S9_S9_S9_S9_S9_EENS0_10empty_typeEbEEZZNS1_14partition_implILS5_3ELb0ES3_jNS7_6detail15normal_iteratorINS7_7pointerISA_NS7_11hip_rocprim3tagENS7_11use_defaultESJ_EEEEPSB_SM_NS0_5tupleIJPSA_SM_EEENSN_IJSM_SM_EEESB_PlJ10is_orderedEEE10hipError_tPvRmT3_T4_T5_T6_T7_T9_mT8_P12ihipStream_tbDpT10_ENKUlT_T0_E_clISt17integral_constantIbLb0EES1C_EEDaS17_S18_EUlS17_E_NS1_11comp_targetILNS1_3genE0ELNS1_11target_archE4294967295ELNS1_3gpuE0ELNS1_3repE0EEENS1_30default_config_static_selectorELNS0_4arch9wavefront6targetE1EEEvT1_
	.p2align	8
	.type	_ZN7rocprim17ROCPRIM_400000_NS6detail17trampoline_kernelINS0_14default_configENS1_25partition_config_selectorILNS1_17partition_subalgoE3EN6thrust23THRUST_200600_302600_NS5tupleIiiNS7_9null_typeES9_S9_S9_S9_S9_S9_S9_EENS0_10empty_typeEbEEZZNS1_14partition_implILS5_3ELb0ES3_jNS7_6detail15normal_iteratorINS7_7pointerISA_NS7_11hip_rocprim3tagENS7_11use_defaultESJ_EEEEPSB_SM_NS0_5tupleIJPSA_SM_EEENSN_IJSM_SM_EEESB_PlJ10is_orderedEEE10hipError_tPvRmT3_T4_T5_T6_T7_T9_mT8_P12ihipStream_tbDpT10_ENKUlT_T0_E_clISt17integral_constantIbLb0EES1C_EEDaS17_S18_EUlS17_E_NS1_11comp_targetILNS1_3genE0ELNS1_11target_archE4294967295ELNS1_3gpuE0ELNS1_3repE0EEENS1_30default_config_static_selectorELNS0_4arch9wavefront6targetE1EEEvT1_,@function
_ZN7rocprim17ROCPRIM_400000_NS6detail17trampoline_kernelINS0_14default_configENS1_25partition_config_selectorILNS1_17partition_subalgoE3EN6thrust23THRUST_200600_302600_NS5tupleIiiNS7_9null_typeES9_S9_S9_S9_S9_S9_S9_EENS0_10empty_typeEbEEZZNS1_14partition_implILS5_3ELb0ES3_jNS7_6detail15normal_iteratorINS7_7pointerISA_NS7_11hip_rocprim3tagENS7_11use_defaultESJ_EEEEPSB_SM_NS0_5tupleIJPSA_SM_EEENSN_IJSM_SM_EEESB_PlJ10is_orderedEEE10hipError_tPvRmT3_T4_T5_T6_T7_T9_mT8_P12ihipStream_tbDpT10_ENKUlT_T0_E_clISt17integral_constantIbLb0EES1C_EEDaS17_S18_EUlS17_E_NS1_11comp_targetILNS1_3genE0ELNS1_11target_archE4294967295ELNS1_3gpuE0ELNS1_3repE0EEENS1_30default_config_static_selectorELNS0_4arch9wavefront6targetE1EEEvT1_: ; @_ZN7rocprim17ROCPRIM_400000_NS6detail17trampoline_kernelINS0_14default_configENS1_25partition_config_selectorILNS1_17partition_subalgoE3EN6thrust23THRUST_200600_302600_NS5tupleIiiNS7_9null_typeES9_S9_S9_S9_S9_S9_S9_EENS0_10empty_typeEbEEZZNS1_14partition_implILS5_3ELb0ES3_jNS7_6detail15normal_iteratorINS7_7pointerISA_NS7_11hip_rocprim3tagENS7_11use_defaultESJ_EEEEPSB_SM_NS0_5tupleIJPSA_SM_EEENSN_IJSM_SM_EEESB_PlJ10is_orderedEEE10hipError_tPvRmT3_T4_T5_T6_T7_T9_mT8_P12ihipStream_tbDpT10_ENKUlT_T0_E_clISt17integral_constantIbLb0EES1C_EEDaS17_S18_EUlS17_E_NS1_11comp_targetILNS1_3genE0ELNS1_11target_archE4294967295ELNS1_3gpuE0ELNS1_3repE0EEENS1_30default_config_static_selectorELNS0_4arch9wavefront6targetE1EEEvT1_
; %bb.0:
	.section	.rodata,"a",@progbits
	.p2align	6, 0x0
	.amdhsa_kernel _ZN7rocprim17ROCPRIM_400000_NS6detail17trampoline_kernelINS0_14default_configENS1_25partition_config_selectorILNS1_17partition_subalgoE3EN6thrust23THRUST_200600_302600_NS5tupleIiiNS7_9null_typeES9_S9_S9_S9_S9_S9_S9_EENS0_10empty_typeEbEEZZNS1_14partition_implILS5_3ELb0ES3_jNS7_6detail15normal_iteratorINS7_7pointerISA_NS7_11hip_rocprim3tagENS7_11use_defaultESJ_EEEEPSB_SM_NS0_5tupleIJPSA_SM_EEENSN_IJSM_SM_EEESB_PlJ10is_orderedEEE10hipError_tPvRmT3_T4_T5_T6_T7_T9_mT8_P12ihipStream_tbDpT10_ENKUlT_T0_E_clISt17integral_constantIbLb0EES1C_EEDaS17_S18_EUlS17_E_NS1_11comp_targetILNS1_3genE0ELNS1_11target_archE4294967295ELNS1_3gpuE0ELNS1_3repE0EEENS1_30default_config_static_selectorELNS0_4arch9wavefront6targetE1EEEvT1_
		.amdhsa_group_segment_fixed_size 0
		.amdhsa_private_segment_fixed_size 0
		.amdhsa_kernarg_size 120
		.amdhsa_user_sgpr_count 6
		.amdhsa_user_sgpr_private_segment_buffer 1
		.amdhsa_user_sgpr_dispatch_ptr 0
		.amdhsa_user_sgpr_queue_ptr 0
		.amdhsa_user_sgpr_kernarg_segment_ptr 1
		.amdhsa_user_sgpr_dispatch_id 0
		.amdhsa_user_sgpr_flat_scratch_init 0
		.amdhsa_user_sgpr_kernarg_preload_length 0
		.amdhsa_user_sgpr_kernarg_preload_offset 0
		.amdhsa_user_sgpr_private_segment_size 0
		.amdhsa_uses_dynamic_stack 0
		.amdhsa_system_sgpr_private_segment_wavefront_offset 0
		.amdhsa_system_sgpr_workgroup_id_x 1
		.amdhsa_system_sgpr_workgroup_id_y 0
		.amdhsa_system_sgpr_workgroup_id_z 0
		.amdhsa_system_sgpr_workgroup_info 0
		.amdhsa_system_vgpr_workitem_id 0
		.amdhsa_next_free_vgpr 1
		.amdhsa_next_free_sgpr 0
		.amdhsa_accum_offset 4
		.amdhsa_reserve_vcc 0
		.amdhsa_reserve_flat_scratch 0
		.amdhsa_float_round_mode_32 0
		.amdhsa_float_round_mode_16_64 0
		.amdhsa_float_denorm_mode_32 3
		.amdhsa_float_denorm_mode_16_64 3
		.amdhsa_dx10_clamp 1
		.amdhsa_ieee_mode 1
		.amdhsa_fp16_overflow 0
		.amdhsa_tg_split 0
		.amdhsa_exception_fp_ieee_invalid_op 0
		.amdhsa_exception_fp_denorm_src 0
		.amdhsa_exception_fp_ieee_div_zero 0
		.amdhsa_exception_fp_ieee_overflow 0
		.amdhsa_exception_fp_ieee_underflow 0
		.amdhsa_exception_fp_ieee_inexact 0
		.amdhsa_exception_int_div_zero 0
	.end_amdhsa_kernel
	.section	.text._ZN7rocprim17ROCPRIM_400000_NS6detail17trampoline_kernelINS0_14default_configENS1_25partition_config_selectorILNS1_17partition_subalgoE3EN6thrust23THRUST_200600_302600_NS5tupleIiiNS7_9null_typeES9_S9_S9_S9_S9_S9_S9_EENS0_10empty_typeEbEEZZNS1_14partition_implILS5_3ELb0ES3_jNS7_6detail15normal_iteratorINS7_7pointerISA_NS7_11hip_rocprim3tagENS7_11use_defaultESJ_EEEEPSB_SM_NS0_5tupleIJPSA_SM_EEENSN_IJSM_SM_EEESB_PlJ10is_orderedEEE10hipError_tPvRmT3_T4_T5_T6_T7_T9_mT8_P12ihipStream_tbDpT10_ENKUlT_T0_E_clISt17integral_constantIbLb0EES1C_EEDaS17_S18_EUlS17_E_NS1_11comp_targetILNS1_3genE0ELNS1_11target_archE4294967295ELNS1_3gpuE0ELNS1_3repE0EEENS1_30default_config_static_selectorELNS0_4arch9wavefront6targetE1EEEvT1_,"axG",@progbits,_ZN7rocprim17ROCPRIM_400000_NS6detail17trampoline_kernelINS0_14default_configENS1_25partition_config_selectorILNS1_17partition_subalgoE3EN6thrust23THRUST_200600_302600_NS5tupleIiiNS7_9null_typeES9_S9_S9_S9_S9_S9_S9_EENS0_10empty_typeEbEEZZNS1_14partition_implILS5_3ELb0ES3_jNS7_6detail15normal_iteratorINS7_7pointerISA_NS7_11hip_rocprim3tagENS7_11use_defaultESJ_EEEEPSB_SM_NS0_5tupleIJPSA_SM_EEENSN_IJSM_SM_EEESB_PlJ10is_orderedEEE10hipError_tPvRmT3_T4_T5_T6_T7_T9_mT8_P12ihipStream_tbDpT10_ENKUlT_T0_E_clISt17integral_constantIbLb0EES1C_EEDaS17_S18_EUlS17_E_NS1_11comp_targetILNS1_3genE0ELNS1_11target_archE4294967295ELNS1_3gpuE0ELNS1_3repE0EEENS1_30default_config_static_selectorELNS0_4arch9wavefront6targetE1EEEvT1_,comdat
.Lfunc_end3491:
	.size	_ZN7rocprim17ROCPRIM_400000_NS6detail17trampoline_kernelINS0_14default_configENS1_25partition_config_selectorILNS1_17partition_subalgoE3EN6thrust23THRUST_200600_302600_NS5tupleIiiNS7_9null_typeES9_S9_S9_S9_S9_S9_S9_EENS0_10empty_typeEbEEZZNS1_14partition_implILS5_3ELb0ES3_jNS7_6detail15normal_iteratorINS7_7pointerISA_NS7_11hip_rocprim3tagENS7_11use_defaultESJ_EEEEPSB_SM_NS0_5tupleIJPSA_SM_EEENSN_IJSM_SM_EEESB_PlJ10is_orderedEEE10hipError_tPvRmT3_T4_T5_T6_T7_T9_mT8_P12ihipStream_tbDpT10_ENKUlT_T0_E_clISt17integral_constantIbLb0EES1C_EEDaS17_S18_EUlS17_E_NS1_11comp_targetILNS1_3genE0ELNS1_11target_archE4294967295ELNS1_3gpuE0ELNS1_3repE0EEENS1_30default_config_static_selectorELNS0_4arch9wavefront6targetE1EEEvT1_, .Lfunc_end3491-_ZN7rocprim17ROCPRIM_400000_NS6detail17trampoline_kernelINS0_14default_configENS1_25partition_config_selectorILNS1_17partition_subalgoE3EN6thrust23THRUST_200600_302600_NS5tupleIiiNS7_9null_typeES9_S9_S9_S9_S9_S9_S9_EENS0_10empty_typeEbEEZZNS1_14partition_implILS5_3ELb0ES3_jNS7_6detail15normal_iteratorINS7_7pointerISA_NS7_11hip_rocprim3tagENS7_11use_defaultESJ_EEEEPSB_SM_NS0_5tupleIJPSA_SM_EEENSN_IJSM_SM_EEESB_PlJ10is_orderedEEE10hipError_tPvRmT3_T4_T5_T6_T7_T9_mT8_P12ihipStream_tbDpT10_ENKUlT_T0_E_clISt17integral_constantIbLb0EES1C_EEDaS17_S18_EUlS17_E_NS1_11comp_targetILNS1_3genE0ELNS1_11target_archE4294967295ELNS1_3gpuE0ELNS1_3repE0EEENS1_30default_config_static_selectorELNS0_4arch9wavefront6targetE1EEEvT1_
                                        ; -- End function
	.section	.AMDGPU.csdata,"",@progbits
; Kernel info:
; codeLenInByte = 0
; NumSgprs: 4
; NumVgprs: 0
; NumAgprs: 0
; TotalNumVgprs: 0
; ScratchSize: 0
; MemoryBound: 0
; FloatMode: 240
; IeeeMode: 1
; LDSByteSize: 0 bytes/workgroup (compile time only)
; SGPRBlocks: 0
; VGPRBlocks: 0
; NumSGPRsForWavesPerEU: 4
; NumVGPRsForWavesPerEU: 1
; AccumOffset: 4
; Occupancy: 8
; WaveLimiterHint : 0
; COMPUTE_PGM_RSRC2:SCRATCH_EN: 0
; COMPUTE_PGM_RSRC2:USER_SGPR: 6
; COMPUTE_PGM_RSRC2:TRAP_HANDLER: 0
; COMPUTE_PGM_RSRC2:TGID_X_EN: 1
; COMPUTE_PGM_RSRC2:TGID_Y_EN: 0
; COMPUTE_PGM_RSRC2:TGID_Z_EN: 0
; COMPUTE_PGM_RSRC2:TIDIG_COMP_CNT: 0
; COMPUTE_PGM_RSRC3_GFX90A:ACCUM_OFFSET: 0
; COMPUTE_PGM_RSRC3_GFX90A:TG_SPLIT: 0
	.section	.text._ZN7rocprim17ROCPRIM_400000_NS6detail17trampoline_kernelINS0_14default_configENS1_25partition_config_selectorILNS1_17partition_subalgoE3EN6thrust23THRUST_200600_302600_NS5tupleIiiNS7_9null_typeES9_S9_S9_S9_S9_S9_S9_EENS0_10empty_typeEbEEZZNS1_14partition_implILS5_3ELb0ES3_jNS7_6detail15normal_iteratorINS7_7pointerISA_NS7_11hip_rocprim3tagENS7_11use_defaultESJ_EEEEPSB_SM_NS0_5tupleIJPSA_SM_EEENSN_IJSM_SM_EEESB_PlJ10is_orderedEEE10hipError_tPvRmT3_T4_T5_T6_T7_T9_mT8_P12ihipStream_tbDpT10_ENKUlT_T0_E_clISt17integral_constantIbLb0EES1C_EEDaS17_S18_EUlS17_E_NS1_11comp_targetILNS1_3genE5ELNS1_11target_archE942ELNS1_3gpuE9ELNS1_3repE0EEENS1_30default_config_static_selectorELNS0_4arch9wavefront6targetE1EEEvT1_,"axG",@progbits,_ZN7rocprim17ROCPRIM_400000_NS6detail17trampoline_kernelINS0_14default_configENS1_25partition_config_selectorILNS1_17partition_subalgoE3EN6thrust23THRUST_200600_302600_NS5tupleIiiNS7_9null_typeES9_S9_S9_S9_S9_S9_S9_EENS0_10empty_typeEbEEZZNS1_14partition_implILS5_3ELb0ES3_jNS7_6detail15normal_iteratorINS7_7pointerISA_NS7_11hip_rocprim3tagENS7_11use_defaultESJ_EEEEPSB_SM_NS0_5tupleIJPSA_SM_EEENSN_IJSM_SM_EEESB_PlJ10is_orderedEEE10hipError_tPvRmT3_T4_T5_T6_T7_T9_mT8_P12ihipStream_tbDpT10_ENKUlT_T0_E_clISt17integral_constantIbLb0EES1C_EEDaS17_S18_EUlS17_E_NS1_11comp_targetILNS1_3genE5ELNS1_11target_archE942ELNS1_3gpuE9ELNS1_3repE0EEENS1_30default_config_static_selectorELNS0_4arch9wavefront6targetE1EEEvT1_,comdat
	.protected	_ZN7rocprim17ROCPRIM_400000_NS6detail17trampoline_kernelINS0_14default_configENS1_25partition_config_selectorILNS1_17partition_subalgoE3EN6thrust23THRUST_200600_302600_NS5tupleIiiNS7_9null_typeES9_S9_S9_S9_S9_S9_S9_EENS0_10empty_typeEbEEZZNS1_14partition_implILS5_3ELb0ES3_jNS7_6detail15normal_iteratorINS7_7pointerISA_NS7_11hip_rocprim3tagENS7_11use_defaultESJ_EEEEPSB_SM_NS0_5tupleIJPSA_SM_EEENSN_IJSM_SM_EEESB_PlJ10is_orderedEEE10hipError_tPvRmT3_T4_T5_T6_T7_T9_mT8_P12ihipStream_tbDpT10_ENKUlT_T0_E_clISt17integral_constantIbLb0EES1C_EEDaS17_S18_EUlS17_E_NS1_11comp_targetILNS1_3genE5ELNS1_11target_archE942ELNS1_3gpuE9ELNS1_3repE0EEENS1_30default_config_static_selectorELNS0_4arch9wavefront6targetE1EEEvT1_ ; -- Begin function _ZN7rocprim17ROCPRIM_400000_NS6detail17trampoline_kernelINS0_14default_configENS1_25partition_config_selectorILNS1_17partition_subalgoE3EN6thrust23THRUST_200600_302600_NS5tupleIiiNS7_9null_typeES9_S9_S9_S9_S9_S9_S9_EENS0_10empty_typeEbEEZZNS1_14partition_implILS5_3ELb0ES3_jNS7_6detail15normal_iteratorINS7_7pointerISA_NS7_11hip_rocprim3tagENS7_11use_defaultESJ_EEEEPSB_SM_NS0_5tupleIJPSA_SM_EEENSN_IJSM_SM_EEESB_PlJ10is_orderedEEE10hipError_tPvRmT3_T4_T5_T6_T7_T9_mT8_P12ihipStream_tbDpT10_ENKUlT_T0_E_clISt17integral_constantIbLb0EES1C_EEDaS17_S18_EUlS17_E_NS1_11comp_targetILNS1_3genE5ELNS1_11target_archE942ELNS1_3gpuE9ELNS1_3repE0EEENS1_30default_config_static_selectorELNS0_4arch9wavefront6targetE1EEEvT1_
	.globl	_ZN7rocprim17ROCPRIM_400000_NS6detail17trampoline_kernelINS0_14default_configENS1_25partition_config_selectorILNS1_17partition_subalgoE3EN6thrust23THRUST_200600_302600_NS5tupleIiiNS7_9null_typeES9_S9_S9_S9_S9_S9_S9_EENS0_10empty_typeEbEEZZNS1_14partition_implILS5_3ELb0ES3_jNS7_6detail15normal_iteratorINS7_7pointerISA_NS7_11hip_rocprim3tagENS7_11use_defaultESJ_EEEEPSB_SM_NS0_5tupleIJPSA_SM_EEENSN_IJSM_SM_EEESB_PlJ10is_orderedEEE10hipError_tPvRmT3_T4_T5_T6_T7_T9_mT8_P12ihipStream_tbDpT10_ENKUlT_T0_E_clISt17integral_constantIbLb0EES1C_EEDaS17_S18_EUlS17_E_NS1_11comp_targetILNS1_3genE5ELNS1_11target_archE942ELNS1_3gpuE9ELNS1_3repE0EEENS1_30default_config_static_selectorELNS0_4arch9wavefront6targetE1EEEvT1_
	.p2align	8
	.type	_ZN7rocprim17ROCPRIM_400000_NS6detail17trampoline_kernelINS0_14default_configENS1_25partition_config_selectorILNS1_17partition_subalgoE3EN6thrust23THRUST_200600_302600_NS5tupleIiiNS7_9null_typeES9_S9_S9_S9_S9_S9_S9_EENS0_10empty_typeEbEEZZNS1_14partition_implILS5_3ELb0ES3_jNS7_6detail15normal_iteratorINS7_7pointerISA_NS7_11hip_rocprim3tagENS7_11use_defaultESJ_EEEEPSB_SM_NS0_5tupleIJPSA_SM_EEENSN_IJSM_SM_EEESB_PlJ10is_orderedEEE10hipError_tPvRmT3_T4_T5_T6_T7_T9_mT8_P12ihipStream_tbDpT10_ENKUlT_T0_E_clISt17integral_constantIbLb0EES1C_EEDaS17_S18_EUlS17_E_NS1_11comp_targetILNS1_3genE5ELNS1_11target_archE942ELNS1_3gpuE9ELNS1_3repE0EEENS1_30default_config_static_selectorELNS0_4arch9wavefront6targetE1EEEvT1_,@function
_ZN7rocprim17ROCPRIM_400000_NS6detail17trampoline_kernelINS0_14default_configENS1_25partition_config_selectorILNS1_17partition_subalgoE3EN6thrust23THRUST_200600_302600_NS5tupleIiiNS7_9null_typeES9_S9_S9_S9_S9_S9_S9_EENS0_10empty_typeEbEEZZNS1_14partition_implILS5_3ELb0ES3_jNS7_6detail15normal_iteratorINS7_7pointerISA_NS7_11hip_rocprim3tagENS7_11use_defaultESJ_EEEEPSB_SM_NS0_5tupleIJPSA_SM_EEENSN_IJSM_SM_EEESB_PlJ10is_orderedEEE10hipError_tPvRmT3_T4_T5_T6_T7_T9_mT8_P12ihipStream_tbDpT10_ENKUlT_T0_E_clISt17integral_constantIbLb0EES1C_EEDaS17_S18_EUlS17_E_NS1_11comp_targetILNS1_3genE5ELNS1_11target_archE942ELNS1_3gpuE9ELNS1_3repE0EEENS1_30default_config_static_selectorELNS0_4arch9wavefront6targetE1EEEvT1_: ; @_ZN7rocprim17ROCPRIM_400000_NS6detail17trampoline_kernelINS0_14default_configENS1_25partition_config_selectorILNS1_17partition_subalgoE3EN6thrust23THRUST_200600_302600_NS5tupleIiiNS7_9null_typeES9_S9_S9_S9_S9_S9_S9_EENS0_10empty_typeEbEEZZNS1_14partition_implILS5_3ELb0ES3_jNS7_6detail15normal_iteratorINS7_7pointerISA_NS7_11hip_rocprim3tagENS7_11use_defaultESJ_EEEEPSB_SM_NS0_5tupleIJPSA_SM_EEENSN_IJSM_SM_EEESB_PlJ10is_orderedEEE10hipError_tPvRmT3_T4_T5_T6_T7_T9_mT8_P12ihipStream_tbDpT10_ENKUlT_T0_E_clISt17integral_constantIbLb0EES1C_EEDaS17_S18_EUlS17_E_NS1_11comp_targetILNS1_3genE5ELNS1_11target_archE942ELNS1_3gpuE9ELNS1_3repE0EEENS1_30default_config_static_selectorELNS0_4arch9wavefront6targetE1EEEvT1_
; %bb.0:
	.section	.rodata,"a",@progbits
	.p2align	6, 0x0
	.amdhsa_kernel _ZN7rocprim17ROCPRIM_400000_NS6detail17trampoline_kernelINS0_14default_configENS1_25partition_config_selectorILNS1_17partition_subalgoE3EN6thrust23THRUST_200600_302600_NS5tupleIiiNS7_9null_typeES9_S9_S9_S9_S9_S9_S9_EENS0_10empty_typeEbEEZZNS1_14partition_implILS5_3ELb0ES3_jNS7_6detail15normal_iteratorINS7_7pointerISA_NS7_11hip_rocprim3tagENS7_11use_defaultESJ_EEEEPSB_SM_NS0_5tupleIJPSA_SM_EEENSN_IJSM_SM_EEESB_PlJ10is_orderedEEE10hipError_tPvRmT3_T4_T5_T6_T7_T9_mT8_P12ihipStream_tbDpT10_ENKUlT_T0_E_clISt17integral_constantIbLb0EES1C_EEDaS17_S18_EUlS17_E_NS1_11comp_targetILNS1_3genE5ELNS1_11target_archE942ELNS1_3gpuE9ELNS1_3repE0EEENS1_30default_config_static_selectorELNS0_4arch9wavefront6targetE1EEEvT1_
		.amdhsa_group_segment_fixed_size 0
		.amdhsa_private_segment_fixed_size 0
		.amdhsa_kernarg_size 120
		.amdhsa_user_sgpr_count 6
		.amdhsa_user_sgpr_private_segment_buffer 1
		.amdhsa_user_sgpr_dispatch_ptr 0
		.amdhsa_user_sgpr_queue_ptr 0
		.amdhsa_user_sgpr_kernarg_segment_ptr 1
		.amdhsa_user_sgpr_dispatch_id 0
		.amdhsa_user_sgpr_flat_scratch_init 0
		.amdhsa_user_sgpr_kernarg_preload_length 0
		.amdhsa_user_sgpr_kernarg_preload_offset 0
		.amdhsa_user_sgpr_private_segment_size 0
		.amdhsa_uses_dynamic_stack 0
		.amdhsa_system_sgpr_private_segment_wavefront_offset 0
		.amdhsa_system_sgpr_workgroup_id_x 1
		.amdhsa_system_sgpr_workgroup_id_y 0
		.amdhsa_system_sgpr_workgroup_id_z 0
		.amdhsa_system_sgpr_workgroup_info 0
		.amdhsa_system_vgpr_workitem_id 0
		.amdhsa_next_free_vgpr 1
		.amdhsa_next_free_sgpr 0
		.amdhsa_accum_offset 4
		.amdhsa_reserve_vcc 0
		.amdhsa_reserve_flat_scratch 0
		.amdhsa_float_round_mode_32 0
		.amdhsa_float_round_mode_16_64 0
		.amdhsa_float_denorm_mode_32 3
		.amdhsa_float_denorm_mode_16_64 3
		.amdhsa_dx10_clamp 1
		.amdhsa_ieee_mode 1
		.amdhsa_fp16_overflow 0
		.amdhsa_tg_split 0
		.amdhsa_exception_fp_ieee_invalid_op 0
		.amdhsa_exception_fp_denorm_src 0
		.amdhsa_exception_fp_ieee_div_zero 0
		.amdhsa_exception_fp_ieee_overflow 0
		.amdhsa_exception_fp_ieee_underflow 0
		.amdhsa_exception_fp_ieee_inexact 0
		.amdhsa_exception_int_div_zero 0
	.end_amdhsa_kernel
	.section	.text._ZN7rocprim17ROCPRIM_400000_NS6detail17trampoline_kernelINS0_14default_configENS1_25partition_config_selectorILNS1_17partition_subalgoE3EN6thrust23THRUST_200600_302600_NS5tupleIiiNS7_9null_typeES9_S9_S9_S9_S9_S9_S9_EENS0_10empty_typeEbEEZZNS1_14partition_implILS5_3ELb0ES3_jNS7_6detail15normal_iteratorINS7_7pointerISA_NS7_11hip_rocprim3tagENS7_11use_defaultESJ_EEEEPSB_SM_NS0_5tupleIJPSA_SM_EEENSN_IJSM_SM_EEESB_PlJ10is_orderedEEE10hipError_tPvRmT3_T4_T5_T6_T7_T9_mT8_P12ihipStream_tbDpT10_ENKUlT_T0_E_clISt17integral_constantIbLb0EES1C_EEDaS17_S18_EUlS17_E_NS1_11comp_targetILNS1_3genE5ELNS1_11target_archE942ELNS1_3gpuE9ELNS1_3repE0EEENS1_30default_config_static_selectorELNS0_4arch9wavefront6targetE1EEEvT1_,"axG",@progbits,_ZN7rocprim17ROCPRIM_400000_NS6detail17trampoline_kernelINS0_14default_configENS1_25partition_config_selectorILNS1_17partition_subalgoE3EN6thrust23THRUST_200600_302600_NS5tupleIiiNS7_9null_typeES9_S9_S9_S9_S9_S9_S9_EENS0_10empty_typeEbEEZZNS1_14partition_implILS5_3ELb0ES3_jNS7_6detail15normal_iteratorINS7_7pointerISA_NS7_11hip_rocprim3tagENS7_11use_defaultESJ_EEEEPSB_SM_NS0_5tupleIJPSA_SM_EEENSN_IJSM_SM_EEESB_PlJ10is_orderedEEE10hipError_tPvRmT3_T4_T5_T6_T7_T9_mT8_P12ihipStream_tbDpT10_ENKUlT_T0_E_clISt17integral_constantIbLb0EES1C_EEDaS17_S18_EUlS17_E_NS1_11comp_targetILNS1_3genE5ELNS1_11target_archE942ELNS1_3gpuE9ELNS1_3repE0EEENS1_30default_config_static_selectorELNS0_4arch9wavefront6targetE1EEEvT1_,comdat
.Lfunc_end3492:
	.size	_ZN7rocprim17ROCPRIM_400000_NS6detail17trampoline_kernelINS0_14default_configENS1_25partition_config_selectorILNS1_17partition_subalgoE3EN6thrust23THRUST_200600_302600_NS5tupleIiiNS7_9null_typeES9_S9_S9_S9_S9_S9_S9_EENS0_10empty_typeEbEEZZNS1_14partition_implILS5_3ELb0ES3_jNS7_6detail15normal_iteratorINS7_7pointerISA_NS7_11hip_rocprim3tagENS7_11use_defaultESJ_EEEEPSB_SM_NS0_5tupleIJPSA_SM_EEENSN_IJSM_SM_EEESB_PlJ10is_orderedEEE10hipError_tPvRmT3_T4_T5_T6_T7_T9_mT8_P12ihipStream_tbDpT10_ENKUlT_T0_E_clISt17integral_constantIbLb0EES1C_EEDaS17_S18_EUlS17_E_NS1_11comp_targetILNS1_3genE5ELNS1_11target_archE942ELNS1_3gpuE9ELNS1_3repE0EEENS1_30default_config_static_selectorELNS0_4arch9wavefront6targetE1EEEvT1_, .Lfunc_end3492-_ZN7rocprim17ROCPRIM_400000_NS6detail17trampoline_kernelINS0_14default_configENS1_25partition_config_selectorILNS1_17partition_subalgoE3EN6thrust23THRUST_200600_302600_NS5tupleIiiNS7_9null_typeES9_S9_S9_S9_S9_S9_S9_EENS0_10empty_typeEbEEZZNS1_14partition_implILS5_3ELb0ES3_jNS7_6detail15normal_iteratorINS7_7pointerISA_NS7_11hip_rocprim3tagENS7_11use_defaultESJ_EEEEPSB_SM_NS0_5tupleIJPSA_SM_EEENSN_IJSM_SM_EEESB_PlJ10is_orderedEEE10hipError_tPvRmT3_T4_T5_T6_T7_T9_mT8_P12ihipStream_tbDpT10_ENKUlT_T0_E_clISt17integral_constantIbLb0EES1C_EEDaS17_S18_EUlS17_E_NS1_11comp_targetILNS1_3genE5ELNS1_11target_archE942ELNS1_3gpuE9ELNS1_3repE0EEENS1_30default_config_static_selectorELNS0_4arch9wavefront6targetE1EEEvT1_
                                        ; -- End function
	.section	.AMDGPU.csdata,"",@progbits
; Kernel info:
; codeLenInByte = 0
; NumSgprs: 4
; NumVgprs: 0
; NumAgprs: 0
; TotalNumVgprs: 0
; ScratchSize: 0
; MemoryBound: 0
; FloatMode: 240
; IeeeMode: 1
; LDSByteSize: 0 bytes/workgroup (compile time only)
; SGPRBlocks: 0
; VGPRBlocks: 0
; NumSGPRsForWavesPerEU: 4
; NumVGPRsForWavesPerEU: 1
; AccumOffset: 4
; Occupancy: 8
; WaveLimiterHint : 0
; COMPUTE_PGM_RSRC2:SCRATCH_EN: 0
; COMPUTE_PGM_RSRC2:USER_SGPR: 6
; COMPUTE_PGM_RSRC2:TRAP_HANDLER: 0
; COMPUTE_PGM_RSRC2:TGID_X_EN: 1
; COMPUTE_PGM_RSRC2:TGID_Y_EN: 0
; COMPUTE_PGM_RSRC2:TGID_Z_EN: 0
; COMPUTE_PGM_RSRC2:TIDIG_COMP_CNT: 0
; COMPUTE_PGM_RSRC3_GFX90A:ACCUM_OFFSET: 0
; COMPUTE_PGM_RSRC3_GFX90A:TG_SPLIT: 0
	.section	.text._ZN7rocprim17ROCPRIM_400000_NS6detail17trampoline_kernelINS0_14default_configENS1_25partition_config_selectorILNS1_17partition_subalgoE3EN6thrust23THRUST_200600_302600_NS5tupleIiiNS7_9null_typeES9_S9_S9_S9_S9_S9_S9_EENS0_10empty_typeEbEEZZNS1_14partition_implILS5_3ELb0ES3_jNS7_6detail15normal_iteratorINS7_7pointerISA_NS7_11hip_rocprim3tagENS7_11use_defaultESJ_EEEEPSB_SM_NS0_5tupleIJPSA_SM_EEENSN_IJSM_SM_EEESB_PlJ10is_orderedEEE10hipError_tPvRmT3_T4_T5_T6_T7_T9_mT8_P12ihipStream_tbDpT10_ENKUlT_T0_E_clISt17integral_constantIbLb0EES1C_EEDaS17_S18_EUlS17_E_NS1_11comp_targetILNS1_3genE4ELNS1_11target_archE910ELNS1_3gpuE8ELNS1_3repE0EEENS1_30default_config_static_selectorELNS0_4arch9wavefront6targetE1EEEvT1_,"axG",@progbits,_ZN7rocprim17ROCPRIM_400000_NS6detail17trampoline_kernelINS0_14default_configENS1_25partition_config_selectorILNS1_17partition_subalgoE3EN6thrust23THRUST_200600_302600_NS5tupleIiiNS7_9null_typeES9_S9_S9_S9_S9_S9_S9_EENS0_10empty_typeEbEEZZNS1_14partition_implILS5_3ELb0ES3_jNS7_6detail15normal_iteratorINS7_7pointerISA_NS7_11hip_rocprim3tagENS7_11use_defaultESJ_EEEEPSB_SM_NS0_5tupleIJPSA_SM_EEENSN_IJSM_SM_EEESB_PlJ10is_orderedEEE10hipError_tPvRmT3_T4_T5_T6_T7_T9_mT8_P12ihipStream_tbDpT10_ENKUlT_T0_E_clISt17integral_constantIbLb0EES1C_EEDaS17_S18_EUlS17_E_NS1_11comp_targetILNS1_3genE4ELNS1_11target_archE910ELNS1_3gpuE8ELNS1_3repE0EEENS1_30default_config_static_selectorELNS0_4arch9wavefront6targetE1EEEvT1_,comdat
	.protected	_ZN7rocprim17ROCPRIM_400000_NS6detail17trampoline_kernelINS0_14default_configENS1_25partition_config_selectorILNS1_17partition_subalgoE3EN6thrust23THRUST_200600_302600_NS5tupleIiiNS7_9null_typeES9_S9_S9_S9_S9_S9_S9_EENS0_10empty_typeEbEEZZNS1_14partition_implILS5_3ELb0ES3_jNS7_6detail15normal_iteratorINS7_7pointerISA_NS7_11hip_rocprim3tagENS7_11use_defaultESJ_EEEEPSB_SM_NS0_5tupleIJPSA_SM_EEENSN_IJSM_SM_EEESB_PlJ10is_orderedEEE10hipError_tPvRmT3_T4_T5_T6_T7_T9_mT8_P12ihipStream_tbDpT10_ENKUlT_T0_E_clISt17integral_constantIbLb0EES1C_EEDaS17_S18_EUlS17_E_NS1_11comp_targetILNS1_3genE4ELNS1_11target_archE910ELNS1_3gpuE8ELNS1_3repE0EEENS1_30default_config_static_selectorELNS0_4arch9wavefront6targetE1EEEvT1_ ; -- Begin function _ZN7rocprim17ROCPRIM_400000_NS6detail17trampoline_kernelINS0_14default_configENS1_25partition_config_selectorILNS1_17partition_subalgoE3EN6thrust23THRUST_200600_302600_NS5tupleIiiNS7_9null_typeES9_S9_S9_S9_S9_S9_S9_EENS0_10empty_typeEbEEZZNS1_14partition_implILS5_3ELb0ES3_jNS7_6detail15normal_iteratorINS7_7pointerISA_NS7_11hip_rocprim3tagENS7_11use_defaultESJ_EEEEPSB_SM_NS0_5tupleIJPSA_SM_EEENSN_IJSM_SM_EEESB_PlJ10is_orderedEEE10hipError_tPvRmT3_T4_T5_T6_T7_T9_mT8_P12ihipStream_tbDpT10_ENKUlT_T0_E_clISt17integral_constantIbLb0EES1C_EEDaS17_S18_EUlS17_E_NS1_11comp_targetILNS1_3genE4ELNS1_11target_archE910ELNS1_3gpuE8ELNS1_3repE0EEENS1_30default_config_static_selectorELNS0_4arch9wavefront6targetE1EEEvT1_
	.globl	_ZN7rocprim17ROCPRIM_400000_NS6detail17trampoline_kernelINS0_14default_configENS1_25partition_config_selectorILNS1_17partition_subalgoE3EN6thrust23THRUST_200600_302600_NS5tupleIiiNS7_9null_typeES9_S9_S9_S9_S9_S9_S9_EENS0_10empty_typeEbEEZZNS1_14partition_implILS5_3ELb0ES3_jNS7_6detail15normal_iteratorINS7_7pointerISA_NS7_11hip_rocprim3tagENS7_11use_defaultESJ_EEEEPSB_SM_NS0_5tupleIJPSA_SM_EEENSN_IJSM_SM_EEESB_PlJ10is_orderedEEE10hipError_tPvRmT3_T4_T5_T6_T7_T9_mT8_P12ihipStream_tbDpT10_ENKUlT_T0_E_clISt17integral_constantIbLb0EES1C_EEDaS17_S18_EUlS17_E_NS1_11comp_targetILNS1_3genE4ELNS1_11target_archE910ELNS1_3gpuE8ELNS1_3repE0EEENS1_30default_config_static_selectorELNS0_4arch9wavefront6targetE1EEEvT1_
	.p2align	8
	.type	_ZN7rocprim17ROCPRIM_400000_NS6detail17trampoline_kernelINS0_14default_configENS1_25partition_config_selectorILNS1_17partition_subalgoE3EN6thrust23THRUST_200600_302600_NS5tupleIiiNS7_9null_typeES9_S9_S9_S9_S9_S9_S9_EENS0_10empty_typeEbEEZZNS1_14partition_implILS5_3ELb0ES3_jNS7_6detail15normal_iteratorINS7_7pointerISA_NS7_11hip_rocprim3tagENS7_11use_defaultESJ_EEEEPSB_SM_NS0_5tupleIJPSA_SM_EEENSN_IJSM_SM_EEESB_PlJ10is_orderedEEE10hipError_tPvRmT3_T4_T5_T6_T7_T9_mT8_P12ihipStream_tbDpT10_ENKUlT_T0_E_clISt17integral_constantIbLb0EES1C_EEDaS17_S18_EUlS17_E_NS1_11comp_targetILNS1_3genE4ELNS1_11target_archE910ELNS1_3gpuE8ELNS1_3repE0EEENS1_30default_config_static_selectorELNS0_4arch9wavefront6targetE1EEEvT1_,@function
_ZN7rocprim17ROCPRIM_400000_NS6detail17trampoline_kernelINS0_14default_configENS1_25partition_config_selectorILNS1_17partition_subalgoE3EN6thrust23THRUST_200600_302600_NS5tupleIiiNS7_9null_typeES9_S9_S9_S9_S9_S9_S9_EENS0_10empty_typeEbEEZZNS1_14partition_implILS5_3ELb0ES3_jNS7_6detail15normal_iteratorINS7_7pointerISA_NS7_11hip_rocprim3tagENS7_11use_defaultESJ_EEEEPSB_SM_NS0_5tupleIJPSA_SM_EEENSN_IJSM_SM_EEESB_PlJ10is_orderedEEE10hipError_tPvRmT3_T4_T5_T6_T7_T9_mT8_P12ihipStream_tbDpT10_ENKUlT_T0_E_clISt17integral_constantIbLb0EES1C_EEDaS17_S18_EUlS17_E_NS1_11comp_targetILNS1_3genE4ELNS1_11target_archE910ELNS1_3gpuE8ELNS1_3repE0EEENS1_30default_config_static_selectorELNS0_4arch9wavefront6targetE1EEEvT1_: ; @_ZN7rocprim17ROCPRIM_400000_NS6detail17trampoline_kernelINS0_14default_configENS1_25partition_config_selectorILNS1_17partition_subalgoE3EN6thrust23THRUST_200600_302600_NS5tupleIiiNS7_9null_typeES9_S9_S9_S9_S9_S9_S9_EENS0_10empty_typeEbEEZZNS1_14partition_implILS5_3ELb0ES3_jNS7_6detail15normal_iteratorINS7_7pointerISA_NS7_11hip_rocprim3tagENS7_11use_defaultESJ_EEEEPSB_SM_NS0_5tupleIJPSA_SM_EEENSN_IJSM_SM_EEESB_PlJ10is_orderedEEE10hipError_tPvRmT3_T4_T5_T6_T7_T9_mT8_P12ihipStream_tbDpT10_ENKUlT_T0_E_clISt17integral_constantIbLb0EES1C_EEDaS17_S18_EUlS17_E_NS1_11comp_targetILNS1_3genE4ELNS1_11target_archE910ELNS1_3gpuE8ELNS1_3repE0EEENS1_30default_config_static_selectorELNS0_4arch9wavefront6targetE1EEEvT1_
; %bb.0:
	s_load_dwordx4 s[20:23], s[4:5], 0x8
	s_load_dwordx4 s[24:27], s[4:5], 0x48
	s_load_dwordx2 s[28:29], s[4:5], 0x58
	s_load_dword s2, s[4:5], 0x70
	s_mov_b32 s35, 0
	s_waitcnt lgkmcnt(0)
	s_lshl_b64 s[0:1], s[22:23], 3
	s_add_u32 s7, s20, s0
	s_addc_u32 s8, s21, s1
	s_mul_i32 s0, s2, 0x300
	s_add_i32 s1, s0, s22
	s_sub_i32 s33, s28, s1
	s_add_i32 s3, s2, -1
	s_addk_i32 s33, 0x300
	s_add_u32 s0, s22, s0
	s_addc_u32 s1, s23, 0
	s_cmp_eq_u32 s6, s3
	s_load_dwordx2 s[30:31], s[26:27], 0x0
	s_cselect_b64 s[26:27], -1, 0
	s_cmp_lg_u32 s6, s3
	v_pk_mov_b32 v[2:3], s[28:29], s[28:29] op_sel:[0,1]
	s_cselect_b64 s[2:3], -1, 0
	s_mul_i32 s34, s6, 0x300
	v_cmp_lt_u64_e32 vcc, s[0:1], v[2:3]
	s_or_b64 s[2:3], s[2:3], vcc
	s_lshl_b64 s[0:1], s[34:35], 3
	s_add_u32 s7, s7, s0
	s_addc_u32 s10, s8, s1
	s_mov_b64 s[0:1], -1
	s_and_b64 vcc, exec, s[2:3]
	v_lshlrev_b32_e32 v1, 3, v0
	v_lshrrev_b32_e32 v10, 2, v0
	s_cbranch_vccz .LBB3493_2
; %bb.1:
	v_mov_b32_e32 v3, s10
	v_add_co_u32_e32 v2, vcc, s7, v1
	v_addc_co_u32_e32 v3, vcc, 0, v3, vcc
	v_add_co_u32_e32 v4, vcc, 0x1000, v2
	v_addc_co_u32_e32 v5, vcc, 0, v3, vcc
	flat_load_dwordx2 v[6:7], v[2:3]
	flat_load_dwordx2 v[8:9], v[2:3] offset:1536
	flat_load_dwordx2 v[12:13], v[2:3] offset:3072
	;; [unrolled: 1-line block ×3, first 2 shown]
	v_add_u32_e32 v3, 0xc0, v0
	v_add_u32_e32 v4, 0x180, v0
	;; [unrolled: 1-line block ×3, first 2 shown]
	v_and_b32_e32 v2, 56, v10
	v_lshrrev_b32_e32 v3, 2, v3
	v_lshrrev_b32_e32 v4, 2, v4
	;; [unrolled: 1-line block ×3, first 2 shown]
	v_add_u32_e32 v2, v2, v1
	v_and_b32_e32 v3, 0x78, v3
	v_and_b32_e32 v4, 0xf8, v4
	;; [unrolled: 1-line block ×3, first 2 shown]
	v_add_u32_e32 v3, v3, v1
	v_add_u32_e32 v4, v4, v1
	;; [unrolled: 1-line block ×3, first 2 shown]
	s_mov_b64 s[0:1], 0
	s_waitcnt vmcnt(0) lgkmcnt(0)
	ds_write_b64 v2, v[6:7]
	ds_write_b64 v3, v[8:9] offset:1536
	ds_write_b64 v4, v[12:13] offset:3072
	ds_write_b64 v5, v[14:15] offset:4608
	s_waitcnt lgkmcnt(0)
	s_barrier
.LBB3493_2:
	s_andn2_b64 vcc, exec, s[0:1]
	v_cmp_gt_u32_e64 s[0:1], s33, v0
	s_cbranch_vccnz .LBB3493_12
; %bb.3:
	v_pk_mov_b32 v[2:3], 0, 0
	v_pk_mov_b32 v[4:5], v[2:3], v[2:3] op_sel:[0,1]
	s_and_saveexec_b64 s[8:9], s[0:1]
	s_cbranch_execz .LBB3493_5
; %bb.4:
	v_mov_b32_e32 v5, s10
	v_add_co_u32_e32 v4, vcc, s7, v1
	v_addc_co_u32_e32 v5, vcc, 0, v5, vcc
	flat_load_dwordx2 v[4:5], v[4:5]
.LBB3493_5:
	s_or_b64 exec, exec, s[8:9]
	v_add_u32_e32 v11, 0xc0, v0
	v_cmp_gt_u32_e32 vcc, s33, v11
	s_and_saveexec_b64 s[0:1], vcc
	s_cbranch_execz .LBB3493_7
; %bb.6:
	v_mov_b32_e32 v3, s10
	v_add_co_u32_e32 v2, vcc, s7, v1
	v_addc_co_u32_e32 v3, vcc, 0, v3, vcc
	flat_load_dwordx2 v[2:3], v[2:3] offset:1536
.LBB3493_7:
	s_or_b64 exec, exec, s[0:1]
	v_add_u32_e32 v12, 0x180, v0
	v_pk_mov_b32 v[6:7], 0, 0
	v_cmp_gt_u32_e32 vcc, s33, v12
	v_pk_mov_b32 v[8:9], v[6:7], v[6:7] op_sel:[0,1]
	s_and_saveexec_b64 s[0:1], vcc
	s_cbranch_execz .LBB3493_9
; %bb.8:
	v_mov_b32_e32 v9, s10
	v_add_co_u32_e32 v8, vcc, s7, v1
	v_addc_co_u32_e32 v9, vcc, 0, v9, vcc
	flat_load_dwordx2 v[8:9], v[8:9] offset:3072
.LBB3493_9:
	s_or_b64 exec, exec, s[0:1]
	v_add_u32_e32 v13, 0x240, v0
	v_cmp_gt_u32_e32 vcc, s33, v13
	s_and_saveexec_b64 s[0:1], vcc
	s_cbranch_execz .LBB3493_11
; %bb.10:
	v_lshlrev_b32_e32 v6, 3, v13
	v_mov_b32_e32 v7, s10
	v_add_co_u32_e32 v6, vcc, s7, v6
	v_addc_co_u32_e32 v7, vcc, 0, v7, vcc
	flat_load_dwordx2 v[6:7], v[6:7]
.LBB3493_11:
	s_or_b64 exec, exec, s[0:1]
	v_and_b32_e32 v10, 56, v10
	v_add_u32_e32 v10, v10, v1
	s_waitcnt vmcnt(0) lgkmcnt(0)
	ds_write_b64 v10, v[4:5]
	v_lshrrev_b32_e32 v4, 2, v11
	v_and_b32_e32 v4, 0x78, v4
	v_add_u32_e32 v4, v4, v1
	ds_write_b64 v4, v[2:3] offset:1536
	v_lshrrev_b32_e32 v2, 2, v12
	v_and_b32_e32 v2, 0xf8, v2
	v_add_u32_e32 v2, v2, v1
	ds_write_b64 v2, v[8:9] offset:3072
	v_lshrrev_b32_e32 v2, 2, v13
	v_and_b32_e32 v2, 0xf8, v2
	v_add_u32_e32 v2, v2, v1
	ds_write_b64 v2, v[6:7] offset:4608
	s_waitcnt lgkmcnt(0)
	s_barrier
.LBB3493_12:
	v_lshlrev_b32_e32 v20, 2, v0
	v_lshrrev_b32_e32 v2, 3, v0
	v_add_lshl_u32 v2, v2, v20, 3
	s_waitcnt lgkmcnt(0)
	ds_read2_b64 v[6:9], v2 offset1:1
	ds_read2_b64 v[2:5], v2 offset0:2 offset1:3
	v_cndmask_b32_e64 v10, 0, 1, s[2:3]
	v_cmp_ne_u32_e64 s[0:1], 1, v10
	s_andn2_b64 vcc, exec, s[2:3]
	s_waitcnt lgkmcnt(1)
	v_cmp_le_i32_e64 s[8:9], v6, v7
	v_cmp_le_i32_e64 s[10:11], v8, v9
	s_waitcnt lgkmcnt(0)
	v_cmp_le_i32_e64 s[12:13], v2, v3
	v_cmp_le_i32_e64 s[2:3], v4, v5
	s_barrier
	s_cbranch_vccnz .LBB3493_14
; %bb.13:
	v_cndmask_b32_e64 v11, 0, 1, s[10:11]
	v_cndmask_b32_e64 v10, 0, 1, s[8:9]
	v_lshlrev_b16_e32 v11, 8, v11
	v_or_b32_e32 v10, v10, v11
	v_and_b32_e32 v10, 0xffff, v10
	v_cndmask_b32_e64 v11, 0, 1, s[12:13]
	v_lshl_or_b32 v21, v11, 16, v10
	s_and_b64 s[36:37], s[2:3], exec
	s_load_dwordx2 s[38:39], s[4:5], 0x68
	s_cbranch_execz .LBB3493_15
	s_branch .LBB3493_16
.LBB3493_14:
                                        ; implicit-def: $sgpr36_sgpr37
                                        ; implicit-def: $vgpr21
	s_load_dwordx2 s[38:39], s[4:5], 0x68
.LBB3493_15:
	v_cmp_gt_u32_e32 vcc, s33, v20
	v_cmp_le_i32_e64 s[2:3], v6, v7
	s_and_b64 s[2:3], vcc, s[2:3]
	v_or_b32_e32 v11, 1, v20
	v_cndmask_b32_e64 v10, 0, 1, s[2:3]
	v_cmp_gt_u32_e32 vcc, s33, v11
	v_cmp_le_i32_e64 s[2:3], v8, v9
	s_and_b64 s[2:3], vcc, s[2:3]
	v_cndmask_b32_e64 v11, 0, 1, s[2:3]
	v_or_b32_e32 v12, 2, v20
	v_cmp_gt_u32_e32 vcc, s33, v12
	v_cmp_le_i32_e64 s[2:3], v2, v3
	v_lshlrev_b16_e32 v11, 8, v11
	v_or_b32_e32 v10, v10, v11
	s_and_b64 s[2:3], vcc, s[2:3]
	v_and_b32_e32 v10, 0xffff, v10
	v_cndmask_b32_e64 v11, 0, 1, s[2:3]
	v_lshl_or_b32 v21, v11, 16, v10
	v_or_b32_e32 v10, 3, v20
	v_cmp_gt_u32_e32 vcc, s33, v10
	v_cmp_le_i32_e64 s[2:3], v4, v5
	s_and_b64 s[2:3], vcc, s[2:3]
	s_andn2_b64 s[8:9], s[36:37], exec
	s_and_b64 s[2:3], s[2:3], exec
	s_or_b64 s[36:37], s[8:9], s[2:3]
.LBB3493_16:
	v_cndmask_b32_e64 v10, 0, 1, s[36:37]
	v_bfe_u32 v22, v21, 8, 8
	v_bfe_u32 v23, v21, 16, 8
	v_add_u32_sdwa v10, v21, v10 dst_sel:DWORD dst_unused:UNUSED_PAD src0_sel:BYTE_0 src1_sel:DWORD
	v_add3_u32 v26, v10, v22, v23
	v_mbcnt_lo_u32_b32 v10, -1, 0
	v_mbcnt_hi_u32_b32 v24, -1, v10
	v_and_b32_e32 v10, 15, v24
	v_cmp_eq_u32_e64 s[16:17], 0, v10
	v_cmp_lt_u32_e64 s[14:15], 1, v10
	v_cmp_lt_u32_e64 s[12:13], 3, v10
	v_cmp_lt_u32_e64 s[10:11], 7, v10
	v_and_b32_e32 v10, 16, v24
	v_cmp_eq_u32_e64 s[20:21], 0, v10
	v_and_b32_e32 v10, 0xc0, v0
	v_min_u32_e32 v10, 0x80, v10
	v_or_b32_e32 v10, 63, v10
	s_cmp_lg_u32 s6, 0
	v_cmp_lt_u32_e64 s[2:3], 31, v24
	v_lshrrev_b32_e32 v25, 6, v0
	v_cmp_eq_u32_e64 s[8:9], v10, v0
	s_cbranch_scc0 .LBB3493_43
; %bb.17:
	v_mov_b32_dpp v10, v26 row_shr:1 row_mask:0xf bank_mask:0xf
	v_cndmask_b32_e64 v10, v10, 0, s[16:17]
	v_add_u32_e32 v10, v10, v26
	s_nop 1
	v_mov_b32_dpp v11, v10 row_shr:2 row_mask:0xf bank_mask:0xf
	v_cndmask_b32_e64 v11, 0, v11, s[14:15]
	v_add_u32_e32 v10, v10, v11
	s_nop 1
	v_mov_b32_dpp v11, v10 row_shr:4 row_mask:0xf bank_mask:0xf
	v_cndmask_b32_e64 v11, 0, v11, s[12:13]
	v_add_u32_e32 v10, v10, v11
	s_nop 1
	v_mov_b32_dpp v11, v10 row_shr:8 row_mask:0xf bank_mask:0xf
	v_cndmask_b32_e64 v11, 0, v11, s[10:11]
	v_add_u32_e32 v10, v10, v11
	s_nop 1
	v_mov_b32_dpp v11, v10 row_bcast:15 row_mask:0xf bank_mask:0xf
	v_cndmask_b32_e64 v11, v11, 0, s[20:21]
	v_add_u32_e32 v10, v10, v11
	s_nop 1
	v_mov_b32_dpp v11, v10 row_bcast:31 row_mask:0xf bank_mask:0xf
	v_cndmask_b32_e64 v11, 0, v11, s[2:3]
	v_add_u32_e32 v10, v10, v11
	s_and_saveexec_b64 s[18:19], s[8:9]
	s_cbranch_execz .LBB3493_19
; %bb.18:
	v_lshlrev_b32_e32 v11, 2, v25
	ds_write_b32 v11, v10
.LBB3493_19:
	s_or_b64 exec, exec, s[18:19]
	v_cmp_gt_u32_e32 vcc, 3, v0
	s_waitcnt lgkmcnt(0)
	s_barrier
	s_and_saveexec_b64 s[18:19], vcc
	s_cbranch_execz .LBB3493_21
; %bb.20:
	ds_read_b32 v11, v20
	v_and_b32_e32 v12, 3, v24
	v_cmp_ne_u32_e32 vcc, 0, v12
	s_waitcnt lgkmcnt(0)
	v_mov_b32_dpp v13, v11 row_shr:1 row_mask:0xf bank_mask:0xf
	v_cndmask_b32_e32 v13, 0, v13, vcc
	v_add_u32_e32 v11, v13, v11
	v_cmp_lt_u32_e32 vcc, 1, v12
	s_nop 0
	v_mov_b32_dpp v13, v11 row_shr:2 row_mask:0xf bank_mask:0xf
	v_cndmask_b32_e32 v12, 0, v13, vcc
	v_add_u32_e32 v11, v11, v12
	ds_write_b32 v20, v11
.LBB3493_21:
	s_or_b64 exec, exec, s[18:19]
	v_cmp_gt_u32_e32 vcc, 64, v0
	v_cmp_lt_u32_e64 s[18:19], 63, v0
	s_waitcnt lgkmcnt(0)
	s_barrier
	s_waitcnt lgkmcnt(0)
                                        ; implicit-def: $vgpr27
	s_and_saveexec_b64 s[40:41], s[18:19]
	s_cbranch_execz .LBB3493_23
; %bb.22:
	v_lshl_add_u32 v11, v25, 2, -4
	ds_read_b32 v27, v11
	s_waitcnt lgkmcnt(0)
	v_add_u32_e32 v10, v27, v10
.LBB3493_23:
	s_or_b64 exec, exec, s[40:41]
	v_add_u32_e32 v11, -1, v24
	v_and_b32_e32 v12, 64, v24
	v_cmp_lt_i32_e64 s[18:19], v11, v12
	v_cndmask_b32_e64 v11, v11, v24, s[18:19]
	v_lshlrev_b32_e32 v11, 2, v11
	ds_bpermute_b32 v28, v11, v10
	v_cmp_eq_u32_e64 s[18:19], 0, v24
	s_and_saveexec_b64 s[40:41], vcc
	s_cbranch_execz .LBB3493_42
; %bb.24:
	v_mov_b32_e32 v17, 0
	ds_read_b32 v10, v17 offset:8
	s_and_saveexec_b64 s[42:43], s[18:19]
	s_cbranch_execz .LBB3493_26
; %bb.25:
	s_add_i32 s44, s6, 64
	s_mov_b32 s45, 0
	s_lshl_b64 s[44:45], s[44:45], 3
	s_add_u32 s44, s38, s44
	v_mov_b32_e32 v11, 1
	s_addc_u32 s45, s39, s45
	s_waitcnt lgkmcnt(0)
	global_store_dwordx2 v17, v[10:11], s[44:45]
.LBB3493_26:
	s_or_b64 exec, exec, s[42:43]
	v_xad_u32 v12, v24, -1, s6
	v_add_u32_e32 v16, 64, v12
	v_lshlrev_b64 v[14:15], 3, v[16:17]
	v_mov_b32_e32 v11, s39
	v_add_co_u32_e32 v18, vcc, s38, v14
	v_addc_co_u32_e32 v19, vcc, v11, v15, vcc
	global_load_dwordx2 v[14:15], v[18:19], off glc
	s_waitcnt vmcnt(0)
	v_cmp_eq_u16_sdwa s[44:45], v15, v17 src0_sel:BYTE_0 src1_sel:DWORD
	s_and_saveexec_b64 s[42:43], s[44:45]
	s_cbranch_execz .LBB3493_30
; %bb.27:
	s_mov_b64 s[44:45], 0
	v_mov_b32_e32 v11, 0
.LBB3493_28:                            ; =>This Inner Loop Header: Depth=1
	global_load_dwordx2 v[14:15], v[18:19], off glc
	s_waitcnt vmcnt(0)
	v_cmp_ne_u16_sdwa s[46:47], v15, v11 src0_sel:BYTE_0 src1_sel:DWORD
	s_or_b64 s[44:45], s[46:47], s[44:45]
	s_andn2_b64 exec, exec, s[44:45]
	s_cbranch_execnz .LBB3493_28
; %bb.29:
	s_or_b64 exec, exec, s[44:45]
.LBB3493_30:
	s_or_b64 exec, exec, s[42:43]
	v_and_b32_e32 v30, 63, v24
	v_mov_b32_e32 v29, 2
	v_cmp_ne_u32_e32 vcc, 63, v30
	v_cmp_eq_u16_sdwa s[42:43], v15, v29 src0_sel:BYTE_0 src1_sel:DWORD
	v_lshlrev_b64 v[16:17], v24, -1
	v_addc_co_u32_e32 v18, vcc, 0, v24, vcc
	v_and_b32_e32 v11, s43, v17
	v_lshlrev_b32_e32 v31, 2, v18
	v_or_b32_e32 v11, 0x80000000, v11
	ds_bpermute_b32 v18, v31, v14
	v_and_b32_e32 v13, s42, v16
	v_ffbl_b32_e32 v11, v11
	v_add_u32_e32 v11, 32, v11
	v_ffbl_b32_e32 v13, v13
	v_min_u32_e32 v11, v13, v11
	v_cmp_lt_u32_e32 vcc, v30, v11
	s_waitcnt lgkmcnt(0)
	v_cndmask_b32_e32 v13, 0, v18, vcc
	v_cmp_gt_u32_e32 vcc, 62, v30
	v_add_u32_e32 v13, v13, v14
	v_cndmask_b32_e64 v14, 0, 1, vcc
	v_lshlrev_b32_e32 v14, 1, v14
	v_add_lshl_u32 v32, v14, v24, 2
	ds_bpermute_b32 v14, v32, v13
	v_add_u32_e32 v33, 2, v30
	v_cmp_le_u32_e32 vcc, v33, v11
	v_add_u32_e32 v35, 4, v30
	v_add_u32_e32 v37, 8, v30
	s_waitcnt lgkmcnt(0)
	v_cndmask_b32_e32 v14, 0, v14, vcc
	v_cmp_gt_u32_e32 vcc, 60, v30
	v_add_u32_e32 v13, v13, v14
	v_cndmask_b32_e64 v14, 0, 1, vcc
	v_lshlrev_b32_e32 v14, 2, v14
	v_add_lshl_u32 v34, v14, v24, 2
	ds_bpermute_b32 v14, v34, v13
	v_cmp_le_u32_e32 vcc, v35, v11
	v_add_u32_e32 v39, 16, v30
	v_add_u32_e32 v41, 32, v30
	s_waitcnt lgkmcnt(0)
	v_cndmask_b32_e32 v14, 0, v14, vcc
	v_cmp_gt_u32_e32 vcc, 56, v30
	v_add_u32_e32 v13, v13, v14
	v_cndmask_b32_e64 v14, 0, 1, vcc
	v_lshlrev_b32_e32 v14, 3, v14
	v_add_lshl_u32 v36, v14, v24, 2
	ds_bpermute_b32 v14, v36, v13
	v_cmp_le_u32_e32 vcc, v37, v11
	s_waitcnt lgkmcnt(0)
	v_cndmask_b32_e32 v14, 0, v14, vcc
	v_cmp_gt_u32_e32 vcc, 48, v30
	v_add_u32_e32 v13, v13, v14
	v_cndmask_b32_e64 v14, 0, 1, vcc
	v_lshlrev_b32_e32 v14, 4, v14
	v_add_lshl_u32 v38, v14, v24, 2
	ds_bpermute_b32 v14, v38, v13
	v_cmp_le_u32_e32 vcc, v39, v11
	;; [unrolled: 9-line block ×3, first 2 shown]
	s_waitcnt lgkmcnt(0)
	v_cndmask_b32_e32 v11, 0, v14, vcc
	v_add_u32_e32 v14, v13, v11
	v_mov_b32_e32 v13, 0
	s_branch .LBB3493_32
.LBB3493_31:                            ;   in Loop: Header=BB3493_32 Depth=1
	s_or_b64 exec, exec, s[42:43]
	v_cmp_eq_u16_sdwa s[42:43], v15, v29 src0_sel:BYTE_0 src1_sel:DWORD
	v_and_b32_e32 v18, s43, v17
	v_or_b32_e32 v18, 0x80000000, v18
	ds_bpermute_b32 v42, v31, v14
	v_and_b32_e32 v19, s42, v16
	v_ffbl_b32_e32 v18, v18
	v_add_u32_e32 v18, 32, v18
	v_ffbl_b32_e32 v19, v19
	v_min_u32_e32 v18, v19, v18
	v_cmp_lt_u32_e32 vcc, v30, v18
	s_waitcnt lgkmcnt(0)
	v_cndmask_b32_e32 v19, 0, v42, vcc
	v_add_u32_e32 v14, v19, v14
	ds_bpermute_b32 v19, v32, v14
	v_cmp_le_u32_e32 vcc, v33, v18
	v_subrev_u32_e32 v12, 64, v12
	s_waitcnt lgkmcnt(0)
	v_cndmask_b32_e32 v19, 0, v19, vcc
	v_add_u32_e32 v14, v14, v19
	ds_bpermute_b32 v19, v34, v14
	v_cmp_le_u32_e32 vcc, v35, v18
	s_waitcnt lgkmcnt(0)
	v_cndmask_b32_e32 v19, 0, v19, vcc
	v_add_u32_e32 v14, v14, v19
	ds_bpermute_b32 v19, v36, v14
	v_cmp_le_u32_e32 vcc, v37, v18
	;; [unrolled: 5-line block ×4, first 2 shown]
	s_waitcnt lgkmcnt(0)
	v_cndmask_b32_e32 v18, 0, v19, vcc
	v_add3_u32 v14, v18, v11, v14
.LBB3493_32:                            ; =>This Loop Header: Depth=1
                                        ;     Child Loop BB3493_35 Depth 2
	v_cmp_ne_u16_sdwa s[42:43], v15, v29 src0_sel:BYTE_0 src1_sel:DWORD
	v_cndmask_b32_e64 v11, 0, 1, s[42:43]
	;;#ASMSTART
	;;#ASMEND
	v_cmp_ne_u32_e32 vcc, 0, v11
	s_cmp_lg_u64 vcc, exec
	v_mov_b32_e32 v11, v14
	s_cbranch_scc1 .LBB3493_37
; %bb.33:                               ;   in Loop: Header=BB3493_32 Depth=1
	v_lshlrev_b64 v[14:15], 3, v[12:13]
	v_mov_b32_e32 v19, s39
	v_add_co_u32_e32 v18, vcc, s38, v14
	v_addc_co_u32_e32 v19, vcc, v19, v15, vcc
	global_load_dwordx2 v[14:15], v[18:19], off glc
	s_waitcnt vmcnt(0)
	v_cmp_eq_u16_sdwa s[44:45], v15, v13 src0_sel:BYTE_0 src1_sel:DWORD
	s_and_saveexec_b64 s[42:43], s[44:45]
	s_cbranch_execz .LBB3493_31
; %bb.34:                               ;   in Loop: Header=BB3493_32 Depth=1
	s_mov_b64 s[44:45], 0
.LBB3493_35:                            ;   Parent Loop BB3493_32 Depth=1
                                        ; =>  This Inner Loop Header: Depth=2
	global_load_dwordx2 v[14:15], v[18:19], off glc
	s_waitcnt vmcnt(0)
	v_cmp_ne_u16_sdwa s[46:47], v15, v13 src0_sel:BYTE_0 src1_sel:DWORD
	s_or_b64 s[44:45], s[46:47], s[44:45]
	s_andn2_b64 exec, exec, s[44:45]
	s_cbranch_execnz .LBB3493_35
; %bb.36:                               ;   in Loop: Header=BB3493_32 Depth=1
	s_or_b64 exec, exec, s[44:45]
	s_branch .LBB3493_31
.LBB3493_37:                            ;   in Loop: Header=BB3493_32 Depth=1
                                        ; implicit-def: $vgpr14
                                        ; implicit-def: $vgpr15
	s_cbranch_execz .LBB3493_32
; %bb.38:
	s_and_saveexec_b64 s[42:43], s[18:19]
	s_cbranch_execz .LBB3493_40
; %bb.39:
	s_add_i32 s6, s6, 64
	s_mov_b32 s7, 0
	s_lshl_b64 s[6:7], s[6:7], 3
	s_add_u32 s6, s38, s6
	v_add_u32_e32 v12, v11, v10
	v_mov_b32_e32 v13, 2
	s_addc_u32 s7, s39, s7
	v_mov_b32_e32 v14, 0
	global_store_dwordx2 v14, v[12:13], s[6:7]
	ds_write_b64 v14, v[10:11] offset:6336
.LBB3493_40:
	s_or_b64 exec, exec, s[42:43]
	v_cmp_eq_u32_e32 vcc, 0, v0
	s_and_b64 exec, exec, vcc
	s_cbranch_execz .LBB3493_42
; %bb.41:
	v_mov_b32_e32 v10, 0
	ds_write_b32 v10, v11 offset:8
.LBB3493_42:
	s_or_b64 exec, exec, s[40:41]
	v_mov_b32_e32 v10, 0
	s_waitcnt lgkmcnt(0)
	s_barrier
	ds_read_b32 v11, v10 offset:8
	v_cndmask_b32_e64 v12, v28, v27, s[18:19]
	v_cmp_ne_u32_e32 vcc, 0, v0
	v_cndmask_b32_e32 v12, 0, v12, vcc
	s_waitcnt lgkmcnt(0)
	v_add_u32_e32 v14, v11, v12
	s_barrier
	ds_read_b64 v[10:11], v10 offset:6336
	v_add_u32_sdwa v15, v14, v21 dst_sel:DWORD dst_unused:UNUSED_PAD src0_sel:DWORD src1_sel:BYTE_0
	v_add_u32_e32 v13, v15, v22
	v_add_u32_e32 v12, v13, v23
	s_load_dwordx2 s[4:5], s[4:5], 0x28
	s_branch .LBB3493_53
.LBB3493_43:
                                        ; implicit-def: $vgpr11
                                        ; implicit-def: $vgpr12
                                        ; implicit-def: $vgpr13
                                        ; implicit-def: $vgpr15
                                        ; implicit-def: $vgpr14
	s_load_dwordx2 s[4:5], s[4:5], 0x28
	s_cbranch_execz .LBB3493_53
; %bb.44:
	s_waitcnt lgkmcnt(0)
	v_mov_b32_dpp v10, v26 row_shr:1 row_mask:0xf bank_mask:0xf
	v_cndmask_b32_e64 v10, v10, 0, s[16:17]
	v_add_u32_e32 v10, v10, v26
	s_nop 1
	v_mov_b32_dpp v11, v10 row_shr:2 row_mask:0xf bank_mask:0xf
	v_cndmask_b32_e64 v11, 0, v11, s[14:15]
	v_add_u32_e32 v10, v10, v11
	s_nop 1
	;; [unrolled: 4-line block ×4, first 2 shown]
	v_mov_b32_dpp v11, v10 row_bcast:15 row_mask:0xf bank_mask:0xf
	v_cndmask_b32_e64 v11, v11, 0, s[20:21]
	v_add_u32_e32 v10, v10, v11
	s_nop 1
	v_mov_b32_dpp v11, v10 row_bcast:31 row_mask:0xf bank_mask:0xf
	v_cndmask_b32_e64 v11, 0, v11, s[2:3]
	v_add_u32_e32 v10, v10, v11
	s_and_saveexec_b64 s[2:3], s[8:9]
	s_cbranch_execz .LBB3493_46
; %bb.45:
	v_lshlrev_b32_e32 v11, 2, v25
	ds_write_b32 v11, v10
.LBB3493_46:
	s_or_b64 exec, exec, s[2:3]
	v_cmp_gt_u32_e32 vcc, 3, v0
	s_waitcnt lgkmcnt(0)
	s_barrier
	s_and_saveexec_b64 s[2:3], vcc
	s_cbranch_execz .LBB3493_48
; %bb.47:
	ds_read_b32 v11, v20
	v_and_b32_e32 v12, 3, v24
	v_cmp_ne_u32_e32 vcc, 0, v12
	s_waitcnt lgkmcnt(0)
	v_mov_b32_dpp v13, v11 row_shr:1 row_mask:0xf bank_mask:0xf
	v_cndmask_b32_e32 v13, 0, v13, vcc
	v_add_u32_e32 v11, v13, v11
	v_cmp_lt_u32_e32 vcc, 1, v12
	s_nop 0
	v_mov_b32_dpp v13, v11 row_shr:2 row_mask:0xf bank_mask:0xf
	v_cndmask_b32_e32 v12, 0, v13, vcc
	v_add_u32_e32 v11, v11, v12
	ds_write_b32 v20, v11
.LBB3493_48:
	s_or_b64 exec, exec, s[2:3]
	v_cmp_lt_u32_e32 vcc, 63, v0
	v_mov_b32_e32 v11, 0
	v_mov_b32_e32 v12, 0
	s_waitcnt lgkmcnt(0)
	s_barrier
	s_and_saveexec_b64 s[2:3], vcc
	s_cbranch_execz .LBB3493_50
; %bb.49:
	v_lshl_add_u32 v12, v25, 2, -4
	ds_read_b32 v12, v12
.LBB3493_50:
	s_or_b64 exec, exec, s[2:3]
	v_add_u32_e32 v13, -1, v24
	v_and_b32_e32 v14, 64, v24
	v_cmp_lt_i32_e32 vcc, v13, v14
	v_cndmask_b32_e32 v13, v13, v24, vcc
	s_waitcnt lgkmcnt(0)
	v_add_u32_e32 v10, v12, v10
	v_lshlrev_b32_e32 v13, 2, v13
	ds_bpermute_b32 v13, v13, v10
	ds_read_b32 v10, v11 offset:8
	v_cmp_eq_u32_e32 vcc, 0, v0
	s_and_saveexec_b64 s[2:3], vcc
	s_cbranch_execz .LBB3493_52
; %bb.51:
	v_mov_b32_e32 v14, 0
	v_mov_b32_e32 v11, 2
	s_waitcnt lgkmcnt(0)
	global_store_dwordx2 v14, v[10:11], s[38:39] offset:512
.LBB3493_52:
	s_or_b64 exec, exec, s[2:3]
	v_cmp_eq_u32_e64 s[2:3], 0, v24
	s_waitcnt lgkmcnt(1)
	v_cndmask_b32_e64 v12, v13, v12, s[2:3]
	v_cndmask_b32_e64 v14, v12, 0, vcc
	v_add_u32_sdwa v15, v14, v21 dst_sel:DWORD dst_unused:UNUSED_PAD src0_sel:DWORD src1_sel:BYTE_0
	v_add_u32_e32 v13, v15, v22
	v_mov_b32_e32 v11, 0
	v_add_u32_e32 v12, v13, v23
	s_waitcnt lgkmcnt(0)
	s_barrier
.LBB3493_53:
	s_waitcnt lgkmcnt(0)
	v_add_u32_e32 v17, v10, v20
	v_sub_u32_e32 v14, v14, v11
	v_and_b32_e32 v19, 1, v21
	v_sub_u32_e32 v18, v17, v14
	v_cmp_eq_u32_e32 vcc, 1, v19
	v_cndmask_b32_e32 v14, v18, v14, vcc
	v_lshlrev_b32_e32 v14, 3, v14
	v_lshrrev_b32_e32 v16, 8, v21
	ds_write_b64 v14, v[6:7]
	v_sub_u32_e32 v6, v15, v11
	v_sub_u32_e32 v7, v17, v6
	v_and_b32_e32 v14, 1, v16
	v_add_u32_e32 v7, 1, v7
	v_cmp_eq_u32_e32 vcc, 1, v14
	v_cndmask_b32_e32 v6, v7, v6, vcc
	v_lshlrev_b32_e32 v6, 3, v6
	ds_write_b64 v6, v[8:9]
	v_sub_u32_e32 v6, v13, v11
	v_mov_b32_e32 v8, 1
	v_sub_u32_e32 v7, v17, v6
	v_and_b32_sdwa v8, v8, v21 dst_sel:DWORD dst_unused:UNUSED_PAD src0_sel:DWORD src1_sel:WORD_1
	v_add_u32_e32 v7, 2, v7
	v_cmp_eq_u32_e32 vcc, 1, v8
	v_cndmask_b32_e32 v6, v7, v6, vcc
	v_lshlrev_b32_e32 v6, 3, v6
	ds_write_b64 v6, v[2:3]
	v_sub_u32_e32 v2, v12, v11
	v_sub_u32_e32 v3, v17, v2
	v_add_u32_e32 v3, 3, v3
	v_cndmask_b32_e64 v2, v3, v2, s[36:37]
	s_add_u32 s2, s22, s34
	v_lshlrev_b32_e32 v2, 3, v2
	s_addc_u32 s3, s23, 0
	ds_write_b64 v2, v[4:5]
	s_waitcnt lgkmcnt(0)
	s_barrier
	ds_read2st64_b64 v[6:9], v1 offset1:3
	ds_read2st64_b64 v[2:5], v1 offset0:6 offset1:9
	v_mov_b32_e32 v12, s31
	v_add_co_u32_e32 v1, vcc, s30, v11
	s_sub_u32 s2, s28, s2
	v_addc_co_u32_e32 v11, vcc, 0, v12, vcc
	s_subb_u32 s3, s29, s3
	v_mov_b32_e32 v12, s3
	v_add_co_u32_e32 v13, vcc, s2, v10
	v_addc_co_u32_e32 v12, vcc, 0, v12, vcc
	s_and_b64 vcc, exec, s[0:1]
	v_add_co_u32_e64 v15, s[0:1], v13, v1
	v_add_u32_e32 v18, 0xc0, v0
	v_add_u32_e32 v17, 0x180, v0
	v_add_u32_e32 v14, 0x240, v0
	v_addc_co_u32_e64 v16, s[0:1], v12, v11, s[0:1]
	s_cbranch_vccnz .LBB3493_71
; %bb.54:
	v_cmp_ge_u32_e32 vcc, v0, v10
                                        ; implicit-def: $vgpr12_vgpr13
	s_and_saveexec_b64 s[0:1], vcc
	s_xor_b64 s[0:1], exec, s[0:1]
; %bb.55:
	v_not_b32_e32 v12, v0
	v_ashrrev_i32_e32 v13, 31, v12
	v_add_co_u32_e32 v12, vcc, v15, v12
	v_addc_co_u32_e32 v13, vcc, v16, v13, vcc
; %bb.56:
	s_andn2_saveexec_b64 s[0:1], s[0:1]
; %bb.57:
	v_add_co_u32_e32 v12, vcc, v1, v0
	v_addc_co_u32_e32 v13, vcc, 0, v11, vcc
; %bb.58:
	s_or_b64 exec, exec, s[0:1]
	v_lshlrev_b64 v[12:13], 3, v[12:13]
	v_mov_b32_e32 v19, s5
	v_add_co_u32_e32 v12, vcc, s4, v12
	v_addc_co_u32_e32 v13, vcc, v19, v13, vcc
	v_cmp_ge_u32_e32 vcc, v18, v10
	s_waitcnt lgkmcnt(1)
	global_store_dwordx2 v[12:13], v[6:7], off
                                        ; implicit-def: $vgpr12_vgpr13
	s_and_saveexec_b64 s[0:1], vcc
	s_xor_b64 s[0:1], exec, s[0:1]
; %bb.59:
	v_sub_u32_e32 v12, 0xffffff3f, v0
	v_ashrrev_i32_e32 v13, 31, v12
	v_add_co_u32_e32 v12, vcc, v15, v12
	v_addc_co_u32_e32 v13, vcc, v16, v13, vcc
; %bb.60:
	s_andn2_saveexec_b64 s[0:1], s[0:1]
; %bb.61:
	v_add_co_u32_e32 v12, vcc, v1, v18
	v_addc_co_u32_e32 v13, vcc, 0, v11, vcc
; %bb.62:
	s_or_b64 exec, exec, s[0:1]
	v_lshlrev_b64 v[12:13], 3, v[12:13]
	v_mov_b32_e32 v19, s5
	v_add_co_u32_e32 v12, vcc, s4, v12
	v_addc_co_u32_e32 v13, vcc, v19, v13, vcc
	v_cmp_ge_u32_e32 vcc, v17, v10
	global_store_dwordx2 v[12:13], v[8:9], off
                                        ; implicit-def: $vgpr12_vgpr13
	s_and_saveexec_b64 s[0:1], vcc
	s_xor_b64 s[0:1], exec, s[0:1]
; %bb.63:
	v_sub_u32_e32 v12, 0xfffffe7f, v0
	v_ashrrev_i32_e32 v13, 31, v12
	v_add_co_u32_e32 v12, vcc, v15, v12
	v_addc_co_u32_e32 v13, vcc, v16, v13, vcc
; %bb.64:
	s_andn2_saveexec_b64 s[0:1], s[0:1]
; %bb.65:
	v_add_co_u32_e32 v12, vcc, v1, v17
	v_addc_co_u32_e32 v13, vcc, 0, v11, vcc
; %bb.66:
	s_or_b64 exec, exec, s[0:1]
	v_lshlrev_b64 v[12:13], 3, v[12:13]
	v_mov_b32_e32 v19, s5
	v_add_co_u32_e32 v12, vcc, s4, v12
	v_addc_co_u32_e32 v13, vcc, v19, v13, vcc
	v_cmp_ge_u32_e32 vcc, v14, v10
	s_waitcnt lgkmcnt(0)
	global_store_dwordx2 v[12:13], v[2:3], off
                                        ; implicit-def: $vgpr12_vgpr13
	s_and_saveexec_b64 s[0:1], vcc
	s_xor_b64 s[0:1], exec, s[0:1]
; %bb.67:
	v_sub_u32_e32 v12, 0xfffffdbf, v0
	v_ashrrev_i32_e32 v13, 31, v12
	v_add_co_u32_e32 v12, vcc, v15, v12
	v_addc_co_u32_e32 v13, vcc, v16, v13, vcc
; %bb.68:
	s_andn2_saveexec_b64 s[0:1], s[0:1]
; %bb.69:
	v_add_co_u32_e32 v12, vcc, v1, v14
	v_addc_co_u32_e32 v13, vcc, 0, v11, vcc
; %bb.70:
	s_or_b64 exec, exec, s[0:1]
	s_mov_b64 s[0:1], -1
	s_branch .LBB3493_97
.LBB3493_71:
	s_mov_b64 s[0:1], 0
                                        ; implicit-def: $vgpr12_vgpr13
	s_cbranch_execz .LBB3493_97
; %bb.72:
	v_cmp_gt_u32_e32 vcc, s33, v0
	s_and_saveexec_b64 s[2:3], vcc
	s_cbranch_execz .LBB3493_80
; %bb.73:
	v_cmp_ge_u32_e32 vcc, v0, v10
                                        ; implicit-def: $vgpr12_vgpr13
	s_and_saveexec_b64 s[6:7], vcc
	s_xor_b64 s[6:7], exec, s[6:7]
; %bb.74:
	v_not_b32_e32 v12, v0
	v_ashrrev_i32_e32 v13, 31, v12
	v_add_co_u32_e32 v12, vcc, v15, v12
	v_addc_co_u32_e32 v13, vcc, v16, v13, vcc
; %bb.75:
	s_andn2_saveexec_b64 s[6:7], s[6:7]
; %bb.76:
	v_add_co_u32_e32 v12, vcc, v1, v0
	v_addc_co_u32_e32 v13, vcc, 0, v11, vcc
; %bb.77:
	s_or_b64 exec, exec, s[6:7]
	v_lshlrev_b64 v[12:13], 3, v[12:13]
	v_mov_b32_e32 v19, s5
	v_add_co_u32_e32 v12, vcc, s4, v12
	v_addc_co_u32_e32 v13, vcc, v19, v13, vcc
	s_waitcnt lgkmcnt(1)
	global_store_dwordx2 v[12:13], v[6:7], off
	s_or_b64 exec, exec, s[2:3]
	v_cmp_gt_u32_e32 vcc, s33, v18
	s_and_saveexec_b64 s[2:3], vcc
	s_cbranch_execnz .LBB3493_81
.LBB3493_78:
	s_or_b64 exec, exec, s[2:3]
	v_cmp_gt_u32_e32 vcc, s33, v17
	s_and_saveexec_b64 s[2:3], vcc
	s_cbranch_execnz .LBB3493_86
.LBB3493_79:
	s_or_b64 exec, exec, s[2:3]
	v_cmp_gt_u32_e32 vcc, s33, v14
                                        ; implicit-def: $vgpr12_vgpr13
	s_and_saveexec_b64 s[2:3], vcc
	s_cbranch_execz .LBB3493_96
	s_branch .LBB3493_91
.LBB3493_80:
	s_or_b64 exec, exec, s[2:3]
	v_cmp_gt_u32_e32 vcc, s33, v18
	s_and_saveexec_b64 s[2:3], vcc
	s_cbranch_execz .LBB3493_78
.LBB3493_81:
	v_cmp_ge_u32_e32 vcc, v18, v10
                                        ; implicit-def: $vgpr6_vgpr7
	s_and_saveexec_b64 s[6:7], vcc
	s_xor_b64 s[6:7], exec, s[6:7]
	s_cbranch_execz .LBB3493_83
; %bb.82:
	s_waitcnt lgkmcnt(1)
	v_sub_u32_e32 v6, 0xffffff3f, v0
	v_ashrrev_i32_e32 v7, 31, v6
	v_add_co_u32_e32 v6, vcc, v15, v6
	v_addc_co_u32_e32 v7, vcc, v16, v7, vcc
                                        ; implicit-def: $vgpr18
.LBB3493_83:
	s_andn2_saveexec_b64 s[6:7], s[6:7]
	s_cbranch_execz .LBB3493_85
; %bb.84:
	s_waitcnt lgkmcnt(1)
	v_add_co_u32_e32 v6, vcc, v1, v18
	v_addc_co_u32_e32 v7, vcc, 0, v11, vcc
.LBB3493_85:
	s_or_b64 exec, exec, s[6:7]
	s_waitcnt lgkmcnt(1)
	v_lshlrev_b64 v[6:7], 3, v[6:7]
	v_mov_b32_e32 v12, s5
	v_add_co_u32_e32 v6, vcc, s4, v6
	v_addc_co_u32_e32 v7, vcc, v12, v7, vcc
	global_store_dwordx2 v[6:7], v[8:9], off
	s_or_b64 exec, exec, s[2:3]
	v_cmp_gt_u32_e32 vcc, s33, v17
	s_and_saveexec_b64 s[2:3], vcc
	s_cbranch_execz .LBB3493_79
.LBB3493_86:
	v_cmp_ge_u32_e32 vcc, v17, v10
                                        ; implicit-def: $vgpr6_vgpr7
	s_and_saveexec_b64 s[6:7], vcc
	s_xor_b64 s[6:7], exec, s[6:7]
	s_cbranch_execz .LBB3493_88
; %bb.87:
	s_waitcnt lgkmcnt(1)
	v_sub_u32_e32 v6, 0xfffffe7f, v0
	v_ashrrev_i32_e32 v7, 31, v6
	v_add_co_u32_e32 v6, vcc, v15, v6
	v_addc_co_u32_e32 v7, vcc, v16, v7, vcc
                                        ; implicit-def: $vgpr17
.LBB3493_88:
	s_andn2_saveexec_b64 s[6:7], s[6:7]
	s_cbranch_execz .LBB3493_90
; %bb.89:
	s_waitcnt lgkmcnt(1)
	v_add_co_u32_e32 v6, vcc, v1, v17
	v_addc_co_u32_e32 v7, vcc, 0, v11, vcc
.LBB3493_90:
	s_or_b64 exec, exec, s[6:7]
	s_waitcnt lgkmcnt(1)
	v_lshlrev_b64 v[6:7], 3, v[6:7]
	v_mov_b32_e32 v8, s5
	v_add_co_u32_e32 v6, vcc, s4, v6
	v_addc_co_u32_e32 v7, vcc, v8, v7, vcc
	s_waitcnt lgkmcnt(0)
	global_store_dwordx2 v[6:7], v[2:3], off
	s_or_b64 exec, exec, s[2:3]
	v_cmp_gt_u32_e32 vcc, s33, v14
                                        ; implicit-def: $vgpr12_vgpr13
	s_and_saveexec_b64 s[2:3], vcc
	s_cbranch_execz .LBB3493_96
.LBB3493_91:
	v_cmp_ge_u32_e32 vcc, v14, v10
                                        ; implicit-def: $vgpr12_vgpr13
	s_and_saveexec_b64 s[6:7], vcc
	s_xor_b64 s[6:7], exec, s[6:7]
	s_cbranch_execz .LBB3493_93
; %bb.92:
	s_waitcnt lgkmcnt(0)
	v_sub_u32_e32 v2, 0xfffffdbf, v0
	v_ashrrev_i32_e32 v3, 31, v2
	v_add_co_u32_e32 v12, vcc, v15, v2
	v_addc_co_u32_e32 v13, vcc, v16, v3, vcc
                                        ; implicit-def: $vgpr14
.LBB3493_93:
	s_andn2_saveexec_b64 s[6:7], s[6:7]
; %bb.94:
	v_add_co_u32_e32 v12, vcc, v1, v14
	v_addc_co_u32_e32 v13, vcc, 0, v11, vcc
; %bb.95:
	s_or_b64 exec, exec, s[6:7]
	s_or_b64 s[0:1], s[0:1], exec
.LBB3493_96:
	s_or_b64 exec, exec, s[2:3]
.LBB3493_97:
	s_and_saveexec_b64 s[2:3], s[0:1]
	s_cbranch_execz .LBB3493_99
; %bb.98:
	s_waitcnt lgkmcnt(0)
	v_lshlrev_b64 v[2:3], 3, v[12:13]
	v_mov_b32_e32 v6, s5
	v_add_co_u32_e32 v2, vcc, s4, v2
	v_addc_co_u32_e32 v3, vcc, v6, v3, vcc
	global_store_dwordx2 v[2:3], v[4:5], off
.LBB3493_99:
	s_or_b64 exec, exec, s[2:3]
	v_cmp_eq_u32_e32 vcc, 0, v0
	s_and_b64 s[0:1], vcc, s[26:27]
	s_and_saveexec_b64 s[2:3], s[0:1]
	s_cbranch_execz .LBB3493_101
; %bb.100:
	v_add_co_u32_e32 v0, vcc, v1, v10
	s_waitcnt lgkmcnt(0)
	v_mov_b32_e32 v2, 0
	v_addc_co_u32_e32 v1, vcc, 0, v11, vcc
	global_store_dwordx2 v2, v[0:1], s[24:25]
.LBB3493_101:
	s_endpgm
	.section	.rodata,"a",@progbits
	.p2align	6, 0x0
	.amdhsa_kernel _ZN7rocprim17ROCPRIM_400000_NS6detail17trampoline_kernelINS0_14default_configENS1_25partition_config_selectorILNS1_17partition_subalgoE3EN6thrust23THRUST_200600_302600_NS5tupleIiiNS7_9null_typeES9_S9_S9_S9_S9_S9_S9_EENS0_10empty_typeEbEEZZNS1_14partition_implILS5_3ELb0ES3_jNS7_6detail15normal_iteratorINS7_7pointerISA_NS7_11hip_rocprim3tagENS7_11use_defaultESJ_EEEEPSB_SM_NS0_5tupleIJPSA_SM_EEENSN_IJSM_SM_EEESB_PlJ10is_orderedEEE10hipError_tPvRmT3_T4_T5_T6_T7_T9_mT8_P12ihipStream_tbDpT10_ENKUlT_T0_E_clISt17integral_constantIbLb0EES1C_EEDaS17_S18_EUlS17_E_NS1_11comp_targetILNS1_3genE4ELNS1_11target_archE910ELNS1_3gpuE8ELNS1_3repE0EEENS1_30default_config_static_selectorELNS0_4arch9wavefront6targetE1EEEvT1_
		.amdhsa_group_segment_fixed_size 6344
		.amdhsa_private_segment_fixed_size 0
		.amdhsa_kernarg_size 120
		.amdhsa_user_sgpr_count 6
		.amdhsa_user_sgpr_private_segment_buffer 1
		.amdhsa_user_sgpr_dispatch_ptr 0
		.amdhsa_user_sgpr_queue_ptr 0
		.amdhsa_user_sgpr_kernarg_segment_ptr 1
		.amdhsa_user_sgpr_dispatch_id 0
		.amdhsa_user_sgpr_flat_scratch_init 0
		.amdhsa_user_sgpr_kernarg_preload_length 0
		.amdhsa_user_sgpr_kernarg_preload_offset 0
		.amdhsa_user_sgpr_private_segment_size 0
		.amdhsa_uses_dynamic_stack 0
		.amdhsa_system_sgpr_private_segment_wavefront_offset 0
		.amdhsa_system_sgpr_workgroup_id_x 1
		.amdhsa_system_sgpr_workgroup_id_y 0
		.amdhsa_system_sgpr_workgroup_id_z 0
		.amdhsa_system_sgpr_workgroup_info 0
		.amdhsa_system_vgpr_workitem_id 0
		.amdhsa_next_free_vgpr 43
		.amdhsa_next_free_sgpr 48
		.amdhsa_accum_offset 44
		.amdhsa_reserve_vcc 1
		.amdhsa_reserve_flat_scratch 0
		.amdhsa_float_round_mode_32 0
		.amdhsa_float_round_mode_16_64 0
		.amdhsa_float_denorm_mode_32 3
		.amdhsa_float_denorm_mode_16_64 3
		.amdhsa_dx10_clamp 1
		.amdhsa_ieee_mode 1
		.amdhsa_fp16_overflow 0
		.amdhsa_tg_split 0
		.amdhsa_exception_fp_ieee_invalid_op 0
		.amdhsa_exception_fp_denorm_src 0
		.amdhsa_exception_fp_ieee_div_zero 0
		.amdhsa_exception_fp_ieee_overflow 0
		.amdhsa_exception_fp_ieee_underflow 0
		.amdhsa_exception_fp_ieee_inexact 0
		.amdhsa_exception_int_div_zero 0
	.end_amdhsa_kernel
	.section	.text._ZN7rocprim17ROCPRIM_400000_NS6detail17trampoline_kernelINS0_14default_configENS1_25partition_config_selectorILNS1_17partition_subalgoE3EN6thrust23THRUST_200600_302600_NS5tupleIiiNS7_9null_typeES9_S9_S9_S9_S9_S9_S9_EENS0_10empty_typeEbEEZZNS1_14partition_implILS5_3ELb0ES3_jNS7_6detail15normal_iteratorINS7_7pointerISA_NS7_11hip_rocprim3tagENS7_11use_defaultESJ_EEEEPSB_SM_NS0_5tupleIJPSA_SM_EEENSN_IJSM_SM_EEESB_PlJ10is_orderedEEE10hipError_tPvRmT3_T4_T5_T6_T7_T9_mT8_P12ihipStream_tbDpT10_ENKUlT_T0_E_clISt17integral_constantIbLb0EES1C_EEDaS17_S18_EUlS17_E_NS1_11comp_targetILNS1_3genE4ELNS1_11target_archE910ELNS1_3gpuE8ELNS1_3repE0EEENS1_30default_config_static_selectorELNS0_4arch9wavefront6targetE1EEEvT1_,"axG",@progbits,_ZN7rocprim17ROCPRIM_400000_NS6detail17trampoline_kernelINS0_14default_configENS1_25partition_config_selectorILNS1_17partition_subalgoE3EN6thrust23THRUST_200600_302600_NS5tupleIiiNS7_9null_typeES9_S9_S9_S9_S9_S9_S9_EENS0_10empty_typeEbEEZZNS1_14partition_implILS5_3ELb0ES3_jNS7_6detail15normal_iteratorINS7_7pointerISA_NS7_11hip_rocprim3tagENS7_11use_defaultESJ_EEEEPSB_SM_NS0_5tupleIJPSA_SM_EEENSN_IJSM_SM_EEESB_PlJ10is_orderedEEE10hipError_tPvRmT3_T4_T5_T6_T7_T9_mT8_P12ihipStream_tbDpT10_ENKUlT_T0_E_clISt17integral_constantIbLb0EES1C_EEDaS17_S18_EUlS17_E_NS1_11comp_targetILNS1_3genE4ELNS1_11target_archE910ELNS1_3gpuE8ELNS1_3repE0EEENS1_30default_config_static_selectorELNS0_4arch9wavefront6targetE1EEEvT1_,comdat
.Lfunc_end3493:
	.size	_ZN7rocprim17ROCPRIM_400000_NS6detail17trampoline_kernelINS0_14default_configENS1_25partition_config_selectorILNS1_17partition_subalgoE3EN6thrust23THRUST_200600_302600_NS5tupleIiiNS7_9null_typeES9_S9_S9_S9_S9_S9_S9_EENS0_10empty_typeEbEEZZNS1_14partition_implILS5_3ELb0ES3_jNS7_6detail15normal_iteratorINS7_7pointerISA_NS7_11hip_rocprim3tagENS7_11use_defaultESJ_EEEEPSB_SM_NS0_5tupleIJPSA_SM_EEENSN_IJSM_SM_EEESB_PlJ10is_orderedEEE10hipError_tPvRmT3_T4_T5_T6_T7_T9_mT8_P12ihipStream_tbDpT10_ENKUlT_T0_E_clISt17integral_constantIbLb0EES1C_EEDaS17_S18_EUlS17_E_NS1_11comp_targetILNS1_3genE4ELNS1_11target_archE910ELNS1_3gpuE8ELNS1_3repE0EEENS1_30default_config_static_selectorELNS0_4arch9wavefront6targetE1EEEvT1_, .Lfunc_end3493-_ZN7rocprim17ROCPRIM_400000_NS6detail17trampoline_kernelINS0_14default_configENS1_25partition_config_selectorILNS1_17partition_subalgoE3EN6thrust23THRUST_200600_302600_NS5tupleIiiNS7_9null_typeES9_S9_S9_S9_S9_S9_S9_EENS0_10empty_typeEbEEZZNS1_14partition_implILS5_3ELb0ES3_jNS7_6detail15normal_iteratorINS7_7pointerISA_NS7_11hip_rocprim3tagENS7_11use_defaultESJ_EEEEPSB_SM_NS0_5tupleIJPSA_SM_EEENSN_IJSM_SM_EEESB_PlJ10is_orderedEEE10hipError_tPvRmT3_T4_T5_T6_T7_T9_mT8_P12ihipStream_tbDpT10_ENKUlT_T0_E_clISt17integral_constantIbLb0EES1C_EEDaS17_S18_EUlS17_E_NS1_11comp_targetILNS1_3genE4ELNS1_11target_archE910ELNS1_3gpuE8ELNS1_3repE0EEENS1_30default_config_static_selectorELNS0_4arch9wavefront6targetE1EEEvT1_
                                        ; -- End function
	.section	.AMDGPU.csdata,"",@progbits
; Kernel info:
; codeLenInByte = 4080
; NumSgprs: 52
; NumVgprs: 43
; NumAgprs: 0
; TotalNumVgprs: 43
; ScratchSize: 0
; MemoryBound: 0
; FloatMode: 240
; IeeeMode: 1
; LDSByteSize: 6344 bytes/workgroup (compile time only)
; SGPRBlocks: 6
; VGPRBlocks: 5
; NumSGPRsForWavesPerEU: 52
; NumVGPRsForWavesPerEU: 43
; AccumOffset: 44
; Occupancy: 8
; WaveLimiterHint : 1
; COMPUTE_PGM_RSRC2:SCRATCH_EN: 0
; COMPUTE_PGM_RSRC2:USER_SGPR: 6
; COMPUTE_PGM_RSRC2:TRAP_HANDLER: 0
; COMPUTE_PGM_RSRC2:TGID_X_EN: 1
; COMPUTE_PGM_RSRC2:TGID_Y_EN: 0
; COMPUTE_PGM_RSRC2:TGID_Z_EN: 0
; COMPUTE_PGM_RSRC2:TIDIG_COMP_CNT: 0
; COMPUTE_PGM_RSRC3_GFX90A:ACCUM_OFFSET: 10
; COMPUTE_PGM_RSRC3_GFX90A:TG_SPLIT: 0
	.section	.text._ZN6thrust23THRUST_200600_302600_NS11hip_rocprim14__parallel_for6kernelILj256ENS1_20__uninitialized_copy7functorINS0_7pointerINS0_5tupleIiiNS0_9null_typeES8_S8_S8_S8_S8_S8_S8_EENS1_3tagENS0_11use_defaultESB_EESC_EEmLj1EEEvT0_T1_SF_,"axG",@progbits,_ZN6thrust23THRUST_200600_302600_NS11hip_rocprim14__parallel_for6kernelILj256ENS1_20__uninitialized_copy7functorINS0_7pointerINS0_5tupleIiiNS0_9null_typeES8_S8_S8_S8_S8_S8_S8_EENS1_3tagENS0_11use_defaultESB_EESC_EEmLj1EEEvT0_T1_SF_,comdat
	.protected	_ZN6thrust23THRUST_200600_302600_NS11hip_rocprim14__parallel_for6kernelILj256ENS1_20__uninitialized_copy7functorINS0_7pointerINS0_5tupleIiiNS0_9null_typeES8_S8_S8_S8_S8_S8_S8_EENS1_3tagENS0_11use_defaultESB_EESC_EEmLj1EEEvT0_T1_SF_ ; -- Begin function _ZN6thrust23THRUST_200600_302600_NS11hip_rocprim14__parallel_for6kernelILj256ENS1_20__uninitialized_copy7functorINS0_7pointerINS0_5tupleIiiNS0_9null_typeES8_S8_S8_S8_S8_S8_S8_EENS1_3tagENS0_11use_defaultESB_EESC_EEmLj1EEEvT0_T1_SF_
	.globl	_ZN6thrust23THRUST_200600_302600_NS11hip_rocprim14__parallel_for6kernelILj256ENS1_20__uninitialized_copy7functorINS0_7pointerINS0_5tupleIiiNS0_9null_typeES8_S8_S8_S8_S8_S8_S8_EENS1_3tagENS0_11use_defaultESB_EESC_EEmLj1EEEvT0_T1_SF_
	.p2align	8
	.type	_ZN6thrust23THRUST_200600_302600_NS11hip_rocprim14__parallel_for6kernelILj256ENS1_20__uninitialized_copy7functorINS0_7pointerINS0_5tupleIiiNS0_9null_typeES8_S8_S8_S8_S8_S8_S8_EENS1_3tagENS0_11use_defaultESB_EESC_EEmLj1EEEvT0_T1_SF_,@function
_ZN6thrust23THRUST_200600_302600_NS11hip_rocprim14__parallel_for6kernelILj256ENS1_20__uninitialized_copy7functorINS0_7pointerINS0_5tupleIiiNS0_9null_typeES8_S8_S8_S8_S8_S8_S8_EENS1_3tagENS0_11use_defaultESB_EESC_EEmLj1EEEvT0_T1_SF_: ; @_ZN6thrust23THRUST_200600_302600_NS11hip_rocprim14__parallel_for6kernelILj256ENS1_20__uninitialized_copy7functorINS0_7pointerINS0_5tupleIiiNS0_9null_typeES8_S8_S8_S8_S8_S8_S8_EENS1_3tagENS0_11use_defaultESB_EESC_EEmLj1EEEvT0_T1_SF_
; %bb.0:
	s_load_dwordx8 s[8:15], s[4:5], 0x0
	s_lshl_b32 s0, s6, 8
	v_mov_b32_e32 v2, 0x100
	v_mov_b32_e32 v3, 0
	s_waitcnt lgkmcnt(0)
	s_add_u32 s6, s0, s14
	s_addc_u32 s7, 0, s15
	s_sub_u32 s0, s12, s6
	s_subb_u32 s1, s13, s7
	v_cmp_lt_u64_e32 vcc, s[0:1], v[2:3]
	s_cbranch_vccz .LBB3494_4
; %bb.1:
	v_cmp_gt_u32_e32 vcc, s0, v0
	s_mov_b64 s[2:3], 0
	s_mov_b64 s[0:1], 0
                                        ; implicit-def: $vgpr2_vgpr3
                                        ; implicit-def: $vgpr4_vgpr5
	s_and_saveexec_b64 s[4:5], vcc
	s_xor_b64 s[4:5], exec, s[4:5]
; %bb.2:
	v_mov_b32_e32 v1, s7
	v_add_co_u32_e32 v2, vcc, s6, v0
	v_addc_co_u32_e32 v3, vcc, 0, v1, vcc
	v_lshlrev_b64 v[4:5], 3, v[2:3]
	v_mov_b32_e32 v1, s11
	v_add_co_u32_e32 v2, vcc, s10, v4
	v_addc_co_u32_e32 v3, vcc, v1, v5, vcc
	v_mov_b32_e32 v1, s9
	v_add_co_u32_e32 v4, vcc, s8, v4
	s_mov_b64 s[0:1], exec
	v_addc_co_u32_e32 v5, vcc, v1, v5, vcc
; %bb.3:
	s_or_b64 exec, exec, s[4:5]
	s_and_b64 vcc, exec, s[2:3]
	s_cbranch_vccnz .LBB3494_5
	s_branch .LBB3494_6
.LBB3494_4:
	s_mov_b64 s[0:1], 0
                                        ; implicit-def: $vgpr2_vgpr3
                                        ; implicit-def: $vgpr4_vgpr5
	s_cbranch_execz .LBB3494_6
.LBB3494_5:
	v_mov_b32_e32 v1, s7
	v_add_co_u32_e32 v0, vcc, s6, v0
	v_addc_co_u32_e32 v1, vcc, 0, v1, vcc
	v_lshlrev_b64 v[0:1], 3, v[0:1]
	v_mov_b32_e32 v2, s9
	v_add_co_u32_e32 v4, vcc, s8, v0
	v_addc_co_u32_e32 v5, vcc, v2, v1, vcc
	v_mov_b32_e32 v3, s11
	v_add_co_u32_e32 v2, vcc, s10, v0
	v_addc_co_u32_e32 v3, vcc, v3, v1, vcc
	s_or_b64 s[0:1], s[0:1], exec
.LBB3494_6:
	s_and_saveexec_b64 s[2:3], s[0:1]
	s_cbranch_execnz .LBB3494_8
; %bb.7:
	s_endpgm
.LBB3494_8:
	flat_load_dwordx2 v[0:1], v[4:5]
	s_waitcnt vmcnt(0) lgkmcnt(0)
	flat_store_dwordx2 v[2:3], v[0:1]
	s_endpgm
	.section	.rodata,"a",@progbits
	.p2align	6, 0x0
	.amdhsa_kernel _ZN6thrust23THRUST_200600_302600_NS11hip_rocprim14__parallel_for6kernelILj256ENS1_20__uninitialized_copy7functorINS0_7pointerINS0_5tupleIiiNS0_9null_typeES8_S8_S8_S8_S8_S8_S8_EENS1_3tagENS0_11use_defaultESB_EESC_EEmLj1EEEvT0_T1_SF_
		.amdhsa_group_segment_fixed_size 0
		.amdhsa_private_segment_fixed_size 0
		.amdhsa_kernarg_size 32
		.amdhsa_user_sgpr_count 6
		.amdhsa_user_sgpr_private_segment_buffer 1
		.amdhsa_user_sgpr_dispatch_ptr 0
		.amdhsa_user_sgpr_queue_ptr 0
		.amdhsa_user_sgpr_kernarg_segment_ptr 1
		.amdhsa_user_sgpr_dispatch_id 0
		.amdhsa_user_sgpr_flat_scratch_init 0
		.amdhsa_user_sgpr_kernarg_preload_length 0
		.amdhsa_user_sgpr_kernarg_preload_offset 0
		.amdhsa_user_sgpr_private_segment_size 0
		.amdhsa_uses_dynamic_stack 0
		.amdhsa_system_sgpr_private_segment_wavefront_offset 0
		.amdhsa_system_sgpr_workgroup_id_x 1
		.amdhsa_system_sgpr_workgroup_id_y 0
		.amdhsa_system_sgpr_workgroup_id_z 0
		.amdhsa_system_sgpr_workgroup_info 0
		.amdhsa_system_vgpr_workitem_id 0
		.amdhsa_next_free_vgpr 6
		.amdhsa_next_free_sgpr 16
		.amdhsa_accum_offset 8
		.amdhsa_reserve_vcc 1
		.amdhsa_reserve_flat_scratch 0
		.amdhsa_float_round_mode_32 0
		.amdhsa_float_round_mode_16_64 0
		.amdhsa_float_denorm_mode_32 3
		.amdhsa_float_denorm_mode_16_64 3
		.amdhsa_dx10_clamp 1
		.amdhsa_ieee_mode 1
		.amdhsa_fp16_overflow 0
		.amdhsa_tg_split 0
		.amdhsa_exception_fp_ieee_invalid_op 0
		.amdhsa_exception_fp_denorm_src 0
		.amdhsa_exception_fp_ieee_div_zero 0
		.amdhsa_exception_fp_ieee_overflow 0
		.amdhsa_exception_fp_ieee_underflow 0
		.amdhsa_exception_fp_ieee_inexact 0
		.amdhsa_exception_int_div_zero 0
	.end_amdhsa_kernel
	.section	.text._ZN6thrust23THRUST_200600_302600_NS11hip_rocprim14__parallel_for6kernelILj256ENS1_20__uninitialized_copy7functorINS0_7pointerINS0_5tupleIiiNS0_9null_typeES8_S8_S8_S8_S8_S8_S8_EENS1_3tagENS0_11use_defaultESB_EESC_EEmLj1EEEvT0_T1_SF_,"axG",@progbits,_ZN6thrust23THRUST_200600_302600_NS11hip_rocprim14__parallel_for6kernelILj256ENS1_20__uninitialized_copy7functorINS0_7pointerINS0_5tupleIiiNS0_9null_typeES8_S8_S8_S8_S8_S8_S8_EENS1_3tagENS0_11use_defaultESB_EESC_EEmLj1EEEvT0_T1_SF_,comdat
.Lfunc_end3494:
	.size	_ZN6thrust23THRUST_200600_302600_NS11hip_rocprim14__parallel_for6kernelILj256ENS1_20__uninitialized_copy7functorINS0_7pointerINS0_5tupleIiiNS0_9null_typeES8_S8_S8_S8_S8_S8_S8_EENS1_3tagENS0_11use_defaultESB_EESC_EEmLj1EEEvT0_T1_SF_, .Lfunc_end3494-_ZN6thrust23THRUST_200600_302600_NS11hip_rocprim14__parallel_for6kernelILj256ENS1_20__uninitialized_copy7functorINS0_7pointerINS0_5tupleIiiNS0_9null_typeES8_S8_S8_S8_S8_S8_S8_EENS1_3tagENS0_11use_defaultESB_EESC_EEmLj1EEEvT0_T1_SF_
                                        ; -- End function
	.section	.AMDGPU.csdata,"",@progbits
; Kernel info:
; codeLenInByte = 228
; NumSgprs: 20
; NumVgprs: 6
; NumAgprs: 0
; TotalNumVgprs: 6
; ScratchSize: 0
; MemoryBound: 1
; FloatMode: 240
; IeeeMode: 1
; LDSByteSize: 0 bytes/workgroup (compile time only)
; SGPRBlocks: 2
; VGPRBlocks: 0
; NumSGPRsForWavesPerEU: 20
; NumVGPRsForWavesPerEU: 6
; AccumOffset: 8
; Occupancy: 8
; WaveLimiterHint : 0
; COMPUTE_PGM_RSRC2:SCRATCH_EN: 0
; COMPUTE_PGM_RSRC2:USER_SGPR: 6
; COMPUTE_PGM_RSRC2:TRAP_HANDLER: 0
; COMPUTE_PGM_RSRC2:TGID_X_EN: 1
; COMPUTE_PGM_RSRC2:TGID_Y_EN: 0
; COMPUTE_PGM_RSRC2:TGID_Z_EN: 0
; COMPUTE_PGM_RSRC2:TIDIG_COMP_CNT: 0
; COMPUTE_PGM_RSRC3_GFX90A:ACCUM_OFFSET: 1
; COMPUTE_PGM_RSRC3_GFX90A:TG_SPLIT: 0
	.section	.text._ZN7rocprim17ROCPRIM_400000_NS6detail17trampoline_kernelINS0_14default_configENS1_25partition_config_selectorILNS1_17partition_subalgoE3EN6thrust23THRUST_200600_302600_NS5tupleIiiNS7_9null_typeES9_S9_S9_S9_S9_S9_S9_EENS0_10empty_typeEbEEZZNS1_14partition_implILS5_3ELb0ES3_jNS7_6detail15normal_iteratorINS7_7pointerISA_NS7_11hip_rocprim3tagENS7_11use_defaultESJ_EEEEPSB_SM_NS0_5tupleIJPSA_SM_EEENSN_IJSM_SM_EEESB_PlJ10is_orderedEEE10hipError_tPvRmT3_T4_T5_T6_T7_T9_mT8_P12ihipStream_tbDpT10_ENKUlT_T0_E_clISt17integral_constantIbLb0EES1C_EEDaS17_S18_EUlS17_E_NS1_11comp_targetILNS1_3genE3ELNS1_11target_archE908ELNS1_3gpuE7ELNS1_3repE0EEENS1_30default_config_static_selectorELNS0_4arch9wavefront6targetE1EEEvT1_,"axG",@progbits,_ZN7rocprim17ROCPRIM_400000_NS6detail17trampoline_kernelINS0_14default_configENS1_25partition_config_selectorILNS1_17partition_subalgoE3EN6thrust23THRUST_200600_302600_NS5tupleIiiNS7_9null_typeES9_S9_S9_S9_S9_S9_S9_EENS0_10empty_typeEbEEZZNS1_14partition_implILS5_3ELb0ES3_jNS7_6detail15normal_iteratorINS7_7pointerISA_NS7_11hip_rocprim3tagENS7_11use_defaultESJ_EEEEPSB_SM_NS0_5tupleIJPSA_SM_EEENSN_IJSM_SM_EEESB_PlJ10is_orderedEEE10hipError_tPvRmT3_T4_T5_T6_T7_T9_mT8_P12ihipStream_tbDpT10_ENKUlT_T0_E_clISt17integral_constantIbLb0EES1C_EEDaS17_S18_EUlS17_E_NS1_11comp_targetILNS1_3genE3ELNS1_11target_archE908ELNS1_3gpuE7ELNS1_3repE0EEENS1_30default_config_static_selectorELNS0_4arch9wavefront6targetE1EEEvT1_,comdat
	.protected	_ZN7rocprim17ROCPRIM_400000_NS6detail17trampoline_kernelINS0_14default_configENS1_25partition_config_selectorILNS1_17partition_subalgoE3EN6thrust23THRUST_200600_302600_NS5tupleIiiNS7_9null_typeES9_S9_S9_S9_S9_S9_S9_EENS0_10empty_typeEbEEZZNS1_14partition_implILS5_3ELb0ES3_jNS7_6detail15normal_iteratorINS7_7pointerISA_NS7_11hip_rocprim3tagENS7_11use_defaultESJ_EEEEPSB_SM_NS0_5tupleIJPSA_SM_EEENSN_IJSM_SM_EEESB_PlJ10is_orderedEEE10hipError_tPvRmT3_T4_T5_T6_T7_T9_mT8_P12ihipStream_tbDpT10_ENKUlT_T0_E_clISt17integral_constantIbLb0EES1C_EEDaS17_S18_EUlS17_E_NS1_11comp_targetILNS1_3genE3ELNS1_11target_archE908ELNS1_3gpuE7ELNS1_3repE0EEENS1_30default_config_static_selectorELNS0_4arch9wavefront6targetE1EEEvT1_ ; -- Begin function _ZN7rocprim17ROCPRIM_400000_NS6detail17trampoline_kernelINS0_14default_configENS1_25partition_config_selectorILNS1_17partition_subalgoE3EN6thrust23THRUST_200600_302600_NS5tupleIiiNS7_9null_typeES9_S9_S9_S9_S9_S9_S9_EENS0_10empty_typeEbEEZZNS1_14partition_implILS5_3ELb0ES3_jNS7_6detail15normal_iteratorINS7_7pointerISA_NS7_11hip_rocprim3tagENS7_11use_defaultESJ_EEEEPSB_SM_NS0_5tupleIJPSA_SM_EEENSN_IJSM_SM_EEESB_PlJ10is_orderedEEE10hipError_tPvRmT3_T4_T5_T6_T7_T9_mT8_P12ihipStream_tbDpT10_ENKUlT_T0_E_clISt17integral_constantIbLb0EES1C_EEDaS17_S18_EUlS17_E_NS1_11comp_targetILNS1_3genE3ELNS1_11target_archE908ELNS1_3gpuE7ELNS1_3repE0EEENS1_30default_config_static_selectorELNS0_4arch9wavefront6targetE1EEEvT1_
	.globl	_ZN7rocprim17ROCPRIM_400000_NS6detail17trampoline_kernelINS0_14default_configENS1_25partition_config_selectorILNS1_17partition_subalgoE3EN6thrust23THRUST_200600_302600_NS5tupleIiiNS7_9null_typeES9_S9_S9_S9_S9_S9_S9_EENS0_10empty_typeEbEEZZNS1_14partition_implILS5_3ELb0ES3_jNS7_6detail15normal_iteratorINS7_7pointerISA_NS7_11hip_rocprim3tagENS7_11use_defaultESJ_EEEEPSB_SM_NS0_5tupleIJPSA_SM_EEENSN_IJSM_SM_EEESB_PlJ10is_orderedEEE10hipError_tPvRmT3_T4_T5_T6_T7_T9_mT8_P12ihipStream_tbDpT10_ENKUlT_T0_E_clISt17integral_constantIbLb0EES1C_EEDaS17_S18_EUlS17_E_NS1_11comp_targetILNS1_3genE3ELNS1_11target_archE908ELNS1_3gpuE7ELNS1_3repE0EEENS1_30default_config_static_selectorELNS0_4arch9wavefront6targetE1EEEvT1_
	.p2align	8
	.type	_ZN7rocprim17ROCPRIM_400000_NS6detail17trampoline_kernelINS0_14default_configENS1_25partition_config_selectorILNS1_17partition_subalgoE3EN6thrust23THRUST_200600_302600_NS5tupleIiiNS7_9null_typeES9_S9_S9_S9_S9_S9_S9_EENS0_10empty_typeEbEEZZNS1_14partition_implILS5_3ELb0ES3_jNS7_6detail15normal_iteratorINS7_7pointerISA_NS7_11hip_rocprim3tagENS7_11use_defaultESJ_EEEEPSB_SM_NS0_5tupleIJPSA_SM_EEENSN_IJSM_SM_EEESB_PlJ10is_orderedEEE10hipError_tPvRmT3_T4_T5_T6_T7_T9_mT8_P12ihipStream_tbDpT10_ENKUlT_T0_E_clISt17integral_constantIbLb0EES1C_EEDaS17_S18_EUlS17_E_NS1_11comp_targetILNS1_3genE3ELNS1_11target_archE908ELNS1_3gpuE7ELNS1_3repE0EEENS1_30default_config_static_selectorELNS0_4arch9wavefront6targetE1EEEvT1_,@function
_ZN7rocprim17ROCPRIM_400000_NS6detail17trampoline_kernelINS0_14default_configENS1_25partition_config_selectorILNS1_17partition_subalgoE3EN6thrust23THRUST_200600_302600_NS5tupleIiiNS7_9null_typeES9_S9_S9_S9_S9_S9_S9_EENS0_10empty_typeEbEEZZNS1_14partition_implILS5_3ELb0ES3_jNS7_6detail15normal_iteratorINS7_7pointerISA_NS7_11hip_rocprim3tagENS7_11use_defaultESJ_EEEEPSB_SM_NS0_5tupleIJPSA_SM_EEENSN_IJSM_SM_EEESB_PlJ10is_orderedEEE10hipError_tPvRmT3_T4_T5_T6_T7_T9_mT8_P12ihipStream_tbDpT10_ENKUlT_T0_E_clISt17integral_constantIbLb0EES1C_EEDaS17_S18_EUlS17_E_NS1_11comp_targetILNS1_3genE3ELNS1_11target_archE908ELNS1_3gpuE7ELNS1_3repE0EEENS1_30default_config_static_selectorELNS0_4arch9wavefront6targetE1EEEvT1_: ; @_ZN7rocprim17ROCPRIM_400000_NS6detail17trampoline_kernelINS0_14default_configENS1_25partition_config_selectorILNS1_17partition_subalgoE3EN6thrust23THRUST_200600_302600_NS5tupleIiiNS7_9null_typeES9_S9_S9_S9_S9_S9_S9_EENS0_10empty_typeEbEEZZNS1_14partition_implILS5_3ELb0ES3_jNS7_6detail15normal_iteratorINS7_7pointerISA_NS7_11hip_rocprim3tagENS7_11use_defaultESJ_EEEEPSB_SM_NS0_5tupleIJPSA_SM_EEENSN_IJSM_SM_EEESB_PlJ10is_orderedEEE10hipError_tPvRmT3_T4_T5_T6_T7_T9_mT8_P12ihipStream_tbDpT10_ENKUlT_T0_E_clISt17integral_constantIbLb0EES1C_EEDaS17_S18_EUlS17_E_NS1_11comp_targetILNS1_3genE3ELNS1_11target_archE908ELNS1_3gpuE7ELNS1_3repE0EEENS1_30default_config_static_selectorELNS0_4arch9wavefront6targetE1EEEvT1_
; %bb.0:
	.section	.rodata,"a",@progbits
	.p2align	6, 0x0
	.amdhsa_kernel _ZN7rocprim17ROCPRIM_400000_NS6detail17trampoline_kernelINS0_14default_configENS1_25partition_config_selectorILNS1_17partition_subalgoE3EN6thrust23THRUST_200600_302600_NS5tupleIiiNS7_9null_typeES9_S9_S9_S9_S9_S9_S9_EENS0_10empty_typeEbEEZZNS1_14partition_implILS5_3ELb0ES3_jNS7_6detail15normal_iteratorINS7_7pointerISA_NS7_11hip_rocprim3tagENS7_11use_defaultESJ_EEEEPSB_SM_NS0_5tupleIJPSA_SM_EEENSN_IJSM_SM_EEESB_PlJ10is_orderedEEE10hipError_tPvRmT3_T4_T5_T6_T7_T9_mT8_P12ihipStream_tbDpT10_ENKUlT_T0_E_clISt17integral_constantIbLb0EES1C_EEDaS17_S18_EUlS17_E_NS1_11comp_targetILNS1_3genE3ELNS1_11target_archE908ELNS1_3gpuE7ELNS1_3repE0EEENS1_30default_config_static_selectorELNS0_4arch9wavefront6targetE1EEEvT1_
		.amdhsa_group_segment_fixed_size 0
		.amdhsa_private_segment_fixed_size 0
		.amdhsa_kernarg_size 120
		.amdhsa_user_sgpr_count 6
		.amdhsa_user_sgpr_private_segment_buffer 1
		.amdhsa_user_sgpr_dispatch_ptr 0
		.amdhsa_user_sgpr_queue_ptr 0
		.amdhsa_user_sgpr_kernarg_segment_ptr 1
		.amdhsa_user_sgpr_dispatch_id 0
		.amdhsa_user_sgpr_flat_scratch_init 0
		.amdhsa_user_sgpr_kernarg_preload_length 0
		.amdhsa_user_sgpr_kernarg_preload_offset 0
		.amdhsa_user_sgpr_private_segment_size 0
		.amdhsa_uses_dynamic_stack 0
		.amdhsa_system_sgpr_private_segment_wavefront_offset 0
		.amdhsa_system_sgpr_workgroup_id_x 1
		.amdhsa_system_sgpr_workgroup_id_y 0
		.amdhsa_system_sgpr_workgroup_id_z 0
		.amdhsa_system_sgpr_workgroup_info 0
		.amdhsa_system_vgpr_workitem_id 0
		.amdhsa_next_free_vgpr 1
		.amdhsa_next_free_sgpr 0
		.amdhsa_accum_offset 4
		.amdhsa_reserve_vcc 0
		.amdhsa_reserve_flat_scratch 0
		.amdhsa_float_round_mode_32 0
		.amdhsa_float_round_mode_16_64 0
		.amdhsa_float_denorm_mode_32 3
		.amdhsa_float_denorm_mode_16_64 3
		.amdhsa_dx10_clamp 1
		.amdhsa_ieee_mode 1
		.amdhsa_fp16_overflow 0
		.amdhsa_tg_split 0
		.amdhsa_exception_fp_ieee_invalid_op 0
		.amdhsa_exception_fp_denorm_src 0
		.amdhsa_exception_fp_ieee_div_zero 0
		.amdhsa_exception_fp_ieee_overflow 0
		.amdhsa_exception_fp_ieee_underflow 0
		.amdhsa_exception_fp_ieee_inexact 0
		.amdhsa_exception_int_div_zero 0
	.end_amdhsa_kernel
	.section	.text._ZN7rocprim17ROCPRIM_400000_NS6detail17trampoline_kernelINS0_14default_configENS1_25partition_config_selectorILNS1_17partition_subalgoE3EN6thrust23THRUST_200600_302600_NS5tupleIiiNS7_9null_typeES9_S9_S9_S9_S9_S9_S9_EENS0_10empty_typeEbEEZZNS1_14partition_implILS5_3ELb0ES3_jNS7_6detail15normal_iteratorINS7_7pointerISA_NS7_11hip_rocprim3tagENS7_11use_defaultESJ_EEEEPSB_SM_NS0_5tupleIJPSA_SM_EEENSN_IJSM_SM_EEESB_PlJ10is_orderedEEE10hipError_tPvRmT3_T4_T5_T6_T7_T9_mT8_P12ihipStream_tbDpT10_ENKUlT_T0_E_clISt17integral_constantIbLb0EES1C_EEDaS17_S18_EUlS17_E_NS1_11comp_targetILNS1_3genE3ELNS1_11target_archE908ELNS1_3gpuE7ELNS1_3repE0EEENS1_30default_config_static_selectorELNS0_4arch9wavefront6targetE1EEEvT1_,"axG",@progbits,_ZN7rocprim17ROCPRIM_400000_NS6detail17trampoline_kernelINS0_14default_configENS1_25partition_config_selectorILNS1_17partition_subalgoE3EN6thrust23THRUST_200600_302600_NS5tupleIiiNS7_9null_typeES9_S9_S9_S9_S9_S9_S9_EENS0_10empty_typeEbEEZZNS1_14partition_implILS5_3ELb0ES3_jNS7_6detail15normal_iteratorINS7_7pointerISA_NS7_11hip_rocprim3tagENS7_11use_defaultESJ_EEEEPSB_SM_NS0_5tupleIJPSA_SM_EEENSN_IJSM_SM_EEESB_PlJ10is_orderedEEE10hipError_tPvRmT3_T4_T5_T6_T7_T9_mT8_P12ihipStream_tbDpT10_ENKUlT_T0_E_clISt17integral_constantIbLb0EES1C_EEDaS17_S18_EUlS17_E_NS1_11comp_targetILNS1_3genE3ELNS1_11target_archE908ELNS1_3gpuE7ELNS1_3repE0EEENS1_30default_config_static_selectorELNS0_4arch9wavefront6targetE1EEEvT1_,comdat
.Lfunc_end3495:
	.size	_ZN7rocprim17ROCPRIM_400000_NS6detail17trampoline_kernelINS0_14default_configENS1_25partition_config_selectorILNS1_17partition_subalgoE3EN6thrust23THRUST_200600_302600_NS5tupleIiiNS7_9null_typeES9_S9_S9_S9_S9_S9_S9_EENS0_10empty_typeEbEEZZNS1_14partition_implILS5_3ELb0ES3_jNS7_6detail15normal_iteratorINS7_7pointerISA_NS7_11hip_rocprim3tagENS7_11use_defaultESJ_EEEEPSB_SM_NS0_5tupleIJPSA_SM_EEENSN_IJSM_SM_EEESB_PlJ10is_orderedEEE10hipError_tPvRmT3_T4_T5_T6_T7_T9_mT8_P12ihipStream_tbDpT10_ENKUlT_T0_E_clISt17integral_constantIbLb0EES1C_EEDaS17_S18_EUlS17_E_NS1_11comp_targetILNS1_3genE3ELNS1_11target_archE908ELNS1_3gpuE7ELNS1_3repE0EEENS1_30default_config_static_selectorELNS0_4arch9wavefront6targetE1EEEvT1_, .Lfunc_end3495-_ZN7rocprim17ROCPRIM_400000_NS6detail17trampoline_kernelINS0_14default_configENS1_25partition_config_selectorILNS1_17partition_subalgoE3EN6thrust23THRUST_200600_302600_NS5tupleIiiNS7_9null_typeES9_S9_S9_S9_S9_S9_S9_EENS0_10empty_typeEbEEZZNS1_14partition_implILS5_3ELb0ES3_jNS7_6detail15normal_iteratorINS7_7pointerISA_NS7_11hip_rocprim3tagENS7_11use_defaultESJ_EEEEPSB_SM_NS0_5tupleIJPSA_SM_EEENSN_IJSM_SM_EEESB_PlJ10is_orderedEEE10hipError_tPvRmT3_T4_T5_T6_T7_T9_mT8_P12ihipStream_tbDpT10_ENKUlT_T0_E_clISt17integral_constantIbLb0EES1C_EEDaS17_S18_EUlS17_E_NS1_11comp_targetILNS1_3genE3ELNS1_11target_archE908ELNS1_3gpuE7ELNS1_3repE0EEENS1_30default_config_static_selectorELNS0_4arch9wavefront6targetE1EEEvT1_
                                        ; -- End function
	.section	.AMDGPU.csdata,"",@progbits
; Kernel info:
; codeLenInByte = 0
; NumSgprs: 4
; NumVgprs: 0
; NumAgprs: 0
; TotalNumVgprs: 0
; ScratchSize: 0
; MemoryBound: 0
; FloatMode: 240
; IeeeMode: 1
; LDSByteSize: 0 bytes/workgroup (compile time only)
; SGPRBlocks: 0
; VGPRBlocks: 0
; NumSGPRsForWavesPerEU: 4
; NumVGPRsForWavesPerEU: 1
; AccumOffset: 4
; Occupancy: 8
; WaveLimiterHint : 0
; COMPUTE_PGM_RSRC2:SCRATCH_EN: 0
; COMPUTE_PGM_RSRC2:USER_SGPR: 6
; COMPUTE_PGM_RSRC2:TRAP_HANDLER: 0
; COMPUTE_PGM_RSRC2:TGID_X_EN: 1
; COMPUTE_PGM_RSRC2:TGID_Y_EN: 0
; COMPUTE_PGM_RSRC2:TGID_Z_EN: 0
; COMPUTE_PGM_RSRC2:TIDIG_COMP_CNT: 0
; COMPUTE_PGM_RSRC3_GFX90A:ACCUM_OFFSET: 0
; COMPUTE_PGM_RSRC3_GFX90A:TG_SPLIT: 0
	.section	.text._ZN7rocprim17ROCPRIM_400000_NS6detail17trampoline_kernelINS0_14default_configENS1_25partition_config_selectorILNS1_17partition_subalgoE3EN6thrust23THRUST_200600_302600_NS5tupleIiiNS7_9null_typeES9_S9_S9_S9_S9_S9_S9_EENS0_10empty_typeEbEEZZNS1_14partition_implILS5_3ELb0ES3_jNS7_6detail15normal_iteratorINS7_7pointerISA_NS7_11hip_rocprim3tagENS7_11use_defaultESJ_EEEEPSB_SM_NS0_5tupleIJPSA_SM_EEENSN_IJSM_SM_EEESB_PlJ10is_orderedEEE10hipError_tPvRmT3_T4_T5_T6_T7_T9_mT8_P12ihipStream_tbDpT10_ENKUlT_T0_E_clISt17integral_constantIbLb0EES1C_EEDaS17_S18_EUlS17_E_NS1_11comp_targetILNS1_3genE2ELNS1_11target_archE906ELNS1_3gpuE6ELNS1_3repE0EEENS1_30default_config_static_selectorELNS0_4arch9wavefront6targetE1EEEvT1_,"axG",@progbits,_ZN7rocprim17ROCPRIM_400000_NS6detail17trampoline_kernelINS0_14default_configENS1_25partition_config_selectorILNS1_17partition_subalgoE3EN6thrust23THRUST_200600_302600_NS5tupleIiiNS7_9null_typeES9_S9_S9_S9_S9_S9_S9_EENS0_10empty_typeEbEEZZNS1_14partition_implILS5_3ELb0ES3_jNS7_6detail15normal_iteratorINS7_7pointerISA_NS7_11hip_rocprim3tagENS7_11use_defaultESJ_EEEEPSB_SM_NS0_5tupleIJPSA_SM_EEENSN_IJSM_SM_EEESB_PlJ10is_orderedEEE10hipError_tPvRmT3_T4_T5_T6_T7_T9_mT8_P12ihipStream_tbDpT10_ENKUlT_T0_E_clISt17integral_constantIbLb0EES1C_EEDaS17_S18_EUlS17_E_NS1_11comp_targetILNS1_3genE2ELNS1_11target_archE906ELNS1_3gpuE6ELNS1_3repE0EEENS1_30default_config_static_selectorELNS0_4arch9wavefront6targetE1EEEvT1_,comdat
	.protected	_ZN7rocprim17ROCPRIM_400000_NS6detail17trampoline_kernelINS0_14default_configENS1_25partition_config_selectorILNS1_17partition_subalgoE3EN6thrust23THRUST_200600_302600_NS5tupleIiiNS7_9null_typeES9_S9_S9_S9_S9_S9_S9_EENS0_10empty_typeEbEEZZNS1_14partition_implILS5_3ELb0ES3_jNS7_6detail15normal_iteratorINS7_7pointerISA_NS7_11hip_rocprim3tagENS7_11use_defaultESJ_EEEEPSB_SM_NS0_5tupleIJPSA_SM_EEENSN_IJSM_SM_EEESB_PlJ10is_orderedEEE10hipError_tPvRmT3_T4_T5_T6_T7_T9_mT8_P12ihipStream_tbDpT10_ENKUlT_T0_E_clISt17integral_constantIbLb0EES1C_EEDaS17_S18_EUlS17_E_NS1_11comp_targetILNS1_3genE2ELNS1_11target_archE906ELNS1_3gpuE6ELNS1_3repE0EEENS1_30default_config_static_selectorELNS0_4arch9wavefront6targetE1EEEvT1_ ; -- Begin function _ZN7rocprim17ROCPRIM_400000_NS6detail17trampoline_kernelINS0_14default_configENS1_25partition_config_selectorILNS1_17partition_subalgoE3EN6thrust23THRUST_200600_302600_NS5tupleIiiNS7_9null_typeES9_S9_S9_S9_S9_S9_S9_EENS0_10empty_typeEbEEZZNS1_14partition_implILS5_3ELb0ES3_jNS7_6detail15normal_iteratorINS7_7pointerISA_NS7_11hip_rocprim3tagENS7_11use_defaultESJ_EEEEPSB_SM_NS0_5tupleIJPSA_SM_EEENSN_IJSM_SM_EEESB_PlJ10is_orderedEEE10hipError_tPvRmT3_T4_T5_T6_T7_T9_mT8_P12ihipStream_tbDpT10_ENKUlT_T0_E_clISt17integral_constantIbLb0EES1C_EEDaS17_S18_EUlS17_E_NS1_11comp_targetILNS1_3genE2ELNS1_11target_archE906ELNS1_3gpuE6ELNS1_3repE0EEENS1_30default_config_static_selectorELNS0_4arch9wavefront6targetE1EEEvT1_
	.globl	_ZN7rocprim17ROCPRIM_400000_NS6detail17trampoline_kernelINS0_14default_configENS1_25partition_config_selectorILNS1_17partition_subalgoE3EN6thrust23THRUST_200600_302600_NS5tupleIiiNS7_9null_typeES9_S9_S9_S9_S9_S9_S9_EENS0_10empty_typeEbEEZZNS1_14partition_implILS5_3ELb0ES3_jNS7_6detail15normal_iteratorINS7_7pointerISA_NS7_11hip_rocprim3tagENS7_11use_defaultESJ_EEEEPSB_SM_NS0_5tupleIJPSA_SM_EEENSN_IJSM_SM_EEESB_PlJ10is_orderedEEE10hipError_tPvRmT3_T4_T5_T6_T7_T9_mT8_P12ihipStream_tbDpT10_ENKUlT_T0_E_clISt17integral_constantIbLb0EES1C_EEDaS17_S18_EUlS17_E_NS1_11comp_targetILNS1_3genE2ELNS1_11target_archE906ELNS1_3gpuE6ELNS1_3repE0EEENS1_30default_config_static_selectorELNS0_4arch9wavefront6targetE1EEEvT1_
	.p2align	8
	.type	_ZN7rocprim17ROCPRIM_400000_NS6detail17trampoline_kernelINS0_14default_configENS1_25partition_config_selectorILNS1_17partition_subalgoE3EN6thrust23THRUST_200600_302600_NS5tupleIiiNS7_9null_typeES9_S9_S9_S9_S9_S9_S9_EENS0_10empty_typeEbEEZZNS1_14partition_implILS5_3ELb0ES3_jNS7_6detail15normal_iteratorINS7_7pointerISA_NS7_11hip_rocprim3tagENS7_11use_defaultESJ_EEEEPSB_SM_NS0_5tupleIJPSA_SM_EEENSN_IJSM_SM_EEESB_PlJ10is_orderedEEE10hipError_tPvRmT3_T4_T5_T6_T7_T9_mT8_P12ihipStream_tbDpT10_ENKUlT_T0_E_clISt17integral_constantIbLb0EES1C_EEDaS17_S18_EUlS17_E_NS1_11comp_targetILNS1_3genE2ELNS1_11target_archE906ELNS1_3gpuE6ELNS1_3repE0EEENS1_30default_config_static_selectorELNS0_4arch9wavefront6targetE1EEEvT1_,@function
_ZN7rocprim17ROCPRIM_400000_NS6detail17trampoline_kernelINS0_14default_configENS1_25partition_config_selectorILNS1_17partition_subalgoE3EN6thrust23THRUST_200600_302600_NS5tupleIiiNS7_9null_typeES9_S9_S9_S9_S9_S9_S9_EENS0_10empty_typeEbEEZZNS1_14partition_implILS5_3ELb0ES3_jNS7_6detail15normal_iteratorINS7_7pointerISA_NS7_11hip_rocprim3tagENS7_11use_defaultESJ_EEEEPSB_SM_NS0_5tupleIJPSA_SM_EEENSN_IJSM_SM_EEESB_PlJ10is_orderedEEE10hipError_tPvRmT3_T4_T5_T6_T7_T9_mT8_P12ihipStream_tbDpT10_ENKUlT_T0_E_clISt17integral_constantIbLb0EES1C_EEDaS17_S18_EUlS17_E_NS1_11comp_targetILNS1_3genE2ELNS1_11target_archE906ELNS1_3gpuE6ELNS1_3repE0EEENS1_30default_config_static_selectorELNS0_4arch9wavefront6targetE1EEEvT1_: ; @_ZN7rocprim17ROCPRIM_400000_NS6detail17trampoline_kernelINS0_14default_configENS1_25partition_config_selectorILNS1_17partition_subalgoE3EN6thrust23THRUST_200600_302600_NS5tupleIiiNS7_9null_typeES9_S9_S9_S9_S9_S9_S9_EENS0_10empty_typeEbEEZZNS1_14partition_implILS5_3ELb0ES3_jNS7_6detail15normal_iteratorINS7_7pointerISA_NS7_11hip_rocprim3tagENS7_11use_defaultESJ_EEEEPSB_SM_NS0_5tupleIJPSA_SM_EEENSN_IJSM_SM_EEESB_PlJ10is_orderedEEE10hipError_tPvRmT3_T4_T5_T6_T7_T9_mT8_P12ihipStream_tbDpT10_ENKUlT_T0_E_clISt17integral_constantIbLb0EES1C_EEDaS17_S18_EUlS17_E_NS1_11comp_targetILNS1_3genE2ELNS1_11target_archE906ELNS1_3gpuE6ELNS1_3repE0EEENS1_30default_config_static_selectorELNS0_4arch9wavefront6targetE1EEEvT1_
; %bb.0:
	.section	.rodata,"a",@progbits
	.p2align	6, 0x0
	.amdhsa_kernel _ZN7rocprim17ROCPRIM_400000_NS6detail17trampoline_kernelINS0_14default_configENS1_25partition_config_selectorILNS1_17partition_subalgoE3EN6thrust23THRUST_200600_302600_NS5tupleIiiNS7_9null_typeES9_S9_S9_S9_S9_S9_S9_EENS0_10empty_typeEbEEZZNS1_14partition_implILS5_3ELb0ES3_jNS7_6detail15normal_iteratorINS7_7pointerISA_NS7_11hip_rocprim3tagENS7_11use_defaultESJ_EEEEPSB_SM_NS0_5tupleIJPSA_SM_EEENSN_IJSM_SM_EEESB_PlJ10is_orderedEEE10hipError_tPvRmT3_T4_T5_T6_T7_T9_mT8_P12ihipStream_tbDpT10_ENKUlT_T0_E_clISt17integral_constantIbLb0EES1C_EEDaS17_S18_EUlS17_E_NS1_11comp_targetILNS1_3genE2ELNS1_11target_archE906ELNS1_3gpuE6ELNS1_3repE0EEENS1_30default_config_static_selectorELNS0_4arch9wavefront6targetE1EEEvT1_
		.amdhsa_group_segment_fixed_size 0
		.amdhsa_private_segment_fixed_size 0
		.amdhsa_kernarg_size 120
		.amdhsa_user_sgpr_count 6
		.amdhsa_user_sgpr_private_segment_buffer 1
		.amdhsa_user_sgpr_dispatch_ptr 0
		.amdhsa_user_sgpr_queue_ptr 0
		.amdhsa_user_sgpr_kernarg_segment_ptr 1
		.amdhsa_user_sgpr_dispatch_id 0
		.amdhsa_user_sgpr_flat_scratch_init 0
		.amdhsa_user_sgpr_kernarg_preload_length 0
		.amdhsa_user_sgpr_kernarg_preload_offset 0
		.amdhsa_user_sgpr_private_segment_size 0
		.amdhsa_uses_dynamic_stack 0
		.amdhsa_system_sgpr_private_segment_wavefront_offset 0
		.amdhsa_system_sgpr_workgroup_id_x 1
		.amdhsa_system_sgpr_workgroup_id_y 0
		.amdhsa_system_sgpr_workgroup_id_z 0
		.amdhsa_system_sgpr_workgroup_info 0
		.amdhsa_system_vgpr_workitem_id 0
		.amdhsa_next_free_vgpr 1
		.amdhsa_next_free_sgpr 0
		.amdhsa_accum_offset 4
		.amdhsa_reserve_vcc 0
		.amdhsa_reserve_flat_scratch 0
		.amdhsa_float_round_mode_32 0
		.amdhsa_float_round_mode_16_64 0
		.amdhsa_float_denorm_mode_32 3
		.amdhsa_float_denorm_mode_16_64 3
		.amdhsa_dx10_clamp 1
		.amdhsa_ieee_mode 1
		.amdhsa_fp16_overflow 0
		.amdhsa_tg_split 0
		.amdhsa_exception_fp_ieee_invalid_op 0
		.amdhsa_exception_fp_denorm_src 0
		.amdhsa_exception_fp_ieee_div_zero 0
		.amdhsa_exception_fp_ieee_overflow 0
		.amdhsa_exception_fp_ieee_underflow 0
		.amdhsa_exception_fp_ieee_inexact 0
		.amdhsa_exception_int_div_zero 0
	.end_amdhsa_kernel
	.section	.text._ZN7rocprim17ROCPRIM_400000_NS6detail17trampoline_kernelINS0_14default_configENS1_25partition_config_selectorILNS1_17partition_subalgoE3EN6thrust23THRUST_200600_302600_NS5tupleIiiNS7_9null_typeES9_S9_S9_S9_S9_S9_S9_EENS0_10empty_typeEbEEZZNS1_14partition_implILS5_3ELb0ES3_jNS7_6detail15normal_iteratorINS7_7pointerISA_NS7_11hip_rocprim3tagENS7_11use_defaultESJ_EEEEPSB_SM_NS0_5tupleIJPSA_SM_EEENSN_IJSM_SM_EEESB_PlJ10is_orderedEEE10hipError_tPvRmT3_T4_T5_T6_T7_T9_mT8_P12ihipStream_tbDpT10_ENKUlT_T0_E_clISt17integral_constantIbLb0EES1C_EEDaS17_S18_EUlS17_E_NS1_11comp_targetILNS1_3genE2ELNS1_11target_archE906ELNS1_3gpuE6ELNS1_3repE0EEENS1_30default_config_static_selectorELNS0_4arch9wavefront6targetE1EEEvT1_,"axG",@progbits,_ZN7rocprim17ROCPRIM_400000_NS6detail17trampoline_kernelINS0_14default_configENS1_25partition_config_selectorILNS1_17partition_subalgoE3EN6thrust23THRUST_200600_302600_NS5tupleIiiNS7_9null_typeES9_S9_S9_S9_S9_S9_S9_EENS0_10empty_typeEbEEZZNS1_14partition_implILS5_3ELb0ES3_jNS7_6detail15normal_iteratorINS7_7pointerISA_NS7_11hip_rocprim3tagENS7_11use_defaultESJ_EEEEPSB_SM_NS0_5tupleIJPSA_SM_EEENSN_IJSM_SM_EEESB_PlJ10is_orderedEEE10hipError_tPvRmT3_T4_T5_T6_T7_T9_mT8_P12ihipStream_tbDpT10_ENKUlT_T0_E_clISt17integral_constantIbLb0EES1C_EEDaS17_S18_EUlS17_E_NS1_11comp_targetILNS1_3genE2ELNS1_11target_archE906ELNS1_3gpuE6ELNS1_3repE0EEENS1_30default_config_static_selectorELNS0_4arch9wavefront6targetE1EEEvT1_,comdat
.Lfunc_end3496:
	.size	_ZN7rocprim17ROCPRIM_400000_NS6detail17trampoline_kernelINS0_14default_configENS1_25partition_config_selectorILNS1_17partition_subalgoE3EN6thrust23THRUST_200600_302600_NS5tupleIiiNS7_9null_typeES9_S9_S9_S9_S9_S9_S9_EENS0_10empty_typeEbEEZZNS1_14partition_implILS5_3ELb0ES3_jNS7_6detail15normal_iteratorINS7_7pointerISA_NS7_11hip_rocprim3tagENS7_11use_defaultESJ_EEEEPSB_SM_NS0_5tupleIJPSA_SM_EEENSN_IJSM_SM_EEESB_PlJ10is_orderedEEE10hipError_tPvRmT3_T4_T5_T6_T7_T9_mT8_P12ihipStream_tbDpT10_ENKUlT_T0_E_clISt17integral_constantIbLb0EES1C_EEDaS17_S18_EUlS17_E_NS1_11comp_targetILNS1_3genE2ELNS1_11target_archE906ELNS1_3gpuE6ELNS1_3repE0EEENS1_30default_config_static_selectorELNS0_4arch9wavefront6targetE1EEEvT1_, .Lfunc_end3496-_ZN7rocprim17ROCPRIM_400000_NS6detail17trampoline_kernelINS0_14default_configENS1_25partition_config_selectorILNS1_17partition_subalgoE3EN6thrust23THRUST_200600_302600_NS5tupleIiiNS7_9null_typeES9_S9_S9_S9_S9_S9_S9_EENS0_10empty_typeEbEEZZNS1_14partition_implILS5_3ELb0ES3_jNS7_6detail15normal_iteratorINS7_7pointerISA_NS7_11hip_rocprim3tagENS7_11use_defaultESJ_EEEEPSB_SM_NS0_5tupleIJPSA_SM_EEENSN_IJSM_SM_EEESB_PlJ10is_orderedEEE10hipError_tPvRmT3_T4_T5_T6_T7_T9_mT8_P12ihipStream_tbDpT10_ENKUlT_T0_E_clISt17integral_constantIbLb0EES1C_EEDaS17_S18_EUlS17_E_NS1_11comp_targetILNS1_3genE2ELNS1_11target_archE906ELNS1_3gpuE6ELNS1_3repE0EEENS1_30default_config_static_selectorELNS0_4arch9wavefront6targetE1EEEvT1_
                                        ; -- End function
	.section	.AMDGPU.csdata,"",@progbits
; Kernel info:
; codeLenInByte = 0
; NumSgprs: 4
; NumVgprs: 0
; NumAgprs: 0
; TotalNumVgprs: 0
; ScratchSize: 0
; MemoryBound: 0
; FloatMode: 240
; IeeeMode: 1
; LDSByteSize: 0 bytes/workgroup (compile time only)
; SGPRBlocks: 0
; VGPRBlocks: 0
; NumSGPRsForWavesPerEU: 4
; NumVGPRsForWavesPerEU: 1
; AccumOffset: 4
; Occupancy: 8
; WaveLimiterHint : 0
; COMPUTE_PGM_RSRC2:SCRATCH_EN: 0
; COMPUTE_PGM_RSRC2:USER_SGPR: 6
; COMPUTE_PGM_RSRC2:TRAP_HANDLER: 0
; COMPUTE_PGM_RSRC2:TGID_X_EN: 1
; COMPUTE_PGM_RSRC2:TGID_Y_EN: 0
; COMPUTE_PGM_RSRC2:TGID_Z_EN: 0
; COMPUTE_PGM_RSRC2:TIDIG_COMP_CNT: 0
; COMPUTE_PGM_RSRC3_GFX90A:ACCUM_OFFSET: 0
; COMPUTE_PGM_RSRC3_GFX90A:TG_SPLIT: 0
	.section	.text._ZN7rocprim17ROCPRIM_400000_NS6detail17trampoline_kernelINS0_14default_configENS1_25partition_config_selectorILNS1_17partition_subalgoE3EN6thrust23THRUST_200600_302600_NS5tupleIiiNS7_9null_typeES9_S9_S9_S9_S9_S9_S9_EENS0_10empty_typeEbEEZZNS1_14partition_implILS5_3ELb0ES3_jNS7_6detail15normal_iteratorINS7_7pointerISA_NS7_11hip_rocprim3tagENS7_11use_defaultESJ_EEEEPSB_SM_NS0_5tupleIJPSA_SM_EEENSN_IJSM_SM_EEESB_PlJ10is_orderedEEE10hipError_tPvRmT3_T4_T5_T6_T7_T9_mT8_P12ihipStream_tbDpT10_ENKUlT_T0_E_clISt17integral_constantIbLb0EES1C_EEDaS17_S18_EUlS17_E_NS1_11comp_targetILNS1_3genE10ELNS1_11target_archE1200ELNS1_3gpuE4ELNS1_3repE0EEENS1_30default_config_static_selectorELNS0_4arch9wavefront6targetE1EEEvT1_,"axG",@progbits,_ZN7rocprim17ROCPRIM_400000_NS6detail17trampoline_kernelINS0_14default_configENS1_25partition_config_selectorILNS1_17partition_subalgoE3EN6thrust23THRUST_200600_302600_NS5tupleIiiNS7_9null_typeES9_S9_S9_S9_S9_S9_S9_EENS0_10empty_typeEbEEZZNS1_14partition_implILS5_3ELb0ES3_jNS7_6detail15normal_iteratorINS7_7pointerISA_NS7_11hip_rocprim3tagENS7_11use_defaultESJ_EEEEPSB_SM_NS0_5tupleIJPSA_SM_EEENSN_IJSM_SM_EEESB_PlJ10is_orderedEEE10hipError_tPvRmT3_T4_T5_T6_T7_T9_mT8_P12ihipStream_tbDpT10_ENKUlT_T0_E_clISt17integral_constantIbLb0EES1C_EEDaS17_S18_EUlS17_E_NS1_11comp_targetILNS1_3genE10ELNS1_11target_archE1200ELNS1_3gpuE4ELNS1_3repE0EEENS1_30default_config_static_selectorELNS0_4arch9wavefront6targetE1EEEvT1_,comdat
	.protected	_ZN7rocprim17ROCPRIM_400000_NS6detail17trampoline_kernelINS0_14default_configENS1_25partition_config_selectorILNS1_17partition_subalgoE3EN6thrust23THRUST_200600_302600_NS5tupleIiiNS7_9null_typeES9_S9_S9_S9_S9_S9_S9_EENS0_10empty_typeEbEEZZNS1_14partition_implILS5_3ELb0ES3_jNS7_6detail15normal_iteratorINS7_7pointerISA_NS7_11hip_rocprim3tagENS7_11use_defaultESJ_EEEEPSB_SM_NS0_5tupleIJPSA_SM_EEENSN_IJSM_SM_EEESB_PlJ10is_orderedEEE10hipError_tPvRmT3_T4_T5_T6_T7_T9_mT8_P12ihipStream_tbDpT10_ENKUlT_T0_E_clISt17integral_constantIbLb0EES1C_EEDaS17_S18_EUlS17_E_NS1_11comp_targetILNS1_3genE10ELNS1_11target_archE1200ELNS1_3gpuE4ELNS1_3repE0EEENS1_30default_config_static_selectorELNS0_4arch9wavefront6targetE1EEEvT1_ ; -- Begin function _ZN7rocprim17ROCPRIM_400000_NS6detail17trampoline_kernelINS0_14default_configENS1_25partition_config_selectorILNS1_17partition_subalgoE3EN6thrust23THRUST_200600_302600_NS5tupleIiiNS7_9null_typeES9_S9_S9_S9_S9_S9_S9_EENS0_10empty_typeEbEEZZNS1_14partition_implILS5_3ELb0ES3_jNS7_6detail15normal_iteratorINS7_7pointerISA_NS7_11hip_rocprim3tagENS7_11use_defaultESJ_EEEEPSB_SM_NS0_5tupleIJPSA_SM_EEENSN_IJSM_SM_EEESB_PlJ10is_orderedEEE10hipError_tPvRmT3_T4_T5_T6_T7_T9_mT8_P12ihipStream_tbDpT10_ENKUlT_T0_E_clISt17integral_constantIbLb0EES1C_EEDaS17_S18_EUlS17_E_NS1_11comp_targetILNS1_3genE10ELNS1_11target_archE1200ELNS1_3gpuE4ELNS1_3repE0EEENS1_30default_config_static_selectorELNS0_4arch9wavefront6targetE1EEEvT1_
	.globl	_ZN7rocprim17ROCPRIM_400000_NS6detail17trampoline_kernelINS0_14default_configENS1_25partition_config_selectorILNS1_17partition_subalgoE3EN6thrust23THRUST_200600_302600_NS5tupleIiiNS7_9null_typeES9_S9_S9_S9_S9_S9_S9_EENS0_10empty_typeEbEEZZNS1_14partition_implILS5_3ELb0ES3_jNS7_6detail15normal_iteratorINS7_7pointerISA_NS7_11hip_rocprim3tagENS7_11use_defaultESJ_EEEEPSB_SM_NS0_5tupleIJPSA_SM_EEENSN_IJSM_SM_EEESB_PlJ10is_orderedEEE10hipError_tPvRmT3_T4_T5_T6_T7_T9_mT8_P12ihipStream_tbDpT10_ENKUlT_T0_E_clISt17integral_constantIbLb0EES1C_EEDaS17_S18_EUlS17_E_NS1_11comp_targetILNS1_3genE10ELNS1_11target_archE1200ELNS1_3gpuE4ELNS1_3repE0EEENS1_30default_config_static_selectorELNS0_4arch9wavefront6targetE1EEEvT1_
	.p2align	8
	.type	_ZN7rocprim17ROCPRIM_400000_NS6detail17trampoline_kernelINS0_14default_configENS1_25partition_config_selectorILNS1_17partition_subalgoE3EN6thrust23THRUST_200600_302600_NS5tupleIiiNS7_9null_typeES9_S9_S9_S9_S9_S9_S9_EENS0_10empty_typeEbEEZZNS1_14partition_implILS5_3ELb0ES3_jNS7_6detail15normal_iteratorINS7_7pointerISA_NS7_11hip_rocprim3tagENS7_11use_defaultESJ_EEEEPSB_SM_NS0_5tupleIJPSA_SM_EEENSN_IJSM_SM_EEESB_PlJ10is_orderedEEE10hipError_tPvRmT3_T4_T5_T6_T7_T9_mT8_P12ihipStream_tbDpT10_ENKUlT_T0_E_clISt17integral_constantIbLb0EES1C_EEDaS17_S18_EUlS17_E_NS1_11comp_targetILNS1_3genE10ELNS1_11target_archE1200ELNS1_3gpuE4ELNS1_3repE0EEENS1_30default_config_static_selectorELNS0_4arch9wavefront6targetE1EEEvT1_,@function
_ZN7rocprim17ROCPRIM_400000_NS6detail17trampoline_kernelINS0_14default_configENS1_25partition_config_selectorILNS1_17partition_subalgoE3EN6thrust23THRUST_200600_302600_NS5tupleIiiNS7_9null_typeES9_S9_S9_S9_S9_S9_S9_EENS0_10empty_typeEbEEZZNS1_14partition_implILS5_3ELb0ES3_jNS7_6detail15normal_iteratorINS7_7pointerISA_NS7_11hip_rocprim3tagENS7_11use_defaultESJ_EEEEPSB_SM_NS0_5tupleIJPSA_SM_EEENSN_IJSM_SM_EEESB_PlJ10is_orderedEEE10hipError_tPvRmT3_T4_T5_T6_T7_T9_mT8_P12ihipStream_tbDpT10_ENKUlT_T0_E_clISt17integral_constantIbLb0EES1C_EEDaS17_S18_EUlS17_E_NS1_11comp_targetILNS1_3genE10ELNS1_11target_archE1200ELNS1_3gpuE4ELNS1_3repE0EEENS1_30default_config_static_selectorELNS0_4arch9wavefront6targetE1EEEvT1_: ; @_ZN7rocprim17ROCPRIM_400000_NS6detail17trampoline_kernelINS0_14default_configENS1_25partition_config_selectorILNS1_17partition_subalgoE3EN6thrust23THRUST_200600_302600_NS5tupleIiiNS7_9null_typeES9_S9_S9_S9_S9_S9_S9_EENS0_10empty_typeEbEEZZNS1_14partition_implILS5_3ELb0ES3_jNS7_6detail15normal_iteratorINS7_7pointerISA_NS7_11hip_rocprim3tagENS7_11use_defaultESJ_EEEEPSB_SM_NS0_5tupleIJPSA_SM_EEENSN_IJSM_SM_EEESB_PlJ10is_orderedEEE10hipError_tPvRmT3_T4_T5_T6_T7_T9_mT8_P12ihipStream_tbDpT10_ENKUlT_T0_E_clISt17integral_constantIbLb0EES1C_EEDaS17_S18_EUlS17_E_NS1_11comp_targetILNS1_3genE10ELNS1_11target_archE1200ELNS1_3gpuE4ELNS1_3repE0EEENS1_30default_config_static_selectorELNS0_4arch9wavefront6targetE1EEEvT1_
; %bb.0:
	.section	.rodata,"a",@progbits
	.p2align	6, 0x0
	.amdhsa_kernel _ZN7rocprim17ROCPRIM_400000_NS6detail17trampoline_kernelINS0_14default_configENS1_25partition_config_selectorILNS1_17partition_subalgoE3EN6thrust23THRUST_200600_302600_NS5tupleIiiNS7_9null_typeES9_S9_S9_S9_S9_S9_S9_EENS0_10empty_typeEbEEZZNS1_14partition_implILS5_3ELb0ES3_jNS7_6detail15normal_iteratorINS7_7pointerISA_NS7_11hip_rocprim3tagENS7_11use_defaultESJ_EEEEPSB_SM_NS0_5tupleIJPSA_SM_EEENSN_IJSM_SM_EEESB_PlJ10is_orderedEEE10hipError_tPvRmT3_T4_T5_T6_T7_T9_mT8_P12ihipStream_tbDpT10_ENKUlT_T0_E_clISt17integral_constantIbLb0EES1C_EEDaS17_S18_EUlS17_E_NS1_11comp_targetILNS1_3genE10ELNS1_11target_archE1200ELNS1_3gpuE4ELNS1_3repE0EEENS1_30default_config_static_selectorELNS0_4arch9wavefront6targetE1EEEvT1_
		.amdhsa_group_segment_fixed_size 0
		.amdhsa_private_segment_fixed_size 0
		.amdhsa_kernarg_size 120
		.amdhsa_user_sgpr_count 6
		.amdhsa_user_sgpr_private_segment_buffer 1
		.amdhsa_user_sgpr_dispatch_ptr 0
		.amdhsa_user_sgpr_queue_ptr 0
		.amdhsa_user_sgpr_kernarg_segment_ptr 1
		.amdhsa_user_sgpr_dispatch_id 0
		.amdhsa_user_sgpr_flat_scratch_init 0
		.amdhsa_user_sgpr_kernarg_preload_length 0
		.amdhsa_user_sgpr_kernarg_preload_offset 0
		.amdhsa_user_sgpr_private_segment_size 0
		.amdhsa_uses_dynamic_stack 0
		.amdhsa_system_sgpr_private_segment_wavefront_offset 0
		.amdhsa_system_sgpr_workgroup_id_x 1
		.amdhsa_system_sgpr_workgroup_id_y 0
		.amdhsa_system_sgpr_workgroup_id_z 0
		.amdhsa_system_sgpr_workgroup_info 0
		.amdhsa_system_vgpr_workitem_id 0
		.amdhsa_next_free_vgpr 1
		.amdhsa_next_free_sgpr 0
		.amdhsa_accum_offset 4
		.amdhsa_reserve_vcc 0
		.amdhsa_reserve_flat_scratch 0
		.amdhsa_float_round_mode_32 0
		.amdhsa_float_round_mode_16_64 0
		.amdhsa_float_denorm_mode_32 3
		.amdhsa_float_denorm_mode_16_64 3
		.amdhsa_dx10_clamp 1
		.amdhsa_ieee_mode 1
		.amdhsa_fp16_overflow 0
		.amdhsa_tg_split 0
		.amdhsa_exception_fp_ieee_invalid_op 0
		.amdhsa_exception_fp_denorm_src 0
		.amdhsa_exception_fp_ieee_div_zero 0
		.amdhsa_exception_fp_ieee_overflow 0
		.amdhsa_exception_fp_ieee_underflow 0
		.amdhsa_exception_fp_ieee_inexact 0
		.amdhsa_exception_int_div_zero 0
	.end_amdhsa_kernel
	.section	.text._ZN7rocprim17ROCPRIM_400000_NS6detail17trampoline_kernelINS0_14default_configENS1_25partition_config_selectorILNS1_17partition_subalgoE3EN6thrust23THRUST_200600_302600_NS5tupleIiiNS7_9null_typeES9_S9_S9_S9_S9_S9_S9_EENS0_10empty_typeEbEEZZNS1_14partition_implILS5_3ELb0ES3_jNS7_6detail15normal_iteratorINS7_7pointerISA_NS7_11hip_rocprim3tagENS7_11use_defaultESJ_EEEEPSB_SM_NS0_5tupleIJPSA_SM_EEENSN_IJSM_SM_EEESB_PlJ10is_orderedEEE10hipError_tPvRmT3_T4_T5_T6_T7_T9_mT8_P12ihipStream_tbDpT10_ENKUlT_T0_E_clISt17integral_constantIbLb0EES1C_EEDaS17_S18_EUlS17_E_NS1_11comp_targetILNS1_3genE10ELNS1_11target_archE1200ELNS1_3gpuE4ELNS1_3repE0EEENS1_30default_config_static_selectorELNS0_4arch9wavefront6targetE1EEEvT1_,"axG",@progbits,_ZN7rocprim17ROCPRIM_400000_NS6detail17trampoline_kernelINS0_14default_configENS1_25partition_config_selectorILNS1_17partition_subalgoE3EN6thrust23THRUST_200600_302600_NS5tupleIiiNS7_9null_typeES9_S9_S9_S9_S9_S9_S9_EENS0_10empty_typeEbEEZZNS1_14partition_implILS5_3ELb0ES3_jNS7_6detail15normal_iteratorINS7_7pointerISA_NS7_11hip_rocprim3tagENS7_11use_defaultESJ_EEEEPSB_SM_NS0_5tupleIJPSA_SM_EEENSN_IJSM_SM_EEESB_PlJ10is_orderedEEE10hipError_tPvRmT3_T4_T5_T6_T7_T9_mT8_P12ihipStream_tbDpT10_ENKUlT_T0_E_clISt17integral_constantIbLb0EES1C_EEDaS17_S18_EUlS17_E_NS1_11comp_targetILNS1_3genE10ELNS1_11target_archE1200ELNS1_3gpuE4ELNS1_3repE0EEENS1_30default_config_static_selectorELNS0_4arch9wavefront6targetE1EEEvT1_,comdat
.Lfunc_end3497:
	.size	_ZN7rocprim17ROCPRIM_400000_NS6detail17trampoline_kernelINS0_14default_configENS1_25partition_config_selectorILNS1_17partition_subalgoE3EN6thrust23THRUST_200600_302600_NS5tupleIiiNS7_9null_typeES9_S9_S9_S9_S9_S9_S9_EENS0_10empty_typeEbEEZZNS1_14partition_implILS5_3ELb0ES3_jNS7_6detail15normal_iteratorINS7_7pointerISA_NS7_11hip_rocprim3tagENS7_11use_defaultESJ_EEEEPSB_SM_NS0_5tupleIJPSA_SM_EEENSN_IJSM_SM_EEESB_PlJ10is_orderedEEE10hipError_tPvRmT3_T4_T5_T6_T7_T9_mT8_P12ihipStream_tbDpT10_ENKUlT_T0_E_clISt17integral_constantIbLb0EES1C_EEDaS17_S18_EUlS17_E_NS1_11comp_targetILNS1_3genE10ELNS1_11target_archE1200ELNS1_3gpuE4ELNS1_3repE0EEENS1_30default_config_static_selectorELNS0_4arch9wavefront6targetE1EEEvT1_, .Lfunc_end3497-_ZN7rocprim17ROCPRIM_400000_NS6detail17trampoline_kernelINS0_14default_configENS1_25partition_config_selectorILNS1_17partition_subalgoE3EN6thrust23THRUST_200600_302600_NS5tupleIiiNS7_9null_typeES9_S9_S9_S9_S9_S9_S9_EENS0_10empty_typeEbEEZZNS1_14partition_implILS5_3ELb0ES3_jNS7_6detail15normal_iteratorINS7_7pointerISA_NS7_11hip_rocprim3tagENS7_11use_defaultESJ_EEEEPSB_SM_NS0_5tupleIJPSA_SM_EEENSN_IJSM_SM_EEESB_PlJ10is_orderedEEE10hipError_tPvRmT3_T4_T5_T6_T7_T9_mT8_P12ihipStream_tbDpT10_ENKUlT_T0_E_clISt17integral_constantIbLb0EES1C_EEDaS17_S18_EUlS17_E_NS1_11comp_targetILNS1_3genE10ELNS1_11target_archE1200ELNS1_3gpuE4ELNS1_3repE0EEENS1_30default_config_static_selectorELNS0_4arch9wavefront6targetE1EEEvT1_
                                        ; -- End function
	.section	.AMDGPU.csdata,"",@progbits
; Kernel info:
; codeLenInByte = 0
; NumSgprs: 4
; NumVgprs: 0
; NumAgprs: 0
; TotalNumVgprs: 0
; ScratchSize: 0
; MemoryBound: 0
; FloatMode: 240
; IeeeMode: 1
; LDSByteSize: 0 bytes/workgroup (compile time only)
; SGPRBlocks: 0
; VGPRBlocks: 0
; NumSGPRsForWavesPerEU: 4
; NumVGPRsForWavesPerEU: 1
; AccumOffset: 4
; Occupancy: 8
; WaveLimiterHint : 0
; COMPUTE_PGM_RSRC2:SCRATCH_EN: 0
; COMPUTE_PGM_RSRC2:USER_SGPR: 6
; COMPUTE_PGM_RSRC2:TRAP_HANDLER: 0
; COMPUTE_PGM_RSRC2:TGID_X_EN: 1
; COMPUTE_PGM_RSRC2:TGID_Y_EN: 0
; COMPUTE_PGM_RSRC2:TGID_Z_EN: 0
; COMPUTE_PGM_RSRC2:TIDIG_COMP_CNT: 0
; COMPUTE_PGM_RSRC3_GFX90A:ACCUM_OFFSET: 0
; COMPUTE_PGM_RSRC3_GFX90A:TG_SPLIT: 0
	.section	.text._ZN7rocprim17ROCPRIM_400000_NS6detail17trampoline_kernelINS0_14default_configENS1_25partition_config_selectorILNS1_17partition_subalgoE3EN6thrust23THRUST_200600_302600_NS5tupleIiiNS7_9null_typeES9_S9_S9_S9_S9_S9_S9_EENS0_10empty_typeEbEEZZNS1_14partition_implILS5_3ELb0ES3_jNS7_6detail15normal_iteratorINS7_7pointerISA_NS7_11hip_rocprim3tagENS7_11use_defaultESJ_EEEEPSB_SM_NS0_5tupleIJPSA_SM_EEENSN_IJSM_SM_EEESB_PlJ10is_orderedEEE10hipError_tPvRmT3_T4_T5_T6_T7_T9_mT8_P12ihipStream_tbDpT10_ENKUlT_T0_E_clISt17integral_constantIbLb0EES1C_EEDaS17_S18_EUlS17_E_NS1_11comp_targetILNS1_3genE9ELNS1_11target_archE1100ELNS1_3gpuE3ELNS1_3repE0EEENS1_30default_config_static_selectorELNS0_4arch9wavefront6targetE1EEEvT1_,"axG",@progbits,_ZN7rocprim17ROCPRIM_400000_NS6detail17trampoline_kernelINS0_14default_configENS1_25partition_config_selectorILNS1_17partition_subalgoE3EN6thrust23THRUST_200600_302600_NS5tupleIiiNS7_9null_typeES9_S9_S9_S9_S9_S9_S9_EENS0_10empty_typeEbEEZZNS1_14partition_implILS5_3ELb0ES3_jNS7_6detail15normal_iteratorINS7_7pointerISA_NS7_11hip_rocprim3tagENS7_11use_defaultESJ_EEEEPSB_SM_NS0_5tupleIJPSA_SM_EEENSN_IJSM_SM_EEESB_PlJ10is_orderedEEE10hipError_tPvRmT3_T4_T5_T6_T7_T9_mT8_P12ihipStream_tbDpT10_ENKUlT_T0_E_clISt17integral_constantIbLb0EES1C_EEDaS17_S18_EUlS17_E_NS1_11comp_targetILNS1_3genE9ELNS1_11target_archE1100ELNS1_3gpuE3ELNS1_3repE0EEENS1_30default_config_static_selectorELNS0_4arch9wavefront6targetE1EEEvT1_,comdat
	.protected	_ZN7rocprim17ROCPRIM_400000_NS6detail17trampoline_kernelINS0_14default_configENS1_25partition_config_selectorILNS1_17partition_subalgoE3EN6thrust23THRUST_200600_302600_NS5tupleIiiNS7_9null_typeES9_S9_S9_S9_S9_S9_S9_EENS0_10empty_typeEbEEZZNS1_14partition_implILS5_3ELb0ES3_jNS7_6detail15normal_iteratorINS7_7pointerISA_NS7_11hip_rocprim3tagENS7_11use_defaultESJ_EEEEPSB_SM_NS0_5tupleIJPSA_SM_EEENSN_IJSM_SM_EEESB_PlJ10is_orderedEEE10hipError_tPvRmT3_T4_T5_T6_T7_T9_mT8_P12ihipStream_tbDpT10_ENKUlT_T0_E_clISt17integral_constantIbLb0EES1C_EEDaS17_S18_EUlS17_E_NS1_11comp_targetILNS1_3genE9ELNS1_11target_archE1100ELNS1_3gpuE3ELNS1_3repE0EEENS1_30default_config_static_selectorELNS0_4arch9wavefront6targetE1EEEvT1_ ; -- Begin function _ZN7rocprim17ROCPRIM_400000_NS6detail17trampoline_kernelINS0_14default_configENS1_25partition_config_selectorILNS1_17partition_subalgoE3EN6thrust23THRUST_200600_302600_NS5tupleIiiNS7_9null_typeES9_S9_S9_S9_S9_S9_S9_EENS0_10empty_typeEbEEZZNS1_14partition_implILS5_3ELb0ES3_jNS7_6detail15normal_iteratorINS7_7pointerISA_NS7_11hip_rocprim3tagENS7_11use_defaultESJ_EEEEPSB_SM_NS0_5tupleIJPSA_SM_EEENSN_IJSM_SM_EEESB_PlJ10is_orderedEEE10hipError_tPvRmT3_T4_T5_T6_T7_T9_mT8_P12ihipStream_tbDpT10_ENKUlT_T0_E_clISt17integral_constantIbLb0EES1C_EEDaS17_S18_EUlS17_E_NS1_11comp_targetILNS1_3genE9ELNS1_11target_archE1100ELNS1_3gpuE3ELNS1_3repE0EEENS1_30default_config_static_selectorELNS0_4arch9wavefront6targetE1EEEvT1_
	.globl	_ZN7rocprim17ROCPRIM_400000_NS6detail17trampoline_kernelINS0_14default_configENS1_25partition_config_selectorILNS1_17partition_subalgoE3EN6thrust23THRUST_200600_302600_NS5tupleIiiNS7_9null_typeES9_S9_S9_S9_S9_S9_S9_EENS0_10empty_typeEbEEZZNS1_14partition_implILS5_3ELb0ES3_jNS7_6detail15normal_iteratorINS7_7pointerISA_NS7_11hip_rocprim3tagENS7_11use_defaultESJ_EEEEPSB_SM_NS0_5tupleIJPSA_SM_EEENSN_IJSM_SM_EEESB_PlJ10is_orderedEEE10hipError_tPvRmT3_T4_T5_T6_T7_T9_mT8_P12ihipStream_tbDpT10_ENKUlT_T0_E_clISt17integral_constantIbLb0EES1C_EEDaS17_S18_EUlS17_E_NS1_11comp_targetILNS1_3genE9ELNS1_11target_archE1100ELNS1_3gpuE3ELNS1_3repE0EEENS1_30default_config_static_selectorELNS0_4arch9wavefront6targetE1EEEvT1_
	.p2align	8
	.type	_ZN7rocprim17ROCPRIM_400000_NS6detail17trampoline_kernelINS0_14default_configENS1_25partition_config_selectorILNS1_17partition_subalgoE3EN6thrust23THRUST_200600_302600_NS5tupleIiiNS7_9null_typeES9_S9_S9_S9_S9_S9_S9_EENS0_10empty_typeEbEEZZNS1_14partition_implILS5_3ELb0ES3_jNS7_6detail15normal_iteratorINS7_7pointerISA_NS7_11hip_rocprim3tagENS7_11use_defaultESJ_EEEEPSB_SM_NS0_5tupleIJPSA_SM_EEENSN_IJSM_SM_EEESB_PlJ10is_orderedEEE10hipError_tPvRmT3_T4_T5_T6_T7_T9_mT8_P12ihipStream_tbDpT10_ENKUlT_T0_E_clISt17integral_constantIbLb0EES1C_EEDaS17_S18_EUlS17_E_NS1_11comp_targetILNS1_3genE9ELNS1_11target_archE1100ELNS1_3gpuE3ELNS1_3repE0EEENS1_30default_config_static_selectorELNS0_4arch9wavefront6targetE1EEEvT1_,@function
_ZN7rocprim17ROCPRIM_400000_NS6detail17trampoline_kernelINS0_14default_configENS1_25partition_config_selectorILNS1_17partition_subalgoE3EN6thrust23THRUST_200600_302600_NS5tupleIiiNS7_9null_typeES9_S9_S9_S9_S9_S9_S9_EENS0_10empty_typeEbEEZZNS1_14partition_implILS5_3ELb0ES3_jNS7_6detail15normal_iteratorINS7_7pointerISA_NS7_11hip_rocprim3tagENS7_11use_defaultESJ_EEEEPSB_SM_NS0_5tupleIJPSA_SM_EEENSN_IJSM_SM_EEESB_PlJ10is_orderedEEE10hipError_tPvRmT3_T4_T5_T6_T7_T9_mT8_P12ihipStream_tbDpT10_ENKUlT_T0_E_clISt17integral_constantIbLb0EES1C_EEDaS17_S18_EUlS17_E_NS1_11comp_targetILNS1_3genE9ELNS1_11target_archE1100ELNS1_3gpuE3ELNS1_3repE0EEENS1_30default_config_static_selectorELNS0_4arch9wavefront6targetE1EEEvT1_: ; @_ZN7rocprim17ROCPRIM_400000_NS6detail17trampoline_kernelINS0_14default_configENS1_25partition_config_selectorILNS1_17partition_subalgoE3EN6thrust23THRUST_200600_302600_NS5tupleIiiNS7_9null_typeES9_S9_S9_S9_S9_S9_S9_EENS0_10empty_typeEbEEZZNS1_14partition_implILS5_3ELb0ES3_jNS7_6detail15normal_iteratorINS7_7pointerISA_NS7_11hip_rocprim3tagENS7_11use_defaultESJ_EEEEPSB_SM_NS0_5tupleIJPSA_SM_EEENSN_IJSM_SM_EEESB_PlJ10is_orderedEEE10hipError_tPvRmT3_T4_T5_T6_T7_T9_mT8_P12ihipStream_tbDpT10_ENKUlT_T0_E_clISt17integral_constantIbLb0EES1C_EEDaS17_S18_EUlS17_E_NS1_11comp_targetILNS1_3genE9ELNS1_11target_archE1100ELNS1_3gpuE3ELNS1_3repE0EEENS1_30default_config_static_selectorELNS0_4arch9wavefront6targetE1EEEvT1_
; %bb.0:
	.section	.rodata,"a",@progbits
	.p2align	6, 0x0
	.amdhsa_kernel _ZN7rocprim17ROCPRIM_400000_NS6detail17trampoline_kernelINS0_14default_configENS1_25partition_config_selectorILNS1_17partition_subalgoE3EN6thrust23THRUST_200600_302600_NS5tupleIiiNS7_9null_typeES9_S9_S9_S9_S9_S9_S9_EENS0_10empty_typeEbEEZZNS1_14partition_implILS5_3ELb0ES3_jNS7_6detail15normal_iteratorINS7_7pointerISA_NS7_11hip_rocprim3tagENS7_11use_defaultESJ_EEEEPSB_SM_NS0_5tupleIJPSA_SM_EEENSN_IJSM_SM_EEESB_PlJ10is_orderedEEE10hipError_tPvRmT3_T4_T5_T6_T7_T9_mT8_P12ihipStream_tbDpT10_ENKUlT_T0_E_clISt17integral_constantIbLb0EES1C_EEDaS17_S18_EUlS17_E_NS1_11comp_targetILNS1_3genE9ELNS1_11target_archE1100ELNS1_3gpuE3ELNS1_3repE0EEENS1_30default_config_static_selectorELNS0_4arch9wavefront6targetE1EEEvT1_
		.amdhsa_group_segment_fixed_size 0
		.amdhsa_private_segment_fixed_size 0
		.amdhsa_kernarg_size 120
		.amdhsa_user_sgpr_count 6
		.amdhsa_user_sgpr_private_segment_buffer 1
		.amdhsa_user_sgpr_dispatch_ptr 0
		.amdhsa_user_sgpr_queue_ptr 0
		.amdhsa_user_sgpr_kernarg_segment_ptr 1
		.amdhsa_user_sgpr_dispatch_id 0
		.amdhsa_user_sgpr_flat_scratch_init 0
		.amdhsa_user_sgpr_kernarg_preload_length 0
		.amdhsa_user_sgpr_kernarg_preload_offset 0
		.amdhsa_user_sgpr_private_segment_size 0
		.amdhsa_uses_dynamic_stack 0
		.amdhsa_system_sgpr_private_segment_wavefront_offset 0
		.amdhsa_system_sgpr_workgroup_id_x 1
		.amdhsa_system_sgpr_workgroup_id_y 0
		.amdhsa_system_sgpr_workgroup_id_z 0
		.amdhsa_system_sgpr_workgroup_info 0
		.amdhsa_system_vgpr_workitem_id 0
		.amdhsa_next_free_vgpr 1
		.amdhsa_next_free_sgpr 0
		.amdhsa_accum_offset 4
		.amdhsa_reserve_vcc 0
		.amdhsa_reserve_flat_scratch 0
		.amdhsa_float_round_mode_32 0
		.amdhsa_float_round_mode_16_64 0
		.amdhsa_float_denorm_mode_32 3
		.amdhsa_float_denorm_mode_16_64 3
		.amdhsa_dx10_clamp 1
		.amdhsa_ieee_mode 1
		.amdhsa_fp16_overflow 0
		.amdhsa_tg_split 0
		.amdhsa_exception_fp_ieee_invalid_op 0
		.amdhsa_exception_fp_denorm_src 0
		.amdhsa_exception_fp_ieee_div_zero 0
		.amdhsa_exception_fp_ieee_overflow 0
		.amdhsa_exception_fp_ieee_underflow 0
		.amdhsa_exception_fp_ieee_inexact 0
		.amdhsa_exception_int_div_zero 0
	.end_amdhsa_kernel
	.section	.text._ZN7rocprim17ROCPRIM_400000_NS6detail17trampoline_kernelINS0_14default_configENS1_25partition_config_selectorILNS1_17partition_subalgoE3EN6thrust23THRUST_200600_302600_NS5tupleIiiNS7_9null_typeES9_S9_S9_S9_S9_S9_S9_EENS0_10empty_typeEbEEZZNS1_14partition_implILS5_3ELb0ES3_jNS7_6detail15normal_iteratorINS7_7pointerISA_NS7_11hip_rocprim3tagENS7_11use_defaultESJ_EEEEPSB_SM_NS0_5tupleIJPSA_SM_EEENSN_IJSM_SM_EEESB_PlJ10is_orderedEEE10hipError_tPvRmT3_T4_T5_T6_T7_T9_mT8_P12ihipStream_tbDpT10_ENKUlT_T0_E_clISt17integral_constantIbLb0EES1C_EEDaS17_S18_EUlS17_E_NS1_11comp_targetILNS1_3genE9ELNS1_11target_archE1100ELNS1_3gpuE3ELNS1_3repE0EEENS1_30default_config_static_selectorELNS0_4arch9wavefront6targetE1EEEvT1_,"axG",@progbits,_ZN7rocprim17ROCPRIM_400000_NS6detail17trampoline_kernelINS0_14default_configENS1_25partition_config_selectorILNS1_17partition_subalgoE3EN6thrust23THRUST_200600_302600_NS5tupleIiiNS7_9null_typeES9_S9_S9_S9_S9_S9_S9_EENS0_10empty_typeEbEEZZNS1_14partition_implILS5_3ELb0ES3_jNS7_6detail15normal_iteratorINS7_7pointerISA_NS7_11hip_rocprim3tagENS7_11use_defaultESJ_EEEEPSB_SM_NS0_5tupleIJPSA_SM_EEENSN_IJSM_SM_EEESB_PlJ10is_orderedEEE10hipError_tPvRmT3_T4_T5_T6_T7_T9_mT8_P12ihipStream_tbDpT10_ENKUlT_T0_E_clISt17integral_constantIbLb0EES1C_EEDaS17_S18_EUlS17_E_NS1_11comp_targetILNS1_3genE9ELNS1_11target_archE1100ELNS1_3gpuE3ELNS1_3repE0EEENS1_30default_config_static_selectorELNS0_4arch9wavefront6targetE1EEEvT1_,comdat
.Lfunc_end3498:
	.size	_ZN7rocprim17ROCPRIM_400000_NS6detail17trampoline_kernelINS0_14default_configENS1_25partition_config_selectorILNS1_17partition_subalgoE3EN6thrust23THRUST_200600_302600_NS5tupleIiiNS7_9null_typeES9_S9_S9_S9_S9_S9_S9_EENS0_10empty_typeEbEEZZNS1_14partition_implILS5_3ELb0ES3_jNS7_6detail15normal_iteratorINS7_7pointerISA_NS7_11hip_rocprim3tagENS7_11use_defaultESJ_EEEEPSB_SM_NS0_5tupleIJPSA_SM_EEENSN_IJSM_SM_EEESB_PlJ10is_orderedEEE10hipError_tPvRmT3_T4_T5_T6_T7_T9_mT8_P12ihipStream_tbDpT10_ENKUlT_T0_E_clISt17integral_constantIbLb0EES1C_EEDaS17_S18_EUlS17_E_NS1_11comp_targetILNS1_3genE9ELNS1_11target_archE1100ELNS1_3gpuE3ELNS1_3repE0EEENS1_30default_config_static_selectorELNS0_4arch9wavefront6targetE1EEEvT1_, .Lfunc_end3498-_ZN7rocprim17ROCPRIM_400000_NS6detail17trampoline_kernelINS0_14default_configENS1_25partition_config_selectorILNS1_17partition_subalgoE3EN6thrust23THRUST_200600_302600_NS5tupleIiiNS7_9null_typeES9_S9_S9_S9_S9_S9_S9_EENS0_10empty_typeEbEEZZNS1_14partition_implILS5_3ELb0ES3_jNS7_6detail15normal_iteratorINS7_7pointerISA_NS7_11hip_rocprim3tagENS7_11use_defaultESJ_EEEEPSB_SM_NS0_5tupleIJPSA_SM_EEENSN_IJSM_SM_EEESB_PlJ10is_orderedEEE10hipError_tPvRmT3_T4_T5_T6_T7_T9_mT8_P12ihipStream_tbDpT10_ENKUlT_T0_E_clISt17integral_constantIbLb0EES1C_EEDaS17_S18_EUlS17_E_NS1_11comp_targetILNS1_3genE9ELNS1_11target_archE1100ELNS1_3gpuE3ELNS1_3repE0EEENS1_30default_config_static_selectorELNS0_4arch9wavefront6targetE1EEEvT1_
                                        ; -- End function
	.section	.AMDGPU.csdata,"",@progbits
; Kernel info:
; codeLenInByte = 0
; NumSgprs: 4
; NumVgprs: 0
; NumAgprs: 0
; TotalNumVgprs: 0
; ScratchSize: 0
; MemoryBound: 0
; FloatMode: 240
; IeeeMode: 1
; LDSByteSize: 0 bytes/workgroup (compile time only)
; SGPRBlocks: 0
; VGPRBlocks: 0
; NumSGPRsForWavesPerEU: 4
; NumVGPRsForWavesPerEU: 1
; AccumOffset: 4
; Occupancy: 8
; WaveLimiterHint : 0
; COMPUTE_PGM_RSRC2:SCRATCH_EN: 0
; COMPUTE_PGM_RSRC2:USER_SGPR: 6
; COMPUTE_PGM_RSRC2:TRAP_HANDLER: 0
; COMPUTE_PGM_RSRC2:TGID_X_EN: 1
; COMPUTE_PGM_RSRC2:TGID_Y_EN: 0
; COMPUTE_PGM_RSRC2:TGID_Z_EN: 0
; COMPUTE_PGM_RSRC2:TIDIG_COMP_CNT: 0
; COMPUTE_PGM_RSRC3_GFX90A:ACCUM_OFFSET: 0
; COMPUTE_PGM_RSRC3_GFX90A:TG_SPLIT: 0
	.section	.text._ZN7rocprim17ROCPRIM_400000_NS6detail17trampoline_kernelINS0_14default_configENS1_25partition_config_selectorILNS1_17partition_subalgoE3EN6thrust23THRUST_200600_302600_NS5tupleIiiNS7_9null_typeES9_S9_S9_S9_S9_S9_S9_EENS0_10empty_typeEbEEZZNS1_14partition_implILS5_3ELb0ES3_jNS7_6detail15normal_iteratorINS7_7pointerISA_NS7_11hip_rocprim3tagENS7_11use_defaultESJ_EEEEPSB_SM_NS0_5tupleIJPSA_SM_EEENSN_IJSM_SM_EEESB_PlJ10is_orderedEEE10hipError_tPvRmT3_T4_T5_T6_T7_T9_mT8_P12ihipStream_tbDpT10_ENKUlT_T0_E_clISt17integral_constantIbLb0EES1C_EEDaS17_S18_EUlS17_E_NS1_11comp_targetILNS1_3genE8ELNS1_11target_archE1030ELNS1_3gpuE2ELNS1_3repE0EEENS1_30default_config_static_selectorELNS0_4arch9wavefront6targetE1EEEvT1_,"axG",@progbits,_ZN7rocprim17ROCPRIM_400000_NS6detail17trampoline_kernelINS0_14default_configENS1_25partition_config_selectorILNS1_17partition_subalgoE3EN6thrust23THRUST_200600_302600_NS5tupleIiiNS7_9null_typeES9_S9_S9_S9_S9_S9_S9_EENS0_10empty_typeEbEEZZNS1_14partition_implILS5_3ELb0ES3_jNS7_6detail15normal_iteratorINS7_7pointerISA_NS7_11hip_rocprim3tagENS7_11use_defaultESJ_EEEEPSB_SM_NS0_5tupleIJPSA_SM_EEENSN_IJSM_SM_EEESB_PlJ10is_orderedEEE10hipError_tPvRmT3_T4_T5_T6_T7_T9_mT8_P12ihipStream_tbDpT10_ENKUlT_T0_E_clISt17integral_constantIbLb0EES1C_EEDaS17_S18_EUlS17_E_NS1_11comp_targetILNS1_3genE8ELNS1_11target_archE1030ELNS1_3gpuE2ELNS1_3repE0EEENS1_30default_config_static_selectorELNS0_4arch9wavefront6targetE1EEEvT1_,comdat
	.protected	_ZN7rocprim17ROCPRIM_400000_NS6detail17trampoline_kernelINS0_14default_configENS1_25partition_config_selectorILNS1_17partition_subalgoE3EN6thrust23THRUST_200600_302600_NS5tupleIiiNS7_9null_typeES9_S9_S9_S9_S9_S9_S9_EENS0_10empty_typeEbEEZZNS1_14partition_implILS5_3ELb0ES3_jNS7_6detail15normal_iteratorINS7_7pointerISA_NS7_11hip_rocprim3tagENS7_11use_defaultESJ_EEEEPSB_SM_NS0_5tupleIJPSA_SM_EEENSN_IJSM_SM_EEESB_PlJ10is_orderedEEE10hipError_tPvRmT3_T4_T5_T6_T7_T9_mT8_P12ihipStream_tbDpT10_ENKUlT_T0_E_clISt17integral_constantIbLb0EES1C_EEDaS17_S18_EUlS17_E_NS1_11comp_targetILNS1_3genE8ELNS1_11target_archE1030ELNS1_3gpuE2ELNS1_3repE0EEENS1_30default_config_static_selectorELNS0_4arch9wavefront6targetE1EEEvT1_ ; -- Begin function _ZN7rocprim17ROCPRIM_400000_NS6detail17trampoline_kernelINS0_14default_configENS1_25partition_config_selectorILNS1_17partition_subalgoE3EN6thrust23THRUST_200600_302600_NS5tupleIiiNS7_9null_typeES9_S9_S9_S9_S9_S9_S9_EENS0_10empty_typeEbEEZZNS1_14partition_implILS5_3ELb0ES3_jNS7_6detail15normal_iteratorINS7_7pointerISA_NS7_11hip_rocprim3tagENS7_11use_defaultESJ_EEEEPSB_SM_NS0_5tupleIJPSA_SM_EEENSN_IJSM_SM_EEESB_PlJ10is_orderedEEE10hipError_tPvRmT3_T4_T5_T6_T7_T9_mT8_P12ihipStream_tbDpT10_ENKUlT_T0_E_clISt17integral_constantIbLb0EES1C_EEDaS17_S18_EUlS17_E_NS1_11comp_targetILNS1_3genE8ELNS1_11target_archE1030ELNS1_3gpuE2ELNS1_3repE0EEENS1_30default_config_static_selectorELNS0_4arch9wavefront6targetE1EEEvT1_
	.globl	_ZN7rocprim17ROCPRIM_400000_NS6detail17trampoline_kernelINS0_14default_configENS1_25partition_config_selectorILNS1_17partition_subalgoE3EN6thrust23THRUST_200600_302600_NS5tupleIiiNS7_9null_typeES9_S9_S9_S9_S9_S9_S9_EENS0_10empty_typeEbEEZZNS1_14partition_implILS5_3ELb0ES3_jNS7_6detail15normal_iteratorINS7_7pointerISA_NS7_11hip_rocprim3tagENS7_11use_defaultESJ_EEEEPSB_SM_NS0_5tupleIJPSA_SM_EEENSN_IJSM_SM_EEESB_PlJ10is_orderedEEE10hipError_tPvRmT3_T4_T5_T6_T7_T9_mT8_P12ihipStream_tbDpT10_ENKUlT_T0_E_clISt17integral_constantIbLb0EES1C_EEDaS17_S18_EUlS17_E_NS1_11comp_targetILNS1_3genE8ELNS1_11target_archE1030ELNS1_3gpuE2ELNS1_3repE0EEENS1_30default_config_static_selectorELNS0_4arch9wavefront6targetE1EEEvT1_
	.p2align	8
	.type	_ZN7rocprim17ROCPRIM_400000_NS6detail17trampoline_kernelINS0_14default_configENS1_25partition_config_selectorILNS1_17partition_subalgoE3EN6thrust23THRUST_200600_302600_NS5tupleIiiNS7_9null_typeES9_S9_S9_S9_S9_S9_S9_EENS0_10empty_typeEbEEZZNS1_14partition_implILS5_3ELb0ES3_jNS7_6detail15normal_iteratorINS7_7pointerISA_NS7_11hip_rocprim3tagENS7_11use_defaultESJ_EEEEPSB_SM_NS0_5tupleIJPSA_SM_EEENSN_IJSM_SM_EEESB_PlJ10is_orderedEEE10hipError_tPvRmT3_T4_T5_T6_T7_T9_mT8_P12ihipStream_tbDpT10_ENKUlT_T0_E_clISt17integral_constantIbLb0EES1C_EEDaS17_S18_EUlS17_E_NS1_11comp_targetILNS1_3genE8ELNS1_11target_archE1030ELNS1_3gpuE2ELNS1_3repE0EEENS1_30default_config_static_selectorELNS0_4arch9wavefront6targetE1EEEvT1_,@function
_ZN7rocprim17ROCPRIM_400000_NS6detail17trampoline_kernelINS0_14default_configENS1_25partition_config_selectorILNS1_17partition_subalgoE3EN6thrust23THRUST_200600_302600_NS5tupleIiiNS7_9null_typeES9_S9_S9_S9_S9_S9_S9_EENS0_10empty_typeEbEEZZNS1_14partition_implILS5_3ELb0ES3_jNS7_6detail15normal_iteratorINS7_7pointerISA_NS7_11hip_rocprim3tagENS7_11use_defaultESJ_EEEEPSB_SM_NS0_5tupleIJPSA_SM_EEENSN_IJSM_SM_EEESB_PlJ10is_orderedEEE10hipError_tPvRmT3_T4_T5_T6_T7_T9_mT8_P12ihipStream_tbDpT10_ENKUlT_T0_E_clISt17integral_constantIbLb0EES1C_EEDaS17_S18_EUlS17_E_NS1_11comp_targetILNS1_3genE8ELNS1_11target_archE1030ELNS1_3gpuE2ELNS1_3repE0EEENS1_30default_config_static_selectorELNS0_4arch9wavefront6targetE1EEEvT1_: ; @_ZN7rocprim17ROCPRIM_400000_NS6detail17trampoline_kernelINS0_14default_configENS1_25partition_config_selectorILNS1_17partition_subalgoE3EN6thrust23THRUST_200600_302600_NS5tupleIiiNS7_9null_typeES9_S9_S9_S9_S9_S9_S9_EENS0_10empty_typeEbEEZZNS1_14partition_implILS5_3ELb0ES3_jNS7_6detail15normal_iteratorINS7_7pointerISA_NS7_11hip_rocprim3tagENS7_11use_defaultESJ_EEEEPSB_SM_NS0_5tupleIJPSA_SM_EEENSN_IJSM_SM_EEESB_PlJ10is_orderedEEE10hipError_tPvRmT3_T4_T5_T6_T7_T9_mT8_P12ihipStream_tbDpT10_ENKUlT_T0_E_clISt17integral_constantIbLb0EES1C_EEDaS17_S18_EUlS17_E_NS1_11comp_targetILNS1_3genE8ELNS1_11target_archE1030ELNS1_3gpuE2ELNS1_3repE0EEENS1_30default_config_static_selectorELNS0_4arch9wavefront6targetE1EEEvT1_
; %bb.0:
	.section	.rodata,"a",@progbits
	.p2align	6, 0x0
	.amdhsa_kernel _ZN7rocprim17ROCPRIM_400000_NS6detail17trampoline_kernelINS0_14default_configENS1_25partition_config_selectorILNS1_17partition_subalgoE3EN6thrust23THRUST_200600_302600_NS5tupleIiiNS7_9null_typeES9_S9_S9_S9_S9_S9_S9_EENS0_10empty_typeEbEEZZNS1_14partition_implILS5_3ELb0ES3_jNS7_6detail15normal_iteratorINS7_7pointerISA_NS7_11hip_rocprim3tagENS7_11use_defaultESJ_EEEEPSB_SM_NS0_5tupleIJPSA_SM_EEENSN_IJSM_SM_EEESB_PlJ10is_orderedEEE10hipError_tPvRmT3_T4_T5_T6_T7_T9_mT8_P12ihipStream_tbDpT10_ENKUlT_T0_E_clISt17integral_constantIbLb0EES1C_EEDaS17_S18_EUlS17_E_NS1_11comp_targetILNS1_3genE8ELNS1_11target_archE1030ELNS1_3gpuE2ELNS1_3repE0EEENS1_30default_config_static_selectorELNS0_4arch9wavefront6targetE1EEEvT1_
		.amdhsa_group_segment_fixed_size 0
		.amdhsa_private_segment_fixed_size 0
		.amdhsa_kernarg_size 120
		.amdhsa_user_sgpr_count 6
		.amdhsa_user_sgpr_private_segment_buffer 1
		.amdhsa_user_sgpr_dispatch_ptr 0
		.amdhsa_user_sgpr_queue_ptr 0
		.amdhsa_user_sgpr_kernarg_segment_ptr 1
		.amdhsa_user_sgpr_dispatch_id 0
		.amdhsa_user_sgpr_flat_scratch_init 0
		.amdhsa_user_sgpr_kernarg_preload_length 0
		.amdhsa_user_sgpr_kernarg_preload_offset 0
		.amdhsa_user_sgpr_private_segment_size 0
		.amdhsa_uses_dynamic_stack 0
		.amdhsa_system_sgpr_private_segment_wavefront_offset 0
		.amdhsa_system_sgpr_workgroup_id_x 1
		.amdhsa_system_sgpr_workgroup_id_y 0
		.amdhsa_system_sgpr_workgroup_id_z 0
		.amdhsa_system_sgpr_workgroup_info 0
		.amdhsa_system_vgpr_workitem_id 0
		.amdhsa_next_free_vgpr 1
		.amdhsa_next_free_sgpr 0
		.amdhsa_accum_offset 4
		.amdhsa_reserve_vcc 0
		.amdhsa_reserve_flat_scratch 0
		.amdhsa_float_round_mode_32 0
		.amdhsa_float_round_mode_16_64 0
		.amdhsa_float_denorm_mode_32 3
		.amdhsa_float_denorm_mode_16_64 3
		.amdhsa_dx10_clamp 1
		.amdhsa_ieee_mode 1
		.amdhsa_fp16_overflow 0
		.amdhsa_tg_split 0
		.amdhsa_exception_fp_ieee_invalid_op 0
		.amdhsa_exception_fp_denorm_src 0
		.amdhsa_exception_fp_ieee_div_zero 0
		.amdhsa_exception_fp_ieee_overflow 0
		.amdhsa_exception_fp_ieee_underflow 0
		.amdhsa_exception_fp_ieee_inexact 0
		.amdhsa_exception_int_div_zero 0
	.end_amdhsa_kernel
	.section	.text._ZN7rocprim17ROCPRIM_400000_NS6detail17trampoline_kernelINS0_14default_configENS1_25partition_config_selectorILNS1_17partition_subalgoE3EN6thrust23THRUST_200600_302600_NS5tupleIiiNS7_9null_typeES9_S9_S9_S9_S9_S9_S9_EENS0_10empty_typeEbEEZZNS1_14partition_implILS5_3ELb0ES3_jNS7_6detail15normal_iteratorINS7_7pointerISA_NS7_11hip_rocprim3tagENS7_11use_defaultESJ_EEEEPSB_SM_NS0_5tupleIJPSA_SM_EEENSN_IJSM_SM_EEESB_PlJ10is_orderedEEE10hipError_tPvRmT3_T4_T5_T6_T7_T9_mT8_P12ihipStream_tbDpT10_ENKUlT_T0_E_clISt17integral_constantIbLb0EES1C_EEDaS17_S18_EUlS17_E_NS1_11comp_targetILNS1_3genE8ELNS1_11target_archE1030ELNS1_3gpuE2ELNS1_3repE0EEENS1_30default_config_static_selectorELNS0_4arch9wavefront6targetE1EEEvT1_,"axG",@progbits,_ZN7rocprim17ROCPRIM_400000_NS6detail17trampoline_kernelINS0_14default_configENS1_25partition_config_selectorILNS1_17partition_subalgoE3EN6thrust23THRUST_200600_302600_NS5tupleIiiNS7_9null_typeES9_S9_S9_S9_S9_S9_S9_EENS0_10empty_typeEbEEZZNS1_14partition_implILS5_3ELb0ES3_jNS7_6detail15normal_iteratorINS7_7pointerISA_NS7_11hip_rocprim3tagENS7_11use_defaultESJ_EEEEPSB_SM_NS0_5tupleIJPSA_SM_EEENSN_IJSM_SM_EEESB_PlJ10is_orderedEEE10hipError_tPvRmT3_T4_T5_T6_T7_T9_mT8_P12ihipStream_tbDpT10_ENKUlT_T0_E_clISt17integral_constantIbLb0EES1C_EEDaS17_S18_EUlS17_E_NS1_11comp_targetILNS1_3genE8ELNS1_11target_archE1030ELNS1_3gpuE2ELNS1_3repE0EEENS1_30default_config_static_selectorELNS0_4arch9wavefront6targetE1EEEvT1_,comdat
.Lfunc_end3499:
	.size	_ZN7rocprim17ROCPRIM_400000_NS6detail17trampoline_kernelINS0_14default_configENS1_25partition_config_selectorILNS1_17partition_subalgoE3EN6thrust23THRUST_200600_302600_NS5tupleIiiNS7_9null_typeES9_S9_S9_S9_S9_S9_S9_EENS0_10empty_typeEbEEZZNS1_14partition_implILS5_3ELb0ES3_jNS7_6detail15normal_iteratorINS7_7pointerISA_NS7_11hip_rocprim3tagENS7_11use_defaultESJ_EEEEPSB_SM_NS0_5tupleIJPSA_SM_EEENSN_IJSM_SM_EEESB_PlJ10is_orderedEEE10hipError_tPvRmT3_T4_T5_T6_T7_T9_mT8_P12ihipStream_tbDpT10_ENKUlT_T0_E_clISt17integral_constantIbLb0EES1C_EEDaS17_S18_EUlS17_E_NS1_11comp_targetILNS1_3genE8ELNS1_11target_archE1030ELNS1_3gpuE2ELNS1_3repE0EEENS1_30default_config_static_selectorELNS0_4arch9wavefront6targetE1EEEvT1_, .Lfunc_end3499-_ZN7rocprim17ROCPRIM_400000_NS6detail17trampoline_kernelINS0_14default_configENS1_25partition_config_selectorILNS1_17partition_subalgoE3EN6thrust23THRUST_200600_302600_NS5tupleIiiNS7_9null_typeES9_S9_S9_S9_S9_S9_S9_EENS0_10empty_typeEbEEZZNS1_14partition_implILS5_3ELb0ES3_jNS7_6detail15normal_iteratorINS7_7pointerISA_NS7_11hip_rocprim3tagENS7_11use_defaultESJ_EEEEPSB_SM_NS0_5tupleIJPSA_SM_EEENSN_IJSM_SM_EEESB_PlJ10is_orderedEEE10hipError_tPvRmT3_T4_T5_T6_T7_T9_mT8_P12ihipStream_tbDpT10_ENKUlT_T0_E_clISt17integral_constantIbLb0EES1C_EEDaS17_S18_EUlS17_E_NS1_11comp_targetILNS1_3genE8ELNS1_11target_archE1030ELNS1_3gpuE2ELNS1_3repE0EEENS1_30default_config_static_selectorELNS0_4arch9wavefront6targetE1EEEvT1_
                                        ; -- End function
	.section	.AMDGPU.csdata,"",@progbits
; Kernel info:
; codeLenInByte = 0
; NumSgprs: 4
; NumVgprs: 0
; NumAgprs: 0
; TotalNumVgprs: 0
; ScratchSize: 0
; MemoryBound: 0
; FloatMode: 240
; IeeeMode: 1
; LDSByteSize: 0 bytes/workgroup (compile time only)
; SGPRBlocks: 0
; VGPRBlocks: 0
; NumSGPRsForWavesPerEU: 4
; NumVGPRsForWavesPerEU: 1
; AccumOffset: 4
; Occupancy: 8
; WaveLimiterHint : 0
; COMPUTE_PGM_RSRC2:SCRATCH_EN: 0
; COMPUTE_PGM_RSRC2:USER_SGPR: 6
; COMPUTE_PGM_RSRC2:TRAP_HANDLER: 0
; COMPUTE_PGM_RSRC2:TGID_X_EN: 1
; COMPUTE_PGM_RSRC2:TGID_Y_EN: 0
; COMPUTE_PGM_RSRC2:TGID_Z_EN: 0
; COMPUTE_PGM_RSRC2:TIDIG_COMP_CNT: 0
; COMPUTE_PGM_RSRC3_GFX90A:ACCUM_OFFSET: 0
; COMPUTE_PGM_RSRC3_GFX90A:TG_SPLIT: 0
	.section	.text._ZN7rocprim17ROCPRIM_400000_NS6detail17trampoline_kernelINS0_14default_configENS1_25partition_config_selectorILNS1_17partition_subalgoE3EN6thrust23THRUST_200600_302600_NS5tupleIiiNS7_9null_typeES9_S9_S9_S9_S9_S9_S9_EENS0_10empty_typeEbEEZZNS1_14partition_implILS5_3ELb0ES3_jNS7_6detail15normal_iteratorINS7_7pointerISA_NS7_11hip_rocprim3tagENS7_11use_defaultESJ_EEEEPSB_SM_NS0_5tupleIJPSA_SM_EEENSN_IJSM_SM_EEESB_PlJ10is_orderedEEE10hipError_tPvRmT3_T4_T5_T6_T7_T9_mT8_P12ihipStream_tbDpT10_ENKUlT_T0_E_clISt17integral_constantIbLb1EES1C_EEDaS17_S18_EUlS17_E_NS1_11comp_targetILNS1_3genE0ELNS1_11target_archE4294967295ELNS1_3gpuE0ELNS1_3repE0EEENS1_30default_config_static_selectorELNS0_4arch9wavefront6targetE1EEEvT1_,"axG",@progbits,_ZN7rocprim17ROCPRIM_400000_NS6detail17trampoline_kernelINS0_14default_configENS1_25partition_config_selectorILNS1_17partition_subalgoE3EN6thrust23THRUST_200600_302600_NS5tupleIiiNS7_9null_typeES9_S9_S9_S9_S9_S9_S9_EENS0_10empty_typeEbEEZZNS1_14partition_implILS5_3ELb0ES3_jNS7_6detail15normal_iteratorINS7_7pointerISA_NS7_11hip_rocprim3tagENS7_11use_defaultESJ_EEEEPSB_SM_NS0_5tupleIJPSA_SM_EEENSN_IJSM_SM_EEESB_PlJ10is_orderedEEE10hipError_tPvRmT3_T4_T5_T6_T7_T9_mT8_P12ihipStream_tbDpT10_ENKUlT_T0_E_clISt17integral_constantIbLb1EES1C_EEDaS17_S18_EUlS17_E_NS1_11comp_targetILNS1_3genE0ELNS1_11target_archE4294967295ELNS1_3gpuE0ELNS1_3repE0EEENS1_30default_config_static_selectorELNS0_4arch9wavefront6targetE1EEEvT1_,comdat
	.protected	_ZN7rocprim17ROCPRIM_400000_NS6detail17trampoline_kernelINS0_14default_configENS1_25partition_config_selectorILNS1_17partition_subalgoE3EN6thrust23THRUST_200600_302600_NS5tupleIiiNS7_9null_typeES9_S9_S9_S9_S9_S9_S9_EENS0_10empty_typeEbEEZZNS1_14partition_implILS5_3ELb0ES3_jNS7_6detail15normal_iteratorINS7_7pointerISA_NS7_11hip_rocprim3tagENS7_11use_defaultESJ_EEEEPSB_SM_NS0_5tupleIJPSA_SM_EEENSN_IJSM_SM_EEESB_PlJ10is_orderedEEE10hipError_tPvRmT3_T4_T5_T6_T7_T9_mT8_P12ihipStream_tbDpT10_ENKUlT_T0_E_clISt17integral_constantIbLb1EES1C_EEDaS17_S18_EUlS17_E_NS1_11comp_targetILNS1_3genE0ELNS1_11target_archE4294967295ELNS1_3gpuE0ELNS1_3repE0EEENS1_30default_config_static_selectorELNS0_4arch9wavefront6targetE1EEEvT1_ ; -- Begin function _ZN7rocprim17ROCPRIM_400000_NS6detail17trampoline_kernelINS0_14default_configENS1_25partition_config_selectorILNS1_17partition_subalgoE3EN6thrust23THRUST_200600_302600_NS5tupleIiiNS7_9null_typeES9_S9_S9_S9_S9_S9_S9_EENS0_10empty_typeEbEEZZNS1_14partition_implILS5_3ELb0ES3_jNS7_6detail15normal_iteratorINS7_7pointerISA_NS7_11hip_rocprim3tagENS7_11use_defaultESJ_EEEEPSB_SM_NS0_5tupleIJPSA_SM_EEENSN_IJSM_SM_EEESB_PlJ10is_orderedEEE10hipError_tPvRmT3_T4_T5_T6_T7_T9_mT8_P12ihipStream_tbDpT10_ENKUlT_T0_E_clISt17integral_constantIbLb1EES1C_EEDaS17_S18_EUlS17_E_NS1_11comp_targetILNS1_3genE0ELNS1_11target_archE4294967295ELNS1_3gpuE0ELNS1_3repE0EEENS1_30default_config_static_selectorELNS0_4arch9wavefront6targetE1EEEvT1_
	.globl	_ZN7rocprim17ROCPRIM_400000_NS6detail17trampoline_kernelINS0_14default_configENS1_25partition_config_selectorILNS1_17partition_subalgoE3EN6thrust23THRUST_200600_302600_NS5tupleIiiNS7_9null_typeES9_S9_S9_S9_S9_S9_S9_EENS0_10empty_typeEbEEZZNS1_14partition_implILS5_3ELb0ES3_jNS7_6detail15normal_iteratorINS7_7pointerISA_NS7_11hip_rocprim3tagENS7_11use_defaultESJ_EEEEPSB_SM_NS0_5tupleIJPSA_SM_EEENSN_IJSM_SM_EEESB_PlJ10is_orderedEEE10hipError_tPvRmT3_T4_T5_T6_T7_T9_mT8_P12ihipStream_tbDpT10_ENKUlT_T0_E_clISt17integral_constantIbLb1EES1C_EEDaS17_S18_EUlS17_E_NS1_11comp_targetILNS1_3genE0ELNS1_11target_archE4294967295ELNS1_3gpuE0ELNS1_3repE0EEENS1_30default_config_static_selectorELNS0_4arch9wavefront6targetE1EEEvT1_
	.p2align	8
	.type	_ZN7rocprim17ROCPRIM_400000_NS6detail17trampoline_kernelINS0_14default_configENS1_25partition_config_selectorILNS1_17partition_subalgoE3EN6thrust23THRUST_200600_302600_NS5tupleIiiNS7_9null_typeES9_S9_S9_S9_S9_S9_S9_EENS0_10empty_typeEbEEZZNS1_14partition_implILS5_3ELb0ES3_jNS7_6detail15normal_iteratorINS7_7pointerISA_NS7_11hip_rocprim3tagENS7_11use_defaultESJ_EEEEPSB_SM_NS0_5tupleIJPSA_SM_EEENSN_IJSM_SM_EEESB_PlJ10is_orderedEEE10hipError_tPvRmT3_T4_T5_T6_T7_T9_mT8_P12ihipStream_tbDpT10_ENKUlT_T0_E_clISt17integral_constantIbLb1EES1C_EEDaS17_S18_EUlS17_E_NS1_11comp_targetILNS1_3genE0ELNS1_11target_archE4294967295ELNS1_3gpuE0ELNS1_3repE0EEENS1_30default_config_static_selectorELNS0_4arch9wavefront6targetE1EEEvT1_,@function
_ZN7rocprim17ROCPRIM_400000_NS6detail17trampoline_kernelINS0_14default_configENS1_25partition_config_selectorILNS1_17partition_subalgoE3EN6thrust23THRUST_200600_302600_NS5tupleIiiNS7_9null_typeES9_S9_S9_S9_S9_S9_S9_EENS0_10empty_typeEbEEZZNS1_14partition_implILS5_3ELb0ES3_jNS7_6detail15normal_iteratorINS7_7pointerISA_NS7_11hip_rocprim3tagENS7_11use_defaultESJ_EEEEPSB_SM_NS0_5tupleIJPSA_SM_EEENSN_IJSM_SM_EEESB_PlJ10is_orderedEEE10hipError_tPvRmT3_T4_T5_T6_T7_T9_mT8_P12ihipStream_tbDpT10_ENKUlT_T0_E_clISt17integral_constantIbLb1EES1C_EEDaS17_S18_EUlS17_E_NS1_11comp_targetILNS1_3genE0ELNS1_11target_archE4294967295ELNS1_3gpuE0ELNS1_3repE0EEENS1_30default_config_static_selectorELNS0_4arch9wavefront6targetE1EEEvT1_: ; @_ZN7rocprim17ROCPRIM_400000_NS6detail17trampoline_kernelINS0_14default_configENS1_25partition_config_selectorILNS1_17partition_subalgoE3EN6thrust23THRUST_200600_302600_NS5tupleIiiNS7_9null_typeES9_S9_S9_S9_S9_S9_S9_EENS0_10empty_typeEbEEZZNS1_14partition_implILS5_3ELb0ES3_jNS7_6detail15normal_iteratorINS7_7pointerISA_NS7_11hip_rocprim3tagENS7_11use_defaultESJ_EEEEPSB_SM_NS0_5tupleIJPSA_SM_EEENSN_IJSM_SM_EEESB_PlJ10is_orderedEEE10hipError_tPvRmT3_T4_T5_T6_T7_T9_mT8_P12ihipStream_tbDpT10_ENKUlT_T0_E_clISt17integral_constantIbLb1EES1C_EEDaS17_S18_EUlS17_E_NS1_11comp_targetILNS1_3genE0ELNS1_11target_archE4294967295ELNS1_3gpuE0ELNS1_3repE0EEENS1_30default_config_static_selectorELNS0_4arch9wavefront6targetE1EEEvT1_
; %bb.0:
	.section	.rodata,"a",@progbits
	.p2align	6, 0x0
	.amdhsa_kernel _ZN7rocprim17ROCPRIM_400000_NS6detail17trampoline_kernelINS0_14default_configENS1_25partition_config_selectorILNS1_17partition_subalgoE3EN6thrust23THRUST_200600_302600_NS5tupleIiiNS7_9null_typeES9_S9_S9_S9_S9_S9_S9_EENS0_10empty_typeEbEEZZNS1_14partition_implILS5_3ELb0ES3_jNS7_6detail15normal_iteratorINS7_7pointerISA_NS7_11hip_rocprim3tagENS7_11use_defaultESJ_EEEEPSB_SM_NS0_5tupleIJPSA_SM_EEENSN_IJSM_SM_EEESB_PlJ10is_orderedEEE10hipError_tPvRmT3_T4_T5_T6_T7_T9_mT8_P12ihipStream_tbDpT10_ENKUlT_T0_E_clISt17integral_constantIbLb1EES1C_EEDaS17_S18_EUlS17_E_NS1_11comp_targetILNS1_3genE0ELNS1_11target_archE4294967295ELNS1_3gpuE0ELNS1_3repE0EEENS1_30default_config_static_selectorELNS0_4arch9wavefront6targetE1EEEvT1_
		.amdhsa_group_segment_fixed_size 0
		.amdhsa_private_segment_fixed_size 0
		.amdhsa_kernarg_size 136
		.amdhsa_user_sgpr_count 6
		.amdhsa_user_sgpr_private_segment_buffer 1
		.amdhsa_user_sgpr_dispatch_ptr 0
		.amdhsa_user_sgpr_queue_ptr 0
		.amdhsa_user_sgpr_kernarg_segment_ptr 1
		.amdhsa_user_sgpr_dispatch_id 0
		.amdhsa_user_sgpr_flat_scratch_init 0
		.amdhsa_user_sgpr_kernarg_preload_length 0
		.amdhsa_user_sgpr_kernarg_preload_offset 0
		.amdhsa_user_sgpr_private_segment_size 0
		.amdhsa_uses_dynamic_stack 0
		.amdhsa_system_sgpr_private_segment_wavefront_offset 0
		.amdhsa_system_sgpr_workgroup_id_x 1
		.amdhsa_system_sgpr_workgroup_id_y 0
		.amdhsa_system_sgpr_workgroup_id_z 0
		.amdhsa_system_sgpr_workgroup_info 0
		.amdhsa_system_vgpr_workitem_id 0
		.amdhsa_next_free_vgpr 1
		.amdhsa_next_free_sgpr 0
		.amdhsa_accum_offset 4
		.amdhsa_reserve_vcc 0
		.amdhsa_reserve_flat_scratch 0
		.amdhsa_float_round_mode_32 0
		.amdhsa_float_round_mode_16_64 0
		.amdhsa_float_denorm_mode_32 3
		.amdhsa_float_denorm_mode_16_64 3
		.amdhsa_dx10_clamp 1
		.amdhsa_ieee_mode 1
		.amdhsa_fp16_overflow 0
		.amdhsa_tg_split 0
		.amdhsa_exception_fp_ieee_invalid_op 0
		.amdhsa_exception_fp_denorm_src 0
		.amdhsa_exception_fp_ieee_div_zero 0
		.amdhsa_exception_fp_ieee_overflow 0
		.amdhsa_exception_fp_ieee_underflow 0
		.amdhsa_exception_fp_ieee_inexact 0
		.amdhsa_exception_int_div_zero 0
	.end_amdhsa_kernel
	.section	.text._ZN7rocprim17ROCPRIM_400000_NS6detail17trampoline_kernelINS0_14default_configENS1_25partition_config_selectorILNS1_17partition_subalgoE3EN6thrust23THRUST_200600_302600_NS5tupleIiiNS7_9null_typeES9_S9_S9_S9_S9_S9_S9_EENS0_10empty_typeEbEEZZNS1_14partition_implILS5_3ELb0ES3_jNS7_6detail15normal_iteratorINS7_7pointerISA_NS7_11hip_rocprim3tagENS7_11use_defaultESJ_EEEEPSB_SM_NS0_5tupleIJPSA_SM_EEENSN_IJSM_SM_EEESB_PlJ10is_orderedEEE10hipError_tPvRmT3_T4_T5_T6_T7_T9_mT8_P12ihipStream_tbDpT10_ENKUlT_T0_E_clISt17integral_constantIbLb1EES1C_EEDaS17_S18_EUlS17_E_NS1_11comp_targetILNS1_3genE0ELNS1_11target_archE4294967295ELNS1_3gpuE0ELNS1_3repE0EEENS1_30default_config_static_selectorELNS0_4arch9wavefront6targetE1EEEvT1_,"axG",@progbits,_ZN7rocprim17ROCPRIM_400000_NS6detail17trampoline_kernelINS0_14default_configENS1_25partition_config_selectorILNS1_17partition_subalgoE3EN6thrust23THRUST_200600_302600_NS5tupleIiiNS7_9null_typeES9_S9_S9_S9_S9_S9_S9_EENS0_10empty_typeEbEEZZNS1_14partition_implILS5_3ELb0ES3_jNS7_6detail15normal_iteratorINS7_7pointerISA_NS7_11hip_rocprim3tagENS7_11use_defaultESJ_EEEEPSB_SM_NS0_5tupleIJPSA_SM_EEENSN_IJSM_SM_EEESB_PlJ10is_orderedEEE10hipError_tPvRmT3_T4_T5_T6_T7_T9_mT8_P12ihipStream_tbDpT10_ENKUlT_T0_E_clISt17integral_constantIbLb1EES1C_EEDaS17_S18_EUlS17_E_NS1_11comp_targetILNS1_3genE0ELNS1_11target_archE4294967295ELNS1_3gpuE0ELNS1_3repE0EEENS1_30default_config_static_selectorELNS0_4arch9wavefront6targetE1EEEvT1_,comdat
.Lfunc_end3500:
	.size	_ZN7rocprim17ROCPRIM_400000_NS6detail17trampoline_kernelINS0_14default_configENS1_25partition_config_selectorILNS1_17partition_subalgoE3EN6thrust23THRUST_200600_302600_NS5tupleIiiNS7_9null_typeES9_S9_S9_S9_S9_S9_S9_EENS0_10empty_typeEbEEZZNS1_14partition_implILS5_3ELb0ES3_jNS7_6detail15normal_iteratorINS7_7pointerISA_NS7_11hip_rocprim3tagENS7_11use_defaultESJ_EEEEPSB_SM_NS0_5tupleIJPSA_SM_EEENSN_IJSM_SM_EEESB_PlJ10is_orderedEEE10hipError_tPvRmT3_T4_T5_T6_T7_T9_mT8_P12ihipStream_tbDpT10_ENKUlT_T0_E_clISt17integral_constantIbLb1EES1C_EEDaS17_S18_EUlS17_E_NS1_11comp_targetILNS1_3genE0ELNS1_11target_archE4294967295ELNS1_3gpuE0ELNS1_3repE0EEENS1_30default_config_static_selectorELNS0_4arch9wavefront6targetE1EEEvT1_, .Lfunc_end3500-_ZN7rocprim17ROCPRIM_400000_NS6detail17trampoline_kernelINS0_14default_configENS1_25partition_config_selectorILNS1_17partition_subalgoE3EN6thrust23THRUST_200600_302600_NS5tupleIiiNS7_9null_typeES9_S9_S9_S9_S9_S9_S9_EENS0_10empty_typeEbEEZZNS1_14partition_implILS5_3ELb0ES3_jNS7_6detail15normal_iteratorINS7_7pointerISA_NS7_11hip_rocprim3tagENS7_11use_defaultESJ_EEEEPSB_SM_NS0_5tupleIJPSA_SM_EEENSN_IJSM_SM_EEESB_PlJ10is_orderedEEE10hipError_tPvRmT3_T4_T5_T6_T7_T9_mT8_P12ihipStream_tbDpT10_ENKUlT_T0_E_clISt17integral_constantIbLb1EES1C_EEDaS17_S18_EUlS17_E_NS1_11comp_targetILNS1_3genE0ELNS1_11target_archE4294967295ELNS1_3gpuE0ELNS1_3repE0EEENS1_30default_config_static_selectorELNS0_4arch9wavefront6targetE1EEEvT1_
                                        ; -- End function
	.section	.AMDGPU.csdata,"",@progbits
; Kernel info:
; codeLenInByte = 0
; NumSgprs: 4
; NumVgprs: 0
; NumAgprs: 0
; TotalNumVgprs: 0
; ScratchSize: 0
; MemoryBound: 0
; FloatMode: 240
; IeeeMode: 1
; LDSByteSize: 0 bytes/workgroup (compile time only)
; SGPRBlocks: 0
; VGPRBlocks: 0
; NumSGPRsForWavesPerEU: 4
; NumVGPRsForWavesPerEU: 1
; AccumOffset: 4
; Occupancy: 8
; WaveLimiterHint : 0
; COMPUTE_PGM_RSRC2:SCRATCH_EN: 0
; COMPUTE_PGM_RSRC2:USER_SGPR: 6
; COMPUTE_PGM_RSRC2:TRAP_HANDLER: 0
; COMPUTE_PGM_RSRC2:TGID_X_EN: 1
; COMPUTE_PGM_RSRC2:TGID_Y_EN: 0
; COMPUTE_PGM_RSRC2:TGID_Z_EN: 0
; COMPUTE_PGM_RSRC2:TIDIG_COMP_CNT: 0
; COMPUTE_PGM_RSRC3_GFX90A:ACCUM_OFFSET: 0
; COMPUTE_PGM_RSRC3_GFX90A:TG_SPLIT: 0
	.section	.text._ZN7rocprim17ROCPRIM_400000_NS6detail17trampoline_kernelINS0_14default_configENS1_25partition_config_selectorILNS1_17partition_subalgoE3EN6thrust23THRUST_200600_302600_NS5tupleIiiNS7_9null_typeES9_S9_S9_S9_S9_S9_S9_EENS0_10empty_typeEbEEZZNS1_14partition_implILS5_3ELb0ES3_jNS7_6detail15normal_iteratorINS7_7pointerISA_NS7_11hip_rocprim3tagENS7_11use_defaultESJ_EEEEPSB_SM_NS0_5tupleIJPSA_SM_EEENSN_IJSM_SM_EEESB_PlJ10is_orderedEEE10hipError_tPvRmT3_T4_T5_T6_T7_T9_mT8_P12ihipStream_tbDpT10_ENKUlT_T0_E_clISt17integral_constantIbLb1EES1C_EEDaS17_S18_EUlS17_E_NS1_11comp_targetILNS1_3genE5ELNS1_11target_archE942ELNS1_3gpuE9ELNS1_3repE0EEENS1_30default_config_static_selectorELNS0_4arch9wavefront6targetE1EEEvT1_,"axG",@progbits,_ZN7rocprim17ROCPRIM_400000_NS6detail17trampoline_kernelINS0_14default_configENS1_25partition_config_selectorILNS1_17partition_subalgoE3EN6thrust23THRUST_200600_302600_NS5tupleIiiNS7_9null_typeES9_S9_S9_S9_S9_S9_S9_EENS0_10empty_typeEbEEZZNS1_14partition_implILS5_3ELb0ES3_jNS7_6detail15normal_iteratorINS7_7pointerISA_NS7_11hip_rocprim3tagENS7_11use_defaultESJ_EEEEPSB_SM_NS0_5tupleIJPSA_SM_EEENSN_IJSM_SM_EEESB_PlJ10is_orderedEEE10hipError_tPvRmT3_T4_T5_T6_T7_T9_mT8_P12ihipStream_tbDpT10_ENKUlT_T0_E_clISt17integral_constantIbLb1EES1C_EEDaS17_S18_EUlS17_E_NS1_11comp_targetILNS1_3genE5ELNS1_11target_archE942ELNS1_3gpuE9ELNS1_3repE0EEENS1_30default_config_static_selectorELNS0_4arch9wavefront6targetE1EEEvT1_,comdat
	.protected	_ZN7rocprim17ROCPRIM_400000_NS6detail17trampoline_kernelINS0_14default_configENS1_25partition_config_selectorILNS1_17partition_subalgoE3EN6thrust23THRUST_200600_302600_NS5tupleIiiNS7_9null_typeES9_S9_S9_S9_S9_S9_S9_EENS0_10empty_typeEbEEZZNS1_14partition_implILS5_3ELb0ES3_jNS7_6detail15normal_iteratorINS7_7pointerISA_NS7_11hip_rocprim3tagENS7_11use_defaultESJ_EEEEPSB_SM_NS0_5tupleIJPSA_SM_EEENSN_IJSM_SM_EEESB_PlJ10is_orderedEEE10hipError_tPvRmT3_T4_T5_T6_T7_T9_mT8_P12ihipStream_tbDpT10_ENKUlT_T0_E_clISt17integral_constantIbLb1EES1C_EEDaS17_S18_EUlS17_E_NS1_11comp_targetILNS1_3genE5ELNS1_11target_archE942ELNS1_3gpuE9ELNS1_3repE0EEENS1_30default_config_static_selectorELNS0_4arch9wavefront6targetE1EEEvT1_ ; -- Begin function _ZN7rocprim17ROCPRIM_400000_NS6detail17trampoline_kernelINS0_14default_configENS1_25partition_config_selectorILNS1_17partition_subalgoE3EN6thrust23THRUST_200600_302600_NS5tupleIiiNS7_9null_typeES9_S9_S9_S9_S9_S9_S9_EENS0_10empty_typeEbEEZZNS1_14partition_implILS5_3ELb0ES3_jNS7_6detail15normal_iteratorINS7_7pointerISA_NS7_11hip_rocprim3tagENS7_11use_defaultESJ_EEEEPSB_SM_NS0_5tupleIJPSA_SM_EEENSN_IJSM_SM_EEESB_PlJ10is_orderedEEE10hipError_tPvRmT3_T4_T5_T6_T7_T9_mT8_P12ihipStream_tbDpT10_ENKUlT_T0_E_clISt17integral_constantIbLb1EES1C_EEDaS17_S18_EUlS17_E_NS1_11comp_targetILNS1_3genE5ELNS1_11target_archE942ELNS1_3gpuE9ELNS1_3repE0EEENS1_30default_config_static_selectorELNS0_4arch9wavefront6targetE1EEEvT1_
	.globl	_ZN7rocprim17ROCPRIM_400000_NS6detail17trampoline_kernelINS0_14default_configENS1_25partition_config_selectorILNS1_17partition_subalgoE3EN6thrust23THRUST_200600_302600_NS5tupleIiiNS7_9null_typeES9_S9_S9_S9_S9_S9_S9_EENS0_10empty_typeEbEEZZNS1_14partition_implILS5_3ELb0ES3_jNS7_6detail15normal_iteratorINS7_7pointerISA_NS7_11hip_rocprim3tagENS7_11use_defaultESJ_EEEEPSB_SM_NS0_5tupleIJPSA_SM_EEENSN_IJSM_SM_EEESB_PlJ10is_orderedEEE10hipError_tPvRmT3_T4_T5_T6_T7_T9_mT8_P12ihipStream_tbDpT10_ENKUlT_T0_E_clISt17integral_constantIbLb1EES1C_EEDaS17_S18_EUlS17_E_NS1_11comp_targetILNS1_3genE5ELNS1_11target_archE942ELNS1_3gpuE9ELNS1_3repE0EEENS1_30default_config_static_selectorELNS0_4arch9wavefront6targetE1EEEvT1_
	.p2align	8
	.type	_ZN7rocprim17ROCPRIM_400000_NS6detail17trampoline_kernelINS0_14default_configENS1_25partition_config_selectorILNS1_17partition_subalgoE3EN6thrust23THRUST_200600_302600_NS5tupleIiiNS7_9null_typeES9_S9_S9_S9_S9_S9_S9_EENS0_10empty_typeEbEEZZNS1_14partition_implILS5_3ELb0ES3_jNS7_6detail15normal_iteratorINS7_7pointerISA_NS7_11hip_rocprim3tagENS7_11use_defaultESJ_EEEEPSB_SM_NS0_5tupleIJPSA_SM_EEENSN_IJSM_SM_EEESB_PlJ10is_orderedEEE10hipError_tPvRmT3_T4_T5_T6_T7_T9_mT8_P12ihipStream_tbDpT10_ENKUlT_T0_E_clISt17integral_constantIbLb1EES1C_EEDaS17_S18_EUlS17_E_NS1_11comp_targetILNS1_3genE5ELNS1_11target_archE942ELNS1_3gpuE9ELNS1_3repE0EEENS1_30default_config_static_selectorELNS0_4arch9wavefront6targetE1EEEvT1_,@function
_ZN7rocprim17ROCPRIM_400000_NS6detail17trampoline_kernelINS0_14default_configENS1_25partition_config_selectorILNS1_17partition_subalgoE3EN6thrust23THRUST_200600_302600_NS5tupleIiiNS7_9null_typeES9_S9_S9_S9_S9_S9_S9_EENS0_10empty_typeEbEEZZNS1_14partition_implILS5_3ELb0ES3_jNS7_6detail15normal_iteratorINS7_7pointerISA_NS7_11hip_rocprim3tagENS7_11use_defaultESJ_EEEEPSB_SM_NS0_5tupleIJPSA_SM_EEENSN_IJSM_SM_EEESB_PlJ10is_orderedEEE10hipError_tPvRmT3_T4_T5_T6_T7_T9_mT8_P12ihipStream_tbDpT10_ENKUlT_T0_E_clISt17integral_constantIbLb1EES1C_EEDaS17_S18_EUlS17_E_NS1_11comp_targetILNS1_3genE5ELNS1_11target_archE942ELNS1_3gpuE9ELNS1_3repE0EEENS1_30default_config_static_selectorELNS0_4arch9wavefront6targetE1EEEvT1_: ; @_ZN7rocprim17ROCPRIM_400000_NS6detail17trampoline_kernelINS0_14default_configENS1_25partition_config_selectorILNS1_17partition_subalgoE3EN6thrust23THRUST_200600_302600_NS5tupleIiiNS7_9null_typeES9_S9_S9_S9_S9_S9_S9_EENS0_10empty_typeEbEEZZNS1_14partition_implILS5_3ELb0ES3_jNS7_6detail15normal_iteratorINS7_7pointerISA_NS7_11hip_rocprim3tagENS7_11use_defaultESJ_EEEEPSB_SM_NS0_5tupleIJPSA_SM_EEENSN_IJSM_SM_EEESB_PlJ10is_orderedEEE10hipError_tPvRmT3_T4_T5_T6_T7_T9_mT8_P12ihipStream_tbDpT10_ENKUlT_T0_E_clISt17integral_constantIbLb1EES1C_EEDaS17_S18_EUlS17_E_NS1_11comp_targetILNS1_3genE5ELNS1_11target_archE942ELNS1_3gpuE9ELNS1_3repE0EEENS1_30default_config_static_selectorELNS0_4arch9wavefront6targetE1EEEvT1_
; %bb.0:
	.section	.rodata,"a",@progbits
	.p2align	6, 0x0
	.amdhsa_kernel _ZN7rocprim17ROCPRIM_400000_NS6detail17trampoline_kernelINS0_14default_configENS1_25partition_config_selectorILNS1_17partition_subalgoE3EN6thrust23THRUST_200600_302600_NS5tupleIiiNS7_9null_typeES9_S9_S9_S9_S9_S9_S9_EENS0_10empty_typeEbEEZZNS1_14partition_implILS5_3ELb0ES3_jNS7_6detail15normal_iteratorINS7_7pointerISA_NS7_11hip_rocprim3tagENS7_11use_defaultESJ_EEEEPSB_SM_NS0_5tupleIJPSA_SM_EEENSN_IJSM_SM_EEESB_PlJ10is_orderedEEE10hipError_tPvRmT3_T4_T5_T6_T7_T9_mT8_P12ihipStream_tbDpT10_ENKUlT_T0_E_clISt17integral_constantIbLb1EES1C_EEDaS17_S18_EUlS17_E_NS1_11comp_targetILNS1_3genE5ELNS1_11target_archE942ELNS1_3gpuE9ELNS1_3repE0EEENS1_30default_config_static_selectorELNS0_4arch9wavefront6targetE1EEEvT1_
		.amdhsa_group_segment_fixed_size 0
		.amdhsa_private_segment_fixed_size 0
		.amdhsa_kernarg_size 136
		.amdhsa_user_sgpr_count 6
		.amdhsa_user_sgpr_private_segment_buffer 1
		.amdhsa_user_sgpr_dispatch_ptr 0
		.amdhsa_user_sgpr_queue_ptr 0
		.amdhsa_user_sgpr_kernarg_segment_ptr 1
		.amdhsa_user_sgpr_dispatch_id 0
		.amdhsa_user_sgpr_flat_scratch_init 0
		.amdhsa_user_sgpr_kernarg_preload_length 0
		.amdhsa_user_sgpr_kernarg_preload_offset 0
		.amdhsa_user_sgpr_private_segment_size 0
		.amdhsa_uses_dynamic_stack 0
		.amdhsa_system_sgpr_private_segment_wavefront_offset 0
		.amdhsa_system_sgpr_workgroup_id_x 1
		.amdhsa_system_sgpr_workgroup_id_y 0
		.amdhsa_system_sgpr_workgroup_id_z 0
		.amdhsa_system_sgpr_workgroup_info 0
		.amdhsa_system_vgpr_workitem_id 0
		.amdhsa_next_free_vgpr 1
		.amdhsa_next_free_sgpr 0
		.amdhsa_accum_offset 4
		.amdhsa_reserve_vcc 0
		.amdhsa_reserve_flat_scratch 0
		.amdhsa_float_round_mode_32 0
		.amdhsa_float_round_mode_16_64 0
		.amdhsa_float_denorm_mode_32 3
		.amdhsa_float_denorm_mode_16_64 3
		.amdhsa_dx10_clamp 1
		.amdhsa_ieee_mode 1
		.amdhsa_fp16_overflow 0
		.amdhsa_tg_split 0
		.amdhsa_exception_fp_ieee_invalid_op 0
		.amdhsa_exception_fp_denorm_src 0
		.amdhsa_exception_fp_ieee_div_zero 0
		.amdhsa_exception_fp_ieee_overflow 0
		.amdhsa_exception_fp_ieee_underflow 0
		.amdhsa_exception_fp_ieee_inexact 0
		.amdhsa_exception_int_div_zero 0
	.end_amdhsa_kernel
	.section	.text._ZN7rocprim17ROCPRIM_400000_NS6detail17trampoline_kernelINS0_14default_configENS1_25partition_config_selectorILNS1_17partition_subalgoE3EN6thrust23THRUST_200600_302600_NS5tupleIiiNS7_9null_typeES9_S9_S9_S9_S9_S9_S9_EENS0_10empty_typeEbEEZZNS1_14partition_implILS5_3ELb0ES3_jNS7_6detail15normal_iteratorINS7_7pointerISA_NS7_11hip_rocprim3tagENS7_11use_defaultESJ_EEEEPSB_SM_NS0_5tupleIJPSA_SM_EEENSN_IJSM_SM_EEESB_PlJ10is_orderedEEE10hipError_tPvRmT3_T4_T5_T6_T7_T9_mT8_P12ihipStream_tbDpT10_ENKUlT_T0_E_clISt17integral_constantIbLb1EES1C_EEDaS17_S18_EUlS17_E_NS1_11comp_targetILNS1_3genE5ELNS1_11target_archE942ELNS1_3gpuE9ELNS1_3repE0EEENS1_30default_config_static_selectorELNS0_4arch9wavefront6targetE1EEEvT1_,"axG",@progbits,_ZN7rocprim17ROCPRIM_400000_NS6detail17trampoline_kernelINS0_14default_configENS1_25partition_config_selectorILNS1_17partition_subalgoE3EN6thrust23THRUST_200600_302600_NS5tupleIiiNS7_9null_typeES9_S9_S9_S9_S9_S9_S9_EENS0_10empty_typeEbEEZZNS1_14partition_implILS5_3ELb0ES3_jNS7_6detail15normal_iteratorINS7_7pointerISA_NS7_11hip_rocprim3tagENS7_11use_defaultESJ_EEEEPSB_SM_NS0_5tupleIJPSA_SM_EEENSN_IJSM_SM_EEESB_PlJ10is_orderedEEE10hipError_tPvRmT3_T4_T5_T6_T7_T9_mT8_P12ihipStream_tbDpT10_ENKUlT_T0_E_clISt17integral_constantIbLb1EES1C_EEDaS17_S18_EUlS17_E_NS1_11comp_targetILNS1_3genE5ELNS1_11target_archE942ELNS1_3gpuE9ELNS1_3repE0EEENS1_30default_config_static_selectorELNS0_4arch9wavefront6targetE1EEEvT1_,comdat
.Lfunc_end3501:
	.size	_ZN7rocprim17ROCPRIM_400000_NS6detail17trampoline_kernelINS0_14default_configENS1_25partition_config_selectorILNS1_17partition_subalgoE3EN6thrust23THRUST_200600_302600_NS5tupleIiiNS7_9null_typeES9_S9_S9_S9_S9_S9_S9_EENS0_10empty_typeEbEEZZNS1_14partition_implILS5_3ELb0ES3_jNS7_6detail15normal_iteratorINS7_7pointerISA_NS7_11hip_rocprim3tagENS7_11use_defaultESJ_EEEEPSB_SM_NS0_5tupleIJPSA_SM_EEENSN_IJSM_SM_EEESB_PlJ10is_orderedEEE10hipError_tPvRmT3_T4_T5_T6_T7_T9_mT8_P12ihipStream_tbDpT10_ENKUlT_T0_E_clISt17integral_constantIbLb1EES1C_EEDaS17_S18_EUlS17_E_NS1_11comp_targetILNS1_3genE5ELNS1_11target_archE942ELNS1_3gpuE9ELNS1_3repE0EEENS1_30default_config_static_selectorELNS0_4arch9wavefront6targetE1EEEvT1_, .Lfunc_end3501-_ZN7rocprim17ROCPRIM_400000_NS6detail17trampoline_kernelINS0_14default_configENS1_25partition_config_selectorILNS1_17partition_subalgoE3EN6thrust23THRUST_200600_302600_NS5tupleIiiNS7_9null_typeES9_S9_S9_S9_S9_S9_S9_EENS0_10empty_typeEbEEZZNS1_14partition_implILS5_3ELb0ES3_jNS7_6detail15normal_iteratorINS7_7pointerISA_NS7_11hip_rocprim3tagENS7_11use_defaultESJ_EEEEPSB_SM_NS0_5tupleIJPSA_SM_EEENSN_IJSM_SM_EEESB_PlJ10is_orderedEEE10hipError_tPvRmT3_T4_T5_T6_T7_T9_mT8_P12ihipStream_tbDpT10_ENKUlT_T0_E_clISt17integral_constantIbLb1EES1C_EEDaS17_S18_EUlS17_E_NS1_11comp_targetILNS1_3genE5ELNS1_11target_archE942ELNS1_3gpuE9ELNS1_3repE0EEENS1_30default_config_static_selectorELNS0_4arch9wavefront6targetE1EEEvT1_
                                        ; -- End function
	.section	.AMDGPU.csdata,"",@progbits
; Kernel info:
; codeLenInByte = 0
; NumSgprs: 4
; NumVgprs: 0
; NumAgprs: 0
; TotalNumVgprs: 0
; ScratchSize: 0
; MemoryBound: 0
; FloatMode: 240
; IeeeMode: 1
; LDSByteSize: 0 bytes/workgroup (compile time only)
; SGPRBlocks: 0
; VGPRBlocks: 0
; NumSGPRsForWavesPerEU: 4
; NumVGPRsForWavesPerEU: 1
; AccumOffset: 4
; Occupancy: 8
; WaveLimiterHint : 0
; COMPUTE_PGM_RSRC2:SCRATCH_EN: 0
; COMPUTE_PGM_RSRC2:USER_SGPR: 6
; COMPUTE_PGM_RSRC2:TRAP_HANDLER: 0
; COMPUTE_PGM_RSRC2:TGID_X_EN: 1
; COMPUTE_PGM_RSRC2:TGID_Y_EN: 0
; COMPUTE_PGM_RSRC2:TGID_Z_EN: 0
; COMPUTE_PGM_RSRC2:TIDIG_COMP_CNT: 0
; COMPUTE_PGM_RSRC3_GFX90A:ACCUM_OFFSET: 0
; COMPUTE_PGM_RSRC3_GFX90A:TG_SPLIT: 0
	.section	.text._ZN7rocprim17ROCPRIM_400000_NS6detail17trampoline_kernelINS0_14default_configENS1_25partition_config_selectorILNS1_17partition_subalgoE3EN6thrust23THRUST_200600_302600_NS5tupleIiiNS7_9null_typeES9_S9_S9_S9_S9_S9_S9_EENS0_10empty_typeEbEEZZNS1_14partition_implILS5_3ELb0ES3_jNS7_6detail15normal_iteratorINS7_7pointerISA_NS7_11hip_rocprim3tagENS7_11use_defaultESJ_EEEEPSB_SM_NS0_5tupleIJPSA_SM_EEENSN_IJSM_SM_EEESB_PlJ10is_orderedEEE10hipError_tPvRmT3_T4_T5_T6_T7_T9_mT8_P12ihipStream_tbDpT10_ENKUlT_T0_E_clISt17integral_constantIbLb1EES1C_EEDaS17_S18_EUlS17_E_NS1_11comp_targetILNS1_3genE4ELNS1_11target_archE910ELNS1_3gpuE8ELNS1_3repE0EEENS1_30default_config_static_selectorELNS0_4arch9wavefront6targetE1EEEvT1_,"axG",@progbits,_ZN7rocprim17ROCPRIM_400000_NS6detail17trampoline_kernelINS0_14default_configENS1_25partition_config_selectorILNS1_17partition_subalgoE3EN6thrust23THRUST_200600_302600_NS5tupleIiiNS7_9null_typeES9_S9_S9_S9_S9_S9_S9_EENS0_10empty_typeEbEEZZNS1_14partition_implILS5_3ELb0ES3_jNS7_6detail15normal_iteratorINS7_7pointerISA_NS7_11hip_rocprim3tagENS7_11use_defaultESJ_EEEEPSB_SM_NS0_5tupleIJPSA_SM_EEENSN_IJSM_SM_EEESB_PlJ10is_orderedEEE10hipError_tPvRmT3_T4_T5_T6_T7_T9_mT8_P12ihipStream_tbDpT10_ENKUlT_T0_E_clISt17integral_constantIbLb1EES1C_EEDaS17_S18_EUlS17_E_NS1_11comp_targetILNS1_3genE4ELNS1_11target_archE910ELNS1_3gpuE8ELNS1_3repE0EEENS1_30default_config_static_selectorELNS0_4arch9wavefront6targetE1EEEvT1_,comdat
	.protected	_ZN7rocprim17ROCPRIM_400000_NS6detail17trampoline_kernelINS0_14default_configENS1_25partition_config_selectorILNS1_17partition_subalgoE3EN6thrust23THRUST_200600_302600_NS5tupleIiiNS7_9null_typeES9_S9_S9_S9_S9_S9_S9_EENS0_10empty_typeEbEEZZNS1_14partition_implILS5_3ELb0ES3_jNS7_6detail15normal_iteratorINS7_7pointerISA_NS7_11hip_rocprim3tagENS7_11use_defaultESJ_EEEEPSB_SM_NS0_5tupleIJPSA_SM_EEENSN_IJSM_SM_EEESB_PlJ10is_orderedEEE10hipError_tPvRmT3_T4_T5_T6_T7_T9_mT8_P12ihipStream_tbDpT10_ENKUlT_T0_E_clISt17integral_constantIbLb1EES1C_EEDaS17_S18_EUlS17_E_NS1_11comp_targetILNS1_3genE4ELNS1_11target_archE910ELNS1_3gpuE8ELNS1_3repE0EEENS1_30default_config_static_selectorELNS0_4arch9wavefront6targetE1EEEvT1_ ; -- Begin function _ZN7rocprim17ROCPRIM_400000_NS6detail17trampoline_kernelINS0_14default_configENS1_25partition_config_selectorILNS1_17partition_subalgoE3EN6thrust23THRUST_200600_302600_NS5tupleIiiNS7_9null_typeES9_S9_S9_S9_S9_S9_S9_EENS0_10empty_typeEbEEZZNS1_14partition_implILS5_3ELb0ES3_jNS7_6detail15normal_iteratorINS7_7pointerISA_NS7_11hip_rocprim3tagENS7_11use_defaultESJ_EEEEPSB_SM_NS0_5tupleIJPSA_SM_EEENSN_IJSM_SM_EEESB_PlJ10is_orderedEEE10hipError_tPvRmT3_T4_T5_T6_T7_T9_mT8_P12ihipStream_tbDpT10_ENKUlT_T0_E_clISt17integral_constantIbLb1EES1C_EEDaS17_S18_EUlS17_E_NS1_11comp_targetILNS1_3genE4ELNS1_11target_archE910ELNS1_3gpuE8ELNS1_3repE0EEENS1_30default_config_static_selectorELNS0_4arch9wavefront6targetE1EEEvT1_
	.globl	_ZN7rocprim17ROCPRIM_400000_NS6detail17trampoline_kernelINS0_14default_configENS1_25partition_config_selectorILNS1_17partition_subalgoE3EN6thrust23THRUST_200600_302600_NS5tupleIiiNS7_9null_typeES9_S9_S9_S9_S9_S9_S9_EENS0_10empty_typeEbEEZZNS1_14partition_implILS5_3ELb0ES3_jNS7_6detail15normal_iteratorINS7_7pointerISA_NS7_11hip_rocprim3tagENS7_11use_defaultESJ_EEEEPSB_SM_NS0_5tupleIJPSA_SM_EEENSN_IJSM_SM_EEESB_PlJ10is_orderedEEE10hipError_tPvRmT3_T4_T5_T6_T7_T9_mT8_P12ihipStream_tbDpT10_ENKUlT_T0_E_clISt17integral_constantIbLb1EES1C_EEDaS17_S18_EUlS17_E_NS1_11comp_targetILNS1_3genE4ELNS1_11target_archE910ELNS1_3gpuE8ELNS1_3repE0EEENS1_30default_config_static_selectorELNS0_4arch9wavefront6targetE1EEEvT1_
	.p2align	8
	.type	_ZN7rocprim17ROCPRIM_400000_NS6detail17trampoline_kernelINS0_14default_configENS1_25partition_config_selectorILNS1_17partition_subalgoE3EN6thrust23THRUST_200600_302600_NS5tupleIiiNS7_9null_typeES9_S9_S9_S9_S9_S9_S9_EENS0_10empty_typeEbEEZZNS1_14partition_implILS5_3ELb0ES3_jNS7_6detail15normal_iteratorINS7_7pointerISA_NS7_11hip_rocprim3tagENS7_11use_defaultESJ_EEEEPSB_SM_NS0_5tupleIJPSA_SM_EEENSN_IJSM_SM_EEESB_PlJ10is_orderedEEE10hipError_tPvRmT3_T4_T5_T6_T7_T9_mT8_P12ihipStream_tbDpT10_ENKUlT_T0_E_clISt17integral_constantIbLb1EES1C_EEDaS17_S18_EUlS17_E_NS1_11comp_targetILNS1_3genE4ELNS1_11target_archE910ELNS1_3gpuE8ELNS1_3repE0EEENS1_30default_config_static_selectorELNS0_4arch9wavefront6targetE1EEEvT1_,@function
_ZN7rocprim17ROCPRIM_400000_NS6detail17trampoline_kernelINS0_14default_configENS1_25partition_config_selectorILNS1_17partition_subalgoE3EN6thrust23THRUST_200600_302600_NS5tupleIiiNS7_9null_typeES9_S9_S9_S9_S9_S9_S9_EENS0_10empty_typeEbEEZZNS1_14partition_implILS5_3ELb0ES3_jNS7_6detail15normal_iteratorINS7_7pointerISA_NS7_11hip_rocprim3tagENS7_11use_defaultESJ_EEEEPSB_SM_NS0_5tupleIJPSA_SM_EEENSN_IJSM_SM_EEESB_PlJ10is_orderedEEE10hipError_tPvRmT3_T4_T5_T6_T7_T9_mT8_P12ihipStream_tbDpT10_ENKUlT_T0_E_clISt17integral_constantIbLb1EES1C_EEDaS17_S18_EUlS17_E_NS1_11comp_targetILNS1_3genE4ELNS1_11target_archE910ELNS1_3gpuE8ELNS1_3repE0EEENS1_30default_config_static_selectorELNS0_4arch9wavefront6targetE1EEEvT1_: ; @_ZN7rocprim17ROCPRIM_400000_NS6detail17trampoline_kernelINS0_14default_configENS1_25partition_config_selectorILNS1_17partition_subalgoE3EN6thrust23THRUST_200600_302600_NS5tupleIiiNS7_9null_typeES9_S9_S9_S9_S9_S9_S9_EENS0_10empty_typeEbEEZZNS1_14partition_implILS5_3ELb0ES3_jNS7_6detail15normal_iteratorINS7_7pointerISA_NS7_11hip_rocprim3tagENS7_11use_defaultESJ_EEEEPSB_SM_NS0_5tupleIJPSA_SM_EEENSN_IJSM_SM_EEESB_PlJ10is_orderedEEE10hipError_tPvRmT3_T4_T5_T6_T7_T9_mT8_P12ihipStream_tbDpT10_ENKUlT_T0_E_clISt17integral_constantIbLb1EES1C_EEDaS17_S18_EUlS17_E_NS1_11comp_targetILNS1_3genE4ELNS1_11target_archE910ELNS1_3gpuE8ELNS1_3repE0EEENS1_30default_config_static_selectorELNS0_4arch9wavefront6targetE1EEEvT1_
; %bb.0:
	s_load_dwordx2 s[28:29], s[4:5], 0x28
	s_load_dwordx4 s[20:23], s[4:5], 0x48
	s_load_dwordx2 s[30:31], s[4:5], 0x58
	s_load_dwordx2 s[34:35], s[4:5], 0x68
	v_cmp_eq_u32_e64 s[0:1], 0, v0
	s_and_saveexec_b64 s[2:3], s[0:1]
	s_cbranch_execz .LBB3502_4
; %bb.1:
	s_mov_b64 s[8:9], exec
	v_mbcnt_lo_u32_b32 v1, s8, 0
	v_mbcnt_hi_u32_b32 v1, s9, v1
	v_cmp_eq_u32_e32 vcc, 0, v1
                                        ; implicit-def: $vgpr2
	s_and_saveexec_b64 s[6:7], vcc
	s_cbranch_execz .LBB3502_3
; %bb.2:
	s_load_dwordx2 s[10:11], s[4:5], 0x78
	s_bcnt1_i32_b64 s8, s[8:9]
	v_mov_b32_e32 v2, 0
	v_mov_b32_e32 v3, s8
	s_waitcnt lgkmcnt(0)
	global_atomic_add v2, v2, v3, s[10:11] glc
.LBB3502_3:
	s_or_b64 exec, exec, s[6:7]
	s_waitcnt vmcnt(0)
	v_readfirstlane_b32 s6, v2
	v_add_u32_e32 v1, s6, v1
	v_mov_b32_e32 v2, 0
	ds_write_b32 v2, v1
.LBB3502_4:
	s_or_b64 exec, exec, s[2:3]
	v_mov_b32_e32 v11, 0
	s_load_dwordx4 s[24:27], s[4:5], 0x8
	s_load_dword s2, s[4:5], 0x70
	s_waitcnt lgkmcnt(0)
	s_barrier
	ds_read_b32 v1, v11
	s_waitcnt lgkmcnt(0)
	s_barrier
	global_load_dwordx2 v[12:13], v11, s[22:23]
	s_lshl_b64 s[4:5], s[26:27], 3
	s_add_u32 s6, s24, s4
	s_addc_u32 s7, s25, s5
	s_add_i32 s4, s2, -1
	s_mulk_i32 s2, 0x300
	s_add_i32 s3, s2, s26
	s_sub_i32 s33, s30, s3
	s_addk_i32 s33, 0x300
	s_add_u32 s2, s26, s2
	v_readfirstlane_b32 s42, v1
	s_addc_u32 s3, s27, 0
	s_movk_i32 s8, 0x300
	s_cmp_eq_u32 s42, s4
	s_cselect_b64 s[22:23], -1, 0
	s_cmp_lg_u32 s42, s4
	v_mul_lo_u32 v10, v1, s8
	v_pk_mov_b32 v[2:3], s[30:31], s[30:31] op_sel:[0,1]
	s_cselect_b64 s[4:5], -1, 0
	v_cmp_lt_u64_e32 vcc, s[2:3], v[2:3]
	v_lshlrev_b64 v[2:3], 3, v[10:11]
	s_or_b64 s[4:5], vcc, s[4:5]
	v_mov_b32_e32 v1, s7
	v_add_co_u32_e32 v14, vcc, s6, v2
	v_addc_co_u32_e32 v15, vcc, v1, v3, vcc
	s_mov_b64 s[2:3], -1
	s_and_b64 vcc, exec, s[4:5]
	v_lshlrev_b32_e32 v1, 3, v0
	v_lshrrev_b32_e32 v11, 2, v0
	s_cbranch_vccz .LBB3502_6
; %bb.5:
	v_add_co_u32_e32 v2, vcc, v14, v1
	v_addc_co_u32_e32 v3, vcc, 0, v15, vcc
	v_add_co_u32_e32 v4, vcc, 0x1000, v2
	v_addc_co_u32_e32 v5, vcc, 0, v3, vcc
	flat_load_dwordx2 v[6:7], v[2:3]
	flat_load_dwordx2 v[8:9], v[2:3] offset:1536
	flat_load_dwordx2 v[16:17], v[2:3] offset:3072
	;; [unrolled: 1-line block ×3, first 2 shown]
	v_add_u32_e32 v3, 0xc0, v0
	v_add_u32_e32 v4, 0x180, v0
	;; [unrolled: 1-line block ×3, first 2 shown]
	v_and_b32_e32 v2, 56, v11
	v_lshrrev_b32_e32 v3, 2, v3
	v_lshrrev_b32_e32 v4, 2, v4
	;; [unrolled: 1-line block ×3, first 2 shown]
	v_add_u32_e32 v2, v2, v1
	v_and_b32_e32 v3, 0x78, v3
	v_and_b32_e32 v4, 0xf8, v4
	;; [unrolled: 1-line block ×3, first 2 shown]
	v_add_u32_e32 v3, v3, v1
	v_add_u32_e32 v4, v4, v1
	;; [unrolled: 1-line block ×3, first 2 shown]
	s_mov_b64 s[2:3], 0
	s_waitcnt vmcnt(0) lgkmcnt(0)
	ds_write_b64 v2, v[6:7]
	ds_write_b64 v3, v[8:9] offset:1536
	ds_write_b64 v4, v[16:17] offset:3072
	;; [unrolled: 1-line block ×3, first 2 shown]
	s_waitcnt lgkmcnt(0)
	s_barrier
.LBB3502_6:
	s_andn2_b64 vcc, exec, s[2:3]
	v_cmp_gt_u32_e64 s[2:3], s33, v0
	s_cbranch_vccnz .LBB3502_16
; %bb.7:
	v_pk_mov_b32 v[2:3], 0, 0
	v_pk_mov_b32 v[4:5], v[2:3], v[2:3] op_sel:[0,1]
	s_and_saveexec_b64 s[6:7], s[2:3]
	s_cbranch_execz .LBB3502_9
; %bb.8:
	v_add_co_u32_e32 v4, vcc, v14, v1
	v_addc_co_u32_e32 v5, vcc, 0, v15, vcc
	flat_load_dwordx2 v[4:5], v[4:5]
.LBB3502_9:
	s_or_b64 exec, exec, s[6:7]
	v_add_u32_e32 v16, 0xc0, v0
	v_cmp_gt_u32_e32 vcc, s33, v16
	s_and_saveexec_b64 s[2:3], vcc
	s_cbranch_execz .LBB3502_11
; %bb.10:
	v_add_co_u32_e32 v2, vcc, v14, v1
	v_addc_co_u32_e32 v3, vcc, 0, v15, vcc
	flat_load_dwordx2 v[2:3], v[2:3] offset:1536
.LBB3502_11:
	s_or_b64 exec, exec, s[2:3]
	v_add_u32_e32 v17, 0x180, v0
	v_pk_mov_b32 v[6:7], 0, 0
	v_cmp_gt_u32_e32 vcc, s33, v17
	v_pk_mov_b32 v[8:9], v[6:7], v[6:7] op_sel:[0,1]
	s_and_saveexec_b64 s[2:3], vcc
	s_cbranch_execz .LBB3502_13
; %bb.12:
	v_add_co_u32_e32 v8, vcc, v14, v1
	v_addc_co_u32_e32 v9, vcc, 0, v15, vcc
	flat_load_dwordx2 v[8:9], v[8:9] offset:3072
.LBB3502_13:
	s_or_b64 exec, exec, s[2:3]
	v_add_u32_e32 v18, 0x240, v0
	v_cmp_gt_u32_e32 vcc, s33, v18
	s_and_saveexec_b64 s[2:3], vcc
	s_cbranch_execz .LBB3502_15
; %bb.14:
	v_lshlrev_b32_e32 v6, 3, v18
	v_add_co_u32_e32 v6, vcc, v14, v6
	v_addc_co_u32_e32 v7, vcc, 0, v15, vcc
	flat_load_dwordx2 v[6:7], v[6:7]
.LBB3502_15:
	s_or_b64 exec, exec, s[2:3]
	v_and_b32_e32 v11, 56, v11
	v_add_u32_e32 v11, v11, v1
	s_waitcnt vmcnt(0) lgkmcnt(0)
	ds_write_b64 v11, v[4:5]
	v_lshrrev_b32_e32 v4, 2, v16
	v_and_b32_e32 v4, 0x78, v4
	v_add_u32_e32 v4, v4, v1
	ds_write_b64 v4, v[2:3] offset:1536
	v_lshrrev_b32_e32 v2, 2, v17
	v_and_b32_e32 v2, 0xf8, v2
	v_add_u32_e32 v2, v2, v1
	ds_write_b64 v2, v[8:9] offset:3072
	;; [unrolled: 4-line block ×3, first 2 shown]
	s_waitcnt lgkmcnt(0)
	s_barrier
.LBB3502_16:
	v_lshlrev_b32_e32 v11, 2, v0
	v_lshrrev_b32_e32 v2, 3, v0
	v_add_lshl_u32 v2, v2, v11, 3
	ds_read2_b64 v[6:9], v2 offset1:1
	ds_read2_b64 v[2:5], v2 offset0:2 offset1:3
	v_cndmask_b32_e64 v14, 0, 1, s[4:5]
	v_cmp_ne_u32_e64 s[2:3], 1, v14
	s_andn2_b64 vcc, exec, s[4:5]
	s_waitcnt lgkmcnt(1)
	v_cmp_le_i32_e64 s[8:9], v6, v7
	v_cmp_le_i32_e64 s[10:11], v8, v9
	s_waitcnt lgkmcnt(0)
	v_cmp_le_i32_e64 s[6:7], v2, v3
	v_cmp_le_i32_e64 s[4:5], v4, v5
	s_barrier
	s_cbranch_vccnz .LBB3502_18
; %bb.17:
	v_cndmask_b32_e64 v15, 0, 1, s[10:11]
	v_cndmask_b32_e64 v14, 0, 1, s[8:9]
	v_lshlrev_b16_e32 v15, 8, v15
	v_or_b32_e32 v14, v14, v15
	v_and_b32_e32 v14, 0xffff, v14
	v_cndmask_b32_e64 v15, 0, 1, s[6:7]
	v_lshl_or_b32 v24, v15, 16, v14
	s_and_b64 s[24:25], s[4:5], exec
	s_cbranch_execz .LBB3502_19
	s_branch .LBB3502_20
.LBB3502_18:
                                        ; implicit-def: $sgpr24_sgpr25
                                        ; implicit-def: $vgpr24
.LBB3502_19:
	v_cmp_gt_u32_e32 vcc, s33, v11
	v_cmp_le_i32_e64 s[4:5], v6, v7
	s_and_b64 s[4:5], vcc, s[4:5]
	v_or_b32_e32 v15, 1, v11
	v_cndmask_b32_e64 v14, 0, 1, s[4:5]
	v_cmp_gt_u32_e32 vcc, s33, v15
	v_cmp_le_i32_e64 s[4:5], v8, v9
	s_and_b64 s[4:5], vcc, s[4:5]
	v_cndmask_b32_e64 v15, 0, 1, s[4:5]
	v_or_b32_e32 v16, 2, v11
	v_cmp_gt_u32_e32 vcc, s33, v16
	v_cmp_le_i32_e64 s[4:5], v2, v3
	v_lshlrev_b16_e32 v15, 8, v15
	v_or_b32_e32 v14, v14, v15
	s_and_b64 s[4:5], vcc, s[4:5]
	v_and_b32_e32 v14, 0xffff, v14
	v_cndmask_b32_e64 v15, 0, 1, s[4:5]
	v_lshl_or_b32 v24, v15, 16, v14
	v_or_b32_e32 v14, 3, v11
	v_cmp_gt_u32_e32 vcc, s33, v14
	v_cmp_le_i32_e64 s[4:5], v4, v5
	s_and_b64 s[4:5], vcc, s[4:5]
	s_andn2_b64 s[6:7], s[24:25], exec
	s_and_b64 s[4:5], s[4:5], exec
	s_or_b64 s[24:25], s[6:7], s[4:5]
.LBB3502_20:
	v_cndmask_b32_e64 v14, 0, 1, s[24:25]
	v_bfe_u32 v25, v24, 8, 8
	v_bfe_u32 v26, v24, 16, 8
	v_add_u32_sdwa v14, v24, v14 dst_sel:DWORD dst_unused:UNUSED_PAD src0_sel:BYTE_0 src1_sel:DWORD
	v_add3_u32 v29, v14, v25, v26
	v_mbcnt_lo_u32_b32 v14, -1, 0
	v_mbcnt_hi_u32_b32 v27, -1, v14
	v_and_b32_e32 v14, 15, v27
	v_cmp_eq_u32_e64 s[16:17], 0, v14
	v_cmp_lt_u32_e64 s[14:15], 1, v14
	v_cmp_lt_u32_e64 s[12:13], 3, v14
	v_cmp_lt_u32_e64 s[10:11], 7, v14
	v_and_b32_e32 v14, 16, v27
	v_cmp_eq_u32_e64 s[6:7], 0, v14
	v_and_b32_e32 v14, 0xc0, v0
	v_min_u32_e32 v14, 0x80, v14
	v_or_b32_e32 v14, 63, v14
	s_cmp_lg_u32 s42, 0
	v_cmp_lt_u32_e64 s[4:5], 31, v27
	v_lshrrev_b32_e32 v28, 6, v0
	v_cmp_eq_u32_e64 s[8:9], v14, v0
	s_cbranch_scc0 .LBB3502_51
; %bb.21:
	v_mov_b32_dpp v14, v29 row_shr:1 row_mask:0xf bank_mask:0xf
	v_cndmask_b32_e64 v14, v14, 0, s[16:17]
	v_add_u32_e32 v14, v14, v29
	s_nop 1
	v_mov_b32_dpp v15, v14 row_shr:2 row_mask:0xf bank_mask:0xf
	v_cndmask_b32_e64 v15, 0, v15, s[14:15]
	v_add_u32_e32 v14, v14, v15
	s_nop 1
	;; [unrolled: 4-line block ×4, first 2 shown]
	v_mov_b32_dpp v15, v14 row_bcast:15 row_mask:0xf bank_mask:0xf
	v_cndmask_b32_e64 v15, v15, 0, s[6:7]
	v_add_u32_e32 v14, v14, v15
	s_nop 1
	v_mov_b32_dpp v15, v14 row_bcast:31 row_mask:0xf bank_mask:0xf
	v_cndmask_b32_e64 v15, 0, v15, s[4:5]
	v_add_u32_e32 v14, v14, v15
	s_and_saveexec_b64 s[18:19], s[8:9]
	s_cbranch_execz .LBB3502_23
; %bb.22:
	v_lshlrev_b32_e32 v15, 2, v28
	ds_write_b32 v15, v14
.LBB3502_23:
	s_or_b64 exec, exec, s[18:19]
	v_cmp_gt_u32_e32 vcc, 3, v0
	s_waitcnt lgkmcnt(0)
	s_barrier
	s_and_saveexec_b64 s[18:19], vcc
	s_cbranch_execz .LBB3502_25
; %bb.24:
	ds_read_b32 v15, v11
	v_and_b32_e32 v16, 3, v27
	v_cmp_ne_u32_e32 vcc, 0, v16
	s_waitcnt lgkmcnt(0)
	v_mov_b32_dpp v17, v15 row_shr:1 row_mask:0xf bank_mask:0xf
	v_cndmask_b32_e32 v17, 0, v17, vcc
	v_add_u32_e32 v15, v17, v15
	v_cmp_lt_u32_e32 vcc, 1, v16
	s_nop 0
	v_mov_b32_dpp v17, v15 row_shr:2 row_mask:0xf bank_mask:0xf
	v_cndmask_b32_e32 v16, 0, v17, vcc
	v_add_u32_e32 v15, v15, v16
	ds_write_b32 v11, v15
.LBB3502_25:
	s_or_b64 exec, exec, s[18:19]
	v_cmp_gt_u32_e32 vcc, 64, v0
	v_cmp_lt_u32_e64 s[18:19], 63, v0
	s_waitcnt lgkmcnt(0)
	s_barrier
	s_waitcnt lgkmcnt(0)
                                        ; implicit-def: $vgpr30
	s_and_saveexec_b64 s[36:37], s[18:19]
	s_cbranch_execz .LBB3502_27
; %bb.26:
	v_lshl_add_u32 v15, v28, 2, -4
	ds_read_b32 v30, v15
	s_waitcnt lgkmcnt(0)
	v_add_u32_e32 v14, v30, v14
.LBB3502_27:
	s_or_b64 exec, exec, s[36:37]
	v_add_u32_e32 v15, -1, v27
	v_and_b32_e32 v16, 64, v27
	v_cmp_lt_i32_e64 s[18:19], v15, v16
	v_cndmask_b32_e64 v15, v15, v27, s[18:19]
	v_lshlrev_b32_e32 v15, 2, v15
	ds_bpermute_b32 v31, v15, v14
	v_cmp_eq_u32_e64 s[18:19], 0, v27
	s_and_saveexec_b64 s[36:37], vcc
	s_cbranch_execz .LBB3502_50
; %bb.28:
	v_mov_b32_e32 v23, 0
	ds_read_b32 v14, v23 offset:8
	s_and_saveexec_b64 s[38:39], s[18:19]
	s_cbranch_execz .LBB3502_30
; %bb.29:
	s_add_i32 s40, s42, 64
	s_mov_b32 s41, 0
	s_lshl_b64 s[40:41], s[40:41], 3
	s_add_u32 s40, s34, s40
	v_mov_b32_e32 v15, 1
	s_addc_u32 s41, s35, s41
	s_waitcnt lgkmcnt(0)
	global_store_dwordx2 v23, v[14:15], s[40:41]
.LBB3502_30:
	s_or_b64 exec, exec, s[38:39]
	v_xad_u32 v16, v27, -1, s42
	v_add_u32_e32 v22, 64, v16
	v_lshlrev_b64 v[18:19], 3, v[22:23]
	v_mov_b32_e32 v15, s35
	v_add_co_u32_e32 v18, vcc, s34, v18
	v_addc_co_u32_e32 v19, vcc, v15, v19, vcc
	global_load_dwordx2 v[20:21], v[18:19], off glc
	s_waitcnt vmcnt(0)
	v_cmp_eq_u16_sdwa s[40:41], v21, v23 src0_sel:BYTE_0 src1_sel:DWORD
	s_and_saveexec_b64 s[38:39], s[40:41]
	s_cbranch_execz .LBB3502_36
; %bb.31:
	s_mov_b32 s43, 1
	s_mov_b64 s[40:41], 0
	v_mov_b32_e32 v15, 0
.LBB3502_32:                            ; =>This Loop Header: Depth=1
                                        ;     Child Loop BB3502_33 Depth 2
	s_max_u32 s44, s43, 1
.LBB3502_33:                            ;   Parent Loop BB3502_32 Depth=1
                                        ; =>  This Inner Loop Header: Depth=2
	s_add_i32 s44, s44, -1
	s_cmp_eq_u32 s44, 0
	s_sleep 1
	s_cbranch_scc0 .LBB3502_33
; %bb.34:                               ;   in Loop: Header=BB3502_32 Depth=1
	global_load_dwordx2 v[20:21], v[18:19], off glc
	s_cmp_lt_u32 s43, 32
	s_cselect_b64 s[44:45], -1, 0
	s_cmp_lg_u64 s[44:45], 0
	s_addc_u32 s43, s43, 0
	s_waitcnt vmcnt(0)
	v_cmp_ne_u16_sdwa s[44:45], v21, v15 src0_sel:BYTE_0 src1_sel:DWORD
	s_or_b64 s[40:41], s[44:45], s[40:41]
	s_andn2_b64 exec, exec, s[40:41]
	s_cbranch_execnz .LBB3502_32
; %bb.35:
	s_or_b64 exec, exec, s[40:41]
.LBB3502_36:
	s_or_b64 exec, exec, s[38:39]
	v_and_b32_e32 v33, 63, v27
	v_mov_b32_e32 v32, 2
	v_cmp_ne_u32_e32 vcc, 63, v33
	v_cmp_eq_u16_sdwa s[38:39], v21, v32 src0_sel:BYTE_0 src1_sel:DWORD
	v_lshlrev_b64 v[18:19], v27, -1
	v_addc_co_u32_e32 v22, vcc, 0, v27, vcc
	v_and_b32_e32 v15, s39, v19
	v_lshlrev_b32_e32 v34, 2, v22
	v_or_b32_e32 v15, 0x80000000, v15
	ds_bpermute_b32 v22, v34, v20
	v_and_b32_e32 v17, s38, v18
	v_ffbl_b32_e32 v15, v15
	v_add_u32_e32 v15, 32, v15
	v_ffbl_b32_e32 v17, v17
	v_min_u32_e32 v15, v17, v15
	v_cmp_lt_u32_e32 vcc, v33, v15
	s_waitcnt lgkmcnt(0)
	v_cndmask_b32_e32 v17, 0, v22, vcc
	v_cmp_gt_u32_e32 vcc, 62, v33
	v_add_u32_e32 v17, v17, v20
	v_cndmask_b32_e64 v20, 0, 1, vcc
	v_lshlrev_b32_e32 v20, 1, v20
	v_add_lshl_u32 v35, v20, v27, 2
	ds_bpermute_b32 v20, v35, v17
	v_add_u32_e32 v36, 2, v33
	v_cmp_le_u32_e32 vcc, v36, v15
	v_add_u32_e32 v38, 4, v33
	v_add_u32_e32 v40, 8, v33
	s_waitcnt lgkmcnt(0)
	v_cndmask_b32_e32 v20, 0, v20, vcc
	v_cmp_gt_u32_e32 vcc, 60, v33
	v_add_u32_e32 v17, v17, v20
	v_cndmask_b32_e64 v20, 0, 1, vcc
	v_lshlrev_b32_e32 v20, 2, v20
	v_add_lshl_u32 v37, v20, v27, 2
	ds_bpermute_b32 v20, v37, v17
	v_cmp_le_u32_e32 vcc, v38, v15
	v_add_u32_e32 v42, 16, v33
	v_add_u32_e32 v44, 32, v33
	s_waitcnt lgkmcnt(0)
	v_cndmask_b32_e32 v20, 0, v20, vcc
	v_cmp_gt_u32_e32 vcc, 56, v33
	v_add_u32_e32 v17, v17, v20
	v_cndmask_b32_e64 v20, 0, 1, vcc
	v_lshlrev_b32_e32 v20, 3, v20
	v_add_lshl_u32 v39, v20, v27, 2
	ds_bpermute_b32 v20, v39, v17
	v_cmp_le_u32_e32 vcc, v40, v15
	s_waitcnt lgkmcnt(0)
	v_cndmask_b32_e32 v20, 0, v20, vcc
	v_cmp_gt_u32_e32 vcc, 48, v33
	v_add_u32_e32 v17, v17, v20
	v_cndmask_b32_e64 v20, 0, 1, vcc
	v_lshlrev_b32_e32 v20, 4, v20
	v_add_lshl_u32 v41, v20, v27, 2
	ds_bpermute_b32 v20, v41, v17
	v_cmp_le_u32_e32 vcc, v42, v15
	;; [unrolled: 9-line block ×3, first 2 shown]
	s_waitcnt lgkmcnt(0)
	v_cndmask_b32_e32 v15, 0, v20, vcc
	v_add_u32_e32 v20, v17, v15
	v_mov_b32_e32 v17, 0
	s_branch .LBB3502_38
.LBB3502_37:                            ;   in Loop: Header=BB3502_38 Depth=1
	s_or_b64 exec, exec, s[38:39]
	v_cmp_eq_u16_sdwa s[38:39], v21, v32 src0_sel:BYTE_0 src1_sel:DWORD
	v_and_b32_e32 v22, s39, v19
	v_or_b32_e32 v22, 0x80000000, v22
	ds_bpermute_b32 v45, v34, v20
	v_and_b32_e32 v23, s38, v18
	v_ffbl_b32_e32 v22, v22
	v_add_u32_e32 v22, 32, v22
	v_ffbl_b32_e32 v23, v23
	v_min_u32_e32 v22, v23, v22
	v_cmp_lt_u32_e32 vcc, v33, v22
	s_waitcnt lgkmcnt(0)
	v_cndmask_b32_e32 v23, 0, v45, vcc
	v_add_u32_e32 v20, v23, v20
	ds_bpermute_b32 v23, v35, v20
	v_cmp_le_u32_e32 vcc, v36, v22
	v_subrev_u32_e32 v16, 64, v16
	s_waitcnt lgkmcnt(0)
	v_cndmask_b32_e32 v23, 0, v23, vcc
	v_add_u32_e32 v20, v20, v23
	ds_bpermute_b32 v23, v37, v20
	v_cmp_le_u32_e32 vcc, v38, v22
	s_waitcnt lgkmcnt(0)
	v_cndmask_b32_e32 v23, 0, v23, vcc
	v_add_u32_e32 v20, v20, v23
	ds_bpermute_b32 v23, v39, v20
	v_cmp_le_u32_e32 vcc, v40, v22
	;; [unrolled: 5-line block ×4, first 2 shown]
	s_waitcnt lgkmcnt(0)
	v_cndmask_b32_e32 v22, 0, v23, vcc
	v_add3_u32 v20, v22, v15, v20
.LBB3502_38:                            ; =>This Loop Header: Depth=1
                                        ;     Child Loop BB3502_41 Depth 2
                                        ;       Child Loop BB3502_42 Depth 3
	v_cmp_ne_u16_sdwa s[38:39], v21, v32 src0_sel:BYTE_0 src1_sel:DWORD
	v_cndmask_b32_e64 v15, 0, 1, s[38:39]
	;;#ASMSTART
	;;#ASMEND
	v_cmp_ne_u32_e32 vcc, 0, v15
	s_cmp_lg_u64 vcc, exec
	v_mov_b32_e32 v15, v20
	s_cbranch_scc1 .LBB3502_45
; %bb.39:                               ;   in Loop: Header=BB3502_38 Depth=1
	v_lshlrev_b64 v[20:21], 3, v[16:17]
	v_mov_b32_e32 v23, s35
	v_add_co_u32_e32 v22, vcc, s34, v20
	v_addc_co_u32_e32 v23, vcc, v23, v21, vcc
	global_load_dwordx2 v[20:21], v[22:23], off glc
	s_waitcnt vmcnt(0)
	v_cmp_eq_u16_sdwa s[40:41], v21, v17 src0_sel:BYTE_0 src1_sel:DWORD
	s_and_saveexec_b64 s[38:39], s[40:41]
	s_cbranch_execz .LBB3502_37
; %bb.40:                               ;   in Loop: Header=BB3502_38 Depth=1
	s_mov_b32 s43, 1
	s_mov_b64 s[40:41], 0
.LBB3502_41:                            ;   Parent Loop BB3502_38 Depth=1
                                        ; =>  This Loop Header: Depth=2
                                        ;       Child Loop BB3502_42 Depth 3
	s_max_u32 s44, s43, 1
.LBB3502_42:                            ;   Parent Loop BB3502_38 Depth=1
                                        ;     Parent Loop BB3502_41 Depth=2
                                        ; =>    This Inner Loop Header: Depth=3
	s_add_i32 s44, s44, -1
	s_cmp_eq_u32 s44, 0
	s_sleep 1
	s_cbranch_scc0 .LBB3502_42
; %bb.43:                               ;   in Loop: Header=BB3502_41 Depth=2
	global_load_dwordx2 v[20:21], v[22:23], off glc
	s_cmp_lt_u32 s43, 32
	s_cselect_b64 s[44:45], -1, 0
	s_cmp_lg_u64 s[44:45], 0
	s_addc_u32 s43, s43, 0
	s_waitcnt vmcnt(0)
	v_cmp_ne_u16_sdwa s[44:45], v21, v17 src0_sel:BYTE_0 src1_sel:DWORD
	s_or_b64 s[40:41], s[44:45], s[40:41]
	s_andn2_b64 exec, exec, s[40:41]
	s_cbranch_execnz .LBB3502_41
; %bb.44:                               ;   in Loop: Header=BB3502_38 Depth=1
	s_or_b64 exec, exec, s[40:41]
	s_branch .LBB3502_37
.LBB3502_45:                            ;   in Loop: Header=BB3502_38 Depth=1
                                        ; implicit-def: $vgpr20
                                        ; implicit-def: $vgpr21
	s_cbranch_execz .LBB3502_38
; %bb.46:
	s_and_saveexec_b64 s[38:39], s[18:19]
	s_cbranch_execz .LBB3502_48
; %bb.47:
	s_add_i32 s40, s42, 64
	s_mov_b32 s41, 0
	s_lshl_b64 s[40:41], s[40:41], 3
	s_add_u32 s40, s34, s40
	v_add_u32_e32 v16, v15, v14
	v_mov_b32_e32 v17, 2
	s_addc_u32 s41, s35, s41
	v_mov_b32_e32 v18, 0
	global_store_dwordx2 v18, v[16:17], s[40:41]
	ds_write_b64 v18, v[14:15] offset:6336
.LBB3502_48:
	s_or_b64 exec, exec, s[38:39]
	s_and_b64 exec, exec, s[0:1]
	s_cbranch_execz .LBB3502_50
; %bb.49:
	v_mov_b32_e32 v14, 0
	ds_write_b32 v14, v15 offset:8
.LBB3502_50:
	s_or_b64 exec, exec, s[36:37]
	v_mov_b32_e32 v14, 0
	s_waitcnt lgkmcnt(0)
	s_barrier
	ds_read_b32 v15, v14 offset:8
	v_cndmask_b32_e64 v16, v31, v30, s[18:19]
	v_cndmask_b32_e64 v16, v16, 0, s[0:1]
	s_waitcnt lgkmcnt(0)
	s_barrier
	v_add_u32_e32 v18, v15, v16
	ds_read_b64 v[14:15], v14 offset:6336
	v_add_u32_sdwa v19, v18, v24 dst_sel:DWORD dst_unused:UNUSED_PAD src0_sel:DWORD src1_sel:BYTE_0
	v_add_u32_e32 v17, v19, v25
	v_add_u32_e32 v16, v17, v26
	s_branch .LBB3502_61
.LBB3502_51:
                                        ; implicit-def: $vgpr15
                                        ; implicit-def: $vgpr16
                                        ; implicit-def: $vgpr17
                                        ; implicit-def: $vgpr19
                                        ; implicit-def: $vgpr18
	s_cbranch_execz .LBB3502_61
; %bb.52:
	s_waitcnt lgkmcnt(0)
	v_mov_b32_dpp v14, v29 row_shr:1 row_mask:0xf bank_mask:0xf
	v_cndmask_b32_e64 v14, v14, 0, s[16:17]
	v_add_u32_e32 v14, v14, v29
	s_nop 1
	v_mov_b32_dpp v15, v14 row_shr:2 row_mask:0xf bank_mask:0xf
	v_cndmask_b32_e64 v15, 0, v15, s[14:15]
	v_add_u32_e32 v14, v14, v15
	s_nop 1
	;; [unrolled: 4-line block ×4, first 2 shown]
	v_mov_b32_dpp v15, v14 row_bcast:15 row_mask:0xf bank_mask:0xf
	v_cndmask_b32_e64 v15, v15, 0, s[6:7]
	v_add_u32_e32 v14, v14, v15
	s_nop 1
	v_mov_b32_dpp v15, v14 row_bcast:31 row_mask:0xf bank_mask:0xf
	v_cndmask_b32_e64 v15, 0, v15, s[4:5]
	v_add_u32_e32 v14, v14, v15
	s_and_saveexec_b64 s[4:5], s[8:9]
	s_cbranch_execz .LBB3502_54
; %bb.53:
	v_lshlrev_b32_e32 v15, 2, v28
	ds_write_b32 v15, v14
.LBB3502_54:
	s_or_b64 exec, exec, s[4:5]
	v_cmp_gt_u32_e32 vcc, 3, v0
	s_waitcnt lgkmcnt(0)
	s_barrier
	s_and_saveexec_b64 s[4:5], vcc
	s_cbranch_execz .LBB3502_56
; %bb.55:
	ds_read_b32 v15, v11
	v_and_b32_e32 v16, 3, v27
	v_cmp_ne_u32_e32 vcc, 0, v16
	s_waitcnt lgkmcnt(0)
	v_mov_b32_dpp v17, v15 row_shr:1 row_mask:0xf bank_mask:0xf
	v_cndmask_b32_e32 v17, 0, v17, vcc
	v_add_u32_e32 v15, v17, v15
	v_cmp_lt_u32_e32 vcc, 1, v16
	s_nop 0
	v_mov_b32_dpp v17, v15 row_shr:2 row_mask:0xf bank_mask:0xf
	v_cndmask_b32_e32 v16, 0, v17, vcc
	v_add_u32_e32 v15, v15, v16
	ds_write_b32 v11, v15
.LBB3502_56:
	s_or_b64 exec, exec, s[4:5]
	v_cmp_lt_u32_e32 vcc, 63, v0
	v_mov_b32_e32 v15, 0
	v_mov_b32_e32 v16, 0
	s_waitcnt lgkmcnt(0)
	s_barrier
	s_and_saveexec_b64 s[4:5], vcc
	s_cbranch_execz .LBB3502_58
; %bb.57:
	v_lshl_add_u32 v16, v28, 2, -4
	ds_read_b32 v16, v16
.LBB3502_58:
	s_or_b64 exec, exec, s[4:5]
	v_add_u32_e32 v17, -1, v27
	v_and_b32_e32 v18, 64, v27
	v_cmp_lt_i32_e32 vcc, v17, v18
	v_cndmask_b32_e32 v17, v17, v27, vcc
	s_waitcnt lgkmcnt(0)
	v_add_u32_e32 v14, v16, v14
	v_lshlrev_b32_e32 v17, 2, v17
	ds_bpermute_b32 v17, v17, v14
	ds_read_b32 v14, v15 offset:8
	s_and_saveexec_b64 s[4:5], s[0:1]
	s_cbranch_execz .LBB3502_60
; %bb.59:
	v_mov_b32_e32 v18, 0
	v_mov_b32_e32 v15, 2
	s_waitcnt lgkmcnt(0)
	global_store_dwordx2 v18, v[14:15], s[34:35] offset:512
.LBB3502_60:
	s_or_b64 exec, exec, s[4:5]
	v_cmp_eq_u32_e32 vcc, 0, v27
	s_waitcnt lgkmcnt(1)
	v_cndmask_b32_e32 v16, v17, v16, vcc
	v_cndmask_b32_e64 v18, v16, 0, s[0:1]
	v_add_u32_sdwa v19, v18, v24 dst_sel:DWORD dst_unused:UNUSED_PAD src0_sel:DWORD src1_sel:BYTE_0
	v_add_u32_e32 v17, v19, v25
	v_mov_b32_e32 v15, 0
	v_add_u32_e32 v16, v17, v26
	s_waitcnt lgkmcnt(0)
	s_barrier
.LBB3502_61:
	s_waitcnt lgkmcnt(0)
	v_add_u32_e32 v11, v14, v11
	v_sub_u32_e32 v18, v18, v15
	v_and_b32_e32 v22, 1, v24
	v_sub_u32_e32 v21, v11, v18
	v_cmp_eq_u32_e32 vcc, 1, v22
	v_cndmask_b32_e32 v18, v21, v18, vcc
	v_lshlrev_b32_e32 v18, 3, v18
	v_lshrrev_b32_e32 v20, 8, v24
	ds_write_b64 v18, v[6:7]
	v_sub_u32_e32 v6, v19, v15
	v_sub_u32_e32 v7, v11, v6
	v_and_b32_e32 v18, 1, v20
	v_add_u32_e32 v7, 1, v7
	v_cmp_eq_u32_e32 vcc, 1, v18
	v_cndmask_b32_e32 v6, v7, v6, vcc
	v_lshlrev_b32_e32 v6, 3, v6
	ds_write_b64 v6, v[8:9]
	v_sub_u32_e32 v6, v17, v15
	v_mov_b32_e32 v8, 1
	v_sub_u32_e32 v7, v11, v6
	v_and_b32_sdwa v8, v8, v24 dst_sel:DWORD dst_unused:UNUSED_PAD src0_sel:DWORD src1_sel:WORD_1
	v_add_u32_e32 v7, 2, v7
	v_cmp_eq_u32_e32 vcc, 1, v8
	v_cndmask_b32_e32 v6, v7, v6, vcc
	v_lshlrev_b32_e32 v6, 3, v6
	ds_write_b64 v6, v[2:3]
	v_sub_u32_e32 v2, v16, v15
	v_sub_u32_e32 v3, v11, v2
	v_add_u32_e32 v3, 3, v3
	v_cndmask_b32_e64 v2, v3, v2, s[24:25]
	v_lshlrev_b32_e32 v2, 3, v2
	ds_write_b64 v2, v[4:5]
	s_waitcnt lgkmcnt(0)
	s_barrier
	ds_read2st64_b64 v[6:9], v1 offset1:3
	ds_read2st64_b64 v[2:5], v1 offset0:6 offset1:9
	s_waitcnt vmcnt(0)
	v_add_co_u32_e32 v1, vcc, v12, v15
	v_addc_co_u32_e32 v12, vcc, 0, v13, vcc
	v_mov_b32_e32 v11, s27
	v_add_co_u32_e32 v10, vcc, s26, v10
	v_addc_co_u32_e32 v11, vcc, 0, v11, vcc
	v_mov_b32_e32 v13, s31
	v_sub_co_u32_e32 v10, vcc, s30, v10
	v_subb_co_u32_e32 v11, vcc, v13, v11, vcc
	v_add_co_u32_e32 v10, vcc, v10, v14
	v_addc_co_u32_e32 v11, vcc, 0, v11, vcc
	s_and_b64 vcc, exec, s[2:3]
	v_add_co_u32_e64 v13, s[2:3], v10, v1
	v_add_u32_e32 v18, 0xc0, v0
	v_add_u32_e32 v17, 0x180, v0
	v_add_u32_e32 v16, 0x240, v0
	v_addc_co_u32_e64 v15, s[2:3], v11, v12, s[2:3]
	s_cbranch_vccnz .LBB3502_82
; %bb.62:
	v_cmp_ge_u32_e32 vcc, v0, v14
                                        ; implicit-def: $vgpr10_vgpr11
	s_and_saveexec_b64 s[2:3], vcc
	s_xor_b64 s[2:3], exec, s[2:3]
; %bb.63:
	v_not_b32_e32 v10, v0
	v_ashrrev_i32_e32 v11, 31, v10
	v_add_co_u32_e32 v10, vcc, v13, v10
	v_addc_co_u32_e32 v11, vcc, v15, v11, vcc
; %bb.64:
	s_andn2_saveexec_b64 s[2:3], s[2:3]
; %bb.65:
	v_add_co_u32_e32 v10, vcc, v1, v0
	v_addc_co_u32_e32 v11, vcc, 0, v12, vcc
; %bb.66:
	s_or_b64 exec, exec, s[2:3]
	v_lshlrev_b64 v[10:11], 3, v[10:11]
	v_mov_b32_e32 v19, s29
	v_add_co_u32_e32 v10, vcc, s28, v10
	v_addc_co_u32_e32 v11, vcc, v19, v11, vcc
	v_cmp_ge_u32_e32 vcc, v18, v14
	s_waitcnt lgkmcnt(1)
	global_store_dwordx2 v[10:11], v[6:7], off
                                        ; implicit-def: $vgpr10_vgpr11
	s_and_saveexec_b64 s[2:3], vcc
	s_xor_b64 s[2:3], exec, s[2:3]
; %bb.67:
	v_sub_u32_e32 v10, 0xffffff3f, v0
	v_ashrrev_i32_e32 v11, 31, v10
	v_add_co_u32_e32 v10, vcc, v13, v10
	v_addc_co_u32_e32 v11, vcc, v15, v11, vcc
; %bb.68:
	s_andn2_saveexec_b64 s[2:3], s[2:3]
; %bb.69:
	v_add_co_u32_e32 v10, vcc, v1, v18
	v_addc_co_u32_e32 v11, vcc, 0, v12, vcc
; %bb.70:
	s_or_b64 exec, exec, s[2:3]
	v_lshlrev_b64 v[10:11], 3, v[10:11]
	v_mov_b32_e32 v19, s29
	v_add_co_u32_e32 v10, vcc, s28, v10
	v_addc_co_u32_e32 v11, vcc, v19, v11, vcc
	v_cmp_ge_u32_e32 vcc, v17, v14
	global_store_dwordx2 v[10:11], v[8:9], off
                                        ; implicit-def: $vgpr10_vgpr11
	s_and_saveexec_b64 s[2:3], vcc
	s_xor_b64 s[2:3], exec, s[2:3]
; %bb.71:
	v_sub_u32_e32 v10, 0xfffffe7f, v0
	v_ashrrev_i32_e32 v11, 31, v10
	v_add_co_u32_e32 v10, vcc, v13, v10
	v_addc_co_u32_e32 v11, vcc, v15, v11, vcc
; %bb.72:
	s_andn2_saveexec_b64 s[2:3], s[2:3]
; %bb.73:
	v_add_co_u32_e32 v10, vcc, v1, v17
	v_addc_co_u32_e32 v11, vcc, 0, v12, vcc
; %bb.74:
	s_or_b64 exec, exec, s[2:3]
	v_lshlrev_b64 v[10:11], 3, v[10:11]
	v_mov_b32_e32 v19, s29
	v_add_co_u32_e32 v10, vcc, s28, v10
	v_addc_co_u32_e32 v11, vcc, v19, v11, vcc
	v_cmp_ge_u32_e32 vcc, v16, v14
	s_waitcnt lgkmcnt(0)
	global_store_dwordx2 v[10:11], v[2:3], off
                                        ; implicit-def: $vgpr10_vgpr11
	s_and_saveexec_b64 s[2:3], vcc
	s_xor_b64 s[2:3], exec, s[2:3]
; %bb.75:
	v_sub_u32_e32 v10, 0xfffffdbf, v0
	v_ashrrev_i32_e32 v11, 31, v10
	v_add_co_u32_e32 v10, vcc, v13, v10
	v_addc_co_u32_e32 v11, vcc, v15, v11, vcc
; %bb.76:
	s_andn2_saveexec_b64 s[2:3], s[2:3]
; %bb.77:
	v_add_co_u32_e32 v10, vcc, v1, v16
	v_addc_co_u32_e32 v11, vcc, 0, v12, vcc
; %bb.78:
	s_or_b64 exec, exec, s[2:3]
	s_mov_b64 s[2:3], -1
.LBB3502_79:
	s_and_saveexec_b64 s[4:5], s[2:3]
	s_cbranch_execz .LBB3502_92
.LBB3502_80:
	s_waitcnt lgkmcnt(0)
	v_lshlrev_b64 v[2:3], 3, v[10:11]
	v_mov_b32_e32 v0, s29
	v_add_co_u32_e32 v2, vcc, s28, v2
	v_addc_co_u32_e32 v3, vcc, v0, v3, vcc
	global_store_dwordx2 v[2:3], v[4:5], off
	s_or_b64 exec, exec, s[4:5]
	s_and_b64 s[0:1], s[0:1], s[22:23]
	s_and_saveexec_b64 s[2:3], s[0:1]
	s_cbranch_execnz .LBB3502_93
.LBB3502_81:
	s_endpgm
.LBB3502_82:
	s_mov_b64 s[2:3], 0
                                        ; implicit-def: $vgpr10_vgpr11
	s_cbranch_execz .LBB3502_79
; %bb.83:
	v_cmp_gt_u32_e32 vcc, s33, v0
	s_and_saveexec_b64 s[4:5], vcc
	s_cbranch_execz .LBB3502_94
; %bb.84:
	v_cmp_ge_u32_e32 vcc, v0, v14
                                        ; implicit-def: $vgpr10_vgpr11
	s_and_saveexec_b64 s[6:7], vcc
	s_xor_b64 s[6:7], exec, s[6:7]
; %bb.85:
	v_not_b32_e32 v10, v0
	v_ashrrev_i32_e32 v11, 31, v10
	v_add_co_u32_e32 v10, vcc, v13, v10
	v_addc_co_u32_e32 v11, vcc, v15, v11, vcc
; %bb.86:
	s_andn2_saveexec_b64 s[6:7], s[6:7]
; %bb.87:
	v_add_co_u32_e32 v10, vcc, v1, v0
	v_addc_co_u32_e32 v11, vcc, 0, v12, vcc
; %bb.88:
	s_or_b64 exec, exec, s[6:7]
	v_lshlrev_b64 v[10:11], 3, v[10:11]
	v_mov_b32_e32 v19, s29
	v_add_co_u32_e32 v10, vcc, s28, v10
	v_addc_co_u32_e32 v11, vcc, v19, v11, vcc
	s_waitcnt lgkmcnt(1)
	global_store_dwordx2 v[10:11], v[6:7], off
	s_or_b64 exec, exec, s[4:5]
	v_cmp_gt_u32_e32 vcc, s33, v18
	s_and_saveexec_b64 s[4:5], vcc
	s_cbranch_execnz .LBB3502_95
.LBB3502_89:
	s_or_b64 exec, exec, s[4:5]
	v_cmp_gt_u32_e32 vcc, s33, v17
	s_and_saveexec_b64 s[4:5], vcc
	s_cbranch_execnz .LBB3502_100
.LBB3502_90:
	s_or_b64 exec, exec, s[4:5]
	v_cmp_gt_u32_e32 vcc, s33, v16
                                        ; implicit-def: $vgpr10_vgpr11
	s_and_saveexec_b64 s[4:5], vcc
	s_cbranch_execnz .LBB3502_105
.LBB3502_91:
	s_or_b64 exec, exec, s[4:5]
	s_and_saveexec_b64 s[4:5], s[2:3]
	s_cbranch_execnz .LBB3502_80
.LBB3502_92:
	s_or_b64 exec, exec, s[4:5]
	s_and_b64 s[0:1], s[0:1], s[22:23]
	s_and_saveexec_b64 s[2:3], s[0:1]
	s_cbranch_execz .LBB3502_81
.LBB3502_93:
	v_add_co_u32_e32 v0, vcc, v1, v14
	s_waitcnt lgkmcnt(0)
	v_mov_b32_e32 v2, 0
	v_addc_co_u32_e32 v1, vcc, 0, v12, vcc
	global_store_dwordx2 v2, v[0:1], s[20:21]
	s_endpgm
.LBB3502_94:
	s_or_b64 exec, exec, s[4:5]
	v_cmp_gt_u32_e32 vcc, s33, v18
	s_and_saveexec_b64 s[4:5], vcc
	s_cbranch_execz .LBB3502_89
.LBB3502_95:
	v_cmp_ge_u32_e32 vcc, v18, v14
                                        ; implicit-def: $vgpr6_vgpr7
	s_and_saveexec_b64 s[6:7], vcc
	s_xor_b64 s[6:7], exec, s[6:7]
	s_cbranch_execz .LBB3502_97
; %bb.96:
	s_waitcnt lgkmcnt(1)
	v_sub_u32_e32 v6, 0xffffff3f, v0
	v_ashrrev_i32_e32 v7, 31, v6
	v_add_co_u32_e32 v6, vcc, v13, v6
	v_addc_co_u32_e32 v7, vcc, v15, v7, vcc
                                        ; implicit-def: $vgpr18
.LBB3502_97:
	s_andn2_saveexec_b64 s[6:7], s[6:7]
	s_cbranch_execz .LBB3502_99
; %bb.98:
	s_waitcnt lgkmcnt(1)
	v_add_co_u32_e32 v6, vcc, v1, v18
	v_addc_co_u32_e32 v7, vcc, 0, v12, vcc
.LBB3502_99:
	s_or_b64 exec, exec, s[6:7]
	s_waitcnt lgkmcnt(1)
	v_lshlrev_b64 v[6:7], 3, v[6:7]
	v_mov_b32_e32 v10, s29
	v_add_co_u32_e32 v6, vcc, s28, v6
	v_addc_co_u32_e32 v7, vcc, v10, v7, vcc
	global_store_dwordx2 v[6:7], v[8:9], off
	s_or_b64 exec, exec, s[4:5]
	v_cmp_gt_u32_e32 vcc, s33, v17
	s_and_saveexec_b64 s[4:5], vcc
	s_cbranch_execz .LBB3502_90
.LBB3502_100:
	v_cmp_ge_u32_e32 vcc, v17, v14
                                        ; implicit-def: $vgpr6_vgpr7
	s_and_saveexec_b64 s[6:7], vcc
	s_xor_b64 s[6:7], exec, s[6:7]
	s_cbranch_execz .LBB3502_102
; %bb.101:
	s_waitcnt lgkmcnt(1)
	v_sub_u32_e32 v6, 0xfffffe7f, v0
	v_ashrrev_i32_e32 v7, 31, v6
	v_add_co_u32_e32 v6, vcc, v13, v6
	v_addc_co_u32_e32 v7, vcc, v15, v7, vcc
                                        ; implicit-def: $vgpr17
.LBB3502_102:
	s_andn2_saveexec_b64 s[6:7], s[6:7]
	s_cbranch_execz .LBB3502_104
; %bb.103:
	s_waitcnt lgkmcnt(1)
	v_add_co_u32_e32 v6, vcc, v1, v17
	v_addc_co_u32_e32 v7, vcc, 0, v12, vcc
.LBB3502_104:
	s_or_b64 exec, exec, s[6:7]
	s_waitcnt lgkmcnt(1)
	v_lshlrev_b64 v[6:7], 3, v[6:7]
	v_mov_b32_e32 v8, s29
	v_add_co_u32_e32 v6, vcc, s28, v6
	v_addc_co_u32_e32 v7, vcc, v8, v7, vcc
	s_waitcnt lgkmcnt(0)
	global_store_dwordx2 v[6:7], v[2:3], off
	s_or_b64 exec, exec, s[4:5]
	v_cmp_gt_u32_e32 vcc, s33, v16
                                        ; implicit-def: $vgpr10_vgpr11
	s_and_saveexec_b64 s[4:5], vcc
	s_cbranch_execz .LBB3502_91
.LBB3502_105:
	v_cmp_ge_u32_e32 vcc, v16, v14
                                        ; implicit-def: $vgpr10_vgpr11
	s_and_saveexec_b64 s[6:7], vcc
	s_xor_b64 s[6:7], exec, s[6:7]
	s_cbranch_execz .LBB3502_107
; %bb.106:
	v_sub_u32_e32 v0, 0xfffffdbf, v0
	s_waitcnt lgkmcnt(0)
	v_ashrrev_i32_e32 v2, 31, v0
	v_add_co_u32_e32 v10, vcc, v13, v0
	v_addc_co_u32_e32 v11, vcc, v15, v2, vcc
                                        ; implicit-def: $vgpr16
.LBB3502_107:
	s_andn2_saveexec_b64 s[6:7], s[6:7]
; %bb.108:
	v_add_co_u32_e32 v10, vcc, v1, v16
	v_addc_co_u32_e32 v11, vcc, 0, v12, vcc
; %bb.109:
	s_or_b64 exec, exec, s[6:7]
	s_or_b64 s[2:3], s[2:3], exec
	s_or_b64 exec, exec, s[4:5]
	s_and_saveexec_b64 s[4:5], s[2:3]
	s_cbranch_execnz .LBB3502_80
	s_branch .LBB3502_92
	.section	.rodata,"a",@progbits
	.p2align	6, 0x0
	.amdhsa_kernel _ZN7rocprim17ROCPRIM_400000_NS6detail17trampoline_kernelINS0_14default_configENS1_25partition_config_selectorILNS1_17partition_subalgoE3EN6thrust23THRUST_200600_302600_NS5tupleIiiNS7_9null_typeES9_S9_S9_S9_S9_S9_S9_EENS0_10empty_typeEbEEZZNS1_14partition_implILS5_3ELb0ES3_jNS7_6detail15normal_iteratorINS7_7pointerISA_NS7_11hip_rocprim3tagENS7_11use_defaultESJ_EEEEPSB_SM_NS0_5tupleIJPSA_SM_EEENSN_IJSM_SM_EEESB_PlJ10is_orderedEEE10hipError_tPvRmT3_T4_T5_T6_T7_T9_mT8_P12ihipStream_tbDpT10_ENKUlT_T0_E_clISt17integral_constantIbLb1EES1C_EEDaS17_S18_EUlS17_E_NS1_11comp_targetILNS1_3genE4ELNS1_11target_archE910ELNS1_3gpuE8ELNS1_3repE0EEENS1_30default_config_static_selectorELNS0_4arch9wavefront6targetE1EEEvT1_
		.amdhsa_group_segment_fixed_size 6344
		.amdhsa_private_segment_fixed_size 0
		.amdhsa_kernarg_size 136
		.amdhsa_user_sgpr_count 6
		.amdhsa_user_sgpr_private_segment_buffer 1
		.amdhsa_user_sgpr_dispatch_ptr 0
		.amdhsa_user_sgpr_queue_ptr 0
		.amdhsa_user_sgpr_kernarg_segment_ptr 1
		.amdhsa_user_sgpr_dispatch_id 0
		.amdhsa_user_sgpr_flat_scratch_init 0
		.amdhsa_user_sgpr_kernarg_preload_length 0
		.amdhsa_user_sgpr_kernarg_preload_offset 0
		.amdhsa_user_sgpr_private_segment_size 0
		.amdhsa_uses_dynamic_stack 0
		.amdhsa_system_sgpr_private_segment_wavefront_offset 0
		.amdhsa_system_sgpr_workgroup_id_x 1
		.amdhsa_system_sgpr_workgroup_id_y 0
		.amdhsa_system_sgpr_workgroup_id_z 0
		.amdhsa_system_sgpr_workgroup_info 0
		.amdhsa_system_vgpr_workitem_id 0
		.amdhsa_next_free_vgpr 46
		.amdhsa_next_free_sgpr 46
		.amdhsa_accum_offset 48
		.amdhsa_reserve_vcc 1
		.amdhsa_reserve_flat_scratch 0
		.amdhsa_float_round_mode_32 0
		.amdhsa_float_round_mode_16_64 0
		.amdhsa_float_denorm_mode_32 3
		.amdhsa_float_denorm_mode_16_64 3
		.amdhsa_dx10_clamp 1
		.amdhsa_ieee_mode 1
		.amdhsa_fp16_overflow 0
		.amdhsa_tg_split 0
		.amdhsa_exception_fp_ieee_invalid_op 0
		.amdhsa_exception_fp_denorm_src 0
		.amdhsa_exception_fp_ieee_div_zero 0
		.amdhsa_exception_fp_ieee_overflow 0
		.amdhsa_exception_fp_ieee_underflow 0
		.amdhsa_exception_fp_ieee_inexact 0
		.amdhsa_exception_int_div_zero 0
	.end_amdhsa_kernel
	.section	.text._ZN7rocprim17ROCPRIM_400000_NS6detail17trampoline_kernelINS0_14default_configENS1_25partition_config_selectorILNS1_17partition_subalgoE3EN6thrust23THRUST_200600_302600_NS5tupleIiiNS7_9null_typeES9_S9_S9_S9_S9_S9_S9_EENS0_10empty_typeEbEEZZNS1_14partition_implILS5_3ELb0ES3_jNS7_6detail15normal_iteratorINS7_7pointerISA_NS7_11hip_rocprim3tagENS7_11use_defaultESJ_EEEEPSB_SM_NS0_5tupleIJPSA_SM_EEENSN_IJSM_SM_EEESB_PlJ10is_orderedEEE10hipError_tPvRmT3_T4_T5_T6_T7_T9_mT8_P12ihipStream_tbDpT10_ENKUlT_T0_E_clISt17integral_constantIbLb1EES1C_EEDaS17_S18_EUlS17_E_NS1_11comp_targetILNS1_3genE4ELNS1_11target_archE910ELNS1_3gpuE8ELNS1_3repE0EEENS1_30default_config_static_selectorELNS0_4arch9wavefront6targetE1EEEvT1_,"axG",@progbits,_ZN7rocprim17ROCPRIM_400000_NS6detail17trampoline_kernelINS0_14default_configENS1_25partition_config_selectorILNS1_17partition_subalgoE3EN6thrust23THRUST_200600_302600_NS5tupleIiiNS7_9null_typeES9_S9_S9_S9_S9_S9_S9_EENS0_10empty_typeEbEEZZNS1_14partition_implILS5_3ELb0ES3_jNS7_6detail15normal_iteratorINS7_7pointerISA_NS7_11hip_rocprim3tagENS7_11use_defaultESJ_EEEEPSB_SM_NS0_5tupleIJPSA_SM_EEENSN_IJSM_SM_EEESB_PlJ10is_orderedEEE10hipError_tPvRmT3_T4_T5_T6_T7_T9_mT8_P12ihipStream_tbDpT10_ENKUlT_T0_E_clISt17integral_constantIbLb1EES1C_EEDaS17_S18_EUlS17_E_NS1_11comp_targetILNS1_3genE4ELNS1_11target_archE910ELNS1_3gpuE8ELNS1_3repE0EEENS1_30default_config_static_selectorELNS0_4arch9wavefront6targetE1EEEvT1_,comdat
.Lfunc_end3502:
	.size	_ZN7rocprim17ROCPRIM_400000_NS6detail17trampoline_kernelINS0_14default_configENS1_25partition_config_selectorILNS1_17partition_subalgoE3EN6thrust23THRUST_200600_302600_NS5tupleIiiNS7_9null_typeES9_S9_S9_S9_S9_S9_S9_EENS0_10empty_typeEbEEZZNS1_14partition_implILS5_3ELb0ES3_jNS7_6detail15normal_iteratorINS7_7pointerISA_NS7_11hip_rocprim3tagENS7_11use_defaultESJ_EEEEPSB_SM_NS0_5tupleIJPSA_SM_EEENSN_IJSM_SM_EEESB_PlJ10is_orderedEEE10hipError_tPvRmT3_T4_T5_T6_T7_T9_mT8_P12ihipStream_tbDpT10_ENKUlT_T0_E_clISt17integral_constantIbLb1EES1C_EEDaS17_S18_EUlS17_E_NS1_11comp_targetILNS1_3genE4ELNS1_11target_archE910ELNS1_3gpuE8ELNS1_3repE0EEENS1_30default_config_static_selectorELNS0_4arch9wavefront6targetE1EEEvT1_, .Lfunc_end3502-_ZN7rocprim17ROCPRIM_400000_NS6detail17trampoline_kernelINS0_14default_configENS1_25partition_config_selectorILNS1_17partition_subalgoE3EN6thrust23THRUST_200600_302600_NS5tupleIiiNS7_9null_typeES9_S9_S9_S9_S9_S9_S9_EENS0_10empty_typeEbEEZZNS1_14partition_implILS5_3ELb0ES3_jNS7_6detail15normal_iteratorINS7_7pointerISA_NS7_11hip_rocprim3tagENS7_11use_defaultESJ_EEEEPSB_SM_NS0_5tupleIJPSA_SM_EEENSN_IJSM_SM_EEESB_PlJ10is_orderedEEE10hipError_tPvRmT3_T4_T5_T6_T7_T9_mT8_P12ihipStream_tbDpT10_ENKUlT_T0_E_clISt17integral_constantIbLb1EES1C_EEDaS17_S18_EUlS17_E_NS1_11comp_targetILNS1_3genE4ELNS1_11target_archE910ELNS1_3gpuE8ELNS1_3repE0EEENS1_30default_config_static_selectorELNS0_4arch9wavefront6targetE1EEEvT1_
                                        ; -- End function
	.section	.AMDGPU.csdata,"",@progbits
; Kernel info:
; codeLenInByte = 4284
; NumSgprs: 50
; NumVgprs: 46
; NumAgprs: 0
; TotalNumVgprs: 46
; ScratchSize: 0
; MemoryBound: 0
; FloatMode: 240
; IeeeMode: 1
; LDSByteSize: 6344 bytes/workgroup (compile time only)
; SGPRBlocks: 6
; VGPRBlocks: 5
; NumSGPRsForWavesPerEU: 50
; NumVGPRsForWavesPerEU: 46
; AccumOffset: 48
; Occupancy: 8
; WaveLimiterHint : 1
; COMPUTE_PGM_RSRC2:SCRATCH_EN: 0
; COMPUTE_PGM_RSRC2:USER_SGPR: 6
; COMPUTE_PGM_RSRC2:TRAP_HANDLER: 0
; COMPUTE_PGM_RSRC2:TGID_X_EN: 1
; COMPUTE_PGM_RSRC2:TGID_Y_EN: 0
; COMPUTE_PGM_RSRC2:TGID_Z_EN: 0
; COMPUTE_PGM_RSRC2:TIDIG_COMP_CNT: 0
; COMPUTE_PGM_RSRC3_GFX90A:ACCUM_OFFSET: 11
; COMPUTE_PGM_RSRC3_GFX90A:TG_SPLIT: 0
	.section	.text._ZN7rocprim17ROCPRIM_400000_NS6detail17trampoline_kernelINS0_14default_configENS1_25partition_config_selectorILNS1_17partition_subalgoE3EN6thrust23THRUST_200600_302600_NS5tupleIiiNS7_9null_typeES9_S9_S9_S9_S9_S9_S9_EENS0_10empty_typeEbEEZZNS1_14partition_implILS5_3ELb0ES3_jNS7_6detail15normal_iteratorINS7_7pointerISA_NS7_11hip_rocprim3tagENS7_11use_defaultESJ_EEEEPSB_SM_NS0_5tupleIJPSA_SM_EEENSN_IJSM_SM_EEESB_PlJ10is_orderedEEE10hipError_tPvRmT3_T4_T5_T6_T7_T9_mT8_P12ihipStream_tbDpT10_ENKUlT_T0_E_clISt17integral_constantIbLb1EES1C_EEDaS17_S18_EUlS17_E_NS1_11comp_targetILNS1_3genE3ELNS1_11target_archE908ELNS1_3gpuE7ELNS1_3repE0EEENS1_30default_config_static_selectorELNS0_4arch9wavefront6targetE1EEEvT1_,"axG",@progbits,_ZN7rocprim17ROCPRIM_400000_NS6detail17trampoline_kernelINS0_14default_configENS1_25partition_config_selectorILNS1_17partition_subalgoE3EN6thrust23THRUST_200600_302600_NS5tupleIiiNS7_9null_typeES9_S9_S9_S9_S9_S9_S9_EENS0_10empty_typeEbEEZZNS1_14partition_implILS5_3ELb0ES3_jNS7_6detail15normal_iteratorINS7_7pointerISA_NS7_11hip_rocprim3tagENS7_11use_defaultESJ_EEEEPSB_SM_NS0_5tupleIJPSA_SM_EEENSN_IJSM_SM_EEESB_PlJ10is_orderedEEE10hipError_tPvRmT3_T4_T5_T6_T7_T9_mT8_P12ihipStream_tbDpT10_ENKUlT_T0_E_clISt17integral_constantIbLb1EES1C_EEDaS17_S18_EUlS17_E_NS1_11comp_targetILNS1_3genE3ELNS1_11target_archE908ELNS1_3gpuE7ELNS1_3repE0EEENS1_30default_config_static_selectorELNS0_4arch9wavefront6targetE1EEEvT1_,comdat
	.protected	_ZN7rocprim17ROCPRIM_400000_NS6detail17trampoline_kernelINS0_14default_configENS1_25partition_config_selectorILNS1_17partition_subalgoE3EN6thrust23THRUST_200600_302600_NS5tupleIiiNS7_9null_typeES9_S9_S9_S9_S9_S9_S9_EENS0_10empty_typeEbEEZZNS1_14partition_implILS5_3ELb0ES3_jNS7_6detail15normal_iteratorINS7_7pointerISA_NS7_11hip_rocprim3tagENS7_11use_defaultESJ_EEEEPSB_SM_NS0_5tupleIJPSA_SM_EEENSN_IJSM_SM_EEESB_PlJ10is_orderedEEE10hipError_tPvRmT3_T4_T5_T6_T7_T9_mT8_P12ihipStream_tbDpT10_ENKUlT_T0_E_clISt17integral_constantIbLb1EES1C_EEDaS17_S18_EUlS17_E_NS1_11comp_targetILNS1_3genE3ELNS1_11target_archE908ELNS1_3gpuE7ELNS1_3repE0EEENS1_30default_config_static_selectorELNS0_4arch9wavefront6targetE1EEEvT1_ ; -- Begin function _ZN7rocprim17ROCPRIM_400000_NS6detail17trampoline_kernelINS0_14default_configENS1_25partition_config_selectorILNS1_17partition_subalgoE3EN6thrust23THRUST_200600_302600_NS5tupleIiiNS7_9null_typeES9_S9_S9_S9_S9_S9_S9_EENS0_10empty_typeEbEEZZNS1_14partition_implILS5_3ELb0ES3_jNS7_6detail15normal_iteratorINS7_7pointerISA_NS7_11hip_rocprim3tagENS7_11use_defaultESJ_EEEEPSB_SM_NS0_5tupleIJPSA_SM_EEENSN_IJSM_SM_EEESB_PlJ10is_orderedEEE10hipError_tPvRmT3_T4_T5_T6_T7_T9_mT8_P12ihipStream_tbDpT10_ENKUlT_T0_E_clISt17integral_constantIbLb1EES1C_EEDaS17_S18_EUlS17_E_NS1_11comp_targetILNS1_3genE3ELNS1_11target_archE908ELNS1_3gpuE7ELNS1_3repE0EEENS1_30default_config_static_selectorELNS0_4arch9wavefront6targetE1EEEvT1_
	.globl	_ZN7rocprim17ROCPRIM_400000_NS6detail17trampoline_kernelINS0_14default_configENS1_25partition_config_selectorILNS1_17partition_subalgoE3EN6thrust23THRUST_200600_302600_NS5tupleIiiNS7_9null_typeES9_S9_S9_S9_S9_S9_S9_EENS0_10empty_typeEbEEZZNS1_14partition_implILS5_3ELb0ES3_jNS7_6detail15normal_iteratorINS7_7pointerISA_NS7_11hip_rocprim3tagENS7_11use_defaultESJ_EEEEPSB_SM_NS0_5tupleIJPSA_SM_EEENSN_IJSM_SM_EEESB_PlJ10is_orderedEEE10hipError_tPvRmT3_T4_T5_T6_T7_T9_mT8_P12ihipStream_tbDpT10_ENKUlT_T0_E_clISt17integral_constantIbLb1EES1C_EEDaS17_S18_EUlS17_E_NS1_11comp_targetILNS1_3genE3ELNS1_11target_archE908ELNS1_3gpuE7ELNS1_3repE0EEENS1_30default_config_static_selectorELNS0_4arch9wavefront6targetE1EEEvT1_
	.p2align	8
	.type	_ZN7rocprim17ROCPRIM_400000_NS6detail17trampoline_kernelINS0_14default_configENS1_25partition_config_selectorILNS1_17partition_subalgoE3EN6thrust23THRUST_200600_302600_NS5tupleIiiNS7_9null_typeES9_S9_S9_S9_S9_S9_S9_EENS0_10empty_typeEbEEZZNS1_14partition_implILS5_3ELb0ES3_jNS7_6detail15normal_iteratorINS7_7pointerISA_NS7_11hip_rocprim3tagENS7_11use_defaultESJ_EEEEPSB_SM_NS0_5tupleIJPSA_SM_EEENSN_IJSM_SM_EEESB_PlJ10is_orderedEEE10hipError_tPvRmT3_T4_T5_T6_T7_T9_mT8_P12ihipStream_tbDpT10_ENKUlT_T0_E_clISt17integral_constantIbLb1EES1C_EEDaS17_S18_EUlS17_E_NS1_11comp_targetILNS1_3genE3ELNS1_11target_archE908ELNS1_3gpuE7ELNS1_3repE0EEENS1_30default_config_static_selectorELNS0_4arch9wavefront6targetE1EEEvT1_,@function
_ZN7rocprim17ROCPRIM_400000_NS6detail17trampoline_kernelINS0_14default_configENS1_25partition_config_selectorILNS1_17partition_subalgoE3EN6thrust23THRUST_200600_302600_NS5tupleIiiNS7_9null_typeES9_S9_S9_S9_S9_S9_S9_EENS0_10empty_typeEbEEZZNS1_14partition_implILS5_3ELb0ES3_jNS7_6detail15normal_iteratorINS7_7pointerISA_NS7_11hip_rocprim3tagENS7_11use_defaultESJ_EEEEPSB_SM_NS0_5tupleIJPSA_SM_EEENSN_IJSM_SM_EEESB_PlJ10is_orderedEEE10hipError_tPvRmT3_T4_T5_T6_T7_T9_mT8_P12ihipStream_tbDpT10_ENKUlT_T0_E_clISt17integral_constantIbLb1EES1C_EEDaS17_S18_EUlS17_E_NS1_11comp_targetILNS1_3genE3ELNS1_11target_archE908ELNS1_3gpuE7ELNS1_3repE0EEENS1_30default_config_static_selectorELNS0_4arch9wavefront6targetE1EEEvT1_: ; @_ZN7rocprim17ROCPRIM_400000_NS6detail17trampoline_kernelINS0_14default_configENS1_25partition_config_selectorILNS1_17partition_subalgoE3EN6thrust23THRUST_200600_302600_NS5tupleIiiNS7_9null_typeES9_S9_S9_S9_S9_S9_S9_EENS0_10empty_typeEbEEZZNS1_14partition_implILS5_3ELb0ES3_jNS7_6detail15normal_iteratorINS7_7pointerISA_NS7_11hip_rocprim3tagENS7_11use_defaultESJ_EEEEPSB_SM_NS0_5tupleIJPSA_SM_EEENSN_IJSM_SM_EEESB_PlJ10is_orderedEEE10hipError_tPvRmT3_T4_T5_T6_T7_T9_mT8_P12ihipStream_tbDpT10_ENKUlT_T0_E_clISt17integral_constantIbLb1EES1C_EEDaS17_S18_EUlS17_E_NS1_11comp_targetILNS1_3genE3ELNS1_11target_archE908ELNS1_3gpuE7ELNS1_3repE0EEENS1_30default_config_static_selectorELNS0_4arch9wavefront6targetE1EEEvT1_
; %bb.0:
	.section	.rodata,"a",@progbits
	.p2align	6, 0x0
	.amdhsa_kernel _ZN7rocprim17ROCPRIM_400000_NS6detail17trampoline_kernelINS0_14default_configENS1_25partition_config_selectorILNS1_17partition_subalgoE3EN6thrust23THRUST_200600_302600_NS5tupleIiiNS7_9null_typeES9_S9_S9_S9_S9_S9_S9_EENS0_10empty_typeEbEEZZNS1_14partition_implILS5_3ELb0ES3_jNS7_6detail15normal_iteratorINS7_7pointerISA_NS7_11hip_rocprim3tagENS7_11use_defaultESJ_EEEEPSB_SM_NS0_5tupleIJPSA_SM_EEENSN_IJSM_SM_EEESB_PlJ10is_orderedEEE10hipError_tPvRmT3_T4_T5_T6_T7_T9_mT8_P12ihipStream_tbDpT10_ENKUlT_T0_E_clISt17integral_constantIbLb1EES1C_EEDaS17_S18_EUlS17_E_NS1_11comp_targetILNS1_3genE3ELNS1_11target_archE908ELNS1_3gpuE7ELNS1_3repE0EEENS1_30default_config_static_selectorELNS0_4arch9wavefront6targetE1EEEvT1_
		.amdhsa_group_segment_fixed_size 0
		.amdhsa_private_segment_fixed_size 0
		.amdhsa_kernarg_size 136
		.amdhsa_user_sgpr_count 6
		.amdhsa_user_sgpr_private_segment_buffer 1
		.amdhsa_user_sgpr_dispatch_ptr 0
		.amdhsa_user_sgpr_queue_ptr 0
		.amdhsa_user_sgpr_kernarg_segment_ptr 1
		.amdhsa_user_sgpr_dispatch_id 0
		.amdhsa_user_sgpr_flat_scratch_init 0
		.amdhsa_user_sgpr_kernarg_preload_length 0
		.amdhsa_user_sgpr_kernarg_preload_offset 0
		.amdhsa_user_sgpr_private_segment_size 0
		.amdhsa_uses_dynamic_stack 0
		.amdhsa_system_sgpr_private_segment_wavefront_offset 0
		.amdhsa_system_sgpr_workgroup_id_x 1
		.amdhsa_system_sgpr_workgroup_id_y 0
		.amdhsa_system_sgpr_workgroup_id_z 0
		.amdhsa_system_sgpr_workgroup_info 0
		.amdhsa_system_vgpr_workitem_id 0
		.amdhsa_next_free_vgpr 1
		.amdhsa_next_free_sgpr 0
		.amdhsa_accum_offset 4
		.amdhsa_reserve_vcc 0
		.amdhsa_reserve_flat_scratch 0
		.amdhsa_float_round_mode_32 0
		.amdhsa_float_round_mode_16_64 0
		.amdhsa_float_denorm_mode_32 3
		.amdhsa_float_denorm_mode_16_64 3
		.amdhsa_dx10_clamp 1
		.amdhsa_ieee_mode 1
		.amdhsa_fp16_overflow 0
		.amdhsa_tg_split 0
		.amdhsa_exception_fp_ieee_invalid_op 0
		.amdhsa_exception_fp_denorm_src 0
		.amdhsa_exception_fp_ieee_div_zero 0
		.amdhsa_exception_fp_ieee_overflow 0
		.amdhsa_exception_fp_ieee_underflow 0
		.amdhsa_exception_fp_ieee_inexact 0
		.amdhsa_exception_int_div_zero 0
	.end_amdhsa_kernel
	.section	.text._ZN7rocprim17ROCPRIM_400000_NS6detail17trampoline_kernelINS0_14default_configENS1_25partition_config_selectorILNS1_17partition_subalgoE3EN6thrust23THRUST_200600_302600_NS5tupleIiiNS7_9null_typeES9_S9_S9_S9_S9_S9_S9_EENS0_10empty_typeEbEEZZNS1_14partition_implILS5_3ELb0ES3_jNS7_6detail15normal_iteratorINS7_7pointerISA_NS7_11hip_rocprim3tagENS7_11use_defaultESJ_EEEEPSB_SM_NS0_5tupleIJPSA_SM_EEENSN_IJSM_SM_EEESB_PlJ10is_orderedEEE10hipError_tPvRmT3_T4_T5_T6_T7_T9_mT8_P12ihipStream_tbDpT10_ENKUlT_T0_E_clISt17integral_constantIbLb1EES1C_EEDaS17_S18_EUlS17_E_NS1_11comp_targetILNS1_3genE3ELNS1_11target_archE908ELNS1_3gpuE7ELNS1_3repE0EEENS1_30default_config_static_selectorELNS0_4arch9wavefront6targetE1EEEvT1_,"axG",@progbits,_ZN7rocprim17ROCPRIM_400000_NS6detail17trampoline_kernelINS0_14default_configENS1_25partition_config_selectorILNS1_17partition_subalgoE3EN6thrust23THRUST_200600_302600_NS5tupleIiiNS7_9null_typeES9_S9_S9_S9_S9_S9_S9_EENS0_10empty_typeEbEEZZNS1_14partition_implILS5_3ELb0ES3_jNS7_6detail15normal_iteratorINS7_7pointerISA_NS7_11hip_rocprim3tagENS7_11use_defaultESJ_EEEEPSB_SM_NS0_5tupleIJPSA_SM_EEENSN_IJSM_SM_EEESB_PlJ10is_orderedEEE10hipError_tPvRmT3_T4_T5_T6_T7_T9_mT8_P12ihipStream_tbDpT10_ENKUlT_T0_E_clISt17integral_constantIbLb1EES1C_EEDaS17_S18_EUlS17_E_NS1_11comp_targetILNS1_3genE3ELNS1_11target_archE908ELNS1_3gpuE7ELNS1_3repE0EEENS1_30default_config_static_selectorELNS0_4arch9wavefront6targetE1EEEvT1_,comdat
.Lfunc_end3503:
	.size	_ZN7rocprim17ROCPRIM_400000_NS6detail17trampoline_kernelINS0_14default_configENS1_25partition_config_selectorILNS1_17partition_subalgoE3EN6thrust23THRUST_200600_302600_NS5tupleIiiNS7_9null_typeES9_S9_S9_S9_S9_S9_S9_EENS0_10empty_typeEbEEZZNS1_14partition_implILS5_3ELb0ES3_jNS7_6detail15normal_iteratorINS7_7pointerISA_NS7_11hip_rocprim3tagENS7_11use_defaultESJ_EEEEPSB_SM_NS0_5tupleIJPSA_SM_EEENSN_IJSM_SM_EEESB_PlJ10is_orderedEEE10hipError_tPvRmT3_T4_T5_T6_T7_T9_mT8_P12ihipStream_tbDpT10_ENKUlT_T0_E_clISt17integral_constantIbLb1EES1C_EEDaS17_S18_EUlS17_E_NS1_11comp_targetILNS1_3genE3ELNS1_11target_archE908ELNS1_3gpuE7ELNS1_3repE0EEENS1_30default_config_static_selectorELNS0_4arch9wavefront6targetE1EEEvT1_, .Lfunc_end3503-_ZN7rocprim17ROCPRIM_400000_NS6detail17trampoline_kernelINS0_14default_configENS1_25partition_config_selectorILNS1_17partition_subalgoE3EN6thrust23THRUST_200600_302600_NS5tupleIiiNS7_9null_typeES9_S9_S9_S9_S9_S9_S9_EENS0_10empty_typeEbEEZZNS1_14partition_implILS5_3ELb0ES3_jNS7_6detail15normal_iteratorINS7_7pointerISA_NS7_11hip_rocprim3tagENS7_11use_defaultESJ_EEEEPSB_SM_NS0_5tupleIJPSA_SM_EEENSN_IJSM_SM_EEESB_PlJ10is_orderedEEE10hipError_tPvRmT3_T4_T5_T6_T7_T9_mT8_P12ihipStream_tbDpT10_ENKUlT_T0_E_clISt17integral_constantIbLb1EES1C_EEDaS17_S18_EUlS17_E_NS1_11comp_targetILNS1_3genE3ELNS1_11target_archE908ELNS1_3gpuE7ELNS1_3repE0EEENS1_30default_config_static_selectorELNS0_4arch9wavefront6targetE1EEEvT1_
                                        ; -- End function
	.section	.AMDGPU.csdata,"",@progbits
; Kernel info:
; codeLenInByte = 0
; NumSgprs: 4
; NumVgprs: 0
; NumAgprs: 0
; TotalNumVgprs: 0
; ScratchSize: 0
; MemoryBound: 0
; FloatMode: 240
; IeeeMode: 1
; LDSByteSize: 0 bytes/workgroup (compile time only)
; SGPRBlocks: 0
; VGPRBlocks: 0
; NumSGPRsForWavesPerEU: 4
; NumVGPRsForWavesPerEU: 1
; AccumOffset: 4
; Occupancy: 8
; WaveLimiterHint : 0
; COMPUTE_PGM_RSRC2:SCRATCH_EN: 0
; COMPUTE_PGM_RSRC2:USER_SGPR: 6
; COMPUTE_PGM_RSRC2:TRAP_HANDLER: 0
; COMPUTE_PGM_RSRC2:TGID_X_EN: 1
; COMPUTE_PGM_RSRC2:TGID_Y_EN: 0
; COMPUTE_PGM_RSRC2:TGID_Z_EN: 0
; COMPUTE_PGM_RSRC2:TIDIG_COMP_CNT: 0
; COMPUTE_PGM_RSRC3_GFX90A:ACCUM_OFFSET: 0
; COMPUTE_PGM_RSRC3_GFX90A:TG_SPLIT: 0
	.section	.text._ZN7rocprim17ROCPRIM_400000_NS6detail17trampoline_kernelINS0_14default_configENS1_25partition_config_selectorILNS1_17partition_subalgoE3EN6thrust23THRUST_200600_302600_NS5tupleIiiNS7_9null_typeES9_S9_S9_S9_S9_S9_S9_EENS0_10empty_typeEbEEZZNS1_14partition_implILS5_3ELb0ES3_jNS7_6detail15normal_iteratorINS7_7pointerISA_NS7_11hip_rocprim3tagENS7_11use_defaultESJ_EEEEPSB_SM_NS0_5tupleIJPSA_SM_EEENSN_IJSM_SM_EEESB_PlJ10is_orderedEEE10hipError_tPvRmT3_T4_T5_T6_T7_T9_mT8_P12ihipStream_tbDpT10_ENKUlT_T0_E_clISt17integral_constantIbLb1EES1C_EEDaS17_S18_EUlS17_E_NS1_11comp_targetILNS1_3genE2ELNS1_11target_archE906ELNS1_3gpuE6ELNS1_3repE0EEENS1_30default_config_static_selectorELNS0_4arch9wavefront6targetE1EEEvT1_,"axG",@progbits,_ZN7rocprim17ROCPRIM_400000_NS6detail17trampoline_kernelINS0_14default_configENS1_25partition_config_selectorILNS1_17partition_subalgoE3EN6thrust23THRUST_200600_302600_NS5tupleIiiNS7_9null_typeES9_S9_S9_S9_S9_S9_S9_EENS0_10empty_typeEbEEZZNS1_14partition_implILS5_3ELb0ES3_jNS7_6detail15normal_iteratorINS7_7pointerISA_NS7_11hip_rocprim3tagENS7_11use_defaultESJ_EEEEPSB_SM_NS0_5tupleIJPSA_SM_EEENSN_IJSM_SM_EEESB_PlJ10is_orderedEEE10hipError_tPvRmT3_T4_T5_T6_T7_T9_mT8_P12ihipStream_tbDpT10_ENKUlT_T0_E_clISt17integral_constantIbLb1EES1C_EEDaS17_S18_EUlS17_E_NS1_11comp_targetILNS1_3genE2ELNS1_11target_archE906ELNS1_3gpuE6ELNS1_3repE0EEENS1_30default_config_static_selectorELNS0_4arch9wavefront6targetE1EEEvT1_,comdat
	.protected	_ZN7rocprim17ROCPRIM_400000_NS6detail17trampoline_kernelINS0_14default_configENS1_25partition_config_selectorILNS1_17partition_subalgoE3EN6thrust23THRUST_200600_302600_NS5tupleIiiNS7_9null_typeES9_S9_S9_S9_S9_S9_S9_EENS0_10empty_typeEbEEZZNS1_14partition_implILS5_3ELb0ES3_jNS7_6detail15normal_iteratorINS7_7pointerISA_NS7_11hip_rocprim3tagENS7_11use_defaultESJ_EEEEPSB_SM_NS0_5tupleIJPSA_SM_EEENSN_IJSM_SM_EEESB_PlJ10is_orderedEEE10hipError_tPvRmT3_T4_T5_T6_T7_T9_mT8_P12ihipStream_tbDpT10_ENKUlT_T0_E_clISt17integral_constantIbLb1EES1C_EEDaS17_S18_EUlS17_E_NS1_11comp_targetILNS1_3genE2ELNS1_11target_archE906ELNS1_3gpuE6ELNS1_3repE0EEENS1_30default_config_static_selectorELNS0_4arch9wavefront6targetE1EEEvT1_ ; -- Begin function _ZN7rocprim17ROCPRIM_400000_NS6detail17trampoline_kernelINS0_14default_configENS1_25partition_config_selectorILNS1_17partition_subalgoE3EN6thrust23THRUST_200600_302600_NS5tupleIiiNS7_9null_typeES9_S9_S9_S9_S9_S9_S9_EENS0_10empty_typeEbEEZZNS1_14partition_implILS5_3ELb0ES3_jNS7_6detail15normal_iteratorINS7_7pointerISA_NS7_11hip_rocprim3tagENS7_11use_defaultESJ_EEEEPSB_SM_NS0_5tupleIJPSA_SM_EEENSN_IJSM_SM_EEESB_PlJ10is_orderedEEE10hipError_tPvRmT3_T4_T5_T6_T7_T9_mT8_P12ihipStream_tbDpT10_ENKUlT_T0_E_clISt17integral_constantIbLb1EES1C_EEDaS17_S18_EUlS17_E_NS1_11comp_targetILNS1_3genE2ELNS1_11target_archE906ELNS1_3gpuE6ELNS1_3repE0EEENS1_30default_config_static_selectorELNS0_4arch9wavefront6targetE1EEEvT1_
	.globl	_ZN7rocprim17ROCPRIM_400000_NS6detail17trampoline_kernelINS0_14default_configENS1_25partition_config_selectorILNS1_17partition_subalgoE3EN6thrust23THRUST_200600_302600_NS5tupleIiiNS7_9null_typeES9_S9_S9_S9_S9_S9_S9_EENS0_10empty_typeEbEEZZNS1_14partition_implILS5_3ELb0ES3_jNS7_6detail15normal_iteratorINS7_7pointerISA_NS7_11hip_rocprim3tagENS7_11use_defaultESJ_EEEEPSB_SM_NS0_5tupleIJPSA_SM_EEENSN_IJSM_SM_EEESB_PlJ10is_orderedEEE10hipError_tPvRmT3_T4_T5_T6_T7_T9_mT8_P12ihipStream_tbDpT10_ENKUlT_T0_E_clISt17integral_constantIbLb1EES1C_EEDaS17_S18_EUlS17_E_NS1_11comp_targetILNS1_3genE2ELNS1_11target_archE906ELNS1_3gpuE6ELNS1_3repE0EEENS1_30default_config_static_selectorELNS0_4arch9wavefront6targetE1EEEvT1_
	.p2align	8
	.type	_ZN7rocprim17ROCPRIM_400000_NS6detail17trampoline_kernelINS0_14default_configENS1_25partition_config_selectorILNS1_17partition_subalgoE3EN6thrust23THRUST_200600_302600_NS5tupleIiiNS7_9null_typeES9_S9_S9_S9_S9_S9_S9_EENS0_10empty_typeEbEEZZNS1_14partition_implILS5_3ELb0ES3_jNS7_6detail15normal_iteratorINS7_7pointerISA_NS7_11hip_rocprim3tagENS7_11use_defaultESJ_EEEEPSB_SM_NS0_5tupleIJPSA_SM_EEENSN_IJSM_SM_EEESB_PlJ10is_orderedEEE10hipError_tPvRmT3_T4_T5_T6_T7_T9_mT8_P12ihipStream_tbDpT10_ENKUlT_T0_E_clISt17integral_constantIbLb1EES1C_EEDaS17_S18_EUlS17_E_NS1_11comp_targetILNS1_3genE2ELNS1_11target_archE906ELNS1_3gpuE6ELNS1_3repE0EEENS1_30default_config_static_selectorELNS0_4arch9wavefront6targetE1EEEvT1_,@function
_ZN7rocprim17ROCPRIM_400000_NS6detail17trampoline_kernelINS0_14default_configENS1_25partition_config_selectorILNS1_17partition_subalgoE3EN6thrust23THRUST_200600_302600_NS5tupleIiiNS7_9null_typeES9_S9_S9_S9_S9_S9_S9_EENS0_10empty_typeEbEEZZNS1_14partition_implILS5_3ELb0ES3_jNS7_6detail15normal_iteratorINS7_7pointerISA_NS7_11hip_rocprim3tagENS7_11use_defaultESJ_EEEEPSB_SM_NS0_5tupleIJPSA_SM_EEENSN_IJSM_SM_EEESB_PlJ10is_orderedEEE10hipError_tPvRmT3_T4_T5_T6_T7_T9_mT8_P12ihipStream_tbDpT10_ENKUlT_T0_E_clISt17integral_constantIbLb1EES1C_EEDaS17_S18_EUlS17_E_NS1_11comp_targetILNS1_3genE2ELNS1_11target_archE906ELNS1_3gpuE6ELNS1_3repE0EEENS1_30default_config_static_selectorELNS0_4arch9wavefront6targetE1EEEvT1_: ; @_ZN7rocprim17ROCPRIM_400000_NS6detail17trampoline_kernelINS0_14default_configENS1_25partition_config_selectorILNS1_17partition_subalgoE3EN6thrust23THRUST_200600_302600_NS5tupleIiiNS7_9null_typeES9_S9_S9_S9_S9_S9_S9_EENS0_10empty_typeEbEEZZNS1_14partition_implILS5_3ELb0ES3_jNS7_6detail15normal_iteratorINS7_7pointerISA_NS7_11hip_rocprim3tagENS7_11use_defaultESJ_EEEEPSB_SM_NS0_5tupleIJPSA_SM_EEENSN_IJSM_SM_EEESB_PlJ10is_orderedEEE10hipError_tPvRmT3_T4_T5_T6_T7_T9_mT8_P12ihipStream_tbDpT10_ENKUlT_T0_E_clISt17integral_constantIbLb1EES1C_EEDaS17_S18_EUlS17_E_NS1_11comp_targetILNS1_3genE2ELNS1_11target_archE906ELNS1_3gpuE6ELNS1_3repE0EEENS1_30default_config_static_selectorELNS0_4arch9wavefront6targetE1EEEvT1_
; %bb.0:
	.section	.rodata,"a",@progbits
	.p2align	6, 0x0
	.amdhsa_kernel _ZN7rocprim17ROCPRIM_400000_NS6detail17trampoline_kernelINS0_14default_configENS1_25partition_config_selectorILNS1_17partition_subalgoE3EN6thrust23THRUST_200600_302600_NS5tupleIiiNS7_9null_typeES9_S9_S9_S9_S9_S9_S9_EENS0_10empty_typeEbEEZZNS1_14partition_implILS5_3ELb0ES3_jNS7_6detail15normal_iteratorINS7_7pointerISA_NS7_11hip_rocprim3tagENS7_11use_defaultESJ_EEEEPSB_SM_NS0_5tupleIJPSA_SM_EEENSN_IJSM_SM_EEESB_PlJ10is_orderedEEE10hipError_tPvRmT3_T4_T5_T6_T7_T9_mT8_P12ihipStream_tbDpT10_ENKUlT_T0_E_clISt17integral_constantIbLb1EES1C_EEDaS17_S18_EUlS17_E_NS1_11comp_targetILNS1_3genE2ELNS1_11target_archE906ELNS1_3gpuE6ELNS1_3repE0EEENS1_30default_config_static_selectorELNS0_4arch9wavefront6targetE1EEEvT1_
		.amdhsa_group_segment_fixed_size 0
		.amdhsa_private_segment_fixed_size 0
		.amdhsa_kernarg_size 136
		.amdhsa_user_sgpr_count 6
		.amdhsa_user_sgpr_private_segment_buffer 1
		.amdhsa_user_sgpr_dispatch_ptr 0
		.amdhsa_user_sgpr_queue_ptr 0
		.amdhsa_user_sgpr_kernarg_segment_ptr 1
		.amdhsa_user_sgpr_dispatch_id 0
		.amdhsa_user_sgpr_flat_scratch_init 0
		.amdhsa_user_sgpr_kernarg_preload_length 0
		.amdhsa_user_sgpr_kernarg_preload_offset 0
		.amdhsa_user_sgpr_private_segment_size 0
		.amdhsa_uses_dynamic_stack 0
		.amdhsa_system_sgpr_private_segment_wavefront_offset 0
		.amdhsa_system_sgpr_workgroup_id_x 1
		.amdhsa_system_sgpr_workgroup_id_y 0
		.amdhsa_system_sgpr_workgroup_id_z 0
		.amdhsa_system_sgpr_workgroup_info 0
		.amdhsa_system_vgpr_workitem_id 0
		.amdhsa_next_free_vgpr 1
		.amdhsa_next_free_sgpr 0
		.amdhsa_accum_offset 4
		.amdhsa_reserve_vcc 0
		.amdhsa_reserve_flat_scratch 0
		.amdhsa_float_round_mode_32 0
		.amdhsa_float_round_mode_16_64 0
		.amdhsa_float_denorm_mode_32 3
		.amdhsa_float_denorm_mode_16_64 3
		.amdhsa_dx10_clamp 1
		.amdhsa_ieee_mode 1
		.amdhsa_fp16_overflow 0
		.amdhsa_tg_split 0
		.amdhsa_exception_fp_ieee_invalid_op 0
		.amdhsa_exception_fp_denorm_src 0
		.amdhsa_exception_fp_ieee_div_zero 0
		.amdhsa_exception_fp_ieee_overflow 0
		.amdhsa_exception_fp_ieee_underflow 0
		.amdhsa_exception_fp_ieee_inexact 0
		.amdhsa_exception_int_div_zero 0
	.end_amdhsa_kernel
	.section	.text._ZN7rocprim17ROCPRIM_400000_NS6detail17trampoline_kernelINS0_14default_configENS1_25partition_config_selectorILNS1_17partition_subalgoE3EN6thrust23THRUST_200600_302600_NS5tupleIiiNS7_9null_typeES9_S9_S9_S9_S9_S9_S9_EENS0_10empty_typeEbEEZZNS1_14partition_implILS5_3ELb0ES3_jNS7_6detail15normal_iteratorINS7_7pointerISA_NS7_11hip_rocprim3tagENS7_11use_defaultESJ_EEEEPSB_SM_NS0_5tupleIJPSA_SM_EEENSN_IJSM_SM_EEESB_PlJ10is_orderedEEE10hipError_tPvRmT3_T4_T5_T6_T7_T9_mT8_P12ihipStream_tbDpT10_ENKUlT_T0_E_clISt17integral_constantIbLb1EES1C_EEDaS17_S18_EUlS17_E_NS1_11comp_targetILNS1_3genE2ELNS1_11target_archE906ELNS1_3gpuE6ELNS1_3repE0EEENS1_30default_config_static_selectorELNS0_4arch9wavefront6targetE1EEEvT1_,"axG",@progbits,_ZN7rocprim17ROCPRIM_400000_NS6detail17trampoline_kernelINS0_14default_configENS1_25partition_config_selectorILNS1_17partition_subalgoE3EN6thrust23THRUST_200600_302600_NS5tupleIiiNS7_9null_typeES9_S9_S9_S9_S9_S9_S9_EENS0_10empty_typeEbEEZZNS1_14partition_implILS5_3ELb0ES3_jNS7_6detail15normal_iteratorINS7_7pointerISA_NS7_11hip_rocprim3tagENS7_11use_defaultESJ_EEEEPSB_SM_NS0_5tupleIJPSA_SM_EEENSN_IJSM_SM_EEESB_PlJ10is_orderedEEE10hipError_tPvRmT3_T4_T5_T6_T7_T9_mT8_P12ihipStream_tbDpT10_ENKUlT_T0_E_clISt17integral_constantIbLb1EES1C_EEDaS17_S18_EUlS17_E_NS1_11comp_targetILNS1_3genE2ELNS1_11target_archE906ELNS1_3gpuE6ELNS1_3repE0EEENS1_30default_config_static_selectorELNS0_4arch9wavefront6targetE1EEEvT1_,comdat
.Lfunc_end3504:
	.size	_ZN7rocprim17ROCPRIM_400000_NS6detail17trampoline_kernelINS0_14default_configENS1_25partition_config_selectorILNS1_17partition_subalgoE3EN6thrust23THRUST_200600_302600_NS5tupleIiiNS7_9null_typeES9_S9_S9_S9_S9_S9_S9_EENS0_10empty_typeEbEEZZNS1_14partition_implILS5_3ELb0ES3_jNS7_6detail15normal_iteratorINS7_7pointerISA_NS7_11hip_rocprim3tagENS7_11use_defaultESJ_EEEEPSB_SM_NS0_5tupleIJPSA_SM_EEENSN_IJSM_SM_EEESB_PlJ10is_orderedEEE10hipError_tPvRmT3_T4_T5_T6_T7_T9_mT8_P12ihipStream_tbDpT10_ENKUlT_T0_E_clISt17integral_constantIbLb1EES1C_EEDaS17_S18_EUlS17_E_NS1_11comp_targetILNS1_3genE2ELNS1_11target_archE906ELNS1_3gpuE6ELNS1_3repE0EEENS1_30default_config_static_selectorELNS0_4arch9wavefront6targetE1EEEvT1_, .Lfunc_end3504-_ZN7rocprim17ROCPRIM_400000_NS6detail17trampoline_kernelINS0_14default_configENS1_25partition_config_selectorILNS1_17partition_subalgoE3EN6thrust23THRUST_200600_302600_NS5tupleIiiNS7_9null_typeES9_S9_S9_S9_S9_S9_S9_EENS0_10empty_typeEbEEZZNS1_14partition_implILS5_3ELb0ES3_jNS7_6detail15normal_iteratorINS7_7pointerISA_NS7_11hip_rocprim3tagENS7_11use_defaultESJ_EEEEPSB_SM_NS0_5tupleIJPSA_SM_EEENSN_IJSM_SM_EEESB_PlJ10is_orderedEEE10hipError_tPvRmT3_T4_T5_T6_T7_T9_mT8_P12ihipStream_tbDpT10_ENKUlT_T0_E_clISt17integral_constantIbLb1EES1C_EEDaS17_S18_EUlS17_E_NS1_11comp_targetILNS1_3genE2ELNS1_11target_archE906ELNS1_3gpuE6ELNS1_3repE0EEENS1_30default_config_static_selectorELNS0_4arch9wavefront6targetE1EEEvT1_
                                        ; -- End function
	.section	.AMDGPU.csdata,"",@progbits
; Kernel info:
; codeLenInByte = 0
; NumSgprs: 4
; NumVgprs: 0
; NumAgprs: 0
; TotalNumVgprs: 0
; ScratchSize: 0
; MemoryBound: 0
; FloatMode: 240
; IeeeMode: 1
; LDSByteSize: 0 bytes/workgroup (compile time only)
; SGPRBlocks: 0
; VGPRBlocks: 0
; NumSGPRsForWavesPerEU: 4
; NumVGPRsForWavesPerEU: 1
; AccumOffset: 4
; Occupancy: 8
; WaveLimiterHint : 0
; COMPUTE_PGM_RSRC2:SCRATCH_EN: 0
; COMPUTE_PGM_RSRC2:USER_SGPR: 6
; COMPUTE_PGM_RSRC2:TRAP_HANDLER: 0
; COMPUTE_PGM_RSRC2:TGID_X_EN: 1
; COMPUTE_PGM_RSRC2:TGID_Y_EN: 0
; COMPUTE_PGM_RSRC2:TGID_Z_EN: 0
; COMPUTE_PGM_RSRC2:TIDIG_COMP_CNT: 0
; COMPUTE_PGM_RSRC3_GFX90A:ACCUM_OFFSET: 0
; COMPUTE_PGM_RSRC3_GFX90A:TG_SPLIT: 0
	.section	.text._ZN7rocprim17ROCPRIM_400000_NS6detail17trampoline_kernelINS0_14default_configENS1_25partition_config_selectorILNS1_17partition_subalgoE3EN6thrust23THRUST_200600_302600_NS5tupleIiiNS7_9null_typeES9_S9_S9_S9_S9_S9_S9_EENS0_10empty_typeEbEEZZNS1_14partition_implILS5_3ELb0ES3_jNS7_6detail15normal_iteratorINS7_7pointerISA_NS7_11hip_rocprim3tagENS7_11use_defaultESJ_EEEEPSB_SM_NS0_5tupleIJPSA_SM_EEENSN_IJSM_SM_EEESB_PlJ10is_orderedEEE10hipError_tPvRmT3_T4_T5_T6_T7_T9_mT8_P12ihipStream_tbDpT10_ENKUlT_T0_E_clISt17integral_constantIbLb1EES1C_EEDaS17_S18_EUlS17_E_NS1_11comp_targetILNS1_3genE10ELNS1_11target_archE1200ELNS1_3gpuE4ELNS1_3repE0EEENS1_30default_config_static_selectorELNS0_4arch9wavefront6targetE1EEEvT1_,"axG",@progbits,_ZN7rocprim17ROCPRIM_400000_NS6detail17trampoline_kernelINS0_14default_configENS1_25partition_config_selectorILNS1_17partition_subalgoE3EN6thrust23THRUST_200600_302600_NS5tupleIiiNS7_9null_typeES9_S9_S9_S9_S9_S9_S9_EENS0_10empty_typeEbEEZZNS1_14partition_implILS5_3ELb0ES3_jNS7_6detail15normal_iteratorINS7_7pointerISA_NS7_11hip_rocprim3tagENS7_11use_defaultESJ_EEEEPSB_SM_NS0_5tupleIJPSA_SM_EEENSN_IJSM_SM_EEESB_PlJ10is_orderedEEE10hipError_tPvRmT3_T4_T5_T6_T7_T9_mT8_P12ihipStream_tbDpT10_ENKUlT_T0_E_clISt17integral_constantIbLb1EES1C_EEDaS17_S18_EUlS17_E_NS1_11comp_targetILNS1_3genE10ELNS1_11target_archE1200ELNS1_3gpuE4ELNS1_3repE0EEENS1_30default_config_static_selectorELNS0_4arch9wavefront6targetE1EEEvT1_,comdat
	.protected	_ZN7rocprim17ROCPRIM_400000_NS6detail17trampoline_kernelINS0_14default_configENS1_25partition_config_selectorILNS1_17partition_subalgoE3EN6thrust23THRUST_200600_302600_NS5tupleIiiNS7_9null_typeES9_S9_S9_S9_S9_S9_S9_EENS0_10empty_typeEbEEZZNS1_14partition_implILS5_3ELb0ES3_jNS7_6detail15normal_iteratorINS7_7pointerISA_NS7_11hip_rocprim3tagENS7_11use_defaultESJ_EEEEPSB_SM_NS0_5tupleIJPSA_SM_EEENSN_IJSM_SM_EEESB_PlJ10is_orderedEEE10hipError_tPvRmT3_T4_T5_T6_T7_T9_mT8_P12ihipStream_tbDpT10_ENKUlT_T0_E_clISt17integral_constantIbLb1EES1C_EEDaS17_S18_EUlS17_E_NS1_11comp_targetILNS1_3genE10ELNS1_11target_archE1200ELNS1_3gpuE4ELNS1_3repE0EEENS1_30default_config_static_selectorELNS0_4arch9wavefront6targetE1EEEvT1_ ; -- Begin function _ZN7rocprim17ROCPRIM_400000_NS6detail17trampoline_kernelINS0_14default_configENS1_25partition_config_selectorILNS1_17partition_subalgoE3EN6thrust23THRUST_200600_302600_NS5tupleIiiNS7_9null_typeES9_S9_S9_S9_S9_S9_S9_EENS0_10empty_typeEbEEZZNS1_14partition_implILS5_3ELb0ES3_jNS7_6detail15normal_iteratorINS7_7pointerISA_NS7_11hip_rocprim3tagENS7_11use_defaultESJ_EEEEPSB_SM_NS0_5tupleIJPSA_SM_EEENSN_IJSM_SM_EEESB_PlJ10is_orderedEEE10hipError_tPvRmT3_T4_T5_T6_T7_T9_mT8_P12ihipStream_tbDpT10_ENKUlT_T0_E_clISt17integral_constantIbLb1EES1C_EEDaS17_S18_EUlS17_E_NS1_11comp_targetILNS1_3genE10ELNS1_11target_archE1200ELNS1_3gpuE4ELNS1_3repE0EEENS1_30default_config_static_selectorELNS0_4arch9wavefront6targetE1EEEvT1_
	.globl	_ZN7rocprim17ROCPRIM_400000_NS6detail17trampoline_kernelINS0_14default_configENS1_25partition_config_selectorILNS1_17partition_subalgoE3EN6thrust23THRUST_200600_302600_NS5tupleIiiNS7_9null_typeES9_S9_S9_S9_S9_S9_S9_EENS0_10empty_typeEbEEZZNS1_14partition_implILS5_3ELb0ES3_jNS7_6detail15normal_iteratorINS7_7pointerISA_NS7_11hip_rocprim3tagENS7_11use_defaultESJ_EEEEPSB_SM_NS0_5tupleIJPSA_SM_EEENSN_IJSM_SM_EEESB_PlJ10is_orderedEEE10hipError_tPvRmT3_T4_T5_T6_T7_T9_mT8_P12ihipStream_tbDpT10_ENKUlT_T0_E_clISt17integral_constantIbLb1EES1C_EEDaS17_S18_EUlS17_E_NS1_11comp_targetILNS1_3genE10ELNS1_11target_archE1200ELNS1_3gpuE4ELNS1_3repE0EEENS1_30default_config_static_selectorELNS0_4arch9wavefront6targetE1EEEvT1_
	.p2align	8
	.type	_ZN7rocprim17ROCPRIM_400000_NS6detail17trampoline_kernelINS0_14default_configENS1_25partition_config_selectorILNS1_17partition_subalgoE3EN6thrust23THRUST_200600_302600_NS5tupleIiiNS7_9null_typeES9_S9_S9_S9_S9_S9_S9_EENS0_10empty_typeEbEEZZNS1_14partition_implILS5_3ELb0ES3_jNS7_6detail15normal_iteratorINS7_7pointerISA_NS7_11hip_rocprim3tagENS7_11use_defaultESJ_EEEEPSB_SM_NS0_5tupleIJPSA_SM_EEENSN_IJSM_SM_EEESB_PlJ10is_orderedEEE10hipError_tPvRmT3_T4_T5_T6_T7_T9_mT8_P12ihipStream_tbDpT10_ENKUlT_T0_E_clISt17integral_constantIbLb1EES1C_EEDaS17_S18_EUlS17_E_NS1_11comp_targetILNS1_3genE10ELNS1_11target_archE1200ELNS1_3gpuE4ELNS1_3repE0EEENS1_30default_config_static_selectorELNS0_4arch9wavefront6targetE1EEEvT1_,@function
_ZN7rocprim17ROCPRIM_400000_NS6detail17trampoline_kernelINS0_14default_configENS1_25partition_config_selectorILNS1_17partition_subalgoE3EN6thrust23THRUST_200600_302600_NS5tupleIiiNS7_9null_typeES9_S9_S9_S9_S9_S9_S9_EENS0_10empty_typeEbEEZZNS1_14partition_implILS5_3ELb0ES3_jNS7_6detail15normal_iteratorINS7_7pointerISA_NS7_11hip_rocprim3tagENS7_11use_defaultESJ_EEEEPSB_SM_NS0_5tupleIJPSA_SM_EEENSN_IJSM_SM_EEESB_PlJ10is_orderedEEE10hipError_tPvRmT3_T4_T5_T6_T7_T9_mT8_P12ihipStream_tbDpT10_ENKUlT_T0_E_clISt17integral_constantIbLb1EES1C_EEDaS17_S18_EUlS17_E_NS1_11comp_targetILNS1_3genE10ELNS1_11target_archE1200ELNS1_3gpuE4ELNS1_3repE0EEENS1_30default_config_static_selectorELNS0_4arch9wavefront6targetE1EEEvT1_: ; @_ZN7rocprim17ROCPRIM_400000_NS6detail17trampoline_kernelINS0_14default_configENS1_25partition_config_selectorILNS1_17partition_subalgoE3EN6thrust23THRUST_200600_302600_NS5tupleIiiNS7_9null_typeES9_S9_S9_S9_S9_S9_S9_EENS0_10empty_typeEbEEZZNS1_14partition_implILS5_3ELb0ES3_jNS7_6detail15normal_iteratorINS7_7pointerISA_NS7_11hip_rocprim3tagENS7_11use_defaultESJ_EEEEPSB_SM_NS0_5tupleIJPSA_SM_EEENSN_IJSM_SM_EEESB_PlJ10is_orderedEEE10hipError_tPvRmT3_T4_T5_T6_T7_T9_mT8_P12ihipStream_tbDpT10_ENKUlT_T0_E_clISt17integral_constantIbLb1EES1C_EEDaS17_S18_EUlS17_E_NS1_11comp_targetILNS1_3genE10ELNS1_11target_archE1200ELNS1_3gpuE4ELNS1_3repE0EEENS1_30default_config_static_selectorELNS0_4arch9wavefront6targetE1EEEvT1_
; %bb.0:
	.section	.rodata,"a",@progbits
	.p2align	6, 0x0
	.amdhsa_kernel _ZN7rocprim17ROCPRIM_400000_NS6detail17trampoline_kernelINS0_14default_configENS1_25partition_config_selectorILNS1_17partition_subalgoE3EN6thrust23THRUST_200600_302600_NS5tupleIiiNS7_9null_typeES9_S9_S9_S9_S9_S9_S9_EENS0_10empty_typeEbEEZZNS1_14partition_implILS5_3ELb0ES3_jNS7_6detail15normal_iteratorINS7_7pointerISA_NS7_11hip_rocprim3tagENS7_11use_defaultESJ_EEEEPSB_SM_NS0_5tupleIJPSA_SM_EEENSN_IJSM_SM_EEESB_PlJ10is_orderedEEE10hipError_tPvRmT3_T4_T5_T6_T7_T9_mT8_P12ihipStream_tbDpT10_ENKUlT_T0_E_clISt17integral_constantIbLb1EES1C_EEDaS17_S18_EUlS17_E_NS1_11comp_targetILNS1_3genE10ELNS1_11target_archE1200ELNS1_3gpuE4ELNS1_3repE0EEENS1_30default_config_static_selectorELNS0_4arch9wavefront6targetE1EEEvT1_
		.amdhsa_group_segment_fixed_size 0
		.amdhsa_private_segment_fixed_size 0
		.amdhsa_kernarg_size 136
		.amdhsa_user_sgpr_count 6
		.amdhsa_user_sgpr_private_segment_buffer 1
		.amdhsa_user_sgpr_dispatch_ptr 0
		.amdhsa_user_sgpr_queue_ptr 0
		.amdhsa_user_sgpr_kernarg_segment_ptr 1
		.amdhsa_user_sgpr_dispatch_id 0
		.amdhsa_user_sgpr_flat_scratch_init 0
		.amdhsa_user_sgpr_kernarg_preload_length 0
		.amdhsa_user_sgpr_kernarg_preload_offset 0
		.amdhsa_user_sgpr_private_segment_size 0
		.amdhsa_uses_dynamic_stack 0
		.amdhsa_system_sgpr_private_segment_wavefront_offset 0
		.amdhsa_system_sgpr_workgroup_id_x 1
		.amdhsa_system_sgpr_workgroup_id_y 0
		.amdhsa_system_sgpr_workgroup_id_z 0
		.amdhsa_system_sgpr_workgroup_info 0
		.amdhsa_system_vgpr_workitem_id 0
		.amdhsa_next_free_vgpr 1
		.amdhsa_next_free_sgpr 0
		.amdhsa_accum_offset 4
		.amdhsa_reserve_vcc 0
		.amdhsa_reserve_flat_scratch 0
		.amdhsa_float_round_mode_32 0
		.amdhsa_float_round_mode_16_64 0
		.amdhsa_float_denorm_mode_32 3
		.amdhsa_float_denorm_mode_16_64 3
		.amdhsa_dx10_clamp 1
		.amdhsa_ieee_mode 1
		.amdhsa_fp16_overflow 0
		.amdhsa_tg_split 0
		.amdhsa_exception_fp_ieee_invalid_op 0
		.amdhsa_exception_fp_denorm_src 0
		.amdhsa_exception_fp_ieee_div_zero 0
		.amdhsa_exception_fp_ieee_overflow 0
		.amdhsa_exception_fp_ieee_underflow 0
		.amdhsa_exception_fp_ieee_inexact 0
		.amdhsa_exception_int_div_zero 0
	.end_amdhsa_kernel
	.section	.text._ZN7rocprim17ROCPRIM_400000_NS6detail17trampoline_kernelINS0_14default_configENS1_25partition_config_selectorILNS1_17partition_subalgoE3EN6thrust23THRUST_200600_302600_NS5tupleIiiNS7_9null_typeES9_S9_S9_S9_S9_S9_S9_EENS0_10empty_typeEbEEZZNS1_14partition_implILS5_3ELb0ES3_jNS7_6detail15normal_iteratorINS7_7pointerISA_NS7_11hip_rocprim3tagENS7_11use_defaultESJ_EEEEPSB_SM_NS0_5tupleIJPSA_SM_EEENSN_IJSM_SM_EEESB_PlJ10is_orderedEEE10hipError_tPvRmT3_T4_T5_T6_T7_T9_mT8_P12ihipStream_tbDpT10_ENKUlT_T0_E_clISt17integral_constantIbLb1EES1C_EEDaS17_S18_EUlS17_E_NS1_11comp_targetILNS1_3genE10ELNS1_11target_archE1200ELNS1_3gpuE4ELNS1_3repE0EEENS1_30default_config_static_selectorELNS0_4arch9wavefront6targetE1EEEvT1_,"axG",@progbits,_ZN7rocprim17ROCPRIM_400000_NS6detail17trampoline_kernelINS0_14default_configENS1_25partition_config_selectorILNS1_17partition_subalgoE3EN6thrust23THRUST_200600_302600_NS5tupleIiiNS7_9null_typeES9_S9_S9_S9_S9_S9_S9_EENS0_10empty_typeEbEEZZNS1_14partition_implILS5_3ELb0ES3_jNS7_6detail15normal_iteratorINS7_7pointerISA_NS7_11hip_rocprim3tagENS7_11use_defaultESJ_EEEEPSB_SM_NS0_5tupleIJPSA_SM_EEENSN_IJSM_SM_EEESB_PlJ10is_orderedEEE10hipError_tPvRmT3_T4_T5_T6_T7_T9_mT8_P12ihipStream_tbDpT10_ENKUlT_T0_E_clISt17integral_constantIbLb1EES1C_EEDaS17_S18_EUlS17_E_NS1_11comp_targetILNS1_3genE10ELNS1_11target_archE1200ELNS1_3gpuE4ELNS1_3repE0EEENS1_30default_config_static_selectorELNS0_4arch9wavefront6targetE1EEEvT1_,comdat
.Lfunc_end3505:
	.size	_ZN7rocprim17ROCPRIM_400000_NS6detail17trampoline_kernelINS0_14default_configENS1_25partition_config_selectorILNS1_17partition_subalgoE3EN6thrust23THRUST_200600_302600_NS5tupleIiiNS7_9null_typeES9_S9_S9_S9_S9_S9_S9_EENS0_10empty_typeEbEEZZNS1_14partition_implILS5_3ELb0ES3_jNS7_6detail15normal_iteratorINS7_7pointerISA_NS7_11hip_rocprim3tagENS7_11use_defaultESJ_EEEEPSB_SM_NS0_5tupleIJPSA_SM_EEENSN_IJSM_SM_EEESB_PlJ10is_orderedEEE10hipError_tPvRmT3_T4_T5_T6_T7_T9_mT8_P12ihipStream_tbDpT10_ENKUlT_T0_E_clISt17integral_constantIbLb1EES1C_EEDaS17_S18_EUlS17_E_NS1_11comp_targetILNS1_3genE10ELNS1_11target_archE1200ELNS1_3gpuE4ELNS1_3repE0EEENS1_30default_config_static_selectorELNS0_4arch9wavefront6targetE1EEEvT1_, .Lfunc_end3505-_ZN7rocprim17ROCPRIM_400000_NS6detail17trampoline_kernelINS0_14default_configENS1_25partition_config_selectorILNS1_17partition_subalgoE3EN6thrust23THRUST_200600_302600_NS5tupleIiiNS7_9null_typeES9_S9_S9_S9_S9_S9_S9_EENS0_10empty_typeEbEEZZNS1_14partition_implILS5_3ELb0ES3_jNS7_6detail15normal_iteratorINS7_7pointerISA_NS7_11hip_rocprim3tagENS7_11use_defaultESJ_EEEEPSB_SM_NS0_5tupleIJPSA_SM_EEENSN_IJSM_SM_EEESB_PlJ10is_orderedEEE10hipError_tPvRmT3_T4_T5_T6_T7_T9_mT8_P12ihipStream_tbDpT10_ENKUlT_T0_E_clISt17integral_constantIbLb1EES1C_EEDaS17_S18_EUlS17_E_NS1_11comp_targetILNS1_3genE10ELNS1_11target_archE1200ELNS1_3gpuE4ELNS1_3repE0EEENS1_30default_config_static_selectorELNS0_4arch9wavefront6targetE1EEEvT1_
                                        ; -- End function
	.section	.AMDGPU.csdata,"",@progbits
; Kernel info:
; codeLenInByte = 0
; NumSgprs: 4
; NumVgprs: 0
; NumAgprs: 0
; TotalNumVgprs: 0
; ScratchSize: 0
; MemoryBound: 0
; FloatMode: 240
; IeeeMode: 1
; LDSByteSize: 0 bytes/workgroup (compile time only)
; SGPRBlocks: 0
; VGPRBlocks: 0
; NumSGPRsForWavesPerEU: 4
; NumVGPRsForWavesPerEU: 1
; AccumOffset: 4
; Occupancy: 8
; WaveLimiterHint : 0
; COMPUTE_PGM_RSRC2:SCRATCH_EN: 0
; COMPUTE_PGM_RSRC2:USER_SGPR: 6
; COMPUTE_PGM_RSRC2:TRAP_HANDLER: 0
; COMPUTE_PGM_RSRC2:TGID_X_EN: 1
; COMPUTE_PGM_RSRC2:TGID_Y_EN: 0
; COMPUTE_PGM_RSRC2:TGID_Z_EN: 0
; COMPUTE_PGM_RSRC2:TIDIG_COMP_CNT: 0
; COMPUTE_PGM_RSRC3_GFX90A:ACCUM_OFFSET: 0
; COMPUTE_PGM_RSRC3_GFX90A:TG_SPLIT: 0
	.section	.text._ZN7rocprim17ROCPRIM_400000_NS6detail17trampoline_kernelINS0_14default_configENS1_25partition_config_selectorILNS1_17partition_subalgoE3EN6thrust23THRUST_200600_302600_NS5tupleIiiNS7_9null_typeES9_S9_S9_S9_S9_S9_S9_EENS0_10empty_typeEbEEZZNS1_14partition_implILS5_3ELb0ES3_jNS7_6detail15normal_iteratorINS7_7pointerISA_NS7_11hip_rocprim3tagENS7_11use_defaultESJ_EEEEPSB_SM_NS0_5tupleIJPSA_SM_EEENSN_IJSM_SM_EEESB_PlJ10is_orderedEEE10hipError_tPvRmT3_T4_T5_T6_T7_T9_mT8_P12ihipStream_tbDpT10_ENKUlT_T0_E_clISt17integral_constantIbLb1EES1C_EEDaS17_S18_EUlS17_E_NS1_11comp_targetILNS1_3genE9ELNS1_11target_archE1100ELNS1_3gpuE3ELNS1_3repE0EEENS1_30default_config_static_selectorELNS0_4arch9wavefront6targetE1EEEvT1_,"axG",@progbits,_ZN7rocprim17ROCPRIM_400000_NS6detail17trampoline_kernelINS0_14default_configENS1_25partition_config_selectorILNS1_17partition_subalgoE3EN6thrust23THRUST_200600_302600_NS5tupleIiiNS7_9null_typeES9_S9_S9_S9_S9_S9_S9_EENS0_10empty_typeEbEEZZNS1_14partition_implILS5_3ELb0ES3_jNS7_6detail15normal_iteratorINS7_7pointerISA_NS7_11hip_rocprim3tagENS7_11use_defaultESJ_EEEEPSB_SM_NS0_5tupleIJPSA_SM_EEENSN_IJSM_SM_EEESB_PlJ10is_orderedEEE10hipError_tPvRmT3_T4_T5_T6_T7_T9_mT8_P12ihipStream_tbDpT10_ENKUlT_T0_E_clISt17integral_constantIbLb1EES1C_EEDaS17_S18_EUlS17_E_NS1_11comp_targetILNS1_3genE9ELNS1_11target_archE1100ELNS1_3gpuE3ELNS1_3repE0EEENS1_30default_config_static_selectorELNS0_4arch9wavefront6targetE1EEEvT1_,comdat
	.protected	_ZN7rocprim17ROCPRIM_400000_NS6detail17trampoline_kernelINS0_14default_configENS1_25partition_config_selectorILNS1_17partition_subalgoE3EN6thrust23THRUST_200600_302600_NS5tupleIiiNS7_9null_typeES9_S9_S9_S9_S9_S9_S9_EENS0_10empty_typeEbEEZZNS1_14partition_implILS5_3ELb0ES3_jNS7_6detail15normal_iteratorINS7_7pointerISA_NS7_11hip_rocprim3tagENS7_11use_defaultESJ_EEEEPSB_SM_NS0_5tupleIJPSA_SM_EEENSN_IJSM_SM_EEESB_PlJ10is_orderedEEE10hipError_tPvRmT3_T4_T5_T6_T7_T9_mT8_P12ihipStream_tbDpT10_ENKUlT_T0_E_clISt17integral_constantIbLb1EES1C_EEDaS17_S18_EUlS17_E_NS1_11comp_targetILNS1_3genE9ELNS1_11target_archE1100ELNS1_3gpuE3ELNS1_3repE0EEENS1_30default_config_static_selectorELNS0_4arch9wavefront6targetE1EEEvT1_ ; -- Begin function _ZN7rocprim17ROCPRIM_400000_NS6detail17trampoline_kernelINS0_14default_configENS1_25partition_config_selectorILNS1_17partition_subalgoE3EN6thrust23THRUST_200600_302600_NS5tupleIiiNS7_9null_typeES9_S9_S9_S9_S9_S9_S9_EENS0_10empty_typeEbEEZZNS1_14partition_implILS5_3ELb0ES3_jNS7_6detail15normal_iteratorINS7_7pointerISA_NS7_11hip_rocprim3tagENS7_11use_defaultESJ_EEEEPSB_SM_NS0_5tupleIJPSA_SM_EEENSN_IJSM_SM_EEESB_PlJ10is_orderedEEE10hipError_tPvRmT3_T4_T5_T6_T7_T9_mT8_P12ihipStream_tbDpT10_ENKUlT_T0_E_clISt17integral_constantIbLb1EES1C_EEDaS17_S18_EUlS17_E_NS1_11comp_targetILNS1_3genE9ELNS1_11target_archE1100ELNS1_3gpuE3ELNS1_3repE0EEENS1_30default_config_static_selectorELNS0_4arch9wavefront6targetE1EEEvT1_
	.globl	_ZN7rocprim17ROCPRIM_400000_NS6detail17trampoline_kernelINS0_14default_configENS1_25partition_config_selectorILNS1_17partition_subalgoE3EN6thrust23THRUST_200600_302600_NS5tupleIiiNS7_9null_typeES9_S9_S9_S9_S9_S9_S9_EENS0_10empty_typeEbEEZZNS1_14partition_implILS5_3ELb0ES3_jNS7_6detail15normal_iteratorINS7_7pointerISA_NS7_11hip_rocprim3tagENS7_11use_defaultESJ_EEEEPSB_SM_NS0_5tupleIJPSA_SM_EEENSN_IJSM_SM_EEESB_PlJ10is_orderedEEE10hipError_tPvRmT3_T4_T5_T6_T7_T9_mT8_P12ihipStream_tbDpT10_ENKUlT_T0_E_clISt17integral_constantIbLb1EES1C_EEDaS17_S18_EUlS17_E_NS1_11comp_targetILNS1_3genE9ELNS1_11target_archE1100ELNS1_3gpuE3ELNS1_3repE0EEENS1_30default_config_static_selectorELNS0_4arch9wavefront6targetE1EEEvT1_
	.p2align	8
	.type	_ZN7rocprim17ROCPRIM_400000_NS6detail17trampoline_kernelINS0_14default_configENS1_25partition_config_selectorILNS1_17partition_subalgoE3EN6thrust23THRUST_200600_302600_NS5tupleIiiNS7_9null_typeES9_S9_S9_S9_S9_S9_S9_EENS0_10empty_typeEbEEZZNS1_14partition_implILS5_3ELb0ES3_jNS7_6detail15normal_iteratorINS7_7pointerISA_NS7_11hip_rocprim3tagENS7_11use_defaultESJ_EEEEPSB_SM_NS0_5tupleIJPSA_SM_EEENSN_IJSM_SM_EEESB_PlJ10is_orderedEEE10hipError_tPvRmT3_T4_T5_T6_T7_T9_mT8_P12ihipStream_tbDpT10_ENKUlT_T0_E_clISt17integral_constantIbLb1EES1C_EEDaS17_S18_EUlS17_E_NS1_11comp_targetILNS1_3genE9ELNS1_11target_archE1100ELNS1_3gpuE3ELNS1_3repE0EEENS1_30default_config_static_selectorELNS0_4arch9wavefront6targetE1EEEvT1_,@function
_ZN7rocprim17ROCPRIM_400000_NS6detail17trampoline_kernelINS0_14default_configENS1_25partition_config_selectorILNS1_17partition_subalgoE3EN6thrust23THRUST_200600_302600_NS5tupleIiiNS7_9null_typeES9_S9_S9_S9_S9_S9_S9_EENS0_10empty_typeEbEEZZNS1_14partition_implILS5_3ELb0ES3_jNS7_6detail15normal_iteratorINS7_7pointerISA_NS7_11hip_rocprim3tagENS7_11use_defaultESJ_EEEEPSB_SM_NS0_5tupleIJPSA_SM_EEENSN_IJSM_SM_EEESB_PlJ10is_orderedEEE10hipError_tPvRmT3_T4_T5_T6_T7_T9_mT8_P12ihipStream_tbDpT10_ENKUlT_T0_E_clISt17integral_constantIbLb1EES1C_EEDaS17_S18_EUlS17_E_NS1_11comp_targetILNS1_3genE9ELNS1_11target_archE1100ELNS1_3gpuE3ELNS1_3repE0EEENS1_30default_config_static_selectorELNS0_4arch9wavefront6targetE1EEEvT1_: ; @_ZN7rocprim17ROCPRIM_400000_NS6detail17trampoline_kernelINS0_14default_configENS1_25partition_config_selectorILNS1_17partition_subalgoE3EN6thrust23THRUST_200600_302600_NS5tupleIiiNS7_9null_typeES9_S9_S9_S9_S9_S9_S9_EENS0_10empty_typeEbEEZZNS1_14partition_implILS5_3ELb0ES3_jNS7_6detail15normal_iteratorINS7_7pointerISA_NS7_11hip_rocprim3tagENS7_11use_defaultESJ_EEEEPSB_SM_NS0_5tupleIJPSA_SM_EEENSN_IJSM_SM_EEESB_PlJ10is_orderedEEE10hipError_tPvRmT3_T4_T5_T6_T7_T9_mT8_P12ihipStream_tbDpT10_ENKUlT_T0_E_clISt17integral_constantIbLb1EES1C_EEDaS17_S18_EUlS17_E_NS1_11comp_targetILNS1_3genE9ELNS1_11target_archE1100ELNS1_3gpuE3ELNS1_3repE0EEENS1_30default_config_static_selectorELNS0_4arch9wavefront6targetE1EEEvT1_
; %bb.0:
	.section	.rodata,"a",@progbits
	.p2align	6, 0x0
	.amdhsa_kernel _ZN7rocprim17ROCPRIM_400000_NS6detail17trampoline_kernelINS0_14default_configENS1_25partition_config_selectorILNS1_17partition_subalgoE3EN6thrust23THRUST_200600_302600_NS5tupleIiiNS7_9null_typeES9_S9_S9_S9_S9_S9_S9_EENS0_10empty_typeEbEEZZNS1_14partition_implILS5_3ELb0ES3_jNS7_6detail15normal_iteratorINS7_7pointerISA_NS7_11hip_rocprim3tagENS7_11use_defaultESJ_EEEEPSB_SM_NS0_5tupleIJPSA_SM_EEENSN_IJSM_SM_EEESB_PlJ10is_orderedEEE10hipError_tPvRmT3_T4_T5_T6_T7_T9_mT8_P12ihipStream_tbDpT10_ENKUlT_T0_E_clISt17integral_constantIbLb1EES1C_EEDaS17_S18_EUlS17_E_NS1_11comp_targetILNS1_3genE9ELNS1_11target_archE1100ELNS1_3gpuE3ELNS1_3repE0EEENS1_30default_config_static_selectorELNS0_4arch9wavefront6targetE1EEEvT1_
		.amdhsa_group_segment_fixed_size 0
		.amdhsa_private_segment_fixed_size 0
		.amdhsa_kernarg_size 136
		.amdhsa_user_sgpr_count 6
		.amdhsa_user_sgpr_private_segment_buffer 1
		.amdhsa_user_sgpr_dispatch_ptr 0
		.amdhsa_user_sgpr_queue_ptr 0
		.amdhsa_user_sgpr_kernarg_segment_ptr 1
		.amdhsa_user_sgpr_dispatch_id 0
		.amdhsa_user_sgpr_flat_scratch_init 0
		.amdhsa_user_sgpr_kernarg_preload_length 0
		.amdhsa_user_sgpr_kernarg_preload_offset 0
		.amdhsa_user_sgpr_private_segment_size 0
		.amdhsa_uses_dynamic_stack 0
		.amdhsa_system_sgpr_private_segment_wavefront_offset 0
		.amdhsa_system_sgpr_workgroup_id_x 1
		.amdhsa_system_sgpr_workgroup_id_y 0
		.amdhsa_system_sgpr_workgroup_id_z 0
		.amdhsa_system_sgpr_workgroup_info 0
		.amdhsa_system_vgpr_workitem_id 0
		.amdhsa_next_free_vgpr 1
		.amdhsa_next_free_sgpr 0
		.amdhsa_accum_offset 4
		.amdhsa_reserve_vcc 0
		.amdhsa_reserve_flat_scratch 0
		.amdhsa_float_round_mode_32 0
		.amdhsa_float_round_mode_16_64 0
		.amdhsa_float_denorm_mode_32 3
		.amdhsa_float_denorm_mode_16_64 3
		.amdhsa_dx10_clamp 1
		.amdhsa_ieee_mode 1
		.amdhsa_fp16_overflow 0
		.amdhsa_tg_split 0
		.amdhsa_exception_fp_ieee_invalid_op 0
		.amdhsa_exception_fp_denorm_src 0
		.amdhsa_exception_fp_ieee_div_zero 0
		.amdhsa_exception_fp_ieee_overflow 0
		.amdhsa_exception_fp_ieee_underflow 0
		.amdhsa_exception_fp_ieee_inexact 0
		.amdhsa_exception_int_div_zero 0
	.end_amdhsa_kernel
	.section	.text._ZN7rocprim17ROCPRIM_400000_NS6detail17trampoline_kernelINS0_14default_configENS1_25partition_config_selectorILNS1_17partition_subalgoE3EN6thrust23THRUST_200600_302600_NS5tupleIiiNS7_9null_typeES9_S9_S9_S9_S9_S9_S9_EENS0_10empty_typeEbEEZZNS1_14partition_implILS5_3ELb0ES3_jNS7_6detail15normal_iteratorINS7_7pointerISA_NS7_11hip_rocprim3tagENS7_11use_defaultESJ_EEEEPSB_SM_NS0_5tupleIJPSA_SM_EEENSN_IJSM_SM_EEESB_PlJ10is_orderedEEE10hipError_tPvRmT3_T4_T5_T6_T7_T9_mT8_P12ihipStream_tbDpT10_ENKUlT_T0_E_clISt17integral_constantIbLb1EES1C_EEDaS17_S18_EUlS17_E_NS1_11comp_targetILNS1_3genE9ELNS1_11target_archE1100ELNS1_3gpuE3ELNS1_3repE0EEENS1_30default_config_static_selectorELNS0_4arch9wavefront6targetE1EEEvT1_,"axG",@progbits,_ZN7rocprim17ROCPRIM_400000_NS6detail17trampoline_kernelINS0_14default_configENS1_25partition_config_selectorILNS1_17partition_subalgoE3EN6thrust23THRUST_200600_302600_NS5tupleIiiNS7_9null_typeES9_S9_S9_S9_S9_S9_S9_EENS0_10empty_typeEbEEZZNS1_14partition_implILS5_3ELb0ES3_jNS7_6detail15normal_iteratorINS7_7pointerISA_NS7_11hip_rocprim3tagENS7_11use_defaultESJ_EEEEPSB_SM_NS0_5tupleIJPSA_SM_EEENSN_IJSM_SM_EEESB_PlJ10is_orderedEEE10hipError_tPvRmT3_T4_T5_T6_T7_T9_mT8_P12ihipStream_tbDpT10_ENKUlT_T0_E_clISt17integral_constantIbLb1EES1C_EEDaS17_S18_EUlS17_E_NS1_11comp_targetILNS1_3genE9ELNS1_11target_archE1100ELNS1_3gpuE3ELNS1_3repE0EEENS1_30default_config_static_selectorELNS0_4arch9wavefront6targetE1EEEvT1_,comdat
.Lfunc_end3506:
	.size	_ZN7rocprim17ROCPRIM_400000_NS6detail17trampoline_kernelINS0_14default_configENS1_25partition_config_selectorILNS1_17partition_subalgoE3EN6thrust23THRUST_200600_302600_NS5tupleIiiNS7_9null_typeES9_S9_S9_S9_S9_S9_S9_EENS0_10empty_typeEbEEZZNS1_14partition_implILS5_3ELb0ES3_jNS7_6detail15normal_iteratorINS7_7pointerISA_NS7_11hip_rocprim3tagENS7_11use_defaultESJ_EEEEPSB_SM_NS0_5tupleIJPSA_SM_EEENSN_IJSM_SM_EEESB_PlJ10is_orderedEEE10hipError_tPvRmT3_T4_T5_T6_T7_T9_mT8_P12ihipStream_tbDpT10_ENKUlT_T0_E_clISt17integral_constantIbLb1EES1C_EEDaS17_S18_EUlS17_E_NS1_11comp_targetILNS1_3genE9ELNS1_11target_archE1100ELNS1_3gpuE3ELNS1_3repE0EEENS1_30default_config_static_selectorELNS0_4arch9wavefront6targetE1EEEvT1_, .Lfunc_end3506-_ZN7rocprim17ROCPRIM_400000_NS6detail17trampoline_kernelINS0_14default_configENS1_25partition_config_selectorILNS1_17partition_subalgoE3EN6thrust23THRUST_200600_302600_NS5tupleIiiNS7_9null_typeES9_S9_S9_S9_S9_S9_S9_EENS0_10empty_typeEbEEZZNS1_14partition_implILS5_3ELb0ES3_jNS7_6detail15normal_iteratorINS7_7pointerISA_NS7_11hip_rocprim3tagENS7_11use_defaultESJ_EEEEPSB_SM_NS0_5tupleIJPSA_SM_EEENSN_IJSM_SM_EEESB_PlJ10is_orderedEEE10hipError_tPvRmT3_T4_T5_T6_T7_T9_mT8_P12ihipStream_tbDpT10_ENKUlT_T0_E_clISt17integral_constantIbLb1EES1C_EEDaS17_S18_EUlS17_E_NS1_11comp_targetILNS1_3genE9ELNS1_11target_archE1100ELNS1_3gpuE3ELNS1_3repE0EEENS1_30default_config_static_selectorELNS0_4arch9wavefront6targetE1EEEvT1_
                                        ; -- End function
	.section	.AMDGPU.csdata,"",@progbits
; Kernel info:
; codeLenInByte = 0
; NumSgprs: 4
; NumVgprs: 0
; NumAgprs: 0
; TotalNumVgprs: 0
; ScratchSize: 0
; MemoryBound: 0
; FloatMode: 240
; IeeeMode: 1
; LDSByteSize: 0 bytes/workgroup (compile time only)
; SGPRBlocks: 0
; VGPRBlocks: 0
; NumSGPRsForWavesPerEU: 4
; NumVGPRsForWavesPerEU: 1
; AccumOffset: 4
; Occupancy: 8
; WaveLimiterHint : 0
; COMPUTE_PGM_RSRC2:SCRATCH_EN: 0
; COMPUTE_PGM_RSRC2:USER_SGPR: 6
; COMPUTE_PGM_RSRC2:TRAP_HANDLER: 0
; COMPUTE_PGM_RSRC2:TGID_X_EN: 1
; COMPUTE_PGM_RSRC2:TGID_Y_EN: 0
; COMPUTE_PGM_RSRC2:TGID_Z_EN: 0
; COMPUTE_PGM_RSRC2:TIDIG_COMP_CNT: 0
; COMPUTE_PGM_RSRC3_GFX90A:ACCUM_OFFSET: 0
; COMPUTE_PGM_RSRC3_GFX90A:TG_SPLIT: 0
	.section	.text._ZN7rocprim17ROCPRIM_400000_NS6detail17trampoline_kernelINS0_14default_configENS1_25partition_config_selectorILNS1_17partition_subalgoE3EN6thrust23THRUST_200600_302600_NS5tupleIiiNS7_9null_typeES9_S9_S9_S9_S9_S9_S9_EENS0_10empty_typeEbEEZZNS1_14partition_implILS5_3ELb0ES3_jNS7_6detail15normal_iteratorINS7_7pointerISA_NS7_11hip_rocprim3tagENS7_11use_defaultESJ_EEEEPSB_SM_NS0_5tupleIJPSA_SM_EEENSN_IJSM_SM_EEESB_PlJ10is_orderedEEE10hipError_tPvRmT3_T4_T5_T6_T7_T9_mT8_P12ihipStream_tbDpT10_ENKUlT_T0_E_clISt17integral_constantIbLb1EES1C_EEDaS17_S18_EUlS17_E_NS1_11comp_targetILNS1_3genE8ELNS1_11target_archE1030ELNS1_3gpuE2ELNS1_3repE0EEENS1_30default_config_static_selectorELNS0_4arch9wavefront6targetE1EEEvT1_,"axG",@progbits,_ZN7rocprim17ROCPRIM_400000_NS6detail17trampoline_kernelINS0_14default_configENS1_25partition_config_selectorILNS1_17partition_subalgoE3EN6thrust23THRUST_200600_302600_NS5tupleIiiNS7_9null_typeES9_S9_S9_S9_S9_S9_S9_EENS0_10empty_typeEbEEZZNS1_14partition_implILS5_3ELb0ES3_jNS7_6detail15normal_iteratorINS7_7pointerISA_NS7_11hip_rocprim3tagENS7_11use_defaultESJ_EEEEPSB_SM_NS0_5tupleIJPSA_SM_EEENSN_IJSM_SM_EEESB_PlJ10is_orderedEEE10hipError_tPvRmT3_T4_T5_T6_T7_T9_mT8_P12ihipStream_tbDpT10_ENKUlT_T0_E_clISt17integral_constantIbLb1EES1C_EEDaS17_S18_EUlS17_E_NS1_11comp_targetILNS1_3genE8ELNS1_11target_archE1030ELNS1_3gpuE2ELNS1_3repE0EEENS1_30default_config_static_selectorELNS0_4arch9wavefront6targetE1EEEvT1_,comdat
	.protected	_ZN7rocprim17ROCPRIM_400000_NS6detail17trampoline_kernelINS0_14default_configENS1_25partition_config_selectorILNS1_17partition_subalgoE3EN6thrust23THRUST_200600_302600_NS5tupleIiiNS7_9null_typeES9_S9_S9_S9_S9_S9_S9_EENS0_10empty_typeEbEEZZNS1_14partition_implILS5_3ELb0ES3_jNS7_6detail15normal_iteratorINS7_7pointerISA_NS7_11hip_rocprim3tagENS7_11use_defaultESJ_EEEEPSB_SM_NS0_5tupleIJPSA_SM_EEENSN_IJSM_SM_EEESB_PlJ10is_orderedEEE10hipError_tPvRmT3_T4_T5_T6_T7_T9_mT8_P12ihipStream_tbDpT10_ENKUlT_T0_E_clISt17integral_constantIbLb1EES1C_EEDaS17_S18_EUlS17_E_NS1_11comp_targetILNS1_3genE8ELNS1_11target_archE1030ELNS1_3gpuE2ELNS1_3repE0EEENS1_30default_config_static_selectorELNS0_4arch9wavefront6targetE1EEEvT1_ ; -- Begin function _ZN7rocprim17ROCPRIM_400000_NS6detail17trampoline_kernelINS0_14default_configENS1_25partition_config_selectorILNS1_17partition_subalgoE3EN6thrust23THRUST_200600_302600_NS5tupleIiiNS7_9null_typeES9_S9_S9_S9_S9_S9_S9_EENS0_10empty_typeEbEEZZNS1_14partition_implILS5_3ELb0ES3_jNS7_6detail15normal_iteratorINS7_7pointerISA_NS7_11hip_rocprim3tagENS7_11use_defaultESJ_EEEEPSB_SM_NS0_5tupleIJPSA_SM_EEENSN_IJSM_SM_EEESB_PlJ10is_orderedEEE10hipError_tPvRmT3_T4_T5_T6_T7_T9_mT8_P12ihipStream_tbDpT10_ENKUlT_T0_E_clISt17integral_constantIbLb1EES1C_EEDaS17_S18_EUlS17_E_NS1_11comp_targetILNS1_3genE8ELNS1_11target_archE1030ELNS1_3gpuE2ELNS1_3repE0EEENS1_30default_config_static_selectorELNS0_4arch9wavefront6targetE1EEEvT1_
	.globl	_ZN7rocprim17ROCPRIM_400000_NS6detail17trampoline_kernelINS0_14default_configENS1_25partition_config_selectorILNS1_17partition_subalgoE3EN6thrust23THRUST_200600_302600_NS5tupleIiiNS7_9null_typeES9_S9_S9_S9_S9_S9_S9_EENS0_10empty_typeEbEEZZNS1_14partition_implILS5_3ELb0ES3_jNS7_6detail15normal_iteratorINS7_7pointerISA_NS7_11hip_rocprim3tagENS7_11use_defaultESJ_EEEEPSB_SM_NS0_5tupleIJPSA_SM_EEENSN_IJSM_SM_EEESB_PlJ10is_orderedEEE10hipError_tPvRmT3_T4_T5_T6_T7_T9_mT8_P12ihipStream_tbDpT10_ENKUlT_T0_E_clISt17integral_constantIbLb1EES1C_EEDaS17_S18_EUlS17_E_NS1_11comp_targetILNS1_3genE8ELNS1_11target_archE1030ELNS1_3gpuE2ELNS1_3repE0EEENS1_30default_config_static_selectorELNS0_4arch9wavefront6targetE1EEEvT1_
	.p2align	8
	.type	_ZN7rocprim17ROCPRIM_400000_NS6detail17trampoline_kernelINS0_14default_configENS1_25partition_config_selectorILNS1_17partition_subalgoE3EN6thrust23THRUST_200600_302600_NS5tupleIiiNS7_9null_typeES9_S9_S9_S9_S9_S9_S9_EENS0_10empty_typeEbEEZZNS1_14partition_implILS5_3ELb0ES3_jNS7_6detail15normal_iteratorINS7_7pointerISA_NS7_11hip_rocprim3tagENS7_11use_defaultESJ_EEEEPSB_SM_NS0_5tupleIJPSA_SM_EEENSN_IJSM_SM_EEESB_PlJ10is_orderedEEE10hipError_tPvRmT3_T4_T5_T6_T7_T9_mT8_P12ihipStream_tbDpT10_ENKUlT_T0_E_clISt17integral_constantIbLb1EES1C_EEDaS17_S18_EUlS17_E_NS1_11comp_targetILNS1_3genE8ELNS1_11target_archE1030ELNS1_3gpuE2ELNS1_3repE0EEENS1_30default_config_static_selectorELNS0_4arch9wavefront6targetE1EEEvT1_,@function
_ZN7rocprim17ROCPRIM_400000_NS6detail17trampoline_kernelINS0_14default_configENS1_25partition_config_selectorILNS1_17partition_subalgoE3EN6thrust23THRUST_200600_302600_NS5tupleIiiNS7_9null_typeES9_S9_S9_S9_S9_S9_S9_EENS0_10empty_typeEbEEZZNS1_14partition_implILS5_3ELb0ES3_jNS7_6detail15normal_iteratorINS7_7pointerISA_NS7_11hip_rocprim3tagENS7_11use_defaultESJ_EEEEPSB_SM_NS0_5tupleIJPSA_SM_EEENSN_IJSM_SM_EEESB_PlJ10is_orderedEEE10hipError_tPvRmT3_T4_T5_T6_T7_T9_mT8_P12ihipStream_tbDpT10_ENKUlT_T0_E_clISt17integral_constantIbLb1EES1C_EEDaS17_S18_EUlS17_E_NS1_11comp_targetILNS1_3genE8ELNS1_11target_archE1030ELNS1_3gpuE2ELNS1_3repE0EEENS1_30default_config_static_selectorELNS0_4arch9wavefront6targetE1EEEvT1_: ; @_ZN7rocprim17ROCPRIM_400000_NS6detail17trampoline_kernelINS0_14default_configENS1_25partition_config_selectorILNS1_17partition_subalgoE3EN6thrust23THRUST_200600_302600_NS5tupleIiiNS7_9null_typeES9_S9_S9_S9_S9_S9_S9_EENS0_10empty_typeEbEEZZNS1_14partition_implILS5_3ELb0ES3_jNS7_6detail15normal_iteratorINS7_7pointerISA_NS7_11hip_rocprim3tagENS7_11use_defaultESJ_EEEEPSB_SM_NS0_5tupleIJPSA_SM_EEENSN_IJSM_SM_EEESB_PlJ10is_orderedEEE10hipError_tPvRmT3_T4_T5_T6_T7_T9_mT8_P12ihipStream_tbDpT10_ENKUlT_T0_E_clISt17integral_constantIbLb1EES1C_EEDaS17_S18_EUlS17_E_NS1_11comp_targetILNS1_3genE8ELNS1_11target_archE1030ELNS1_3gpuE2ELNS1_3repE0EEENS1_30default_config_static_selectorELNS0_4arch9wavefront6targetE1EEEvT1_
; %bb.0:
	.section	.rodata,"a",@progbits
	.p2align	6, 0x0
	.amdhsa_kernel _ZN7rocprim17ROCPRIM_400000_NS6detail17trampoline_kernelINS0_14default_configENS1_25partition_config_selectorILNS1_17partition_subalgoE3EN6thrust23THRUST_200600_302600_NS5tupleIiiNS7_9null_typeES9_S9_S9_S9_S9_S9_S9_EENS0_10empty_typeEbEEZZNS1_14partition_implILS5_3ELb0ES3_jNS7_6detail15normal_iteratorINS7_7pointerISA_NS7_11hip_rocprim3tagENS7_11use_defaultESJ_EEEEPSB_SM_NS0_5tupleIJPSA_SM_EEENSN_IJSM_SM_EEESB_PlJ10is_orderedEEE10hipError_tPvRmT3_T4_T5_T6_T7_T9_mT8_P12ihipStream_tbDpT10_ENKUlT_T0_E_clISt17integral_constantIbLb1EES1C_EEDaS17_S18_EUlS17_E_NS1_11comp_targetILNS1_3genE8ELNS1_11target_archE1030ELNS1_3gpuE2ELNS1_3repE0EEENS1_30default_config_static_selectorELNS0_4arch9wavefront6targetE1EEEvT1_
		.amdhsa_group_segment_fixed_size 0
		.amdhsa_private_segment_fixed_size 0
		.amdhsa_kernarg_size 136
		.amdhsa_user_sgpr_count 6
		.amdhsa_user_sgpr_private_segment_buffer 1
		.amdhsa_user_sgpr_dispatch_ptr 0
		.amdhsa_user_sgpr_queue_ptr 0
		.amdhsa_user_sgpr_kernarg_segment_ptr 1
		.amdhsa_user_sgpr_dispatch_id 0
		.amdhsa_user_sgpr_flat_scratch_init 0
		.amdhsa_user_sgpr_kernarg_preload_length 0
		.amdhsa_user_sgpr_kernarg_preload_offset 0
		.amdhsa_user_sgpr_private_segment_size 0
		.amdhsa_uses_dynamic_stack 0
		.amdhsa_system_sgpr_private_segment_wavefront_offset 0
		.amdhsa_system_sgpr_workgroup_id_x 1
		.amdhsa_system_sgpr_workgroup_id_y 0
		.amdhsa_system_sgpr_workgroup_id_z 0
		.amdhsa_system_sgpr_workgroup_info 0
		.amdhsa_system_vgpr_workitem_id 0
		.amdhsa_next_free_vgpr 1
		.amdhsa_next_free_sgpr 0
		.amdhsa_accum_offset 4
		.amdhsa_reserve_vcc 0
		.amdhsa_reserve_flat_scratch 0
		.amdhsa_float_round_mode_32 0
		.amdhsa_float_round_mode_16_64 0
		.amdhsa_float_denorm_mode_32 3
		.amdhsa_float_denorm_mode_16_64 3
		.amdhsa_dx10_clamp 1
		.amdhsa_ieee_mode 1
		.amdhsa_fp16_overflow 0
		.amdhsa_tg_split 0
		.amdhsa_exception_fp_ieee_invalid_op 0
		.amdhsa_exception_fp_denorm_src 0
		.amdhsa_exception_fp_ieee_div_zero 0
		.amdhsa_exception_fp_ieee_overflow 0
		.amdhsa_exception_fp_ieee_underflow 0
		.amdhsa_exception_fp_ieee_inexact 0
		.amdhsa_exception_int_div_zero 0
	.end_amdhsa_kernel
	.section	.text._ZN7rocprim17ROCPRIM_400000_NS6detail17trampoline_kernelINS0_14default_configENS1_25partition_config_selectorILNS1_17partition_subalgoE3EN6thrust23THRUST_200600_302600_NS5tupleIiiNS7_9null_typeES9_S9_S9_S9_S9_S9_S9_EENS0_10empty_typeEbEEZZNS1_14partition_implILS5_3ELb0ES3_jNS7_6detail15normal_iteratorINS7_7pointerISA_NS7_11hip_rocprim3tagENS7_11use_defaultESJ_EEEEPSB_SM_NS0_5tupleIJPSA_SM_EEENSN_IJSM_SM_EEESB_PlJ10is_orderedEEE10hipError_tPvRmT3_T4_T5_T6_T7_T9_mT8_P12ihipStream_tbDpT10_ENKUlT_T0_E_clISt17integral_constantIbLb1EES1C_EEDaS17_S18_EUlS17_E_NS1_11comp_targetILNS1_3genE8ELNS1_11target_archE1030ELNS1_3gpuE2ELNS1_3repE0EEENS1_30default_config_static_selectorELNS0_4arch9wavefront6targetE1EEEvT1_,"axG",@progbits,_ZN7rocprim17ROCPRIM_400000_NS6detail17trampoline_kernelINS0_14default_configENS1_25partition_config_selectorILNS1_17partition_subalgoE3EN6thrust23THRUST_200600_302600_NS5tupleIiiNS7_9null_typeES9_S9_S9_S9_S9_S9_S9_EENS0_10empty_typeEbEEZZNS1_14partition_implILS5_3ELb0ES3_jNS7_6detail15normal_iteratorINS7_7pointerISA_NS7_11hip_rocprim3tagENS7_11use_defaultESJ_EEEEPSB_SM_NS0_5tupleIJPSA_SM_EEENSN_IJSM_SM_EEESB_PlJ10is_orderedEEE10hipError_tPvRmT3_T4_T5_T6_T7_T9_mT8_P12ihipStream_tbDpT10_ENKUlT_T0_E_clISt17integral_constantIbLb1EES1C_EEDaS17_S18_EUlS17_E_NS1_11comp_targetILNS1_3genE8ELNS1_11target_archE1030ELNS1_3gpuE2ELNS1_3repE0EEENS1_30default_config_static_selectorELNS0_4arch9wavefront6targetE1EEEvT1_,comdat
.Lfunc_end3507:
	.size	_ZN7rocprim17ROCPRIM_400000_NS6detail17trampoline_kernelINS0_14default_configENS1_25partition_config_selectorILNS1_17partition_subalgoE3EN6thrust23THRUST_200600_302600_NS5tupleIiiNS7_9null_typeES9_S9_S9_S9_S9_S9_S9_EENS0_10empty_typeEbEEZZNS1_14partition_implILS5_3ELb0ES3_jNS7_6detail15normal_iteratorINS7_7pointerISA_NS7_11hip_rocprim3tagENS7_11use_defaultESJ_EEEEPSB_SM_NS0_5tupleIJPSA_SM_EEENSN_IJSM_SM_EEESB_PlJ10is_orderedEEE10hipError_tPvRmT3_T4_T5_T6_T7_T9_mT8_P12ihipStream_tbDpT10_ENKUlT_T0_E_clISt17integral_constantIbLb1EES1C_EEDaS17_S18_EUlS17_E_NS1_11comp_targetILNS1_3genE8ELNS1_11target_archE1030ELNS1_3gpuE2ELNS1_3repE0EEENS1_30default_config_static_selectorELNS0_4arch9wavefront6targetE1EEEvT1_, .Lfunc_end3507-_ZN7rocprim17ROCPRIM_400000_NS6detail17trampoline_kernelINS0_14default_configENS1_25partition_config_selectorILNS1_17partition_subalgoE3EN6thrust23THRUST_200600_302600_NS5tupleIiiNS7_9null_typeES9_S9_S9_S9_S9_S9_S9_EENS0_10empty_typeEbEEZZNS1_14partition_implILS5_3ELb0ES3_jNS7_6detail15normal_iteratorINS7_7pointerISA_NS7_11hip_rocprim3tagENS7_11use_defaultESJ_EEEEPSB_SM_NS0_5tupleIJPSA_SM_EEENSN_IJSM_SM_EEESB_PlJ10is_orderedEEE10hipError_tPvRmT3_T4_T5_T6_T7_T9_mT8_P12ihipStream_tbDpT10_ENKUlT_T0_E_clISt17integral_constantIbLb1EES1C_EEDaS17_S18_EUlS17_E_NS1_11comp_targetILNS1_3genE8ELNS1_11target_archE1030ELNS1_3gpuE2ELNS1_3repE0EEENS1_30default_config_static_selectorELNS0_4arch9wavefront6targetE1EEEvT1_
                                        ; -- End function
	.section	.AMDGPU.csdata,"",@progbits
; Kernel info:
; codeLenInByte = 0
; NumSgprs: 4
; NumVgprs: 0
; NumAgprs: 0
; TotalNumVgprs: 0
; ScratchSize: 0
; MemoryBound: 0
; FloatMode: 240
; IeeeMode: 1
; LDSByteSize: 0 bytes/workgroup (compile time only)
; SGPRBlocks: 0
; VGPRBlocks: 0
; NumSGPRsForWavesPerEU: 4
; NumVGPRsForWavesPerEU: 1
; AccumOffset: 4
; Occupancy: 8
; WaveLimiterHint : 0
; COMPUTE_PGM_RSRC2:SCRATCH_EN: 0
; COMPUTE_PGM_RSRC2:USER_SGPR: 6
; COMPUTE_PGM_RSRC2:TRAP_HANDLER: 0
; COMPUTE_PGM_RSRC2:TGID_X_EN: 1
; COMPUTE_PGM_RSRC2:TGID_Y_EN: 0
; COMPUTE_PGM_RSRC2:TGID_Z_EN: 0
; COMPUTE_PGM_RSRC2:TIDIG_COMP_CNT: 0
; COMPUTE_PGM_RSRC3_GFX90A:ACCUM_OFFSET: 0
; COMPUTE_PGM_RSRC3_GFX90A:TG_SPLIT: 0
	.section	.text._ZN7rocprim17ROCPRIM_400000_NS6detail17trampoline_kernelINS0_14default_configENS1_25partition_config_selectorILNS1_17partition_subalgoE3EN6thrust23THRUST_200600_302600_NS5tupleIiiNS7_9null_typeES9_S9_S9_S9_S9_S9_S9_EENS0_10empty_typeEbEEZZNS1_14partition_implILS5_3ELb0ES3_jNS7_6detail15normal_iteratorINS7_7pointerISA_NS7_11hip_rocprim3tagENS7_11use_defaultESJ_EEEEPSB_SM_NS0_5tupleIJPSA_SM_EEENSN_IJSM_SM_EEESB_PlJ10is_orderedEEE10hipError_tPvRmT3_T4_T5_T6_T7_T9_mT8_P12ihipStream_tbDpT10_ENKUlT_T0_E_clISt17integral_constantIbLb1EES1B_IbLb0EEEEDaS17_S18_EUlS17_E_NS1_11comp_targetILNS1_3genE0ELNS1_11target_archE4294967295ELNS1_3gpuE0ELNS1_3repE0EEENS1_30default_config_static_selectorELNS0_4arch9wavefront6targetE1EEEvT1_,"axG",@progbits,_ZN7rocprim17ROCPRIM_400000_NS6detail17trampoline_kernelINS0_14default_configENS1_25partition_config_selectorILNS1_17partition_subalgoE3EN6thrust23THRUST_200600_302600_NS5tupleIiiNS7_9null_typeES9_S9_S9_S9_S9_S9_S9_EENS0_10empty_typeEbEEZZNS1_14partition_implILS5_3ELb0ES3_jNS7_6detail15normal_iteratorINS7_7pointerISA_NS7_11hip_rocprim3tagENS7_11use_defaultESJ_EEEEPSB_SM_NS0_5tupleIJPSA_SM_EEENSN_IJSM_SM_EEESB_PlJ10is_orderedEEE10hipError_tPvRmT3_T4_T5_T6_T7_T9_mT8_P12ihipStream_tbDpT10_ENKUlT_T0_E_clISt17integral_constantIbLb1EES1B_IbLb0EEEEDaS17_S18_EUlS17_E_NS1_11comp_targetILNS1_3genE0ELNS1_11target_archE4294967295ELNS1_3gpuE0ELNS1_3repE0EEENS1_30default_config_static_selectorELNS0_4arch9wavefront6targetE1EEEvT1_,comdat
	.protected	_ZN7rocprim17ROCPRIM_400000_NS6detail17trampoline_kernelINS0_14default_configENS1_25partition_config_selectorILNS1_17partition_subalgoE3EN6thrust23THRUST_200600_302600_NS5tupleIiiNS7_9null_typeES9_S9_S9_S9_S9_S9_S9_EENS0_10empty_typeEbEEZZNS1_14partition_implILS5_3ELb0ES3_jNS7_6detail15normal_iteratorINS7_7pointerISA_NS7_11hip_rocprim3tagENS7_11use_defaultESJ_EEEEPSB_SM_NS0_5tupleIJPSA_SM_EEENSN_IJSM_SM_EEESB_PlJ10is_orderedEEE10hipError_tPvRmT3_T4_T5_T6_T7_T9_mT8_P12ihipStream_tbDpT10_ENKUlT_T0_E_clISt17integral_constantIbLb1EES1B_IbLb0EEEEDaS17_S18_EUlS17_E_NS1_11comp_targetILNS1_3genE0ELNS1_11target_archE4294967295ELNS1_3gpuE0ELNS1_3repE0EEENS1_30default_config_static_selectorELNS0_4arch9wavefront6targetE1EEEvT1_ ; -- Begin function _ZN7rocprim17ROCPRIM_400000_NS6detail17trampoline_kernelINS0_14default_configENS1_25partition_config_selectorILNS1_17partition_subalgoE3EN6thrust23THRUST_200600_302600_NS5tupleIiiNS7_9null_typeES9_S9_S9_S9_S9_S9_S9_EENS0_10empty_typeEbEEZZNS1_14partition_implILS5_3ELb0ES3_jNS7_6detail15normal_iteratorINS7_7pointerISA_NS7_11hip_rocprim3tagENS7_11use_defaultESJ_EEEEPSB_SM_NS0_5tupleIJPSA_SM_EEENSN_IJSM_SM_EEESB_PlJ10is_orderedEEE10hipError_tPvRmT3_T4_T5_T6_T7_T9_mT8_P12ihipStream_tbDpT10_ENKUlT_T0_E_clISt17integral_constantIbLb1EES1B_IbLb0EEEEDaS17_S18_EUlS17_E_NS1_11comp_targetILNS1_3genE0ELNS1_11target_archE4294967295ELNS1_3gpuE0ELNS1_3repE0EEENS1_30default_config_static_selectorELNS0_4arch9wavefront6targetE1EEEvT1_
	.globl	_ZN7rocprim17ROCPRIM_400000_NS6detail17trampoline_kernelINS0_14default_configENS1_25partition_config_selectorILNS1_17partition_subalgoE3EN6thrust23THRUST_200600_302600_NS5tupleIiiNS7_9null_typeES9_S9_S9_S9_S9_S9_S9_EENS0_10empty_typeEbEEZZNS1_14partition_implILS5_3ELb0ES3_jNS7_6detail15normal_iteratorINS7_7pointerISA_NS7_11hip_rocprim3tagENS7_11use_defaultESJ_EEEEPSB_SM_NS0_5tupleIJPSA_SM_EEENSN_IJSM_SM_EEESB_PlJ10is_orderedEEE10hipError_tPvRmT3_T4_T5_T6_T7_T9_mT8_P12ihipStream_tbDpT10_ENKUlT_T0_E_clISt17integral_constantIbLb1EES1B_IbLb0EEEEDaS17_S18_EUlS17_E_NS1_11comp_targetILNS1_3genE0ELNS1_11target_archE4294967295ELNS1_3gpuE0ELNS1_3repE0EEENS1_30default_config_static_selectorELNS0_4arch9wavefront6targetE1EEEvT1_
	.p2align	8
	.type	_ZN7rocprim17ROCPRIM_400000_NS6detail17trampoline_kernelINS0_14default_configENS1_25partition_config_selectorILNS1_17partition_subalgoE3EN6thrust23THRUST_200600_302600_NS5tupleIiiNS7_9null_typeES9_S9_S9_S9_S9_S9_S9_EENS0_10empty_typeEbEEZZNS1_14partition_implILS5_3ELb0ES3_jNS7_6detail15normal_iteratorINS7_7pointerISA_NS7_11hip_rocprim3tagENS7_11use_defaultESJ_EEEEPSB_SM_NS0_5tupleIJPSA_SM_EEENSN_IJSM_SM_EEESB_PlJ10is_orderedEEE10hipError_tPvRmT3_T4_T5_T6_T7_T9_mT8_P12ihipStream_tbDpT10_ENKUlT_T0_E_clISt17integral_constantIbLb1EES1B_IbLb0EEEEDaS17_S18_EUlS17_E_NS1_11comp_targetILNS1_3genE0ELNS1_11target_archE4294967295ELNS1_3gpuE0ELNS1_3repE0EEENS1_30default_config_static_selectorELNS0_4arch9wavefront6targetE1EEEvT1_,@function
_ZN7rocprim17ROCPRIM_400000_NS6detail17trampoline_kernelINS0_14default_configENS1_25partition_config_selectorILNS1_17partition_subalgoE3EN6thrust23THRUST_200600_302600_NS5tupleIiiNS7_9null_typeES9_S9_S9_S9_S9_S9_S9_EENS0_10empty_typeEbEEZZNS1_14partition_implILS5_3ELb0ES3_jNS7_6detail15normal_iteratorINS7_7pointerISA_NS7_11hip_rocprim3tagENS7_11use_defaultESJ_EEEEPSB_SM_NS0_5tupleIJPSA_SM_EEENSN_IJSM_SM_EEESB_PlJ10is_orderedEEE10hipError_tPvRmT3_T4_T5_T6_T7_T9_mT8_P12ihipStream_tbDpT10_ENKUlT_T0_E_clISt17integral_constantIbLb1EES1B_IbLb0EEEEDaS17_S18_EUlS17_E_NS1_11comp_targetILNS1_3genE0ELNS1_11target_archE4294967295ELNS1_3gpuE0ELNS1_3repE0EEENS1_30default_config_static_selectorELNS0_4arch9wavefront6targetE1EEEvT1_: ; @_ZN7rocprim17ROCPRIM_400000_NS6detail17trampoline_kernelINS0_14default_configENS1_25partition_config_selectorILNS1_17partition_subalgoE3EN6thrust23THRUST_200600_302600_NS5tupleIiiNS7_9null_typeES9_S9_S9_S9_S9_S9_S9_EENS0_10empty_typeEbEEZZNS1_14partition_implILS5_3ELb0ES3_jNS7_6detail15normal_iteratorINS7_7pointerISA_NS7_11hip_rocprim3tagENS7_11use_defaultESJ_EEEEPSB_SM_NS0_5tupleIJPSA_SM_EEENSN_IJSM_SM_EEESB_PlJ10is_orderedEEE10hipError_tPvRmT3_T4_T5_T6_T7_T9_mT8_P12ihipStream_tbDpT10_ENKUlT_T0_E_clISt17integral_constantIbLb1EES1B_IbLb0EEEEDaS17_S18_EUlS17_E_NS1_11comp_targetILNS1_3genE0ELNS1_11target_archE4294967295ELNS1_3gpuE0ELNS1_3repE0EEENS1_30default_config_static_selectorELNS0_4arch9wavefront6targetE1EEEvT1_
; %bb.0:
	.section	.rodata,"a",@progbits
	.p2align	6, 0x0
	.amdhsa_kernel _ZN7rocprim17ROCPRIM_400000_NS6detail17trampoline_kernelINS0_14default_configENS1_25partition_config_selectorILNS1_17partition_subalgoE3EN6thrust23THRUST_200600_302600_NS5tupleIiiNS7_9null_typeES9_S9_S9_S9_S9_S9_S9_EENS0_10empty_typeEbEEZZNS1_14partition_implILS5_3ELb0ES3_jNS7_6detail15normal_iteratorINS7_7pointerISA_NS7_11hip_rocprim3tagENS7_11use_defaultESJ_EEEEPSB_SM_NS0_5tupleIJPSA_SM_EEENSN_IJSM_SM_EEESB_PlJ10is_orderedEEE10hipError_tPvRmT3_T4_T5_T6_T7_T9_mT8_P12ihipStream_tbDpT10_ENKUlT_T0_E_clISt17integral_constantIbLb1EES1B_IbLb0EEEEDaS17_S18_EUlS17_E_NS1_11comp_targetILNS1_3genE0ELNS1_11target_archE4294967295ELNS1_3gpuE0ELNS1_3repE0EEENS1_30default_config_static_selectorELNS0_4arch9wavefront6targetE1EEEvT1_
		.amdhsa_group_segment_fixed_size 0
		.amdhsa_private_segment_fixed_size 0
		.amdhsa_kernarg_size 120
		.amdhsa_user_sgpr_count 6
		.amdhsa_user_sgpr_private_segment_buffer 1
		.amdhsa_user_sgpr_dispatch_ptr 0
		.amdhsa_user_sgpr_queue_ptr 0
		.amdhsa_user_sgpr_kernarg_segment_ptr 1
		.amdhsa_user_sgpr_dispatch_id 0
		.amdhsa_user_sgpr_flat_scratch_init 0
		.amdhsa_user_sgpr_kernarg_preload_length 0
		.amdhsa_user_sgpr_kernarg_preload_offset 0
		.amdhsa_user_sgpr_private_segment_size 0
		.amdhsa_uses_dynamic_stack 0
		.amdhsa_system_sgpr_private_segment_wavefront_offset 0
		.amdhsa_system_sgpr_workgroup_id_x 1
		.amdhsa_system_sgpr_workgroup_id_y 0
		.amdhsa_system_sgpr_workgroup_id_z 0
		.amdhsa_system_sgpr_workgroup_info 0
		.amdhsa_system_vgpr_workitem_id 0
		.amdhsa_next_free_vgpr 1
		.amdhsa_next_free_sgpr 0
		.amdhsa_accum_offset 4
		.amdhsa_reserve_vcc 0
		.amdhsa_reserve_flat_scratch 0
		.amdhsa_float_round_mode_32 0
		.amdhsa_float_round_mode_16_64 0
		.amdhsa_float_denorm_mode_32 3
		.amdhsa_float_denorm_mode_16_64 3
		.amdhsa_dx10_clamp 1
		.amdhsa_ieee_mode 1
		.amdhsa_fp16_overflow 0
		.amdhsa_tg_split 0
		.amdhsa_exception_fp_ieee_invalid_op 0
		.amdhsa_exception_fp_denorm_src 0
		.amdhsa_exception_fp_ieee_div_zero 0
		.amdhsa_exception_fp_ieee_overflow 0
		.amdhsa_exception_fp_ieee_underflow 0
		.amdhsa_exception_fp_ieee_inexact 0
		.amdhsa_exception_int_div_zero 0
	.end_amdhsa_kernel
	.section	.text._ZN7rocprim17ROCPRIM_400000_NS6detail17trampoline_kernelINS0_14default_configENS1_25partition_config_selectorILNS1_17partition_subalgoE3EN6thrust23THRUST_200600_302600_NS5tupleIiiNS7_9null_typeES9_S9_S9_S9_S9_S9_S9_EENS0_10empty_typeEbEEZZNS1_14partition_implILS5_3ELb0ES3_jNS7_6detail15normal_iteratorINS7_7pointerISA_NS7_11hip_rocprim3tagENS7_11use_defaultESJ_EEEEPSB_SM_NS0_5tupleIJPSA_SM_EEENSN_IJSM_SM_EEESB_PlJ10is_orderedEEE10hipError_tPvRmT3_T4_T5_T6_T7_T9_mT8_P12ihipStream_tbDpT10_ENKUlT_T0_E_clISt17integral_constantIbLb1EES1B_IbLb0EEEEDaS17_S18_EUlS17_E_NS1_11comp_targetILNS1_3genE0ELNS1_11target_archE4294967295ELNS1_3gpuE0ELNS1_3repE0EEENS1_30default_config_static_selectorELNS0_4arch9wavefront6targetE1EEEvT1_,"axG",@progbits,_ZN7rocprim17ROCPRIM_400000_NS6detail17trampoline_kernelINS0_14default_configENS1_25partition_config_selectorILNS1_17partition_subalgoE3EN6thrust23THRUST_200600_302600_NS5tupleIiiNS7_9null_typeES9_S9_S9_S9_S9_S9_S9_EENS0_10empty_typeEbEEZZNS1_14partition_implILS5_3ELb0ES3_jNS7_6detail15normal_iteratorINS7_7pointerISA_NS7_11hip_rocprim3tagENS7_11use_defaultESJ_EEEEPSB_SM_NS0_5tupleIJPSA_SM_EEENSN_IJSM_SM_EEESB_PlJ10is_orderedEEE10hipError_tPvRmT3_T4_T5_T6_T7_T9_mT8_P12ihipStream_tbDpT10_ENKUlT_T0_E_clISt17integral_constantIbLb1EES1B_IbLb0EEEEDaS17_S18_EUlS17_E_NS1_11comp_targetILNS1_3genE0ELNS1_11target_archE4294967295ELNS1_3gpuE0ELNS1_3repE0EEENS1_30default_config_static_selectorELNS0_4arch9wavefront6targetE1EEEvT1_,comdat
.Lfunc_end3508:
	.size	_ZN7rocprim17ROCPRIM_400000_NS6detail17trampoline_kernelINS0_14default_configENS1_25partition_config_selectorILNS1_17partition_subalgoE3EN6thrust23THRUST_200600_302600_NS5tupleIiiNS7_9null_typeES9_S9_S9_S9_S9_S9_S9_EENS0_10empty_typeEbEEZZNS1_14partition_implILS5_3ELb0ES3_jNS7_6detail15normal_iteratorINS7_7pointerISA_NS7_11hip_rocprim3tagENS7_11use_defaultESJ_EEEEPSB_SM_NS0_5tupleIJPSA_SM_EEENSN_IJSM_SM_EEESB_PlJ10is_orderedEEE10hipError_tPvRmT3_T4_T5_T6_T7_T9_mT8_P12ihipStream_tbDpT10_ENKUlT_T0_E_clISt17integral_constantIbLb1EES1B_IbLb0EEEEDaS17_S18_EUlS17_E_NS1_11comp_targetILNS1_3genE0ELNS1_11target_archE4294967295ELNS1_3gpuE0ELNS1_3repE0EEENS1_30default_config_static_selectorELNS0_4arch9wavefront6targetE1EEEvT1_, .Lfunc_end3508-_ZN7rocprim17ROCPRIM_400000_NS6detail17trampoline_kernelINS0_14default_configENS1_25partition_config_selectorILNS1_17partition_subalgoE3EN6thrust23THRUST_200600_302600_NS5tupleIiiNS7_9null_typeES9_S9_S9_S9_S9_S9_S9_EENS0_10empty_typeEbEEZZNS1_14partition_implILS5_3ELb0ES3_jNS7_6detail15normal_iteratorINS7_7pointerISA_NS7_11hip_rocprim3tagENS7_11use_defaultESJ_EEEEPSB_SM_NS0_5tupleIJPSA_SM_EEENSN_IJSM_SM_EEESB_PlJ10is_orderedEEE10hipError_tPvRmT3_T4_T5_T6_T7_T9_mT8_P12ihipStream_tbDpT10_ENKUlT_T0_E_clISt17integral_constantIbLb1EES1B_IbLb0EEEEDaS17_S18_EUlS17_E_NS1_11comp_targetILNS1_3genE0ELNS1_11target_archE4294967295ELNS1_3gpuE0ELNS1_3repE0EEENS1_30default_config_static_selectorELNS0_4arch9wavefront6targetE1EEEvT1_
                                        ; -- End function
	.section	.AMDGPU.csdata,"",@progbits
; Kernel info:
; codeLenInByte = 0
; NumSgprs: 4
; NumVgprs: 0
; NumAgprs: 0
; TotalNumVgprs: 0
; ScratchSize: 0
; MemoryBound: 0
; FloatMode: 240
; IeeeMode: 1
; LDSByteSize: 0 bytes/workgroup (compile time only)
; SGPRBlocks: 0
; VGPRBlocks: 0
; NumSGPRsForWavesPerEU: 4
; NumVGPRsForWavesPerEU: 1
; AccumOffset: 4
; Occupancy: 8
; WaveLimiterHint : 0
; COMPUTE_PGM_RSRC2:SCRATCH_EN: 0
; COMPUTE_PGM_RSRC2:USER_SGPR: 6
; COMPUTE_PGM_RSRC2:TRAP_HANDLER: 0
; COMPUTE_PGM_RSRC2:TGID_X_EN: 1
; COMPUTE_PGM_RSRC2:TGID_Y_EN: 0
; COMPUTE_PGM_RSRC2:TGID_Z_EN: 0
; COMPUTE_PGM_RSRC2:TIDIG_COMP_CNT: 0
; COMPUTE_PGM_RSRC3_GFX90A:ACCUM_OFFSET: 0
; COMPUTE_PGM_RSRC3_GFX90A:TG_SPLIT: 0
	.section	.text._ZN7rocprim17ROCPRIM_400000_NS6detail17trampoline_kernelINS0_14default_configENS1_25partition_config_selectorILNS1_17partition_subalgoE3EN6thrust23THRUST_200600_302600_NS5tupleIiiNS7_9null_typeES9_S9_S9_S9_S9_S9_S9_EENS0_10empty_typeEbEEZZNS1_14partition_implILS5_3ELb0ES3_jNS7_6detail15normal_iteratorINS7_7pointerISA_NS7_11hip_rocprim3tagENS7_11use_defaultESJ_EEEEPSB_SM_NS0_5tupleIJPSA_SM_EEENSN_IJSM_SM_EEESB_PlJ10is_orderedEEE10hipError_tPvRmT3_T4_T5_T6_T7_T9_mT8_P12ihipStream_tbDpT10_ENKUlT_T0_E_clISt17integral_constantIbLb1EES1B_IbLb0EEEEDaS17_S18_EUlS17_E_NS1_11comp_targetILNS1_3genE5ELNS1_11target_archE942ELNS1_3gpuE9ELNS1_3repE0EEENS1_30default_config_static_selectorELNS0_4arch9wavefront6targetE1EEEvT1_,"axG",@progbits,_ZN7rocprim17ROCPRIM_400000_NS6detail17trampoline_kernelINS0_14default_configENS1_25partition_config_selectorILNS1_17partition_subalgoE3EN6thrust23THRUST_200600_302600_NS5tupleIiiNS7_9null_typeES9_S9_S9_S9_S9_S9_S9_EENS0_10empty_typeEbEEZZNS1_14partition_implILS5_3ELb0ES3_jNS7_6detail15normal_iteratorINS7_7pointerISA_NS7_11hip_rocprim3tagENS7_11use_defaultESJ_EEEEPSB_SM_NS0_5tupleIJPSA_SM_EEENSN_IJSM_SM_EEESB_PlJ10is_orderedEEE10hipError_tPvRmT3_T4_T5_T6_T7_T9_mT8_P12ihipStream_tbDpT10_ENKUlT_T0_E_clISt17integral_constantIbLb1EES1B_IbLb0EEEEDaS17_S18_EUlS17_E_NS1_11comp_targetILNS1_3genE5ELNS1_11target_archE942ELNS1_3gpuE9ELNS1_3repE0EEENS1_30default_config_static_selectorELNS0_4arch9wavefront6targetE1EEEvT1_,comdat
	.protected	_ZN7rocprim17ROCPRIM_400000_NS6detail17trampoline_kernelINS0_14default_configENS1_25partition_config_selectorILNS1_17partition_subalgoE3EN6thrust23THRUST_200600_302600_NS5tupleIiiNS7_9null_typeES9_S9_S9_S9_S9_S9_S9_EENS0_10empty_typeEbEEZZNS1_14partition_implILS5_3ELb0ES3_jNS7_6detail15normal_iteratorINS7_7pointerISA_NS7_11hip_rocprim3tagENS7_11use_defaultESJ_EEEEPSB_SM_NS0_5tupleIJPSA_SM_EEENSN_IJSM_SM_EEESB_PlJ10is_orderedEEE10hipError_tPvRmT3_T4_T5_T6_T7_T9_mT8_P12ihipStream_tbDpT10_ENKUlT_T0_E_clISt17integral_constantIbLb1EES1B_IbLb0EEEEDaS17_S18_EUlS17_E_NS1_11comp_targetILNS1_3genE5ELNS1_11target_archE942ELNS1_3gpuE9ELNS1_3repE0EEENS1_30default_config_static_selectorELNS0_4arch9wavefront6targetE1EEEvT1_ ; -- Begin function _ZN7rocprim17ROCPRIM_400000_NS6detail17trampoline_kernelINS0_14default_configENS1_25partition_config_selectorILNS1_17partition_subalgoE3EN6thrust23THRUST_200600_302600_NS5tupleIiiNS7_9null_typeES9_S9_S9_S9_S9_S9_S9_EENS0_10empty_typeEbEEZZNS1_14partition_implILS5_3ELb0ES3_jNS7_6detail15normal_iteratorINS7_7pointerISA_NS7_11hip_rocprim3tagENS7_11use_defaultESJ_EEEEPSB_SM_NS0_5tupleIJPSA_SM_EEENSN_IJSM_SM_EEESB_PlJ10is_orderedEEE10hipError_tPvRmT3_T4_T5_T6_T7_T9_mT8_P12ihipStream_tbDpT10_ENKUlT_T0_E_clISt17integral_constantIbLb1EES1B_IbLb0EEEEDaS17_S18_EUlS17_E_NS1_11comp_targetILNS1_3genE5ELNS1_11target_archE942ELNS1_3gpuE9ELNS1_3repE0EEENS1_30default_config_static_selectorELNS0_4arch9wavefront6targetE1EEEvT1_
	.globl	_ZN7rocprim17ROCPRIM_400000_NS6detail17trampoline_kernelINS0_14default_configENS1_25partition_config_selectorILNS1_17partition_subalgoE3EN6thrust23THRUST_200600_302600_NS5tupleIiiNS7_9null_typeES9_S9_S9_S9_S9_S9_S9_EENS0_10empty_typeEbEEZZNS1_14partition_implILS5_3ELb0ES3_jNS7_6detail15normal_iteratorINS7_7pointerISA_NS7_11hip_rocprim3tagENS7_11use_defaultESJ_EEEEPSB_SM_NS0_5tupleIJPSA_SM_EEENSN_IJSM_SM_EEESB_PlJ10is_orderedEEE10hipError_tPvRmT3_T4_T5_T6_T7_T9_mT8_P12ihipStream_tbDpT10_ENKUlT_T0_E_clISt17integral_constantIbLb1EES1B_IbLb0EEEEDaS17_S18_EUlS17_E_NS1_11comp_targetILNS1_3genE5ELNS1_11target_archE942ELNS1_3gpuE9ELNS1_3repE0EEENS1_30default_config_static_selectorELNS0_4arch9wavefront6targetE1EEEvT1_
	.p2align	8
	.type	_ZN7rocprim17ROCPRIM_400000_NS6detail17trampoline_kernelINS0_14default_configENS1_25partition_config_selectorILNS1_17partition_subalgoE3EN6thrust23THRUST_200600_302600_NS5tupleIiiNS7_9null_typeES9_S9_S9_S9_S9_S9_S9_EENS0_10empty_typeEbEEZZNS1_14partition_implILS5_3ELb0ES3_jNS7_6detail15normal_iteratorINS7_7pointerISA_NS7_11hip_rocprim3tagENS7_11use_defaultESJ_EEEEPSB_SM_NS0_5tupleIJPSA_SM_EEENSN_IJSM_SM_EEESB_PlJ10is_orderedEEE10hipError_tPvRmT3_T4_T5_T6_T7_T9_mT8_P12ihipStream_tbDpT10_ENKUlT_T0_E_clISt17integral_constantIbLb1EES1B_IbLb0EEEEDaS17_S18_EUlS17_E_NS1_11comp_targetILNS1_3genE5ELNS1_11target_archE942ELNS1_3gpuE9ELNS1_3repE0EEENS1_30default_config_static_selectorELNS0_4arch9wavefront6targetE1EEEvT1_,@function
_ZN7rocprim17ROCPRIM_400000_NS6detail17trampoline_kernelINS0_14default_configENS1_25partition_config_selectorILNS1_17partition_subalgoE3EN6thrust23THRUST_200600_302600_NS5tupleIiiNS7_9null_typeES9_S9_S9_S9_S9_S9_S9_EENS0_10empty_typeEbEEZZNS1_14partition_implILS5_3ELb0ES3_jNS7_6detail15normal_iteratorINS7_7pointerISA_NS7_11hip_rocprim3tagENS7_11use_defaultESJ_EEEEPSB_SM_NS0_5tupleIJPSA_SM_EEENSN_IJSM_SM_EEESB_PlJ10is_orderedEEE10hipError_tPvRmT3_T4_T5_T6_T7_T9_mT8_P12ihipStream_tbDpT10_ENKUlT_T0_E_clISt17integral_constantIbLb1EES1B_IbLb0EEEEDaS17_S18_EUlS17_E_NS1_11comp_targetILNS1_3genE5ELNS1_11target_archE942ELNS1_3gpuE9ELNS1_3repE0EEENS1_30default_config_static_selectorELNS0_4arch9wavefront6targetE1EEEvT1_: ; @_ZN7rocprim17ROCPRIM_400000_NS6detail17trampoline_kernelINS0_14default_configENS1_25partition_config_selectorILNS1_17partition_subalgoE3EN6thrust23THRUST_200600_302600_NS5tupleIiiNS7_9null_typeES9_S9_S9_S9_S9_S9_S9_EENS0_10empty_typeEbEEZZNS1_14partition_implILS5_3ELb0ES3_jNS7_6detail15normal_iteratorINS7_7pointerISA_NS7_11hip_rocprim3tagENS7_11use_defaultESJ_EEEEPSB_SM_NS0_5tupleIJPSA_SM_EEENSN_IJSM_SM_EEESB_PlJ10is_orderedEEE10hipError_tPvRmT3_T4_T5_T6_T7_T9_mT8_P12ihipStream_tbDpT10_ENKUlT_T0_E_clISt17integral_constantIbLb1EES1B_IbLb0EEEEDaS17_S18_EUlS17_E_NS1_11comp_targetILNS1_3genE5ELNS1_11target_archE942ELNS1_3gpuE9ELNS1_3repE0EEENS1_30default_config_static_selectorELNS0_4arch9wavefront6targetE1EEEvT1_
; %bb.0:
	.section	.rodata,"a",@progbits
	.p2align	6, 0x0
	.amdhsa_kernel _ZN7rocprim17ROCPRIM_400000_NS6detail17trampoline_kernelINS0_14default_configENS1_25partition_config_selectorILNS1_17partition_subalgoE3EN6thrust23THRUST_200600_302600_NS5tupleIiiNS7_9null_typeES9_S9_S9_S9_S9_S9_S9_EENS0_10empty_typeEbEEZZNS1_14partition_implILS5_3ELb0ES3_jNS7_6detail15normal_iteratorINS7_7pointerISA_NS7_11hip_rocprim3tagENS7_11use_defaultESJ_EEEEPSB_SM_NS0_5tupleIJPSA_SM_EEENSN_IJSM_SM_EEESB_PlJ10is_orderedEEE10hipError_tPvRmT3_T4_T5_T6_T7_T9_mT8_P12ihipStream_tbDpT10_ENKUlT_T0_E_clISt17integral_constantIbLb1EES1B_IbLb0EEEEDaS17_S18_EUlS17_E_NS1_11comp_targetILNS1_3genE5ELNS1_11target_archE942ELNS1_3gpuE9ELNS1_3repE0EEENS1_30default_config_static_selectorELNS0_4arch9wavefront6targetE1EEEvT1_
		.amdhsa_group_segment_fixed_size 0
		.amdhsa_private_segment_fixed_size 0
		.amdhsa_kernarg_size 120
		.amdhsa_user_sgpr_count 6
		.amdhsa_user_sgpr_private_segment_buffer 1
		.amdhsa_user_sgpr_dispatch_ptr 0
		.amdhsa_user_sgpr_queue_ptr 0
		.amdhsa_user_sgpr_kernarg_segment_ptr 1
		.amdhsa_user_sgpr_dispatch_id 0
		.amdhsa_user_sgpr_flat_scratch_init 0
		.amdhsa_user_sgpr_kernarg_preload_length 0
		.amdhsa_user_sgpr_kernarg_preload_offset 0
		.amdhsa_user_sgpr_private_segment_size 0
		.amdhsa_uses_dynamic_stack 0
		.amdhsa_system_sgpr_private_segment_wavefront_offset 0
		.amdhsa_system_sgpr_workgroup_id_x 1
		.amdhsa_system_sgpr_workgroup_id_y 0
		.amdhsa_system_sgpr_workgroup_id_z 0
		.amdhsa_system_sgpr_workgroup_info 0
		.amdhsa_system_vgpr_workitem_id 0
		.amdhsa_next_free_vgpr 1
		.amdhsa_next_free_sgpr 0
		.amdhsa_accum_offset 4
		.amdhsa_reserve_vcc 0
		.amdhsa_reserve_flat_scratch 0
		.amdhsa_float_round_mode_32 0
		.amdhsa_float_round_mode_16_64 0
		.amdhsa_float_denorm_mode_32 3
		.amdhsa_float_denorm_mode_16_64 3
		.amdhsa_dx10_clamp 1
		.amdhsa_ieee_mode 1
		.amdhsa_fp16_overflow 0
		.amdhsa_tg_split 0
		.amdhsa_exception_fp_ieee_invalid_op 0
		.amdhsa_exception_fp_denorm_src 0
		.amdhsa_exception_fp_ieee_div_zero 0
		.amdhsa_exception_fp_ieee_overflow 0
		.amdhsa_exception_fp_ieee_underflow 0
		.amdhsa_exception_fp_ieee_inexact 0
		.amdhsa_exception_int_div_zero 0
	.end_amdhsa_kernel
	.section	.text._ZN7rocprim17ROCPRIM_400000_NS6detail17trampoline_kernelINS0_14default_configENS1_25partition_config_selectorILNS1_17partition_subalgoE3EN6thrust23THRUST_200600_302600_NS5tupleIiiNS7_9null_typeES9_S9_S9_S9_S9_S9_S9_EENS0_10empty_typeEbEEZZNS1_14partition_implILS5_3ELb0ES3_jNS7_6detail15normal_iteratorINS7_7pointerISA_NS7_11hip_rocprim3tagENS7_11use_defaultESJ_EEEEPSB_SM_NS0_5tupleIJPSA_SM_EEENSN_IJSM_SM_EEESB_PlJ10is_orderedEEE10hipError_tPvRmT3_T4_T5_T6_T7_T9_mT8_P12ihipStream_tbDpT10_ENKUlT_T0_E_clISt17integral_constantIbLb1EES1B_IbLb0EEEEDaS17_S18_EUlS17_E_NS1_11comp_targetILNS1_3genE5ELNS1_11target_archE942ELNS1_3gpuE9ELNS1_3repE0EEENS1_30default_config_static_selectorELNS0_4arch9wavefront6targetE1EEEvT1_,"axG",@progbits,_ZN7rocprim17ROCPRIM_400000_NS6detail17trampoline_kernelINS0_14default_configENS1_25partition_config_selectorILNS1_17partition_subalgoE3EN6thrust23THRUST_200600_302600_NS5tupleIiiNS7_9null_typeES9_S9_S9_S9_S9_S9_S9_EENS0_10empty_typeEbEEZZNS1_14partition_implILS5_3ELb0ES3_jNS7_6detail15normal_iteratorINS7_7pointerISA_NS7_11hip_rocprim3tagENS7_11use_defaultESJ_EEEEPSB_SM_NS0_5tupleIJPSA_SM_EEENSN_IJSM_SM_EEESB_PlJ10is_orderedEEE10hipError_tPvRmT3_T4_T5_T6_T7_T9_mT8_P12ihipStream_tbDpT10_ENKUlT_T0_E_clISt17integral_constantIbLb1EES1B_IbLb0EEEEDaS17_S18_EUlS17_E_NS1_11comp_targetILNS1_3genE5ELNS1_11target_archE942ELNS1_3gpuE9ELNS1_3repE0EEENS1_30default_config_static_selectorELNS0_4arch9wavefront6targetE1EEEvT1_,comdat
.Lfunc_end3509:
	.size	_ZN7rocprim17ROCPRIM_400000_NS6detail17trampoline_kernelINS0_14default_configENS1_25partition_config_selectorILNS1_17partition_subalgoE3EN6thrust23THRUST_200600_302600_NS5tupleIiiNS7_9null_typeES9_S9_S9_S9_S9_S9_S9_EENS0_10empty_typeEbEEZZNS1_14partition_implILS5_3ELb0ES3_jNS7_6detail15normal_iteratorINS7_7pointerISA_NS7_11hip_rocprim3tagENS7_11use_defaultESJ_EEEEPSB_SM_NS0_5tupleIJPSA_SM_EEENSN_IJSM_SM_EEESB_PlJ10is_orderedEEE10hipError_tPvRmT3_T4_T5_T6_T7_T9_mT8_P12ihipStream_tbDpT10_ENKUlT_T0_E_clISt17integral_constantIbLb1EES1B_IbLb0EEEEDaS17_S18_EUlS17_E_NS1_11comp_targetILNS1_3genE5ELNS1_11target_archE942ELNS1_3gpuE9ELNS1_3repE0EEENS1_30default_config_static_selectorELNS0_4arch9wavefront6targetE1EEEvT1_, .Lfunc_end3509-_ZN7rocprim17ROCPRIM_400000_NS6detail17trampoline_kernelINS0_14default_configENS1_25partition_config_selectorILNS1_17partition_subalgoE3EN6thrust23THRUST_200600_302600_NS5tupleIiiNS7_9null_typeES9_S9_S9_S9_S9_S9_S9_EENS0_10empty_typeEbEEZZNS1_14partition_implILS5_3ELb0ES3_jNS7_6detail15normal_iteratorINS7_7pointerISA_NS7_11hip_rocprim3tagENS7_11use_defaultESJ_EEEEPSB_SM_NS0_5tupleIJPSA_SM_EEENSN_IJSM_SM_EEESB_PlJ10is_orderedEEE10hipError_tPvRmT3_T4_T5_T6_T7_T9_mT8_P12ihipStream_tbDpT10_ENKUlT_T0_E_clISt17integral_constantIbLb1EES1B_IbLb0EEEEDaS17_S18_EUlS17_E_NS1_11comp_targetILNS1_3genE5ELNS1_11target_archE942ELNS1_3gpuE9ELNS1_3repE0EEENS1_30default_config_static_selectorELNS0_4arch9wavefront6targetE1EEEvT1_
                                        ; -- End function
	.section	.AMDGPU.csdata,"",@progbits
; Kernel info:
; codeLenInByte = 0
; NumSgprs: 4
; NumVgprs: 0
; NumAgprs: 0
; TotalNumVgprs: 0
; ScratchSize: 0
; MemoryBound: 0
; FloatMode: 240
; IeeeMode: 1
; LDSByteSize: 0 bytes/workgroup (compile time only)
; SGPRBlocks: 0
; VGPRBlocks: 0
; NumSGPRsForWavesPerEU: 4
; NumVGPRsForWavesPerEU: 1
; AccumOffset: 4
; Occupancy: 8
; WaveLimiterHint : 0
; COMPUTE_PGM_RSRC2:SCRATCH_EN: 0
; COMPUTE_PGM_RSRC2:USER_SGPR: 6
; COMPUTE_PGM_RSRC2:TRAP_HANDLER: 0
; COMPUTE_PGM_RSRC2:TGID_X_EN: 1
; COMPUTE_PGM_RSRC2:TGID_Y_EN: 0
; COMPUTE_PGM_RSRC2:TGID_Z_EN: 0
; COMPUTE_PGM_RSRC2:TIDIG_COMP_CNT: 0
; COMPUTE_PGM_RSRC3_GFX90A:ACCUM_OFFSET: 0
; COMPUTE_PGM_RSRC3_GFX90A:TG_SPLIT: 0
	.section	.text._ZN7rocprim17ROCPRIM_400000_NS6detail17trampoline_kernelINS0_14default_configENS1_25partition_config_selectorILNS1_17partition_subalgoE3EN6thrust23THRUST_200600_302600_NS5tupleIiiNS7_9null_typeES9_S9_S9_S9_S9_S9_S9_EENS0_10empty_typeEbEEZZNS1_14partition_implILS5_3ELb0ES3_jNS7_6detail15normal_iteratorINS7_7pointerISA_NS7_11hip_rocprim3tagENS7_11use_defaultESJ_EEEEPSB_SM_NS0_5tupleIJPSA_SM_EEENSN_IJSM_SM_EEESB_PlJ10is_orderedEEE10hipError_tPvRmT3_T4_T5_T6_T7_T9_mT8_P12ihipStream_tbDpT10_ENKUlT_T0_E_clISt17integral_constantIbLb1EES1B_IbLb0EEEEDaS17_S18_EUlS17_E_NS1_11comp_targetILNS1_3genE4ELNS1_11target_archE910ELNS1_3gpuE8ELNS1_3repE0EEENS1_30default_config_static_selectorELNS0_4arch9wavefront6targetE1EEEvT1_,"axG",@progbits,_ZN7rocprim17ROCPRIM_400000_NS6detail17trampoline_kernelINS0_14default_configENS1_25partition_config_selectorILNS1_17partition_subalgoE3EN6thrust23THRUST_200600_302600_NS5tupleIiiNS7_9null_typeES9_S9_S9_S9_S9_S9_S9_EENS0_10empty_typeEbEEZZNS1_14partition_implILS5_3ELb0ES3_jNS7_6detail15normal_iteratorINS7_7pointerISA_NS7_11hip_rocprim3tagENS7_11use_defaultESJ_EEEEPSB_SM_NS0_5tupleIJPSA_SM_EEENSN_IJSM_SM_EEESB_PlJ10is_orderedEEE10hipError_tPvRmT3_T4_T5_T6_T7_T9_mT8_P12ihipStream_tbDpT10_ENKUlT_T0_E_clISt17integral_constantIbLb1EES1B_IbLb0EEEEDaS17_S18_EUlS17_E_NS1_11comp_targetILNS1_3genE4ELNS1_11target_archE910ELNS1_3gpuE8ELNS1_3repE0EEENS1_30default_config_static_selectorELNS0_4arch9wavefront6targetE1EEEvT1_,comdat
	.protected	_ZN7rocprim17ROCPRIM_400000_NS6detail17trampoline_kernelINS0_14default_configENS1_25partition_config_selectorILNS1_17partition_subalgoE3EN6thrust23THRUST_200600_302600_NS5tupleIiiNS7_9null_typeES9_S9_S9_S9_S9_S9_S9_EENS0_10empty_typeEbEEZZNS1_14partition_implILS5_3ELb0ES3_jNS7_6detail15normal_iteratorINS7_7pointerISA_NS7_11hip_rocprim3tagENS7_11use_defaultESJ_EEEEPSB_SM_NS0_5tupleIJPSA_SM_EEENSN_IJSM_SM_EEESB_PlJ10is_orderedEEE10hipError_tPvRmT3_T4_T5_T6_T7_T9_mT8_P12ihipStream_tbDpT10_ENKUlT_T0_E_clISt17integral_constantIbLb1EES1B_IbLb0EEEEDaS17_S18_EUlS17_E_NS1_11comp_targetILNS1_3genE4ELNS1_11target_archE910ELNS1_3gpuE8ELNS1_3repE0EEENS1_30default_config_static_selectorELNS0_4arch9wavefront6targetE1EEEvT1_ ; -- Begin function _ZN7rocprim17ROCPRIM_400000_NS6detail17trampoline_kernelINS0_14default_configENS1_25partition_config_selectorILNS1_17partition_subalgoE3EN6thrust23THRUST_200600_302600_NS5tupleIiiNS7_9null_typeES9_S9_S9_S9_S9_S9_S9_EENS0_10empty_typeEbEEZZNS1_14partition_implILS5_3ELb0ES3_jNS7_6detail15normal_iteratorINS7_7pointerISA_NS7_11hip_rocprim3tagENS7_11use_defaultESJ_EEEEPSB_SM_NS0_5tupleIJPSA_SM_EEENSN_IJSM_SM_EEESB_PlJ10is_orderedEEE10hipError_tPvRmT3_T4_T5_T6_T7_T9_mT8_P12ihipStream_tbDpT10_ENKUlT_T0_E_clISt17integral_constantIbLb1EES1B_IbLb0EEEEDaS17_S18_EUlS17_E_NS1_11comp_targetILNS1_3genE4ELNS1_11target_archE910ELNS1_3gpuE8ELNS1_3repE0EEENS1_30default_config_static_selectorELNS0_4arch9wavefront6targetE1EEEvT1_
	.globl	_ZN7rocprim17ROCPRIM_400000_NS6detail17trampoline_kernelINS0_14default_configENS1_25partition_config_selectorILNS1_17partition_subalgoE3EN6thrust23THRUST_200600_302600_NS5tupleIiiNS7_9null_typeES9_S9_S9_S9_S9_S9_S9_EENS0_10empty_typeEbEEZZNS1_14partition_implILS5_3ELb0ES3_jNS7_6detail15normal_iteratorINS7_7pointerISA_NS7_11hip_rocprim3tagENS7_11use_defaultESJ_EEEEPSB_SM_NS0_5tupleIJPSA_SM_EEENSN_IJSM_SM_EEESB_PlJ10is_orderedEEE10hipError_tPvRmT3_T4_T5_T6_T7_T9_mT8_P12ihipStream_tbDpT10_ENKUlT_T0_E_clISt17integral_constantIbLb1EES1B_IbLb0EEEEDaS17_S18_EUlS17_E_NS1_11comp_targetILNS1_3genE4ELNS1_11target_archE910ELNS1_3gpuE8ELNS1_3repE0EEENS1_30default_config_static_selectorELNS0_4arch9wavefront6targetE1EEEvT1_
	.p2align	8
	.type	_ZN7rocprim17ROCPRIM_400000_NS6detail17trampoline_kernelINS0_14default_configENS1_25partition_config_selectorILNS1_17partition_subalgoE3EN6thrust23THRUST_200600_302600_NS5tupleIiiNS7_9null_typeES9_S9_S9_S9_S9_S9_S9_EENS0_10empty_typeEbEEZZNS1_14partition_implILS5_3ELb0ES3_jNS7_6detail15normal_iteratorINS7_7pointerISA_NS7_11hip_rocprim3tagENS7_11use_defaultESJ_EEEEPSB_SM_NS0_5tupleIJPSA_SM_EEENSN_IJSM_SM_EEESB_PlJ10is_orderedEEE10hipError_tPvRmT3_T4_T5_T6_T7_T9_mT8_P12ihipStream_tbDpT10_ENKUlT_T0_E_clISt17integral_constantIbLb1EES1B_IbLb0EEEEDaS17_S18_EUlS17_E_NS1_11comp_targetILNS1_3genE4ELNS1_11target_archE910ELNS1_3gpuE8ELNS1_3repE0EEENS1_30default_config_static_selectorELNS0_4arch9wavefront6targetE1EEEvT1_,@function
_ZN7rocprim17ROCPRIM_400000_NS6detail17trampoline_kernelINS0_14default_configENS1_25partition_config_selectorILNS1_17partition_subalgoE3EN6thrust23THRUST_200600_302600_NS5tupleIiiNS7_9null_typeES9_S9_S9_S9_S9_S9_S9_EENS0_10empty_typeEbEEZZNS1_14partition_implILS5_3ELb0ES3_jNS7_6detail15normal_iteratorINS7_7pointerISA_NS7_11hip_rocprim3tagENS7_11use_defaultESJ_EEEEPSB_SM_NS0_5tupleIJPSA_SM_EEENSN_IJSM_SM_EEESB_PlJ10is_orderedEEE10hipError_tPvRmT3_T4_T5_T6_T7_T9_mT8_P12ihipStream_tbDpT10_ENKUlT_T0_E_clISt17integral_constantIbLb1EES1B_IbLb0EEEEDaS17_S18_EUlS17_E_NS1_11comp_targetILNS1_3genE4ELNS1_11target_archE910ELNS1_3gpuE8ELNS1_3repE0EEENS1_30default_config_static_selectorELNS0_4arch9wavefront6targetE1EEEvT1_: ; @_ZN7rocprim17ROCPRIM_400000_NS6detail17trampoline_kernelINS0_14default_configENS1_25partition_config_selectorILNS1_17partition_subalgoE3EN6thrust23THRUST_200600_302600_NS5tupleIiiNS7_9null_typeES9_S9_S9_S9_S9_S9_S9_EENS0_10empty_typeEbEEZZNS1_14partition_implILS5_3ELb0ES3_jNS7_6detail15normal_iteratorINS7_7pointerISA_NS7_11hip_rocprim3tagENS7_11use_defaultESJ_EEEEPSB_SM_NS0_5tupleIJPSA_SM_EEENSN_IJSM_SM_EEESB_PlJ10is_orderedEEE10hipError_tPvRmT3_T4_T5_T6_T7_T9_mT8_P12ihipStream_tbDpT10_ENKUlT_T0_E_clISt17integral_constantIbLb1EES1B_IbLb0EEEEDaS17_S18_EUlS17_E_NS1_11comp_targetILNS1_3genE4ELNS1_11target_archE910ELNS1_3gpuE8ELNS1_3repE0EEENS1_30default_config_static_selectorELNS0_4arch9wavefront6targetE1EEEvT1_
; %bb.0:
	s_load_dwordx4 s[20:23], s[4:5], 0x8
	s_load_dwordx4 s[24:27], s[4:5], 0x48
	s_load_dwordx2 s[28:29], s[4:5], 0x58
	s_load_dword s2, s[4:5], 0x70
	s_mov_b32 s35, 0
	s_waitcnt lgkmcnt(0)
	s_lshl_b64 s[0:1], s[22:23], 3
	s_add_u32 s7, s20, s0
	s_addc_u32 s8, s21, s1
	s_mul_i32 s0, s2, 0x300
	s_add_i32 s1, s0, s22
	s_sub_i32 s33, s28, s1
	s_add_i32 s3, s2, -1
	s_addk_i32 s33, 0x300
	s_add_u32 s0, s22, s0
	s_addc_u32 s1, s23, 0
	s_cmp_eq_u32 s6, s3
	s_load_dwordx2 s[30:31], s[26:27], 0x0
	s_cselect_b64 s[26:27], -1, 0
	s_cmp_lg_u32 s6, s3
	v_pk_mov_b32 v[2:3], s[28:29], s[28:29] op_sel:[0,1]
	s_cselect_b64 s[2:3], -1, 0
	s_mul_i32 s34, s6, 0x300
	v_cmp_lt_u64_e32 vcc, s[0:1], v[2:3]
	s_or_b64 s[2:3], s[2:3], vcc
	s_lshl_b64 s[0:1], s[34:35], 3
	s_add_u32 s7, s7, s0
	s_addc_u32 s10, s8, s1
	s_mov_b64 s[0:1], -1
	s_and_b64 vcc, exec, s[2:3]
	v_lshlrev_b32_e32 v1, 3, v0
	v_lshrrev_b32_e32 v10, 2, v0
	s_cbranch_vccz .LBB3510_2
; %bb.1:
	v_mov_b32_e32 v3, s10
	v_add_co_u32_e32 v2, vcc, s7, v1
	v_addc_co_u32_e32 v3, vcc, 0, v3, vcc
	v_add_co_u32_e32 v4, vcc, 0x1000, v2
	v_addc_co_u32_e32 v5, vcc, 0, v3, vcc
	flat_load_dwordx2 v[6:7], v[2:3]
	flat_load_dwordx2 v[8:9], v[2:3] offset:1536
	flat_load_dwordx2 v[12:13], v[2:3] offset:3072
	;; [unrolled: 1-line block ×3, first 2 shown]
	v_add_u32_e32 v3, 0xc0, v0
	v_add_u32_e32 v4, 0x180, v0
	;; [unrolled: 1-line block ×3, first 2 shown]
	v_and_b32_e32 v2, 56, v10
	v_lshrrev_b32_e32 v3, 2, v3
	v_lshrrev_b32_e32 v4, 2, v4
	;; [unrolled: 1-line block ×3, first 2 shown]
	v_add_u32_e32 v2, v2, v1
	v_and_b32_e32 v3, 0x78, v3
	v_and_b32_e32 v4, 0xf8, v4
	;; [unrolled: 1-line block ×3, first 2 shown]
	v_add_u32_e32 v3, v3, v1
	v_add_u32_e32 v4, v4, v1
	;; [unrolled: 1-line block ×3, first 2 shown]
	s_mov_b64 s[0:1], 0
	s_waitcnt vmcnt(0) lgkmcnt(0)
	ds_write_b64 v2, v[6:7]
	ds_write_b64 v3, v[8:9] offset:1536
	ds_write_b64 v4, v[12:13] offset:3072
	;; [unrolled: 1-line block ×3, first 2 shown]
	s_waitcnt lgkmcnt(0)
	s_barrier
.LBB3510_2:
	s_andn2_b64 vcc, exec, s[0:1]
	v_cmp_gt_u32_e64 s[0:1], s33, v0
	s_cbranch_vccnz .LBB3510_12
; %bb.3:
	v_pk_mov_b32 v[2:3], 0, 0
	v_pk_mov_b32 v[4:5], v[2:3], v[2:3] op_sel:[0,1]
	s_and_saveexec_b64 s[8:9], s[0:1]
	s_cbranch_execz .LBB3510_5
; %bb.4:
	v_mov_b32_e32 v5, s10
	v_add_co_u32_e32 v4, vcc, s7, v1
	v_addc_co_u32_e32 v5, vcc, 0, v5, vcc
	flat_load_dwordx2 v[4:5], v[4:5]
.LBB3510_5:
	s_or_b64 exec, exec, s[8:9]
	v_add_u32_e32 v11, 0xc0, v0
	v_cmp_gt_u32_e32 vcc, s33, v11
	s_and_saveexec_b64 s[0:1], vcc
	s_cbranch_execz .LBB3510_7
; %bb.6:
	v_mov_b32_e32 v3, s10
	v_add_co_u32_e32 v2, vcc, s7, v1
	v_addc_co_u32_e32 v3, vcc, 0, v3, vcc
	flat_load_dwordx2 v[2:3], v[2:3] offset:1536
.LBB3510_7:
	s_or_b64 exec, exec, s[0:1]
	v_add_u32_e32 v12, 0x180, v0
	v_pk_mov_b32 v[6:7], 0, 0
	v_cmp_gt_u32_e32 vcc, s33, v12
	v_pk_mov_b32 v[8:9], v[6:7], v[6:7] op_sel:[0,1]
	s_and_saveexec_b64 s[0:1], vcc
	s_cbranch_execz .LBB3510_9
; %bb.8:
	v_mov_b32_e32 v9, s10
	v_add_co_u32_e32 v8, vcc, s7, v1
	v_addc_co_u32_e32 v9, vcc, 0, v9, vcc
	flat_load_dwordx2 v[8:9], v[8:9] offset:3072
.LBB3510_9:
	s_or_b64 exec, exec, s[0:1]
	v_add_u32_e32 v13, 0x240, v0
	v_cmp_gt_u32_e32 vcc, s33, v13
	s_and_saveexec_b64 s[0:1], vcc
	s_cbranch_execz .LBB3510_11
; %bb.10:
	v_lshlrev_b32_e32 v6, 3, v13
	v_mov_b32_e32 v7, s10
	v_add_co_u32_e32 v6, vcc, s7, v6
	v_addc_co_u32_e32 v7, vcc, 0, v7, vcc
	flat_load_dwordx2 v[6:7], v[6:7]
.LBB3510_11:
	s_or_b64 exec, exec, s[0:1]
	v_and_b32_e32 v10, 56, v10
	v_add_u32_e32 v10, v10, v1
	s_waitcnt vmcnt(0) lgkmcnt(0)
	ds_write_b64 v10, v[4:5]
	v_lshrrev_b32_e32 v4, 2, v11
	v_and_b32_e32 v4, 0x78, v4
	v_add_u32_e32 v4, v4, v1
	ds_write_b64 v4, v[2:3] offset:1536
	v_lshrrev_b32_e32 v2, 2, v12
	v_and_b32_e32 v2, 0xf8, v2
	v_add_u32_e32 v2, v2, v1
	ds_write_b64 v2, v[8:9] offset:3072
	;; [unrolled: 4-line block ×3, first 2 shown]
	s_waitcnt lgkmcnt(0)
	s_barrier
.LBB3510_12:
	v_lshlrev_b32_e32 v20, 2, v0
	v_lshrrev_b32_e32 v2, 3, v0
	v_add_lshl_u32 v2, v2, v20, 3
	s_waitcnt lgkmcnt(0)
	ds_read2_b64 v[6:9], v2 offset1:1
	ds_read2_b64 v[2:5], v2 offset0:2 offset1:3
	v_cndmask_b32_e64 v10, 0, 1, s[2:3]
	v_cmp_ne_u32_e64 s[0:1], 1, v10
	s_andn2_b64 vcc, exec, s[2:3]
	s_waitcnt lgkmcnt(1)
	v_cmp_le_i32_e64 s[8:9], v6, v7
	v_cmp_le_i32_e64 s[10:11], v8, v9
	s_waitcnt lgkmcnt(0)
	v_cmp_le_i32_e64 s[12:13], v2, v3
	v_cmp_le_i32_e64 s[2:3], v4, v5
	s_barrier
	s_cbranch_vccnz .LBB3510_14
; %bb.13:
	v_cndmask_b32_e64 v11, 0, 1, s[10:11]
	v_cndmask_b32_e64 v10, 0, 1, s[8:9]
	v_lshlrev_b16_e32 v11, 8, v11
	v_or_b32_e32 v10, v10, v11
	v_and_b32_e32 v10, 0xffff, v10
	v_cndmask_b32_e64 v11, 0, 1, s[12:13]
	v_lshl_or_b32 v21, v11, 16, v10
	s_and_b64 s[36:37], s[2:3], exec
	s_load_dwordx2 s[38:39], s[4:5], 0x68
	s_cbranch_execz .LBB3510_15
	s_branch .LBB3510_16
.LBB3510_14:
                                        ; implicit-def: $sgpr36_sgpr37
                                        ; implicit-def: $vgpr21
	s_load_dwordx2 s[38:39], s[4:5], 0x68
.LBB3510_15:
	v_cmp_gt_u32_e32 vcc, s33, v20
	v_cmp_le_i32_e64 s[2:3], v6, v7
	s_and_b64 s[2:3], vcc, s[2:3]
	v_or_b32_e32 v11, 1, v20
	v_cndmask_b32_e64 v10, 0, 1, s[2:3]
	v_cmp_gt_u32_e32 vcc, s33, v11
	v_cmp_le_i32_e64 s[2:3], v8, v9
	s_and_b64 s[2:3], vcc, s[2:3]
	v_cndmask_b32_e64 v11, 0, 1, s[2:3]
	v_or_b32_e32 v12, 2, v20
	v_cmp_gt_u32_e32 vcc, s33, v12
	v_cmp_le_i32_e64 s[2:3], v2, v3
	v_lshlrev_b16_e32 v11, 8, v11
	v_or_b32_e32 v10, v10, v11
	s_and_b64 s[2:3], vcc, s[2:3]
	v_and_b32_e32 v10, 0xffff, v10
	v_cndmask_b32_e64 v11, 0, 1, s[2:3]
	v_lshl_or_b32 v21, v11, 16, v10
	v_or_b32_e32 v10, 3, v20
	v_cmp_gt_u32_e32 vcc, s33, v10
	v_cmp_le_i32_e64 s[2:3], v4, v5
	s_and_b64 s[2:3], vcc, s[2:3]
	s_andn2_b64 s[8:9], s[36:37], exec
	s_and_b64 s[2:3], s[2:3], exec
	s_or_b64 s[36:37], s[8:9], s[2:3]
.LBB3510_16:
	v_cndmask_b32_e64 v10, 0, 1, s[36:37]
	v_bfe_u32 v22, v21, 8, 8
	v_bfe_u32 v23, v21, 16, 8
	v_add_u32_sdwa v10, v21, v10 dst_sel:DWORD dst_unused:UNUSED_PAD src0_sel:BYTE_0 src1_sel:DWORD
	v_add3_u32 v26, v10, v22, v23
	v_mbcnt_lo_u32_b32 v10, -1, 0
	v_mbcnt_hi_u32_b32 v24, -1, v10
	v_and_b32_e32 v10, 15, v24
	v_cmp_eq_u32_e64 s[16:17], 0, v10
	v_cmp_lt_u32_e64 s[14:15], 1, v10
	v_cmp_lt_u32_e64 s[12:13], 3, v10
	;; [unrolled: 1-line block ×3, first 2 shown]
	v_and_b32_e32 v10, 16, v24
	v_cmp_eq_u32_e64 s[20:21], 0, v10
	v_and_b32_e32 v10, 0xc0, v0
	v_min_u32_e32 v10, 0x80, v10
	v_or_b32_e32 v10, 63, v10
	s_cmp_lg_u32 s6, 0
	v_cmp_lt_u32_e64 s[2:3], 31, v24
	v_lshrrev_b32_e32 v25, 6, v0
	v_cmp_eq_u32_e64 s[8:9], v10, v0
	s_cbranch_scc0 .LBB3510_47
; %bb.17:
	v_mov_b32_dpp v10, v26 row_shr:1 row_mask:0xf bank_mask:0xf
	v_cndmask_b32_e64 v10, v10, 0, s[16:17]
	v_add_u32_e32 v10, v10, v26
	s_nop 1
	v_mov_b32_dpp v11, v10 row_shr:2 row_mask:0xf bank_mask:0xf
	v_cndmask_b32_e64 v11, 0, v11, s[14:15]
	v_add_u32_e32 v10, v10, v11
	s_nop 1
	;; [unrolled: 4-line block ×4, first 2 shown]
	v_mov_b32_dpp v11, v10 row_bcast:15 row_mask:0xf bank_mask:0xf
	v_cndmask_b32_e64 v11, v11, 0, s[20:21]
	v_add_u32_e32 v10, v10, v11
	s_nop 1
	v_mov_b32_dpp v11, v10 row_bcast:31 row_mask:0xf bank_mask:0xf
	v_cndmask_b32_e64 v11, 0, v11, s[2:3]
	v_add_u32_e32 v10, v10, v11
	s_and_saveexec_b64 s[18:19], s[8:9]
	s_cbranch_execz .LBB3510_19
; %bb.18:
	v_lshlrev_b32_e32 v11, 2, v25
	ds_write_b32 v11, v10
.LBB3510_19:
	s_or_b64 exec, exec, s[18:19]
	v_cmp_gt_u32_e32 vcc, 3, v0
	s_waitcnt lgkmcnt(0)
	s_barrier
	s_and_saveexec_b64 s[18:19], vcc
	s_cbranch_execz .LBB3510_21
; %bb.20:
	ds_read_b32 v11, v20
	v_and_b32_e32 v12, 3, v24
	v_cmp_ne_u32_e32 vcc, 0, v12
	s_waitcnt lgkmcnt(0)
	v_mov_b32_dpp v13, v11 row_shr:1 row_mask:0xf bank_mask:0xf
	v_cndmask_b32_e32 v13, 0, v13, vcc
	v_add_u32_e32 v11, v13, v11
	v_cmp_lt_u32_e32 vcc, 1, v12
	s_nop 0
	v_mov_b32_dpp v13, v11 row_shr:2 row_mask:0xf bank_mask:0xf
	v_cndmask_b32_e32 v12, 0, v13, vcc
	v_add_u32_e32 v11, v11, v12
	ds_write_b32 v20, v11
.LBB3510_21:
	s_or_b64 exec, exec, s[18:19]
	v_cmp_gt_u32_e32 vcc, 64, v0
	v_cmp_lt_u32_e64 s[18:19], 63, v0
	s_waitcnt lgkmcnt(0)
	s_barrier
	s_waitcnt lgkmcnt(0)
                                        ; implicit-def: $vgpr27
	s_and_saveexec_b64 s[40:41], s[18:19]
	s_cbranch_execz .LBB3510_23
; %bb.22:
	v_lshl_add_u32 v11, v25, 2, -4
	ds_read_b32 v27, v11
	s_waitcnt lgkmcnt(0)
	v_add_u32_e32 v10, v27, v10
.LBB3510_23:
	s_or_b64 exec, exec, s[40:41]
	v_add_u32_e32 v11, -1, v24
	v_and_b32_e32 v12, 64, v24
	v_cmp_lt_i32_e64 s[18:19], v11, v12
	v_cndmask_b32_e64 v11, v11, v24, s[18:19]
	v_lshlrev_b32_e32 v11, 2, v11
	ds_bpermute_b32 v28, v11, v10
	v_cmp_eq_u32_e64 s[18:19], 0, v24
	s_and_saveexec_b64 s[40:41], vcc
	s_cbranch_execz .LBB3510_46
; %bb.24:
	v_mov_b32_e32 v19, 0
	ds_read_b32 v10, v19 offset:8
	s_and_saveexec_b64 s[42:43], s[18:19]
	s_cbranch_execz .LBB3510_26
; %bb.25:
	s_add_i32 s44, s6, 64
	s_mov_b32 s45, 0
	s_lshl_b64 s[44:45], s[44:45], 3
	s_add_u32 s44, s38, s44
	v_mov_b32_e32 v11, 1
	s_addc_u32 s45, s39, s45
	s_waitcnt lgkmcnt(0)
	global_store_dwordx2 v19, v[10:11], s[44:45]
.LBB3510_26:
	s_or_b64 exec, exec, s[42:43]
	v_xad_u32 v12, v24, -1, s6
	v_add_u32_e32 v18, 64, v12
	v_lshlrev_b64 v[14:15], 3, v[18:19]
	v_mov_b32_e32 v11, s39
	v_add_co_u32_e32 v14, vcc, s38, v14
	v_addc_co_u32_e32 v15, vcc, v11, v15, vcc
	global_load_dwordx2 v[16:17], v[14:15], off glc
	s_waitcnt vmcnt(0)
	v_cmp_eq_u16_sdwa s[44:45], v17, v19 src0_sel:BYTE_0 src1_sel:DWORD
	s_and_saveexec_b64 s[42:43], s[44:45]
	s_cbranch_execz .LBB3510_32
; %bb.27:
	s_mov_b32 s7, 1
	s_mov_b64 s[44:45], 0
	v_mov_b32_e32 v11, 0
.LBB3510_28:                            ; =>This Loop Header: Depth=1
                                        ;     Child Loop BB3510_29 Depth 2
	s_max_u32 s35, s7, 1
.LBB3510_29:                            ;   Parent Loop BB3510_28 Depth=1
                                        ; =>  This Inner Loop Header: Depth=2
	s_add_i32 s35, s35, -1
	s_cmp_eq_u32 s35, 0
	s_sleep 1
	s_cbranch_scc0 .LBB3510_29
; %bb.30:                               ;   in Loop: Header=BB3510_28 Depth=1
	global_load_dwordx2 v[16:17], v[14:15], off glc
	s_cmp_lt_u32 s7, 32
	s_cselect_b64 s[46:47], -1, 0
	s_cmp_lg_u64 s[46:47], 0
	s_addc_u32 s7, s7, 0
	s_waitcnt vmcnt(0)
	v_cmp_ne_u16_sdwa s[46:47], v17, v11 src0_sel:BYTE_0 src1_sel:DWORD
	s_or_b64 s[44:45], s[46:47], s[44:45]
	s_andn2_b64 exec, exec, s[44:45]
	s_cbranch_execnz .LBB3510_28
; %bb.31:
	s_or_b64 exec, exec, s[44:45]
.LBB3510_32:
	s_or_b64 exec, exec, s[42:43]
	v_and_b32_e32 v30, 63, v24
	v_mov_b32_e32 v29, 2
	v_cmp_ne_u32_e32 vcc, 63, v30
	v_cmp_eq_u16_sdwa s[42:43], v17, v29 src0_sel:BYTE_0 src1_sel:DWORD
	v_lshlrev_b64 v[14:15], v24, -1
	v_addc_co_u32_e32 v18, vcc, 0, v24, vcc
	v_and_b32_e32 v11, s43, v15
	v_lshlrev_b32_e32 v31, 2, v18
	v_or_b32_e32 v11, 0x80000000, v11
	ds_bpermute_b32 v18, v31, v16
	v_and_b32_e32 v13, s42, v14
	v_ffbl_b32_e32 v11, v11
	v_add_u32_e32 v11, 32, v11
	v_ffbl_b32_e32 v13, v13
	v_min_u32_e32 v11, v13, v11
	v_cmp_lt_u32_e32 vcc, v30, v11
	s_waitcnt lgkmcnt(0)
	v_cndmask_b32_e32 v13, 0, v18, vcc
	v_cmp_gt_u32_e32 vcc, 62, v30
	v_add_u32_e32 v13, v13, v16
	v_cndmask_b32_e64 v16, 0, 1, vcc
	v_lshlrev_b32_e32 v16, 1, v16
	v_add_lshl_u32 v32, v16, v24, 2
	ds_bpermute_b32 v16, v32, v13
	v_add_u32_e32 v33, 2, v30
	v_cmp_le_u32_e32 vcc, v33, v11
	v_add_u32_e32 v35, 4, v30
	v_add_u32_e32 v37, 8, v30
	s_waitcnt lgkmcnt(0)
	v_cndmask_b32_e32 v16, 0, v16, vcc
	v_cmp_gt_u32_e32 vcc, 60, v30
	v_add_u32_e32 v13, v13, v16
	v_cndmask_b32_e64 v16, 0, 1, vcc
	v_lshlrev_b32_e32 v16, 2, v16
	v_add_lshl_u32 v34, v16, v24, 2
	ds_bpermute_b32 v16, v34, v13
	v_cmp_le_u32_e32 vcc, v35, v11
	v_add_u32_e32 v39, 16, v30
	v_add_u32_e32 v41, 32, v30
	s_waitcnt lgkmcnt(0)
	v_cndmask_b32_e32 v16, 0, v16, vcc
	v_cmp_gt_u32_e32 vcc, 56, v30
	v_add_u32_e32 v13, v13, v16
	v_cndmask_b32_e64 v16, 0, 1, vcc
	v_lshlrev_b32_e32 v16, 3, v16
	v_add_lshl_u32 v36, v16, v24, 2
	ds_bpermute_b32 v16, v36, v13
	v_cmp_le_u32_e32 vcc, v37, v11
	s_waitcnt lgkmcnt(0)
	v_cndmask_b32_e32 v16, 0, v16, vcc
	v_cmp_gt_u32_e32 vcc, 48, v30
	v_add_u32_e32 v13, v13, v16
	v_cndmask_b32_e64 v16, 0, 1, vcc
	v_lshlrev_b32_e32 v16, 4, v16
	v_add_lshl_u32 v38, v16, v24, 2
	ds_bpermute_b32 v16, v38, v13
	v_cmp_le_u32_e32 vcc, v39, v11
	s_waitcnt lgkmcnt(0)
	v_cndmask_b32_e32 v16, 0, v16, vcc
	v_cmp_gt_u32_e32 vcc, 32, v30
	v_add_u32_e32 v13, v13, v16
	v_cndmask_b32_e64 v16, 0, 1, vcc
	v_lshlrev_b32_e32 v16, 5, v16
	v_add_lshl_u32 v40, v16, v24, 2
	ds_bpermute_b32 v16, v40, v13
	v_cmp_le_u32_e32 vcc, v41, v11
	s_waitcnt lgkmcnt(0)
	v_cndmask_b32_e32 v11, 0, v16, vcc
	v_add_u32_e32 v16, v13, v11
	v_mov_b32_e32 v13, 0
	s_branch .LBB3510_34
.LBB3510_33:                            ;   in Loop: Header=BB3510_34 Depth=1
	s_or_b64 exec, exec, s[42:43]
	v_cmp_eq_u16_sdwa s[42:43], v17, v29 src0_sel:BYTE_0 src1_sel:DWORD
	v_and_b32_e32 v18, s43, v15
	v_or_b32_e32 v18, 0x80000000, v18
	ds_bpermute_b32 v42, v31, v16
	v_and_b32_e32 v19, s42, v14
	v_ffbl_b32_e32 v18, v18
	v_add_u32_e32 v18, 32, v18
	v_ffbl_b32_e32 v19, v19
	v_min_u32_e32 v18, v19, v18
	v_cmp_lt_u32_e32 vcc, v30, v18
	s_waitcnt lgkmcnt(0)
	v_cndmask_b32_e32 v19, 0, v42, vcc
	v_add_u32_e32 v16, v19, v16
	ds_bpermute_b32 v19, v32, v16
	v_cmp_le_u32_e32 vcc, v33, v18
	v_subrev_u32_e32 v12, 64, v12
	s_waitcnt lgkmcnt(0)
	v_cndmask_b32_e32 v19, 0, v19, vcc
	v_add_u32_e32 v16, v16, v19
	ds_bpermute_b32 v19, v34, v16
	v_cmp_le_u32_e32 vcc, v35, v18
	s_waitcnt lgkmcnt(0)
	v_cndmask_b32_e32 v19, 0, v19, vcc
	v_add_u32_e32 v16, v16, v19
	ds_bpermute_b32 v19, v36, v16
	v_cmp_le_u32_e32 vcc, v37, v18
	;; [unrolled: 5-line block ×4, first 2 shown]
	s_waitcnt lgkmcnt(0)
	v_cndmask_b32_e32 v18, 0, v19, vcc
	v_add3_u32 v16, v18, v11, v16
.LBB3510_34:                            ; =>This Loop Header: Depth=1
                                        ;     Child Loop BB3510_37 Depth 2
                                        ;       Child Loop BB3510_38 Depth 3
	v_cmp_ne_u16_sdwa s[42:43], v17, v29 src0_sel:BYTE_0 src1_sel:DWORD
	v_cndmask_b32_e64 v11, 0, 1, s[42:43]
	;;#ASMSTART
	;;#ASMEND
	v_cmp_ne_u32_e32 vcc, 0, v11
	s_cmp_lg_u64 vcc, exec
	v_mov_b32_e32 v11, v16
	s_cbranch_scc1 .LBB3510_41
; %bb.35:                               ;   in Loop: Header=BB3510_34 Depth=1
	v_lshlrev_b64 v[16:17], 3, v[12:13]
	v_mov_b32_e32 v19, s39
	v_add_co_u32_e32 v18, vcc, s38, v16
	v_addc_co_u32_e32 v19, vcc, v19, v17, vcc
	global_load_dwordx2 v[16:17], v[18:19], off glc
	s_waitcnt vmcnt(0)
	v_cmp_eq_u16_sdwa s[44:45], v17, v13 src0_sel:BYTE_0 src1_sel:DWORD
	s_and_saveexec_b64 s[42:43], s[44:45]
	s_cbranch_execz .LBB3510_33
; %bb.36:                               ;   in Loop: Header=BB3510_34 Depth=1
	s_mov_b32 s7, 1
	s_mov_b64 s[44:45], 0
.LBB3510_37:                            ;   Parent Loop BB3510_34 Depth=1
                                        ; =>  This Loop Header: Depth=2
                                        ;       Child Loop BB3510_38 Depth 3
	s_max_u32 s35, s7, 1
.LBB3510_38:                            ;   Parent Loop BB3510_34 Depth=1
                                        ;     Parent Loop BB3510_37 Depth=2
                                        ; =>    This Inner Loop Header: Depth=3
	s_add_i32 s35, s35, -1
	s_cmp_eq_u32 s35, 0
	s_sleep 1
	s_cbranch_scc0 .LBB3510_38
; %bb.39:                               ;   in Loop: Header=BB3510_37 Depth=2
	global_load_dwordx2 v[16:17], v[18:19], off glc
	s_cmp_lt_u32 s7, 32
	s_cselect_b64 s[46:47], -1, 0
	s_cmp_lg_u64 s[46:47], 0
	s_addc_u32 s7, s7, 0
	s_waitcnt vmcnt(0)
	v_cmp_ne_u16_sdwa s[46:47], v17, v13 src0_sel:BYTE_0 src1_sel:DWORD
	s_or_b64 s[44:45], s[46:47], s[44:45]
	s_andn2_b64 exec, exec, s[44:45]
	s_cbranch_execnz .LBB3510_37
; %bb.40:                               ;   in Loop: Header=BB3510_34 Depth=1
	s_or_b64 exec, exec, s[44:45]
	s_branch .LBB3510_33
.LBB3510_41:                            ;   in Loop: Header=BB3510_34 Depth=1
                                        ; implicit-def: $vgpr16
                                        ; implicit-def: $vgpr17
	s_cbranch_execz .LBB3510_34
; %bb.42:
	s_and_saveexec_b64 s[42:43], s[18:19]
	s_cbranch_execz .LBB3510_44
; %bb.43:
	s_add_i32 s6, s6, 64
	s_mov_b32 s7, 0
	s_lshl_b64 s[6:7], s[6:7], 3
	s_add_u32 s6, s38, s6
	v_add_u32_e32 v12, v11, v10
	v_mov_b32_e32 v13, 2
	s_addc_u32 s7, s39, s7
	v_mov_b32_e32 v14, 0
	global_store_dwordx2 v14, v[12:13], s[6:7]
	ds_write_b64 v14, v[10:11] offset:6336
.LBB3510_44:
	s_or_b64 exec, exec, s[42:43]
	v_cmp_eq_u32_e32 vcc, 0, v0
	s_and_b64 exec, exec, vcc
	s_cbranch_execz .LBB3510_46
; %bb.45:
	v_mov_b32_e32 v10, 0
	ds_write_b32 v10, v11 offset:8
.LBB3510_46:
	s_or_b64 exec, exec, s[40:41]
	v_mov_b32_e32 v10, 0
	s_waitcnt lgkmcnt(0)
	s_barrier
	ds_read_b32 v11, v10 offset:8
	v_cndmask_b32_e64 v12, v28, v27, s[18:19]
	v_cmp_ne_u32_e32 vcc, 0, v0
	v_cndmask_b32_e32 v12, 0, v12, vcc
	s_waitcnt lgkmcnt(0)
	v_add_u32_e32 v14, v11, v12
	s_barrier
	ds_read_b64 v[10:11], v10 offset:6336
	v_add_u32_sdwa v15, v14, v21 dst_sel:DWORD dst_unused:UNUSED_PAD src0_sel:DWORD src1_sel:BYTE_0
	v_add_u32_e32 v13, v15, v22
	v_add_u32_e32 v12, v13, v23
	s_load_dwordx2 s[4:5], s[4:5], 0x28
	s_branch .LBB3510_57
.LBB3510_47:
                                        ; implicit-def: $vgpr11
                                        ; implicit-def: $vgpr12
                                        ; implicit-def: $vgpr13
                                        ; implicit-def: $vgpr15
                                        ; implicit-def: $vgpr14
	s_load_dwordx2 s[4:5], s[4:5], 0x28
	s_cbranch_execz .LBB3510_57
; %bb.48:
	s_waitcnt lgkmcnt(0)
	v_mov_b32_dpp v10, v26 row_shr:1 row_mask:0xf bank_mask:0xf
	v_cndmask_b32_e64 v10, v10, 0, s[16:17]
	v_add_u32_e32 v10, v10, v26
	s_nop 1
	v_mov_b32_dpp v11, v10 row_shr:2 row_mask:0xf bank_mask:0xf
	v_cndmask_b32_e64 v11, 0, v11, s[14:15]
	v_add_u32_e32 v10, v10, v11
	s_nop 1
	;; [unrolled: 4-line block ×4, first 2 shown]
	v_mov_b32_dpp v11, v10 row_bcast:15 row_mask:0xf bank_mask:0xf
	v_cndmask_b32_e64 v11, v11, 0, s[20:21]
	v_add_u32_e32 v10, v10, v11
	s_nop 1
	v_mov_b32_dpp v11, v10 row_bcast:31 row_mask:0xf bank_mask:0xf
	v_cndmask_b32_e64 v11, 0, v11, s[2:3]
	v_add_u32_e32 v10, v10, v11
	s_and_saveexec_b64 s[2:3], s[8:9]
	s_cbranch_execz .LBB3510_50
; %bb.49:
	v_lshlrev_b32_e32 v11, 2, v25
	ds_write_b32 v11, v10
.LBB3510_50:
	s_or_b64 exec, exec, s[2:3]
	v_cmp_gt_u32_e32 vcc, 3, v0
	s_waitcnt lgkmcnt(0)
	s_barrier
	s_and_saveexec_b64 s[2:3], vcc
	s_cbranch_execz .LBB3510_52
; %bb.51:
	ds_read_b32 v11, v20
	v_and_b32_e32 v12, 3, v24
	v_cmp_ne_u32_e32 vcc, 0, v12
	s_waitcnt lgkmcnt(0)
	v_mov_b32_dpp v13, v11 row_shr:1 row_mask:0xf bank_mask:0xf
	v_cndmask_b32_e32 v13, 0, v13, vcc
	v_add_u32_e32 v11, v13, v11
	v_cmp_lt_u32_e32 vcc, 1, v12
	s_nop 0
	v_mov_b32_dpp v13, v11 row_shr:2 row_mask:0xf bank_mask:0xf
	v_cndmask_b32_e32 v12, 0, v13, vcc
	v_add_u32_e32 v11, v11, v12
	ds_write_b32 v20, v11
.LBB3510_52:
	s_or_b64 exec, exec, s[2:3]
	v_cmp_lt_u32_e32 vcc, 63, v0
	v_mov_b32_e32 v11, 0
	v_mov_b32_e32 v12, 0
	s_waitcnt lgkmcnt(0)
	s_barrier
	s_and_saveexec_b64 s[2:3], vcc
	s_cbranch_execz .LBB3510_54
; %bb.53:
	v_lshl_add_u32 v12, v25, 2, -4
	ds_read_b32 v12, v12
.LBB3510_54:
	s_or_b64 exec, exec, s[2:3]
	v_add_u32_e32 v13, -1, v24
	v_and_b32_e32 v14, 64, v24
	v_cmp_lt_i32_e32 vcc, v13, v14
	v_cndmask_b32_e32 v13, v13, v24, vcc
	s_waitcnt lgkmcnt(0)
	v_add_u32_e32 v10, v12, v10
	v_lshlrev_b32_e32 v13, 2, v13
	ds_bpermute_b32 v13, v13, v10
	ds_read_b32 v10, v11 offset:8
	v_cmp_eq_u32_e32 vcc, 0, v0
	s_and_saveexec_b64 s[2:3], vcc
	s_cbranch_execz .LBB3510_56
; %bb.55:
	v_mov_b32_e32 v14, 0
	v_mov_b32_e32 v11, 2
	s_waitcnt lgkmcnt(0)
	global_store_dwordx2 v14, v[10:11], s[38:39] offset:512
.LBB3510_56:
	s_or_b64 exec, exec, s[2:3]
	v_cmp_eq_u32_e64 s[2:3], 0, v24
	s_waitcnt lgkmcnt(1)
	v_cndmask_b32_e64 v12, v13, v12, s[2:3]
	v_cndmask_b32_e64 v14, v12, 0, vcc
	v_add_u32_sdwa v15, v14, v21 dst_sel:DWORD dst_unused:UNUSED_PAD src0_sel:DWORD src1_sel:BYTE_0
	v_add_u32_e32 v13, v15, v22
	v_mov_b32_e32 v11, 0
	v_add_u32_e32 v12, v13, v23
	s_waitcnt lgkmcnt(0)
	s_barrier
.LBB3510_57:
	s_waitcnt lgkmcnt(0)
	v_add_u32_e32 v17, v10, v20
	v_sub_u32_e32 v14, v14, v11
	v_and_b32_e32 v19, 1, v21
	v_sub_u32_e32 v18, v17, v14
	v_cmp_eq_u32_e32 vcc, 1, v19
	v_cndmask_b32_e32 v14, v18, v14, vcc
	v_lshlrev_b32_e32 v14, 3, v14
	v_lshrrev_b32_e32 v16, 8, v21
	ds_write_b64 v14, v[6:7]
	v_sub_u32_e32 v6, v15, v11
	v_sub_u32_e32 v7, v17, v6
	v_and_b32_e32 v14, 1, v16
	v_add_u32_e32 v7, 1, v7
	v_cmp_eq_u32_e32 vcc, 1, v14
	v_cndmask_b32_e32 v6, v7, v6, vcc
	v_lshlrev_b32_e32 v6, 3, v6
	ds_write_b64 v6, v[8:9]
	v_sub_u32_e32 v6, v13, v11
	v_mov_b32_e32 v8, 1
	v_sub_u32_e32 v7, v17, v6
	v_and_b32_sdwa v8, v8, v21 dst_sel:DWORD dst_unused:UNUSED_PAD src0_sel:DWORD src1_sel:WORD_1
	v_add_u32_e32 v7, 2, v7
	v_cmp_eq_u32_e32 vcc, 1, v8
	v_cndmask_b32_e32 v6, v7, v6, vcc
	v_lshlrev_b32_e32 v6, 3, v6
	ds_write_b64 v6, v[2:3]
	v_sub_u32_e32 v2, v12, v11
	v_sub_u32_e32 v3, v17, v2
	v_add_u32_e32 v3, 3, v3
	v_cndmask_b32_e64 v2, v3, v2, s[36:37]
	s_add_u32 s2, s22, s34
	v_lshlrev_b32_e32 v2, 3, v2
	s_addc_u32 s3, s23, 0
	ds_write_b64 v2, v[4:5]
	s_waitcnt lgkmcnt(0)
	s_barrier
	ds_read2st64_b64 v[6:9], v1 offset1:3
	ds_read2st64_b64 v[2:5], v1 offset0:6 offset1:9
	v_mov_b32_e32 v12, s31
	v_add_co_u32_e32 v1, vcc, s30, v11
	s_sub_u32 s2, s28, s2
	v_addc_co_u32_e32 v11, vcc, 0, v12, vcc
	s_subb_u32 s3, s29, s3
	v_mov_b32_e32 v12, s3
	v_add_co_u32_e32 v13, vcc, s2, v10
	v_addc_co_u32_e32 v12, vcc, 0, v12, vcc
	s_and_b64 vcc, exec, s[0:1]
	v_add_co_u32_e64 v15, s[0:1], v13, v1
	v_add_u32_e32 v18, 0xc0, v0
	v_add_u32_e32 v17, 0x180, v0
	;; [unrolled: 1-line block ×3, first 2 shown]
	v_addc_co_u32_e64 v16, s[0:1], v12, v11, s[0:1]
	s_cbranch_vccnz .LBB3510_75
; %bb.58:
	v_cmp_ge_u32_e32 vcc, v0, v10
                                        ; implicit-def: $vgpr12_vgpr13
	s_and_saveexec_b64 s[0:1], vcc
	s_xor_b64 s[0:1], exec, s[0:1]
; %bb.59:
	v_not_b32_e32 v12, v0
	v_ashrrev_i32_e32 v13, 31, v12
	v_add_co_u32_e32 v12, vcc, v15, v12
	v_addc_co_u32_e32 v13, vcc, v16, v13, vcc
; %bb.60:
	s_andn2_saveexec_b64 s[0:1], s[0:1]
; %bb.61:
	v_add_co_u32_e32 v12, vcc, v1, v0
	v_addc_co_u32_e32 v13, vcc, 0, v11, vcc
; %bb.62:
	s_or_b64 exec, exec, s[0:1]
	v_lshlrev_b64 v[12:13], 3, v[12:13]
	v_mov_b32_e32 v19, s5
	v_add_co_u32_e32 v12, vcc, s4, v12
	v_addc_co_u32_e32 v13, vcc, v19, v13, vcc
	v_cmp_ge_u32_e32 vcc, v18, v10
	s_waitcnt lgkmcnt(1)
	global_store_dwordx2 v[12:13], v[6:7], off
                                        ; implicit-def: $vgpr12_vgpr13
	s_and_saveexec_b64 s[0:1], vcc
	s_xor_b64 s[0:1], exec, s[0:1]
; %bb.63:
	v_sub_u32_e32 v12, 0xffffff3f, v0
	v_ashrrev_i32_e32 v13, 31, v12
	v_add_co_u32_e32 v12, vcc, v15, v12
	v_addc_co_u32_e32 v13, vcc, v16, v13, vcc
; %bb.64:
	s_andn2_saveexec_b64 s[0:1], s[0:1]
; %bb.65:
	v_add_co_u32_e32 v12, vcc, v1, v18
	v_addc_co_u32_e32 v13, vcc, 0, v11, vcc
; %bb.66:
	s_or_b64 exec, exec, s[0:1]
	v_lshlrev_b64 v[12:13], 3, v[12:13]
	v_mov_b32_e32 v19, s5
	v_add_co_u32_e32 v12, vcc, s4, v12
	v_addc_co_u32_e32 v13, vcc, v19, v13, vcc
	v_cmp_ge_u32_e32 vcc, v17, v10
	global_store_dwordx2 v[12:13], v[8:9], off
                                        ; implicit-def: $vgpr12_vgpr13
	s_and_saveexec_b64 s[0:1], vcc
	s_xor_b64 s[0:1], exec, s[0:1]
; %bb.67:
	v_sub_u32_e32 v12, 0xfffffe7f, v0
	v_ashrrev_i32_e32 v13, 31, v12
	v_add_co_u32_e32 v12, vcc, v15, v12
	v_addc_co_u32_e32 v13, vcc, v16, v13, vcc
; %bb.68:
	s_andn2_saveexec_b64 s[0:1], s[0:1]
; %bb.69:
	v_add_co_u32_e32 v12, vcc, v1, v17
	v_addc_co_u32_e32 v13, vcc, 0, v11, vcc
; %bb.70:
	s_or_b64 exec, exec, s[0:1]
	v_lshlrev_b64 v[12:13], 3, v[12:13]
	v_mov_b32_e32 v19, s5
	v_add_co_u32_e32 v12, vcc, s4, v12
	v_addc_co_u32_e32 v13, vcc, v19, v13, vcc
	v_cmp_ge_u32_e32 vcc, v14, v10
	s_waitcnt lgkmcnt(0)
	global_store_dwordx2 v[12:13], v[2:3], off
                                        ; implicit-def: $vgpr12_vgpr13
	s_and_saveexec_b64 s[0:1], vcc
	s_xor_b64 s[0:1], exec, s[0:1]
; %bb.71:
	v_sub_u32_e32 v12, 0xfffffdbf, v0
	v_ashrrev_i32_e32 v13, 31, v12
	v_add_co_u32_e32 v12, vcc, v15, v12
	v_addc_co_u32_e32 v13, vcc, v16, v13, vcc
; %bb.72:
	s_andn2_saveexec_b64 s[0:1], s[0:1]
; %bb.73:
	v_add_co_u32_e32 v12, vcc, v1, v14
	v_addc_co_u32_e32 v13, vcc, 0, v11, vcc
; %bb.74:
	s_or_b64 exec, exec, s[0:1]
	s_mov_b64 s[0:1], -1
	s_branch .LBB3510_101
.LBB3510_75:
	s_mov_b64 s[0:1], 0
                                        ; implicit-def: $vgpr12_vgpr13
	s_cbranch_execz .LBB3510_101
; %bb.76:
	v_cmp_gt_u32_e32 vcc, s33, v0
	s_and_saveexec_b64 s[2:3], vcc
	s_cbranch_execz .LBB3510_84
; %bb.77:
	v_cmp_ge_u32_e32 vcc, v0, v10
                                        ; implicit-def: $vgpr12_vgpr13
	s_and_saveexec_b64 s[6:7], vcc
	s_xor_b64 s[6:7], exec, s[6:7]
; %bb.78:
	v_not_b32_e32 v12, v0
	v_ashrrev_i32_e32 v13, 31, v12
	v_add_co_u32_e32 v12, vcc, v15, v12
	v_addc_co_u32_e32 v13, vcc, v16, v13, vcc
; %bb.79:
	s_andn2_saveexec_b64 s[6:7], s[6:7]
; %bb.80:
	v_add_co_u32_e32 v12, vcc, v1, v0
	v_addc_co_u32_e32 v13, vcc, 0, v11, vcc
; %bb.81:
	s_or_b64 exec, exec, s[6:7]
	v_lshlrev_b64 v[12:13], 3, v[12:13]
	v_mov_b32_e32 v19, s5
	v_add_co_u32_e32 v12, vcc, s4, v12
	v_addc_co_u32_e32 v13, vcc, v19, v13, vcc
	s_waitcnt lgkmcnt(1)
	global_store_dwordx2 v[12:13], v[6:7], off
	s_or_b64 exec, exec, s[2:3]
	v_cmp_gt_u32_e32 vcc, s33, v18
	s_and_saveexec_b64 s[2:3], vcc
	s_cbranch_execnz .LBB3510_85
.LBB3510_82:
	s_or_b64 exec, exec, s[2:3]
	v_cmp_gt_u32_e32 vcc, s33, v17
	s_and_saveexec_b64 s[2:3], vcc
	s_cbranch_execnz .LBB3510_90
.LBB3510_83:
	s_or_b64 exec, exec, s[2:3]
	v_cmp_gt_u32_e32 vcc, s33, v14
                                        ; implicit-def: $vgpr12_vgpr13
	s_and_saveexec_b64 s[2:3], vcc
	s_cbranch_execz .LBB3510_100
	s_branch .LBB3510_95
.LBB3510_84:
	s_or_b64 exec, exec, s[2:3]
	v_cmp_gt_u32_e32 vcc, s33, v18
	s_and_saveexec_b64 s[2:3], vcc
	s_cbranch_execz .LBB3510_82
.LBB3510_85:
	v_cmp_ge_u32_e32 vcc, v18, v10
                                        ; implicit-def: $vgpr6_vgpr7
	s_and_saveexec_b64 s[6:7], vcc
	s_xor_b64 s[6:7], exec, s[6:7]
	s_cbranch_execz .LBB3510_87
; %bb.86:
	s_waitcnt lgkmcnt(1)
	v_sub_u32_e32 v6, 0xffffff3f, v0
	v_ashrrev_i32_e32 v7, 31, v6
	v_add_co_u32_e32 v6, vcc, v15, v6
	v_addc_co_u32_e32 v7, vcc, v16, v7, vcc
                                        ; implicit-def: $vgpr18
.LBB3510_87:
	s_andn2_saveexec_b64 s[6:7], s[6:7]
	s_cbranch_execz .LBB3510_89
; %bb.88:
	s_waitcnt lgkmcnt(1)
	v_add_co_u32_e32 v6, vcc, v1, v18
	v_addc_co_u32_e32 v7, vcc, 0, v11, vcc
.LBB3510_89:
	s_or_b64 exec, exec, s[6:7]
	s_waitcnt lgkmcnt(1)
	v_lshlrev_b64 v[6:7], 3, v[6:7]
	v_mov_b32_e32 v12, s5
	v_add_co_u32_e32 v6, vcc, s4, v6
	v_addc_co_u32_e32 v7, vcc, v12, v7, vcc
	global_store_dwordx2 v[6:7], v[8:9], off
	s_or_b64 exec, exec, s[2:3]
	v_cmp_gt_u32_e32 vcc, s33, v17
	s_and_saveexec_b64 s[2:3], vcc
	s_cbranch_execz .LBB3510_83
.LBB3510_90:
	v_cmp_ge_u32_e32 vcc, v17, v10
                                        ; implicit-def: $vgpr6_vgpr7
	s_and_saveexec_b64 s[6:7], vcc
	s_xor_b64 s[6:7], exec, s[6:7]
	s_cbranch_execz .LBB3510_92
; %bb.91:
	s_waitcnt lgkmcnt(1)
	v_sub_u32_e32 v6, 0xfffffe7f, v0
	v_ashrrev_i32_e32 v7, 31, v6
	v_add_co_u32_e32 v6, vcc, v15, v6
	v_addc_co_u32_e32 v7, vcc, v16, v7, vcc
                                        ; implicit-def: $vgpr17
.LBB3510_92:
	s_andn2_saveexec_b64 s[6:7], s[6:7]
	s_cbranch_execz .LBB3510_94
; %bb.93:
	s_waitcnt lgkmcnt(1)
	v_add_co_u32_e32 v6, vcc, v1, v17
	v_addc_co_u32_e32 v7, vcc, 0, v11, vcc
.LBB3510_94:
	s_or_b64 exec, exec, s[6:7]
	s_waitcnt lgkmcnt(1)
	v_lshlrev_b64 v[6:7], 3, v[6:7]
	v_mov_b32_e32 v8, s5
	v_add_co_u32_e32 v6, vcc, s4, v6
	v_addc_co_u32_e32 v7, vcc, v8, v7, vcc
	s_waitcnt lgkmcnt(0)
	global_store_dwordx2 v[6:7], v[2:3], off
	s_or_b64 exec, exec, s[2:3]
	v_cmp_gt_u32_e32 vcc, s33, v14
                                        ; implicit-def: $vgpr12_vgpr13
	s_and_saveexec_b64 s[2:3], vcc
	s_cbranch_execz .LBB3510_100
.LBB3510_95:
	v_cmp_ge_u32_e32 vcc, v14, v10
                                        ; implicit-def: $vgpr12_vgpr13
	s_and_saveexec_b64 s[6:7], vcc
	s_xor_b64 s[6:7], exec, s[6:7]
	s_cbranch_execz .LBB3510_97
; %bb.96:
	s_waitcnt lgkmcnt(0)
	v_sub_u32_e32 v2, 0xfffffdbf, v0
	v_ashrrev_i32_e32 v3, 31, v2
	v_add_co_u32_e32 v12, vcc, v15, v2
	v_addc_co_u32_e32 v13, vcc, v16, v3, vcc
                                        ; implicit-def: $vgpr14
.LBB3510_97:
	s_andn2_saveexec_b64 s[6:7], s[6:7]
; %bb.98:
	v_add_co_u32_e32 v12, vcc, v1, v14
	v_addc_co_u32_e32 v13, vcc, 0, v11, vcc
; %bb.99:
	s_or_b64 exec, exec, s[6:7]
	s_or_b64 s[0:1], s[0:1], exec
.LBB3510_100:
	s_or_b64 exec, exec, s[2:3]
.LBB3510_101:
	s_and_saveexec_b64 s[2:3], s[0:1]
	s_cbranch_execz .LBB3510_103
; %bb.102:
	s_waitcnt lgkmcnt(0)
	v_lshlrev_b64 v[2:3], 3, v[12:13]
	v_mov_b32_e32 v6, s5
	v_add_co_u32_e32 v2, vcc, s4, v2
	v_addc_co_u32_e32 v3, vcc, v6, v3, vcc
	global_store_dwordx2 v[2:3], v[4:5], off
.LBB3510_103:
	s_or_b64 exec, exec, s[2:3]
	v_cmp_eq_u32_e32 vcc, 0, v0
	s_and_b64 s[0:1], vcc, s[26:27]
	s_and_saveexec_b64 s[2:3], s[0:1]
	s_cbranch_execz .LBB3510_105
; %bb.104:
	v_add_co_u32_e32 v0, vcc, v1, v10
	s_waitcnt lgkmcnt(0)
	v_mov_b32_e32 v2, 0
	v_addc_co_u32_e32 v1, vcc, 0, v11, vcc
	global_store_dwordx2 v2, v[0:1], s[24:25]
.LBB3510_105:
	s_endpgm
	.section	.rodata,"a",@progbits
	.p2align	6, 0x0
	.amdhsa_kernel _ZN7rocprim17ROCPRIM_400000_NS6detail17trampoline_kernelINS0_14default_configENS1_25partition_config_selectorILNS1_17partition_subalgoE3EN6thrust23THRUST_200600_302600_NS5tupleIiiNS7_9null_typeES9_S9_S9_S9_S9_S9_S9_EENS0_10empty_typeEbEEZZNS1_14partition_implILS5_3ELb0ES3_jNS7_6detail15normal_iteratorINS7_7pointerISA_NS7_11hip_rocprim3tagENS7_11use_defaultESJ_EEEEPSB_SM_NS0_5tupleIJPSA_SM_EEENSN_IJSM_SM_EEESB_PlJ10is_orderedEEE10hipError_tPvRmT3_T4_T5_T6_T7_T9_mT8_P12ihipStream_tbDpT10_ENKUlT_T0_E_clISt17integral_constantIbLb1EES1B_IbLb0EEEEDaS17_S18_EUlS17_E_NS1_11comp_targetILNS1_3genE4ELNS1_11target_archE910ELNS1_3gpuE8ELNS1_3repE0EEENS1_30default_config_static_selectorELNS0_4arch9wavefront6targetE1EEEvT1_
		.amdhsa_group_segment_fixed_size 6344
		.amdhsa_private_segment_fixed_size 0
		.amdhsa_kernarg_size 120
		.amdhsa_user_sgpr_count 6
		.amdhsa_user_sgpr_private_segment_buffer 1
		.amdhsa_user_sgpr_dispatch_ptr 0
		.amdhsa_user_sgpr_queue_ptr 0
		.amdhsa_user_sgpr_kernarg_segment_ptr 1
		.amdhsa_user_sgpr_dispatch_id 0
		.amdhsa_user_sgpr_flat_scratch_init 0
		.amdhsa_user_sgpr_kernarg_preload_length 0
		.amdhsa_user_sgpr_kernarg_preload_offset 0
		.amdhsa_user_sgpr_private_segment_size 0
		.amdhsa_uses_dynamic_stack 0
		.amdhsa_system_sgpr_private_segment_wavefront_offset 0
		.amdhsa_system_sgpr_workgroup_id_x 1
		.amdhsa_system_sgpr_workgroup_id_y 0
		.amdhsa_system_sgpr_workgroup_id_z 0
		.amdhsa_system_sgpr_workgroup_info 0
		.amdhsa_system_vgpr_workitem_id 0
		.amdhsa_next_free_vgpr 43
		.amdhsa_next_free_sgpr 48
		.amdhsa_accum_offset 44
		.amdhsa_reserve_vcc 1
		.amdhsa_reserve_flat_scratch 0
		.amdhsa_float_round_mode_32 0
		.amdhsa_float_round_mode_16_64 0
		.amdhsa_float_denorm_mode_32 3
		.amdhsa_float_denorm_mode_16_64 3
		.amdhsa_dx10_clamp 1
		.amdhsa_ieee_mode 1
		.amdhsa_fp16_overflow 0
		.amdhsa_tg_split 0
		.amdhsa_exception_fp_ieee_invalid_op 0
		.amdhsa_exception_fp_denorm_src 0
		.amdhsa_exception_fp_ieee_div_zero 0
		.amdhsa_exception_fp_ieee_overflow 0
		.amdhsa_exception_fp_ieee_underflow 0
		.amdhsa_exception_fp_ieee_inexact 0
		.amdhsa_exception_int_div_zero 0
	.end_amdhsa_kernel
	.section	.text._ZN7rocprim17ROCPRIM_400000_NS6detail17trampoline_kernelINS0_14default_configENS1_25partition_config_selectorILNS1_17partition_subalgoE3EN6thrust23THRUST_200600_302600_NS5tupleIiiNS7_9null_typeES9_S9_S9_S9_S9_S9_S9_EENS0_10empty_typeEbEEZZNS1_14partition_implILS5_3ELb0ES3_jNS7_6detail15normal_iteratorINS7_7pointerISA_NS7_11hip_rocprim3tagENS7_11use_defaultESJ_EEEEPSB_SM_NS0_5tupleIJPSA_SM_EEENSN_IJSM_SM_EEESB_PlJ10is_orderedEEE10hipError_tPvRmT3_T4_T5_T6_T7_T9_mT8_P12ihipStream_tbDpT10_ENKUlT_T0_E_clISt17integral_constantIbLb1EES1B_IbLb0EEEEDaS17_S18_EUlS17_E_NS1_11comp_targetILNS1_3genE4ELNS1_11target_archE910ELNS1_3gpuE8ELNS1_3repE0EEENS1_30default_config_static_selectorELNS0_4arch9wavefront6targetE1EEEvT1_,"axG",@progbits,_ZN7rocprim17ROCPRIM_400000_NS6detail17trampoline_kernelINS0_14default_configENS1_25partition_config_selectorILNS1_17partition_subalgoE3EN6thrust23THRUST_200600_302600_NS5tupleIiiNS7_9null_typeES9_S9_S9_S9_S9_S9_S9_EENS0_10empty_typeEbEEZZNS1_14partition_implILS5_3ELb0ES3_jNS7_6detail15normal_iteratorINS7_7pointerISA_NS7_11hip_rocprim3tagENS7_11use_defaultESJ_EEEEPSB_SM_NS0_5tupleIJPSA_SM_EEENSN_IJSM_SM_EEESB_PlJ10is_orderedEEE10hipError_tPvRmT3_T4_T5_T6_T7_T9_mT8_P12ihipStream_tbDpT10_ENKUlT_T0_E_clISt17integral_constantIbLb1EES1B_IbLb0EEEEDaS17_S18_EUlS17_E_NS1_11comp_targetILNS1_3genE4ELNS1_11target_archE910ELNS1_3gpuE8ELNS1_3repE0EEENS1_30default_config_static_selectorELNS0_4arch9wavefront6targetE1EEEvT1_,comdat
.Lfunc_end3510:
	.size	_ZN7rocprim17ROCPRIM_400000_NS6detail17trampoline_kernelINS0_14default_configENS1_25partition_config_selectorILNS1_17partition_subalgoE3EN6thrust23THRUST_200600_302600_NS5tupleIiiNS7_9null_typeES9_S9_S9_S9_S9_S9_S9_EENS0_10empty_typeEbEEZZNS1_14partition_implILS5_3ELb0ES3_jNS7_6detail15normal_iteratorINS7_7pointerISA_NS7_11hip_rocprim3tagENS7_11use_defaultESJ_EEEEPSB_SM_NS0_5tupleIJPSA_SM_EEENSN_IJSM_SM_EEESB_PlJ10is_orderedEEE10hipError_tPvRmT3_T4_T5_T6_T7_T9_mT8_P12ihipStream_tbDpT10_ENKUlT_T0_E_clISt17integral_constantIbLb1EES1B_IbLb0EEEEDaS17_S18_EUlS17_E_NS1_11comp_targetILNS1_3genE4ELNS1_11target_archE910ELNS1_3gpuE8ELNS1_3repE0EEENS1_30default_config_static_selectorELNS0_4arch9wavefront6targetE1EEEvT1_, .Lfunc_end3510-_ZN7rocprim17ROCPRIM_400000_NS6detail17trampoline_kernelINS0_14default_configENS1_25partition_config_selectorILNS1_17partition_subalgoE3EN6thrust23THRUST_200600_302600_NS5tupleIiiNS7_9null_typeES9_S9_S9_S9_S9_S9_S9_EENS0_10empty_typeEbEEZZNS1_14partition_implILS5_3ELb0ES3_jNS7_6detail15normal_iteratorINS7_7pointerISA_NS7_11hip_rocprim3tagENS7_11use_defaultESJ_EEEEPSB_SM_NS0_5tupleIJPSA_SM_EEENSN_IJSM_SM_EEESB_PlJ10is_orderedEEE10hipError_tPvRmT3_T4_T5_T6_T7_T9_mT8_P12ihipStream_tbDpT10_ENKUlT_T0_E_clISt17integral_constantIbLb1EES1B_IbLb0EEEEDaS17_S18_EUlS17_E_NS1_11comp_targetILNS1_3genE4ELNS1_11target_archE910ELNS1_3gpuE8ELNS1_3repE0EEENS1_30default_config_static_selectorELNS0_4arch9wavefront6targetE1EEEvT1_
                                        ; -- End function
	.section	.AMDGPU.csdata,"",@progbits
; Kernel info:
; codeLenInByte = 4160
; NumSgprs: 52
; NumVgprs: 43
; NumAgprs: 0
; TotalNumVgprs: 43
; ScratchSize: 0
; MemoryBound: 0
; FloatMode: 240
; IeeeMode: 1
; LDSByteSize: 6344 bytes/workgroup (compile time only)
; SGPRBlocks: 6
; VGPRBlocks: 5
; NumSGPRsForWavesPerEU: 52
; NumVGPRsForWavesPerEU: 43
; AccumOffset: 44
; Occupancy: 8
; WaveLimiterHint : 1
; COMPUTE_PGM_RSRC2:SCRATCH_EN: 0
; COMPUTE_PGM_RSRC2:USER_SGPR: 6
; COMPUTE_PGM_RSRC2:TRAP_HANDLER: 0
; COMPUTE_PGM_RSRC2:TGID_X_EN: 1
; COMPUTE_PGM_RSRC2:TGID_Y_EN: 0
; COMPUTE_PGM_RSRC2:TGID_Z_EN: 0
; COMPUTE_PGM_RSRC2:TIDIG_COMP_CNT: 0
; COMPUTE_PGM_RSRC3_GFX90A:ACCUM_OFFSET: 10
; COMPUTE_PGM_RSRC3_GFX90A:TG_SPLIT: 0
	.section	.text._ZN7rocprim17ROCPRIM_400000_NS6detail17trampoline_kernelINS0_14default_configENS1_25partition_config_selectorILNS1_17partition_subalgoE3EN6thrust23THRUST_200600_302600_NS5tupleIiiNS7_9null_typeES9_S9_S9_S9_S9_S9_S9_EENS0_10empty_typeEbEEZZNS1_14partition_implILS5_3ELb0ES3_jNS7_6detail15normal_iteratorINS7_7pointerISA_NS7_11hip_rocprim3tagENS7_11use_defaultESJ_EEEEPSB_SM_NS0_5tupleIJPSA_SM_EEENSN_IJSM_SM_EEESB_PlJ10is_orderedEEE10hipError_tPvRmT3_T4_T5_T6_T7_T9_mT8_P12ihipStream_tbDpT10_ENKUlT_T0_E_clISt17integral_constantIbLb1EES1B_IbLb0EEEEDaS17_S18_EUlS17_E_NS1_11comp_targetILNS1_3genE3ELNS1_11target_archE908ELNS1_3gpuE7ELNS1_3repE0EEENS1_30default_config_static_selectorELNS0_4arch9wavefront6targetE1EEEvT1_,"axG",@progbits,_ZN7rocprim17ROCPRIM_400000_NS6detail17trampoline_kernelINS0_14default_configENS1_25partition_config_selectorILNS1_17partition_subalgoE3EN6thrust23THRUST_200600_302600_NS5tupleIiiNS7_9null_typeES9_S9_S9_S9_S9_S9_S9_EENS0_10empty_typeEbEEZZNS1_14partition_implILS5_3ELb0ES3_jNS7_6detail15normal_iteratorINS7_7pointerISA_NS7_11hip_rocprim3tagENS7_11use_defaultESJ_EEEEPSB_SM_NS0_5tupleIJPSA_SM_EEENSN_IJSM_SM_EEESB_PlJ10is_orderedEEE10hipError_tPvRmT3_T4_T5_T6_T7_T9_mT8_P12ihipStream_tbDpT10_ENKUlT_T0_E_clISt17integral_constantIbLb1EES1B_IbLb0EEEEDaS17_S18_EUlS17_E_NS1_11comp_targetILNS1_3genE3ELNS1_11target_archE908ELNS1_3gpuE7ELNS1_3repE0EEENS1_30default_config_static_selectorELNS0_4arch9wavefront6targetE1EEEvT1_,comdat
	.protected	_ZN7rocprim17ROCPRIM_400000_NS6detail17trampoline_kernelINS0_14default_configENS1_25partition_config_selectorILNS1_17partition_subalgoE3EN6thrust23THRUST_200600_302600_NS5tupleIiiNS7_9null_typeES9_S9_S9_S9_S9_S9_S9_EENS0_10empty_typeEbEEZZNS1_14partition_implILS5_3ELb0ES3_jNS7_6detail15normal_iteratorINS7_7pointerISA_NS7_11hip_rocprim3tagENS7_11use_defaultESJ_EEEEPSB_SM_NS0_5tupleIJPSA_SM_EEENSN_IJSM_SM_EEESB_PlJ10is_orderedEEE10hipError_tPvRmT3_T4_T5_T6_T7_T9_mT8_P12ihipStream_tbDpT10_ENKUlT_T0_E_clISt17integral_constantIbLb1EES1B_IbLb0EEEEDaS17_S18_EUlS17_E_NS1_11comp_targetILNS1_3genE3ELNS1_11target_archE908ELNS1_3gpuE7ELNS1_3repE0EEENS1_30default_config_static_selectorELNS0_4arch9wavefront6targetE1EEEvT1_ ; -- Begin function _ZN7rocprim17ROCPRIM_400000_NS6detail17trampoline_kernelINS0_14default_configENS1_25partition_config_selectorILNS1_17partition_subalgoE3EN6thrust23THRUST_200600_302600_NS5tupleIiiNS7_9null_typeES9_S9_S9_S9_S9_S9_S9_EENS0_10empty_typeEbEEZZNS1_14partition_implILS5_3ELb0ES3_jNS7_6detail15normal_iteratorINS7_7pointerISA_NS7_11hip_rocprim3tagENS7_11use_defaultESJ_EEEEPSB_SM_NS0_5tupleIJPSA_SM_EEENSN_IJSM_SM_EEESB_PlJ10is_orderedEEE10hipError_tPvRmT3_T4_T5_T6_T7_T9_mT8_P12ihipStream_tbDpT10_ENKUlT_T0_E_clISt17integral_constantIbLb1EES1B_IbLb0EEEEDaS17_S18_EUlS17_E_NS1_11comp_targetILNS1_3genE3ELNS1_11target_archE908ELNS1_3gpuE7ELNS1_3repE0EEENS1_30default_config_static_selectorELNS0_4arch9wavefront6targetE1EEEvT1_
	.globl	_ZN7rocprim17ROCPRIM_400000_NS6detail17trampoline_kernelINS0_14default_configENS1_25partition_config_selectorILNS1_17partition_subalgoE3EN6thrust23THRUST_200600_302600_NS5tupleIiiNS7_9null_typeES9_S9_S9_S9_S9_S9_S9_EENS0_10empty_typeEbEEZZNS1_14partition_implILS5_3ELb0ES3_jNS7_6detail15normal_iteratorINS7_7pointerISA_NS7_11hip_rocprim3tagENS7_11use_defaultESJ_EEEEPSB_SM_NS0_5tupleIJPSA_SM_EEENSN_IJSM_SM_EEESB_PlJ10is_orderedEEE10hipError_tPvRmT3_T4_T5_T6_T7_T9_mT8_P12ihipStream_tbDpT10_ENKUlT_T0_E_clISt17integral_constantIbLb1EES1B_IbLb0EEEEDaS17_S18_EUlS17_E_NS1_11comp_targetILNS1_3genE3ELNS1_11target_archE908ELNS1_3gpuE7ELNS1_3repE0EEENS1_30default_config_static_selectorELNS0_4arch9wavefront6targetE1EEEvT1_
	.p2align	8
	.type	_ZN7rocprim17ROCPRIM_400000_NS6detail17trampoline_kernelINS0_14default_configENS1_25partition_config_selectorILNS1_17partition_subalgoE3EN6thrust23THRUST_200600_302600_NS5tupleIiiNS7_9null_typeES9_S9_S9_S9_S9_S9_S9_EENS0_10empty_typeEbEEZZNS1_14partition_implILS5_3ELb0ES3_jNS7_6detail15normal_iteratorINS7_7pointerISA_NS7_11hip_rocprim3tagENS7_11use_defaultESJ_EEEEPSB_SM_NS0_5tupleIJPSA_SM_EEENSN_IJSM_SM_EEESB_PlJ10is_orderedEEE10hipError_tPvRmT3_T4_T5_T6_T7_T9_mT8_P12ihipStream_tbDpT10_ENKUlT_T0_E_clISt17integral_constantIbLb1EES1B_IbLb0EEEEDaS17_S18_EUlS17_E_NS1_11comp_targetILNS1_3genE3ELNS1_11target_archE908ELNS1_3gpuE7ELNS1_3repE0EEENS1_30default_config_static_selectorELNS0_4arch9wavefront6targetE1EEEvT1_,@function
_ZN7rocprim17ROCPRIM_400000_NS6detail17trampoline_kernelINS0_14default_configENS1_25partition_config_selectorILNS1_17partition_subalgoE3EN6thrust23THRUST_200600_302600_NS5tupleIiiNS7_9null_typeES9_S9_S9_S9_S9_S9_S9_EENS0_10empty_typeEbEEZZNS1_14partition_implILS5_3ELb0ES3_jNS7_6detail15normal_iteratorINS7_7pointerISA_NS7_11hip_rocprim3tagENS7_11use_defaultESJ_EEEEPSB_SM_NS0_5tupleIJPSA_SM_EEENSN_IJSM_SM_EEESB_PlJ10is_orderedEEE10hipError_tPvRmT3_T4_T5_T6_T7_T9_mT8_P12ihipStream_tbDpT10_ENKUlT_T0_E_clISt17integral_constantIbLb1EES1B_IbLb0EEEEDaS17_S18_EUlS17_E_NS1_11comp_targetILNS1_3genE3ELNS1_11target_archE908ELNS1_3gpuE7ELNS1_3repE0EEENS1_30default_config_static_selectorELNS0_4arch9wavefront6targetE1EEEvT1_: ; @_ZN7rocprim17ROCPRIM_400000_NS6detail17trampoline_kernelINS0_14default_configENS1_25partition_config_selectorILNS1_17partition_subalgoE3EN6thrust23THRUST_200600_302600_NS5tupleIiiNS7_9null_typeES9_S9_S9_S9_S9_S9_S9_EENS0_10empty_typeEbEEZZNS1_14partition_implILS5_3ELb0ES3_jNS7_6detail15normal_iteratorINS7_7pointerISA_NS7_11hip_rocprim3tagENS7_11use_defaultESJ_EEEEPSB_SM_NS0_5tupleIJPSA_SM_EEENSN_IJSM_SM_EEESB_PlJ10is_orderedEEE10hipError_tPvRmT3_T4_T5_T6_T7_T9_mT8_P12ihipStream_tbDpT10_ENKUlT_T0_E_clISt17integral_constantIbLb1EES1B_IbLb0EEEEDaS17_S18_EUlS17_E_NS1_11comp_targetILNS1_3genE3ELNS1_11target_archE908ELNS1_3gpuE7ELNS1_3repE0EEENS1_30default_config_static_selectorELNS0_4arch9wavefront6targetE1EEEvT1_
; %bb.0:
	.section	.rodata,"a",@progbits
	.p2align	6, 0x0
	.amdhsa_kernel _ZN7rocprim17ROCPRIM_400000_NS6detail17trampoline_kernelINS0_14default_configENS1_25partition_config_selectorILNS1_17partition_subalgoE3EN6thrust23THRUST_200600_302600_NS5tupleIiiNS7_9null_typeES9_S9_S9_S9_S9_S9_S9_EENS0_10empty_typeEbEEZZNS1_14partition_implILS5_3ELb0ES3_jNS7_6detail15normal_iteratorINS7_7pointerISA_NS7_11hip_rocprim3tagENS7_11use_defaultESJ_EEEEPSB_SM_NS0_5tupleIJPSA_SM_EEENSN_IJSM_SM_EEESB_PlJ10is_orderedEEE10hipError_tPvRmT3_T4_T5_T6_T7_T9_mT8_P12ihipStream_tbDpT10_ENKUlT_T0_E_clISt17integral_constantIbLb1EES1B_IbLb0EEEEDaS17_S18_EUlS17_E_NS1_11comp_targetILNS1_3genE3ELNS1_11target_archE908ELNS1_3gpuE7ELNS1_3repE0EEENS1_30default_config_static_selectorELNS0_4arch9wavefront6targetE1EEEvT1_
		.amdhsa_group_segment_fixed_size 0
		.amdhsa_private_segment_fixed_size 0
		.amdhsa_kernarg_size 120
		.amdhsa_user_sgpr_count 6
		.amdhsa_user_sgpr_private_segment_buffer 1
		.amdhsa_user_sgpr_dispatch_ptr 0
		.amdhsa_user_sgpr_queue_ptr 0
		.amdhsa_user_sgpr_kernarg_segment_ptr 1
		.amdhsa_user_sgpr_dispatch_id 0
		.amdhsa_user_sgpr_flat_scratch_init 0
		.amdhsa_user_sgpr_kernarg_preload_length 0
		.amdhsa_user_sgpr_kernarg_preload_offset 0
		.amdhsa_user_sgpr_private_segment_size 0
		.amdhsa_uses_dynamic_stack 0
		.amdhsa_system_sgpr_private_segment_wavefront_offset 0
		.amdhsa_system_sgpr_workgroup_id_x 1
		.amdhsa_system_sgpr_workgroup_id_y 0
		.amdhsa_system_sgpr_workgroup_id_z 0
		.amdhsa_system_sgpr_workgroup_info 0
		.amdhsa_system_vgpr_workitem_id 0
		.amdhsa_next_free_vgpr 1
		.amdhsa_next_free_sgpr 0
		.amdhsa_accum_offset 4
		.amdhsa_reserve_vcc 0
		.amdhsa_reserve_flat_scratch 0
		.amdhsa_float_round_mode_32 0
		.amdhsa_float_round_mode_16_64 0
		.amdhsa_float_denorm_mode_32 3
		.amdhsa_float_denorm_mode_16_64 3
		.amdhsa_dx10_clamp 1
		.amdhsa_ieee_mode 1
		.amdhsa_fp16_overflow 0
		.amdhsa_tg_split 0
		.amdhsa_exception_fp_ieee_invalid_op 0
		.amdhsa_exception_fp_denorm_src 0
		.amdhsa_exception_fp_ieee_div_zero 0
		.amdhsa_exception_fp_ieee_overflow 0
		.amdhsa_exception_fp_ieee_underflow 0
		.amdhsa_exception_fp_ieee_inexact 0
		.amdhsa_exception_int_div_zero 0
	.end_amdhsa_kernel
	.section	.text._ZN7rocprim17ROCPRIM_400000_NS6detail17trampoline_kernelINS0_14default_configENS1_25partition_config_selectorILNS1_17partition_subalgoE3EN6thrust23THRUST_200600_302600_NS5tupleIiiNS7_9null_typeES9_S9_S9_S9_S9_S9_S9_EENS0_10empty_typeEbEEZZNS1_14partition_implILS5_3ELb0ES3_jNS7_6detail15normal_iteratorINS7_7pointerISA_NS7_11hip_rocprim3tagENS7_11use_defaultESJ_EEEEPSB_SM_NS0_5tupleIJPSA_SM_EEENSN_IJSM_SM_EEESB_PlJ10is_orderedEEE10hipError_tPvRmT3_T4_T5_T6_T7_T9_mT8_P12ihipStream_tbDpT10_ENKUlT_T0_E_clISt17integral_constantIbLb1EES1B_IbLb0EEEEDaS17_S18_EUlS17_E_NS1_11comp_targetILNS1_3genE3ELNS1_11target_archE908ELNS1_3gpuE7ELNS1_3repE0EEENS1_30default_config_static_selectorELNS0_4arch9wavefront6targetE1EEEvT1_,"axG",@progbits,_ZN7rocprim17ROCPRIM_400000_NS6detail17trampoline_kernelINS0_14default_configENS1_25partition_config_selectorILNS1_17partition_subalgoE3EN6thrust23THRUST_200600_302600_NS5tupleIiiNS7_9null_typeES9_S9_S9_S9_S9_S9_S9_EENS0_10empty_typeEbEEZZNS1_14partition_implILS5_3ELb0ES3_jNS7_6detail15normal_iteratorINS7_7pointerISA_NS7_11hip_rocprim3tagENS7_11use_defaultESJ_EEEEPSB_SM_NS0_5tupleIJPSA_SM_EEENSN_IJSM_SM_EEESB_PlJ10is_orderedEEE10hipError_tPvRmT3_T4_T5_T6_T7_T9_mT8_P12ihipStream_tbDpT10_ENKUlT_T0_E_clISt17integral_constantIbLb1EES1B_IbLb0EEEEDaS17_S18_EUlS17_E_NS1_11comp_targetILNS1_3genE3ELNS1_11target_archE908ELNS1_3gpuE7ELNS1_3repE0EEENS1_30default_config_static_selectorELNS0_4arch9wavefront6targetE1EEEvT1_,comdat
.Lfunc_end3511:
	.size	_ZN7rocprim17ROCPRIM_400000_NS6detail17trampoline_kernelINS0_14default_configENS1_25partition_config_selectorILNS1_17partition_subalgoE3EN6thrust23THRUST_200600_302600_NS5tupleIiiNS7_9null_typeES9_S9_S9_S9_S9_S9_S9_EENS0_10empty_typeEbEEZZNS1_14partition_implILS5_3ELb0ES3_jNS7_6detail15normal_iteratorINS7_7pointerISA_NS7_11hip_rocprim3tagENS7_11use_defaultESJ_EEEEPSB_SM_NS0_5tupleIJPSA_SM_EEENSN_IJSM_SM_EEESB_PlJ10is_orderedEEE10hipError_tPvRmT3_T4_T5_T6_T7_T9_mT8_P12ihipStream_tbDpT10_ENKUlT_T0_E_clISt17integral_constantIbLb1EES1B_IbLb0EEEEDaS17_S18_EUlS17_E_NS1_11comp_targetILNS1_3genE3ELNS1_11target_archE908ELNS1_3gpuE7ELNS1_3repE0EEENS1_30default_config_static_selectorELNS0_4arch9wavefront6targetE1EEEvT1_, .Lfunc_end3511-_ZN7rocprim17ROCPRIM_400000_NS6detail17trampoline_kernelINS0_14default_configENS1_25partition_config_selectorILNS1_17partition_subalgoE3EN6thrust23THRUST_200600_302600_NS5tupleIiiNS7_9null_typeES9_S9_S9_S9_S9_S9_S9_EENS0_10empty_typeEbEEZZNS1_14partition_implILS5_3ELb0ES3_jNS7_6detail15normal_iteratorINS7_7pointerISA_NS7_11hip_rocprim3tagENS7_11use_defaultESJ_EEEEPSB_SM_NS0_5tupleIJPSA_SM_EEENSN_IJSM_SM_EEESB_PlJ10is_orderedEEE10hipError_tPvRmT3_T4_T5_T6_T7_T9_mT8_P12ihipStream_tbDpT10_ENKUlT_T0_E_clISt17integral_constantIbLb1EES1B_IbLb0EEEEDaS17_S18_EUlS17_E_NS1_11comp_targetILNS1_3genE3ELNS1_11target_archE908ELNS1_3gpuE7ELNS1_3repE0EEENS1_30default_config_static_selectorELNS0_4arch9wavefront6targetE1EEEvT1_
                                        ; -- End function
	.section	.AMDGPU.csdata,"",@progbits
; Kernel info:
; codeLenInByte = 0
; NumSgprs: 4
; NumVgprs: 0
; NumAgprs: 0
; TotalNumVgprs: 0
; ScratchSize: 0
; MemoryBound: 0
; FloatMode: 240
; IeeeMode: 1
; LDSByteSize: 0 bytes/workgroup (compile time only)
; SGPRBlocks: 0
; VGPRBlocks: 0
; NumSGPRsForWavesPerEU: 4
; NumVGPRsForWavesPerEU: 1
; AccumOffset: 4
; Occupancy: 8
; WaveLimiterHint : 0
; COMPUTE_PGM_RSRC2:SCRATCH_EN: 0
; COMPUTE_PGM_RSRC2:USER_SGPR: 6
; COMPUTE_PGM_RSRC2:TRAP_HANDLER: 0
; COMPUTE_PGM_RSRC2:TGID_X_EN: 1
; COMPUTE_PGM_RSRC2:TGID_Y_EN: 0
; COMPUTE_PGM_RSRC2:TGID_Z_EN: 0
; COMPUTE_PGM_RSRC2:TIDIG_COMP_CNT: 0
; COMPUTE_PGM_RSRC3_GFX90A:ACCUM_OFFSET: 0
; COMPUTE_PGM_RSRC3_GFX90A:TG_SPLIT: 0
	.section	.text._ZN7rocprim17ROCPRIM_400000_NS6detail17trampoline_kernelINS0_14default_configENS1_25partition_config_selectorILNS1_17partition_subalgoE3EN6thrust23THRUST_200600_302600_NS5tupleIiiNS7_9null_typeES9_S9_S9_S9_S9_S9_S9_EENS0_10empty_typeEbEEZZNS1_14partition_implILS5_3ELb0ES3_jNS7_6detail15normal_iteratorINS7_7pointerISA_NS7_11hip_rocprim3tagENS7_11use_defaultESJ_EEEEPSB_SM_NS0_5tupleIJPSA_SM_EEENSN_IJSM_SM_EEESB_PlJ10is_orderedEEE10hipError_tPvRmT3_T4_T5_T6_T7_T9_mT8_P12ihipStream_tbDpT10_ENKUlT_T0_E_clISt17integral_constantIbLb1EES1B_IbLb0EEEEDaS17_S18_EUlS17_E_NS1_11comp_targetILNS1_3genE2ELNS1_11target_archE906ELNS1_3gpuE6ELNS1_3repE0EEENS1_30default_config_static_selectorELNS0_4arch9wavefront6targetE1EEEvT1_,"axG",@progbits,_ZN7rocprim17ROCPRIM_400000_NS6detail17trampoline_kernelINS0_14default_configENS1_25partition_config_selectorILNS1_17partition_subalgoE3EN6thrust23THRUST_200600_302600_NS5tupleIiiNS7_9null_typeES9_S9_S9_S9_S9_S9_S9_EENS0_10empty_typeEbEEZZNS1_14partition_implILS5_3ELb0ES3_jNS7_6detail15normal_iteratorINS7_7pointerISA_NS7_11hip_rocprim3tagENS7_11use_defaultESJ_EEEEPSB_SM_NS0_5tupleIJPSA_SM_EEENSN_IJSM_SM_EEESB_PlJ10is_orderedEEE10hipError_tPvRmT3_T4_T5_T6_T7_T9_mT8_P12ihipStream_tbDpT10_ENKUlT_T0_E_clISt17integral_constantIbLb1EES1B_IbLb0EEEEDaS17_S18_EUlS17_E_NS1_11comp_targetILNS1_3genE2ELNS1_11target_archE906ELNS1_3gpuE6ELNS1_3repE0EEENS1_30default_config_static_selectorELNS0_4arch9wavefront6targetE1EEEvT1_,comdat
	.protected	_ZN7rocprim17ROCPRIM_400000_NS6detail17trampoline_kernelINS0_14default_configENS1_25partition_config_selectorILNS1_17partition_subalgoE3EN6thrust23THRUST_200600_302600_NS5tupleIiiNS7_9null_typeES9_S9_S9_S9_S9_S9_S9_EENS0_10empty_typeEbEEZZNS1_14partition_implILS5_3ELb0ES3_jNS7_6detail15normal_iteratorINS7_7pointerISA_NS7_11hip_rocprim3tagENS7_11use_defaultESJ_EEEEPSB_SM_NS0_5tupleIJPSA_SM_EEENSN_IJSM_SM_EEESB_PlJ10is_orderedEEE10hipError_tPvRmT3_T4_T5_T6_T7_T9_mT8_P12ihipStream_tbDpT10_ENKUlT_T0_E_clISt17integral_constantIbLb1EES1B_IbLb0EEEEDaS17_S18_EUlS17_E_NS1_11comp_targetILNS1_3genE2ELNS1_11target_archE906ELNS1_3gpuE6ELNS1_3repE0EEENS1_30default_config_static_selectorELNS0_4arch9wavefront6targetE1EEEvT1_ ; -- Begin function _ZN7rocprim17ROCPRIM_400000_NS6detail17trampoline_kernelINS0_14default_configENS1_25partition_config_selectorILNS1_17partition_subalgoE3EN6thrust23THRUST_200600_302600_NS5tupleIiiNS7_9null_typeES9_S9_S9_S9_S9_S9_S9_EENS0_10empty_typeEbEEZZNS1_14partition_implILS5_3ELb0ES3_jNS7_6detail15normal_iteratorINS7_7pointerISA_NS7_11hip_rocprim3tagENS7_11use_defaultESJ_EEEEPSB_SM_NS0_5tupleIJPSA_SM_EEENSN_IJSM_SM_EEESB_PlJ10is_orderedEEE10hipError_tPvRmT3_T4_T5_T6_T7_T9_mT8_P12ihipStream_tbDpT10_ENKUlT_T0_E_clISt17integral_constantIbLb1EES1B_IbLb0EEEEDaS17_S18_EUlS17_E_NS1_11comp_targetILNS1_3genE2ELNS1_11target_archE906ELNS1_3gpuE6ELNS1_3repE0EEENS1_30default_config_static_selectorELNS0_4arch9wavefront6targetE1EEEvT1_
	.globl	_ZN7rocprim17ROCPRIM_400000_NS6detail17trampoline_kernelINS0_14default_configENS1_25partition_config_selectorILNS1_17partition_subalgoE3EN6thrust23THRUST_200600_302600_NS5tupleIiiNS7_9null_typeES9_S9_S9_S9_S9_S9_S9_EENS0_10empty_typeEbEEZZNS1_14partition_implILS5_3ELb0ES3_jNS7_6detail15normal_iteratorINS7_7pointerISA_NS7_11hip_rocprim3tagENS7_11use_defaultESJ_EEEEPSB_SM_NS0_5tupleIJPSA_SM_EEENSN_IJSM_SM_EEESB_PlJ10is_orderedEEE10hipError_tPvRmT3_T4_T5_T6_T7_T9_mT8_P12ihipStream_tbDpT10_ENKUlT_T0_E_clISt17integral_constantIbLb1EES1B_IbLb0EEEEDaS17_S18_EUlS17_E_NS1_11comp_targetILNS1_3genE2ELNS1_11target_archE906ELNS1_3gpuE6ELNS1_3repE0EEENS1_30default_config_static_selectorELNS0_4arch9wavefront6targetE1EEEvT1_
	.p2align	8
	.type	_ZN7rocprim17ROCPRIM_400000_NS6detail17trampoline_kernelINS0_14default_configENS1_25partition_config_selectorILNS1_17partition_subalgoE3EN6thrust23THRUST_200600_302600_NS5tupleIiiNS7_9null_typeES9_S9_S9_S9_S9_S9_S9_EENS0_10empty_typeEbEEZZNS1_14partition_implILS5_3ELb0ES3_jNS7_6detail15normal_iteratorINS7_7pointerISA_NS7_11hip_rocprim3tagENS7_11use_defaultESJ_EEEEPSB_SM_NS0_5tupleIJPSA_SM_EEENSN_IJSM_SM_EEESB_PlJ10is_orderedEEE10hipError_tPvRmT3_T4_T5_T6_T7_T9_mT8_P12ihipStream_tbDpT10_ENKUlT_T0_E_clISt17integral_constantIbLb1EES1B_IbLb0EEEEDaS17_S18_EUlS17_E_NS1_11comp_targetILNS1_3genE2ELNS1_11target_archE906ELNS1_3gpuE6ELNS1_3repE0EEENS1_30default_config_static_selectorELNS0_4arch9wavefront6targetE1EEEvT1_,@function
_ZN7rocprim17ROCPRIM_400000_NS6detail17trampoline_kernelINS0_14default_configENS1_25partition_config_selectorILNS1_17partition_subalgoE3EN6thrust23THRUST_200600_302600_NS5tupleIiiNS7_9null_typeES9_S9_S9_S9_S9_S9_S9_EENS0_10empty_typeEbEEZZNS1_14partition_implILS5_3ELb0ES3_jNS7_6detail15normal_iteratorINS7_7pointerISA_NS7_11hip_rocprim3tagENS7_11use_defaultESJ_EEEEPSB_SM_NS0_5tupleIJPSA_SM_EEENSN_IJSM_SM_EEESB_PlJ10is_orderedEEE10hipError_tPvRmT3_T4_T5_T6_T7_T9_mT8_P12ihipStream_tbDpT10_ENKUlT_T0_E_clISt17integral_constantIbLb1EES1B_IbLb0EEEEDaS17_S18_EUlS17_E_NS1_11comp_targetILNS1_3genE2ELNS1_11target_archE906ELNS1_3gpuE6ELNS1_3repE0EEENS1_30default_config_static_selectorELNS0_4arch9wavefront6targetE1EEEvT1_: ; @_ZN7rocprim17ROCPRIM_400000_NS6detail17trampoline_kernelINS0_14default_configENS1_25partition_config_selectorILNS1_17partition_subalgoE3EN6thrust23THRUST_200600_302600_NS5tupleIiiNS7_9null_typeES9_S9_S9_S9_S9_S9_S9_EENS0_10empty_typeEbEEZZNS1_14partition_implILS5_3ELb0ES3_jNS7_6detail15normal_iteratorINS7_7pointerISA_NS7_11hip_rocprim3tagENS7_11use_defaultESJ_EEEEPSB_SM_NS0_5tupleIJPSA_SM_EEENSN_IJSM_SM_EEESB_PlJ10is_orderedEEE10hipError_tPvRmT3_T4_T5_T6_T7_T9_mT8_P12ihipStream_tbDpT10_ENKUlT_T0_E_clISt17integral_constantIbLb1EES1B_IbLb0EEEEDaS17_S18_EUlS17_E_NS1_11comp_targetILNS1_3genE2ELNS1_11target_archE906ELNS1_3gpuE6ELNS1_3repE0EEENS1_30default_config_static_selectorELNS0_4arch9wavefront6targetE1EEEvT1_
; %bb.0:
	.section	.rodata,"a",@progbits
	.p2align	6, 0x0
	.amdhsa_kernel _ZN7rocprim17ROCPRIM_400000_NS6detail17trampoline_kernelINS0_14default_configENS1_25partition_config_selectorILNS1_17partition_subalgoE3EN6thrust23THRUST_200600_302600_NS5tupleIiiNS7_9null_typeES9_S9_S9_S9_S9_S9_S9_EENS0_10empty_typeEbEEZZNS1_14partition_implILS5_3ELb0ES3_jNS7_6detail15normal_iteratorINS7_7pointerISA_NS7_11hip_rocprim3tagENS7_11use_defaultESJ_EEEEPSB_SM_NS0_5tupleIJPSA_SM_EEENSN_IJSM_SM_EEESB_PlJ10is_orderedEEE10hipError_tPvRmT3_T4_T5_T6_T7_T9_mT8_P12ihipStream_tbDpT10_ENKUlT_T0_E_clISt17integral_constantIbLb1EES1B_IbLb0EEEEDaS17_S18_EUlS17_E_NS1_11comp_targetILNS1_3genE2ELNS1_11target_archE906ELNS1_3gpuE6ELNS1_3repE0EEENS1_30default_config_static_selectorELNS0_4arch9wavefront6targetE1EEEvT1_
		.amdhsa_group_segment_fixed_size 0
		.amdhsa_private_segment_fixed_size 0
		.amdhsa_kernarg_size 120
		.amdhsa_user_sgpr_count 6
		.amdhsa_user_sgpr_private_segment_buffer 1
		.amdhsa_user_sgpr_dispatch_ptr 0
		.amdhsa_user_sgpr_queue_ptr 0
		.amdhsa_user_sgpr_kernarg_segment_ptr 1
		.amdhsa_user_sgpr_dispatch_id 0
		.amdhsa_user_sgpr_flat_scratch_init 0
		.amdhsa_user_sgpr_kernarg_preload_length 0
		.amdhsa_user_sgpr_kernarg_preload_offset 0
		.amdhsa_user_sgpr_private_segment_size 0
		.amdhsa_uses_dynamic_stack 0
		.amdhsa_system_sgpr_private_segment_wavefront_offset 0
		.amdhsa_system_sgpr_workgroup_id_x 1
		.amdhsa_system_sgpr_workgroup_id_y 0
		.amdhsa_system_sgpr_workgroup_id_z 0
		.amdhsa_system_sgpr_workgroup_info 0
		.amdhsa_system_vgpr_workitem_id 0
		.amdhsa_next_free_vgpr 1
		.amdhsa_next_free_sgpr 0
		.amdhsa_accum_offset 4
		.amdhsa_reserve_vcc 0
		.amdhsa_reserve_flat_scratch 0
		.amdhsa_float_round_mode_32 0
		.amdhsa_float_round_mode_16_64 0
		.amdhsa_float_denorm_mode_32 3
		.amdhsa_float_denorm_mode_16_64 3
		.amdhsa_dx10_clamp 1
		.amdhsa_ieee_mode 1
		.amdhsa_fp16_overflow 0
		.amdhsa_tg_split 0
		.amdhsa_exception_fp_ieee_invalid_op 0
		.amdhsa_exception_fp_denorm_src 0
		.amdhsa_exception_fp_ieee_div_zero 0
		.amdhsa_exception_fp_ieee_overflow 0
		.amdhsa_exception_fp_ieee_underflow 0
		.amdhsa_exception_fp_ieee_inexact 0
		.amdhsa_exception_int_div_zero 0
	.end_amdhsa_kernel
	.section	.text._ZN7rocprim17ROCPRIM_400000_NS6detail17trampoline_kernelINS0_14default_configENS1_25partition_config_selectorILNS1_17partition_subalgoE3EN6thrust23THRUST_200600_302600_NS5tupleIiiNS7_9null_typeES9_S9_S9_S9_S9_S9_S9_EENS0_10empty_typeEbEEZZNS1_14partition_implILS5_3ELb0ES3_jNS7_6detail15normal_iteratorINS7_7pointerISA_NS7_11hip_rocprim3tagENS7_11use_defaultESJ_EEEEPSB_SM_NS0_5tupleIJPSA_SM_EEENSN_IJSM_SM_EEESB_PlJ10is_orderedEEE10hipError_tPvRmT3_T4_T5_T6_T7_T9_mT8_P12ihipStream_tbDpT10_ENKUlT_T0_E_clISt17integral_constantIbLb1EES1B_IbLb0EEEEDaS17_S18_EUlS17_E_NS1_11comp_targetILNS1_3genE2ELNS1_11target_archE906ELNS1_3gpuE6ELNS1_3repE0EEENS1_30default_config_static_selectorELNS0_4arch9wavefront6targetE1EEEvT1_,"axG",@progbits,_ZN7rocprim17ROCPRIM_400000_NS6detail17trampoline_kernelINS0_14default_configENS1_25partition_config_selectorILNS1_17partition_subalgoE3EN6thrust23THRUST_200600_302600_NS5tupleIiiNS7_9null_typeES9_S9_S9_S9_S9_S9_S9_EENS0_10empty_typeEbEEZZNS1_14partition_implILS5_3ELb0ES3_jNS7_6detail15normal_iteratorINS7_7pointerISA_NS7_11hip_rocprim3tagENS7_11use_defaultESJ_EEEEPSB_SM_NS0_5tupleIJPSA_SM_EEENSN_IJSM_SM_EEESB_PlJ10is_orderedEEE10hipError_tPvRmT3_T4_T5_T6_T7_T9_mT8_P12ihipStream_tbDpT10_ENKUlT_T0_E_clISt17integral_constantIbLb1EES1B_IbLb0EEEEDaS17_S18_EUlS17_E_NS1_11comp_targetILNS1_3genE2ELNS1_11target_archE906ELNS1_3gpuE6ELNS1_3repE0EEENS1_30default_config_static_selectorELNS0_4arch9wavefront6targetE1EEEvT1_,comdat
.Lfunc_end3512:
	.size	_ZN7rocprim17ROCPRIM_400000_NS6detail17trampoline_kernelINS0_14default_configENS1_25partition_config_selectorILNS1_17partition_subalgoE3EN6thrust23THRUST_200600_302600_NS5tupleIiiNS7_9null_typeES9_S9_S9_S9_S9_S9_S9_EENS0_10empty_typeEbEEZZNS1_14partition_implILS5_3ELb0ES3_jNS7_6detail15normal_iteratorINS7_7pointerISA_NS7_11hip_rocprim3tagENS7_11use_defaultESJ_EEEEPSB_SM_NS0_5tupleIJPSA_SM_EEENSN_IJSM_SM_EEESB_PlJ10is_orderedEEE10hipError_tPvRmT3_T4_T5_T6_T7_T9_mT8_P12ihipStream_tbDpT10_ENKUlT_T0_E_clISt17integral_constantIbLb1EES1B_IbLb0EEEEDaS17_S18_EUlS17_E_NS1_11comp_targetILNS1_3genE2ELNS1_11target_archE906ELNS1_3gpuE6ELNS1_3repE0EEENS1_30default_config_static_selectorELNS0_4arch9wavefront6targetE1EEEvT1_, .Lfunc_end3512-_ZN7rocprim17ROCPRIM_400000_NS6detail17trampoline_kernelINS0_14default_configENS1_25partition_config_selectorILNS1_17partition_subalgoE3EN6thrust23THRUST_200600_302600_NS5tupleIiiNS7_9null_typeES9_S9_S9_S9_S9_S9_S9_EENS0_10empty_typeEbEEZZNS1_14partition_implILS5_3ELb0ES3_jNS7_6detail15normal_iteratorINS7_7pointerISA_NS7_11hip_rocprim3tagENS7_11use_defaultESJ_EEEEPSB_SM_NS0_5tupleIJPSA_SM_EEENSN_IJSM_SM_EEESB_PlJ10is_orderedEEE10hipError_tPvRmT3_T4_T5_T6_T7_T9_mT8_P12ihipStream_tbDpT10_ENKUlT_T0_E_clISt17integral_constantIbLb1EES1B_IbLb0EEEEDaS17_S18_EUlS17_E_NS1_11comp_targetILNS1_3genE2ELNS1_11target_archE906ELNS1_3gpuE6ELNS1_3repE0EEENS1_30default_config_static_selectorELNS0_4arch9wavefront6targetE1EEEvT1_
                                        ; -- End function
	.section	.AMDGPU.csdata,"",@progbits
; Kernel info:
; codeLenInByte = 0
; NumSgprs: 4
; NumVgprs: 0
; NumAgprs: 0
; TotalNumVgprs: 0
; ScratchSize: 0
; MemoryBound: 0
; FloatMode: 240
; IeeeMode: 1
; LDSByteSize: 0 bytes/workgroup (compile time only)
; SGPRBlocks: 0
; VGPRBlocks: 0
; NumSGPRsForWavesPerEU: 4
; NumVGPRsForWavesPerEU: 1
; AccumOffset: 4
; Occupancy: 8
; WaveLimiterHint : 0
; COMPUTE_PGM_RSRC2:SCRATCH_EN: 0
; COMPUTE_PGM_RSRC2:USER_SGPR: 6
; COMPUTE_PGM_RSRC2:TRAP_HANDLER: 0
; COMPUTE_PGM_RSRC2:TGID_X_EN: 1
; COMPUTE_PGM_RSRC2:TGID_Y_EN: 0
; COMPUTE_PGM_RSRC2:TGID_Z_EN: 0
; COMPUTE_PGM_RSRC2:TIDIG_COMP_CNT: 0
; COMPUTE_PGM_RSRC3_GFX90A:ACCUM_OFFSET: 0
; COMPUTE_PGM_RSRC3_GFX90A:TG_SPLIT: 0
	.section	.text._ZN7rocprim17ROCPRIM_400000_NS6detail17trampoline_kernelINS0_14default_configENS1_25partition_config_selectorILNS1_17partition_subalgoE3EN6thrust23THRUST_200600_302600_NS5tupleIiiNS7_9null_typeES9_S9_S9_S9_S9_S9_S9_EENS0_10empty_typeEbEEZZNS1_14partition_implILS5_3ELb0ES3_jNS7_6detail15normal_iteratorINS7_7pointerISA_NS7_11hip_rocprim3tagENS7_11use_defaultESJ_EEEEPSB_SM_NS0_5tupleIJPSA_SM_EEENSN_IJSM_SM_EEESB_PlJ10is_orderedEEE10hipError_tPvRmT3_T4_T5_T6_T7_T9_mT8_P12ihipStream_tbDpT10_ENKUlT_T0_E_clISt17integral_constantIbLb1EES1B_IbLb0EEEEDaS17_S18_EUlS17_E_NS1_11comp_targetILNS1_3genE10ELNS1_11target_archE1200ELNS1_3gpuE4ELNS1_3repE0EEENS1_30default_config_static_selectorELNS0_4arch9wavefront6targetE1EEEvT1_,"axG",@progbits,_ZN7rocprim17ROCPRIM_400000_NS6detail17trampoline_kernelINS0_14default_configENS1_25partition_config_selectorILNS1_17partition_subalgoE3EN6thrust23THRUST_200600_302600_NS5tupleIiiNS7_9null_typeES9_S9_S9_S9_S9_S9_S9_EENS0_10empty_typeEbEEZZNS1_14partition_implILS5_3ELb0ES3_jNS7_6detail15normal_iteratorINS7_7pointerISA_NS7_11hip_rocprim3tagENS7_11use_defaultESJ_EEEEPSB_SM_NS0_5tupleIJPSA_SM_EEENSN_IJSM_SM_EEESB_PlJ10is_orderedEEE10hipError_tPvRmT3_T4_T5_T6_T7_T9_mT8_P12ihipStream_tbDpT10_ENKUlT_T0_E_clISt17integral_constantIbLb1EES1B_IbLb0EEEEDaS17_S18_EUlS17_E_NS1_11comp_targetILNS1_3genE10ELNS1_11target_archE1200ELNS1_3gpuE4ELNS1_3repE0EEENS1_30default_config_static_selectorELNS0_4arch9wavefront6targetE1EEEvT1_,comdat
	.protected	_ZN7rocprim17ROCPRIM_400000_NS6detail17trampoline_kernelINS0_14default_configENS1_25partition_config_selectorILNS1_17partition_subalgoE3EN6thrust23THRUST_200600_302600_NS5tupleIiiNS7_9null_typeES9_S9_S9_S9_S9_S9_S9_EENS0_10empty_typeEbEEZZNS1_14partition_implILS5_3ELb0ES3_jNS7_6detail15normal_iteratorINS7_7pointerISA_NS7_11hip_rocprim3tagENS7_11use_defaultESJ_EEEEPSB_SM_NS0_5tupleIJPSA_SM_EEENSN_IJSM_SM_EEESB_PlJ10is_orderedEEE10hipError_tPvRmT3_T4_T5_T6_T7_T9_mT8_P12ihipStream_tbDpT10_ENKUlT_T0_E_clISt17integral_constantIbLb1EES1B_IbLb0EEEEDaS17_S18_EUlS17_E_NS1_11comp_targetILNS1_3genE10ELNS1_11target_archE1200ELNS1_3gpuE4ELNS1_3repE0EEENS1_30default_config_static_selectorELNS0_4arch9wavefront6targetE1EEEvT1_ ; -- Begin function _ZN7rocprim17ROCPRIM_400000_NS6detail17trampoline_kernelINS0_14default_configENS1_25partition_config_selectorILNS1_17partition_subalgoE3EN6thrust23THRUST_200600_302600_NS5tupleIiiNS7_9null_typeES9_S9_S9_S9_S9_S9_S9_EENS0_10empty_typeEbEEZZNS1_14partition_implILS5_3ELb0ES3_jNS7_6detail15normal_iteratorINS7_7pointerISA_NS7_11hip_rocprim3tagENS7_11use_defaultESJ_EEEEPSB_SM_NS0_5tupleIJPSA_SM_EEENSN_IJSM_SM_EEESB_PlJ10is_orderedEEE10hipError_tPvRmT3_T4_T5_T6_T7_T9_mT8_P12ihipStream_tbDpT10_ENKUlT_T0_E_clISt17integral_constantIbLb1EES1B_IbLb0EEEEDaS17_S18_EUlS17_E_NS1_11comp_targetILNS1_3genE10ELNS1_11target_archE1200ELNS1_3gpuE4ELNS1_3repE0EEENS1_30default_config_static_selectorELNS0_4arch9wavefront6targetE1EEEvT1_
	.globl	_ZN7rocprim17ROCPRIM_400000_NS6detail17trampoline_kernelINS0_14default_configENS1_25partition_config_selectorILNS1_17partition_subalgoE3EN6thrust23THRUST_200600_302600_NS5tupleIiiNS7_9null_typeES9_S9_S9_S9_S9_S9_S9_EENS0_10empty_typeEbEEZZNS1_14partition_implILS5_3ELb0ES3_jNS7_6detail15normal_iteratorINS7_7pointerISA_NS7_11hip_rocprim3tagENS7_11use_defaultESJ_EEEEPSB_SM_NS0_5tupleIJPSA_SM_EEENSN_IJSM_SM_EEESB_PlJ10is_orderedEEE10hipError_tPvRmT3_T4_T5_T6_T7_T9_mT8_P12ihipStream_tbDpT10_ENKUlT_T0_E_clISt17integral_constantIbLb1EES1B_IbLb0EEEEDaS17_S18_EUlS17_E_NS1_11comp_targetILNS1_3genE10ELNS1_11target_archE1200ELNS1_3gpuE4ELNS1_3repE0EEENS1_30default_config_static_selectorELNS0_4arch9wavefront6targetE1EEEvT1_
	.p2align	8
	.type	_ZN7rocprim17ROCPRIM_400000_NS6detail17trampoline_kernelINS0_14default_configENS1_25partition_config_selectorILNS1_17partition_subalgoE3EN6thrust23THRUST_200600_302600_NS5tupleIiiNS7_9null_typeES9_S9_S9_S9_S9_S9_S9_EENS0_10empty_typeEbEEZZNS1_14partition_implILS5_3ELb0ES3_jNS7_6detail15normal_iteratorINS7_7pointerISA_NS7_11hip_rocprim3tagENS7_11use_defaultESJ_EEEEPSB_SM_NS0_5tupleIJPSA_SM_EEENSN_IJSM_SM_EEESB_PlJ10is_orderedEEE10hipError_tPvRmT3_T4_T5_T6_T7_T9_mT8_P12ihipStream_tbDpT10_ENKUlT_T0_E_clISt17integral_constantIbLb1EES1B_IbLb0EEEEDaS17_S18_EUlS17_E_NS1_11comp_targetILNS1_3genE10ELNS1_11target_archE1200ELNS1_3gpuE4ELNS1_3repE0EEENS1_30default_config_static_selectorELNS0_4arch9wavefront6targetE1EEEvT1_,@function
_ZN7rocprim17ROCPRIM_400000_NS6detail17trampoline_kernelINS0_14default_configENS1_25partition_config_selectorILNS1_17partition_subalgoE3EN6thrust23THRUST_200600_302600_NS5tupleIiiNS7_9null_typeES9_S9_S9_S9_S9_S9_S9_EENS0_10empty_typeEbEEZZNS1_14partition_implILS5_3ELb0ES3_jNS7_6detail15normal_iteratorINS7_7pointerISA_NS7_11hip_rocprim3tagENS7_11use_defaultESJ_EEEEPSB_SM_NS0_5tupleIJPSA_SM_EEENSN_IJSM_SM_EEESB_PlJ10is_orderedEEE10hipError_tPvRmT3_T4_T5_T6_T7_T9_mT8_P12ihipStream_tbDpT10_ENKUlT_T0_E_clISt17integral_constantIbLb1EES1B_IbLb0EEEEDaS17_S18_EUlS17_E_NS1_11comp_targetILNS1_3genE10ELNS1_11target_archE1200ELNS1_3gpuE4ELNS1_3repE0EEENS1_30default_config_static_selectorELNS0_4arch9wavefront6targetE1EEEvT1_: ; @_ZN7rocprim17ROCPRIM_400000_NS6detail17trampoline_kernelINS0_14default_configENS1_25partition_config_selectorILNS1_17partition_subalgoE3EN6thrust23THRUST_200600_302600_NS5tupleIiiNS7_9null_typeES9_S9_S9_S9_S9_S9_S9_EENS0_10empty_typeEbEEZZNS1_14partition_implILS5_3ELb0ES3_jNS7_6detail15normal_iteratorINS7_7pointerISA_NS7_11hip_rocprim3tagENS7_11use_defaultESJ_EEEEPSB_SM_NS0_5tupleIJPSA_SM_EEENSN_IJSM_SM_EEESB_PlJ10is_orderedEEE10hipError_tPvRmT3_T4_T5_T6_T7_T9_mT8_P12ihipStream_tbDpT10_ENKUlT_T0_E_clISt17integral_constantIbLb1EES1B_IbLb0EEEEDaS17_S18_EUlS17_E_NS1_11comp_targetILNS1_3genE10ELNS1_11target_archE1200ELNS1_3gpuE4ELNS1_3repE0EEENS1_30default_config_static_selectorELNS0_4arch9wavefront6targetE1EEEvT1_
; %bb.0:
	.section	.rodata,"a",@progbits
	.p2align	6, 0x0
	.amdhsa_kernel _ZN7rocprim17ROCPRIM_400000_NS6detail17trampoline_kernelINS0_14default_configENS1_25partition_config_selectorILNS1_17partition_subalgoE3EN6thrust23THRUST_200600_302600_NS5tupleIiiNS7_9null_typeES9_S9_S9_S9_S9_S9_S9_EENS0_10empty_typeEbEEZZNS1_14partition_implILS5_3ELb0ES3_jNS7_6detail15normal_iteratorINS7_7pointerISA_NS7_11hip_rocprim3tagENS7_11use_defaultESJ_EEEEPSB_SM_NS0_5tupleIJPSA_SM_EEENSN_IJSM_SM_EEESB_PlJ10is_orderedEEE10hipError_tPvRmT3_T4_T5_T6_T7_T9_mT8_P12ihipStream_tbDpT10_ENKUlT_T0_E_clISt17integral_constantIbLb1EES1B_IbLb0EEEEDaS17_S18_EUlS17_E_NS1_11comp_targetILNS1_3genE10ELNS1_11target_archE1200ELNS1_3gpuE4ELNS1_3repE0EEENS1_30default_config_static_selectorELNS0_4arch9wavefront6targetE1EEEvT1_
		.amdhsa_group_segment_fixed_size 0
		.amdhsa_private_segment_fixed_size 0
		.amdhsa_kernarg_size 120
		.amdhsa_user_sgpr_count 6
		.amdhsa_user_sgpr_private_segment_buffer 1
		.amdhsa_user_sgpr_dispatch_ptr 0
		.amdhsa_user_sgpr_queue_ptr 0
		.amdhsa_user_sgpr_kernarg_segment_ptr 1
		.amdhsa_user_sgpr_dispatch_id 0
		.amdhsa_user_sgpr_flat_scratch_init 0
		.amdhsa_user_sgpr_kernarg_preload_length 0
		.amdhsa_user_sgpr_kernarg_preload_offset 0
		.amdhsa_user_sgpr_private_segment_size 0
		.amdhsa_uses_dynamic_stack 0
		.amdhsa_system_sgpr_private_segment_wavefront_offset 0
		.amdhsa_system_sgpr_workgroup_id_x 1
		.amdhsa_system_sgpr_workgroup_id_y 0
		.amdhsa_system_sgpr_workgroup_id_z 0
		.amdhsa_system_sgpr_workgroup_info 0
		.amdhsa_system_vgpr_workitem_id 0
		.amdhsa_next_free_vgpr 1
		.amdhsa_next_free_sgpr 0
		.amdhsa_accum_offset 4
		.amdhsa_reserve_vcc 0
		.amdhsa_reserve_flat_scratch 0
		.amdhsa_float_round_mode_32 0
		.amdhsa_float_round_mode_16_64 0
		.amdhsa_float_denorm_mode_32 3
		.amdhsa_float_denorm_mode_16_64 3
		.amdhsa_dx10_clamp 1
		.amdhsa_ieee_mode 1
		.amdhsa_fp16_overflow 0
		.amdhsa_tg_split 0
		.amdhsa_exception_fp_ieee_invalid_op 0
		.amdhsa_exception_fp_denorm_src 0
		.amdhsa_exception_fp_ieee_div_zero 0
		.amdhsa_exception_fp_ieee_overflow 0
		.amdhsa_exception_fp_ieee_underflow 0
		.amdhsa_exception_fp_ieee_inexact 0
		.amdhsa_exception_int_div_zero 0
	.end_amdhsa_kernel
	.section	.text._ZN7rocprim17ROCPRIM_400000_NS6detail17trampoline_kernelINS0_14default_configENS1_25partition_config_selectorILNS1_17partition_subalgoE3EN6thrust23THRUST_200600_302600_NS5tupleIiiNS7_9null_typeES9_S9_S9_S9_S9_S9_S9_EENS0_10empty_typeEbEEZZNS1_14partition_implILS5_3ELb0ES3_jNS7_6detail15normal_iteratorINS7_7pointerISA_NS7_11hip_rocprim3tagENS7_11use_defaultESJ_EEEEPSB_SM_NS0_5tupleIJPSA_SM_EEENSN_IJSM_SM_EEESB_PlJ10is_orderedEEE10hipError_tPvRmT3_T4_T5_T6_T7_T9_mT8_P12ihipStream_tbDpT10_ENKUlT_T0_E_clISt17integral_constantIbLb1EES1B_IbLb0EEEEDaS17_S18_EUlS17_E_NS1_11comp_targetILNS1_3genE10ELNS1_11target_archE1200ELNS1_3gpuE4ELNS1_3repE0EEENS1_30default_config_static_selectorELNS0_4arch9wavefront6targetE1EEEvT1_,"axG",@progbits,_ZN7rocprim17ROCPRIM_400000_NS6detail17trampoline_kernelINS0_14default_configENS1_25partition_config_selectorILNS1_17partition_subalgoE3EN6thrust23THRUST_200600_302600_NS5tupleIiiNS7_9null_typeES9_S9_S9_S9_S9_S9_S9_EENS0_10empty_typeEbEEZZNS1_14partition_implILS5_3ELb0ES3_jNS7_6detail15normal_iteratorINS7_7pointerISA_NS7_11hip_rocprim3tagENS7_11use_defaultESJ_EEEEPSB_SM_NS0_5tupleIJPSA_SM_EEENSN_IJSM_SM_EEESB_PlJ10is_orderedEEE10hipError_tPvRmT3_T4_T5_T6_T7_T9_mT8_P12ihipStream_tbDpT10_ENKUlT_T0_E_clISt17integral_constantIbLb1EES1B_IbLb0EEEEDaS17_S18_EUlS17_E_NS1_11comp_targetILNS1_3genE10ELNS1_11target_archE1200ELNS1_3gpuE4ELNS1_3repE0EEENS1_30default_config_static_selectorELNS0_4arch9wavefront6targetE1EEEvT1_,comdat
.Lfunc_end3513:
	.size	_ZN7rocprim17ROCPRIM_400000_NS6detail17trampoline_kernelINS0_14default_configENS1_25partition_config_selectorILNS1_17partition_subalgoE3EN6thrust23THRUST_200600_302600_NS5tupleIiiNS7_9null_typeES9_S9_S9_S9_S9_S9_S9_EENS0_10empty_typeEbEEZZNS1_14partition_implILS5_3ELb0ES3_jNS7_6detail15normal_iteratorINS7_7pointerISA_NS7_11hip_rocprim3tagENS7_11use_defaultESJ_EEEEPSB_SM_NS0_5tupleIJPSA_SM_EEENSN_IJSM_SM_EEESB_PlJ10is_orderedEEE10hipError_tPvRmT3_T4_T5_T6_T7_T9_mT8_P12ihipStream_tbDpT10_ENKUlT_T0_E_clISt17integral_constantIbLb1EES1B_IbLb0EEEEDaS17_S18_EUlS17_E_NS1_11comp_targetILNS1_3genE10ELNS1_11target_archE1200ELNS1_3gpuE4ELNS1_3repE0EEENS1_30default_config_static_selectorELNS0_4arch9wavefront6targetE1EEEvT1_, .Lfunc_end3513-_ZN7rocprim17ROCPRIM_400000_NS6detail17trampoline_kernelINS0_14default_configENS1_25partition_config_selectorILNS1_17partition_subalgoE3EN6thrust23THRUST_200600_302600_NS5tupleIiiNS7_9null_typeES9_S9_S9_S9_S9_S9_S9_EENS0_10empty_typeEbEEZZNS1_14partition_implILS5_3ELb0ES3_jNS7_6detail15normal_iteratorINS7_7pointerISA_NS7_11hip_rocprim3tagENS7_11use_defaultESJ_EEEEPSB_SM_NS0_5tupleIJPSA_SM_EEENSN_IJSM_SM_EEESB_PlJ10is_orderedEEE10hipError_tPvRmT3_T4_T5_T6_T7_T9_mT8_P12ihipStream_tbDpT10_ENKUlT_T0_E_clISt17integral_constantIbLb1EES1B_IbLb0EEEEDaS17_S18_EUlS17_E_NS1_11comp_targetILNS1_3genE10ELNS1_11target_archE1200ELNS1_3gpuE4ELNS1_3repE0EEENS1_30default_config_static_selectorELNS0_4arch9wavefront6targetE1EEEvT1_
                                        ; -- End function
	.section	.AMDGPU.csdata,"",@progbits
; Kernel info:
; codeLenInByte = 0
; NumSgprs: 4
; NumVgprs: 0
; NumAgprs: 0
; TotalNumVgprs: 0
; ScratchSize: 0
; MemoryBound: 0
; FloatMode: 240
; IeeeMode: 1
; LDSByteSize: 0 bytes/workgroup (compile time only)
; SGPRBlocks: 0
; VGPRBlocks: 0
; NumSGPRsForWavesPerEU: 4
; NumVGPRsForWavesPerEU: 1
; AccumOffset: 4
; Occupancy: 8
; WaveLimiterHint : 0
; COMPUTE_PGM_RSRC2:SCRATCH_EN: 0
; COMPUTE_PGM_RSRC2:USER_SGPR: 6
; COMPUTE_PGM_RSRC2:TRAP_HANDLER: 0
; COMPUTE_PGM_RSRC2:TGID_X_EN: 1
; COMPUTE_PGM_RSRC2:TGID_Y_EN: 0
; COMPUTE_PGM_RSRC2:TGID_Z_EN: 0
; COMPUTE_PGM_RSRC2:TIDIG_COMP_CNT: 0
; COMPUTE_PGM_RSRC3_GFX90A:ACCUM_OFFSET: 0
; COMPUTE_PGM_RSRC3_GFX90A:TG_SPLIT: 0
	.section	.text._ZN7rocprim17ROCPRIM_400000_NS6detail17trampoline_kernelINS0_14default_configENS1_25partition_config_selectorILNS1_17partition_subalgoE3EN6thrust23THRUST_200600_302600_NS5tupleIiiNS7_9null_typeES9_S9_S9_S9_S9_S9_S9_EENS0_10empty_typeEbEEZZNS1_14partition_implILS5_3ELb0ES3_jNS7_6detail15normal_iteratorINS7_7pointerISA_NS7_11hip_rocprim3tagENS7_11use_defaultESJ_EEEEPSB_SM_NS0_5tupleIJPSA_SM_EEENSN_IJSM_SM_EEESB_PlJ10is_orderedEEE10hipError_tPvRmT3_T4_T5_T6_T7_T9_mT8_P12ihipStream_tbDpT10_ENKUlT_T0_E_clISt17integral_constantIbLb1EES1B_IbLb0EEEEDaS17_S18_EUlS17_E_NS1_11comp_targetILNS1_3genE9ELNS1_11target_archE1100ELNS1_3gpuE3ELNS1_3repE0EEENS1_30default_config_static_selectorELNS0_4arch9wavefront6targetE1EEEvT1_,"axG",@progbits,_ZN7rocprim17ROCPRIM_400000_NS6detail17trampoline_kernelINS0_14default_configENS1_25partition_config_selectorILNS1_17partition_subalgoE3EN6thrust23THRUST_200600_302600_NS5tupleIiiNS7_9null_typeES9_S9_S9_S9_S9_S9_S9_EENS0_10empty_typeEbEEZZNS1_14partition_implILS5_3ELb0ES3_jNS7_6detail15normal_iteratorINS7_7pointerISA_NS7_11hip_rocprim3tagENS7_11use_defaultESJ_EEEEPSB_SM_NS0_5tupleIJPSA_SM_EEENSN_IJSM_SM_EEESB_PlJ10is_orderedEEE10hipError_tPvRmT3_T4_T5_T6_T7_T9_mT8_P12ihipStream_tbDpT10_ENKUlT_T0_E_clISt17integral_constantIbLb1EES1B_IbLb0EEEEDaS17_S18_EUlS17_E_NS1_11comp_targetILNS1_3genE9ELNS1_11target_archE1100ELNS1_3gpuE3ELNS1_3repE0EEENS1_30default_config_static_selectorELNS0_4arch9wavefront6targetE1EEEvT1_,comdat
	.protected	_ZN7rocprim17ROCPRIM_400000_NS6detail17trampoline_kernelINS0_14default_configENS1_25partition_config_selectorILNS1_17partition_subalgoE3EN6thrust23THRUST_200600_302600_NS5tupleIiiNS7_9null_typeES9_S9_S9_S9_S9_S9_S9_EENS0_10empty_typeEbEEZZNS1_14partition_implILS5_3ELb0ES3_jNS7_6detail15normal_iteratorINS7_7pointerISA_NS7_11hip_rocprim3tagENS7_11use_defaultESJ_EEEEPSB_SM_NS0_5tupleIJPSA_SM_EEENSN_IJSM_SM_EEESB_PlJ10is_orderedEEE10hipError_tPvRmT3_T4_T5_T6_T7_T9_mT8_P12ihipStream_tbDpT10_ENKUlT_T0_E_clISt17integral_constantIbLb1EES1B_IbLb0EEEEDaS17_S18_EUlS17_E_NS1_11comp_targetILNS1_3genE9ELNS1_11target_archE1100ELNS1_3gpuE3ELNS1_3repE0EEENS1_30default_config_static_selectorELNS0_4arch9wavefront6targetE1EEEvT1_ ; -- Begin function _ZN7rocprim17ROCPRIM_400000_NS6detail17trampoline_kernelINS0_14default_configENS1_25partition_config_selectorILNS1_17partition_subalgoE3EN6thrust23THRUST_200600_302600_NS5tupleIiiNS7_9null_typeES9_S9_S9_S9_S9_S9_S9_EENS0_10empty_typeEbEEZZNS1_14partition_implILS5_3ELb0ES3_jNS7_6detail15normal_iteratorINS7_7pointerISA_NS7_11hip_rocprim3tagENS7_11use_defaultESJ_EEEEPSB_SM_NS0_5tupleIJPSA_SM_EEENSN_IJSM_SM_EEESB_PlJ10is_orderedEEE10hipError_tPvRmT3_T4_T5_T6_T7_T9_mT8_P12ihipStream_tbDpT10_ENKUlT_T0_E_clISt17integral_constantIbLb1EES1B_IbLb0EEEEDaS17_S18_EUlS17_E_NS1_11comp_targetILNS1_3genE9ELNS1_11target_archE1100ELNS1_3gpuE3ELNS1_3repE0EEENS1_30default_config_static_selectorELNS0_4arch9wavefront6targetE1EEEvT1_
	.globl	_ZN7rocprim17ROCPRIM_400000_NS6detail17trampoline_kernelINS0_14default_configENS1_25partition_config_selectorILNS1_17partition_subalgoE3EN6thrust23THRUST_200600_302600_NS5tupleIiiNS7_9null_typeES9_S9_S9_S9_S9_S9_S9_EENS0_10empty_typeEbEEZZNS1_14partition_implILS5_3ELb0ES3_jNS7_6detail15normal_iteratorINS7_7pointerISA_NS7_11hip_rocprim3tagENS7_11use_defaultESJ_EEEEPSB_SM_NS0_5tupleIJPSA_SM_EEENSN_IJSM_SM_EEESB_PlJ10is_orderedEEE10hipError_tPvRmT3_T4_T5_T6_T7_T9_mT8_P12ihipStream_tbDpT10_ENKUlT_T0_E_clISt17integral_constantIbLb1EES1B_IbLb0EEEEDaS17_S18_EUlS17_E_NS1_11comp_targetILNS1_3genE9ELNS1_11target_archE1100ELNS1_3gpuE3ELNS1_3repE0EEENS1_30default_config_static_selectorELNS0_4arch9wavefront6targetE1EEEvT1_
	.p2align	8
	.type	_ZN7rocprim17ROCPRIM_400000_NS6detail17trampoline_kernelINS0_14default_configENS1_25partition_config_selectorILNS1_17partition_subalgoE3EN6thrust23THRUST_200600_302600_NS5tupleIiiNS7_9null_typeES9_S9_S9_S9_S9_S9_S9_EENS0_10empty_typeEbEEZZNS1_14partition_implILS5_3ELb0ES3_jNS7_6detail15normal_iteratorINS7_7pointerISA_NS7_11hip_rocprim3tagENS7_11use_defaultESJ_EEEEPSB_SM_NS0_5tupleIJPSA_SM_EEENSN_IJSM_SM_EEESB_PlJ10is_orderedEEE10hipError_tPvRmT3_T4_T5_T6_T7_T9_mT8_P12ihipStream_tbDpT10_ENKUlT_T0_E_clISt17integral_constantIbLb1EES1B_IbLb0EEEEDaS17_S18_EUlS17_E_NS1_11comp_targetILNS1_3genE9ELNS1_11target_archE1100ELNS1_3gpuE3ELNS1_3repE0EEENS1_30default_config_static_selectorELNS0_4arch9wavefront6targetE1EEEvT1_,@function
_ZN7rocprim17ROCPRIM_400000_NS6detail17trampoline_kernelINS0_14default_configENS1_25partition_config_selectorILNS1_17partition_subalgoE3EN6thrust23THRUST_200600_302600_NS5tupleIiiNS7_9null_typeES9_S9_S9_S9_S9_S9_S9_EENS0_10empty_typeEbEEZZNS1_14partition_implILS5_3ELb0ES3_jNS7_6detail15normal_iteratorINS7_7pointerISA_NS7_11hip_rocprim3tagENS7_11use_defaultESJ_EEEEPSB_SM_NS0_5tupleIJPSA_SM_EEENSN_IJSM_SM_EEESB_PlJ10is_orderedEEE10hipError_tPvRmT3_T4_T5_T6_T7_T9_mT8_P12ihipStream_tbDpT10_ENKUlT_T0_E_clISt17integral_constantIbLb1EES1B_IbLb0EEEEDaS17_S18_EUlS17_E_NS1_11comp_targetILNS1_3genE9ELNS1_11target_archE1100ELNS1_3gpuE3ELNS1_3repE0EEENS1_30default_config_static_selectorELNS0_4arch9wavefront6targetE1EEEvT1_: ; @_ZN7rocprim17ROCPRIM_400000_NS6detail17trampoline_kernelINS0_14default_configENS1_25partition_config_selectorILNS1_17partition_subalgoE3EN6thrust23THRUST_200600_302600_NS5tupleIiiNS7_9null_typeES9_S9_S9_S9_S9_S9_S9_EENS0_10empty_typeEbEEZZNS1_14partition_implILS5_3ELb0ES3_jNS7_6detail15normal_iteratorINS7_7pointerISA_NS7_11hip_rocprim3tagENS7_11use_defaultESJ_EEEEPSB_SM_NS0_5tupleIJPSA_SM_EEENSN_IJSM_SM_EEESB_PlJ10is_orderedEEE10hipError_tPvRmT3_T4_T5_T6_T7_T9_mT8_P12ihipStream_tbDpT10_ENKUlT_T0_E_clISt17integral_constantIbLb1EES1B_IbLb0EEEEDaS17_S18_EUlS17_E_NS1_11comp_targetILNS1_3genE9ELNS1_11target_archE1100ELNS1_3gpuE3ELNS1_3repE0EEENS1_30default_config_static_selectorELNS0_4arch9wavefront6targetE1EEEvT1_
; %bb.0:
	.section	.rodata,"a",@progbits
	.p2align	6, 0x0
	.amdhsa_kernel _ZN7rocprim17ROCPRIM_400000_NS6detail17trampoline_kernelINS0_14default_configENS1_25partition_config_selectorILNS1_17partition_subalgoE3EN6thrust23THRUST_200600_302600_NS5tupleIiiNS7_9null_typeES9_S9_S9_S9_S9_S9_S9_EENS0_10empty_typeEbEEZZNS1_14partition_implILS5_3ELb0ES3_jNS7_6detail15normal_iteratorINS7_7pointerISA_NS7_11hip_rocprim3tagENS7_11use_defaultESJ_EEEEPSB_SM_NS0_5tupleIJPSA_SM_EEENSN_IJSM_SM_EEESB_PlJ10is_orderedEEE10hipError_tPvRmT3_T4_T5_T6_T7_T9_mT8_P12ihipStream_tbDpT10_ENKUlT_T0_E_clISt17integral_constantIbLb1EES1B_IbLb0EEEEDaS17_S18_EUlS17_E_NS1_11comp_targetILNS1_3genE9ELNS1_11target_archE1100ELNS1_3gpuE3ELNS1_3repE0EEENS1_30default_config_static_selectorELNS0_4arch9wavefront6targetE1EEEvT1_
		.amdhsa_group_segment_fixed_size 0
		.amdhsa_private_segment_fixed_size 0
		.amdhsa_kernarg_size 120
		.amdhsa_user_sgpr_count 6
		.amdhsa_user_sgpr_private_segment_buffer 1
		.amdhsa_user_sgpr_dispatch_ptr 0
		.amdhsa_user_sgpr_queue_ptr 0
		.amdhsa_user_sgpr_kernarg_segment_ptr 1
		.amdhsa_user_sgpr_dispatch_id 0
		.amdhsa_user_sgpr_flat_scratch_init 0
		.amdhsa_user_sgpr_kernarg_preload_length 0
		.amdhsa_user_sgpr_kernarg_preload_offset 0
		.amdhsa_user_sgpr_private_segment_size 0
		.amdhsa_uses_dynamic_stack 0
		.amdhsa_system_sgpr_private_segment_wavefront_offset 0
		.amdhsa_system_sgpr_workgroup_id_x 1
		.amdhsa_system_sgpr_workgroup_id_y 0
		.amdhsa_system_sgpr_workgroup_id_z 0
		.amdhsa_system_sgpr_workgroup_info 0
		.amdhsa_system_vgpr_workitem_id 0
		.amdhsa_next_free_vgpr 1
		.amdhsa_next_free_sgpr 0
		.amdhsa_accum_offset 4
		.amdhsa_reserve_vcc 0
		.amdhsa_reserve_flat_scratch 0
		.amdhsa_float_round_mode_32 0
		.amdhsa_float_round_mode_16_64 0
		.amdhsa_float_denorm_mode_32 3
		.amdhsa_float_denorm_mode_16_64 3
		.amdhsa_dx10_clamp 1
		.amdhsa_ieee_mode 1
		.amdhsa_fp16_overflow 0
		.amdhsa_tg_split 0
		.amdhsa_exception_fp_ieee_invalid_op 0
		.amdhsa_exception_fp_denorm_src 0
		.amdhsa_exception_fp_ieee_div_zero 0
		.amdhsa_exception_fp_ieee_overflow 0
		.amdhsa_exception_fp_ieee_underflow 0
		.amdhsa_exception_fp_ieee_inexact 0
		.amdhsa_exception_int_div_zero 0
	.end_amdhsa_kernel
	.section	.text._ZN7rocprim17ROCPRIM_400000_NS6detail17trampoline_kernelINS0_14default_configENS1_25partition_config_selectorILNS1_17partition_subalgoE3EN6thrust23THRUST_200600_302600_NS5tupleIiiNS7_9null_typeES9_S9_S9_S9_S9_S9_S9_EENS0_10empty_typeEbEEZZNS1_14partition_implILS5_3ELb0ES3_jNS7_6detail15normal_iteratorINS7_7pointerISA_NS7_11hip_rocprim3tagENS7_11use_defaultESJ_EEEEPSB_SM_NS0_5tupleIJPSA_SM_EEENSN_IJSM_SM_EEESB_PlJ10is_orderedEEE10hipError_tPvRmT3_T4_T5_T6_T7_T9_mT8_P12ihipStream_tbDpT10_ENKUlT_T0_E_clISt17integral_constantIbLb1EES1B_IbLb0EEEEDaS17_S18_EUlS17_E_NS1_11comp_targetILNS1_3genE9ELNS1_11target_archE1100ELNS1_3gpuE3ELNS1_3repE0EEENS1_30default_config_static_selectorELNS0_4arch9wavefront6targetE1EEEvT1_,"axG",@progbits,_ZN7rocprim17ROCPRIM_400000_NS6detail17trampoline_kernelINS0_14default_configENS1_25partition_config_selectorILNS1_17partition_subalgoE3EN6thrust23THRUST_200600_302600_NS5tupleIiiNS7_9null_typeES9_S9_S9_S9_S9_S9_S9_EENS0_10empty_typeEbEEZZNS1_14partition_implILS5_3ELb0ES3_jNS7_6detail15normal_iteratorINS7_7pointerISA_NS7_11hip_rocprim3tagENS7_11use_defaultESJ_EEEEPSB_SM_NS0_5tupleIJPSA_SM_EEENSN_IJSM_SM_EEESB_PlJ10is_orderedEEE10hipError_tPvRmT3_T4_T5_T6_T7_T9_mT8_P12ihipStream_tbDpT10_ENKUlT_T0_E_clISt17integral_constantIbLb1EES1B_IbLb0EEEEDaS17_S18_EUlS17_E_NS1_11comp_targetILNS1_3genE9ELNS1_11target_archE1100ELNS1_3gpuE3ELNS1_3repE0EEENS1_30default_config_static_selectorELNS0_4arch9wavefront6targetE1EEEvT1_,comdat
.Lfunc_end3514:
	.size	_ZN7rocprim17ROCPRIM_400000_NS6detail17trampoline_kernelINS0_14default_configENS1_25partition_config_selectorILNS1_17partition_subalgoE3EN6thrust23THRUST_200600_302600_NS5tupleIiiNS7_9null_typeES9_S9_S9_S9_S9_S9_S9_EENS0_10empty_typeEbEEZZNS1_14partition_implILS5_3ELb0ES3_jNS7_6detail15normal_iteratorINS7_7pointerISA_NS7_11hip_rocprim3tagENS7_11use_defaultESJ_EEEEPSB_SM_NS0_5tupleIJPSA_SM_EEENSN_IJSM_SM_EEESB_PlJ10is_orderedEEE10hipError_tPvRmT3_T4_T5_T6_T7_T9_mT8_P12ihipStream_tbDpT10_ENKUlT_T0_E_clISt17integral_constantIbLb1EES1B_IbLb0EEEEDaS17_S18_EUlS17_E_NS1_11comp_targetILNS1_3genE9ELNS1_11target_archE1100ELNS1_3gpuE3ELNS1_3repE0EEENS1_30default_config_static_selectorELNS0_4arch9wavefront6targetE1EEEvT1_, .Lfunc_end3514-_ZN7rocprim17ROCPRIM_400000_NS6detail17trampoline_kernelINS0_14default_configENS1_25partition_config_selectorILNS1_17partition_subalgoE3EN6thrust23THRUST_200600_302600_NS5tupleIiiNS7_9null_typeES9_S9_S9_S9_S9_S9_S9_EENS0_10empty_typeEbEEZZNS1_14partition_implILS5_3ELb0ES3_jNS7_6detail15normal_iteratorINS7_7pointerISA_NS7_11hip_rocprim3tagENS7_11use_defaultESJ_EEEEPSB_SM_NS0_5tupleIJPSA_SM_EEENSN_IJSM_SM_EEESB_PlJ10is_orderedEEE10hipError_tPvRmT3_T4_T5_T6_T7_T9_mT8_P12ihipStream_tbDpT10_ENKUlT_T0_E_clISt17integral_constantIbLb1EES1B_IbLb0EEEEDaS17_S18_EUlS17_E_NS1_11comp_targetILNS1_3genE9ELNS1_11target_archE1100ELNS1_3gpuE3ELNS1_3repE0EEENS1_30default_config_static_selectorELNS0_4arch9wavefront6targetE1EEEvT1_
                                        ; -- End function
	.section	.AMDGPU.csdata,"",@progbits
; Kernel info:
; codeLenInByte = 0
; NumSgprs: 4
; NumVgprs: 0
; NumAgprs: 0
; TotalNumVgprs: 0
; ScratchSize: 0
; MemoryBound: 0
; FloatMode: 240
; IeeeMode: 1
; LDSByteSize: 0 bytes/workgroup (compile time only)
; SGPRBlocks: 0
; VGPRBlocks: 0
; NumSGPRsForWavesPerEU: 4
; NumVGPRsForWavesPerEU: 1
; AccumOffset: 4
; Occupancy: 8
; WaveLimiterHint : 0
; COMPUTE_PGM_RSRC2:SCRATCH_EN: 0
; COMPUTE_PGM_RSRC2:USER_SGPR: 6
; COMPUTE_PGM_RSRC2:TRAP_HANDLER: 0
; COMPUTE_PGM_RSRC2:TGID_X_EN: 1
; COMPUTE_PGM_RSRC2:TGID_Y_EN: 0
; COMPUTE_PGM_RSRC2:TGID_Z_EN: 0
; COMPUTE_PGM_RSRC2:TIDIG_COMP_CNT: 0
; COMPUTE_PGM_RSRC3_GFX90A:ACCUM_OFFSET: 0
; COMPUTE_PGM_RSRC3_GFX90A:TG_SPLIT: 0
	.section	.text._ZN7rocprim17ROCPRIM_400000_NS6detail17trampoline_kernelINS0_14default_configENS1_25partition_config_selectorILNS1_17partition_subalgoE3EN6thrust23THRUST_200600_302600_NS5tupleIiiNS7_9null_typeES9_S9_S9_S9_S9_S9_S9_EENS0_10empty_typeEbEEZZNS1_14partition_implILS5_3ELb0ES3_jNS7_6detail15normal_iteratorINS7_7pointerISA_NS7_11hip_rocprim3tagENS7_11use_defaultESJ_EEEEPSB_SM_NS0_5tupleIJPSA_SM_EEENSN_IJSM_SM_EEESB_PlJ10is_orderedEEE10hipError_tPvRmT3_T4_T5_T6_T7_T9_mT8_P12ihipStream_tbDpT10_ENKUlT_T0_E_clISt17integral_constantIbLb1EES1B_IbLb0EEEEDaS17_S18_EUlS17_E_NS1_11comp_targetILNS1_3genE8ELNS1_11target_archE1030ELNS1_3gpuE2ELNS1_3repE0EEENS1_30default_config_static_selectorELNS0_4arch9wavefront6targetE1EEEvT1_,"axG",@progbits,_ZN7rocprim17ROCPRIM_400000_NS6detail17trampoline_kernelINS0_14default_configENS1_25partition_config_selectorILNS1_17partition_subalgoE3EN6thrust23THRUST_200600_302600_NS5tupleIiiNS7_9null_typeES9_S9_S9_S9_S9_S9_S9_EENS0_10empty_typeEbEEZZNS1_14partition_implILS5_3ELb0ES3_jNS7_6detail15normal_iteratorINS7_7pointerISA_NS7_11hip_rocprim3tagENS7_11use_defaultESJ_EEEEPSB_SM_NS0_5tupleIJPSA_SM_EEENSN_IJSM_SM_EEESB_PlJ10is_orderedEEE10hipError_tPvRmT3_T4_T5_T6_T7_T9_mT8_P12ihipStream_tbDpT10_ENKUlT_T0_E_clISt17integral_constantIbLb1EES1B_IbLb0EEEEDaS17_S18_EUlS17_E_NS1_11comp_targetILNS1_3genE8ELNS1_11target_archE1030ELNS1_3gpuE2ELNS1_3repE0EEENS1_30default_config_static_selectorELNS0_4arch9wavefront6targetE1EEEvT1_,comdat
	.protected	_ZN7rocprim17ROCPRIM_400000_NS6detail17trampoline_kernelINS0_14default_configENS1_25partition_config_selectorILNS1_17partition_subalgoE3EN6thrust23THRUST_200600_302600_NS5tupleIiiNS7_9null_typeES9_S9_S9_S9_S9_S9_S9_EENS0_10empty_typeEbEEZZNS1_14partition_implILS5_3ELb0ES3_jNS7_6detail15normal_iteratorINS7_7pointerISA_NS7_11hip_rocprim3tagENS7_11use_defaultESJ_EEEEPSB_SM_NS0_5tupleIJPSA_SM_EEENSN_IJSM_SM_EEESB_PlJ10is_orderedEEE10hipError_tPvRmT3_T4_T5_T6_T7_T9_mT8_P12ihipStream_tbDpT10_ENKUlT_T0_E_clISt17integral_constantIbLb1EES1B_IbLb0EEEEDaS17_S18_EUlS17_E_NS1_11comp_targetILNS1_3genE8ELNS1_11target_archE1030ELNS1_3gpuE2ELNS1_3repE0EEENS1_30default_config_static_selectorELNS0_4arch9wavefront6targetE1EEEvT1_ ; -- Begin function _ZN7rocprim17ROCPRIM_400000_NS6detail17trampoline_kernelINS0_14default_configENS1_25partition_config_selectorILNS1_17partition_subalgoE3EN6thrust23THRUST_200600_302600_NS5tupleIiiNS7_9null_typeES9_S9_S9_S9_S9_S9_S9_EENS0_10empty_typeEbEEZZNS1_14partition_implILS5_3ELb0ES3_jNS7_6detail15normal_iteratorINS7_7pointerISA_NS7_11hip_rocprim3tagENS7_11use_defaultESJ_EEEEPSB_SM_NS0_5tupleIJPSA_SM_EEENSN_IJSM_SM_EEESB_PlJ10is_orderedEEE10hipError_tPvRmT3_T4_T5_T6_T7_T9_mT8_P12ihipStream_tbDpT10_ENKUlT_T0_E_clISt17integral_constantIbLb1EES1B_IbLb0EEEEDaS17_S18_EUlS17_E_NS1_11comp_targetILNS1_3genE8ELNS1_11target_archE1030ELNS1_3gpuE2ELNS1_3repE0EEENS1_30default_config_static_selectorELNS0_4arch9wavefront6targetE1EEEvT1_
	.globl	_ZN7rocprim17ROCPRIM_400000_NS6detail17trampoline_kernelINS0_14default_configENS1_25partition_config_selectorILNS1_17partition_subalgoE3EN6thrust23THRUST_200600_302600_NS5tupleIiiNS7_9null_typeES9_S9_S9_S9_S9_S9_S9_EENS0_10empty_typeEbEEZZNS1_14partition_implILS5_3ELb0ES3_jNS7_6detail15normal_iteratorINS7_7pointerISA_NS7_11hip_rocprim3tagENS7_11use_defaultESJ_EEEEPSB_SM_NS0_5tupleIJPSA_SM_EEENSN_IJSM_SM_EEESB_PlJ10is_orderedEEE10hipError_tPvRmT3_T4_T5_T6_T7_T9_mT8_P12ihipStream_tbDpT10_ENKUlT_T0_E_clISt17integral_constantIbLb1EES1B_IbLb0EEEEDaS17_S18_EUlS17_E_NS1_11comp_targetILNS1_3genE8ELNS1_11target_archE1030ELNS1_3gpuE2ELNS1_3repE0EEENS1_30default_config_static_selectorELNS0_4arch9wavefront6targetE1EEEvT1_
	.p2align	8
	.type	_ZN7rocprim17ROCPRIM_400000_NS6detail17trampoline_kernelINS0_14default_configENS1_25partition_config_selectorILNS1_17partition_subalgoE3EN6thrust23THRUST_200600_302600_NS5tupleIiiNS7_9null_typeES9_S9_S9_S9_S9_S9_S9_EENS0_10empty_typeEbEEZZNS1_14partition_implILS5_3ELb0ES3_jNS7_6detail15normal_iteratorINS7_7pointerISA_NS7_11hip_rocprim3tagENS7_11use_defaultESJ_EEEEPSB_SM_NS0_5tupleIJPSA_SM_EEENSN_IJSM_SM_EEESB_PlJ10is_orderedEEE10hipError_tPvRmT3_T4_T5_T6_T7_T9_mT8_P12ihipStream_tbDpT10_ENKUlT_T0_E_clISt17integral_constantIbLb1EES1B_IbLb0EEEEDaS17_S18_EUlS17_E_NS1_11comp_targetILNS1_3genE8ELNS1_11target_archE1030ELNS1_3gpuE2ELNS1_3repE0EEENS1_30default_config_static_selectorELNS0_4arch9wavefront6targetE1EEEvT1_,@function
_ZN7rocprim17ROCPRIM_400000_NS6detail17trampoline_kernelINS0_14default_configENS1_25partition_config_selectorILNS1_17partition_subalgoE3EN6thrust23THRUST_200600_302600_NS5tupleIiiNS7_9null_typeES9_S9_S9_S9_S9_S9_S9_EENS0_10empty_typeEbEEZZNS1_14partition_implILS5_3ELb0ES3_jNS7_6detail15normal_iteratorINS7_7pointerISA_NS7_11hip_rocprim3tagENS7_11use_defaultESJ_EEEEPSB_SM_NS0_5tupleIJPSA_SM_EEENSN_IJSM_SM_EEESB_PlJ10is_orderedEEE10hipError_tPvRmT3_T4_T5_T6_T7_T9_mT8_P12ihipStream_tbDpT10_ENKUlT_T0_E_clISt17integral_constantIbLb1EES1B_IbLb0EEEEDaS17_S18_EUlS17_E_NS1_11comp_targetILNS1_3genE8ELNS1_11target_archE1030ELNS1_3gpuE2ELNS1_3repE0EEENS1_30default_config_static_selectorELNS0_4arch9wavefront6targetE1EEEvT1_: ; @_ZN7rocprim17ROCPRIM_400000_NS6detail17trampoline_kernelINS0_14default_configENS1_25partition_config_selectorILNS1_17partition_subalgoE3EN6thrust23THRUST_200600_302600_NS5tupleIiiNS7_9null_typeES9_S9_S9_S9_S9_S9_S9_EENS0_10empty_typeEbEEZZNS1_14partition_implILS5_3ELb0ES3_jNS7_6detail15normal_iteratorINS7_7pointerISA_NS7_11hip_rocprim3tagENS7_11use_defaultESJ_EEEEPSB_SM_NS0_5tupleIJPSA_SM_EEENSN_IJSM_SM_EEESB_PlJ10is_orderedEEE10hipError_tPvRmT3_T4_T5_T6_T7_T9_mT8_P12ihipStream_tbDpT10_ENKUlT_T0_E_clISt17integral_constantIbLb1EES1B_IbLb0EEEEDaS17_S18_EUlS17_E_NS1_11comp_targetILNS1_3genE8ELNS1_11target_archE1030ELNS1_3gpuE2ELNS1_3repE0EEENS1_30default_config_static_selectorELNS0_4arch9wavefront6targetE1EEEvT1_
; %bb.0:
	.section	.rodata,"a",@progbits
	.p2align	6, 0x0
	.amdhsa_kernel _ZN7rocprim17ROCPRIM_400000_NS6detail17trampoline_kernelINS0_14default_configENS1_25partition_config_selectorILNS1_17partition_subalgoE3EN6thrust23THRUST_200600_302600_NS5tupleIiiNS7_9null_typeES9_S9_S9_S9_S9_S9_S9_EENS0_10empty_typeEbEEZZNS1_14partition_implILS5_3ELb0ES3_jNS7_6detail15normal_iteratorINS7_7pointerISA_NS7_11hip_rocprim3tagENS7_11use_defaultESJ_EEEEPSB_SM_NS0_5tupleIJPSA_SM_EEENSN_IJSM_SM_EEESB_PlJ10is_orderedEEE10hipError_tPvRmT3_T4_T5_T6_T7_T9_mT8_P12ihipStream_tbDpT10_ENKUlT_T0_E_clISt17integral_constantIbLb1EES1B_IbLb0EEEEDaS17_S18_EUlS17_E_NS1_11comp_targetILNS1_3genE8ELNS1_11target_archE1030ELNS1_3gpuE2ELNS1_3repE0EEENS1_30default_config_static_selectorELNS0_4arch9wavefront6targetE1EEEvT1_
		.amdhsa_group_segment_fixed_size 0
		.amdhsa_private_segment_fixed_size 0
		.amdhsa_kernarg_size 120
		.amdhsa_user_sgpr_count 6
		.amdhsa_user_sgpr_private_segment_buffer 1
		.amdhsa_user_sgpr_dispatch_ptr 0
		.amdhsa_user_sgpr_queue_ptr 0
		.amdhsa_user_sgpr_kernarg_segment_ptr 1
		.amdhsa_user_sgpr_dispatch_id 0
		.amdhsa_user_sgpr_flat_scratch_init 0
		.amdhsa_user_sgpr_kernarg_preload_length 0
		.amdhsa_user_sgpr_kernarg_preload_offset 0
		.amdhsa_user_sgpr_private_segment_size 0
		.amdhsa_uses_dynamic_stack 0
		.amdhsa_system_sgpr_private_segment_wavefront_offset 0
		.amdhsa_system_sgpr_workgroup_id_x 1
		.amdhsa_system_sgpr_workgroup_id_y 0
		.amdhsa_system_sgpr_workgroup_id_z 0
		.amdhsa_system_sgpr_workgroup_info 0
		.amdhsa_system_vgpr_workitem_id 0
		.amdhsa_next_free_vgpr 1
		.amdhsa_next_free_sgpr 0
		.amdhsa_accum_offset 4
		.amdhsa_reserve_vcc 0
		.amdhsa_reserve_flat_scratch 0
		.amdhsa_float_round_mode_32 0
		.amdhsa_float_round_mode_16_64 0
		.amdhsa_float_denorm_mode_32 3
		.amdhsa_float_denorm_mode_16_64 3
		.amdhsa_dx10_clamp 1
		.amdhsa_ieee_mode 1
		.amdhsa_fp16_overflow 0
		.amdhsa_tg_split 0
		.amdhsa_exception_fp_ieee_invalid_op 0
		.amdhsa_exception_fp_denorm_src 0
		.amdhsa_exception_fp_ieee_div_zero 0
		.amdhsa_exception_fp_ieee_overflow 0
		.amdhsa_exception_fp_ieee_underflow 0
		.amdhsa_exception_fp_ieee_inexact 0
		.amdhsa_exception_int_div_zero 0
	.end_amdhsa_kernel
	.section	.text._ZN7rocprim17ROCPRIM_400000_NS6detail17trampoline_kernelINS0_14default_configENS1_25partition_config_selectorILNS1_17partition_subalgoE3EN6thrust23THRUST_200600_302600_NS5tupleIiiNS7_9null_typeES9_S9_S9_S9_S9_S9_S9_EENS0_10empty_typeEbEEZZNS1_14partition_implILS5_3ELb0ES3_jNS7_6detail15normal_iteratorINS7_7pointerISA_NS7_11hip_rocprim3tagENS7_11use_defaultESJ_EEEEPSB_SM_NS0_5tupleIJPSA_SM_EEENSN_IJSM_SM_EEESB_PlJ10is_orderedEEE10hipError_tPvRmT3_T4_T5_T6_T7_T9_mT8_P12ihipStream_tbDpT10_ENKUlT_T0_E_clISt17integral_constantIbLb1EES1B_IbLb0EEEEDaS17_S18_EUlS17_E_NS1_11comp_targetILNS1_3genE8ELNS1_11target_archE1030ELNS1_3gpuE2ELNS1_3repE0EEENS1_30default_config_static_selectorELNS0_4arch9wavefront6targetE1EEEvT1_,"axG",@progbits,_ZN7rocprim17ROCPRIM_400000_NS6detail17trampoline_kernelINS0_14default_configENS1_25partition_config_selectorILNS1_17partition_subalgoE3EN6thrust23THRUST_200600_302600_NS5tupleIiiNS7_9null_typeES9_S9_S9_S9_S9_S9_S9_EENS0_10empty_typeEbEEZZNS1_14partition_implILS5_3ELb0ES3_jNS7_6detail15normal_iteratorINS7_7pointerISA_NS7_11hip_rocprim3tagENS7_11use_defaultESJ_EEEEPSB_SM_NS0_5tupleIJPSA_SM_EEENSN_IJSM_SM_EEESB_PlJ10is_orderedEEE10hipError_tPvRmT3_T4_T5_T6_T7_T9_mT8_P12ihipStream_tbDpT10_ENKUlT_T0_E_clISt17integral_constantIbLb1EES1B_IbLb0EEEEDaS17_S18_EUlS17_E_NS1_11comp_targetILNS1_3genE8ELNS1_11target_archE1030ELNS1_3gpuE2ELNS1_3repE0EEENS1_30default_config_static_selectorELNS0_4arch9wavefront6targetE1EEEvT1_,comdat
.Lfunc_end3515:
	.size	_ZN7rocprim17ROCPRIM_400000_NS6detail17trampoline_kernelINS0_14default_configENS1_25partition_config_selectorILNS1_17partition_subalgoE3EN6thrust23THRUST_200600_302600_NS5tupleIiiNS7_9null_typeES9_S9_S9_S9_S9_S9_S9_EENS0_10empty_typeEbEEZZNS1_14partition_implILS5_3ELb0ES3_jNS7_6detail15normal_iteratorINS7_7pointerISA_NS7_11hip_rocprim3tagENS7_11use_defaultESJ_EEEEPSB_SM_NS0_5tupleIJPSA_SM_EEENSN_IJSM_SM_EEESB_PlJ10is_orderedEEE10hipError_tPvRmT3_T4_T5_T6_T7_T9_mT8_P12ihipStream_tbDpT10_ENKUlT_T0_E_clISt17integral_constantIbLb1EES1B_IbLb0EEEEDaS17_S18_EUlS17_E_NS1_11comp_targetILNS1_3genE8ELNS1_11target_archE1030ELNS1_3gpuE2ELNS1_3repE0EEENS1_30default_config_static_selectorELNS0_4arch9wavefront6targetE1EEEvT1_, .Lfunc_end3515-_ZN7rocprim17ROCPRIM_400000_NS6detail17trampoline_kernelINS0_14default_configENS1_25partition_config_selectorILNS1_17partition_subalgoE3EN6thrust23THRUST_200600_302600_NS5tupleIiiNS7_9null_typeES9_S9_S9_S9_S9_S9_S9_EENS0_10empty_typeEbEEZZNS1_14partition_implILS5_3ELb0ES3_jNS7_6detail15normal_iteratorINS7_7pointerISA_NS7_11hip_rocprim3tagENS7_11use_defaultESJ_EEEEPSB_SM_NS0_5tupleIJPSA_SM_EEENSN_IJSM_SM_EEESB_PlJ10is_orderedEEE10hipError_tPvRmT3_T4_T5_T6_T7_T9_mT8_P12ihipStream_tbDpT10_ENKUlT_T0_E_clISt17integral_constantIbLb1EES1B_IbLb0EEEEDaS17_S18_EUlS17_E_NS1_11comp_targetILNS1_3genE8ELNS1_11target_archE1030ELNS1_3gpuE2ELNS1_3repE0EEENS1_30default_config_static_selectorELNS0_4arch9wavefront6targetE1EEEvT1_
                                        ; -- End function
	.section	.AMDGPU.csdata,"",@progbits
; Kernel info:
; codeLenInByte = 0
; NumSgprs: 4
; NumVgprs: 0
; NumAgprs: 0
; TotalNumVgprs: 0
; ScratchSize: 0
; MemoryBound: 0
; FloatMode: 240
; IeeeMode: 1
; LDSByteSize: 0 bytes/workgroup (compile time only)
; SGPRBlocks: 0
; VGPRBlocks: 0
; NumSGPRsForWavesPerEU: 4
; NumVGPRsForWavesPerEU: 1
; AccumOffset: 4
; Occupancy: 8
; WaveLimiterHint : 0
; COMPUTE_PGM_RSRC2:SCRATCH_EN: 0
; COMPUTE_PGM_RSRC2:USER_SGPR: 6
; COMPUTE_PGM_RSRC2:TRAP_HANDLER: 0
; COMPUTE_PGM_RSRC2:TGID_X_EN: 1
; COMPUTE_PGM_RSRC2:TGID_Y_EN: 0
; COMPUTE_PGM_RSRC2:TGID_Z_EN: 0
; COMPUTE_PGM_RSRC2:TIDIG_COMP_CNT: 0
; COMPUTE_PGM_RSRC3_GFX90A:ACCUM_OFFSET: 0
; COMPUTE_PGM_RSRC3_GFX90A:TG_SPLIT: 0
	.section	.text._ZN7rocprim17ROCPRIM_400000_NS6detail17trampoline_kernelINS0_14default_configENS1_25partition_config_selectorILNS1_17partition_subalgoE3EN6thrust23THRUST_200600_302600_NS5tupleIiiNS7_9null_typeES9_S9_S9_S9_S9_S9_S9_EENS0_10empty_typeEbEEZZNS1_14partition_implILS5_3ELb0ES3_jNS7_6detail15normal_iteratorINS7_7pointerISA_NS7_11hip_rocprim3tagENS7_11use_defaultESJ_EEEEPSB_SM_NS0_5tupleIJPSA_SM_EEENSN_IJSM_SM_EEESB_PlJ10is_orderedEEE10hipError_tPvRmT3_T4_T5_T6_T7_T9_mT8_P12ihipStream_tbDpT10_ENKUlT_T0_E_clISt17integral_constantIbLb0EES1B_IbLb1EEEEDaS17_S18_EUlS17_E_NS1_11comp_targetILNS1_3genE0ELNS1_11target_archE4294967295ELNS1_3gpuE0ELNS1_3repE0EEENS1_30default_config_static_selectorELNS0_4arch9wavefront6targetE1EEEvT1_,"axG",@progbits,_ZN7rocprim17ROCPRIM_400000_NS6detail17trampoline_kernelINS0_14default_configENS1_25partition_config_selectorILNS1_17partition_subalgoE3EN6thrust23THRUST_200600_302600_NS5tupleIiiNS7_9null_typeES9_S9_S9_S9_S9_S9_S9_EENS0_10empty_typeEbEEZZNS1_14partition_implILS5_3ELb0ES3_jNS7_6detail15normal_iteratorINS7_7pointerISA_NS7_11hip_rocprim3tagENS7_11use_defaultESJ_EEEEPSB_SM_NS0_5tupleIJPSA_SM_EEENSN_IJSM_SM_EEESB_PlJ10is_orderedEEE10hipError_tPvRmT3_T4_T5_T6_T7_T9_mT8_P12ihipStream_tbDpT10_ENKUlT_T0_E_clISt17integral_constantIbLb0EES1B_IbLb1EEEEDaS17_S18_EUlS17_E_NS1_11comp_targetILNS1_3genE0ELNS1_11target_archE4294967295ELNS1_3gpuE0ELNS1_3repE0EEENS1_30default_config_static_selectorELNS0_4arch9wavefront6targetE1EEEvT1_,comdat
	.protected	_ZN7rocprim17ROCPRIM_400000_NS6detail17trampoline_kernelINS0_14default_configENS1_25partition_config_selectorILNS1_17partition_subalgoE3EN6thrust23THRUST_200600_302600_NS5tupleIiiNS7_9null_typeES9_S9_S9_S9_S9_S9_S9_EENS0_10empty_typeEbEEZZNS1_14partition_implILS5_3ELb0ES3_jNS7_6detail15normal_iteratorINS7_7pointerISA_NS7_11hip_rocprim3tagENS7_11use_defaultESJ_EEEEPSB_SM_NS0_5tupleIJPSA_SM_EEENSN_IJSM_SM_EEESB_PlJ10is_orderedEEE10hipError_tPvRmT3_T4_T5_T6_T7_T9_mT8_P12ihipStream_tbDpT10_ENKUlT_T0_E_clISt17integral_constantIbLb0EES1B_IbLb1EEEEDaS17_S18_EUlS17_E_NS1_11comp_targetILNS1_3genE0ELNS1_11target_archE4294967295ELNS1_3gpuE0ELNS1_3repE0EEENS1_30default_config_static_selectorELNS0_4arch9wavefront6targetE1EEEvT1_ ; -- Begin function _ZN7rocprim17ROCPRIM_400000_NS6detail17trampoline_kernelINS0_14default_configENS1_25partition_config_selectorILNS1_17partition_subalgoE3EN6thrust23THRUST_200600_302600_NS5tupleIiiNS7_9null_typeES9_S9_S9_S9_S9_S9_S9_EENS0_10empty_typeEbEEZZNS1_14partition_implILS5_3ELb0ES3_jNS7_6detail15normal_iteratorINS7_7pointerISA_NS7_11hip_rocprim3tagENS7_11use_defaultESJ_EEEEPSB_SM_NS0_5tupleIJPSA_SM_EEENSN_IJSM_SM_EEESB_PlJ10is_orderedEEE10hipError_tPvRmT3_T4_T5_T6_T7_T9_mT8_P12ihipStream_tbDpT10_ENKUlT_T0_E_clISt17integral_constantIbLb0EES1B_IbLb1EEEEDaS17_S18_EUlS17_E_NS1_11comp_targetILNS1_3genE0ELNS1_11target_archE4294967295ELNS1_3gpuE0ELNS1_3repE0EEENS1_30default_config_static_selectorELNS0_4arch9wavefront6targetE1EEEvT1_
	.globl	_ZN7rocprim17ROCPRIM_400000_NS6detail17trampoline_kernelINS0_14default_configENS1_25partition_config_selectorILNS1_17partition_subalgoE3EN6thrust23THRUST_200600_302600_NS5tupleIiiNS7_9null_typeES9_S9_S9_S9_S9_S9_S9_EENS0_10empty_typeEbEEZZNS1_14partition_implILS5_3ELb0ES3_jNS7_6detail15normal_iteratorINS7_7pointerISA_NS7_11hip_rocprim3tagENS7_11use_defaultESJ_EEEEPSB_SM_NS0_5tupleIJPSA_SM_EEENSN_IJSM_SM_EEESB_PlJ10is_orderedEEE10hipError_tPvRmT3_T4_T5_T6_T7_T9_mT8_P12ihipStream_tbDpT10_ENKUlT_T0_E_clISt17integral_constantIbLb0EES1B_IbLb1EEEEDaS17_S18_EUlS17_E_NS1_11comp_targetILNS1_3genE0ELNS1_11target_archE4294967295ELNS1_3gpuE0ELNS1_3repE0EEENS1_30default_config_static_selectorELNS0_4arch9wavefront6targetE1EEEvT1_
	.p2align	8
	.type	_ZN7rocprim17ROCPRIM_400000_NS6detail17trampoline_kernelINS0_14default_configENS1_25partition_config_selectorILNS1_17partition_subalgoE3EN6thrust23THRUST_200600_302600_NS5tupleIiiNS7_9null_typeES9_S9_S9_S9_S9_S9_S9_EENS0_10empty_typeEbEEZZNS1_14partition_implILS5_3ELb0ES3_jNS7_6detail15normal_iteratorINS7_7pointerISA_NS7_11hip_rocprim3tagENS7_11use_defaultESJ_EEEEPSB_SM_NS0_5tupleIJPSA_SM_EEENSN_IJSM_SM_EEESB_PlJ10is_orderedEEE10hipError_tPvRmT3_T4_T5_T6_T7_T9_mT8_P12ihipStream_tbDpT10_ENKUlT_T0_E_clISt17integral_constantIbLb0EES1B_IbLb1EEEEDaS17_S18_EUlS17_E_NS1_11comp_targetILNS1_3genE0ELNS1_11target_archE4294967295ELNS1_3gpuE0ELNS1_3repE0EEENS1_30default_config_static_selectorELNS0_4arch9wavefront6targetE1EEEvT1_,@function
_ZN7rocprim17ROCPRIM_400000_NS6detail17trampoline_kernelINS0_14default_configENS1_25partition_config_selectorILNS1_17partition_subalgoE3EN6thrust23THRUST_200600_302600_NS5tupleIiiNS7_9null_typeES9_S9_S9_S9_S9_S9_S9_EENS0_10empty_typeEbEEZZNS1_14partition_implILS5_3ELb0ES3_jNS7_6detail15normal_iteratorINS7_7pointerISA_NS7_11hip_rocprim3tagENS7_11use_defaultESJ_EEEEPSB_SM_NS0_5tupleIJPSA_SM_EEENSN_IJSM_SM_EEESB_PlJ10is_orderedEEE10hipError_tPvRmT3_T4_T5_T6_T7_T9_mT8_P12ihipStream_tbDpT10_ENKUlT_T0_E_clISt17integral_constantIbLb0EES1B_IbLb1EEEEDaS17_S18_EUlS17_E_NS1_11comp_targetILNS1_3genE0ELNS1_11target_archE4294967295ELNS1_3gpuE0ELNS1_3repE0EEENS1_30default_config_static_selectorELNS0_4arch9wavefront6targetE1EEEvT1_: ; @_ZN7rocprim17ROCPRIM_400000_NS6detail17trampoline_kernelINS0_14default_configENS1_25partition_config_selectorILNS1_17partition_subalgoE3EN6thrust23THRUST_200600_302600_NS5tupleIiiNS7_9null_typeES9_S9_S9_S9_S9_S9_S9_EENS0_10empty_typeEbEEZZNS1_14partition_implILS5_3ELb0ES3_jNS7_6detail15normal_iteratorINS7_7pointerISA_NS7_11hip_rocprim3tagENS7_11use_defaultESJ_EEEEPSB_SM_NS0_5tupleIJPSA_SM_EEENSN_IJSM_SM_EEESB_PlJ10is_orderedEEE10hipError_tPvRmT3_T4_T5_T6_T7_T9_mT8_P12ihipStream_tbDpT10_ENKUlT_T0_E_clISt17integral_constantIbLb0EES1B_IbLb1EEEEDaS17_S18_EUlS17_E_NS1_11comp_targetILNS1_3genE0ELNS1_11target_archE4294967295ELNS1_3gpuE0ELNS1_3repE0EEENS1_30default_config_static_selectorELNS0_4arch9wavefront6targetE1EEEvT1_
; %bb.0:
	.section	.rodata,"a",@progbits
	.p2align	6, 0x0
	.amdhsa_kernel _ZN7rocprim17ROCPRIM_400000_NS6detail17trampoline_kernelINS0_14default_configENS1_25partition_config_selectorILNS1_17partition_subalgoE3EN6thrust23THRUST_200600_302600_NS5tupleIiiNS7_9null_typeES9_S9_S9_S9_S9_S9_S9_EENS0_10empty_typeEbEEZZNS1_14partition_implILS5_3ELb0ES3_jNS7_6detail15normal_iteratorINS7_7pointerISA_NS7_11hip_rocprim3tagENS7_11use_defaultESJ_EEEEPSB_SM_NS0_5tupleIJPSA_SM_EEENSN_IJSM_SM_EEESB_PlJ10is_orderedEEE10hipError_tPvRmT3_T4_T5_T6_T7_T9_mT8_P12ihipStream_tbDpT10_ENKUlT_T0_E_clISt17integral_constantIbLb0EES1B_IbLb1EEEEDaS17_S18_EUlS17_E_NS1_11comp_targetILNS1_3genE0ELNS1_11target_archE4294967295ELNS1_3gpuE0ELNS1_3repE0EEENS1_30default_config_static_selectorELNS0_4arch9wavefront6targetE1EEEvT1_
		.amdhsa_group_segment_fixed_size 0
		.amdhsa_private_segment_fixed_size 0
		.amdhsa_kernarg_size 136
		.amdhsa_user_sgpr_count 6
		.amdhsa_user_sgpr_private_segment_buffer 1
		.amdhsa_user_sgpr_dispatch_ptr 0
		.amdhsa_user_sgpr_queue_ptr 0
		.amdhsa_user_sgpr_kernarg_segment_ptr 1
		.amdhsa_user_sgpr_dispatch_id 0
		.amdhsa_user_sgpr_flat_scratch_init 0
		.amdhsa_user_sgpr_kernarg_preload_length 0
		.amdhsa_user_sgpr_kernarg_preload_offset 0
		.amdhsa_user_sgpr_private_segment_size 0
		.amdhsa_uses_dynamic_stack 0
		.amdhsa_system_sgpr_private_segment_wavefront_offset 0
		.amdhsa_system_sgpr_workgroup_id_x 1
		.amdhsa_system_sgpr_workgroup_id_y 0
		.amdhsa_system_sgpr_workgroup_id_z 0
		.amdhsa_system_sgpr_workgroup_info 0
		.amdhsa_system_vgpr_workitem_id 0
		.amdhsa_next_free_vgpr 1
		.amdhsa_next_free_sgpr 0
		.amdhsa_accum_offset 4
		.amdhsa_reserve_vcc 0
		.amdhsa_reserve_flat_scratch 0
		.amdhsa_float_round_mode_32 0
		.amdhsa_float_round_mode_16_64 0
		.amdhsa_float_denorm_mode_32 3
		.amdhsa_float_denorm_mode_16_64 3
		.amdhsa_dx10_clamp 1
		.amdhsa_ieee_mode 1
		.amdhsa_fp16_overflow 0
		.amdhsa_tg_split 0
		.amdhsa_exception_fp_ieee_invalid_op 0
		.amdhsa_exception_fp_denorm_src 0
		.amdhsa_exception_fp_ieee_div_zero 0
		.amdhsa_exception_fp_ieee_overflow 0
		.amdhsa_exception_fp_ieee_underflow 0
		.amdhsa_exception_fp_ieee_inexact 0
		.amdhsa_exception_int_div_zero 0
	.end_amdhsa_kernel
	.section	.text._ZN7rocprim17ROCPRIM_400000_NS6detail17trampoline_kernelINS0_14default_configENS1_25partition_config_selectorILNS1_17partition_subalgoE3EN6thrust23THRUST_200600_302600_NS5tupleIiiNS7_9null_typeES9_S9_S9_S9_S9_S9_S9_EENS0_10empty_typeEbEEZZNS1_14partition_implILS5_3ELb0ES3_jNS7_6detail15normal_iteratorINS7_7pointerISA_NS7_11hip_rocprim3tagENS7_11use_defaultESJ_EEEEPSB_SM_NS0_5tupleIJPSA_SM_EEENSN_IJSM_SM_EEESB_PlJ10is_orderedEEE10hipError_tPvRmT3_T4_T5_T6_T7_T9_mT8_P12ihipStream_tbDpT10_ENKUlT_T0_E_clISt17integral_constantIbLb0EES1B_IbLb1EEEEDaS17_S18_EUlS17_E_NS1_11comp_targetILNS1_3genE0ELNS1_11target_archE4294967295ELNS1_3gpuE0ELNS1_3repE0EEENS1_30default_config_static_selectorELNS0_4arch9wavefront6targetE1EEEvT1_,"axG",@progbits,_ZN7rocprim17ROCPRIM_400000_NS6detail17trampoline_kernelINS0_14default_configENS1_25partition_config_selectorILNS1_17partition_subalgoE3EN6thrust23THRUST_200600_302600_NS5tupleIiiNS7_9null_typeES9_S9_S9_S9_S9_S9_S9_EENS0_10empty_typeEbEEZZNS1_14partition_implILS5_3ELb0ES3_jNS7_6detail15normal_iteratorINS7_7pointerISA_NS7_11hip_rocprim3tagENS7_11use_defaultESJ_EEEEPSB_SM_NS0_5tupleIJPSA_SM_EEENSN_IJSM_SM_EEESB_PlJ10is_orderedEEE10hipError_tPvRmT3_T4_T5_T6_T7_T9_mT8_P12ihipStream_tbDpT10_ENKUlT_T0_E_clISt17integral_constantIbLb0EES1B_IbLb1EEEEDaS17_S18_EUlS17_E_NS1_11comp_targetILNS1_3genE0ELNS1_11target_archE4294967295ELNS1_3gpuE0ELNS1_3repE0EEENS1_30default_config_static_selectorELNS0_4arch9wavefront6targetE1EEEvT1_,comdat
.Lfunc_end3516:
	.size	_ZN7rocprim17ROCPRIM_400000_NS6detail17trampoline_kernelINS0_14default_configENS1_25partition_config_selectorILNS1_17partition_subalgoE3EN6thrust23THRUST_200600_302600_NS5tupleIiiNS7_9null_typeES9_S9_S9_S9_S9_S9_S9_EENS0_10empty_typeEbEEZZNS1_14partition_implILS5_3ELb0ES3_jNS7_6detail15normal_iteratorINS7_7pointerISA_NS7_11hip_rocprim3tagENS7_11use_defaultESJ_EEEEPSB_SM_NS0_5tupleIJPSA_SM_EEENSN_IJSM_SM_EEESB_PlJ10is_orderedEEE10hipError_tPvRmT3_T4_T5_T6_T7_T9_mT8_P12ihipStream_tbDpT10_ENKUlT_T0_E_clISt17integral_constantIbLb0EES1B_IbLb1EEEEDaS17_S18_EUlS17_E_NS1_11comp_targetILNS1_3genE0ELNS1_11target_archE4294967295ELNS1_3gpuE0ELNS1_3repE0EEENS1_30default_config_static_selectorELNS0_4arch9wavefront6targetE1EEEvT1_, .Lfunc_end3516-_ZN7rocprim17ROCPRIM_400000_NS6detail17trampoline_kernelINS0_14default_configENS1_25partition_config_selectorILNS1_17partition_subalgoE3EN6thrust23THRUST_200600_302600_NS5tupleIiiNS7_9null_typeES9_S9_S9_S9_S9_S9_S9_EENS0_10empty_typeEbEEZZNS1_14partition_implILS5_3ELb0ES3_jNS7_6detail15normal_iteratorINS7_7pointerISA_NS7_11hip_rocprim3tagENS7_11use_defaultESJ_EEEEPSB_SM_NS0_5tupleIJPSA_SM_EEENSN_IJSM_SM_EEESB_PlJ10is_orderedEEE10hipError_tPvRmT3_T4_T5_T6_T7_T9_mT8_P12ihipStream_tbDpT10_ENKUlT_T0_E_clISt17integral_constantIbLb0EES1B_IbLb1EEEEDaS17_S18_EUlS17_E_NS1_11comp_targetILNS1_3genE0ELNS1_11target_archE4294967295ELNS1_3gpuE0ELNS1_3repE0EEENS1_30default_config_static_selectorELNS0_4arch9wavefront6targetE1EEEvT1_
                                        ; -- End function
	.section	.AMDGPU.csdata,"",@progbits
; Kernel info:
; codeLenInByte = 0
; NumSgprs: 4
; NumVgprs: 0
; NumAgprs: 0
; TotalNumVgprs: 0
; ScratchSize: 0
; MemoryBound: 0
; FloatMode: 240
; IeeeMode: 1
; LDSByteSize: 0 bytes/workgroup (compile time only)
; SGPRBlocks: 0
; VGPRBlocks: 0
; NumSGPRsForWavesPerEU: 4
; NumVGPRsForWavesPerEU: 1
; AccumOffset: 4
; Occupancy: 8
; WaveLimiterHint : 0
; COMPUTE_PGM_RSRC2:SCRATCH_EN: 0
; COMPUTE_PGM_RSRC2:USER_SGPR: 6
; COMPUTE_PGM_RSRC2:TRAP_HANDLER: 0
; COMPUTE_PGM_RSRC2:TGID_X_EN: 1
; COMPUTE_PGM_RSRC2:TGID_Y_EN: 0
; COMPUTE_PGM_RSRC2:TGID_Z_EN: 0
; COMPUTE_PGM_RSRC2:TIDIG_COMP_CNT: 0
; COMPUTE_PGM_RSRC3_GFX90A:ACCUM_OFFSET: 0
; COMPUTE_PGM_RSRC3_GFX90A:TG_SPLIT: 0
	.section	.text._ZN7rocprim17ROCPRIM_400000_NS6detail17trampoline_kernelINS0_14default_configENS1_25partition_config_selectorILNS1_17partition_subalgoE3EN6thrust23THRUST_200600_302600_NS5tupleIiiNS7_9null_typeES9_S9_S9_S9_S9_S9_S9_EENS0_10empty_typeEbEEZZNS1_14partition_implILS5_3ELb0ES3_jNS7_6detail15normal_iteratorINS7_7pointerISA_NS7_11hip_rocprim3tagENS7_11use_defaultESJ_EEEEPSB_SM_NS0_5tupleIJPSA_SM_EEENSN_IJSM_SM_EEESB_PlJ10is_orderedEEE10hipError_tPvRmT3_T4_T5_T6_T7_T9_mT8_P12ihipStream_tbDpT10_ENKUlT_T0_E_clISt17integral_constantIbLb0EES1B_IbLb1EEEEDaS17_S18_EUlS17_E_NS1_11comp_targetILNS1_3genE5ELNS1_11target_archE942ELNS1_3gpuE9ELNS1_3repE0EEENS1_30default_config_static_selectorELNS0_4arch9wavefront6targetE1EEEvT1_,"axG",@progbits,_ZN7rocprim17ROCPRIM_400000_NS6detail17trampoline_kernelINS0_14default_configENS1_25partition_config_selectorILNS1_17partition_subalgoE3EN6thrust23THRUST_200600_302600_NS5tupleIiiNS7_9null_typeES9_S9_S9_S9_S9_S9_S9_EENS0_10empty_typeEbEEZZNS1_14partition_implILS5_3ELb0ES3_jNS7_6detail15normal_iteratorINS7_7pointerISA_NS7_11hip_rocprim3tagENS7_11use_defaultESJ_EEEEPSB_SM_NS0_5tupleIJPSA_SM_EEENSN_IJSM_SM_EEESB_PlJ10is_orderedEEE10hipError_tPvRmT3_T4_T5_T6_T7_T9_mT8_P12ihipStream_tbDpT10_ENKUlT_T0_E_clISt17integral_constantIbLb0EES1B_IbLb1EEEEDaS17_S18_EUlS17_E_NS1_11comp_targetILNS1_3genE5ELNS1_11target_archE942ELNS1_3gpuE9ELNS1_3repE0EEENS1_30default_config_static_selectorELNS0_4arch9wavefront6targetE1EEEvT1_,comdat
	.protected	_ZN7rocprim17ROCPRIM_400000_NS6detail17trampoline_kernelINS0_14default_configENS1_25partition_config_selectorILNS1_17partition_subalgoE3EN6thrust23THRUST_200600_302600_NS5tupleIiiNS7_9null_typeES9_S9_S9_S9_S9_S9_S9_EENS0_10empty_typeEbEEZZNS1_14partition_implILS5_3ELb0ES3_jNS7_6detail15normal_iteratorINS7_7pointerISA_NS7_11hip_rocprim3tagENS7_11use_defaultESJ_EEEEPSB_SM_NS0_5tupleIJPSA_SM_EEENSN_IJSM_SM_EEESB_PlJ10is_orderedEEE10hipError_tPvRmT3_T4_T5_T6_T7_T9_mT8_P12ihipStream_tbDpT10_ENKUlT_T0_E_clISt17integral_constantIbLb0EES1B_IbLb1EEEEDaS17_S18_EUlS17_E_NS1_11comp_targetILNS1_3genE5ELNS1_11target_archE942ELNS1_3gpuE9ELNS1_3repE0EEENS1_30default_config_static_selectorELNS0_4arch9wavefront6targetE1EEEvT1_ ; -- Begin function _ZN7rocprim17ROCPRIM_400000_NS6detail17trampoline_kernelINS0_14default_configENS1_25partition_config_selectorILNS1_17partition_subalgoE3EN6thrust23THRUST_200600_302600_NS5tupleIiiNS7_9null_typeES9_S9_S9_S9_S9_S9_S9_EENS0_10empty_typeEbEEZZNS1_14partition_implILS5_3ELb0ES3_jNS7_6detail15normal_iteratorINS7_7pointerISA_NS7_11hip_rocprim3tagENS7_11use_defaultESJ_EEEEPSB_SM_NS0_5tupleIJPSA_SM_EEENSN_IJSM_SM_EEESB_PlJ10is_orderedEEE10hipError_tPvRmT3_T4_T5_T6_T7_T9_mT8_P12ihipStream_tbDpT10_ENKUlT_T0_E_clISt17integral_constantIbLb0EES1B_IbLb1EEEEDaS17_S18_EUlS17_E_NS1_11comp_targetILNS1_3genE5ELNS1_11target_archE942ELNS1_3gpuE9ELNS1_3repE0EEENS1_30default_config_static_selectorELNS0_4arch9wavefront6targetE1EEEvT1_
	.globl	_ZN7rocprim17ROCPRIM_400000_NS6detail17trampoline_kernelINS0_14default_configENS1_25partition_config_selectorILNS1_17partition_subalgoE3EN6thrust23THRUST_200600_302600_NS5tupleIiiNS7_9null_typeES9_S9_S9_S9_S9_S9_S9_EENS0_10empty_typeEbEEZZNS1_14partition_implILS5_3ELb0ES3_jNS7_6detail15normal_iteratorINS7_7pointerISA_NS7_11hip_rocprim3tagENS7_11use_defaultESJ_EEEEPSB_SM_NS0_5tupleIJPSA_SM_EEENSN_IJSM_SM_EEESB_PlJ10is_orderedEEE10hipError_tPvRmT3_T4_T5_T6_T7_T9_mT8_P12ihipStream_tbDpT10_ENKUlT_T0_E_clISt17integral_constantIbLb0EES1B_IbLb1EEEEDaS17_S18_EUlS17_E_NS1_11comp_targetILNS1_3genE5ELNS1_11target_archE942ELNS1_3gpuE9ELNS1_3repE0EEENS1_30default_config_static_selectorELNS0_4arch9wavefront6targetE1EEEvT1_
	.p2align	8
	.type	_ZN7rocprim17ROCPRIM_400000_NS6detail17trampoline_kernelINS0_14default_configENS1_25partition_config_selectorILNS1_17partition_subalgoE3EN6thrust23THRUST_200600_302600_NS5tupleIiiNS7_9null_typeES9_S9_S9_S9_S9_S9_S9_EENS0_10empty_typeEbEEZZNS1_14partition_implILS5_3ELb0ES3_jNS7_6detail15normal_iteratorINS7_7pointerISA_NS7_11hip_rocprim3tagENS7_11use_defaultESJ_EEEEPSB_SM_NS0_5tupleIJPSA_SM_EEENSN_IJSM_SM_EEESB_PlJ10is_orderedEEE10hipError_tPvRmT3_T4_T5_T6_T7_T9_mT8_P12ihipStream_tbDpT10_ENKUlT_T0_E_clISt17integral_constantIbLb0EES1B_IbLb1EEEEDaS17_S18_EUlS17_E_NS1_11comp_targetILNS1_3genE5ELNS1_11target_archE942ELNS1_3gpuE9ELNS1_3repE0EEENS1_30default_config_static_selectorELNS0_4arch9wavefront6targetE1EEEvT1_,@function
_ZN7rocprim17ROCPRIM_400000_NS6detail17trampoline_kernelINS0_14default_configENS1_25partition_config_selectorILNS1_17partition_subalgoE3EN6thrust23THRUST_200600_302600_NS5tupleIiiNS7_9null_typeES9_S9_S9_S9_S9_S9_S9_EENS0_10empty_typeEbEEZZNS1_14partition_implILS5_3ELb0ES3_jNS7_6detail15normal_iteratorINS7_7pointerISA_NS7_11hip_rocprim3tagENS7_11use_defaultESJ_EEEEPSB_SM_NS0_5tupleIJPSA_SM_EEENSN_IJSM_SM_EEESB_PlJ10is_orderedEEE10hipError_tPvRmT3_T4_T5_T6_T7_T9_mT8_P12ihipStream_tbDpT10_ENKUlT_T0_E_clISt17integral_constantIbLb0EES1B_IbLb1EEEEDaS17_S18_EUlS17_E_NS1_11comp_targetILNS1_3genE5ELNS1_11target_archE942ELNS1_3gpuE9ELNS1_3repE0EEENS1_30default_config_static_selectorELNS0_4arch9wavefront6targetE1EEEvT1_: ; @_ZN7rocprim17ROCPRIM_400000_NS6detail17trampoline_kernelINS0_14default_configENS1_25partition_config_selectorILNS1_17partition_subalgoE3EN6thrust23THRUST_200600_302600_NS5tupleIiiNS7_9null_typeES9_S9_S9_S9_S9_S9_S9_EENS0_10empty_typeEbEEZZNS1_14partition_implILS5_3ELb0ES3_jNS7_6detail15normal_iteratorINS7_7pointerISA_NS7_11hip_rocprim3tagENS7_11use_defaultESJ_EEEEPSB_SM_NS0_5tupleIJPSA_SM_EEENSN_IJSM_SM_EEESB_PlJ10is_orderedEEE10hipError_tPvRmT3_T4_T5_T6_T7_T9_mT8_P12ihipStream_tbDpT10_ENKUlT_T0_E_clISt17integral_constantIbLb0EES1B_IbLb1EEEEDaS17_S18_EUlS17_E_NS1_11comp_targetILNS1_3genE5ELNS1_11target_archE942ELNS1_3gpuE9ELNS1_3repE0EEENS1_30default_config_static_selectorELNS0_4arch9wavefront6targetE1EEEvT1_
; %bb.0:
	.section	.rodata,"a",@progbits
	.p2align	6, 0x0
	.amdhsa_kernel _ZN7rocprim17ROCPRIM_400000_NS6detail17trampoline_kernelINS0_14default_configENS1_25partition_config_selectorILNS1_17partition_subalgoE3EN6thrust23THRUST_200600_302600_NS5tupleIiiNS7_9null_typeES9_S9_S9_S9_S9_S9_S9_EENS0_10empty_typeEbEEZZNS1_14partition_implILS5_3ELb0ES3_jNS7_6detail15normal_iteratorINS7_7pointerISA_NS7_11hip_rocprim3tagENS7_11use_defaultESJ_EEEEPSB_SM_NS0_5tupleIJPSA_SM_EEENSN_IJSM_SM_EEESB_PlJ10is_orderedEEE10hipError_tPvRmT3_T4_T5_T6_T7_T9_mT8_P12ihipStream_tbDpT10_ENKUlT_T0_E_clISt17integral_constantIbLb0EES1B_IbLb1EEEEDaS17_S18_EUlS17_E_NS1_11comp_targetILNS1_3genE5ELNS1_11target_archE942ELNS1_3gpuE9ELNS1_3repE0EEENS1_30default_config_static_selectorELNS0_4arch9wavefront6targetE1EEEvT1_
		.amdhsa_group_segment_fixed_size 0
		.amdhsa_private_segment_fixed_size 0
		.amdhsa_kernarg_size 136
		.amdhsa_user_sgpr_count 6
		.amdhsa_user_sgpr_private_segment_buffer 1
		.amdhsa_user_sgpr_dispatch_ptr 0
		.amdhsa_user_sgpr_queue_ptr 0
		.amdhsa_user_sgpr_kernarg_segment_ptr 1
		.amdhsa_user_sgpr_dispatch_id 0
		.amdhsa_user_sgpr_flat_scratch_init 0
		.amdhsa_user_sgpr_kernarg_preload_length 0
		.amdhsa_user_sgpr_kernarg_preload_offset 0
		.amdhsa_user_sgpr_private_segment_size 0
		.amdhsa_uses_dynamic_stack 0
		.amdhsa_system_sgpr_private_segment_wavefront_offset 0
		.amdhsa_system_sgpr_workgroup_id_x 1
		.amdhsa_system_sgpr_workgroup_id_y 0
		.amdhsa_system_sgpr_workgroup_id_z 0
		.amdhsa_system_sgpr_workgroup_info 0
		.amdhsa_system_vgpr_workitem_id 0
		.amdhsa_next_free_vgpr 1
		.amdhsa_next_free_sgpr 0
		.amdhsa_accum_offset 4
		.amdhsa_reserve_vcc 0
		.amdhsa_reserve_flat_scratch 0
		.amdhsa_float_round_mode_32 0
		.amdhsa_float_round_mode_16_64 0
		.amdhsa_float_denorm_mode_32 3
		.amdhsa_float_denorm_mode_16_64 3
		.amdhsa_dx10_clamp 1
		.amdhsa_ieee_mode 1
		.amdhsa_fp16_overflow 0
		.amdhsa_tg_split 0
		.amdhsa_exception_fp_ieee_invalid_op 0
		.amdhsa_exception_fp_denorm_src 0
		.amdhsa_exception_fp_ieee_div_zero 0
		.amdhsa_exception_fp_ieee_overflow 0
		.amdhsa_exception_fp_ieee_underflow 0
		.amdhsa_exception_fp_ieee_inexact 0
		.amdhsa_exception_int_div_zero 0
	.end_amdhsa_kernel
	.section	.text._ZN7rocprim17ROCPRIM_400000_NS6detail17trampoline_kernelINS0_14default_configENS1_25partition_config_selectorILNS1_17partition_subalgoE3EN6thrust23THRUST_200600_302600_NS5tupleIiiNS7_9null_typeES9_S9_S9_S9_S9_S9_S9_EENS0_10empty_typeEbEEZZNS1_14partition_implILS5_3ELb0ES3_jNS7_6detail15normal_iteratorINS7_7pointerISA_NS7_11hip_rocprim3tagENS7_11use_defaultESJ_EEEEPSB_SM_NS0_5tupleIJPSA_SM_EEENSN_IJSM_SM_EEESB_PlJ10is_orderedEEE10hipError_tPvRmT3_T4_T5_T6_T7_T9_mT8_P12ihipStream_tbDpT10_ENKUlT_T0_E_clISt17integral_constantIbLb0EES1B_IbLb1EEEEDaS17_S18_EUlS17_E_NS1_11comp_targetILNS1_3genE5ELNS1_11target_archE942ELNS1_3gpuE9ELNS1_3repE0EEENS1_30default_config_static_selectorELNS0_4arch9wavefront6targetE1EEEvT1_,"axG",@progbits,_ZN7rocprim17ROCPRIM_400000_NS6detail17trampoline_kernelINS0_14default_configENS1_25partition_config_selectorILNS1_17partition_subalgoE3EN6thrust23THRUST_200600_302600_NS5tupleIiiNS7_9null_typeES9_S9_S9_S9_S9_S9_S9_EENS0_10empty_typeEbEEZZNS1_14partition_implILS5_3ELb0ES3_jNS7_6detail15normal_iteratorINS7_7pointerISA_NS7_11hip_rocprim3tagENS7_11use_defaultESJ_EEEEPSB_SM_NS0_5tupleIJPSA_SM_EEENSN_IJSM_SM_EEESB_PlJ10is_orderedEEE10hipError_tPvRmT3_T4_T5_T6_T7_T9_mT8_P12ihipStream_tbDpT10_ENKUlT_T0_E_clISt17integral_constantIbLb0EES1B_IbLb1EEEEDaS17_S18_EUlS17_E_NS1_11comp_targetILNS1_3genE5ELNS1_11target_archE942ELNS1_3gpuE9ELNS1_3repE0EEENS1_30default_config_static_selectorELNS0_4arch9wavefront6targetE1EEEvT1_,comdat
.Lfunc_end3517:
	.size	_ZN7rocprim17ROCPRIM_400000_NS6detail17trampoline_kernelINS0_14default_configENS1_25partition_config_selectorILNS1_17partition_subalgoE3EN6thrust23THRUST_200600_302600_NS5tupleIiiNS7_9null_typeES9_S9_S9_S9_S9_S9_S9_EENS0_10empty_typeEbEEZZNS1_14partition_implILS5_3ELb0ES3_jNS7_6detail15normal_iteratorINS7_7pointerISA_NS7_11hip_rocprim3tagENS7_11use_defaultESJ_EEEEPSB_SM_NS0_5tupleIJPSA_SM_EEENSN_IJSM_SM_EEESB_PlJ10is_orderedEEE10hipError_tPvRmT3_T4_T5_T6_T7_T9_mT8_P12ihipStream_tbDpT10_ENKUlT_T0_E_clISt17integral_constantIbLb0EES1B_IbLb1EEEEDaS17_S18_EUlS17_E_NS1_11comp_targetILNS1_3genE5ELNS1_11target_archE942ELNS1_3gpuE9ELNS1_3repE0EEENS1_30default_config_static_selectorELNS0_4arch9wavefront6targetE1EEEvT1_, .Lfunc_end3517-_ZN7rocprim17ROCPRIM_400000_NS6detail17trampoline_kernelINS0_14default_configENS1_25partition_config_selectorILNS1_17partition_subalgoE3EN6thrust23THRUST_200600_302600_NS5tupleIiiNS7_9null_typeES9_S9_S9_S9_S9_S9_S9_EENS0_10empty_typeEbEEZZNS1_14partition_implILS5_3ELb0ES3_jNS7_6detail15normal_iteratorINS7_7pointerISA_NS7_11hip_rocprim3tagENS7_11use_defaultESJ_EEEEPSB_SM_NS0_5tupleIJPSA_SM_EEENSN_IJSM_SM_EEESB_PlJ10is_orderedEEE10hipError_tPvRmT3_T4_T5_T6_T7_T9_mT8_P12ihipStream_tbDpT10_ENKUlT_T0_E_clISt17integral_constantIbLb0EES1B_IbLb1EEEEDaS17_S18_EUlS17_E_NS1_11comp_targetILNS1_3genE5ELNS1_11target_archE942ELNS1_3gpuE9ELNS1_3repE0EEENS1_30default_config_static_selectorELNS0_4arch9wavefront6targetE1EEEvT1_
                                        ; -- End function
	.section	.AMDGPU.csdata,"",@progbits
; Kernel info:
; codeLenInByte = 0
; NumSgprs: 4
; NumVgprs: 0
; NumAgprs: 0
; TotalNumVgprs: 0
; ScratchSize: 0
; MemoryBound: 0
; FloatMode: 240
; IeeeMode: 1
; LDSByteSize: 0 bytes/workgroup (compile time only)
; SGPRBlocks: 0
; VGPRBlocks: 0
; NumSGPRsForWavesPerEU: 4
; NumVGPRsForWavesPerEU: 1
; AccumOffset: 4
; Occupancy: 8
; WaveLimiterHint : 0
; COMPUTE_PGM_RSRC2:SCRATCH_EN: 0
; COMPUTE_PGM_RSRC2:USER_SGPR: 6
; COMPUTE_PGM_RSRC2:TRAP_HANDLER: 0
; COMPUTE_PGM_RSRC2:TGID_X_EN: 1
; COMPUTE_PGM_RSRC2:TGID_Y_EN: 0
; COMPUTE_PGM_RSRC2:TGID_Z_EN: 0
; COMPUTE_PGM_RSRC2:TIDIG_COMP_CNT: 0
; COMPUTE_PGM_RSRC3_GFX90A:ACCUM_OFFSET: 0
; COMPUTE_PGM_RSRC3_GFX90A:TG_SPLIT: 0
	.section	.text._ZN7rocprim17ROCPRIM_400000_NS6detail17trampoline_kernelINS0_14default_configENS1_25partition_config_selectorILNS1_17partition_subalgoE3EN6thrust23THRUST_200600_302600_NS5tupleIiiNS7_9null_typeES9_S9_S9_S9_S9_S9_S9_EENS0_10empty_typeEbEEZZNS1_14partition_implILS5_3ELb0ES3_jNS7_6detail15normal_iteratorINS7_7pointerISA_NS7_11hip_rocprim3tagENS7_11use_defaultESJ_EEEEPSB_SM_NS0_5tupleIJPSA_SM_EEENSN_IJSM_SM_EEESB_PlJ10is_orderedEEE10hipError_tPvRmT3_T4_T5_T6_T7_T9_mT8_P12ihipStream_tbDpT10_ENKUlT_T0_E_clISt17integral_constantIbLb0EES1B_IbLb1EEEEDaS17_S18_EUlS17_E_NS1_11comp_targetILNS1_3genE4ELNS1_11target_archE910ELNS1_3gpuE8ELNS1_3repE0EEENS1_30default_config_static_selectorELNS0_4arch9wavefront6targetE1EEEvT1_,"axG",@progbits,_ZN7rocprim17ROCPRIM_400000_NS6detail17trampoline_kernelINS0_14default_configENS1_25partition_config_selectorILNS1_17partition_subalgoE3EN6thrust23THRUST_200600_302600_NS5tupleIiiNS7_9null_typeES9_S9_S9_S9_S9_S9_S9_EENS0_10empty_typeEbEEZZNS1_14partition_implILS5_3ELb0ES3_jNS7_6detail15normal_iteratorINS7_7pointerISA_NS7_11hip_rocprim3tagENS7_11use_defaultESJ_EEEEPSB_SM_NS0_5tupleIJPSA_SM_EEENSN_IJSM_SM_EEESB_PlJ10is_orderedEEE10hipError_tPvRmT3_T4_T5_T6_T7_T9_mT8_P12ihipStream_tbDpT10_ENKUlT_T0_E_clISt17integral_constantIbLb0EES1B_IbLb1EEEEDaS17_S18_EUlS17_E_NS1_11comp_targetILNS1_3genE4ELNS1_11target_archE910ELNS1_3gpuE8ELNS1_3repE0EEENS1_30default_config_static_selectorELNS0_4arch9wavefront6targetE1EEEvT1_,comdat
	.protected	_ZN7rocprim17ROCPRIM_400000_NS6detail17trampoline_kernelINS0_14default_configENS1_25partition_config_selectorILNS1_17partition_subalgoE3EN6thrust23THRUST_200600_302600_NS5tupleIiiNS7_9null_typeES9_S9_S9_S9_S9_S9_S9_EENS0_10empty_typeEbEEZZNS1_14partition_implILS5_3ELb0ES3_jNS7_6detail15normal_iteratorINS7_7pointerISA_NS7_11hip_rocprim3tagENS7_11use_defaultESJ_EEEEPSB_SM_NS0_5tupleIJPSA_SM_EEENSN_IJSM_SM_EEESB_PlJ10is_orderedEEE10hipError_tPvRmT3_T4_T5_T6_T7_T9_mT8_P12ihipStream_tbDpT10_ENKUlT_T0_E_clISt17integral_constantIbLb0EES1B_IbLb1EEEEDaS17_S18_EUlS17_E_NS1_11comp_targetILNS1_3genE4ELNS1_11target_archE910ELNS1_3gpuE8ELNS1_3repE0EEENS1_30default_config_static_selectorELNS0_4arch9wavefront6targetE1EEEvT1_ ; -- Begin function _ZN7rocprim17ROCPRIM_400000_NS6detail17trampoline_kernelINS0_14default_configENS1_25partition_config_selectorILNS1_17partition_subalgoE3EN6thrust23THRUST_200600_302600_NS5tupleIiiNS7_9null_typeES9_S9_S9_S9_S9_S9_S9_EENS0_10empty_typeEbEEZZNS1_14partition_implILS5_3ELb0ES3_jNS7_6detail15normal_iteratorINS7_7pointerISA_NS7_11hip_rocprim3tagENS7_11use_defaultESJ_EEEEPSB_SM_NS0_5tupleIJPSA_SM_EEENSN_IJSM_SM_EEESB_PlJ10is_orderedEEE10hipError_tPvRmT3_T4_T5_T6_T7_T9_mT8_P12ihipStream_tbDpT10_ENKUlT_T0_E_clISt17integral_constantIbLb0EES1B_IbLb1EEEEDaS17_S18_EUlS17_E_NS1_11comp_targetILNS1_3genE4ELNS1_11target_archE910ELNS1_3gpuE8ELNS1_3repE0EEENS1_30default_config_static_selectorELNS0_4arch9wavefront6targetE1EEEvT1_
	.globl	_ZN7rocprim17ROCPRIM_400000_NS6detail17trampoline_kernelINS0_14default_configENS1_25partition_config_selectorILNS1_17partition_subalgoE3EN6thrust23THRUST_200600_302600_NS5tupleIiiNS7_9null_typeES9_S9_S9_S9_S9_S9_S9_EENS0_10empty_typeEbEEZZNS1_14partition_implILS5_3ELb0ES3_jNS7_6detail15normal_iteratorINS7_7pointerISA_NS7_11hip_rocprim3tagENS7_11use_defaultESJ_EEEEPSB_SM_NS0_5tupleIJPSA_SM_EEENSN_IJSM_SM_EEESB_PlJ10is_orderedEEE10hipError_tPvRmT3_T4_T5_T6_T7_T9_mT8_P12ihipStream_tbDpT10_ENKUlT_T0_E_clISt17integral_constantIbLb0EES1B_IbLb1EEEEDaS17_S18_EUlS17_E_NS1_11comp_targetILNS1_3genE4ELNS1_11target_archE910ELNS1_3gpuE8ELNS1_3repE0EEENS1_30default_config_static_selectorELNS0_4arch9wavefront6targetE1EEEvT1_
	.p2align	8
	.type	_ZN7rocprim17ROCPRIM_400000_NS6detail17trampoline_kernelINS0_14default_configENS1_25partition_config_selectorILNS1_17partition_subalgoE3EN6thrust23THRUST_200600_302600_NS5tupleIiiNS7_9null_typeES9_S9_S9_S9_S9_S9_S9_EENS0_10empty_typeEbEEZZNS1_14partition_implILS5_3ELb0ES3_jNS7_6detail15normal_iteratorINS7_7pointerISA_NS7_11hip_rocprim3tagENS7_11use_defaultESJ_EEEEPSB_SM_NS0_5tupleIJPSA_SM_EEENSN_IJSM_SM_EEESB_PlJ10is_orderedEEE10hipError_tPvRmT3_T4_T5_T6_T7_T9_mT8_P12ihipStream_tbDpT10_ENKUlT_T0_E_clISt17integral_constantIbLb0EES1B_IbLb1EEEEDaS17_S18_EUlS17_E_NS1_11comp_targetILNS1_3genE4ELNS1_11target_archE910ELNS1_3gpuE8ELNS1_3repE0EEENS1_30default_config_static_selectorELNS0_4arch9wavefront6targetE1EEEvT1_,@function
_ZN7rocprim17ROCPRIM_400000_NS6detail17trampoline_kernelINS0_14default_configENS1_25partition_config_selectorILNS1_17partition_subalgoE3EN6thrust23THRUST_200600_302600_NS5tupleIiiNS7_9null_typeES9_S9_S9_S9_S9_S9_S9_EENS0_10empty_typeEbEEZZNS1_14partition_implILS5_3ELb0ES3_jNS7_6detail15normal_iteratorINS7_7pointerISA_NS7_11hip_rocprim3tagENS7_11use_defaultESJ_EEEEPSB_SM_NS0_5tupleIJPSA_SM_EEENSN_IJSM_SM_EEESB_PlJ10is_orderedEEE10hipError_tPvRmT3_T4_T5_T6_T7_T9_mT8_P12ihipStream_tbDpT10_ENKUlT_T0_E_clISt17integral_constantIbLb0EES1B_IbLb1EEEEDaS17_S18_EUlS17_E_NS1_11comp_targetILNS1_3genE4ELNS1_11target_archE910ELNS1_3gpuE8ELNS1_3repE0EEENS1_30default_config_static_selectorELNS0_4arch9wavefront6targetE1EEEvT1_: ; @_ZN7rocprim17ROCPRIM_400000_NS6detail17trampoline_kernelINS0_14default_configENS1_25partition_config_selectorILNS1_17partition_subalgoE3EN6thrust23THRUST_200600_302600_NS5tupleIiiNS7_9null_typeES9_S9_S9_S9_S9_S9_S9_EENS0_10empty_typeEbEEZZNS1_14partition_implILS5_3ELb0ES3_jNS7_6detail15normal_iteratorINS7_7pointerISA_NS7_11hip_rocprim3tagENS7_11use_defaultESJ_EEEEPSB_SM_NS0_5tupleIJPSA_SM_EEENSN_IJSM_SM_EEESB_PlJ10is_orderedEEE10hipError_tPvRmT3_T4_T5_T6_T7_T9_mT8_P12ihipStream_tbDpT10_ENKUlT_T0_E_clISt17integral_constantIbLb0EES1B_IbLb1EEEEDaS17_S18_EUlS17_E_NS1_11comp_targetILNS1_3genE4ELNS1_11target_archE910ELNS1_3gpuE8ELNS1_3repE0EEENS1_30default_config_static_selectorELNS0_4arch9wavefront6targetE1EEEvT1_
; %bb.0:
	s_load_dwordx2 s[28:29], s[4:5], 0x28
	s_load_dwordx4 s[20:23], s[4:5], 0x48
	s_load_dwordx2 s[30:31], s[4:5], 0x58
	s_load_dwordx2 s[34:35], s[4:5], 0x68
	v_cmp_eq_u32_e64 s[0:1], 0, v0
	s_and_saveexec_b64 s[2:3], s[0:1]
	s_cbranch_execz .LBB3518_4
; %bb.1:
	s_mov_b64 s[8:9], exec
	v_mbcnt_lo_u32_b32 v1, s8, 0
	v_mbcnt_hi_u32_b32 v1, s9, v1
	v_cmp_eq_u32_e32 vcc, 0, v1
                                        ; implicit-def: $vgpr2
	s_and_saveexec_b64 s[6:7], vcc
	s_cbranch_execz .LBB3518_3
; %bb.2:
	s_load_dwordx2 s[10:11], s[4:5], 0x78
	s_bcnt1_i32_b64 s8, s[8:9]
	v_mov_b32_e32 v2, 0
	v_mov_b32_e32 v3, s8
	s_waitcnt lgkmcnt(0)
	global_atomic_add v2, v2, v3, s[10:11] glc
.LBB3518_3:
	s_or_b64 exec, exec, s[6:7]
	s_waitcnt vmcnt(0)
	v_readfirstlane_b32 s6, v2
	v_add_u32_e32 v1, s6, v1
	v_mov_b32_e32 v2, 0
	ds_write_b32 v2, v1
.LBB3518_4:
	s_or_b64 exec, exec, s[2:3]
	v_mov_b32_e32 v11, 0
	s_load_dwordx4 s[24:27], s[4:5], 0x8
	s_load_dword s2, s[4:5], 0x70
	s_waitcnt lgkmcnt(0)
	s_barrier
	ds_read_b32 v1, v11
	s_waitcnt lgkmcnt(0)
	s_barrier
	global_load_dwordx2 v[12:13], v11, s[22:23]
	s_lshl_b64 s[4:5], s[26:27], 3
	s_add_u32 s6, s24, s4
	s_addc_u32 s7, s25, s5
	s_add_i32 s4, s2, -1
	s_mulk_i32 s2, 0x300
	s_add_i32 s3, s2, s26
	s_sub_i32 s33, s30, s3
	s_addk_i32 s33, 0x300
	s_add_u32 s2, s26, s2
	v_readfirstlane_b32 s42, v1
	s_addc_u32 s3, s27, 0
	s_movk_i32 s8, 0x300
	s_cmp_eq_u32 s42, s4
	s_cselect_b64 s[22:23], -1, 0
	s_cmp_lg_u32 s42, s4
	v_mul_lo_u32 v10, v1, s8
	v_pk_mov_b32 v[2:3], s[30:31], s[30:31] op_sel:[0,1]
	s_cselect_b64 s[4:5], -1, 0
	v_cmp_lt_u64_e32 vcc, s[2:3], v[2:3]
	v_lshlrev_b64 v[2:3], 3, v[10:11]
	s_or_b64 s[4:5], vcc, s[4:5]
	v_mov_b32_e32 v1, s7
	v_add_co_u32_e32 v14, vcc, s6, v2
	v_addc_co_u32_e32 v15, vcc, v1, v3, vcc
	s_mov_b64 s[2:3], -1
	s_and_b64 vcc, exec, s[4:5]
	v_lshlrev_b32_e32 v1, 3, v0
	v_lshrrev_b32_e32 v11, 2, v0
	s_cbranch_vccz .LBB3518_6
; %bb.5:
	v_add_co_u32_e32 v2, vcc, v14, v1
	v_addc_co_u32_e32 v3, vcc, 0, v15, vcc
	v_add_co_u32_e32 v4, vcc, 0x1000, v2
	v_addc_co_u32_e32 v5, vcc, 0, v3, vcc
	flat_load_dwordx2 v[6:7], v[2:3]
	flat_load_dwordx2 v[8:9], v[2:3] offset:1536
	flat_load_dwordx2 v[16:17], v[2:3] offset:3072
	;; [unrolled: 1-line block ×3, first 2 shown]
	v_add_u32_e32 v3, 0xc0, v0
	v_add_u32_e32 v4, 0x180, v0
	;; [unrolled: 1-line block ×3, first 2 shown]
	v_and_b32_e32 v2, 56, v11
	v_lshrrev_b32_e32 v3, 2, v3
	v_lshrrev_b32_e32 v4, 2, v4
	v_lshrrev_b32_e32 v5, 2, v5
	v_add_u32_e32 v2, v2, v1
	v_and_b32_e32 v3, 0x78, v3
	v_and_b32_e32 v4, 0xf8, v4
	;; [unrolled: 1-line block ×3, first 2 shown]
	v_add_u32_e32 v3, v3, v1
	v_add_u32_e32 v4, v4, v1
	;; [unrolled: 1-line block ×3, first 2 shown]
	s_mov_b64 s[2:3], 0
	s_waitcnt vmcnt(0) lgkmcnt(0)
	ds_write_b64 v2, v[6:7]
	ds_write_b64 v3, v[8:9] offset:1536
	ds_write_b64 v4, v[16:17] offset:3072
	;; [unrolled: 1-line block ×3, first 2 shown]
	s_waitcnt lgkmcnt(0)
	s_barrier
.LBB3518_6:
	s_andn2_b64 vcc, exec, s[2:3]
	v_cmp_gt_u32_e64 s[2:3], s33, v0
	s_cbranch_vccnz .LBB3518_16
; %bb.7:
	v_pk_mov_b32 v[2:3], 0, 0
	v_pk_mov_b32 v[4:5], v[2:3], v[2:3] op_sel:[0,1]
	s_and_saveexec_b64 s[6:7], s[2:3]
	s_cbranch_execz .LBB3518_9
; %bb.8:
	v_add_co_u32_e32 v4, vcc, v14, v1
	v_addc_co_u32_e32 v5, vcc, 0, v15, vcc
	flat_load_dwordx2 v[4:5], v[4:5]
.LBB3518_9:
	s_or_b64 exec, exec, s[6:7]
	v_add_u32_e32 v16, 0xc0, v0
	v_cmp_gt_u32_e32 vcc, s33, v16
	s_and_saveexec_b64 s[2:3], vcc
	s_cbranch_execz .LBB3518_11
; %bb.10:
	v_add_co_u32_e32 v2, vcc, v14, v1
	v_addc_co_u32_e32 v3, vcc, 0, v15, vcc
	flat_load_dwordx2 v[2:3], v[2:3] offset:1536
.LBB3518_11:
	s_or_b64 exec, exec, s[2:3]
	v_add_u32_e32 v17, 0x180, v0
	v_pk_mov_b32 v[6:7], 0, 0
	v_cmp_gt_u32_e32 vcc, s33, v17
	v_pk_mov_b32 v[8:9], v[6:7], v[6:7] op_sel:[0,1]
	s_and_saveexec_b64 s[2:3], vcc
	s_cbranch_execz .LBB3518_13
; %bb.12:
	v_add_co_u32_e32 v8, vcc, v14, v1
	v_addc_co_u32_e32 v9, vcc, 0, v15, vcc
	flat_load_dwordx2 v[8:9], v[8:9] offset:3072
.LBB3518_13:
	s_or_b64 exec, exec, s[2:3]
	v_add_u32_e32 v18, 0x240, v0
	v_cmp_gt_u32_e32 vcc, s33, v18
	s_and_saveexec_b64 s[2:3], vcc
	s_cbranch_execz .LBB3518_15
; %bb.14:
	v_lshlrev_b32_e32 v6, 3, v18
	v_add_co_u32_e32 v6, vcc, v14, v6
	v_addc_co_u32_e32 v7, vcc, 0, v15, vcc
	flat_load_dwordx2 v[6:7], v[6:7]
.LBB3518_15:
	s_or_b64 exec, exec, s[2:3]
	v_and_b32_e32 v11, 56, v11
	v_add_u32_e32 v11, v11, v1
	s_waitcnt vmcnt(0) lgkmcnt(0)
	ds_write_b64 v11, v[4:5]
	v_lshrrev_b32_e32 v4, 2, v16
	v_and_b32_e32 v4, 0x78, v4
	v_add_u32_e32 v4, v4, v1
	ds_write_b64 v4, v[2:3] offset:1536
	v_lshrrev_b32_e32 v2, 2, v17
	v_and_b32_e32 v2, 0xf8, v2
	v_add_u32_e32 v2, v2, v1
	ds_write_b64 v2, v[8:9] offset:3072
	;; [unrolled: 4-line block ×3, first 2 shown]
	s_waitcnt lgkmcnt(0)
	s_barrier
.LBB3518_16:
	v_lshlrev_b32_e32 v11, 2, v0
	v_lshrrev_b32_e32 v2, 3, v0
	v_add_lshl_u32 v2, v2, v11, 3
	ds_read2_b64 v[6:9], v2 offset1:1
	ds_read2_b64 v[2:5], v2 offset0:2 offset1:3
	v_cndmask_b32_e64 v14, 0, 1, s[4:5]
	v_cmp_ne_u32_e64 s[2:3], 1, v14
	s_andn2_b64 vcc, exec, s[4:5]
	s_waitcnt lgkmcnt(1)
	v_cmp_le_i32_e64 s[8:9], v6, v7
	v_cmp_le_i32_e64 s[10:11], v8, v9
	s_waitcnt lgkmcnt(0)
	v_cmp_le_i32_e64 s[6:7], v2, v3
	v_cmp_le_i32_e64 s[4:5], v4, v5
	s_barrier
	s_cbranch_vccnz .LBB3518_18
; %bb.17:
	v_cndmask_b32_e64 v15, 0, 1, s[10:11]
	v_cndmask_b32_e64 v14, 0, 1, s[8:9]
	v_lshlrev_b16_e32 v15, 8, v15
	v_or_b32_e32 v14, v14, v15
	v_and_b32_e32 v14, 0xffff, v14
	v_cndmask_b32_e64 v15, 0, 1, s[6:7]
	v_lshl_or_b32 v24, v15, 16, v14
	s_and_b64 s[24:25], s[4:5], exec
	s_cbranch_execz .LBB3518_19
	s_branch .LBB3518_20
.LBB3518_18:
                                        ; implicit-def: $sgpr24_sgpr25
                                        ; implicit-def: $vgpr24
.LBB3518_19:
	v_cmp_gt_u32_e32 vcc, s33, v11
	v_cmp_le_i32_e64 s[4:5], v6, v7
	s_and_b64 s[4:5], vcc, s[4:5]
	v_or_b32_e32 v15, 1, v11
	v_cndmask_b32_e64 v14, 0, 1, s[4:5]
	v_cmp_gt_u32_e32 vcc, s33, v15
	v_cmp_le_i32_e64 s[4:5], v8, v9
	s_and_b64 s[4:5], vcc, s[4:5]
	v_cndmask_b32_e64 v15, 0, 1, s[4:5]
	v_or_b32_e32 v16, 2, v11
	v_cmp_gt_u32_e32 vcc, s33, v16
	v_cmp_le_i32_e64 s[4:5], v2, v3
	v_lshlrev_b16_e32 v15, 8, v15
	v_or_b32_e32 v14, v14, v15
	s_and_b64 s[4:5], vcc, s[4:5]
	v_and_b32_e32 v14, 0xffff, v14
	v_cndmask_b32_e64 v15, 0, 1, s[4:5]
	v_lshl_or_b32 v24, v15, 16, v14
	v_or_b32_e32 v14, 3, v11
	v_cmp_gt_u32_e32 vcc, s33, v14
	v_cmp_le_i32_e64 s[4:5], v4, v5
	s_and_b64 s[4:5], vcc, s[4:5]
	s_andn2_b64 s[6:7], s[24:25], exec
	s_and_b64 s[4:5], s[4:5], exec
	s_or_b64 s[24:25], s[6:7], s[4:5]
.LBB3518_20:
	v_cndmask_b32_e64 v14, 0, 1, s[24:25]
	v_bfe_u32 v25, v24, 8, 8
	v_bfe_u32 v26, v24, 16, 8
	v_add_u32_sdwa v14, v24, v14 dst_sel:DWORD dst_unused:UNUSED_PAD src0_sel:BYTE_0 src1_sel:DWORD
	v_add3_u32 v29, v14, v25, v26
	v_mbcnt_lo_u32_b32 v14, -1, 0
	v_mbcnt_hi_u32_b32 v27, -1, v14
	v_and_b32_e32 v14, 15, v27
	v_cmp_eq_u32_e64 s[16:17], 0, v14
	v_cmp_lt_u32_e64 s[14:15], 1, v14
	v_cmp_lt_u32_e64 s[12:13], 3, v14
	;; [unrolled: 1-line block ×3, first 2 shown]
	v_and_b32_e32 v14, 16, v27
	v_cmp_eq_u32_e64 s[6:7], 0, v14
	v_and_b32_e32 v14, 0xc0, v0
	v_min_u32_e32 v14, 0x80, v14
	v_or_b32_e32 v14, 63, v14
	s_cmp_lg_u32 s42, 0
	v_cmp_lt_u32_e64 s[4:5], 31, v27
	v_lshrrev_b32_e32 v28, 6, v0
	v_cmp_eq_u32_e64 s[8:9], v14, v0
	s_cbranch_scc0 .LBB3518_47
; %bb.21:
	v_mov_b32_dpp v14, v29 row_shr:1 row_mask:0xf bank_mask:0xf
	v_cndmask_b32_e64 v14, v14, 0, s[16:17]
	v_add_u32_e32 v14, v14, v29
	s_nop 1
	v_mov_b32_dpp v15, v14 row_shr:2 row_mask:0xf bank_mask:0xf
	v_cndmask_b32_e64 v15, 0, v15, s[14:15]
	v_add_u32_e32 v14, v14, v15
	s_nop 1
	;; [unrolled: 4-line block ×4, first 2 shown]
	v_mov_b32_dpp v15, v14 row_bcast:15 row_mask:0xf bank_mask:0xf
	v_cndmask_b32_e64 v15, v15, 0, s[6:7]
	v_add_u32_e32 v14, v14, v15
	s_nop 1
	v_mov_b32_dpp v15, v14 row_bcast:31 row_mask:0xf bank_mask:0xf
	v_cndmask_b32_e64 v15, 0, v15, s[4:5]
	v_add_u32_e32 v14, v14, v15
	s_and_saveexec_b64 s[18:19], s[8:9]
	s_cbranch_execz .LBB3518_23
; %bb.22:
	v_lshlrev_b32_e32 v15, 2, v28
	ds_write_b32 v15, v14
.LBB3518_23:
	s_or_b64 exec, exec, s[18:19]
	v_cmp_gt_u32_e32 vcc, 3, v0
	s_waitcnt lgkmcnt(0)
	s_barrier
	s_and_saveexec_b64 s[18:19], vcc
	s_cbranch_execz .LBB3518_25
; %bb.24:
	ds_read_b32 v15, v11
	v_and_b32_e32 v16, 3, v27
	v_cmp_ne_u32_e32 vcc, 0, v16
	s_waitcnt lgkmcnt(0)
	v_mov_b32_dpp v17, v15 row_shr:1 row_mask:0xf bank_mask:0xf
	v_cndmask_b32_e32 v17, 0, v17, vcc
	v_add_u32_e32 v15, v17, v15
	v_cmp_lt_u32_e32 vcc, 1, v16
	s_nop 0
	v_mov_b32_dpp v17, v15 row_shr:2 row_mask:0xf bank_mask:0xf
	v_cndmask_b32_e32 v16, 0, v17, vcc
	v_add_u32_e32 v15, v15, v16
	ds_write_b32 v11, v15
.LBB3518_25:
	s_or_b64 exec, exec, s[18:19]
	v_cmp_gt_u32_e32 vcc, 64, v0
	v_cmp_lt_u32_e64 s[18:19], 63, v0
	s_waitcnt lgkmcnt(0)
	s_barrier
	s_waitcnt lgkmcnt(0)
                                        ; implicit-def: $vgpr30
	s_and_saveexec_b64 s[36:37], s[18:19]
	s_cbranch_execz .LBB3518_27
; %bb.26:
	v_lshl_add_u32 v15, v28, 2, -4
	ds_read_b32 v30, v15
	s_waitcnt lgkmcnt(0)
	v_add_u32_e32 v14, v30, v14
.LBB3518_27:
	s_or_b64 exec, exec, s[36:37]
	v_add_u32_e32 v15, -1, v27
	v_and_b32_e32 v16, 64, v27
	v_cmp_lt_i32_e64 s[18:19], v15, v16
	v_cndmask_b32_e64 v15, v15, v27, s[18:19]
	v_lshlrev_b32_e32 v15, 2, v15
	ds_bpermute_b32 v31, v15, v14
	v_cmp_eq_u32_e64 s[18:19], 0, v27
	s_and_saveexec_b64 s[36:37], vcc
	s_cbranch_execz .LBB3518_46
; %bb.28:
	v_mov_b32_e32 v21, 0
	ds_read_b32 v14, v21 offset:8
	s_and_saveexec_b64 s[38:39], s[18:19]
	s_cbranch_execz .LBB3518_30
; %bb.29:
	s_add_i32 s40, s42, 64
	s_mov_b32 s41, 0
	s_lshl_b64 s[40:41], s[40:41], 3
	s_add_u32 s40, s34, s40
	v_mov_b32_e32 v15, 1
	s_addc_u32 s41, s35, s41
	s_waitcnt lgkmcnt(0)
	global_store_dwordx2 v21, v[14:15], s[40:41]
.LBB3518_30:
	s_or_b64 exec, exec, s[38:39]
	v_xad_u32 v16, v27, -1, s42
	v_add_u32_e32 v20, 64, v16
	v_lshlrev_b64 v[18:19], 3, v[20:21]
	v_mov_b32_e32 v15, s35
	v_add_co_u32_e32 v22, vcc, s34, v18
	v_addc_co_u32_e32 v23, vcc, v15, v19, vcc
	global_load_dwordx2 v[18:19], v[22:23], off glc
	s_waitcnt vmcnt(0)
	v_cmp_eq_u16_sdwa s[40:41], v19, v21 src0_sel:BYTE_0 src1_sel:DWORD
	s_and_saveexec_b64 s[38:39], s[40:41]
	s_cbranch_execz .LBB3518_34
; %bb.31:
	s_mov_b64 s[40:41], 0
	v_mov_b32_e32 v15, 0
.LBB3518_32:                            ; =>This Inner Loop Header: Depth=1
	global_load_dwordx2 v[18:19], v[22:23], off glc
	s_waitcnt vmcnt(0)
	v_cmp_ne_u16_sdwa s[44:45], v19, v15 src0_sel:BYTE_0 src1_sel:DWORD
	s_or_b64 s[40:41], s[44:45], s[40:41]
	s_andn2_b64 exec, exec, s[40:41]
	s_cbranch_execnz .LBB3518_32
; %bb.33:
	s_or_b64 exec, exec, s[40:41]
.LBB3518_34:
	s_or_b64 exec, exec, s[38:39]
	v_and_b32_e32 v33, 63, v27
	v_mov_b32_e32 v32, 2
	v_cmp_ne_u32_e32 vcc, 63, v33
	v_cmp_eq_u16_sdwa s[38:39], v19, v32 src0_sel:BYTE_0 src1_sel:DWORD
	v_lshlrev_b64 v[20:21], v27, -1
	v_addc_co_u32_e32 v22, vcc, 0, v27, vcc
	v_and_b32_e32 v15, s39, v21
	v_lshlrev_b32_e32 v34, 2, v22
	v_or_b32_e32 v15, 0x80000000, v15
	ds_bpermute_b32 v22, v34, v18
	v_and_b32_e32 v17, s38, v20
	v_ffbl_b32_e32 v15, v15
	v_add_u32_e32 v15, 32, v15
	v_ffbl_b32_e32 v17, v17
	v_min_u32_e32 v15, v17, v15
	v_cmp_lt_u32_e32 vcc, v33, v15
	s_waitcnt lgkmcnt(0)
	v_cndmask_b32_e32 v17, 0, v22, vcc
	v_cmp_gt_u32_e32 vcc, 62, v33
	v_add_u32_e32 v17, v17, v18
	v_cndmask_b32_e64 v18, 0, 1, vcc
	v_lshlrev_b32_e32 v18, 1, v18
	v_add_lshl_u32 v35, v18, v27, 2
	ds_bpermute_b32 v18, v35, v17
	v_add_u32_e32 v36, 2, v33
	v_cmp_le_u32_e32 vcc, v36, v15
	v_add_u32_e32 v38, 4, v33
	v_add_u32_e32 v40, 8, v33
	s_waitcnt lgkmcnt(0)
	v_cndmask_b32_e32 v18, 0, v18, vcc
	v_cmp_gt_u32_e32 vcc, 60, v33
	v_add_u32_e32 v17, v17, v18
	v_cndmask_b32_e64 v18, 0, 1, vcc
	v_lshlrev_b32_e32 v18, 2, v18
	v_add_lshl_u32 v37, v18, v27, 2
	ds_bpermute_b32 v18, v37, v17
	v_cmp_le_u32_e32 vcc, v38, v15
	v_add_u32_e32 v42, 16, v33
	v_add_u32_e32 v44, 32, v33
	s_waitcnt lgkmcnt(0)
	v_cndmask_b32_e32 v18, 0, v18, vcc
	v_cmp_gt_u32_e32 vcc, 56, v33
	v_add_u32_e32 v17, v17, v18
	v_cndmask_b32_e64 v18, 0, 1, vcc
	v_lshlrev_b32_e32 v18, 3, v18
	v_add_lshl_u32 v39, v18, v27, 2
	ds_bpermute_b32 v18, v39, v17
	v_cmp_le_u32_e32 vcc, v40, v15
	s_waitcnt lgkmcnt(0)
	v_cndmask_b32_e32 v18, 0, v18, vcc
	v_cmp_gt_u32_e32 vcc, 48, v33
	v_add_u32_e32 v17, v17, v18
	v_cndmask_b32_e64 v18, 0, 1, vcc
	v_lshlrev_b32_e32 v18, 4, v18
	v_add_lshl_u32 v41, v18, v27, 2
	ds_bpermute_b32 v18, v41, v17
	v_cmp_le_u32_e32 vcc, v42, v15
	;; [unrolled: 9-line block ×3, first 2 shown]
	s_waitcnt lgkmcnt(0)
	v_cndmask_b32_e32 v15, 0, v18, vcc
	v_add_u32_e32 v18, v17, v15
	v_mov_b32_e32 v17, 0
	s_branch .LBB3518_36
.LBB3518_35:                            ;   in Loop: Header=BB3518_36 Depth=1
	s_or_b64 exec, exec, s[38:39]
	v_cmp_eq_u16_sdwa s[38:39], v19, v32 src0_sel:BYTE_0 src1_sel:DWORD
	v_and_b32_e32 v22, s39, v21
	v_or_b32_e32 v22, 0x80000000, v22
	ds_bpermute_b32 v45, v34, v18
	v_and_b32_e32 v23, s38, v20
	v_ffbl_b32_e32 v22, v22
	v_add_u32_e32 v22, 32, v22
	v_ffbl_b32_e32 v23, v23
	v_min_u32_e32 v22, v23, v22
	v_cmp_lt_u32_e32 vcc, v33, v22
	s_waitcnt lgkmcnt(0)
	v_cndmask_b32_e32 v23, 0, v45, vcc
	v_add_u32_e32 v18, v23, v18
	ds_bpermute_b32 v23, v35, v18
	v_cmp_le_u32_e32 vcc, v36, v22
	v_subrev_u32_e32 v16, 64, v16
	s_waitcnt lgkmcnt(0)
	v_cndmask_b32_e32 v23, 0, v23, vcc
	v_add_u32_e32 v18, v18, v23
	ds_bpermute_b32 v23, v37, v18
	v_cmp_le_u32_e32 vcc, v38, v22
	s_waitcnt lgkmcnt(0)
	v_cndmask_b32_e32 v23, 0, v23, vcc
	v_add_u32_e32 v18, v18, v23
	ds_bpermute_b32 v23, v39, v18
	v_cmp_le_u32_e32 vcc, v40, v22
	;; [unrolled: 5-line block ×4, first 2 shown]
	s_waitcnt lgkmcnt(0)
	v_cndmask_b32_e32 v22, 0, v23, vcc
	v_add3_u32 v18, v22, v15, v18
.LBB3518_36:                            ; =>This Loop Header: Depth=1
                                        ;     Child Loop BB3518_39 Depth 2
	v_cmp_ne_u16_sdwa s[38:39], v19, v32 src0_sel:BYTE_0 src1_sel:DWORD
	v_cndmask_b32_e64 v15, 0, 1, s[38:39]
	;;#ASMSTART
	;;#ASMEND
	v_cmp_ne_u32_e32 vcc, 0, v15
	s_cmp_lg_u64 vcc, exec
	v_mov_b32_e32 v15, v18
	s_cbranch_scc1 .LBB3518_41
; %bb.37:                               ;   in Loop: Header=BB3518_36 Depth=1
	v_lshlrev_b64 v[18:19], 3, v[16:17]
	v_mov_b32_e32 v23, s35
	v_add_co_u32_e32 v22, vcc, s34, v18
	v_addc_co_u32_e32 v23, vcc, v23, v19, vcc
	global_load_dwordx2 v[18:19], v[22:23], off glc
	s_waitcnt vmcnt(0)
	v_cmp_eq_u16_sdwa s[40:41], v19, v17 src0_sel:BYTE_0 src1_sel:DWORD
	s_and_saveexec_b64 s[38:39], s[40:41]
	s_cbranch_execz .LBB3518_35
; %bb.38:                               ;   in Loop: Header=BB3518_36 Depth=1
	s_mov_b64 s[40:41], 0
.LBB3518_39:                            ;   Parent Loop BB3518_36 Depth=1
                                        ; =>  This Inner Loop Header: Depth=2
	global_load_dwordx2 v[18:19], v[22:23], off glc
	s_waitcnt vmcnt(0)
	v_cmp_ne_u16_sdwa s[44:45], v19, v17 src0_sel:BYTE_0 src1_sel:DWORD
	s_or_b64 s[40:41], s[44:45], s[40:41]
	s_andn2_b64 exec, exec, s[40:41]
	s_cbranch_execnz .LBB3518_39
; %bb.40:                               ;   in Loop: Header=BB3518_36 Depth=1
	s_or_b64 exec, exec, s[40:41]
	s_branch .LBB3518_35
.LBB3518_41:                            ;   in Loop: Header=BB3518_36 Depth=1
                                        ; implicit-def: $vgpr18
                                        ; implicit-def: $vgpr19
	s_cbranch_execz .LBB3518_36
; %bb.42:
	s_and_saveexec_b64 s[38:39], s[18:19]
	s_cbranch_execz .LBB3518_44
; %bb.43:
	s_add_i32 s40, s42, 64
	s_mov_b32 s41, 0
	s_lshl_b64 s[40:41], s[40:41], 3
	s_add_u32 s40, s34, s40
	v_add_u32_e32 v16, v15, v14
	v_mov_b32_e32 v17, 2
	s_addc_u32 s41, s35, s41
	v_mov_b32_e32 v18, 0
	global_store_dwordx2 v18, v[16:17], s[40:41]
	ds_write_b64 v18, v[14:15] offset:6336
.LBB3518_44:
	s_or_b64 exec, exec, s[38:39]
	s_and_b64 exec, exec, s[0:1]
	s_cbranch_execz .LBB3518_46
; %bb.45:
	v_mov_b32_e32 v14, 0
	ds_write_b32 v14, v15 offset:8
.LBB3518_46:
	s_or_b64 exec, exec, s[36:37]
	v_mov_b32_e32 v14, 0
	s_waitcnt lgkmcnt(0)
	s_barrier
	ds_read_b32 v15, v14 offset:8
	v_cndmask_b32_e64 v16, v31, v30, s[18:19]
	v_cndmask_b32_e64 v16, v16, 0, s[0:1]
	s_waitcnt lgkmcnt(0)
	s_barrier
	v_add_u32_e32 v18, v15, v16
	ds_read_b64 v[14:15], v14 offset:6336
	v_add_u32_sdwa v19, v18, v24 dst_sel:DWORD dst_unused:UNUSED_PAD src0_sel:DWORD src1_sel:BYTE_0
	v_add_u32_e32 v17, v19, v25
	v_add_u32_e32 v16, v17, v26
	s_branch .LBB3518_57
.LBB3518_47:
                                        ; implicit-def: $vgpr15
                                        ; implicit-def: $vgpr16
                                        ; implicit-def: $vgpr17
                                        ; implicit-def: $vgpr19
                                        ; implicit-def: $vgpr18
	s_cbranch_execz .LBB3518_57
; %bb.48:
	s_waitcnt lgkmcnt(0)
	v_mov_b32_dpp v14, v29 row_shr:1 row_mask:0xf bank_mask:0xf
	v_cndmask_b32_e64 v14, v14, 0, s[16:17]
	v_add_u32_e32 v14, v14, v29
	s_nop 1
	v_mov_b32_dpp v15, v14 row_shr:2 row_mask:0xf bank_mask:0xf
	v_cndmask_b32_e64 v15, 0, v15, s[14:15]
	v_add_u32_e32 v14, v14, v15
	s_nop 1
	v_mov_b32_dpp v15, v14 row_shr:4 row_mask:0xf bank_mask:0xf
	v_cndmask_b32_e64 v15, 0, v15, s[12:13]
	v_add_u32_e32 v14, v14, v15
	s_nop 1
	v_mov_b32_dpp v15, v14 row_shr:8 row_mask:0xf bank_mask:0xf
	v_cndmask_b32_e64 v15, 0, v15, s[10:11]
	v_add_u32_e32 v14, v14, v15
	s_nop 1
	v_mov_b32_dpp v15, v14 row_bcast:15 row_mask:0xf bank_mask:0xf
	v_cndmask_b32_e64 v15, v15, 0, s[6:7]
	v_add_u32_e32 v14, v14, v15
	s_nop 1
	v_mov_b32_dpp v15, v14 row_bcast:31 row_mask:0xf bank_mask:0xf
	v_cndmask_b32_e64 v15, 0, v15, s[4:5]
	v_add_u32_e32 v14, v14, v15
	s_and_saveexec_b64 s[4:5], s[8:9]
	s_cbranch_execz .LBB3518_50
; %bb.49:
	v_lshlrev_b32_e32 v15, 2, v28
	ds_write_b32 v15, v14
.LBB3518_50:
	s_or_b64 exec, exec, s[4:5]
	v_cmp_gt_u32_e32 vcc, 3, v0
	s_waitcnt lgkmcnt(0)
	s_barrier
	s_and_saveexec_b64 s[4:5], vcc
	s_cbranch_execz .LBB3518_52
; %bb.51:
	ds_read_b32 v15, v11
	v_and_b32_e32 v16, 3, v27
	v_cmp_ne_u32_e32 vcc, 0, v16
	s_waitcnt lgkmcnt(0)
	v_mov_b32_dpp v17, v15 row_shr:1 row_mask:0xf bank_mask:0xf
	v_cndmask_b32_e32 v17, 0, v17, vcc
	v_add_u32_e32 v15, v17, v15
	v_cmp_lt_u32_e32 vcc, 1, v16
	s_nop 0
	v_mov_b32_dpp v17, v15 row_shr:2 row_mask:0xf bank_mask:0xf
	v_cndmask_b32_e32 v16, 0, v17, vcc
	v_add_u32_e32 v15, v15, v16
	ds_write_b32 v11, v15
.LBB3518_52:
	s_or_b64 exec, exec, s[4:5]
	v_cmp_lt_u32_e32 vcc, 63, v0
	v_mov_b32_e32 v15, 0
	v_mov_b32_e32 v16, 0
	s_waitcnt lgkmcnt(0)
	s_barrier
	s_and_saveexec_b64 s[4:5], vcc
	s_cbranch_execz .LBB3518_54
; %bb.53:
	v_lshl_add_u32 v16, v28, 2, -4
	ds_read_b32 v16, v16
.LBB3518_54:
	s_or_b64 exec, exec, s[4:5]
	v_add_u32_e32 v17, -1, v27
	v_and_b32_e32 v18, 64, v27
	v_cmp_lt_i32_e32 vcc, v17, v18
	v_cndmask_b32_e32 v17, v17, v27, vcc
	s_waitcnt lgkmcnt(0)
	v_add_u32_e32 v14, v16, v14
	v_lshlrev_b32_e32 v17, 2, v17
	ds_bpermute_b32 v17, v17, v14
	ds_read_b32 v14, v15 offset:8
	s_and_saveexec_b64 s[4:5], s[0:1]
	s_cbranch_execz .LBB3518_56
; %bb.55:
	v_mov_b32_e32 v18, 0
	v_mov_b32_e32 v15, 2
	s_waitcnt lgkmcnt(0)
	global_store_dwordx2 v18, v[14:15], s[34:35] offset:512
.LBB3518_56:
	s_or_b64 exec, exec, s[4:5]
	v_cmp_eq_u32_e32 vcc, 0, v27
	s_waitcnt lgkmcnt(1)
	v_cndmask_b32_e32 v16, v17, v16, vcc
	v_cndmask_b32_e64 v18, v16, 0, s[0:1]
	v_add_u32_sdwa v19, v18, v24 dst_sel:DWORD dst_unused:UNUSED_PAD src0_sel:DWORD src1_sel:BYTE_0
	v_add_u32_e32 v17, v19, v25
	v_mov_b32_e32 v15, 0
	v_add_u32_e32 v16, v17, v26
	s_waitcnt lgkmcnt(0)
	s_barrier
.LBB3518_57:
	s_waitcnt lgkmcnt(0)
	v_add_u32_e32 v11, v14, v11
	v_sub_u32_e32 v18, v18, v15
	v_and_b32_e32 v22, 1, v24
	v_sub_u32_e32 v21, v11, v18
	v_cmp_eq_u32_e32 vcc, 1, v22
	v_cndmask_b32_e32 v18, v21, v18, vcc
	v_lshlrev_b32_e32 v18, 3, v18
	v_lshrrev_b32_e32 v20, 8, v24
	ds_write_b64 v18, v[6:7]
	v_sub_u32_e32 v6, v19, v15
	v_sub_u32_e32 v7, v11, v6
	v_and_b32_e32 v18, 1, v20
	v_add_u32_e32 v7, 1, v7
	v_cmp_eq_u32_e32 vcc, 1, v18
	v_cndmask_b32_e32 v6, v7, v6, vcc
	v_lshlrev_b32_e32 v6, 3, v6
	ds_write_b64 v6, v[8:9]
	v_sub_u32_e32 v6, v17, v15
	v_mov_b32_e32 v8, 1
	v_sub_u32_e32 v7, v11, v6
	v_and_b32_sdwa v8, v8, v24 dst_sel:DWORD dst_unused:UNUSED_PAD src0_sel:DWORD src1_sel:WORD_1
	v_add_u32_e32 v7, 2, v7
	v_cmp_eq_u32_e32 vcc, 1, v8
	v_cndmask_b32_e32 v6, v7, v6, vcc
	v_lshlrev_b32_e32 v6, 3, v6
	ds_write_b64 v6, v[2:3]
	v_sub_u32_e32 v2, v16, v15
	v_sub_u32_e32 v3, v11, v2
	v_add_u32_e32 v3, 3, v3
	v_cndmask_b32_e64 v2, v3, v2, s[24:25]
	v_lshlrev_b32_e32 v2, 3, v2
	ds_write_b64 v2, v[4:5]
	s_waitcnt lgkmcnt(0)
	s_barrier
	ds_read2st64_b64 v[6:9], v1 offset1:3
	ds_read2st64_b64 v[2:5], v1 offset0:6 offset1:9
	s_waitcnt vmcnt(0)
	v_add_co_u32_e32 v1, vcc, v12, v15
	v_addc_co_u32_e32 v12, vcc, 0, v13, vcc
	v_mov_b32_e32 v11, s27
	v_add_co_u32_e32 v10, vcc, s26, v10
	v_addc_co_u32_e32 v11, vcc, 0, v11, vcc
	v_mov_b32_e32 v13, s31
	v_sub_co_u32_e32 v10, vcc, s30, v10
	v_subb_co_u32_e32 v11, vcc, v13, v11, vcc
	v_add_co_u32_e32 v10, vcc, v10, v14
	v_addc_co_u32_e32 v11, vcc, 0, v11, vcc
	s_and_b64 vcc, exec, s[2:3]
	v_add_co_u32_e64 v13, s[2:3], v10, v1
	v_add_u32_e32 v18, 0xc0, v0
	v_add_u32_e32 v17, 0x180, v0
	;; [unrolled: 1-line block ×3, first 2 shown]
	v_addc_co_u32_e64 v15, s[2:3], v11, v12, s[2:3]
	s_cbranch_vccnz .LBB3518_78
; %bb.58:
	v_cmp_ge_u32_e32 vcc, v0, v14
                                        ; implicit-def: $vgpr10_vgpr11
	s_and_saveexec_b64 s[2:3], vcc
	s_xor_b64 s[2:3], exec, s[2:3]
; %bb.59:
	v_not_b32_e32 v10, v0
	v_ashrrev_i32_e32 v11, 31, v10
	v_add_co_u32_e32 v10, vcc, v13, v10
	v_addc_co_u32_e32 v11, vcc, v15, v11, vcc
; %bb.60:
	s_andn2_saveexec_b64 s[2:3], s[2:3]
; %bb.61:
	v_add_co_u32_e32 v10, vcc, v1, v0
	v_addc_co_u32_e32 v11, vcc, 0, v12, vcc
; %bb.62:
	s_or_b64 exec, exec, s[2:3]
	v_lshlrev_b64 v[10:11], 3, v[10:11]
	v_mov_b32_e32 v19, s29
	v_add_co_u32_e32 v10, vcc, s28, v10
	v_addc_co_u32_e32 v11, vcc, v19, v11, vcc
	v_cmp_ge_u32_e32 vcc, v18, v14
	s_waitcnt lgkmcnt(1)
	global_store_dwordx2 v[10:11], v[6:7], off
                                        ; implicit-def: $vgpr10_vgpr11
	s_and_saveexec_b64 s[2:3], vcc
	s_xor_b64 s[2:3], exec, s[2:3]
; %bb.63:
	v_sub_u32_e32 v10, 0xffffff3f, v0
	v_ashrrev_i32_e32 v11, 31, v10
	v_add_co_u32_e32 v10, vcc, v13, v10
	v_addc_co_u32_e32 v11, vcc, v15, v11, vcc
; %bb.64:
	s_andn2_saveexec_b64 s[2:3], s[2:3]
; %bb.65:
	v_add_co_u32_e32 v10, vcc, v1, v18
	v_addc_co_u32_e32 v11, vcc, 0, v12, vcc
; %bb.66:
	s_or_b64 exec, exec, s[2:3]
	v_lshlrev_b64 v[10:11], 3, v[10:11]
	v_mov_b32_e32 v19, s29
	v_add_co_u32_e32 v10, vcc, s28, v10
	v_addc_co_u32_e32 v11, vcc, v19, v11, vcc
	v_cmp_ge_u32_e32 vcc, v17, v14
	global_store_dwordx2 v[10:11], v[8:9], off
                                        ; implicit-def: $vgpr10_vgpr11
	s_and_saveexec_b64 s[2:3], vcc
	s_xor_b64 s[2:3], exec, s[2:3]
; %bb.67:
	v_sub_u32_e32 v10, 0xfffffe7f, v0
	v_ashrrev_i32_e32 v11, 31, v10
	v_add_co_u32_e32 v10, vcc, v13, v10
	v_addc_co_u32_e32 v11, vcc, v15, v11, vcc
; %bb.68:
	s_andn2_saveexec_b64 s[2:3], s[2:3]
; %bb.69:
	v_add_co_u32_e32 v10, vcc, v1, v17
	v_addc_co_u32_e32 v11, vcc, 0, v12, vcc
; %bb.70:
	s_or_b64 exec, exec, s[2:3]
	v_lshlrev_b64 v[10:11], 3, v[10:11]
	v_mov_b32_e32 v19, s29
	v_add_co_u32_e32 v10, vcc, s28, v10
	v_addc_co_u32_e32 v11, vcc, v19, v11, vcc
	v_cmp_ge_u32_e32 vcc, v16, v14
	s_waitcnt lgkmcnt(0)
	global_store_dwordx2 v[10:11], v[2:3], off
                                        ; implicit-def: $vgpr10_vgpr11
	s_and_saveexec_b64 s[2:3], vcc
	s_xor_b64 s[2:3], exec, s[2:3]
; %bb.71:
	v_sub_u32_e32 v10, 0xfffffdbf, v0
	v_ashrrev_i32_e32 v11, 31, v10
	v_add_co_u32_e32 v10, vcc, v13, v10
	v_addc_co_u32_e32 v11, vcc, v15, v11, vcc
; %bb.72:
	s_andn2_saveexec_b64 s[2:3], s[2:3]
; %bb.73:
	v_add_co_u32_e32 v10, vcc, v1, v16
	v_addc_co_u32_e32 v11, vcc, 0, v12, vcc
; %bb.74:
	s_or_b64 exec, exec, s[2:3]
	s_mov_b64 s[2:3], -1
.LBB3518_75:
	s_and_saveexec_b64 s[4:5], s[2:3]
	s_cbranch_execz .LBB3518_88
.LBB3518_76:
	s_waitcnt lgkmcnt(0)
	v_lshlrev_b64 v[2:3], 3, v[10:11]
	v_mov_b32_e32 v0, s29
	v_add_co_u32_e32 v2, vcc, s28, v2
	v_addc_co_u32_e32 v3, vcc, v0, v3, vcc
	global_store_dwordx2 v[2:3], v[4:5], off
	s_or_b64 exec, exec, s[4:5]
	s_and_b64 s[0:1], s[0:1], s[22:23]
	s_and_saveexec_b64 s[2:3], s[0:1]
	s_cbranch_execnz .LBB3518_89
.LBB3518_77:
	s_endpgm
.LBB3518_78:
	s_mov_b64 s[2:3], 0
                                        ; implicit-def: $vgpr10_vgpr11
	s_cbranch_execz .LBB3518_75
; %bb.79:
	v_cmp_gt_u32_e32 vcc, s33, v0
	s_and_saveexec_b64 s[4:5], vcc
	s_cbranch_execz .LBB3518_90
; %bb.80:
	v_cmp_ge_u32_e32 vcc, v0, v14
                                        ; implicit-def: $vgpr10_vgpr11
	s_and_saveexec_b64 s[6:7], vcc
	s_xor_b64 s[6:7], exec, s[6:7]
; %bb.81:
	v_not_b32_e32 v10, v0
	v_ashrrev_i32_e32 v11, 31, v10
	v_add_co_u32_e32 v10, vcc, v13, v10
	v_addc_co_u32_e32 v11, vcc, v15, v11, vcc
; %bb.82:
	s_andn2_saveexec_b64 s[6:7], s[6:7]
; %bb.83:
	v_add_co_u32_e32 v10, vcc, v1, v0
	v_addc_co_u32_e32 v11, vcc, 0, v12, vcc
; %bb.84:
	s_or_b64 exec, exec, s[6:7]
	v_lshlrev_b64 v[10:11], 3, v[10:11]
	v_mov_b32_e32 v19, s29
	v_add_co_u32_e32 v10, vcc, s28, v10
	v_addc_co_u32_e32 v11, vcc, v19, v11, vcc
	s_waitcnt lgkmcnt(1)
	global_store_dwordx2 v[10:11], v[6:7], off
	s_or_b64 exec, exec, s[4:5]
	v_cmp_gt_u32_e32 vcc, s33, v18
	s_and_saveexec_b64 s[4:5], vcc
	s_cbranch_execnz .LBB3518_91
.LBB3518_85:
	s_or_b64 exec, exec, s[4:5]
	v_cmp_gt_u32_e32 vcc, s33, v17
	s_and_saveexec_b64 s[4:5], vcc
	s_cbranch_execnz .LBB3518_96
.LBB3518_86:
	s_or_b64 exec, exec, s[4:5]
	v_cmp_gt_u32_e32 vcc, s33, v16
                                        ; implicit-def: $vgpr10_vgpr11
	s_and_saveexec_b64 s[4:5], vcc
	s_cbranch_execnz .LBB3518_101
.LBB3518_87:
	s_or_b64 exec, exec, s[4:5]
	s_and_saveexec_b64 s[4:5], s[2:3]
	s_cbranch_execnz .LBB3518_76
.LBB3518_88:
	s_or_b64 exec, exec, s[4:5]
	s_and_b64 s[0:1], s[0:1], s[22:23]
	s_and_saveexec_b64 s[2:3], s[0:1]
	s_cbranch_execz .LBB3518_77
.LBB3518_89:
	v_add_co_u32_e32 v0, vcc, v1, v14
	s_waitcnt lgkmcnt(0)
	v_mov_b32_e32 v2, 0
	v_addc_co_u32_e32 v1, vcc, 0, v12, vcc
	global_store_dwordx2 v2, v[0:1], s[20:21]
	s_endpgm
.LBB3518_90:
	s_or_b64 exec, exec, s[4:5]
	v_cmp_gt_u32_e32 vcc, s33, v18
	s_and_saveexec_b64 s[4:5], vcc
	s_cbranch_execz .LBB3518_85
.LBB3518_91:
	v_cmp_ge_u32_e32 vcc, v18, v14
                                        ; implicit-def: $vgpr6_vgpr7
	s_and_saveexec_b64 s[6:7], vcc
	s_xor_b64 s[6:7], exec, s[6:7]
	s_cbranch_execz .LBB3518_93
; %bb.92:
	s_waitcnt lgkmcnt(1)
	v_sub_u32_e32 v6, 0xffffff3f, v0
	v_ashrrev_i32_e32 v7, 31, v6
	v_add_co_u32_e32 v6, vcc, v13, v6
	v_addc_co_u32_e32 v7, vcc, v15, v7, vcc
                                        ; implicit-def: $vgpr18
.LBB3518_93:
	s_andn2_saveexec_b64 s[6:7], s[6:7]
	s_cbranch_execz .LBB3518_95
; %bb.94:
	s_waitcnt lgkmcnt(1)
	v_add_co_u32_e32 v6, vcc, v1, v18
	v_addc_co_u32_e32 v7, vcc, 0, v12, vcc
.LBB3518_95:
	s_or_b64 exec, exec, s[6:7]
	s_waitcnt lgkmcnt(1)
	v_lshlrev_b64 v[6:7], 3, v[6:7]
	v_mov_b32_e32 v10, s29
	v_add_co_u32_e32 v6, vcc, s28, v6
	v_addc_co_u32_e32 v7, vcc, v10, v7, vcc
	global_store_dwordx2 v[6:7], v[8:9], off
	s_or_b64 exec, exec, s[4:5]
	v_cmp_gt_u32_e32 vcc, s33, v17
	s_and_saveexec_b64 s[4:5], vcc
	s_cbranch_execz .LBB3518_86
.LBB3518_96:
	v_cmp_ge_u32_e32 vcc, v17, v14
                                        ; implicit-def: $vgpr6_vgpr7
	s_and_saveexec_b64 s[6:7], vcc
	s_xor_b64 s[6:7], exec, s[6:7]
	s_cbranch_execz .LBB3518_98
; %bb.97:
	s_waitcnt lgkmcnt(1)
	v_sub_u32_e32 v6, 0xfffffe7f, v0
	v_ashrrev_i32_e32 v7, 31, v6
	v_add_co_u32_e32 v6, vcc, v13, v6
	v_addc_co_u32_e32 v7, vcc, v15, v7, vcc
                                        ; implicit-def: $vgpr17
.LBB3518_98:
	s_andn2_saveexec_b64 s[6:7], s[6:7]
	s_cbranch_execz .LBB3518_100
; %bb.99:
	s_waitcnt lgkmcnt(1)
	v_add_co_u32_e32 v6, vcc, v1, v17
	v_addc_co_u32_e32 v7, vcc, 0, v12, vcc
.LBB3518_100:
	s_or_b64 exec, exec, s[6:7]
	s_waitcnt lgkmcnt(1)
	v_lshlrev_b64 v[6:7], 3, v[6:7]
	v_mov_b32_e32 v8, s29
	v_add_co_u32_e32 v6, vcc, s28, v6
	v_addc_co_u32_e32 v7, vcc, v8, v7, vcc
	s_waitcnt lgkmcnt(0)
	global_store_dwordx2 v[6:7], v[2:3], off
	s_or_b64 exec, exec, s[4:5]
	v_cmp_gt_u32_e32 vcc, s33, v16
                                        ; implicit-def: $vgpr10_vgpr11
	s_and_saveexec_b64 s[4:5], vcc
	s_cbranch_execz .LBB3518_87
.LBB3518_101:
	v_cmp_ge_u32_e32 vcc, v16, v14
                                        ; implicit-def: $vgpr10_vgpr11
	s_and_saveexec_b64 s[6:7], vcc
	s_xor_b64 s[6:7], exec, s[6:7]
	s_cbranch_execz .LBB3518_103
; %bb.102:
	v_sub_u32_e32 v0, 0xfffffdbf, v0
	s_waitcnt lgkmcnt(0)
	v_ashrrev_i32_e32 v2, 31, v0
	v_add_co_u32_e32 v10, vcc, v13, v0
	v_addc_co_u32_e32 v11, vcc, v15, v2, vcc
                                        ; implicit-def: $vgpr16
.LBB3518_103:
	s_andn2_saveexec_b64 s[6:7], s[6:7]
; %bb.104:
	v_add_co_u32_e32 v10, vcc, v1, v16
	v_addc_co_u32_e32 v11, vcc, 0, v12, vcc
; %bb.105:
	s_or_b64 exec, exec, s[6:7]
	s_or_b64 s[2:3], s[2:3], exec
	s_or_b64 exec, exec, s[4:5]
	s_and_saveexec_b64 s[4:5], s[2:3]
	s_cbranch_execnz .LBB3518_76
	s_branch .LBB3518_88
	.section	.rodata,"a",@progbits
	.p2align	6, 0x0
	.amdhsa_kernel _ZN7rocprim17ROCPRIM_400000_NS6detail17trampoline_kernelINS0_14default_configENS1_25partition_config_selectorILNS1_17partition_subalgoE3EN6thrust23THRUST_200600_302600_NS5tupleIiiNS7_9null_typeES9_S9_S9_S9_S9_S9_S9_EENS0_10empty_typeEbEEZZNS1_14partition_implILS5_3ELb0ES3_jNS7_6detail15normal_iteratorINS7_7pointerISA_NS7_11hip_rocprim3tagENS7_11use_defaultESJ_EEEEPSB_SM_NS0_5tupleIJPSA_SM_EEENSN_IJSM_SM_EEESB_PlJ10is_orderedEEE10hipError_tPvRmT3_T4_T5_T6_T7_T9_mT8_P12ihipStream_tbDpT10_ENKUlT_T0_E_clISt17integral_constantIbLb0EES1B_IbLb1EEEEDaS17_S18_EUlS17_E_NS1_11comp_targetILNS1_3genE4ELNS1_11target_archE910ELNS1_3gpuE8ELNS1_3repE0EEENS1_30default_config_static_selectorELNS0_4arch9wavefront6targetE1EEEvT1_
		.amdhsa_group_segment_fixed_size 6344
		.amdhsa_private_segment_fixed_size 0
		.amdhsa_kernarg_size 136
		.amdhsa_user_sgpr_count 6
		.amdhsa_user_sgpr_private_segment_buffer 1
		.amdhsa_user_sgpr_dispatch_ptr 0
		.amdhsa_user_sgpr_queue_ptr 0
		.amdhsa_user_sgpr_kernarg_segment_ptr 1
		.amdhsa_user_sgpr_dispatch_id 0
		.amdhsa_user_sgpr_flat_scratch_init 0
		.amdhsa_user_sgpr_kernarg_preload_length 0
		.amdhsa_user_sgpr_kernarg_preload_offset 0
		.amdhsa_user_sgpr_private_segment_size 0
		.amdhsa_uses_dynamic_stack 0
		.amdhsa_system_sgpr_private_segment_wavefront_offset 0
		.amdhsa_system_sgpr_workgroup_id_x 1
		.amdhsa_system_sgpr_workgroup_id_y 0
		.amdhsa_system_sgpr_workgroup_id_z 0
		.amdhsa_system_sgpr_workgroup_info 0
		.amdhsa_system_vgpr_workitem_id 0
		.amdhsa_next_free_vgpr 46
		.amdhsa_next_free_sgpr 46
		.amdhsa_accum_offset 48
		.amdhsa_reserve_vcc 1
		.amdhsa_reserve_flat_scratch 0
		.amdhsa_float_round_mode_32 0
		.amdhsa_float_round_mode_16_64 0
		.amdhsa_float_denorm_mode_32 3
		.amdhsa_float_denorm_mode_16_64 3
		.amdhsa_dx10_clamp 1
		.amdhsa_ieee_mode 1
		.amdhsa_fp16_overflow 0
		.amdhsa_tg_split 0
		.amdhsa_exception_fp_ieee_invalid_op 0
		.amdhsa_exception_fp_denorm_src 0
		.amdhsa_exception_fp_ieee_div_zero 0
		.amdhsa_exception_fp_ieee_overflow 0
		.amdhsa_exception_fp_ieee_underflow 0
		.amdhsa_exception_fp_ieee_inexact 0
		.amdhsa_exception_int_div_zero 0
	.end_amdhsa_kernel
	.section	.text._ZN7rocprim17ROCPRIM_400000_NS6detail17trampoline_kernelINS0_14default_configENS1_25partition_config_selectorILNS1_17partition_subalgoE3EN6thrust23THRUST_200600_302600_NS5tupleIiiNS7_9null_typeES9_S9_S9_S9_S9_S9_S9_EENS0_10empty_typeEbEEZZNS1_14partition_implILS5_3ELb0ES3_jNS7_6detail15normal_iteratorINS7_7pointerISA_NS7_11hip_rocprim3tagENS7_11use_defaultESJ_EEEEPSB_SM_NS0_5tupleIJPSA_SM_EEENSN_IJSM_SM_EEESB_PlJ10is_orderedEEE10hipError_tPvRmT3_T4_T5_T6_T7_T9_mT8_P12ihipStream_tbDpT10_ENKUlT_T0_E_clISt17integral_constantIbLb0EES1B_IbLb1EEEEDaS17_S18_EUlS17_E_NS1_11comp_targetILNS1_3genE4ELNS1_11target_archE910ELNS1_3gpuE8ELNS1_3repE0EEENS1_30default_config_static_selectorELNS0_4arch9wavefront6targetE1EEEvT1_,"axG",@progbits,_ZN7rocprim17ROCPRIM_400000_NS6detail17trampoline_kernelINS0_14default_configENS1_25partition_config_selectorILNS1_17partition_subalgoE3EN6thrust23THRUST_200600_302600_NS5tupleIiiNS7_9null_typeES9_S9_S9_S9_S9_S9_S9_EENS0_10empty_typeEbEEZZNS1_14partition_implILS5_3ELb0ES3_jNS7_6detail15normal_iteratorINS7_7pointerISA_NS7_11hip_rocprim3tagENS7_11use_defaultESJ_EEEEPSB_SM_NS0_5tupleIJPSA_SM_EEENSN_IJSM_SM_EEESB_PlJ10is_orderedEEE10hipError_tPvRmT3_T4_T5_T6_T7_T9_mT8_P12ihipStream_tbDpT10_ENKUlT_T0_E_clISt17integral_constantIbLb0EES1B_IbLb1EEEEDaS17_S18_EUlS17_E_NS1_11comp_targetILNS1_3genE4ELNS1_11target_archE910ELNS1_3gpuE8ELNS1_3repE0EEENS1_30default_config_static_selectorELNS0_4arch9wavefront6targetE1EEEvT1_,comdat
.Lfunc_end3518:
	.size	_ZN7rocprim17ROCPRIM_400000_NS6detail17trampoline_kernelINS0_14default_configENS1_25partition_config_selectorILNS1_17partition_subalgoE3EN6thrust23THRUST_200600_302600_NS5tupleIiiNS7_9null_typeES9_S9_S9_S9_S9_S9_S9_EENS0_10empty_typeEbEEZZNS1_14partition_implILS5_3ELb0ES3_jNS7_6detail15normal_iteratorINS7_7pointerISA_NS7_11hip_rocprim3tagENS7_11use_defaultESJ_EEEEPSB_SM_NS0_5tupleIJPSA_SM_EEENSN_IJSM_SM_EEESB_PlJ10is_orderedEEE10hipError_tPvRmT3_T4_T5_T6_T7_T9_mT8_P12ihipStream_tbDpT10_ENKUlT_T0_E_clISt17integral_constantIbLb0EES1B_IbLb1EEEEDaS17_S18_EUlS17_E_NS1_11comp_targetILNS1_3genE4ELNS1_11target_archE910ELNS1_3gpuE8ELNS1_3repE0EEENS1_30default_config_static_selectorELNS0_4arch9wavefront6targetE1EEEvT1_, .Lfunc_end3518-_ZN7rocprim17ROCPRIM_400000_NS6detail17trampoline_kernelINS0_14default_configENS1_25partition_config_selectorILNS1_17partition_subalgoE3EN6thrust23THRUST_200600_302600_NS5tupleIiiNS7_9null_typeES9_S9_S9_S9_S9_S9_S9_EENS0_10empty_typeEbEEZZNS1_14partition_implILS5_3ELb0ES3_jNS7_6detail15normal_iteratorINS7_7pointerISA_NS7_11hip_rocprim3tagENS7_11use_defaultESJ_EEEEPSB_SM_NS0_5tupleIJPSA_SM_EEENSN_IJSM_SM_EEESB_PlJ10is_orderedEEE10hipError_tPvRmT3_T4_T5_T6_T7_T9_mT8_P12ihipStream_tbDpT10_ENKUlT_T0_E_clISt17integral_constantIbLb0EES1B_IbLb1EEEEDaS17_S18_EUlS17_E_NS1_11comp_targetILNS1_3genE4ELNS1_11target_archE910ELNS1_3gpuE8ELNS1_3repE0EEENS1_30default_config_static_selectorELNS0_4arch9wavefront6targetE1EEEvT1_
                                        ; -- End function
	.section	.AMDGPU.csdata,"",@progbits
; Kernel info:
; codeLenInByte = 4204
; NumSgprs: 50
; NumVgprs: 46
; NumAgprs: 0
; TotalNumVgprs: 46
; ScratchSize: 0
; MemoryBound: 0
; FloatMode: 240
; IeeeMode: 1
; LDSByteSize: 6344 bytes/workgroup (compile time only)
; SGPRBlocks: 6
; VGPRBlocks: 5
; NumSGPRsForWavesPerEU: 50
; NumVGPRsForWavesPerEU: 46
; AccumOffset: 48
; Occupancy: 8
; WaveLimiterHint : 1
; COMPUTE_PGM_RSRC2:SCRATCH_EN: 0
; COMPUTE_PGM_RSRC2:USER_SGPR: 6
; COMPUTE_PGM_RSRC2:TRAP_HANDLER: 0
; COMPUTE_PGM_RSRC2:TGID_X_EN: 1
; COMPUTE_PGM_RSRC2:TGID_Y_EN: 0
; COMPUTE_PGM_RSRC2:TGID_Z_EN: 0
; COMPUTE_PGM_RSRC2:TIDIG_COMP_CNT: 0
; COMPUTE_PGM_RSRC3_GFX90A:ACCUM_OFFSET: 11
; COMPUTE_PGM_RSRC3_GFX90A:TG_SPLIT: 0
	.section	.text._ZN7rocprim17ROCPRIM_400000_NS6detail17trampoline_kernelINS0_14default_configENS1_25partition_config_selectorILNS1_17partition_subalgoE3EN6thrust23THRUST_200600_302600_NS5tupleIiiNS7_9null_typeES9_S9_S9_S9_S9_S9_S9_EENS0_10empty_typeEbEEZZNS1_14partition_implILS5_3ELb0ES3_jNS7_6detail15normal_iteratorINS7_7pointerISA_NS7_11hip_rocprim3tagENS7_11use_defaultESJ_EEEEPSB_SM_NS0_5tupleIJPSA_SM_EEENSN_IJSM_SM_EEESB_PlJ10is_orderedEEE10hipError_tPvRmT3_T4_T5_T6_T7_T9_mT8_P12ihipStream_tbDpT10_ENKUlT_T0_E_clISt17integral_constantIbLb0EES1B_IbLb1EEEEDaS17_S18_EUlS17_E_NS1_11comp_targetILNS1_3genE3ELNS1_11target_archE908ELNS1_3gpuE7ELNS1_3repE0EEENS1_30default_config_static_selectorELNS0_4arch9wavefront6targetE1EEEvT1_,"axG",@progbits,_ZN7rocprim17ROCPRIM_400000_NS6detail17trampoline_kernelINS0_14default_configENS1_25partition_config_selectorILNS1_17partition_subalgoE3EN6thrust23THRUST_200600_302600_NS5tupleIiiNS7_9null_typeES9_S9_S9_S9_S9_S9_S9_EENS0_10empty_typeEbEEZZNS1_14partition_implILS5_3ELb0ES3_jNS7_6detail15normal_iteratorINS7_7pointerISA_NS7_11hip_rocprim3tagENS7_11use_defaultESJ_EEEEPSB_SM_NS0_5tupleIJPSA_SM_EEENSN_IJSM_SM_EEESB_PlJ10is_orderedEEE10hipError_tPvRmT3_T4_T5_T6_T7_T9_mT8_P12ihipStream_tbDpT10_ENKUlT_T0_E_clISt17integral_constantIbLb0EES1B_IbLb1EEEEDaS17_S18_EUlS17_E_NS1_11comp_targetILNS1_3genE3ELNS1_11target_archE908ELNS1_3gpuE7ELNS1_3repE0EEENS1_30default_config_static_selectorELNS0_4arch9wavefront6targetE1EEEvT1_,comdat
	.protected	_ZN7rocprim17ROCPRIM_400000_NS6detail17trampoline_kernelINS0_14default_configENS1_25partition_config_selectorILNS1_17partition_subalgoE3EN6thrust23THRUST_200600_302600_NS5tupleIiiNS7_9null_typeES9_S9_S9_S9_S9_S9_S9_EENS0_10empty_typeEbEEZZNS1_14partition_implILS5_3ELb0ES3_jNS7_6detail15normal_iteratorINS7_7pointerISA_NS7_11hip_rocprim3tagENS7_11use_defaultESJ_EEEEPSB_SM_NS0_5tupleIJPSA_SM_EEENSN_IJSM_SM_EEESB_PlJ10is_orderedEEE10hipError_tPvRmT3_T4_T5_T6_T7_T9_mT8_P12ihipStream_tbDpT10_ENKUlT_T0_E_clISt17integral_constantIbLb0EES1B_IbLb1EEEEDaS17_S18_EUlS17_E_NS1_11comp_targetILNS1_3genE3ELNS1_11target_archE908ELNS1_3gpuE7ELNS1_3repE0EEENS1_30default_config_static_selectorELNS0_4arch9wavefront6targetE1EEEvT1_ ; -- Begin function _ZN7rocprim17ROCPRIM_400000_NS6detail17trampoline_kernelINS0_14default_configENS1_25partition_config_selectorILNS1_17partition_subalgoE3EN6thrust23THRUST_200600_302600_NS5tupleIiiNS7_9null_typeES9_S9_S9_S9_S9_S9_S9_EENS0_10empty_typeEbEEZZNS1_14partition_implILS5_3ELb0ES3_jNS7_6detail15normal_iteratorINS7_7pointerISA_NS7_11hip_rocprim3tagENS7_11use_defaultESJ_EEEEPSB_SM_NS0_5tupleIJPSA_SM_EEENSN_IJSM_SM_EEESB_PlJ10is_orderedEEE10hipError_tPvRmT3_T4_T5_T6_T7_T9_mT8_P12ihipStream_tbDpT10_ENKUlT_T0_E_clISt17integral_constantIbLb0EES1B_IbLb1EEEEDaS17_S18_EUlS17_E_NS1_11comp_targetILNS1_3genE3ELNS1_11target_archE908ELNS1_3gpuE7ELNS1_3repE0EEENS1_30default_config_static_selectorELNS0_4arch9wavefront6targetE1EEEvT1_
	.globl	_ZN7rocprim17ROCPRIM_400000_NS6detail17trampoline_kernelINS0_14default_configENS1_25partition_config_selectorILNS1_17partition_subalgoE3EN6thrust23THRUST_200600_302600_NS5tupleIiiNS7_9null_typeES9_S9_S9_S9_S9_S9_S9_EENS0_10empty_typeEbEEZZNS1_14partition_implILS5_3ELb0ES3_jNS7_6detail15normal_iteratorINS7_7pointerISA_NS7_11hip_rocprim3tagENS7_11use_defaultESJ_EEEEPSB_SM_NS0_5tupleIJPSA_SM_EEENSN_IJSM_SM_EEESB_PlJ10is_orderedEEE10hipError_tPvRmT3_T4_T5_T6_T7_T9_mT8_P12ihipStream_tbDpT10_ENKUlT_T0_E_clISt17integral_constantIbLb0EES1B_IbLb1EEEEDaS17_S18_EUlS17_E_NS1_11comp_targetILNS1_3genE3ELNS1_11target_archE908ELNS1_3gpuE7ELNS1_3repE0EEENS1_30default_config_static_selectorELNS0_4arch9wavefront6targetE1EEEvT1_
	.p2align	8
	.type	_ZN7rocprim17ROCPRIM_400000_NS6detail17trampoline_kernelINS0_14default_configENS1_25partition_config_selectorILNS1_17partition_subalgoE3EN6thrust23THRUST_200600_302600_NS5tupleIiiNS7_9null_typeES9_S9_S9_S9_S9_S9_S9_EENS0_10empty_typeEbEEZZNS1_14partition_implILS5_3ELb0ES3_jNS7_6detail15normal_iteratorINS7_7pointerISA_NS7_11hip_rocprim3tagENS7_11use_defaultESJ_EEEEPSB_SM_NS0_5tupleIJPSA_SM_EEENSN_IJSM_SM_EEESB_PlJ10is_orderedEEE10hipError_tPvRmT3_T4_T5_T6_T7_T9_mT8_P12ihipStream_tbDpT10_ENKUlT_T0_E_clISt17integral_constantIbLb0EES1B_IbLb1EEEEDaS17_S18_EUlS17_E_NS1_11comp_targetILNS1_3genE3ELNS1_11target_archE908ELNS1_3gpuE7ELNS1_3repE0EEENS1_30default_config_static_selectorELNS0_4arch9wavefront6targetE1EEEvT1_,@function
_ZN7rocprim17ROCPRIM_400000_NS6detail17trampoline_kernelINS0_14default_configENS1_25partition_config_selectorILNS1_17partition_subalgoE3EN6thrust23THRUST_200600_302600_NS5tupleIiiNS7_9null_typeES9_S9_S9_S9_S9_S9_S9_EENS0_10empty_typeEbEEZZNS1_14partition_implILS5_3ELb0ES3_jNS7_6detail15normal_iteratorINS7_7pointerISA_NS7_11hip_rocprim3tagENS7_11use_defaultESJ_EEEEPSB_SM_NS0_5tupleIJPSA_SM_EEENSN_IJSM_SM_EEESB_PlJ10is_orderedEEE10hipError_tPvRmT3_T4_T5_T6_T7_T9_mT8_P12ihipStream_tbDpT10_ENKUlT_T0_E_clISt17integral_constantIbLb0EES1B_IbLb1EEEEDaS17_S18_EUlS17_E_NS1_11comp_targetILNS1_3genE3ELNS1_11target_archE908ELNS1_3gpuE7ELNS1_3repE0EEENS1_30default_config_static_selectorELNS0_4arch9wavefront6targetE1EEEvT1_: ; @_ZN7rocprim17ROCPRIM_400000_NS6detail17trampoline_kernelINS0_14default_configENS1_25partition_config_selectorILNS1_17partition_subalgoE3EN6thrust23THRUST_200600_302600_NS5tupleIiiNS7_9null_typeES9_S9_S9_S9_S9_S9_S9_EENS0_10empty_typeEbEEZZNS1_14partition_implILS5_3ELb0ES3_jNS7_6detail15normal_iteratorINS7_7pointerISA_NS7_11hip_rocprim3tagENS7_11use_defaultESJ_EEEEPSB_SM_NS0_5tupleIJPSA_SM_EEENSN_IJSM_SM_EEESB_PlJ10is_orderedEEE10hipError_tPvRmT3_T4_T5_T6_T7_T9_mT8_P12ihipStream_tbDpT10_ENKUlT_T0_E_clISt17integral_constantIbLb0EES1B_IbLb1EEEEDaS17_S18_EUlS17_E_NS1_11comp_targetILNS1_3genE3ELNS1_11target_archE908ELNS1_3gpuE7ELNS1_3repE0EEENS1_30default_config_static_selectorELNS0_4arch9wavefront6targetE1EEEvT1_
; %bb.0:
	.section	.rodata,"a",@progbits
	.p2align	6, 0x0
	.amdhsa_kernel _ZN7rocprim17ROCPRIM_400000_NS6detail17trampoline_kernelINS0_14default_configENS1_25partition_config_selectorILNS1_17partition_subalgoE3EN6thrust23THRUST_200600_302600_NS5tupleIiiNS7_9null_typeES9_S9_S9_S9_S9_S9_S9_EENS0_10empty_typeEbEEZZNS1_14partition_implILS5_3ELb0ES3_jNS7_6detail15normal_iteratorINS7_7pointerISA_NS7_11hip_rocprim3tagENS7_11use_defaultESJ_EEEEPSB_SM_NS0_5tupleIJPSA_SM_EEENSN_IJSM_SM_EEESB_PlJ10is_orderedEEE10hipError_tPvRmT3_T4_T5_T6_T7_T9_mT8_P12ihipStream_tbDpT10_ENKUlT_T0_E_clISt17integral_constantIbLb0EES1B_IbLb1EEEEDaS17_S18_EUlS17_E_NS1_11comp_targetILNS1_3genE3ELNS1_11target_archE908ELNS1_3gpuE7ELNS1_3repE0EEENS1_30default_config_static_selectorELNS0_4arch9wavefront6targetE1EEEvT1_
		.amdhsa_group_segment_fixed_size 0
		.amdhsa_private_segment_fixed_size 0
		.amdhsa_kernarg_size 136
		.amdhsa_user_sgpr_count 6
		.amdhsa_user_sgpr_private_segment_buffer 1
		.amdhsa_user_sgpr_dispatch_ptr 0
		.amdhsa_user_sgpr_queue_ptr 0
		.amdhsa_user_sgpr_kernarg_segment_ptr 1
		.amdhsa_user_sgpr_dispatch_id 0
		.amdhsa_user_sgpr_flat_scratch_init 0
		.amdhsa_user_sgpr_kernarg_preload_length 0
		.amdhsa_user_sgpr_kernarg_preload_offset 0
		.amdhsa_user_sgpr_private_segment_size 0
		.amdhsa_uses_dynamic_stack 0
		.amdhsa_system_sgpr_private_segment_wavefront_offset 0
		.amdhsa_system_sgpr_workgroup_id_x 1
		.amdhsa_system_sgpr_workgroup_id_y 0
		.amdhsa_system_sgpr_workgroup_id_z 0
		.amdhsa_system_sgpr_workgroup_info 0
		.amdhsa_system_vgpr_workitem_id 0
		.amdhsa_next_free_vgpr 1
		.amdhsa_next_free_sgpr 0
		.amdhsa_accum_offset 4
		.amdhsa_reserve_vcc 0
		.amdhsa_reserve_flat_scratch 0
		.amdhsa_float_round_mode_32 0
		.amdhsa_float_round_mode_16_64 0
		.amdhsa_float_denorm_mode_32 3
		.amdhsa_float_denorm_mode_16_64 3
		.amdhsa_dx10_clamp 1
		.amdhsa_ieee_mode 1
		.amdhsa_fp16_overflow 0
		.amdhsa_tg_split 0
		.amdhsa_exception_fp_ieee_invalid_op 0
		.amdhsa_exception_fp_denorm_src 0
		.amdhsa_exception_fp_ieee_div_zero 0
		.amdhsa_exception_fp_ieee_overflow 0
		.amdhsa_exception_fp_ieee_underflow 0
		.amdhsa_exception_fp_ieee_inexact 0
		.amdhsa_exception_int_div_zero 0
	.end_amdhsa_kernel
	.section	.text._ZN7rocprim17ROCPRIM_400000_NS6detail17trampoline_kernelINS0_14default_configENS1_25partition_config_selectorILNS1_17partition_subalgoE3EN6thrust23THRUST_200600_302600_NS5tupleIiiNS7_9null_typeES9_S9_S9_S9_S9_S9_S9_EENS0_10empty_typeEbEEZZNS1_14partition_implILS5_3ELb0ES3_jNS7_6detail15normal_iteratorINS7_7pointerISA_NS7_11hip_rocprim3tagENS7_11use_defaultESJ_EEEEPSB_SM_NS0_5tupleIJPSA_SM_EEENSN_IJSM_SM_EEESB_PlJ10is_orderedEEE10hipError_tPvRmT3_T4_T5_T6_T7_T9_mT8_P12ihipStream_tbDpT10_ENKUlT_T0_E_clISt17integral_constantIbLb0EES1B_IbLb1EEEEDaS17_S18_EUlS17_E_NS1_11comp_targetILNS1_3genE3ELNS1_11target_archE908ELNS1_3gpuE7ELNS1_3repE0EEENS1_30default_config_static_selectorELNS0_4arch9wavefront6targetE1EEEvT1_,"axG",@progbits,_ZN7rocprim17ROCPRIM_400000_NS6detail17trampoline_kernelINS0_14default_configENS1_25partition_config_selectorILNS1_17partition_subalgoE3EN6thrust23THRUST_200600_302600_NS5tupleIiiNS7_9null_typeES9_S9_S9_S9_S9_S9_S9_EENS0_10empty_typeEbEEZZNS1_14partition_implILS5_3ELb0ES3_jNS7_6detail15normal_iteratorINS7_7pointerISA_NS7_11hip_rocprim3tagENS7_11use_defaultESJ_EEEEPSB_SM_NS0_5tupleIJPSA_SM_EEENSN_IJSM_SM_EEESB_PlJ10is_orderedEEE10hipError_tPvRmT3_T4_T5_T6_T7_T9_mT8_P12ihipStream_tbDpT10_ENKUlT_T0_E_clISt17integral_constantIbLb0EES1B_IbLb1EEEEDaS17_S18_EUlS17_E_NS1_11comp_targetILNS1_3genE3ELNS1_11target_archE908ELNS1_3gpuE7ELNS1_3repE0EEENS1_30default_config_static_selectorELNS0_4arch9wavefront6targetE1EEEvT1_,comdat
.Lfunc_end3519:
	.size	_ZN7rocprim17ROCPRIM_400000_NS6detail17trampoline_kernelINS0_14default_configENS1_25partition_config_selectorILNS1_17partition_subalgoE3EN6thrust23THRUST_200600_302600_NS5tupleIiiNS7_9null_typeES9_S9_S9_S9_S9_S9_S9_EENS0_10empty_typeEbEEZZNS1_14partition_implILS5_3ELb0ES3_jNS7_6detail15normal_iteratorINS7_7pointerISA_NS7_11hip_rocprim3tagENS7_11use_defaultESJ_EEEEPSB_SM_NS0_5tupleIJPSA_SM_EEENSN_IJSM_SM_EEESB_PlJ10is_orderedEEE10hipError_tPvRmT3_T4_T5_T6_T7_T9_mT8_P12ihipStream_tbDpT10_ENKUlT_T0_E_clISt17integral_constantIbLb0EES1B_IbLb1EEEEDaS17_S18_EUlS17_E_NS1_11comp_targetILNS1_3genE3ELNS1_11target_archE908ELNS1_3gpuE7ELNS1_3repE0EEENS1_30default_config_static_selectorELNS0_4arch9wavefront6targetE1EEEvT1_, .Lfunc_end3519-_ZN7rocprim17ROCPRIM_400000_NS6detail17trampoline_kernelINS0_14default_configENS1_25partition_config_selectorILNS1_17partition_subalgoE3EN6thrust23THRUST_200600_302600_NS5tupleIiiNS7_9null_typeES9_S9_S9_S9_S9_S9_S9_EENS0_10empty_typeEbEEZZNS1_14partition_implILS5_3ELb0ES3_jNS7_6detail15normal_iteratorINS7_7pointerISA_NS7_11hip_rocprim3tagENS7_11use_defaultESJ_EEEEPSB_SM_NS0_5tupleIJPSA_SM_EEENSN_IJSM_SM_EEESB_PlJ10is_orderedEEE10hipError_tPvRmT3_T4_T5_T6_T7_T9_mT8_P12ihipStream_tbDpT10_ENKUlT_T0_E_clISt17integral_constantIbLb0EES1B_IbLb1EEEEDaS17_S18_EUlS17_E_NS1_11comp_targetILNS1_3genE3ELNS1_11target_archE908ELNS1_3gpuE7ELNS1_3repE0EEENS1_30default_config_static_selectorELNS0_4arch9wavefront6targetE1EEEvT1_
                                        ; -- End function
	.section	.AMDGPU.csdata,"",@progbits
; Kernel info:
; codeLenInByte = 0
; NumSgprs: 4
; NumVgprs: 0
; NumAgprs: 0
; TotalNumVgprs: 0
; ScratchSize: 0
; MemoryBound: 0
; FloatMode: 240
; IeeeMode: 1
; LDSByteSize: 0 bytes/workgroup (compile time only)
; SGPRBlocks: 0
; VGPRBlocks: 0
; NumSGPRsForWavesPerEU: 4
; NumVGPRsForWavesPerEU: 1
; AccumOffset: 4
; Occupancy: 8
; WaveLimiterHint : 0
; COMPUTE_PGM_RSRC2:SCRATCH_EN: 0
; COMPUTE_PGM_RSRC2:USER_SGPR: 6
; COMPUTE_PGM_RSRC2:TRAP_HANDLER: 0
; COMPUTE_PGM_RSRC2:TGID_X_EN: 1
; COMPUTE_PGM_RSRC2:TGID_Y_EN: 0
; COMPUTE_PGM_RSRC2:TGID_Z_EN: 0
; COMPUTE_PGM_RSRC2:TIDIG_COMP_CNT: 0
; COMPUTE_PGM_RSRC3_GFX90A:ACCUM_OFFSET: 0
; COMPUTE_PGM_RSRC3_GFX90A:TG_SPLIT: 0
	.section	.text._ZN7rocprim17ROCPRIM_400000_NS6detail17trampoline_kernelINS0_14default_configENS1_25partition_config_selectorILNS1_17partition_subalgoE3EN6thrust23THRUST_200600_302600_NS5tupleIiiNS7_9null_typeES9_S9_S9_S9_S9_S9_S9_EENS0_10empty_typeEbEEZZNS1_14partition_implILS5_3ELb0ES3_jNS7_6detail15normal_iteratorINS7_7pointerISA_NS7_11hip_rocprim3tagENS7_11use_defaultESJ_EEEEPSB_SM_NS0_5tupleIJPSA_SM_EEENSN_IJSM_SM_EEESB_PlJ10is_orderedEEE10hipError_tPvRmT3_T4_T5_T6_T7_T9_mT8_P12ihipStream_tbDpT10_ENKUlT_T0_E_clISt17integral_constantIbLb0EES1B_IbLb1EEEEDaS17_S18_EUlS17_E_NS1_11comp_targetILNS1_3genE2ELNS1_11target_archE906ELNS1_3gpuE6ELNS1_3repE0EEENS1_30default_config_static_selectorELNS0_4arch9wavefront6targetE1EEEvT1_,"axG",@progbits,_ZN7rocprim17ROCPRIM_400000_NS6detail17trampoline_kernelINS0_14default_configENS1_25partition_config_selectorILNS1_17partition_subalgoE3EN6thrust23THRUST_200600_302600_NS5tupleIiiNS7_9null_typeES9_S9_S9_S9_S9_S9_S9_EENS0_10empty_typeEbEEZZNS1_14partition_implILS5_3ELb0ES3_jNS7_6detail15normal_iteratorINS7_7pointerISA_NS7_11hip_rocprim3tagENS7_11use_defaultESJ_EEEEPSB_SM_NS0_5tupleIJPSA_SM_EEENSN_IJSM_SM_EEESB_PlJ10is_orderedEEE10hipError_tPvRmT3_T4_T5_T6_T7_T9_mT8_P12ihipStream_tbDpT10_ENKUlT_T0_E_clISt17integral_constantIbLb0EES1B_IbLb1EEEEDaS17_S18_EUlS17_E_NS1_11comp_targetILNS1_3genE2ELNS1_11target_archE906ELNS1_3gpuE6ELNS1_3repE0EEENS1_30default_config_static_selectorELNS0_4arch9wavefront6targetE1EEEvT1_,comdat
	.protected	_ZN7rocprim17ROCPRIM_400000_NS6detail17trampoline_kernelINS0_14default_configENS1_25partition_config_selectorILNS1_17partition_subalgoE3EN6thrust23THRUST_200600_302600_NS5tupleIiiNS7_9null_typeES9_S9_S9_S9_S9_S9_S9_EENS0_10empty_typeEbEEZZNS1_14partition_implILS5_3ELb0ES3_jNS7_6detail15normal_iteratorINS7_7pointerISA_NS7_11hip_rocprim3tagENS7_11use_defaultESJ_EEEEPSB_SM_NS0_5tupleIJPSA_SM_EEENSN_IJSM_SM_EEESB_PlJ10is_orderedEEE10hipError_tPvRmT3_T4_T5_T6_T7_T9_mT8_P12ihipStream_tbDpT10_ENKUlT_T0_E_clISt17integral_constantIbLb0EES1B_IbLb1EEEEDaS17_S18_EUlS17_E_NS1_11comp_targetILNS1_3genE2ELNS1_11target_archE906ELNS1_3gpuE6ELNS1_3repE0EEENS1_30default_config_static_selectorELNS0_4arch9wavefront6targetE1EEEvT1_ ; -- Begin function _ZN7rocprim17ROCPRIM_400000_NS6detail17trampoline_kernelINS0_14default_configENS1_25partition_config_selectorILNS1_17partition_subalgoE3EN6thrust23THRUST_200600_302600_NS5tupleIiiNS7_9null_typeES9_S9_S9_S9_S9_S9_S9_EENS0_10empty_typeEbEEZZNS1_14partition_implILS5_3ELb0ES3_jNS7_6detail15normal_iteratorINS7_7pointerISA_NS7_11hip_rocprim3tagENS7_11use_defaultESJ_EEEEPSB_SM_NS0_5tupleIJPSA_SM_EEENSN_IJSM_SM_EEESB_PlJ10is_orderedEEE10hipError_tPvRmT3_T4_T5_T6_T7_T9_mT8_P12ihipStream_tbDpT10_ENKUlT_T0_E_clISt17integral_constantIbLb0EES1B_IbLb1EEEEDaS17_S18_EUlS17_E_NS1_11comp_targetILNS1_3genE2ELNS1_11target_archE906ELNS1_3gpuE6ELNS1_3repE0EEENS1_30default_config_static_selectorELNS0_4arch9wavefront6targetE1EEEvT1_
	.globl	_ZN7rocprim17ROCPRIM_400000_NS6detail17trampoline_kernelINS0_14default_configENS1_25partition_config_selectorILNS1_17partition_subalgoE3EN6thrust23THRUST_200600_302600_NS5tupleIiiNS7_9null_typeES9_S9_S9_S9_S9_S9_S9_EENS0_10empty_typeEbEEZZNS1_14partition_implILS5_3ELb0ES3_jNS7_6detail15normal_iteratorINS7_7pointerISA_NS7_11hip_rocprim3tagENS7_11use_defaultESJ_EEEEPSB_SM_NS0_5tupleIJPSA_SM_EEENSN_IJSM_SM_EEESB_PlJ10is_orderedEEE10hipError_tPvRmT3_T4_T5_T6_T7_T9_mT8_P12ihipStream_tbDpT10_ENKUlT_T0_E_clISt17integral_constantIbLb0EES1B_IbLb1EEEEDaS17_S18_EUlS17_E_NS1_11comp_targetILNS1_3genE2ELNS1_11target_archE906ELNS1_3gpuE6ELNS1_3repE0EEENS1_30default_config_static_selectorELNS0_4arch9wavefront6targetE1EEEvT1_
	.p2align	8
	.type	_ZN7rocprim17ROCPRIM_400000_NS6detail17trampoline_kernelINS0_14default_configENS1_25partition_config_selectorILNS1_17partition_subalgoE3EN6thrust23THRUST_200600_302600_NS5tupleIiiNS7_9null_typeES9_S9_S9_S9_S9_S9_S9_EENS0_10empty_typeEbEEZZNS1_14partition_implILS5_3ELb0ES3_jNS7_6detail15normal_iteratorINS7_7pointerISA_NS7_11hip_rocprim3tagENS7_11use_defaultESJ_EEEEPSB_SM_NS0_5tupleIJPSA_SM_EEENSN_IJSM_SM_EEESB_PlJ10is_orderedEEE10hipError_tPvRmT3_T4_T5_T6_T7_T9_mT8_P12ihipStream_tbDpT10_ENKUlT_T0_E_clISt17integral_constantIbLb0EES1B_IbLb1EEEEDaS17_S18_EUlS17_E_NS1_11comp_targetILNS1_3genE2ELNS1_11target_archE906ELNS1_3gpuE6ELNS1_3repE0EEENS1_30default_config_static_selectorELNS0_4arch9wavefront6targetE1EEEvT1_,@function
_ZN7rocprim17ROCPRIM_400000_NS6detail17trampoline_kernelINS0_14default_configENS1_25partition_config_selectorILNS1_17partition_subalgoE3EN6thrust23THRUST_200600_302600_NS5tupleIiiNS7_9null_typeES9_S9_S9_S9_S9_S9_S9_EENS0_10empty_typeEbEEZZNS1_14partition_implILS5_3ELb0ES3_jNS7_6detail15normal_iteratorINS7_7pointerISA_NS7_11hip_rocprim3tagENS7_11use_defaultESJ_EEEEPSB_SM_NS0_5tupleIJPSA_SM_EEENSN_IJSM_SM_EEESB_PlJ10is_orderedEEE10hipError_tPvRmT3_T4_T5_T6_T7_T9_mT8_P12ihipStream_tbDpT10_ENKUlT_T0_E_clISt17integral_constantIbLb0EES1B_IbLb1EEEEDaS17_S18_EUlS17_E_NS1_11comp_targetILNS1_3genE2ELNS1_11target_archE906ELNS1_3gpuE6ELNS1_3repE0EEENS1_30default_config_static_selectorELNS0_4arch9wavefront6targetE1EEEvT1_: ; @_ZN7rocprim17ROCPRIM_400000_NS6detail17trampoline_kernelINS0_14default_configENS1_25partition_config_selectorILNS1_17partition_subalgoE3EN6thrust23THRUST_200600_302600_NS5tupleIiiNS7_9null_typeES9_S9_S9_S9_S9_S9_S9_EENS0_10empty_typeEbEEZZNS1_14partition_implILS5_3ELb0ES3_jNS7_6detail15normal_iteratorINS7_7pointerISA_NS7_11hip_rocprim3tagENS7_11use_defaultESJ_EEEEPSB_SM_NS0_5tupleIJPSA_SM_EEENSN_IJSM_SM_EEESB_PlJ10is_orderedEEE10hipError_tPvRmT3_T4_T5_T6_T7_T9_mT8_P12ihipStream_tbDpT10_ENKUlT_T0_E_clISt17integral_constantIbLb0EES1B_IbLb1EEEEDaS17_S18_EUlS17_E_NS1_11comp_targetILNS1_3genE2ELNS1_11target_archE906ELNS1_3gpuE6ELNS1_3repE0EEENS1_30default_config_static_selectorELNS0_4arch9wavefront6targetE1EEEvT1_
; %bb.0:
	.section	.rodata,"a",@progbits
	.p2align	6, 0x0
	.amdhsa_kernel _ZN7rocprim17ROCPRIM_400000_NS6detail17trampoline_kernelINS0_14default_configENS1_25partition_config_selectorILNS1_17partition_subalgoE3EN6thrust23THRUST_200600_302600_NS5tupleIiiNS7_9null_typeES9_S9_S9_S9_S9_S9_S9_EENS0_10empty_typeEbEEZZNS1_14partition_implILS5_3ELb0ES3_jNS7_6detail15normal_iteratorINS7_7pointerISA_NS7_11hip_rocprim3tagENS7_11use_defaultESJ_EEEEPSB_SM_NS0_5tupleIJPSA_SM_EEENSN_IJSM_SM_EEESB_PlJ10is_orderedEEE10hipError_tPvRmT3_T4_T5_T6_T7_T9_mT8_P12ihipStream_tbDpT10_ENKUlT_T0_E_clISt17integral_constantIbLb0EES1B_IbLb1EEEEDaS17_S18_EUlS17_E_NS1_11comp_targetILNS1_3genE2ELNS1_11target_archE906ELNS1_3gpuE6ELNS1_3repE0EEENS1_30default_config_static_selectorELNS0_4arch9wavefront6targetE1EEEvT1_
		.amdhsa_group_segment_fixed_size 0
		.amdhsa_private_segment_fixed_size 0
		.amdhsa_kernarg_size 136
		.amdhsa_user_sgpr_count 6
		.amdhsa_user_sgpr_private_segment_buffer 1
		.amdhsa_user_sgpr_dispatch_ptr 0
		.amdhsa_user_sgpr_queue_ptr 0
		.amdhsa_user_sgpr_kernarg_segment_ptr 1
		.amdhsa_user_sgpr_dispatch_id 0
		.amdhsa_user_sgpr_flat_scratch_init 0
		.amdhsa_user_sgpr_kernarg_preload_length 0
		.amdhsa_user_sgpr_kernarg_preload_offset 0
		.amdhsa_user_sgpr_private_segment_size 0
		.amdhsa_uses_dynamic_stack 0
		.amdhsa_system_sgpr_private_segment_wavefront_offset 0
		.amdhsa_system_sgpr_workgroup_id_x 1
		.amdhsa_system_sgpr_workgroup_id_y 0
		.amdhsa_system_sgpr_workgroup_id_z 0
		.amdhsa_system_sgpr_workgroup_info 0
		.amdhsa_system_vgpr_workitem_id 0
		.amdhsa_next_free_vgpr 1
		.amdhsa_next_free_sgpr 0
		.amdhsa_accum_offset 4
		.amdhsa_reserve_vcc 0
		.amdhsa_reserve_flat_scratch 0
		.amdhsa_float_round_mode_32 0
		.amdhsa_float_round_mode_16_64 0
		.amdhsa_float_denorm_mode_32 3
		.amdhsa_float_denorm_mode_16_64 3
		.amdhsa_dx10_clamp 1
		.amdhsa_ieee_mode 1
		.amdhsa_fp16_overflow 0
		.amdhsa_tg_split 0
		.amdhsa_exception_fp_ieee_invalid_op 0
		.amdhsa_exception_fp_denorm_src 0
		.amdhsa_exception_fp_ieee_div_zero 0
		.amdhsa_exception_fp_ieee_overflow 0
		.amdhsa_exception_fp_ieee_underflow 0
		.amdhsa_exception_fp_ieee_inexact 0
		.amdhsa_exception_int_div_zero 0
	.end_amdhsa_kernel
	.section	.text._ZN7rocprim17ROCPRIM_400000_NS6detail17trampoline_kernelINS0_14default_configENS1_25partition_config_selectorILNS1_17partition_subalgoE3EN6thrust23THRUST_200600_302600_NS5tupleIiiNS7_9null_typeES9_S9_S9_S9_S9_S9_S9_EENS0_10empty_typeEbEEZZNS1_14partition_implILS5_3ELb0ES3_jNS7_6detail15normal_iteratorINS7_7pointerISA_NS7_11hip_rocprim3tagENS7_11use_defaultESJ_EEEEPSB_SM_NS0_5tupleIJPSA_SM_EEENSN_IJSM_SM_EEESB_PlJ10is_orderedEEE10hipError_tPvRmT3_T4_T5_T6_T7_T9_mT8_P12ihipStream_tbDpT10_ENKUlT_T0_E_clISt17integral_constantIbLb0EES1B_IbLb1EEEEDaS17_S18_EUlS17_E_NS1_11comp_targetILNS1_3genE2ELNS1_11target_archE906ELNS1_3gpuE6ELNS1_3repE0EEENS1_30default_config_static_selectorELNS0_4arch9wavefront6targetE1EEEvT1_,"axG",@progbits,_ZN7rocprim17ROCPRIM_400000_NS6detail17trampoline_kernelINS0_14default_configENS1_25partition_config_selectorILNS1_17partition_subalgoE3EN6thrust23THRUST_200600_302600_NS5tupleIiiNS7_9null_typeES9_S9_S9_S9_S9_S9_S9_EENS0_10empty_typeEbEEZZNS1_14partition_implILS5_3ELb0ES3_jNS7_6detail15normal_iteratorINS7_7pointerISA_NS7_11hip_rocprim3tagENS7_11use_defaultESJ_EEEEPSB_SM_NS0_5tupleIJPSA_SM_EEENSN_IJSM_SM_EEESB_PlJ10is_orderedEEE10hipError_tPvRmT3_T4_T5_T6_T7_T9_mT8_P12ihipStream_tbDpT10_ENKUlT_T0_E_clISt17integral_constantIbLb0EES1B_IbLb1EEEEDaS17_S18_EUlS17_E_NS1_11comp_targetILNS1_3genE2ELNS1_11target_archE906ELNS1_3gpuE6ELNS1_3repE0EEENS1_30default_config_static_selectorELNS0_4arch9wavefront6targetE1EEEvT1_,comdat
.Lfunc_end3520:
	.size	_ZN7rocprim17ROCPRIM_400000_NS6detail17trampoline_kernelINS0_14default_configENS1_25partition_config_selectorILNS1_17partition_subalgoE3EN6thrust23THRUST_200600_302600_NS5tupleIiiNS7_9null_typeES9_S9_S9_S9_S9_S9_S9_EENS0_10empty_typeEbEEZZNS1_14partition_implILS5_3ELb0ES3_jNS7_6detail15normal_iteratorINS7_7pointerISA_NS7_11hip_rocprim3tagENS7_11use_defaultESJ_EEEEPSB_SM_NS0_5tupleIJPSA_SM_EEENSN_IJSM_SM_EEESB_PlJ10is_orderedEEE10hipError_tPvRmT3_T4_T5_T6_T7_T9_mT8_P12ihipStream_tbDpT10_ENKUlT_T0_E_clISt17integral_constantIbLb0EES1B_IbLb1EEEEDaS17_S18_EUlS17_E_NS1_11comp_targetILNS1_3genE2ELNS1_11target_archE906ELNS1_3gpuE6ELNS1_3repE0EEENS1_30default_config_static_selectorELNS0_4arch9wavefront6targetE1EEEvT1_, .Lfunc_end3520-_ZN7rocprim17ROCPRIM_400000_NS6detail17trampoline_kernelINS0_14default_configENS1_25partition_config_selectorILNS1_17partition_subalgoE3EN6thrust23THRUST_200600_302600_NS5tupleIiiNS7_9null_typeES9_S9_S9_S9_S9_S9_S9_EENS0_10empty_typeEbEEZZNS1_14partition_implILS5_3ELb0ES3_jNS7_6detail15normal_iteratorINS7_7pointerISA_NS7_11hip_rocprim3tagENS7_11use_defaultESJ_EEEEPSB_SM_NS0_5tupleIJPSA_SM_EEENSN_IJSM_SM_EEESB_PlJ10is_orderedEEE10hipError_tPvRmT3_T4_T5_T6_T7_T9_mT8_P12ihipStream_tbDpT10_ENKUlT_T0_E_clISt17integral_constantIbLb0EES1B_IbLb1EEEEDaS17_S18_EUlS17_E_NS1_11comp_targetILNS1_3genE2ELNS1_11target_archE906ELNS1_3gpuE6ELNS1_3repE0EEENS1_30default_config_static_selectorELNS0_4arch9wavefront6targetE1EEEvT1_
                                        ; -- End function
	.section	.AMDGPU.csdata,"",@progbits
; Kernel info:
; codeLenInByte = 0
; NumSgprs: 4
; NumVgprs: 0
; NumAgprs: 0
; TotalNumVgprs: 0
; ScratchSize: 0
; MemoryBound: 0
; FloatMode: 240
; IeeeMode: 1
; LDSByteSize: 0 bytes/workgroup (compile time only)
; SGPRBlocks: 0
; VGPRBlocks: 0
; NumSGPRsForWavesPerEU: 4
; NumVGPRsForWavesPerEU: 1
; AccumOffset: 4
; Occupancy: 8
; WaveLimiterHint : 0
; COMPUTE_PGM_RSRC2:SCRATCH_EN: 0
; COMPUTE_PGM_RSRC2:USER_SGPR: 6
; COMPUTE_PGM_RSRC2:TRAP_HANDLER: 0
; COMPUTE_PGM_RSRC2:TGID_X_EN: 1
; COMPUTE_PGM_RSRC2:TGID_Y_EN: 0
; COMPUTE_PGM_RSRC2:TGID_Z_EN: 0
; COMPUTE_PGM_RSRC2:TIDIG_COMP_CNT: 0
; COMPUTE_PGM_RSRC3_GFX90A:ACCUM_OFFSET: 0
; COMPUTE_PGM_RSRC3_GFX90A:TG_SPLIT: 0
	.section	.text._ZN7rocprim17ROCPRIM_400000_NS6detail17trampoline_kernelINS0_14default_configENS1_25partition_config_selectorILNS1_17partition_subalgoE3EN6thrust23THRUST_200600_302600_NS5tupleIiiNS7_9null_typeES9_S9_S9_S9_S9_S9_S9_EENS0_10empty_typeEbEEZZNS1_14partition_implILS5_3ELb0ES3_jNS7_6detail15normal_iteratorINS7_7pointerISA_NS7_11hip_rocprim3tagENS7_11use_defaultESJ_EEEEPSB_SM_NS0_5tupleIJPSA_SM_EEENSN_IJSM_SM_EEESB_PlJ10is_orderedEEE10hipError_tPvRmT3_T4_T5_T6_T7_T9_mT8_P12ihipStream_tbDpT10_ENKUlT_T0_E_clISt17integral_constantIbLb0EES1B_IbLb1EEEEDaS17_S18_EUlS17_E_NS1_11comp_targetILNS1_3genE10ELNS1_11target_archE1200ELNS1_3gpuE4ELNS1_3repE0EEENS1_30default_config_static_selectorELNS0_4arch9wavefront6targetE1EEEvT1_,"axG",@progbits,_ZN7rocprim17ROCPRIM_400000_NS6detail17trampoline_kernelINS0_14default_configENS1_25partition_config_selectorILNS1_17partition_subalgoE3EN6thrust23THRUST_200600_302600_NS5tupleIiiNS7_9null_typeES9_S9_S9_S9_S9_S9_S9_EENS0_10empty_typeEbEEZZNS1_14partition_implILS5_3ELb0ES3_jNS7_6detail15normal_iteratorINS7_7pointerISA_NS7_11hip_rocprim3tagENS7_11use_defaultESJ_EEEEPSB_SM_NS0_5tupleIJPSA_SM_EEENSN_IJSM_SM_EEESB_PlJ10is_orderedEEE10hipError_tPvRmT3_T4_T5_T6_T7_T9_mT8_P12ihipStream_tbDpT10_ENKUlT_T0_E_clISt17integral_constantIbLb0EES1B_IbLb1EEEEDaS17_S18_EUlS17_E_NS1_11comp_targetILNS1_3genE10ELNS1_11target_archE1200ELNS1_3gpuE4ELNS1_3repE0EEENS1_30default_config_static_selectorELNS0_4arch9wavefront6targetE1EEEvT1_,comdat
	.protected	_ZN7rocprim17ROCPRIM_400000_NS6detail17trampoline_kernelINS0_14default_configENS1_25partition_config_selectorILNS1_17partition_subalgoE3EN6thrust23THRUST_200600_302600_NS5tupleIiiNS7_9null_typeES9_S9_S9_S9_S9_S9_S9_EENS0_10empty_typeEbEEZZNS1_14partition_implILS5_3ELb0ES3_jNS7_6detail15normal_iteratorINS7_7pointerISA_NS7_11hip_rocprim3tagENS7_11use_defaultESJ_EEEEPSB_SM_NS0_5tupleIJPSA_SM_EEENSN_IJSM_SM_EEESB_PlJ10is_orderedEEE10hipError_tPvRmT3_T4_T5_T6_T7_T9_mT8_P12ihipStream_tbDpT10_ENKUlT_T0_E_clISt17integral_constantIbLb0EES1B_IbLb1EEEEDaS17_S18_EUlS17_E_NS1_11comp_targetILNS1_3genE10ELNS1_11target_archE1200ELNS1_3gpuE4ELNS1_3repE0EEENS1_30default_config_static_selectorELNS0_4arch9wavefront6targetE1EEEvT1_ ; -- Begin function _ZN7rocprim17ROCPRIM_400000_NS6detail17trampoline_kernelINS0_14default_configENS1_25partition_config_selectorILNS1_17partition_subalgoE3EN6thrust23THRUST_200600_302600_NS5tupleIiiNS7_9null_typeES9_S9_S9_S9_S9_S9_S9_EENS0_10empty_typeEbEEZZNS1_14partition_implILS5_3ELb0ES3_jNS7_6detail15normal_iteratorINS7_7pointerISA_NS7_11hip_rocprim3tagENS7_11use_defaultESJ_EEEEPSB_SM_NS0_5tupleIJPSA_SM_EEENSN_IJSM_SM_EEESB_PlJ10is_orderedEEE10hipError_tPvRmT3_T4_T5_T6_T7_T9_mT8_P12ihipStream_tbDpT10_ENKUlT_T0_E_clISt17integral_constantIbLb0EES1B_IbLb1EEEEDaS17_S18_EUlS17_E_NS1_11comp_targetILNS1_3genE10ELNS1_11target_archE1200ELNS1_3gpuE4ELNS1_3repE0EEENS1_30default_config_static_selectorELNS0_4arch9wavefront6targetE1EEEvT1_
	.globl	_ZN7rocprim17ROCPRIM_400000_NS6detail17trampoline_kernelINS0_14default_configENS1_25partition_config_selectorILNS1_17partition_subalgoE3EN6thrust23THRUST_200600_302600_NS5tupleIiiNS7_9null_typeES9_S9_S9_S9_S9_S9_S9_EENS0_10empty_typeEbEEZZNS1_14partition_implILS5_3ELb0ES3_jNS7_6detail15normal_iteratorINS7_7pointerISA_NS7_11hip_rocprim3tagENS7_11use_defaultESJ_EEEEPSB_SM_NS0_5tupleIJPSA_SM_EEENSN_IJSM_SM_EEESB_PlJ10is_orderedEEE10hipError_tPvRmT3_T4_T5_T6_T7_T9_mT8_P12ihipStream_tbDpT10_ENKUlT_T0_E_clISt17integral_constantIbLb0EES1B_IbLb1EEEEDaS17_S18_EUlS17_E_NS1_11comp_targetILNS1_3genE10ELNS1_11target_archE1200ELNS1_3gpuE4ELNS1_3repE0EEENS1_30default_config_static_selectorELNS0_4arch9wavefront6targetE1EEEvT1_
	.p2align	8
	.type	_ZN7rocprim17ROCPRIM_400000_NS6detail17trampoline_kernelINS0_14default_configENS1_25partition_config_selectorILNS1_17partition_subalgoE3EN6thrust23THRUST_200600_302600_NS5tupleIiiNS7_9null_typeES9_S9_S9_S9_S9_S9_S9_EENS0_10empty_typeEbEEZZNS1_14partition_implILS5_3ELb0ES3_jNS7_6detail15normal_iteratorINS7_7pointerISA_NS7_11hip_rocprim3tagENS7_11use_defaultESJ_EEEEPSB_SM_NS0_5tupleIJPSA_SM_EEENSN_IJSM_SM_EEESB_PlJ10is_orderedEEE10hipError_tPvRmT3_T4_T5_T6_T7_T9_mT8_P12ihipStream_tbDpT10_ENKUlT_T0_E_clISt17integral_constantIbLb0EES1B_IbLb1EEEEDaS17_S18_EUlS17_E_NS1_11comp_targetILNS1_3genE10ELNS1_11target_archE1200ELNS1_3gpuE4ELNS1_3repE0EEENS1_30default_config_static_selectorELNS0_4arch9wavefront6targetE1EEEvT1_,@function
_ZN7rocprim17ROCPRIM_400000_NS6detail17trampoline_kernelINS0_14default_configENS1_25partition_config_selectorILNS1_17partition_subalgoE3EN6thrust23THRUST_200600_302600_NS5tupleIiiNS7_9null_typeES9_S9_S9_S9_S9_S9_S9_EENS0_10empty_typeEbEEZZNS1_14partition_implILS5_3ELb0ES3_jNS7_6detail15normal_iteratorINS7_7pointerISA_NS7_11hip_rocprim3tagENS7_11use_defaultESJ_EEEEPSB_SM_NS0_5tupleIJPSA_SM_EEENSN_IJSM_SM_EEESB_PlJ10is_orderedEEE10hipError_tPvRmT3_T4_T5_T6_T7_T9_mT8_P12ihipStream_tbDpT10_ENKUlT_T0_E_clISt17integral_constantIbLb0EES1B_IbLb1EEEEDaS17_S18_EUlS17_E_NS1_11comp_targetILNS1_3genE10ELNS1_11target_archE1200ELNS1_3gpuE4ELNS1_3repE0EEENS1_30default_config_static_selectorELNS0_4arch9wavefront6targetE1EEEvT1_: ; @_ZN7rocprim17ROCPRIM_400000_NS6detail17trampoline_kernelINS0_14default_configENS1_25partition_config_selectorILNS1_17partition_subalgoE3EN6thrust23THRUST_200600_302600_NS5tupleIiiNS7_9null_typeES9_S9_S9_S9_S9_S9_S9_EENS0_10empty_typeEbEEZZNS1_14partition_implILS5_3ELb0ES3_jNS7_6detail15normal_iteratorINS7_7pointerISA_NS7_11hip_rocprim3tagENS7_11use_defaultESJ_EEEEPSB_SM_NS0_5tupleIJPSA_SM_EEENSN_IJSM_SM_EEESB_PlJ10is_orderedEEE10hipError_tPvRmT3_T4_T5_T6_T7_T9_mT8_P12ihipStream_tbDpT10_ENKUlT_T0_E_clISt17integral_constantIbLb0EES1B_IbLb1EEEEDaS17_S18_EUlS17_E_NS1_11comp_targetILNS1_3genE10ELNS1_11target_archE1200ELNS1_3gpuE4ELNS1_3repE0EEENS1_30default_config_static_selectorELNS0_4arch9wavefront6targetE1EEEvT1_
; %bb.0:
	.section	.rodata,"a",@progbits
	.p2align	6, 0x0
	.amdhsa_kernel _ZN7rocprim17ROCPRIM_400000_NS6detail17trampoline_kernelINS0_14default_configENS1_25partition_config_selectorILNS1_17partition_subalgoE3EN6thrust23THRUST_200600_302600_NS5tupleIiiNS7_9null_typeES9_S9_S9_S9_S9_S9_S9_EENS0_10empty_typeEbEEZZNS1_14partition_implILS5_3ELb0ES3_jNS7_6detail15normal_iteratorINS7_7pointerISA_NS7_11hip_rocprim3tagENS7_11use_defaultESJ_EEEEPSB_SM_NS0_5tupleIJPSA_SM_EEENSN_IJSM_SM_EEESB_PlJ10is_orderedEEE10hipError_tPvRmT3_T4_T5_T6_T7_T9_mT8_P12ihipStream_tbDpT10_ENKUlT_T0_E_clISt17integral_constantIbLb0EES1B_IbLb1EEEEDaS17_S18_EUlS17_E_NS1_11comp_targetILNS1_3genE10ELNS1_11target_archE1200ELNS1_3gpuE4ELNS1_3repE0EEENS1_30default_config_static_selectorELNS0_4arch9wavefront6targetE1EEEvT1_
		.amdhsa_group_segment_fixed_size 0
		.amdhsa_private_segment_fixed_size 0
		.amdhsa_kernarg_size 136
		.amdhsa_user_sgpr_count 6
		.amdhsa_user_sgpr_private_segment_buffer 1
		.amdhsa_user_sgpr_dispatch_ptr 0
		.amdhsa_user_sgpr_queue_ptr 0
		.amdhsa_user_sgpr_kernarg_segment_ptr 1
		.amdhsa_user_sgpr_dispatch_id 0
		.amdhsa_user_sgpr_flat_scratch_init 0
		.amdhsa_user_sgpr_kernarg_preload_length 0
		.amdhsa_user_sgpr_kernarg_preload_offset 0
		.amdhsa_user_sgpr_private_segment_size 0
		.amdhsa_uses_dynamic_stack 0
		.amdhsa_system_sgpr_private_segment_wavefront_offset 0
		.amdhsa_system_sgpr_workgroup_id_x 1
		.amdhsa_system_sgpr_workgroup_id_y 0
		.amdhsa_system_sgpr_workgroup_id_z 0
		.amdhsa_system_sgpr_workgroup_info 0
		.amdhsa_system_vgpr_workitem_id 0
		.amdhsa_next_free_vgpr 1
		.amdhsa_next_free_sgpr 0
		.amdhsa_accum_offset 4
		.amdhsa_reserve_vcc 0
		.amdhsa_reserve_flat_scratch 0
		.amdhsa_float_round_mode_32 0
		.amdhsa_float_round_mode_16_64 0
		.amdhsa_float_denorm_mode_32 3
		.amdhsa_float_denorm_mode_16_64 3
		.amdhsa_dx10_clamp 1
		.amdhsa_ieee_mode 1
		.amdhsa_fp16_overflow 0
		.amdhsa_tg_split 0
		.amdhsa_exception_fp_ieee_invalid_op 0
		.amdhsa_exception_fp_denorm_src 0
		.amdhsa_exception_fp_ieee_div_zero 0
		.amdhsa_exception_fp_ieee_overflow 0
		.amdhsa_exception_fp_ieee_underflow 0
		.amdhsa_exception_fp_ieee_inexact 0
		.amdhsa_exception_int_div_zero 0
	.end_amdhsa_kernel
	.section	.text._ZN7rocprim17ROCPRIM_400000_NS6detail17trampoline_kernelINS0_14default_configENS1_25partition_config_selectorILNS1_17partition_subalgoE3EN6thrust23THRUST_200600_302600_NS5tupleIiiNS7_9null_typeES9_S9_S9_S9_S9_S9_S9_EENS0_10empty_typeEbEEZZNS1_14partition_implILS5_3ELb0ES3_jNS7_6detail15normal_iteratorINS7_7pointerISA_NS7_11hip_rocprim3tagENS7_11use_defaultESJ_EEEEPSB_SM_NS0_5tupleIJPSA_SM_EEENSN_IJSM_SM_EEESB_PlJ10is_orderedEEE10hipError_tPvRmT3_T4_T5_T6_T7_T9_mT8_P12ihipStream_tbDpT10_ENKUlT_T0_E_clISt17integral_constantIbLb0EES1B_IbLb1EEEEDaS17_S18_EUlS17_E_NS1_11comp_targetILNS1_3genE10ELNS1_11target_archE1200ELNS1_3gpuE4ELNS1_3repE0EEENS1_30default_config_static_selectorELNS0_4arch9wavefront6targetE1EEEvT1_,"axG",@progbits,_ZN7rocprim17ROCPRIM_400000_NS6detail17trampoline_kernelINS0_14default_configENS1_25partition_config_selectorILNS1_17partition_subalgoE3EN6thrust23THRUST_200600_302600_NS5tupleIiiNS7_9null_typeES9_S9_S9_S9_S9_S9_S9_EENS0_10empty_typeEbEEZZNS1_14partition_implILS5_3ELb0ES3_jNS7_6detail15normal_iteratorINS7_7pointerISA_NS7_11hip_rocprim3tagENS7_11use_defaultESJ_EEEEPSB_SM_NS0_5tupleIJPSA_SM_EEENSN_IJSM_SM_EEESB_PlJ10is_orderedEEE10hipError_tPvRmT3_T4_T5_T6_T7_T9_mT8_P12ihipStream_tbDpT10_ENKUlT_T0_E_clISt17integral_constantIbLb0EES1B_IbLb1EEEEDaS17_S18_EUlS17_E_NS1_11comp_targetILNS1_3genE10ELNS1_11target_archE1200ELNS1_3gpuE4ELNS1_3repE0EEENS1_30default_config_static_selectorELNS0_4arch9wavefront6targetE1EEEvT1_,comdat
.Lfunc_end3521:
	.size	_ZN7rocprim17ROCPRIM_400000_NS6detail17trampoline_kernelINS0_14default_configENS1_25partition_config_selectorILNS1_17partition_subalgoE3EN6thrust23THRUST_200600_302600_NS5tupleIiiNS7_9null_typeES9_S9_S9_S9_S9_S9_S9_EENS0_10empty_typeEbEEZZNS1_14partition_implILS5_3ELb0ES3_jNS7_6detail15normal_iteratorINS7_7pointerISA_NS7_11hip_rocprim3tagENS7_11use_defaultESJ_EEEEPSB_SM_NS0_5tupleIJPSA_SM_EEENSN_IJSM_SM_EEESB_PlJ10is_orderedEEE10hipError_tPvRmT3_T4_T5_T6_T7_T9_mT8_P12ihipStream_tbDpT10_ENKUlT_T0_E_clISt17integral_constantIbLb0EES1B_IbLb1EEEEDaS17_S18_EUlS17_E_NS1_11comp_targetILNS1_3genE10ELNS1_11target_archE1200ELNS1_3gpuE4ELNS1_3repE0EEENS1_30default_config_static_selectorELNS0_4arch9wavefront6targetE1EEEvT1_, .Lfunc_end3521-_ZN7rocprim17ROCPRIM_400000_NS6detail17trampoline_kernelINS0_14default_configENS1_25partition_config_selectorILNS1_17partition_subalgoE3EN6thrust23THRUST_200600_302600_NS5tupleIiiNS7_9null_typeES9_S9_S9_S9_S9_S9_S9_EENS0_10empty_typeEbEEZZNS1_14partition_implILS5_3ELb0ES3_jNS7_6detail15normal_iteratorINS7_7pointerISA_NS7_11hip_rocprim3tagENS7_11use_defaultESJ_EEEEPSB_SM_NS0_5tupleIJPSA_SM_EEENSN_IJSM_SM_EEESB_PlJ10is_orderedEEE10hipError_tPvRmT3_T4_T5_T6_T7_T9_mT8_P12ihipStream_tbDpT10_ENKUlT_T0_E_clISt17integral_constantIbLb0EES1B_IbLb1EEEEDaS17_S18_EUlS17_E_NS1_11comp_targetILNS1_3genE10ELNS1_11target_archE1200ELNS1_3gpuE4ELNS1_3repE0EEENS1_30default_config_static_selectorELNS0_4arch9wavefront6targetE1EEEvT1_
                                        ; -- End function
	.section	.AMDGPU.csdata,"",@progbits
; Kernel info:
; codeLenInByte = 0
; NumSgprs: 4
; NumVgprs: 0
; NumAgprs: 0
; TotalNumVgprs: 0
; ScratchSize: 0
; MemoryBound: 0
; FloatMode: 240
; IeeeMode: 1
; LDSByteSize: 0 bytes/workgroup (compile time only)
; SGPRBlocks: 0
; VGPRBlocks: 0
; NumSGPRsForWavesPerEU: 4
; NumVGPRsForWavesPerEU: 1
; AccumOffset: 4
; Occupancy: 8
; WaveLimiterHint : 0
; COMPUTE_PGM_RSRC2:SCRATCH_EN: 0
; COMPUTE_PGM_RSRC2:USER_SGPR: 6
; COMPUTE_PGM_RSRC2:TRAP_HANDLER: 0
; COMPUTE_PGM_RSRC2:TGID_X_EN: 1
; COMPUTE_PGM_RSRC2:TGID_Y_EN: 0
; COMPUTE_PGM_RSRC2:TGID_Z_EN: 0
; COMPUTE_PGM_RSRC2:TIDIG_COMP_CNT: 0
; COMPUTE_PGM_RSRC3_GFX90A:ACCUM_OFFSET: 0
; COMPUTE_PGM_RSRC3_GFX90A:TG_SPLIT: 0
	.section	.text._ZN7rocprim17ROCPRIM_400000_NS6detail17trampoline_kernelINS0_14default_configENS1_25partition_config_selectorILNS1_17partition_subalgoE3EN6thrust23THRUST_200600_302600_NS5tupleIiiNS7_9null_typeES9_S9_S9_S9_S9_S9_S9_EENS0_10empty_typeEbEEZZNS1_14partition_implILS5_3ELb0ES3_jNS7_6detail15normal_iteratorINS7_7pointerISA_NS7_11hip_rocprim3tagENS7_11use_defaultESJ_EEEEPSB_SM_NS0_5tupleIJPSA_SM_EEENSN_IJSM_SM_EEESB_PlJ10is_orderedEEE10hipError_tPvRmT3_T4_T5_T6_T7_T9_mT8_P12ihipStream_tbDpT10_ENKUlT_T0_E_clISt17integral_constantIbLb0EES1B_IbLb1EEEEDaS17_S18_EUlS17_E_NS1_11comp_targetILNS1_3genE9ELNS1_11target_archE1100ELNS1_3gpuE3ELNS1_3repE0EEENS1_30default_config_static_selectorELNS0_4arch9wavefront6targetE1EEEvT1_,"axG",@progbits,_ZN7rocprim17ROCPRIM_400000_NS6detail17trampoline_kernelINS0_14default_configENS1_25partition_config_selectorILNS1_17partition_subalgoE3EN6thrust23THRUST_200600_302600_NS5tupleIiiNS7_9null_typeES9_S9_S9_S9_S9_S9_S9_EENS0_10empty_typeEbEEZZNS1_14partition_implILS5_3ELb0ES3_jNS7_6detail15normal_iteratorINS7_7pointerISA_NS7_11hip_rocprim3tagENS7_11use_defaultESJ_EEEEPSB_SM_NS0_5tupleIJPSA_SM_EEENSN_IJSM_SM_EEESB_PlJ10is_orderedEEE10hipError_tPvRmT3_T4_T5_T6_T7_T9_mT8_P12ihipStream_tbDpT10_ENKUlT_T0_E_clISt17integral_constantIbLb0EES1B_IbLb1EEEEDaS17_S18_EUlS17_E_NS1_11comp_targetILNS1_3genE9ELNS1_11target_archE1100ELNS1_3gpuE3ELNS1_3repE0EEENS1_30default_config_static_selectorELNS0_4arch9wavefront6targetE1EEEvT1_,comdat
	.protected	_ZN7rocprim17ROCPRIM_400000_NS6detail17trampoline_kernelINS0_14default_configENS1_25partition_config_selectorILNS1_17partition_subalgoE3EN6thrust23THRUST_200600_302600_NS5tupleIiiNS7_9null_typeES9_S9_S9_S9_S9_S9_S9_EENS0_10empty_typeEbEEZZNS1_14partition_implILS5_3ELb0ES3_jNS7_6detail15normal_iteratorINS7_7pointerISA_NS7_11hip_rocprim3tagENS7_11use_defaultESJ_EEEEPSB_SM_NS0_5tupleIJPSA_SM_EEENSN_IJSM_SM_EEESB_PlJ10is_orderedEEE10hipError_tPvRmT3_T4_T5_T6_T7_T9_mT8_P12ihipStream_tbDpT10_ENKUlT_T0_E_clISt17integral_constantIbLb0EES1B_IbLb1EEEEDaS17_S18_EUlS17_E_NS1_11comp_targetILNS1_3genE9ELNS1_11target_archE1100ELNS1_3gpuE3ELNS1_3repE0EEENS1_30default_config_static_selectorELNS0_4arch9wavefront6targetE1EEEvT1_ ; -- Begin function _ZN7rocprim17ROCPRIM_400000_NS6detail17trampoline_kernelINS0_14default_configENS1_25partition_config_selectorILNS1_17partition_subalgoE3EN6thrust23THRUST_200600_302600_NS5tupleIiiNS7_9null_typeES9_S9_S9_S9_S9_S9_S9_EENS0_10empty_typeEbEEZZNS1_14partition_implILS5_3ELb0ES3_jNS7_6detail15normal_iteratorINS7_7pointerISA_NS7_11hip_rocprim3tagENS7_11use_defaultESJ_EEEEPSB_SM_NS0_5tupleIJPSA_SM_EEENSN_IJSM_SM_EEESB_PlJ10is_orderedEEE10hipError_tPvRmT3_T4_T5_T6_T7_T9_mT8_P12ihipStream_tbDpT10_ENKUlT_T0_E_clISt17integral_constantIbLb0EES1B_IbLb1EEEEDaS17_S18_EUlS17_E_NS1_11comp_targetILNS1_3genE9ELNS1_11target_archE1100ELNS1_3gpuE3ELNS1_3repE0EEENS1_30default_config_static_selectorELNS0_4arch9wavefront6targetE1EEEvT1_
	.globl	_ZN7rocprim17ROCPRIM_400000_NS6detail17trampoline_kernelINS0_14default_configENS1_25partition_config_selectorILNS1_17partition_subalgoE3EN6thrust23THRUST_200600_302600_NS5tupleIiiNS7_9null_typeES9_S9_S9_S9_S9_S9_S9_EENS0_10empty_typeEbEEZZNS1_14partition_implILS5_3ELb0ES3_jNS7_6detail15normal_iteratorINS7_7pointerISA_NS7_11hip_rocprim3tagENS7_11use_defaultESJ_EEEEPSB_SM_NS0_5tupleIJPSA_SM_EEENSN_IJSM_SM_EEESB_PlJ10is_orderedEEE10hipError_tPvRmT3_T4_T5_T6_T7_T9_mT8_P12ihipStream_tbDpT10_ENKUlT_T0_E_clISt17integral_constantIbLb0EES1B_IbLb1EEEEDaS17_S18_EUlS17_E_NS1_11comp_targetILNS1_3genE9ELNS1_11target_archE1100ELNS1_3gpuE3ELNS1_3repE0EEENS1_30default_config_static_selectorELNS0_4arch9wavefront6targetE1EEEvT1_
	.p2align	8
	.type	_ZN7rocprim17ROCPRIM_400000_NS6detail17trampoline_kernelINS0_14default_configENS1_25partition_config_selectorILNS1_17partition_subalgoE3EN6thrust23THRUST_200600_302600_NS5tupleIiiNS7_9null_typeES9_S9_S9_S9_S9_S9_S9_EENS0_10empty_typeEbEEZZNS1_14partition_implILS5_3ELb0ES3_jNS7_6detail15normal_iteratorINS7_7pointerISA_NS7_11hip_rocprim3tagENS7_11use_defaultESJ_EEEEPSB_SM_NS0_5tupleIJPSA_SM_EEENSN_IJSM_SM_EEESB_PlJ10is_orderedEEE10hipError_tPvRmT3_T4_T5_T6_T7_T9_mT8_P12ihipStream_tbDpT10_ENKUlT_T0_E_clISt17integral_constantIbLb0EES1B_IbLb1EEEEDaS17_S18_EUlS17_E_NS1_11comp_targetILNS1_3genE9ELNS1_11target_archE1100ELNS1_3gpuE3ELNS1_3repE0EEENS1_30default_config_static_selectorELNS0_4arch9wavefront6targetE1EEEvT1_,@function
_ZN7rocprim17ROCPRIM_400000_NS6detail17trampoline_kernelINS0_14default_configENS1_25partition_config_selectorILNS1_17partition_subalgoE3EN6thrust23THRUST_200600_302600_NS5tupleIiiNS7_9null_typeES9_S9_S9_S9_S9_S9_S9_EENS0_10empty_typeEbEEZZNS1_14partition_implILS5_3ELb0ES3_jNS7_6detail15normal_iteratorINS7_7pointerISA_NS7_11hip_rocprim3tagENS7_11use_defaultESJ_EEEEPSB_SM_NS0_5tupleIJPSA_SM_EEENSN_IJSM_SM_EEESB_PlJ10is_orderedEEE10hipError_tPvRmT3_T4_T5_T6_T7_T9_mT8_P12ihipStream_tbDpT10_ENKUlT_T0_E_clISt17integral_constantIbLb0EES1B_IbLb1EEEEDaS17_S18_EUlS17_E_NS1_11comp_targetILNS1_3genE9ELNS1_11target_archE1100ELNS1_3gpuE3ELNS1_3repE0EEENS1_30default_config_static_selectorELNS0_4arch9wavefront6targetE1EEEvT1_: ; @_ZN7rocprim17ROCPRIM_400000_NS6detail17trampoline_kernelINS0_14default_configENS1_25partition_config_selectorILNS1_17partition_subalgoE3EN6thrust23THRUST_200600_302600_NS5tupleIiiNS7_9null_typeES9_S9_S9_S9_S9_S9_S9_EENS0_10empty_typeEbEEZZNS1_14partition_implILS5_3ELb0ES3_jNS7_6detail15normal_iteratorINS7_7pointerISA_NS7_11hip_rocprim3tagENS7_11use_defaultESJ_EEEEPSB_SM_NS0_5tupleIJPSA_SM_EEENSN_IJSM_SM_EEESB_PlJ10is_orderedEEE10hipError_tPvRmT3_T4_T5_T6_T7_T9_mT8_P12ihipStream_tbDpT10_ENKUlT_T0_E_clISt17integral_constantIbLb0EES1B_IbLb1EEEEDaS17_S18_EUlS17_E_NS1_11comp_targetILNS1_3genE9ELNS1_11target_archE1100ELNS1_3gpuE3ELNS1_3repE0EEENS1_30default_config_static_selectorELNS0_4arch9wavefront6targetE1EEEvT1_
; %bb.0:
	.section	.rodata,"a",@progbits
	.p2align	6, 0x0
	.amdhsa_kernel _ZN7rocprim17ROCPRIM_400000_NS6detail17trampoline_kernelINS0_14default_configENS1_25partition_config_selectorILNS1_17partition_subalgoE3EN6thrust23THRUST_200600_302600_NS5tupleIiiNS7_9null_typeES9_S9_S9_S9_S9_S9_S9_EENS0_10empty_typeEbEEZZNS1_14partition_implILS5_3ELb0ES3_jNS7_6detail15normal_iteratorINS7_7pointerISA_NS7_11hip_rocprim3tagENS7_11use_defaultESJ_EEEEPSB_SM_NS0_5tupleIJPSA_SM_EEENSN_IJSM_SM_EEESB_PlJ10is_orderedEEE10hipError_tPvRmT3_T4_T5_T6_T7_T9_mT8_P12ihipStream_tbDpT10_ENKUlT_T0_E_clISt17integral_constantIbLb0EES1B_IbLb1EEEEDaS17_S18_EUlS17_E_NS1_11comp_targetILNS1_3genE9ELNS1_11target_archE1100ELNS1_3gpuE3ELNS1_3repE0EEENS1_30default_config_static_selectorELNS0_4arch9wavefront6targetE1EEEvT1_
		.amdhsa_group_segment_fixed_size 0
		.amdhsa_private_segment_fixed_size 0
		.amdhsa_kernarg_size 136
		.amdhsa_user_sgpr_count 6
		.amdhsa_user_sgpr_private_segment_buffer 1
		.amdhsa_user_sgpr_dispatch_ptr 0
		.amdhsa_user_sgpr_queue_ptr 0
		.amdhsa_user_sgpr_kernarg_segment_ptr 1
		.amdhsa_user_sgpr_dispatch_id 0
		.amdhsa_user_sgpr_flat_scratch_init 0
		.amdhsa_user_sgpr_kernarg_preload_length 0
		.amdhsa_user_sgpr_kernarg_preload_offset 0
		.amdhsa_user_sgpr_private_segment_size 0
		.amdhsa_uses_dynamic_stack 0
		.amdhsa_system_sgpr_private_segment_wavefront_offset 0
		.amdhsa_system_sgpr_workgroup_id_x 1
		.amdhsa_system_sgpr_workgroup_id_y 0
		.amdhsa_system_sgpr_workgroup_id_z 0
		.amdhsa_system_sgpr_workgroup_info 0
		.amdhsa_system_vgpr_workitem_id 0
		.amdhsa_next_free_vgpr 1
		.amdhsa_next_free_sgpr 0
		.amdhsa_accum_offset 4
		.amdhsa_reserve_vcc 0
		.amdhsa_reserve_flat_scratch 0
		.amdhsa_float_round_mode_32 0
		.amdhsa_float_round_mode_16_64 0
		.amdhsa_float_denorm_mode_32 3
		.amdhsa_float_denorm_mode_16_64 3
		.amdhsa_dx10_clamp 1
		.amdhsa_ieee_mode 1
		.amdhsa_fp16_overflow 0
		.amdhsa_tg_split 0
		.amdhsa_exception_fp_ieee_invalid_op 0
		.amdhsa_exception_fp_denorm_src 0
		.amdhsa_exception_fp_ieee_div_zero 0
		.amdhsa_exception_fp_ieee_overflow 0
		.amdhsa_exception_fp_ieee_underflow 0
		.amdhsa_exception_fp_ieee_inexact 0
		.amdhsa_exception_int_div_zero 0
	.end_amdhsa_kernel
	.section	.text._ZN7rocprim17ROCPRIM_400000_NS6detail17trampoline_kernelINS0_14default_configENS1_25partition_config_selectorILNS1_17partition_subalgoE3EN6thrust23THRUST_200600_302600_NS5tupleIiiNS7_9null_typeES9_S9_S9_S9_S9_S9_S9_EENS0_10empty_typeEbEEZZNS1_14partition_implILS5_3ELb0ES3_jNS7_6detail15normal_iteratorINS7_7pointerISA_NS7_11hip_rocprim3tagENS7_11use_defaultESJ_EEEEPSB_SM_NS0_5tupleIJPSA_SM_EEENSN_IJSM_SM_EEESB_PlJ10is_orderedEEE10hipError_tPvRmT3_T4_T5_T6_T7_T9_mT8_P12ihipStream_tbDpT10_ENKUlT_T0_E_clISt17integral_constantIbLb0EES1B_IbLb1EEEEDaS17_S18_EUlS17_E_NS1_11comp_targetILNS1_3genE9ELNS1_11target_archE1100ELNS1_3gpuE3ELNS1_3repE0EEENS1_30default_config_static_selectorELNS0_4arch9wavefront6targetE1EEEvT1_,"axG",@progbits,_ZN7rocprim17ROCPRIM_400000_NS6detail17trampoline_kernelINS0_14default_configENS1_25partition_config_selectorILNS1_17partition_subalgoE3EN6thrust23THRUST_200600_302600_NS5tupleIiiNS7_9null_typeES9_S9_S9_S9_S9_S9_S9_EENS0_10empty_typeEbEEZZNS1_14partition_implILS5_3ELb0ES3_jNS7_6detail15normal_iteratorINS7_7pointerISA_NS7_11hip_rocprim3tagENS7_11use_defaultESJ_EEEEPSB_SM_NS0_5tupleIJPSA_SM_EEENSN_IJSM_SM_EEESB_PlJ10is_orderedEEE10hipError_tPvRmT3_T4_T5_T6_T7_T9_mT8_P12ihipStream_tbDpT10_ENKUlT_T0_E_clISt17integral_constantIbLb0EES1B_IbLb1EEEEDaS17_S18_EUlS17_E_NS1_11comp_targetILNS1_3genE9ELNS1_11target_archE1100ELNS1_3gpuE3ELNS1_3repE0EEENS1_30default_config_static_selectorELNS0_4arch9wavefront6targetE1EEEvT1_,comdat
.Lfunc_end3522:
	.size	_ZN7rocprim17ROCPRIM_400000_NS6detail17trampoline_kernelINS0_14default_configENS1_25partition_config_selectorILNS1_17partition_subalgoE3EN6thrust23THRUST_200600_302600_NS5tupleIiiNS7_9null_typeES9_S9_S9_S9_S9_S9_S9_EENS0_10empty_typeEbEEZZNS1_14partition_implILS5_3ELb0ES3_jNS7_6detail15normal_iteratorINS7_7pointerISA_NS7_11hip_rocprim3tagENS7_11use_defaultESJ_EEEEPSB_SM_NS0_5tupleIJPSA_SM_EEENSN_IJSM_SM_EEESB_PlJ10is_orderedEEE10hipError_tPvRmT3_T4_T5_T6_T7_T9_mT8_P12ihipStream_tbDpT10_ENKUlT_T0_E_clISt17integral_constantIbLb0EES1B_IbLb1EEEEDaS17_S18_EUlS17_E_NS1_11comp_targetILNS1_3genE9ELNS1_11target_archE1100ELNS1_3gpuE3ELNS1_3repE0EEENS1_30default_config_static_selectorELNS0_4arch9wavefront6targetE1EEEvT1_, .Lfunc_end3522-_ZN7rocprim17ROCPRIM_400000_NS6detail17trampoline_kernelINS0_14default_configENS1_25partition_config_selectorILNS1_17partition_subalgoE3EN6thrust23THRUST_200600_302600_NS5tupleIiiNS7_9null_typeES9_S9_S9_S9_S9_S9_S9_EENS0_10empty_typeEbEEZZNS1_14partition_implILS5_3ELb0ES3_jNS7_6detail15normal_iteratorINS7_7pointerISA_NS7_11hip_rocprim3tagENS7_11use_defaultESJ_EEEEPSB_SM_NS0_5tupleIJPSA_SM_EEENSN_IJSM_SM_EEESB_PlJ10is_orderedEEE10hipError_tPvRmT3_T4_T5_T6_T7_T9_mT8_P12ihipStream_tbDpT10_ENKUlT_T0_E_clISt17integral_constantIbLb0EES1B_IbLb1EEEEDaS17_S18_EUlS17_E_NS1_11comp_targetILNS1_3genE9ELNS1_11target_archE1100ELNS1_3gpuE3ELNS1_3repE0EEENS1_30default_config_static_selectorELNS0_4arch9wavefront6targetE1EEEvT1_
                                        ; -- End function
	.section	.AMDGPU.csdata,"",@progbits
; Kernel info:
; codeLenInByte = 0
; NumSgprs: 4
; NumVgprs: 0
; NumAgprs: 0
; TotalNumVgprs: 0
; ScratchSize: 0
; MemoryBound: 0
; FloatMode: 240
; IeeeMode: 1
; LDSByteSize: 0 bytes/workgroup (compile time only)
; SGPRBlocks: 0
; VGPRBlocks: 0
; NumSGPRsForWavesPerEU: 4
; NumVGPRsForWavesPerEU: 1
; AccumOffset: 4
; Occupancy: 8
; WaveLimiterHint : 0
; COMPUTE_PGM_RSRC2:SCRATCH_EN: 0
; COMPUTE_PGM_RSRC2:USER_SGPR: 6
; COMPUTE_PGM_RSRC2:TRAP_HANDLER: 0
; COMPUTE_PGM_RSRC2:TGID_X_EN: 1
; COMPUTE_PGM_RSRC2:TGID_Y_EN: 0
; COMPUTE_PGM_RSRC2:TGID_Z_EN: 0
; COMPUTE_PGM_RSRC2:TIDIG_COMP_CNT: 0
; COMPUTE_PGM_RSRC3_GFX90A:ACCUM_OFFSET: 0
; COMPUTE_PGM_RSRC3_GFX90A:TG_SPLIT: 0
	.section	.text._ZN7rocprim17ROCPRIM_400000_NS6detail17trampoline_kernelINS0_14default_configENS1_25partition_config_selectorILNS1_17partition_subalgoE3EN6thrust23THRUST_200600_302600_NS5tupleIiiNS7_9null_typeES9_S9_S9_S9_S9_S9_S9_EENS0_10empty_typeEbEEZZNS1_14partition_implILS5_3ELb0ES3_jNS7_6detail15normal_iteratorINS7_7pointerISA_NS7_11hip_rocprim3tagENS7_11use_defaultESJ_EEEEPSB_SM_NS0_5tupleIJPSA_SM_EEENSN_IJSM_SM_EEESB_PlJ10is_orderedEEE10hipError_tPvRmT3_T4_T5_T6_T7_T9_mT8_P12ihipStream_tbDpT10_ENKUlT_T0_E_clISt17integral_constantIbLb0EES1B_IbLb1EEEEDaS17_S18_EUlS17_E_NS1_11comp_targetILNS1_3genE8ELNS1_11target_archE1030ELNS1_3gpuE2ELNS1_3repE0EEENS1_30default_config_static_selectorELNS0_4arch9wavefront6targetE1EEEvT1_,"axG",@progbits,_ZN7rocprim17ROCPRIM_400000_NS6detail17trampoline_kernelINS0_14default_configENS1_25partition_config_selectorILNS1_17partition_subalgoE3EN6thrust23THRUST_200600_302600_NS5tupleIiiNS7_9null_typeES9_S9_S9_S9_S9_S9_S9_EENS0_10empty_typeEbEEZZNS1_14partition_implILS5_3ELb0ES3_jNS7_6detail15normal_iteratorINS7_7pointerISA_NS7_11hip_rocprim3tagENS7_11use_defaultESJ_EEEEPSB_SM_NS0_5tupleIJPSA_SM_EEENSN_IJSM_SM_EEESB_PlJ10is_orderedEEE10hipError_tPvRmT3_T4_T5_T6_T7_T9_mT8_P12ihipStream_tbDpT10_ENKUlT_T0_E_clISt17integral_constantIbLb0EES1B_IbLb1EEEEDaS17_S18_EUlS17_E_NS1_11comp_targetILNS1_3genE8ELNS1_11target_archE1030ELNS1_3gpuE2ELNS1_3repE0EEENS1_30default_config_static_selectorELNS0_4arch9wavefront6targetE1EEEvT1_,comdat
	.protected	_ZN7rocprim17ROCPRIM_400000_NS6detail17trampoline_kernelINS0_14default_configENS1_25partition_config_selectorILNS1_17partition_subalgoE3EN6thrust23THRUST_200600_302600_NS5tupleIiiNS7_9null_typeES9_S9_S9_S9_S9_S9_S9_EENS0_10empty_typeEbEEZZNS1_14partition_implILS5_3ELb0ES3_jNS7_6detail15normal_iteratorINS7_7pointerISA_NS7_11hip_rocprim3tagENS7_11use_defaultESJ_EEEEPSB_SM_NS0_5tupleIJPSA_SM_EEENSN_IJSM_SM_EEESB_PlJ10is_orderedEEE10hipError_tPvRmT3_T4_T5_T6_T7_T9_mT8_P12ihipStream_tbDpT10_ENKUlT_T0_E_clISt17integral_constantIbLb0EES1B_IbLb1EEEEDaS17_S18_EUlS17_E_NS1_11comp_targetILNS1_3genE8ELNS1_11target_archE1030ELNS1_3gpuE2ELNS1_3repE0EEENS1_30default_config_static_selectorELNS0_4arch9wavefront6targetE1EEEvT1_ ; -- Begin function _ZN7rocprim17ROCPRIM_400000_NS6detail17trampoline_kernelINS0_14default_configENS1_25partition_config_selectorILNS1_17partition_subalgoE3EN6thrust23THRUST_200600_302600_NS5tupleIiiNS7_9null_typeES9_S9_S9_S9_S9_S9_S9_EENS0_10empty_typeEbEEZZNS1_14partition_implILS5_3ELb0ES3_jNS7_6detail15normal_iteratorINS7_7pointerISA_NS7_11hip_rocprim3tagENS7_11use_defaultESJ_EEEEPSB_SM_NS0_5tupleIJPSA_SM_EEENSN_IJSM_SM_EEESB_PlJ10is_orderedEEE10hipError_tPvRmT3_T4_T5_T6_T7_T9_mT8_P12ihipStream_tbDpT10_ENKUlT_T0_E_clISt17integral_constantIbLb0EES1B_IbLb1EEEEDaS17_S18_EUlS17_E_NS1_11comp_targetILNS1_3genE8ELNS1_11target_archE1030ELNS1_3gpuE2ELNS1_3repE0EEENS1_30default_config_static_selectorELNS0_4arch9wavefront6targetE1EEEvT1_
	.globl	_ZN7rocprim17ROCPRIM_400000_NS6detail17trampoline_kernelINS0_14default_configENS1_25partition_config_selectorILNS1_17partition_subalgoE3EN6thrust23THRUST_200600_302600_NS5tupleIiiNS7_9null_typeES9_S9_S9_S9_S9_S9_S9_EENS0_10empty_typeEbEEZZNS1_14partition_implILS5_3ELb0ES3_jNS7_6detail15normal_iteratorINS7_7pointerISA_NS7_11hip_rocprim3tagENS7_11use_defaultESJ_EEEEPSB_SM_NS0_5tupleIJPSA_SM_EEENSN_IJSM_SM_EEESB_PlJ10is_orderedEEE10hipError_tPvRmT3_T4_T5_T6_T7_T9_mT8_P12ihipStream_tbDpT10_ENKUlT_T0_E_clISt17integral_constantIbLb0EES1B_IbLb1EEEEDaS17_S18_EUlS17_E_NS1_11comp_targetILNS1_3genE8ELNS1_11target_archE1030ELNS1_3gpuE2ELNS1_3repE0EEENS1_30default_config_static_selectorELNS0_4arch9wavefront6targetE1EEEvT1_
	.p2align	8
	.type	_ZN7rocprim17ROCPRIM_400000_NS6detail17trampoline_kernelINS0_14default_configENS1_25partition_config_selectorILNS1_17partition_subalgoE3EN6thrust23THRUST_200600_302600_NS5tupleIiiNS7_9null_typeES9_S9_S9_S9_S9_S9_S9_EENS0_10empty_typeEbEEZZNS1_14partition_implILS5_3ELb0ES3_jNS7_6detail15normal_iteratorINS7_7pointerISA_NS7_11hip_rocprim3tagENS7_11use_defaultESJ_EEEEPSB_SM_NS0_5tupleIJPSA_SM_EEENSN_IJSM_SM_EEESB_PlJ10is_orderedEEE10hipError_tPvRmT3_T4_T5_T6_T7_T9_mT8_P12ihipStream_tbDpT10_ENKUlT_T0_E_clISt17integral_constantIbLb0EES1B_IbLb1EEEEDaS17_S18_EUlS17_E_NS1_11comp_targetILNS1_3genE8ELNS1_11target_archE1030ELNS1_3gpuE2ELNS1_3repE0EEENS1_30default_config_static_selectorELNS0_4arch9wavefront6targetE1EEEvT1_,@function
_ZN7rocprim17ROCPRIM_400000_NS6detail17trampoline_kernelINS0_14default_configENS1_25partition_config_selectorILNS1_17partition_subalgoE3EN6thrust23THRUST_200600_302600_NS5tupleIiiNS7_9null_typeES9_S9_S9_S9_S9_S9_S9_EENS0_10empty_typeEbEEZZNS1_14partition_implILS5_3ELb0ES3_jNS7_6detail15normal_iteratorINS7_7pointerISA_NS7_11hip_rocprim3tagENS7_11use_defaultESJ_EEEEPSB_SM_NS0_5tupleIJPSA_SM_EEENSN_IJSM_SM_EEESB_PlJ10is_orderedEEE10hipError_tPvRmT3_T4_T5_T6_T7_T9_mT8_P12ihipStream_tbDpT10_ENKUlT_T0_E_clISt17integral_constantIbLb0EES1B_IbLb1EEEEDaS17_S18_EUlS17_E_NS1_11comp_targetILNS1_3genE8ELNS1_11target_archE1030ELNS1_3gpuE2ELNS1_3repE0EEENS1_30default_config_static_selectorELNS0_4arch9wavefront6targetE1EEEvT1_: ; @_ZN7rocprim17ROCPRIM_400000_NS6detail17trampoline_kernelINS0_14default_configENS1_25partition_config_selectorILNS1_17partition_subalgoE3EN6thrust23THRUST_200600_302600_NS5tupleIiiNS7_9null_typeES9_S9_S9_S9_S9_S9_S9_EENS0_10empty_typeEbEEZZNS1_14partition_implILS5_3ELb0ES3_jNS7_6detail15normal_iteratorINS7_7pointerISA_NS7_11hip_rocprim3tagENS7_11use_defaultESJ_EEEEPSB_SM_NS0_5tupleIJPSA_SM_EEENSN_IJSM_SM_EEESB_PlJ10is_orderedEEE10hipError_tPvRmT3_T4_T5_T6_T7_T9_mT8_P12ihipStream_tbDpT10_ENKUlT_T0_E_clISt17integral_constantIbLb0EES1B_IbLb1EEEEDaS17_S18_EUlS17_E_NS1_11comp_targetILNS1_3genE8ELNS1_11target_archE1030ELNS1_3gpuE2ELNS1_3repE0EEENS1_30default_config_static_selectorELNS0_4arch9wavefront6targetE1EEEvT1_
; %bb.0:
	.section	.rodata,"a",@progbits
	.p2align	6, 0x0
	.amdhsa_kernel _ZN7rocprim17ROCPRIM_400000_NS6detail17trampoline_kernelINS0_14default_configENS1_25partition_config_selectorILNS1_17partition_subalgoE3EN6thrust23THRUST_200600_302600_NS5tupleIiiNS7_9null_typeES9_S9_S9_S9_S9_S9_S9_EENS0_10empty_typeEbEEZZNS1_14partition_implILS5_3ELb0ES3_jNS7_6detail15normal_iteratorINS7_7pointerISA_NS7_11hip_rocprim3tagENS7_11use_defaultESJ_EEEEPSB_SM_NS0_5tupleIJPSA_SM_EEENSN_IJSM_SM_EEESB_PlJ10is_orderedEEE10hipError_tPvRmT3_T4_T5_T6_T7_T9_mT8_P12ihipStream_tbDpT10_ENKUlT_T0_E_clISt17integral_constantIbLb0EES1B_IbLb1EEEEDaS17_S18_EUlS17_E_NS1_11comp_targetILNS1_3genE8ELNS1_11target_archE1030ELNS1_3gpuE2ELNS1_3repE0EEENS1_30default_config_static_selectorELNS0_4arch9wavefront6targetE1EEEvT1_
		.amdhsa_group_segment_fixed_size 0
		.amdhsa_private_segment_fixed_size 0
		.amdhsa_kernarg_size 136
		.amdhsa_user_sgpr_count 6
		.amdhsa_user_sgpr_private_segment_buffer 1
		.amdhsa_user_sgpr_dispatch_ptr 0
		.amdhsa_user_sgpr_queue_ptr 0
		.amdhsa_user_sgpr_kernarg_segment_ptr 1
		.amdhsa_user_sgpr_dispatch_id 0
		.amdhsa_user_sgpr_flat_scratch_init 0
		.amdhsa_user_sgpr_kernarg_preload_length 0
		.amdhsa_user_sgpr_kernarg_preload_offset 0
		.amdhsa_user_sgpr_private_segment_size 0
		.amdhsa_uses_dynamic_stack 0
		.amdhsa_system_sgpr_private_segment_wavefront_offset 0
		.amdhsa_system_sgpr_workgroup_id_x 1
		.amdhsa_system_sgpr_workgroup_id_y 0
		.amdhsa_system_sgpr_workgroup_id_z 0
		.amdhsa_system_sgpr_workgroup_info 0
		.amdhsa_system_vgpr_workitem_id 0
		.amdhsa_next_free_vgpr 1
		.amdhsa_next_free_sgpr 0
		.amdhsa_accum_offset 4
		.amdhsa_reserve_vcc 0
		.amdhsa_reserve_flat_scratch 0
		.amdhsa_float_round_mode_32 0
		.amdhsa_float_round_mode_16_64 0
		.amdhsa_float_denorm_mode_32 3
		.amdhsa_float_denorm_mode_16_64 3
		.amdhsa_dx10_clamp 1
		.amdhsa_ieee_mode 1
		.amdhsa_fp16_overflow 0
		.amdhsa_tg_split 0
		.amdhsa_exception_fp_ieee_invalid_op 0
		.amdhsa_exception_fp_denorm_src 0
		.amdhsa_exception_fp_ieee_div_zero 0
		.amdhsa_exception_fp_ieee_overflow 0
		.amdhsa_exception_fp_ieee_underflow 0
		.amdhsa_exception_fp_ieee_inexact 0
		.amdhsa_exception_int_div_zero 0
	.end_amdhsa_kernel
	.section	.text._ZN7rocprim17ROCPRIM_400000_NS6detail17trampoline_kernelINS0_14default_configENS1_25partition_config_selectorILNS1_17partition_subalgoE3EN6thrust23THRUST_200600_302600_NS5tupleIiiNS7_9null_typeES9_S9_S9_S9_S9_S9_S9_EENS0_10empty_typeEbEEZZNS1_14partition_implILS5_3ELb0ES3_jNS7_6detail15normal_iteratorINS7_7pointerISA_NS7_11hip_rocprim3tagENS7_11use_defaultESJ_EEEEPSB_SM_NS0_5tupleIJPSA_SM_EEENSN_IJSM_SM_EEESB_PlJ10is_orderedEEE10hipError_tPvRmT3_T4_T5_T6_T7_T9_mT8_P12ihipStream_tbDpT10_ENKUlT_T0_E_clISt17integral_constantIbLb0EES1B_IbLb1EEEEDaS17_S18_EUlS17_E_NS1_11comp_targetILNS1_3genE8ELNS1_11target_archE1030ELNS1_3gpuE2ELNS1_3repE0EEENS1_30default_config_static_selectorELNS0_4arch9wavefront6targetE1EEEvT1_,"axG",@progbits,_ZN7rocprim17ROCPRIM_400000_NS6detail17trampoline_kernelINS0_14default_configENS1_25partition_config_selectorILNS1_17partition_subalgoE3EN6thrust23THRUST_200600_302600_NS5tupleIiiNS7_9null_typeES9_S9_S9_S9_S9_S9_S9_EENS0_10empty_typeEbEEZZNS1_14partition_implILS5_3ELb0ES3_jNS7_6detail15normal_iteratorINS7_7pointerISA_NS7_11hip_rocprim3tagENS7_11use_defaultESJ_EEEEPSB_SM_NS0_5tupleIJPSA_SM_EEENSN_IJSM_SM_EEESB_PlJ10is_orderedEEE10hipError_tPvRmT3_T4_T5_T6_T7_T9_mT8_P12ihipStream_tbDpT10_ENKUlT_T0_E_clISt17integral_constantIbLb0EES1B_IbLb1EEEEDaS17_S18_EUlS17_E_NS1_11comp_targetILNS1_3genE8ELNS1_11target_archE1030ELNS1_3gpuE2ELNS1_3repE0EEENS1_30default_config_static_selectorELNS0_4arch9wavefront6targetE1EEEvT1_,comdat
.Lfunc_end3523:
	.size	_ZN7rocprim17ROCPRIM_400000_NS6detail17trampoline_kernelINS0_14default_configENS1_25partition_config_selectorILNS1_17partition_subalgoE3EN6thrust23THRUST_200600_302600_NS5tupleIiiNS7_9null_typeES9_S9_S9_S9_S9_S9_S9_EENS0_10empty_typeEbEEZZNS1_14partition_implILS5_3ELb0ES3_jNS7_6detail15normal_iteratorINS7_7pointerISA_NS7_11hip_rocprim3tagENS7_11use_defaultESJ_EEEEPSB_SM_NS0_5tupleIJPSA_SM_EEENSN_IJSM_SM_EEESB_PlJ10is_orderedEEE10hipError_tPvRmT3_T4_T5_T6_T7_T9_mT8_P12ihipStream_tbDpT10_ENKUlT_T0_E_clISt17integral_constantIbLb0EES1B_IbLb1EEEEDaS17_S18_EUlS17_E_NS1_11comp_targetILNS1_3genE8ELNS1_11target_archE1030ELNS1_3gpuE2ELNS1_3repE0EEENS1_30default_config_static_selectorELNS0_4arch9wavefront6targetE1EEEvT1_, .Lfunc_end3523-_ZN7rocprim17ROCPRIM_400000_NS6detail17trampoline_kernelINS0_14default_configENS1_25partition_config_selectorILNS1_17partition_subalgoE3EN6thrust23THRUST_200600_302600_NS5tupleIiiNS7_9null_typeES9_S9_S9_S9_S9_S9_S9_EENS0_10empty_typeEbEEZZNS1_14partition_implILS5_3ELb0ES3_jNS7_6detail15normal_iteratorINS7_7pointerISA_NS7_11hip_rocprim3tagENS7_11use_defaultESJ_EEEEPSB_SM_NS0_5tupleIJPSA_SM_EEENSN_IJSM_SM_EEESB_PlJ10is_orderedEEE10hipError_tPvRmT3_T4_T5_T6_T7_T9_mT8_P12ihipStream_tbDpT10_ENKUlT_T0_E_clISt17integral_constantIbLb0EES1B_IbLb1EEEEDaS17_S18_EUlS17_E_NS1_11comp_targetILNS1_3genE8ELNS1_11target_archE1030ELNS1_3gpuE2ELNS1_3repE0EEENS1_30default_config_static_selectorELNS0_4arch9wavefront6targetE1EEEvT1_
                                        ; -- End function
	.section	.AMDGPU.csdata,"",@progbits
; Kernel info:
; codeLenInByte = 0
; NumSgprs: 4
; NumVgprs: 0
; NumAgprs: 0
; TotalNumVgprs: 0
; ScratchSize: 0
; MemoryBound: 0
; FloatMode: 240
; IeeeMode: 1
; LDSByteSize: 0 bytes/workgroup (compile time only)
; SGPRBlocks: 0
; VGPRBlocks: 0
; NumSGPRsForWavesPerEU: 4
; NumVGPRsForWavesPerEU: 1
; AccumOffset: 4
; Occupancy: 8
; WaveLimiterHint : 0
; COMPUTE_PGM_RSRC2:SCRATCH_EN: 0
; COMPUTE_PGM_RSRC2:USER_SGPR: 6
; COMPUTE_PGM_RSRC2:TRAP_HANDLER: 0
; COMPUTE_PGM_RSRC2:TGID_X_EN: 1
; COMPUTE_PGM_RSRC2:TGID_Y_EN: 0
; COMPUTE_PGM_RSRC2:TGID_Z_EN: 0
; COMPUTE_PGM_RSRC2:TIDIG_COMP_CNT: 0
; COMPUTE_PGM_RSRC3_GFX90A:ACCUM_OFFSET: 0
; COMPUTE_PGM_RSRC3_GFX90A:TG_SPLIT: 0
	.section	.text._ZN6thrust23THRUST_200600_302600_NS11hip_rocprim14__parallel_for6kernelILj256ENS1_11__transform17unary_transform_fIPNS0_5tupleIiiNS0_9null_typeES7_S7_S7_S7_S7_S7_S7_EENS0_12zip_iteratorINS6_INS0_6detail15normal_iteratorINS0_10device_ptrIiEEEESF_S7_S7_S7_S7_S7_S7_S7_S7_EEEENS4_14no_stencil_tagENS0_8identityIS8_EENS4_21always_true_predicateEEElLj1EEEvT0_T1_SO_,"axG",@progbits,_ZN6thrust23THRUST_200600_302600_NS11hip_rocprim14__parallel_for6kernelILj256ENS1_11__transform17unary_transform_fIPNS0_5tupleIiiNS0_9null_typeES7_S7_S7_S7_S7_S7_S7_EENS0_12zip_iteratorINS6_INS0_6detail15normal_iteratorINS0_10device_ptrIiEEEESF_S7_S7_S7_S7_S7_S7_S7_S7_EEEENS4_14no_stencil_tagENS0_8identityIS8_EENS4_21always_true_predicateEEElLj1EEEvT0_T1_SO_,comdat
	.protected	_ZN6thrust23THRUST_200600_302600_NS11hip_rocprim14__parallel_for6kernelILj256ENS1_11__transform17unary_transform_fIPNS0_5tupleIiiNS0_9null_typeES7_S7_S7_S7_S7_S7_S7_EENS0_12zip_iteratorINS6_INS0_6detail15normal_iteratorINS0_10device_ptrIiEEEESF_S7_S7_S7_S7_S7_S7_S7_S7_EEEENS4_14no_stencil_tagENS0_8identityIS8_EENS4_21always_true_predicateEEElLj1EEEvT0_T1_SO_ ; -- Begin function _ZN6thrust23THRUST_200600_302600_NS11hip_rocprim14__parallel_for6kernelILj256ENS1_11__transform17unary_transform_fIPNS0_5tupleIiiNS0_9null_typeES7_S7_S7_S7_S7_S7_S7_EENS0_12zip_iteratorINS6_INS0_6detail15normal_iteratorINS0_10device_ptrIiEEEESF_S7_S7_S7_S7_S7_S7_S7_S7_EEEENS4_14no_stencil_tagENS0_8identityIS8_EENS4_21always_true_predicateEEElLj1EEEvT0_T1_SO_
	.globl	_ZN6thrust23THRUST_200600_302600_NS11hip_rocprim14__parallel_for6kernelILj256ENS1_11__transform17unary_transform_fIPNS0_5tupleIiiNS0_9null_typeES7_S7_S7_S7_S7_S7_S7_EENS0_12zip_iteratorINS6_INS0_6detail15normal_iteratorINS0_10device_ptrIiEEEESF_S7_S7_S7_S7_S7_S7_S7_S7_EEEENS4_14no_stencil_tagENS0_8identityIS8_EENS4_21always_true_predicateEEElLj1EEEvT0_T1_SO_
	.p2align	8
	.type	_ZN6thrust23THRUST_200600_302600_NS11hip_rocprim14__parallel_for6kernelILj256ENS1_11__transform17unary_transform_fIPNS0_5tupleIiiNS0_9null_typeES7_S7_S7_S7_S7_S7_S7_EENS0_12zip_iteratorINS6_INS0_6detail15normal_iteratorINS0_10device_ptrIiEEEESF_S7_S7_S7_S7_S7_S7_S7_S7_EEEENS4_14no_stencil_tagENS0_8identityIS8_EENS4_21always_true_predicateEEElLj1EEEvT0_T1_SO_,@function
_ZN6thrust23THRUST_200600_302600_NS11hip_rocprim14__parallel_for6kernelILj256ENS1_11__transform17unary_transform_fIPNS0_5tupleIiiNS0_9null_typeES7_S7_S7_S7_S7_S7_S7_EENS0_12zip_iteratorINS6_INS0_6detail15normal_iteratorINS0_10device_ptrIiEEEESF_S7_S7_S7_S7_S7_S7_S7_S7_EEEENS4_14no_stencil_tagENS0_8identityIS8_EENS4_21always_true_predicateEEElLj1EEEvT0_T1_SO_: ; @_ZN6thrust23THRUST_200600_302600_NS11hip_rocprim14__parallel_for6kernelILj256ENS1_11__transform17unary_transform_fIPNS0_5tupleIiiNS0_9null_typeES7_S7_S7_S7_S7_S7_S7_EENS0_12zip_iteratorINS6_INS0_6detail15normal_iteratorINS0_10device_ptrIiEEEESF_S7_S7_S7_S7_S7_S7_S7_S7_EEEENS4_14no_stencil_tagENS0_8identityIS8_EENS4_21always_true_predicateEEElLj1EEEvT0_T1_SO_
; %bb.0:
	s_load_dwordx4 s[8:11], s[4:5], 0x20
	s_lshl_b32 s0, s6, 8
	v_mov_b32_e32 v2, 0x100
	v_mov_b32_e32 v3, 0
	s_waitcnt lgkmcnt(0)
	s_add_u32 s0, s0, s10
	s_addc_u32 s1, 0, s11
	s_sub_u32 s2, s8, s0
	s_subb_u32 s3, s9, s1
	v_cmp_lt_i64_e32 vcc, s[2:3], v[2:3]
	s_and_b64 s[6:7], vcc, exec
	s_cselect_b32 s6, s2, 0x100
	s_cmpk_eq_i32 s6, 0x100
	s_cselect_b64 s[2:3], -1, 0
	v_cmp_gt_u32_e32 vcc, s6, v0
	s_or_b64 s[2:3], s[2:3], vcc
	s_and_saveexec_b64 s[6:7], s[2:3]
	s_cbranch_execz .LBB3524_2
; %bb.1:
	s_load_dwordx4 s[8:11], s[4:5], 0x0
	s_load_dwordx2 s[2:3], s[4:5], 0x10
	v_mov_b32_e32 v1, s1
	v_add_co_u32_e32 v0, vcc, s0, v0
	v_addc_co_u32_e32 v1, vcc, 0, v1, vcc
	v_lshlrev_b64 v[2:3], 3, v[0:1]
	s_waitcnt lgkmcnt(0)
	v_mov_b32_e32 v4, s9
	v_add_co_u32_e32 v2, vcc, s8, v2
	v_addc_co_u32_e32 v3, vcc, v4, v3, vcc
	global_load_dword v6, v[2:3], off
	v_lshlrev_b64 v[0:1], 2, v[0:1]
	v_mov_b32_e32 v5, s11
	v_add_co_u32_e32 v4, vcc, s10, v0
	v_addc_co_u32_e32 v5, vcc, v5, v1, vcc
	v_add_co_u32_e32 v0, vcc, s2, v0
	s_waitcnt vmcnt(0)
	global_store_dword v[4:5], v6, off
	global_load_dword v2, v[2:3], off offset:4
	v_mov_b32_e32 v3, s3
	v_addc_co_u32_e32 v1, vcc, v3, v1, vcc
	s_waitcnt vmcnt(0)
	global_store_dword v[0:1], v2, off
.LBB3524_2:
	s_endpgm
	.section	.rodata,"a",@progbits
	.p2align	6, 0x0
	.amdhsa_kernel _ZN6thrust23THRUST_200600_302600_NS11hip_rocprim14__parallel_for6kernelILj256ENS1_11__transform17unary_transform_fIPNS0_5tupleIiiNS0_9null_typeES7_S7_S7_S7_S7_S7_S7_EENS0_12zip_iteratorINS6_INS0_6detail15normal_iteratorINS0_10device_ptrIiEEEESF_S7_S7_S7_S7_S7_S7_S7_S7_EEEENS4_14no_stencil_tagENS0_8identityIS8_EENS4_21always_true_predicateEEElLj1EEEvT0_T1_SO_
		.amdhsa_group_segment_fixed_size 0
		.amdhsa_private_segment_fixed_size 0
		.amdhsa_kernarg_size 48
		.amdhsa_user_sgpr_count 6
		.amdhsa_user_sgpr_private_segment_buffer 1
		.amdhsa_user_sgpr_dispatch_ptr 0
		.amdhsa_user_sgpr_queue_ptr 0
		.amdhsa_user_sgpr_kernarg_segment_ptr 1
		.amdhsa_user_sgpr_dispatch_id 0
		.amdhsa_user_sgpr_flat_scratch_init 0
		.amdhsa_user_sgpr_kernarg_preload_length 0
		.amdhsa_user_sgpr_kernarg_preload_offset 0
		.amdhsa_user_sgpr_private_segment_size 0
		.amdhsa_uses_dynamic_stack 0
		.amdhsa_system_sgpr_private_segment_wavefront_offset 0
		.amdhsa_system_sgpr_workgroup_id_x 1
		.amdhsa_system_sgpr_workgroup_id_y 0
		.amdhsa_system_sgpr_workgroup_id_z 0
		.amdhsa_system_sgpr_workgroup_info 0
		.amdhsa_system_vgpr_workitem_id 0
		.amdhsa_next_free_vgpr 7
		.amdhsa_next_free_sgpr 12
		.amdhsa_accum_offset 8
		.amdhsa_reserve_vcc 1
		.amdhsa_reserve_flat_scratch 0
		.amdhsa_float_round_mode_32 0
		.amdhsa_float_round_mode_16_64 0
		.amdhsa_float_denorm_mode_32 3
		.amdhsa_float_denorm_mode_16_64 3
		.amdhsa_dx10_clamp 1
		.amdhsa_ieee_mode 1
		.amdhsa_fp16_overflow 0
		.amdhsa_tg_split 0
		.amdhsa_exception_fp_ieee_invalid_op 0
		.amdhsa_exception_fp_denorm_src 0
		.amdhsa_exception_fp_ieee_div_zero 0
		.amdhsa_exception_fp_ieee_overflow 0
		.amdhsa_exception_fp_ieee_underflow 0
		.amdhsa_exception_fp_ieee_inexact 0
		.amdhsa_exception_int_div_zero 0
	.end_amdhsa_kernel
	.section	.text._ZN6thrust23THRUST_200600_302600_NS11hip_rocprim14__parallel_for6kernelILj256ENS1_11__transform17unary_transform_fIPNS0_5tupleIiiNS0_9null_typeES7_S7_S7_S7_S7_S7_S7_EENS0_12zip_iteratorINS6_INS0_6detail15normal_iteratorINS0_10device_ptrIiEEEESF_S7_S7_S7_S7_S7_S7_S7_S7_EEEENS4_14no_stencil_tagENS0_8identityIS8_EENS4_21always_true_predicateEEElLj1EEEvT0_T1_SO_,"axG",@progbits,_ZN6thrust23THRUST_200600_302600_NS11hip_rocprim14__parallel_for6kernelILj256ENS1_11__transform17unary_transform_fIPNS0_5tupleIiiNS0_9null_typeES7_S7_S7_S7_S7_S7_S7_EENS0_12zip_iteratorINS6_INS0_6detail15normal_iteratorINS0_10device_ptrIiEEEESF_S7_S7_S7_S7_S7_S7_S7_S7_EEEENS4_14no_stencil_tagENS0_8identityIS8_EENS4_21always_true_predicateEEElLj1EEEvT0_T1_SO_,comdat
.Lfunc_end3524:
	.size	_ZN6thrust23THRUST_200600_302600_NS11hip_rocprim14__parallel_for6kernelILj256ENS1_11__transform17unary_transform_fIPNS0_5tupleIiiNS0_9null_typeES7_S7_S7_S7_S7_S7_S7_EENS0_12zip_iteratorINS6_INS0_6detail15normal_iteratorINS0_10device_ptrIiEEEESF_S7_S7_S7_S7_S7_S7_S7_S7_EEEENS4_14no_stencil_tagENS0_8identityIS8_EENS4_21always_true_predicateEEElLj1EEEvT0_T1_SO_, .Lfunc_end3524-_ZN6thrust23THRUST_200600_302600_NS11hip_rocprim14__parallel_for6kernelILj256ENS1_11__transform17unary_transform_fIPNS0_5tupleIiiNS0_9null_typeES7_S7_S7_S7_S7_S7_S7_EENS0_12zip_iteratorINS6_INS0_6detail15normal_iteratorINS0_10device_ptrIiEEEESF_S7_S7_S7_S7_S7_S7_S7_S7_EEEENS4_14no_stencil_tagENS0_8identityIS8_EENS4_21always_true_predicateEEElLj1EEEvT0_T1_SO_
                                        ; -- End function
	.section	.AMDGPU.csdata,"",@progbits
; Kernel info:
; codeLenInByte = 212
; NumSgprs: 16
; NumVgprs: 7
; NumAgprs: 0
; TotalNumVgprs: 7
; ScratchSize: 0
; MemoryBound: 0
; FloatMode: 240
; IeeeMode: 1
; LDSByteSize: 0 bytes/workgroup (compile time only)
; SGPRBlocks: 1
; VGPRBlocks: 0
; NumSGPRsForWavesPerEU: 16
; NumVGPRsForWavesPerEU: 7
; AccumOffset: 8
; Occupancy: 8
; WaveLimiterHint : 0
; COMPUTE_PGM_RSRC2:SCRATCH_EN: 0
; COMPUTE_PGM_RSRC2:USER_SGPR: 6
; COMPUTE_PGM_RSRC2:TRAP_HANDLER: 0
; COMPUTE_PGM_RSRC2:TGID_X_EN: 1
; COMPUTE_PGM_RSRC2:TGID_Y_EN: 0
; COMPUTE_PGM_RSRC2:TGID_Z_EN: 0
; COMPUTE_PGM_RSRC2:TIDIG_COMP_CNT: 0
; COMPUTE_PGM_RSRC3_GFX90A:ACCUM_OFFSET: 1
; COMPUTE_PGM_RSRC3_GFX90A:TG_SPLIT: 0
	.section	.text._ZN6thrust23THRUST_200600_302600_NS11hip_rocprim14__parallel_for6kernelILj256ENS1_10for_each_fINS0_7pointerINS0_5tupleIssNS0_9null_typeES7_S7_S7_S7_S7_S7_S7_EENS1_3tagENS0_11use_defaultESA_EENS0_6detail16wrapped_functionINSC_23allocator_traits_detail24construct1_via_allocatorINSC_18no_throw_allocatorINSC_19temporary_allocatorIS8_S9_EEEEEEvEEEEmLj1EEEvT0_T1_SO_,"axG",@progbits,_ZN6thrust23THRUST_200600_302600_NS11hip_rocprim14__parallel_for6kernelILj256ENS1_10for_each_fINS0_7pointerINS0_5tupleIssNS0_9null_typeES7_S7_S7_S7_S7_S7_S7_EENS1_3tagENS0_11use_defaultESA_EENS0_6detail16wrapped_functionINSC_23allocator_traits_detail24construct1_via_allocatorINSC_18no_throw_allocatorINSC_19temporary_allocatorIS8_S9_EEEEEEvEEEEmLj1EEEvT0_T1_SO_,comdat
	.protected	_ZN6thrust23THRUST_200600_302600_NS11hip_rocprim14__parallel_for6kernelILj256ENS1_10for_each_fINS0_7pointerINS0_5tupleIssNS0_9null_typeES7_S7_S7_S7_S7_S7_S7_EENS1_3tagENS0_11use_defaultESA_EENS0_6detail16wrapped_functionINSC_23allocator_traits_detail24construct1_via_allocatorINSC_18no_throw_allocatorINSC_19temporary_allocatorIS8_S9_EEEEEEvEEEEmLj1EEEvT0_T1_SO_ ; -- Begin function _ZN6thrust23THRUST_200600_302600_NS11hip_rocprim14__parallel_for6kernelILj256ENS1_10for_each_fINS0_7pointerINS0_5tupleIssNS0_9null_typeES7_S7_S7_S7_S7_S7_S7_EENS1_3tagENS0_11use_defaultESA_EENS0_6detail16wrapped_functionINSC_23allocator_traits_detail24construct1_via_allocatorINSC_18no_throw_allocatorINSC_19temporary_allocatorIS8_S9_EEEEEEvEEEEmLj1EEEvT0_T1_SO_
	.globl	_ZN6thrust23THRUST_200600_302600_NS11hip_rocprim14__parallel_for6kernelILj256ENS1_10for_each_fINS0_7pointerINS0_5tupleIssNS0_9null_typeES7_S7_S7_S7_S7_S7_S7_EENS1_3tagENS0_11use_defaultESA_EENS0_6detail16wrapped_functionINSC_23allocator_traits_detail24construct1_via_allocatorINSC_18no_throw_allocatorINSC_19temporary_allocatorIS8_S9_EEEEEEvEEEEmLj1EEEvT0_T1_SO_
	.p2align	8
	.type	_ZN6thrust23THRUST_200600_302600_NS11hip_rocprim14__parallel_for6kernelILj256ENS1_10for_each_fINS0_7pointerINS0_5tupleIssNS0_9null_typeES7_S7_S7_S7_S7_S7_S7_EENS1_3tagENS0_11use_defaultESA_EENS0_6detail16wrapped_functionINSC_23allocator_traits_detail24construct1_via_allocatorINSC_18no_throw_allocatorINSC_19temporary_allocatorIS8_S9_EEEEEEvEEEEmLj1EEEvT0_T1_SO_,@function
_ZN6thrust23THRUST_200600_302600_NS11hip_rocprim14__parallel_for6kernelILj256ENS1_10for_each_fINS0_7pointerINS0_5tupleIssNS0_9null_typeES7_S7_S7_S7_S7_S7_S7_EENS1_3tagENS0_11use_defaultESA_EENS0_6detail16wrapped_functionINSC_23allocator_traits_detail24construct1_via_allocatorINSC_18no_throw_allocatorINSC_19temporary_allocatorIS8_S9_EEEEEEvEEEEmLj1EEEvT0_T1_SO_: ; @_ZN6thrust23THRUST_200600_302600_NS11hip_rocprim14__parallel_for6kernelILj256ENS1_10for_each_fINS0_7pointerINS0_5tupleIssNS0_9null_typeES7_S7_S7_S7_S7_S7_S7_EENS1_3tagENS0_11use_defaultESA_EENS0_6detail16wrapped_functionINSC_23allocator_traits_detail24construct1_via_allocatorINSC_18no_throw_allocatorINSC_19temporary_allocatorIS8_S9_EEEEEEvEEEEmLj1EEEvT0_T1_SO_
; %bb.0:
	s_load_dwordx4 s[8:11], s[4:5], 0x10
	s_load_dwordx2 s[0:1], s[4:5], 0x0
	s_lshl_b32 s2, s6, 8
	v_mov_b32_e32 v2, 0x100
	v_mov_b32_e32 v3, 0
	s_waitcnt lgkmcnt(0)
	s_add_u32 s4, s2, s10
	s_addc_u32 s5, 0, s11
	s_sub_u32 s2, s8, s4
	s_subb_u32 s3, s9, s5
	v_cmp_lt_u64_e32 vcc, s[2:3], v[2:3]
	s_cbranch_vccz .LBB3525_4
; %bb.1:
	v_cmp_gt_u32_e32 vcc, s2, v0
	s_mov_b64 s[6:7], 0
	s_mov_b64 s[2:3], 0
                                        ; implicit-def: $vgpr2_vgpr3
	s_and_saveexec_b64 s[8:9], vcc
	s_xor_b64 s[8:9], exec, s[8:9]
; %bb.2:
	s_lshl_b64 s[10:11], s[4:5], 2
	s_add_u32 s10, s0, s10
	s_addc_u32 s11, s1, s11
	v_lshlrev_b32_e32 v1, 2, v0
	v_mov_b32_e32 v3, s11
	v_add_co_u32_e32 v2, vcc, s10, v1
	s_mov_b64 s[2:3], exec
	v_addc_co_u32_e32 v3, vcc, 0, v3, vcc
; %bb.3:
	s_or_b64 exec, exec, s[8:9]
	s_and_b64 vcc, exec, s[6:7]
	s_cbranch_vccnz .LBB3525_5
	s_branch .LBB3525_6
.LBB3525_4:
	s_mov_b64 s[2:3], 0
                                        ; implicit-def: $vgpr2_vgpr3
	s_cbranch_execz .LBB3525_6
.LBB3525_5:
	s_lshl_b64 s[4:5], s[4:5], 2
	s_add_u32 s0, s0, s4
	s_addc_u32 s1, s1, s5
	v_lshlrev_b32_e32 v0, 2, v0
	v_mov_b32_e32 v1, s1
	v_add_co_u32_e32 v2, vcc, s0, v0
	v_addc_co_u32_e32 v3, vcc, 0, v1, vcc
	s_or_b64 s[2:3], s[2:3], exec
.LBB3525_6:
	s_and_saveexec_b64 s[0:1], s[2:3]
	s_cbranch_execnz .LBB3525_8
; %bb.7:
	s_endpgm
.LBB3525_8:
	v_mov_b32_e32 v0, 0
	flat_store_dword v[2:3], v0
	s_endpgm
	.section	.rodata,"a",@progbits
	.p2align	6, 0x0
	.amdhsa_kernel _ZN6thrust23THRUST_200600_302600_NS11hip_rocprim14__parallel_for6kernelILj256ENS1_10for_each_fINS0_7pointerINS0_5tupleIssNS0_9null_typeES7_S7_S7_S7_S7_S7_S7_EENS1_3tagENS0_11use_defaultESA_EENS0_6detail16wrapped_functionINSC_23allocator_traits_detail24construct1_via_allocatorINSC_18no_throw_allocatorINSC_19temporary_allocatorIS8_S9_EEEEEEvEEEEmLj1EEEvT0_T1_SO_
		.amdhsa_group_segment_fixed_size 0
		.amdhsa_private_segment_fixed_size 0
		.amdhsa_kernarg_size 32
		.amdhsa_user_sgpr_count 6
		.amdhsa_user_sgpr_private_segment_buffer 1
		.amdhsa_user_sgpr_dispatch_ptr 0
		.amdhsa_user_sgpr_queue_ptr 0
		.amdhsa_user_sgpr_kernarg_segment_ptr 1
		.amdhsa_user_sgpr_dispatch_id 0
		.amdhsa_user_sgpr_flat_scratch_init 0
		.amdhsa_user_sgpr_kernarg_preload_length 0
		.amdhsa_user_sgpr_kernarg_preload_offset 0
		.amdhsa_user_sgpr_private_segment_size 0
		.amdhsa_uses_dynamic_stack 0
		.amdhsa_system_sgpr_private_segment_wavefront_offset 0
		.amdhsa_system_sgpr_workgroup_id_x 1
		.amdhsa_system_sgpr_workgroup_id_y 0
		.amdhsa_system_sgpr_workgroup_id_z 0
		.amdhsa_system_sgpr_workgroup_info 0
		.amdhsa_system_vgpr_workitem_id 0
		.amdhsa_next_free_vgpr 4
		.amdhsa_next_free_sgpr 12
		.amdhsa_accum_offset 4
		.amdhsa_reserve_vcc 1
		.amdhsa_reserve_flat_scratch 0
		.amdhsa_float_round_mode_32 0
		.amdhsa_float_round_mode_16_64 0
		.amdhsa_float_denorm_mode_32 3
		.amdhsa_float_denorm_mode_16_64 3
		.amdhsa_dx10_clamp 1
		.amdhsa_ieee_mode 1
		.amdhsa_fp16_overflow 0
		.amdhsa_tg_split 0
		.amdhsa_exception_fp_ieee_invalid_op 0
		.amdhsa_exception_fp_denorm_src 0
		.amdhsa_exception_fp_ieee_div_zero 0
		.amdhsa_exception_fp_ieee_overflow 0
		.amdhsa_exception_fp_ieee_underflow 0
		.amdhsa_exception_fp_ieee_inexact 0
		.amdhsa_exception_int_div_zero 0
	.end_amdhsa_kernel
	.section	.text._ZN6thrust23THRUST_200600_302600_NS11hip_rocprim14__parallel_for6kernelILj256ENS1_10for_each_fINS0_7pointerINS0_5tupleIssNS0_9null_typeES7_S7_S7_S7_S7_S7_S7_EENS1_3tagENS0_11use_defaultESA_EENS0_6detail16wrapped_functionINSC_23allocator_traits_detail24construct1_via_allocatorINSC_18no_throw_allocatorINSC_19temporary_allocatorIS8_S9_EEEEEEvEEEEmLj1EEEvT0_T1_SO_,"axG",@progbits,_ZN6thrust23THRUST_200600_302600_NS11hip_rocprim14__parallel_for6kernelILj256ENS1_10for_each_fINS0_7pointerINS0_5tupleIssNS0_9null_typeES7_S7_S7_S7_S7_S7_S7_EENS1_3tagENS0_11use_defaultESA_EENS0_6detail16wrapped_functionINSC_23allocator_traits_detail24construct1_via_allocatorINSC_18no_throw_allocatorINSC_19temporary_allocatorIS8_S9_EEEEEEvEEEEmLj1EEEvT0_T1_SO_,comdat
.Lfunc_end3525:
	.size	_ZN6thrust23THRUST_200600_302600_NS11hip_rocprim14__parallel_for6kernelILj256ENS1_10for_each_fINS0_7pointerINS0_5tupleIssNS0_9null_typeES7_S7_S7_S7_S7_S7_S7_EENS1_3tagENS0_11use_defaultESA_EENS0_6detail16wrapped_functionINSC_23allocator_traits_detail24construct1_via_allocatorINSC_18no_throw_allocatorINSC_19temporary_allocatorIS8_S9_EEEEEEvEEEEmLj1EEEvT0_T1_SO_, .Lfunc_end3525-_ZN6thrust23THRUST_200600_302600_NS11hip_rocprim14__parallel_for6kernelILj256ENS1_10for_each_fINS0_7pointerINS0_5tupleIssNS0_9null_typeES7_S7_S7_S7_S7_S7_S7_EENS1_3tagENS0_11use_defaultESA_EENS0_6detail16wrapped_functionINSC_23allocator_traits_detail24construct1_via_allocatorINSC_18no_throw_allocatorINSC_19temporary_allocatorIS8_S9_EEEEEEvEEEEmLj1EEEvT0_T1_SO_
                                        ; -- End function
	.section	.AMDGPU.csdata,"",@progbits
; Kernel info:
; codeLenInByte = 196
; NumSgprs: 16
; NumVgprs: 4
; NumAgprs: 0
; TotalNumVgprs: 4
; ScratchSize: 0
; MemoryBound: 0
; FloatMode: 240
; IeeeMode: 1
; LDSByteSize: 0 bytes/workgroup (compile time only)
; SGPRBlocks: 1
; VGPRBlocks: 0
; NumSGPRsForWavesPerEU: 16
; NumVGPRsForWavesPerEU: 4
; AccumOffset: 4
; Occupancy: 8
; WaveLimiterHint : 0
; COMPUTE_PGM_RSRC2:SCRATCH_EN: 0
; COMPUTE_PGM_RSRC2:USER_SGPR: 6
; COMPUTE_PGM_RSRC2:TRAP_HANDLER: 0
; COMPUTE_PGM_RSRC2:TGID_X_EN: 1
; COMPUTE_PGM_RSRC2:TGID_Y_EN: 0
; COMPUTE_PGM_RSRC2:TGID_Z_EN: 0
; COMPUTE_PGM_RSRC2:TIDIG_COMP_CNT: 0
; COMPUTE_PGM_RSRC3_GFX90A:ACCUM_OFFSET: 0
; COMPUTE_PGM_RSRC3_GFX90A:TG_SPLIT: 0
	.section	.text._ZN6thrust23THRUST_200600_302600_NS11hip_rocprim14__parallel_for6kernelILj256ENS1_10for_each_fINS0_7pointerINS0_5tupleIssNS0_9null_typeES7_S7_S7_S7_S7_S7_S7_EENS1_3tagENS0_11use_defaultESA_EENS0_6detail16wrapped_functionINSC_23allocator_traits_detail5gozerEvEEEElLj1EEEvT0_T1_SJ_,"axG",@progbits,_ZN6thrust23THRUST_200600_302600_NS11hip_rocprim14__parallel_for6kernelILj256ENS1_10for_each_fINS0_7pointerINS0_5tupleIssNS0_9null_typeES7_S7_S7_S7_S7_S7_S7_EENS1_3tagENS0_11use_defaultESA_EENS0_6detail16wrapped_functionINSC_23allocator_traits_detail5gozerEvEEEElLj1EEEvT0_T1_SJ_,comdat
	.protected	_ZN6thrust23THRUST_200600_302600_NS11hip_rocprim14__parallel_for6kernelILj256ENS1_10for_each_fINS0_7pointerINS0_5tupleIssNS0_9null_typeES7_S7_S7_S7_S7_S7_S7_EENS1_3tagENS0_11use_defaultESA_EENS0_6detail16wrapped_functionINSC_23allocator_traits_detail5gozerEvEEEElLj1EEEvT0_T1_SJ_ ; -- Begin function _ZN6thrust23THRUST_200600_302600_NS11hip_rocprim14__parallel_for6kernelILj256ENS1_10for_each_fINS0_7pointerINS0_5tupleIssNS0_9null_typeES7_S7_S7_S7_S7_S7_S7_EENS1_3tagENS0_11use_defaultESA_EENS0_6detail16wrapped_functionINSC_23allocator_traits_detail5gozerEvEEEElLj1EEEvT0_T1_SJ_
	.globl	_ZN6thrust23THRUST_200600_302600_NS11hip_rocprim14__parallel_for6kernelILj256ENS1_10for_each_fINS0_7pointerINS0_5tupleIssNS0_9null_typeES7_S7_S7_S7_S7_S7_S7_EENS1_3tagENS0_11use_defaultESA_EENS0_6detail16wrapped_functionINSC_23allocator_traits_detail5gozerEvEEEElLj1EEEvT0_T1_SJ_
	.p2align	8
	.type	_ZN6thrust23THRUST_200600_302600_NS11hip_rocprim14__parallel_for6kernelILj256ENS1_10for_each_fINS0_7pointerINS0_5tupleIssNS0_9null_typeES7_S7_S7_S7_S7_S7_S7_EENS1_3tagENS0_11use_defaultESA_EENS0_6detail16wrapped_functionINSC_23allocator_traits_detail5gozerEvEEEElLj1EEEvT0_T1_SJ_,@function
_ZN6thrust23THRUST_200600_302600_NS11hip_rocprim14__parallel_for6kernelILj256ENS1_10for_each_fINS0_7pointerINS0_5tupleIssNS0_9null_typeES7_S7_S7_S7_S7_S7_S7_EENS1_3tagENS0_11use_defaultESA_EENS0_6detail16wrapped_functionINSC_23allocator_traits_detail5gozerEvEEEElLj1EEEvT0_T1_SJ_: ; @_ZN6thrust23THRUST_200600_302600_NS11hip_rocprim14__parallel_for6kernelILj256ENS1_10for_each_fINS0_7pointerINS0_5tupleIssNS0_9null_typeES7_S7_S7_S7_S7_S7_S7_EENS1_3tagENS0_11use_defaultESA_EENS0_6detail16wrapped_functionINSC_23allocator_traits_detail5gozerEvEEEElLj1EEEvT0_T1_SJ_
; %bb.0:
	s_endpgm
	.section	.rodata,"a",@progbits
	.p2align	6, 0x0
	.amdhsa_kernel _ZN6thrust23THRUST_200600_302600_NS11hip_rocprim14__parallel_for6kernelILj256ENS1_10for_each_fINS0_7pointerINS0_5tupleIssNS0_9null_typeES7_S7_S7_S7_S7_S7_S7_EENS1_3tagENS0_11use_defaultESA_EENS0_6detail16wrapped_functionINSC_23allocator_traits_detail5gozerEvEEEElLj1EEEvT0_T1_SJ_
		.amdhsa_group_segment_fixed_size 0
		.amdhsa_private_segment_fixed_size 0
		.amdhsa_kernarg_size 32
		.amdhsa_user_sgpr_count 6
		.amdhsa_user_sgpr_private_segment_buffer 1
		.amdhsa_user_sgpr_dispatch_ptr 0
		.amdhsa_user_sgpr_queue_ptr 0
		.amdhsa_user_sgpr_kernarg_segment_ptr 1
		.amdhsa_user_sgpr_dispatch_id 0
		.amdhsa_user_sgpr_flat_scratch_init 0
		.amdhsa_user_sgpr_kernarg_preload_length 0
		.amdhsa_user_sgpr_kernarg_preload_offset 0
		.amdhsa_user_sgpr_private_segment_size 0
		.amdhsa_uses_dynamic_stack 0
		.amdhsa_system_sgpr_private_segment_wavefront_offset 0
		.amdhsa_system_sgpr_workgroup_id_x 1
		.amdhsa_system_sgpr_workgroup_id_y 0
		.amdhsa_system_sgpr_workgroup_id_z 0
		.amdhsa_system_sgpr_workgroup_info 0
		.amdhsa_system_vgpr_workitem_id 0
		.amdhsa_next_free_vgpr 1
		.amdhsa_next_free_sgpr 0
		.amdhsa_accum_offset 4
		.amdhsa_reserve_vcc 0
		.amdhsa_reserve_flat_scratch 0
		.amdhsa_float_round_mode_32 0
		.amdhsa_float_round_mode_16_64 0
		.amdhsa_float_denorm_mode_32 3
		.amdhsa_float_denorm_mode_16_64 3
		.amdhsa_dx10_clamp 1
		.amdhsa_ieee_mode 1
		.amdhsa_fp16_overflow 0
		.amdhsa_tg_split 0
		.amdhsa_exception_fp_ieee_invalid_op 0
		.amdhsa_exception_fp_denorm_src 0
		.amdhsa_exception_fp_ieee_div_zero 0
		.amdhsa_exception_fp_ieee_overflow 0
		.amdhsa_exception_fp_ieee_underflow 0
		.amdhsa_exception_fp_ieee_inexact 0
		.amdhsa_exception_int_div_zero 0
	.end_amdhsa_kernel
	.section	.text._ZN6thrust23THRUST_200600_302600_NS11hip_rocprim14__parallel_for6kernelILj256ENS1_10for_each_fINS0_7pointerINS0_5tupleIssNS0_9null_typeES7_S7_S7_S7_S7_S7_S7_EENS1_3tagENS0_11use_defaultESA_EENS0_6detail16wrapped_functionINSC_23allocator_traits_detail5gozerEvEEEElLj1EEEvT0_T1_SJ_,"axG",@progbits,_ZN6thrust23THRUST_200600_302600_NS11hip_rocprim14__parallel_for6kernelILj256ENS1_10for_each_fINS0_7pointerINS0_5tupleIssNS0_9null_typeES7_S7_S7_S7_S7_S7_S7_EENS1_3tagENS0_11use_defaultESA_EENS0_6detail16wrapped_functionINSC_23allocator_traits_detail5gozerEvEEEElLj1EEEvT0_T1_SJ_,comdat
.Lfunc_end3526:
	.size	_ZN6thrust23THRUST_200600_302600_NS11hip_rocprim14__parallel_for6kernelILj256ENS1_10for_each_fINS0_7pointerINS0_5tupleIssNS0_9null_typeES7_S7_S7_S7_S7_S7_S7_EENS1_3tagENS0_11use_defaultESA_EENS0_6detail16wrapped_functionINSC_23allocator_traits_detail5gozerEvEEEElLj1EEEvT0_T1_SJ_, .Lfunc_end3526-_ZN6thrust23THRUST_200600_302600_NS11hip_rocprim14__parallel_for6kernelILj256ENS1_10for_each_fINS0_7pointerINS0_5tupleIssNS0_9null_typeES7_S7_S7_S7_S7_S7_S7_EENS1_3tagENS0_11use_defaultESA_EENS0_6detail16wrapped_functionINSC_23allocator_traits_detail5gozerEvEEEElLj1EEEvT0_T1_SJ_
                                        ; -- End function
	.section	.AMDGPU.csdata,"",@progbits
; Kernel info:
; codeLenInByte = 4
; NumSgprs: 4
; NumVgprs: 0
; NumAgprs: 0
; TotalNumVgprs: 0
; ScratchSize: 0
; MemoryBound: 0
; FloatMode: 240
; IeeeMode: 1
; LDSByteSize: 0 bytes/workgroup (compile time only)
; SGPRBlocks: 0
; VGPRBlocks: 0
; NumSGPRsForWavesPerEU: 4
; NumVGPRsForWavesPerEU: 1
; AccumOffset: 4
; Occupancy: 8
; WaveLimiterHint : 0
; COMPUTE_PGM_RSRC2:SCRATCH_EN: 0
; COMPUTE_PGM_RSRC2:USER_SGPR: 6
; COMPUTE_PGM_RSRC2:TRAP_HANDLER: 0
; COMPUTE_PGM_RSRC2:TGID_X_EN: 1
; COMPUTE_PGM_RSRC2:TGID_Y_EN: 0
; COMPUTE_PGM_RSRC2:TGID_Z_EN: 0
; COMPUTE_PGM_RSRC2:TIDIG_COMP_CNT: 0
; COMPUTE_PGM_RSRC3_GFX90A:ACCUM_OFFSET: 0
; COMPUTE_PGM_RSRC3_GFX90A:TG_SPLIT: 0
	.section	.text._ZN6thrust23THRUST_200600_302600_NS11hip_rocprim14__parallel_for6kernelILj256ENS1_20__uninitialized_copy7functorINS0_12zip_iteratorINS0_5tupleINS0_6detail15normal_iteratorINS0_10device_ptrIsEEEESC_NS0_9null_typeESD_SD_SD_SD_SD_SD_SD_EEEENS9_INS0_7pointerINS7_IssSD_SD_SD_SD_SD_SD_SD_SD_EENS1_3tagENS0_11use_defaultESJ_EEEEEElLj1EEEvT0_T1_SO_,"axG",@progbits,_ZN6thrust23THRUST_200600_302600_NS11hip_rocprim14__parallel_for6kernelILj256ENS1_20__uninitialized_copy7functorINS0_12zip_iteratorINS0_5tupleINS0_6detail15normal_iteratorINS0_10device_ptrIsEEEESC_NS0_9null_typeESD_SD_SD_SD_SD_SD_SD_EEEENS9_INS0_7pointerINS7_IssSD_SD_SD_SD_SD_SD_SD_SD_EENS1_3tagENS0_11use_defaultESJ_EEEEEElLj1EEEvT0_T1_SO_,comdat
	.protected	_ZN6thrust23THRUST_200600_302600_NS11hip_rocprim14__parallel_for6kernelILj256ENS1_20__uninitialized_copy7functorINS0_12zip_iteratorINS0_5tupleINS0_6detail15normal_iteratorINS0_10device_ptrIsEEEESC_NS0_9null_typeESD_SD_SD_SD_SD_SD_SD_EEEENS9_INS0_7pointerINS7_IssSD_SD_SD_SD_SD_SD_SD_SD_EENS1_3tagENS0_11use_defaultESJ_EEEEEElLj1EEEvT0_T1_SO_ ; -- Begin function _ZN6thrust23THRUST_200600_302600_NS11hip_rocprim14__parallel_for6kernelILj256ENS1_20__uninitialized_copy7functorINS0_12zip_iteratorINS0_5tupleINS0_6detail15normal_iteratorINS0_10device_ptrIsEEEESC_NS0_9null_typeESD_SD_SD_SD_SD_SD_SD_EEEENS9_INS0_7pointerINS7_IssSD_SD_SD_SD_SD_SD_SD_SD_EENS1_3tagENS0_11use_defaultESJ_EEEEEElLj1EEEvT0_T1_SO_
	.globl	_ZN6thrust23THRUST_200600_302600_NS11hip_rocprim14__parallel_for6kernelILj256ENS1_20__uninitialized_copy7functorINS0_12zip_iteratorINS0_5tupleINS0_6detail15normal_iteratorINS0_10device_ptrIsEEEESC_NS0_9null_typeESD_SD_SD_SD_SD_SD_SD_EEEENS9_INS0_7pointerINS7_IssSD_SD_SD_SD_SD_SD_SD_SD_EENS1_3tagENS0_11use_defaultESJ_EEEEEElLj1EEEvT0_T1_SO_
	.p2align	8
	.type	_ZN6thrust23THRUST_200600_302600_NS11hip_rocprim14__parallel_for6kernelILj256ENS1_20__uninitialized_copy7functorINS0_12zip_iteratorINS0_5tupleINS0_6detail15normal_iteratorINS0_10device_ptrIsEEEESC_NS0_9null_typeESD_SD_SD_SD_SD_SD_SD_EEEENS9_INS0_7pointerINS7_IssSD_SD_SD_SD_SD_SD_SD_SD_EENS1_3tagENS0_11use_defaultESJ_EEEEEElLj1EEEvT0_T1_SO_,@function
_ZN6thrust23THRUST_200600_302600_NS11hip_rocprim14__parallel_for6kernelILj256ENS1_20__uninitialized_copy7functorINS0_12zip_iteratorINS0_5tupleINS0_6detail15normal_iteratorINS0_10device_ptrIsEEEESC_NS0_9null_typeESD_SD_SD_SD_SD_SD_SD_EEEENS9_INS0_7pointerINS7_IssSD_SD_SD_SD_SD_SD_SD_SD_EENS1_3tagENS0_11use_defaultESJ_EEEEEElLj1EEEvT0_T1_SO_: ; @_ZN6thrust23THRUST_200600_302600_NS11hip_rocprim14__parallel_for6kernelILj256ENS1_20__uninitialized_copy7functorINS0_12zip_iteratorINS0_5tupleINS0_6detail15normal_iteratorINS0_10device_ptrIsEEEESC_NS0_9null_typeESD_SD_SD_SD_SD_SD_SD_EEEENS9_INS0_7pointerINS7_IssSD_SD_SD_SD_SD_SD_SD_SD_EENS1_3tagENS0_11use_defaultESJ_EEEEEElLj1EEEvT0_T1_SO_
; %bb.0:
	s_load_dwordx4 s[8:11], s[4:5], 0x18
	s_lshl_b32 s0, s6, 8
	v_mov_b32_e32 v2, 0x100
	v_mov_b32_e32 v3, 0
	s_waitcnt lgkmcnt(0)
	s_add_u32 s0, s0, s10
	s_addc_u32 s1, 0, s11
	s_sub_u32 s2, s8, s0
	s_subb_u32 s3, s9, s1
	v_cmp_lt_i64_e32 vcc, s[2:3], v[2:3]
	s_and_b64 s[6:7], vcc, exec
	s_cselect_b32 s6, s2, 0x100
	s_cmpk_eq_i32 s6, 0x100
	s_cselect_b64 s[2:3], -1, 0
	v_cmp_gt_u32_e32 vcc, s6, v0
	s_or_b64 s[2:3], s[2:3], vcc
	s_and_saveexec_b64 s[6:7], s[2:3]
	s_cbranch_execz .LBB3527_2
; %bb.1:
	s_load_dwordx4 s[8:11], s[4:5], 0x0
	s_load_dwordx2 s[2:3], s[4:5], 0x10
	v_mov_b32_e32 v1, s1
	v_add_co_u32_e32 v0, vcc, s0, v0
	v_addc_co_u32_e32 v1, vcc, 0, v1, vcc
	v_lshlrev_b64 v[2:3], 1, v[0:1]
	s_waitcnt lgkmcnt(0)
	v_mov_b32_e32 v5, s9
	v_add_co_u32_e32 v4, vcc, s8, v2
	v_addc_co_u32_e32 v5, vcc, v5, v3, vcc
	v_mov_b32_e32 v6, s11
	v_add_co_u32_e32 v2, vcc, s10, v2
	v_addc_co_u32_e32 v3, vcc, v6, v3, vcc
	global_load_ushort v6, v[4:5], off
	global_load_ushort v7, v[2:3], off
	v_lshlrev_b64 v[0:1], 2, v[0:1]
	v_mov_b32_e32 v2, s3
	v_add_co_u32_e32 v0, vcc, s2, v0
	v_addc_co_u32_e32 v1, vcc, v2, v1, vcc
	s_waitcnt vmcnt(0)
	v_lshl_or_b32 v2, v7, 16, v6
	flat_store_dword v[0:1], v2
.LBB3527_2:
	s_endpgm
	.section	.rodata,"a",@progbits
	.p2align	6, 0x0
	.amdhsa_kernel _ZN6thrust23THRUST_200600_302600_NS11hip_rocprim14__parallel_for6kernelILj256ENS1_20__uninitialized_copy7functorINS0_12zip_iteratorINS0_5tupleINS0_6detail15normal_iteratorINS0_10device_ptrIsEEEESC_NS0_9null_typeESD_SD_SD_SD_SD_SD_SD_EEEENS9_INS0_7pointerINS7_IssSD_SD_SD_SD_SD_SD_SD_SD_EENS1_3tagENS0_11use_defaultESJ_EEEEEElLj1EEEvT0_T1_SO_
		.amdhsa_group_segment_fixed_size 0
		.amdhsa_private_segment_fixed_size 0
		.amdhsa_kernarg_size 40
		.amdhsa_user_sgpr_count 6
		.amdhsa_user_sgpr_private_segment_buffer 1
		.amdhsa_user_sgpr_dispatch_ptr 0
		.amdhsa_user_sgpr_queue_ptr 0
		.amdhsa_user_sgpr_kernarg_segment_ptr 1
		.amdhsa_user_sgpr_dispatch_id 0
		.amdhsa_user_sgpr_flat_scratch_init 0
		.amdhsa_user_sgpr_kernarg_preload_length 0
		.amdhsa_user_sgpr_kernarg_preload_offset 0
		.amdhsa_user_sgpr_private_segment_size 0
		.amdhsa_uses_dynamic_stack 0
		.amdhsa_system_sgpr_private_segment_wavefront_offset 0
		.amdhsa_system_sgpr_workgroup_id_x 1
		.amdhsa_system_sgpr_workgroup_id_y 0
		.amdhsa_system_sgpr_workgroup_id_z 0
		.amdhsa_system_sgpr_workgroup_info 0
		.amdhsa_system_vgpr_workitem_id 0
		.amdhsa_next_free_vgpr 8
		.amdhsa_next_free_sgpr 12
		.amdhsa_accum_offset 8
		.amdhsa_reserve_vcc 1
		.amdhsa_reserve_flat_scratch 0
		.amdhsa_float_round_mode_32 0
		.amdhsa_float_round_mode_16_64 0
		.amdhsa_float_denorm_mode_32 3
		.amdhsa_float_denorm_mode_16_64 3
		.amdhsa_dx10_clamp 1
		.amdhsa_ieee_mode 1
		.amdhsa_fp16_overflow 0
		.amdhsa_tg_split 0
		.amdhsa_exception_fp_ieee_invalid_op 0
		.amdhsa_exception_fp_denorm_src 0
		.amdhsa_exception_fp_ieee_div_zero 0
		.amdhsa_exception_fp_ieee_overflow 0
		.amdhsa_exception_fp_ieee_underflow 0
		.amdhsa_exception_fp_ieee_inexact 0
		.amdhsa_exception_int_div_zero 0
	.end_amdhsa_kernel
	.section	.text._ZN6thrust23THRUST_200600_302600_NS11hip_rocprim14__parallel_for6kernelILj256ENS1_20__uninitialized_copy7functorINS0_12zip_iteratorINS0_5tupleINS0_6detail15normal_iteratorINS0_10device_ptrIsEEEESC_NS0_9null_typeESD_SD_SD_SD_SD_SD_SD_EEEENS9_INS0_7pointerINS7_IssSD_SD_SD_SD_SD_SD_SD_SD_EENS1_3tagENS0_11use_defaultESJ_EEEEEElLj1EEEvT0_T1_SO_,"axG",@progbits,_ZN6thrust23THRUST_200600_302600_NS11hip_rocprim14__parallel_for6kernelILj256ENS1_20__uninitialized_copy7functorINS0_12zip_iteratorINS0_5tupleINS0_6detail15normal_iteratorINS0_10device_ptrIsEEEESC_NS0_9null_typeESD_SD_SD_SD_SD_SD_SD_EEEENS9_INS0_7pointerINS7_IssSD_SD_SD_SD_SD_SD_SD_SD_EENS1_3tagENS0_11use_defaultESJ_EEEEEElLj1EEEvT0_T1_SO_,comdat
.Lfunc_end3527:
	.size	_ZN6thrust23THRUST_200600_302600_NS11hip_rocprim14__parallel_for6kernelILj256ENS1_20__uninitialized_copy7functorINS0_12zip_iteratorINS0_5tupleINS0_6detail15normal_iteratorINS0_10device_ptrIsEEEESC_NS0_9null_typeESD_SD_SD_SD_SD_SD_SD_EEEENS9_INS0_7pointerINS7_IssSD_SD_SD_SD_SD_SD_SD_SD_EENS1_3tagENS0_11use_defaultESJ_EEEEEElLj1EEEvT0_T1_SO_, .Lfunc_end3527-_ZN6thrust23THRUST_200600_302600_NS11hip_rocprim14__parallel_for6kernelILj256ENS1_20__uninitialized_copy7functorINS0_12zip_iteratorINS0_5tupleINS0_6detail15normal_iteratorINS0_10device_ptrIsEEEESC_NS0_9null_typeESD_SD_SD_SD_SD_SD_SD_EEEENS9_INS0_7pointerINS7_IssSD_SD_SD_SD_SD_SD_SD_SD_EENS1_3tagENS0_11use_defaultESJ_EEEEEElLj1EEEvT0_T1_SO_
                                        ; -- End function
	.section	.AMDGPU.csdata,"",@progbits
; Kernel info:
; codeLenInByte = 208
; NumSgprs: 16
; NumVgprs: 8
; NumAgprs: 0
; TotalNumVgprs: 8
; ScratchSize: 0
; MemoryBound: 0
; FloatMode: 240
; IeeeMode: 1
; LDSByteSize: 0 bytes/workgroup (compile time only)
; SGPRBlocks: 1
; VGPRBlocks: 0
; NumSGPRsForWavesPerEU: 16
; NumVGPRsForWavesPerEU: 8
; AccumOffset: 8
; Occupancy: 8
; WaveLimiterHint : 0
; COMPUTE_PGM_RSRC2:SCRATCH_EN: 0
; COMPUTE_PGM_RSRC2:USER_SGPR: 6
; COMPUTE_PGM_RSRC2:TRAP_HANDLER: 0
; COMPUTE_PGM_RSRC2:TGID_X_EN: 1
; COMPUTE_PGM_RSRC2:TGID_Y_EN: 0
; COMPUTE_PGM_RSRC2:TGID_Z_EN: 0
; COMPUTE_PGM_RSRC2:TIDIG_COMP_CNT: 0
; COMPUTE_PGM_RSRC3_GFX90A:ACCUM_OFFSET: 1
; COMPUTE_PGM_RSRC3_GFX90A:TG_SPLIT: 0
	.section	.text._ZN7rocprim17ROCPRIM_400000_NS6detail17trampoline_kernelINS0_14default_configENS1_25partition_config_selectorILNS1_17partition_subalgoE3EN6thrust23THRUST_200600_302600_NS5tupleIssNS7_9null_typeES9_S9_S9_S9_S9_S9_S9_EENS0_10empty_typeEbEEZZNS1_14partition_implILS5_3ELb0ES3_jNS7_6detail15normal_iteratorINS7_7pointerISA_NS7_11hip_rocprim3tagENS7_11use_defaultESJ_EEEEPSB_SM_NS0_5tupleIJPSA_SM_EEENSN_IJSM_SM_EEESB_PlJ10is_orderedEEE10hipError_tPvRmT3_T4_T5_T6_T7_T9_mT8_P12ihipStream_tbDpT10_ENKUlT_T0_E_clISt17integral_constantIbLb0EES1C_EEDaS17_S18_EUlS17_E_NS1_11comp_targetILNS1_3genE0ELNS1_11target_archE4294967295ELNS1_3gpuE0ELNS1_3repE0EEENS1_30default_config_static_selectorELNS0_4arch9wavefront6targetE1EEEvT1_,"axG",@progbits,_ZN7rocprim17ROCPRIM_400000_NS6detail17trampoline_kernelINS0_14default_configENS1_25partition_config_selectorILNS1_17partition_subalgoE3EN6thrust23THRUST_200600_302600_NS5tupleIssNS7_9null_typeES9_S9_S9_S9_S9_S9_S9_EENS0_10empty_typeEbEEZZNS1_14partition_implILS5_3ELb0ES3_jNS7_6detail15normal_iteratorINS7_7pointerISA_NS7_11hip_rocprim3tagENS7_11use_defaultESJ_EEEEPSB_SM_NS0_5tupleIJPSA_SM_EEENSN_IJSM_SM_EEESB_PlJ10is_orderedEEE10hipError_tPvRmT3_T4_T5_T6_T7_T9_mT8_P12ihipStream_tbDpT10_ENKUlT_T0_E_clISt17integral_constantIbLb0EES1C_EEDaS17_S18_EUlS17_E_NS1_11comp_targetILNS1_3genE0ELNS1_11target_archE4294967295ELNS1_3gpuE0ELNS1_3repE0EEENS1_30default_config_static_selectorELNS0_4arch9wavefront6targetE1EEEvT1_,comdat
	.protected	_ZN7rocprim17ROCPRIM_400000_NS6detail17trampoline_kernelINS0_14default_configENS1_25partition_config_selectorILNS1_17partition_subalgoE3EN6thrust23THRUST_200600_302600_NS5tupleIssNS7_9null_typeES9_S9_S9_S9_S9_S9_S9_EENS0_10empty_typeEbEEZZNS1_14partition_implILS5_3ELb0ES3_jNS7_6detail15normal_iteratorINS7_7pointerISA_NS7_11hip_rocprim3tagENS7_11use_defaultESJ_EEEEPSB_SM_NS0_5tupleIJPSA_SM_EEENSN_IJSM_SM_EEESB_PlJ10is_orderedEEE10hipError_tPvRmT3_T4_T5_T6_T7_T9_mT8_P12ihipStream_tbDpT10_ENKUlT_T0_E_clISt17integral_constantIbLb0EES1C_EEDaS17_S18_EUlS17_E_NS1_11comp_targetILNS1_3genE0ELNS1_11target_archE4294967295ELNS1_3gpuE0ELNS1_3repE0EEENS1_30default_config_static_selectorELNS0_4arch9wavefront6targetE1EEEvT1_ ; -- Begin function _ZN7rocprim17ROCPRIM_400000_NS6detail17trampoline_kernelINS0_14default_configENS1_25partition_config_selectorILNS1_17partition_subalgoE3EN6thrust23THRUST_200600_302600_NS5tupleIssNS7_9null_typeES9_S9_S9_S9_S9_S9_S9_EENS0_10empty_typeEbEEZZNS1_14partition_implILS5_3ELb0ES3_jNS7_6detail15normal_iteratorINS7_7pointerISA_NS7_11hip_rocprim3tagENS7_11use_defaultESJ_EEEEPSB_SM_NS0_5tupleIJPSA_SM_EEENSN_IJSM_SM_EEESB_PlJ10is_orderedEEE10hipError_tPvRmT3_T4_T5_T6_T7_T9_mT8_P12ihipStream_tbDpT10_ENKUlT_T0_E_clISt17integral_constantIbLb0EES1C_EEDaS17_S18_EUlS17_E_NS1_11comp_targetILNS1_3genE0ELNS1_11target_archE4294967295ELNS1_3gpuE0ELNS1_3repE0EEENS1_30default_config_static_selectorELNS0_4arch9wavefront6targetE1EEEvT1_
	.globl	_ZN7rocprim17ROCPRIM_400000_NS6detail17trampoline_kernelINS0_14default_configENS1_25partition_config_selectorILNS1_17partition_subalgoE3EN6thrust23THRUST_200600_302600_NS5tupleIssNS7_9null_typeES9_S9_S9_S9_S9_S9_S9_EENS0_10empty_typeEbEEZZNS1_14partition_implILS5_3ELb0ES3_jNS7_6detail15normal_iteratorINS7_7pointerISA_NS7_11hip_rocprim3tagENS7_11use_defaultESJ_EEEEPSB_SM_NS0_5tupleIJPSA_SM_EEENSN_IJSM_SM_EEESB_PlJ10is_orderedEEE10hipError_tPvRmT3_T4_T5_T6_T7_T9_mT8_P12ihipStream_tbDpT10_ENKUlT_T0_E_clISt17integral_constantIbLb0EES1C_EEDaS17_S18_EUlS17_E_NS1_11comp_targetILNS1_3genE0ELNS1_11target_archE4294967295ELNS1_3gpuE0ELNS1_3repE0EEENS1_30default_config_static_selectorELNS0_4arch9wavefront6targetE1EEEvT1_
	.p2align	8
	.type	_ZN7rocprim17ROCPRIM_400000_NS6detail17trampoline_kernelINS0_14default_configENS1_25partition_config_selectorILNS1_17partition_subalgoE3EN6thrust23THRUST_200600_302600_NS5tupleIssNS7_9null_typeES9_S9_S9_S9_S9_S9_S9_EENS0_10empty_typeEbEEZZNS1_14partition_implILS5_3ELb0ES3_jNS7_6detail15normal_iteratorINS7_7pointerISA_NS7_11hip_rocprim3tagENS7_11use_defaultESJ_EEEEPSB_SM_NS0_5tupleIJPSA_SM_EEENSN_IJSM_SM_EEESB_PlJ10is_orderedEEE10hipError_tPvRmT3_T4_T5_T6_T7_T9_mT8_P12ihipStream_tbDpT10_ENKUlT_T0_E_clISt17integral_constantIbLb0EES1C_EEDaS17_S18_EUlS17_E_NS1_11comp_targetILNS1_3genE0ELNS1_11target_archE4294967295ELNS1_3gpuE0ELNS1_3repE0EEENS1_30default_config_static_selectorELNS0_4arch9wavefront6targetE1EEEvT1_,@function
_ZN7rocprim17ROCPRIM_400000_NS6detail17trampoline_kernelINS0_14default_configENS1_25partition_config_selectorILNS1_17partition_subalgoE3EN6thrust23THRUST_200600_302600_NS5tupleIssNS7_9null_typeES9_S9_S9_S9_S9_S9_S9_EENS0_10empty_typeEbEEZZNS1_14partition_implILS5_3ELb0ES3_jNS7_6detail15normal_iteratorINS7_7pointerISA_NS7_11hip_rocprim3tagENS7_11use_defaultESJ_EEEEPSB_SM_NS0_5tupleIJPSA_SM_EEENSN_IJSM_SM_EEESB_PlJ10is_orderedEEE10hipError_tPvRmT3_T4_T5_T6_T7_T9_mT8_P12ihipStream_tbDpT10_ENKUlT_T0_E_clISt17integral_constantIbLb0EES1C_EEDaS17_S18_EUlS17_E_NS1_11comp_targetILNS1_3genE0ELNS1_11target_archE4294967295ELNS1_3gpuE0ELNS1_3repE0EEENS1_30default_config_static_selectorELNS0_4arch9wavefront6targetE1EEEvT1_: ; @_ZN7rocprim17ROCPRIM_400000_NS6detail17trampoline_kernelINS0_14default_configENS1_25partition_config_selectorILNS1_17partition_subalgoE3EN6thrust23THRUST_200600_302600_NS5tupleIssNS7_9null_typeES9_S9_S9_S9_S9_S9_S9_EENS0_10empty_typeEbEEZZNS1_14partition_implILS5_3ELb0ES3_jNS7_6detail15normal_iteratorINS7_7pointerISA_NS7_11hip_rocprim3tagENS7_11use_defaultESJ_EEEEPSB_SM_NS0_5tupleIJPSA_SM_EEENSN_IJSM_SM_EEESB_PlJ10is_orderedEEE10hipError_tPvRmT3_T4_T5_T6_T7_T9_mT8_P12ihipStream_tbDpT10_ENKUlT_T0_E_clISt17integral_constantIbLb0EES1C_EEDaS17_S18_EUlS17_E_NS1_11comp_targetILNS1_3genE0ELNS1_11target_archE4294967295ELNS1_3gpuE0ELNS1_3repE0EEENS1_30default_config_static_selectorELNS0_4arch9wavefront6targetE1EEEvT1_
; %bb.0:
	.section	.rodata,"a",@progbits
	.p2align	6, 0x0
	.amdhsa_kernel _ZN7rocprim17ROCPRIM_400000_NS6detail17trampoline_kernelINS0_14default_configENS1_25partition_config_selectorILNS1_17partition_subalgoE3EN6thrust23THRUST_200600_302600_NS5tupleIssNS7_9null_typeES9_S9_S9_S9_S9_S9_S9_EENS0_10empty_typeEbEEZZNS1_14partition_implILS5_3ELb0ES3_jNS7_6detail15normal_iteratorINS7_7pointerISA_NS7_11hip_rocprim3tagENS7_11use_defaultESJ_EEEEPSB_SM_NS0_5tupleIJPSA_SM_EEENSN_IJSM_SM_EEESB_PlJ10is_orderedEEE10hipError_tPvRmT3_T4_T5_T6_T7_T9_mT8_P12ihipStream_tbDpT10_ENKUlT_T0_E_clISt17integral_constantIbLb0EES1C_EEDaS17_S18_EUlS17_E_NS1_11comp_targetILNS1_3genE0ELNS1_11target_archE4294967295ELNS1_3gpuE0ELNS1_3repE0EEENS1_30default_config_static_selectorELNS0_4arch9wavefront6targetE1EEEvT1_
		.amdhsa_group_segment_fixed_size 0
		.amdhsa_private_segment_fixed_size 0
		.amdhsa_kernarg_size 120
		.amdhsa_user_sgpr_count 6
		.amdhsa_user_sgpr_private_segment_buffer 1
		.amdhsa_user_sgpr_dispatch_ptr 0
		.amdhsa_user_sgpr_queue_ptr 0
		.amdhsa_user_sgpr_kernarg_segment_ptr 1
		.amdhsa_user_sgpr_dispatch_id 0
		.amdhsa_user_sgpr_flat_scratch_init 0
		.amdhsa_user_sgpr_kernarg_preload_length 0
		.amdhsa_user_sgpr_kernarg_preload_offset 0
		.amdhsa_user_sgpr_private_segment_size 0
		.amdhsa_uses_dynamic_stack 0
		.amdhsa_system_sgpr_private_segment_wavefront_offset 0
		.amdhsa_system_sgpr_workgroup_id_x 1
		.amdhsa_system_sgpr_workgroup_id_y 0
		.amdhsa_system_sgpr_workgroup_id_z 0
		.amdhsa_system_sgpr_workgroup_info 0
		.amdhsa_system_vgpr_workitem_id 0
		.amdhsa_next_free_vgpr 1
		.amdhsa_next_free_sgpr 0
		.amdhsa_accum_offset 4
		.amdhsa_reserve_vcc 0
		.amdhsa_reserve_flat_scratch 0
		.amdhsa_float_round_mode_32 0
		.amdhsa_float_round_mode_16_64 0
		.amdhsa_float_denorm_mode_32 3
		.amdhsa_float_denorm_mode_16_64 3
		.amdhsa_dx10_clamp 1
		.amdhsa_ieee_mode 1
		.amdhsa_fp16_overflow 0
		.amdhsa_tg_split 0
		.amdhsa_exception_fp_ieee_invalid_op 0
		.amdhsa_exception_fp_denorm_src 0
		.amdhsa_exception_fp_ieee_div_zero 0
		.amdhsa_exception_fp_ieee_overflow 0
		.amdhsa_exception_fp_ieee_underflow 0
		.amdhsa_exception_fp_ieee_inexact 0
		.amdhsa_exception_int_div_zero 0
	.end_amdhsa_kernel
	.section	.text._ZN7rocprim17ROCPRIM_400000_NS6detail17trampoline_kernelINS0_14default_configENS1_25partition_config_selectorILNS1_17partition_subalgoE3EN6thrust23THRUST_200600_302600_NS5tupleIssNS7_9null_typeES9_S9_S9_S9_S9_S9_S9_EENS0_10empty_typeEbEEZZNS1_14partition_implILS5_3ELb0ES3_jNS7_6detail15normal_iteratorINS7_7pointerISA_NS7_11hip_rocprim3tagENS7_11use_defaultESJ_EEEEPSB_SM_NS0_5tupleIJPSA_SM_EEENSN_IJSM_SM_EEESB_PlJ10is_orderedEEE10hipError_tPvRmT3_T4_T5_T6_T7_T9_mT8_P12ihipStream_tbDpT10_ENKUlT_T0_E_clISt17integral_constantIbLb0EES1C_EEDaS17_S18_EUlS17_E_NS1_11comp_targetILNS1_3genE0ELNS1_11target_archE4294967295ELNS1_3gpuE0ELNS1_3repE0EEENS1_30default_config_static_selectorELNS0_4arch9wavefront6targetE1EEEvT1_,"axG",@progbits,_ZN7rocprim17ROCPRIM_400000_NS6detail17trampoline_kernelINS0_14default_configENS1_25partition_config_selectorILNS1_17partition_subalgoE3EN6thrust23THRUST_200600_302600_NS5tupleIssNS7_9null_typeES9_S9_S9_S9_S9_S9_S9_EENS0_10empty_typeEbEEZZNS1_14partition_implILS5_3ELb0ES3_jNS7_6detail15normal_iteratorINS7_7pointerISA_NS7_11hip_rocprim3tagENS7_11use_defaultESJ_EEEEPSB_SM_NS0_5tupleIJPSA_SM_EEENSN_IJSM_SM_EEESB_PlJ10is_orderedEEE10hipError_tPvRmT3_T4_T5_T6_T7_T9_mT8_P12ihipStream_tbDpT10_ENKUlT_T0_E_clISt17integral_constantIbLb0EES1C_EEDaS17_S18_EUlS17_E_NS1_11comp_targetILNS1_3genE0ELNS1_11target_archE4294967295ELNS1_3gpuE0ELNS1_3repE0EEENS1_30default_config_static_selectorELNS0_4arch9wavefront6targetE1EEEvT1_,comdat
.Lfunc_end3528:
	.size	_ZN7rocprim17ROCPRIM_400000_NS6detail17trampoline_kernelINS0_14default_configENS1_25partition_config_selectorILNS1_17partition_subalgoE3EN6thrust23THRUST_200600_302600_NS5tupleIssNS7_9null_typeES9_S9_S9_S9_S9_S9_S9_EENS0_10empty_typeEbEEZZNS1_14partition_implILS5_3ELb0ES3_jNS7_6detail15normal_iteratorINS7_7pointerISA_NS7_11hip_rocprim3tagENS7_11use_defaultESJ_EEEEPSB_SM_NS0_5tupleIJPSA_SM_EEENSN_IJSM_SM_EEESB_PlJ10is_orderedEEE10hipError_tPvRmT3_T4_T5_T6_T7_T9_mT8_P12ihipStream_tbDpT10_ENKUlT_T0_E_clISt17integral_constantIbLb0EES1C_EEDaS17_S18_EUlS17_E_NS1_11comp_targetILNS1_3genE0ELNS1_11target_archE4294967295ELNS1_3gpuE0ELNS1_3repE0EEENS1_30default_config_static_selectorELNS0_4arch9wavefront6targetE1EEEvT1_, .Lfunc_end3528-_ZN7rocprim17ROCPRIM_400000_NS6detail17trampoline_kernelINS0_14default_configENS1_25partition_config_selectorILNS1_17partition_subalgoE3EN6thrust23THRUST_200600_302600_NS5tupleIssNS7_9null_typeES9_S9_S9_S9_S9_S9_S9_EENS0_10empty_typeEbEEZZNS1_14partition_implILS5_3ELb0ES3_jNS7_6detail15normal_iteratorINS7_7pointerISA_NS7_11hip_rocprim3tagENS7_11use_defaultESJ_EEEEPSB_SM_NS0_5tupleIJPSA_SM_EEENSN_IJSM_SM_EEESB_PlJ10is_orderedEEE10hipError_tPvRmT3_T4_T5_T6_T7_T9_mT8_P12ihipStream_tbDpT10_ENKUlT_T0_E_clISt17integral_constantIbLb0EES1C_EEDaS17_S18_EUlS17_E_NS1_11comp_targetILNS1_3genE0ELNS1_11target_archE4294967295ELNS1_3gpuE0ELNS1_3repE0EEENS1_30default_config_static_selectorELNS0_4arch9wavefront6targetE1EEEvT1_
                                        ; -- End function
	.section	.AMDGPU.csdata,"",@progbits
; Kernel info:
; codeLenInByte = 0
; NumSgprs: 4
; NumVgprs: 0
; NumAgprs: 0
; TotalNumVgprs: 0
; ScratchSize: 0
; MemoryBound: 0
; FloatMode: 240
; IeeeMode: 1
; LDSByteSize: 0 bytes/workgroup (compile time only)
; SGPRBlocks: 0
; VGPRBlocks: 0
; NumSGPRsForWavesPerEU: 4
; NumVGPRsForWavesPerEU: 1
; AccumOffset: 4
; Occupancy: 8
; WaveLimiterHint : 0
; COMPUTE_PGM_RSRC2:SCRATCH_EN: 0
; COMPUTE_PGM_RSRC2:USER_SGPR: 6
; COMPUTE_PGM_RSRC2:TRAP_HANDLER: 0
; COMPUTE_PGM_RSRC2:TGID_X_EN: 1
; COMPUTE_PGM_RSRC2:TGID_Y_EN: 0
; COMPUTE_PGM_RSRC2:TGID_Z_EN: 0
; COMPUTE_PGM_RSRC2:TIDIG_COMP_CNT: 0
; COMPUTE_PGM_RSRC3_GFX90A:ACCUM_OFFSET: 0
; COMPUTE_PGM_RSRC3_GFX90A:TG_SPLIT: 0
	.section	.text._ZN7rocprim17ROCPRIM_400000_NS6detail17trampoline_kernelINS0_14default_configENS1_25partition_config_selectorILNS1_17partition_subalgoE3EN6thrust23THRUST_200600_302600_NS5tupleIssNS7_9null_typeES9_S9_S9_S9_S9_S9_S9_EENS0_10empty_typeEbEEZZNS1_14partition_implILS5_3ELb0ES3_jNS7_6detail15normal_iteratorINS7_7pointerISA_NS7_11hip_rocprim3tagENS7_11use_defaultESJ_EEEEPSB_SM_NS0_5tupleIJPSA_SM_EEENSN_IJSM_SM_EEESB_PlJ10is_orderedEEE10hipError_tPvRmT3_T4_T5_T6_T7_T9_mT8_P12ihipStream_tbDpT10_ENKUlT_T0_E_clISt17integral_constantIbLb0EES1C_EEDaS17_S18_EUlS17_E_NS1_11comp_targetILNS1_3genE5ELNS1_11target_archE942ELNS1_3gpuE9ELNS1_3repE0EEENS1_30default_config_static_selectorELNS0_4arch9wavefront6targetE1EEEvT1_,"axG",@progbits,_ZN7rocprim17ROCPRIM_400000_NS6detail17trampoline_kernelINS0_14default_configENS1_25partition_config_selectorILNS1_17partition_subalgoE3EN6thrust23THRUST_200600_302600_NS5tupleIssNS7_9null_typeES9_S9_S9_S9_S9_S9_S9_EENS0_10empty_typeEbEEZZNS1_14partition_implILS5_3ELb0ES3_jNS7_6detail15normal_iteratorINS7_7pointerISA_NS7_11hip_rocprim3tagENS7_11use_defaultESJ_EEEEPSB_SM_NS0_5tupleIJPSA_SM_EEENSN_IJSM_SM_EEESB_PlJ10is_orderedEEE10hipError_tPvRmT3_T4_T5_T6_T7_T9_mT8_P12ihipStream_tbDpT10_ENKUlT_T0_E_clISt17integral_constantIbLb0EES1C_EEDaS17_S18_EUlS17_E_NS1_11comp_targetILNS1_3genE5ELNS1_11target_archE942ELNS1_3gpuE9ELNS1_3repE0EEENS1_30default_config_static_selectorELNS0_4arch9wavefront6targetE1EEEvT1_,comdat
	.protected	_ZN7rocprim17ROCPRIM_400000_NS6detail17trampoline_kernelINS0_14default_configENS1_25partition_config_selectorILNS1_17partition_subalgoE3EN6thrust23THRUST_200600_302600_NS5tupleIssNS7_9null_typeES9_S9_S9_S9_S9_S9_S9_EENS0_10empty_typeEbEEZZNS1_14partition_implILS5_3ELb0ES3_jNS7_6detail15normal_iteratorINS7_7pointerISA_NS7_11hip_rocprim3tagENS7_11use_defaultESJ_EEEEPSB_SM_NS0_5tupleIJPSA_SM_EEENSN_IJSM_SM_EEESB_PlJ10is_orderedEEE10hipError_tPvRmT3_T4_T5_T6_T7_T9_mT8_P12ihipStream_tbDpT10_ENKUlT_T0_E_clISt17integral_constantIbLb0EES1C_EEDaS17_S18_EUlS17_E_NS1_11comp_targetILNS1_3genE5ELNS1_11target_archE942ELNS1_3gpuE9ELNS1_3repE0EEENS1_30default_config_static_selectorELNS0_4arch9wavefront6targetE1EEEvT1_ ; -- Begin function _ZN7rocprim17ROCPRIM_400000_NS6detail17trampoline_kernelINS0_14default_configENS1_25partition_config_selectorILNS1_17partition_subalgoE3EN6thrust23THRUST_200600_302600_NS5tupleIssNS7_9null_typeES9_S9_S9_S9_S9_S9_S9_EENS0_10empty_typeEbEEZZNS1_14partition_implILS5_3ELb0ES3_jNS7_6detail15normal_iteratorINS7_7pointerISA_NS7_11hip_rocprim3tagENS7_11use_defaultESJ_EEEEPSB_SM_NS0_5tupleIJPSA_SM_EEENSN_IJSM_SM_EEESB_PlJ10is_orderedEEE10hipError_tPvRmT3_T4_T5_T6_T7_T9_mT8_P12ihipStream_tbDpT10_ENKUlT_T0_E_clISt17integral_constantIbLb0EES1C_EEDaS17_S18_EUlS17_E_NS1_11comp_targetILNS1_3genE5ELNS1_11target_archE942ELNS1_3gpuE9ELNS1_3repE0EEENS1_30default_config_static_selectorELNS0_4arch9wavefront6targetE1EEEvT1_
	.globl	_ZN7rocprim17ROCPRIM_400000_NS6detail17trampoline_kernelINS0_14default_configENS1_25partition_config_selectorILNS1_17partition_subalgoE3EN6thrust23THRUST_200600_302600_NS5tupleIssNS7_9null_typeES9_S9_S9_S9_S9_S9_S9_EENS0_10empty_typeEbEEZZNS1_14partition_implILS5_3ELb0ES3_jNS7_6detail15normal_iteratorINS7_7pointerISA_NS7_11hip_rocprim3tagENS7_11use_defaultESJ_EEEEPSB_SM_NS0_5tupleIJPSA_SM_EEENSN_IJSM_SM_EEESB_PlJ10is_orderedEEE10hipError_tPvRmT3_T4_T5_T6_T7_T9_mT8_P12ihipStream_tbDpT10_ENKUlT_T0_E_clISt17integral_constantIbLb0EES1C_EEDaS17_S18_EUlS17_E_NS1_11comp_targetILNS1_3genE5ELNS1_11target_archE942ELNS1_3gpuE9ELNS1_3repE0EEENS1_30default_config_static_selectorELNS0_4arch9wavefront6targetE1EEEvT1_
	.p2align	8
	.type	_ZN7rocprim17ROCPRIM_400000_NS6detail17trampoline_kernelINS0_14default_configENS1_25partition_config_selectorILNS1_17partition_subalgoE3EN6thrust23THRUST_200600_302600_NS5tupleIssNS7_9null_typeES9_S9_S9_S9_S9_S9_S9_EENS0_10empty_typeEbEEZZNS1_14partition_implILS5_3ELb0ES3_jNS7_6detail15normal_iteratorINS7_7pointerISA_NS7_11hip_rocprim3tagENS7_11use_defaultESJ_EEEEPSB_SM_NS0_5tupleIJPSA_SM_EEENSN_IJSM_SM_EEESB_PlJ10is_orderedEEE10hipError_tPvRmT3_T4_T5_T6_T7_T9_mT8_P12ihipStream_tbDpT10_ENKUlT_T0_E_clISt17integral_constantIbLb0EES1C_EEDaS17_S18_EUlS17_E_NS1_11comp_targetILNS1_3genE5ELNS1_11target_archE942ELNS1_3gpuE9ELNS1_3repE0EEENS1_30default_config_static_selectorELNS0_4arch9wavefront6targetE1EEEvT1_,@function
_ZN7rocprim17ROCPRIM_400000_NS6detail17trampoline_kernelINS0_14default_configENS1_25partition_config_selectorILNS1_17partition_subalgoE3EN6thrust23THRUST_200600_302600_NS5tupleIssNS7_9null_typeES9_S9_S9_S9_S9_S9_S9_EENS0_10empty_typeEbEEZZNS1_14partition_implILS5_3ELb0ES3_jNS7_6detail15normal_iteratorINS7_7pointerISA_NS7_11hip_rocprim3tagENS7_11use_defaultESJ_EEEEPSB_SM_NS0_5tupleIJPSA_SM_EEENSN_IJSM_SM_EEESB_PlJ10is_orderedEEE10hipError_tPvRmT3_T4_T5_T6_T7_T9_mT8_P12ihipStream_tbDpT10_ENKUlT_T0_E_clISt17integral_constantIbLb0EES1C_EEDaS17_S18_EUlS17_E_NS1_11comp_targetILNS1_3genE5ELNS1_11target_archE942ELNS1_3gpuE9ELNS1_3repE0EEENS1_30default_config_static_selectorELNS0_4arch9wavefront6targetE1EEEvT1_: ; @_ZN7rocprim17ROCPRIM_400000_NS6detail17trampoline_kernelINS0_14default_configENS1_25partition_config_selectorILNS1_17partition_subalgoE3EN6thrust23THRUST_200600_302600_NS5tupleIssNS7_9null_typeES9_S9_S9_S9_S9_S9_S9_EENS0_10empty_typeEbEEZZNS1_14partition_implILS5_3ELb0ES3_jNS7_6detail15normal_iteratorINS7_7pointerISA_NS7_11hip_rocprim3tagENS7_11use_defaultESJ_EEEEPSB_SM_NS0_5tupleIJPSA_SM_EEENSN_IJSM_SM_EEESB_PlJ10is_orderedEEE10hipError_tPvRmT3_T4_T5_T6_T7_T9_mT8_P12ihipStream_tbDpT10_ENKUlT_T0_E_clISt17integral_constantIbLb0EES1C_EEDaS17_S18_EUlS17_E_NS1_11comp_targetILNS1_3genE5ELNS1_11target_archE942ELNS1_3gpuE9ELNS1_3repE0EEENS1_30default_config_static_selectorELNS0_4arch9wavefront6targetE1EEEvT1_
; %bb.0:
	.section	.rodata,"a",@progbits
	.p2align	6, 0x0
	.amdhsa_kernel _ZN7rocprim17ROCPRIM_400000_NS6detail17trampoline_kernelINS0_14default_configENS1_25partition_config_selectorILNS1_17partition_subalgoE3EN6thrust23THRUST_200600_302600_NS5tupleIssNS7_9null_typeES9_S9_S9_S9_S9_S9_S9_EENS0_10empty_typeEbEEZZNS1_14partition_implILS5_3ELb0ES3_jNS7_6detail15normal_iteratorINS7_7pointerISA_NS7_11hip_rocprim3tagENS7_11use_defaultESJ_EEEEPSB_SM_NS0_5tupleIJPSA_SM_EEENSN_IJSM_SM_EEESB_PlJ10is_orderedEEE10hipError_tPvRmT3_T4_T5_T6_T7_T9_mT8_P12ihipStream_tbDpT10_ENKUlT_T0_E_clISt17integral_constantIbLb0EES1C_EEDaS17_S18_EUlS17_E_NS1_11comp_targetILNS1_3genE5ELNS1_11target_archE942ELNS1_3gpuE9ELNS1_3repE0EEENS1_30default_config_static_selectorELNS0_4arch9wavefront6targetE1EEEvT1_
		.amdhsa_group_segment_fixed_size 0
		.amdhsa_private_segment_fixed_size 0
		.amdhsa_kernarg_size 120
		.amdhsa_user_sgpr_count 6
		.amdhsa_user_sgpr_private_segment_buffer 1
		.amdhsa_user_sgpr_dispatch_ptr 0
		.amdhsa_user_sgpr_queue_ptr 0
		.amdhsa_user_sgpr_kernarg_segment_ptr 1
		.amdhsa_user_sgpr_dispatch_id 0
		.amdhsa_user_sgpr_flat_scratch_init 0
		.amdhsa_user_sgpr_kernarg_preload_length 0
		.amdhsa_user_sgpr_kernarg_preload_offset 0
		.amdhsa_user_sgpr_private_segment_size 0
		.amdhsa_uses_dynamic_stack 0
		.amdhsa_system_sgpr_private_segment_wavefront_offset 0
		.amdhsa_system_sgpr_workgroup_id_x 1
		.amdhsa_system_sgpr_workgroup_id_y 0
		.amdhsa_system_sgpr_workgroup_id_z 0
		.amdhsa_system_sgpr_workgroup_info 0
		.amdhsa_system_vgpr_workitem_id 0
		.amdhsa_next_free_vgpr 1
		.amdhsa_next_free_sgpr 0
		.amdhsa_accum_offset 4
		.amdhsa_reserve_vcc 0
		.amdhsa_reserve_flat_scratch 0
		.amdhsa_float_round_mode_32 0
		.amdhsa_float_round_mode_16_64 0
		.amdhsa_float_denorm_mode_32 3
		.amdhsa_float_denorm_mode_16_64 3
		.amdhsa_dx10_clamp 1
		.amdhsa_ieee_mode 1
		.amdhsa_fp16_overflow 0
		.amdhsa_tg_split 0
		.amdhsa_exception_fp_ieee_invalid_op 0
		.amdhsa_exception_fp_denorm_src 0
		.amdhsa_exception_fp_ieee_div_zero 0
		.amdhsa_exception_fp_ieee_overflow 0
		.amdhsa_exception_fp_ieee_underflow 0
		.amdhsa_exception_fp_ieee_inexact 0
		.amdhsa_exception_int_div_zero 0
	.end_amdhsa_kernel
	.section	.text._ZN7rocprim17ROCPRIM_400000_NS6detail17trampoline_kernelINS0_14default_configENS1_25partition_config_selectorILNS1_17partition_subalgoE3EN6thrust23THRUST_200600_302600_NS5tupleIssNS7_9null_typeES9_S9_S9_S9_S9_S9_S9_EENS0_10empty_typeEbEEZZNS1_14partition_implILS5_3ELb0ES3_jNS7_6detail15normal_iteratorINS7_7pointerISA_NS7_11hip_rocprim3tagENS7_11use_defaultESJ_EEEEPSB_SM_NS0_5tupleIJPSA_SM_EEENSN_IJSM_SM_EEESB_PlJ10is_orderedEEE10hipError_tPvRmT3_T4_T5_T6_T7_T9_mT8_P12ihipStream_tbDpT10_ENKUlT_T0_E_clISt17integral_constantIbLb0EES1C_EEDaS17_S18_EUlS17_E_NS1_11comp_targetILNS1_3genE5ELNS1_11target_archE942ELNS1_3gpuE9ELNS1_3repE0EEENS1_30default_config_static_selectorELNS0_4arch9wavefront6targetE1EEEvT1_,"axG",@progbits,_ZN7rocprim17ROCPRIM_400000_NS6detail17trampoline_kernelINS0_14default_configENS1_25partition_config_selectorILNS1_17partition_subalgoE3EN6thrust23THRUST_200600_302600_NS5tupleIssNS7_9null_typeES9_S9_S9_S9_S9_S9_S9_EENS0_10empty_typeEbEEZZNS1_14partition_implILS5_3ELb0ES3_jNS7_6detail15normal_iteratorINS7_7pointerISA_NS7_11hip_rocprim3tagENS7_11use_defaultESJ_EEEEPSB_SM_NS0_5tupleIJPSA_SM_EEENSN_IJSM_SM_EEESB_PlJ10is_orderedEEE10hipError_tPvRmT3_T4_T5_T6_T7_T9_mT8_P12ihipStream_tbDpT10_ENKUlT_T0_E_clISt17integral_constantIbLb0EES1C_EEDaS17_S18_EUlS17_E_NS1_11comp_targetILNS1_3genE5ELNS1_11target_archE942ELNS1_3gpuE9ELNS1_3repE0EEENS1_30default_config_static_selectorELNS0_4arch9wavefront6targetE1EEEvT1_,comdat
.Lfunc_end3529:
	.size	_ZN7rocprim17ROCPRIM_400000_NS6detail17trampoline_kernelINS0_14default_configENS1_25partition_config_selectorILNS1_17partition_subalgoE3EN6thrust23THRUST_200600_302600_NS5tupleIssNS7_9null_typeES9_S9_S9_S9_S9_S9_S9_EENS0_10empty_typeEbEEZZNS1_14partition_implILS5_3ELb0ES3_jNS7_6detail15normal_iteratorINS7_7pointerISA_NS7_11hip_rocprim3tagENS7_11use_defaultESJ_EEEEPSB_SM_NS0_5tupleIJPSA_SM_EEENSN_IJSM_SM_EEESB_PlJ10is_orderedEEE10hipError_tPvRmT3_T4_T5_T6_T7_T9_mT8_P12ihipStream_tbDpT10_ENKUlT_T0_E_clISt17integral_constantIbLb0EES1C_EEDaS17_S18_EUlS17_E_NS1_11comp_targetILNS1_3genE5ELNS1_11target_archE942ELNS1_3gpuE9ELNS1_3repE0EEENS1_30default_config_static_selectorELNS0_4arch9wavefront6targetE1EEEvT1_, .Lfunc_end3529-_ZN7rocprim17ROCPRIM_400000_NS6detail17trampoline_kernelINS0_14default_configENS1_25partition_config_selectorILNS1_17partition_subalgoE3EN6thrust23THRUST_200600_302600_NS5tupleIssNS7_9null_typeES9_S9_S9_S9_S9_S9_S9_EENS0_10empty_typeEbEEZZNS1_14partition_implILS5_3ELb0ES3_jNS7_6detail15normal_iteratorINS7_7pointerISA_NS7_11hip_rocprim3tagENS7_11use_defaultESJ_EEEEPSB_SM_NS0_5tupleIJPSA_SM_EEENSN_IJSM_SM_EEESB_PlJ10is_orderedEEE10hipError_tPvRmT3_T4_T5_T6_T7_T9_mT8_P12ihipStream_tbDpT10_ENKUlT_T0_E_clISt17integral_constantIbLb0EES1C_EEDaS17_S18_EUlS17_E_NS1_11comp_targetILNS1_3genE5ELNS1_11target_archE942ELNS1_3gpuE9ELNS1_3repE0EEENS1_30default_config_static_selectorELNS0_4arch9wavefront6targetE1EEEvT1_
                                        ; -- End function
	.section	.AMDGPU.csdata,"",@progbits
; Kernel info:
; codeLenInByte = 0
; NumSgprs: 4
; NumVgprs: 0
; NumAgprs: 0
; TotalNumVgprs: 0
; ScratchSize: 0
; MemoryBound: 0
; FloatMode: 240
; IeeeMode: 1
; LDSByteSize: 0 bytes/workgroup (compile time only)
; SGPRBlocks: 0
; VGPRBlocks: 0
; NumSGPRsForWavesPerEU: 4
; NumVGPRsForWavesPerEU: 1
; AccumOffset: 4
; Occupancy: 8
; WaveLimiterHint : 0
; COMPUTE_PGM_RSRC2:SCRATCH_EN: 0
; COMPUTE_PGM_RSRC2:USER_SGPR: 6
; COMPUTE_PGM_RSRC2:TRAP_HANDLER: 0
; COMPUTE_PGM_RSRC2:TGID_X_EN: 1
; COMPUTE_PGM_RSRC2:TGID_Y_EN: 0
; COMPUTE_PGM_RSRC2:TGID_Z_EN: 0
; COMPUTE_PGM_RSRC2:TIDIG_COMP_CNT: 0
; COMPUTE_PGM_RSRC3_GFX90A:ACCUM_OFFSET: 0
; COMPUTE_PGM_RSRC3_GFX90A:TG_SPLIT: 0
	.section	.text._ZN7rocprim17ROCPRIM_400000_NS6detail17trampoline_kernelINS0_14default_configENS1_25partition_config_selectorILNS1_17partition_subalgoE3EN6thrust23THRUST_200600_302600_NS5tupleIssNS7_9null_typeES9_S9_S9_S9_S9_S9_S9_EENS0_10empty_typeEbEEZZNS1_14partition_implILS5_3ELb0ES3_jNS7_6detail15normal_iteratorINS7_7pointerISA_NS7_11hip_rocprim3tagENS7_11use_defaultESJ_EEEEPSB_SM_NS0_5tupleIJPSA_SM_EEENSN_IJSM_SM_EEESB_PlJ10is_orderedEEE10hipError_tPvRmT3_T4_T5_T6_T7_T9_mT8_P12ihipStream_tbDpT10_ENKUlT_T0_E_clISt17integral_constantIbLb0EES1C_EEDaS17_S18_EUlS17_E_NS1_11comp_targetILNS1_3genE4ELNS1_11target_archE910ELNS1_3gpuE8ELNS1_3repE0EEENS1_30default_config_static_selectorELNS0_4arch9wavefront6targetE1EEEvT1_,"axG",@progbits,_ZN7rocprim17ROCPRIM_400000_NS6detail17trampoline_kernelINS0_14default_configENS1_25partition_config_selectorILNS1_17partition_subalgoE3EN6thrust23THRUST_200600_302600_NS5tupleIssNS7_9null_typeES9_S9_S9_S9_S9_S9_S9_EENS0_10empty_typeEbEEZZNS1_14partition_implILS5_3ELb0ES3_jNS7_6detail15normal_iteratorINS7_7pointerISA_NS7_11hip_rocprim3tagENS7_11use_defaultESJ_EEEEPSB_SM_NS0_5tupleIJPSA_SM_EEENSN_IJSM_SM_EEESB_PlJ10is_orderedEEE10hipError_tPvRmT3_T4_T5_T6_T7_T9_mT8_P12ihipStream_tbDpT10_ENKUlT_T0_E_clISt17integral_constantIbLb0EES1C_EEDaS17_S18_EUlS17_E_NS1_11comp_targetILNS1_3genE4ELNS1_11target_archE910ELNS1_3gpuE8ELNS1_3repE0EEENS1_30default_config_static_selectorELNS0_4arch9wavefront6targetE1EEEvT1_,comdat
	.protected	_ZN7rocprim17ROCPRIM_400000_NS6detail17trampoline_kernelINS0_14default_configENS1_25partition_config_selectorILNS1_17partition_subalgoE3EN6thrust23THRUST_200600_302600_NS5tupleIssNS7_9null_typeES9_S9_S9_S9_S9_S9_S9_EENS0_10empty_typeEbEEZZNS1_14partition_implILS5_3ELb0ES3_jNS7_6detail15normal_iteratorINS7_7pointerISA_NS7_11hip_rocprim3tagENS7_11use_defaultESJ_EEEEPSB_SM_NS0_5tupleIJPSA_SM_EEENSN_IJSM_SM_EEESB_PlJ10is_orderedEEE10hipError_tPvRmT3_T4_T5_T6_T7_T9_mT8_P12ihipStream_tbDpT10_ENKUlT_T0_E_clISt17integral_constantIbLb0EES1C_EEDaS17_S18_EUlS17_E_NS1_11comp_targetILNS1_3genE4ELNS1_11target_archE910ELNS1_3gpuE8ELNS1_3repE0EEENS1_30default_config_static_selectorELNS0_4arch9wavefront6targetE1EEEvT1_ ; -- Begin function _ZN7rocprim17ROCPRIM_400000_NS6detail17trampoline_kernelINS0_14default_configENS1_25partition_config_selectorILNS1_17partition_subalgoE3EN6thrust23THRUST_200600_302600_NS5tupleIssNS7_9null_typeES9_S9_S9_S9_S9_S9_S9_EENS0_10empty_typeEbEEZZNS1_14partition_implILS5_3ELb0ES3_jNS7_6detail15normal_iteratorINS7_7pointerISA_NS7_11hip_rocprim3tagENS7_11use_defaultESJ_EEEEPSB_SM_NS0_5tupleIJPSA_SM_EEENSN_IJSM_SM_EEESB_PlJ10is_orderedEEE10hipError_tPvRmT3_T4_T5_T6_T7_T9_mT8_P12ihipStream_tbDpT10_ENKUlT_T0_E_clISt17integral_constantIbLb0EES1C_EEDaS17_S18_EUlS17_E_NS1_11comp_targetILNS1_3genE4ELNS1_11target_archE910ELNS1_3gpuE8ELNS1_3repE0EEENS1_30default_config_static_selectorELNS0_4arch9wavefront6targetE1EEEvT1_
	.globl	_ZN7rocprim17ROCPRIM_400000_NS6detail17trampoline_kernelINS0_14default_configENS1_25partition_config_selectorILNS1_17partition_subalgoE3EN6thrust23THRUST_200600_302600_NS5tupleIssNS7_9null_typeES9_S9_S9_S9_S9_S9_S9_EENS0_10empty_typeEbEEZZNS1_14partition_implILS5_3ELb0ES3_jNS7_6detail15normal_iteratorINS7_7pointerISA_NS7_11hip_rocprim3tagENS7_11use_defaultESJ_EEEEPSB_SM_NS0_5tupleIJPSA_SM_EEENSN_IJSM_SM_EEESB_PlJ10is_orderedEEE10hipError_tPvRmT3_T4_T5_T6_T7_T9_mT8_P12ihipStream_tbDpT10_ENKUlT_T0_E_clISt17integral_constantIbLb0EES1C_EEDaS17_S18_EUlS17_E_NS1_11comp_targetILNS1_3genE4ELNS1_11target_archE910ELNS1_3gpuE8ELNS1_3repE0EEENS1_30default_config_static_selectorELNS0_4arch9wavefront6targetE1EEEvT1_
	.p2align	8
	.type	_ZN7rocprim17ROCPRIM_400000_NS6detail17trampoline_kernelINS0_14default_configENS1_25partition_config_selectorILNS1_17partition_subalgoE3EN6thrust23THRUST_200600_302600_NS5tupleIssNS7_9null_typeES9_S9_S9_S9_S9_S9_S9_EENS0_10empty_typeEbEEZZNS1_14partition_implILS5_3ELb0ES3_jNS7_6detail15normal_iteratorINS7_7pointerISA_NS7_11hip_rocprim3tagENS7_11use_defaultESJ_EEEEPSB_SM_NS0_5tupleIJPSA_SM_EEENSN_IJSM_SM_EEESB_PlJ10is_orderedEEE10hipError_tPvRmT3_T4_T5_T6_T7_T9_mT8_P12ihipStream_tbDpT10_ENKUlT_T0_E_clISt17integral_constantIbLb0EES1C_EEDaS17_S18_EUlS17_E_NS1_11comp_targetILNS1_3genE4ELNS1_11target_archE910ELNS1_3gpuE8ELNS1_3repE0EEENS1_30default_config_static_selectorELNS0_4arch9wavefront6targetE1EEEvT1_,@function
_ZN7rocprim17ROCPRIM_400000_NS6detail17trampoline_kernelINS0_14default_configENS1_25partition_config_selectorILNS1_17partition_subalgoE3EN6thrust23THRUST_200600_302600_NS5tupleIssNS7_9null_typeES9_S9_S9_S9_S9_S9_S9_EENS0_10empty_typeEbEEZZNS1_14partition_implILS5_3ELb0ES3_jNS7_6detail15normal_iteratorINS7_7pointerISA_NS7_11hip_rocprim3tagENS7_11use_defaultESJ_EEEEPSB_SM_NS0_5tupleIJPSA_SM_EEENSN_IJSM_SM_EEESB_PlJ10is_orderedEEE10hipError_tPvRmT3_T4_T5_T6_T7_T9_mT8_P12ihipStream_tbDpT10_ENKUlT_T0_E_clISt17integral_constantIbLb0EES1C_EEDaS17_S18_EUlS17_E_NS1_11comp_targetILNS1_3genE4ELNS1_11target_archE910ELNS1_3gpuE8ELNS1_3repE0EEENS1_30default_config_static_selectorELNS0_4arch9wavefront6targetE1EEEvT1_: ; @_ZN7rocprim17ROCPRIM_400000_NS6detail17trampoline_kernelINS0_14default_configENS1_25partition_config_selectorILNS1_17partition_subalgoE3EN6thrust23THRUST_200600_302600_NS5tupleIssNS7_9null_typeES9_S9_S9_S9_S9_S9_S9_EENS0_10empty_typeEbEEZZNS1_14partition_implILS5_3ELb0ES3_jNS7_6detail15normal_iteratorINS7_7pointerISA_NS7_11hip_rocprim3tagENS7_11use_defaultESJ_EEEEPSB_SM_NS0_5tupleIJPSA_SM_EEENSN_IJSM_SM_EEESB_PlJ10is_orderedEEE10hipError_tPvRmT3_T4_T5_T6_T7_T9_mT8_P12ihipStream_tbDpT10_ENKUlT_T0_E_clISt17integral_constantIbLb0EES1C_EEDaS17_S18_EUlS17_E_NS1_11comp_targetILNS1_3genE4ELNS1_11target_archE910ELNS1_3gpuE8ELNS1_3repE0EEENS1_30default_config_static_selectorELNS0_4arch9wavefront6targetE1EEEvT1_
; %bb.0:
	s_load_dwordx4 s[20:23], s[4:5], 0x8
	s_load_dwordx4 s[24:27], s[4:5], 0x48
	s_load_dwordx2 s[28:29], s[4:5], 0x58
	s_load_dword s2, s[4:5], 0x70
	s_mov_b32 s35, 0
	s_waitcnt lgkmcnt(0)
	s_lshl_b64 s[0:1], s[22:23], 2
	s_add_u32 s7, s20, s0
	s_addc_u32 s8, s21, s1
	s_mul_i32 s0, s2, 0xa00
	s_add_i32 s1, s0, s22
	s_sub_i32 s33, s28, s1
	s_add_i32 s3, s2, -1
	s_addk_i32 s33, 0xa00
	s_add_u32 s0, s22, s0
	s_addc_u32 s1, s23, 0
	s_cmp_eq_u32 s6, s3
	s_load_dwordx2 s[30:31], s[26:27], 0x0
	s_cselect_b64 s[26:27], -1, 0
	s_cmp_lg_u32 s6, s3
	v_pk_mov_b32 v[2:3], s[28:29], s[28:29] op_sel:[0,1]
	s_cselect_b64 s[2:3], -1, 0
	s_mul_i32 s34, s6, 0xa00
	v_cmp_lt_u64_e32 vcc, s[0:1], v[2:3]
	s_or_b64 s[2:3], s[2:3], vcc
	s_lshl_b64 s[0:1], s[34:35], 2
	s_add_u32 s7, s7, s0
	s_addc_u32 s10, s8, s1
	s_mov_b64 s[0:1], -1
	s_and_b64 vcc, exec, s[2:3]
	v_lshlrev_b32_e32 v1, 2, v0
	s_cbranch_vccz .LBB3530_2
; %bb.1:
	v_mov_b32_e32 v3, s10
	v_add_co_u32_e32 v2, vcc, s7, v1
	v_addc_co_u32_e32 v3, vcc, 0, v3, vcc
	v_add_co_u32_e32 v4, vcc, 0x1000, v2
	v_addc_co_u32_e32 v5, vcc, 0, v3, vcc
	flat_load_dword v6, v[2:3]
	flat_load_dword v7, v[2:3] offset:1024
	flat_load_dword v8, v[2:3] offset:2048
	;; [unrolled: 1-line block ×3, first 2 shown]
	flat_load_dword v10, v[4:5]
	flat_load_dword v11, v[4:5] offset:1024
	flat_load_dword v12, v[4:5] offset:2048
	;; [unrolled: 1-line block ×3, first 2 shown]
	v_add_co_u32_e32 v2, vcc, 0x2000, v2
	v_addc_co_u32_e32 v3, vcc, 0, v3, vcc
	flat_load_dword v4, v[2:3]
	flat_load_dword v5, v[2:3] offset:1024
	s_mov_b64 s[0:1], 0
	s_waitcnt vmcnt(0) lgkmcnt(0)
	ds_write2st64_b32 v1, v6, v7 offset1:4
	ds_write2st64_b32 v1, v8, v9 offset0:8 offset1:12
	ds_write2st64_b32 v1, v10, v11 offset0:16 offset1:20
	;; [unrolled: 1-line block ×4, first 2 shown]
	s_waitcnt lgkmcnt(0)
	s_barrier
.LBB3530_2:
	s_andn2_b64 vcc, exec, s[0:1]
	v_cmp_gt_u32_e64 s[0:1], s33, v0
	s_cbranch_vccnz .LBB3530_24
; %bb.3:
	v_mov_b32_e32 v2, 0
	v_mov_b32_e32 v3, 0
	s_and_saveexec_b64 s[8:9], s[0:1]
	s_cbranch_execz .LBB3530_5
; %bb.4:
	v_mov_b32_e32 v3, s10
	v_add_co_u32_e32 v4, vcc, s7, v1
	v_addc_co_u32_e32 v5, vcc, 0, v3, vcc
	flat_load_dword v3, v[4:5]
.LBB3530_5:
	s_or_b64 exec, exec, s[8:9]
	v_or_b32_e32 v4, 0x100, v0
	v_cmp_gt_u32_e32 vcc, s33, v4
	s_and_saveexec_b64 s[0:1], vcc
	s_cbranch_execz .LBB3530_7
; %bb.6:
	v_mov_b32_e32 v2, s10
	v_add_co_u32_e32 v4, vcc, s7, v1
	v_addc_co_u32_e32 v5, vcc, 0, v2, vcc
	flat_load_dword v2, v[4:5] offset:1024
.LBB3530_7:
	s_or_b64 exec, exec, s[0:1]
	v_or_b32_e32 v4, 0x200, v0
	v_cmp_gt_u32_e32 vcc, s33, v4
	v_mov_b32_e32 v4, 0
	v_mov_b32_e32 v5, 0
	s_and_saveexec_b64 s[0:1], vcc
	s_cbranch_execz .LBB3530_9
; %bb.8:
	v_mov_b32_e32 v5, s10
	v_add_co_u32_e32 v6, vcc, s7, v1
	v_addc_co_u32_e32 v7, vcc, 0, v5, vcc
	flat_load_dword v5, v[6:7] offset:2048
.LBB3530_9:
	s_or_b64 exec, exec, s[0:1]
	v_or_b32_e32 v6, 0x300, v0
	v_cmp_gt_u32_e32 vcc, s33, v6
	s_and_saveexec_b64 s[0:1], vcc
	s_cbranch_execz .LBB3530_11
; %bb.10:
	v_mov_b32_e32 v4, s10
	v_add_co_u32_e32 v6, vcc, s7, v1
	v_addc_co_u32_e32 v7, vcc, 0, v4, vcc
	flat_load_dword v4, v[6:7] offset:3072
.LBB3530_11:
	s_or_b64 exec, exec, s[0:1]
	v_or_b32_e32 v8, 0x400, v0
	v_cmp_gt_u32_e32 vcc, s33, v8
	v_mov_b32_e32 v6, 0
	v_mov_b32_e32 v7, 0
	s_and_saveexec_b64 s[0:1], vcc
	s_cbranch_execz .LBB3530_13
; %bb.12:
	v_lshlrev_b32_e32 v7, 2, v8
	v_mov_b32_e32 v9, s10
	v_add_co_u32_e32 v8, vcc, s7, v7
	v_addc_co_u32_e32 v9, vcc, 0, v9, vcc
	flat_load_dword v7, v[8:9]
.LBB3530_13:
	s_or_b64 exec, exec, s[0:1]
	v_or_b32_e32 v8, 0x500, v0
	v_cmp_gt_u32_e32 vcc, s33, v8
	s_and_saveexec_b64 s[0:1], vcc
	s_cbranch_execz .LBB3530_15
; %bb.14:
	v_lshlrev_b32_e32 v6, 2, v8
	v_mov_b32_e32 v9, s10
	v_add_co_u32_e32 v8, vcc, s7, v6
	v_addc_co_u32_e32 v9, vcc, 0, v9, vcc
	flat_load_dword v6, v[8:9]
.LBB3530_15:
	s_or_b64 exec, exec, s[0:1]
	v_or_b32_e32 v10, 0x600, v0
	v_cmp_gt_u32_e32 vcc, s33, v10
	v_mov_b32_e32 v8, 0
	v_mov_b32_e32 v9, 0
	s_and_saveexec_b64 s[0:1], vcc
	s_cbranch_execz .LBB3530_17
; %bb.16:
	v_lshlrev_b32_e32 v9, 2, v10
	v_mov_b32_e32 v11, s10
	v_add_co_u32_e32 v10, vcc, s7, v9
	v_addc_co_u32_e32 v11, vcc, 0, v11, vcc
	flat_load_dword v9, v[10:11]
.LBB3530_17:
	s_or_b64 exec, exec, s[0:1]
	v_or_b32_e32 v10, 0x700, v0
	v_cmp_gt_u32_e32 vcc, s33, v10
	s_and_saveexec_b64 s[0:1], vcc
	s_cbranch_execz .LBB3530_19
; %bb.18:
	v_lshlrev_b32_e32 v8, 2, v10
	v_mov_b32_e32 v11, s10
	v_add_co_u32_e32 v10, vcc, s7, v8
	v_addc_co_u32_e32 v11, vcc, 0, v11, vcc
	flat_load_dword v8, v[10:11]
.LBB3530_19:
	;; [unrolled: 26-line block ×3, first 2 shown]
	s_or_b64 exec, exec, s[0:1]
	s_waitcnt vmcnt(0) lgkmcnt(0)
	ds_write2st64_b32 v1, v3, v2 offset1:4
	ds_write2st64_b32 v1, v5, v4 offset0:8 offset1:12
	ds_write2st64_b32 v1, v7, v6 offset0:16 offset1:20
	ds_write2st64_b32 v1, v9, v8 offset0:24 offset1:28
	ds_write2st64_b32 v1, v11, v10 offset0:32 offset1:36
	s_waitcnt lgkmcnt(0)
	s_barrier
.LBB3530_24:
	v_mul_u32_u24_e32 v22, 10, v0
	v_lshlrev_b32_e32 v27, 2, v22
	s_waitcnt lgkmcnt(0)
	ds_read2_b64 v[6:9], v27 offset1:1
	ds_read2_b64 v[2:5], v27 offset0:2 offset1:3
	ds_read_b64 v[12:13], v27 offset:32
	v_cndmask_b32_e64 v10, 0, 1, s[2:3]
	v_cmp_ne_u32_e64 s[0:1], 1, v10
	s_andn2_b64 vcc, exec, s[2:3]
	s_waitcnt lgkmcnt(2)
	v_cmp_le_i16_sdwa s[2:3], v6, v6 src0_sel:DWORD src1_sel:WORD_1
	v_cmp_le_i16_sdwa s[10:11], v7, v7 src0_sel:DWORD src1_sel:WORD_1
	;; [unrolled: 1-line block ×4, first 2 shown]
	s_waitcnt lgkmcnt(1)
	v_cmp_le_i16_sdwa s[16:17], v2, v2 src0_sel:DWORD src1_sel:WORD_1
	v_cmp_le_i16_sdwa s[18:19], v3, v3 src0_sel:DWORD src1_sel:WORD_1
	v_cmp_le_i16_sdwa s[20:21], v4, v4 src0_sel:DWORD src1_sel:WORD_1
	v_cmp_le_i16_sdwa s[36:37], v5, v5 src0_sel:DWORD src1_sel:WORD_1
	s_waitcnt lgkmcnt(0)
	v_cmp_le_i16_sdwa s[38:39], v12, v12 src0_sel:DWORD src1_sel:WORD_1
	v_cmp_le_i16_sdwa s[8:9], v13, v13 src0_sel:DWORD src1_sel:WORD_1
	s_barrier
	s_cbranch_vccnz .LBB3530_26
; %bb.25:
	v_cndmask_b32_e64 v11, 0, 1, s[10:11]
	v_cndmask_b32_e64 v10, 0, 1, s[2:3]
	;; [unrolled: 1-line block ×3, first 2 shown]
	v_lshlrev_b16_e32 v11, 8, v11
	v_cndmask_b32_e64 v14, 0, 1, s[12:13]
	v_or_b32_e32 v10, v10, v11
	v_lshlrev_b16_e32 v11, 8, v15
	v_cndmask_b32_e64 v17, 0, 1, s[18:19]
	v_cndmask_b32_e64 v19, 0, 1, s[36:37]
	v_or_b32_sdwa v11, v14, v11 dst_sel:WORD_1 dst_unused:UNUSED_PAD src0_sel:DWORD src1_sel:DWORD
	v_cndmask_b32_e64 v16, 0, 1, s[16:17]
	v_cndmask_b32_e64 v18, 0, 1, s[20:21]
	v_or_b32_sdwa v25, v10, v11 dst_sel:DWORD dst_unused:UNUSED_PAD src0_sel:WORD_0 src1_sel:DWORD
	v_lshlrev_b16_e32 v10, 8, v17
	v_lshlrev_b16_e32 v11, 8, v19
	v_or_b32_e32 v10, v16, v10
	v_or_b32_sdwa v11, v18, v11 dst_sel:WORD_1 dst_unused:UNUSED_PAD src0_sel:DWORD src1_sel:DWORD
	v_cndmask_b32_e64 v23, 0, 1, s[38:39]
	v_or_b32_sdwa v24, v10, v11 dst_sel:DWORD dst_unused:UNUSED_PAD src0_sel:WORD_0 src1_sel:DWORD
	s_and_b64 s[36:37], s[8:9], exec
	s_load_dwordx2 s[38:39], s[4:5], 0x68
	s_cbranch_execz .LBB3530_27
	s_branch .LBB3530_28
.LBB3530_26:
                                        ; implicit-def: $sgpr36_sgpr37
                                        ; implicit-def: $vgpr23
                                        ; implicit-def: $vgpr24
                                        ; implicit-def: $vgpr25
	s_load_dwordx2 s[38:39], s[4:5], 0x68
.LBB3530_27:
	v_cmp_gt_u32_e32 vcc, s33, v22
	v_cmp_le_i16_sdwa s[2:3], v6, v6 src0_sel:DWORD src1_sel:WORD_1
	v_or_b32_e32 v10, 1, v22
	s_and_b64 s[2:3], vcc, s[2:3]
	v_cndmask_b32_e64 v21, 0, 1, s[2:3]
	v_cmp_gt_u32_e32 vcc, s33, v10
	v_cmp_le_i16_sdwa s[2:3], v7, v7 src0_sel:DWORD src1_sel:WORD_1
	v_add_u32_e32 v11, 2, v22
	s_and_b64 s[2:3], vcc, s[2:3]
	v_cndmask_b32_e64 v10, 0, 1, s[2:3]
	v_cmp_gt_u32_e32 vcc, s33, v11
	v_cmp_le_i16_sdwa s[2:3], v8, v8 src0_sel:DWORD src1_sel:WORD_1
	v_add_u32_e32 v14, 3, v22
	;; [unrolled: 5-line block ×8, first 2 shown]
	s_and_b64 s[2:3], vcc, s[2:3]
	v_lshlrev_b16_e32 v10, 8, v10
	v_lshlrev_b16_e32 v14, 8, v14
	v_cndmask_b32_e64 v23, 0, 1, s[2:3]
	v_cmp_gt_u32_e32 vcc, s33, v20
	v_cmp_le_i16_sdwa s[2:3], v13, v13 src0_sel:DWORD src1_sel:WORD_1
	v_or_b32_e32 v10, v21, v10
	v_or_b32_sdwa v11, v11, v14 dst_sel:WORD_1 dst_unused:UNUSED_PAD src0_sel:DWORD src1_sel:DWORD
	s_and_b64 s[2:3], vcc, s[2:3]
	v_or_b32_sdwa v25, v10, v11 dst_sel:DWORD dst_unused:UNUSED_PAD src0_sel:WORD_0 src1_sel:DWORD
	v_lshlrev_b16_e32 v10, 8, v16
	v_lshlrev_b16_e32 v11, 8, v18
	v_or_b32_e32 v10, v15, v10
	v_or_b32_sdwa v11, v17, v11 dst_sel:WORD_1 dst_unused:UNUSED_PAD src0_sel:DWORD src1_sel:DWORD
	s_andn2_b64 s[8:9], s[36:37], exec
	s_and_b64 s[2:3], s[2:3], exec
	v_or_b32_sdwa v24, v10, v11 dst_sel:DWORD dst_unused:UNUSED_PAD src0_sel:WORD_0 src1_sel:DWORD
	s_or_b64 s[36:37], s[8:9], s[2:3]
.LBB3530_28:
	v_cndmask_b32_e64 v10, 0, 1, s[36:37]
	v_bfe_u32 v29, v25, 8, 8
	v_bfe_u32 v30, v25, 16, 8
	v_add_u32_sdwa v10, v25, v10 dst_sel:DWORD dst_unused:UNUSED_PAD src0_sel:BYTE_0 src1_sel:DWORD
	v_lshrrev_b32_e32 v28, 24, v25
	v_and_b32_e32 v31, 0xff, v24
	v_add3_u32 v10, v10, v29, v30
	v_bfe_u32 v32, v24, 8, 8
	v_bfe_u32 v33, v24, 16, 8
	v_add3_u32 v10, v10, v28, v31
	v_lshrrev_b32_e32 v26, 24, v24
	v_and_b32_e32 v34, 0xff, v23
	v_add3_u32 v10, v10, v32, v33
	v_add3_u32 v37, v10, v26, v34
	v_mbcnt_lo_u32_b32 v10, -1, 0
	v_mbcnt_hi_u32_b32 v35, -1, v10
	v_and_b32_e32 v10, 15, v35
	v_cmp_eq_u32_e64 s[16:17], 0, v10
	v_cmp_lt_u32_e64 s[14:15], 1, v10
	v_cmp_lt_u32_e64 s[12:13], 3, v10
	;; [unrolled: 1-line block ×3, first 2 shown]
	v_and_b32_e32 v10, 16, v35
	v_cmp_eq_u32_e64 s[8:9], 0, v10
	v_or_b32_e32 v10, 63, v0
	s_cmp_lg_u32 s6, 0
	v_cmp_lt_u32_e64 s[2:3], 31, v35
	v_lshrrev_b32_e32 v36, 6, v0
	v_cmp_eq_u32_e64 s[20:21], v10, v0
	s_cbranch_scc0 .LBB3530_55
; %bb.29:
	v_mov_b32_dpp v10, v37 row_shr:1 row_mask:0xf bank_mask:0xf
	v_cndmask_b32_e64 v10, v10, 0, s[16:17]
	v_add_u32_e32 v10, v10, v37
	s_nop 1
	v_mov_b32_dpp v11, v10 row_shr:2 row_mask:0xf bank_mask:0xf
	v_cndmask_b32_e64 v11, 0, v11, s[14:15]
	v_add_u32_e32 v10, v10, v11
	s_nop 1
	;; [unrolled: 4-line block ×4, first 2 shown]
	v_mov_b32_dpp v11, v10 row_bcast:15 row_mask:0xf bank_mask:0xf
	v_cndmask_b32_e64 v11, v11, 0, s[8:9]
	v_add_u32_e32 v10, v10, v11
	s_nop 1
	v_mov_b32_dpp v11, v10 row_bcast:31 row_mask:0xf bank_mask:0xf
	v_cndmask_b32_e64 v11, 0, v11, s[2:3]
	v_add_u32_e32 v10, v10, v11
	s_and_saveexec_b64 s[18:19], s[20:21]
	s_cbranch_execz .LBB3530_31
; %bb.30:
	v_lshlrev_b32_e32 v11, 2, v36
	ds_write_b32 v11, v10
.LBB3530_31:
	s_or_b64 exec, exec, s[18:19]
	v_cmp_gt_u32_e32 vcc, 4, v0
	s_waitcnt lgkmcnt(0)
	s_barrier
	s_and_saveexec_b64 s[18:19], vcc
	s_cbranch_execz .LBB3530_33
; %bb.32:
	ds_read_b32 v11, v1
	v_and_b32_e32 v14, 3, v35
	v_cmp_ne_u32_e32 vcc, 0, v14
	s_waitcnt lgkmcnt(0)
	v_mov_b32_dpp v15, v11 row_shr:1 row_mask:0xf bank_mask:0xf
	v_cndmask_b32_e32 v15, 0, v15, vcc
	v_add_u32_e32 v11, v15, v11
	v_cmp_lt_u32_e32 vcc, 1, v14
	s_nop 0
	v_mov_b32_dpp v15, v11 row_shr:2 row_mask:0xf bank_mask:0xf
	v_cndmask_b32_e32 v14, 0, v15, vcc
	v_add_u32_e32 v11, v11, v14
	ds_write_b32 v1, v11
.LBB3530_33:
	s_or_b64 exec, exec, s[18:19]
	v_cmp_gt_u32_e32 vcc, 64, v0
	v_cmp_lt_u32_e64 s[18:19], 63, v0
	s_waitcnt lgkmcnt(0)
	s_barrier
	s_waitcnt lgkmcnt(0)
                                        ; implicit-def: $vgpr38
	s_and_saveexec_b64 s[40:41], s[18:19]
	s_cbranch_execz .LBB3530_35
; %bb.34:
	v_lshl_add_u32 v11, v36, 2, -4
	ds_read_b32 v38, v11
	s_waitcnt lgkmcnt(0)
	v_add_u32_e32 v10, v38, v10
.LBB3530_35:
	s_or_b64 exec, exec, s[40:41]
	v_add_u32_e32 v11, -1, v35
	v_and_b32_e32 v14, 64, v35
	v_cmp_lt_i32_e64 s[18:19], v11, v14
	v_cndmask_b32_e64 v11, v11, v35, s[18:19]
	v_lshlrev_b32_e32 v11, 2, v11
	ds_bpermute_b32 v39, v11, v10
	v_cmp_eq_u32_e64 s[18:19], 0, v35
	s_and_saveexec_b64 s[40:41], vcc
	s_cbranch_execz .LBB3530_54
; %bb.36:
	v_mov_b32_e32 v19, 0
	ds_read_b32 v10, v19 offset:12
	s_and_saveexec_b64 s[42:43], s[18:19]
	s_cbranch_execz .LBB3530_38
; %bb.37:
	s_add_i32 s44, s6, 64
	s_mov_b32 s45, 0
	s_lshl_b64 s[44:45], s[44:45], 3
	s_add_u32 s44, s38, s44
	v_mov_b32_e32 v11, 1
	s_addc_u32 s45, s39, s45
	s_waitcnt lgkmcnt(0)
	global_store_dwordx2 v19, v[10:11], s[44:45]
.LBB3530_38:
	s_or_b64 exec, exec, s[42:43]
	v_xad_u32 v14, v35, -1, s6
	v_add_u32_e32 v18, 64, v14
	v_lshlrev_b64 v[16:17], 3, v[18:19]
	v_mov_b32_e32 v11, s39
	v_add_co_u32_e32 v20, vcc, s38, v16
	v_addc_co_u32_e32 v21, vcc, v11, v17, vcc
	global_load_dwordx2 v[16:17], v[20:21], off glc
	s_waitcnt vmcnt(0)
	v_cmp_eq_u16_sdwa s[44:45], v17, v19 src0_sel:BYTE_0 src1_sel:DWORD
	s_and_saveexec_b64 s[42:43], s[44:45]
	s_cbranch_execz .LBB3530_42
; %bb.39:
	s_mov_b64 s[44:45], 0
	v_mov_b32_e32 v11, 0
.LBB3530_40:                            ; =>This Inner Loop Header: Depth=1
	global_load_dwordx2 v[16:17], v[20:21], off glc
	s_waitcnt vmcnt(0)
	v_cmp_ne_u16_sdwa s[46:47], v17, v11 src0_sel:BYTE_0 src1_sel:DWORD
	s_or_b64 s[44:45], s[46:47], s[44:45]
	s_andn2_b64 exec, exec, s[44:45]
	s_cbranch_execnz .LBB3530_40
; %bb.41:
	s_or_b64 exec, exec, s[44:45]
.LBB3530_42:
	s_or_b64 exec, exec, s[42:43]
	v_and_b32_e32 v41, 63, v35
	v_mov_b32_e32 v40, 2
	v_cmp_ne_u32_e32 vcc, 63, v41
	v_cmp_eq_u16_sdwa s[42:43], v17, v40 src0_sel:BYTE_0 src1_sel:DWORD
	v_lshlrev_b64 v[18:19], v35, -1
	v_addc_co_u32_e32 v20, vcc, 0, v35, vcc
	v_and_b32_e32 v11, s43, v19
	v_lshlrev_b32_e32 v42, 2, v20
	v_or_b32_e32 v11, 0x80000000, v11
	ds_bpermute_b32 v20, v42, v16
	v_and_b32_e32 v15, s42, v18
	v_ffbl_b32_e32 v11, v11
	v_add_u32_e32 v11, 32, v11
	v_ffbl_b32_e32 v15, v15
	v_min_u32_e32 v11, v15, v11
	v_cmp_lt_u32_e32 vcc, v41, v11
	s_waitcnt lgkmcnt(0)
	v_cndmask_b32_e32 v15, 0, v20, vcc
	v_cmp_gt_u32_e32 vcc, 62, v41
	v_add_u32_e32 v15, v15, v16
	v_cndmask_b32_e64 v16, 0, 1, vcc
	v_lshlrev_b32_e32 v16, 1, v16
	v_add_lshl_u32 v43, v16, v35, 2
	ds_bpermute_b32 v16, v43, v15
	v_add_u32_e32 v44, 2, v41
	v_cmp_le_u32_e32 vcc, v44, v11
	v_add_u32_e32 v46, 4, v41
	v_add_u32_e32 v48, 8, v41
	s_waitcnt lgkmcnt(0)
	v_cndmask_b32_e32 v16, 0, v16, vcc
	v_cmp_gt_u32_e32 vcc, 60, v41
	v_add_u32_e32 v15, v15, v16
	v_cndmask_b32_e64 v16, 0, 1, vcc
	v_lshlrev_b32_e32 v16, 2, v16
	v_add_lshl_u32 v45, v16, v35, 2
	ds_bpermute_b32 v16, v45, v15
	v_cmp_le_u32_e32 vcc, v46, v11
	v_add_u32_e32 v50, 16, v41
	v_add_u32_e32 v52, 32, v41
	s_waitcnt lgkmcnt(0)
	v_cndmask_b32_e32 v16, 0, v16, vcc
	v_cmp_gt_u32_e32 vcc, 56, v41
	v_add_u32_e32 v15, v15, v16
	v_cndmask_b32_e64 v16, 0, 1, vcc
	v_lshlrev_b32_e32 v16, 3, v16
	v_add_lshl_u32 v47, v16, v35, 2
	ds_bpermute_b32 v16, v47, v15
	v_cmp_le_u32_e32 vcc, v48, v11
	s_waitcnt lgkmcnt(0)
	v_cndmask_b32_e32 v16, 0, v16, vcc
	v_cmp_gt_u32_e32 vcc, 48, v41
	v_add_u32_e32 v15, v15, v16
	v_cndmask_b32_e64 v16, 0, 1, vcc
	v_lshlrev_b32_e32 v16, 4, v16
	v_add_lshl_u32 v49, v16, v35, 2
	ds_bpermute_b32 v16, v49, v15
	v_cmp_le_u32_e32 vcc, v50, v11
	;; [unrolled: 9-line block ×3, first 2 shown]
	s_waitcnt lgkmcnt(0)
	v_cndmask_b32_e32 v11, 0, v16, vcc
	v_add_u32_e32 v16, v15, v11
	v_mov_b32_e32 v15, 0
	s_branch .LBB3530_44
.LBB3530_43:                            ;   in Loop: Header=BB3530_44 Depth=1
	s_or_b64 exec, exec, s[42:43]
	v_cmp_eq_u16_sdwa s[42:43], v17, v40 src0_sel:BYTE_0 src1_sel:DWORD
	v_and_b32_e32 v20, s43, v19
	v_or_b32_e32 v20, 0x80000000, v20
	ds_bpermute_b32 v53, v42, v16
	v_and_b32_e32 v21, s42, v18
	v_ffbl_b32_e32 v20, v20
	v_add_u32_e32 v20, 32, v20
	v_ffbl_b32_e32 v21, v21
	v_min_u32_e32 v20, v21, v20
	v_cmp_lt_u32_e32 vcc, v41, v20
	s_waitcnt lgkmcnt(0)
	v_cndmask_b32_e32 v21, 0, v53, vcc
	v_add_u32_e32 v16, v21, v16
	ds_bpermute_b32 v21, v43, v16
	v_cmp_le_u32_e32 vcc, v44, v20
	v_subrev_u32_e32 v14, 64, v14
	s_waitcnt lgkmcnt(0)
	v_cndmask_b32_e32 v21, 0, v21, vcc
	v_add_u32_e32 v16, v16, v21
	ds_bpermute_b32 v21, v45, v16
	v_cmp_le_u32_e32 vcc, v46, v20
	s_waitcnt lgkmcnt(0)
	v_cndmask_b32_e32 v21, 0, v21, vcc
	v_add_u32_e32 v16, v16, v21
	ds_bpermute_b32 v21, v47, v16
	v_cmp_le_u32_e32 vcc, v48, v20
	;; [unrolled: 5-line block ×4, first 2 shown]
	s_waitcnt lgkmcnt(0)
	v_cndmask_b32_e32 v20, 0, v21, vcc
	v_add3_u32 v16, v20, v11, v16
.LBB3530_44:                            ; =>This Loop Header: Depth=1
                                        ;     Child Loop BB3530_47 Depth 2
	v_cmp_ne_u16_sdwa s[42:43], v17, v40 src0_sel:BYTE_0 src1_sel:DWORD
	v_cndmask_b32_e64 v11, 0, 1, s[42:43]
	;;#ASMSTART
	;;#ASMEND
	v_cmp_ne_u32_e32 vcc, 0, v11
	s_cmp_lg_u64 vcc, exec
	v_mov_b32_e32 v11, v16
	s_cbranch_scc1 .LBB3530_49
; %bb.45:                               ;   in Loop: Header=BB3530_44 Depth=1
	v_lshlrev_b64 v[16:17], 3, v[14:15]
	v_mov_b32_e32 v21, s39
	v_add_co_u32_e32 v20, vcc, s38, v16
	v_addc_co_u32_e32 v21, vcc, v21, v17, vcc
	global_load_dwordx2 v[16:17], v[20:21], off glc
	s_waitcnt vmcnt(0)
	v_cmp_eq_u16_sdwa s[44:45], v17, v15 src0_sel:BYTE_0 src1_sel:DWORD
	s_and_saveexec_b64 s[42:43], s[44:45]
	s_cbranch_execz .LBB3530_43
; %bb.46:                               ;   in Loop: Header=BB3530_44 Depth=1
	s_mov_b64 s[44:45], 0
.LBB3530_47:                            ;   Parent Loop BB3530_44 Depth=1
                                        ; =>  This Inner Loop Header: Depth=2
	global_load_dwordx2 v[16:17], v[20:21], off glc
	s_waitcnt vmcnt(0)
	v_cmp_ne_u16_sdwa s[46:47], v17, v15 src0_sel:BYTE_0 src1_sel:DWORD
	s_or_b64 s[44:45], s[46:47], s[44:45]
	s_andn2_b64 exec, exec, s[44:45]
	s_cbranch_execnz .LBB3530_47
; %bb.48:                               ;   in Loop: Header=BB3530_44 Depth=1
	s_or_b64 exec, exec, s[44:45]
	s_branch .LBB3530_43
.LBB3530_49:                            ;   in Loop: Header=BB3530_44 Depth=1
                                        ; implicit-def: $vgpr16
                                        ; implicit-def: $vgpr17
	s_cbranch_execz .LBB3530_44
; %bb.50:
	s_and_saveexec_b64 s[42:43], s[18:19]
	s_cbranch_execz .LBB3530_52
; %bb.51:
	s_add_i32 s6, s6, 64
	s_mov_b32 s7, 0
	s_lshl_b64 s[6:7], s[6:7], 3
	s_add_u32 s6, s38, s6
	v_add_u32_e32 v14, v11, v10
	v_mov_b32_e32 v15, 2
	s_addc_u32 s7, s39, s7
	v_mov_b32_e32 v16, 0
	global_store_dwordx2 v16, v[14:15], s[6:7]
	ds_write_b64 v16, v[10:11] offset:10240
.LBB3530_52:
	s_or_b64 exec, exec, s[42:43]
	v_cmp_eq_u32_e32 vcc, 0, v0
	s_and_b64 exec, exec, vcc
	s_cbranch_execz .LBB3530_54
; %bb.53:
	v_mov_b32_e32 v10, 0
	ds_write_b32 v10, v11 offset:12
.LBB3530_54:
	s_or_b64 exec, exec, s[40:41]
	v_mov_b32_e32 v10, 0
	s_waitcnt lgkmcnt(0)
	s_barrier
	ds_read_b32 v11, v10 offset:12
	v_cndmask_b32_e64 v14, v39, v38, s[18:19]
	v_cmp_ne_u32_e32 vcc, 0, v0
	v_cndmask_b32_e32 v14, 0, v14, vcc
	s_waitcnt lgkmcnt(0)
	v_add_u32_e32 v39, v11, v14
	v_add_u32_sdwa v38, v39, v25 dst_sel:DWORD dst_unused:UNUSED_PAD src0_sel:DWORD src1_sel:BYTE_0
	v_add_u32_e32 v21, v38, v29
	v_add_u32_e32 v20, v21, v30
	;; [unrolled: 1-line block ×4, first 2 shown]
	s_barrier
	ds_read_b64 v[10:11], v10 offset:10240
	v_add_u32_e32 v17, v18, v32
	v_add_u32_e32 v16, v17, v33
	;; [unrolled: 1-line block ×4, first 2 shown]
	s_load_dwordx2 s[4:5], s[4:5], 0x28
	s_branch .LBB3530_65
.LBB3530_55:
                                        ; implicit-def: $vgpr11
                                        ; implicit-def: $vgpr14
                                        ; implicit-def: $vgpr15
                                        ; implicit-def: $vgpr16
                                        ; implicit-def: $vgpr17
                                        ; implicit-def: $vgpr18
                                        ; implicit-def: $vgpr19
                                        ; implicit-def: $vgpr20
                                        ; implicit-def: $vgpr21
                                        ; implicit-def: $vgpr38
                                        ; implicit-def: $vgpr39
	s_load_dwordx2 s[4:5], s[4:5], 0x28
	s_cbranch_execz .LBB3530_65
; %bb.56:
	s_waitcnt lgkmcnt(0)
	v_mov_b32_dpp v10, v37 row_shr:1 row_mask:0xf bank_mask:0xf
	v_cndmask_b32_e64 v10, v10, 0, s[16:17]
	v_add_u32_e32 v10, v10, v37
	s_nop 1
	v_mov_b32_dpp v11, v10 row_shr:2 row_mask:0xf bank_mask:0xf
	v_cndmask_b32_e64 v11, 0, v11, s[14:15]
	v_add_u32_e32 v10, v10, v11
	s_nop 1
	;; [unrolled: 4-line block ×4, first 2 shown]
	v_mov_b32_dpp v11, v10 row_bcast:15 row_mask:0xf bank_mask:0xf
	v_cndmask_b32_e64 v11, v11, 0, s[8:9]
	v_add_u32_e32 v10, v10, v11
	s_nop 1
	v_mov_b32_dpp v11, v10 row_bcast:31 row_mask:0xf bank_mask:0xf
	v_cndmask_b32_e64 v11, 0, v11, s[2:3]
	v_add_u32_e32 v10, v10, v11
	s_and_saveexec_b64 s[2:3], s[20:21]
	s_cbranch_execz .LBB3530_58
; %bb.57:
	v_lshlrev_b32_e32 v11, 2, v36
	ds_write_b32 v11, v10
.LBB3530_58:
	s_or_b64 exec, exec, s[2:3]
	v_cmp_gt_u32_e32 vcc, 4, v0
	s_waitcnt lgkmcnt(0)
	s_barrier
	s_and_saveexec_b64 s[2:3], vcc
	s_cbranch_execz .LBB3530_60
; %bb.59:
	s_movk_i32 s6, 0xffdc
	v_mad_i32_i24 v11, v0, s6, v27
	ds_read_b32 v14, v11
	v_and_b32_e32 v15, 3, v35
	v_cmp_ne_u32_e32 vcc, 0, v15
	s_waitcnt lgkmcnt(0)
	v_mov_b32_dpp v16, v14 row_shr:1 row_mask:0xf bank_mask:0xf
	v_cndmask_b32_e32 v16, 0, v16, vcc
	v_add_u32_e32 v14, v16, v14
	v_cmp_lt_u32_e32 vcc, 1, v15
	s_nop 0
	v_mov_b32_dpp v16, v14 row_shr:2 row_mask:0xf bank_mask:0xf
	v_cndmask_b32_e32 v15, 0, v16, vcc
	v_add_u32_e32 v14, v14, v15
	ds_write_b32 v11, v14
.LBB3530_60:
	s_or_b64 exec, exec, s[2:3]
	v_cmp_lt_u32_e32 vcc, 63, v0
	v_mov_b32_e32 v11, 0
	v_mov_b32_e32 v14, 0
	s_waitcnt lgkmcnt(0)
	s_barrier
	s_and_saveexec_b64 s[2:3], vcc
	s_cbranch_execz .LBB3530_62
; %bb.61:
	v_lshl_add_u32 v14, v36, 2, -4
	ds_read_b32 v14, v14
.LBB3530_62:
	s_or_b64 exec, exec, s[2:3]
	v_add_u32_e32 v15, -1, v35
	v_and_b32_e32 v16, 64, v35
	v_cmp_lt_i32_e32 vcc, v15, v16
	v_cndmask_b32_e32 v15, v15, v35, vcc
	s_waitcnt lgkmcnt(0)
	v_add_u32_e32 v10, v14, v10
	v_lshlrev_b32_e32 v15, 2, v15
	ds_bpermute_b32 v15, v15, v10
	ds_read_b32 v10, v11 offset:12
	v_cmp_eq_u32_e32 vcc, 0, v0
	s_and_saveexec_b64 s[2:3], vcc
	s_cbranch_execz .LBB3530_64
; %bb.63:
	v_mov_b32_e32 v16, 0
	v_mov_b32_e32 v11, 2
	s_waitcnt lgkmcnt(0)
	global_store_dwordx2 v16, v[10:11], s[38:39] offset:512
.LBB3530_64:
	s_or_b64 exec, exec, s[2:3]
	v_cmp_eq_u32_e64 s[2:3], 0, v35
	s_waitcnt lgkmcnt(1)
	v_cndmask_b32_e64 v14, v15, v14, s[2:3]
	v_cndmask_b32_e64 v39, v14, 0, vcc
	v_add_u32_sdwa v38, v39, v25 dst_sel:DWORD dst_unused:UNUSED_PAD src0_sel:DWORD src1_sel:BYTE_0
	v_add_u32_e32 v21, v38, v29
	v_add_u32_e32 v20, v21, v30
	;; [unrolled: 1-line block ×7, first 2 shown]
	v_mov_b32_e32 v11, 0
	v_add_u32_e32 v14, v15, v34
	s_waitcnt lgkmcnt(0)
	s_barrier
.LBB3530_65:
	s_waitcnt lgkmcnt(0)
	v_add_u32_e32 v22, v10, v22
	v_sub_u32_e32 v30, v39, v11
	v_and_b32_e32 v32, 1, v25
	v_sub_u32_e32 v31, v22, v30
	v_cmp_eq_u32_e32 vcc, 1, v32
	v_cndmask_b32_e32 v30, v31, v30, vcc
	v_lshlrev_b32_e32 v30, 2, v30
	v_lshrrev_b32_e32 v29, 8, v25
	ds_write_b32 v30, v6
	v_sub_u32_e32 v6, v38, v11
	v_sub_u32_e32 v30, v22, v6
	v_and_b32_e32 v29, 1, v29
	v_add_u32_e32 v30, 1, v30
	v_cmp_eq_u32_e32 vcc, 1, v29
	v_cndmask_b32_e32 v6, v30, v6, vcc
	v_lshlrev_b32_e32 v6, 2, v6
	ds_write_b32 v6, v7
	v_sub_u32_e32 v6, v21, v11
	v_mov_b32_e32 v21, 1
	v_sub_u32_e32 v7, v22, v6
	v_and_b32_sdwa v25, v21, v25 dst_sel:DWORD dst_unused:UNUSED_PAD src0_sel:DWORD src1_sel:WORD_1
	v_add_u32_e32 v7, 2, v7
	v_cmp_eq_u32_e32 vcc, 1, v25
	v_cndmask_b32_e32 v6, v7, v6, vcc
	v_lshlrev_b32_e32 v6, 2, v6
	ds_write_b32 v6, v8
	v_sub_u32_e32 v6, v20, v11
	v_sub_u32_e32 v7, v22, v6
	v_and_b32_e32 v8, 1, v28
	v_add_u32_e32 v7, 3, v7
	v_cmp_eq_u32_e32 vcc, 1, v8
	v_cndmask_b32_e32 v6, v7, v6, vcc
	v_lshlrev_b32_e32 v6, 2, v6
	ds_write_b32 v6, v9
	v_sub_u32_e32 v6, v19, v11
	v_sub_u32_e32 v7, v22, v6
	v_and_b32_e32 v8, 1, v24
	v_add_u32_e32 v7, 4, v7
	v_cmp_eq_u32_e32 vcc, 1, v8
	v_cndmask_b32_e32 v6, v7, v6, vcc
	v_lshlrev_b32_e32 v6, 2, v6
	v_lshrrev_b32_e32 v27, 8, v24
	ds_write_b32 v6, v2
	v_sub_u32_e32 v2, v18, v11
	v_sub_u32_e32 v6, v22, v2
	v_and_b32_e32 v7, 1, v27
	v_add_u32_e32 v6, 5, v6
	v_cmp_eq_u32_e32 vcc, 1, v7
	v_cndmask_b32_e32 v2, v6, v2, vcc
	v_lshlrev_b32_e32 v2, 2, v2
	ds_write_b32 v2, v3
	v_sub_u32_e32 v2, v17, v11
	v_sub_u32_e32 v3, v22, v2
	v_and_b32_sdwa v6, v21, v24 dst_sel:DWORD dst_unused:UNUSED_PAD src0_sel:DWORD src1_sel:WORD_1
	v_add_u32_e32 v3, 6, v3
	v_cmp_eq_u32_e32 vcc, 1, v6
	v_cndmask_b32_e32 v2, v3, v2, vcc
	v_lshlrev_b32_e32 v2, 2, v2
	ds_write_b32 v2, v4
	v_sub_u32_e32 v2, v16, v11
	v_sub_u32_e32 v3, v22, v2
	v_and_b32_e32 v4, 1, v26
	v_add_u32_e32 v3, 7, v3
	v_cmp_eq_u32_e32 vcc, 1, v4
	v_cndmask_b32_e32 v2, v3, v2, vcc
	v_lshlrev_b32_e32 v2, 2, v2
	ds_write_b32 v2, v5
	v_sub_u32_e32 v2, v15, v11
	v_sub_u32_e32 v3, v22, v2
	v_and_b32_e32 v4, 1, v23
	v_add_u32_e32 v3, 8, v3
	v_cmp_eq_u32_e32 vcc, 1, v4
	v_cndmask_b32_e32 v2, v3, v2, vcc
	v_lshlrev_b32_e32 v2, 2, v2
	ds_write_b32 v2, v12
	v_sub_u32_e32 v2, v14, v11
	v_sub_u32_e32 v3, v22, v2
	v_add_u32_e32 v3, 9, v3
	v_cndmask_b32_e64 v2, v3, v2, s[36:37]
	s_add_u32 s2, s22, s34
	v_lshlrev_b32_e32 v2, 2, v2
	s_addc_u32 s3, s23, 0
	ds_write_b32 v2, v13
	s_waitcnt lgkmcnt(0)
	s_barrier
	ds_read2st64_b32 v[12:13], v1 offset1:4
	ds_read2st64_b32 v[8:9], v1 offset0:8 offset1:12
	ds_read2st64_b32 v[6:7], v1 offset0:16 offset1:20
	;; [unrolled: 1-line block ×4, first 2 shown]
	v_mov_b32_e32 v14, s31
	v_add_co_u32_e32 v1, vcc, s30, v11
	s_sub_u32 s2, s28, s2
	v_addc_co_u32_e32 v11, vcc, 0, v14, vcc
	s_subb_u32 s3, s29, s3
	v_mov_b32_e32 v14, s3
	v_add_co_u32_e32 v15, vcc, s2, v10
	v_addc_co_u32_e32 v14, vcc, 0, v14, vcc
	s_and_b64 vcc, exec, s[0:1]
	v_add_co_u32_e64 v17, s[0:1], v15, v1
	v_or_b32_e32 v26, 0x100, v0
	v_or_b32_e32 v25, 0x200, v0
	;; [unrolled: 1-line block ×9, first 2 shown]
	v_addc_co_u32_e64 v18, s[0:1], v14, v11, s[0:1]
	s_cbranch_vccnz .LBB3530_107
; %bb.66:
	v_cmp_ge_u32_e32 vcc, v0, v10
                                        ; implicit-def: $vgpr14_vgpr15
	s_and_saveexec_b64 s[0:1], vcc
	s_xor_b64 s[0:1], exec, s[0:1]
; %bb.67:
	v_not_b32_e32 v14, v0
	v_ashrrev_i32_e32 v15, 31, v14
	v_add_co_u32_e32 v14, vcc, v17, v14
	v_addc_co_u32_e32 v15, vcc, v18, v15, vcc
; %bb.68:
	s_andn2_saveexec_b64 s[0:1], s[0:1]
; %bb.69:
	v_add_co_u32_e32 v14, vcc, v1, v0
	v_addc_co_u32_e32 v15, vcc, 0, v11, vcc
; %bb.70:
	s_or_b64 exec, exec, s[0:1]
	v_lshlrev_b64 v[14:15], 2, v[14:15]
	v_mov_b32_e32 v27, s5
	v_add_co_u32_e32 v14, vcc, s4, v14
	v_addc_co_u32_e32 v15, vcc, v27, v15, vcc
	v_cmp_ge_u32_e32 vcc, v26, v10
	s_waitcnt lgkmcnt(4)
	global_store_dword v[14:15], v12, off
                                        ; implicit-def: $vgpr14_vgpr15
	s_and_saveexec_b64 s[0:1], vcc
	s_xor_b64 s[0:1], exec, s[0:1]
; %bb.71:
	v_xor_b32_e32 v14, 0xfffffeff, v0
	v_ashrrev_i32_e32 v15, 31, v14
	v_add_co_u32_e32 v14, vcc, v17, v14
	v_addc_co_u32_e32 v15, vcc, v18, v15, vcc
; %bb.72:
	s_andn2_saveexec_b64 s[0:1], s[0:1]
; %bb.73:
	v_add_co_u32_e32 v14, vcc, v1, v26
	v_addc_co_u32_e32 v15, vcc, 0, v11, vcc
; %bb.74:
	s_or_b64 exec, exec, s[0:1]
	v_lshlrev_b64 v[14:15], 2, v[14:15]
	v_mov_b32_e32 v27, s5
	v_add_co_u32_e32 v14, vcc, s4, v14
	v_addc_co_u32_e32 v15, vcc, v27, v15, vcc
	v_cmp_ge_u32_e32 vcc, v25, v10
	global_store_dword v[14:15], v13, off
                                        ; implicit-def: $vgpr14_vgpr15
	s_and_saveexec_b64 s[0:1], vcc
	s_xor_b64 s[0:1], exec, s[0:1]
; %bb.75:
	v_xor_b32_e32 v14, 0xfffffdff, v0
	v_ashrrev_i32_e32 v15, 31, v14
	v_add_co_u32_e32 v14, vcc, v17, v14
	v_addc_co_u32_e32 v15, vcc, v18, v15, vcc
; %bb.76:
	s_andn2_saveexec_b64 s[0:1], s[0:1]
; %bb.77:
	v_add_co_u32_e32 v14, vcc, v1, v25
	v_addc_co_u32_e32 v15, vcc, 0, v11, vcc
; %bb.78:
	s_or_b64 exec, exec, s[0:1]
	v_lshlrev_b64 v[14:15], 2, v[14:15]
	v_mov_b32_e32 v27, s5
	v_add_co_u32_e32 v14, vcc, s4, v14
	v_addc_co_u32_e32 v15, vcc, v27, v15, vcc
	v_cmp_ge_u32_e32 vcc, v24, v10
	s_waitcnt lgkmcnt(3)
	global_store_dword v[14:15], v8, off
                                        ; implicit-def: $vgpr14_vgpr15
	s_and_saveexec_b64 s[0:1], vcc
	s_xor_b64 s[0:1], exec, s[0:1]
; %bb.79:
	v_xor_b32_e32 v14, 0xfffffcff, v0
	v_ashrrev_i32_e32 v15, 31, v14
	v_add_co_u32_e32 v14, vcc, v17, v14
	v_addc_co_u32_e32 v15, vcc, v18, v15, vcc
; %bb.80:
	s_andn2_saveexec_b64 s[0:1], s[0:1]
; %bb.81:
	v_add_co_u32_e32 v14, vcc, v1, v24
	v_addc_co_u32_e32 v15, vcc, 0, v11, vcc
; %bb.82:
	s_or_b64 exec, exec, s[0:1]
	v_lshlrev_b64 v[14:15], 2, v[14:15]
	v_mov_b32_e32 v27, s5
	v_add_co_u32_e32 v14, vcc, s4, v14
	v_addc_co_u32_e32 v15, vcc, v27, v15, vcc
	v_cmp_ge_u32_e32 vcc, v23, v10
	global_store_dword v[14:15], v9, off
                                        ; implicit-def: $vgpr14_vgpr15
	s_and_saveexec_b64 s[0:1], vcc
	s_xor_b64 s[0:1], exec, s[0:1]
; %bb.83:
	v_xor_b32_e32 v14, 0xfffffbff, v0
	;; [unrolled: 43-line block ×4, first 2 shown]
	v_ashrrev_i32_e32 v15, 31, v14
	v_add_co_u32_e32 v14, vcc, v17, v14
	v_addc_co_u32_e32 v15, vcc, v18, v15, vcc
; %bb.100:
	s_andn2_saveexec_b64 s[0:1], s[0:1]
; %bb.101:
	v_add_co_u32_e32 v14, vcc, v1, v19
	v_addc_co_u32_e32 v15, vcc, 0, v11, vcc
; %bb.102:
	s_or_b64 exec, exec, s[0:1]
	v_lshlrev_b64 v[14:15], 2, v[14:15]
	v_mov_b32_e32 v27, s5
	v_add_co_u32_e32 v14, vcc, s4, v14
	v_addc_co_u32_e32 v15, vcc, v27, v15, vcc
	v_cmp_ge_u32_e32 vcc, v16, v10
	s_waitcnt lgkmcnt(0)
	global_store_dword v[14:15], v2, off
                                        ; implicit-def: $vgpr14_vgpr15
	s_and_saveexec_b64 s[0:1], vcc
	s_xor_b64 s[0:1], exec, s[0:1]
; %bb.103:
	v_xor_b32_e32 v14, 0xfffff6ff, v0
	v_ashrrev_i32_e32 v15, 31, v14
	v_add_co_u32_e32 v14, vcc, v17, v14
	v_addc_co_u32_e32 v15, vcc, v18, v15, vcc
; %bb.104:
	s_andn2_saveexec_b64 s[0:1], s[0:1]
; %bb.105:
	v_add_co_u32_e32 v14, vcc, v1, v16
	v_addc_co_u32_e32 v15, vcc, 0, v11, vcc
; %bb.106:
	s_or_b64 exec, exec, s[0:1]
	s_mov_b64 s[0:1], -1
	s_branch .LBB3530_169
.LBB3530_107:
	s_mov_b64 s[0:1], 0
                                        ; implicit-def: $vgpr14_vgpr15
	s_cbranch_execz .LBB3530_169
; %bb.108:
	v_cmp_gt_u32_e32 vcc, s33, v0
	s_and_saveexec_b64 s[2:3], vcc
	s_cbranch_execz .LBB3530_134
; %bb.109:
	v_cmp_ge_u32_e32 vcc, v0, v10
                                        ; implicit-def: $vgpr14_vgpr15
	s_and_saveexec_b64 s[6:7], vcc
	s_xor_b64 s[6:7], exec, s[6:7]
; %bb.110:
	v_not_b32_e32 v14, v0
	v_ashrrev_i32_e32 v15, 31, v14
	v_add_co_u32_e32 v14, vcc, v17, v14
	v_addc_co_u32_e32 v15, vcc, v18, v15, vcc
; %bb.111:
	s_andn2_saveexec_b64 s[6:7], s[6:7]
; %bb.112:
	v_add_co_u32_e32 v14, vcc, v1, v0
	v_addc_co_u32_e32 v15, vcc, 0, v11, vcc
; %bb.113:
	s_or_b64 exec, exec, s[6:7]
	v_lshlrev_b64 v[14:15], 2, v[14:15]
	v_mov_b32_e32 v27, s5
	v_add_co_u32_e32 v14, vcc, s4, v14
	v_addc_co_u32_e32 v15, vcc, v27, v15, vcc
	s_waitcnt lgkmcnt(4)
	global_store_dword v[14:15], v12, off
	s_or_b64 exec, exec, s[2:3]
	v_cmp_gt_u32_e32 vcc, s33, v26
	s_and_saveexec_b64 s[2:3], vcc
	s_cbranch_execnz .LBB3530_135
.LBB3530_114:
	s_or_b64 exec, exec, s[2:3]
	v_cmp_gt_u32_e32 vcc, s33, v25
	s_and_saveexec_b64 s[2:3], vcc
	s_cbranch_execz .LBB3530_140
.LBB3530_115:
	v_cmp_ge_u32_e32 vcc, v25, v10
                                        ; implicit-def: $vgpr12_vgpr13
	s_and_saveexec_b64 s[6:7], vcc
	s_xor_b64 s[6:7], exec, s[6:7]
	s_cbranch_execz .LBB3530_117
; %bb.116:
	s_waitcnt lgkmcnt(4)
	v_xor_b32_e32 v12, 0xfffffdff, v0
	v_ashrrev_i32_e32 v13, 31, v12
	v_add_co_u32_e32 v12, vcc, v17, v12
	v_addc_co_u32_e32 v13, vcc, v18, v13, vcc
                                        ; implicit-def: $vgpr25
.LBB3530_117:
	s_andn2_saveexec_b64 s[6:7], s[6:7]
	s_cbranch_execz .LBB3530_119
; %bb.118:
	s_waitcnt lgkmcnt(4)
	v_add_co_u32_e32 v12, vcc, v1, v25
	v_addc_co_u32_e32 v13, vcc, 0, v11, vcc
.LBB3530_119:
	s_or_b64 exec, exec, s[6:7]
	s_waitcnt lgkmcnt(4)
	v_lshlrev_b64 v[12:13], 2, v[12:13]
	v_mov_b32_e32 v14, s5
	v_add_co_u32_e32 v12, vcc, s4, v12
	v_addc_co_u32_e32 v13, vcc, v14, v13, vcc
	s_waitcnt lgkmcnt(3)
	global_store_dword v[12:13], v8, off
	s_or_b64 exec, exec, s[2:3]
	v_cmp_gt_u32_e32 vcc, s33, v24
	s_and_saveexec_b64 s[2:3], vcc
	s_cbranch_execnz .LBB3530_141
.LBB3530_120:
	s_or_b64 exec, exec, s[2:3]
	v_cmp_gt_u32_e32 vcc, s33, v23
	s_and_saveexec_b64 s[2:3], vcc
	s_cbranch_execz .LBB3530_146
.LBB3530_121:
	v_cmp_ge_u32_e32 vcc, v23, v10
                                        ; implicit-def: $vgpr8_vgpr9
	s_and_saveexec_b64 s[6:7], vcc
	s_xor_b64 s[6:7], exec, s[6:7]
	s_cbranch_execz .LBB3530_123
; %bb.122:
	s_waitcnt lgkmcnt(3)
	v_xor_b32_e32 v8, 0xfffffbff, v0
	v_ashrrev_i32_e32 v9, 31, v8
	v_add_co_u32_e32 v8, vcc, v17, v8
	v_addc_co_u32_e32 v9, vcc, v18, v9, vcc
                                        ; implicit-def: $vgpr23
.LBB3530_123:
	s_andn2_saveexec_b64 s[6:7], s[6:7]
	s_cbranch_execz .LBB3530_125
; %bb.124:
	s_waitcnt lgkmcnt(3)
	v_add_co_u32_e32 v8, vcc, v1, v23
	v_addc_co_u32_e32 v9, vcc, 0, v11, vcc
.LBB3530_125:
	s_or_b64 exec, exec, s[6:7]
	s_waitcnt lgkmcnt(3)
	v_lshlrev_b64 v[8:9], 2, v[8:9]
	v_mov_b32_e32 v12, s5
	v_add_co_u32_e32 v8, vcc, s4, v8
	v_addc_co_u32_e32 v9, vcc, v12, v9, vcc
	s_waitcnt lgkmcnt(2)
	global_store_dword v[8:9], v6, off
	s_or_b64 exec, exec, s[2:3]
	v_cmp_gt_u32_e32 vcc, s33, v22
	s_and_saveexec_b64 s[2:3], vcc
	s_cbranch_execnz .LBB3530_147
.LBB3530_126:
	s_or_b64 exec, exec, s[2:3]
	v_cmp_gt_u32_e32 vcc, s33, v21
	s_and_saveexec_b64 s[2:3], vcc
	s_cbranch_execz .LBB3530_152
.LBB3530_127:
	v_cmp_ge_u32_e32 vcc, v21, v10
                                        ; implicit-def: $vgpr6_vgpr7
	s_and_saveexec_b64 s[6:7], vcc
	s_xor_b64 s[6:7], exec, s[6:7]
	s_cbranch_execz .LBB3530_129
; %bb.128:
	s_waitcnt lgkmcnt(2)
	v_xor_b32_e32 v6, 0xfffff9ff, v0
	v_ashrrev_i32_e32 v7, 31, v6
	v_add_co_u32_e32 v6, vcc, v17, v6
	v_addc_co_u32_e32 v7, vcc, v18, v7, vcc
                                        ; implicit-def: $vgpr21
.LBB3530_129:
	s_andn2_saveexec_b64 s[6:7], s[6:7]
	s_cbranch_execz .LBB3530_131
; %bb.130:
	s_waitcnt lgkmcnt(2)
	v_add_co_u32_e32 v6, vcc, v1, v21
	v_addc_co_u32_e32 v7, vcc, 0, v11, vcc
.LBB3530_131:
	s_or_b64 exec, exec, s[6:7]
	s_waitcnt lgkmcnt(2)
	v_lshlrev_b64 v[6:7], 2, v[6:7]
	v_mov_b32_e32 v8, s5
	v_add_co_u32_e32 v6, vcc, s4, v6
	v_addc_co_u32_e32 v7, vcc, v8, v7, vcc
	s_waitcnt lgkmcnt(1)
	global_store_dword v[6:7], v4, off
	s_or_b64 exec, exec, s[2:3]
	v_cmp_gt_u32_e32 vcc, s33, v20
	s_and_saveexec_b64 s[2:3], vcc
	s_cbranch_execnz .LBB3530_153
.LBB3530_132:
	s_or_b64 exec, exec, s[2:3]
	v_cmp_gt_u32_e32 vcc, s33, v19
	s_and_saveexec_b64 s[2:3], vcc
	s_cbranch_execnz .LBB3530_158
.LBB3530_133:
	s_or_b64 exec, exec, s[2:3]
	v_cmp_gt_u32_e32 vcc, s33, v16
                                        ; implicit-def: $vgpr14_vgpr15
	s_and_saveexec_b64 s[2:3], vcc
	s_cbranch_execz .LBB3530_168
	s_branch .LBB3530_163
.LBB3530_134:
	s_or_b64 exec, exec, s[2:3]
	v_cmp_gt_u32_e32 vcc, s33, v26
	s_and_saveexec_b64 s[2:3], vcc
	s_cbranch_execz .LBB3530_114
.LBB3530_135:
	v_cmp_ge_u32_e32 vcc, v26, v10
                                        ; implicit-def: $vgpr14_vgpr15
	s_and_saveexec_b64 s[6:7], vcc
	s_xor_b64 s[6:7], exec, s[6:7]
	s_cbranch_execz .LBB3530_137
; %bb.136:
	s_waitcnt lgkmcnt(4)
	v_xor_b32_e32 v12, 0xfffffeff, v0
	v_ashrrev_i32_e32 v15, 31, v12
	v_add_co_u32_e32 v14, vcc, v17, v12
	v_addc_co_u32_e32 v15, vcc, v18, v15, vcc
                                        ; implicit-def: $vgpr26
.LBB3530_137:
	s_andn2_saveexec_b64 s[6:7], s[6:7]
; %bb.138:
	v_add_co_u32_e32 v14, vcc, v1, v26
	v_addc_co_u32_e32 v15, vcc, 0, v11, vcc
; %bb.139:
	s_or_b64 exec, exec, s[6:7]
	v_lshlrev_b64 v[14:15], 2, v[14:15]
	s_waitcnt lgkmcnt(4)
	v_mov_b32_e32 v12, s5
	v_add_co_u32_e32 v14, vcc, s4, v14
	v_addc_co_u32_e32 v15, vcc, v12, v15, vcc
	global_store_dword v[14:15], v13, off
	s_or_b64 exec, exec, s[2:3]
	v_cmp_gt_u32_e32 vcc, s33, v25
	s_and_saveexec_b64 s[2:3], vcc
	s_cbranch_execnz .LBB3530_115
.LBB3530_140:
	s_or_b64 exec, exec, s[2:3]
	v_cmp_gt_u32_e32 vcc, s33, v24
	s_and_saveexec_b64 s[2:3], vcc
	s_cbranch_execz .LBB3530_120
.LBB3530_141:
	v_cmp_ge_u32_e32 vcc, v24, v10
                                        ; implicit-def: $vgpr12_vgpr13
	s_and_saveexec_b64 s[6:7], vcc
	s_xor_b64 s[6:7], exec, s[6:7]
	s_cbranch_execz .LBB3530_143
; %bb.142:
	s_waitcnt lgkmcnt(3)
	v_xor_b32_e32 v8, 0xfffffcff, v0
	v_ashrrev_i32_e32 v13, 31, v8
	v_add_co_u32_e32 v12, vcc, v17, v8
	v_addc_co_u32_e32 v13, vcc, v18, v13, vcc
                                        ; implicit-def: $vgpr24
.LBB3530_143:
	s_andn2_saveexec_b64 s[6:7], s[6:7]
	s_cbranch_execz .LBB3530_145
; %bb.144:
	s_waitcnt lgkmcnt(4)
	v_add_co_u32_e32 v12, vcc, v1, v24
	v_addc_co_u32_e32 v13, vcc, 0, v11, vcc
.LBB3530_145:
	s_or_b64 exec, exec, s[6:7]
	s_waitcnt lgkmcnt(4)
	v_lshlrev_b64 v[12:13], 2, v[12:13]
	s_waitcnt lgkmcnt(3)
	v_mov_b32_e32 v8, s5
	v_add_co_u32_e32 v12, vcc, s4, v12
	v_addc_co_u32_e32 v13, vcc, v8, v13, vcc
	global_store_dword v[12:13], v9, off
	s_or_b64 exec, exec, s[2:3]
	v_cmp_gt_u32_e32 vcc, s33, v23
	s_and_saveexec_b64 s[2:3], vcc
	s_cbranch_execnz .LBB3530_121
.LBB3530_146:
	s_or_b64 exec, exec, s[2:3]
	v_cmp_gt_u32_e32 vcc, s33, v22
	s_and_saveexec_b64 s[2:3], vcc
	s_cbranch_execz .LBB3530_126
.LBB3530_147:
	v_cmp_ge_u32_e32 vcc, v22, v10
                                        ; implicit-def: $vgpr8_vgpr9
	s_and_saveexec_b64 s[6:7], vcc
	s_xor_b64 s[6:7], exec, s[6:7]
	s_cbranch_execz .LBB3530_149
; %bb.148:
	s_waitcnt lgkmcnt(2)
	v_xor_b32_e32 v6, 0xfffffaff, v0
	v_ashrrev_i32_e32 v9, 31, v6
	v_add_co_u32_e32 v8, vcc, v17, v6
	v_addc_co_u32_e32 v9, vcc, v18, v9, vcc
                                        ; implicit-def: $vgpr22
.LBB3530_149:
	s_andn2_saveexec_b64 s[6:7], s[6:7]
	s_cbranch_execz .LBB3530_151
; %bb.150:
	s_waitcnt lgkmcnt(3)
	v_add_co_u32_e32 v8, vcc, v1, v22
	v_addc_co_u32_e32 v9, vcc, 0, v11, vcc
.LBB3530_151:
	s_or_b64 exec, exec, s[6:7]
	s_waitcnt lgkmcnt(3)
	v_lshlrev_b64 v[8:9], 2, v[8:9]
	s_waitcnt lgkmcnt(2)
	v_mov_b32_e32 v6, s5
	v_add_co_u32_e32 v8, vcc, s4, v8
	v_addc_co_u32_e32 v9, vcc, v6, v9, vcc
	global_store_dword v[8:9], v7, off
	s_or_b64 exec, exec, s[2:3]
	v_cmp_gt_u32_e32 vcc, s33, v21
	s_and_saveexec_b64 s[2:3], vcc
	s_cbranch_execnz .LBB3530_127
.LBB3530_152:
	s_or_b64 exec, exec, s[2:3]
	v_cmp_gt_u32_e32 vcc, s33, v20
	s_and_saveexec_b64 s[2:3], vcc
	s_cbranch_execz .LBB3530_132
.LBB3530_153:
	v_cmp_ge_u32_e32 vcc, v20, v10
                                        ; implicit-def: $vgpr6_vgpr7
	s_and_saveexec_b64 s[6:7], vcc
	s_xor_b64 s[6:7], exec, s[6:7]
	s_cbranch_execz .LBB3530_155
; %bb.154:
	s_waitcnt lgkmcnt(1)
	v_xor_b32_e32 v4, 0xfffff8ff, v0
	v_ashrrev_i32_e32 v7, 31, v4
	v_add_co_u32_e32 v6, vcc, v17, v4
	v_addc_co_u32_e32 v7, vcc, v18, v7, vcc
                                        ; implicit-def: $vgpr20
.LBB3530_155:
	s_andn2_saveexec_b64 s[6:7], s[6:7]
	s_cbranch_execz .LBB3530_157
; %bb.156:
	s_waitcnt lgkmcnt(2)
	v_add_co_u32_e32 v6, vcc, v1, v20
	v_addc_co_u32_e32 v7, vcc, 0, v11, vcc
.LBB3530_157:
	s_or_b64 exec, exec, s[6:7]
	s_waitcnt lgkmcnt(2)
	v_lshlrev_b64 v[6:7], 2, v[6:7]
	s_waitcnt lgkmcnt(1)
	v_mov_b32_e32 v4, s5
	v_add_co_u32_e32 v6, vcc, s4, v6
	v_addc_co_u32_e32 v7, vcc, v4, v7, vcc
	global_store_dword v[6:7], v5, off
	s_or_b64 exec, exec, s[2:3]
	v_cmp_gt_u32_e32 vcc, s33, v19
	s_and_saveexec_b64 s[2:3], vcc
	s_cbranch_execz .LBB3530_133
.LBB3530_158:
	v_cmp_ge_u32_e32 vcc, v19, v10
                                        ; implicit-def: $vgpr4_vgpr5
	s_and_saveexec_b64 s[6:7], vcc
	s_xor_b64 s[6:7], exec, s[6:7]
	s_cbranch_execz .LBB3530_160
; %bb.159:
	s_waitcnt lgkmcnt(1)
	v_xor_b32_e32 v4, 0xfffff7ff, v0
	v_ashrrev_i32_e32 v5, 31, v4
	v_add_co_u32_e32 v4, vcc, v17, v4
	v_addc_co_u32_e32 v5, vcc, v18, v5, vcc
                                        ; implicit-def: $vgpr19
.LBB3530_160:
	s_andn2_saveexec_b64 s[6:7], s[6:7]
	s_cbranch_execz .LBB3530_162
; %bb.161:
	s_waitcnt lgkmcnt(1)
	v_add_co_u32_e32 v4, vcc, v1, v19
	v_addc_co_u32_e32 v5, vcc, 0, v11, vcc
.LBB3530_162:
	s_or_b64 exec, exec, s[6:7]
	s_waitcnt lgkmcnt(1)
	v_lshlrev_b64 v[4:5], 2, v[4:5]
	v_mov_b32_e32 v6, s5
	v_add_co_u32_e32 v4, vcc, s4, v4
	v_addc_co_u32_e32 v5, vcc, v6, v5, vcc
	s_waitcnt lgkmcnt(0)
	global_store_dword v[4:5], v2, off
	s_or_b64 exec, exec, s[2:3]
	v_cmp_gt_u32_e32 vcc, s33, v16
                                        ; implicit-def: $vgpr14_vgpr15
	s_and_saveexec_b64 s[2:3], vcc
	s_cbranch_execz .LBB3530_168
.LBB3530_163:
	v_cmp_ge_u32_e32 vcc, v16, v10
                                        ; implicit-def: $vgpr14_vgpr15
	s_and_saveexec_b64 s[6:7], vcc
	s_xor_b64 s[6:7], exec, s[6:7]
	s_cbranch_execz .LBB3530_165
; %bb.164:
	s_waitcnt lgkmcnt(0)
	v_xor_b32_e32 v2, 0xfffff6ff, v0
	v_ashrrev_i32_e32 v4, 31, v2
	v_add_co_u32_e32 v14, vcc, v17, v2
	v_addc_co_u32_e32 v15, vcc, v18, v4, vcc
                                        ; implicit-def: $vgpr16
.LBB3530_165:
	s_andn2_saveexec_b64 s[6:7], s[6:7]
; %bb.166:
	v_add_co_u32_e32 v14, vcc, v1, v16
	v_addc_co_u32_e32 v15, vcc, 0, v11, vcc
; %bb.167:
	s_or_b64 exec, exec, s[6:7]
	s_or_b64 s[0:1], s[0:1], exec
.LBB3530_168:
	s_or_b64 exec, exec, s[2:3]
.LBB3530_169:
	s_and_saveexec_b64 s[2:3], s[0:1]
	s_cbranch_execz .LBB3530_171
; %bb.170:
	s_waitcnt lgkmcnt(1)
	v_lshlrev_b64 v[4:5], 2, v[14:15]
	s_waitcnt lgkmcnt(0)
	v_mov_b32_e32 v2, s5
	v_add_co_u32_e32 v4, vcc, s4, v4
	v_addc_co_u32_e32 v5, vcc, v2, v5, vcc
	global_store_dword v[4:5], v3, off
.LBB3530_171:
	s_or_b64 exec, exec, s[2:3]
	v_cmp_eq_u32_e32 vcc, 0, v0
	s_and_b64 s[0:1], vcc, s[26:27]
	s_and_saveexec_b64 s[2:3], s[0:1]
	s_cbranch_execz .LBB3530_173
; %bb.172:
	v_add_co_u32_e32 v0, vcc, v1, v10
	s_waitcnt lgkmcnt(0)
	v_mov_b32_e32 v2, 0
	v_addc_co_u32_e32 v1, vcc, 0, v11, vcc
	global_store_dwordx2 v2, v[0:1], s[24:25]
.LBB3530_173:
	s_endpgm
	.section	.rodata,"a",@progbits
	.p2align	6, 0x0
	.amdhsa_kernel _ZN7rocprim17ROCPRIM_400000_NS6detail17trampoline_kernelINS0_14default_configENS1_25partition_config_selectorILNS1_17partition_subalgoE3EN6thrust23THRUST_200600_302600_NS5tupleIssNS7_9null_typeES9_S9_S9_S9_S9_S9_S9_EENS0_10empty_typeEbEEZZNS1_14partition_implILS5_3ELb0ES3_jNS7_6detail15normal_iteratorINS7_7pointerISA_NS7_11hip_rocprim3tagENS7_11use_defaultESJ_EEEEPSB_SM_NS0_5tupleIJPSA_SM_EEENSN_IJSM_SM_EEESB_PlJ10is_orderedEEE10hipError_tPvRmT3_T4_T5_T6_T7_T9_mT8_P12ihipStream_tbDpT10_ENKUlT_T0_E_clISt17integral_constantIbLb0EES1C_EEDaS17_S18_EUlS17_E_NS1_11comp_targetILNS1_3genE4ELNS1_11target_archE910ELNS1_3gpuE8ELNS1_3repE0EEENS1_30default_config_static_selectorELNS0_4arch9wavefront6targetE1EEEvT1_
		.amdhsa_group_segment_fixed_size 10248
		.amdhsa_private_segment_fixed_size 0
		.amdhsa_kernarg_size 120
		.amdhsa_user_sgpr_count 6
		.amdhsa_user_sgpr_private_segment_buffer 1
		.amdhsa_user_sgpr_dispatch_ptr 0
		.amdhsa_user_sgpr_queue_ptr 0
		.amdhsa_user_sgpr_kernarg_segment_ptr 1
		.amdhsa_user_sgpr_dispatch_id 0
		.amdhsa_user_sgpr_flat_scratch_init 0
		.amdhsa_user_sgpr_kernarg_preload_length 0
		.amdhsa_user_sgpr_kernarg_preload_offset 0
		.amdhsa_user_sgpr_private_segment_size 0
		.amdhsa_uses_dynamic_stack 0
		.amdhsa_system_sgpr_private_segment_wavefront_offset 0
		.amdhsa_system_sgpr_workgroup_id_x 1
		.amdhsa_system_sgpr_workgroup_id_y 0
		.amdhsa_system_sgpr_workgroup_id_z 0
		.amdhsa_system_sgpr_workgroup_info 0
		.amdhsa_system_vgpr_workitem_id 0
		.amdhsa_next_free_vgpr 54
		.amdhsa_next_free_sgpr 48
		.amdhsa_accum_offset 56
		.amdhsa_reserve_vcc 1
		.amdhsa_reserve_flat_scratch 0
		.amdhsa_float_round_mode_32 0
		.amdhsa_float_round_mode_16_64 0
		.amdhsa_float_denorm_mode_32 3
		.amdhsa_float_denorm_mode_16_64 3
		.amdhsa_dx10_clamp 1
		.amdhsa_ieee_mode 1
		.amdhsa_fp16_overflow 0
		.amdhsa_tg_split 0
		.amdhsa_exception_fp_ieee_invalid_op 0
		.amdhsa_exception_fp_denorm_src 0
		.amdhsa_exception_fp_ieee_div_zero 0
		.amdhsa_exception_fp_ieee_overflow 0
		.amdhsa_exception_fp_ieee_underflow 0
		.amdhsa_exception_fp_ieee_inexact 0
		.amdhsa_exception_int_div_zero 0
	.end_amdhsa_kernel
	.section	.text._ZN7rocprim17ROCPRIM_400000_NS6detail17trampoline_kernelINS0_14default_configENS1_25partition_config_selectorILNS1_17partition_subalgoE3EN6thrust23THRUST_200600_302600_NS5tupleIssNS7_9null_typeES9_S9_S9_S9_S9_S9_S9_EENS0_10empty_typeEbEEZZNS1_14partition_implILS5_3ELb0ES3_jNS7_6detail15normal_iteratorINS7_7pointerISA_NS7_11hip_rocprim3tagENS7_11use_defaultESJ_EEEEPSB_SM_NS0_5tupleIJPSA_SM_EEENSN_IJSM_SM_EEESB_PlJ10is_orderedEEE10hipError_tPvRmT3_T4_T5_T6_T7_T9_mT8_P12ihipStream_tbDpT10_ENKUlT_T0_E_clISt17integral_constantIbLb0EES1C_EEDaS17_S18_EUlS17_E_NS1_11comp_targetILNS1_3genE4ELNS1_11target_archE910ELNS1_3gpuE8ELNS1_3repE0EEENS1_30default_config_static_selectorELNS0_4arch9wavefront6targetE1EEEvT1_,"axG",@progbits,_ZN7rocprim17ROCPRIM_400000_NS6detail17trampoline_kernelINS0_14default_configENS1_25partition_config_selectorILNS1_17partition_subalgoE3EN6thrust23THRUST_200600_302600_NS5tupleIssNS7_9null_typeES9_S9_S9_S9_S9_S9_S9_EENS0_10empty_typeEbEEZZNS1_14partition_implILS5_3ELb0ES3_jNS7_6detail15normal_iteratorINS7_7pointerISA_NS7_11hip_rocprim3tagENS7_11use_defaultESJ_EEEEPSB_SM_NS0_5tupleIJPSA_SM_EEENSN_IJSM_SM_EEESB_PlJ10is_orderedEEE10hipError_tPvRmT3_T4_T5_T6_T7_T9_mT8_P12ihipStream_tbDpT10_ENKUlT_T0_E_clISt17integral_constantIbLb0EES1C_EEDaS17_S18_EUlS17_E_NS1_11comp_targetILNS1_3genE4ELNS1_11target_archE910ELNS1_3gpuE8ELNS1_3repE0EEENS1_30default_config_static_selectorELNS0_4arch9wavefront6targetE1EEEvT1_,comdat
.Lfunc_end3530:
	.size	_ZN7rocprim17ROCPRIM_400000_NS6detail17trampoline_kernelINS0_14default_configENS1_25partition_config_selectorILNS1_17partition_subalgoE3EN6thrust23THRUST_200600_302600_NS5tupleIssNS7_9null_typeES9_S9_S9_S9_S9_S9_S9_EENS0_10empty_typeEbEEZZNS1_14partition_implILS5_3ELb0ES3_jNS7_6detail15normal_iteratorINS7_7pointerISA_NS7_11hip_rocprim3tagENS7_11use_defaultESJ_EEEEPSB_SM_NS0_5tupleIJPSA_SM_EEENSN_IJSM_SM_EEESB_PlJ10is_orderedEEE10hipError_tPvRmT3_T4_T5_T6_T7_T9_mT8_P12ihipStream_tbDpT10_ENKUlT_T0_E_clISt17integral_constantIbLb0EES1C_EEDaS17_S18_EUlS17_E_NS1_11comp_targetILNS1_3genE4ELNS1_11target_archE910ELNS1_3gpuE8ELNS1_3repE0EEENS1_30default_config_static_selectorELNS0_4arch9wavefront6targetE1EEEvT1_, .Lfunc_end3530-_ZN7rocprim17ROCPRIM_400000_NS6detail17trampoline_kernelINS0_14default_configENS1_25partition_config_selectorILNS1_17partition_subalgoE3EN6thrust23THRUST_200600_302600_NS5tupleIssNS7_9null_typeES9_S9_S9_S9_S9_S9_S9_EENS0_10empty_typeEbEEZZNS1_14partition_implILS5_3ELb0ES3_jNS7_6detail15normal_iteratorINS7_7pointerISA_NS7_11hip_rocprim3tagENS7_11use_defaultESJ_EEEEPSB_SM_NS0_5tupleIJPSA_SM_EEENSN_IJSM_SM_EEESB_PlJ10is_orderedEEE10hipError_tPvRmT3_T4_T5_T6_T7_T9_mT8_P12ihipStream_tbDpT10_ENKUlT_T0_E_clISt17integral_constantIbLb0EES1C_EEDaS17_S18_EUlS17_E_NS1_11comp_targetILNS1_3genE4ELNS1_11target_archE910ELNS1_3gpuE8ELNS1_3repE0EEENS1_30default_config_static_selectorELNS0_4arch9wavefront6targetE1EEEvT1_
                                        ; -- End function
	.section	.AMDGPU.csdata,"",@progbits
; Kernel info:
; codeLenInByte = 6300
; NumSgprs: 52
; NumVgprs: 54
; NumAgprs: 0
; TotalNumVgprs: 54
; ScratchSize: 0
; MemoryBound: 0
; FloatMode: 240
; IeeeMode: 1
; LDSByteSize: 10248 bytes/workgroup (compile time only)
; SGPRBlocks: 6
; VGPRBlocks: 6
; NumSGPRsForWavesPerEU: 52
; NumVGPRsForWavesPerEU: 54
; AccumOffset: 56
; Occupancy: 6
; WaveLimiterHint : 1
; COMPUTE_PGM_RSRC2:SCRATCH_EN: 0
; COMPUTE_PGM_RSRC2:USER_SGPR: 6
; COMPUTE_PGM_RSRC2:TRAP_HANDLER: 0
; COMPUTE_PGM_RSRC2:TGID_X_EN: 1
; COMPUTE_PGM_RSRC2:TGID_Y_EN: 0
; COMPUTE_PGM_RSRC2:TGID_Z_EN: 0
; COMPUTE_PGM_RSRC2:TIDIG_COMP_CNT: 0
; COMPUTE_PGM_RSRC3_GFX90A:ACCUM_OFFSET: 13
; COMPUTE_PGM_RSRC3_GFX90A:TG_SPLIT: 0
	.section	.text._ZN6thrust23THRUST_200600_302600_NS11hip_rocprim14__parallel_for6kernelILj256ENS1_20__uninitialized_copy7functorINS0_7pointerINS0_5tupleIssNS0_9null_typeES8_S8_S8_S8_S8_S8_S8_EENS1_3tagENS0_11use_defaultESB_EESC_EEmLj1EEEvT0_T1_SF_,"axG",@progbits,_ZN6thrust23THRUST_200600_302600_NS11hip_rocprim14__parallel_for6kernelILj256ENS1_20__uninitialized_copy7functorINS0_7pointerINS0_5tupleIssNS0_9null_typeES8_S8_S8_S8_S8_S8_S8_EENS1_3tagENS0_11use_defaultESB_EESC_EEmLj1EEEvT0_T1_SF_,comdat
	.protected	_ZN6thrust23THRUST_200600_302600_NS11hip_rocprim14__parallel_for6kernelILj256ENS1_20__uninitialized_copy7functorINS0_7pointerINS0_5tupleIssNS0_9null_typeES8_S8_S8_S8_S8_S8_S8_EENS1_3tagENS0_11use_defaultESB_EESC_EEmLj1EEEvT0_T1_SF_ ; -- Begin function _ZN6thrust23THRUST_200600_302600_NS11hip_rocprim14__parallel_for6kernelILj256ENS1_20__uninitialized_copy7functorINS0_7pointerINS0_5tupleIssNS0_9null_typeES8_S8_S8_S8_S8_S8_S8_EENS1_3tagENS0_11use_defaultESB_EESC_EEmLj1EEEvT0_T1_SF_
	.globl	_ZN6thrust23THRUST_200600_302600_NS11hip_rocprim14__parallel_for6kernelILj256ENS1_20__uninitialized_copy7functorINS0_7pointerINS0_5tupleIssNS0_9null_typeES8_S8_S8_S8_S8_S8_S8_EENS1_3tagENS0_11use_defaultESB_EESC_EEmLj1EEEvT0_T1_SF_
	.p2align	8
	.type	_ZN6thrust23THRUST_200600_302600_NS11hip_rocprim14__parallel_for6kernelILj256ENS1_20__uninitialized_copy7functorINS0_7pointerINS0_5tupleIssNS0_9null_typeES8_S8_S8_S8_S8_S8_S8_EENS1_3tagENS0_11use_defaultESB_EESC_EEmLj1EEEvT0_T1_SF_,@function
_ZN6thrust23THRUST_200600_302600_NS11hip_rocprim14__parallel_for6kernelILj256ENS1_20__uninitialized_copy7functorINS0_7pointerINS0_5tupleIssNS0_9null_typeES8_S8_S8_S8_S8_S8_S8_EENS1_3tagENS0_11use_defaultESB_EESC_EEmLj1EEEvT0_T1_SF_: ; @_ZN6thrust23THRUST_200600_302600_NS11hip_rocprim14__parallel_for6kernelILj256ENS1_20__uninitialized_copy7functorINS0_7pointerINS0_5tupleIssNS0_9null_typeES8_S8_S8_S8_S8_S8_S8_EENS1_3tagENS0_11use_defaultESB_EESC_EEmLj1EEEvT0_T1_SF_
; %bb.0:
	s_load_dwordx8 s[8:15], s[4:5], 0x0
	s_lshl_b32 s0, s6, 8
	v_mov_b32_e32 v2, 0x100
	v_mov_b32_e32 v3, 0
	s_waitcnt lgkmcnt(0)
	s_add_u32 s6, s0, s14
	s_addc_u32 s7, 0, s15
	s_sub_u32 s0, s12, s6
	s_subb_u32 s1, s13, s7
	v_cmp_lt_u64_e32 vcc, s[0:1], v[2:3]
	s_cbranch_vccz .LBB3531_4
; %bb.1:
	v_cmp_gt_u32_e32 vcc, s0, v0
	s_mov_b64 s[2:3], 0
	s_mov_b64 s[0:1], 0
                                        ; implicit-def: $vgpr2_vgpr3
                                        ; implicit-def: $vgpr4_vgpr5
	s_and_saveexec_b64 s[4:5], vcc
	s_xor_b64 s[4:5], exec, s[4:5]
; %bb.2:
	v_mov_b32_e32 v1, s7
	v_add_co_u32_e32 v2, vcc, s6, v0
	v_addc_co_u32_e32 v3, vcc, 0, v1, vcc
	v_lshlrev_b64 v[4:5], 2, v[2:3]
	v_mov_b32_e32 v1, s11
	v_add_co_u32_e32 v2, vcc, s10, v4
	v_addc_co_u32_e32 v3, vcc, v1, v5, vcc
	v_mov_b32_e32 v1, s9
	v_add_co_u32_e32 v4, vcc, s8, v4
	s_mov_b64 s[0:1], exec
	v_addc_co_u32_e32 v5, vcc, v1, v5, vcc
; %bb.3:
	s_or_b64 exec, exec, s[4:5]
	s_and_b64 vcc, exec, s[2:3]
	s_cbranch_vccnz .LBB3531_5
	s_branch .LBB3531_6
.LBB3531_4:
	s_mov_b64 s[0:1], 0
                                        ; implicit-def: $vgpr2_vgpr3
                                        ; implicit-def: $vgpr4_vgpr5
	s_cbranch_execz .LBB3531_6
.LBB3531_5:
	v_mov_b32_e32 v1, s7
	v_add_co_u32_e32 v0, vcc, s6, v0
	v_addc_co_u32_e32 v1, vcc, 0, v1, vcc
	v_lshlrev_b64 v[0:1], 2, v[0:1]
	v_mov_b32_e32 v2, s9
	v_add_co_u32_e32 v4, vcc, s8, v0
	v_addc_co_u32_e32 v5, vcc, v2, v1, vcc
	v_mov_b32_e32 v3, s11
	v_add_co_u32_e32 v2, vcc, s10, v0
	v_addc_co_u32_e32 v3, vcc, v3, v1, vcc
	s_or_b64 s[0:1], s[0:1], exec
.LBB3531_6:
	s_and_saveexec_b64 s[2:3], s[0:1]
	s_cbranch_execnz .LBB3531_8
; %bb.7:
	s_endpgm
.LBB3531_8:
	flat_load_dword v0, v[4:5]
	s_waitcnt vmcnt(0) lgkmcnt(0)
	flat_store_dword v[2:3], v0
	s_endpgm
	.section	.rodata,"a",@progbits
	.p2align	6, 0x0
	.amdhsa_kernel _ZN6thrust23THRUST_200600_302600_NS11hip_rocprim14__parallel_for6kernelILj256ENS1_20__uninitialized_copy7functorINS0_7pointerINS0_5tupleIssNS0_9null_typeES8_S8_S8_S8_S8_S8_S8_EENS1_3tagENS0_11use_defaultESB_EESC_EEmLj1EEEvT0_T1_SF_
		.amdhsa_group_segment_fixed_size 0
		.amdhsa_private_segment_fixed_size 0
		.amdhsa_kernarg_size 32
		.amdhsa_user_sgpr_count 6
		.amdhsa_user_sgpr_private_segment_buffer 1
		.amdhsa_user_sgpr_dispatch_ptr 0
		.amdhsa_user_sgpr_queue_ptr 0
		.amdhsa_user_sgpr_kernarg_segment_ptr 1
		.amdhsa_user_sgpr_dispatch_id 0
		.amdhsa_user_sgpr_flat_scratch_init 0
		.amdhsa_user_sgpr_kernarg_preload_length 0
		.amdhsa_user_sgpr_kernarg_preload_offset 0
		.amdhsa_user_sgpr_private_segment_size 0
		.amdhsa_uses_dynamic_stack 0
		.amdhsa_system_sgpr_private_segment_wavefront_offset 0
		.amdhsa_system_sgpr_workgroup_id_x 1
		.amdhsa_system_sgpr_workgroup_id_y 0
		.amdhsa_system_sgpr_workgroup_id_z 0
		.amdhsa_system_sgpr_workgroup_info 0
		.amdhsa_system_vgpr_workitem_id 0
		.amdhsa_next_free_vgpr 6
		.amdhsa_next_free_sgpr 16
		.amdhsa_accum_offset 8
		.amdhsa_reserve_vcc 1
		.amdhsa_reserve_flat_scratch 0
		.amdhsa_float_round_mode_32 0
		.amdhsa_float_round_mode_16_64 0
		.amdhsa_float_denorm_mode_32 3
		.amdhsa_float_denorm_mode_16_64 3
		.amdhsa_dx10_clamp 1
		.amdhsa_ieee_mode 1
		.amdhsa_fp16_overflow 0
		.amdhsa_tg_split 0
		.amdhsa_exception_fp_ieee_invalid_op 0
		.amdhsa_exception_fp_denorm_src 0
		.amdhsa_exception_fp_ieee_div_zero 0
		.amdhsa_exception_fp_ieee_overflow 0
		.amdhsa_exception_fp_ieee_underflow 0
		.amdhsa_exception_fp_ieee_inexact 0
		.amdhsa_exception_int_div_zero 0
	.end_amdhsa_kernel
	.section	.text._ZN6thrust23THRUST_200600_302600_NS11hip_rocprim14__parallel_for6kernelILj256ENS1_20__uninitialized_copy7functorINS0_7pointerINS0_5tupleIssNS0_9null_typeES8_S8_S8_S8_S8_S8_S8_EENS1_3tagENS0_11use_defaultESB_EESC_EEmLj1EEEvT0_T1_SF_,"axG",@progbits,_ZN6thrust23THRUST_200600_302600_NS11hip_rocprim14__parallel_for6kernelILj256ENS1_20__uninitialized_copy7functorINS0_7pointerINS0_5tupleIssNS0_9null_typeES8_S8_S8_S8_S8_S8_S8_EENS1_3tagENS0_11use_defaultESB_EESC_EEmLj1EEEvT0_T1_SF_,comdat
.Lfunc_end3531:
	.size	_ZN6thrust23THRUST_200600_302600_NS11hip_rocprim14__parallel_for6kernelILj256ENS1_20__uninitialized_copy7functorINS0_7pointerINS0_5tupleIssNS0_9null_typeES8_S8_S8_S8_S8_S8_S8_EENS1_3tagENS0_11use_defaultESB_EESC_EEmLj1EEEvT0_T1_SF_, .Lfunc_end3531-_ZN6thrust23THRUST_200600_302600_NS11hip_rocprim14__parallel_for6kernelILj256ENS1_20__uninitialized_copy7functorINS0_7pointerINS0_5tupleIssNS0_9null_typeES8_S8_S8_S8_S8_S8_S8_EENS1_3tagENS0_11use_defaultESB_EESC_EEmLj1EEEvT0_T1_SF_
                                        ; -- End function
	.section	.AMDGPU.csdata,"",@progbits
; Kernel info:
; codeLenInByte = 228
; NumSgprs: 20
; NumVgprs: 6
; NumAgprs: 0
; TotalNumVgprs: 6
; ScratchSize: 0
; MemoryBound: 0
; FloatMode: 240
; IeeeMode: 1
; LDSByteSize: 0 bytes/workgroup (compile time only)
; SGPRBlocks: 2
; VGPRBlocks: 0
; NumSGPRsForWavesPerEU: 20
; NumVGPRsForWavesPerEU: 6
; AccumOffset: 8
; Occupancy: 8
; WaveLimiterHint : 0
; COMPUTE_PGM_RSRC2:SCRATCH_EN: 0
; COMPUTE_PGM_RSRC2:USER_SGPR: 6
; COMPUTE_PGM_RSRC2:TRAP_HANDLER: 0
; COMPUTE_PGM_RSRC2:TGID_X_EN: 1
; COMPUTE_PGM_RSRC2:TGID_Y_EN: 0
; COMPUTE_PGM_RSRC2:TGID_Z_EN: 0
; COMPUTE_PGM_RSRC2:TIDIG_COMP_CNT: 0
; COMPUTE_PGM_RSRC3_GFX90A:ACCUM_OFFSET: 1
; COMPUTE_PGM_RSRC3_GFX90A:TG_SPLIT: 0
	.section	.text._ZN7rocprim17ROCPRIM_400000_NS6detail17trampoline_kernelINS0_14default_configENS1_25partition_config_selectorILNS1_17partition_subalgoE3EN6thrust23THRUST_200600_302600_NS5tupleIssNS7_9null_typeES9_S9_S9_S9_S9_S9_S9_EENS0_10empty_typeEbEEZZNS1_14partition_implILS5_3ELb0ES3_jNS7_6detail15normal_iteratorINS7_7pointerISA_NS7_11hip_rocprim3tagENS7_11use_defaultESJ_EEEEPSB_SM_NS0_5tupleIJPSA_SM_EEENSN_IJSM_SM_EEESB_PlJ10is_orderedEEE10hipError_tPvRmT3_T4_T5_T6_T7_T9_mT8_P12ihipStream_tbDpT10_ENKUlT_T0_E_clISt17integral_constantIbLb0EES1C_EEDaS17_S18_EUlS17_E_NS1_11comp_targetILNS1_3genE3ELNS1_11target_archE908ELNS1_3gpuE7ELNS1_3repE0EEENS1_30default_config_static_selectorELNS0_4arch9wavefront6targetE1EEEvT1_,"axG",@progbits,_ZN7rocprim17ROCPRIM_400000_NS6detail17trampoline_kernelINS0_14default_configENS1_25partition_config_selectorILNS1_17partition_subalgoE3EN6thrust23THRUST_200600_302600_NS5tupleIssNS7_9null_typeES9_S9_S9_S9_S9_S9_S9_EENS0_10empty_typeEbEEZZNS1_14partition_implILS5_3ELb0ES3_jNS7_6detail15normal_iteratorINS7_7pointerISA_NS7_11hip_rocprim3tagENS7_11use_defaultESJ_EEEEPSB_SM_NS0_5tupleIJPSA_SM_EEENSN_IJSM_SM_EEESB_PlJ10is_orderedEEE10hipError_tPvRmT3_T4_T5_T6_T7_T9_mT8_P12ihipStream_tbDpT10_ENKUlT_T0_E_clISt17integral_constantIbLb0EES1C_EEDaS17_S18_EUlS17_E_NS1_11comp_targetILNS1_3genE3ELNS1_11target_archE908ELNS1_3gpuE7ELNS1_3repE0EEENS1_30default_config_static_selectorELNS0_4arch9wavefront6targetE1EEEvT1_,comdat
	.protected	_ZN7rocprim17ROCPRIM_400000_NS6detail17trampoline_kernelINS0_14default_configENS1_25partition_config_selectorILNS1_17partition_subalgoE3EN6thrust23THRUST_200600_302600_NS5tupleIssNS7_9null_typeES9_S9_S9_S9_S9_S9_S9_EENS0_10empty_typeEbEEZZNS1_14partition_implILS5_3ELb0ES3_jNS7_6detail15normal_iteratorINS7_7pointerISA_NS7_11hip_rocprim3tagENS7_11use_defaultESJ_EEEEPSB_SM_NS0_5tupleIJPSA_SM_EEENSN_IJSM_SM_EEESB_PlJ10is_orderedEEE10hipError_tPvRmT3_T4_T5_T6_T7_T9_mT8_P12ihipStream_tbDpT10_ENKUlT_T0_E_clISt17integral_constantIbLb0EES1C_EEDaS17_S18_EUlS17_E_NS1_11comp_targetILNS1_3genE3ELNS1_11target_archE908ELNS1_3gpuE7ELNS1_3repE0EEENS1_30default_config_static_selectorELNS0_4arch9wavefront6targetE1EEEvT1_ ; -- Begin function _ZN7rocprim17ROCPRIM_400000_NS6detail17trampoline_kernelINS0_14default_configENS1_25partition_config_selectorILNS1_17partition_subalgoE3EN6thrust23THRUST_200600_302600_NS5tupleIssNS7_9null_typeES9_S9_S9_S9_S9_S9_S9_EENS0_10empty_typeEbEEZZNS1_14partition_implILS5_3ELb0ES3_jNS7_6detail15normal_iteratorINS7_7pointerISA_NS7_11hip_rocprim3tagENS7_11use_defaultESJ_EEEEPSB_SM_NS0_5tupleIJPSA_SM_EEENSN_IJSM_SM_EEESB_PlJ10is_orderedEEE10hipError_tPvRmT3_T4_T5_T6_T7_T9_mT8_P12ihipStream_tbDpT10_ENKUlT_T0_E_clISt17integral_constantIbLb0EES1C_EEDaS17_S18_EUlS17_E_NS1_11comp_targetILNS1_3genE3ELNS1_11target_archE908ELNS1_3gpuE7ELNS1_3repE0EEENS1_30default_config_static_selectorELNS0_4arch9wavefront6targetE1EEEvT1_
	.globl	_ZN7rocprim17ROCPRIM_400000_NS6detail17trampoline_kernelINS0_14default_configENS1_25partition_config_selectorILNS1_17partition_subalgoE3EN6thrust23THRUST_200600_302600_NS5tupleIssNS7_9null_typeES9_S9_S9_S9_S9_S9_S9_EENS0_10empty_typeEbEEZZNS1_14partition_implILS5_3ELb0ES3_jNS7_6detail15normal_iteratorINS7_7pointerISA_NS7_11hip_rocprim3tagENS7_11use_defaultESJ_EEEEPSB_SM_NS0_5tupleIJPSA_SM_EEENSN_IJSM_SM_EEESB_PlJ10is_orderedEEE10hipError_tPvRmT3_T4_T5_T6_T7_T9_mT8_P12ihipStream_tbDpT10_ENKUlT_T0_E_clISt17integral_constantIbLb0EES1C_EEDaS17_S18_EUlS17_E_NS1_11comp_targetILNS1_3genE3ELNS1_11target_archE908ELNS1_3gpuE7ELNS1_3repE0EEENS1_30default_config_static_selectorELNS0_4arch9wavefront6targetE1EEEvT1_
	.p2align	8
	.type	_ZN7rocprim17ROCPRIM_400000_NS6detail17trampoline_kernelINS0_14default_configENS1_25partition_config_selectorILNS1_17partition_subalgoE3EN6thrust23THRUST_200600_302600_NS5tupleIssNS7_9null_typeES9_S9_S9_S9_S9_S9_S9_EENS0_10empty_typeEbEEZZNS1_14partition_implILS5_3ELb0ES3_jNS7_6detail15normal_iteratorINS7_7pointerISA_NS7_11hip_rocprim3tagENS7_11use_defaultESJ_EEEEPSB_SM_NS0_5tupleIJPSA_SM_EEENSN_IJSM_SM_EEESB_PlJ10is_orderedEEE10hipError_tPvRmT3_T4_T5_T6_T7_T9_mT8_P12ihipStream_tbDpT10_ENKUlT_T0_E_clISt17integral_constantIbLb0EES1C_EEDaS17_S18_EUlS17_E_NS1_11comp_targetILNS1_3genE3ELNS1_11target_archE908ELNS1_3gpuE7ELNS1_3repE0EEENS1_30default_config_static_selectorELNS0_4arch9wavefront6targetE1EEEvT1_,@function
_ZN7rocprim17ROCPRIM_400000_NS6detail17trampoline_kernelINS0_14default_configENS1_25partition_config_selectorILNS1_17partition_subalgoE3EN6thrust23THRUST_200600_302600_NS5tupleIssNS7_9null_typeES9_S9_S9_S9_S9_S9_S9_EENS0_10empty_typeEbEEZZNS1_14partition_implILS5_3ELb0ES3_jNS7_6detail15normal_iteratorINS7_7pointerISA_NS7_11hip_rocprim3tagENS7_11use_defaultESJ_EEEEPSB_SM_NS0_5tupleIJPSA_SM_EEENSN_IJSM_SM_EEESB_PlJ10is_orderedEEE10hipError_tPvRmT3_T4_T5_T6_T7_T9_mT8_P12ihipStream_tbDpT10_ENKUlT_T0_E_clISt17integral_constantIbLb0EES1C_EEDaS17_S18_EUlS17_E_NS1_11comp_targetILNS1_3genE3ELNS1_11target_archE908ELNS1_3gpuE7ELNS1_3repE0EEENS1_30default_config_static_selectorELNS0_4arch9wavefront6targetE1EEEvT1_: ; @_ZN7rocprim17ROCPRIM_400000_NS6detail17trampoline_kernelINS0_14default_configENS1_25partition_config_selectorILNS1_17partition_subalgoE3EN6thrust23THRUST_200600_302600_NS5tupleIssNS7_9null_typeES9_S9_S9_S9_S9_S9_S9_EENS0_10empty_typeEbEEZZNS1_14partition_implILS5_3ELb0ES3_jNS7_6detail15normal_iteratorINS7_7pointerISA_NS7_11hip_rocprim3tagENS7_11use_defaultESJ_EEEEPSB_SM_NS0_5tupleIJPSA_SM_EEENSN_IJSM_SM_EEESB_PlJ10is_orderedEEE10hipError_tPvRmT3_T4_T5_T6_T7_T9_mT8_P12ihipStream_tbDpT10_ENKUlT_T0_E_clISt17integral_constantIbLb0EES1C_EEDaS17_S18_EUlS17_E_NS1_11comp_targetILNS1_3genE3ELNS1_11target_archE908ELNS1_3gpuE7ELNS1_3repE0EEENS1_30default_config_static_selectorELNS0_4arch9wavefront6targetE1EEEvT1_
; %bb.0:
	.section	.rodata,"a",@progbits
	.p2align	6, 0x0
	.amdhsa_kernel _ZN7rocprim17ROCPRIM_400000_NS6detail17trampoline_kernelINS0_14default_configENS1_25partition_config_selectorILNS1_17partition_subalgoE3EN6thrust23THRUST_200600_302600_NS5tupleIssNS7_9null_typeES9_S9_S9_S9_S9_S9_S9_EENS0_10empty_typeEbEEZZNS1_14partition_implILS5_3ELb0ES3_jNS7_6detail15normal_iteratorINS7_7pointerISA_NS7_11hip_rocprim3tagENS7_11use_defaultESJ_EEEEPSB_SM_NS0_5tupleIJPSA_SM_EEENSN_IJSM_SM_EEESB_PlJ10is_orderedEEE10hipError_tPvRmT3_T4_T5_T6_T7_T9_mT8_P12ihipStream_tbDpT10_ENKUlT_T0_E_clISt17integral_constantIbLb0EES1C_EEDaS17_S18_EUlS17_E_NS1_11comp_targetILNS1_3genE3ELNS1_11target_archE908ELNS1_3gpuE7ELNS1_3repE0EEENS1_30default_config_static_selectorELNS0_4arch9wavefront6targetE1EEEvT1_
		.amdhsa_group_segment_fixed_size 0
		.amdhsa_private_segment_fixed_size 0
		.amdhsa_kernarg_size 120
		.amdhsa_user_sgpr_count 6
		.amdhsa_user_sgpr_private_segment_buffer 1
		.amdhsa_user_sgpr_dispatch_ptr 0
		.amdhsa_user_sgpr_queue_ptr 0
		.amdhsa_user_sgpr_kernarg_segment_ptr 1
		.amdhsa_user_sgpr_dispatch_id 0
		.amdhsa_user_sgpr_flat_scratch_init 0
		.amdhsa_user_sgpr_kernarg_preload_length 0
		.amdhsa_user_sgpr_kernarg_preload_offset 0
		.amdhsa_user_sgpr_private_segment_size 0
		.amdhsa_uses_dynamic_stack 0
		.amdhsa_system_sgpr_private_segment_wavefront_offset 0
		.amdhsa_system_sgpr_workgroup_id_x 1
		.amdhsa_system_sgpr_workgroup_id_y 0
		.amdhsa_system_sgpr_workgroup_id_z 0
		.amdhsa_system_sgpr_workgroup_info 0
		.amdhsa_system_vgpr_workitem_id 0
		.amdhsa_next_free_vgpr 1
		.amdhsa_next_free_sgpr 0
		.amdhsa_accum_offset 4
		.amdhsa_reserve_vcc 0
		.amdhsa_reserve_flat_scratch 0
		.amdhsa_float_round_mode_32 0
		.amdhsa_float_round_mode_16_64 0
		.amdhsa_float_denorm_mode_32 3
		.amdhsa_float_denorm_mode_16_64 3
		.amdhsa_dx10_clamp 1
		.amdhsa_ieee_mode 1
		.amdhsa_fp16_overflow 0
		.amdhsa_tg_split 0
		.amdhsa_exception_fp_ieee_invalid_op 0
		.amdhsa_exception_fp_denorm_src 0
		.amdhsa_exception_fp_ieee_div_zero 0
		.amdhsa_exception_fp_ieee_overflow 0
		.amdhsa_exception_fp_ieee_underflow 0
		.amdhsa_exception_fp_ieee_inexact 0
		.amdhsa_exception_int_div_zero 0
	.end_amdhsa_kernel
	.section	.text._ZN7rocprim17ROCPRIM_400000_NS6detail17trampoline_kernelINS0_14default_configENS1_25partition_config_selectorILNS1_17partition_subalgoE3EN6thrust23THRUST_200600_302600_NS5tupleIssNS7_9null_typeES9_S9_S9_S9_S9_S9_S9_EENS0_10empty_typeEbEEZZNS1_14partition_implILS5_3ELb0ES3_jNS7_6detail15normal_iteratorINS7_7pointerISA_NS7_11hip_rocprim3tagENS7_11use_defaultESJ_EEEEPSB_SM_NS0_5tupleIJPSA_SM_EEENSN_IJSM_SM_EEESB_PlJ10is_orderedEEE10hipError_tPvRmT3_T4_T5_T6_T7_T9_mT8_P12ihipStream_tbDpT10_ENKUlT_T0_E_clISt17integral_constantIbLb0EES1C_EEDaS17_S18_EUlS17_E_NS1_11comp_targetILNS1_3genE3ELNS1_11target_archE908ELNS1_3gpuE7ELNS1_3repE0EEENS1_30default_config_static_selectorELNS0_4arch9wavefront6targetE1EEEvT1_,"axG",@progbits,_ZN7rocprim17ROCPRIM_400000_NS6detail17trampoline_kernelINS0_14default_configENS1_25partition_config_selectorILNS1_17partition_subalgoE3EN6thrust23THRUST_200600_302600_NS5tupleIssNS7_9null_typeES9_S9_S9_S9_S9_S9_S9_EENS0_10empty_typeEbEEZZNS1_14partition_implILS5_3ELb0ES3_jNS7_6detail15normal_iteratorINS7_7pointerISA_NS7_11hip_rocprim3tagENS7_11use_defaultESJ_EEEEPSB_SM_NS0_5tupleIJPSA_SM_EEENSN_IJSM_SM_EEESB_PlJ10is_orderedEEE10hipError_tPvRmT3_T4_T5_T6_T7_T9_mT8_P12ihipStream_tbDpT10_ENKUlT_T0_E_clISt17integral_constantIbLb0EES1C_EEDaS17_S18_EUlS17_E_NS1_11comp_targetILNS1_3genE3ELNS1_11target_archE908ELNS1_3gpuE7ELNS1_3repE0EEENS1_30default_config_static_selectorELNS0_4arch9wavefront6targetE1EEEvT1_,comdat
.Lfunc_end3532:
	.size	_ZN7rocprim17ROCPRIM_400000_NS6detail17trampoline_kernelINS0_14default_configENS1_25partition_config_selectorILNS1_17partition_subalgoE3EN6thrust23THRUST_200600_302600_NS5tupleIssNS7_9null_typeES9_S9_S9_S9_S9_S9_S9_EENS0_10empty_typeEbEEZZNS1_14partition_implILS5_3ELb0ES3_jNS7_6detail15normal_iteratorINS7_7pointerISA_NS7_11hip_rocprim3tagENS7_11use_defaultESJ_EEEEPSB_SM_NS0_5tupleIJPSA_SM_EEENSN_IJSM_SM_EEESB_PlJ10is_orderedEEE10hipError_tPvRmT3_T4_T5_T6_T7_T9_mT8_P12ihipStream_tbDpT10_ENKUlT_T0_E_clISt17integral_constantIbLb0EES1C_EEDaS17_S18_EUlS17_E_NS1_11comp_targetILNS1_3genE3ELNS1_11target_archE908ELNS1_3gpuE7ELNS1_3repE0EEENS1_30default_config_static_selectorELNS0_4arch9wavefront6targetE1EEEvT1_, .Lfunc_end3532-_ZN7rocprim17ROCPRIM_400000_NS6detail17trampoline_kernelINS0_14default_configENS1_25partition_config_selectorILNS1_17partition_subalgoE3EN6thrust23THRUST_200600_302600_NS5tupleIssNS7_9null_typeES9_S9_S9_S9_S9_S9_S9_EENS0_10empty_typeEbEEZZNS1_14partition_implILS5_3ELb0ES3_jNS7_6detail15normal_iteratorINS7_7pointerISA_NS7_11hip_rocprim3tagENS7_11use_defaultESJ_EEEEPSB_SM_NS0_5tupleIJPSA_SM_EEENSN_IJSM_SM_EEESB_PlJ10is_orderedEEE10hipError_tPvRmT3_T4_T5_T6_T7_T9_mT8_P12ihipStream_tbDpT10_ENKUlT_T0_E_clISt17integral_constantIbLb0EES1C_EEDaS17_S18_EUlS17_E_NS1_11comp_targetILNS1_3genE3ELNS1_11target_archE908ELNS1_3gpuE7ELNS1_3repE0EEENS1_30default_config_static_selectorELNS0_4arch9wavefront6targetE1EEEvT1_
                                        ; -- End function
	.section	.AMDGPU.csdata,"",@progbits
; Kernel info:
; codeLenInByte = 0
; NumSgprs: 4
; NumVgprs: 0
; NumAgprs: 0
; TotalNumVgprs: 0
; ScratchSize: 0
; MemoryBound: 0
; FloatMode: 240
; IeeeMode: 1
; LDSByteSize: 0 bytes/workgroup (compile time only)
; SGPRBlocks: 0
; VGPRBlocks: 0
; NumSGPRsForWavesPerEU: 4
; NumVGPRsForWavesPerEU: 1
; AccumOffset: 4
; Occupancy: 8
; WaveLimiterHint : 0
; COMPUTE_PGM_RSRC2:SCRATCH_EN: 0
; COMPUTE_PGM_RSRC2:USER_SGPR: 6
; COMPUTE_PGM_RSRC2:TRAP_HANDLER: 0
; COMPUTE_PGM_RSRC2:TGID_X_EN: 1
; COMPUTE_PGM_RSRC2:TGID_Y_EN: 0
; COMPUTE_PGM_RSRC2:TGID_Z_EN: 0
; COMPUTE_PGM_RSRC2:TIDIG_COMP_CNT: 0
; COMPUTE_PGM_RSRC3_GFX90A:ACCUM_OFFSET: 0
; COMPUTE_PGM_RSRC3_GFX90A:TG_SPLIT: 0
	.section	.text._ZN7rocprim17ROCPRIM_400000_NS6detail17trampoline_kernelINS0_14default_configENS1_25partition_config_selectorILNS1_17partition_subalgoE3EN6thrust23THRUST_200600_302600_NS5tupleIssNS7_9null_typeES9_S9_S9_S9_S9_S9_S9_EENS0_10empty_typeEbEEZZNS1_14partition_implILS5_3ELb0ES3_jNS7_6detail15normal_iteratorINS7_7pointerISA_NS7_11hip_rocprim3tagENS7_11use_defaultESJ_EEEEPSB_SM_NS0_5tupleIJPSA_SM_EEENSN_IJSM_SM_EEESB_PlJ10is_orderedEEE10hipError_tPvRmT3_T4_T5_T6_T7_T9_mT8_P12ihipStream_tbDpT10_ENKUlT_T0_E_clISt17integral_constantIbLb0EES1C_EEDaS17_S18_EUlS17_E_NS1_11comp_targetILNS1_3genE2ELNS1_11target_archE906ELNS1_3gpuE6ELNS1_3repE0EEENS1_30default_config_static_selectorELNS0_4arch9wavefront6targetE1EEEvT1_,"axG",@progbits,_ZN7rocprim17ROCPRIM_400000_NS6detail17trampoline_kernelINS0_14default_configENS1_25partition_config_selectorILNS1_17partition_subalgoE3EN6thrust23THRUST_200600_302600_NS5tupleIssNS7_9null_typeES9_S9_S9_S9_S9_S9_S9_EENS0_10empty_typeEbEEZZNS1_14partition_implILS5_3ELb0ES3_jNS7_6detail15normal_iteratorINS7_7pointerISA_NS7_11hip_rocprim3tagENS7_11use_defaultESJ_EEEEPSB_SM_NS0_5tupleIJPSA_SM_EEENSN_IJSM_SM_EEESB_PlJ10is_orderedEEE10hipError_tPvRmT3_T4_T5_T6_T7_T9_mT8_P12ihipStream_tbDpT10_ENKUlT_T0_E_clISt17integral_constantIbLb0EES1C_EEDaS17_S18_EUlS17_E_NS1_11comp_targetILNS1_3genE2ELNS1_11target_archE906ELNS1_3gpuE6ELNS1_3repE0EEENS1_30default_config_static_selectorELNS0_4arch9wavefront6targetE1EEEvT1_,comdat
	.protected	_ZN7rocprim17ROCPRIM_400000_NS6detail17trampoline_kernelINS0_14default_configENS1_25partition_config_selectorILNS1_17partition_subalgoE3EN6thrust23THRUST_200600_302600_NS5tupleIssNS7_9null_typeES9_S9_S9_S9_S9_S9_S9_EENS0_10empty_typeEbEEZZNS1_14partition_implILS5_3ELb0ES3_jNS7_6detail15normal_iteratorINS7_7pointerISA_NS7_11hip_rocprim3tagENS7_11use_defaultESJ_EEEEPSB_SM_NS0_5tupleIJPSA_SM_EEENSN_IJSM_SM_EEESB_PlJ10is_orderedEEE10hipError_tPvRmT3_T4_T5_T6_T7_T9_mT8_P12ihipStream_tbDpT10_ENKUlT_T0_E_clISt17integral_constantIbLb0EES1C_EEDaS17_S18_EUlS17_E_NS1_11comp_targetILNS1_3genE2ELNS1_11target_archE906ELNS1_3gpuE6ELNS1_3repE0EEENS1_30default_config_static_selectorELNS0_4arch9wavefront6targetE1EEEvT1_ ; -- Begin function _ZN7rocprim17ROCPRIM_400000_NS6detail17trampoline_kernelINS0_14default_configENS1_25partition_config_selectorILNS1_17partition_subalgoE3EN6thrust23THRUST_200600_302600_NS5tupleIssNS7_9null_typeES9_S9_S9_S9_S9_S9_S9_EENS0_10empty_typeEbEEZZNS1_14partition_implILS5_3ELb0ES3_jNS7_6detail15normal_iteratorINS7_7pointerISA_NS7_11hip_rocprim3tagENS7_11use_defaultESJ_EEEEPSB_SM_NS0_5tupleIJPSA_SM_EEENSN_IJSM_SM_EEESB_PlJ10is_orderedEEE10hipError_tPvRmT3_T4_T5_T6_T7_T9_mT8_P12ihipStream_tbDpT10_ENKUlT_T0_E_clISt17integral_constantIbLb0EES1C_EEDaS17_S18_EUlS17_E_NS1_11comp_targetILNS1_3genE2ELNS1_11target_archE906ELNS1_3gpuE6ELNS1_3repE0EEENS1_30default_config_static_selectorELNS0_4arch9wavefront6targetE1EEEvT1_
	.globl	_ZN7rocprim17ROCPRIM_400000_NS6detail17trampoline_kernelINS0_14default_configENS1_25partition_config_selectorILNS1_17partition_subalgoE3EN6thrust23THRUST_200600_302600_NS5tupleIssNS7_9null_typeES9_S9_S9_S9_S9_S9_S9_EENS0_10empty_typeEbEEZZNS1_14partition_implILS5_3ELb0ES3_jNS7_6detail15normal_iteratorINS7_7pointerISA_NS7_11hip_rocprim3tagENS7_11use_defaultESJ_EEEEPSB_SM_NS0_5tupleIJPSA_SM_EEENSN_IJSM_SM_EEESB_PlJ10is_orderedEEE10hipError_tPvRmT3_T4_T5_T6_T7_T9_mT8_P12ihipStream_tbDpT10_ENKUlT_T0_E_clISt17integral_constantIbLb0EES1C_EEDaS17_S18_EUlS17_E_NS1_11comp_targetILNS1_3genE2ELNS1_11target_archE906ELNS1_3gpuE6ELNS1_3repE0EEENS1_30default_config_static_selectorELNS0_4arch9wavefront6targetE1EEEvT1_
	.p2align	8
	.type	_ZN7rocprim17ROCPRIM_400000_NS6detail17trampoline_kernelINS0_14default_configENS1_25partition_config_selectorILNS1_17partition_subalgoE3EN6thrust23THRUST_200600_302600_NS5tupleIssNS7_9null_typeES9_S9_S9_S9_S9_S9_S9_EENS0_10empty_typeEbEEZZNS1_14partition_implILS5_3ELb0ES3_jNS7_6detail15normal_iteratorINS7_7pointerISA_NS7_11hip_rocprim3tagENS7_11use_defaultESJ_EEEEPSB_SM_NS0_5tupleIJPSA_SM_EEENSN_IJSM_SM_EEESB_PlJ10is_orderedEEE10hipError_tPvRmT3_T4_T5_T6_T7_T9_mT8_P12ihipStream_tbDpT10_ENKUlT_T0_E_clISt17integral_constantIbLb0EES1C_EEDaS17_S18_EUlS17_E_NS1_11comp_targetILNS1_3genE2ELNS1_11target_archE906ELNS1_3gpuE6ELNS1_3repE0EEENS1_30default_config_static_selectorELNS0_4arch9wavefront6targetE1EEEvT1_,@function
_ZN7rocprim17ROCPRIM_400000_NS6detail17trampoline_kernelINS0_14default_configENS1_25partition_config_selectorILNS1_17partition_subalgoE3EN6thrust23THRUST_200600_302600_NS5tupleIssNS7_9null_typeES9_S9_S9_S9_S9_S9_S9_EENS0_10empty_typeEbEEZZNS1_14partition_implILS5_3ELb0ES3_jNS7_6detail15normal_iteratorINS7_7pointerISA_NS7_11hip_rocprim3tagENS7_11use_defaultESJ_EEEEPSB_SM_NS0_5tupleIJPSA_SM_EEENSN_IJSM_SM_EEESB_PlJ10is_orderedEEE10hipError_tPvRmT3_T4_T5_T6_T7_T9_mT8_P12ihipStream_tbDpT10_ENKUlT_T0_E_clISt17integral_constantIbLb0EES1C_EEDaS17_S18_EUlS17_E_NS1_11comp_targetILNS1_3genE2ELNS1_11target_archE906ELNS1_3gpuE6ELNS1_3repE0EEENS1_30default_config_static_selectorELNS0_4arch9wavefront6targetE1EEEvT1_: ; @_ZN7rocprim17ROCPRIM_400000_NS6detail17trampoline_kernelINS0_14default_configENS1_25partition_config_selectorILNS1_17partition_subalgoE3EN6thrust23THRUST_200600_302600_NS5tupleIssNS7_9null_typeES9_S9_S9_S9_S9_S9_S9_EENS0_10empty_typeEbEEZZNS1_14partition_implILS5_3ELb0ES3_jNS7_6detail15normal_iteratorINS7_7pointerISA_NS7_11hip_rocprim3tagENS7_11use_defaultESJ_EEEEPSB_SM_NS0_5tupleIJPSA_SM_EEENSN_IJSM_SM_EEESB_PlJ10is_orderedEEE10hipError_tPvRmT3_T4_T5_T6_T7_T9_mT8_P12ihipStream_tbDpT10_ENKUlT_T0_E_clISt17integral_constantIbLb0EES1C_EEDaS17_S18_EUlS17_E_NS1_11comp_targetILNS1_3genE2ELNS1_11target_archE906ELNS1_3gpuE6ELNS1_3repE0EEENS1_30default_config_static_selectorELNS0_4arch9wavefront6targetE1EEEvT1_
; %bb.0:
	.section	.rodata,"a",@progbits
	.p2align	6, 0x0
	.amdhsa_kernel _ZN7rocprim17ROCPRIM_400000_NS6detail17trampoline_kernelINS0_14default_configENS1_25partition_config_selectorILNS1_17partition_subalgoE3EN6thrust23THRUST_200600_302600_NS5tupleIssNS7_9null_typeES9_S9_S9_S9_S9_S9_S9_EENS0_10empty_typeEbEEZZNS1_14partition_implILS5_3ELb0ES3_jNS7_6detail15normal_iteratorINS7_7pointerISA_NS7_11hip_rocprim3tagENS7_11use_defaultESJ_EEEEPSB_SM_NS0_5tupleIJPSA_SM_EEENSN_IJSM_SM_EEESB_PlJ10is_orderedEEE10hipError_tPvRmT3_T4_T5_T6_T7_T9_mT8_P12ihipStream_tbDpT10_ENKUlT_T0_E_clISt17integral_constantIbLb0EES1C_EEDaS17_S18_EUlS17_E_NS1_11comp_targetILNS1_3genE2ELNS1_11target_archE906ELNS1_3gpuE6ELNS1_3repE0EEENS1_30default_config_static_selectorELNS0_4arch9wavefront6targetE1EEEvT1_
		.amdhsa_group_segment_fixed_size 0
		.amdhsa_private_segment_fixed_size 0
		.amdhsa_kernarg_size 120
		.amdhsa_user_sgpr_count 6
		.amdhsa_user_sgpr_private_segment_buffer 1
		.amdhsa_user_sgpr_dispatch_ptr 0
		.amdhsa_user_sgpr_queue_ptr 0
		.amdhsa_user_sgpr_kernarg_segment_ptr 1
		.amdhsa_user_sgpr_dispatch_id 0
		.amdhsa_user_sgpr_flat_scratch_init 0
		.amdhsa_user_sgpr_kernarg_preload_length 0
		.amdhsa_user_sgpr_kernarg_preload_offset 0
		.amdhsa_user_sgpr_private_segment_size 0
		.amdhsa_uses_dynamic_stack 0
		.amdhsa_system_sgpr_private_segment_wavefront_offset 0
		.amdhsa_system_sgpr_workgroup_id_x 1
		.amdhsa_system_sgpr_workgroup_id_y 0
		.amdhsa_system_sgpr_workgroup_id_z 0
		.amdhsa_system_sgpr_workgroup_info 0
		.amdhsa_system_vgpr_workitem_id 0
		.amdhsa_next_free_vgpr 1
		.amdhsa_next_free_sgpr 0
		.amdhsa_accum_offset 4
		.amdhsa_reserve_vcc 0
		.amdhsa_reserve_flat_scratch 0
		.amdhsa_float_round_mode_32 0
		.amdhsa_float_round_mode_16_64 0
		.amdhsa_float_denorm_mode_32 3
		.amdhsa_float_denorm_mode_16_64 3
		.amdhsa_dx10_clamp 1
		.amdhsa_ieee_mode 1
		.amdhsa_fp16_overflow 0
		.amdhsa_tg_split 0
		.amdhsa_exception_fp_ieee_invalid_op 0
		.amdhsa_exception_fp_denorm_src 0
		.amdhsa_exception_fp_ieee_div_zero 0
		.amdhsa_exception_fp_ieee_overflow 0
		.amdhsa_exception_fp_ieee_underflow 0
		.amdhsa_exception_fp_ieee_inexact 0
		.amdhsa_exception_int_div_zero 0
	.end_amdhsa_kernel
	.section	.text._ZN7rocprim17ROCPRIM_400000_NS6detail17trampoline_kernelINS0_14default_configENS1_25partition_config_selectorILNS1_17partition_subalgoE3EN6thrust23THRUST_200600_302600_NS5tupleIssNS7_9null_typeES9_S9_S9_S9_S9_S9_S9_EENS0_10empty_typeEbEEZZNS1_14partition_implILS5_3ELb0ES3_jNS7_6detail15normal_iteratorINS7_7pointerISA_NS7_11hip_rocprim3tagENS7_11use_defaultESJ_EEEEPSB_SM_NS0_5tupleIJPSA_SM_EEENSN_IJSM_SM_EEESB_PlJ10is_orderedEEE10hipError_tPvRmT3_T4_T5_T6_T7_T9_mT8_P12ihipStream_tbDpT10_ENKUlT_T0_E_clISt17integral_constantIbLb0EES1C_EEDaS17_S18_EUlS17_E_NS1_11comp_targetILNS1_3genE2ELNS1_11target_archE906ELNS1_3gpuE6ELNS1_3repE0EEENS1_30default_config_static_selectorELNS0_4arch9wavefront6targetE1EEEvT1_,"axG",@progbits,_ZN7rocprim17ROCPRIM_400000_NS6detail17trampoline_kernelINS0_14default_configENS1_25partition_config_selectorILNS1_17partition_subalgoE3EN6thrust23THRUST_200600_302600_NS5tupleIssNS7_9null_typeES9_S9_S9_S9_S9_S9_S9_EENS0_10empty_typeEbEEZZNS1_14partition_implILS5_3ELb0ES3_jNS7_6detail15normal_iteratorINS7_7pointerISA_NS7_11hip_rocprim3tagENS7_11use_defaultESJ_EEEEPSB_SM_NS0_5tupleIJPSA_SM_EEENSN_IJSM_SM_EEESB_PlJ10is_orderedEEE10hipError_tPvRmT3_T4_T5_T6_T7_T9_mT8_P12ihipStream_tbDpT10_ENKUlT_T0_E_clISt17integral_constantIbLb0EES1C_EEDaS17_S18_EUlS17_E_NS1_11comp_targetILNS1_3genE2ELNS1_11target_archE906ELNS1_3gpuE6ELNS1_3repE0EEENS1_30default_config_static_selectorELNS0_4arch9wavefront6targetE1EEEvT1_,comdat
.Lfunc_end3533:
	.size	_ZN7rocprim17ROCPRIM_400000_NS6detail17trampoline_kernelINS0_14default_configENS1_25partition_config_selectorILNS1_17partition_subalgoE3EN6thrust23THRUST_200600_302600_NS5tupleIssNS7_9null_typeES9_S9_S9_S9_S9_S9_S9_EENS0_10empty_typeEbEEZZNS1_14partition_implILS5_3ELb0ES3_jNS7_6detail15normal_iteratorINS7_7pointerISA_NS7_11hip_rocprim3tagENS7_11use_defaultESJ_EEEEPSB_SM_NS0_5tupleIJPSA_SM_EEENSN_IJSM_SM_EEESB_PlJ10is_orderedEEE10hipError_tPvRmT3_T4_T5_T6_T7_T9_mT8_P12ihipStream_tbDpT10_ENKUlT_T0_E_clISt17integral_constantIbLb0EES1C_EEDaS17_S18_EUlS17_E_NS1_11comp_targetILNS1_3genE2ELNS1_11target_archE906ELNS1_3gpuE6ELNS1_3repE0EEENS1_30default_config_static_selectorELNS0_4arch9wavefront6targetE1EEEvT1_, .Lfunc_end3533-_ZN7rocprim17ROCPRIM_400000_NS6detail17trampoline_kernelINS0_14default_configENS1_25partition_config_selectorILNS1_17partition_subalgoE3EN6thrust23THRUST_200600_302600_NS5tupleIssNS7_9null_typeES9_S9_S9_S9_S9_S9_S9_EENS0_10empty_typeEbEEZZNS1_14partition_implILS5_3ELb0ES3_jNS7_6detail15normal_iteratorINS7_7pointerISA_NS7_11hip_rocprim3tagENS7_11use_defaultESJ_EEEEPSB_SM_NS0_5tupleIJPSA_SM_EEENSN_IJSM_SM_EEESB_PlJ10is_orderedEEE10hipError_tPvRmT3_T4_T5_T6_T7_T9_mT8_P12ihipStream_tbDpT10_ENKUlT_T0_E_clISt17integral_constantIbLb0EES1C_EEDaS17_S18_EUlS17_E_NS1_11comp_targetILNS1_3genE2ELNS1_11target_archE906ELNS1_3gpuE6ELNS1_3repE0EEENS1_30default_config_static_selectorELNS0_4arch9wavefront6targetE1EEEvT1_
                                        ; -- End function
	.section	.AMDGPU.csdata,"",@progbits
; Kernel info:
; codeLenInByte = 0
; NumSgprs: 4
; NumVgprs: 0
; NumAgprs: 0
; TotalNumVgprs: 0
; ScratchSize: 0
; MemoryBound: 0
; FloatMode: 240
; IeeeMode: 1
; LDSByteSize: 0 bytes/workgroup (compile time only)
; SGPRBlocks: 0
; VGPRBlocks: 0
; NumSGPRsForWavesPerEU: 4
; NumVGPRsForWavesPerEU: 1
; AccumOffset: 4
; Occupancy: 8
; WaveLimiterHint : 0
; COMPUTE_PGM_RSRC2:SCRATCH_EN: 0
; COMPUTE_PGM_RSRC2:USER_SGPR: 6
; COMPUTE_PGM_RSRC2:TRAP_HANDLER: 0
; COMPUTE_PGM_RSRC2:TGID_X_EN: 1
; COMPUTE_PGM_RSRC2:TGID_Y_EN: 0
; COMPUTE_PGM_RSRC2:TGID_Z_EN: 0
; COMPUTE_PGM_RSRC2:TIDIG_COMP_CNT: 0
; COMPUTE_PGM_RSRC3_GFX90A:ACCUM_OFFSET: 0
; COMPUTE_PGM_RSRC3_GFX90A:TG_SPLIT: 0
	.section	.text._ZN7rocprim17ROCPRIM_400000_NS6detail17trampoline_kernelINS0_14default_configENS1_25partition_config_selectorILNS1_17partition_subalgoE3EN6thrust23THRUST_200600_302600_NS5tupleIssNS7_9null_typeES9_S9_S9_S9_S9_S9_S9_EENS0_10empty_typeEbEEZZNS1_14partition_implILS5_3ELb0ES3_jNS7_6detail15normal_iteratorINS7_7pointerISA_NS7_11hip_rocprim3tagENS7_11use_defaultESJ_EEEEPSB_SM_NS0_5tupleIJPSA_SM_EEENSN_IJSM_SM_EEESB_PlJ10is_orderedEEE10hipError_tPvRmT3_T4_T5_T6_T7_T9_mT8_P12ihipStream_tbDpT10_ENKUlT_T0_E_clISt17integral_constantIbLb0EES1C_EEDaS17_S18_EUlS17_E_NS1_11comp_targetILNS1_3genE10ELNS1_11target_archE1200ELNS1_3gpuE4ELNS1_3repE0EEENS1_30default_config_static_selectorELNS0_4arch9wavefront6targetE1EEEvT1_,"axG",@progbits,_ZN7rocprim17ROCPRIM_400000_NS6detail17trampoline_kernelINS0_14default_configENS1_25partition_config_selectorILNS1_17partition_subalgoE3EN6thrust23THRUST_200600_302600_NS5tupleIssNS7_9null_typeES9_S9_S9_S9_S9_S9_S9_EENS0_10empty_typeEbEEZZNS1_14partition_implILS5_3ELb0ES3_jNS7_6detail15normal_iteratorINS7_7pointerISA_NS7_11hip_rocprim3tagENS7_11use_defaultESJ_EEEEPSB_SM_NS0_5tupleIJPSA_SM_EEENSN_IJSM_SM_EEESB_PlJ10is_orderedEEE10hipError_tPvRmT3_T4_T5_T6_T7_T9_mT8_P12ihipStream_tbDpT10_ENKUlT_T0_E_clISt17integral_constantIbLb0EES1C_EEDaS17_S18_EUlS17_E_NS1_11comp_targetILNS1_3genE10ELNS1_11target_archE1200ELNS1_3gpuE4ELNS1_3repE0EEENS1_30default_config_static_selectorELNS0_4arch9wavefront6targetE1EEEvT1_,comdat
	.protected	_ZN7rocprim17ROCPRIM_400000_NS6detail17trampoline_kernelINS0_14default_configENS1_25partition_config_selectorILNS1_17partition_subalgoE3EN6thrust23THRUST_200600_302600_NS5tupleIssNS7_9null_typeES9_S9_S9_S9_S9_S9_S9_EENS0_10empty_typeEbEEZZNS1_14partition_implILS5_3ELb0ES3_jNS7_6detail15normal_iteratorINS7_7pointerISA_NS7_11hip_rocprim3tagENS7_11use_defaultESJ_EEEEPSB_SM_NS0_5tupleIJPSA_SM_EEENSN_IJSM_SM_EEESB_PlJ10is_orderedEEE10hipError_tPvRmT3_T4_T5_T6_T7_T9_mT8_P12ihipStream_tbDpT10_ENKUlT_T0_E_clISt17integral_constantIbLb0EES1C_EEDaS17_S18_EUlS17_E_NS1_11comp_targetILNS1_3genE10ELNS1_11target_archE1200ELNS1_3gpuE4ELNS1_3repE0EEENS1_30default_config_static_selectorELNS0_4arch9wavefront6targetE1EEEvT1_ ; -- Begin function _ZN7rocprim17ROCPRIM_400000_NS6detail17trampoline_kernelINS0_14default_configENS1_25partition_config_selectorILNS1_17partition_subalgoE3EN6thrust23THRUST_200600_302600_NS5tupleIssNS7_9null_typeES9_S9_S9_S9_S9_S9_S9_EENS0_10empty_typeEbEEZZNS1_14partition_implILS5_3ELb0ES3_jNS7_6detail15normal_iteratorINS7_7pointerISA_NS7_11hip_rocprim3tagENS7_11use_defaultESJ_EEEEPSB_SM_NS0_5tupleIJPSA_SM_EEENSN_IJSM_SM_EEESB_PlJ10is_orderedEEE10hipError_tPvRmT3_T4_T5_T6_T7_T9_mT8_P12ihipStream_tbDpT10_ENKUlT_T0_E_clISt17integral_constantIbLb0EES1C_EEDaS17_S18_EUlS17_E_NS1_11comp_targetILNS1_3genE10ELNS1_11target_archE1200ELNS1_3gpuE4ELNS1_3repE0EEENS1_30default_config_static_selectorELNS0_4arch9wavefront6targetE1EEEvT1_
	.globl	_ZN7rocprim17ROCPRIM_400000_NS6detail17trampoline_kernelINS0_14default_configENS1_25partition_config_selectorILNS1_17partition_subalgoE3EN6thrust23THRUST_200600_302600_NS5tupleIssNS7_9null_typeES9_S9_S9_S9_S9_S9_S9_EENS0_10empty_typeEbEEZZNS1_14partition_implILS5_3ELb0ES3_jNS7_6detail15normal_iteratorINS7_7pointerISA_NS7_11hip_rocprim3tagENS7_11use_defaultESJ_EEEEPSB_SM_NS0_5tupleIJPSA_SM_EEENSN_IJSM_SM_EEESB_PlJ10is_orderedEEE10hipError_tPvRmT3_T4_T5_T6_T7_T9_mT8_P12ihipStream_tbDpT10_ENKUlT_T0_E_clISt17integral_constantIbLb0EES1C_EEDaS17_S18_EUlS17_E_NS1_11comp_targetILNS1_3genE10ELNS1_11target_archE1200ELNS1_3gpuE4ELNS1_3repE0EEENS1_30default_config_static_selectorELNS0_4arch9wavefront6targetE1EEEvT1_
	.p2align	8
	.type	_ZN7rocprim17ROCPRIM_400000_NS6detail17trampoline_kernelINS0_14default_configENS1_25partition_config_selectorILNS1_17partition_subalgoE3EN6thrust23THRUST_200600_302600_NS5tupleIssNS7_9null_typeES9_S9_S9_S9_S9_S9_S9_EENS0_10empty_typeEbEEZZNS1_14partition_implILS5_3ELb0ES3_jNS7_6detail15normal_iteratorINS7_7pointerISA_NS7_11hip_rocprim3tagENS7_11use_defaultESJ_EEEEPSB_SM_NS0_5tupleIJPSA_SM_EEENSN_IJSM_SM_EEESB_PlJ10is_orderedEEE10hipError_tPvRmT3_T4_T5_T6_T7_T9_mT8_P12ihipStream_tbDpT10_ENKUlT_T0_E_clISt17integral_constantIbLb0EES1C_EEDaS17_S18_EUlS17_E_NS1_11comp_targetILNS1_3genE10ELNS1_11target_archE1200ELNS1_3gpuE4ELNS1_3repE0EEENS1_30default_config_static_selectorELNS0_4arch9wavefront6targetE1EEEvT1_,@function
_ZN7rocprim17ROCPRIM_400000_NS6detail17trampoline_kernelINS0_14default_configENS1_25partition_config_selectorILNS1_17partition_subalgoE3EN6thrust23THRUST_200600_302600_NS5tupleIssNS7_9null_typeES9_S9_S9_S9_S9_S9_S9_EENS0_10empty_typeEbEEZZNS1_14partition_implILS5_3ELb0ES3_jNS7_6detail15normal_iteratorINS7_7pointerISA_NS7_11hip_rocprim3tagENS7_11use_defaultESJ_EEEEPSB_SM_NS0_5tupleIJPSA_SM_EEENSN_IJSM_SM_EEESB_PlJ10is_orderedEEE10hipError_tPvRmT3_T4_T5_T6_T7_T9_mT8_P12ihipStream_tbDpT10_ENKUlT_T0_E_clISt17integral_constantIbLb0EES1C_EEDaS17_S18_EUlS17_E_NS1_11comp_targetILNS1_3genE10ELNS1_11target_archE1200ELNS1_3gpuE4ELNS1_3repE0EEENS1_30default_config_static_selectorELNS0_4arch9wavefront6targetE1EEEvT1_: ; @_ZN7rocprim17ROCPRIM_400000_NS6detail17trampoline_kernelINS0_14default_configENS1_25partition_config_selectorILNS1_17partition_subalgoE3EN6thrust23THRUST_200600_302600_NS5tupleIssNS7_9null_typeES9_S9_S9_S9_S9_S9_S9_EENS0_10empty_typeEbEEZZNS1_14partition_implILS5_3ELb0ES3_jNS7_6detail15normal_iteratorINS7_7pointerISA_NS7_11hip_rocprim3tagENS7_11use_defaultESJ_EEEEPSB_SM_NS0_5tupleIJPSA_SM_EEENSN_IJSM_SM_EEESB_PlJ10is_orderedEEE10hipError_tPvRmT3_T4_T5_T6_T7_T9_mT8_P12ihipStream_tbDpT10_ENKUlT_T0_E_clISt17integral_constantIbLb0EES1C_EEDaS17_S18_EUlS17_E_NS1_11comp_targetILNS1_3genE10ELNS1_11target_archE1200ELNS1_3gpuE4ELNS1_3repE0EEENS1_30default_config_static_selectorELNS0_4arch9wavefront6targetE1EEEvT1_
; %bb.0:
	.section	.rodata,"a",@progbits
	.p2align	6, 0x0
	.amdhsa_kernel _ZN7rocprim17ROCPRIM_400000_NS6detail17trampoline_kernelINS0_14default_configENS1_25partition_config_selectorILNS1_17partition_subalgoE3EN6thrust23THRUST_200600_302600_NS5tupleIssNS7_9null_typeES9_S9_S9_S9_S9_S9_S9_EENS0_10empty_typeEbEEZZNS1_14partition_implILS5_3ELb0ES3_jNS7_6detail15normal_iteratorINS7_7pointerISA_NS7_11hip_rocprim3tagENS7_11use_defaultESJ_EEEEPSB_SM_NS0_5tupleIJPSA_SM_EEENSN_IJSM_SM_EEESB_PlJ10is_orderedEEE10hipError_tPvRmT3_T4_T5_T6_T7_T9_mT8_P12ihipStream_tbDpT10_ENKUlT_T0_E_clISt17integral_constantIbLb0EES1C_EEDaS17_S18_EUlS17_E_NS1_11comp_targetILNS1_3genE10ELNS1_11target_archE1200ELNS1_3gpuE4ELNS1_3repE0EEENS1_30default_config_static_selectorELNS0_4arch9wavefront6targetE1EEEvT1_
		.amdhsa_group_segment_fixed_size 0
		.amdhsa_private_segment_fixed_size 0
		.amdhsa_kernarg_size 120
		.amdhsa_user_sgpr_count 6
		.amdhsa_user_sgpr_private_segment_buffer 1
		.amdhsa_user_sgpr_dispatch_ptr 0
		.amdhsa_user_sgpr_queue_ptr 0
		.amdhsa_user_sgpr_kernarg_segment_ptr 1
		.amdhsa_user_sgpr_dispatch_id 0
		.amdhsa_user_sgpr_flat_scratch_init 0
		.amdhsa_user_sgpr_kernarg_preload_length 0
		.amdhsa_user_sgpr_kernarg_preload_offset 0
		.amdhsa_user_sgpr_private_segment_size 0
		.amdhsa_uses_dynamic_stack 0
		.amdhsa_system_sgpr_private_segment_wavefront_offset 0
		.amdhsa_system_sgpr_workgroup_id_x 1
		.amdhsa_system_sgpr_workgroup_id_y 0
		.amdhsa_system_sgpr_workgroup_id_z 0
		.amdhsa_system_sgpr_workgroup_info 0
		.amdhsa_system_vgpr_workitem_id 0
		.amdhsa_next_free_vgpr 1
		.amdhsa_next_free_sgpr 0
		.amdhsa_accum_offset 4
		.amdhsa_reserve_vcc 0
		.amdhsa_reserve_flat_scratch 0
		.amdhsa_float_round_mode_32 0
		.amdhsa_float_round_mode_16_64 0
		.amdhsa_float_denorm_mode_32 3
		.amdhsa_float_denorm_mode_16_64 3
		.amdhsa_dx10_clamp 1
		.amdhsa_ieee_mode 1
		.amdhsa_fp16_overflow 0
		.amdhsa_tg_split 0
		.amdhsa_exception_fp_ieee_invalid_op 0
		.amdhsa_exception_fp_denorm_src 0
		.amdhsa_exception_fp_ieee_div_zero 0
		.amdhsa_exception_fp_ieee_overflow 0
		.amdhsa_exception_fp_ieee_underflow 0
		.amdhsa_exception_fp_ieee_inexact 0
		.amdhsa_exception_int_div_zero 0
	.end_amdhsa_kernel
	.section	.text._ZN7rocprim17ROCPRIM_400000_NS6detail17trampoline_kernelINS0_14default_configENS1_25partition_config_selectorILNS1_17partition_subalgoE3EN6thrust23THRUST_200600_302600_NS5tupleIssNS7_9null_typeES9_S9_S9_S9_S9_S9_S9_EENS0_10empty_typeEbEEZZNS1_14partition_implILS5_3ELb0ES3_jNS7_6detail15normal_iteratorINS7_7pointerISA_NS7_11hip_rocprim3tagENS7_11use_defaultESJ_EEEEPSB_SM_NS0_5tupleIJPSA_SM_EEENSN_IJSM_SM_EEESB_PlJ10is_orderedEEE10hipError_tPvRmT3_T4_T5_T6_T7_T9_mT8_P12ihipStream_tbDpT10_ENKUlT_T0_E_clISt17integral_constantIbLb0EES1C_EEDaS17_S18_EUlS17_E_NS1_11comp_targetILNS1_3genE10ELNS1_11target_archE1200ELNS1_3gpuE4ELNS1_3repE0EEENS1_30default_config_static_selectorELNS0_4arch9wavefront6targetE1EEEvT1_,"axG",@progbits,_ZN7rocprim17ROCPRIM_400000_NS6detail17trampoline_kernelINS0_14default_configENS1_25partition_config_selectorILNS1_17partition_subalgoE3EN6thrust23THRUST_200600_302600_NS5tupleIssNS7_9null_typeES9_S9_S9_S9_S9_S9_S9_EENS0_10empty_typeEbEEZZNS1_14partition_implILS5_3ELb0ES3_jNS7_6detail15normal_iteratorINS7_7pointerISA_NS7_11hip_rocprim3tagENS7_11use_defaultESJ_EEEEPSB_SM_NS0_5tupleIJPSA_SM_EEENSN_IJSM_SM_EEESB_PlJ10is_orderedEEE10hipError_tPvRmT3_T4_T5_T6_T7_T9_mT8_P12ihipStream_tbDpT10_ENKUlT_T0_E_clISt17integral_constantIbLb0EES1C_EEDaS17_S18_EUlS17_E_NS1_11comp_targetILNS1_3genE10ELNS1_11target_archE1200ELNS1_3gpuE4ELNS1_3repE0EEENS1_30default_config_static_selectorELNS0_4arch9wavefront6targetE1EEEvT1_,comdat
.Lfunc_end3534:
	.size	_ZN7rocprim17ROCPRIM_400000_NS6detail17trampoline_kernelINS0_14default_configENS1_25partition_config_selectorILNS1_17partition_subalgoE3EN6thrust23THRUST_200600_302600_NS5tupleIssNS7_9null_typeES9_S9_S9_S9_S9_S9_S9_EENS0_10empty_typeEbEEZZNS1_14partition_implILS5_3ELb0ES3_jNS7_6detail15normal_iteratorINS7_7pointerISA_NS7_11hip_rocprim3tagENS7_11use_defaultESJ_EEEEPSB_SM_NS0_5tupleIJPSA_SM_EEENSN_IJSM_SM_EEESB_PlJ10is_orderedEEE10hipError_tPvRmT3_T4_T5_T6_T7_T9_mT8_P12ihipStream_tbDpT10_ENKUlT_T0_E_clISt17integral_constantIbLb0EES1C_EEDaS17_S18_EUlS17_E_NS1_11comp_targetILNS1_3genE10ELNS1_11target_archE1200ELNS1_3gpuE4ELNS1_3repE0EEENS1_30default_config_static_selectorELNS0_4arch9wavefront6targetE1EEEvT1_, .Lfunc_end3534-_ZN7rocprim17ROCPRIM_400000_NS6detail17trampoline_kernelINS0_14default_configENS1_25partition_config_selectorILNS1_17partition_subalgoE3EN6thrust23THRUST_200600_302600_NS5tupleIssNS7_9null_typeES9_S9_S9_S9_S9_S9_S9_EENS0_10empty_typeEbEEZZNS1_14partition_implILS5_3ELb0ES3_jNS7_6detail15normal_iteratorINS7_7pointerISA_NS7_11hip_rocprim3tagENS7_11use_defaultESJ_EEEEPSB_SM_NS0_5tupleIJPSA_SM_EEENSN_IJSM_SM_EEESB_PlJ10is_orderedEEE10hipError_tPvRmT3_T4_T5_T6_T7_T9_mT8_P12ihipStream_tbDpT10_ENKUlT_T0_E_clISt17integral_constantIbLb0EES1C_EEDaS17_S18_EUlS17_E_NS1_11comp_targetILNS1_3genE10ELNS1_11target_archE1200ELNS1_3gpuE4ELNS1_3repE0EEENS1_30default_config_static_selectorELNS0_4arch9wavefront6targetE1EEEvT1_
                                        ; -- End function
	.section	.AMDGPU.csdata,"",@progbits
; Kernel info:
; codeLenInByte = 0
; NumSgprs: 4
; NumVgprs: 0
; NumAgprs: 0
; TotalNumVgprs: 0
; ScratchSize: 0
; MemoryBound: 0
; FloatMode: 240
; IeeeMode: 1
; LDSByteSize: 0 bytes/workgroup (compile time only)
; SGPRBlocks: 0
; VGPRBlocks: 0
; NumSGPRsForWavesPerEU: 4
; NumVGPRsForWavesPerEU: 1
; AccumOffset: 4
; Occupancy: 8
; WaveLimiterHint : 0
; COMPUTE_PGM_RSRC2:SCRATCH_EN: 0
; COMPUTE_PGM_RSRC2:USER_SGPR: 6
; COMPUTE_PGM_RSRC2:TRAP_HANDLER: 0
; COMPUTE_PGM_RSRC2:TGID_X_EN: 1
; COMPUTE_PGM_RSRC2:TGID_Y_EN: 0
; COMPUTE_PGM_RSRC2:TGID_Z_EN: 0
; COMPUTE_PGM_RSRC2:TIDIG_COMP_CNT: 0
; COMPUTE_PGM_RSRC3_GFX90A:ACCUM_OFFSET: 0
; COMPUTE_PGM_RSRC3_GFX90A:TG_SPLIT: 0
	.section	.text._ZN7rocprim17ROCPRIM_400000_NS6detail17trampoline_kernelINS0_14default_configENS1_25partition_config_selectorILNS1_17partition_subalgoE3EN6thrust23THRUST_200600_302600_NS5tupleIssNS7_9null_typeES9_S9_S9_S9_S9_S9_S9_EENS0_10empty_typeEbEEZZNS1_14partition_implILS5_3ELb0ES3_jNS7_6detail15normal_iteratorINS7_7pointerISA_NS7_11hip_rocprim3tagENS7_11use_defaultESJ_EEEEPSB_SM_NS0_5tupleIJPSA_SM_EEENSN_IJSM_SM_EEESB_PlJ10is_orderedEEE10hipError_tPvRmT3_T4_T5_T6_T7_T9_mT8_P12ihipStream_tbDpT10_ENKUlT_T0_E_clISt17integral_constantIbLb0EES1C_EEDaS17_S18_EUlS17_E_NS1_11comp_targetILNS1_3genE9ELNS1_11target_archE1100ELNS1_3gpuE3ELNS1_3repE0EEENS1_30default_config_static_selectorELNS0_4arch9wavefront6targetE1EEEvT1_,"axG",@progbits,_ZN7rocprim17ROCPRIM_400000_NS6detail17trampoline_kernelINS0_14default_configENS1_25partition_config_selectorILNS1_17partition_subalgoE3EN6thrust23THRUST_200600_302600_NS5tupleIssNS7_9null_typeES9_S9_S9_S9_S9_S9_S9_EENS0_10empty_typeEbEEZZNS1_14partition_implILS5_3ELb0ES3_jNS7_6detail15normal_iteratorINS7_7pointerISA_NS7_11hip_rocprim3tagENS7_11use_defaultESJ_EEEEPSB_SM_NS0_5tupleIJPSA_SM_EEENSN_IJSM_SM_EEESB_PlJ10is_orderedEEE10hipError_tPvRmT3_T4_T5_T6_T7_T9_mT8_P12ihipStream_tbDpT10_ENKUlT_T0_E_clISt17integral_constantIbLb0EES1C_EEDaS17_S18_EUlS17_E_NS1_11comp_targetILNS1_3genE9ELNS1_11target_archE1100ELNS1_3gpuE3ELNS1_3repE0EEENS1_30default_config_static_selectorELNS0_4arch9wavefront6targetE1EEEvT1_,comdat
	.protected	_ZN7rocprim17ROCPRIM_400000_NS6detail17trampoline_kernelINS0_14default_configENS1_25partition_config_selectorILNS1_17partition_subalgoE3EN6thrust23THRUST_200600_302600_NS5tupleIssNS7_9null_typeES9_S9_S9_S9_S9_S9_S9_EENS0_10empty_typeEbEEZZNS1_14partition_implILS5_3ELb0ES3_jNS7_6detail15normal_iteratorINS7_7pointerISA_NS7_11hip_rocprim3tagENS7_11use_defaultESJ_EEEEPSB_SM_NS0_5tupleIJPSA_SM_EEENSN_IJSM_SM_EEESB_PlJ10is_orderedEEE10hipError_tPvRmT3_T4_T5_T6_T7_T9_mT8_P12ihipStream_tbDpT10_ENKUlT_T0_E_clISt17integral_constantIbLb0EES1C_EEDaS17_S18_EUlS17_E_NS1_11comp_targetILNS1_3genE9ELNS1_11target_archE1100ELNS1_3gpuE3ELNS1_3repE0EEENS1_30default_config_static_selectorELNS0_4arch9wavefront6targetE1EEEvT1_ ; -- Begin function _ZN7rocprim17ROCPRIM_400000_NS6detail17trampoline_kernelINS0_14default_configENS1_25partition_config_selectorILNS1_17partition_subalgoE3EN6thrust23THRUST_200600_302600_NS5tupleIssNS7_9null_typeES9_S9_S9_S9_S9_S9_S9_EENS0_10empty_typeEbEEZZNS1_14partition_implILS5_3ELb0ES3_jNS7_6detail15normal_iteratorINS7_7pointerISA_NS7_11hip_rocprim3tagENS7_11use_defaultESJ_EEEEPSB_SM_NS0_5tupleIJPSA_SM_EEENSN_IJSM_SM_EEESB_PlJ10is_orderedEEE10hipError_tPvRmT3_T4_T5_T6_T7_T9_mT8_P12ihipStream_tbDpT10_ENKUlT_T0_E_clISt17integral_constantIbLb0EES1C_EEDaS17_S18_EUlS17_E_NS1_11comp_targetILNS1_3genE9ELNS1_11target_archE1100ELNS1_3gpuE3ELNS1_3repE0EEENS1_30default_config_static_selectorELNS0_4arch9wavefront6targetE1EEEvT1_
	.globl	_ZN7rocprim17ROCPRIM_400000_NS6detail17trampoline_kernelINS0_14default_configENS1_25partition_config_selectorILNS1_17partition_subalgoE3EN6thrust23THRUST_200600_302600_NS5tupleIssNS7_9null_typeES9_S9_S9_S9_S9_S9_S9_EENS0_10empty_typeEbEEZZNS1_14partition_implILS5_3ELb0ES3_jNS7_6detail15normal_iteratorINS7_7pointerISA_NS7_11hip_rocprim3tagENS7_11use_defaultESJ_EEEEPSB_SM_NS0_5tupleIJPSA_SM_EEENSN_IJSM_SM_EEESB_PlJ10is_orderedEEE10hipError_tPvRmT3_T4_T5_T6_T7_T9_mT8_P12ihipStream_tbDpT10_ENKUlT_T0_E_clISt17integral_constantIbLb0EES1C_EEDaS17_S18_EUlS17_E_NS1_11comp_targetILNS1_3genE9ELNS1_11target_archE1100ELNS1_3gpuE3ELNS1_3repE0EEENS1_30default_config_static_selectorELNS0_4arch9wavefront6targetE1EEEvT1_
	.p2align	8
	.type	_ZN7rocprim17ROCPRIM_400000_NS6detail17trampoline_kernelINS0_14default_configENS1_25partition_config_selectorILNS1_17partition_subalgoE3EN6thrust23THRUST_200600_302600_NS5tupleIssNS7_9null_typeES9_S9_S9_S9_S9_S9_S9_EENS0_10empty_typeEbEEZZNS1_14partition_implILS5_3ELb0ES3_jNS7_6detail15normal_iteratorINS7_7pointerISA_NS7_11hip_rocprim3tagENS7_11use_defaultESJ_EEEEPSB_SM_NS0_5tupleIJPSA_SM_EEENSN_IJSM_SM_EEESB_PlJ10is_orderedEEE10hipError_tPvRmT3_T4_T5_T6_T7_T9_mT8_P12ihipStream_tbDpT10_ENKUlT_T0_E_clISt17integral_constantIbLb0EES1C_EEDaS17_S18_EUlS17_E_NS1_11comp_targetILNS1_3genE9ELNS1_11target_archE1100ELNS1_3gpuE3ELNS1_3repE0EEENS1_30default_config_static_selectorELNS0_4arch9wavefront6targetE1EEEvT1_,@function
_ZN7rocprim17ROCPRIM_400000_NS6detail17trampoline_kernelINS0_14default_configENS1_25partition_config_selectorILNS1_17partition_subalgoE3EN6thrust23THRUST_200600_302600_NS5tupleIssNS7_9null_typeES9_S9_S9_S9_S9_S9_S9_EENS0_10empty_typeEbEEZZNS1_14partition_implILS5_3ELb0ES3_jNS7_6detail15normal_iteratorINS7_7pointerISA_NS7_11hip_rocprim3tagENS7_11use_defaultESJ_EEEEPSB_SM_NS0_5tupleIJPSA_SM_EEENSN_IJSM_SM_EEESB_PlJ10is_orderedEEE10hipError_tPvRmT3_T4_T5_T6_T7_T9_mT8_P12ihipStream_tbDpT10_ENKUlT_T0_E_clISt17integral_constantIbLb0EES1C_EEDaS17_S18_EUlS17_E_NS1_11comp_targetILNS1_3genE9ELNS1_11target_archE1100ELNS1_3gpuE3ELNS1_3repE0EEENS1_30default_config_static_selectorELNS0_4arch9wavefront6targetE1EEEvT1_: ; @_ZN7rocprim17ROCPRIM_400000_NS6detail17trampoline_kernelINS0_14default_configENS1_25partition_config_selectorILNS1_17partition_subalgoE3EN6thrust23THRUST_200600_302600_NS5tupleIssNS7_9null_typeES9_S9_S9_S9_S9_S9_S9_EENS0_10empty_typeEbEEZZNS1_14partition_implILS5_3ELb0ES3_jNS7_6detail15normal_iteratorINS7_7pointerISA_NS7_11hip_rocprim3tagENS7_11use_defaultESJ_EEEEPSB_SM_NS0_5tupleIJPSA_SM_EEENSN_IJSM_SM_EEESB_PlJ10is_orderedEEE10hipError_tPvRmT3_T4_T5_T6_T7_T9_mT8_P12ihipStream_tbDpT10_ENKUlT_T0_E_clISt17integral_constantIbLb0EES1C_EEDaS17_S18_EUlS17_E_NS1_11comp_targetILNS1_3genE9ELNS1_11target_archE1100ELNS1_3gpuE3ELNS1_3repE0EEENS1_30default_config_static_selectorELNS0_4arch9wavefront6targetE1EEEvT1_
; %bb.0:
	.section	.rodata,"a",@progbits
	.p2align	6, 0x0
	.amdhsa_kernel _ZN7rocprim17ROCPRIM_400000_NS6detail17trampoline_kernelINS0_14default_configENS1_25partition_config_selectorILNS1_17partition_subalgoE3EN6thrust23THRUST_200600_302600_NS5tupleIssNS7_9null_typeES9_S9_S9_S9_S9_S9_S9_EENS0_10empty_typeEbEEZZNS1_14partition_implILS5_3ELb0ES3_jNS7_6detail15normal_iteratorINS7_7pointerISA_NS7_11hip_rocprim3tagENS7_11use_defaultESJ_EEEEPSB_SM_NS0_5tupleIJPSA_SM_EEENSN_IJSM_SM_EEESB_PlJ10is_orderedEEE10hipError_tPvRmT3_T4_T5_T6_T7_T9_mT8_P12ihipStream_tbDpT10_ENKUlT_T0_E_clISt17integral_constantIbLb0EES1C_EEDaS17_S18_EUlS17_E_NS1_11comp_targetILNS1_3genE9ELNS1_11target_archE1100ELNS1_3gpuE3ELNS1_3repE0EEENS1_30default_config_static_selectorELNS0_4arch9wavefront6targetE1EEEvT1_
		.amdhsa_group_segment_fixed_size 0
		.amdhsa_private_segment_fixed_size 0
		.amdhsa_kernarg_size 120
		.amdhsa_user_sgpr_count 6
		.amdhsa_user_sgpr_private_segment_buffer 1
		.amdhsa_user_sgpr_dispatch_ptr 0
		.amdhsa_user_sgpr_queue_ptr 0
		.amdhsa_user_sgpr_kernarg_segment_ptr 1
		.amdhsa_user_sgpr_dispatch_id 0
		.amdhsa_user_sgpr_flat_scratch_init 0
		.amdhsa_user_sgpr_kernarg_preload_length 0
		.amdhsa_user_sgpr_kernarg_preload_offset 0
		.amdhsa_user_sgpr_private_segment_size 0
		.amdhsa_uses_dynamic_stack 0
		.amdhsa_system_sgpr_private_segment_wavefront_offset 0
		.amdhsa_system_sgpr_workgroup_id_x 1
		.amdhsa_system_sgpr_workgroup_id_y 0
		.amdhsa_system_sgpr_workgroup_id_z 0
		.amdhsa_system_sgpr_workgroup_info 0
		.amdhsa_system_vgpr_workitem_id 0
		.amdhsa_next_free_vgpr 1
		.amdhsa_next_free_sgpr 0
		.amdhsa_accum_offset 4
		.amdhsa_reserve_vcc 0
		.amdhsa_reserve_flat_scratch 0
		.amdhsa_float_round_mode_32 0
		.amdhsa_float_round_mode_16_64 0
		.amdhsa_float_denorm_mode_32 3
		.amdhsa_float_denorm_mode_16_64 3
		.amdhsa_dx10_clamp 1
		.amdhsa_ieee_mode 1
		.amdhsa_fp16_overflow 0
		.amdhsa_tg_split 0
		.amdhsa_exception_fp_ieee_invalid_op 0
		.amdhsa_exception_fp_denorm_src 0
		.amdhsa_exception_fp_ieee_div_zero 0
		.amdhsa_exception_fp_ieee_overflow 0
		.amdhsa_exception_fp_ieee_underflow 0
		.amdhsa_exception_fp_ieee_inexact 0
		.amdhsa_exception_int_div_zero 0
	.end_amdhsa_kernel
	.section	.text._ZN7rocprim17ROCPRIM_400000_NS6detail17trampoline_kernelINS0_14default_configENS1_25partition_config_selectorILNS1_17partition_subalgoE3EN6thrust23THRUST_200600_302600_NS5tupleIssNS7_9null_typeES9_S9_S9_S9_S9_S9_S9_EENS0_10empty_typeEbEEZZNS1_14partition_implILS5_3ELb0ES3_jNS7_6detail15normal_iteratorINS7_7pointerISA_NS7_11hip_rocprim3tagENS7_11use_defaultESJ_EEEEPSB_SM_NS0_5tupleIJPSA_SM_EEENSN_IJSM_SM_EEESB_PlJ10is_orderedEEE10hipError_tPvRmT3_T4_T5_T6_T7_T9_mT8_P12ihipStream_tbDpT10_ENKUlT_T0_E_clISt17integral_constantIbLb0EES1C_EEDaS17_S18_EUlS17_E_NS1_11comp_targetILNS1_3genE9ELNS1_11target_archE1100ELNS1_3gpuE3ELNS1_3repE0EEENS1_30default_config_static_selectorELNS0_4arch9wavefront6targetE1EEEvT1_,"axG",@progbits,_ZN7rocprim17ROCPRIM_400000_NS6detail17trampoline_kernelINS0_14default_configENS1_25partition_config_selectorILNS1_17partition_subalgoE3EN6thrust23THRUST_200600_302600_NS5tupleIssNS7_9null_typeES9_S9_S9_S9_S9_S9_S9_EENS0_10empty_typeEbEEZZNS1_14partition_implILS5_3ELb0ES3_jNS7_6detail15normal_iteratorINS7_7pointerISA_NS7_11hip_rocprim3tagENS7_11use_defaultESJ_EEEEPSB_SM_NS0_5tupleIJPSA_SM_EEENSN_IJSM_SM_EEESB_PlJ10is_orderedEEE10hipError_tPvRmT3_T4_T5_T6_T7_T9_mT8_P12ihipStream_tbDpT10_ENKUlT_T0_E_clISt17integral_constantIbLb0EES1C_EEDaS17_S18_EUlS17_E_NS1_11comp_targetILNS1_3genE9ELNS1_11target_archE1100ELNS1_3gpuE3ELNS1_3repE0EEENS1_30default_config_static_selectorELNS0_4arch9wavefront6targetE1EEEvT1_,comdat
.Lfunc_end3535:
	.size	_ZN7rocprim17ROCPRIM_400000_NS6detail17trampoline_kernelINS0_14default_configENS1_25partition_config_selectorILNS1_17partition_subalgoE3EN6thrust23THRUST_200600_302600_NS5tupleIssNS7_9null_typeES9_S9_S9_S9_S9_S9_S9_EENS0_10empty_typeEbEEZZNS1_14partition_implILS5_3ELb0ES3_jNS7_6detail15normal_iteratorINS7_7pointerISA_NS7_11hip_rocprim3tagENS7_11use_defaultESJ_EEEEPSB_SM_NS0_5tupleIJPSA_SM_EEENSN_IJSM_SM_EEESB_PlJ10is_orderedEEE10hipError_tPvRmT3_T4_T5_T6_T7_T9_mT8_P12ihipStream_tbDpT10_ENKUlT_T0_E_clISt17integral_constantIbLb0EES1C_EEDaS17_S18_EUlS17_E_NS1_11comp_targetILNS1_3genE9ELNS1_11target_archE1100ELNS1_3gpuE3ELNS1_3repE0EEENS1_30default_config_static_selectorELNS0_4arch9wavefront6targetE1EEEvT1_, .Lfunc_end3535-_ZN7rocprim17ROCPRIM_400000_NS6detail17trampoline_kernelINS0_14default_configENS1_25partition_config_selectorILNS1_17partition_subalgoE3EN6thrust23THRUST_200600_302600_NS5tupleIssNS7_9null_typeES9_S9_S9_S9_S9_S9_S9_EENS0_10empty_typeEbEEZZNS1_14partition_implILS5_3ELb0ES3_jNS7_6detail15normal_iteratorINS7_7pointerISA_NS7_11hip_rocprim3tagENS7_11use_defaultESJ_EEEEPSB_SM_NS0_5tupleIJPSA_SM_EEENSN_IJSM_SM_EEESB_PlJ10is_orderedEEE10hipError_tPvRmT3_T4_T5_T6_T7_T9_mT8_P12ihipStream_tbDpT10_ENKUlT_T0_E_clISt17integral_constantIbLb0EES1C_EEDaS17_S18_EUlS17_E_NS1_11comp_targetILNS1_3genE9ELNS1_11target_archE1100ELNS1_3gpuE3ELNS1_3repE0EEENS1_30default_config_static_selectorELNS0_4arch9wavefront6targetE1EEEvT1_
                                        ; -- End function
	.section	.AMDGPU.csdata,"",@progbits
; Kernel info:
; codeLenInByte = 0
; NumSgprs: 4
; NumVgprs: 0
; NumAgprs: 0
; TotalNumVgprs: 0
; ScratchSize: 0
; MemoryBound: 0
; FloatMode: 240
; IeeeMode: 1
; LDSByteSize: 0 bytes/workgroup (compile time only)
; SGPRBlocks: 0
; VGPRBlocks: 0
; NumSGPRsForWavesPerEU: 4
; NumVGPRsForWavesPerEU: 1
; AccumOffset: 4
; Occupancy: 8
; WaveLimiterHint : 0
; COMPUTE_PGM_RSRC2:SCRATCH_EN: 0
; COMPUTE_PGM_RSRC2:USER_SGPR: 6
; COMPUTE_PGM_RSRC2:TRAP_HANDLER: 0
; COMPUTE_PGM_RSRC2:TGID_X_EN: 1
; COMPUTE_PGM_RSRC2:TGID_Y_EN: 0
; COMPUTE_PGM_RSRC2:TGID_Z_EN: 0
; COMPUTE_PGM_RSRC2:TIDIG_COMP_CNT: 0
; COMPUTE_PGM_RSRC3_GFX90A:ACCUM_OFFSET: 0
; COMPUTE_PGM_RSRC3_GFX90A:TG_SPLIT: 0
	.section	.text._ZN7rocprim17ROCPRIM_400000_NS6detail17trampoline_kernelINS0_14default_configENS1_25partition_config_selectorILNS1_17partition_subalgoE3EN6thrust23THRUST_200600_302600_NS5tupleIssNS7_9null_typeES9_S9_S9_S9_S9_S9_S9_EENS0_10empty_typeEbEEZZNS1_14partition_implILS5_3ELb0ES3_jNS7_6detail15normal_iteratorINS7_7pointerISA_NS7_11hip_rocprim3tagENS7_11use_defaultESJ_EEEEPSB_SM_NS0_5tupleIJPSA_SM_EEENSN_IJSM_SM_EEESB_PlJ10is_orderedEEE10hipError_tPvRmT3_T4_T5_T6_T7_T9_mT8_P12ihipStream_tbDpT10_ENKUlT_T0_E_clISt17integral_constantIbLb0EES1C_EEDaS17_S18_EUlS17_E_NS1_11comp_targetILNS1_3genE8ELNS1_11target_archE1030ELNS1_3gpuE2ELNS1_3repE0EEENS1_30default_config_static_selectorELNS0_4arch9wavefront6targetE1EEEvT1_,"axG",@progbits,_ZN7rocprim17ROCPRIM_400000_NS6detail17trampoline_kernelINS0_14default_configENS1_25partition_config_selectorILNS1_17partition_subalgoE3EN6thrust23THRUST_200600_302600_NS5tupleIssNS7_9null_typeES9_S9_S9_S9_S9_S9_S9_EENS0_10empty_typeEbEEZZNS1_14partition_implILS5_3ELb0ES3_jNS7_6detail15normal_iteratorINS7_7pointerISA_NS7_11hip_rocprim3tagENS7_11use_defaultESJ_EEEEPSB_SM_NS0_5tupleIJPSA_SM_EEENSN_IJSM_SM_EEESB_PlJ10is_orderedEEE10hipError_tPvRmT3_T4_T5_T6_T7_T9_mT8_P12ihipStream_tbDpT10_ENKUlT_T0_E_clISt17integral_constantIbLb0EES1C_EEDaS17_S18_EUlS17_E_NS1_11comp_targetILNS1_3genE8ELNS1_11target_archE1030ELNS1_3gpuE2ELNS1_3repE0EEENS1_30default_config_static_selectorELNS0_4arch9wavefront6targetE1EEEvT1_,comdat
	.protected	_ZN7rocprim17ROCPRIM_400000_NS6detail17trampoline_kernelINS0_14default_configENS1_25partition_config_selectorILNS1_17partition_subalgoE3EN6thrust23THRUST_200600_302600_NS5tupleIssNS7_9null_typeES9_S9_S9_S9_S9_S9_S9_EENS0_10empty_typeEbEEZZNS1_14partition_implILS5_3ELb0ES3_jNS7_6detail15normal_iteratorINS7_7pointerISA_NS7_11hip_rocprim3tagENS7_11use_defaultESJ_EEEEPSB_SM_NS0_5tupleIJPSA_SM_EEENSN_IJSM_SM_EEESB_PlJ10is_orderedEEE10hipError_tPvRmT3_T4_T5_T6_T7_T9_mT8_P12ihipStream_tbDpT10_ENKUlT_T0_E_clISt17integral_constantIbLb0EES1C_EEDaS17_S18_EUlS17_E_NS1_11comp_targetILNS1_3genE8ELNS1_11target_archE1030ELNS1_3gpuE2ELNS1_3repE0EEENS1_30default_config_static_selectorELNS0_4arch9wavefront6targetE1EEEvT1_ ; -- Begin function _ZN7rocprim17ROCPRIM_400000_NS6detail17trampoline_kernelINS0_14default_configENS1_25partition_config_selectorILNS1_17partition_subalgoE3EN6thrust23THRUST_200600_302600_NS5tupleIssNS7_9null_typeES9_S9_S9_S9_S9_S9_S9_EENS0_10empty_typeEbEEZZNS1_14partition_implILS5_3ELb0ES3_jNS7_6detail15normal_iteratorINS7_7pointerISA_NS7_11hip_rocprim3tagENS7_11use_defaultESJ_EEEEPSB_SM_NS0_5tupleIJPSA_SM_EEENSN_IJSM_SM_EEESB_PlJ10is_orderedEEE10hipError_tPvRmT3_T4_T5_T6_T7_T9_mT8_P12ihipStream_tbDpT10_ENKUlT_T0_E_clISt17integral_constantIbLb0EES1C_EEDaS17_S18_EUlS17_E_NS1_11comp_targetILNS1_3genE8ELNS1_11target_archE1030ELNS1_3gpuE2ELNS1_3repE0EEENS1_30default_config_static_selectorELNS0_4arch9wavefront6targetE1EEEvT1_
	.globl	_ZN7rocprim17ROCPRIM_400000_NS6detail17trampoline_kernelINS0_14default_configENS1_25partition_config_selectorILNS1_17partition_subalgoE3EN6thrust23THRUST_200600_302600_NS5tupleIssNS7_9null_typeES9_S9_S9_S9_S9_S9_S9_EENS0_10empty_typeEbEEZZNS1_14partition_implILS5_3ELb0ES3_jNS7_6detail15normal_iteratorINS7_7pointerISA_NS7_11hip_rocprim3tagENS7_11use_defaultESJ_EEEEPSB_SM_NS0_5tupleIJPSA_SM_EEENSN_IJSM_SM_EEESB_PlJ10is_orderedEEE10hipError_tPvRmT3_T4_T5_T6_T7_T9_mT8_P12ihipStream_tbDpT10_ENKUlT_T0_E_clISt17integral_constantIbLb0EES1C_EEDaS17_S18_EUlS17_E_NS1_11comp_targetILNS1_3genE8ELNS1_11target_archE1030ELNS1_3gpuE2ELNS1_3repE0EEENS1_30default_config_static_selectorELNS0_4arch9wavefront6targetE1EEEvT1_
	.p2align	8
	.type	_ZN7rocprim17ROCPRIM_400000_NS6detail17trampoline_kernelINS0_14default_configENS1_25partition_config_selectorILNS1_17partition_subalgoE3EN6thrust23THRUST_200600_302600_NS5tupleIssNS7_9null_typeES9_S9_S9_S9_S9_S9_S9_EENS0_10empty_typeEbEEZZNS1_14partition_implILS5_3ELb0ES3_jNS7_6detail15normal_iteratorINS7_7pointerISA_NS7_11hip_rocprim3tagENS7_11use_defaultESJ_EEEEPSB_SM_NS0_5tupleIJPSA_SM_EEENSN_IJSM_SM_EEESB_PlJ10is_orderedEEE10hipError_tPvRmT3_T4_T5_T6_T7_T9_mT8_P12ihipStream_tbDpT10_ENKUlT_T0_E_clISt17integral_constantIbLb0EES1C_EEDaS17_S18_EUlS17_E_NS1_11comp_targetILNS1_3genE8ELNS1_11target_archE1030ELNS1_3gpuE2ELNS1_3repE0EEENS1_30default_config_static_selectorELNS0_4arch9wavefront6targetE1EEEvT1_,@function
_ZN7rocprim17ROCPRIM_400000_NS6detail17trampoline_kernelINS0_14default_configENS1_25partition_config_selectorILNS1_17partition_subalgoE3EN6thrust23THRUST_200600_302600_NS5tupleIssNS7_9null_typeES9_S9_S9_S9_S9_S9_S9_EENS0_10empty_typeEbEEZZNS1_14partition_implILS5_3ELb0ES3_jNS7_6detail15normal_iteratorINS7_7pointerISA_NS7_11hip_rocprim3tagENS7_11use_defaultESJ_EEEEPSB_SM_NS0_5tupleIJPSA_SM_EEENSN_IJSM_SM_EEESB_PlJ10is_orderedEEE10hipError_tPvRmT3_T4_T5_T6_T7_T9_mT8_P12ihipStream_tbDpT10_ENKUlT_T0_E_clISt17integral_constantIbLb0EES1C_EEDaS17_S18_EUlS17_E_NS1_11comp_targetILNS1_3genE8ELNS1_11target_archE1030ELNS1_3gpuE2ELNS1_3repE0EEENS1_30default_config_static_selectorELNS0_4arch9wavefront6targetE1EEEvT1_: ; @_ZN7rocprim17ROCPRIM_400000_NS6detail17trampoline_kernelINS0_14default_configENS1_25partition_config_selectorILNS1_17partition_subalgoE3EN6thrust23THRUST_200600_302600_NS5tupleIssNS7_9null_typeES9_S9_S9_S9_S9_S9_S9_EENS0_10empty_typeEbEEZZNS1_14partition_implILS5_3ELb0ES3_jNS7_6detail15normal_iteratorINS7_7pointerISA_NS7_11hip_rocprim3tagENS7_11use_defaultESJ_EEEEPSB_SM_NS0_5tupleIJPSA_SM_EEENSN_IJSM_SM_EEESB_PlJ10is_orderedEEE10hipError_tPvRmT3_T4_T5_T6_T7_T9_mT8_P12ihipStream_tbDpT10_ENKUlT_T0_E_clISt17integral_constantIbLb0EES1C_EEDaS17_S18_EUlS17_E_NS1_11comp_targetILNS1_3genE8ELNS1_11target_archE1030ELNS1_3gpuE2ELNS1_3repE0EEENS1_30default_config_static_selectorELNS0_4arch9wavefront6targetE1EEEvT1_
; %bb.0:
	.section	.rodata,"a",@progbits
	.p2align	6, 0x0
	.amdhsa_kernel _ZN7rocprim17ROCPRIM_400000_NS6detail17trampoline_kernelINS0_14default_configENS1_25partition_config_selectorILNS1_17partition_subalgoE3EN6thrust23THRUST_200600_302600_NS5tupleIssNS7_9null_typeES9_S9_S9_S9_S9_S9_S9_EENS0_10empty_typeEbEEZZNS1_14partition_implILS5_3ELb0ES3_jNS7_6detail15normal_iteratorINS7_7pointerISA_NS7_11hip_rocprim3tagENS7_11use_defaultESJ_EEEEPSB_SM_NS0_5tupleIJPSA_SM_EEENSN_IJSM_SM_EEESB_PlJ10is_orderedEEE10hipError_tPvRmT3_T4_T5_T6_T7_T9_mT8_P12ihipStream_tbDpT10_ENKUlT_T0_E_clISt17integral_constantIbLb0EES1C_EEDaS17_S18_EUlS17_E_NS1_11comp_targetILNS1_3genE8ELNS1_11target_archE1030ELNS1_3gpuE2ELNS1_3repE0EEENS1_30default_config_static_selectorELNS0_4arch9wavefront6targetE1EEEvT1_
		.amdhsa_group_segment_fixed_size 0
		.amdhsa_private_segment_fixed_size 0
		.amdhsa_kernarg_size 120
		.amdhsa_user_sgpr_count 6
		.amdhsa_user_sgpr_private_segment_buffer 1
		.amdhsa_user_sgpr_dispatch_ptr 0
		.amdhsa_user_sgpr_queue_ptr 0
		.amdhsa_user_sgpr_kernarg_segment_ptr 1
		.amdhsa_user_sgpr_dispatch_id 0
		.amdhsa_user_sgpr_flat_scratch_init 0
		.amdhsa_user_sgpr_kernarg_preload_length 0
		.amdhsa_user_sgpr_kernarg_preload_offset 0
		.amdhsa_user_sgpr_private_segment_size 0
		.amdhsa_uses_dynamic_stack 0
		.amdhsa_system_sgpr_private_segment_wavefront_offset 0
		.amdhsa_system_sgpr_workgroup_id_x 1
		.amdhsa_system_sgpr_workgroup_id_y 0
		.amdhsa_system_sgpr_workgroup_id_z 0
		.amdhsa_system_sgpr_workgroup_info 0
		.amdhsa_system_vgpr_workitem_id 0
		.amdhsa_next_free_vgpr 1
		.amdhsa_next_free_sgpr 0
		.amdhsa_accum_offset 4
		.amdhsa_reserve_vcc 0
		.amdhsa_reserve_flat_scratch 0
		.amdhsa_float_round_mode_32 0
		.amdhsa_float_round_mode_16_64 0
		.amdhsa_float_denorm_mode_32 3
		.amdhsa_float_denorm_mode_16_64 3
		.amdhsa_dx10_clamp 1
		.amdhsa_ieee_mode 1
		.amdhsa_fp16_overflow 0
		.amdhsa_tg_split 0
		.amdhsa_exception_fp_ieee_invalid_op 0
		.amdhsa_exception_fp_denorm_src 0
		.amdhsa_exception_fp_ieee_div_zero 0
		.amdhsa_exception_fp_ieee_overflow 0
		.amdhsa_exception_fp_ieee_underflow 0
		.amdhsa_exception_fp_ieee_inexact 0
		.amdhsa_exception_int_div_zero 0
	.end_amdhsa_kernel
	.section	.text._ZN7rocprim17ROCPRIM_400000_NS6detail17trampoline_kernelINS0_14default_configENS1_25partition_config_selectorILNS1_17partition_subalgoE3EN6thrust23THRUST_200600_302600_NS5tupleIssNS7_9null_typeES9_S9_S9_S9_S9_S9_S9_EENS0_10empty_typeEbEEZZNS1_14partition_implILS5_3ELb0ES3_jNS7_6detail15normal_iteratorINS7_7pointerISA_NS7_11hip_rocprim3tagENS7_11use_defaultESJ_EEEEPSB_SM_NS0_5tupleIJPSA_SM_EEENSN_IJSM_SM_EEESB_PlJ10is_orderedEEE10hipError_tPvRmT3_T4_T5_T6_T7_T9_mT8_P12ihipStream_tbDpT10_ENKUlT_T0_E_clISt17integral_constantIbLb0EES1C_EEDaS17_S18_EUlS17_E_NS1_11comp_targetILNS1_3genE8ELNS1_11target_archE1030ELNS1_3gpuE2ELNS1_3repE0EEENS1_30default_config_static_selectorELNS0_4arch9wavefront6targetE1EEEvT1_,"axG",@progbits,_ZN7rocprim17ROCPRIM_400000_NS6detail17trampoline_kernelINS0_14default_configENS1_25partition_config_selectorILNS1_17partition_subalgoE3EN6thrust23THRUST_200600_302600_NS5tupleIssNS7_9null_typeES9_S9_S9_S9_S9_S9_S9_EENS0_10empty_typeEbEEZZNS1_14partition_implILS5_3ELb0ES3_jNS7_6detail15normal_iteratorINS7_7pointerISA_NS7_11hip_rocprim3tagENS7_11use_defaultESJ_EEEEPSB_SM_NS0_5tupleIJPSA_SM_EEENSN_IJSM_SM_EEESB_PlJ10is_orderedEEE10hipError_tPvRmT3_T4_T5_T6_T7_T9_mT8_P12ihipStream_tbDpT10_ENKUlT_T0_E_clISt17integral_constantIbLb0EES1C_EEDaS17_S18_EUlS17_E_NS1_11comp_targetILNS1_3genE8ELNS1_11target_archE1030ELNS1_3gpuE2ELNS1_3repE0EEENS1_30default_config_static_selectorELNS0_4arch9wavefront6targetE1EEEvT1_,comdat
.Lfunc_end3536:
	.size	_ZN7rocprim17ROCPRIM_400000_NS6detail17trampoline_kernelINS0_14default_configENS1_25partition_config_selectorILNS1_17partition_subalgoE3EN6thrust23THRUST_200600_302600_NS5tupleIssNS7_9null_typeES9_S9_S9_S9_S9_S9_S9_EENS0_10empty_typeEbEEZZNS1_14partition_implILS5_3ELb0ES3_jNS7_6detail15normal_iteratorINS7_7pointerISA_NS7_11hip_rocprim3tagENS7_11use_defaultESJ_EEEEPSB_SM_NS0_5tupleIJPSA_SM_EEENSN_IJSM_SM_EEESB_PlJ10is_orderedEEE10hipError_tPvRmT3_T4_T5_T6_T7_T9_mT8_P12ihipStream_tbDpT10_ENKUlT_T0_E_clISt17integral_constantIbLb0EES1C_EEDaS17_S18_EUlS17_E_NS1_11comp_targetILNS1_3genE8ELNS1_11target_archE1030ELNS1_3gpuE2ELNS1_3repE0EEENS1_30default_config_static_selectorELNS0_4arch9wavefront6targetE1EEEvT1_, .Lfunc_end3536-_ZN7rocprim17ROCPRIM_400000_NS6detail17trampoline_kernelINS0_14default_configENS1_25partition_config_selectorILNS1_17partition_subalgoE3EN6thrust23THRUST_200600_302600_NS5tupleIssNS7_9null_typeES9_S9_S9_S9_S9_S9_S9_EENS0_10empty_typeEbEEZZNS1_14partition_implILS5_3ELb0ES3_jNS7_6detail15normal_iteratorINS7_7pointerISA_NS7_11hip_rocprim3tagENS7_11use_defaultESJ_EEEEPSB_SM_NS0_5tupleIJPSA_SM_EEENSN_IJSM_SM_EEESB_PlJ10is_orderedEEE10hipError_tPvRmT3_T4_T5_T6_T7_T9_mT8_P12ihipStream_tbDpT10_ENKUlT_T0_E_clISt17integral_constantIbLb0EES1C_EEDaS17_S18_EUlS17_E_NS1_11comp_targetILNS1_3genE8ELNS1_11target_archE1030ELNS1_3gpuE2ELNS1_3repE0EEENS1_30default_config_static_selectorELNS0_4arch9wavefront6targetE1EEEvT1_
                                        ; -- End function
	.section	.AMDGPU.csdata,"",@progbits
; Kernel info:
; codeLenInByte = 0
; NumSgprs: 4
; NumVgprs: 0
; NumAgprs: 0
; TotalNumVgprs: 0
; ScratchSize: 0
; MemoryBound: 0
; FloatMode: 240
; IeeeMode: 1
; LDSByteSize: 0 bytes/workgroup (compile time only)
; SGPRBlocks: 0
; VGPRBlocks: 0
; NumSGPRsForWavesPerEU: 4
; NumVGPRsForWavesPerEU: 1
; AccumOffset: 4
; Occupancy: 8
; WaveLimiterHint : 0
; COMPUTE_PGM_RSRC2:SCRATCH_EN: 0
; COMPUTE_PGM_RSRC2:USER_SGPR: 6
; COMPUTE_PGM_RSRC2:TRAP_HANDLER: 0
; COMPUTE_PGM_RSRC2:TGID_X_EN: 1
; COMPUTE_PGM_RSRC2:TGID_Y_EN: 0
; COMPUTE_PGM_RSRC2:TGID_Z_EN: 0
; COMPUTE_PGM_RSRC2:TIDIG_COMP_CNT: 0
; COMPUTE_PGM_RSRC3_GFX90A:ACCUM_OFFSET: 0
; COMPUTE_PGM_RSRC3_GFX90A:TG_SPLIT: 0
	.section	.text._ZN7rocprim17ROCPRIM_400000_NS6detail17trampoline_kernelINS0_14default_configENS1_25partition_config_selectorILNS1_17partition_subalgoE3EN6thrust23THRUST_200600_302600_NS5tupleIssNS7_9null_typeES9_S9_S9_S9_S9_S9_S9_EENS0_10empty_typeEbEEZZNS1_14partition_implILS5_3ELb0ES3_jNS7_6detail15normal_iteratorINS7_7pointerISA_NS7_11hip_rocprim3tagENS7_11use_defaultESJ_EEEEPSB_SM_NS0_5tupleIJPSA_SM_EEENSN_IJSM_SM_EEESB_PlJ10is_orderedEEE10hipError_tPvRmT3_T4_T5_T6_T7_T9_mT8_P12ihipStream_tbDpT10_ENKUlT_T0_E_clISt17integral_constantIbLb1EES1C_EEDaS17_S18_EUlS17_E_NS1_11comp_targetILNS1_3genE0ELNS1_11target_archE4294967295ELNS1_3gpuE0ELNS1_3repE0EEENS1_30default_config_static_selectorELNS0_4arch9wavefront6targetE1EEEvT1_,"axG",@progbits,_ZN7rocprim17ROCPRIM_400000_NS6detail17trampoline_kernelINS0_14default_configENS1_25partition_config_selectorILNS1_17partition_subalgoE3EN6thrust23THRUST_200600_302600_NS5tupleIssNS7_9null_typeES9_S9_S9_S9_S9_S9_S9_EENS0_10empty_typeEbEEZZNS1_14partition_implILS5_3ELb0ES3_jNS7_6detail15normal_iteratorINS7_7pointerISA_NS7_11hip_rocprim3tagENS7_11use_defaultESJ_EEEEPSB_SM_NS0_5tupleIJPSA_SM_EEENSN_IJSM_SM_EEESB_PlJ10is_orderedEEE10hipError_tPvRmT3_T4_T5_T6_T7_T9_mT8_P12ihipStream_tbDpT10_ENKUlT_T0_E_clISt17integral_constantIbLb1EES1C_EEDaS17_S18_EUlS17_E_NS1_11comp_targetILNS1_3genE0ELNS1_11target_archE4294967295ELNS1_3gpuE0ELNS1_3repE0EEENS1_30default_config_static_selectorELNS0_4arch9wavefront6targetE1EEEvT1_,comdat
	.protected	_ZN7rocprim17ROCPRIM_400000_NS6detail17trampoline_kernelINS0_14default_configENS1_25partition_config_selectorILNS1_17partition_subalgoE3EN6thrust23THRUST_200600_302600_NS5tupleIssNS7_9null_typeES9_S9_S9_S9_S9_S9_S9_EENS0_10empty_typeEbEEZZNS1_14partition_implILS5_3ELb0ES3_jNS7_6detail15normal_iteratorINS7_7pointerISA_NS7_11hip_rocprim3tagENS7_11use_defaultESJ_EEEEPSB_SM_NS0_5tupleIJPSA_SM_EEENSN_IJSM_SM_EEESB_PlJ10is_orderedEEE10hipError_tPvRmT3_T4_T5_T6_T7_T9_mT8_P12ihipStream_tbDpT10_ENKUlT_T0_E_clISt17integral_constantIbLb1EES1C_EEDaS17_S18_EUlS17_E_NS1_11comp_targetILNS1_3genE0ELNS1_11target_archE4294967295ELNS1_3gpuE0ELNS1_3repE0EEENS1_30default_config_static_selectorELNS0_4arch9wavefront6targetE1EEEvT1_ ; -- Begin function _ZN7rocprim17ROCPRIM_400000_NS6detail17trampoline_kernelINS0_14default_configENS1_25partition_config_selectorILNS1_17partition_subalgoE3EN6thrust23THRUST_200600_302600_NS5tupleIssNS7_9null_typeES9_S9_S9_S9_S9_S9_S9_EENS0_10empty_typeEbEEZZNS1_14partition_implILS5_3ELb0ES3_jNS7_6detail15normal_iteratorINS7_7pointerISA_NS7_11hip_rocprim3tagENS7_11use_defaultESJ_EEEEPSB_SM_NS0_5tupleIJPSA_SM_EEENSN_IJSM_SM_EEESB_PlJ10is_orderedEEE10hipError_tPvRmT3_T4_T5_T6_T7_T9_mT8_P12ihipStream_tbDpT10_ENKUlT_T0_E_clISt17integral_constantIbLb1EES1C_EEDaS17_S18_EUlS17_E_NS1_11comp_targetILNS1_3genE0ELNS1_11target_archE4294967295ELNS1_3gpuE0ELNS1_3repE0EEENS1_30default_config_static_selectorELNS0_4arch9wavefront6targetE1EEEvT1_
	.globl	_ZN7rocprim17ROCPRIM_400000_NS6detail17trampoline_kernelINS0_14default_configENS1_25partition_config_selectorILNS1_17partition_subalgoE3EN6thrust23THRUST_200600_302600_NS5tupleIssNS7_9null_typeES9_S9_S9_S9_S9_S9_S9_EENS0_10empty_typeEbEEZZNS1_14partition_implILS5_3ELb0ES3_jNS7_6detail15normal_iteratorINS7_7pointerISA_NS7_11hip_rocprim3tagENS7_11use_defaultESJ_EEEEPSB_SM_NS0_5tupleIJPSA_SM_EEENSN_IJSM_SM_EEESB_PlJ10is_orderedEEE10hipError_tPvRmT3_T4_T5_T6_T7_T9_mT8_P12ihipStream_tbDpT10_ENKUlT_T0_E_clISt17integral_constantIbLb1EES1C_EEDaS17_S18_EUlS17_E_NS1_11comp_targetILNS1_3genE0ELNS1_11target_archE4294967295ELNS1_3gpuE0ELNS1_3repE0EEENS1_30default_config_static_selectorELNS0_4arch9wavefront6targetE1EEEvT1_
	.p2align	8
	.type	_ZN7rocprim17ROCPRIM_400000_NS6detail17trampoline_kernelINS0_14default_configENS1_25partition_config_selectorILNS1_17partition_subalgoE3EN6thrust23THRUST_200600_302600_NS5tupleIssNS7_9null_typeES9_S9_S9_S9_S9_S9_S9_EENS0_10empty_typeEbEEZZNS1_14partition_implILS5_3ELb0ES3_jNS7_6detail15normal_iteratorINS7_7pointerISA_NS7_11hip_rocprim3tagENS7_11use_defaultESJ_EEEEPSB_SM_NS0_5tupleIJPSA_SM_EEENSN_IJSM_SM_EEESB_PlJ10is_orderedEEE10hipError_tPvRmT3_T4_T5_T6_T7_T9_mT8_P12ihipStream_tbDpT10_ENKUlT_T0_E_clISt17integral_constantIbLb1EES1C_EEDaS17_S18_EUlS17_E_NS1_11comp_targetILNS1_3genE0ELNS1_11target_archE4294967295ELNS1_3gpuE0ELNS1_3repE0EEENS1_30default_config_static_selectorELNS0_4arch9wavefront6targetE1EEEvT1_,@function
_ZN7rocprim17ROCPRIM_400000_NS6detail17trampoline_kernelINS0_14default_configENS1_25partition_config_selectorILNS1_17partition_subalgoE3EN6thrust23THRUST_200600_302600_NS5tupleIssNS7_9null_typeES9_S9_S9_S9_S9_S9_S9_EENS0_10empty_typeEbEEZZNS1_14partition_implILS5_3ELb0ES3_jNS7_6detail15normal_iteratorINS7_7pointerISA_NS7_11hip_rocprim3tagENS7_11use_defaultESJ_EEEEPSB_SM_NS0_5tupleIJPSA_SM_EEENSN_IJSM_SM_EEESB_PlJ10is_orderedEEE10hipError_tPvRmT3_T4_T5_T6_T7_T9_mT8_P12ihipStream_tbDpT10_ENKUlT_T0_E_clISt17integral_constantIbLb1EES1C_EEDaS17_S18_EUlS17_E_NS1_11comp_targetILNS1_3genE0ELNS1_11target_archE4294967295ELNS1_3gpuE0ELNS1_3repE0EEENS1_30default_config_static_selectorELNS0_4arch9wavefront6targetE1EEEvT1_: ; @_ZN7rocprim17ROCPRIM_400000_NS6detail17trampoline_kernelINS0_14default_configENS1_25partition_config_selectorILNS1_17partition_subalgoE3EN6thrust23THRUST_200600_302600_NS5tupleIssNS7_9null_typeES9_S9_S9_S9_S9_S9_S9_EENS0_10empty_typeEbEEZZNS1_14partition_implILS5_3ELb0ES3_jNS7_6detail15normal_iteratorINS7_7pointerISA_NS7_11hip_rocprim3tagENS7_11use_defaultESJ_EEEEPSB_SM_NS0_5tupleIJPSA_SM_EEENSN_IJSM_SM_EEESB_PlJ10is_orderedEEE10hipError_tPvRmT3_T4_T5_T6_T7_T9_mT8_P12ihipStream_tbDpT10_ENKUlT_T0_E_clISt17integral_constantIbLb1EES1C_EEDaS17_S18_EUlS17_E_NS1_11comp_targetILNS1_3genE0ELNS1_11target_archE4294967295ELNS1_3gpuE0ELNS1_3repE0EEENS1_30default_config_static_selectorELNS0_4arch9wavefront6targetE1EEEvT1_
; %bb.0:
	.section	.rodata,"a",@progbits
	.p2align	6, 0x0
	.amdhsa_kernel _ZN7rocprim17ROCPRIM_400000_NS6detail17trampoline_kernelINS0_14default_configENS1_25partition_config_selectorILNS1_17partition_subalgoE3EN6thrust23THRUST_200600_302600_NS5tupleIssNS7_9null_typeES9_S9_S9_S9_S9_S9_S9_EENS0_10empty_typeEbEEZZNS1_14partition_implILS5_3ELb0ES3_jNS7_6detail15normal_iteratorINS7_7pointerISA_NS7_11hip_rocprim3tagENS7_11use_defaultESJ_EEEEPSB_SM_NS0_5tupleIJPSA_SM_EEENSN_IJSM_SM_EEESB_PlJ10is_orderedEEE10hipError_tPvRmT3_T4_T5_T6_T7_T9_mT8_P12ihipStream_tbDpT10_ENKUlT_T0_E_clISt17integral_constantIbLb1EES1C_EEDaS17_S18_EUlS17_E_NS1_11comp_targetILNS1_3genE0ELNS1_11target_archE4294967295ELNS1_3gpuE0ELNS1_3repE0EEENS1_30default_config_static_selectorELNS0_4arch9wavefront6targetE1EEEvT1_
		.amdhsa_group_segment_fixed_size 0
		.amdhsa_private_segment_fixed_size 0
		.amdhsa_kernarg_size 136
		.amdhsa_user_sgpr_count 6
		.amdhsa_user_sgpr_private_segment_buffer 1
		.amdhsa_user_sgpr_dispatch_ptr 0
		.amdhsa_user_sgpr_queue_ptr 0
		.amdhsa_user_sgpr_kernarg_segment_ptr 1
		.amdhsa_user_sgpr_dispatch_id 0
		.amdhsa_user_sgpr_flat_scratch_init 0
		.amdhsa_user_sgpr_kernarg_preload_length 0
		.amdhsa_user_sgpr_kernarg_preload_offset 0
		.amdhsa_user_sgpr_private_segment_size 0
		.amdhsa_uses_dynamic_stack 0
		.amdhsa_system_sgpr_private_segment_wavefront_offset 0
		.amdhsa_system_sgpr_workgroup_id_x 1
		.amdhsa_system_sgpr_workgroup_id_y 0
		.amdhsa_system_sgpr_workgroup_id_z 0
		.amdhsa_system_sgpr_workgroup_info 0
		.amdhsa_system_vgpr_workitem_id 0
		.amdhsa_next_free_vgpr 1
		.amdhsa_next_free_sgpr 0
		.amdhsa_accum_offset 4
		.amdhsa_reserve_vcc 0
		.amdhsa_reserve_flat_scratch 0
		.amdhsa_float_round_mode_32 0
		.amdhsa_float_round_mode_16_64 0
		.amdhsa_float_denorm_mode_32 3
		.amdhsa_float_denorm_mode_16_64 3
		.amdhsa_dx10_clamp 1
		.amdhsa_ieee_mode 1
		.amdhsa_fp16_overflow 0
		.amdhsa_tg_split 0
		.amdhsa_exception_fp_ieee_invalid_op 0
		.amdhsa_exception_fp_denorm_src 0
		.amdhsa_exception_fp_ieee_div_zero 0
		.amdhsa_exception_fp_ieee_overflow 0
		.amdhsa_exception_fp_ieee_underflow 0
		.amdhsa_exception_fp_ieee_inexact 0
		.amdhsa_exception_int_div_zero 0
	.end_amdhsa_kernel
	.section	.text._ZN7rocprim17ROCPRIM_400000_NS6detail17trampoline_kernelINS0_14default_configENS1_25partition_config_selectorILNS1_17partition_subalgoE3EN6thrust23THRUST_200600_302600_NS5tupleIssNS7_9null_typeES9_S9_S9_S9_S9_S9_S9_EENS0_10empty_typeEbEEZZNS1_14partition_implILS5_3ELb0ES3_jNS7_6detail15normal_iteratorINS7_7pointerISA_NS7_11hip_rocprim3tagENS7_11use_defaultESJ_EEEEPSB_SM_NS0_5tupleIJPSA_SM_EEENSN_IJSM_SM_EEESB_PlJ10is_orderedEEE10hipError_tPvRmT3_T4_T5_T6_T7_T9_mT8_P12ihipStream_tbDpT10_ENKUlT_T0_E_clISt17integral_constantIbLb1EES1C_EEDaS17_S18_EUlS17_E_NS1_11comp_targetILNS1_3genE0ELNS1_11target_archE4294967295ELNS1_3gpuE0ELNS1_3repE0EEENS1_30default_config_static_selectorELNS0_4arch9wavefront6targetE1EEEvT1_,"axG",@progbits,_ZN7rocprim17ROCPRIM_400000_NS6detail17trampoline_kernelINS0_14default_configENS1_25partition_config_selectorILNS1_17partition_subalgoE3EN6thrust23THRUST_200600_302600_NS5tupleIssNS7_9null_typeES9_S9_S9_S9_S9_S9_S9_EENS0_10empty_typeEbEEZZNS1_14partition_implILS5_3ELb0ES3_jNS7_6detail15normal_iteratorINS7_7pointerISA_NS7_11hip_rocprim3tagENS7_11use_defaultESJ_EEEEPSB_SM_NS0_5tupleIJPSA_SM_EEENSN_IJSM_SM_EEESB_PlJ10is_orderedEEE10hipError_tPvRmT3_T4_T5_T6_T7_T9_mT8_P12ihipStream_tbDpT10_ENKUlT_T0_E_clISt17integral_constantIbLb1EES1C_EEDaS17_S18_EUlS17_E_NS1_11comp_targetILNS1_3genE0ELNS1_11target_archE4294967295ELNS1_3gpuE0ELNS1_3repE0EEENS1_30default_config_static_selectorELNS0_4arch9wavefront6targetE1EEEvT1_,comdat
.Lfunc_end3537:
	.size	_ZN7rocprim17ROCPRIM_400000_NS6detail17trampoline_kernelINS0_14default_configENS1_25partition_config_selectorILNS1_17partition_subalgoE3EN6thrust23THRUST_200600_302600_NS5tupleIssNS7_9null_typeES9_S9_S9_S9_S9_S9_S9_EENS0_10empty_typeEbEEZZNS1_14partition_implILS5_3ELb0ES3_jNS7_6detail15normal_iteratorINS7_7pointerISA_NS7_11hip_rocprim3tagENS7_11use_defaultESJ_EEEEPSB_SM_NS0_5tupleIJPSA_SM_EEENSN_IJSM_SM_EEESB_PlJ10is_orderedEEE10hipError_tPvRmT3_T4_T5_T6_T7_T9_mT8_P12ihipStream_tbDpT10_ENKUlT_T0_E_clISt17integral_constantIbLb1EES1C_EEDaS17_S18_EUlS17_E_NS1_11comp_targetILNS1_3genE0ELNS1_11target_archE4294967295ELNS1_3gpuE0ELNS1_3repE0EEENS1_30default_config_static_selectorELNS0_4arch9wavefront6targetE1EEEvT1_, .Lfunc_end3537-_ZN7rocprim17ROCPRIM_400000_NS6detail17trampoline_kernelINS0_14default_configENS1_25partition_config_selectorILNS1_17partition_subalgoE3EN6thrust23THRUST_200600_302600_NS5tupleIssNS7_9null_typeES9_S9_S9_S9_S9_S9_S9_EENS0_10empty_typeEbEEZZNS1_14partition_implILS5_3ELb0ES3_jNS7_6detail15normal_iteratorINS7_7pointerISA_NS7_11hip_rocprim3tagENS7_11use_defaultESJ_EEEEPSB_SM_NS0_5tupleIJPSA_SM_EEENSN_IJSM_SM_EEESB_PlJ10is_orderedEEE10hipError_tPvRmT3_T4_T5_T6_T7_T9_mT8_P12ihipStream_tbDpT10_ENKUlT_T0_E_clISt17integral_constantIbLb1EES1C_EEDaS17_S18_EUlS17_E_NS1_11comp_targetILNS1_3genE0ELNS1_11target_archE4294967295ELNS1_3gpuE0ELNS1_3repE0EEENS1_30default_config_static_selectorELNS0_4arch9wavefront6targetE1EEEvT1_
                                        ; -- End function
	.section	.AMDGPU.csdata,"",@progbits
; Kernel info:
; codeLenInByte = 0
; NumSgprs: 4
; NumVgprs: 0
; NumAgprs: 0
; TotalNumVgprs: 0
; ScratchSize: 0
; MemoryBound: 0
; FloatMode: 240
; IeeeMode: 1
; LDSByteSize: 0 bytes/workgroup (compile time only)
; SGPRBlocks: 0
; VGPRBlocks: 0
; NumSGPRsForWavesPerEU: 4
; NumVGPRsForWavesPerEU: 1
; AccumOffset: 4
; Occupancy: 8
; WaveLimiterHint : 0
; COMPUTE_PGM_RSRC2:SCRATCH_EN: 0
; COMPUTE_PGM_RSRC2:USER_SGPR: 6
; COMPUTE_PGM_RSRC2:TRAP_HANDLER: 0
; COMPUTE_PGM_RSRC2:TGID_X_EN: 1
; COMPUTE_PGM_RSRC2:TGID_Y_EN: 0
; COMPUTE_PGM_RSRC2:TGID_Z_EN: 0
; COMPUTE_PGM_RSRC2:TIDIG_COMP_CNT: 0
; COMPUTE_PGM_RSRC3_GFX90A:ACCUM_OFFSET: 0
; COMPUTE_PGM_RSRC3_GFX90A:TG_SPLIT: 0
	.section	.text._ZN7rocprim17ROCPRIM_400000_NS6detail17trampoline_kernelINS0_14default_configENS1_25partition_config_selectorILNS1_17partition_subalgoE3EN6thrust23THRUST_200600_302600_NS5tupleIssNS7_9null_typeES9_S9_S9_S9_S9_S9_S9_EENS0_10empty_typeEbEEZZNS1_14partition_implILS5_3ELb0ES3_jNS7_6detail15normal_iteratorINS7_7pointerISA_NS7_11hip_rocprim3tagENS7_11use_defaultESJ_EEEEPSB_SM_NS0_5tupleIJPSA_SM_EEENSN_IJSM_SM_EEESB_PlJ10is_orderedEEE10hipError_tPvRmT3_T4_T5_T6_T7_T9_mT8_P12ihipStream_tbDpT10_ENKUlT_T0_E_clISt17integral_constantIbLb1EES1C_EEDaS17_S18_EUlS17_E_NS1_11comp_targetILNS1_3genE5ELNS1_11target_archE942ELNS1_3gpuE9ELNS1_3repE0EEENS1_30default_config_static_selectorELNS0_4arch9wavefront6targetE1EEEvT1_,"axG",@progbits,_ZN7rocprim17ROCPRIM_400000_NS6detail17trampoline_kernelINS0_14default_configENS1_25partition_config_selectorILNS1_17partition_subalgoE3EN6thrust23THRUST_200600_302600_NS5tupleIssNS7_9null_typeES9_S9_S9_S9_S9_S9_S9_EENS0_10empty_typeEbEEZZNS1_14partition_implILS5_3ELb0ES3_jNS7_6detail15normal_iteratorINS7_7pointerISA_NS7_11hip_rocprim3tagENS7_11use_defaultESJ_EEEEPSB_SM_NS0_5tupleIJPSA_SM_EEENSN_IJSM_SM_EEESB_PlJ10is_orderedEEE10hipError_tPvRmT3_T4_T5_T6_T7_T9_mT8_P12ihipStream_tbDpT10_ENKUlT_T0_E_clISt17integral_constantIbLb1EES1C_EEDaS17_S18_EUlS17_E_NS1_11comp_targetILNS1_3genE5ELNS1_11target_archE942ELNS1_3gpuE9ELNS1_3repE0EEENS1_30default_config_static_selectorELNS0_4arch9wavefront6targetE1EEEvT1_,comdat
	.protected	_ZN7rocprim17ROCPRIM_400000_NS6detail17trampoline_kernelINS0_14default_configENS1_25partition_config_selectorILNS1_17partition_subalgoE3EN6thrust23THRUST_200600_302600_NS5tupleIssNS7_9null_typeES9_S9_S9_S9_S9_S9_S9_EENS0_10empty_typeEbEEZZNS1_14partition_implILS5_3ELb0ES3_jNS7_6detail15normal_iteratorINS7_7pointerISA_NS7_11hip_rocprim3tagENS7_11use_defaultESJ_EEEEPSB_SM_NS0_5tupleIJPSA_SM_EEENSN_IJSM_SM_EEESB_PlJ10is_orderedEEE10hipError_tPvRmT3_T4_T5_T6_T7_T9_mT8_P12ihipStream_tbDpT10_ENKUlT_T0_E_clISt17integral_constantIbLb1EES1C_EEDaS17_S18_EUlS17_E_NS1_11comp_targetILNS1_3genE5ELNS1_11target_archE942ELNS1_3gpuE9ELNS1_3repE0EEENS1_30default_config_static_selectorELNS0_4arch9wavefront6targetE1EEEvT1_ ; -- Begin function _ZN7rocprim17ROCPRIM_400000_NS6detail17trampoline_kernelINS0_14default_configENS1_25partition_config_selectorILNS1_17partition_subalgoE3EN6thrust23THRUST_200600_302600_NS5tupleIssNS7_9null_typeES9_S9_S9_S9_S9_S9_S9_EENS0_10empty_typeEbEEZZNS1_14partition_implILS5_3ELb0ES3_jNS7_6detail15normal_iteratorINS7_7pointerISA_NS7_11hip_rocprim3tagENS7_11use_defaultESJ_EEEEPSB_SM_NS0_5tupleIJPSA_SM_EEENSN_IJSM_SM_EEESB_PlJ10is_orderedEEE10hipError_tPvRmT3_T4_T5_T6_T7_T9_mT8_P12ihipStream_tbDpT10_ENKUlT_T0_E_clISt17integral_constantIbLb1EES1C_EEDaS17_S18_EUlS17_E_NS1_11comp_targetILNS1_3genE5ELNS1_11target_archE942ELNS1_3gpuE9ELNS1_3repE0EEENS1_30default_config_static_selectorELNS0_4arch9wavefront6targetE1EEEvT1_
	.globl	_ZN7rocprim17ROCPRIM_400000_NS6detail17trampoline_kernelINS0_14default_configENS1_25partition_config_selectorILNS1_17partition_subalgoE3EN6thrust23THRUST_200600_302600_NS5tupleIssNS7_9null_typeES9_S9_S9_S9_S9_S9_S9_EENS0_10empty_typeEbEEZZNS1_14partition_implILS5_3ELb0ES3_jNS7_6detail15normal_iteratorINS7_7pointerISA_NS7_11hip_rocprim3tagENS7_11use_defaultESJ_EEEEPSB_SM_NS0_5tupleIJPSA_SM_EEENSN_IJSM_SM_EEESB_PlJ10is_orderedEEE10hipError_tPvRmT3_T4_T5_T6_T7_T9_mT8_P12ihipStream_tbDpT10_ENKUlT_T0_E_clISt17integral_constantIbLb1EES1C_EEDaS17_S18_EUlS17_E_NS1_11comp_targetILNS1_3genE5ELNS1_11target_archE942ELNS1_3gpuE9ELNS1_3repE0EEENS1_30default_config_static_selectorELNS0_4arch9wavefront6targetE1EEEvT1_
	.p2align	8
	.type	_ZN7rocprim17ROCPRIM_400000_NS6detail17trampoline_kernelINS0_14default_configENS1_25partition_config_selectorILNS1_17partition_subalgoE3EN6thrust23THRUST_200600_302600_NS5tupleIssNS7_9null_typeES9_S9_S9_S9_S9_S9_S9_EENS0_10empty_typeEbEEZZNS1_14partition_implILS5_3ELb0ES3_jNS7_6detail15normal_iteratorINS7_7pointerISA_NS7_11hip_rocprim3tagENS7_11use_defaultESJ_EEEEPSB_SM_NS0_5tupleIJPSA_SM_EEENSN_IJSM_SM_EEESB_PlJ10is_orderedEEE10hipError_tPvRmT3_T4_T5_T6_T7_T9_mT8_P12ihipStream_tbDpT10_ENKUlT_T0_E_clISt17integral_constantIbLb1EES1C_EEDaS17_S18_EUlS17_E_NS1_11comp_targetILNS1_3genE5ELNS1_11target_archE942ELNS1_3gpuE9ELNS1_3repE0EEENS1_30default_config_static_selectorELNS0_4arch9wavefront6targetE1EEEvT1_,@function
_ZN7rocprim17ROCPRIM_400000_NS6detail17trampoline_kernelINS0_14default_configENS1_25partition_config_selectorILNS1_17partition_subalgoE3EN6thrust23THRUST_200600_302600_NS5tupleIssNS7_9null_typeES9_S9_S9_S9_S9_S9_S9_EENS0_10empty_typeEbEEZZNS1_14partition_implILS5_3ELb0ES3_jNS7_6detail15normal_iteratorINS7_7pointerISA_NS7_11hip_rocprim3tagENS7_11use_defaultESJ_EEEEPSB_SM_NS0_5tupleIJPSA_SM_EEENSN_IJSM_SM_EEESB_PlJ10is_orderedEEE10hipError_tPvRmT3_T4_T5_T6_T7_T9_mT8_P12ihipStream_tbDpT10_ENKUlT_T0_E_clISt17integral_constantIbLb1EES1C_EEDaS17_S18_EUlS17_E_NS1_11comp_targetILNS1_3genE5ELNS1_11target_archE942ELNS1_3gpuE9ELNS1_3repE0EEENS1_30default_config_static_selectorELNS0_4arch9wavefront6targetE1EEEvT1_: ; @_ZN7rocprim17ROCPRIM_400000_NS6detail17trampoline_kernelINS0_14default_configENS1_25partition_config_selectorILNS1_17partition_subalgoE3EN6thrust23THRUST_200600_302600_NS5tupleIssNS7_9null_typeES9_S9_S9_S9_S9_S9_S9_EENS0_10empty_typeEbEEZZNS1_14partition_implILS5_3ELb0ES3_jNS7_6detail15normal_iteratorINS7_7pointerISA_NS7_11hip_rocprim3tagENS7_11use_defaultESJ_EEEEPSB_SM_NS0_5tupleIJPSA_SM_EEENSN_IJSM_SM_EEESB_PlJ10is_orderedEEE10hipError_tPvRmT3_T4_T5_T6_T7_T9_mT8_P12ihipStream_tbDpT10_ENKUlT_T0_E_clISt17integral_constantIbLb1EES1C_EEDaS17_S18_EUlS17_E_NS1_11comp_targetILNS1_3genE5ELNS1_11target_archE942ELNS1_3gpuE9ELNS1_3repE0EEENS1_30default_config_static_selectorELNS0_4arch9wavefront6targetE1EEEvT1_
; %bb.0:
	.section	.rodata,"a",@progbits
	.p2align	6, 0x0
	.amdhsa_kernel _ZN7rocprim17ROCPRIM_400000_NS6detail17trampoline_kernelINS0_14default_configENS1_25partition_config_selectorILNS1_17partition_subalgoE3EN6thrust23THRUST_200600_302600_NS5tupleIssNS7_9null_typeES9_S9_S9_S9_S9_S9_S9_EENS0_10empty_typeEbEEZZNS1_14partition_implILS5_3ELb0ES3_jNS7_6detail15normal_iteratorINS7_7pointerISA_NS7_11hip_rocprim3tagENS7_11use_defaultESJ_EEEEPSB_SM_NS0_5tupleIJPSA_SM_EEENSN_IJSM_SM_EEESB_PlJ10is_orderedEEE10hipError_tPvRmT3_T4_T5_T6_T7_T9_mT8_P12ihipStream_tbDpT10_ENKUlT_T0_E_clISt17integral_constantIbLb1EES1C_EEDaS17_S18_EUlS17_E_NS1_11comp_targetILNS1_3genE5ELNS1_11target_archE942ELNS1_3gpuE9ELNS1_3repE0EEENS1_30default_config_static_selectorELNS0_4arch9wavefront6targetE1EEEvT1_
		.amdhsa_group_segment_fixed_size 0
		.amdhsa_private_segment_fixed_size 0
		.amdhsa_kernarg_size 136
		.amdhsa_user_sgpr_count 6
		.amdhsa_user_sgpr_private_segment_buffer 1
		.amdhsa_user_sgpr_dispatch_ptr 0
		.amdhsa_user_sgpr_queue_ptr 0
		.amdhsa_user_sgpr_kernarg_segment_ptr 1
		.amdhsa_user_sgpr_dispatch_id 0
		.amdhsa_user_sgpr_flat_scratch_init 0
		.amdhsa_user_sgpr_kernarg_preload_length 0
		.amdhsa_user_sgpr_kernarg_preload_offset 0
		.amdhsa_user_sgpr_private_segment_size 0
		.amdhsa_uses_dynamic_stack 0
		.amdhsa_system_sgpr_private_segment_wavefront_offset 0
		.amdhsa_system_sgpr_workgroup_id_x 1
		.amdhsa_system_sgpr_workgroup_id_y 0
		.amdhsa_system_sgpr_workgroup_id_z 0
		.amdhsa_system_sgpr_workgroup_info 0
		.amdhsa_system_vgpr_workitem_id 0
		.amdhsa_next_free_vgpr 1
		.amdhsa_next_free_sgpr 0
		.amdhsa_accum_offset 4
		.amdhsa_reserve_vcc 0
		.amdhsa_reserve_flat_scratch 0
		.amdhsa_float_round_mode_32 0
		.amdhsa_float_round_mode_16_64 0
		.amdhsa_float_denorm_mode_32 3
		.amdhsa_float_denorm_mode_16_64 3
		.amdhsa_dx10_clamp 1
		.amdhsa_ieee_mode 1
		.amdhsa_fp16_overflow 0
		.amdhsa_tg_split 0
		.amdhsa_exception_fp_ieee_invalid_op 0
		.amdhsa_exception_fp_denorm_src 0
		.amdhsa_exception_fp_ieee_div_zero 0
		.amdhsa_exception_fp_ieee_overflow 0
		.amdhsa_exception_fp_ieee_underflow 0
		.amdhsa_exception_fp_ieee_inexact 0
		.amdhsa_exception_int_div_zero 0
	.end_amdhsa_kernel
	.section	.text._ZN7rocprim17ROCPRIM_400000_NS6detail17trampoline_kernelINS0_14default_configENS1_25partition_config_selectorILNS1_17partition_subalgoE3EN6thrust23THRUST_200600_302600_NS5tupleIssNS7_9null_typeES9_S9_S9_S9_S9_S9_S9_EENS0_10empty_typeEbEEZZNS1_14partition_implILS5_3ELb0ES3_jNS7_6detail15normal_iteratorINS7_7pointerISA_NS7_11hip_rocprim3tagENS7_11use_defaultESJ_EEEEPSB_SM_NS0_5tupleIJPSA_SM_EEENSN_IJSM_SM_EEESB_PlJ10is_orderedEEE10hipError_tPvRmT3_T4_T5_T6_T7_T9_mT8_P12ihipStream_tbDpT10_ENKUlT_T0_E_clISt17integral_constantIbLb1EES1C_EEDaS17_S18_EUlS17_E_NS1_11comp_targetILNS1_3genE5ELNS1_11target_archE942ELNS1_3gpuE9ELNS1_3repE0EEENS1_30default_config_static_selectorELNS0_4arch9wavefront6targetE1EEEvT1_,"axG",@progbits,_ZN7rocprim17ROCPRIM_400000_NS6detail17trampoline_kernelINS0_14default_configENS1_25partition_config_selectorILNS1_17partition_subalgoE3EN6thrust23THRUST_200600_302600_NS5tupleIssNS7_9null_typeES9_S9_S9_S9_S9_S9_S9_EENS0_10empty_typeEbEEZZNS1_14partition_implILS5_3ELb0ES3_jNS7_6detail15normal_iteratorINS7_7pointerISA_NS7_11hip_rocprim3tagENS7_11use_defaultESJ_EEEEPSB_SM_NS0_5tupleIJPSA_SM_EEENSN_IJSM_SM_EEESB_PlJ10is_orderedEEE10hipError_tPvRmT3_T4_T5_T6_T7_T9_mT8_P12ihipStream_tbDpT10_ENKUlT_T0_E_clISt17integral_constantIbLb1EES1C_EEDaS17_S18_EUlS17_E_NS1_11comp_targetILNS1_3genE5ELNS1_11target_archE942ELNS1_3gpuE9ELNS1_3repE0EEENS1_30default_config_static_selectorELNS0_4arch9wavefront6targetE1EEEvT1_,comdat
.Lfunc_end3538:
	.size	_ZN7rocprim17ROCPRIM_400000_NS6detail17trampoline_kernelINS0_14default_configENS1_25partition_config_selectorILNS1_17partition_subalgoE3EN6thrust23THRUST_200600_302600_NS5tupleIssNS7_9null_typeES9_S9_S9_S9_S9_S9_S9_EENS0_10empty_typeEbEEZZNS1_14partition_implILS5_3ELb0ES3_jNS7_6detail15normal_iteratorINS7_7pointerISA_NS7_11hip_rocprim3tagENS7_11use_defaultESJ_EEEEPSB_SM_NS0_5tupleIJPSA_SM_EEENSN_IJSM_SM_EEESB_PlJ10is_orderedEEE10hipError_tPvRmT3_T4_T5_T6_T7_T9_mT8_P12ihipStream_tbDpT10_ENKUlT_T0_E_clISt17integral_constantIbLb1EES1C_EEDaS17_S18_EUlS17_E_NS1_11comp_targetILNS1_3genE5ELNS1_11target_archE942ELNS1_3gpuE9ELNS1_3repE0EEENS1_30default_config_static_selectorELNS0_4arch9wavefront6targetE1EEEvT1_, .Lfunc_end3538-_ZN7rocprim17ROCPRIM_400000_NS6detail17trampoline_kernelINS0_14default_configENS1_25partition_config_selectorILNS1_17partition_subalgoE3EN6thrust23THRUST_200600_302600_NS5tupleIssNS7_9null_typeES9_S9_S9_S9_S9_S9_S9_EENS0_10empty_typeEbEEZZNS1_14partition_implILS5_3ELb0ES3_jNS7_6detail15normal_iteratorINS7_7pointerISA_NS7_11hip_rocprim3tagENS7_11use_defaultESJ_EEEEPSB_SM_NS0_5tupleIJPSA_SM_EEENSN_IJSM_SM_EEESB_PlJ10is_orderedEEE10hipError_tPvRmT3_T4_T5_T6_T7_T9_mT8_P12ihipStream_tbDpT10_ENKUlT_T0_E_clISt17integral_constantIbLb1EES1C_EEDaS17_S18_EUlS17_E_NS1_11comp_targetILNS1_3genE5ELNS1_11target_archE942ELNS1_3gpuE9ELNS1_3repE0EEENS1_30default_config_static_selectorELNS0_4arch9wavefront6targetE1EEEvT1_
                                        ; -- End function
	.section	.AMDGPU.csdata,"",@progbits
; Kernel info:
; codeLenInByte = 0
; NumSgprs: 4
; NumVgprs: 0
; NumAgprs: 0
; TotalNumVgprs: 0
; ScratchSize: 0
; MemoryBound: 0
; FloatMode: 240
; IeeeMode: 1
; LDSByteSize: 0 bytes/workgroup (compile time only)
; SGPRBlocks: 0
; VGPRBlocks: 0
; NumSGPRsForWavesPerEU: 4
; NumVGPRsForWavesPerEU: 1
; AccumOffset: 4
; Occupancy: 8
; WaveLimiterHint : 0
; COMPUTE_PGM_RSRC2:SCRATCH_EN: 0
; COMPUTE_PGM_RSRC2:USER_SGPR: 6
; COMPUTE_PGM_RSRC2:TRAP_HANDLER: 0
; COMPUTE_PGM_RSRC2:TGID_X_EN: 1
; COMPUTE_PGM_RSRC2:TGID_Y_EN: 0
; COMPUTE_PGM_RSRC2:TGID_Z_EN: 0
; COMPUTE_PGM_RSRC2:TIDIG_COMP_CNT: 0
; COMPUTE_PGM_RSRC3_GFX90A:ACCUM_OFFSET: 0
; COMPUTE_PGM_RSRC3_GFX90A:TG_SPLIT: 0
	.section	.text._ZN7rocprim17ROCPRIM_400000_NS6detail17trampoline_kernelINS0_14default_configENS1_25partition_config_selectorILNS1_17partition_subalgoE3EN6thrust23THRUST_200600_302600_NS5tupleIssNS7_9null_typeES9_S9_S9_S9_S9_S9_S9_EENS0_10empty_typeEbEEZZNS1_14partition_implILS5_3ELb0ES3_jNS7_6detail15normal_iteratorINS7_7pointerISA_NS7_11hip_rocprim3tagENS7_11use_defaultESJ_EEEEPSB_SM_NS0_5tupleIJPSA_SM_EEENSN_IJSM_SM_EEESB_PlJ10is_orderedEEE10hipError_tPvRmT3_T4_T5_T6_T7_T9_mT8_P12ihipStream_tbDpT10_ENKUlT_T0_E_clISt17integral_constantIbLb1EES1C_EEDaS17_S18_EUlS17_E_NS1_11comp_targetILNS1_3genE4ELNS1_11target_archE910ELNS1_3gpuE8ELNS1_3repE0EEENS1_30default_config_static_selectorELNS0_4arch9wavefront6targetE1EEEvT1_,"axG",@progbits,_ZN7rocprim17ROCPRIM_400000_NS6detail17trampoline_kernelINS0_14default_configENS1_25partition_config_selectorILNS1_17partition_subalgoE3EN6thrust23THRUST_200600_302600_NS5tupleIssNS7_9null_typeES9_S9_S9_S9_S9_S9_S9_EENS0_10empty_typeEbEEZZNS1_14partition_implILS5_3ELb0ES3_jNS7_6detail15normal_iteratorINS7_7pointerISA_NS7_11hip_rocprim3tagENS7_11use_defaultESJ_EEEEPSB_SM_NS0_5tupleIJPSA_SM_EEENSN_IJSM_SM_EEESB_PlJ10is_orderedEEE10hipError_tPvRmT3_T4_T5_T6_T7_T9_mT8_P12ihipStream_tbDpT10_ENKUlT_T0_E_clISt17integral_constantIbLb1EES1C_EEDaS17_S18_EUlS17_E_NS1_11comp_targetILNS1_3genE4ELNS1_11target_archE910ELNS1_3gpuE8ELNS1_3repE0EEENS1_30default_config_static_selectorELNS0_4arch9wavefront6targetE1EEEvT1_,comdat
	.protected	_ZN7rocprim17ROCPRIM_400000_NS6detail17trampoline_kernelINS0_14default_configENS1_25partition_config_selectorILNS1_17partition_subalgoE3EN6thrust23THRUST_200600_302600_NS5tupleIssNS7_9null_typeES9_S9_S9_S9_S9_S9_S9_EENS0_10empty_typeEbEEZZNS1_14partition_implILS5_3ELb0ES3_jNS7_6detail15normal_iteratorINS7_7pointerISA_NS7_11hip_rocprim3tagENS7_11use_defaultESJ_EEEEPSB_SM_NS0_5tupleIJPSA_SM_EEENSN_IJSM_SM_EEESB_PlJ10is_orderedEEE10hipError_tPvRmT3_T4_T5_T6_T7_T9_mT8_P12ihipStream_tbDpT10_ENKUlT_T0_E_clISt17integral_constantIbLb1EES1C_EEDaS17_S18_EUlS17_E_NS1_11comp_targetILNS1_3genE4ELNS1_11target_archE910ELNS1_3gpuE8ELNS1_3repE0EEENS1_30default_config_static_selectorELNS0_4arch9wavefront6targetE1EEEvT1_ ; -- Begin function _ZN7rocprim17ROCPRIM_400000_NS6detail17trampoline_kernelINS0_14default_configENS1_25partition_config_selectorILNS1_17partition_subalgoE3EN6thrust23THRUST_200600_302600_NS5tupleIssNS7_9null_typeES9_S9_S9_S9_S9_S9_S9_EENS0_10empty_typeEbEEZZNS1_14partition_implILS5_3ELb0ES3_jNS7_6detail15normal_iteratorINS7_7pointerISA_NS7_11hip_rocprim3tagENS7_11use_defaultESJ_EEEEPSB_SM_NS0_5tupleIJPSA_SM_EEENSN_IJSM_SM_EEESB_PlJ10is_orderedEEE10hipError_tPvRmT3_T4_T5_T6_T7_T9_mT8_P12ihipStream_tbDpT10_ENKUlT_T0_E_clISt17integral_constantIbLb1EES1C_EEDaS17_S18_EUlS17_E_NS1_11comp_targetILNS1_3genE4ELNS1_11target_archE910ELNS1_3gpuE8ELNS1_3repE0EEENS1_30default_config_static_selectorELNS0_4arch9wavefront6targetE1EEEvT1_
	.globl	_ZN7rocprim17ROCPRIM_400000_NS6detail17trampoline_kernelINS0_14default_configENS1_25partition_config_selectorILNS1_17partition_subalgoE3EN6thrust23THRUST_200600_302600_NS5tupleIssNS7_9null_typeES9_S9_S9_S9_S9_S9_S9_EENS0_10empty_typeEbEEZZNS1_14partition_implILS5_3ELb0ES3_jNS7_6detail15normal_iteratorINS7_7pointerISA_NS7_11hip_rocprim3tagENS7_11use_defaultESJ_EEEEPSB_SM_NS0_5tupleIJPSA_SM_EEENSN_IJSM_SM_EEESB_PlJ10is_orderedEEE10hipError_tPvRmT3_T4_T5_T6_T7_T9_mT8_P12ihipStream_tbDpT10_ENKUlT_T0_E_clISt17integral_constantIbLb1EES1C_EEDaS17_S18_EUlS17_E_NS1_11comp_targetILNS1_3genE4ELNS1_11target_archE910ELNS1_3gpuE8ELNS1_3repE0EEENS1_30default_config_static_selectorELNS0_4arch9wavefront6targetE1EEEvT1_
	.p2align	8
	.type	_ZN7rocprim17ROCPRIM_400000_NS6detail17trampoline_kernelINS0_14default_configENS1_25partition_config_selectorILNS1_17partition_subalgoE3EN6thrust23THRUST_200600_302600_NS5tupleIssNS7_9null_typeES9_S9_S9_S9_S9_S9_S9_EENS0_10empty_typeEbEEZZNS1_14partition_implILS5_3ELb0ES3_jNS7_6detail15normal_iteratorINS7_7pointerISA_NS7_11hip_rocprim3tagENS7_11use_defaultESJ_EEEEPSB_SM_NS0_5tupleIJPSA_SM_EEENSN_IJSM_SM_EEESB_PlJ10is_orderedEEE10hipError_tPvRmT3_T4_T5_T6_T7_T9_mT8_P12ihipStream_tbDpT10_ENKUlT_T0_E_clISt17integral_constantIbLb1EES1C_EEDaS17_S18_EUlS17_E_NS1_11comp_targetILNS1_3genE4ELNS1_11target_archE910ELNS1_3gpuE8ELNS1_3repE0EEENS1_30default_config_static_selectorELNS0_4arch9wavefront6targetE1EEEvT1_,@function
_ZN7rocprim17ROCPRIM_400000_NS6detail17trampoline_kernelINS0_14default_configENS1_25partition_config_selectorILNS1_17partition_subalgoE3EN6thrust23THRUST_200600_302600_NS5tupleIssNS7_9null_typeES9_S9_S9_S9_S9_S9_S9_EENS0_10empty_typeEbEEZZNS1_14partition_implILS5_3ELb0ES3_jNS7_6detail15normal_iteratorINS7_7pointerISA_NS7_11hip_rocprim3tagENS7_11use_defaultESJ_EEEEPSB_SM_NS0_5tupleIJPSA_SM_EEENSN_IJSM_SM_EEESB_PlJ10is_orderedEEE10hipError_tPvRmT3_T4_T5_T6_T7_T9_mT8_P12ihipStream_tbDpT10_ENKUlT_T0_E_clISt17integral_constantIbLb1EES1C_EEDaS17_S18_EUlS17_E_NS1_11comp_targetILNS1_3genE4ELNS1_11target_archE910ELNS1_3gpuE8ELNS1_3repE0EEENS1_30default_config_static_selectorELNS0_4arch9wavefront6targetE1EEEvT1_: ; @_ZN7rocprim17ROCPRIM_400000_NS6detail17trampoline_kernelINS0_14default_configENS1_25partition_config_selectorILNS1_17partition_subalgoE3EN6thrust23THRUST_200600_302600_NS5tupleIssNS7_9null_typeES9_S9_S9_S9_S9_S9_S9_EENS0_10empty_typeEbEEZZNS1_14partition_implILS5_3ELb0ES3_jNS7_6detail15normal_iteratorINS7_7pointerISA_NS7_11hip_rocprim3tagENS7_11use_defaultESJ_EEEEPSB_SM_NS0_5tupleIJPSA_SM_EEENSN_IJSM_SM_EEESB_PlJ10is_orderedEEE10hipError_tPvRmT3_T4_T5_T6_T7_T9_mT8_P12ihipStream_tbDpT10_ENKUlT_T0_E_clISt17integral_constantIbLb1EES1C_EEDaS17_S18_EUlS17_E_NS1_11comp_targetILNS1_3genE4ELNS1_11target_archE910ELNS1_3gpuE8ELNS1_3repE0EEENS1_30default_config_static_selectorELNS0_4arch9wavefront6targetE1EEEvT1_
; %bb.0:
	s_load_dwordx2 s[28:29], s[4:5], 0x28
	s_load_dwordx4 s[20:23], s[4:5], 0x48
	s_load_dwordx2 s[30:31], s[4:5], 0x58
	s_load_dwordx2 s[34:35], s[4:5], 0x68
	v_cmp_eq_u32_e64 s[0:1], 0, v0
	s_and_saveexec_b64 s[2:3], s[0:1]
	s_cbranch_execz .LBB3539_4
; %bb.1:
	s_mov_b64 s[8:9], exec
	v_mbcnt_lo_u32_b32 v1, s8, 0
	v_mbcnt_hi_u32_b32 v1, s9, v1
	v_cmp_eq_u32_e32 vcc, 0, v1
                                        ; implicit-def: $vgpr2
	s_and_saveexec_b64 s[6:7], vcc
	s_cbranch_execz .LBB3539_3
; %bb.2:
	s_load_dwordx2 s[10:11], s[4:5], 0x78
	s_bcnt1_i32_b64 s8, s[8:9]
	v_mov_b32_e32 v2, 0
	v_mov_b32_e32 v3, s8
	s_waitcnt lgkmcnt(0)
	global_atomic_add v2, v2, v3, s[10:11] glc
.LBB3539_3:
	s_or_b64 exec, exec, s[6:7]
	s_waitcnt vmcnt(0)
	v_readfirstlane_b32 s6, v2
	v_add_u32_e32 v1, s6, v1
	v_mov_b32_e32 v2, 0
	ds_write_b32 v2, v1
.LBB3539_4:
	s_or_b64 exec, exec, s[2:3]
	v_mov_b32_e32 v13, 0
	s_load_dwordx4 s[24:27], s[4:5], 0x8
	s_load_dword s2, s[4:5], 0x70
	s_waitcnt lgkmcnt(0)
	s_barrier
	ds_read_b32 v1, v13
	s_waitcnt lgkmcnt(0)
	s_barrier
	global_load_dwordx2 v[14:15], v13, s[22:23]
	s_lshl_b64 s[4:5], s[26:27], 2
	s_add_u32 s6, s24, s4
	s_addc_u32 s7, s25, s5
	s_add_i32 s4, s2, -1
	s_mulk_i32 s2, 0xa00
	s_add_i32 s3, s2, s26
	s_sub_i32 s33, s30, s3
	s_addk_i32 s33, 0xa00
	s_add_u32 s2, s26, s2
	v_readfirstlane_b32 s42, v1
	s_addc_u32 s3, s27, 0
	s_movk_i32 s8, 0xa00
	s_cmp_eq_u32 s42, s4
	s_cselect_b64 s[22:23], -1, 0
	s_cmp_lg_u32 s42, s4
	v_mul_lo_u32 v12, v1, s8
	v_pk_mov_b32 v[2:3], s[30:31], s[30:31] op_sel:[0,1]
	s_cselect_b64 s[4:5], -1, 0
	v_cmp_lt_u64_e32 vcc, s[2:3], v[2:3]
	v_lshlrev_b64 v[2:3], 2, v[12:13]
	s_or_b64 s[4:5], vcc, s[4:5]
	v_mov_b32_e32 v1, s7
	v_add_co_u32_e32 v2, vcc, s6, v2
	v_addc_co_u32_e32 v3, vcc, v1, v3, vcc
	s_mov_b64 s[2:3], -1
	s_and_b64 vcc, exec, s[4:5]
	v_lshlrev_b32_e32 v1, 2, v0
	s_cbranch_vccz .LBB3539_6
; %bb.5:
	v_add_co_u32_e32 v4, vcc, v2, v1
	v_addc_co_u32_e32 v5, vcc, 0, v3, vcc
	v_add_co_u32_e32 v6, vcc, 0x1000, v4
	v_addc_co_u32_e32 v7, vcc, 0, v5, vcc
	flat_load_dword v8, v[4:5]
	flat_load_dword v9, v[4:5] offset:1024
	flat_load_dword v10, v[4:5] offset:2048
	;; [unrolled: 1-line block ×3, first 2 shown]
	flat_load_dword v13, v[6:7]
	flat_load_dword v16, v[6:7] offset:1024
	flat_load_dword v17, v[6:7] offset:2048
	;; [unrolled: 1-line block ×3, first 2 shown]
	v_add_co_u32_e32 v4, vcc, 0x2000, v4
	v_addc_co_u32_e32 v5, vcc, 0, v5, vcc
	flat_load_dword v6, v[4:5]
	flat_load_dword v7, v[4:5] offset:1024
	s_mov_b64 s[2:3], 0
	s_waitcnt vmcnt(0) lgkmcnt(0)
	ds_write2st64_b32 v1, v8, v9 offset1:4
	ds_write2st64_b32 v1, v10, v11 offset0:8 offset1:12
	ds_write2st64_b32 v1, v13, v16 offset0:16 offset1:20
	;; [unrolled: 1-line block ×4, first 2 shown]
	s_waitcnt lgkmcnt(0)
	s_barrier
.LBB3539_6:
	s_andn2_b64 vcc, exec, s[2:3]
	v_cmp_gt_u32_e64 s[2:3], s33, v0
	s_cbranch_vccnz .LBB3539_28
; %bb.7:
	v_mov_b32_e32 v4, 0
	v_mov_b32_e32 v5, 0
	s_and_saveexec_b64 s[6:7], s[2:3]
	s_cbranch_execz .LBB3539_9
; %bb.8:
	v_add_co_u32_e32 v6, vcc, v2, v1
	v_addc_co_u32_e32 v7, vcc, 0, v3, vcc
	flat_load_dword v5, v[6:7]
.LBB3539_9:
	s_or_b64 exec, exec, s[6:7]
	v_or_b32_e32 v6, 0x100, v0
	v_cmp_gt_u32_e32 vcc, s33, v6
	s_and_saveexec_b64 s[2:3], vcc
	s_cbranch_execz .LBB3539_11
; %bb.10:
	v_add_co_u32_e32 v6, vcc, v2, v1
	v_addc_co_u32_e32 v7, vcc, 0, v3, vcc
	flat_load_dword v4, v[6:7] offset:1024
.LBB3539_11:
	s_or_b64 exec, exec, s[2:3]
	v_or_b32_e32 v6, 0x200, v0
	v_cmp_gt_u32_e32 vcc, s33, v6
	v_mov_b32_e32 v6, 0
	v_mov_b32_e32 v7, 0
	s_and_saveexec_b64 s[2:3], vcc
	s_cbranch_execz .LBB3539_13
; %bb.12:
	v_add_co_u32_e32 v8, vcc, v2, v1
	v_addc_co_u32_e32 v9, vcc, 0, v3, vcc
	flat_load_dword v7, v[8:9] offset:2048
.LBB3539_13:
	s_or_b64 exec, exec, s[2:3]
	v_or_b32_e32 v8, 0x300, v0
	v_cmp_gt_u32_e32 vcc, s33, v8
	s_and_saveexec_b64 s[2:3], vcc
	s_cbranch_execz .LBB3539_15
; %bb.14:
	v_add_co_u32_e32 v8, vcc, v2, v1
	v_addc_co_u32_e32 v9, vcc, 0, v3, vcc
	flat_load_dword v6, v[8:9] offset:3072
.LBB3539_15:
	s_or_b64 exec, exec, s[2:3]
	v_or_b32_e32 v10, 0x400, v0
	v_cmp_gt_u32_e32 vcc, s33, v10
	v_mov_b32_e32 v8, 0
	v_mov_b32_e32 v9, 0
	s_and_saveexec_b64 s[2:3], vcc
	s_cbranch_execz .LBB3539_17
; %bb.16:
	v_lshlrev_b32_e32 v9, 2, v10
	v_add_co_u32_e32 v10, vcc, v2, v9
	v_addc_co_u32_e32 v11, vcc, 0, v3, vcc
	flat_load_dword v9, v[10:11]
.LBB3539_17:
	s_or_b64 exec, exec, s[2:3]
	v_or_b32_e32 v10, 0x500, v0
	v_cmp_gt_u32_e32 vcc, s33, v10
	s_and_saveexec_b64 s[2:3], vcc
	s_cbranch_execz .LBB3539_19
; %bb.18:
	v_lshlrev_b32_e32 v8, 2, v10
	v_add_co_u32_e32 v10, vcc, v2, v8
	v_addc_co_u32_e32 v11, vcc, 0, v3, vcc
	flat_load_dword v8, v[10:11]
.LBB3539_19:
	s_or_b64 exec, exec, s[2:3]
	v_or_b32_e32 v13, 0x600, v0
	v_cmp_gt_u32_e32 vcc, s33, v13
	v_mov_b32_e32 v10, 0
	v_mov_b32_e32 v11, 0
	s_and_saveexec_b64 s[2:3], vcc
	s_cbranch_execz .LBB3539_21
; %bb.20:
	v_lshlrev_b32_e32 v11, 2, v13
	v_add_co_u32_e32 v16, vcc, v2, v11
	v_addc_co_u32_e32 v17, vcc, 0, v3, vcc
	flat_load_dword v11, v[16:17]
.LBB3539_21:
	s_or_b64 exec, exec, s[2:3]
	v_or_b32_e32 v13, 0x700, v0
	v_cmp_gt_u32_e32 vcc, s33, v13
	s_and_saveexec_b64 s[2:3], vcc
	s_cbranch_execz .LBB3539_23
; %bb.22:
	v_lshlrev_b32_e32 v10, 2, v13
	v_add_co_u32_e32 v16, vcc, v2, v10
	v_addc_co_u32_e32 v17, vcc, 0, v3, vcc
	flat_load_dword v10, v[16:17]
.LBB3539_23:
	;; [unrolled: 24-line block ×3, first 2 shown]
	s_or_b64 exec, exec, s[2:3]
	s_waitcnt vmcnt(0) lgkmcnt(0)
	ds_write2st64_b32 v1, v5, v4 offset1:4
	ds_write2st64_b32 v1, v7, v6 offset0:8 offset1:12
	ds_write2st64_b32 v1, v9, v8 offset0:16 offset1:20
	;; [unrolled: 1-line block ×4, first 2 shown]
	s_waitcnt lgkmcnt(0)
	s_barrier
.LBB3539_28:
	v_mul_u32_u24_e32 v13, 10, v0
	v_lshlrev_b32_e32 v30, 2, v13
	ds_read2_b64 v[6:9], v30 offset1:1
	ds_read2_b64 v[2:5], v30 offset0:2 offset1:3
	ds_read_b64 v[16:17], v30 offset:32
	v_cndmask_b32_e64 v10, 0, 1, s[4:5]
	v_cmp_ne_u32_e64 s[2:3], 1, v10
	s_andn2_b64 vcc, exec, s[4:5]
	s_waitcnt lgkmcnt(2)
	v_cmp_le_i16_sdwa s[6:7], v6, v6 src0_sel:DWORD src1_sel:WORD_1
	v_cmp_le_i16_sdwa s[8:9], v7, v7 src0_sel:DWORD src1_sel:WORD_1
	;; [unrolled: 1-line block ×4, first 2 shown]
	s_waitcnt lgkmcnt(1)
	v_cmp_le_i16_sdwa s[14:15], v2, v2 src0_sel:DWORD src1_sel:WORD_1
	v_cmp_le_i16_sdwa s[16:17], v3, v3 src0_sel:DWORD src1_sel:WORD_1
	;; [unrolled: 1-line block ×4, first 2 shown]
	s_waitcnt lgkmcnt(0)
	v_cmp_le_i16_sdwa s[36:37], v16, v16 src0_sel:DWORD src1_sel:WORD_1
	v_cmp_le_i16_sdwa s[4:5], v17, v17 src0_sel:DWORD src1_sel:WORD_1
	s_barrier
	s_cbranch_vccnz .LBB3539_30
; %bb.29:
	v_cndmask_b32_e64 v11, 0, 1, s[8:9]
	v_cndmask_b32_e64 v10, 0, 1, s[6:7]
	;; [unrolled: 1-line block ×3, first 2 shown]
	v_lshlrev_b16_e32 v11, 8, v11
	v_cndmask_b32_e64 v18, 0, 1, s[10:11]
	v_or_b32_e32 v10, v10, v11
	v_lshlrev_b16_e32 v11, 8, v19
	v_cndmask_b32_e64 v21, 0, 1, s[16:17]
	v_cndmask_b32_e64 v23, 0, 1, s[24:25]
	v_or_b32_sdwa v11, v18, v11 dst_sel:WORD_1 dst_unused:UNUSED_PAD src0_sel:DWORD src1_sel:DWORD
	v_cndmask_b32_e64 v20, 0, 1, s[14:15]
	v_cndmask_b32_e64 v22, 0, 1, s[18:19]
	v_or_b32_sdwa v28, v10, v11 dst_sel:DWORD dst_unused:UNUSED_PAD src0_sel:WORD_0 src1_sel:DWORD
	v_lshlrev_b16_e32 v10, 8, v21
	v_lshlrev_b16_e32 v11, 8, v23
	v_or_b32_e32 v10, v20, v10
	v_or_b32_sdwa v11, v22, v11 dst_sel:WORD_1 dst_unused:UNUSED_PAD src0_sel:DWORD src1_sel:DWORD
	v_cndmask_b32_e64 v26, 0, 1, s[36:37]
	v_or_b32_sdwa v27, v10, v11 dst_sel:DWORD dst_unused:UNUSED_PAD src0_sel:WORD_0 src1_sel:DWORD
	s_and_b64 s[24:25], s[4:5], exec
	s_cbranch_execz .LBB3539_31
	s_branch .LBB3539_32
.LBB3539_30:
                                        ; implicit-def: $sgpr24_sgpr25
                                        ; implicit-def: $vgpr26
                                        ; implicit-def: $vgpr27
                                        ; implicit-def: $vgpr28
.LBB3539_31:
	v_cmp_gt_u32_e32 vcc, s33, v13
	v_cmp_le_i16_sdwa s[4:5], v6, v6 src0_sel:DWORD src1_sel:WORD_1
	v_or_b32_e32 v10, 1, v13
	s_and_b64 s[4:5], vcc, s[4:5]
	v_cndmask_b32_e64 v25, 0, 1, s[4:5]
	v_cmp_gt_u32_e32 vcc, s33, v10
	v_cmp_le_i16_sdwa s[4:5], v7, v7 src0_sel:DWORD src1_sel:WORD_1
	v_add_u32_e32 v11, 2, v13
	s_and_b64 s[4:5], vcc, s[4:5]
	v_cndmask_b32_e64 v10, 0, 1, s[4:5]
	v_cmp_gt_u32_e32 vcc, s33, v11
	v_cmp_le_i16_sdwa s[4:5], v8, v8 src0_sel:DWORD src1_sel:WORD_1
	v_add_u32_e32 v18, 3, v13
	;; [unrolled: 5-line block ×8, first 2 shown]
	s_and_b64 s[4:5], vcc, s[4:5]
	v_lshlrev_b16_e32 v10, 8, v10
	v_lshlrev_b16_e32 v18, 8, v18
	v_cndmask_b32_e64 v26, 0, 1, s[4:5]
	v_cmp_gt_u32_e32 vcc, s33, v24
	v_cmp_le_i16_sdwa s[4:5], v17, v17 src0_sel:DWORD src1_sel:WORD_1
	v_or_b32_e32 v10, v25, v10
	v_or_b32_sdwa v11, v11, v18 dst_sel:WORD_1 dst_unused:UNUSED_PAD src0_sel:DWORD src1_sel:DWORD
	s_and_b64 s[4:5], vcc, s[4:5]
	v_or_b32_sdwa v28, v10, v11 dst_sel:DWORD dst_unused:UNUSED_PAD src0_sel:WORD_0 src1_sel:DWORD
	v_lshlrev_b16_e32 v10, 8, v20
	v_lshlrev_b16_e32 v11, 8, v22
	v_or_b32_e32 v10, v19, v10
	v_or_b32_sdwa v11, v21, v11 dst_sel:WORD_1 dst_unused:UNUSED_PAD src0_sel:DWORD src1_sel:DWORD
	s_andn2_b64 s[6:7], s[24:25], exec
	s_and_b64 s[4:5], s[4:5], exec
	v_or_b32_sdwa v27, v10, v11 dst_sel:DWORD dst_unused:UNUSED_PAD src0_sel:WORD_0 src1_sel:DWORD
	s_or_b64 s[24:25], s[6:7], s[4:5]
.LBB3539_32:
	v_cndmask_b32_e64 v10, 0, 1, s[24:25]
	v_bfe_u32 v32, v28, 8, 8
	v_bfe_u32 v33, v28, 16, 8
	v_add_u32_sdwa v10, v28, v10 dst_sel:DWORD dst_unused:UNUSED_PAD src0_sel:BYTE_0 src1_sel:DWORD
	v_lshrrev_b32_e32 v31, 24, v28
	v_and_b32_e32 v34, 0xff, v27
	v_add3_u32 v10, v10, v32, v33
	v_bfe_u32 v35, v27, 8, 8
	v_bfe_u32 v36, v27, 16, 8
	v_add3_u32 v10, v10, v31, v34
	v_lshrrev_b32_e32 v29, 24, v27
	v_and_b32_e32 v37, 0xff, v26
	v_add3_u32 v10, v10, v35, v36
	v_add3_u32 v40, v10, v29, v37
	v_mbcnt_lo_u32_b32 v10, -1, 0
	v_mbcnt_hi_u32_b32 v38, -1, v10
	v_and_b32_e32 v10, 15, v38
	v_cmp_eq_u32_e64 s[16:17], 0, v10
	v_cmp_lt_u32_e64 s[14:15], 1, v10
	v_cmp_lt_u32_e64 s[12:13], 3, v10
	;; [unrolled: 1-line block ×3, first 2 shown]
	v_and_b32_e32 v10, 16, v38
	v_cmp_eq_u32_e64 s[8:9], 0, v10
	v_or_b32_e32 v10, 63, v0
	s_cmp_lg_u32 s42, 0
	v_cmp_lt_u32_e64 s[4:5], 31, v38
	v_lshrrev_b32_e32 v39, 6, v0
	v_cmp_eq_u32_e64 s[6:7], v10, v0
	s_cbranch_scc0 .LBB3539_63
; %bb.33:
	v_mov_b32_dpp v10, v40 row_shr:1 row_mask:0xf bank_mask:0xf
	v_cndmask_b32_e64 v10, v10, 0, s[16:17]
	v_add_u32_e32 v10, v10, v40
	s_nop 1
	v_mov_b32_dpp v11, v10 row_shr:2 row_mask:0xf bank_mask:0xf
	v_cndmask_b32_e64 v11, 0, v11, s[14:15]
	v_add_u32_e32 v10, v10, v11
	s_nop 1
	;; [unrolled: 4-line block ×4, first 2 shown]
	v_mov_b32_dpp v11, v10 row_bcast:15 row_mask:0xf bank_mask:0xf
	v_cndmask_b32_e64 v11, v11, 0, s[8:9]
	v_add_u32_e32 v10, v10, v11
	s_nop 1
	v_mov_b32_dpp v11, v10 row_bcast:31 row_mask:0xf bank_mask:0xf
	v_cndmask_b32_e64 v11, 0, v11, s[4:5]
	v_add_u32_e32 v10, v10, v11
	s_and_saveexec_b64 s[18:19], s[6:7]
	s_cbranch_execz .LBB3539_35
; %bb.34:
	v_lshlrev_b32_e32 v11, 2, v39
	ds_write_b32 v11, v10
.LBB3539_35:
	s_or_b64 exec, exec, s[18:19]
	v_cmp_gt_u32_e32 vcc, 4, v0
	s_waitcnt lgkmcnt(0)
	s_barrier
	s_and_saveexec_b64 s[18:19], vcc
	s_cbranch_execz .LBB3539_37
; %bb.36:
	ds_read_b32 v11, v1
	v_and_b32_e32 v18, 3, v38
	v_cmp_ne_u32_e32 vcc, 0, v18
	s_waitcnt lgkmcnt(0)
	v_mov_b32_dpp v19, v11 row_shr:1 row_mask:0xf bank_mask:0xf
	v_cndmask_b32_e32 v19, 0, v19, vcc
	v_add_u32_e32 v11, v19, v11
	v_cmp_lt_u32_e32 vcc, 1, v18
	s_nop 0
	v_mov_b32_dpp v19, v11 row_shr:2 row_mask:0xf bank_mask:0xf
	v_cndmask_b32_e32 v18, 0, v19, vcc
	v_add_u32_e32 v11, v11, v18
	ds_write_b32 v1, v11
.LBB3539_37:
	s_or_b64 exec, exec, s[18:19]
	v_cmp_gt_u32_e32 vcc, 64, v0
	v_cmp_lt_u32_e64 s[18:19], 63, v0
	s_waitcnt lgkmcnt(0)
	s_barrier
	s_waitcnt lgkmcnt(0)
                                        ; implicit-def: $vgpr41
	s_and_saveexec_b64 s[36:37], s[18:19]
	s_cbranch_execz .LBB3539_39
; %bb.38:
	v_lshl_add_u32 v11, v39, 2, -4
	ds_read_b32 v41, v11
	s_waitcnt lgkmcnt(0)
	v_add_u32_e32 v10, v41, v10
.LBB3539_39:
	s_or_b64 exec, exec, s[36:37]
	v_add_u32_e32 v11, -1, v38
	v_and_b32_e32 v18, 64, v38
	v_cmp_lt_i32_e64 s[18:19], v11, v18
	v_cndmask_b32_e64 v11, v11, v38, s[18:19]
	v_lshlrev_b32_e32 v11, 2, v11
	ds_bpermute_b32 v42, v11, v10
	v_cmp_eq_u32_e64 s[18:19], 0, v38
	s_and_saveexec_b64 s[36:37], vcc
	s_cbranch_execz .LBB3539_62
; %bb.40:
	v_mov_b32_e32 v25, 0
	ds_read_b32 v10, v25 offset:12
	s_and_saveexec_b64 s[38:39], s[18:19]
	s_cbranch_execz .LBB3539_42
; %bb.41:
	s_add_i32 s40, s42, 64
	s_mov_b32 s41, 0
	s_lshl_b64 s[40:41], s[40:41], 3
	s_add_u32 s40, s34, s40
	v_mov_b32_e32 v11, 1
	s_addc_u32 s41, s35, s41
	s_waitcnt lgkmcnt(0)
	global_store_dwordx2 v25, v[10:11], s[40:41]
.LBB3539_42:
	s_or_b64 exec, exec, s[38:39]
	v_xad_u32 v18, v38, -1, s42
	v_add_u32_e32 v24, 64, v18
	v_lshlrev_b64 v[20:21], 3, v[24:25]
	v_mov_b32_e32 v11, s35
	v_add_co_u32_e32 v20, vcc, s34, v20
	v_addc_co_u32_e32 v21, vcc, v11, v21, vcc
	global_load_dwordx2 v[22:23], v[20:21], off glc
	s_waitcnt vmcnt(0)
	v_cmp_eq_u16_sdwa s[40:41], v23, v25 src0_sel:BYTE_0 src1_sel:DWORD
	s_and_saveexec_b64 s[38:39], s[40:41]
	s_cbranch_execz .LBB3539_48
; %bb.43:
	s_mov_b32 s43, 1
	s_mov_b64 s[40:41], 0
	v_mov_b32_e32 v11, 0
.LBB3539_44:                            ; =>This Loop Header: Depth=1
                                        ;     Child Loop BB3539_45 Depth 2
	s_max_u32 s44, s43, 1
.LBB3539_45:                            ;   Parent Loop BB3539_44 Depth=1
                                        ; =>  This Inner Loop Header: Depth=2
	s_add_i32 s44, s44, -1
	s_cmp_eq_u32 s44, 0
	s_sleep 1
	s_cbranch_scc0 .LBB3539_45
; %bb.46:                               ;   in Loop: Header=BB3539_44 Depth=1
	global_load_dwordx2 v[22:23], v[20:21], off glc
	s_cmp_lt_u32 s43, 32
	s_cselect_b64 s[44:45], -1, 0
	s_cmp_lg_u64 s[44:45], 0
	s_addc_u32 s43, s43, 0
	s_waitcnt vmcnt(0)
	v_cmp_ne_u16_sdwa s[44:45], v23, v11 src0_sel:BYTE_0 src1_sel:DWORD
	s_or_b64 s[40:41], s[44:45], s[40:41]
	s_andn2_b64 exec, exec, s[40:41]
	s_cbranch_execnz .LBB3539_44
; %bb.47:
	s_or_b64 exec, exec, s[40:41]
.LBB3539_48:
	s_or_b64 exec, exec, s[38:39]
	v_and_b32_e32 v44, 63, v38
	v_mov_b32_e32 v43, 2
	v_cmp_ne_u32_e32 vcc, 63, v44
	v_cmp_eq_u16_sdwa s[38:39], v23, v43 src0_sel:BYTE_0 src1_sel:DWORD
	v_lshlrev_b64 v[20:21], v38, -1
	v_addc_co_u32_e32 v24, vcc, 0, v38, vcc
	v_and_b32_e32 v11, s39, v21
	v_lshlrev_b32_e32 v45, 2, v24
	v_or_b32_e32 v11, 0x80000000, v11
	ds_bpermute_b32 v24, v45, v22
	v_and_b32_e32 v19, s38, v20
	v_ffbl_b32_e32 v11, v11
	v_add_u32_e32 v11, 32, v11
	v_ffbl_b32_e32 v19, v19
	v_min_u32_e32 v11, v19, v11
	v_cmp_lt_u32_e32 vcc, v44, v11
	s_waitcnt lgkmcnt(0)
	v_cndmask_b32_e32 v19, 0, v24, vcc
	v_cmp_gt_u32_e32 vcc, 62, v44
	v_add_u32_e32 v19, v19, v22
	v_cndmask_b32_e64 v22, 0, 1, vcc
	v_lshlrev_b32_e32 v22, 1, v22
	v_add_lshl_u32 v46, v22, v38, 2
	ds_bpermute_b32 v22, v46, v19
	v_add_u32_e32 v47, 2, v44
	v_cmp_le_u32_e32 vcc, v47, v11
	v_add_u32_e32 v49, 4, v44
	v_add_u32_e32 v51, 8, v44
	s_waitcnt lgkmcnt(0)
	v_cndmask_b32_e32 v22, 0, v22, vcc
	v_cmp_gt_u32_e32 vcc, 60, v44
	v_add_u32_e32 v19, v19, v22
	v_cndmask_b32_e64 v22, 0, 1, vcc
	v_lshlrev_b32_e32 v22, 2, v22
	v_add_lshl_u32 v48, v22, v38, 2
	ds_bpermute_b32 v22, v48, v19
	v_cmp_le_u32_e32 vcc, v49, v11
	v_add_u32_e32 v53, 16, v44
	v_add_u32_e32 v55, 32, v44
	s_waitcnt lgkmcnt(0)
	v_cndmask_b32_e32 v22, 0, v22, vcc
	v_cmp_gt_u32_e32 vcc, 56, v44
	v_add_u32_e32 v19, v19, v22
	v_cndmask_b32_e64 v22, 0, 1, vcc
	v_lshlrev_b32_e32 v22, 3, v22
	v_add_lshl_u32 v50, v22, v38, 2
	ds_bpermute_b32 v22, v50, v19
	v_cmp_le_u32_e32 vcc, v51, v11
	s_waitcnt lgkmcnt(0)
	v_cndmask_b32_e32 v22, 0, v22, vcc
	v_cmp_gt_u32_e32 vcc, 48, v44
	v_add_u32_e32 v19, v19, v22
	v_cndmask_b32_e64 v22, 0, 1, vcc
	v_lshlrev_b32_e32 v22, 4, v22
	v_add_lshl_u32 v52, v22, v38, 2
	ds_bpermute_b32 v22, v52, v19
	v_cmp_le_u32_e32 vcc, v53, v11
	s_waitcnt lgkmcnt(0)
	v_cndmask_b32_e32 v22, 0, v22, vcc
	v_cmp_gt_u32_e32 vcc, 32, v44
	v_add_u32_e32 v19, v19, v22
	v_cndmask_b32_e64 v22, 0, 1, vcc
	v_lshlrev_b32_e32 v22, 5, v22
	v_add_lshl_u32 v54, v22, v38, 2
	ds_bpermute_b32 v22, v54, v19
	v_cmp_le_u32_e32 vcc, v55, v11
	s_waitcnt lgkmcnt(0)
	v_cndmask_b32_e32 v11, 0, v22, vcc
	v_add_u32_e32 v22, v19, v11
	v_mov_b32_e32 v19, 0
	s_branch .LBB3539_50
.LBB3539_49:                            ;   in Loop: Header=BB3539_50 Depth=1
	s_or_b64 exec, exec, s[38:39]
	v_cmp_eq_u16_sdwa s[38:39], v23, v43 src0_sel:BYTE_0 src1_sel:DWORD
	v_and_b32_e32 v24, s39, v21
	v_or_b32_e32 v24, 0x80000000, v24
	ds_bpermute_b32 v56, v45, v22
	v_and_b32_e32 v25, s38, v20
	v_ffbl_b32_e32 v24, v24
	v_add_u32_e32 v24, 32, v24
	v_ffbl_b32_e32 v25, v25
	v_min_u32_e32 v24, v25, v24
	v_cmp_lt_u32_e32 vcc, v44, v24
	s_waitcnt lgkmcnt(0)
	v_cndmask_b32_e32 v25, 0, v56, vcc
	v_add_u32_e32 v22, v25, v22
	ds_bpermute_b32 v25, v46, v22
	v_cmp_le_u32_e32 vcc, v47, v24
	v_subrev_u32_e32 v18, 64, v18
	s_waitcnt lgkmcnt(0)
	v_cndmask_b32_e32 v25, 0, v25, vcc
	v_add_u32_e32 v22, v22, v25
	ds_bpermute_b32 v25, v48, v22
	v_cmp_le_u32_e32 vcc, v49, v24
	s_waitcnt lgkmcnt(0)
	v_cndmask_b32_e32 v25, 0, v25, vcc
	v_add_u32_e32 v22, v22, v25
	ds_bpermute_b32 v25, v50, v22
	v_cmp_le_u32_e32 vcc, v51, v24
	s_waitcnt lgkmcnt(0)
	v_cndmask_b32_e32 v25, 0, v25, vcc
	v_add_u32_e32 v22, v22, v25
	ds_bpermute_b32 v25, v52, v22
	v_cmp_le_u32_e32 vcc, v53, v24
	s_waitcnt lgkmcnt(0)
	v_cndmask_b32_e32 v25, 0, v25, vcc
	v_add_u32_e32 v22, v22, v25
	ds_bpermute_b32 v25, v54, v22
	v_cmp_le_u32_e32 vcc, v55, v24
	s_waitcnt lgkmcnt(0)
	v_cndmask_b32_e32 v24, 0, v25, vcc
	v_add3_u32 v22, v24, v11, v22
.LBB3539_50:                            ; =>This Loop Header: Depth=1
                                        ;     Child Loop BB3539_53 Depth 2
                                        ;       Child Loop BB3539_54 Depth 3
	v_cmp_ne_u16_sdwa s[38:39], v23, v43 src0_sel:BYTE_0 src1_sel:DWORD
	v_cndmask_b32_e64 v11, 0, 1, s[38:39]
	;;#ASMSTART
	;;#ASMEND
	v_cmp_ne_u32_e32 vcc, 0, v11
	s_cmp_lg_u64 vcc, exec
	v_mov_b32_e32 v11, v22
	s_cbranch_scc1 .LBB3539_57
; %bb.51:                               ;   in Loop: Header=BB3539_50 Depth=1
	v_lshlrev_b64 v[22:23], 3, v[18:19]
	v_mov_b32_e32 v25, s35
	v_add_co_u32_e32 v24, vcc, s34, v22
	v_addc_co_u32_e32 v25, vcc, v25, v23, vcc
	global_load_dwordx2 v[22:23], v[24:25], off glc
	s_waitcnt vmcnt(0)
	v_cmp_eq_u16_sdwa s[40:41], v23, v19 src0_sel:BYTE_0 src1_sel:DWORD
	s_and_saveexec_b64 s[38:39], s[40:41]
	s_cbranch_execz .LBB3539_49
; %bb.52:                               ;   in Loop: Header=BB3539_50 Depth=1
	s_mov_b32 s43, 1
	s_mov_b64 s[40:41], 0
.LBB3539_53:                            ;   Parent Loop BB3539_50 Depth=1
                                        ; =>  This Loop Header: Depth=2
                                        ;       Child Loop BB3539_54 Depth 3
	s_max_u32 s44, s43, 1
.LBB3539_54:                            ;   Parent Loop BB3539_50 Depth=1
                                        ;     Parent Loop BB3539_53 Depth=2
                                        ; =>    This Inner Loop Header: Depth=3
	s_add_i32 s44, s44, -1
	s_cmp_eq_u32 s44, 0
	s_sleep 1
	s_cbranch_scc0 .LBB3539_54
; %bb.55:                               ;   in Loop: Header=BB3539_53 Depth=2
	global_load_dwordx2 v[22:23], v[24:25], off glc
	s_cmp_lt_u32 s43, 32
	s_cselect_b64 s[44:45], -1, 0
	s_cmp_lg_u64 s[44:45], 0
	s_addc_u32 s43, s43, 0
	s_waitcnt vmcnt(0)
	v_cmp_ne_u16_sdwa s[44:45], v23, v19 src0_sel:BYTE_0 src1_sel:DWORD
	s_or_b64 s[40:41], s[44:45], s[40:41]
	s_andn2_b64 exec, exec, s[40:41]
	s_cbranch_execnz .LBB3539_53
; %bb.56:                               ;   in Loop: Header=BB3539_50 Depth=1
	s_or_b64 exec, exec, s[40:41]
	s_branch .LBB3539_49
.LBB3539_57:                            ;   in Loop: Header=BB3539_50 Depth=1
                                        ; implicit-def: $vgpr22
                                        ; implicit-def: $vgpr23
	s_cbranch_execz .LBB3539_50
; %bb.58:
	s_and_saveexec_b64 s[38:39], s[18:19]
	s_cbranch_execz .LBB3539_60
; %bb.59:
	s_add_i32 s40, s42, 64
	s_mov_b32 s41, 0
	s_lshl_b64 s[40:41], s[40:41], 3
	s_add_u32 s40, s34, s40
	v_add_u32_e32 v18, v11, v10
	v_mov_b32_e32 v19, 2
	s_addc_u32 s41, s35, s41
	v_mov_b32_e32 v20, 0
	global_store_dwordx2 v20, v[18:19], s[40:41]
	ds_write_b64 v20, v[10:11] offset:10240
.LBB3539_60:
	s_or_b64 exec, exec, s[38:39]
	s_and_b64 exec, exec, s[0:1]
	s_cbranch_execz .LBB3539_62
; %bb.61:
	v_mov_b32_e32 v10, 0
	ds_write_b32 v10, v11 offset:12
.LBB3539_62:
	s_or_b64 exec, exec, s[36:37]
	v_mov_b32_e32 v10, 0
	s_waitcnt lgkmcnt(0)
	s_barrier
	ds_read_b32 v11, v10 offset:12
	v_cndmask_b32_e64 v18, v42, v41, s[18:19]
	v_cndmask_b32_e64 v18, v18, 0, s[0:1]
	s_waitcnt lgkmcnt(0)
	s_barrier
	v_add_u32_e32 v42, v11, v18
	v_add_u32_sdwa v41, v42, v28 dst_sel:DWORD dst_unused:UNUSED_PAD src0_sel:DWORD src1_sel:BYTE_0
	v_add_u32_e32 v25, v41, v32
	v_add_u32_e32 v24, v25, v33
	;; [unrolled: 1-line block ×4, first 2 shown]
	ds_read_b64 v[10:11], v10 offset:10240
	v_add_u32_e32 v21, v22, v35
	v_add_u32_e32 v20, v21, v36
	;; [unrolled: 1-line block ×4, first 2 shown]
	s_branch .LBB3539_73
.LBB3539_63:
                                        ; implicit-def: $vgpr11
                                        ; implicit-def: $vgpr18
                                        ; implicit-def: $vgpr19
                                        ; implicit-def: $vgpr20
                                        ; implicit-def: $vgpr21
                                        ; implicit-def: $vgpr22
                                        ; implicit-def: $vgpr23
                                        ; implicit-def: $vgpr24
                                        ; implicit-def: $vgpr25
                                        ; implicit-def: $vgpr41
                                        ; implicit-def: $vgpr42
	s_cbranch_execz .LBB3539_73
; %bb.64:
	s_waitcnt lgkmcnt(0)
	v_mov_b32_dpp v10, v40 row_shr:1 row_mask:0xf bank_mask:0xf
	v_cndmask_b32_e64 v10, v10, 0, s[16:17]
	v_add_u32_e32 v10, v10, v40
	s_nop 1
	v_mov_b32_dpp v11, v10 row_shr:2 row_mask:0xf bank_mask:0xf
	v_cndmask_b32_e64 v11, 0, v11, s[14:15]
	v_add_u32_e32 v10, v10, v11
	s_nop 1
	;; [unrolled: 4-line block ×4, first 2 shown]
	v_mov_b32_dpp v11, v10 row_bcast:15 row_mask:0xf bank_mask:0xf
	v_cndmask_b32_e64 v11, v11, 0, s[8:9]
	v_add_u32_e32 v10, v10, v11
	s_nop 1
	v_mov_b32_dpp v11, v10 row_bcast:31 row_mask:0xf bank_mask:0xf
	v_cndmask_b32_e64 v11, 0, v11, s[4:5]
	v_add_u32_e32 v10, v10, v11
	s_and_saveexec_b64 s[4:5], s[6:7]
	s_cbranch_execz .LBB3539_66
; %bb.65:
	v_lshlrev_b32_e32 v11, 2, v39
	ds_write_b32 v11, v10
.LBB3539_66:
	s_or_b64 exec, exec, s[4:5]
	v_cmp_gt_u32_e32 vcc, 4, v0
	s_waitcnt lgkmcnt(0)
	s_barrier
	s_and_saveexec_b64 s[4:5], vcc
	s_cbranch_execz .LBB3539_68
; %bb.67:
	s_movk_i32 s6, 0xffdc
	v_mad_i32_i24 v11, v0, s6, v30
	ds_read_b32 v18, v11
	v_and_b32_e32 v19, 3, v38
	v_cmp_ne_u32_e32 vcc, 0, v19
	s_waitcnt lgkmcnt(0)
	v_mov_b32_dpp v20, v18 row_shr:1 row_mask:0xf bank_mask:0xf
	v_cndmask_b32_e32 v20, 0, v20, vcc
	v_add_u32_e32 v18, v20, v18
	v_cmp_lt_u32_e32 vcc, 1, v19
	s_nop 0
	v_mov_b32_dpp v20, v18 row_shr:2 row_mask:0xf bank_mask:0xf
	v_cndmask_b32_e32 v19, 0, v20, vcc
	v_add_u32_e32 v18, v18, v19
	ds_write_b32 v11, v18
.LBB3539_68:
	s_or_b64 exec, exec, s[4:5]
	v_cmp_lt_u32_e32 vcc, 63, v0
	v_mov_b32_e32 v11, 0
	v_mov_b32_e32 v18, 0
	s_waitcnt lgkmcnt(0)
	s_barrier
	s_and_saveexec_b64 s[4:5], vcc
	s_cbranch_execz .LBB3539_70
; %bb.69:
	v_lshl_add_u32 v18, v39, 2, -4
	ds_read_b32 v18, v18
.LBB3539_70:
	s_or_b64 exec, exec, s[4:5]
	v_add_u32_e32 v19, -1, v38
	v_and_b32_e32 v20, 64, v38
	v_cmp_lt_i32_e32 vcc, v19, v20
	v_cndmask_b32_e32 v19, v19, v38, vcc
	s_waitcnt lgkmcnt(0)
	v_add_u32_e32 v10, v18, v10
	v_lshlrev_b32_e32 v19, 2, v19
	ds_bpermute_b32 v19, v19, v10
	ds_read_b32 v10, v11 offset:12
	s_and_saveexec_b64 s[4:5], s[0:1]
	s_cbranch_execz .LBB3539_72
; %bb.71:
	v_mov_b32_e32 v20, 0
	v_mov_b32_e32 v11, 2
	s_waitcnt lgkmcnt(0)
	global_store_dwordx2 v20, v[10:11], s[34:35] offset:512
.LBB3539_72:
	s_or_b64 exec, exec, s[4:5]
	v_cmp_eq_u32_e32 vcc, 0, v38
	s_waitcnt lgkmcnt(1)
	v_cndmask_b32_e32 v18, v19, v18, vcc
	v_cndmask_b32_e64 v42, v18, 0, s[0:1]
	v_add_u32_sdwa v41, v42, v28 dst_sel:DWORD dst_unused:UNUSED_PAD src0_sel:DWORD src1_sel:BYTE_0
	v_add_u32_e32 v25, v41, v32
	v_add_u32_e32 v24, v25, v33
	;; [unrolled: 1-line block ×7, first 2 shown]
	v_mov_b32_e32 v11, 0
	v_add_u32_e32 v18, v19, v37
	s_waitcnt lgkmcnt(0)
	s_barrier
.LBB3539_73:
	s_waitcnt lgkmcnt(0)
	v_add_u32_e32 v13, v10, v13
	v_sub_u32_e32 v33, v42, v11
	v_and_b32_e32 v35, 1, v28
	v_sub_u32_e32 v34, v13, v33
	v_cmp_eq_u32_e32 vcc, 1, v35
	v_cndmask_b32_e32 v33, v34, v33, vcc
	v_lshlrev_b32_e32 v33, 2, v33
	v_lshrrev_b32_e32 v32, 8, v28
	ds_write_b32 v33, v6
	v_sub_u32_e32 v6, v41, v11
	v_sub_u32_e32 v33, v13, v6
	v_and_b32_e32 v32, 1, v32
	v_add_u32_e32 v33, 1, v33
	v_cmp_eq_u32_e32 vcc, 1, v32
	v_cndmask_b32_e32 v6, v33, v6, vcc
	v_lshlrev_b32_e32 v6, 2, v6
	ds_write_b32 v6, v7
	v_sub_u32_e32 v6, v25, v11
	v_mov_b32_e32 v25, 1
	v_sub_u32_e32 v7, v13, v6
	v_and_b32_sdwa v28, v25, v28 dst_sel:DWORD dst_unused:UNUSED_PAD src0_sel:DWORD src1_sel:WORD_1
	v_add_u32_e32 v7, 2, v7
	v_cmp_eq_u32_e32 vcc, 1, v28
	v_cndmask_b32_e32 v6, v7, v6, vcc
	v_lshlrev_b32_e32 v6, 2, v6
	ds_write_b32 v6, v8
	v_sub_u32_e32 v6, v24, v11
	v_sub_u32_e32 v7, v13, v6
	v_and_b32_e32 v8, 1, v31
	v_add_u32_e32 v7, 3, v7
	v_cmp_eq_u32_e32 vcc, 1, v8
	v_cndmask_b32_e32 v6, v7, v6, vcc
	v_lshlrev_b32_e32 v6, 2, v6
	ds_write_b32 v6, v9
	v_sub_u32_e32 v6, v23, v11
	v_sub_u32_e32 v7, v13, v6
	v_and_b32_e32 v8, 1, v27
	v_add_u32_e32 v7, 4, v7
	v_cmp_eq_u32_e32 vcc, 1, v8
	v_cndmask_b32_e32 v6, v7, v6, vcc
	v_lshlrev_b32_e32 v6, 2, v6
	v_lshrrev_b32_e32 v30, 8, v27
	ds_write_b32 v6, v2
	v_sub_u32_e32 v2, v22, v11
	v_sub_u32_e32 v6, v13, v2
	v_and_b32_e32 v7, 1, v30
	v_add_u32_e32 v6, 5, v6
	v_cmp_eq_u32_e32 vcc, 1, v7
	v_cndmask_b32_e32 v2, v6, v2, vcc
	v_lshlrev_b32_e32 v2, 2, v2
	ds_write_b32 v2, v3
	v_sub_u32_e32 v2, v21, v11
	v_sub_u32_e32 v3, v13, v2
	v_and_b32_sdwa v6, v25, v27 dst_sel:DWORD dst_unused:UNUSED_PAD src0_sel:DWORD src1_sel:WORD_1
	v_add_u32_e32 v3, 6, v3
	v_cmp_eq_u32_e32 vcc, 1, v6
	v_cndmask_b32_e32 v2, v3, v2, vcc
	v_lshlrev_b32_e32 v2, 2, v2
	ds_write_b32 v2, v4
	v_sub_u32_e32 v2, v20, v11
	v_sub_u32_e32 v3, v13, v2
	v_and_b32_e32 v4, 1, v29
	v_add_u32_e32 v3, 7, v3
	v_cmp_eq_u32_e32 vcc, 1, v4
	v_cndmask_b32_e32 v2, v3, v2, vcc
	v_lshlrev_b32_e32 v2, 2, v2
	ds_write_b32 v2, v5
	v_sub_u32_e32 v2, v19, v11
	v_sub_u32_e32 v3, v13, v2
	v_and_b32_e32 v4, 1, v26
	v_add_u32_e32 v3, 8, v3
	v_cmp_eq_u32_e32 vcc, 1, v4
	v_cndmask_b32_e32 v2, v3, v2, vcc
	v_lshlrev_b32_e32 v2, 2, v2
	ds_write_b32 v2, v16
	v_sub_u32_e32 v2, v18, v11
	v_sub_u32_e32 v3, v13, v2
	v_add_u32_e32 v3, 9, v3
	v_cndmask_b32_e64 v2, v3, v2, s[24:25]
	v_lshlrev_b32_e32 v2, 2, v2
	ds_write_b32 v2, v17
	s_waitcnt lgkmcnt(0)
	s_barrier
	ds_read2st64_b32 v[16:17], v1 offset1:4
	ds_read2st64_b32 v[8:9], v1 offset0:8 offset1:12
	ds_read2st64_b32 v[6:7], v1 offset0:16 offset1:20
	;; [unrolled: 1-line block ×4, first 2 shown]
	s_waitcnt vmcnt(0)
	v_add_co_u32_e32 v1, vcc, v14, v11
	v_addc_co_u32_e32 v11, vcc, 0, v15, vcc
	v_mov_b32_e32 v13, s27
	v_add_co_u32_e32 v12, vcc, s26, v12
	v_addc_co_u32_e32 v13, vcc, 0, v13, vcc
	v_mov_b32_e32 v14, s31
	v_sub_co_u32_e32 v12, vcc, s30, v12
	v_subb_co_u32_e32 v13, vcc, v14, v13, vcc
	v_add_co_u32_e32 v12, vcc, v12, v10
	v_addc_co_u32_e32 v13, vcc, 0, v13, vcc
	s_and_b64 vcc, exec, s[2:3]
	v_add_co_u32_e64 v14, s[2:3], v12, v1
	v_or_b32_e32 v26, 0x100, v0
	v_or_b32_e32 v25, 0x200, v0
	;; [unrolled: 1-line block ×9, first 2 shown]
	v_addc_co_u32_e64 v15, s[2:3], v13, v11, s[2:3]
	s_cbranch_vccnz .LBB3539_118
; %bb.74:
	v_cmp_ge_u32_e32 vcc, v0, v10
                                        ; implicit-def: $vgpr12_vgpr13
	s_and_saveexec_b64 s[2:3], vcc
	s_xor_b64 s[2:3], exec, s[2:3]
; %bb.75:
	v_not_b32_e32 v12, v0
	v_ashrrev_i32_e32 v13, 31, v12
	v_add_co_u32_e32 v12, vcc, v14, v12
	v_addc_co_u32_e32 v13, vcc, v15, v13, vcc
; %bb.76:
	s_andn2_saveexec_b64 s[2:3], s[2:3]
; %bb.77:
	v_add_co_u32_e32 v12, vcc, v1, v0
	v_addc_co_u32_e32 v13, vcc, 0, v11, vcc
; %bb.78:
	s_or_b64 exec, exec, s[2:3]
	v_lshlrev_b64 v[12:13], 2, v[12:13]
	v_mov_b32_e32 v27, s29
	v_add_co_u32_e32 v12, vcc, s28, v12
	v_addc_co_u32_e32 v13, vcc, v27, v13, vcc
	v_cmp_ge_u32_e32 vcc, v26, v10
	s_waitcnt lgkmcnt(4)
	global_store_dword v[12:13], v16, off
                                        ; implicit-def: $vgpr12_vgpr13
	s_and_saveexec_b64 s[2:3], vcc
	s_xor_b64 s[2:3], exec, s[2:3]
; %bb.79:
	v_xor_b32_e32 v12, 0xfffffeff, v0
	v_ashrrev_i32_e32 v13, 31, v12
	v_add_co_u32_e32 v12, vcc, v14, v12
	v_addc_co_u32_e32 v13, vcc, v15, v13, vcc
; %bb.80:
	s_andn2_saveexec_b64 s[2:3], s[2:3]
; %bb.81:
	v_add_co_u32_e32 v12, vcc, v1, v26
	v_addc_co_u32_e32 v13, vcc, 0, v11, vcc
; %bb.82:
	s_or_b64 exec, exec, s[2:3]
	v_lshlrev_b64 v[12:13], 2, v[12:13]
	v_mov_b32_e32 v27, s29
	v_add_co_u32_e32 v12, vcc, s28, v12
	v_addc_co_u32_e32 v13, vcc, v27, v13, vcc
	v_cmp_ge_u32_e32 vcc, v25, v10
	global_store_dword v[12:13], v17, off
                                        ; implicit-def: $vgpr12_vgpr13
	s_and_saveexec_b64 s[2:3], vcc
	s_xor_b64 s[2:3], exec, s[2:3]
; %bb.83:
	v_xor_b32_e32 v12, 0xfffffdff, v0
	v_ashrrev_i32_e32 v13, 31, v12
	v_add_co_u32_e32 v12, vcc, v14, v12
	v_addc_co_u32_e32 v13, vcc, v15, v13, vcc
; %bb.84:
	s_andn2_saveexec_b64 s[2:3], s[2:3]
; %bb.85:
	v_add_co_u32_e32 v12, vcc, v1, v25
	v_addc_co_u32_e32 v13, vcc, 0, v11, vcc
; %bb.86:
	s_or_b64 exec, exec, s[2:3]
	v_lshlrev_b64 v[12:13], 2, v[12:13]
	v_mov_b32_e32 v27, s29
	v_add_co_u32_e32 v12, vcc, s28, v12
	v_addc_co_u32_e32 v13, vcc, v27, v13, vcc
	v_cmp_ge_u32_e32 vcc, v24, v10
	s_waitcnt lgkmcnt(3)
	global_store_dword v[12:13], v8, off
                                        ; implicit-def: $vgpr12_vgpr13
	s_and_saveexec_b64 s[2:3], vcc
	s_xor_b64 s[2:3], exec, s[2:3]
; %bb.87:
	v_xor_b32_e32 v12, 0xfffffcff, v0
	v_ashrrev_i32_e32 v13, 31, v12
	v_add_co_u32_e32 v12, vcc, v14, v12
	v_addc_co_u32_e32 v13, vcc, v15, v13, vcc
; %bb.88:
	s_andn2_saveexec_b64 s[2:3], s[2:3]
; %bb.89:
	v_add_co_u32_e32 v12, vcc, v1, v24
	v_addc_co_u32_e32 v13, vcc, 0, v11, vcc
; %bb.90:
	s_or_b64 exec, exec, s[2:3]
	v_lshlrev_b64 v[12:13], 2, v[12:13]
	v_mov_b32_e32 v27, s29
	v_add_co_u32_e32 v12, vcc, s28, v12
	v_addc_co_u32_e32 v13, vcc, v27, v13, vcc
	v_cmp_ge_u32_e32 vcc, v23, v10
	global_store_dword v[12:13], v9, off
                                        ; implicit-def: $vgpr12_vgpr13
	s_and_saveexec_b64 s[2:3], vcc
	s_xor_b64 s[2:3], exec, s[2:3]
; %bb.91:
	v_xor_b32_e32 v12, 0xfffffbff, v0
	;; [unrolled: 43-line block ×4, first 2 shown]
	v_ashrrev_i32_e32 v13, 31, v12
	v_add_co_u32_e32 v12, vcc, v14, v12
	v_addc_co_u32_e32 v13, vcc, v15, v13, vcc
; %bb.108:
	s_andn2_saveexec_b64 s[2:3], s[2:3]
; %bb.109:
	v_add_co_u32_e32 v12, vcc, v1, v19
	v_addc_co_u32_e32 v13, vcc, 0, v11, vcc
; %bb.110:
	s_or_b64 exec, exec, s[2:3]
	v_lshlrev_b64 v[12:13], 2, v[12:13]
	v_mov_b32_e32 v27, s29
	v_add_co_u32_e32 v12, vcc, s28, v12
	v_addc_co_u32_e32 v13, vcc, v27, v13, vcc
	v_cmp_ge_u32_e32 vcc, v18, v10
	s_waitcnt lgkmcnt(0)
	global_store_dword v[12:13], v2, off
                                        ; implicit-def: $vgpr12_vgpr13
	s_and_saveexec_b64 s[2:3], vcc
	s_xor_b64 s[2:3], exec, s[2:3]
; %bb.111:
	v_xor_b32_e32 v12, 0xfffff6ff, v0
	v_ashrrev_i32_e32 v13, 31, v12
	v_add_co_u32_e32 v12, vcc, v14, v12
	v_addc_co_u32_e32 v13, vcc, v15, v13, vcc
; %bb.112:
	s_andn2_saveexec_b64 s[2:3], s[2:3]
; %bb.113:
	v_add_co_u32_e32 v12, vcc, v1, v18
	v_addc_co_u32_e32 v13, vcc, 0, v11, vcc
; %bb.114:
	s_or_b64 exec, exec, s[2:3]
	s_mov_b64 s[2:3], -1
.LBB3539_115:
	s_and_saveexec_b64 s[4:5], s[2:3]
	s_cbranch_execz .LBB3539_146
.LBB3539_116:
	s_waitcnt lgkmcnt(1)
	v_lshlrev_b64 v[4:5], 2, v[12:13]
	v_mov_b32_e32 v0, s29
	v_add_co_u32_e32 v4, vcc, s28, v4
	v_addc_co_u32_e32 v5, vcc, v0, v5, vcc
	s_waitcnt lgkmcnt(0)
	global_store_dword v[4:5], v3, off
	s_or_b64 exec, exec, s[4:5]
	s_and_b64 s[0:1], s[0:1], s[22:23]
	s_and_saveexec_b64 s[2:3], s[0:1]
	s_cbranch_execnz .LBB3539_147
.LBB3539_117:
	s_endpgm
.LBB3539_118:
	s_mov_b64 s[2:3], 0
                                        ; implicit-def: $vgpr12_vgpr13
	s_cbranch_execz .LBB3539_115
; %bb.119:
	v_cmp_gt_u32_e32 vcc, s33, v0
	s_and_saveexec_b64 s[4:5], vcc
	s_cbranch_execz .LBB3539_148
; %bb.120:
	v_cmp_ge_u32_e32 vcc, v0, v10
                                        ; implicit-def: $vgpr12_vgpr13
	s_and_saveexec_b64 s[6:7], vcc
	s_xor_b64 s[6:7], exec, s[6:7]
; %bb.121:
	v_not_b32_e32 v12, v0
	v_ashrrev_i32_e32 v13, 31, v12
	v_add_co_u32_e32 v12, vcc, v14, v12
	v_addc_co_u32_e32 v13, vcc, v15, v13, vcc
; %bb.122:
	s_andn2_saveexec_b64 s[6:7], s[6:7]
; %bb.123:
	v_add_co_u32_e32 v12, vcc, v1, v0
	v_addc_co_u32_e32 v13, vcc, 0, v11, vcc
; %bb.124:
	s_or_b64 exec, exec, s[6:7]
	v_lshlrev_b64 v[12:13], 2, v[12:13]
	v_mov_b32_e32 v27, s29
	v_add_co_u32_e32 v12, vcc, s28, v12
	v_addc_co_u32_e32 v13, vcc, v27, v13, vcc
	s_waitcnt lgkmcnt(4)
	global_store_dword v[12:13], v16, off
	s_or_b64 exec, exec, s[4:5]
	v_cmp_gt_u32_e32 vcc, s33, v26
	s_and_saveexec_b64 s[4:5], vcc
	s_cbranch_execnz .LBB3539_149
.LBB3539_125:
	s_or_b64 exec, exec, s[4:5]
	v_cmp_gt_u32_e32 vcc, s33, v25
	s_and_saveexec_b64 s[4:5], vcc
	s_cbranch_execz .LBB3539_154
.LBB3539_126:
	v_cmp_ge_u32_e32 vcc, v25, v10
                                        ; implicit-def: $vgpr12_vgpr13
	s_and_saveexec_b64 s[6:7], vcc
	s_xor_b64 s[6:7], exec, s[6:7]
; %bb.127:
	v_xor_b32_e32 v12, 0xfffffdff, v0
	v_ashrrev_i32_e32 v13, 31, v12
	v_add_co_u32_e32 v12, vcc, v14, v12
	v_addc_co_u32_e32 v13, vcc, v15, v13, vcc
                                        ; implicit-def: $vgpr25
; %bb.128:
	s_andn2_saveexec_b64 s[6:7], s[6:7]
; %bb.129:
	v_add_co_u32_e32 v12, vcc, v1, v25
	v_addc_co_u32_e32 v13, vcc, 0, v11, vcc
; %bb.130:
	s_or_b64 exec, exec, s[6:7]
	v_lshlrev_b64 v[12:13], 2, v[12:13]
	s_waitcnt lgkmcnt(4)
	v_mov_b32_e32 v16, s29
	v_add_co_u32_e32 v12, vcc, s28, v12
	v_addc_co_u32_e32 v13, vcc, v16, v13, vcc
	s_waitcnt lgkmcnt(3)
	global_store_dword v[12:13], v8, off
	s_or_b64 exec, exec, s[4:5]
	v_cmp_gt_u32_e32 vcc, s33, v24
	s_and_saveexec_b64 s[4:5], vcc
	s_cbranch_execnz .LBB3539_155
.LBB3539_131:
	s_or_b64 exec, exec, s[4:5]
	v_cmp_gt_u32_e32 vcc, s33, v23
	s_and_saveexec_b64 s[4:5], vcc
	s_cbranch_execz .LBB3539_160
.LBB3539_132:
	v_cmp_ge_u32_e32 vcc, v23, v10
                                        ; implicit-def: $vgpr8_vgpr9
	s_and_saveexec_b64 s[6:7], vcc
	s_xor_b64 s[6:7], exec, s[6:7]
	s_cbranch_execz .LBB3539_134
; %bb.133:
	s_waitcnt lgkmcnt(3)
	v_xor_b32_e32 v8, 0xfffffbff, v0
	v_ashrrev_i32_e32 v9, 31, v8
	v_add_co_u32_e32 v8, vcc, v14, v8
	v_addc_co_u32_e32 v9, vcc, v15, v9, vcc
                                        ; implicit-def: $vgpr23
.LBB3539_134:
	s_andn2_saveexec_b64 s[6:7], s[6:7]
	s_cbranch_execz .LBB3539_136
; %bb.135:
	s_waitcnt lgkmcnt(3)
	v_add_co_u32_e32 v8, vcc, v1, v23
	v_addc_co_u32_e32 v9, vcc, 0, v11, vcc
.LBB3539_136:
	s_or_b64 exec, exec, s[6:7]
	s_waitcnt lgkmcnt(3)
	v_lshlrev_b64 v[8:9], 2, v[8:9]
	v_mov_b32_e32 v12, s29
	v_add_co_u32_e32 v8, vcc, s28, v8
	v_addc_co_u32_e32 v9, vcc, v12, v9, vcc
	s_waitcnt lgkmcnt(2)
	global_store_dword v[8:9], v6, off
	s_or_b64 exec, exec, s[4:5]
	v_cmp_gt_u32_e32 vcc, s33, v22
	s_and_saveexec_b64 s[4:5], vcc
	s_cbranch_execnz .LBB3539_161
.LBB3539_137:
	s_or_b64 exec, exec, s[4:5]
	v_cmp_gt_u32_e32 vcc, s33, v21
	s_and_saveexec_b64 s[4:5], vcc
	s_cbranch_execz .LBB3539_166
.LBB3539_138:
	v_cmp_ge_u32_e32 vcc, v21, v10
                                        ; implicit-def: $vgpr6_vgpr7
	s_and_saveexec_b64 s[6:7], vcc
	s_xor_b64 s[6:7], exec, s[6:7]
	s_cbranch_execz .LBB3539_140
; %bb.139:
	s_waitcnt lgkmcnt(2)
	v_xor_b32_e32 v6, 0xfffff9ff, v0
	v_ashrrev_i32_e32 v7, 31, v6
	v_add_co_u32_e32 v6, vcc, v14, v6
	v_addc_co_u32_e32 v7, vcc, v15, v7, vcc
                                        ; implicit-def: $vgpr21
.LBB3539_140:
	s_andn2_saveexec_b64 s[6:7], s[6:7]
	s_cbranch_execz .LBB3539_142
; %bb.141:
	s_waitcnt lgkmcnt(2)
	v_add_co_u32_e32 v6, vcc, v1, v21
	v_addc_co_u32_e32 v7, vcc, 0, v11, vcc
.LBB3539_142:
	s_or_b64 exec, exec, s[6:7]
	s_waitcnt lgkmcnt(2)
	v_lshlrev_b64 v[6:7], 2, v[6:7]
	v_mov_b32_e32 v8, s29
	v_add_co_u32_e32 v6, vcc, s28, v6
	v_addc_co_u32_e32 v7, vcc, v8, v7, vcc
	s_waitcnt lgkmcnt(1)
	global_store_dword v[6:7], v4, off
	s_or_b64 exec, exec, s[4:5]
	v_cmp_gt_u32_e32 vcc, s33, v20
	s_and_saveexec_b64 s[4:5], vcc
	s_cbranch_execnz .LBB3539_167
.LBB3539_143:
	s_or_b64 exec, exec, s[4:5]
	v_cmp_gt_u32_e32 vcc, s33, v19
	s_and_saveexec_b64 s[4:5], vcc
	s_cbranch_execnz .LBB3539_172
.LBB3539_144:
	s_or_b64 exec, exec, s[4:5]
	v_cmp_gt_u32_e32 vcc, s33, v18
                                        ; implicit-def: $vgpr12_vgpr13
	s_and_saveexec_b64 s[4:5], vcc
	s_cbranch_execnz .LBB3539_177
.LBB3539_145:
	s_or_b64 exec, exec, s[4:5]
	s_and_saveexec_b64 s[4:5], s[2:3]
	s_cbranch_execnz .LBB3539_116
.LBB3539_146:
	s_or_b64 exec, exec, s[4:5]
	s_and_b64 s[0:1], s[0:1], s[22:23]
	s_and_saveexec_b64 s[2:3], s[0:1]
	s_cbranch_execz .LBB3539_117
.LBB3539_147:
	v_add_co_u32_e32 v0, vcc, v1, v10
	s_waitcnt lgkmcnt(0)
	v_mov_b32_e32 v2, 0
	v_addc_co_u32_e32 v1, vcc, 0, v11, vcc
	global_store_dwordx2 v2, v[0:1], s[20:21]
	s_endpgm
.LBB3539_148:
	s_or_b64 exec, exec, s[4:5]
	v_cmp_gt_u32_e32 vcc, s33, v26
	s_and_saveexec_b64 s[4:5], vcc
	s_cbranch_execz .LBB3539_125
.LBB3539_149:
	v_cmp_ge_u32_e32 vcc, v26, v10
                                        ; implicit-def: $vgpr12_vgpr13
	s_and_saveexec_b64 s[6:7], vcc
	s_xor_b64 s[6:7], exec, s[6:7]
; %bb.150:
	v_xor_b32_e32 v12, 0xfffffeff, v0
	v_ashrrev_i32_e32 v13, 31, v12
	v_add_co_u32_e32 v12, vcc, v14, v12
	v_addc_co_u32_e32 v13, vcc, v15, v13, vcc
                                        ; implicit-def: $vgpr26
; %bb.151:
	s_andn2_saveexec_b64 s[6:7], s[6:7]
; %bb.152:
	v_add_co_u32_e32 v12, vcc, v1, v26
	v_addc_co_u32_e32 v13, vcc, 0, v11, vcc
; %bb.153:
	s_or_b64 exec, exec, s[6:7]
	v_lshlrev_b64 v[12:13], 2, v[12:13]
	s_waitcnt lgkmcnt(4)
	v_mov_b32_e32 v16, s29
	v_add_co_u32_e32 v12, vcc, s28, v12
	v_addc_co_u32_e32 v13, vcc, v16, v13, vcc
	global_store_dword v[12:13], v17, off
	s_or_b64 exec, exec, s[4:5]
	v_cmp_gt_u32_e32 vcc, s33, v25
	s_and_saveexec_b64 s[4:5], vcc
	s_cbranch_execnz .LBB3539_126
.LBB3539_154:
	s_or_b64 exec, exec, s[4:5]
	v_cmp_gt_u32_e32 vcc, s33, v24
	s_and_saveexec_b64 s[4:5], vcc
	s_cbranch_execz .LBB3539_131
.LBB3539_155:
	v_cmp_ge_u32_e32 vcc, v24, v10
                                        ; implicit-def: $vgpr12_vgpr13
	s_and_saveexec_b64 s[6:7], vcc
	s_xor_b64 s[6:7], exec, s[6:7]
	s_cbranch_execz .LBB3539_157
; %bb.156:
	s_waitcnt lgkmcnt(3)
	v_xor_b32_e32 v8, 0xfffffcff, v0
	v_ashrrev_i32_e32 v13, 31, v8
	v_add_co_u32_e32 v12, vcc, v14, v8
	v_addc_co_u32_e32 v13, vcc, v15, v13, vcc
                                        ; implicit-def: $vgpr24
.LBB3539_157:
	s_andn2_saveexec_b64 s[6:7], s[6:7]
; %bb.158:
	v_add_co_u32_e32 v12, vcc, v1, v24
	v_addc_co_u32_e32 v13, vcc, 0, v11, vcc
; %bb.159:
	s_or_b64 exec, exec, s[6:7]
	v_lshlrev_b64 v[12:13], 2, v[12:13]
	s_waitcnt lgkmcnt(3)
	v_mov_b32_e32 v8, s29
	v_add_co_u32_e32 v12, vcc, s28, v12
	v_addc_co_u32_e32 v13, vcc, v8, v13, vcc
	global_store_dword v[12:13], v9, off
	s_or_b64 exec, exec, s[4:5]
	v_cmp_gt_u32_e32 vcc, s33, v23
	s_and_saveexec_b64 s[4:5], vcc
	s_cbranch_execnz .LBB3539_132
.LBB3539_160:
	s_or_b64 exec, exec, s[4:5]
	v_cmp_gt_u32_e32 vcc, s33, v22
	s_and_saveexec_b64 s[4:5], vcc
	s_cbranch_execz .LBB3539_137
.LBB3539_161:
	v_cmp_ge_u32_e32 vcc, v22, v10
                                        ; implicit-def: $vgpr8_vgpr9
	s_and_saveexec_b64 s[6:7], vcc
	s_xor_b64 s[6:7], exec, s[6:7]
	s_cbranch_execz .LBB3539_163
; %bb.162:
	s_waitcnt lgkmcnt(2)
	v_xor_b32_e32 v6, 0xfffffaff, v0
	v_ashrrev_i32_e32 v9, 31, v6
	v_add_co_u32_e32 v8, vcc, v14, v6
	v_addc_co_u32_e32 v9, vcc, v15, v9, vcc
                                        ; implicit-def: $vgpr22
.LBB3539_163:
	s_andn2_saveexec_b64 s[6:7], s[6:7]
	s_cbranch_execz .LBB3539_165
; %bb.164:
	s_waitcnt lgkmcnt(3)
	v_add_co_u32_e32 v8, vcc, v1, v22
	v_addc_co_u32_e32 v9, vcc, 0, v11, vcc
.LBB3539_165:
	s_or_b64 exec, exec, s[6:7]
	s_waitcnt lgkmcnt(3)
	v_lshlrev_b64 v[8:9], 2, v[8:9]
	s_waitcnt lgkmcnt(2)
	v_mov_b32_e32 v6, s29
	v_add_co_u32_e32 v8, vcc, s28, v8
	v_addc_co_u32_e32 v9, vcc, v6, v9, vcc
	global_store_dword v[8:9], v7, off
	s_or_b64 exec, exec, s[4:5]
	v_cmp_gt_u32_e32 vcc, s33, v21
	s_and_saveexec_b64 s[4:5], vcc
	s_cbranch_execnz .LBB3539_138
.LBB3539_166:
	s_or_b64 exec, exec, s[4:5]
	v_cmp_gt_u32_e32 vcc, s33, v20
	s_and_saveexec_b64 s[4:5], vcc
	s_cbranch_execz .LBB3539_143
.LBB3539_167:
	v_cmp_ge_u32_e32 vcc, v20, v10
                                        ; implicit-def: $vgpr6_vgpr7
	s_and_saveexec_b64 s[6:7], vcc
	s_xor_b64 s[6:7], exec, s[6:7]
	s_cbranch_execz .LBB3539_169
; %bb.168:
	s_waitcnt lgkmcnt(1)
	v_xor_b32_e32 v4, 0xfffff8ff, v0
	v_ashrrev_i32_e32 v7, 31, v4
	v_add_co_u32_e32 v6, vcc, v14, v4
	v_addc_co_u32_e32 v7, vcc, v15, v7, vcc
                                        ; implicit-def: $vgpr20
.LBB3539_169:
	s_andn2_saveexec_b64 s[6:7], s[6:7]
	s_cbranch_execz .LBB3539_171
; %bb.170:
	s_waitcnt lgkmcnt(2)
	v_add_co_u32_e32 v6, vcc, v1, v20
	v_addc_co_u32_e32 v7, vcc, 0, v11, vcc
.LBB3539_171:
	s_or_b64 exec, exec, s[6:7]
	s_waitcnt lgkmcnt(2)
	v_lshlrev_b64 v[6:7], 2, v[6:7]
	s_waitcnt lgkmcnt(1)
	v_mov_b32_e32 v4, s29
	v_add_co_u32_e32 v6, vcc, s28, v6
	v_addc_co_u32_e32 v7, vcc, v4, v7, vcc
	global_store_dword v[6:7], v5, off
	s_or_b64 exec, exec, s[4:5]
	v_cmp_gt_u32_e32 vcc, s33, v19
	s_and_saveexec_b64 s[4:5], vcc
	s_cbranch_execz .LBB3539_144
.LBB3539_172:
	v_cmp_ge_u32_e32 vcc, v19, v10
                                        ; implicit-def: $vgpr4_vgpr5
	s_and_saveexec_b64 s[6:7], vcc
	s_xor_b64 s[6:7], exec, s[6:7]
	s_cbranch_execz .LBB3539_174
; %bb.173:
	s_waitcnt lgkmcnt(1)
	v_xor_b32_e32 v4, 0xfffff7ff, v0
	v_ashrrev_i32_e32 v5, 31, v4
	v_add_co_u32_e32 v4, vcc, v14, v4
	v_addc_co_u32_e32 v5, vcc, v15, v5, vcc
                                        ; implicit-def: $vgpr19
.LBB3539_174:
	s_andn2_saveexec_b64 s[6:7], s[6:7]
	s_cbranch_execz .LBB3539_176
; %bb.175:
	s_waitcnt lgkmcnt(1)
	v_add_co_u32_e32 v4, vcc, v1, v19
	v_addc_co_u32_e32 v5, vcc, 0, v11, vcc
.LBB3539_176:
	s_or_b64 exec, exec, s[6:7]
	s_waitcnt lgkmcnt(1)
	v_lshlrev_b64 v[4:5], 2, v[4:5]
	v_mov_b32_e32 v6, s29
	v_add_co_u32_e32 v4, vcc, s28, v4
	v_addc_co_u32_e32 v5, vcc, v6, v5, vcc
	s_waitcnt lgkmcnt(0)
	global_store_dword v[4:5], v2, off
	s_or_b64 exec, exec, s[4:5]
	v_cmp_gt_u32_e32 vcc, s33, v18
                                        ; implicit-def: $vgpr12_vgpr13
	s_and_saveexec_b64 s[4:5], vcc
	s_cbranch_execz .LBB3539_145
.LBB3539_177:
	v_cmp_ge_u32_e32 vcc, v18, v10
                                        ; implicit-def: $vgpr12_vgpr13
	s_and_saveexec_b64 s[6:7], vcc
	s_xor_b64 s[6:7], exec, s[6:7]
	s_cbranch_execz .LBB3539_179
; %bb.178:
	v_xor_b32_e32 v0, 0xfffff6ff, v0
	s_waitcnt lgkmcnt(0)
	v_ashrrev_i32_e32 v2, 31, v0
	v_add_co_u32_e32 v12, vcc, v14, v0
	v_addc_co_u32_e32 v13, vcc, v15, v2, vcc
                                        ; implicit-def: $vgpr18
.LBB3539_179:
	s_andn2_saveexec_b64 s[6:7], s[6:7]
; %bb.180:
	v_add_co_u32_e32 v12, vcc, v1, v18
	v_addc_co_u32_e32 v13, vcc, 0, v11, vcc
; %bb.181:
	s_or_b64 exec, exec, s[6:7]
	s_or_b64 s[2:3], s[2:3], exec
	s_or_b64 exec, exec, s[4:5]
	s_and_saveexec_b64 s[4:5], s[2:3]
	s_cbranch_execnz .LBB3539_116
	s_branch .LBB3539_146
	.section	.rodata,"a",@progbits
	.p2align	6, 0x0
	.amdhsa_kernel _ZN7rocprim17ROCPRIM_400000_NS6detail17trampoline_kernelINS0_14default_configENS1_25partition_config_selectorILNS1_17partition_subalgoE3EN6thrust23THRUST_200600_302600_NS5tupleIssNS7_9null_typeES9_S9_S9_S9_S9_S9_S9_EENS0_10empty_typeEbEEZZNS1_14partition_implILS5_3ELb0ES3_jNS7_6detail15normal_iteratorINS7_7pointerISA_NS7_11hip_rocprim3tagENS7_11use_defaultESJ_EEEEPSB_SM_NS0_5tupleIJPSA_SM_EEENSN_IJSM_SM_EEESB_PlJ10is_orderedEEE10hipError_tPvRmT3_T4_T5_T6_T7_T9_mT8_P12ihipStream_tbDpT10_ENKUlT_T0_E_clISt17integral_constantIbLb1EES1C_EEDaS17_S18_EUlS17_E_NS1_11comp_targetILNS1_3genE4ELNS1_11target_archE910ELNS1_3gpuE8ELNS1_3repE0EEENS1_30default_config_static_selectorELNS0_4arch9wavefront6targetE1EEEvT1_
		.amdhsa_group_segment_fixed_size 10248
		.amdhsa_private_segment_fixed_size 0
		.amdhsa_kernarg_size 136
		.amdhsa_user_sgpr_count 6
		.amdhsa_user_sgpr_private_segment_buffer 1
		.amdhsa_user_sgpr_dispatch_ptr 0
		.amdhsa_user_sgpr_queue_ptr 0
		.amdhsa_user_sgpr_kernarg_segment_ptr 1
		.amdhsa_user_sgpr_dispatch_id 0
		.amdhsa_user_sgpr_flat_scratch_init 0
		.amdhsa_user_sgpr_kernarg_preload_length 0
		.amdhsa_user_sgpr_kernarg_preload_offset 0
		.amdhsa_user_sgpr_private_segment_size 0
		.amdhsa_uses_dynamic_stack 0
		.amdhsa_system_sgpr_private_segment_wavefront_offset 0
		.amdhsa_system_sgpr_workgroup_id_x 1
		.amdhsa_system_sgpr_workgroup_id_y 0
		.amdhsa_system_sgpr_workgroup_id_z 0
		.amdhsa_system_sgpr_workgroup_info 0
		.amdhsa_system_vgpr_workitem_id 0
		.amdhsa_next_free_vgpr 57
		.amdhsa_next_free_sgpr 46
		.amdhsa_accum_offset 60
		.amdhsa_reserve_vcc 1
		.amdhsa_reserve_flat_scratch 0
		.amdhsa_float_round_mode_32 0
		.amdhsa_float_round_mode_16_64 0
		.amdhsa_float_denorm_mode_32 3
		.amdhsa_float_denorm_mode_16_64 3
		.amdhsa_dx10_clamp 1
		.amdhsa_ieee_mode 1
		.amdhsa_fp16_overflow 0
		.amdhsa_tg_split 0
		.amdhsa_exception_fp_ieee_invalid_op 0
		.amdhsa_exception_fp_denorm_src 0
		.amdhsa_exception_fp_ieee_div_zero 0
		.amdhsa_exception_fp_ieee_overflow 0
		.amdhsa_exception_fp_ieee_underflow 0
		.amdhsa_exception_fp_ieee_inexact 0
		.amdhsa_exception_int_div_zero 0
	.end_amdhsa_kernel
	.section	.text._ZN7rocprim17ROCPRIM_400000_NS6detail17trampoline_kernelINS0_14default_configENS1_25partition_config_selectorILNS1_17partition_subalgoE3EN6thrust23THRUST_200600_302600_NS5tupleIssNS7_9null_typeES9_S9_S9_S9_S9_S9_S9_EENS0_10empty_typeEbEEZZNS1_14partition_implILS5_3ELb0ES3_jNS7_6detail15normal_iteratorINS7_7pointerISA_NS7_11hip_rocprim3tagENS7_11use_defaultESJ_EEEEPSB_SM_NS0_5tupleIJPSA_SM_EEENSN_IJSM_SM_EEESB_PlJ10is_orderedEEE10hipError_tPvRmT3_T4_T5_T6_T7_T9_mT8_P12ihipStream_tbDpT10_ENKUlT_T0_E_clISt17integral_constantIbLb1EES1C_EEDaS17_S18_EUlS17_E_NS1_11comp_targetILNS1_3genE4ELNS1_11target_archE910ELNS1_3gpuE8ELNS1_3repE0EEENS1_30default_config_static_selectorELNS0_4arch9wavefront6targetE1EEEvT1_,"axG",@progbits,_ZN7rocprim17ROCPRIM_400000_NS6detail17trampoline_kernelINS0_14default_configENS1_25partition_config_selectorILNS1_17partition_subalgoE3EN6thrust23THRUST_200600_302600_NS5tupleIssNS7_9null_typeES9_S9_S9_S9_S9_S9_S9_EENS0_10empty_typeEbEEZZNS1_14partition_implILS5_3ELb0ES3_jNS7_6detail15normal_iteratorINS7_7pointerISA_NS7_11hip_rocprim3tagENS7_11use_defaultESJ_EEEEPSB_SM_NS0_5tupleIJPSA_SM_EEENSN_IJSM_SM_EEESB_PlJ10is_orderedEEE10hipError_tPvRmT3_T4_T5_T6_T7_T9_mT8_P12ihipStream_tbDpT10_ENKUlT_T0_E_clISt17integral_constantIbLb1EES1C_EEDaS17_S18_EUlS17_E_NS1_11comp_targetILNS1_3genE4ELNS1_11target_archE910ELNS1_3gpuE8ELNS1_3repE0EEENS1_30default_config_static_selectorELNS0_4arch9wavefront6targetE1EEEvT1_,comdat
.Lfunc_end3539:
	.size	_ZN7rocprim17ROCPRIM_400000_NS6detail17trampoline_kernelINS0_14default_configENS1_25partition_config_selectorILNS1_17partition_subalgoE3EN6thrust23THRUST_200600_302600_NS5tupleIssNS7_9null_typeES9_S9_S9_S9_S9_S9_S9_EENS0_10empty_typeEbEEZZNS1_14partition_implILS5_3ELb0ES3_jNS7_6detail15normal_iteratorINS7_7pointerISA_NS7_11hip_rocprim3tagENS7_11use_defaultESJ_EEEEPSB_SM_NS0_5tupleIJPSA_SM_EEENSN_IJSM_SM_EEESB_PlJ10is_orderedEEE10hipError_tPvRmT3_T4_T5_T6_T7_T9_mT8_P12ihipStream_tbDpT10_ENKUlT_T0_E_clISt17integral_constantIbLb1EES1C_EEDaS17_S18_EUlS17_E_NS1_11comp_targetILNS1_3genE4ELNS1_11target_archE910ELNS1_3gpuE8ELNS1_3repE0EEENS1_30default_config_static_selectorELNS0_4arch9wavefront6targetE1EEEvT1_, .Lfunc_end3539-_ZN7rocprim17ROCPRIM_400000_NS6detail17trampoline_kernelINS0_14default_configENS1_25partition_config_selectorILNS1_17partition_subalgoE3EN6thrust23THRUST_200600_302600_NS5tupleIssNS7_9null_typeES9_S9_S9_S9_S9_S9_S9_EENS0_10empty_typeEbEEZZNS1_14partition_implILS5_3ELb0ES3_jNS7_6detail15normal_iteratorINS7_7pointerISA_NS7_11hip_rocprim3tagENS7_11use_defaultESJ_EEEEPSB_SM_NS0_5tupleIJPSA_SM_EEENSN_IJSM_SM_EEESB_PlJ10is_orderedEEE10hipError_tPvRmT3_T4_T5_T6_T7_T9_mT8_P12ihipStream_tbDpT10_ENKUlT_T0_E_clISt17integral_constantIbLb1EES1C_EEDaS17_S18_EUlS17_E_NS1_11comp_targetILNS1_3genE4ELNS1_11target_archE910ELNS1_3gpuE8ELNS1_3repE0EEENS1_30default_config_static_selectorELNS0_4arch9wavefront6targetE1EEEvT1_
                                        ; -- End function
	.section	.AMDGPU.csdata,"",@progbits
; Kernel info:
; codeLenInByte = 6444
; NumSgprs: 50
; NumVgprs: 57
; NumAgprs: 0
; TotalNumVgprs: 57
; ScratchSize: 0
; MemoryBound: 0
; FloatMode: 240
; IeeeMode: 1
; LDSByteSize: 10248 bytes/workgroup (compile time only)
; SGPRBlocks: 6
; VGPRBlocks: 7
; NumSGPRsForWavesPerEU: 50
; NumVGPRsForWavesPerEU: 57
; AccumOffset: 60
; Occupancy: 6
; WaveLimiterHint : 1
; COMPUTE_PGM_RSRC2:SCRATCH_EN: 0
; COMPUTE_PGM_RSRC2:USER_SGPR: 6
; COMPUTE_PGM_RSRC2:TRAP_HANDLER: 0
; COMPUTE_PGM_RSRC2:TGID_X_EN: 1
; COMPUTE_PGM_RSRC2:TGID_Y_EN: 0
; COMPUTE_PGM_RSRC2:TGID_Z_EN: 0
; COMPUTE_PGM_RSRC2:TIDIG_COMP_CNT: 0
; COMPUTE_PGM_RSRC3_GFX90A:ACCUM_OFFSET: 14
; COMPUTE_PGM_RSRC3_GFX90A:TG_SPLIT: 0
	.section	.text._ZN7rocprim17ROCPRIM_400000_NS6detail17trampoline_kernelINS0_14default_configENS1_25partition_config_selectorILNS1_17partition_subalgoE3EN6thrust23THRUST_200600_302600_NS5tupleIssNS7_9null_typeES9_S9_S9_S9_S9_S9_S9_EENS0_10empty_typeEbEEZZNS1_14partition_implILS5_3ELb0ES3_jNS7_6detail15normal_iteratorINS7_7pointerISA_NS7_11hip_rocprim3tagENS7_11use_defaultESJ_EEEEPSB_SM_NS0_5tupleIJPSA_SM_EEENSN_IJSM_SM_EEESB_PlJ10is_orderedEEE10hipError_tPvRmT3_T4_T5_T6_T7_T9_mT8_P12ihipStream_tbDpT10_ENKUlT_T0_E_clISt17integral_constantIbLb1EES1C_EEDaS17_S18_EUlS17_E_NS1_11comp_targetILNS1_3genE3ELNS1_11target_archE908ELNS1_3gpuE7ELNS1_3repE0EEENS1_30default_config_static_selectorELNS0_4arch9wavefront6targetE1EEEvT1_,"axG",@progbits,_ZN7rocprim17ROCPRIM_400000_NS6detail17trampoline_kernelINS0_14default_configENS1_25partition_config_selectorILNS1_17partition_subalgoE3EN6thrust23THRUST_200600_302600_NS5tupleIssNS7_9null_typeES9_S9_S9_S9_S9_S9_S9_EENS0_10empty_typeEbEEZZNS1_14partition_implILS5_3ELb0ES3_jNS7_6detail15normal_iteratorINS7_7pointerISA_NS7_11hip_rocprim3tagENS7_11use_defaultESJ_EEEEPSB_SM_NS0_5tupleIJPSA_SM_EEENSN_IJSM_SM_EEESB_PlJ10is_orderedEEE10hipError_tPvRmT3_T4_T5_T6_T7_T9_mT8_P12ihipStream_tbDpT10_ENKUlT_T0_E_clISt17integral_constantIbLb1EES1C_EEDaS17_S18_EUlS17_E_NS1_11comp_targetILNS1_3genE3ELNS1_11target_archE908ELNS1_3gpuE7ELNS1_3repE0EEENS1_30default_config_static_selectorELNS0_4arch9wavefront6targetE1EEEvT1_,comdat
	.protected	_ZN7rocprim17ROCPRIM_400000_NS6detail17trampoline_kernelINS0_14default_configENS1_25partition_config_selectorILNS1_17partition_subalgoE3EN6thrust23THRUST_200600_302600_NS5tupleIssNS7_9null_typeES9_S9_S9_S9_S9_S9_S9_EENS0_10empty_typeEbEEZZNS1_14partition_implILS5_3ELb0ES3_jNS7_6detail15normal_iteratorINS7_7pointerISA_NS7_11hip_rocprim3tagENS7_11use_defaultESJ_EEEEPSB_SM_NS0_5tupleIJPSA_SM_EEENSN_IJSM_SM_EEESB_PlJ10is_orderedEEE10hipError_tPvRmT3_T4_T5_T6_T7_T9_mT8_P12ihipStream_tbDpT10_ENKUlT_T0_E_clISt17integral_constantIbLb1EES1C_EEDaS17_S18_EUlS17_E_NS1_11comp_targetILNS1_3genE3ELNS1_11target_archE908ELNS1_3gpuE7ELNS1_3repE0EEENS1_30default_config_static_selectorELNS0_4arch9wavefront6targetE1EEEvT1_ ; -- Begin function _ZN7rocprim17ROCPRIM_400000_NS6detail17trampoline_kernelINS0_14default_configENS1_25partition_config_selectorILNS1_17partition_subalgoE3EN6thrust23THRUST_200600_302600_NS5tupleIssNS7_9null_typeES9_S9_S9_S9_S9_S9_S9_EENS0_10empty_typeEbEEZZNS1_14partition_implILS5_3ELb0ES3_jNS7_6detail15normal_iteratorINS7_7pointerISA_NS7_11hip_rocprim3tagENS7_11use_defaultESJ_EEEEPSB_SM_NS0_5tupleIJPSA_SM_EEENSN_IJSM_SM_EEESB_PlJ10is_orderedEEE10hipError_tPvRmT3_T4_T5_T6_T7_T9_mT8_P12ihipStream_tbDpT10_ENKUlT_T0_E_clISt17integral_constantIbLb1EES1C_EEDaS17_S18_EUlS17_E_NS1_11comp_targetILNS1_3genE3ELNS1_11target_archE908ELNS1_3gpuE7ELNS1_3repE0EEENS1_30default_config_static_selectorELNS0_4arch9wavefront6targetE1EEEvT1_
	.globl	_ZN7rocprim17ROCPRIM_400000_NS6detail17trampoline_kernelINS0_14default_configENS1_25partition_config_selectorILNS1_17partition_subalgoE3EN6thrust23THRUST_200600_302600_NS5tupleIssNS7_9null_typeES9_S9_S9_S9_S9_S9_S9_EENS0_10empty_typeEbEEZZNS1_14partition_implILS5_3ELb0ES3_jNS7_6detail15normal_iteratorINS7_7pointerISA_NS7_11hip_rocprim3tagENS7_11use_defaultESJ_EEEEPSB_SM_NS0_5tupleIJPSA_SM_EEENSN_IJSM_SM_EEESB_PlJ10is_orderedEEE10hipError_tPvRmT3_T4_T5_T6_T7_T9_mT8_P12ihipStream_tbDpT10_ENKUlT_T0_E_clISt17integral_constantIbLb1EES1C_EEDaS17_S18_EUlS17_E_NS1_11comp_targetILNS1_3genE3ELNS1_11target_archE908ELNS1_3gpuE7ELNS1_3repE0EEENS1_30default_config_static_selectorELNS0_4arch9wavefront6targetE1EEEvT1_
	.p2align	8
	.type	_ZN7rocprim17ROCPRIM_400000_NS6detail17trampoline_kernelINS0_14default_configENS1_25partition_config_selectorILNS1_17partition_subalgoE3EN6thrust23THRUST_200600_302600_NS5tupleIssNS7_9null_typeES9_S9_S9_S9_S9_S9_S9_EENS0_10empty_typeEbEEZZNS1_14partition_implILS5_3ELb0ES3_jNS7_6detail15normal_iteratorINS7_7pointerISA_NS7_11hip_rocprim3tagENS7_11use_defaultESJ_EEEEPSB_SM_NS0_5tupleIJPSA_SM_EEENSN_IJSM_SM_EEESB_PlJ10is_orderedEEE10hipError_tPvRmT3_T4_T5_T6_T7_T9_mT8_P12ihipStream_tbDpT10_ENKUlT_T0_E_clISt17integral_constantIbLb1EES1C_EEDaS17_S18_EUlS17_E_NS1_11comp_targetILNS1_3genE3ELNS1_11target_archE908ELNS1_3gpuE7ELNS1_3repE0EEENS1_30default_config_static_selectorELNS0_4arch9wavefront6targetE1EEEvT1_,@function
_ZN7rocprim17ROCPRIM_400000_NS6detail17trampoline_kernelINS0_14default_configENS1_25partition_config_selectorILNS1_17partition_subalgoE3EN6thrust23THRUST_200600_302600_NS5tupleIssNS7_9null_typeES9_S9_S9_S9_S9_S9_S9_EENS0_10empty_typeEbEEZZNS1_14partition_implILS5_3ELb0ES3_jNS7_6detail15normal_iteratorINS7_7pointerISA_NS7_11hip_rocprim3tagENS7_11use_defaultESJ_EEEEPSB_SM_NS0_5tupleIJPSA_SM_EEENSN_IJSM_SM_EEESB_PlJ10is_orderedEEE10hipError_tPvRmT3_T4_T5_T6_T7_T9_mT8_P12ihipStream_tbDpT10_ENKUlT_T0_E_clISt17integral_constantIbLb1EES1C_EEDaS17_S18_EUlS17_E_NS1_11comp_targetILNS1_3genE3ELNS1_11target_archE908ELNS1_3gpuE7ELNS1_3repE0EEENS1_30default_config_static_selectorELNS0_4arch9wavefront6targetE1EEEvT1_: ; @_ZN7rocprim17ROCPRIM_400000_NS6detail17trampoline_kernelINS0_14default_configENS1_25partition_config_selectorILNS1_17partition_subalgoE3EN6thrust23THRUST_200600_302600_NS5tupleIssNS7_9null_typeES9_S9_S9_S9_S9_S9_S9_EENS0_10empty_typeEbEEZZNS1_14partition_implILS5_3ELb0ES3_jNS7_6detail15normal_iteratorINS7_7pointerISA_NS7_11hip_rocprim3tagENS7_11use_defaultESJ_EEEEPSB_SM_NS0_5tupleIJPSA_SM_EEENSN_IJSM_SM_EEESB_PlJ10is_orderedEEE10hipError_tPvRmT3_T4_T5_T6_T7_T9_mT8_P12ihipStream_tbDpT10_ENKUlT_T0_E_clISt17integral_constantIbLb1EES1C_EEDaS17_S18_EUlS17_E_NS1_11comp_targetILNS1_3genE3ELNS1_11target_archE908ELNS1_3gpuE7ELNS1_3repE0EEENS1_30default_config_static_selectorELNS0_4arch9wavefront6targetE1EEEvT1_
; %bb.0:
	.section	.rodata,"a",@progbits
	.p2align	6, 0x0
	.amdhsa_kernel _ZN7rocprim17ROCPRIM_400000_NS6detail17trampoline_kernelINS0_14default_configENS1_25partition_config_selectorILNS1_17partition_subalgoE3EN6thrust23THRUST_200600_302600_NS5tupleIssNS7_9null_typeES9_S9_S9_S9_S9_S9_S9_EENS0_10empty_typeEbEEZZNS1_14partition_implILS5_3ELb0ES3_jNS7_6detail15normal_iteratorINS7_7pointerISA_NS7_11hip_rocprim3tagENS7_11use_defaultESJ_EEEEPSB_SM_NS0_5tupleIJPSA_SM_EEENSN_IJSM_SM_EEESB_PlJ10is_orderedEEE10hipError_tPvRmT3_T4_T5_T6_T7_T9_mT8_P12ihipStream_tbDpT10_ENKUlT_T0_E_clISt17integral_constantIbLb1EES1C_EEDaS17_S18_EUlS17_E_NS1_11comp_targetILNS1_3genE3ELNS1_11target_archE908ELNS1_3gpuE7ELNS1_3repE0EEENS1_30default_config_static_selectorELNS0_4arch9wavefront6targetE1EEEvT1_
		.amdhsa_group_segment_fixed_size 0
		.amdhsa_private_segment_fixed_size 0
		.amdhsa_kernarg_size 136
		.amdhsa_user_sgpr_count 6
		.amdhsa_user_sgpr_private_segment_buffer 1
		.amdhsa_user_sgpr_dispatch_ptr 0
		.amdhsa_user_sgpr_queue_ptr 0
		.amdhsa_user_sgpr_kernarg_segment_ptr 1
		.amdhsa_user_sgpr_dispatch_id 0
		.amdhsa_user_sgpr_flat_scratch_init 0
		.amdhsa_user_sgpr_kernarg_preload_length 0
		.amdhsa_user_sgpr_kernarg_preload_offset 0
		.amdhsa_user_sgpr_private_segment_size 0
		.amdhsa_uses_dynamic_stack 0
		.amdhsa_system_sgpr_private_segment_wavefront_offset 0
		.amdhsa_system_sgpr_workgroup_id_x 1
		.amdhsa_system_sgpr_workgroup_id_y 0
		.amdhsa_system_sgpr_workgroup_id_z 0
		.amdhsa_system_sgpr_workgroup_info 0
		.amdhsa_system_vgpr_workitem_id 0
		.amdhsa_next_free_vgpr 1
		.amdhsa_next_free_sgpr 0
		.amdhsa_accum_offset 4
		.amdhsa_reserve_vcc 0
		.amdhsa_reserve_flat_scratch 0
		.amdhsa_float_round_mode_32 0
		.amdhsa_float_round_mode_16_64 0
		.amdhsa_float_denorm_mode_32 3
		.amdhsa_float_denorm_mode_16_64 3
		.amdhsa_dx10_clamp 1
		.amdhsa_ieee_mode 1
		.amdhsa_fp16_overflow 0
		.amdhsa_tg_split 0
		.amdhsa_exception_fp_ieee_invalid_op 0
		.amdhsa_exception_fp_denorm_src 0
		.amdhsa_exception_fp_ieee_div_zero 0
		.amdhsa_exception_fp_ieee_overflow 0
		.amdhsa_exception_fp_ieee_underflow 0
		.amdhsa_exception_fp_ieee_inexact 0
		.amdhsa_exception_int_div_zero 0
	.end_amdhsa_kernel
	.section	.text._ZN7rocprim17ROCPRIM_400000_NS6detail17trampoline_kernelINS0_14default_configENS1_25partition_config_selectorILNS1_17partition_subalgoE3EN6thrust23THRUST_200600_302600_NS5tupleIssNS7_9null_typeES9_S9_S9_S9_S9_S9_S9_EENS0_10empty_typeEbEEZZNS1_14partition_implILS5_3ELb0ES3_jNS7_6detail15normal_iteratorINS7_7pointerISA_NS7_11hip_rocprim3tagENS7_11use_defaultESJ_EEEEPSB_SM_NS0_5tupleIJPSA_SM_EEENSN_IJSM_SM_EEESB_PlJ10is_orderedEEE10hipError_tPvRmT3_T4_T5_T6_T7_T9_mT8_P12ihipStream_tbDpT10_ENKUlT_T0_E_clISt17integral_constantIbLb1EES1C_EEDaS17_S18_EUlS17_E_NS1_11comp_targetILNS1_3genE3ELNS1_11target_archE908ELNS1_3gpuE7ELNS1_3repE0EEENS1_30default_config_static_selectorELNS0_4arch9wavefront6targetE1EEEvT1_,"axG",@progbits,_ZN7rocprim17ROCPRIM_400000_NS6detail17trampoline_kernelINS0_14default_configENS1_25partition_config_selectorILNS1_17partition_subalgoE3EN6thrust23THRUST_200600_302600_NS5tupleIssNS7_9null_typeES9_S9_S9_S9_S9_S9_S9_EENS0_10empty_typeEbEEZZNS1_14partition_implILS5_3ELb0ES3_jNS7_6detail15normal_iteratorINS7_7pointerISA_NS7_11hip_rocprim3tagENS7_11use_defaultESJ_EEEEPSB_SM_NS0_5tupleIJPSA_SM_EEENSN_IJSM_SM_EEESB_PlJ10is_orderedEEE10hipError_tPvRmT3_T4_T5_T6_T7_T9_mT8_P12ihipStream_tbDpT10_ENKUlT_T0_E_clISt17integral_constantIbLb1EES1C_EEDaS17_S18_EUlS17_E_NS1_11comp_targetILNS1_3genE3ELNS1_11target_archE908ELNS1_3gpuE7ELNS1_3repE0EEENS1_30default_config_static_selectorELNS0_4arch9wavefront6targetE1EEEvT1_,comdat
.Lfunc_end3540:
	.size	_ZN7rocprim17ROCPRIM_400000_NS6detail17trampoline_kernelINS0_14default_configENS1_25partition_config_selectorILNS1_17partition_subalgoE3EN6thrust23THRUST_200600_302600_NS5tupleIssNS7_9null_typeES9_S9_S9_S9_S9_S9_S9_EENS0_10empty_typeEbEEZZNS1_14partition_implILS5_3ELb0ES3_jNS7_6detail15normal_iteratorINS7_7pointerISA_NS7_11hip_rocprim3tagENS7_11use_defaultESJ_EEEEPSB_SM_NS0_5tupleIJPSA_SM_EEENSN_IJSM_SM_EEESB_PlJ10is_orderedEEE10hipError_tPvRmT3_T4_T5_T6_T7_T9_mT8_P12ihipStream_tbDpT10_ENKUlT_T0_E_clISt17integral_constantIbLb1EES1C_EEDaS17_S18_EUlS17_E_NS1_11comp_targetILNS1_3genE3ELNS1_11target_archE908ELNS1_3gpuE7ELNS1_3repE0EEENS1_30default_config_static_selectorELNS0_4arch9wavefront6targetE1EEEvT1_, .Lfunc_end3540-_ZN7rocprim17ROCPRIM_400000_NS6detail17trampoline_kernelINS0_14default_configENS1_25partition_config_selectorILNS1_17partition_subalgoE3EN6thrust23THRUST_200600_302600_NS5tupleIssNS7_9null_typeES9_S9_S9_S9_S9_S9_S9_EENS0_10empty_typeEbEEZZNS1_14partition_implILS5_3ELb0ES3_jNS7_6detail15normal_iteratorINS7_7pointerISA_NS7_11hip_rocprim3tagENS7_11use_defaultESJ_EEEEPSB_SM_NS0_5tupleIJPSA_SM_EEENSN_IJSM_SM_EEESB_PlJ10is_orderedEEE10hipError_tPvRmT3_T4_T5_T6_T7_T9_mT8_P12ihipStream_tbDpT10_ENKUlT_T0_E_clISt17integral_constantIbLb1EES1C_EEDaS17_S18_EUlS17_E_NS1_11comp_targetILNS1_3genE3ELNS1_11target_archE908ELNS1_3gpuE7ELNS1_3repE0EEENS1_30default_config_static_selectorELNS0_4arch9wavefront6targetE1EEEvT1_
                                        ; -- End function
	.section	.AMDGPU.csdata,"",@progbits
; Kernel info:
; codeLenInByte = 0
; NumSgprs: 4
; NumVgprs: 0
; NumAgprs: 0
; TotalNumVgprs: 0
; ScratchSize: 0
; MemoryBound: 0
; FloatMode: 240
; IeeeMode: 1
; LDSByteSize: 0 bytes/workgroup (compile time only)
; SGPRBlocks: 0
; VGPRBlocks: 0
; NumSGPRsForWavesPerEU: 4
; NumVGPRsForWavesPerEU: 1
; AccumOffset: 4
; Occupancy: 8
; WaveLimiterHint : 0
; COMPUTE_PGM_RSRC2:SCRATCH_EN: 0
; COMPUTE_PGM_RSRC2:USER_SGPR: 6
; COMPUTE_PGM_RSRC2:TRAP_HANDLER: 0
; COMPUTE_PGM_RSRC2:TGID_X_EN: 1
; COMPUTE_PGM_RSRC2:TGID_Y_EN: 0
; COMPUTE_PGM_RSRC2:TGID_Z_EN: 0
; COMPUTE_PGM_RSRC2:TIDIG_COMP_CNT: 0
; COMPUTE_PGM_RSRC3_GFX90A:ACCUM_OFFSET: 0
; COMPUTE_PGM_RSRC3_GFX90A:TG_SPLIT: 0
	.section	.text._ZN7rocprim17ROCPRIM_400000_NS6detail17trampoline_kernelINS0_14default_configENS1_25partition_config_selectorILNS1_17partition_subalgoE3EN6thrust23THRUST_200600_302600_NS5tupleIssNS7_9null_typeES9_S9_S9_S9_S9_S9_S9_EENS0_10empty_typeEbEEZZNS1_14partition_implILS5_3ELb0ES3_jNS7_6detail15normal_iteratorINS7_7pointerISA_NS7_11hip_rocprim3tagENS7_11use_defaultESJ_EEEEPSB_SM_NS0_5tupleIJPSA_SM_EEENSN_IJSM_SM_EEESB_PlJ10is_orderedEEE10hipError_tPvRmT3_T4_T5_T6_T7_T9_mT8_P12ihipStream_tbDpT10_ENKUlT_T0_E_clISt17integral_constantIbLb1EES1C_EEDaS17_S18_EUlS17_E_NS1_11comp_targetILNS1_3genE2ELNS1_11target_archE906ELNS1_3gpuE6ELNS1_3repE0EEENS1_30default_config_static_selectorELNS0_4arch9wavefront6targetE1EEEvT1_,"axG",@progbits,_ZN7rocprim17ROCPRIM_400000_NS6detail17trampoline_kernelINS0_14default_configENS1_25partition_config_selectorILNS1_17partition_subalgoE3EN6thrust23THRUST_200600_302600_NS5tupleIssNS7_9null_typeES9_S9_S9_S9_S9_S9_S9_EENS0_10empty_typeEbEEZZNS1_14partition_implILS5_3ELb0ES3_jNS7_6detail15normal_iteratorINS7_7pointerISA_NS7_11hip_rocprim3tagENS7_11use_defaultESJ_EEEEPSB_SM_NS0_5tupleIJPSA_SM_EEENSN_IJSM_SM_EEESB_PlJ10is_orderedEEE10hipError_tPvRmT3_T4_T5_T6_T7_T9_mT8_P12ihipStream_tbDpT10_ENKUlT_T0_E_clISt17integral_constantIbLb1EES1C_EEDaS17_S18_EUlS17_E_NS1_11comp_targetILNS1_3genE2ELNS1_11target_archE906ELNS1_3gpuE6ELNS1_3repE0EEENS1_30default_config_static_selectorELNS0_4arch9wavefront6targetE1EEEvT1_,comdat
	.protected	_ZN7rocprim17ROCPRIM_400000_NS6detail17trampoline_kernelINS0_14default_configENS1_25partition_config_selectorILNS1_17partition_subalgoE3EN6thrust23THRUST_200600_302600_NS5tupleIssNS7_9null_typeES9_S9_S9_S9_S9_S9_S9_EENS0_10empty_typeEbEEZZNS1_14partition_implILS5_3ELb0ES3_jNS7_6detail15normal_iteratorINS7_7pointerISA_NS7_11hip_rocprim3tagENS7_11use_defaultESJ_EEEEPSB_SM_NS0_5tupleIJPSA_SM_EEENSN_IJSM_SM_EEESB_PlJ10is_orderedEEE10hipError_tPvRmT3_T4_T5_T6_T7_T9_mT8_P12ihipStream_tbDpT10_ENKUlT_T0_E_clISt17integral_constantIbLb1EES1C_EEDaS17_S18_EUlS17_E_NS1_11comp_targetILNS1_3genE2ELNS1_11target_archE906ELNS1_3gpuE6ELNS1_3repE0EEENS1_30default_config_static_selectorELNS0_4arch9wavefront6targetE1EEEvT1_ ; -- Begin function _ZN7rocprim17ROCPRIM_400000_NS6detail17trampoline_kernelINS0_14default_configENS1_25partition_config_selectorILNS1_17partition_subalgoE3EN6thrust23THRUST_200600_302600_NS5tupleIssNS7_9null_typeES9_S9_S9_S9_S9_S9_S9_EENS0_10empty_typeEbEEZZNS1_14partition_implILS5_3ELb0ES3_jNS7_6detail15normal_iteratorINS7_7pointerISA_NS7_11hip_rocprim3tagENS7_11use_defaultESJ_EEEEPSB_SM_NS0_5tupleIJPSA_SM_EEENSN_IJSM_SM_EEESB_PlJ10is_orderedEEE10hipError_tPvRmT3_T4_T5_T6_T7_T9_mT8_P12ihipStream_tbDpT10_ENKUlT_T0_E_clISt17integral_constantIbLb1EES1C_EEDaS17_S18_EUlS17_E_NS1_11comp_targetILNS1_3genE2ELNS1_11target_archE906ELNS1_3gpuE6ELNS1_3repE0EEENS1_30default_config_static_selectorELNS0_4arch9wavefront6targetE1EEEvT1_
	.globl	_ZN7rocprim17ROCPRIM_400000_NS6detail17trampoline_kernelINS0_14default_configENS1_25partition_config_selectorILNS1_17partition_subalgoE3EN6thrust23THRUST_200600_302600_NS5tupleIssNS7_9null_typeES9_S9_S9_S9_S9_S9_S9_EENS0_10empty_typeEbEEZZNS1_14partition_implILS5_3ELb0ES3_jNS7_6detail15normal_iteratorINS7_7pointerISA_NS7_11hip_rocprim3tagENS7_11use_defaultESJ_EEEEPSB_SM_NS0_5tupleIJPSA_SM_EEENSN_IJSM_SM_EEESB_PlJ10is_orderedEEE10hipError_tPvRmT3_T4_T5_T6_T7_T9_mT8_P12ihipStream_tbDpT10_ENKUlT_T0_E_clISt17integral_constantIbLb1EES1C_EEDaS17_S18_EUlS17_E_NS1_11comp_targetILNS1_3genE2ELNS1_11target_archE906ELNS1_3gpuE6ELNS1_3repE0EEENS1_30default_config_static_selectorELNS0_4arch9wavefront6targetE1EEEvT1_
	.p2align	8
	.type	_ZN7rocprim17ROCPRIM_400000_NS6detail17trampoline_kernelINS0_14default_configENS1_25partition_config_selectorILNS1_17partition_subalgoE3EN6thrust23THRUST_200600_302600_NS5tupleIssNS7_9null_typeES9_S9_S9_S9_S9_S9_S9_EENS0_10empty_typeEbEEZZNS1_14partition_implILS5_3ELb0ES3_jNS7_6detail15normal_iteratorINS7_7pointerISA_NS7_11hip_rocprim3tagENS7_11use_defaultESJ_EEEEPSB_SM_NS0_5tupleIJPSA_SM_EEENSN_IJSM_SM_EEESB_PlJ10is_orderedEEE10hipError_tPvRmT3_T4_T5_T6_T7_T9_mT8_P12ihipStream_tbDpT10_ENKUlT_T0_E_clISt17integral_constantIbLb1EES1C_EEDaS17_S18_EUlS17_E_NS1_11comp_targetILNS1_3genE2ELNS1_11target_archE906ELNS1_3gpuE6ELNS1_3repE0EEENS1_30default_config_static_selectorELNS0_4arch9wavefront6targetE1EEEvT1_,@function
_ZN7rocprim17ROCPRIM_400000_NS6detail17trampoline_kernelINS0_14default_configENS1_25partition_config_selectorILNS1_17partition_subalgoE3EN6thrust23THRUST_200600_302600_NS5tupleIssNS7_9null_typeES9_S9_S9_S9_S9_S9_S9_EENS0_10empty_typeEbEEZZNS1_14partition_implILS5_3ELb0ES3_jNS7_6detail15normal_iteratorINS7_7pointerISA_NS7_11hip_rocprim3tagENS7_11use_defaultESJ_EEEEPSB_SM_NS0_5tupleIJPSA_SM_EEENSN_IJSM_SM_EEESB_PlJ10is_orderedEEE10hipError_tPvRmT3_T4_T5_T6_T7_T9_mT8_P12ihipStream_tbDpT10_ENKUlT_T0_E_clISt17integral_constantIbLb1EES1C_EEDaS17_S18_EUlS17_E_NS1_11comp_targetILNS1_3genE2ELNS1_11target_archE906ELNS1_3gpuE6ELNS1_3repE0EEENS1_30default_config_static_selectorELNS0_4arch9wavefront6targetE1EEEvT1_: ; @_ZN7rocprim17ROCPRIM_400000_NS6detail17trampoline_kernelINS0_14default_configENS1_25partition_config_selectorILNS1_17partition_subalgoE3EN6thrust23THRUST_200600_302600_NS5tupleIssNS7_9null_typeES9_S9_S9_S9_S9_S9_S9_EENS0_10empty_typeEbEEZZNS1_14partition_implILS5_3ELb0ES3_jNS7_6detail15normal_iteratorINS7_7pointerISA_NS7_11hip_rocprim3tagENS7_11use_defaultESJ_EEEEPSB_SM_NS0_5tupleIJPSA_SM_EEENSN_IJSM_SM_EEESB_PlJ10is_orderedEEE10hipError_tPvRmT3_T4_T5_T6_T7_T9_mT8_P12ihipStream_tbDpT10_ENKUlT_T0_E_clISt17integral_constantIbLb1EES1C_EEDaS17_S18_EUlS17_E_NS1_11comp_targetILNS1_3genE2ELNS1_11target_archE906ELNS1_3gpuE6ELNS1_3repE0EEENS1_30default_config_static_selectorELNS0_4arch9wavefront6targetE1EEEvT1_
; %bb.0:
	.section	.rodata,"a",@progbits
	.p2align	6, 0x0
	.amdhsa_kernel _ZN7rocprim17ROCPRIM_400000_NS6detail17trampoline_kernelINS0_14default_configENS1_25partition_config_selectorILNS1_17partition_subalgoE3EN6thrust23THRUST_200600_302600_NS5tupleIssNS7_9null_typeES9_S9_S9_S9_S9_S9_S9_EENS0_10empty_typeEbEEZZNS1_14partition_implILS5_3ELb0ES3_jNS7_6detail15normal_iteratorINS7_7pointerISA_NS7_11hip_rocprim3tagENS7_11use_defaultESJ_EEEEPSB_SM_NS0_5tupleIJPSA_SM_EEENSN_IJSM_SM_EEESB_PlJ10is_orderedEEE10hipError_tPvRmT3_T4_T5_T6_T7_T9_mT8_P12ihipStream_tbDpT10_ENKUlT_T0_E_clISt17integral_constantIbLb1EES1C_EEDaS17_S18_EUlS17_E_NS1_11comp_targetILNS1_3genE2ELNS1_11target_archE906ELNS1_3gpuE6ELNS1_3repE0EEENS1_30default_config_static_selectorELNS0_4arch9wavefront6targetE1EEEvT1_
		.amdhsa_group_segment_fixed_size 0
		.amdhsa_private_segment_fixed_size 0
		.amdhsa_kernarg_size 136
		.amdhsa_user_sgpr_count 6
		.amdhsa_user_sgpr_private_segment_buffer 1
		.amdhsa_user_sgpr_dispatch_ptr 0
		.amdhsa_user_sgpr_queue_ptr 0
		.amdhsa_user_sgpr_kernarg_segment_ptr 1
		.amdhsa_user_sgpr_dispatch_id 0
		.amdhsa_user_sgpr_flat_scratch_init 0
		.amdhsa_user_sgpr_kernarg_preload_length 0
		.amdhsa_user_sgpr_kernarg_preload_offset 0
		.amdhsa_user_sgpr_private_segment_size 0
		.amdhsa_uses_dynamic_stack 0
		.amdhsa_system_sgpr_private_segment_wavefront_offset 0
		.amdhsa_system_sgpr_workgroup_id_x 1
		.amdhsa_system_sgpr_workgroup_id_y 0
		.amdhsa_system_sgpr_workgroup_id_z 0
		.amdhsa_system_sgpr_workgroup_info 0
		.amdhsa_system_vgpr_workitem_id 0
		.amdhsa_next_free_vgpr 1
		.amdhsa_next_free_sgpr 0
		.amdhsa_accum_offset 4
		.amdhsa_reserve_vcc 0
		.amdhsa_reserve_flat_scratch 0
		.amdhsa_float_round_mode_32 0
		.amdhsa_float_round_mode_16_64 0
		.amdhsa_float_denorm_mode_32 3
		.amdhsa_float_denorm_mode_16_64 3
		.amdhsa_dx10_clamp 1
		.amdhsa_ieee_mode 1
		.amdhsa_fp16_overflow 0
		.amdhsa_tg_split 0
		.amdhsa_exception_fp_ieee_invalid_op 0
		.amdhsa_exception_fp_denorm_src 0
		.amdhsa_exception_fp_ieee_div_zero 0
		.amdhsa_exception_fp_ieee_overflow 0
		.amdhsa_exception_fp_ieee_underflow 0
		.amdhsa_exception_fp_ieee_inexact 0
		.amdhsa_exception_int_div_zero 0
	.end_amdhsa_kernel
	.section	.text._ZN7rocprim17ROCPRIM_400000_NS6detail17trampoline_kernelINS0_14default_configENS1_25partition_config_selectorILNS1_17partition_subalgoE3EN6thrust23THRUST_200600_302600_NS5tupleIssNS7_9null_typeES9_S9_S9_S9_S9_S9_S9_EENS0_10empty_typeEbEEZZNS1_14partition_implILS5_3ELb0ES3_jNS7_6detail15normal_iteratorINS7_7pointerISA_NS7_11hip_rocprim3tagENS7_11use_defaultESJ_EEEEPSB_SM_NS0_5tupleIJPSA_SM_EEENSN_IJSM_SM_EEESB_PlJ10is_orderedEEE10hipError_tPvRmT3_T4_T5_T6_T7_T9_mT8_P12ihipStream_tbDpT10_ENKUlT_T0_E_clISt17integral_constantIbLb1EES1C_EEDaS17_S18_EUlS17_E_NS1_11comp_targetILNS1_3genE2ELNS1_11target_archE906ELNS1_3gpuE6ELNS1_3repE0EEENS1_30default_config_static_selectorELNS0_4arch9wavefront6targetE1EEEvT1_,"axG",@progbits,_ZN7rocprim17ROCPRIM_400000_NS6detail17trampoline_kernelINS0_14default_configENS1_25partition_config_selectorILNS1_17partition_subalgoE3EN6thrust23THRUST_200600_302600_NS5tupleIssNS7_9null_typeES9_S9_S9_S9_S9_S9_S9_EENS0_10empty_typeEbEEZZNS1_14partition_implILS5_3ELb0ES3_jNS7_6detail15normal_iteratorINS7_7pointerISA_NS7_11hip_rocprim3tagENS7_11use_defaultESJ_EEEEPSB_SM_NS0_5tupleIJPSA_SM_EEENSN_IJSM_SM_EEESB_PlJ10is_orderedEEE10hipError_tPvRmT3_T4_T5_T6_T7_T9_mT8_P12ihipStream_tbDpT10_ENKUlT_T0_E_clISt17integral_constantIbLb1EES1C_EEDaS17_S18_EUlS17_E_NS1_11comp_targetILNS1_3genE2ELNS1_11target_archE906ELNS1_3gpuE6ELNS1_3repE0EEENS1_30default_config_static_selectorELNS0_4arch9wavefront6targetE1EEEvT1_,comdat
.Lfunc_end3541:
	.size	_ZN7rocprim17ROCPRIM_400000_NS6detail17trampoline_kernelINS0_14default_configENS1_25partition_config_selectorILNS1_17partition_subalgoE3EN6thrust23THRUST_200600_302600_NS5tupleIssNS7_9null_typeES9_S9_S9_S9_S9_S9_S9_EENS0_10empty_typeEbEEZZNS1_14partition_implILS5_3ELb0ES3_jNS7_6detail15normal_iteratorINS7_7pointerISA_NS7_11hip_rocprim3tagENS7_11use_defaultESJ_EEEEPSB_SM_NS0_5tupleIJPSA_SM_EEENSN_IJSM_SM_EEESB_PlJ10is_orderedEEE10hipError_tPvRmT3_T4_T5_T6_T7_T9_mT8_P12ihipStream_tbDpT10_ENKUlT_T0_E_clISt17integral_constantIbLb1EES1C_EEDaS17_S18_EUlS17_E_NS1_11comp_targetILNS1_3genE2ELNS1_11target_archE906ELNS1_3gpuE6ELNS1_3repE0EEENS1_30default_config_static_selectorELNS0_4arch9wavefront6targetE1EEEvT1_, .Lfunc_end3541-_ZN7rocprim17ROCPRIM_400000_NS6detail17trampoline_kernelINS0_14default_configENS1_25partition_config_selectorILNS1_17partition_subalgoE3EN6thrust23THRUST_200600_302600_NS5tupleIssNS7_9null_typeES9_S9_S9_S9_S9_S9_S9_EENS0_10empty_typeEbEEZZNS1_14partition_implILS5_3ELb0ES3_jNS7_6detail15normal_iteratorINS7_7pointerISA_NS7_11hip_rocprim3tagENS7_11use_defaultESJ_EEEEPSB_SM_NS0_5tupleIJPSA_SM_EEENSN_IJSM_SM_EEESB_PlJ10is_orderedEEE10hipError_tPvRmT3_T4_T5_T6_T7_T9_mT8_P12ihipStream_tbDpT10_ENKUlT_T0_E_clISt17integral_constantIbLb1EES1C_EEDaS17_S18_EUlS17_E_NS1_11comp_targetILNS1_3genE2ELNS1_11target_archE906ELNS1_3gpuE6ELNS1_3repE0EEENS1_30default_config_static_selectorELNS0_4arch9wavefront6targetE1EEEvT1_
                                        ; -- End function
	.section	.AMDGPU.csdata,"",@progbits
; Kernel info:
; codeLenInByte = 0
; NumSgprs: 4
; NumVgprs: 0
; NumAgprs: 0
; TotalNumVgprs: 0
; ScratchSize: 0
; MemoryBound: 0
; FloatMode: 240
; IeeeMode: 1
; LDSByteSize: 0 bytes/workgroup (compile time only)
; SGPRBlocks: 0
; VGPRBlocks: 0
; NumSGPRsForWavesPerEU: 4
; NumVGPRsForWavesPerEU: 1
; AccumOffset: 4
; Occupancy: 8
; WaveLimiterHint : 0
; COMPUTE_PGM_RSRC2:SCRATCH_EN: 0
; COMPUTE_PGM_RSRC2:USER_SGPR: 6
; COMPUTE_PGM_RSRC2:TRAP_HANDLER: 0
; COMPUTE_PGM_RSRC2:TGID_X_EN: 1
; COMPUTE_PGM_RSRC2:TGID_Y_EN: 0
; COMPUTE_PGM_RSRC2:TGID_Z_EN: 0
; COMPUTE_PGM_RSRC2:TIDIG_COMP_CNT: 0
; COMPUTE_PGM_RSRC3_GFX90A:ACCUM_OFFSET: 0
; COMPUTE_PGM_RSRC3_GFX90A:TG_SPLIT: 0
	.section	.text._ZN7rocprim17ROCPRIM_400000_NS6detail17trampoline_kernelINS0_14default_configENS1_25partition_config_selectorILNS1_17partition_subalgoE3EN6thrust23THRUST_200600_302600_NS5tupleIssNS7_9null_typeES9_S9_S9_S9_S9_S9_S9_EENS0_10empty_typeEbEEZZNS1_14partition_implILS5_3ELb0ES3_jNS7_6detail15normal_iteratorINS7_7pointerISA_NS7_11hip_rocprim3tagENS7_11use_defaultESJ_EEEEPSB_SM_NS0_5tupleIJPSA_SM_EEENSN_IJSM_SM_EEESB_PlJ10is_orderedEEE10hipError_tPvRmT3_T4_T5_T6_T7_T9_mT8_P12ihipStream_tbDpT10_ENKUlT_T0_E_clISt17integral_constantIbLb1EES1C_EEDaS17_S18_EUlS17_E_NS1_11comp_targetILNS1_3genE10ELNS1_11target_archE1200ELNS1_3gpuE4ELNS1_3repE0EEENS1_30default_config_static_selectorELNS0_4arch9wavefront6targetE1EEEvT1_,"axG",@progbits,_ZN7rocprim17ROCPRIM_400000_NS6detail17trampoline_kernelINS0_14default_configENS1_25partition_config_selectorILNS1_17partition_subalgoE3EN6thrust23THRUST_200600_302600_NS5tupleIssNS7_9null_typeES9_S9_S9_S9_S9_S9_S9_EENS0_10empty_typeEbEEZZNS1_14partition_implILS5_3ELb0ES3_jNS7_6detail15normal_iteratorINS7_7pointerISA_NS7_11hip_rocprim3tagENS7_11use_defaultESJ_EEEEPSB_SM_NS0_5tupleIJPSA_SM_EEENSN_IJSM_SM_EEESB_PlJ10is_orderedEEE10hipError_tPvRmT3_T4_T5_T6_T7_T9_mT8_P12ihipStream_tbDpT10_ENKUlT_T0_E_clISt17integral_constantIbLb1EES1C_EEDaS17_S18_EUlS17_E_NS1_11comp_targetILNS1_3genE10ELNS1_11target_archE1200ELNS1_3gpuE4ELNS1_3repE0EEENS1_30default_config_static_selectorELNS0_4arch9wavefront6targetE1EEEvT1_,comdat
	.protected	_ZN7rocprim17ROCPRIM_400000_NS6detail17trampoline_kernelINS0_14default_configENS1_25partition_config_selectorILNS1_17partition_subalgoE3EN6thrust23THRUST_200600_302600_NS5tupleIssNS7_9null_typeES9_S9_S9_S9_S9_S9_S9_EENS0_10empty_typeEbEEZZNS1_14partition_implILS5_3ELb0ES3_jNS7_6detail15normal_iteratorINS7_7pointerISA_NS7_11hip_rocprim3tagENS7_11use_defaultESJ_EEEEPSB_SM_NS0_5tupleIJPSA_SM_EEENSN_IJSM_SM_EEESB_PlJ10is_orderedEEE10hipError_tPvRmT3_T4_T5_T6_T7_T9_mT8_P12ihipStream_tbDpT10_ENKUlT_T0_E_clISt17integral_constantIbLb1EES1C_EEDaS17_S18_EUlS17_E_NS1_11comp_targetILNS1_3genE10ELNS1_11target_archE1200ELNS1_3gpuE4ELNS1_3repE0EEENS1_30default_config_static_selectorELNS0_4arch9wavefront6targetE1EEEvT1_ ; -- Begin function _ZN7rocprim17ROCPRIM_400000_NS6detail17trampoline_kernelINS0_14default_configENS1_25partition_config_selectorILNS1_17partition_subalgoE3EN6thrust23THRUST_200600_302600_NS5tupleIssNS7_9null_typeES9_S9_S9_S9_S9_S9_S9_EENS0_10empty_typeEbEEZZNS1_14partition_implILS5_3ELb0ES3_jNS7_6detail15normal_iteratorINS7_7pointerISA_NS7_11hip_rocprim3tagENS7_11use_defaultESJ_EEEEPSB_SM_NS0_5tupleIJPSA_SM_EEENSN_IJSM_SM_EEESB_PlJ10is_orderedEEE10hipError_tPvRmT3_T4_T5_T6_T7_T9_mT8_P12ihipStream_tbDpT10_ENKUlT_T0_E_clISt17integral_constantIbLb1EES1C_EEDaS17_S18_EUlS17_E_NS1_11comp_targetILNS1_3genE10ELNS1_11target_archE1200ELNS1_3gpuE4ELNS1_3repE0EEENS1_30default_config_static_selectorELNS0_4arch9wavefront6targetE1EEEvT1_
	.globl	_ZN7rocprim17ROCPRIM_400000_NS6detail17trampoline_kernelINS0_14default_configENS1_25partition_config_selectorILNS1_17partition_subalgoE3EN6thrust23THRUST_200600_302600_NS5tupleIssNS7_9null_typeES9_S9_S9_S9_S9_S9_S9_EENS0_10empty_typeEbEEZZNS1_14partition_implILS5_3ELb0ES3_jNS7_6detail15normal_iteratorINS7_7pointerISA_NS7_11hip_rocprim3tagENS7_11use_defaultESJ_EEEEPSB_SM_NS0_5tupleIJPSA_SM_EEENSN_IJSM_SM_EEESB_PlJ10is_orderedEEE10hipError_tPvRmT3_T4_T5_T6_T7_T9_mT8_P12ihipStream_tbDpT10_ENKUlT_T0_E_clISt17integral_constantIbLb1EES1C_EEDaS17_S18_EUlS17_E_NS1_11comp_targetILNS1_3genE10ELNS1_11target_archE1200ELNS1_3gpuE4ELNS1_3repE0EEENS1_30default_config_static_selectorELNS0_4arch9wavefront6targetE1EEEvT1_
	.p2align	8
	.type	_ZN7rocprim17ROCPRIM_400000_NS6detail17trampoline_kernelINS0_14default_configENS1_25partition_config_selectorILNS1_17partition_subalgoE3EN6thrust23THRUST_200600_302600_NS5tupleIssNS7_9null_typeES9_S9_S9_S9_S9_S9_S9_EENS0_10empty_typeEbEEZZNS1_14partition_implILS5_3ELb0ES3_jNS7_6detail15normal_iteratorINS7_7pointerISA_NS7_11hip_rocprim3tagENS7_11use_defaultESJ_EEEEPSB_SM_NS0_5tupleIJPSA_SM_EEENSN_IJSM_SM_EEESB_PlJ10is_orderedEEE10hipError_tPvRmT3_T4_T5_T6_T7_T9_mT8_P12ihipStream_tbDpT10_ENKUlT_T0_E_clISt17integral_constantIbLb1EES1C_EEDaS17_S18_EUlS17_E_NS1_11comp_targetILNS1_3genE10ELNS1_11target_archE1200ELNS1_3gpuE4ELNS1_3repE0EEENS1_30default_config_static_selectorELNS0_4arch9wavefront6targetE1EEEvT1_,@function
_ZN7rocprim17ROCPRIM_400000_NS6detail17trampoline_kernelINS0_14default_configENS1_25partition_config_selectorILNS1_17partition_subalgoE3EN6thrust23THRUST_200600_302600_NS5tupleIssNS7_9null_typeES9_S9_S9_S9_S9_S9_S9_EENS0_10empty_typeEbEEZZNS1_14partition_implILS5_3ELb0ES3_jNS7_6detail15normal_iteratorINS7_7pointerISA_NS7_11hip_rocprim3tagENS7_11use_defaultESJ_EEEEPSB_SM_NS0_5tupleIJPSA_SM_EEENSN_IJSM_SM_EEESB_PlJ10is_orderedEEE10hipError_tPvRmT3_T4_T5_T6_T7_T9_mT8_P12ihipStream_tbDpT10_ENKUlT_T0_E_clISt17integral_constantIbLb1EES1C_EEDaS17_S18_EUlS17_E_NS1_11comp_targetILNS1_3genE10ELNS1_11target_archE1200ELNS1_3gpuE4ELNS1_3repE0EEENS1_30default_config_static_selectorELNS0_4arch9wavefront6targetE1EEEvT1_: ; @_ZN7rocprim17ROCPRIM_400000_NS6detail17trampoline_kernelINS0_14default_configENS1_25partition_config_selectorILNS1_17partition_subalgoE3EN6thrust23THRUST_200600_302600_NS5tupleIssNS7_9null_typeES9_S9_S9_S9_S9_S9_S9_EENS0_10empty_typeEbEEZZNS1_14partition_implILS5_3ELb0ES3_jNS7_6detail15normal_iteratorINS7_7pointerISA_NS7_11hip_rocprim3tagENS7_11use_defaultESJ_EEEEPSB_SM_NS0_5tupleIJPSA_SM_EEENSN_IJSM_SM_EEESB_PlJ10is_orderedEEE10hipError_tPvRmT3_T4_T5_T6_T7_T9_mT8_P12ihipStream_tbDpT10_ENKUlT_T0_E_clISt17integral_constantIbLb1EES1C_EEDaS17_S18_EUlS17_E_NS1_11comp_targetILNS1_3genE10ELNS1_11target_archE1200ELNS1_3gpuE4ELNS1_3repE0EEENS1_30default_config_static_selectorELNS0_4arch9wavefront6targetE1EEEvT1_
; %bb.0:
	.section	.rodata,"a",@progbits
	.p2align	6, 0x0
	.amdhsa_kernel _ZN7rocprim17ROCPRIM_400000_NS6detail17trampoline_kernelINS0_14default_configENS1_25partition_config_selectorILNS1_17partition_subalgoE3EN6thrust23THRUST_200600_302600_NS5tupleIssNS7_9null_typeES9_S9_S9_S9_S9_S9_S9_EENS0_10empty_typeEbEEZZNS1_14partition_implILS5_3ELb0ES3_jNS7_6detail15normal_iteratorINS7_7pointerISA_NS7_11hip_rocprim3tagENS7_11use_defaultESJ_EEEEPSB_SM_NS0_5tupleIJPSA_SM_EEENSN_IJSM_SM_EEESB_PlJ10is_orderedEEE10hipError_tPvRmT3_T4_T5_T6_T7_T9_mT8_P12ihipStream_tbDpT10_ENKUlT_T0_E_clISt17integral_constantIbLb1EES1C_EEDaS17_S18_EUlS17_E_NS1_11comp_targetILNS1_3genE10ELNS1_11target_archE1200ELNS1_3gpuE4ELNS1_3repE0EEENS1_30default_config_static_selectorELNS0_4arch9wavefront6targetE1EEEvT1_
		.amdhsa_group_segment_fixed_size 0
		.amdhsa_private_segment_fixed_size 0
		.amdhsa_kernarg_size 136
		.amdhsa_user_sgpr_count 6
		.amdhsa_user_sgpr_private_segment_buffer 1
		.amdhsa_user_sgpr_dispatch_ptr 0
		.amdhsa_user_sgpr_queue_ptr 0
		.amdhsa_user_sgpr_kernarg_segment_ptr 1
		.amdhsa_user_sgpr_dispatch_id 0
		.amdhsa_user_sgpr_flat_scratch_init 0
		.amdhsa_user_sgpr_kernarg_preload_length 0
		.amdhsa_user_sgpr_kernarg_preload_offset 0
		.amdhsa_user_sgpr_private_segment_size 0
		.amdhsa_uses_dynamic_stack 0
		.amdhsa_system_sgpr_private_segment_wavefront_offset 0
		.amdhsa_system_sgpr_workgroup_id_x 1
		.amdhsa_system_sgpr_workgroup_id_y 0
		.amdhsa_system_sgpr_workgroup_id_z 0
		.amdhsa_system_sgpr_workgroup_info 0
		.amdhsa_system_vgpr_workitem_id 0
		.amdhsa_next_free_vgpr 1
		.amdhsa_next_free_sgpr 0
		.amdhsa_accum_offset 4
		.amdhsa_reserve_vcc 0
		.amdhsa_reserve_flat_scratch 0
		.amdhsa_float_round_mode_32 0
		.amdhsa_float_round_mode_16_64 0
		.amdhsa_float_denorm_mode_32 3
		.amdhsa_float_denorm_mode_16_64 3
		.amdhsa_dx10_clamp 1
		.amdhsa_ieee_mode 1
		.amdhsa_fp16_overflow 0
		.amdhsa_tg_split 0
		.amdhsa_exception_fp_ieee_invalid_op 0
		.amdhsa_exception_fp_denorm_src 0
		.amdhsa_exception_fp_ieee_div_zero 0
		.amdhsa_exception_fp_ieee_overflow 0
		.amdhsa_exception_fp_ieee_underflow 0
		.amdhsa_exception_fp_ieee_inexact 0
		.amdhsa_exception_int_div_zero 0
	.end_amdhsa_kernel
	.section	.text._ZN7rocprim17ROCPRIM_400000_NS6detail17trampoline_kernelINS0_14default_configENS1_25partition_config_selectorILNS1_17partition_subalgoE3EN6thrust23THRUST_200600_302600_NS5tupleIssNS7_9null_typeES9_S9_S9_S9_S9_S9_S9_EENS0_10empty_typeEbEEZZNS1_14partition_implILS5_3ELb0ES3_jNS7_6detail15normal_iteratorINS7_7pointerISA_NS7_11hip_rocprim3tagENS7_11use_defaultESJ_EEEEPSB_SM_NS0_5tupleIJPSA_SM_EEENSN_IJSM_SM_EEESB_PlJ10is_orderedEEE10hipError_tPvRmT3_T4_T5_T6_T7_T9_mT8_P12ihipStream_tbDpT10_ENKUlT_T0_E_clISt17integral_constantIbLb1EES1C_EEDaS17_S18_EUlS17_E_NS1_11comp_targetILNS1_3genE10ELNS1_11target_archE1200ELNS1_3gpuE4ELNS1_3repE0EEENS1_30default_config_static_selectorELNS0_4arch9wavefront6targetE1EEEvT1_,"axG",@progbits,_ZN7rocprim17ROCPRIM_400000_NS6detail17trampoline_kernelINS0_14default_configENS1_25partition_config_selectorILNS1_17partition_subalgoE3EN6thrust23THRUST_200600_302600_NS5tupleIssNS7_9null_typeES9_S9_S9_S9_S9_S9_S9_EENS0_10empty_typeEbEEZZNS1_14partition_implILS5_3ELb0ES3_jNS7_6detail15normal_iteratorINS7_7pointerISA_NS7_11hip_rocprim3tagENS7_11use_defaultESJ_EEEEPSB_SM_NS0_5tupleIJPSA_SM_EEENSN_IJSM_SM_EEESB_PlJ10is_orderedEEE10hipError_tPvRmT3_T4_T5_T6_T7_T9_mT8_P12ihipStream_tbDpT10_ENKUlT_T0_E_clISt17integral_constantIbLb1EES1C_EEDaS17_S18_EUlS17_E_NS1_11comp_targetILNS1_3genE10ELNS1_11target_archE1200ELNS1_3gpuE4ELNS1_3repE0EEENS1_30default_config_static_selectorELNS0_4arch9wavefront6targetE1EEEvT1_,comdat
.Lfunc_end3542:
	.size	_ZN7rocprim17ROCPRIM_400000_NS6detail17trampoline_kernelINS0_14default_configENS1_25partition_config_selectorILNS1_17partition_subalgoE3EN6thrust23THRUST_200600_302600_NS5tupleIssNS7_9null_typeES9_S9_S9_S9_S9_S9_S9_EENS0_10empty_typeEbEEZZNS1_14partition_implILS5_3ELb0ES3_jNS7_6detail15normal_iteratorINS7_7pointerISA_NS7_11hip_rocprim3tagENS7_11use_defaultESJ_EEEEPSB_SM_NS0_5tupleIJPSA_SM_EEENSN_IJSM_SM_EEESB_PlJ10is_orderedEEE10hipError_tPvRmT3_T4_T5_T6_T7_T9_mT8_P12ihipStream_tbDpT10_ENKUlT_T0_E_clISt17integral_constantIbLb1EES1C_EEDaS17_S18_EUlS17_E_NS1_11comp_targetILNS1_3genE10ELNS1_11target_archE1200ELNS1_3gpuE4ELNS1_3repE0EEENS1_30default_config_static_selectorELNS0_4arch9wavefront6targetE1EEEvT1_, .Lfunc_end3542-_ZN7rocprim17ROCPRIM_400000_NS6detail17trampoline_kernelINS0_14default_configENS1_25partition_config_selectorILNS1_17partition_subalgoE3EN6thrust23THRUST_200600_302600_NS5tupleIssNS7_9null_typeES9_S9_S9_S9_S9_S9_S9_EENS0_10empty_typeEbEEZZNS1_14partition_implILS5_3ELb0ES3_jNS7_6detail15normal_iteratorINS7_7pointerISA_NS7_11hip_rocprim3tagENS7_11use_defaultESJ_EEEEPSB_SM_NS0_5tupleIJPSA_SM_EEENSN_IJSM_SM_EEESB_PlJ10is_orderedEEE10hipError_tPvRmT3_T4_T5_T6_T7_T9_mT8_P12ihipStream_tbDpT10_ENKUlT_T0_E_clISt17integral_constantIbLb1EES1C_EEDaS17_S18_EUlS17_E_NS1_11comp_targetILNS1_3genE10ELNS1_11target_archE1200ELNS1_3gpuE4ELNS1_3repE0EEENS1_30default_config_static_selectorELNS0_4arch9wavefront6targetE1EEEvT1_
                                        ; -- End function
	.section	.AMDGPU.csdata,"",@progbits
; Kernel info:
; codeLenInByte = 0
; NumSgprs: 4
; NumVgprs: 0
; NumAgprs: 0
; TotalNumVgprs: 0
; ScratchSize: 0
; MemoryBound: 0
; FloatMode: 240
; IeeeMode: 1
; LDSByteSize: 0 bytes/workgroup (compile time only)
; SGPRBlocks: 0
; VGPRBlocks: 0
; NumSGPRsForWavesPerEU: 4
; NumVGPRsForWavesPerEU: 1
; AccumOffset: 4
; Occupancy: 8
; WaveLimiterHint : 0
; COMPUTE_PGM_RSRC2:SCRATCH_EN: 0
; COMPUTE_PGM_RSRC2:USER_SGPR: 6
; COMPUTE_PGM_RSRC2:TRAP_HANDLER: 0
; COMPUTE_PGM_RSRC2:TGID_X_EN: 1
; COMPUTE_PGM_RSRC2:TGID_Y_EN: 0
; COMPUTE_PGM_RSRC2:TGID_Z_EN: 0
; COMPUTE_PGM_RSRC2:TIDIG_COMP_CNT: 0
; COMPUTE_PGM_RSRC3_GFX90A:ACCUM_OFFSET: 0
; COMPUTE_PGM_RSRC3_GFX90A:TG_SPLIT: 0
	.section	.text._ZN7rocprim17ROCPRIM_400000_NS6detail17trampoline_kernelINS0_14default_configENS1_25partition_config_selectorILNS1_17partition_subalgoE3EN6thrust23THRUST_200600_302600_NS5tupleIssNS7_9null_typeES9_S9_S9_S9_S9_S9_S9_EENS0_10empty_typeEbEEZZNS1_14partition_implILS5_3ELb0ES3_jNS7_6detail15normal_iteratorINS7_7pointerISA_NS7_11hip_rocprim3tagENS7_11use_defaultESJ_EEEEPSB_SM_NS0_5tupleIJPSA_SM_EEENSN_IJSM_SM_EEESB_PlJ10is_orderedEEE10hipError_tPvRmT3_T4_T5_T6_T7_T9_mT8_P12ihipStream_tbDpT10_ENKUlT_T0_E_clISt17integral_constantIbLb1EES1C_EEDaS17_S18_EUlS17_E_NS1_11comp_targetILNS1_3genE9ELNS1_11target_archE1100ELNS1_3gpuE3ELNS1_3repE0EEENS1_30default_config_static_selectorELNS0_4arch9wavefront6targetE1EEEvT1_,"axG",@progbits,_ZN7rocprim17ROCPRIM_400000_NS6detail17trampoline_kernelINS0_14default_configENS1_25partition_config_selectorILNS1_17partition_subalgoE3EN6thrust23THRUST_200600_302600_NS5tupleIssNS7_9null_typeES9_S9_S9_S9_S9_S9_S9_EENS0_10empty_typeEbEEZZNS1_14partition_implILS5_3ELb0ES3_jNS7_6detail15normal_iteratorINS7_7pointerISA_NS7_11hip_rocprim3tagENS7_11use_defaultESJ_EEEEPSB_SM_NS0_5tupleIJPSA_SM_EEENSN_IJSM_SM_EEESB_PlJ10is_orderedEEE10hipError_tPvRmT3_T4_T5_T6_T7_T9_mT8_P12ihipStream_tbDpT10_ENKUlT_T0_E_clISt17integral_constantIbLb1EES1C_EEDaS17_S18_EUlS17_E_NS1_11comp_targetILNS1_3genE9ELNS1_11target_archE1100ELNS1_3gpuE3ELNS1_3repE0EEENS1_30default_config_static_selectorELNS0_4arch9wavefront6targetE1EEEvT1_,comdat
	.protected	_ZN7rocprim17ROCPRIM_400000_NS6detail17trampoline_kernelINS0_14default_configENS1_25partition_config_selectorILNS1_17partition_subalgoE3EN6thrust23THRUST_200600_302600_NS5tupleIssNS7_9null_typeES9_S9_S9_S9_S9_S9_S9_EENS0_10empty_typeEbEEZZNS1_14partition_implILS5_3ELb0ES3_jNS7_6detail15normal_iteratorINS7_7pointerISA_NS7_11hip_rocprim3tagENS7_11use_defaultESJ_EEEEPSB_SM_NS0_5tupleIJPSA_SM_EEENSN_IJSM_SM_EEESB_PlJ10is_orderedEEE10hipError_tPvRmT3_T4_T5_T6_T7_T9_mT8_P12ihipStream_tbDpT10_ENKUlT_T0_E_clISt17integral_constantIbLb1EES1C_EEDaS17_S18_EUlS17_E_NS1_11comp_targetILNS1_3genE9ELNS1_11target_archE1100ELNS1_3gpuE3ELNS1_3repE0EEENS1_30default_config_static_selectorELNS0_4arch9wavefront6targetE1EEEvT1_ ; -- Begin function _ZN7rocprim17ROCPRIM_400000_NS6detail17trampoline_kernelINS0_14default_configENS1_25partition_config_selectorILNS1_17partition_subalgoE3EN6thrust23THRUST_200600_302600_NS5tupleIssNS7_9null_typeES9_S9_S9_S9_S9_S9_S9_EENS0_10empty_typeEbEEZZNS1_14partition_implILS5_3ELb0ES3_jNS7_6detail15normal_iteratorINS7_7pointerISA_NS7_11hip_rocprim3tagENS7_11use_defaultESJ_EEEEPSB_SM_NS0_5tupleIJPSA_SM_EEENSN_IJSM_SM_EEESB_PlJ10is_orderedEEE10hipError_tPvRmT3_T4_T5_T6_T7_T9_mT8_P12ihipStream_tbDpT10_ENKUlT_T0_E_clISt17integral_constantIbLb1EES1C_EEDaS17_S18_EUlS17_E_NS1_11comp_targetILNS1_3genE9ELNS1_11target_archE1100ELNS1_3gpuE3ELNS1_3repE0EEENS1_30default_config_static_selectorELNS0_4arch9wavefront6targetE1EEEvT1_
	.globl	_ZN7rocprim17ROCPRIM_400000_NS6detail17trampoline_kernelINS0_14default_configENS1_25partition_config_selectorILNS1_17partition_subalgoE3EN6thrust23THRUST_200600_302600_NS5tupleIssNS7_9null_typeES9_S9_S9_S9_S9_S9_S9_EENS0_10empty_typeEbEEZZNS1_14partition_implILS5_3ELb0ES3_jNS7_6detail15normal_iteratorINS7_7pointerISA_NS7_11hip_rocprim3tagENS7_11use_defaultESJ_EEEEPSB_SM_NS0_5tupleIJPSA_SM_EEENSN_IJSM_SM_EEESB_PlJ10is_orderedEEE10hipError_tPvRmT3_T4_T5_T6_T7_T9_mT8_P12ihipStream_tbDpT10_ENKUlT_T0_E_clISt17integral_constantIbLb1EES1C_EEDaS17_S18_EUlS17_E_NS1_11comp_targetILNS1_3genE9ELNS1_11target_archE1100ELNS1_3gpuE3ELNS1_3repE0EEENS1_30default_config_static_selectorELNS0_4arch9wavefront6targetE1EEEvT1_
	.p2align	8
	.type	_ZN7rocprim17ROCPRIM_400000_NS6detail17trampoline_kernelINS0_14default_configENS1_25partition_config_selectorILNS1_17partition_subalgoE3EN6thrust23THRUST_200600_302600_NS5tupleIssNS7_9null_typeES9_S9_S9_S9_S9_S9_S9_EENS0_10empty_typeEbEEZZNS1_14partition_implILS5_3ELb0ES3_jNS7_6detail15normal_iteratorINS7_7pointerISA_NS7_11hip_rocprim3tagENS7_11use_defaultESJ_EEEEPSB_SM_NS0_5tupleIJPSA_SM_EEENSN_IJSM_SM_EEESB_PlJ10is_orderedEEE10hipError_tPvRmT3_T4_T5_T6_T7_T9_mT8_P12ihipStream_tbDpT10_ENKUlT_T0_E_clISt17integral_constantIbLb1EES1C_EEDaS17_S18_EUlS17_E_NS1_11comp_targetILNS1_3genE9ELNS1_11target_archE1100ELNS1_3gpuE3ELNS1_3repE0EEENS1_30default_config_static_selectorELNS0_4arch9wavefront6targetE1EEEvT1_,@function
_ZN7rocprim17ROCPRIM_400000_NS6detail17trampoline_kernelINS0_14default_configENS1_25partition_config_selectorILNS1_17partition_subalgoE3EN6thrust23THRUST_200600_302600_NS5tupleIssNS7_9null_typeES9_S9_S9_S9_S9_S9_S9_EENS0_10empty_typeEbEEZZNS1_14partition_implILS5_3ELb0ES3_jNS7_6detail15normal_iteratorINS7_7pointerISA_NS7_11hip_rocprim3tagENS7_11use_defaultESJ_EEEEPSB_SM_NS0_5tupleIJPSA_SM_EEENSN_IJSM_SM_EEESB_PlJ10is_orderedEEE10hipError_tPvRmT3_T4_T5_T6_T7_T9_mT8_P12ihipStream_tbDpT10_ENKUlT_T0_E_clISt17integral_constantIbLb1EES1C_EEDaS17_S18_EUlS17_E_NS1_11comp_targetILNS1_3genE9ELNS1_11target_archE1100ELNS1_3gpuE3ELNS1_3repE0EEENS1_30default_config_static_selectorELNS0_4arch9wavefront6targetE1EEEvT1_: ; @_ZN7rocprim17ROCPRIM_400000_NS6detail17trampoline_kernelINS0_14default_configENS1_25partition_config_selectorILNS1_17partition_subalgoE3EN6thrust23THRUST_200600_302600_NS5tupleIssNS7_9null_typeES9_S9_S9_S9_S9_S9_S9_EENS0_10empty_typeEbEEZZNS1_14partition_implILS5_3ELb0ES3_jNS7_6detail15normal_iteratorINS7_7pointerISA_NS7_11hip_rocprim3tagENS7_11use_defaultESJ_EEEEPSB_SM_NS0_5tupleIJPSA_SM_EEENSN_IJSM_SM_EEESB_PlJ10is_orderedEEE10hipError_tPvRmT3_T4_T5_T6_T7_T9_mT8_P12ihipStream_tbDpT10_ENKUlT_T0_E_clISt17integral_constantIbLb1EES1C_EEDaS17_S18_EUlS17_E_NS1_11comp_targetILNS1_3genE9ELNS1_11target_archE1100ELNS1_3gpuE3ELNS1_3repE0EEENS1_30default_config_static_selectorELNS0_4arch9wavefront6targetE1EEEvT1_
; %bb.0:
	.section	.rodata,"a",@progbits
	.p2align	6, 0x0
	.amdhsa_kernel _ZN7rocprim17ROCPRIM_400000_NS6detail17trampoline_kernelINS0_14default_configENS1_25partition_config_selectorILNS1_17partition_subalgoE3EN6thrust23THRUST_200600_302600_NS5tupleIssNS7_9null_typeES9_S9_S9_S9_S9_S9_S9_EENS0_10empty_typeEbEEZZNS1_14partition_implILS5_3ELb0ES3_jNS7_6detail15normal_iteratorINS7_7pointerISA_NS7_11hip_rocprim3tagENS7_11use_defaultESJ_EEEEPSB_SM_NS0_5tupleIJPSA_SM_EEENSN_IJSM_SM_EEESB_PlJ10is_orderedEEE10hipError_tPvRmT3_T4_T5_T6_T7_T9_mT8_P12ihipStream_tbDpT10_ENKUlT_T0_E_clISt17integral_constantIbLb1EES1C_EEDaS17_S18_EUlS17_E_NS1_11comp_targetILNS1_3genE9ELNS1_11target_archE1100ELNS1_3gpuE3ELNS1_3repE0EEENS1_30default_config_static_selectorELNS0_4arch9wavefront6targetE1EEEvT1_
		.amdhsa_group_segment_fixed_size 0
		.amdhsa_private_segment_fixed_size 0
		.amdhsa_kernarg_size 136
		.amdhsa_user_sgpr_count 6
		.amdhsa_user_sgpr_private_segment_buffer 1
		.amdhsa_user_sgpr_dispatch_ptr 0
		.amdhsa_user_sgpr_queue_ptr 0
		.amdhsa_user_sgpr_kernarg_segment_ptr 1
		.amdhsa_user_sgpr_dispatch_id 0
		.amdhsa_user_sgpr_flat_scratch_init 0
		.amdhsa_user_sgpr_kernarg_preload_length 0
		.amdhsa_user_sgpr_kernarg_preload_offset 0
		.amdhsa_user_sgpr_private_segment_size 0
		.amdhsa_uses_dynamic_stack 0
		.amdhsa_system_sgpr_private_segment_wavefront_offset 0
		.amdhsa_system_sgpr_workgroup_id_x 1
		.amdhsa_system_sgpr_workgroup_id_y 0
		.amdhsa_system_sgpr_workgroup_id_z 0
		.amdhsa_system_sgpr_workgroup_info 0
		.amdhsa_system_vgpr_workitem_id 0
		.amdhsa_next_free_vgpr 1
		.amdhsa_next_free_sgpr 0
		.amdhsa_accum_offset 4
		.amdhsa_reserve_vcc 0
		.amdhsa_reserve_flat_scratch 0
		.amdhsa_float_round_mode_32 0
		.amdhsa_float_round_mode_16_64 0
		.amdhsa_float_denorm_mode_32 3
		.amdhsa_float_denorm_mode_16_64 3
		.amdhsa_dx10_clamp 1
		.amdhsa_ieee_mode 1
		.amdhsa_fp16_overflow 0
		.amdhsa_tg_split 0
		.amdhsa_exception_fp_ieee_invalid_op 0
		.amdhsa_exception_fp_denorm_src 0
		.amdhsa_exception_fp_ieee_div_zero 0
		.amdhsa_exception_fp_ieee_overflow 0
		.amdhsa_exception_fp_ieee_underflow 0
		.amdhsa_exception_fp_ieee_inexact 0
		.amdhsa_exception_int_div_zero 0
	.end_amdhsa_kernel
	.section	.text._ZN7rocprim17ROCPRIM_400000_NS6detail17trampoline_kernelINS0_14default_configENS1_25partition_config_selectorILNS1_17partition_subalgoE3EN6thrust23THRUST_200600_302600_NS5tupleIssNS7_9null_typeES9_S9_S9_S9_S9_S9_S9_EENS0_10empty_typeEbEEZZNS1_14partition_implILS5_3ELb0ES3_jNS7_6detail15normal_iteratorINS7_7pointerISA_NS7_11hip_rocprim3tagENS7_11use_defaultESJ_EEEEPSB_SM_NS0_5tupleIJPSA_SM_EEENSN_IJSM_SM_EEESB_PlJ10is_orderedEEE10hipError_tPvRmT3_T4_T5_T6_T7_T9_mT8_P12ihipStream_tbDpT10_ENKUlT_T0_E_clISt17integral_constantIbLb1EES1C_EEDaS17_S18_EUlS17_E_NS1_11comp_targetILNS1_3genE9ELNS1_11target_archE1100ELNS1_3gpuE3ELNS1_3repE0EEENS1_30default_config_static_selectorELNS0_4arch9wavefront6targetE1EEEvT1_,"axG",@progbits,_ZN7rocprim17ROCPRIM_400000_NS6detail17trampoline_kernelINS0_14default_configENS1_25partition_config_selectorILNS1_17partition_subalgoE3EN6thrust23THRUST_200600_302600_NS5tupleIssNS7_9null_typeES9_S9_S9_S9_S9_S9_S9_EENS0_10empty_typeEbEEZZNS1_14partition_implILS5_3ELb0ES3_jNS7_6detail15normal_iteratorINS7_7pointerISA_NS7_11hip_rocprim3tagENS7_11use_defaultESJ_EEEEPSB_SM_NS0_5tupleIJPSA_SM_EEENSN_IJSM_SM_EEESB_PlJ10is_orderedEEE10hipError_tPvRmT3_T4_T5_T6_T7_T9_mT8_P12ihipStream_tbDpT10_ENKUlT_T0_E_clISt17integral_constantIbLb1EES1C_EEDaS17_S18_EUlS17_E_NS1_11comp_targetILNS1_3genE9ELNS1_11target_archE1100ELNS1_3gpuE3ELNS1_3repE0EEENS1_30default_config_static_selectorELNS0_4arch9wavefront6targetE1EEEvT1_,comdat
.Lfunc_end3543:
	.size	_ZN7rocprim17ROCPRIM_400000_NS6detail17trampoline_kernelINS0_14default_configENS1_25partition_config_selectorILNS1_17partition_subalgoE3EN6thrust23THRUST_200600_302600_NS5tupleIssNS7_9null_typeES9_S9_S9_S9_S9_S9_S9_EENS0_10empty_typeEbEEZZNS1_14partition_implILS5_3ELb0ES3_jNS7_6detail15normal_iteratorINS7_7pointerISA_NS7_11hip_rocprim3tagENS7_11use_defaultESJ_EEEEPSB_SM_NS0_5tupleIJPSA_SM_EEENSN_IJSM_SM_EEESB_PlJ10is_orderedEEE10hipError_tPvRmT3_T4_T5_T6_T7_T9_mT8_P12ihipStream_tbDpT10_ENKUlT_T0_E_clISt17integral_constantIbLb1EES1C_EEDaS17_S18_EUlS17_E_NS1_11comp_targetILNS1_3genE9ELNS1_11target_archE1100ELNS1_3gpuE3ELNS1_3repE0EEENS1_30default_config_static_selectorELNS0_4arch9wavefront6targetE1EEEvT1_, .Lfunc_end3543-_ZN7rocprim17ROCPRIM_400000_NS6detail17trampoline_kernelINS0_14default_configENS1_25partition_config_selectorILNS1_17partition_subalgoE3EN6thrust23THRUST_200600_302600_NS5tupleIssNS7_9null_typeES9_S9_S9_S9_S9_S9_S9_EENS0_10empty_typeEbEEZZNS1_14partition_implILS5_3ELb0ES3_jNS7_6detail15normal_iteratorINS7_7pointerISA_NS7_11hip_rocprim3tagENS7_11use_defaultESJ_EEEEPSB_SM_NS0_5tupleIJPSA_SM_EEENSN_IJSM_SM_EEESB_PlJ10is_orderedEEE10hipError_tPvRmT3_T4_T5_T6_T7_T9_mT8_P12ihipStream_tbDpT10_ENKUlT_T0_E_clISt17integral_constantIbLb1EES1C_EEDaS17_S18_EUlS17_E_NS1_11comp_targetILNS1_3genE9ELNS1_11target_archE1100ELNS1_3gpuE3ELNS1_3repE0EEENS1_30default_config_static_selectorELNS0_4arch9wavefront6targetE1EEEvT1_
                                        ; -- End function
	.section	.AMDGPU.csdata,"",@progbits
; Kernel info:
; codeLenInByte = 0
; NumSgprs: 4
; NumVgprs: 0
; NumAgprs: 0
; TotalNumVgprs: 0
; ScratchSize: 0
; MemoryBound: 0
; FloatMode: 240
; IeeeMode: 1
; LDSByteSize: 0 bytes/workgroup (compile time only)
; SGPRBlocks: 0
; VGPRBlocks: 0
; NumSGPRsForWavesPerEU: 4
; NumVGPRsForWavesPerEU: 1
; AccumOffset: 4
; Occupancy: 8
; WaveLimiterHint : 0
; COMPUTE_PGM_RSRC2:SCRATCH_EN: 0
; COMPUTE_PGM_RSRC2:USER_SGPR: 6
; COMPUTE_PGM_RSRC2:TRAP_HANDLER: 0
; COMPUTE_PGM_RSRC2:TGID_X_EN: 1
; COMPUTE_PGM_RSRC2:TGID_Y_EN: 0
; COMPUTE_PGM_RSRC2:TGID_Z_EN: 0
; COMPUTE_PGM_RSRC2:TIDIG_COMP_CNT: 0
; COMPUTE_PGM_RSRC3_GFX90A:ACCUM_OFFSET: 0
; COMPUTE_PGM_RSRC3_GFX90A:TG_SPLIT: 0
	.section	.text._ZN7rocprim17ROCPRIM_400000_NS6detail17trampoline_kernelINS0_14default_configENS1_25partition_config_selectorILNS1_17partition_subalgoE3EN6thrust23THRUST_200600_302600_NS5tupleIssNS7_9null_typeES9_S9_S9_S9_S9_S9_S9_EENS0_10empty_typeEbEEZZNS1_14partition_implILS5_3ELb0ES3_jNS7_6detail15normal_iteratorINS7_7pointerISA_NS7_11hip_rocprim3tagENS7_11use_defaultESJ_EEEEPSB_SM_NS0_5tupleIJPSA_SM_EEENSN_IJSM_SM_EEESB_PlJ10is_orderedEEE10hipError_tPvRmT3_T4_T5_T6_T7_T9_mT8_P12ihipStream_tbDpT10_ENKUlT_T0_E_clISt17integral_constantIbLb1EES1C_EEDaS17_S18_EUlS17_E_NS1_11comp_targetILNS1_3genE8ELNS1_11target_archE1030ELNS1_3gpuE2ELNS1_3repE0EEENS1_30default_config_static_selectorELNS0_4arch9wavefront6targetE1EEEvT1_,"axG",@progbits,_ZN7rocprim17ROCPRIM_400000_NS6detail17trampoline_kernelINS0_14default_configENS1_25partition_config_selectorILNS1_17partition_subalgoE3EN6thrust23THRUST_200600_302600_NS5tupleIssNS7_9null_typeES9_S9_S9_S9_S9_S9_S9_EENS0_10empty_typeEbEEZZNS1_14partition_implILS5_3ELb0ES3_jNS7_6detail15normal_iteratorINS7_7pointerISA_NS7_11hip_rocprim3tagENS7_11use_defaultESJ_EEEEPSB_SM_NS0_5tupleIJPSA_SM_EEENSN_IJSM_SM_EEESB_PlJ10is_orderedEEE10hipError_tPvRmT3_T4_T5_T6_T7_T9_mT8_P12ihipStream_tbDpT10_ENKUlT_T0_E_clISt17integral_constantIbLb1EES1C_EEDaS17_S18_EUlS17_E_NS1_11comp_targetILNS1_3genE8ELNS1_11target_archE1030ELNS1_3gpuE2ELNS1_3repE0EEENS1_30default_config_static_selectorELNS0_4arch9wavefront6targetE1EEEvT1_,comdat
	.protected	_ZN7rocprim17ROCPRIM_400000_NS6detail17trampoline_kernelINS0_14default_configENS1_25partition_config_selectorILNS1_17partition_subalgoE3EN6thrust23THRUST_200600_302600_NS5tupleIssNS7_9null_typeES9_S9_S9_S9_S9_S9_S9_EENS0_10empty_typeEbEEZZNS1_14partition_implILS5_3ELb0ES3_jNS7_6detail15normal_iteratorINS7_7pointerISA_NS7_11hip_rocprim3tagENS7_11use_defaultESJ_EEEEPSB_SM_NS0_5tupleIJPSA_SM_EEENSN_IJSM_SM_EEESB_PlJ10is_orderedEEE10hipError_tPvRmT3_T4_T5_T6_T7_T9_mT8_P12ihipStream_tbDpT10_ENKUlT_T0_E_clISt17integral_constantIbLb1EES1C_EEDaS17_S18_EUlS17_E_NS1_11comp_targetILNS1_3genE8ELNS1_11target_archE1030ELNS1_3gpuE2ELNS1_3repE0EEENS1_30default_config_static_selectorELNS0_4arch9wavefront6targetE1EEEvT1_ ; -- Begin function _ZN7rocprim17ROCPRIM_400000_NS6detail17trampoline_kernelINS0_14default_configENS1_25partition_config_selectorILNS1_17partition_subalgoE3EN6thrust23THRUST_200600_302600_NS5tupleIssNS7_9null_typeES9_S9_S9_S9_S9_S9_S9_EENS0_10empty_typeEbEEZZNS1_14partition_implILS5_3ELb0ES3_jNS7_6detail15normal_iteratorINS7_7pointerISA_NS7_11hip_rocprim3tagENS7_11use_defaultESJ_EEEEPSB_SM_NS0_5tupleIJPSA_SM_EEENSN_IJSM_SM_EEESB_PlJ10is_orderedEEE10hipError_tPvRmT3_T4_T5_T6_T7_T9_mT8_P12ihipStream_tbDpT10_ENKUlT_T0_E_clISt17integral_constantIbLb1EES1C_EEDaS17_S18_EUlS17_E_NS1_11comp_targetILNS1_3genE8ELNS1_11target_archE1030ELNS1_3gpuE2ELNS1_3repE0EEENS1_30default_config_static_selectorELNS0_4arch9wavefront6targetE1EEEvT1_
	.globl	_ZN7rocprim17ROCPRIM_400000_NS6detail17trampoline_kernelINS0_14default_configENS1_25partition_config_selectorILNS1_17partition_subalgoE3EN6thrust23THRUST_200600_302600_NS5tupleIssNS7_9null_typeES9_S9_S9_S9_S9_S9_S9_EENS0_10empty_typeEbEEZZNS1_14partition_implILS5_3ELb0ES3_jNS7_6detail15normal_iteratorINS7_7pointerISA_NS7_11hip_rocprim3tagENS7_11use_defaultESJ_EEEEPSB_SM_NS0_5tupleIJPSA_SM_EEENSN_IJSM_SM_EEESB_PlJ10is_orderedEEE10hipError_tPvRmT3_T4_T5_T6_T7_T9_mT8_P12ihipStream_tbDpT10_ENKUlT_T0_E_clISt17integral_constantIbLb1EES1C_EEDaS17_S18_EUlS17_E_NS1_11comp_targetILNS1_3genE8ELNS1_11target_archE1030ELNS1_3gpuE2ELNS1_3repE0EEENS1_30default_config_static_selectorELNS0_4arch9wavefront6targetE1EEEvT1_
	.p2align	8
	.type	_ZN7rocprim17ROCPRIM_400000_NS6detail17trampoline_kernelINS0_14default_configENS1_25partition_config_selectorILNS1_17partition_subalgoE3EN6thrust23THRUST_200600_302600_NS5tupleIssNS7_9null_typeES9_S9_S9_S9_S9_S9_S9_EENS0_10empty_typeEbEEZZNS1_14partition_implILS5_3ELb0ES3_jNS7_6detail15normal_iteratorINS7_7pointerISA_NS7_11hip_rocprim3tagENS7_11use_defaultESJ_EEEEPSB_SM_NS0_5tupleIJPSA_SM_EEENSN_IJSM_SM_EEESB_PlJ10is_orderedEEE10hipError_tPvRmT3_T4_T5_T6_T7_T9_mT8_P12ihipStream_tbDpT10_ENKUlT_T0_E_clISt17integral_constantIbLb1EES1C_EEDaS17_S18_EUlS17_E_NS1_11comp_targetILNS1_3genE8ELNS1_11target_archE1030ELNS1_3gpuE2ELNS1_3repE0EEENS1_30default_config_static_selectorELNS0_4arch9wavefront6targetE1EEEvT1_,@function
_ZN7rocprim17ROCPRIM_400000_NS6detail17trampoline_kernelINS0_14default_configENS1_25partition_config_selectorILNS1_17partition_subalgoE3EN6thrust23THRUST_200600_302600_NS5tupleIssNS7_9null_typeES9_S9_S9_S9_S9_S9_S9_EENS0_10empty_typeEbEEZZNS1_14partition_implILS5_3ELb0ES3_jNS7_6detail15normal_iteratorINS7_7pointerISA_NS7_11hip_rocprim3tagENS7_11use_defaultESJ_EEEEPSB_SM_NS0_5tupleIJPSA_SM_EEENSN_IJSM_SM_EEESB_PlJ10is_orderedEEE10hipError_tPvRmT3_T4_T5_T6_T7_T9_mT8_P12ihipStream_tbDpT10_ENKUlT_T0_E_clISt17integral_constantIbLb1EES1C_EEDaS17_S18_EUlS17_E_NS1_11comp_targetILNS1_3genE8ELNS1_11target_archE1030ELNS1_3gpuE2ELNS1_3repE0EEENS1_30default_config_static_selectorELNS0_4arch9wavefront6targetE1EEEvT1_: ; @_ZN7rocprim17ROCPRIM_400000_NS6detail17trampoline_kernelINS0_14default_configENS1_25partition_config_selectorILNS1_17partition_subalgoE3EN6thrust23THRUST_200600_302600_NS5tupleIssNS7_9null_typeES9_S9_S9_S9_S9_S9_S9_EENS0_10empty_typeEbEEZZNS1_14partition_implILS5_3ELb0ES3_jNS7_6detail15normal_iteratorINS7_7pointerISA_NS7_11hip_rocprim3tagENS7_11use_defaultESJ_EEEEPSB_SM_NS0_5tupleIJPSA_SM_EEENSN_IJSM_SM_EEESB_PlJ10is_orderedEEE10hipError_tPvRmT3_T4_T5_T6_T7_T9_mT8_P12ihipStream_tbDpT10_ENKUlT_T0_E_clISt17integral_constantIbLb1EES1C_EEDaS17_S18_EUlS17_E_NS1_11comp_targetILNS1_3genE8ELNS1_11target_archE1030ELNS1_3gpuE2ELNS1_3repE0EEENS1_30default_config_static_selectorELNS0_4arch9wavefront6targetE1EEEvT1_
; %bb.0:
	.section	.rodata,"a",@progbits
	.p2align	6, 0x0
	.amdhsa_kernel _ZN7rocprim17ROCPRIM_400000_NS6detail17trampoline_kernelINS0_14default_configENS1_25partition_config_selectorILNS1_17partition_subalgoE3EN6thrust23THRUST_200600_302600_NS5tupleIssNS7_9null_typeES9_S9_S9_S9_S9_S9_S9_EENS0_10empty_typeEbEEZZNS1_14partition_implILS5_3ELb0ES3_jNS7_6detail15normal_iteratorINS7_7pointerISA_NS7_11hip_rocprim3tagENS7_11use_defaultESJ_EEEEPSB_SM_NS0_5tupleIJPSA_SM_EEENSN_IJSM_SM_EEESB_PlJ10is_orderedEEE10hipError_tPvRmT3_T4_T5_T6_T7_T9_mT8_P12ihipStream_tbDpT10_ENKUlT_T0_E_clISt17integral_constantIbLb1EES1C_EEDaS17_S18_EUlS17_E_NS1_11comp_targetILNS1_3genE8ELNS1_11target_archE1030ELNS1_3gpuE2ELNS1_3repE0EEENS1_30default_config_static_selectorELNS0_4arch9wavefront6targetE1EEEvT1_
		.amdhsa_group_segment_fixed_size 0
		.amdhsa_private_segment_fixed_size 0
		.amdhsa_kernarg_size 136
		.amdhsa_user_sgpr_count 6
		.amdhsa_user_sgpr_private_segment_buffer 1
		.amdhsa_user_sgpr_dispatch_ptr 0
		.amdhsa_user_sgpr_queue_ptr 0
		.amdhsa_user_sgpr_kernarg_segment_ptr 1
		.amdhsa_user_sgpr_dispatch_id 0
		.amdhsa_user_sgpr_flat_scratch_init 0
		.amdhsa_user_sgpr_kernarg_preload_length 0
		.amdhsa_user_sgpr_kernarg_preload_offset 0
		.amdhsa_user_sgpr_private_segment_size 0
		.amdhsa_uses_dynamic_stack 0
		.amdhsa_system_sgpr_private_segment_wavefront_offset 0
		.amdhsa_system_sgpr_workgroup_id_x 1
		.amdhsa_system_sgpr_workgroup_id_y 0
		.amdhsa_system_sgpr_workgroup_id_z 0
		.amdhsa_system_sgpr_workgroup_info 0
		.amdhsa_system_vgpr_workitem_id 0
		.amdhsa_next_free_vgpr 1
		.amdhsa_next_free_sgpr 0
		.amdhsa_accum_offset 4
		.amdhsa_reserve_vcc 0
		.amdhsa_reserve_flat_scratch 0
		.amdhsa_float_round_mode_32 0
		.amdhsa_float_round_mode_16_64 0
		.amdhsa_float_denorm_mode_32 3
		.amdhsa_float_denorm_mode_16_64 3
		.amdhsa_dx10_clamp 1
		.amdhsa_ieee_mode 1
		.amdhsa_fp16_overflow 0
		.amdhsa_tg_split 0
		.amdhsa_exception_fp_ieee_invalid_op 0
		.amdhsa_exception_fp_denorm_src 0
		.amdhsa_exception_fp_ieee_div_zero 0
		.amdhsa_exception_fp_ieee_overflow 0
		.amdhsa_exception_fp_ieee_underflow 0
		.amdhsa_exception_fp_ieee_inexact 0
		.amdhsa_exception_int_div_zero 0
	.end_amdhsa_kernel
	.section	.text._ZN7rocprim17ROCPRIM_400000_NS6detail17trampoline_kernelINS0_14default_configENS1_25partition_config_selectorILNS1_17partition_subalgoE3EN6thrust23THRUST_200600_302600_NS5tupleIssNS7_9null_typeES9_S9_S9_S9_S9_S9_S9_EENS0_10empty_typeEbEEZZNS1_14partition_implILS5_3ELb0ES3_jNS7_6detail15normal_iteratorINS7_7pointerISA_NS7_11hip_rocprim3tagENS7_11use_defaultESJ_EEEEPSB_SM_NS0_5tupleIJPSA_SM_EEENSN_IJSM_SM_EEESB_PlJ10is_orderedEEE10hipError_tPvRmT3_T4_T5_T6_T7_T9_mT8_P12ihipStream_tbDpT10_ENKUlT_T0_E_clISt17integral_constantIbLb1EES1C_EEDaS17_S18_EUlS17_E_NS1_11comp_targetILNS1_3genE8ELNS1_11target_archE1030ELNS1_3gpuE2ELNS1_3repE0EEENS1_30default_config_static_selectorELNS0_4arch9wavefront6targetE1EEEvT1_,"axG",@progbits,_ZN7rocprim17ROCPRIM_400000_NS6detail17trampoline_kernelINS0_14default_configENS1_25partition_config_selectorILNS1_17partition_subalgoE3EN6thrust23THRUST_200600_302600_NS5tupleIssNS7_9null_typeES9_S9_S9_S9_S9_S9_S9_EENS0_10empty_typeEbEEZZNS1_14partition_implILS5_3ELb0ES3_jNS7_6detail15normal_iteratorINS7_7pointerISA_NS7_11hip_rocprim3tagENS7_11use_defaultESJ_EEEEPSB_SM_NS0_5tupleIJPSA_SM_EEENSN_IJSM_SM_EEESB_PlJ10is_orderedEEE10hipError_tPvRmT3_T4_T5_T6_T7_T9_mT8_P12ihipStream_tbDpT10_ENKUlT_T0_E_clISt17integral_constantIbLb1EES1C_EEDaS17_S18_EUlS17_E_NS1_11comp_targetILNS1_3genE8ELNS1_11target_archE1030ELNS1_3gpuE2ELNS1_3repE0EEENS1_30default_config_static_selectorELNS0_4arch9wavefront6targetE1EEEvT1_,comdat
.Lfunc_end3544:
	.size	_ZN7rocprim17ROCPRIM_400000_NS6detail17trampoline_kernelINS0_14default_configENS1_25partition_config_selectorILNS1_17partition_subalgoE3EN6thrust23THRUST_200600_302600_NS5tupleIssNS7_9null_typeES9_S9_S9_S9_S9_S9_S9_EENS0_10empty_typeEbEEZZNS1_14partition_implILS5_3ELb0ES3_jNS7_6detail15normal_iteratorINS7_7pointerISA_NS7_11hip_rocprim3tagENS7_11use_defaultESJ_EEEEPSB_SM_NS0_5tupleIJPSA_SM_EEENSN_IJSM_SM_EEESB_PlJ10is_orderedEEE10hipError_tPvRmT3_T4_T5_T6_T7_T9_mT8_P12ihipStream_tbDpT10_ENKUlT_T0_E_clISt17integral_constantIbLb1EES1C_EEDaS17_S18_EUlS17_E_NS1_11comp_targetILNS1_3genE8ELNS1_11target_archE1030ELNS1_3gpuE2ELNS1_3repE0EEENS1_30default_config_static_selectorELNS0_4arch9wavefront6targetE1EEEvT1_, .Lfunc_end3544-_ZN7rocprim17ROCPRIM_400000_NS6detail17trampoline_kernelINS0_14default_configENS1_25partition_config_selectorILNS1_17partition_subalgoE3EN6thrust23THRUST_200600_302600_NS5tupleIssNS7_9null_typeES9_S9_S9_S9_S9_S9_S9_EENS0_10empty_typeEbEEZZNS1_14partition_implILS5_3ELb0ES3_jNS7_6detail15normal_iteratorINS7_7pointerISA_NS7_11hip_rocprim3tagENS7_11use_defaultESJ_EEEEPSB_SM_NS0_5tupleIJPSA_SM_EEENSN_IJSM_SM_EEESB_PlJ10is_orderedEEE10hipError_tPvRmT3_T4_T5_T6_T7_T9_mT8_P12ihipStream_tbDpT10_ENKUlT_T0_E_clISt17integral_constantIbLb1EES1C_EEDaS17_S18_EUlS17_E_NS1_11comp_targetILNS1_3genE8ELNS1_11target_archE1030ELNS1_3gpuE2ELNS1_3repE0EEENS1_30default_config_static_selectorELNS0_4arch9wavefront6targetE1EEEvT1_
                                        ; -- End function
	.section	.AMDGPU.csdata,"",@progbits
; Kernel info:
; codeLenInByte = 0
; NumSgprs: 4
; NumVgprs: 0
; NumAgprs: 0
; TotalNumVgprs: 0
; ScratchSize: 0
; MemoryBound: 0
; FloatMode: 240
; IeeeMode: 1
; LDSByteSize: 0 bytes/workgroup (compile time only)
; SGPRBlocks: 0
; VGPRBlocks: 0
; NumSGPRsForWavesPerEU: 4
; NumVGPRsForWavesPerEU: 1
; AccumOffset: 4
; Occupancy: 8
; WaveLimiterHint : 0
; COMPUTE_PGM_RSRC2:SCRATCH_EN: 0
; COMPUTE_PGM_RSRC2:USER_SGPR: 6
; COMPUTE_PGM_RSRC2:TRAP_HANDLER: 0
; COMPUTE_PGM_RSRC2:TGID_X_EN: 1
; COMPUTE_PGM_RSRC2:TGID_Y_EN: 0
; COMPUTE_PGM_RSRC2:TGID_Z_EN: 0
; COMPUTE_PGM_RSRC2:TIDIG_COMP_CNT: 0
; COMPUTE_PGM_RSRC3_GFX90A:ACCUM_OFFSET: 0
; COMPUTE_PGM_RSRC3_GFX90A:TG_SPLIT: 0
	.section	.text._ZN7rocprim17ROCPRIM_400000_NS6detail17trampoline_kernelINS0_14default_configENS1_25partition_config_selectorILNS1_17partition_subalgoE3EN6thrust23THRUST_200600_302600_NS5tupleIssNS7_9null_typeES9_S9_S9_S9_S9_S9_S9_EENS0_10empty_typeEbEEZZNS1_14partition_implILS5_3ELb0ES3_jNS7_6detail15normal_iteratorINS7_7pointerISA_NS7_11hip_rocprim3tagENS7_11use_defaultESJ_EEEEPSB_SM_NS0_5tupleIJPSA_SM_EEENSN_IJSM_SM_EEESB_PlJ10is_orderedEEE10hipError_tPvRmT3_T4_T5_T6_T7_T9_mT8_P12ihipStream_tbDpT10_ENKUlT_T0_E_clISt17integral_constantIbLb1EES1B_IbLb0EEEEDaS17_S18_EUlS17_E_NS1_11comp_targetILNS1_3genE0ELNS1_11target_archE4294967295ELNS1_3gpuE0ELNS1_3repE0EEENS1_30default_config_static_selectorELNS0_4arch9wavefront6targetE1EEEvT1_,"axG",@progbits,_ZN7rocprim17ROCPRIM_400000_NS6detail17trampoline_kernelINS0_14default_configENS1_25partition_config_selectorILNS1_17partition_subalgoE3EN6thrust23THRUST_200600_302600_NS5tupleIssNS7_9null_typeES9_S9_S9_S9_S9_S9_S9_EENS0_10empty_typeEbEEZZNS1_14partition_implILS5_3ELb0ES3_jNS7_6detail15normal_iteratorINS7_7pointerISA_NS7_11hip_rocprim3tagENS7_11use_defaultESJ_EEEEPSB_SM_NS0_5tupleIJPSA_SM_EEENSN_IJSM_SM_EEESB_PlJ10is_orderedEEE10hipError_tPvRmT3_T4_T5_T6_T7_T9_mT8_P12ihipStream_tbDpT10_ENKUlT_T0_E_clISt17integral_constantIbLb1EES1B_IbLb0EEEEDaS17_S18_EUlS17_E_NS1_11comp_targetILNS1_3genE0ELNS1_11target_archE4294967295ELNS1_3gpuE0ELNS1_3repE0EEENS1_30default_config_static_selectorELNS0_4arch9wavefront6targetE1EEEvT1_,comdat
	.protected	_ZN7rocprim17ROCPRIM_400000_NS6detail17trampoline_kernelINS0_14default_configENS1_25partition_config_selectorILNS1_17partition_subalgoE3EN6thrust23THRUST_200600_302600_NS5tupleIssNS7_9null_typeES9_S9_S9_S9_S9_S9_S9_EENS0_10empty_typeEbEEZZNS1_14partition_implILS5_3ELb0ES3_jNS7_6detail15normal_iteratorINS7_7pointerISA_NS7_11hip_rocprim3tagENS7_11use_defaultESJ_EEEEPSB_SM_NS0_5tupleIJPSA_SM_EEENSN_IJSM_SM_EEESB_PlJ10is_orderedEEE10hipError_tPvRmT3_T4_T5_T6_T7_T9_mT8_P12ihipStream_tbDpT10_ENKUlT_T0_E_clISt17integral_constantIbLb1EES1B_IbLb0EEEEDaS17_S18_EUlS17_E_NS1_11comp_targetILNS1_3genE0ELNS1_11target_archE4294967295ELNS1_3gpuE0ELNS1_3repE0EEENS1_30default_config_static_selectorELNS0_4arch9wavefront6targetE1EEEvT1_ ; -- Begin function _ZN7rocprim17ROCPRIM_400000_NS6detail17trampoline_kernelINS0_14default_configENS1_25partition_config_selectorILNS1_17partition_subalgoE3EN6thrust23THRUST_200600_302600_NS5tupleIssNS7_9null_typeES9_S9_S9_S9_S9_S9_S9_EENS0_10empty_typeEbEEZZNS1_14partition_implILS5_3ELb0ES3_jNS7_6detail15normal_iteratorINS7_7pointerISA_NS7_11hip_rocprim3tagENS7_11use_defaultESJ_EEEEPSB_SM_NS0_5tupleIJPSA_SM_EEENSN_IJSM_SM_EEESB_PlJ10is_orderedEEE10hipError_tPvRmT3_T4_T5_T6_T7_T9_mT8_P12ihipStream_tbDpT10_ENKUlT_T0_E_clISt17integral_constantIbLb1EES1B_IbLb0EEEEDaS17_S18_EUlS17_E_NS1_11comp_targetILNS1_3genE0ELNS1_11target_archE4294967295ELNS1_3gpuE0ELNS1_3repE0EEENS1_30default_config_static_selectorELNS0_4arch9wavefront6targetE1EEEvT1_
	.globl	_ZN7rocprim17ROCPRIM_400000_NS6detail17trampoline_kernelINS0_14default_configENS1_25partition_config_selectorILNS1_17partition_subalgoE3EN6thrust23THRUST_200600_302600_NS5tupleIssNS7_9null_typeES9_S9_S9_S9_S9_S9_S9_EENS0_10empty_typeEbEEZZNS1_14partition_implILS5_3ELb0ES3_jNS7_6detail15normal_iteratorINS7_7pointerISA_NS7_11hip_rocprim3tagENS7_11use_defaultESJ_EEEEPSB_SM_NS0_5tupleIJPSA_SM_EEENSN_IJSM_SM_EEESB_PlJ10is_orderedEEE10hipError_tPvRmT3_T4_T5_T6_T7_T9_mT8_P12ihipStream_tbDpT10_ENKUlT_T0_E_clISt17integral_constantIbLb1EES1B_IbLb0EEEEDaS17_S18_EUlS17_E_NS1_11comp_targetILNS1_3genE0ELNS1_11target_archE4294967295ELNS1_3gpuE0ELNS1_3repE0EEENS1_30default_config_static_selectorELNS0_4arch9wavefront6targetE1EEEvT1_
	.p2align	8
	.type	_ZN7rocprim17ROCPRIM_400000_NS6detail17trampoline_kernelINS0_14default_configENS1_25partition_config_selectorILNS1_17partition_subalgoE3EN6thrust23THRUST_200600_302600_NS5tupleIssNS7_9null_typeES9_S9_S9_S9_S9_S9_S9_EENS0_10empty_typeEbEEZZNS1_14partition_implILS5_3ELb0ES3_jNS7_6detail15normal_iteratorINS7_7pointerISA_NS7_11hip_rocprim3tagENS7_11use_defaultESJ_EEEEPSB_SM_NS0_5tupleIJPSA_SM_EEENSN_IJSM_SM_EEESB_PlJ10is_orderedEEE10hipError_tPvRmT3_T4_T5_T6_T7_T9_mT8_P12ihipStream_tbDpT10_ENKUlT_T0_E_clISt17integral_constantIbLb1EES1B_IbLb0EEEEDaS17_S18_EUlS17_E_NS1_11comp_targetILNS1_3genE0ELNS1_11target_archE4294967295ELNS1_3gpuE0ELNS1_3repE0EEENS1_30default_config_static_selectorELNS0_4arch9wavefront6targetE1EEEvT1_,@function
_ZN7rocprim17ROCPRIM_400000_NS6detail17trampoline_kernelINS0_14default_configENS1_25partition_config_selectorILNS1_17partition_subalgoE3EN6thrust23THRUST_200600_302600_NS5tupleIssNS7_9null_typeES9_S9_S9_S9_S9_S9_S9_EENS0_10empty_typeEbEEZZNS1_14partition_implILS5_3ELb0ES3_jNS7_6detail15normal_iteratorINS7_7pointerISA_NS7_11hip_rocprim3tagENS7_11use_defaultESJ_EEEEPSB_SM_NS0_5tupleIJPSA_SM_EEENSN_IJSM_SM_EEESB_PlJ10is_orderedEEE10hipError_tPvRmT3_T4_T5_T6_T7_T9_mT8_P12ihipStream_tbDpT10_ENKUlT_T0_E_clISt17integral_constantIbLb1EES1B_IbLb0EEEEDaS17_S18_EUlS17_E_NS1_11comp_targetILNS1_3genE0ELNS1_11target_archE4294967295ELNS1_3gpuE0ELNS1_3repE0EEENS1_30default_config_static_selectorELNS0_4arch9wavefront6targetE1EEEvT1_: ; @_ZN7rocprim17ROCPRIM_400000_NS6detail17trampoline_kernelINS0_14default_configENS1_25partition_config_selectorILNS1_17partition_subalgoE3EN6thrust23THRUST_200600_302600_NS5tupleIssNS7_9null_typeES9_S9_S9_S9_S9_S9_S9_EENS0_10empty_typeEbEEZZNS1_14partition_implILS5_3ELb0ES3_jNS7_6detail15normal_iteratorINS7_7pointerISA_NS7_11hip_rocprim3tagENS7_11use_defaultESJ_EEEEPSB_SM_NS0_5tupleIJPSA_SM_EEENSN_IJSM_SM_EEESB_PlJ10is_orderedEEE10hipError_tPvRmT3_T4_T5_T6_T7_T9_mT8_P12ihipStream_tbDpT10_ENKUlT_T0_E_clISt17integral_constantIbLb1EES1B_IbLb0EEEEDaS17_S18_EUlS17_E_NS1_11comp_targetILNS1_3genE0ELNS1_11target_archE4294967295ELNS1_3gpuE0ELNS1_3repE0EEENS1_30default_config_static_selectorELNS0_4arch9wavefront6targetE1EEEvT1_
; %bb.0:
	.section	.rodata,"a",@progbits
	.p2align	6, 0x0
	.amdhsa_kernel _ZN7rocprim17ROCPRIM_400000_NS6detail17trampoline_kernelINS0_14default_configENS1_25partition_config_selectorILNS1_17partition_subalgoE3EN6thrust23THRUST_200600_302600_NS5tupleIssNS7_9null_typeES9_S9_S9_S9_S9_S9_S9_EENS0_10empty_typeEbEEZZNS1_14partition_implILS5_3ELb0ES3_jNS7_6detail15normal_iteratorINS7_7pointerISA_NS7_11hip_rocprim3tagENS7_11use_defaultESJ_EEEEPSB_SM_NS0_5tupleIJPSA_SM_EEENSN_IJSM_SM_EEESB_PlJ10is_orderedEEE10hipError_tPvRmT3_T4_T5_T6_T7_T9_mT8_P12ihipStream_tbDpT10_ENKUlT_T0_E_clISt17integral_constantIbLb1EES1B_IbLb0EEEEDaS17_S18_EUlS17_E_NS1_11comp_targetILNS1_3genE0ELNS1_11target_archE4294967295ELNS1_3gpuE0ELNS1_3repE0EEENS1_30default_config_static_selectorELNS0_4arch9wavefront6targetE1EEEvT1_
		.amdhsa_group_segment_fixed_size 0
		.amdhsa_private_segment_fixed_size 0
		.amdhsa_kernarg_size 120
		.amdhsa_user_sgpr_count 6
		.amdhsa_user_sgpr_private_segment_buffer 1
		.amdhsa_user_sgpr_dispatch_ptr 0
		.amdhsa_user_sgpr_queue_ptr 0
		.amdhsa_user_sgpr_kernarg_segment_ptr 1
		.amdhsa_user_sgpr_dispatch_id 0
		.amdhsa_user_sgpr_flat_scratch_init 0
		.amdhsa_user_sgpr_kernarg_preload_length 0
		.amdhsa_user_sgpr_kernarg_preload_offset 0
		.amdhsa_user_sgpr_private_segment_size 0
		.amdhsa_uses_dynamic_stack 0
		.amdhsa_system_sgpr_private_segment_wavefront_offset 0
		.amdhsa_system_sgpr_workgroup_id_x 1
		.amdhsa_system_sgpr_workgroup_id_y 0
		.amdhsa_system_sgpr_workgroup_id_z 0
		.amdhsa_system_sgpr_workgroup_info 0
		.amdhsa_system_vgpr_workitem_id 0
		.amdhsa_next_free_vgpr 1
		.amdhsa_next_free_sgpr 0
		.amdhsa_accum_offset 4
		.amdhsa_reserve_vcc 0
		.amdhsa_reserve_flat_scratch 0
		.amdhsa_float_round_mode_32 0
		.amdhsa_float_round_mode_16_64 0
		.amdhsa_float_denorm_mode_32 3
		.amdhsa_float_denorm_mode_16_64 3
		.amdhsa_dx10_clamp 1
		.amdhsa_ieee_mode 1
		.amdhsa_fp16_overflow 0
		.amdhsa_tg_split 0
		.amdhsa_exception_fp_ieee_invalid_op 0
		.amdhsa_exception_fp_denorm_src 0
		.amdhsa_exception_fp_ieee_div_zero 0
		.amdhsa_exception_fp_ieee_overflow 0
		.amdhsa_exception_fp_ieee_underflow 0
		.amdhsa_exception_fp_ieee_inexact 0
		.amdhsa_exception_int_div_zero 0
	.end_amdhsa_kernel
	.section	.text._ZN7rocprim17ROCPRIM_400000_NS6detail17trampoline_kernelINS0_14default_configENS1_25partition_config_selectorILNS1_17partition_subalgoE3EN6thrust23THRUST_200600_302600_NS5tupleIssNS7_9null_typeES9_S9_S9_S9_S9_S9_S9_EENS0_10empty_typeEbEEZZNS1_14partition_implILS5_3ELb0ES3_jNS7_6detail15normal_iteratorINS7_7pointerISA_NS7_11hip_rocprim3tagENS7_11use_defaultESJ_EEEEPSB_SM_NS0_5tupleIJPSA_SM_EEENSN_IJSM_SM_EEESB_PlJ10is_orderedEEE10hipError_tPvRmT3_T4_T5_T6_T7_T9_mT8_P12ihipStream_tbDpT10_ENKUlT_T0_E_clISt17integral_constantIbLb1EES1B_IbLb0EEEEDaS17_S18_EUlS17_E_NS1_11comp_targetILNS1_3genE0ELNS1_11target_archE4294967295ELNS1_3gpuE0ELNS1_3repE0EEENS1_30default_config_static_selectorELNS0_4arch9wavefront6targetE1EEEvT1_,"axG",@progbits,_ZN7rocprim17ROCPRIM_400000_NS6detail17trampoline_kernelINS0_14default_configENS1_25partition_config_selectorILNS1_17partition_subalgoE3EN6thrust23THRUST_200600_302600_NS5tupleIssNS7_9null_typeES9_S9_S9_S9_S9_S9_S9_EENS0_10empty_typeEbEEZZNS1_14partition_implILS5_3ELb0ES3_jNS7_6detail15normal_iteratorINS7_7pointerISA_NS7_11hip_rocprim3tagENS7_11use_defaultESJ_EEEEPSB_SM_NS0_5tupleIJPSA_SM_EEENSN_IJSM_SM_EEESB_PlJ10is_orderedEEE10hipError_tPvRmT3_T4_T5_T6_T7_T9_mT8_P12ihipStream_tbDpT10_ENKUlT_T0_E_clISt17integral_constantIbLb1EES1B_IbLb0EEEEDaS17_S18_EUlS17_E_NS1_11comp_targetILNS1_3genE0ELNS1_11target_archE4294967295ELNS1_3gpuE0ELNS1_3repE0EEENS1_30default_config_static_selectorELNS0_4arch9wavefront6targetE1EEEvT1_,comdat
.Lfunc_end3545:
	.size	_ZN7rocprim17ROCPRIM_400000_NS6detail17trampoline_kernelINS0_14default_configENS1_25partition_config_selectorILNS1_17partition_subalgoE3EN6thrust23THRUST_200600_302600_NS5tupleIssNS7_9null_typeES9_S9_S9_S9_S9_S9_S9_EENS0_10empty_typeEbEEZZNS1_14partition_implILS5_3ELb0ES3_jNS7_6detail15normal_iteratorINS7_7pointerISA_NS7_11hip_rocprim3tagENS7_11use_defaultESJ_EEEEPSB_SM_NS0_5tupleIJPSA_SM_EEENSN_IJSM_SM_EEESB_PlJ10is_orderedEEE10hipError_tPvRmT3_T4_T5_T6_T7_T9_mT8_P12ihipStream_tbDpT10_ENKUlT_T0_E_clISt17integral_constantIbLb1EES1B_IbLb0EEEEDaS17_S18_EUlS17_E_NS1_11comp_targetILNS1_3genE0ELNS1_11target_archE4294967295ELNS1_3gpuE0ELNS1_3repE0EEENS1_30default_config_static_selectorELNS0_4arch9wavefront6targetE1EEEvT1_, .Lfunc_end3545-_ZN7rocprim17ROCPRIM_400000_NS6detail17trampoline_kernelINS0_14default_configENS1_25partition_config_selectorILNS1_17partition_subalgoE3EN6thrust23THRUST_200600_302600_NS5tupleIssNS7_9null_typeES9_S9_S9_S9_S9_S9_S9_EENS0_10empty_typeEbEEZZNS1_14partition_implILS5_3ELb0ES3_jNS7_6detail15normal_iteratorINS7_7pointerISA_NS7_11hip_rocprim3tagENS7_11use_defaultESJ_EEEEPSB_SM_NS0_5tupleIJPSA_SM_EEENSN_IJSM_SM_EEESB_PlJ10is_orderedEEE10hipError_tPvRmT3_T4_T5_T6_T7_T9_mT8_P12ihipStream_tbDpT10_ENKUlT_T0_E_clISt17integral_constantIbLb1EES1B_IbLb0EEEEDaS17_S18_EUlS17_E_NS1_11comp_targetILNS1_3genE0ELNS1_11target_archE4294967295ELNS1_3gpuE0ELNS1_3repE0EEENS1_30default_config_static_selectorELNS0_4arch9wavefront6targetE1EEEvT1_
                                        ; -- End function
	.section	.AMDGPU.csdata,"",@progbits
; Kernel info:
; codeLenInByte = 0
; NumSgprs: 4
; NumVgprs: 0
; NumAgprs: 0
; TotalNumVgprs: 0
; ScratchSize: 0
; MemoryBound: 0
; FloatMode: 240
; IeeeMode: 1
; LDSByteSize: 0 bytes/workgroup (compile time only)
; SGPRBlocks: 0
; VGPRBlocks: 0
; NumSGPRsForWavesPerEU: 4
; NumVGPRsForWavesPerEU: 1
; AccumOffset: 4
; Occupancy: 8
; WaveLimiterHint : 0
; COMPUTE_PGM_RSRC2:SCRATCH_EN: 0
; COMPUTE_PGM_RSRC2:USER_SGPR: 6
; COMPUTE_PGM_RSRC2:TRAP_HANDLER: 0
; COMPUTE_PGM_RSRC2:TGID_X_EN: 1
; COMPUTE_PGM_RSRC2:TGID_Y_EN: 0
; COMPUTE_PGM_RSRC2:TGID_Z_EN: 0
; COMPUTE_PGM_RSRC2:TIDIG_COMP_CNT: 0
; COMPUTE_PGM_RSRC3_GFX90A:ACCUM_OFFSET: 0
; COMPUTE_PGM_RSRC3_GFX90A:TG_SPLIT: 0
	.section	.text._ZN7rocprim17ROCPRIM_400000_NS6detail17trampoline_kernelINS0_14default_configENS1_25partition_config_selectorILNS1_17partition_subalgoE3EN6thrust23THRUST_200600_302600_NS5tupleIssNS7_9null_typeES9_S9_S9_S9_S9_S9_S9_EENS0_10empty_typeEbEEZZNS1_14partition_implILS5_3ELb0ES3_jNS7_6detail15normal_iteratorINS7_7pointerISA_NS7_11hip_rocprim3tagENS7_11use_defaultESJ_EEEEPSB_SM_NS0_5tupleIJPSA_SM_EEENSN_IJSM_SM_EEESB_PlJ10is_orderedEEE10hipError_tPvRmT3_T4_T5_T6_T7_T9_mT8_P12ihipStream_tbDpT10_ENKUlT_T0_E_clISt17integral_constantIbLb1EES1B_IbLb0EEEEDaS17_S18_EUlS17_E_NS1_11comp_targetILNS1_3genE5ELNS1_11target_archE942ELNS1_3gpuE9ELNS1_3repE0EEENS1_30default_config_static_selectorELNS0_4arch9wavefront6targetE1EEEvT1_,"axG",@progbits,_ZN7rocprim17ROCPRIM_400000_NS6detail17trampoline_kernelINS0_14default_configENS1_25partition_config_selectorILNS1_17partition_subalgoE3EN6thrust23THRUST_200600_302600_NS5tupleIssNS7_9null_typeES9_S9_S9_S9_S9_S9_S9_EENS0_10empty_typeEbEEZZNS1_14partition_implILS5_3ELb0ES3_jNS7_6detail15normal_iteratorINS7_7pointerISA_NS7_11hip_rocprim3tagENS7_11use_defaultESJ_EEEEPSB_SM_NS0_5tupleIJPSA_SM_EEENSN_IJSM_SM_EEESB_PlJ10is_orderedEEE10hipError_tPvRmT3_T4_T5_T6_T7_T9_mT8_P12ihipStream_tbDpT10_ENKUlT_T0_E_clISt17integral_constantIbLb1EES1B_IbLb0EEEEDaS17_S18_EUlS17_E_NS1_11comp_targetILNS1_3genE5ELNS1_11target_archE942ELNS1_3gpuE9ELNS1_3repE0EEENS1_30default_config_static_selectorELNS0_4arch9wavefront6targetE1EEEvT1_,comdat
	.protected	_ZN7rocprim17ROCPRIM_400000_NS6detail17trampoline_kernelINS0_14default_configENS1_25partition_config_selectorILNS1_17partition_subalgoE3EN6thrust23THRUST_200600_302600_NS5tupleIssNS7_9null_typeES9_S9_S9_S9_S9_S9_S9_EENS0_10empty_typeEbEEZZNS1_14partition_implILS5_3ELb0ES3_jNS7_6detail15normal_iteratorINS7_7pointerISA_NS7_11hip_rocprim3tagENS7_11use_defaultESJ_EEEEPSB_SM_NS0_5tupleIJPSA_SM_EEENSN_IJSM_SM_EEESB_PlJ10is_orderedEEE10hipError_tPvRmT3_T4_T5_T6_T7_T9_mT8_P12ihipStream_tbDpT10_ENKUlT_T0_E_clISt17integral_constantIbLb1EES1B_IbLb0EEEEDaS17_S18_EUlS17_E_NS1_11comp_targetILNS1_3genE5ELNS1_11target_archE942ELNS1_3gpuE9ELNS1_3repE0EEENS1_30default_config_static_selectorELNS0_4arch9wavefront6targetE1EEEvT1_ ; -- Begin function _ZN7rocprim17ROCPRIM_400000_NS6detail17trampoline_kernelINS0_14default_configENS1_25partition_config_selectorILNS1_17partition_subalgoE3EN6thrust23THRUST_200600_302600_NS5tupleIssNS7_9null_typeES9_S9_S9_S9_S9_S9_S9_EENS0_10empty_typeEbEEZZNS1_14partition_implILS5_3ELb0ES3_jNS7_6detail15normal_iteratorINS7_7pointerISA_NS7_11hip_rocprim3tagENS7_11use_defaultESJ_EEEEPSB_SM_NS0_5tupleIJPSA_SM_EEENSN_IJSM_SM_EEESB_PlJ10is_orderedEEE10hipError_tPvRmT3_T4_T5_T6_T7_T9_mT8_P12ihipStream_tbDpT10_ENKUlT_T0_E_clISt17integral_constantIbLb1EES1B_IbLb0EEEEDaS17_S18_EUlS17_E_NS1_11comp_targetILNS1_3genE5ELNS1_11target_archE942ELNS1_3gpuE9ELNS1_3repE0EEENS1_30default_config_static_selectorELNS0_4arch9wavefront6targetE1EEEvT1_
	.globl	_ZN7rocprim17ROCPRIM_400000_NS6detail17trampoline_kernelINS0_14default_configENS1_25partition_config_selectorILNS1_17partition_subalgoE3EN6thrust23THRUST_200600_302600_NS5tupleIssNS7_9null_typeES9_S9_S9_S9_S9_S9_S9_EENS0_10empty_typeEbEEZZNS1_14partition_implILS5_3ELb0ES3_jNS7_6detail15normal_iteratorINS7_7pointerISA_NS7_11hip_rocprim3tagENS7_11use_defaultESJ_EEEEPSB_SM_NS0_5tupleIJPSA_SM_EEENSN_IJSM_SM_EEESB_PlJ10is_orderedEEE10hipError_tPvRmT3_T4_T5_T6_T7_T9_mT8_P12ihipStream_tbDpT10_ENKUlT_T0_E_clISt17integral_constantIbLb1EES1B_IbLb0EEEEDaS17_S18_EUlS17_E_NS1_11comp_targetILNS1_3genE5ELNS1_11target_archE942ELNS1_3gpuE9ELNS1_3repE0EEENS1_30default_config_static_selectorELNS0_4arch9wavefront6targetE1EEEvT1_
	.p2align	8
	.type	_ZN7rocprim17ROCPRIM_400000_NS6detail17trampoline_kernelINS0_14default_configENS1_25partition_config_selectorILNS1_17partition_subalgoE3EN6thrust23THRUST_200600_302600_NS5tupleIssNS7_9null_typeES9_S9_S9_S9_S9_S9_S9_EENS0_10empty_typeEbEEZZNS1_14partition_implILS5_3ELb0ES3_jNS7_6detail15normal_iteratorINS7_7pointerISA_NS7_11hip_rocprim3tagENS7_11use_defaultESJ_EEEEPSB_SM_NS0_5tupleIJPSA_SM_EEENSN_IJSM_SM_EEESB_PlJ10is_orderedEEE10hipError_tPvRmT3_T4_T5_T6_T7_T9_mT8_P12ihipStream_tbDpT10_ENKUlT_T0_E_clISt17integral_constantIbLb1EES1B_IbLb0EEEEDaS17_S18_EUlS17_E_NS1_11comp_targetILNS1_3genE5ELNS1_11target_archE942ELNS1_3gpuE9ELNS1_3repE0EEENS1_30default_config_static_selectorELNS0_4arch9wavefront6targetE1EEEvT1_,@function
_ZN7rocprim17ROCPRIM_400000_NS6detail17trampoline_kernelINS0_14default_configENS1_25partition_config_selectorILNS1_17partition_subalgoE3EN6thrust23THRUST_200600_302600_NS5tupleIssNS7_9null_typeES9_S9_S9_S9_S9_S9_S9_EENS0_10empty_typeEbEEZZNS1_14partition_implILS5_3ELb0ES3_jNS7_6detail15normal_iteratorINS7_7pointerISA_NS7_11hip_rocprim3tagENS7_11use_defaultESJ_EEEEPSB_SM_NS0_5tupleIJPSA_SM_EEENSN_IJSM_SM_EEESB_PlJ10is_orderedEEE10hipError_tPvRmT3_T4_T5_T6_T7_T9_mT8_P12ihipStream_tbDpT10_ENKUlT_T0_E_clISt17integral_constantIbLb1EES1B_IbLb0EEEEDaS17_S18_EUlS17_E_NS1_11comp_targetILNS1_3genE5ELNS1_11target_archE942ELNS1_3gpuE9ELNS1_3repE0EEENS1_30default_config_static_selectorELNS0_4arch9wavefront6targetE1EEEvT1_: ; @_ZN7rocprim17ROCPRIM_400000_NS6detail17trampoline_kernelINS0_14default_configENS1_25partition_config_selectorILNS1_17partition_subalgoE3EN6thrust23THRUST_200600_302600_NS5tupleIssNS7_9null_typeES9_S9_S9_S9_S9_S9_S9_EENS0_10empty_typeEbEEZZNS1_14partition_implILS5_3ELb0ES3_jNS7_6detail15normal_iteratorINS7_7pointerISA_NS7_11hip_rocprim3tagENS7_11use_defaultESJ_EEEEPSB_SM_NS0_5tupleIJPSA_SM_EEENSN_IJSM_SM_EEESB_PlJ10is_orderedEEE10hipError_tPvRmT3_T4_T5_T6_T7_T9_mT8_P12ihipStream_tbDpT10_ENKUlT_T0_E_clISt17integral_constantIbLb1EES1B_IbLb0EEEEDaS17_S18_EUlS17_E_NS1_11comp_targetILNS1_3genE5ELNS1_11target_archE942ELNS1_3gpuE9ELNS1_3repE0EEENS1_30default_config_static_selectorELNS0_4arch9wavefront6targetE1EEEvT1_
; %bb.0:
	.section	.rodata,"a",@progbits
	.p2align	6, 0x0
	.amdhsa_kernel _ZN7rocprim17ROCPRIM_400000_NS6detail17trampoline_kernelINS0_14default_configENS1_25partition_config_selectorILNS1_17partition_subalgoE3EN6thrust23THRUST_200600_302600_NS5tupleIssNS7_9null_typeES9_S9_S9_S9_S9_S9_S9_EENS0_10empty_typeEbEEZZNS1_14partition_implILS5_3ELb0ES3_jNS7_6detail15normal_iteratorINS7_7pointerISA_NS7_11hip_rocprim3tagENS7_11use_defaultESJ_EEEEPSB_SM_NS0_5tupleIJPSA_SM_EEENSN_IJSM_SM_EEESB_PlJ10is_orderedEEE10hipError_tPvRmT3_T4_T5_T6_T7_T9_mT8_P12ihipStream_tbDpT10_ENKUlT_T0_E_clISt17integral_constantIbLb1EES1B_IbLb0EEEEDaS17_S18_EUlS17_E_NS1_11comp_targetILNS1_3genE5ELNS1_11target_archE942ELNS1_3gpuE9ELNS1_3repE0EEENS1_30default_config_static_selectorELNS0_4arch9wavefront6targetE1EEEvT1_
		.amdhsa_group_segment_fixed_size 0
		.amdhsa_private_segment_fixed_size 0
		.amdhsa_kernarg_size 120
		.amdhsa_user_sgpr_count 6
		.amdhsa_user_sgpr_private_segment_buffer 1
		.amdhsa_user_sgpr_dispatch_ptr 0
		.amdhsa_user_sgpr_queue_ptr 0
		.amdhsa_user_sgpr_kernarg_segment_ptr 1
		.amdhsa_user_sgpr_dispatch_id 0
		.amdhsa_user_sgpr_flat_scratch_init 0
		.amdhsa_user_sgpr_kernarg_preload_length 0
		.amdhsa_user_sgpr_kernarg_preload_offset 0
		.amdhsa_user_sgpr_private_segment_size 0
		.amdhsa_uses_dynamic_stack 0
		.amdhsa_system_sgpr_private_segment_wavefront_offset 0
		.amdhsa_system_sgpr_workgroup_id_x 1
		.amdhsa_system_sgpr_workgroup_id_y 0
		.amdhsa_system_sgpr_workgroup_id_z 0
		.amdhsa_system_sgpr_workgroup_info 0
		.amdhsa_system_vgpr_workitem_id 0
		.amdhsa_next_free_vgpr 1
		.amdhsa_next_free_sgpr 0
		.amdhsa_accum_offset 4
		.amdhsa_reserve_vcc 0
		.amdhsa_reserve_flat_scratch 0
		.amdhsa_float_round_mode_32 0
		.amdhsa_float_round_mode_16_64 0
		.amdhsa_float_denorm_mode_32 3
		.amdhsa_float_denorm_mode_16_64 3
		.amdhsa_dx10_clamp 1
		.amdhsa_ieee_mode 1
		.amdhsa_fp16_overflow 0
		.amdhsa_tg_split 0
		.amdhsa_exception_fp_ieee_invalid_op 0
		.amdhsa_exception_fp_denorm_src 0
		.amdhsa_exception_fp_ieee_div_zero 0
		.amdhsa_exception_fp_ieee_overflow 0
		.amdhsa_exception_fp_ieee_underflow 0
		.amdhsa_exception_fp_ieee_inexact 0
		.amdhsa_exception_int_div_zero 0
	.end_amdhsa_kernel
	.section	.text._ZN7rocprim17ROCPRIM_400000_NS6detail17trampoline_kernelINS0_14default_configENS1_25partition_config_selectorILNS1_17partition_subalgoE3EN6thrust23THRUST_200600_302600_NS5tupleIssNS7_9null_typeES9_S9_S9_S9_S9_S9_S9_EENS0_10empty_typeEbEEZZNS1_14partition_implILS5_3ELb0ES3_jNS7_6detail15normal_iteratorINS7_7pointerISA_NS7_11hip_rocprim3tagENS7_11use_defaultESJ_EEEEPSB_SM_NS0_5tupleIJPSA_SM_EEENSN_IJSM_SM_EEESB_PlJ10is_orderedEEE10hipError_tPvRmT3_T4_T5_T6_T7_T9_mT8_P12ihipStream_tbDpT10_ENKUlT_T0_E_clISt17integral_constantIbLb1EES1B_IbLb0EEEEDaS17_S18_EUlS17_E_NS1_11comp_targetILNS1_3genE5ELNS1_11target_archE942ELNS1_3gpuE9ELNS1_3repE0EEENS1_30default_config_static_selectorELNS0_4arch9wavefront6targetE1EEEvT1_,"axG",@progbits,_ZN7rocprim17ROCPRIM_400000_NS6detail17trampoline_kernelINS0_14default_configENS1_25partition_config_selectorILNS1_17partition_subalgoE3EN6thrust23THRUST_200600_302600_NS5tupleIssNS7_9null_typeES9_S9_S9_S9_S9_S9_S9_EENS0_10empty_typeEbEEZZNS1_14partition_implILS5_3ELb0ES3_jNS7_6detail15normal_iteratorINS7_7pointerISA_NS7_11hip_rocprim3tagENS7_11use_defaultESJ_EEEEPSB_SM_NS0_5tupleIJPSA_SM_EEENSN_IJSM_SM_EEESB_PlJ10is_orderedEEE10hipError_tPvRmT3_T4_T5_T6_T7_T9_mT8_P12ihipStream_tbDpT10_ENKUlT_T0_E_clISt17integral_constantIbLb1EES1B_IbLb0EEEEDaS17_S18_EUlS17_E_NS1_11comp_targetILNS1_3genE5ELNS1_11target_archE942ELNS1_3gpuE9ELNS1_3repE0EEENS1_30default_config_static_selectorELNS0_4arch9wavefront6targetE1EEEvT1_,comdat
.Lfunc_end3546:
	.size	_ZN7rocprim17ROCPRIM_400000_NS6detail17trampoline_kernelINS0_14default_configENS1_25partition_config_selectorILNS1_17partition_subalgoE3EN6thrust23THRUST_200600_302600_NS5tupleIssNS7_9null_typeES9_S9_S9_S9_S9_S9_S9_EENS0_10empty_typeEbEEZZNS1_14partition_implILS5_3ELb0ES3_jNS7_6detail15normal_iteratorINS7_7pointerISA_NS7_11hip_rocprim3tagENS7_11use_defaultESJ_EEEEPSB_SM_NS0_5tupleIJPSA_SM_EEENSN_IJSM_SM_EEESB_PlJ10is_orderedEEE10hipError_tPvRmT3_T4_T5_T6_T7_T9_mT8_P12ihipStream_tbDpT10_ENKUlT_T0_E_clISt17integral_constantIbLb1EES1B_IbLb0EEEEDaS17_S18_EUlS17_E_NS1_11comp_targetILNS1_3genE5ELNS1_11target_archE942ELNS1_3gpuE9ELNS1_3repE0EEENS1_30default_config_static_selectorELNS0_4arch9wavefront6targetE1EEEvT1_, .Lfunc_end3546-_ZN7rocprim17ROCPRIM_400000_NS6detail17trampoline_kernelINS0_14default_configENS1_25partition_config_selectorILNS1_17partition_subalgoE3EN6thrust23THRUST_200600_302600_NS5tupleIssNS7_9null_typeES9_S9_S9_S9_S9_S9_S9_EENS0_10empty_typeEbEEZZNS1_14partition_implILS5_3ELb0ES3_jNS7_6detail15normal_iteratorINS7_7pointerISA_NS7_11hip_rocprim3tagENS7_11use_defaultESJ_EEEEPSB_SM_NS0_5tupleIJPSA_SM_EEENSN_IJSM_SM_EEESB_PlJ10is_orderedEEE10hipError_tPvRmT3_T4_T5_T6_T7_T9_mT8_P12ihipStream_tbDpT10_ENKUlT_T0_E_clISt17integral_constantIbLb1EES1B_IbLb0EEEEDaS17_S18_EUlS17_E_NS1_11comp_targetILNS1_3genE5ELNS1_11target_archE942ELNS1_3gpuE9ELNS1_3repE0EEENS1_30default_config_static_selectorELNS0_4arch9wavefront6targetE1EEEvT1_
                                        ; -- End function
	.section	.AMDGPU.csdata,"",@progbits
; Kernel info:
; codeLenInByte = 0
; NumSgprs: 4
; NumVgprs: 0
; NumAgprs: 0
; TotalNumVgprs: 0
; ScratchSize: 0
; MemoryBound: 0
; FloatMode: 240
; IeeeMode: 1
; LDSByteSize: 0 bytes/workgroup (compile time only)
; SGPRBlocks: 0
; VGPRBlocks: 0
; NumSGPRsForWavesPerEU: 4
; NumVGPRsForWavesPerEU: 1
; AccumOffset: 4
; Occupancy: 8
; WaveLimiterHint : 0
; COMPUTE_PGM_RSRC2:SCRATCH_EN: 0
; COMPUTE_PGM_RSRC2:USER_SGPR: 6
; COMPUTE_PGM_RSRC2:TRAP_HANDLER: 0
; COMPUTE_PGM_RSRC2:TGID_X_EN: 1
; COMPUTE_PGM_RSRC2:TGID_Y_EN: 0
; COMPUTE_PGM_RSRC2:TGID_Z_EN: 0
; COMPUTE_PGM_RSRC2:TIDIG_COMP_CNT: 0
; COMPUTE_PGM_RSRC3_GFX90A:ACCUM_OFFSET: 0
; COMPUTE_PGM_RSRC3_GFX90A:TG_SPLIT: 0
	.section	.text._ZN7rocprim17ROCPRIM_400000_NS6detail17trampoline_kernelINS0_14default_configENS1_25partition_config_selectorILNS1_17partition_subalgoE3EN6thrust23THRUST_200600_302600_NS5tupleIssNS7_9null_typeES9_S9_S9_S9_S9_S9_S9_EENS0_10empty_typeEbEEZZNS1_14partition_implILS5_3ELb0ES3_jNS7_6detail15normal_iteratorINS7_7pointerISA_NS7_11hip_rocprim3tagENS7_11use_defaultESJ_EEEEPSB_SM_NS0_5tupleIJPSA_SM_EEENSN_IJSM_SM_EEESB_PlJ10is_orderedEEE10hipError_tPvRmT3_T4_T5_T6_T7_T9_mT8_P12ihipStream_tbDpT10_ENKUlT_T0_E_clISt17integral_constantIbLb1EES1B_IbLb0EEEEDaS17_S18_EUlS17_E_NS1_11comp_targetILNS1_3genE4ELNS1_11target_archE910ELNS1_3gpuE8ELNS1_3repE0EEENS1_30default_config_static_selectorELNS0_4arch9wavefront6targetE1EEEvT1_,"axG",@progbits,_ZN7rocprim17ROCPRIM_400000_NS6detail17trampoline_kernelINS0_14default_configENS1_25partition_config_selectorILNS1_17partition_subalgoE3EN6thrust23THRUST_200600_302600_NS5tupleIssNS7_9null_typeES9_S9_S9_S9_S9_S9_S9_EENS0_10empty_typeEbEEZZNS1_14partition_implILS5_3ELb0ES3_jNS7_6detail15normal_iteratorINS7_7pointerISA_NS7_11hip_rocprim3tagENS7_11use_defaultESJ_EEEEPSB_SM_NS0_5tupleIJPSA_SM_EEENSN_IJSM_SM_EEESB_PlJ10is_orderedEEE10hipError_tPvRmT3_T4_T5_T6_T7_T9_mT8_P12ihipStream_tbDpT10_ENKUlT_T0_E_clISt17integral_constantIbLb1EES1B_IbLb0EEEEDaS17_S18_EUlS17_E_NS1_11comp_targetILNS1_3genE4ELNS1_11target_archE910ELNS1_3gpuE8ELNS1_3repE0EEENS1_30default_config_static_selectorELNS0_4arch9wavefront6targetE1EEEvT1_,comdat
	.protected	_ZN7rocprim17ROCPRIM_400000_NS6detail17trampoline_kernelINS0_14default_configENS1_25partition_config_selectorILNS1_17partition_subalgoE3EN6thrust23THRUST_200600_302600_NS5tupleIssNS7_9null_typeES9_S9_S9_S9_S9_S9_S9_EENS0_10empty_typeEbEEZZNS1_14partition_implILS5_3ELb0ES3_jNS7_6detail15normal_iteratorINS7_7pointerISA_NS7_11hip_rocprim3tagENS7_11use_defaultESJ_EEEEPSB_SM_NS0_5tupleIJPSA_SM_EEENSN_IJSM_SM_EEESB_PlJ10is_orderedEEE10hipError_tPvRmT3_T4_T5_T6_T7_T9_mT8_P12ihipStream_tbDpT10_ENKUlT_T0_E_clISt17integral_constantIbLb1EES1B_IbLb0EEEEDaS17_S18_EUlS17_E_NS1_11comp_targetILNS1_3genE4ELNS1_11target_archE910ELNS1_3gpuE8ELNS1_3repE0EEENS1_30default_config_static_selectorELNS0_4arch9wavefront6targetE1EEEvT1_ ; -- Begin function _ZN7rocprim17ROCPRIM_400000_NS6detail17trampoline_kernelINS0_14default_configENS1_25partition_config_selectorILNS1_17partition_subalgoE3EN6thrust23THRUST_200600_302600_NS5tupleIssNS7_9null_typeES9_S9_S9_S9_S9_S9_S9_EENS0_10empty_typeEbEEZZNS1_14partition_implILS5_3ELb0ES3_jNS7_6detail15normal_iteratorINS7_7pointerISA_NS7_11hip_rocprim3tagENS7_11use_defaultESJ_EEEEPSB_SM_NS0_5tupleIJPSA_SM_EEENSN_IJSM_SM_EEESB_PlJ10is_orderedEEE10hipError_tPvRmT3_T4_T5_T6_T7_T9_mT8_P12ihipStream_tbDpT10_ENKUlT_T0_E_clISt17integral_constantIbLb1EES1B_IbLb0EEEEDaS17_S18_EUlS17_E_NS1_11comp_targetILNS1_3genE4ELNS1_11target_archE910ELNS1_3gpuE8ELNS1_3repE0EEENS1_30default_config_static_selectorELNS0_4arch9wavefront6targetE1EEEvT1_
	.globl	_ZN7rocprim17ROCPRIM_400000_NS6detail17trampoline_kernelINS0_14default_configENS1_25partition_config_selectorILNS1_17partition_subalgoE3EN6thrust23THRUST_200600_302600_NS5tupleIssNS7_9null_typeES9_S9_S9_S9_S9_S9_S9_EENS0_10empty_typeEbEEZZNS1_14partition_implILS5_3ELb0ES3_jNS7_6detail15normal_iteratorINS7_7pointerISA_NS7_11hip_rocprim3tagENS7_11use_defaultESJ_EEEEPSB_SM_NS0_5tupleIJPSA_SM_EEENSN_IJSM_SM_EEESB_PlJ10is_orderedEEE10hipError_tPvRmT3_T4_T5_T6_T7_T9_mT8_P12ihipStream_tbDpT10_ENKUlT_T0_E_clISt17integral_constantIbLb1EES1B_IbLb0EEEEDaS17_S18_EUlS17_E_NS1_11comp_targetILNS1_3genE4ELNS1_11target_archE910ELNS1_3gpuE8ELNS1_3repE0EEENS1_30default_config_static_selectorELNS0_4arch9wavefront6targetE1EEEvT1_
	.p2align	8
	.type	_ZN7rocprim17ROCPRIM_400000_NS6detail17trampoline_kernelINS0_14default_configENS1_25partition_config_selectorILNS1_17partition_subalgoE3EN6thrust23THRUST_200600_302600_NS5tupleIssNS7_9null_typeES9_S9_S9_S9_S9_S9_S9_EENS0_10empty_typeEbEEZZNS1_14partition_implILS5_3ELb0ES3_jNS7_6detail15normal_iteratorINS7_7pointerISA_NS7_11hip_rocprim3tagENS7_11use_defaultESJ_EEEEPSB_SM_NS0_5tupleIJPSA_SM_EEENSN_IJSM_SM_EEESB_PlJ10is_orderedEEE10hipError_tPvRmT3_T4_T5_T6_T7_T9_mT8_P12ihipStream_tbDpT10_ENKUlT_T0_E_clISt17integral_constantIbLb1EES1B_IbLb0EEEEDaS17_S18_EUlS17_E_NS1_11comp_targetILNS1_3genE4ELNS1_11target_archE910ELNS1_3gpuE8ELNS1_3repE0EEENS1_30default_config_static_selectorELNS0_4arch9wavefront6targetE1EEEvT1_,@function
_ZN7rocprim17ROCPRIM_400000_NS6detail17trampoline_kernelINS0_14default_configENS1_25partition_config_selectorILNS1_17partition_subalgoE3EN6thrust23THRUST_200600_302600_NS5tupleIssNS7_9null_typeES9_S9_S9_S9_S9_S9_S9_EENS0_10empty_typeEbEEZZNS1_14partition_implILS5_3ELb0ES3_jNS7_6detail15normal_iteratorINS7_7pointerISA_NS7_11hip_rocprim3tagENS7_11use_defaultESJ_EEEEPSB_SM_NS0_5tupleIJPSA_SM_EEENSN_IJSM_SM_EEESB_PlJ10is_orderedEEE10hipError_tPvRmT3_T4_T5_T6_T7_T9_mT8_P12ihipStream_tbDpT10_ENKUlT_T0_E_clISt17integral_constantIbLb1EES1B_IbLb0EEEEDaS17_S18_EUlS17_E_NS1_11comp_targetILNS1_3genE4ELNS1_11target_archE910ELNS1_3gpuE8ELNS1_3repE0EEENS1_30default_config_static_selectorELNS0_4arch9wavefront6targetE1EEEvT1_: ; @_ZN7rocprim17ROCPRIM_400000_NS6detail17trampoline_kernelINS0_14default_configENS1_25partition_config_selectorILNS1_17partition_subalgoE3EN6thrust23THRUST_200600_302600_NS5tupleIssNS7_9null_typeES9_S9_S9_S9_S9_S9_S9_EENS0_10empty_typeEbEEZZNS1_14partition_implILS5_3ELb0ES3_jNS7_6detail15normal_iteratorINS7_7pointerISA_NS7_11hip_rocprim3tagENS7_11use_defaultESJ_EEEEPSB_SM_NS0_5tupleIJPSA_SM_EEENSN_IJSM_SM_EEESB_PlJ10is_orderedEEE10hipError_tPvRmT3_T4_T5_T6_T7_T9_mT8_P12ihipStream_tbDpT10_ENKUlT_T0_E_clISt17integral_constantIbLb1EES1B_IbLb0EEEEDaS17_S18_EUlS17_E_NS1_11comp_targetILNS1_3genE4ELNS1_11target_archE910ELNS1_3gpuE8ELNS1_3repE0EEENS1_30default_config_static_selectorELNS0_4arch9wavefront6targetE1EEEvT1_
; %bb.0:
	s_load_dwordx4 s[20:23], s[4:5], 0x8
	s_load_dwordx4 s[24:27], s[4:5], 0x48
	s_load_dwordx2 s[28:29], s[4:5], 0x58
	s_load_dword s2, s[4:5], 0x70
	s_mov_b32 s35, 0
	s_waitcnt lgkmcnt(0)
	s_lshl_b64 s[0:1], s[22:23], 2
	s_add_u32 s7, s20, s0
	s_addc_u32 s8, s21, s1
	s_mul_i32 s0, s2, 0xa00
	s_add_i32 s1, s0, s22
	s_sub_i32 s33, s28, s1
	s_add_i32 s3, s2, -1
	s_addk_i32 s33, 0xa00
	s_add_u32 s0, s22, s0
	s_addc_u32 s1, s23, 0
	s_cmp_eq_u32 s6, s3
	s_load_dwordx2 s[30:31], s[26:27], 0x0
	s_cselect_b64 s[26:27], -1, 0
	s_cmp_lg_u32 s6, s3
	v_pk_mov_b32 v[2:3], s[28:29], s[28:29] op_sel:[0,1]
	s_cselect_b64 s[2:3], -1, 0
	s_mul_i32 s34, s6, 0xa00
	v_cmp_lt_u64_e32 vcc, s[0:1], v[2:3]
	s_or_b64 s[2:3], s[2:3], vcc
	s_lshl_b64 s[0:1], s[34:35], 2
	s_add_u32 s7, s7, s0
	s_addc_u32 s10, s8, s1
	s_mov_b64 s[0:1], -1
	s_and_b64 vcc, exec, s[2:3]
	v_lshlrev_b32_e32 v1, 2, v0
	s_cbranch_vccz .LBB3547_2
; %bb.1:
	v_mov_b32_e32 v3, s10
	v_add_co_u32_e32 v2, vcc, s7, v1
	v_addc_co_u32_e32 v3, vcc, 0, v3, vcc
	v_add_co_u32_e32 v4, vcc, 0x1000, v2
	v_addc_co_u32_e32 v5, vcc, 0, v3, vcc
	flat_load_dword v6, v[2:3]
	flat_load_dword v7, v[2:3] offset:1024
	flat_load_dword v8, v[2:3] offset:2048
	;; [unrolled: 1-line block ×3, first 2 shown]
	flat_load_dword v10, v[4:5]
	flat_load_dword v11, v[4:5] offset:1024
	flat_load_dword v12, v[4:5] offset:2048
	;; [unrolled: 1-line block ×3, first 2 shown]
	v_add_co_u32_e32 v2, vcc, 0x2000, v2
	v_addc_co_u32_e32 v3, vcc, 0, v3, vcc
	flat_load_dword v4, v[2:3]
	flat_load_dword v5, v[2:3] offset:1024
	s_mov_b64 s[0:1], 0
	s_waitcnt vmcnt(0) lgkmcnt(0)
	ds_write2st64_b32 v1, v6, v7 offset1:4
	ds_write2st64_b32 v1, v8, v9 offset0:8 offset1:12
	ds_write2st64_b32 v1, v10, v11 offset0:16 offset1:20
	;; [unrolled: 1-line block ×4, first 2 shown]
	s_waitcnt lgkmcnt(0)
	s_barrier
.LBB3547_2:
	s_andn2_b64 vcc, exec, s[0:1]
	v_cmp_gt_u32_e64 s[0:1], s33, v0
	s_cbranch_vccnz .LBB3547_24
; %bb.3:
	v_mov_b32_e32 v2, 0
	v_mov_b32_e32 v3, 0
	s_and_saveexec_b64 s[8:9], s[0:1]
	s_cbranch_execz .LBB3547_5
; %bb.4:
	v_mov_b32_e32 v3, s10
	v_add_co_u32_e32 v4, vcc, s7, v1
	v_addc_co_u32_e32 v5, vcc, 0, v3, vcc
	flat_load_dword v3, v[4:5]
.LBB3547_5:
	s_or_b64 exec, exec, s[8:9]
	v_or_b32_e32 v4, 0x100, v0
	v_cmp_gt_u32_e32 vcc, s33, v4
	s_and_saveexec_b64 s[0:1], vcc
	s_cbranch_execz .LBB3547_7
; %bb.6:
	v_mov_b32_e32 v2, s10
	v_add_co_u32_e32 v4, vcc, s7, v1
	v_addc_co_u32_e32 v5, vcc, 0, v2, vcc
	flat_load_dword v2, v[4:5] offset:1024
.LBB3547_7:
	s_or_b64 exec, exec, s[0:1]
	v_or_b32_e32 v4, 0x200, v0
	v_cmp_gt_u32_e32 vcc, s33, v4
	v_mov_b32_e32 v4, 0
	v_mov_b32_e32 v5, 0
	s_and_saveexec_b64 s[0:1], vcc
	s_cbranch_execz .LBB3547_9
; %bb.8:
	v_mov_b32_e32 v5, s10
	v_add_co_u32_e32 v6, vcc, s7, v1
	v_addc_co_u32_e32 v7, vcc, 0, v5, vcc
	flat_load_dword v5, v[6:7] offset:2048
.LBB3547_9:
	s_or_b64 exec, exec, s[0:1]
	v_or_b32_e32 v6, 0x300, v0
	v_cmp_gt_u32_e32 vcc, s33, v6
	s_and_saveexec_b64 s[0:1], vcc
	s_cbranch_execz .LBB3547_11
; %bb.10:
	v_mov_b32_e32 v4, s10
	v_add_co_u32_e32 v6, vcc, s7, v1
	v_addc_co_u32_e32 v7, vcc, 0, v4, vcc
	flat_load_dword v4, v[6:7] offset:3072
.LBB3547_11:
	s_or_b64 exec, exec, s[0:1]
	v_or_b32_e32 v8, 0x400, v0
	v_cmp_gt_u32_e32 vcc, s33, v8
	v_mov_b32_e32 v6, 0
	v_mov_b32_e32 v7, 0
	s_and_saveexec_b64 s[0:1], vcc
	s_cbranch_execz .LBB3547_13
; %bb.12:
	v_lshlrev_b32_e32 v7, 2, v8
	v_mov_b32_e32 v9, s10
	v_add_co_u32_e32 v8, vcc, s7, v7
	v_addc_co_u32_e32 v9, vcc, 0, v9, vcc
	flat_load_dword v7, v[8:9]
.LBB3547_13:
	s_or_b64 exec, exec, s[0:1]
	v_or_b32_e32 v8, 0x500, v0
	v_cmp_gt_u32_e32 vcc, s33, v8
	s_and_saveexec_b64 s[0:1], vcc
	s_cbranch_execz .LBB3547_15
; %bb.14:
	v_lshlrev_b32_e32 v6, 2, v8
	v_mov_b32_e32 v9, s10
	v_add_co_u32_e32 v8, vcc, s7, v6
	v_addc_co_u32_e32 v9, vcc, 0, v9, vcc
	flat_load_dword v6, v[8:9]
.LBB3547_15:
	s_or_b64 exec, exec, s[0:1]
	v_or_b32_e32 v10, 0x600, v0
	v_cmp_gt_u32_e32 vcc, s33, v10
	v_mov_b32_e32 v8, 0
	v_mov_b32_e32 v9, 0
	s_and_saveexec_b64 s[0:1], vcc
	s_cbranch_execz .LBB3547_17
; %bb.16:
	v_lshlrev_b32_e32 v9, 2, v10
	v_mov_b32_e32 v11, s10
	v_add_co_u32_e32 v10, vcc, s7, v9
	v_addc_co_u32_e32 v11, vcc, 0, v11, vcc
	flat_load_dword v9, v[10:11]
.LBB3547_17:
	s_or_b64 exec, exec, s[0:1]
	v_or_b32_e32 v10, 0x700, v0
	v_cmp_gt_u32_e32 vcc, s33, v10
	s_and_saveexec_b64 s[0:1], vcc
	s_cbranch_execz .LBB3547_19
; %bb.18:
	v_lshlrev_b32_e32 v8, 2, v10
	v_mov_b32_e32 v11, s10
	v_add_co_u32_e32 v10, vcc, s7, v8
	v_addc_co_u32_e32 v11, vcc, 0, v11, vcc
	flat_load_dword v8, v[10:11]
.LBB3547_19:
	;; [unrolled: 26-line block ×3, first 2 shown]
	s_or_b64 exec, exec, s[0:1]
	s_waitcnt vmcnt(0) lgkmcnt(0)
	ds_write2st64_b32 v1, v3, v2 offset1:4
	ds_write2st64_b32 v1, v5, v4 offset0:8 offset1:12
	ds_write2st64_b32 v1, v7, v6 offset0:16 offset1:20
	;; [unrolled: 1-line block ×4, first 2 shown]
	s_waitcnt lgkmcnt(0)
	s_barrier
.LBB3547_24:
	v_mul_u32_u24_e32 v22, 10, v0
	v_lshlrev_b32_e32 v27, 2, v22
	s_waitcnt lgkmcnt(0)
	ds_read2_b64 v[6:9], v27 offset1:1
	ds_read2_b64 v[2:5], v27 offset0:2 offset1:3
	ds_read_b64 v[12:13], v27 offset:32
	v_cndmask_b32_e64 v10, 0, 1, s[2:3]
	v_cmp_ne_u32_e64 s[0:1], 1, v10
	s_andn2_b64 vcc, exec, s[2:3]
	s_waitcnt lgkmcnt(2)
	v_cmp_le_i16_sdwa s[2:3], v6, v6 src0_sel:DWORD src1_sel:WORD_1
	v_cmp_le_i16_sdwa s[10:11], v7, v7 src0_sel:DWORD src1_sel:WORD_1
	v_cmp_le_i16_sdwa s[12:13], v8, v8 src0_sel:DWORD src1_sel:WORD_1
	v_cmp_le_i16_sdwa s[14:15], v9, v9 src0_sel:DWORD src1_sel:WORD_1
	s_waitcnt lgkmcnt(1)
	v_cmp_le_i16_sdwa s[16:17], v2, v2 src0_sel:DWORD src1_sel:WORD_1
	v_cmp_le_i16_sdwa s[18:19], v3, v3 src0_sel:DWORD src1_sel:WORD_1
	;; [unrolled: 1-line block ×4, first 2 shown]
	s_waitcnt lgkmcnt(0)
	v_cmp_le_i16_sdwa s[38:39], v12, v12 src0_sel:DWORD src1_sel:WORD_1
	v_cmp_le_i16_sdwa s[8:9], v13, v13 src0_sel:DWORD src1_sel:WORD_1
	s_barrier
	s_cbranch_vccnz .LBB3547_26
; %bb.25:
	v_cndmask_b32_e64 v11, 0, 1, s[10:11]
	v_cndmask_b32_e64 v10, 0, 1, s[2:3]
	v_cndmask_b32_e64 v15, 0, 1, s[14:15]
	v_lshlrev_b16_e32 v11, 8, v11
	v_cndmask_b32_e64 v14, 0, 1, s[12:13]
	v_or_b32_e32 v10, v10, v11
	v_lshlrev_b16_e32 v11, 8, v15
	v_cndmask_b32_e64 v17, 0, 1, s[18:19]
	v_cndmask_b32_e64 v19, 0, 1, s[36:37]
	v_or_b32_sdwa v11, v14, v11 dst_sel:WORD_1 dst_unused:UNUSED_PAD src0_sel:DWORD src1_sel:DWORD
	v_cndmask_b32_e64 v16, 0, 1, s[16:17]
	v_cndmask_b32_e64 v18, 0, 1, s[20:21]
	v_or_b32_sdwa v25, v10, v11 dst_sel:DWORD dst_unused:UNUSED_PAD src0_sel:WORD_0 src1_sel:DWORD
	v_lshlrev_b16_e32 v10, 8, v17
	v_lshlrev_b16_e32 v11, 8, v19
	v_or_b32_e32 v10, v16, v10
	v_or_b32_sdwa v11, v18, v11 dst_sel:WORD_1 dst_unused:UNUSED_PAD src0_sel:DWORD src1_sel:DWORD
	v_cndmask_b32_e64 v23, 0, 1, s[38:39]
	v_or_b32_sdwa v24, v10, v11 dst_sel:DWORD dst_unused:UNUSED_PAD src0_sel:WORD_0 src1_sel:DWORD
	s_and_b64 s[36:37], s[8:9], exec
	s_load_dwordx2 s[38:39], s[4:5], 0x68
	s_cbranch_execz .LBB3547_27
	s_branch .LBB3547_28
.LBB3547_26:
                                        ; implicit-def: $sgpr36_sgpr37
                                        ; implicit-def: $vgpr23
                                        ; implicit-def: $vgpr24
                                        ; implicit-def: $vgpr25
	s_load_dwordx2 s[38:39], s[4:5], 0x68
.LBB3547_27:
	v_cmp_gt_u32_e32 vcc, s33, v22
	v_cmp_le_i16_sdwa s[2:3], v6, v6 src0_sel:DWORD src1_sel:WORD_1
	v_or_b32_e32 v10, 1, v22
	s_and_b64 s[2:3], vcc, s[2:3]
	v_cndmask_b32_e64 v21, 0, 1, s[2:3]
	v_cmp_gt_u32_e32 vcc, s33, v10
	v_cmp_le_i16_sdwa s[2:3], v7, v7 src0_sel:DWORD src1_sel:WORD_1
	v_add_u32_e32 v11, 2, v22
	s_and_b64 s[2:3], vcc, s[2:3]
	v_cndmask_b32_e64 v10, 0, 1, s[2:3]
	v_cmp_gt_u32_e32 vcc, s33, v11
	v_cmp_le_i16_sdwa s[2:3], v8, v8 src0_sel:DWORD src1_sel:WORD_1
	v_add_u32_e32 v14, 3, v22
	;; [unrolled: 5-line block ×8, first 2 shown]
	s_and_b64 s[2:3], vcc, s[2:3]
	v_lshlrev_b16_e32 v10, 8, v10
	v_lshlrev_b16_e32 v14, 8, v14
	v_cndmask_b32_e64 v23, 0, 1, s[2:3]
	v_cmp_gt_u32_e32 vcc, s33, v20
	v_cmp_le_i16_sdwa s[2:3], v13, v13 src0_sel:DWORD src1_sel:WORD_1
	v_or_b32_e32 v10, v21, v10
	v_or_b32_sdwa v11, v11, v14 dst_sel:WORD_1 dst_unused:UNUSED_PAD src0_sel:DWORD src1_sel:DWORD
	s_and_b64 s[2:3], vcc, s[2:3]
	v_or_b32_sdwa v25, v10, v11 dst_sel:DWORD dst_unused:UNUSED_PAD src0_sel:WORD_0 src1_sel:DWORD
	v_lshlrev_b16_e32 v10, 8, v16
	v_lshlrev_b16_e32 v11, 8, v18
	v_or_b32_e32 v10, v15, v10
	v_or_b32_sdwa v11, v17, v11 dst_sel:WORD_1 dst_unused:UNUSED_PAD src0_sel:DWORD src1_sel:DWORD
	s_andn2_b64 s[8:9], s[36:37], exec
	s_and_b64 s[2:3], s[2:3], exec
	v_or_b32_sdwa v24, v10, v11 dst_sel:DWORD dst_unused:UNUSED_PAD src0_sel:WORD_0 src1_sel:DWORD
	s_or_b64 s[36:37], s[8:9], s[2:3]
.LBB3547_28:
	v_cndmask_b32_e64 v10, 0, 1, s[36:37]
	v_bfe_u32 v29, v25, 8, 8
	v_bfe_u32 v30, v25, 16, 8
	v_add_u32_sdwa v10, v25, v10 dst_sel:DWORD dst_unused:UNUSED_PAD src0_sel:BYTE_0 src1_sel:DWORD
	v_lshrrev_b32_e32 v28, 24, v25
	v_and_b32_e32 v31, 0xff, v24
	v_add3_u32 v10, v10, v29, v30
	v_bfe_u32 v32, v24, 8, 8
	v_bfe_u32 v33, v24, 16, 8
	v_add3_u32 v10, v10, v28, v31
	v_lshrrev_b32_e32 v26, 24, v24
	v_and_b32_e32 v34, 0xff, v23
	v_add3_u32 v10, v10, v32, v33
	v_add3_u32 v37, v10, v26, v34
	v_mbcnt_lo_u32_b32 v10, -1, 0
	v_mbcnt_hi_u32_b32 v35, -1, v10
	v_and_b32_e32 v10, 15, v35
	v_cmp_eq_u32_e64 s[16:17], 0, v10
	v_cmp_lt_u32_e64 s[14:15], 1, v10
	v_cmp_lt_u32_e64 s[12:13], 3, v10
	;; [unrolled: 1-line block ×3, first 2 shown]
	v_and_b32_e32 v10, 16, v35
	v_cmp_eq_u32_e64 s[8:9], 0, v10
	v_or_b32_e32 v10, 63, v0
	s_cmp_lg_u32 s6, 0
	v_cmp_lt_u32_e64 s[2:3], 31, v35
	v_lshrrev_b32_e32 v36, 6, v0
	v_cmp_eq_u32_e64 s[20:21], v10, v0
	s_cbranch_scc0 .LBB3547_59
; %bb.29:
	v_mov_b32_dpp v10, v37 row_shr:1 row_mask:0xf bank_mask:0xf
	v_cndmask_b32_e64 v10, v10, 0, s[16:17]
	v_add_u32_e32 v10, v10, v37
	s_nop 1
	v_mov_b32_dpp v11, v10 row_shr:2 row_mask:0xf bank_mask:0xf
	v_cndmask_b32_e64 v11, 0, v11, s[14:15]
	v_add_u32_e32 v10, v10, v11
	s_nop 1
	;; [unrolled: 4-line block ×4, first 2 shown]
	v_mov_b32_dpp v11, v10 row_bcast:15 row_mask:0xf bank_mask:0xf
	v_cndmask_b32_e64 v11, v11, 0, s[8:9]
	v_add_u32_e32 v10, v10, v11
	s_nop 1
	v_mov_b32_dpp v11, v10 row_bcast:31 row_mask:0xf bank_mask:0xf
	v_cndmask_b32_e64 v11, 0, v11, s[2:3]
	v_add_u32_e32 v10, v10, v11
	s_and_saveexec_b64 s[18:19], s[20:21]
	s_cbranch_execz .LBB3547_31
; %bb.30:
	v_lshlrev_b32_e32 v11, 2, v36
	ds_write_b32 v11, v10
.LBB3547_31:
	s_or_b64 exec, exec, s[18:19]
	v_cmp_gt_u32_e32 vcc, 4, v0
	s_waitcnt lgkmcnt(0)
	s_barrier
	s_and_saveexec_b64 s[18:19], vcc
	s_cbranch_execz .LBB3547_33
; %bb.32:
	ds_read_b32 v11, v1
	v_and_b32_e32 v14, 3, v35
	v_cmp_ne_u32_e32 vcc, 0, v14
	s_waitcnt lgkmcnt(0)
	v_mov_b32_dpp v15, v11 row_shr:1 row_mask:0xf bank_mask:0xf
	v_cndmask_b32_e32 v15, 0, v15, vcc
	v_add_u32_e32 v11, v15, v11
	v_cmp_lt_u32_e32 vcc, 1, v14
	s_nop 0
	v_mov_b32_dpp v15, v11 row_shr:2 row_mask:0xf bank_mask:0xf
	v_cndmask_b32_e32 v14, 0, v15, vcc
	v_add_u32_e32 v11, v11, v14
	ds_write_b32 v1, v11
.LBB3547_33:
	s_or_b64 exec, exec, s[18:19]
	v_cmp_gt_u32_e32 vcc, 64, v0
	v_cmp_lt_u32_e64 s[18:19], 63, v0
	s_waitcnt lgkmcnt(0)
	s_barrier
	s_waitcnt lgkmcnt(0)
                                        ; implicit-def: $vgpr38
	s_and_saveexec_b64 s[40:41], s[18:19]
	s_cbranch_execz .LBB3547_35
; %bb.34:
	v_lshl_add_u32 v11, v36, 2, -4
	ds_read_b32 v38, v11
	s_waitcnt lgkmcnt(0)
	v_add_u32_e32 v10, v38, v10
.LBB3547_35:
	s_or_b64 exec, exec, s[40:41]
	v_add_u32_e32 v11, -1, v35
	v_and_b32_e32 v14, 64, v35
	v_cmp_lt_i32_e64 s[18:19], v11, v14
	v_cndmask_b32_e64 v11, v11, v35, s[18:19]
	v_lshlrev_b32_e32 v11, 2, v11
	ds_bpermute_b32 v39, v11, v10
	v_cmp_eq_u32_e64 s[18:19], 0, v35
	s_and_saveexec_b64 s[40:41], vcc
	s_cbranch_execz .LBB3547_58
; %bb.36:
	v_mov_b32_e32 v21, 0
	ds_read_b32 v10, v21 offset:12
	s_and_saveexec_b64 s[42:43], s[18:19]
	s_cbranch_execz .LBB3547_38
; %bb.37:
	s_add_i32 s44, s6, 64
	s_mov_b32 s45, 0
	s_lshl_b64 s[44:45], s[44:45], 3
	s_add_u32 s44, s38, s44
	v_mov_b32_e32 v11, 1
	s_addc_u32 s45, s39, s45
	s_waitcnt lgkmcnt(0)
	global_store_dwordx2 v21, v[10:11], s[44:45]
.LBB3547_38:
	s_or_b64 exec, exec, s[42:43]
	v_xad_u32 v14, v35, -1, s6
	v_add_u32_e32 v20, 64, v14
	v_lshlrev_b64 v[16:17], 3, v[20:21]
	v_mov_b32_e32 v11, s39
	v_add_co_u32_e32 v16, vcc, s38, v16
	v_addc_co_u32_e32 v17, vcc, v11, v17, vcc
	global_load_dwordx2 v[18:19], v[16:17], off glc
	s_waitcnt vmcnt(0)
	v_cmp_eq_u16_sdwa s[44:45], v19, v21 src0_sel:BYTE_0 src1_sel:DWORD
	s_and_saveexec_b64 s[42:43], s[44:45]
	s_cbranch_execz .LBB3547_44
; %bb.39:
	s_mov_b32 s7, 1
	s_mov_b64 s[44:45], 0
	v_mov_b32_e32 v11, 0
.LBB3547_40:                            ; =>This Loop Header: Depth=1
                                        ;     Child Loop BB3547_41 Depth 2
	s_max_u32 s35, s7, 1
.LBB3547_41:                            ;   Parent Loop BB3547_40 Depth=1
                                        ; =>  This Inner Loop Header: Depth=2
	s_add_i32 s35, s35, -1
	s_cmp_eq_u32 s35, 0
	s_sleep 1
	s_cbranch_scc0 .LBB3547_41
; %bb.42:                               ;   in Loop: Header=BB3547_40 Depth=1
	global_load_dwordx2 v[18:19], v[16:17], off glc
	s_cmp_lt_u32 s7, 32
	s_cselect_b64 s[46:47], -1, 0
	s_cmp_lg_u64 s[46:47], 0
	s_addc_u32 s7, s7, 0
	s_waitcnt vmcnt(0)
	v_cmp_ne_u16_sdwa s[46:47], v19, v11 src0_sel:BYTE_0 src1_sel:DWORD
	s_or_b64 s[44:45], s[46:47], s[44:45]
	s_andn2_b64 exec, exec, s[44:45]
	s_cbranch_execnz .LBB3547_40
; %bb.43:
	s_or_b64 exec, exec, s[44:45]
.LBB3547_44:
	s_or_b64 exec, exec, s[42:43]
	v_and_b32_e32 v41, 63, v35
	v_mov_b32_e32 v40, 2
	v_cmp_ne_u32_e32 vcc, 63, v41
	v_cmp_eq_u16_sdwa s[42:43], v19, v40 src0_sel:BYTE_0 src1_sel:DWORD
	v_lshlrev_b64 v[16:17], v35, -1
	v_addc_co_u32_e32 v20, vcc, 0, v35, vcc
	v_and_b32_e32 v11, s43, v17
	v_lshlrev_b32_e32 v42, 2, v20
	v_or_b32_e32 v11, 0x80000000, v11
	ds_bpermute_b32 v20, v42, v18
	v_and_b32_e32 v15, s42, v16
	v_ffbl_b32_e32 v11, v11
	v_add_u32_e32 v11, 32, v11
	v_ffbl_b32_e32 v15, v15
	v_min_u32_e32 v11, v15, v11
	v_cmp_lt_u32_e32 vcc, v41, v11
	s_waitcnt lgkmcnt(0)
	v_cndmask_b32_e32 v15, 0, v20, vcc
	v_cmp_gt_u32_e32 vcc, 62, v41
	v_add_u32_e32 v15, v15, v18
	v_cndmask_b32_e64 v18, 0, 1, vcc
	v_lshlrev_b32_e32 v18, 1, v18
	v_add_lshl_u32 v43, v18, v35, 2
	ds_bpermute_b32 v18, v43, v15
	v_add_u32_e32 v44, 2, v41
	v_cmp_le_u32_e32 vcc, v44, v11
	v_add_u32_e32 v46, 4, v41
	v_add_u32_e32 v48, 8, v41
	s_waitcnt lgkmcnt(0)
	v_cndmask_b32_e32 v18, 0, v18, vcc
	v_cmp_gt_u32_e32 vcc, 60, v41
	v_add_u32_e32 v15, v15, v18
	v_cndmask_b32_e64 v18, 0, 1, vcc
	v_lshlrev_b32_e32 v18, 2, v18
	v_add_lshl_u32 v45, v18, v35, 2
	ds_bpermute_b32 v18, v45, v15
	v_cmp_le_u32_e32 vcc, v46, v11
	v_add_u32_e32 v50, 16, v41
	v_add_u32_e32 v52, 32, v41
	s_waitcnt lgkmcnt(0)
	v_cndmask_b32_e32 v18, 0, v18, vcc
	v_cmp_gt_u32_e32 vcc, 56, v41
	v_add_u32_e32 v15, v15, v18
	v_cndmask_b32_e64 v18, 0, 1, vcc
	v_lshlrev_b32_e32 v18, 3, v18
	v_add_lshl_u32 v47, v18, v35, 2
	ds_bpermute_b32 v18, v47, v15
	v_cmp_le_u32_e32 vcc, v48, v11
	s_waitcnt lgkmcnt(0)
	v_cndmask_b32_e32 v18, 0, v18, vcc
	v_cmp_gt_u32_e32 vcc, 48, v41
	v_add_u32_e32 v15, v15, v18
	v_cndmask_b32_e64 v18, 0, 1, vcc
	v_lshlrev_b32_e32 v18, 4, v18
	v_add_lshl_u32 v49, v18, v35, 2
	ds_bpermute_b32 v18, v49, v15
	v_cmp_le_u32_e32 vcc, v50, v11
	;; [unrolled: 9-line block ×3, first 2 shown]
	s_waitcnt lgkmcnt(0)
	v_cndmask_b32_e32 v11, 0, v18, vcc
	v_add_u32_e32 v18, v15, v11
	v_mov_b32_e32 v15, 0
	s_branch .LBB3547_46
.LBB3547_45:                            ;   in Loop: Header=BB3547_46 Depth=1
	s_or_b64 exec, exec, s[42:43]
	v_cmp_eq_u16_sdwa s[42:43], v19, v40 src0_sel:BYTE_0 src1_sel:DWORD
	v_and_b32_e32 v20, s43, v17
	v_or_b32_e32 v20, 0x80000000, v20
	ds_bpermute_b32 v53, v42, v18
	v_and_b32_e32 v21, s42, v16
	v_ffbl_b32_e32 v20, v20
	v_add_u32_e32 v20, 32, v20
	v_ffbl_b32_e32 v21, v21
	v_min_u32_e32 v20, v21, v20
	v_cmp_lt_u32_e32 vcc, v41, v20
	s_waitcnt lgkmcnt(0)
	v_cndmask_b32_e32 v21, 0, v53, vcc
	v_add_u32_e32 v18, v21, v18
	ds_bpermute_b32 v21, v43, v18
	v_cmp_le_u32_e32 vcc, v44, v20
	v_subrev_u32_e32 v14, 64, v14
	s_waitcnt lgkmcnt(0)
	v_cndmask_b32_e32 v21, 0, v21, vcc
	v_add_u32_e32 v18, v18, v21
	ds_bpermute_b32 v21, v45, v18
	v_cmp_le_u32_e32 vcc, v46, v20
	s_waitcnt lgkmcnt(0)
	v_cndmask_b32_e32 v21, 0, v21, vcc
	v_add_u32_e32 v18, v18, v21
	ds_bpermute_b32 v21, v47, v18
	v_cmp_le_u32_e32 vcc, v48, v20
	;; [unrolled: 5-line block ×4, first 2 shown]
	s_waitcnt lgkmcnt(0)
	v_cndmask_b32_e32 v20, 0, v21, vcc
	v_add3_u32 v18, v20, v11, v18
.LBB3547_46:                            ; =>This Loop Header: Depth=1
                                        ;     Child Loop BB3547_49 Depth 2
                                        ;       Child Loop BB3547_50 Depth 3
	v_cmp_ne_u16_sdwa s[42:43], v19, v40 src0_sel:BYTE_0 src1_sel:DWORD
	v_cndmask_b32_e64 v11, 0, 1, s[42:43]
	;;#ASMSTART
	;;#ASMEND
	v_cmp_ne_u32_e32 vcc, 0, v11
	s_cmp_lg_u64 vcc, exec
	v_mov_b32_e32 v11, v18
	s_cbranch_scc1 .LBB3547_53
; %bb.47:                               ;   in Loop: Header=BB3547_46 Depth=1
	v_lshlrev_b64 v[18:19], 3, v[14:15]
	v_mov_b32_e32 v21, s39
	v_add_co_u32_e32 v20, vcc, s38, v18
	v_addc_co_u32_e32 v21, vcc, v21, v19, vcc
	global_load_dwordx2 v[18:19], v[20:21], off glc
	s_waitcnt vmcnt(0)
	v_cmp_eq_u16_sdwa s[44:45], v19, v15 src0_sel:BYTE_0 src1_sel:DWORD
	s_and_saveexec_b64 s[42:43], s[44:45]
	s_cbranch_execz .LBB3547_45
; %bb.48:                               ;   in Loop: Header=BB3547_46 Depth=1
	s_mov_b32 s7, 1
	s_mov_b64 s[44:45], 0
.LBB3547_49:                            ;   Parent Loop BB3547_46 Depth=1
                                        ; =>  This Loop Header: Depth=2
                                        ;       Child Loop BB3547_50 Depth 3
	s_max_u32 s35, s7, 1
.LBB3547_50:                            ;   Parent Loop BB3547_46 Depth=1
                                        ;     Parent Loop BB3547_49 Depth=2
                                        ; =>    This Inner Loop Header: Depth=3
	s_add_i32 s35, s35, -1
	s_cmp_eq_u32 s35, 0
	s_sleep 1
	s_cbranch_scc0 .LBB3547_50
; %bb.51:                               ;   in Loop: Header=BB3547_49 Depth=2
	global_load_dwordx2 v[18:19], v[20:21], off glc
	s_cmp_lt_u32 s7, 32
	s_cselect_b64 s[46:47], -1, 0
	s_cmp_lg_u64 s[46:47], 0
	s_addc_u32 s7, s7, 0
	s_waitcnt vmcnt(0)
	v_cmp_ne_u16_sdwa s[46:47], v19, v15 src0_sel:BYTE_0 src1_sel:DWORD
	s_or_b64 s[44:45], s[46:47], s[44:45]
	s_andn2_b64 exec, exec, s[44:45]
	s_cbranch_execnz .LBB3547_49
; %bb.52:                               ;   in Loop: Header=BB3547_46 Depth=1
	s_or_b64 exec, exec, s[44:45]
	s_branch .LBB3547_45
.LBB3547_53:                            ;   in Loop: Header=BB3547_46 Depth=1
                                        ; implicit-def: $vgpr18
                                        ; implicit-def: $vgpr19
	s_cbranch_execz .LBB3547_46
; %bb.54:
	s_and_saveexec_b64 s[42:43], s[18:19]
	s_cbranch_execz .LBB3547_56
; %bb.55:
	s_add_i32 s6, s6, 64
	s_mov_b32 s7, 0
	s_lshl_b64 s[6:7], s[6:7], 3
	s_add_u32 s6, s38, s6
	v_add_u32_e32 v14, v11, v10
	v_mov_b32_e32 v15, 2
	s_addc_u32 s7, s39, s7
	v_mov_b32_e32 v16, 0
	global_store_dwordx2 v16, v[14:15], s[6:7]
	ds_write_b64 v16, v[10:11] offset:10240
.LBB3547_56:
	s_or_b64 exec, exec, s[42:43]
	v_cmp_eq_u32_e32 vcc, 0, v0
	s_and_b64 exec, exec, vcc
	s_cbranch_execz .LBB3547_58
; %bb.57:
	v_mov_b32_e32 v10, 0
	ds_write_b32 v10, v11 offset:12
.LBB3547_58:
	s_or_b64 exec, exec, s[40:41]
	v_mov_b32_e32 v10, 0
	s_waitcnt lgkmcnt(0)
	s_barrier
	ds_read_b32 v11, v10 offset:12
	v_cndmask_b32_e64 v14, v39, v38, s[18:19]
	v_cmp_ne_u32_e32 vcc, 0, v0
	v_cndmask_b32_e32 v14, 0, v14, vcc
	s_waitcnt lgkmcnt(0)
	v_add_u32_e32 v39, v11, v14
	v_add_u32_sdwa v38, v39, v25 dst_sel:DWORD dst_unused:UNUSED_PAD src0_sel:DWORD src1_sel:BYTE_0
	v_add_u32_e32 v21, v38, v29
	v_add_u32_e32 v20, v21, v30
	;; [unrolled: 1-line block ×4, first 2 shown]
	s_barrier
	ds_read_b64 v[10:11], v10 offset:10240
	v_add_u32_e32 v17, v18, v32
	v_add_u32_e32 v16, v17, v33
	;; [unrolled: 1-line block ×4, first 2 shown]
	s_load_dwordx2 s[4:5], s[4:5], 0x28
	s_branch .LBB3547_69
.LBB3547_59:
                                        ; implicit-def: $vgpr11
                                        ; implicit-def: $vgpr14
                                        ; implicit-def: $vgpr15
                                        ; implicit-def: $vgpr16
                                        ; implicit-def: $vgpr17
                                        ; implicit-def: $vgpr18
                                        ; implicit-def: $vgpr19
                                        ; implicit-def: $vgpr20
                                        ; implicit-def: $vgpr21
                                        ; implicit-def: $vgpr38
                                        ; implicit-def: $vgpr39
	s_load_dwordx2 s[4:5], s[4:5], 0x28
	s_cbranch_execz .LBB3547_69
; %bb.60:
	s_waitcnt lgkmcnt(0)
	v_mov_b32_dpp v10, v37 row_shr:1 row_mask:0xf bank_mask:0xf
	v_cndmask_b32_e64 v10, v10, 0, s[16:17]
	v_add_u32_e32 v10, v10, v37
	s_nop 1
	v_mov_b32_dpp v11, v10 row_shr:2 row_mask:0xf bank_mask:0xf
	v_cndmask_b32_e64 v11, 0, v11, s[14:15]
	v_add_u32_e32 v10, v10, v11
	s_nop 1
	;; [unrolled: 4-line block ×4, first 2 shown]
	v_mov_b32_dpp v11, v10 row_bcast:15 row_mask:0xf bank_mask:0xf
	v_cndmask_b32_e64 v11, v11, 0, s[8:9]
	v_add_u32_e32 v10, v10, v11
	s_nop 1
	v_mov_b32_dpp v11, v10 row_bcast:31 row_mask:0xf bank_mask:0xf
	v_cndmask_b32_e64 v11, 0, v11, s[2:3]
	v_add_u32_e32 v10, v10, v11
	s_and_saveexec_b64 s[2:3], s[20:21]
	s_cbranch_execz .LBB3547_62
; %bb.61:
	v_lshlrev_b32_e32 v11, 2, v36
	ds_write_b32 v11, v10
.LBB3547_62:
	s_or_b64 exec, exec, s[2:3]
	v_cmp_gt_u32_e32 vcc, 4, v0
	s_waitcnt lgkmcnt(0)
	s_barrier
	s_and_saveexec_b64 s[2:3], vcc
	s_cbranch_execz .LBB3547_64
; %bb.63:
	s_movk_i32 s6, 0xffdc
	v_mad_i32_i24 v11, v0, s6, v27
	ds_read_b32 v14, v11
	v_and_b32_e32 v15, 3, v35
	v_cmp_ne_u32_e32 vcc, 0, v15
	s_waitcnt lgkmcnt(0)
	v_mov_b32_dpp v16, v14 row_shr:1 row_mask:0xf bank_mask:0xf
	v_cndmask_b32_e32 v16, 0, v16, vcc
	v_add_u32_e32 v14, v16, v14
	v_cmp_lt_u32_e32 vcc, 1, v15
	s_nop 0
	v_mov_b32_dpp v16, v14 row_shr:2 row_mask:0xf bank_mask:0xf
	v_cndmask_b32_e32 v15, 0, v16, vcc
	v_add_u32_e32 v14, v14, v15
	ds_write_b32 v11, v14
.LBB3547_64:
	s_or_b64 exec, exec, s[2:3]
	v_cmp_lt_u32_e32 vcc, 63, v0
	v_mov_b32_e32 v11, 0
	v_mov_b32_e32 v14, 0
	s_waitcnt lgkmcnt(0)
	s_barrier
	s_and_saveexec_b64 s[2:3], vcc
	s_cbranch_execz .LBB3547_66
; %bb.65:
	v_lshl_add_u32 v14, v36, 2, -4
	ds_read_b32 v14, v14
.LBB3547_66:
	s_or_b64 exec, exec, s[2:3]
	v_add_u32_e32 v15, -1, v35
	v_and_b32_e32 v16, 64, v35
	v_cmp_lt_i32_e32 vcc, v15, v16
	v_cndmask_b32_e32 v15, v15, v35, vcc
	s_waitcnt lgkmcnt(0)
	v_add_u32_e32 v10, v14, v10
	v_lshlrev_b32_e32 v15, 2, v15
	ds_bpermute_b32 v15, v15, v10
	ds_read_b32 v10, v11 offset:12
	v_cmp_eq_u32_e32 vcc, 0, v0
	s_and_saveexec_b64 s[2:3], vcc
	s_cbranch_execz .LBB3547_68
; %bb.67:
	v_mov_b32_e32 v16, 0
	v_mov_b32_e32 v11, 2
	s_waitcnt lgkmcnt(0)
	global_store_dwordx2 v16, v[10:11], s[38:39] offset:512
.LBB3547_68:
	s_or_b64 exec, exec, s[2:3]
	v_cmp_eq_u32_e64 s[2:3], 0, v35
	s_waitcnt lgkmcnt(1)
	v_cndmask_b32_e64 v14, v15, v14, s[2:3]
	v_cndmask_b32_e64 v39, v14, 0, vcc
	v_add_u32_sdwa v38, v39, v25 dst_sel:DWORD dst_unused:UNUSED_PAD src0_sel:DWORD src1_sel:BYTE_0
	v_add_u32_e32 v21, v38, v29
	v_add_u32_e32 v20, v21, v30
	v_add_u32_e32 v19, v20, v28
	v_add_u32_e32 v18, v19, v31
	v_add_u32_e32 v17, v18, v32
	v_add_u32_e32 v16, v17, v33
	v_add_u32_e32 v15, v16, v26
	v_mov_b32_e32 v11, 0
	v_add_u32_e32 v14, v15, v34
	s_waitcnt lgkmcnt(0)
	s_barrier
.LBB3547_69:
	s_waitcnt lgkmcnt(0)
	v_add_u32_e32 v22, v10, v22
	v_sub_u32_e32 v30, v39, v11
	v_and_b32_e32 v32, 1, v25
	v_sub_u32_e32 v31, v22, v30
	v_cmp_eq_u32_e32 vcc, 1, v32
	v_cndmask_b32_e32 v30, v31, v30, vcc
	v_lshlrev_b32_e32 v30, 2, v30
	v_lshrrev_b32_e32 v29, 8, v25
	ds_write_b32 v30, v6
	v_sub_u32_e32 v6, v38, v11
	v_sub_u32_e32 v30, v22, v6
	v_and_b32_e32 v29, 1, v29
	v_add_u32_e32 v30, 1, v30
	v_cmp_eq_u32_e32 vcc, 1, v29
	v_cndmask_b32_e32 v6, v30, v6, vcc
	v_lshlrev_b32_e32 v6, 2, v6
	ds_write_b32 v6, v7
	v_sub_u32_e32 v6, v21, v11
	v_mov_b32_e32 v21, 1
	v_sub_u32_e32 v7, v22, v6
	v_and_b32_sdwa v25, v21, v25 dst_sel:DWORD dst_unused:UNUSED_PAD src0_sel:DWORD src1_sel:WORD_1
	v_add_u32_e32 v7, 2, v7
	v_cmp_eq_u32_e32 vcc, 1, v25
	v_cndmask_b32_e32 v6, v7, v6, vcc
	v_lshlrev_b32_e32 v6, 2, v6
	ds_write_b32 v6, v8
	v_sub_u32_e32 v6, v20, v11
	v_sub_u32_e32 v7, v22, v6
	v_and_b32_e32 v8, 1, v28
	v_add_u32_e32 v7, 3, v7
	v_cmp_eq_u32_e32 vcc, 1, v8
	v_cndmask_b32_e32 v6, v7, v6, vcc
	v_lshlrev_b32_e32 v6, 2, v6
	ds_write_b32 v6, v9
	v_sub_u32_e32 v6, v19, v11
	v_sub_u32_e32 v7, v22, v6
	v_and_b32_e32 v8, 1, v24
	v_add_u32_e32 v7, 4, v7
	v_cmp_eq_u32_e32 vcc, 1, v8
	v_cndmask_b32_e32 v6, v7, v6, vcc
	v_lshlrev_b32_e32 v6, 2, v6
	v_lshrrev_b32_e32 v27, 8, v24
	ds_write_b32 v6, v2
	v_sub_u32_e32 v2, v18, v11
	v_sub_u32_e32 v6, v22, v2
	v_and_b32_e32 v7, 1, v27
	v_add_u32_e32 v6, 5, v6
	v_cmp_eq_u32_e32 vcc, 1, v7
	v_cndmask_b32_e32 v2, v6, v2, vcc
	v_lshlrev_b32_e32 v2, 2, v2
	ds_write_b32 v2, v3
	v_sub_u32_e32 v2, v17, v11
	v_sub_u32_e32 v3, v22, v2
	v_and_b32_sdwa v6, v21, v24 dst_sel:DWORD dst_unused:UNUSED_PAD src0_sel:DWORD src1_sel:WORD_1
	v_add_u32_e32 v3, 6, v3
	v_cmp_eq_u32_e32 vcc, 1, v6
	v_cndmask_b32_e32 v2, v3, v2, vcc
	v_lshlrev_b32_e32 v2, 2, v2
	ds_write_b32 v2, v4
	v_sub_u32_e32 v2, v16, v11
	v_sub_u32_e32 v3, v22, v2
	v_and_b32_e32 v4, 1, v26
	v_add_u32_e32 v3, 7, v3
	v_cmp_eq_u32_e32 vcc, 1, v4
	v_cndmask_b32_e32 v2, v3, v2, vcc
	v_lshlrev_b32_e32 v2, 2, v2
	ds_write_b32 v2, v5
	v_sub_u32_e32 v2, v15, v11
	v_sub_u32_e32 v3, v22, v2
	v_and_b32_e32 v4, 1, v23
	v_add_u32_e32 v3, 8, v3
	v_cmp_eq_u32_e32 vcc, 1, v4
	v_cndmask_b32_e32 v2, v3, v2, vcc
	v_lshlrev_b32_e32 v2, 2, v2
	ds_write_b32 v2, v12
	v_sub_u32_e32 v2, v14, v11
	v_sub_u32_e32 v3, v22, v2
	v_add_u32_e32 v3, 9, v3
	v_cndmask_b32_e64 v2, v3, v2, s[36:37]
	s_add_u32 s2, s22, s34
	v_lshlrev_b32_e32 v2, 2, v2
	s_addc_u32 s3, s23, 0
	ds_write_b32 v2, v13
	s_waitcnt lgkmcnt(0)
	s_barrier
	ds_read2st64_b32 v[12:13], v1 offset1:4
	ds_read2st64_b32 v[8:9], v1 offset0:8 offset1:12
	ds_read2st64_b32 v[6:7], v1 offset0:16 offset1:20
	ds_read2st64_b32 v[4:5], v1 offset0:24 offset1:28
	ds_read2st64_b32 v[2:3], v1 offset0:32 offset1:36
	v_mov_b32_e32 v14, s31
	v_add_co_u32_e32 v1, vcc, s30, v11
	s_sub_u32 s2, s28, s2
	v_addc_co_u32_e32 v11, vcc, 0, v14, vcc
	s_subb_u32 s3, s29, s3
	v_mov_b32_e32 v14, s3
	v_add_co_u32_e32 v15, vcc, s2, v10
	v_addc_co_u32_e32 v14, vcc, 0, v14, vcc
	s_and_b64 vcc, exec, s[0:1]
	v_add_co_u32_e64 v17, s[0:1], v15, v1
	v_or_b32_e32 v26, 0x100, v0
	v_or_b32_e32 v25, 0x200, v0
	;; [unrolled: 1-line block ×9, first 2 shown]
	v_addc_co_u32_e64 v18, s[0:1], v14, v11, s[0:1]
	s_cbranch_vccnz .LBB3547_111
; %bb.70:
	v_cmp_ge_u32_e32 vcc, v0, v10
                                        ; implicit-def: $vgpr14_vgpr15
	s_and_saveexec_b64 s[0:1], vcc
	s_xor_b64 s[0:1], exec, s[0:1]
; %bb.71:
	v_not_b32_e32 v14, v0
	v_ashrrev_i32_e32 v15, 31, v14
	v_add_co_u32_e32 v14, vcc, v17, v14
	v_addc_co_u32_e32 v15, vcc, v18, v15, vcc
; %bb.72:
	s_andn2_saveexec_b64 s[0:1], s[0:1]
; %bb.73:
	v_add_co_u32_e32 v14, vcc, v1, v0
	v_addc_co_u32_e32 v15, vcc, 0, v11, vcc
; %bb.74:
	s_or_b64 exec, exec, s[0:1]
	v_lshlrev_b64 v[14:15], 2, v[14:15]
	v_mov_b32_e32 v27, s5
	v_add_co_u32_e32 v14, vcc, s4, v14
	v_addc_co_u32_e32 v15, vcc, v27, v15, vcc
	v_cmp_ge_u32_e32 vcc, v26, v10
	s_waitcnt lgkmcnt(4)
	global_store_dword v[14:15], v12, off
                                        ; implicit-def: $vgpr14_vgpr15
	s_and_saveexec_b64 s[0:1], vcc
	s_xor_b64 s[0:1], exec, s[0:1]
; %bb.75:
	v_xor_b32_e32 v14, 0xfffffeff, v0
	v_ashrrev_i32_e32 v15, 31, v14
	v_add_co_u32_e32 v14, vcc, v17, v14
	v_addc_co_u32_e32 v15, vcc, v18, v15, vcc
; %bb.76:
	s_andn2_saveexec_b64 s[0:1], s[0:1]
; %bb.77:
	v_add_co_u32_e32 v14, vcc, v1, v26
	v_addc_co_u32_e32 v15, vcc, 0, v11, vcc
; %bb.78:
	s_or_b64 exec, exec, s[0:1]
	v_lshlrev_b64 v[14:15], 2, v[14:15]
	v_mov_b32_e32 v27, s5
	v_add_co_u32_e32 v14, vcc, s4, v14
	v_addc_co_u32_e32 v15, vcc, v27, v15, vcc
	v_cmp_ge_u32_e32 vcc, v25, v10
	global_store_dword v[14:15], v13, off
                                        ; implicit-def: $vgpr14_vgpr15
	s_and_saveexec_b64 s[0:1], vcc
	s_xor_b64 s[0:1], exec, s[0:1]
; %bb.79:
	v_xor_b32_e32 v14, 0xfffffdff, v0
	v_ashrrev_i32_e32 v15, 31, v14
	v_add_co_u32_e32 v14, vcc, v17, v14
	v_addc_co_u32_e32 v15, vcc, v18, v15, vcc
; %bb.80:
	s_andn2_saveexec_b64 s[0:1], s[0:1]
; %bb.81:
	v_add_co_u32_e32 v14, vcc, v1, v25
	v_addc_co_u32_e32 v15, vcc, 0, v11, vcc
; %bb.82:
	s_or_b64 exec, exec, s[0:1]
	v_lshlrev_b64 v[14:15], 2, v[14:15]
	v_mov_b32_e32 v27, s5
	v_add_co_u32_e32 v14, vcc, s4, v14
	v_addc_co_u32_e32 v15, vcc, v27, v15, vcc
	v_cmp_ge_u32_e32 vcc, v24, v10
	s_waitcnt lgkmcnt(3)
	global_store_dword v[14:15], v8, off
                                        ; implicit-def: $vgpr14_vgpr15
	s_and_saveexec_b64 s[0:1], vcc
	s_xor_b64 s[0:1], exec, s[0:1]
; %bb.83:
	v_xor_b32_e32 v14, 0xfffffcff, v0
	v_ashrrev_i32_e32 v15, 31, v14
	v_add_co_u32_e32 v14, vcc, v17, v14
	v_addc_co_u32_e32 v15, vcc, v18, v15, vcc
; %bb.84:
	s_andn2_saveexec_b64 s[0:1], s[0:1]
; %bb.85:
	v_add_co_u32_e32 v14, vcc, v1, v24
	v_addc_co_u32_e32 v15, vcc, 0, v11, vcc
; %bb.86:
	s_or_b64 exec, exec, s[0:1]
	v_lshlrev_b64 v[14:15], 2, v[14:15]
	v_mov_b32_e32 v27, s5
	v_add_co_u32_e32 v14, vcc, s4, v14
	v_addc_co_u32_e32 v15, vcc, v27, v15, vcc
	v_cmp_ge_u32_e32 vcc, v23, v10
	global_store_dword v[14:15], v9, off
                                        ; implicit-def: $vgpr14_vgpr15
	s_and_saveexec_b64 s[0:1], vcc
	s_xor_b64 s[0:1], exec, s[0:1]
; %bb.87:
	v_xor_b32_e32 v14, 0xfffffbff, v0
	;; [unrolled: 43-line block ×4, first 2 shown]
	v_ashrrev_i32_e32 v15, 31, v14
	v_add_co_u32_e32 v14, vcc, v17, v14
	v_addc_co_u32_e32 v15, vcc, v18, v15, vcc
; %bb.104:
	s_andn2_saveexec_b64 s[0:1], s[0:1]
; %bb.105:
	v_add_co_u32_e32 v14, vcc, v1, v19
	v_addc_co_u32_e32 v15, vcc, 0, v11, vcc
; %bb.106:
	s_or_b64 exec, exec, s[0:1]
	v_lshlrev_b64 v[14:15], 2, v[14:15]
	v_mov_b32_e32 v27, s5
	v_add_co_u32_e32 v14, vcc, s4, v14
	v_addc_co_u32_e32 v15, vcc, v27, v15, vcc
	v_cmp_ge_u32_e32 vcc, v16, v10
	s_waitcnt lgkmcnt(0)
	global_store_dword v[14:15], v2, off
                                        ; implicit-def: $vgpr14_vgpr15
	s_and_saveexec_b64 s[0:1], vcc
	s_xor_b64 s[0:1], exec, s[0:1]
; %bb.107:
	v_xor_b32_e32 v14, 0xfffff6ff, v0
	v_ashrrev_i32_e32 v15, 31, v14
	v_add_co_u32_e32 v14, vcc, v17, v14
	v_addc_co_u32_e32 v15, vcc, v18, v15, vcc
; %bb.108:
	s_andn2_saveexec_b64 s[0:1], s[0:1]
; %bb.109:
	v_add_co_u32_e32 v14, vcc, v1, v16
	v_addc_co_u32_e32 v15, vcc, 0, v11, vcc
; %bb.110:
	s_or_b64 exec, exec, s[0:1]
	s_mov_b64 s[0:1], -1
	s_branch .LBB3547_173
.LBB3547_111:
	s_mov_b64 s[0:1], 0
                                        ; implicit-def: $vgpr14_vgpr15
	s_cbranch_execz .LBB3547_173
; %bb.112:
	v_cmp_gt_u32_e32 vcc, s33, v0
	s_and_saveexec_b64 s[2:3], vcc
	s_cbranch_execz .LBB3547_138
; %bb.113:
	v_cmp_ge_u32_e32 vcc, v0, v10
                                        ; implicit-def: $vgpr14_vgpr15
	s_and_saveexec_b64 s[6:7], vcc
	s_xor_b64 s[6:7], exec, s[6:7]
; %bb.114:
	v_not_b32_e32 v14, v0
	v_ashrrev_i32_e32 v15, 31, v14
	v_add_co_u32_e32 v14, vcc, v17, v14
	v_addc_co_u32_e32 v15, vcc, v18, v15, vcc
; %bb.115:
	s_andn2_saveexec_b64 s[6:7], s[6:7]
; %bb.116:
	v_add_co_u32_e32 v14, vcc, v1, v0
	v_addc_co_u32_e32 v15, vcc, 0, v11, vcc
; %bb.117:
	s_or_b64 exec, exec, s[6:7]
	v_lshlrev_b64 v[14:15], 2, v[14:15]
	v_mov_b32_e32 v27, s5
	v_add_co_u32_e32 v14, vcc, s4, v14
	v_addc_co_u32_e32 v15, vcc, v27, v15, vcc
	s_waitcnt lgkmcnt(4)
	global_store_dword v[14:15], v12, off
	s_or_b64 exec, exec, s[2:3]
	v_cmp_gt_u32_e32 vcc, s33, v26
	s_and_saveexec_b64 s[2:3], vcc
	s_cbranch_execnz .LBB3547_139
.LBB3547_118:
	s_or_b64 exec, exec, s[2:3]
	v_cmp_gt_u32_e32 vcc, s33, v25
	s_and_saveexec_b64 s[2:3], vcc
	s_cbranch_execz .LBB3547_144
.LBB3547_119:
	v_cmp_ge_u32_e32 vcc, v25, v10
                                        ; implicit-def: $vgpr12_vgpr13
	s_and_saveexec_b64 s[6:7], vcc
	s_xor_b64 s[6:7], exec, s[6:7]
	s_cbranch_execz .LBB3547_121
; %bb.120:
	s_waitcnt lgkmcnt(4)
	v_xor_b32_e32 v12, 0xfffffdff, v0
	v_ashrrev_i32_e32 v13, 31, v12
	v_add_co_u32_e32 v12, vcc, v17, v12
	v_addc_co_u32_e32 v13, vcc, v18, v13, vcc
                                        ; implicit-def: $vgpr25
.LBB3547_121:
	s_andn2_saveexec_b64 s[6:7], s[6:7]
	s_cbranch_execz .LBB3547_123
; %bb.122:
	s_waitcnt lgkmcnt(4)
	v_add_co_u32_e32 v12, vcc, v1, v25
	v_addc_co_u32_e32 v13, vcc, 0, v11, vcc
.LBB3547_123:
	s_or_b64 exec, exec, s[6:7]
	s_waitcnt lgkmcnt(4)
	v_lshlrev_b64 v[12:13], 2, v[12:13]
	v_mov_b32_e32 v14, s5
	v_add_co_u32_e32 v12, vcc, s4, v12
	v_addc_co_u32_e32 v13, vcc, v14, v13, vcc
	s_waitcnt lgkmcnt(3)
	global_store_dword v[12:13], v8, off
	s_or_b64 exec, exec, s[2:3]
	v_cmp_gt_u32_e32 vcc, s33, v24
	s_and_saveexec_b64 s[2:3], vcc
	s_cbranch_execnz .LBB3547_145
.LBB3547_124:
	s_or_b64 exec, exec, s[2:3]
	v_cmp_gt_u32_e32 vcc, s33, v23
	s_and_saveexec_b64 s[2:3], vcc
	s_cbranch_execz .LBB3547_150
.LBB3547_125:
	v_cmp_ge_u32_e32 vcc, v23, v10
                                        ; implicit-def: $vgpr8_vgpr9
	s_and_saveexec_b64 s[6:7], vcc
	s_xor_b64 s[6:7], exec, s[6:7]
	s_cbranch_execz .LBB3547_127
; %bb.126:
	s_waitcnt lgkmcnt(3)
	v_xor_b32_e32 v8, 0xfffffbff, v0
	v_ashrrev_i32_e32 v9, 31, v8
	v_add_co_u32_e32 v8, vcc, v17, v8
	v_addc_co_u32_e32 v9, vcc, v18, v9, vcc
                                        ; implicit-def: $vgpr23
.LBB3547_127:
	s_andn2_saveexec_b64 s[6:7], s[6:7]
	s_cbranch_execz .LBB3547_129
; %bb.128:
	s_waitcnt lgkmcnt(3)
	v_add_co_u32_e32 v8, vcc, v1, v23
	v_addc_co_u32_e32 v9, vcc, 0, v11, vcc
.LBB3547_129:
	s_or_b64 exec, exec, s[6:7]
	s_waitcnt lgkmcnt(3)
	v_lshlrev_b64 v[8:9], 2, v[8:9]
	v_mov_b32_e32 v12, s5
	v_add_co_u32_e32 v8, vcc, s4, v8
	v_addc_co_u32_e32 v9, vcc, v12, v9, vcc
	s_waitcnt lgkmcnt(2)
	global_store_dword v[8:9], v6, off
	s_or_b64 exec, exec, s[2:3]
	v_cmp_gt_u32_e32 vcc, s33, v22
	s_and_saveexec_b64 s[2:3], vcc
	s_cbranch_execnz .LBB3547_151
.LBB3547_130:
	s_or_b64 exec, exec, s[2:3]
	v_cmp_gt_u32_e32 vcc, s33, v21
	s_and_saveexec_b64 s[2:3], vcc
	s_cbranch_execz .LBB3547_156
.LBB3547_131:
	v_cmp_ge_u32_e32 vcc, v21, v10
                                        ; implicit-def: $vgpr6_vgpr7
	s_and_saveexec_b64 s[6:7], vcc
	s_xor_b64 s[6:7], exec, s[6:7]
	s_cbranch_execz .LBB3547_133
; %bb.132:
	s_waitcnt lgkmcnt(2)
	v_xor_b32_e32 v6, 0xfffff9ff, v0
	v_ashrrev_i32_e32 v7, 31, v6
	v_add_co_u32_e32 v6, vcc, v17, v6
	v_addc_co_u32_e32 v7, vcc, v18, v7, vcc
                                        ; implicit-def: $vgpr21
.LBB3547_133:
	s_andn2_saveexec_b64 s[6:7], s[6:7]
	s_cbranch_execz .LBB3547_135
; %bb.134:
	s_waitcnt lgkmcnt(2)
	v_add_co_u32_e32 v6, vcc, v1, v21
	v_addc_co_u32_e32 v7, vcc, 0, v11, vcc
.LBB3547_135:
	s_or_b64 exec, exec, s[6:7]
	s_waitcnt lgkmcnt(2)
	v_lshlrev_b64 v[6:7], 2, v[6:7]
	v_mov_b32_e32 v8, s5
	v_add_co_u32_e32 v6, vcc, s4, v6
	v_addc_co_u32_e32 v7, vcc, v8, v7, vcc
	s_waitcnt lgkmcnt(1)
	global_store_dword v[6:7], v4, off
	s_or_b64 exec, exec, s[2:3]
	v_cmp_gt_u32_e32 vcc, s33, v20
	s_and_saveexec_b64 s[2:3], vcc
	s_cbranch_execnz .LBB3547_157
.LBB3547_136:
	s_or_b64 exec, exec, s[2:3]
	v_cmp_gt_u32_e32 vcc, s33, v19
	s_and_saveexec_b64 s[2:3], vcc
	s_cbranch_execnz .LBB3547_162
.LBB3547_137:
	s_or_b64 exec, exec, s[2:3]
	v_cmp_gt_u32_e32 vcc, s33, v16
                                        ; implicit-def: $vgpr14_vgpr15
	s_and_saveexec_b64 s[2:3], vcc
	s_cbranch_execz .LBB3547_172
	s_branch .LBB3547_167
.LBB3547_138:
	s_or_b64 exec, exec, s[2:3]
	v_cmp_gt_u32_e32 vcc, s33, v26
	s_and_saveexec_b64 s[2:3], vcc
	s_cbranch_execz .LBB3547_118
.LBB3547_139:
	v_cmp_ge_u32_e32 vcc, v26, v10
                                        ; implicit-def: $vgpr14_vgpr15
	s_and_saveexec_b64 s[6:7], vcc
	s_xor_b64 s[6:7], exec, s[6:7]
	s_cbranch_execz .LBB3547_141
; %bb.140:
	s_waitcnt lgkmcnt(4)
	v_xor_b32_e32 v12, 0xfffffeff, v0
	v_ashrrev_i32_e32 v15, 31, v12
	v_add_co_u32_e32 v14, vcc, v17, v12
	v_addc_co_u32_e32 v15, vcc, v18, v15, vcc
                                        ; implicit-def: $vgpr26
.LBB3547_141:
	s_andn2_saveexec_b64 s[6:7], s[6:7]
; %bb.142:
	v_add_co_u32_e32 v14, vcc, v1, v26
	v_addc_co_u32_e32 v15, vcc, 0, v11, vcc
; %bb.143:
	s_or_b64 exec, exec, s[6:7]
	v_lshlrev_b64 v[14:15], 2, v[14:15]
	s_waitcnt lgkmcnt(4)
	v_mov_b32_e32 v12, s5
	v_add_co_u32_e32 v14, vcc, s4, v14
	v_addc_co_u32_e32 v15, vcc, v12, v15, vcc
	global_store_dword v[14:15], v13, off
	s_or_b64 exec, exec, s[2:3]
	v_cmp_gt_u32_e32 vcc, s33, v25
	s_and_saveexec_b64 s[2:3], vcc
	s_cbranch_execnz .LBB3547_119
.LBB3547_144:
	s_or_b64 exec, exec, s[2:3]
	v_cmp_gt_u32_e32 vcc, s33, v24
	s_and_saveexec_b64 s[2:3], vcc
	s_cbranch_execz .LBB3547_124
.LBB3547_145:
	v_cmp_ge_u32_e32 vcc, v24, v10
                                        ; implicit-def: $vgpr12_vgpr13
	s_and_saveexec_b64 s[6:7], vcc
	s_xor_b64 s[6:7], exec, s[6:7]
	s_cbranch_execz .LBB3547_147
; %bb.146:
	s_waitcnt lgkmcnt(3)
	v_xor_b32_e32 v8, 0xfffffcff, v0
	v_ashrrev_i32_e32 v13, 31, v8
	v_add_co_u32_e32 v12, vcc, v17, v8
	v_addc_co_u32_e32 v13, vcc, v18, v13, vcc
                                        ; implicit-def: $vgpr24
.LBB3547_147:
	s_andn2_saveexec_b64 s[6:7], s[6:7]
	s_cbranch_execz .LBB3547_149
; %bb.148:
	s_waitcnt lgkmcnt(4)
	v_add_co_u32_e32 v12, vcc, v1, v24
	v_addc_co_u32_e32 v13, vcc, 0, v11, vcc
.LBB3547_149:
	s_or_b64 exec, exec, s[6:7]
	s_waitcnt lgkmcnt(4)
	v_lshlrev_b64 v[12:13], 2, v[12:13]
	s_waitcnt lgkmcnt(3)
	v_mov_b32_e32 v8, s5
	v_add_co_u32_e32 v12, vcc, s4, v12
	v_addc_co_u32_e32 v13, vcc, v8, v13, vcc
	global_store_dword v[12:13], v9, off
	s_or_b64 exec, exec, s[2:3]
	v_cmp_gt_u32_e32 vcc, s33, v23
	s_and_saveexec_b64 s[2:3], vcc
	s_cbranch_execnz .LBB3547_125
.LBB3547_150:
	s_or_b64 exec, exec, s[2:3]
	v_cmp_gt_u32_e32 vcc, s33, v22
	s_and_saveexec_b64 s[2:3], vcc
	s_cbranch_execz .LBB3547_130
.LBB3547_151:
	v_cmp_ge_u32_e32 vcc, v22, v10
                                        ; implicit-def: $vgpr8_vgpr9
	s_and_saveexec_b64 s[6:7], vcc
	s_xor_b64 s[6:7], exec, s[6:7]
	s_cbranch_execz .LBB3547_153
; %bb.152:
	s_waitcnt lgkmcnt(2)
	v_xor_b32_e32 v6, 0xfffffaff, v0
	v_ashrrev_i32_e32 v9, 31, v6
	v_add_co_u32_e32 v8, vcc, v17, v6
	v_addc_co_u32_e32 v9, vcc, v18, v9, vcc
                                        ; implicit-def: $vgpr22
.LBB3547_153:
	s_andn2_saveexec_b64 s[6:7], s[6:7]
	s_cbranch_execz .LBB3547_155
; %bb.154:
	s_waitcnt lgkmcnt(3)
	v_add_co_u32_e32 v8, vcc, v1, v22
	v_addc_co_u32_e32 v9, vcc, 0, v11, vcc
.LBB3547_155:
	s_or_b64 exec, exec, s[6:7]
	s_waitcnt lgkmcnt(3)
	v_lshlrev_b64 v[8:9], 2, v[8:9]
	s_waitcnt lgkmcnt(2)
	v_mov_b32_e32 v6, s5
	v_add_co_u32_e32 v8, vcc, s4, v8
	v_addc_co_u32_e32 v9, vcc, v6, v9, vcc
	global_store_dword v[8:9], v7, off
	s_or_b64 exec, exec, s[2:3]
	v_cmp_gt_u32_e32 vcc, s33, v21
	s_and_saveexec_b64 s[2:3], vcc
	s_cbranch_execnz .LBB3547_131
.LBB3547_156:
	s_or_b64 exec, exec, s[2:3]
	v_cmp_gt_u32_e32 vcc, s33, v20
	s_and_saveexec_b64 s[2:3], vcc
	s_cbranch_execz .LBB3547_136
.LBB3547_157:
	v_cmp_ge_u32_e32 vcc, v20, v10
                                        ; implicit-def: $vgpr6_vgpr7
	s_and_saveexec_b64 s[6:7], vcc
	s_xor_b64 s[6:7], exec, s[6:7]
	s_cbranch_execz .LBB3547_159
; %bb.158:
	s_waitcnt lgkmcnt(1)
	v_xor_b32_e32 v4, 0xfffff8ff, v0
	v_ashrrev_i32_e32 v7, 31, v4
	v_add_co_u32_e32 v6, vcc, v17, v4
	v_addc_co_u32_e32 v7, vcc, v18, v7, vcc
                                        ; implicit-def: $vgpr20
.LBB3547_159:
	s_andn2_saveexec_b64 s[6:7], s[6:7]
	s_cbranch_execz .LBB3547_161
; %bb.160:
	s_waitcnt lgkmcnt(2)
	v_add_co_u32_e32 v6, vcc, v1, v20
	v_addc_co_u32_e32 v7, vcc, 0, v11, vcc
.LBB3547_161:
	s_or_b64 exec, exec, s[6:7]
	s_waitcnt lgkmcnt(2)
	v_lshlrev_b64 v[6:7], 2, v[6:7]
	s_waitcnt lgkmcnt(1)
	v_mov_b32_e32 v4, s5
	v_add_co_u32_e32 v6, vcc, s4, v6
	v_addc_co_u32_e32 v7, vcc, v4, v7, vcc
	global_store_dword v[6:7], v5, off
	s_or_b64 exec, exec, s[2:3]
	v_cmp_gt_u32_e32 vcc, s33, v19
	s_and_saveexec_b64 s[2:3], vcc
	s_cbranch_execz .LBB3547_137
.LBB3547_162:
	v_cmp_ge_u32_e32 vcc, v19, v10
                                        ; implicit-def: $vgpr4_vgpr5
	s_and_saveexec_b64 s[6:7], vcc
	s_xor_b64 s[6:7], exec, s[6:7]
	s_cbranch_execz .LBB3547_164
; %bb.163:
	s_waitcnt lgkmcnt(1)
	v_xor_b32_e32 v4, 0xfffff7ff, v0
	v_ashrrev_i32_e32 v5, 31, v4
	v_add_co_u32_e32 v4, vcc, v17, v4
	v_addc_co_u32_e32 v5, vcc, v18, v5, vcc
                                        ; implicit-def: $vgpr19
.LBB3547_164:
	s_andn2_saveexec_b64 s[6:7], s[6:7]
	s_cbranch_execz .LBB3547_166
; %bb.165:
	s_waitcnt lgkmcnt(1)
	v_add_co_u32_e32 v4, vcc, v1, v19
	v_addc_co_u32_e32 v5, vcc, 0, v11, vcc
.LBB3547_166:
	s_or_b64 exec, exec, s[6:7]
	s_waitcnt lgkmcnt(1)
	v_lshlrev_b64 v[4:5], 2, v[4:5]
	v_mov_b32_e32 v6, s5
	v_add_co_u32_e32 v4, vcc, s4, v4
	v_addc_co_u32_e32 v5, vcc, v6, v5, vcc
	s_waitcnt lgkmcnt(0)
	global_store_dword v[4:5], v2, off
	s_or_b64 exec, exec, s[2:3]
	v_cmp_gt_u32_e32 vcc, s33, v16
                                        ; implicit-def: $vgpr14_vgpr15
	s_and_saveexec_b64 s[2:3], vcc
	s_cbranch_execz .LBB3547_172
.LBB3547_167:
	v_cmp_ge_u32_e32 vcc, v16, v10
                                        ; implicit-def: $vgpr14_vgpr15
	s_and_saveexec_b64 s[6:7], vcc
	s_xor_b64 s[6:7], exec, s[6:7]
	s_cbranch_execz .LBB3547_169
; %bb.168:
	s_waitcnt lgkmcnt(0)
	v_xor_b32_e32 v2, 0xfffff6ff, v0
	v_ashrrev_i32_e32 v4, 31, v2
	v_add_co_u32_e32 v14, vcc, v17, v2
	v_addc_co_u32_e32 v15, vcc, v18, v4, vcc
                                        ; implicit-def: $vgpr16
.LBB3547_169:
	s_andn2_saveexec_b64 s[6:7], s[6:7]
; %bb.170:
	v_add_co_u32_e32 v14, vcc, v1, v16
	v_addc_co_u32_e32 v15, vcc, 0, v11, vcc
; %bb.171:
	s_or_b64 exec, exec, s[6:7]
	s_or_b64 s[0:1], s[0:1], exec
.LBB3547_172:
	s_or_b64 exec, exec, s[2:3]
.LBB3547_173:
	s_and_saveexec_b64 s[2:3], s[0:1]
	s_cbranch_execz .LBB3547_175
; %bb.174:
	s_waitcnt lgkmcnt(1)
	v_lshlrev_b64 v[4:5], 2, v[14:15]
	s_waitcnt lgkmcnt(0)
	v_mov_b32_e32 v2, s5
	v_add_co_u32_e32 v4, vcc, s4, v4
	v_addc_co_u32_e32 v5, vcc, v2, v5, vcc
	global_store_dword v[4:5], v3, off
.LBB3547_175:
	s_or_b64 exec, exec, s[2:3]
	v_cmp_eq_u32_e32 vcc, 0, v0
	s_and_b64 s[0:1], vcc, s[26:27]
	s_and_saveexec_b64 s[2:3], s[0:1]
	s_cbranch_execz .LBB3547_177
; %bb.176:
	v_add_co_u32_e32 v0, vcc, v1, v10
	s_waitcnt lgkmcnt(0)
	v_mov_b32_e32 v2, 0
	v_addc_co_u32_e32 v1, vcc, 0, v11, vcc
	global_store_dwordx2 v2, v[0:1], s[24:25]
.LBB3547_177:
	s_endpgm
	.section	.rodata,"a",@progbits
	.p2align	6, 0x0
	.amdhsa_kernel _ZN7rocprim17ROCPRIM_400000_NS6detail17trampoline_kernelINS0_14default_configENS1_25partition_config_selectorILNS1_17partition_subalgoE3EN6thrust23THRUST_200600_302600_NS5tupleIssNS7_9null_typeES9_S9_S9_S9_S9_S9_S9_EENS0_10empty_typeEbEEZZNS1_14partition_implILS5_3ELb0ES3_jNS7_6detail15normal_iteratorINS7_7pointerISA_NS7_11hip_rocprim3tagENS7_11use_defaultESJ_EEEEPSB_SM_NS0_5tupleIJPSA_SM_EEENSN_IJSM_SM_EEESB_PlJ10is_orderedEEE10hipError_tPvRmT3_T4_T5_T6_T7_T9_mT8_P12ihipStream_tbDpT10_ENKUlT_T0_E_clISt17integral_constantIbLb1EES1B_IbLb0EEEEDaS17_S18_EUlS17_E_NS1_11comp_targetILNS1_3genE4ELNS1_11target_archE910ELNS1_3gpuE8ELNS1_3repE0EEENS1_30default_config_static_selectorELNS0_4arch9wavefront6targetE1EEEvT1_
		.amdhsa_group_segment_fixed_size 10248
		.amdhsa_private_segment_fixed_size 0
		.amdhsa_kernarg_size 120
		.amdhsa_user_sgpr_count 6
		.amdhsa_user_sgpr_private_segment_buffer 1
		.amdhsa_user_sgpr_dispatch_ptr 0
		.amdhsa_user_sgpr_queue_ptr 0
		.amdhsa_user_sgpr_kernarg_segment_ptr 1
		.amdhsa_user_sgpr_dispatch_id 0
		.amdhsa_user_sgpr_flat_scratch_init 0
		.amdhsa_user_sgpr_kernarg_preload_length 0
		.amdhsa_user_sgpr_kernarg_preload_offset 0
		.amdhsa_user_sgpr_private_segment_size 0
		.amdhsa_uses_dynamic_stack 0
		.amdhsa_system_sgpr_private_segment_wavefront_offset 0
		.amdhsa_system_sgpr_workgroup_id_x 1
		.amdhsa_system_sgpr_workgroup_id_y 0
		.amdhsa_system_sgpr_workgroup_id_z 0
		.amdhsa_system_sgpr_workgroup_info 0
		.amdhsa_system_vgpr_workitem_id 0
		.amdhsa_next_free_vgpr 54
		.amdhsa_next_free_sgpr 48
		.amdhsa_accum_offset 56
		.amdhsa_reserve_vcc 1
		.amdhsa_reserve_flat_scratch 0
		.amdhsa_float_round_mode_32 0
		.amdhsa_float_round_mode_16_64 0
		.amdhsa_float_denorm_mode_32 3
		.amdhsa_float_denorm_mode_16_64 3
		.amdhsa_dx10_clamp 1
		.amdhsa_ieee_mode 1
		.amdhsa_fp16_overflow 0
		.amdhsa_tg_split 0
		.amdhsa_exception_fp_ieee_invalid_op 0
		.amdhsa_exception_fp_denorm_src 0
		.amdhsa_exception_fp_ieee_div_zero 0
		.amdhsa_exception_fp_ieee_overflow 0
		.amdhsa_exception_fp_ieee_underflow 0
		.amdhsa_exception_fp_ieee_inexact 0
		.amdhsa_exception_int_div_zero 0
	.end_amdhsa_kernel
	.section	.text._ZN7rocprim17ROCPRIM_400000_NS6detail17trampoline_kernelINS0_14default_configENS1_25partition_config_selectorILNS1_17partition_subalgoE3EN6thrust23THRUST_200600_302600_NS5tupleIssNS7_9null_typeES9_S9_S9_S9_S9_S9_S9_EENS0_10empty_typeEbEEZZNS1_14partition_implILS5_3ELb0ES3_jNS7_6detail15normal_iteratorINS7_7pointerISA_NS7_11hip_rocprim3tagENS7_11use_defaultESJ_EEEEPSB_SM_NS0_5tupleIJPSA_SM_EEENSN_IJSM_SM_EEESB_PlJ10is_orderedEEE10hipError_tPvRmT3_T4_T5_T6_T7_T9_mT8_P12ihipStream_tbDpT10_ENKUlT_T0_E_clISt17integral_constantIbLb1EES1B_IbLb0EEEEDaS17_S18_EUlS17_E_NS1_11comp_targetILNS1_3genE4ELNS1_11target_archE910ELNS1_3gpuE8ELNS1_3repE0EEENS1_30default_config_static_selectorELNS0_4arch9wavefront6targetE1EEEvT1_,"axG",@progbits,_ZN7rocprim17ROCPRIM_400000_NS6detail17trampoline_kernelINS0_14default_configENS1_25partition_config_selectorILNS1_17partition_subalgoE3EN6thrust23THRUST_200600_302600_NS5tupleIssNS7_9null_typeES9_S9_S9_S9_S9_S9_S9_EENS0_10empty_typeEbEEZZNS1_14partition_implILS5_3ELb0ES3_jNS7_6detail15normal_iteratorINS7_7pointerISA_NS7_11hip_rocprim3tagENS7_11use_defaultESJ_EEEEPSB_SM_NS0_5tupleIJPSA_SM_EEENSN_IJSM_SM_EEESB_PlJ10is_orderedEEE10hipError_tPvRmT3_T4_T5_T6_T7_T9_mT8_P12ihipStream_tbDpT10_ENKUlT_T0_E_clISt17integral_constantIbLb1EES1B_IbLb0EEEEDaS17_S18_EUlS17_E_NS1_11comp_targetILNS1_3genE4ELNS1_11target_archE910ELNS1_3gpuE8ELNS1_3repE0EEENS1_30default_config_static_selectorELNS0_4arch9wavefront6targetE1EEEvT1_,comdat
.Lfunc_end3547:
	.size	_ZN7rocprim17ROCPRIM_400000_NS6detail17trampoline_kernelINS0_14default_configENS1_25partition_config_selectorILNS1_17partition_subalgoE3EN6thrust23THRUST_200600_302600_NS5tupleIssNS7_9null_typeES9_S9_S9_S9_S9_S9_S9_EENS0_10empty_typeEbEEZZNS1_14partition_implILS5_3ELb0ES3_jNS7_6detail15normal_iteratorINS7_7pointerISA_NS7_11hip_rocprim3tagENS7_11use_defaultESJ_EEEEPSB_SM_NS0_5tupleIJPSA_SM_EEENSN_IJSM_SM_EEESB_PlJ10is_orderedEEE10hipError_tPvRmT3_T4_T5_T6_T7_T9_mT8_P12ihipStream_tbDpT10_ENKUlT_T0_E_clISt17integral_constantIbLb1EES1B_IbLb0EEEEDaS17_S18_EUlS17_E_NS1_11comp_targetILNS1_3genE4ELNS1_11target_archE910ELNS1_3gpuE8ELNS1_3repE0EEENS1_30default_config_static_selectorELNS0_4arch9wavefront6targetE1EEEvT1_, .Lfunc_end3547-_ZN7rocprim17ROCPRIM_400000_NS6detail17trampoline_kernelINS0_14default_configENS1_25partition_config_selectorILNS1_17partition_subalgoE3EN6thrust23THRUST_200600_302600_NS5tupleIssNS7_9null_typeES9_S9_S9_S9_S9_S9_S9_EENS0_10empty_typeEbEEZZNS1_14partition_implILS5_3ELb0ES3_jNS7_6detail15normal_iteratorINS7_7pointerISA_NS7_11hip_rocprim3tagENS7_11use_defaultESJ_EEEEPSB_SM_NS0_5tupleIJPSA_SM_EEENSN_IJSM_SM_EEESB_PlJ10is_orderedEEE10hipError_tPvRmT3_T4_T5_T6_T7_T9_mT8_P12ihipStream_tbDpT10_ENKUlT_T0_E_clISt17integral_constantIbLb1EES1B_IbLb0EEEEDaS17_S18_EUlS17_E_NS1_11comp_targetILNS1_3genE4ELNS1_11target_archE910ELNS1_3gpuE8ELNS1_3repE0EEENS1_30default_config_static_selectorELNS0_4arch9wavefront6targetE1EEEvT1_
                                        ; -- End function
	.section	.AMDGPU.csdata,"",@progbits
; Kernel info:
; codeLenInByte = 6380
; NumSgprs: 52
; NumVgprs: 54
; NumAgprs: 0
; TotalNumVgprs: 54
; ScratchSize: 0
; MemoryBound: 0
; FloatMode: 240
; IeeeMode: 1
; LDSByteSize: 10248 bytes/workgroup (compile time only)
; SGPRBlocks: 6
; VGPRBlocks: 6
; NumSGPRsForWavesPerEU: 52
; NumVGPRsForWavesPerEU: 54
; AccumOffset: 56
; Occupancy: 6
; WaveLimiterHint : 1
; COMPUTE_PGM_RSRC2:SCRATCH_EN: 0
; COMPUTE_PGM_RSRC2:USER_SGPR: 6
; COMPUTE_PGM_RSRC2:TRAP_HANDLER: 0
; COMPUTE_PGM_RSRC2:TGID_X_EN: 1
; COMPUTE_PGM_RSRC2:TGID_Y_EN: 0
; COMPUTE_PGM_RSRC2:TGID_Z_EN: 0
; COMPUTE_PGM_RSRC2:TIDIG_COMP_CNT: 0
; COMPUTE_PGM_RSRC3_GFX90A:ACCUM_OFFSET: 13
; COMPUTE_PGM_RSRC3_GFX90A:TG_SPLIT: 0
	.section	.text._ZN7rocprim17ROCPRIM_400000_NS6detail17trampoline_kernelINS0_14default_configENS1_25partition_config_selectorILNS1_17partition_subalgoE3EN6thrust23THRUST_200600_302600_NS5tupleIssNS7_9null_typeES9_S9_S9_S9_S9_S9_S9_EENS0_10empty_typeEbEEZZNS1_14partition_implILS5_3ELb0ES3_jNS7_6detail15normal_iteratorINS7_7pointerISA_NS7_11hip_rocprim3tagENS7_11use_defaultESJ_EEEEPSB_SM_NS0_5tupleIJPSA_SM_EEENSN_IJSM_SM_EEESB_PlJ10is_orderedEEE10hipError_tPvRmT3_T4_T5_T6_T7_T9_mT8_P12ihipStream_tbDpT10_ENKUlT_T0_E_clISt17integral_constantIbLb1EES1B_IbLb0EEEEDaS17_S18_EUlS17_E_NS1_11comp_targetILNS1_3genE3ELNS1_11target_archE908ELNS1_3gpuE7ELNS1_3repE0EEENS1_30default_config_static_selectorELNS0_4arch9wavefront6targetE1EEEvT1_,"axG",@progbits,_ZN7rocprim17ROCPRIM_400000_NS6detail17trampoline_kernelINS0_14default_configENS1_25partition_config_selectorILNS1_17partition_subalgoE3EN6thrust23THRUST_200600_302600_NS5tupleIssNS7_9null_typeES9_S9_S9_S9_S9_S9_S9_EENS0_10empty_typeEbEEZZNS1_14partition_implILS5_3ELb0ES3_jNS7_6detail15normal_iteratorINS7_7pointerISA_NS7_11hip_rocprim3tagENS7_11use_defaultESJ_EEEEPSB_SM_NS0_5tupleIJPSA_SM_EEENSN_IJSM_SM_EEESB_PlJ10is_orderedEEE10hipError_tPvRmT3_T4_T5_T6_T7_T9_mT8_P12ihipStream_tbDpT10_ENKUlT_T0_E_clISt17integral_constantIbLb1EES1B_IbLb0EEEEDaS17_S18_EUlS17_E_NS1_11comp_targetILNS1_3genE3ELNS1_11target_archE908ELNS1_3gpuE7ELNS1_3repE0EEENS1_30default_config_static_selectorELNS0_4arch9wavefront6targetE1EEEvT1_,comdat
	.protected	_ZN7rocprim17ROCPRIM_400000_NS6detail17trampoline_kernelINS0_14default_configENS1_25partition_config_selectorILNS1_17partition_subalgoE3EN6thrust23THRUST_200600_302600_NS5tupleIssNS7_9null_typeES9_S9_S9_S9_S9_S9_S9_EENS0_10empty_typeEbEEZZNS1_14partition_implILS5_3ELb0ES3_jNS7_6detail15normal_iteratorINS7_7pointerISA_NS7_11hip_rocprim3tagENS7_11use_defaultESJ_EEEEPSB_SM_NS0_5tupleIJPSA_SM_EEENSN_IJSM_SM_EEESB_PlJ10is_orderedEEE10hipError_tPvRmT3_T4_T5_T6_T7_T9_mT8_P12ihipStream_tbDpT10_ENKUlT_T0_E_clISt17integral_constantIbLb1EES1B_IbLb0EEEEDaS17_S18_EUlS17_E_NS1_11comp_targetILNS1_3genE3ELNS1_11target_archE908ELNS1_3gpuE7ELNS1_3repE0EEENS1_30default_config_static_selectorELNS0_4arch9wavefront6targetE1EEEvT1_ ; -- Begin function _ZN7rocprim17ROCPRIM_400000_NS6detail17trampoline_kernelINS0_14default_configENS1_25partition_config_selectorILNS1_17partition_subalgoE3EN6thrust23THRUST_200600_302600_NS5tupleIssNS7_9null_typeES9_S9_S9_S9_S9_S9_S9_EENS0_10empty_typeEbEEZZNS1_14partition_implILS5_3ELb0ES3_jNS7_6detail15normal_iteratorINS7_7pointerISA_NS7_11hip_rocprim3tagENS7_11use_defaultESJ_EEEEPSB_SM_NS0_5tupleIJPSA_SM_EEENSN_IJSM_SM_EEESB_PlJ10is_orderedEEE10hipError_tPvRmT3_T4_T5_T6_T7_T9_mT8_P12ihipStream_tbDpT10_ENKUlT_T0_E_clISt17integral_constantIbLb1EES1B_IbLb0EEEEDaS17_S18_EUlS17_E_NS1_11comp_targetILNS1_3genE3ELNS1_11target_archE908ELNS1_3gpuE7ELNS1_3repE0EEENS1_30default_config_static_selectorELNS0_4arch9wavefront6targetE1EEEvT1_
	.globl	_ZN7rocprim17ROCPRIM_400000_NS6detail17trampoline_kernelINS0_14default_configENS1_25partition_config_selectorILNS1_17partition_subalgoE3EN6thrust23THRUST_200600_302600_NS5tupleIssNS7_9null_typeES9_S9_S9_S9_S9_S9_S9_EENS0_10empty_typeEbEEZZNS1_14partition_implILS5_3ELb0ES3_jNS7_6detail15normal_iteratorINS7_7pointerISA_NS7_11hip_rocprim3tagENS7_11use_defaultESJ_EEEEPSB_SM_NS0_5tupleIJPSA_SM_EEENSN_IJSM_SM_EEESB_PlJ10is_orderedEEE10hipError_tPvRmT3_T4_T5_T6_T7_T9_mT8_P12ihipStream_tbDpT10_ENKUlT_T0_E_clISt17integral_constantIbLb1EES1B_IbLb0EEEEDaS17_S18_EUlS17_E_NS1_11comp_targetILNS1_3genE3ELNS1_11target_archE908ELNS1_3gpuE7ELNS1_3repE0EEENS1_30default_config_static_selectorELNS0_4arch9wavefront6targetE1EEEvT1_
	.p2align	8
	.type	_ZN7rocprim17ROCPRIM_400000_NS6detail17trampoline_kernelINS0_14default_configENS1_25partition_config_selectorILNS1_17partition_subalgoE3EN6thrust23THRUST_200600_302600_NS5tupleIssNS7_9null_typeES9_S9_S9_S9_S9_S9_S9_EENS0_10empty_typeEbEEZZNS1_14partition_implILS5_3ELb0ES3_jNS7_6detail15normal_iteratorINS7_7pointerISA_NS7_11hip_rocprim3tagENS7_11use_defaultESJ_EEEEPSB_SM_NS0_5tupleIJPSA_SM_EEENSN_IJSM_SM_EEESB_PlJ10is_orderedEEE10hipError_tPvRmT3_T4_T5_T6_T7_T9_mT8_P12ihipStream_tbDpT10_ENKUlT_T0_E_clISt17integral_constantIbLb1EES1B_IbLb0EEEEDaS17_S18_EUlS17_E_NS1_11comp_targetILNS1_3genE3ELNS1_11target_archE908ELNS1_3gpuE7ELNS1_3repE0EEENS1_30default_config_static_selectorELNS0_4arch9wavefront6targetE1EEEvT1_,@function
_ZN7rocprim17ROCPRIM_400000_NS6detail17trampoline_kernelINS0_14default_configENS1_25partition_config_selectorILNS1_17partition_subalgoE3EN6thrust23THRUST_200600_302600_NS5tupleIssNS7_9null_typeES9_S9_S9_S9_S9_S9_S9_EENS0_10empty_typeEbEEZZNS1_14partition_implILS5_3ELb0ES3_jNS7_6detail15normal_iteratorINS7_7pointerISA_NS7_11hip_rocprim3tagENS7_11use_defaultESJ_EEEEPSB_SM_NS0_5tupleIJPSA_SM_EEENSN_IJSM_SM_EEESB_PlJ10is_orderedEEE10hipError_tPvRmT3_T4_T5_T6_T7_T9_mT8_P12ihipStream_tbDpT10_ENKUlT_T0_E_clISt17integral_constantIbLb1EES1B_IbLb0EEEEDaS17_S18_EUlS17_E_NS1_11comp_targetILNS1_3genE3ELNS1_11target_archE908ELNS1_3gpuE7ELNS1_3repE0EEENS1_30default_config_static_selectorELNS0_4arch9wavefront6targetE1EEEvT1_: ; @_ZN7rocprim17ROCPRIM_400000_NS6detail17trampoline_kernelINS0_14default_configENS1_25partition_config_selectorILNS1_17partition_subalgoE3EN6thrust23THRUST_200600_302600_NS5tupleIssNS7_9null_typeES9_S9_S9_S9_S9_S9_S9_EENS0_10empty_typeEbEEZZNS1_14partition_implILS5_3ELb0ES3_jNS7_6detail15normal_iteratorINS7_7pointerISA_NS7_11hip_rocprim3tagENS7_11use_defaultESJ_EEEEPSB_SM_NS0_5tupleIJPSA_SM_EEENSN_IJSM_SM_EEESB_PlJ10is_orderedEEE10hipError_tPvRmT3_T4_T5_T6_T7_T9_mT8_P12ihipStream_tbDpT10_ENKUlT_T0_E_clISt17integral_constantIbLb1EES1B_IbLb0EEEEDaS17_S18_EUlS17_E_NS1_11comp_targetILNS1_3genE3ELNS1_11target_archE908ELNS1_3gpuE7ELNS1_3repE0EEENS1_30default_config_static_selectorELNS0_4arch9wavefront6targetE1EEEvT1_
; %bb.0:
	.section	.rodata,"a",@progbits
	.p2align	6, 0x0
	.amdhsa_kernel _ZN7rocprim17ROCPRIM_400000_NS6detail17trampoline_kernelINS0_14default_configENS1_25partition_config_selectorILNS1_17partition_subalgoE3EN6thrust23THRUST_200600_302600_NS5tupleIssNS7_9null_typeES9_S9_S9_S9_S9_S9_S9_EENS0_10empty_typeEbEEZZNS1_14partition_implILS5_3ELb0ES3_jNS7_6detail15normal_iteratorINS7_7pointerISA_NS7_11hip_rocprim3tagENS7_11use_defaultESJ_EEEEPSB_SM_NS0_5tupleIJPSA_SM_EEENSN_IJSM_SM_EEESB_PlJ10is_orderedEEE10hipError_tPvRmT3_T4_T5_T6_T7_T9_mT8_P12ihipStream_tbDpT10_ENKUlT_T0_E_clISt17integral_constantIbLb1EES1B_IbLb0EEEEDaS17_S18_EUlS17_E_NS1_11comp_targetILNS1_3genE3ELNS1_11target_archE908ELNS1_3gpuE7ELNS1_3repE0EEENS1_30default_config_static_selectorELNS0_4arch9wavefront6targetE1EEEvT1_
		.amdhsa_group_segment_fixed_size 0
		.amdhsa_private_segment_fixed_size 0
		.amdhsa_kernarg_size 120
		.amdhsa_user_sgpr_count 6
		.amdhsa_user_sgpr_private_segment_buffer 1
		.amdhsa_user_sgpr_dispatch_ptr 0
		.amdhsa_user_sgpr_queue_ptr 0
		.amdhsa_user_sgpr_kernarg_segment_ptr 1
		.amdhsa_user_sgpr_dispatch_id 0
		.amdhsa_user_sgpr_flat_scratch_init 0
		.amdhsa_user_sgpr_kernarg_preload_length 0
		.amdhsa_user_sgpr_kernarg_preload_offset 0
		.amdhsa_user_sgpr_private_segment_size 0
		.amdhsa_uses_dynamic_stack 0
		.amdhsa_system_sgpr_private_segment_wavefront_offset 0
		.amdhsa_system_sgpr_workgroup_id_x 1
		.amdhsa_system_sgpr_workgroup_id_y 0
		.amdhsa_system_sgpr_workgroup_id_z 0
		.amdhsa_system_sgpr_workgroup_info 0
		.amdhsa_system_vgpr_workitem_id 0
		.amdhsa_next_free_vgpr 1
		.amdhsa_next_free_sgpr 0
		.amdhsa_accum_offset 4
		.amdhsa_reserve_vcc 0
		.amdhsa_reserve_flat_scratch 0
		.amdhsa_float_round_mode_32 0
		.amdhsa_float_round_mode_16_64 0
		.amdhsa_float_denorm_mode_32 3
		.amdhsa_float_denorm_mode_16_64 3
		.amdhsa_dx10_clamp 1
		.amdhsa_ieee_mode 1
		.amdhsa_fp16_overflow 0
		.amdhsa_tg_split 0
		.amdhsa_exception_fp_ieee_invalid_op 0
		.amdhsa_exception_fp_denorm_src 0
		.amdhsa_exception_fp_ieee_div_zero 0
		.amdhsa_exception_fp_ieee_overflow 0
		.amdhsa_exception_fp_ieee_underflow 0
		.amdhsa_exception_fp_ieee_inexact 0
		.amdhsa_exception_int_div_zero 0
	.end_amdhsa_kernel
	.section	.text._ZN7rocprim17ROCPRIM_400000_NS6detail17trampoline_kernelINS0_14default_configENS1_25partition_config_selectorILNS1_17partition_subalgoE3EN6thrust23THRUST_200600_302600_NS5tupleIssNS7_9null_typeES9_S9_S9_S9_S9_S9_S9_EENS0_10empty_typeEbEEZZNS1_14partition_implILS5_3ELb0ES3_jNS7_6detail15normal_iteratorINS7_7pointerISA_NS7_11hip_rocprim3tagENS7_11use_defaultESJ_EEEEPSB_SM_NS0_5tupleIJPSA_SM_EEENSN_IJSM_SM_EEESB_PlJ10is_orderedEEE10hipError_tPvRmT3_T4_T5_T6_T7_T9_mT8_P12ihipStream_tbDpT10_ENKUlT_T0_E_clISt17integral_constantIbLb1EES1B_IbLb0EEEEDaS17_S18_EUlS17_E_NS1_11comp_targetILNS1_3genE3ELNS1_11target_archE908ELNS1_3gpuE7ELNS1_3repE0EEENS1_30default_config_static_selectorELNS0_4arch9wavefront6targetE1EEEvT1_,"axG",@progbits,_ZN7rocprim17ROCPRIM_400000_NS6detail17trampoline_kernelINS0_14default_configENS1_25partition_config_selectorILNS1_17partition_subalgoE3EN6thrust23THRUST_200600_302600_NS5tupleIssNS7_9null_typeES9_S9_S9_S9_S9_S9_S9_EENS0_10empty_typeEbEEZZNS1_14partition_implILS5_3ELb0ES3_jNS7_6detail15normal_iteratorINS7_7pointerISA_NS7_11hip_rocprim3tagENS7_11use_defaultESJ_EEEEPSB_SM_NS0_5tupleIJPSA_SM_EEENSN_IJSM_SM_EEESB_PlJ10is_orderedEEE10hipError_tPvRmT3_T4_T5_T6_T7_T9_mT8_P12ihipStream_tbDpT10_ENKUlT_T0_E_clISt17integral_constantIbLb1EES1B_IbLb0EEEEDaS17_S18_EUlS17_E_NS1_11comp_targetILNS1_3genE3ELNS1_11target_archE908ELNS1_3gpuE7ELNS1_3repE0EEENS1_30default_config_static_selectorELNS0_4arch9wavefront6targetE1EEEvT1_,comdat
.Lfunc_end3548:
	.size	_ZN7rocprim17ROCPRIM_400000_NS6detail17trampoline_kernelINS0_14default_configENS1_25partition_config_selectorILNS1_17partition_subalgoE3EN6thrust23THRUST_200600_302600_NS5tupleIssNS7_9null_typeES9_S9_S9_S9_S9_S9_S9_EENS0_10empty_typeEbEEZZNS1_14partition_implILS5_3ELb0ES3_jNS7_6detail15normal_iteratorINS7_7pointerISA_NS7_11hip_rocprim3tagENS7_11use_defaultESJ_EEEEPSB_SM_NS0_5tupleIJPSA_SM_EEENSN_IJSM_SM_EEESB_PlJ10is_orderedEEE10hipError_tPvRmT3_T4_T5_T6_T7_T9_mT8_P12ihipStream_tbDpT10_ENKUlT_T0_E_clISt17integral_constantIbLb1EES1B_IbLb0EEEEDaS17_S18_EUlS17_E_NS1_11comp_targetILNS1_3genE3ELNS1_11target_archE908ELNS1_3gpuE7ELNS1_3repE0EEENS1_30default_config_static_selectorELNS0_4arch9wavefront6targetE1EEEvT1_, .Lfunc_end3548-_ZN7rocprim17ROCPRIM_400000_NS6detail17trampoline_kernelINS0_14default_configENS1_25partition_config_selectorILNS1_17partition_subalgoE3EN6thrust23THRUST_200600_302600_NS5tupleIssNS7_9null_typeES9_S9_S9_S9_S9_S9_S9_EENS0_10empty_typeEbEEZZNS1_14partition_implILS5_3ELb0ES3_jNS7_6detail15normal_iteratorINS7_7pointerISA_NS7_11hip_rocprim3tagENS7_11use_defaultESJ_EEEEPSB_SM_NS0_5tupleIJPSA_SM_EEENSN_IJSM_SM_EEESB_PlJ10is_orderedEEE10hipError_tPvRmT3_T4_T5_T6_T7_T9_mT8_P12ihipStream_tbDpT10_ENKUlT_T0_E_clISt17integral_constantIbLb1EES1B_IbLb0EEEEDaS17_S18_EUlS17_E_NS1_11comp_targetILNS1_3genE3ELNS1_11target_archE908ELNS1_3gpuE7ELNS1_3repE0EEENS1_30default_config_static_selectorELNS0_4arch9wavefront6targetE1EEEvT1_
                                        ; -- End function
	.section	.AMDGPU.csdata,"",@progbits
; Kernel info:
; codeLenInByte = 0
; NumSgprs: 4
; NumVgprs: 0
; NumAgprs: 0
; TotalNumVgprs: 0
; ScratchSize: 0
; MemoryBound: 0
; FloatMode: 240
; IeeeMode: 1
; LDSByteSize: 0 bytes/workgroup (compile time only)
; SGPRBlocks: 0
; VGPRBlocks: 0
; NumSGPRsForWavesPerEU: 4
; NumVGPRsForWavesPerEU: 1
; AccumOffset: 4
; Occupancy: 8
; WaveLimiterHint : 0
; COMPUTE_PGM_RSRC2:SCRATCH_EN: 0
; COMPUTE_PGM_RSRC2:USER_SGPR: 6
; COMPUTE_PGM_RSRC2:TRAP_HANDLER: 0
; COMPUTE_PGM_RSRC2:TGID_X_EN: 1
; COMPUTE_PGM_RSRC2:TGID_Y_EN: 0
; COMPUTE_PGM_RSRC2:TGID_Z_EN: 0
; COMPUTE_PGM_RSRC2:TIDIG_COMP_CNT: 0
; COMPUTE_PGM_RSRC3_GFX90A:ACCUM_OFFSET: 0
; COMPUTE_PGM_RSRC3_GFX90A:TG_SPLIT: 0
	.section	.text._ZN7rocprim17ROCPRIM_400000_NS6detail17trampoline_kernelINS0_14default_configENS1_25partition_config_selectorILNS1_17partition_subalgoE3EN6thrust23THRUST_200600_302600_NS5tupleIssNS7_9null_typeES9_S9_S9_S9_S9_S9_S9_EENS0_10empty_typeEbEEZZNS1_14partition_implILS5_3ELb0ES3_jNS7_6detail15normal_iteratorINS7_7pointerISA_NS7_11hip_rocprim3tagENS7_11use_defaultESJ_EEEEPSB_SM_NS0_5tupleIJPSA_SM_EEENSN_IJSM_SM_EEESB_PlJ10is_orderedEEE10hipError_tPvRmT3_T4_T5_T6_T7_T9_mT8_P12ihipStream_tbDpT10_ENKUlT_T0_E_clISt17integral_constantIbLb1EES1B_IbLb0EEEEDaS17_S18_EUlS17_E_NS1_11comp_targetILNS1_3genE2ELNS1_11target_archE906ELNS1_3gpuE6ELNS1_3repE0EEENS1_30default_config_static_selectorELNS0_4arch9wavefront6targetE1EEEvT1_,"axG",@progbits,_ZN7rocprim17ROCPRIM_400000_NS6detail17trampoline_kernelINS0_14default_configENS1_25partition_config_selectorILNS1_17partition_subalgoE3EN6thrust23THRUST_200600_302600_NS5tupleIssNS7_9null_typeES9_S9_S9_S9_S9_S9_S9_EENS0_10empty_typeEbEEZZNS1_14partition_implILS5_3ELb0ES3_jNS7_6detail15normal_iteratorINS7_7pointerISA_NS7_11hip_rocprim3tagENS7_11use_defaultESJ_EEEEPSB_SM_NS0_5tupleIJPSA_SM_EEENSN_IJSM_SM_EEESB_PlJ10is_orderedEEE10hipError_tPvRmT3_T4_T5_T6_T7_T9_mT8_P12ihipStream_tbDpT10_ENKUlT_T0_E_clISt17integral_constantIbLb1EES1B_IbLb0EEEEDaS17_S18_EUlS17_E_NS1_11comp_targetILNS1_3genE2ELNS1_11target_archE906ELNS1_3gpuE6ELNS1_3repE0EEENS1_30default_config_static_selectorELNS0_4arch9wavefront6targetE1EEEvT1_,comdat
	.protected	_ZN7rocprim17ROCPRIM_400000_NS6detail17trampoline_kernelINS0_14default_configENS1_25partition_config_selectorILNS1_17partition_subalgoE3EN6thrust23THRUST_200600_302600_NS5tupleIssNS7_9null_typeES9_S9_S9_S9_S9_S9_S9_EENS0_10empty_typeEbEEZZNS1_14partition_implILS5_3ELb0ES3_jNS7_6detail15normal_iteratorINS7_7pointerISA_NS7_11hip_rocprim3tagENS7_11use_defaultESJ_EEEEPSB_SM_NS0_5tupleIJPSA_SM_EEENSN_IJSM_SM_EEESB_PlJ10is_orderedEEE10hipError_tPvRmT3_T4_T5_T6_T7_T9_mT8_P12ihipStream_tbDpT10_ENKUlT_T0_E_clISt17integral_constantIbLb1EES1B_IbLb0EEEEDaS17_S18_EUlS17_E_NS1_11comp_targetILNS1_3genE2ELNS1_11target_archE906ELNS1_3gpuE6ELNS1_3repE0EEENS1_30default_config_static_selectorELNS0_4arch9wavefront6targetE1EEEvT1_ ; -- Begin function _ZN7rocprim17ROCPRIM_400000_NS6detail17trampoline_kernelINS0_14default_configENS1_25partition_config_selectorILNS1_17partition_subalgoE3EN6thrust23THRUST_200600_302600_NS5tupleIssNS7_9null_typeES9_S9_S9_S9_S9_S9_S9_EENS0_10empty_typeEbEEZZNS1_14partition_implILS5_3ELb0ES3_jNS7_6detail15normal_iteratorINS7_7pointerISA_NS7_11hip_rocprim3tagENS7_11use_defaultESJ_EEEEPSB_SM_NS0_5tupleIJPSA_SM_EEENSN_IJSM_SM_EEESB_PlJ10is_orderedEEE10hipError_tPvRmT3_T4_T5_T6_T7_T9_mT8_P12ihipStream_tbDpT10_ENKUlT_T0_E_clISt17integral_constantIbLb1EES1B_IbLb0EEEEDaS17_S18_EUlS17_E_NS1_11comp_targetILNS1_3genE2ELNS1_11target_archE906ELNS1_3gpuE6ELNS1_3repE0EEENS1_30default_config_static_selectorELNS0_4arch9wavefront6targetE1EEEvT1_
	.globl	_ZN7rocprim17ROCPRIM_400000_NS6detail17trampoline_kernelINS0_14default_configENS1_25partition_config_selectorILNS1_17partition_subalgoE3EN6thrust23THRUST_200600_302600_NS5tupleIssNS7_9null_typeES9_S9_S9_S9_S9_S9_S9_EENS0_10empty_typeEbEEZZNS1_14partition_implILS5_3ELb0ES3_jNS7_6detail15normal_iteratorINS7_7pointerISA_NS7_11hip_rocprim3tagENS7_11use_defaultESJ_EEEEPSB_SM_NS0_5tupleIJPSA_SM_EEENSN_IJSM_SM_EEESB_PlJ10is_orderedEEE10hipError_tPvRmT3_T4_T5_T6_T7_T9_mT8_P12ihipStream_tbDpT10_ENKUlT_T0_E_clISt17integral_constantIbLb1EES1B_IbLb0EEEEDaS17_S18_EUlS17_E_NS1_11comp_targetILNS1_3genE2ELNS1_11target_archE906ELNS1_3gpuE6ELNS1_3repE0EEENS1_30default_config_static_selectorELNS0_4arch9wavefront6targetE1EEEvT1_
	.p2align	8
	.type	_ZN7rocprim17ROCPRIM_400000_NS6detail17trampoline_kernelINS0_14default_configENS1_25partition_config_selectorILNS1_17partition_subalgoE3EN6thrust23THRUST_200600_302600_NS5tupleIssNS7_9null_typeES9_S9_S9_S9_S9_S9_S9_EENS0_10empty_typeEbEEZZNS1_14partition_implILS5_3ELb0ES3_jNS7_6detail15normal_iteratorINS7_7pointerISA_NS7_11hip_rocprim3tagENS7_11use_defaultESJ_EEEEPSB_SM_NS0_5tupleIJPSA_SM_EEENSN_IJSM_SM_EEESB_PlJ10is_orderedEEE10hipError_tPvRmT3_T4_T5_T6_T7_T9_mT8_P12ihipStream_tbDpT10_ENKUlT_T0_E_clISt17integral_constantIbLb1EES1B_IbLb0EEEEDaS17_S18_EUlS17_E_NS1_11comp_targetILNS1_3genE2ELNS1_11target_archE906ELNS1_3gpuE6ELNS1_3repE0EEENS1_30default_config_static_selectorELNS0_4arch9wavefront6targetE1EEEvT1_,@function
_ZN7rocprim17ROCPRIM_400000_NS6detail17trampoline_kernelINS0_14default_configENS1_25partition_config_selectorILNS1_17partition_subalgoE3EN6thrust23THRUST_200600_302600_NS5tupleIssNS7_9null_typeES9_S9_S9_S9_S9_S9_S9_EENS0_10empty_typeEbEEZZNS1_14partition_implILS5_3ELb0ES3_jNS7_6detail15normal_iteratorINS7_7pointerISA_NS7_11hip_rocprim3tagENS7_11use_defaultESJ_EEEEPSB_SM_NS0_5tupleIJPSA_SM_EEENSN_IJSM_SM_EEESB_PlJ10is_orderedEEE10hipError_tPvRmT3_T4_T5_T6_T7_T9_mT8_P12ihipStream_tbDpT10_ENKUlT_T0_E_clISt17integral_constantIbLb1EES1B_IbLb0EEEEDaS17_S18_EUlS17_E_NS1_11comp_targetILNS1_3genE2ELNS1_11target_archE906ELNS1_3gpuE6ELNS1_3repE0EEENS1_30default_config_static_selectorELNS0_4arch9wavefront6targetE1EEEvT1_: ; @_ZN7rocprim17ROCPRIM_400000_NS6detail17trampoline_kernelINS0_14default_configENS1_25partition_config_selectorILNS1_17partition_subalgoE3EN6thrust23THRUST_200600_302600_NS5tupleIssNS7_9null_typeES9_S9_S9_S9_S9_S9_S9_EENS0_10empty_typeEbEEZZNS1_14partition_implILS5_3ELb0ES3_jNS7_6detail15normal_iteratorINS7_7pointerISA_NS7_11hip_rocprim3tagENS7_11use_defaultESJ_EEEEPSB_SM_NS0_5tupleIJPSA_SM_EEENSN_IJSM_SM_EEESB_PlJ10is_orderedEEE10hipError_tPvRmT3_T4_T5_T6_T7_T9_mT8_P12ihipStream_tbDpT10_ENKUlT_T0_E_clISt17integral_constantIbLb1EES1B_IbLb0EEEEDaS17_S18_EUlS17_E_NS1_11comp_targetILNS1_3genE2ELNS1_11target_archE906ELNS1_3gpuE6ELNS1_3repE0EEENS1_30default_config_static_selectorELNS0_4arch9wavefront6targetE1EEEvT1_
; %bb.0:
	.section	.rodata,"a",@progbits
	.p2align	6, 0x0
	.amdhsa_kernel _ZN7rocprim17ROCPRIM_400000_NS6detail17trampoline_kernelINS0_14default_configENS1_25partition_config_selectorILNS1_17partition_subalgoE3EN6thrust23THRUST_200600_302600_NS5tupleIssNS7_9null_typeES9_S9_S9_S9_S9_S9_S9_EENS0_10empty_typeEbEEZZNS1_14partition_implILS5_3ELb0ES3_jNS7_6detail15normal_iteratorINS7_7pointerISA_NS7_11hip_rocprim3tagENS7_11use_defaultESJ_EEEEPSB_SM_NS0_5tupleIJPSA_SM_EEENSN_IJSM_SM_EEESB_PlJ10is_orderedEEE10hipError_tPvRmT3_T4_T5_T6_T7_T9_mT8_P12ihipStream_tbDpT10_ENKUlT_T0_E_clISt17integral_constantIbLb1EES1B_IbLb0EEEEDaS17_S18_EUlS17_E_NS1_11comp_targetILNS1_3genE2ELNS1_11target_archE906ELNS1_3gpuE6ELNS1_3repE0EEENS1_30default_config_static_selectorELNS0_4arch9wavefront6targetE1EEEvT1_
		.amdhsa_group_segment_fixed_size 0
		.amdhsa_private_segment_fixed_size 0
		.amdhsa_kernarg_size 120
		.amdhsa_user_sgpr_count 6
		.amdhsa_user_sgpr_private_segment_buffer 1
		.amdhsa_user_sgpr_dispatch_ptr 0
		.amdhsa_user_sgpr_queue_ptr 0
		.amdhsa_user_sgpr_kernarg_segment_ptr 1
		.amdhsa_user_sgpr_dispatch_id 0
		.amdhsa_user_sgpr_flat_scratch_init 0
		.amdhsa_user_sgpr_kernarg_preload_length 0
		.amdhsa_user_sgpr_kernarg_preload_offset 0
		.amdhsa_user_sgpr_private_segment_size 0
		.amdhsa_uses_dynamic_stack 0
		.amdhsa_system_sgpr_private_segment_wavefront_offset 0
		.amdhsa_system_sgpr_workgroup_id_x 1
		.amdhsa_system_sgpr_workgroup_id_y 0
		.amdhsa_system_sgpr_workgroup_id_z 0
		.amdhsa_system_sgpr_workgroup_info 0
		.amdhsa_system_vgpr_workitem_id 0
		.amdhsa_next_free_vgpr 1
		.amdhsa_next_free_sgpr 0
		.amdhsa_accum_offset 4
		.amdhsa_reserve_vcc 0
		.amdhsa_reserve_flat_scratch 0
		.amdhsa_float_round_mode_32 0
		.amdhsa_float_round_mode_16_64 0
		.amdhsa_float_denorm_mode_32 3
		.amdhsa_float_denorm_mode_16_64 3
		.amdhsa_dx10_clamp 1
		.amdhsa_ieee_mode 1
		.amdhsa_fp16_overflow 0
		.amdhsa_tg_split 0
		.amdhsa_exception_fp_ieee_invalid_op 0
		.amdhsa_exception_fp_denorm_src 0
		.amdhsa_exception_fp_ieee_div_zero 0
		.amdhsa_exception_fp_ieee_overflow 0
		.amdhsa_exception_fp_ieee_underflow 0
		.amdhsa_exception_fp_ieee_inexact 0
		.amdhsa_exception_int_div_zero 0
	.end_amdhsa_kernel
	.section	.text._ZN7rocprim17ROCPRIM_400000_NS6detail17trampoline_kernelINS0_14default_configENS1_25partition_config_selectorILNS1_17partition_subalgoE3EN6thrust23THRUST_200600_302600_NS5tupleIssNS7_9null_typeES9_S9_S9_S9_S9_S9_S9_EENS0_10empty_typeEbEEZZNS1_14partition_implILS5_3ELb0ES3_jNS7_6detail15normal_iteratorINS7_7pointerISA_NS7_11hip_rocprim3tagENS7_11use_defaultESJ_EEEEPSB_SM_NS0_5tupleIJPSA_SM_EEENSN_IJSM_SM_EEESB_PlJ10is_orderedEEE10hipError_tPvRmT3_T4_T5_T6_T7_T9_mT8_P12ihipStream_tbDpT10_ENKUlT_T0_E_clISt17integral_constantIbLb1EES1B_IbLb0EEEEDaS17_S18_EUlS17_E_NS1_11comp_targetILNS1_3genE2ELNS1_11target_archE906ELNS1_3gpuE6ELNS1_3repE0EEENS1_30default_config_static_selectorELNS0_4arch9wavefront6targetE1EEEvT1_,"axG",@progbits,_ZN7rocprim17ROCPRIM_400000_NS6detail17trampoline_kernelINS0_14default_configENS1_25partition_config_selectorILNS1_17partition_subalgoE3EN6thrust23THRUST_200600_302600_NS5tupleIssNS7_9null_typeES9_S9_S9_S9_S9_S9_S9_EENS0_10empty_typeEbEEZZNS1_14partition_implILS5_3ELb0ES3_jNS7_6detail15normal_iteratorINS7_7pointerISA_NS7_11hip_rocprim3tagENS7_11use_defaultESJ_EEEEPSB_SM_NS0_5tupleIJPSA_SM_EEENSN_IJSM_SM_EEESB_PlJ10is_orderedEEE10hipError_tPvRmT3_T4_T5_T6_T7_T9_mT8_P12ihipStream_tbDpT10_ENKUlT_T0_E_clISt17integral_constantIbLb1EES1B_IbLb0EEEEDaS17_S18_EUlS17_E_NS1_11comp_targetILNS1_3genE2ELNS1_11target_archE906ELNS1_3gpuE6ELNS1_3repE0EEENS1_30default_config_static_selectorELNS0_4arch9wavefront6targetE1EEEvT1_,comdat
.Lfunc_end3549:
	.size	_ZN7rocprim17ROCPRIM_400000_NS6detail17trampoline_kernelINS0_14default_configENS1_25partition_config_selectorILNS1_17partition_subalgoE3EN6thrust23THRUST_200600_302600_NS5tupleIssNS7_9null_typeES9_S9_S9_S9_S9_S9_S9_EENS0_10empty_typeEbEEZZNS1_14partition_implILS5_3ELb0ES3_jNS7_6detail15normal_iteratorINS7_7pointerISA_NS7_11hip_rocprim3tagENS7_11use_defaultESJ_EEEEPSB_SM_NS0_5tupleIJPSA_SM_EEENSN_IJSM_SM_EEESB_PlJ10is_orderedEEE10hipError_tPvRmT3_T4_T5_T6_T7_T9_mT8_P12ihipStream_tbDpT10_ENKUlT_T0_E_clISt17integral_constantIbLb1EES1B_IbLb0EEEEDaS17_S18_EUlS17_E_NS1_11comp_targetILNS1_3genE2ELNS1_11target_archE906ELNS1_3gpuE6ELNS1_3repE0EEENS1_30default_config_static_selectorELNS0_4arch9wavefront6targetE1EEEvT1_, .Lfunc_end3549-_ZN7rocprim17ROCPRIM_400000_NS6detail17trampoline_kernelINS0_14default_configENS1_25partition_config_selectorILNS1_17partition_subalgoE3EN6thrust23THRUST_200600_302600_NS5tupleIssNS7_9null_typeES9_S9_S9_S9_S9_S9_S9_EENS0_10empty_typeEbEEZZNS1_14partition_implILS5_3ELb0ES3_jNS7_6detail15normal_iteratorINS7_7pointerISA_NS7_11hip_rocprim3tagENS7_11use_defaultESJ_EEEEPSB_SM_NS0_5tupleIJPSA_SM_EEENSN_IJSM_SM_EEESB_PlJ10is_orderedEEE10hipError_tPvRmT3_T4_T5_T6_T7_T9_mT8_P12ihipStream_tbDpT10_ENKUlT_T0_E_clISt17integral_constantIbLb1EES1B_IbLb0EEEEDaS17_S18_EUlS17_E_NS1_11comp_targetILNS1_3genE2ELNS1_11target_archE906ELNS1_3gpuE6ELNS1_3repE0EEENS1_30default_config_static_selectorELNS0_4arch9wavefront6targetE1EEEvT1_
                                        ; -- End function
	.section	.AMDGPU.csdata,"",@progbits
; Kernel info:
; codeLenInByte = 0
; NumSgprs: 4
; NumVgprs: 0
; NumAgprs: 0
; TotalNumVgprs: 0
; ScratchSize: 0
; MemoryBound: 0
; FloatMode: 240
; IeeeMode: 1
; LDSByteSize: 0 bytes/workgroup (compile time only)
; SGPRBlocks: 0
; VGPRBlocks: 0
; NumSGPRsForWavesPerEU: 4
; NumVGPRsForWavesPerEU: 1
; AccumOffset: 4
; Occupancy: 8
; WaveLimiterHint : 0
; COMPUTE_PGM_RSRC2:SCRATCH_EN: 0
; COMPUTE_PGM_RSRC2:USER_SGPR: 6
; COMPUTE_PGM_RSRC2:TRAP_HANDLER: 0
; COMPUTE_PGM_RSRC2:TGID_X_EN: 1
; COMPUTE_PGM_RSRC2:TGID_Y_EN: 0
; COMPUTE_PGM_RSRC2:TGID_Z_EN: 0
; COMPUTE_PGM_RSRC2:TIDIG_COMP_CNT: 0
; COMPUTE_PGM_RSRC3_GFX90A:ACCUM_OFFSET: 0
; COMPUTE_PGM_RSRC3_GFX90A:TG_SPLIT: 0
	.section	.text._ZN7rocprim17ROCPRIM_400000_NS6detail17trampoline_kernelINS0_14default_configENS1_25partition_config_selectorILNS1_17partition_subalgoE3EN6thrust23THRUST_200600_302600_NS5tupleIssNS7_9null_typeES9_S9_S9_S9_S9_S9_S9_EENS0_10empty_typeEbEEZZNS1_14partition_implILS5_3ELb0ES3_jNS7_6detail15normal_iteratorINS7_7pointerISA_NS7_11hip_rocprim3tagENS7_11use_defaultESJ_EEEEPSB_SM_NS0_5tupleIJPSA_SM_EEENSN_IJSM_SM_EEESB_PlJ10is_orderedEEE10hipError_tPvRmT3_T4_T5_T6_T7_T9_mT8_P12ihipStream_tbDpT10_ENKUlT_T0_E_clISt17integral_constantIbLb1EES1B_IbLb0EEEEDaS17_S18_EUlS17_E_NS1_11comp_targetILNS1_3genE10ELNS1_11target_archE1200ELNS1_3gpuE4ELNS1_3repE0EEENS1_30default_config_static_selectorELNS0_4arch9wavefront6targetE1EEEvT1_,"axG",@progbits,_ZN7rocprim17ROCPRIM_400000_NS6detail17trampoline_kernelINS0_14default_configENS1_25partition_config_selectorILNS1_17partition_subalgoE3EN6thrust23THRUST_200600_302600_NS5tupleIssNS7_9null_typeES9_S9_S9_S9_S9_S9_S9_EENS0_10empty_typeEbEEZZNS1_14partition_implILS5_3ELb0ES3_jNS7_6detail15normal_iteratorINS7_7pointerISA_NS7_11hip_rocprim3tagENS7_11use_defaultESJ_EEEEPSB_SM_NS0_5tupleIJPSA_SM_EEENSN_IJSM_SM_EEESB_PlJ10is_orderedEEE10hipError_tPvRmT3_T4_T5_T6_T7_T9_mT8_P12ihipStream_tbDpT10_ENKUlT_T0_E_clISt17integral_constantIbLb1EES1B_IbLb0EEEEDaS17_S18_EUlS17_E_NS1_11comp_targetILNS1_3genE10ELNS1_11target_archE1200ELNS1_3gpuE4ELNS1_3repE0EEENS1_30default_config_static_selectorELNS0_4arch9wavefront6targetE1EEEvT1_,comdat
	.protected	_ZN7rocprim17ROCPRIM_400000_NS6detail17trampoline_kernelINS0_14default_configENS1_25partition_config_selectorILNS1_17partition_subalgoE3EN6thrust23THRUST_200600_302600_NS5tupleIssNS7_9null_typeES9_S9_S9_S9_S9_S9_S9_EENS0_10empty_typeEbEEZZNS1_14partition_implILS5_3ELb0ES3_jNS7_6detail15normal_iteratorINS7_7pointerISA_NS7_11hip_rocprim3tagENS7_11use_defaultESJ_EEEEPSB_SM_NS0_5tupleIJPSA_SM_EEENSN_IJSM_SM_EEESB_PlJ10is_orderedEEE10hipError_tPvRmT3_T4_T5_T6_T7_T9_mT8_P12ihipStream_tbDpT10_ENKUlT_T0_E_clISt17integral_constantIbLb1EES1B_IbLb0EEEEDaS17_S18_EUlS17_E_NS1_11comp_targetILNS1_3genE10ELNS1_11target_archE1200ELNS1_3gpuE4ELNS1_3repE0EEENS1_30default_config_static_selectorELNS0_4arch9wavefront6targetE1EEEvT1_ ; -- Begin function _ZN7rocprim17ROCPRIM_400000_NS6detail17trampoline_kernelINS0_14default_configENS1_25partition_config_selectorILNS1_17partition_subalgoE3EN6thrust23THRUST_200600_302600_NS5tupleIssNS7_9null_typeES9_S9_S9_S9_S9_S9_S9_EENS0_10empty_typeEbEEZZNS1_14partition_implILS5_3ELb0ES3_jNS7_6detail15normal_iteratorINS7_7pointerISA_NS7_11hip_rocprim3tagENS7_11use_defaultESJ_EEEEPSB_SM_NS0_5tupleIJPSA_SM_EEENSN_IJSM_SM_EEESB_PlJ10is_orderedEEE10hipError_tPvRmT3_T4_T5_T6_T7_T9_mT8_P12ihipStream_tbDpT10_ENKUlT_T0_E_clISt17integral_constantIbLb1EES1B_IbLb0EEEEDaS17_S18_EUlS17_E_NS1_11comp_targetILNS1_3genE10ELNS1_11target_archE1200ELNS1_3gpuE4ELNS1_3repE0EEENS1_30default_config_static_selectorELNS0_4arch9wavefront6targetE1EEEvT1_
	.globl	_ZN7rocprim17ROCPRIM_400000_NS6detail17trampoline_kernelINS0_14default_configENS1_25partition_config_selectorILNS1_17partition_subalgoE3EN6thrust23THRUST_200600_302600_NS5tupleIssNS7_9null_typeES9_S9_S9_S9_S9_S9_S9_EENS0_10empty_typeEbEEZZNS1_14partition_implILS5_3ELb0ES3_jNS7_6detail15normal_iteratorINS7_7pointerISA_NS7_11hip_rocprim3tagENS7_11use_defaultESJ_EEEEPSB_SM_NS0_5tupleIJPSA_SM_EEENSN_IJSM_SM_EEESB_PlJ10is_orderedEEE10hipError_tPvRmT3_T4_T5_T6_T7_T9_mT8_P12ihipStream_tbDpT10_ENKUlT_T0_E_clISt17integral_constantIbLb1EES1B_IbLb0EEEEDaS17_S18_EUlS17_E_NS1_11comp_targetILNS1_3genE10ELNS1_11target_archE1200ELNS1_3gpuE4ELNS1_3repE0EEENS1_30default_config_static_selectorELNS0_4arch9wavefront6targetE1EEEvT1_
	.p2align	8
	.type	_ZN7rocprim17ROCPRIM_400000_NS6detail17trampoline_kernelINS0_14default_configENS1_25partition_config_selectorILNS1_17partition_subalgoE3EN6thrust23THRUST_200600_302600_NS5tupleIssNS7_9null_typeES9_S9_S9_S9_S9_S9_S9_EENS0_10empty_typeEbEEZZNS1_14partition_implILS5_3ELb0ES3_jNS7_6detail15normal_iteratorINS7_7pointerISA_NS7_11hip_rocprim3tagENS7_11use_defaultESJ_EEEEPSB_SM_NS0_5tupleIJPSA_SM_EEENSN_IJSM_SM_EEESB_PlJ10is_orderedEEE10hipError_tPvRmT3_T4_T5_T6_T7_T9_mT8_P12ihipStream_tbDpT10_ENKUlT_T0_E_clISt17integral_constantIbLb1EES1B_IbLb0EEEEDaS17_S18_EUlS17_E_NS1_11comp_targetILNS1_3genE10ELNS1_11target_archE1200ELNS1_3gpuE4ELNS1_3repE0EEENS1_30default_config_static_selectorELNS0_4arch9wavefront6targetE1EEEvT1_,@function
_ZN7rocprim17ROCPRIM_400000_NS6detail17trampoline_kernelINS0_14default_configENS1_25partition_config_selectorILNS1_17partition_subalgoE3EN6thrust23THRUST_200600_302600_NS5tupleIssNS7_9null_typeES9_S9_S9_S9_S9_S9_S9_EENS0_10empty_typeEbEEZZNS1_14partition_implILS5_3ELb0ES3_jNS7_6detail15normal_iteratorINS7_7pointerISA_NS7_11hip_rocprim3tagENS7_11use_defaultESJ_EEEEPSB_SM_NS0_5tupleIJPSA_SM_EEENSN_IJSM_SM_EEESB_PlJ10is_orderedEEE10hipError_tPvRmT3_T4_T5_T6_T7_T9_mT8_P12ihipStream_tbDpT10_ENKUlT_T0_E_clISt17integral_constantIbLb1EES1B_IbLb0EEEEDaS17_S18_EUlS17_E_NS1_11comp_targetILNS1_3genE10ELNS1_11target_archE1200ELNS1_3gpuE4ELNS1_3repE0EEENS1_30default_config_static_selectorELNS0_4arch9wavefront6targetE1EEEvT1_: ; @_ZN7rocprim17ROCPRIM_400000_NS6detail17trampoline_kernelINS0_14default_configENS1_25partition_config_selectorILNS1_17partition_subalgoE3EN6thrust23THRUST_200600_302600_NS5tupleIssNS7_9null_typeES9_S9_S9_S9_S9_S9_S9_EENS0_10empty_typeEbEEZZNS1_14partition_implILS5_3ELb0ES3_jNS7_6detail15normal_iteratorINS7_7pointerISA_NS7_11hip_rocprim3tagENS7_11use_defaultESJ_EEEEPSB_SM_NS0_5tupleIJPSA_SM_EEENSN_IJSM_SM_EEESB_PlJ10is_orderedEEE10hipError_tPvRmT3_T4_T5_T6_T7_T9_mT8_P12ihipStream_tbDpT10_ENKUlT_T0_E_clISt17integral_constantIbLb1EES1B_IbLb0EEEEDaS17_S18_EUlS17_E_NS1_11comp_targetILNS1_3genE10ELNS1_11target_archE1200ELNS1_3gpuE4ELNS1_3repE0EEENS1_30default_config_static_selectorELNS0_4arch9wavefront6targetE1EEEvT1_
; %bb.0:
	.section	.rodata,"a",@progbits
	.p2align	6, 0x0
	.amdhsa_kernel _ZN7rocprim17ROCPRIM_400000_NS6detail17trampoline_kernelINS0_14default_configENS1_25partition_config_selectorILNS1_17partition_subalgoE3EN6thrust23THRUST_200600_302600_NS5tupleIssNS7_9null_typeES9_S9_S9_S9_S9_S9_S9_EENS0_10empty_typeEbEEZZNS1_14partition_implILS5_3ELb0ES3_jNS7_6detail15normal_iteratorINS7_7pointerISA_NS7_11hip_rocprim3tagENS7_11use_defaultESJ_EEEEPSB_SM_NS0_5tupleIJPSA_SM_EEENSN_IJSM_SM_EEESB_PlJ10is_orderedEEE10hipError_tPvRmT3_T4_T5_T6_T7_T9_mT8_P12ihipStream_tbDpT10_ENKUlT_T0_E_clISt17integral_constantIbLb1EES1B_IbLb0EEEEDaS17_S18_EUlS17_E_NS1_11comp_targetILNS1_3genE10ELNS1_11target_archE1200ELNS1_3gpuE4ELNS1_3repE0EEENS1_30default_config_static_selectorELNS0_4arch9wavefront6targetE1EEEvT1_
		.amdhsa_group_segment_fixed_size 0
		.amdhsa_private_segment_fixed_size 0
		.amdhsa_kernarg_size 120
		.amdhsa_user_sgpr_count 6
		.amdhsa_user_sgpr_private_segment_buffer 1
		.amdhsa_user_sgpr_dispatch_ptr 0
		.amdhsa_user_sgpr_queue_ptr 0
		.amdhsa_user_sgpr_kernarg_segment_ptr 1
		.amdhsa_user_sgpr_dispatch_id 0
		.amdhsa_user_sgpr_flat_scratch_init 0
		.amdhsa_user_sgpr_kernarg_preload_length 0
		.amdhsa_user_sgpr_kernarg_preload_offset 0
		.amdhsa_user_sgpr_private_segment_size 0
		.amdhsa_uses_dynamic_stack 0
		.amdhsa_system_sgpr_private_segment_wavefront_offset 0
		.amdhsa_system_sgpr_workgroup_id_x 1
		.amdhsa_system_sgpr_workgroup_id_y 0
		.amdhsa_system_sgpr_workgroup_id_z 0
		.amdhsa_system_sgpr_workgroup_info 0
		.amdhsa_system_vgpr_workitem_id 0
		.amdhsa_next_free_vgpr 1
		.amdhsa_next_free_sgpr 0
		.amdhsa_accum_offset 4
		.amdhsa_reserve_vcc 0
		.amdhsa_reserve_flat_scratch 0
		.amdhsa_float_round_mode_32 0
		.amdhsa_float_round_mode_16_64 0
		.amdhsa_float_denorm_mode_32 3
		.amdhsa_float_denorm_mode_16_64 3
		.amdhsa_dx10_clamp 1
		.amdhsa_ieee_mode 1
		.amdhsa_fp16_overflow 0
		.amdhsa_tg_split 0
		.amdhsa_exception_fp_ieee_invalid_op 0
		.amdhsa_exception_fp_denorm_src 0
		.amdhsa_exception_fp_ieee_div_zero 0
		.amdhsa_exception_fp_ieee_overflow 0
		.amdhsa_exception_fp_ieee_underflow 0
		.amdhsa_exception_fp_ieee_inexact 0
		.amdhsa_exception_int_div_zero 0
	.end_amdhsa_kernel
	.section	.text._ZN7rocprim17ROCPRIM_400000_NS6detail17trampoline_kernelINS0_14default_configENS1_25partition_config_selectorILNS1_17partition_subalgoE3EN6thrust23THRUST_200600_302600_NS5tupleIssNS7_9null_typeES9_S9_S9_S9_S9_S9_S9_EENS0_10empty_typeEbEEZZNS1_14partition_implILS5_3ELb0ES3_jNS7_6detail15normal_iteratorINS7_7pointerISA_NS7_11hip_rocprim3tagENS7_11use_defaultESJ_EEEEPSB_SM_NS0_5tupleIJPSA_SM_EEENSN_IJSM_SM_EEESB_PlJ10is_orderedEEE10hipError_tPvRmT3_T4_T5_T6_T7_T9_mT8_P12ihipStream_tbDpT10_ENKUlT_T0_E_clISt17integral_constantIbLb1EES1B_IbLb0EEEEDaS17_S18_EUlS17_E_NS1_11comp_targetILNS1_3genE10ELNS1_11target_archE1200ELNS1_3gpuE4ELNS1_3repE0EEENS1_30default_config_static_selectorELNS0_4arch9wavefront6targetE1EEEvT1_,"axG",@progbits,_ZN7rocprim17ROCPRIM_400000_NS6detail17trampoline_kernelINS0_14default_configENS1_25partition_config_selectorILNS1_17partition_subalgoE3EN6thrust23THRUST_200600_302600_NS5tupleIssNS7_9null_typeES9_S9_S9_S9_S9_S9_S9_EENS0_10empty_typeEbEEZZNS1_14partition_implILS5_3ELb0ES3_jNS7_6detail15normal_iteratorINS7_7pointerISA_NS7_11hip_rocprim3tagENS7_11use_defaultESJ_EEEEPSB_SM_NS0_5tupleIJPSA_SM_EEENSN_IJSM_SM_EEESB_PlJ10is_orderedEEE10hipError_tPvRmT3_T4_T5_T6_T7_T9_mT8_P12ihipStream_tbDpT10_ENKUlT_T0_E_clISt17integral_constantIbLb1EES1B_IbLb0EEEEDaS17_S18_EUlS17_E_NS1_11comp_targetILNS1_3genE10ELNS1_11target_archE1200ELNS1_3gpuE4ELNS1_3repE0EEENS1_30default_config_static_selectorELNS0_4arch9wavefront6targetE1EEEvT1_,comdat
.Lfunc_end3550:
	.size	_ZN7rocprim17ROCPRIM_400000_NS6detail17trampoline_kernelINS0_14default_configENS1_25partition_config_selectorILNS1_17partition_subalgoE3EN6thrust23THRUST_200600_302600_NS5tupleIssNS7_9null_typeES9_S9_S9_S9_S9_S9_S9_EENS0_10empty_typeEbEEZZNS1_14partition_implILS5_3ELb0ES3_jNS7_6detail15normal_iteratorINS7_7pointerISA_NS7_11hip_rocprim3tagENS7_11use_defaultESJ_EEEEPSB_SM_NS0_5tupleIJPSA_SM_EEENSN_IJSM_SM_EEESB_PlJ10is_orderedEEE10hipError_tPvRmT3_T4_T5_T6_T7_T9_mT8_P12ihipStream_tbDpT10_ENKUlT_T0_E_clISt17integral_constantIbLb1EES1B_IbLb0EEEEDaS17_S18_EUlS17_E_NS1_11comp_targetILNS1_3genE10ELNS1_11target_archE1200ELNS1_3gpuE4ELNS1_3repE0EEENS1_30default_config_static_selectorELNS0_4arch9wavefront6targetE1EEEvT1_, .Lfunc_end3550-_ZN7rocprim17ROCPRIM_400000_NS6detail17trampoline_kernelINS0_14default_configENS1_25partition_config_selectorILNS1_17partition_subalgoE3EN6thrust23THRUST_200600_302600_NS5tupleIssNS7_9null_typeES9_S9_S9_S9_S9_S9_S9_EENS0_10empty_typeEbEEZZNS1_14partition_implILS5_3ELb0ES3_jNS7_6detail15normal_iteratorINS7_7pointerISA_NS7_11hip_rocprim3tagENS7_11use_defaultESJ_EEEEPSB_SM_NS0_5tupleIJPSA_SM_EEENSN_IJSM_SM_EEESB_PlJ10is_orderedEEE10hipError_tPvRmT3_T4_T5_T6_T7_T9_mT8_P12ihipStream_tbDpT10_ENKUlT_T0_E_clISt17integral_constantIbLb1EES1B_IbLb0EEEEDaS17_S18_EUlS17_E_NS1_11comp_targetILNS1_3genE10ELNS1_11target_archE1200ELNS1_3gpuE4ELNS1_3repE0EEENS1_30default_config_static_selectorELNS0_4arch9wavefront6targetE1EEEvT1_
                                        ; -- End function
	.section	.AMDGPU.csdata,"",@progbits
; Kernel info:
; codeLenInByte = 0
; NumSgprs: 4
; NumVgprs: 0
; NumAgprs: 0
; TotalNumVgprs: 0
; ScratchSize: 0
; MemoryBound: 0
; FloatMode: 240
; IeeeMode: 1
; LDSByteSize: 0 bytes/workgroup (compile time only)
; SGPRBlocks: 0
; VGPRBlocks: 0
; NumSGPRsForWavesPerEU: 4
; NumVGPRsForWavesPerEU: 1
; AccumOffset: 4
; Occupancy: 8
; WaveLimiterHint : 0
; COMPUTE_PGM_RSRC2:SCRATCH_EN: 0
; COMPUTE_PGM_RSRC2:USER_SGPR: 6
; COMPUTE_PGM_RSRC2:TRAP_HANDLER: 0
; COMPUTE_PGM_RSRC2:TGID_X_EN: 1
; COMPUTE_PGM_RSRC2:TGID_Y_EN: 0
; COMPUTE_PGM_RSRC2:TGID_Z_EN: 0
; COMPUTE_PGM_RSRC2:TIDIG_COMP_CNT: 0
; COMPUTE_PGM_RSRC3_GFX90A:ACCUM_OFFSET: 0
; COMPUTE_PGM_RSRC3_GFX90A:TG_SPLIT: 0
	.section	.text._ZN7rocprim17ROCPRIM_400000_NS6detail17trampoline_kernelINS0_14default_configENS1_25partition_config_selectorILNS1_17partition_subalgoE3EN6thrust23THRUST_200600_302600_NS5tupleIssNS7_9null_typeES9_S9_S9_S9_S9_S9_S9_EENS0_10empty_typeEbEEZZNS1_14partition_implILS5_3ELb0ES3_jNS7_6detail15normal_iteratorINS7_7pointerISA_NS7_11hip_rocprim3tagENS7_11use_defaultESJ_EEEEPSB_SM_NS0_5tupleIJPSA_SM_EEENSN_IJSM_SM_EEESB_PlJ10is_orderedEEE10hipError_tPvRmT3_T4_T5_T6_T7_T9_mT8_P12ihipStream_tbDpT10_ENKUlT_T0_E_clISt17integral_constantIbLb1EES1B_IbLb0EEEEDaS17_S18_EUlS17_E_NS1_11comp_targetILNS1_3genE9ELNS1_11target_archE1100ELNS1_3gpuE3ELNS1_3repE0EEENS1_30default_config_static_selectorELNS0_4arch9wavefront6targetE1EEEvT1_,"axG",@progbits,_ZN7rocprim17ROCPRIM_400000_NS6detail17trampoline_kernelINS0_14default_configENS1_25partition_config_selectorILNS1_17partition_subalgoE3EN6thrust23THRUST_200600_302600_NS5tupleIssNS7_9null_typeES9_S9_S9_S9_S9_S9_S9_EENS0_10empty_typeEbEEZZNS1_14partition_implILS5_3ELb0ES3_jNS7_6detail15normal_iteratorINS7_7pointerISA_NS7_11hip_rocprim3tagENS7_11use_defaultESJ_EEEEPSB_SM_NS0_5tupleIJPSA_SM_EEENSN_IJSM_SM_EEESB_PlJ10is_orderedEEE10hipError_tPvRmT3_T4_T5_T6_T7_T9_mT8_P12ihipStream_tbDpT10_ENKUlT_T0_E_clISt17integral_constantIbLb1EES1B_IbLb0EEEEDaS17_S18_EUlS17_E_NS1_11comp_targetILNS1_3genE9ELNS1_11target_archE1100ELNS1_3gpuE3ELNS1_3repE0EEENS1_30default_config_static_selectorELNS0_4arch9wavefront6targetE1EEEvT1_,comdat
	.protected	_ZN7rocprim17ROCPRIM_400000_NS6detail17trampoline_kernelINS0_14default_configENS1_25partition_config_selectorILNS1_17partition_subalgoE3EN6thrust23THRUST_200600_302600_NS5tupleIssNS7_9null_typeES9_S9_S9_S9_S9_S9_S9_EENS0_10empty_typeEbEEZZNS1_14partition_implILS5_3ELb0ES3_jNS7_6detail15normal_iteratorINS7_7pointerISA_NS7_11hip_rocprim3tagENS7_11use_defaultESJ_EEEEPSB_SM_NS0_5tupleIJPSA_SM_EEENSN_IJSM_SM_EEESB_PlJ10is_orderedEEE10hipError_tPvRmT3_T4_T5_T6_T7_T9_mT8_P12ihipStream_tbDpT10_ENKUlT_T0_E_clISt17integral_constantIbLb1EES1B_IbLb0EEEEDaS17_S18_EUlS17_E_NS1_11comp_targetILNS1_3genE9ELNS1_11target_archE1100ELNS1_3gpuE3ELNS1_3repE0EEENS1_30default_config_static_selectorELNS0_4arch9wavefront6targetE1EEEvT1_ ; -- Begin function _ZN7rocprim17ROCPRIM_400000_NS6detail17trampoline_kernelINS0_14default_configENS1_25partition_config_selectorILNS1_17partition_subalgoE3EN6thrust23THRUST_200600_302600_NS5tupleIssNS7_9null_typeES9_S9_S9_S9_S9_S9_S9_EENS0_10empty_typeEbEEZZNS1_14partition_implILS5_3ELb0ES3_jNS7_6detail15normal_iteratorINS7_7pointerISA_NS7_11hip_rocprim3tagENS7_11use_defaultESJ_EEEEPSB_SM_NS0_5tupleIJPSA_SM_EEENSN_IJSM_SM_EEESB_PlJ10is_orderedEEE10hipError_tPvRmT3_T4_T5_T6_T7_T9_mT8_P12ihipStream_tbDpT10_ENKUlT_T0_E_clISt17integral_constantIbLb1EES1B_IbLb0EEEEDaS17_S18_EUlS17_E_NS1_11comp_targetILNS1_3genE9ELNS1_11target_archE1100ELNS1_3gpuE3ELNS1_3repE0EEENS1_30default_config_static_selectorELNS0_4arch9wavefront6targetE1EEEvT1_
	.globl	_ZN7rocprim17ROCPRIM_400000_NS6detail17trampoline_kernelINS0_14default_configENS1_25partition_config_selectorILNS1_17partition_subalgoE3EN6thrust23THRUST_200600_302600_NS5tupleIssNS7_9null_typeES9_S9_S9_S9_S9_S9_S9_EENS0_10empty_typeEbEEZZNS1_14partition_implILS5_3ELb0ES3_jNS7_6detail15normal_iteratorINS7_7pointerISA_NS7_11hip_rocprim3tagENS7_11use_defaultESJ_EEEEPSB_SM_NS0_5tupleIJPSA_SM_EEENSN_IJSM_SM_EEESB_PlJ10is_orderedEEE10hipError_tPvRmT3_T4_T5_T6_T7_T9_mT8_P12ihipStream_tbDpT10_ENKUlT_T0_E_clISt17integral_constantIbLb1EES1B_IbLb0EEEEDaS17_S18_EUlS17_E_NS1_11comp_targetILNS1_3genE9ELNS1_11target_archE1100ELNS1_3gpuE3ELNS1_3repE0EEENS1_30default_config_static_selectorELNS0_4arch9wavefront6targetE1EEEvT1_
	.p2align	8
	.type	_ZN7rocprim17ROCPRIM_400000_NS6detail17trampoline_kernelINS0_14default_configENS1_25partition_config_selectorILNS1_17partition_subalgoE3EN6thrust23THRUST_200600_302600_NS5tupleIssNS7_9null_typeES9_S9_S9_S9_S9_S9_S9_EENS0_10empty_typeEbEEZZNS1_14partition_implILS5_3ELb0ES3_jNS7_6detail15normal_iteratorINS7_7pointerISA_NS7_11hip_rocprim3tagENS7_11use_defaultESJ_EEEEPSB_SM_NS0_5tupleIJPSA_SM_EEENSN_IJSM_SM_EEESB_PlJ10is_orderedEEE10hipError_tPvRmT3_T4_T5_T6_T7_T9_mT8_P12ihipStream_tbDpT10_ENKUlT_T0_E_clISt17integral_constantIbLb1EES1B_IbLb0EEEEDaS17_S18_EUlS17_E_NS1_11comp_targetILNS1_3genE9ELNS1_11target_archE1100ELNS1_3gpuE3ELNS1_3repE0EEENS1_30default_config_static_selectorELNS0_4arch9wavefront6targetE1EEEvT1_,@function
_ZN7rocprim17ROCPRIM_400000_NS6detail17trampoline_kernelINS0_14default_configENS1_25partition_config_selectorILNS1_17partition_subalgoE3EN6thrust23THRUST_200600_302600_NS5tupleIssNS7_9null_typeES9_S9_S9_S9_S9_S9_S9_EENS0_10empty_typeEbEEZZNS1_14partition_implILS5_3ELb0ES3_jNS7_6detail15normal_iteratorINS7_7pointerISA_NS7_11hip_rocprim3tagENS7_11use_defaultESJ_EEEEPSB_SM_NS0_5tupleIJPSA_SM_EEENSN_IJSM_SM_EEESB_PlJ10is_orderedEEE10hipError_tPvRmT3_T4_T5_T6_T7_T9_mT8_P12ihipStream_tbDpT10_ENKUlT_T0_E_clISt17integral_constantIbLb1EES1B_IbLb0EEEEDaS17_S18_EUlS17_E_NS1_11comp_targetILNS1_3genE9ELNS1_11target_archE1100ELNS1_3gpuE3ELNS1_3repE0EEENS1_30default_config_static_selectorELNS0_4arch9wavefront6targetE1EEEvT1_: ; @_ZN7rocprim17ROCPRIM_400000_NS6detail17trampoline_kernelINS0_14default_configENS1_25partition_config_selectorILNS1_17partition_subalgoE3EN6thrust23THRUST_200600_302600_NS5tupleIssNS7_9null_typeES9_S9_S9_S9_S9_S9_S9_EENS0_10empty_typeEbEEZZNS1_14partition_implILS5_3ELb0ES3_jNS7_6detail15normal_iteratorINS7_7pointerISA_NS7_11hip_rocprim3tagENS7_11use_defaultESJ_EEEEPSB_SM_NS0_5tupleIJPSA_SM_EEENSN_IJSM_SM_EEESB_PlJ10is_orderedEEE10hipError_tPvRmT3_T4_T5_T6_T7_T9_mT8_P12ihipStream_tbDpT10_ENKUlT_T0_E_clISt17integral_constantIbLb1EES1B_IbLb0EEEEDaS17_S18_EUlS17_E_NS1_11comp_targetILNS1_3genE9ELNS1_11target_archE1100ELNS1_3gpuE3ELNS1_3repE0EEENS1_30default_config_static_selectorELNS0_4arch9wavefront6targetE1EEEvT1_
; %bb.0:
	.section	.rodata,"a",@progbits
	.p2align	6, 0x0
	.amdhsa_kernel _ZN7rocprim17ROCPRIM_400000_NS6detail17trampoline_kernelINS0_14default_configENS1_25partition_config_selectorILNS1_17partition_subalgoE3EN6thrust23THRUST_200600_302600_NS5tupleIssNS7_9null_typeES9_S9_S9_S9_S9_S9_S9_EENS0_10empty_typeEbEEZZNS1_14partition_implILS5_3ELb0ES3_jNS7_6detail15normal_iteratorINS7_7pointerISA_NS7_11hip_rocprim3tagENS7_11use_defaultESJ_EEEEPSB_SM_NS0_5tupleIJPSA_SM_EEENSN_IJSM_SM_EEESB_PlJ10is_orderedEEE10hipError_tPvRmT3_T4_T5_T6_T7_T9_mT8_P12ihipStream_tbDpT10_ENKUlT_T0_E_clISt17integral_constantIbLb1EES1B_IbLb0EEEEDaS17_S18_EUlS17_E_NS1_11comp_targetILNS1_3genE9ELNS1_11target_archE1100ELNS1_3gpuE3ELNS1_3repE0EEENS1_30default_config_static_selectorELNS0_4arch9wavefront6targetE1EEEvT1_
		.amdhsa_group_segment_fixed_size 0
		.amdhsa_private_segment_fixed_size 0
		.amdhsa_kernarg_size 120
		.amdhsa_user_sgpr_count 6
		.amdhsa_user_sgpr_private_segment_buffer 1
		.amdhsa_user_sgpr_dispatch_ptr 0
		.amdhsa_user_sgpr_queue_ptr 0
		.amdhsa_user_sgpr_kernarg_segment_ptr 1
		.amdhsa_user_sgpr_dispatch_id 0
		.amdhsa_user_sgpr_flat_scratch_init 0
		.amdhsa_user_sgpr_kernarg_preload_length 0
		.amdhsa_user_sgpr_kernarg_preload_offset 0
		.amdhsa_user_sgpr_private_segment_size 0
		.amdhsa_uses_dynamic_stack 0
		.amdhsa_system_sgpr_private_segment_wavefront_offset 0
		.amdhsa_system_sgpr_workgroup_id_x 1
		.amdhsa_system_sgpr_workgroup_id_y 0
		.amdhsa_system_sgpr_workgroup_id_z 0
		.amdhsa_system_sgpr_workgroup_info 0
		.amdhsa_system_vgpr_workitem_id 0
		.amdhsa_next_free_vgpr 1
		.amdhsa_next_free_sgpr 0
		.amdhsa_accum_offset 4
		.amdhsa_reserve_vcc 0
		.amdhsa_reserve_flat_scratch 0
		.amdhsa_float_round_mode_32 0
		.amdhsa_float_round_mode_16_64 0
		.amdhsa_float_denorm_mode_32 3
		.amdhsa_float_denorm_mode_16_64 3
		.amdhsa_dx10_clamp 1
		.amdhsa_ieee_mode 1
		.amdhsa_fp16_overflow 0
		.amdhsa_tg_split 0
		.amdhsa_exception_fp_ieee_invalid_op 0
		.amdhsa_exception_fp_denorm_src 0
		.amdhsa_exception_fp_ieee_div_zero 0
		.amdhsa_exception_fp_ieee_overflow 0
		.amdhsa_exception_fp_ieee_underflow 0
		.amdhsa_exception_fp_ieee_inexact 0
		.amdhsa_exception_int_div_zero 0
	.end_amdhsa_kernel
	.section	.text._ZN7rocprim17ROCPRIM_400000_NS6detail17trampoline_kernelINS0_14default_configENS1_25partition_config_selectorILNS1_17partition_subalgoE3EN6thrust23THRUST_200600_302600_NS5tupleIssNS7_9null_typeES9_S9_S9_S9_S9_S9_S9_EENS0_10empty_typeEbEEZZNS1_14partition_implILS5_3ELb0ES3_jNS7_6detail15normal_iteratorINS7_7pointerISA_NS7_11hip_rocprim3tagENS7_11use_defaultESJ_EEEEPSB_SM_NS0_5tupleIJPSA_SM_EEENSN_IJSM_SM_EEESB_PlJ10is_orderedEEE10hipError_tPvRmT3_T4_T5_T6_T7_T9_mT8_P12ihipStream_tbDpT10_ENKUlT_T0_E_clISt17integral_constantIbLb1EES1B_IbLb0EEEEDaS17_S18_EUlS17_E_NS1_11comp_targetILNS1_3genE9ELNS1_11target_archE1100ELNS1_3gpuE3ELNS1_3repE0EEENS1_30default_config_static_selectorELNS0_4arch9wavefront6targetE1EEEvT1_,"axG",@progbits,_ZN7rocprim17ROCPRIM_400000_NS6detail17trampoline_kernelINS0_14default_configENS1_25partition_config_selectorILNS1_17partition_subalgoE3EN6thrust23THRUST_200600_302600_NS5tupleIssNS7_9null_typeES9_S9_S9_S9_S9_S9_S9_EENS0_10empty_typeEbEEZZNS1_14partition_implILS5_3ELb0ES3_jNS7_6detail15normal_iteratorINS7_7pointerISA_NS7_11hip_rocprim3tagENS7_11use_defaultESJ_EEEEPSB_SM_NS0_5tupleIJPSA_SM_EEENSN_IJSM_SM_EEESB_PlJ10is_orderedEEE10hipError_tPvRmT3_T4_T5_T6_T7_T9_mT8_P12ihipStream_tbDpT10_ENKUlT_T0_E_clISt17integral_constantIbLb1EES1B_IbLb0EEEEDaS17_S18_EUlS17_E_NS1_11comp_targetILNS1_3genE9ELNS1_11target_archE1100ELNS1_3gpuE3ELNS1_3repE0EEENS1_30default_config_static_selectorELNS0_4arch9wavefront6targetE1EEEvT1_,comdat
.Lfunc_end3551:
	.size	_ZN7rocprim17ROCPRIM_400000_NS6detail17trampoline_kernelINS0_14default_configENS1_25partition_config_selectorILNS1_17partition_subalgoE3EN6thrust23THRUST_200600_302600_NS5tupleIssNS7_9null_typeES9_S9_S9_S9_S9_S9_S9_EENS0_10empty_typeEbEEZZNS1_14partition_implILS5_3ELb0ES3_jNS7_6detail15normal_iteratorINS7_7pointerISA_NS7_11hip_rocprim3tagENS7_11use_defaultESJ_EEEEPSB_SM_NS0_5tupleIJPSA_SM_EEENSN_IJSM_SM_EEESB_PlJ10is_orderedEEE10hipError_tPvRmT3_T4_T5_T6_T7_T9_mT8_P12ihipStream_tbDpT10_ENKUlT_T0_E_clISt17integral_constantIbLb1EES1B_IbLb0EEEEDaS17_S18_EUlS17_E_NS1_11comp_targetILNS1_3genE9ELNS1_11target_archE1100ELNS1_3gpuE3ELNS1_3repE0EEENS1_30default_config_static_selectorELNS0_4arch9wavefront6targetE1EEEvT1_, .Lfunc_end3551-_ZN7rocprim17ROCPRIM_400000_NS6detail17trampoline_kernelINS0_14default_configENS1_25partition_config_selectorILNS1_17partition_subalgoE3EN6thrust23THRUST_200600_302600_NS5tupleIssNS7_9null_typeES9_S9_S9_S9_S9_S9_S9_EENS0_10empty_typeEbEEZZNS1_14partition_implILS5_3ELb0ES3_jNS7_6detail15normal_iteratorINS7_7pointerISA_NS7_11hip_rocprim3tagENS7_11use_defaultESJ_EEEEPSB_SM_NS0_5tupleIJPSA_SM_EEENSN_IJSM_SM_EEESB_PlJ10is_orderedEEE10hipError_tPvRmT3_T4_T5_T6_T7_T9_mT8_P12ihipStream_tbDpT10_ENKUlT_T0_E_clISt17integral_constantIbLb1EES1B_IbLb0EEEEDaS17_S18_EUlS17_E_NS1_11comp_targetILNS1_3genE9ELNS1_11target_archE1100ELNS1_3gpuE3ELNS1_3repE0EEENS1_30default_config_static_selectorELNS0_4arch9wavefront6targetE1EEEvT1_
                                        ; -- End function
	.section	.AMDGPU.csdata,"",@progbits
; Kernel info:
; codeLenInByte = 0
; NumSgprs: 4
; NumVgprs: 0
; NumAgprs: 0
; TotalNumVgprs: 0
; ScratchSize: 0
; MemoryBound: 0
; FloatMode: 240
; IeeeMode: 1
; LDSByteSize: 0 bytes/workgroup (compile time only)
; SGPRBlocks: 0
; VGPRBlocks: 0
; NumSGPRsForWavesPerEU: 4
; NumVGPRsForWavesPerEU: 1
; AccumOffset: 4
; Occupancy: 8
; WaveLimiterHint : 0
; COMPUTE_PGM_RSRC2:SCRATCH_EN: 0
; COMPUTE_PGM_RSRC2:USER_SGPR: 6
; COMPUTE_PGM_RSRC2:TRAP_HANDLER: 0
; COMPUTE_PGM_RSRC2:TGID_X_EN: 1
; COMPUTE_PGM_RSRC2:TGID_Y_EN: 0
; COMPUTE_PGM_RSRC2:TGID_Z_EN: 0
; COMPUTE_PGM_RSRC2:TIDIG_COMP_CNT: 0
; COMPUTE_PGM_RSRC3_GFX90A:ACCUM_OFFSET: 0
; COMPUTE_PGM_RSRC3_GFX90A:TG_SPLIT: 0
	.section	.text._ZN7rocprim17ROCPRIM_400000_NS6detail17trampoline_kernelINS0_14default_configENS1_25partition_config_selectorILNS1_17partition_subalgoE3EN6thrust23THRUST_200600_302600_NS5tupleIssNS7_9null_typeES9_S9_S9_S9_S9_S9_S9_EENS0_10empty_typeEbEEZZNS1_14partition_implILS5_3ELb0ES3_jNS7_6detail15normal_iteratorINS7_7pointerISA_NS7_11hip_rocprim3tagENS7_11use_defaultESJ_EEEEPSB_SM_NS0_5tupleIJPSA_SM_EEENSN_IJSM_SM_EEESB_PlJ10is_orderedEEE10hipError_tPvRmT3_T4_T5_T6_T7_T9_mT8_P12ihipStream_tbDpT10_ENKUlT_T0_E_clISt17integral_constantIbLb1EES1B_IbLb0EEEEDaS17_S18_EUlS17_E_NS1_11comp_targetILNS1_3genE8ELNS1_11target_archE1030ELNS1_3gpuE2ELNS1_3repE0EEENS1_30default_config_static_selectorELNS0_4arch9wavefront6targetE1EEEvT1_,"axG",@progbits,_ZN7rocprim17ROCPRIM_400000_NS6detail17trampoline_kernelINS0_14default_configENS1_25partition_config_selectorILNS1_17partition_subalgoE3EN6thrust23THRUST_200600_302600_NS5tupleIssNS7_9null_typeES9_S9_S9_S9_S9_S9_S9_EENS0_10empty_typeEbEEZZNS1_14partition_implILS5_3ELb0ES3_jNS7_6detail15normal_iteratorINS7_7pointerISA_NS7_11hip_rocprim3tagENS7_11use_defaultESJ_EEEEPSB_SM_NS0_5tupleIJPSA_SM_EEENSN_IJSM_SM_EEESB_PlJ10is_orderedEEE10hipError_tPvRmT3_T4_T5_T6_T7_T9_mT8_P12ihipStream_tbDpT10_ENKUlT_T0_E_clISt17integral_constantIbLb1EES1B_IbLb0EEEEDaS17_S18_EUlS17_E_NS1_11comp_targetILNS1_3genE8ELNS1_11target_archE1030ELNS1_3gpuE2ELNS1_3repE0EEENS1_30default_config_static_selectorELNS0_4arch9wavefront6targetE1EEEvT1_,comdat
	.protected	_ZN7rocprim17ROCPRIM_400000_NS6detail17trampoline_kernelINS0_14default_configENS1_25partition_config_selectorILNS1_17partition_subalgoE3EN6thrust23THRUST_200600_302600_NS5tupleIssNS7_9null_typeES9_S9_S9_S9_S9_S9_S9_EENS0_10empty_typeEbEEZZNS1_14partition_implILS5_3ELb0ES3_jNS7_6detail15normal_iteratorINS7_7pointerISA_NS7_11hip_rocprim3tagENS7_11use_defaultESJ_EEEEPSB_SM_NS0_5tupleIJPSA_SM_EEENSN_IJSM_SM_EEESB_PlJ10is_orderedEEE10hipError_tPvRmT3_T4_T5_T6_T7_T9_mT8_P12ihipStream_tbDpT10_ENKUlT_T0_E_clISt17integral_constantIbLb1EES1B_IbLb0EEEEDaS17_S18_EUlS17_E_NS1_11comp_targetILNS1_3genE8ELNS1_11target_archE1030ELNS1_3gpuE2ELNS1_3repE0EEENS1_30default_config_static_selectorELNS0_4arch9wavefront6targetE1EEEvT1_ ; -- Begin function _ZN7rocprim17ROCPRIM_400000_NS6detail17trampoline_kernelINS0_14default_configENS1_25partition_config_selectorILNS1_17partition_subalgoE3EN6thrust23THRUST_200600_302600_NS5tupleIssNS7_9null_typeES9_S9_S9_S9_S9_S9_S9_EENS0_10empty_typeEbEEZZNS1_14partition_implILS5_3ELb0ES3_jNS7_6detail15normal_iteratorINS7_7pointerISA_NS7_11hip_rocprim3tagENS7_11use_defaultESJ_EEEEPSB_SM_NS0_5tupleIJPSA_SM_EEENSN_IJSM_SM_EEESB_PlJ10is_orderedEEE10hipError_tPvRmT3_T4_T5_T6_T7_T9_mT8_P12ihipStream_tbDpT10_ENKUlT_T0_E_clISt17integral_constantIbLb1EES1B_IbLb0EEEEDaS17_S18_EUlS17_E_NS1_11comp_targetILNS1_3genE8ELNS1_11target_archE1030ELNS1_3gpuE2ELNS1_3repE0EEENS1_30default_config_static_selectorELNS0_4arch9wavefront6targetE1EEEvT1_
	.globl	_ZN7rocprim17ROCPRIM_400000_NS6detail17trampoline_kernelINS0_14default_configENS1_25partition_config_selectorILNS1_17partition_subalgoE3EN6thrust23THRUST_200600_302600_NS5tupleIssNS7_9null_typeES9_S9_S9_S9_S9_S9_S9_EENS0_10empty_typeEbEEZZNS1_14partition_implILS5_3ELb0ES3_jNS7_6detail15normal_iteratorINS7_7pointerISA_NS7_11hip_rocprim3tagENS7_11use_defaultESJ_EEEEPSB_SM_NS0_5tupleIJPSA_SM_EEENSN_IJSM_SM_EEESB_PlJ10is_orderedEEE10hipError_tPvRmT3_T4_T5_T6_T7_T9_mT8_P12ihipStream_tbDpT10_ENKUlT_T0_E_clISt17integral_constantIbLb1EES1B_IbLb0EEEEDaS17_S18_EUlS17_E_NS1_11comp_targetILNS1_3genE8ELNS1_11target_archE1030ELNS1_3gpuE2ELNS1_3repE0EEENS1_30default_config_static_selectorELNS0_4arch9wavefront6targetE1EEEvT1_
	.p2align	8
	.type	_ZN7rocprim17ROCPRIM_400000_NS6detail17trampoline_kernelINS0_14default_configENS1_25partition_config_selectorILNS1_17partition_subalgoE3EN6thrust23THRUST_200600_302600_NS5tupleIssNS7_9null_typeES9_S9_S9_S9_S9_S9_S9_EENS0_10empty_typeEbEEZZNS1_14partition_implILS5_3ELb0ES3_jNS7_6detail15normal_iteratorINS7_7pointerISA_NS7_11hip_rocprim3tagENS7_11use_defaultESJ_EEEEPSB_SM_NS0_5tupleIJPSA_SM_EEENSN_IJSM_SM_EEESB_PlJ10is_orderedEEE10hipError_tPvRmT3_T4_T5_T6_T7_T9_mT8_P12ihipStream_tbDpT10_ENKUlT_T0_E_clISt17integral_constantIbLb1EES1B_IbLb0EEEEDaS17_S18_EUlS17_E_NS1_11comp_targetILNS1_3genE8ELNS1_11target_archE1030ELNS1_3gpuE2ELNS1_3repE0EEENS1_30default_config_static_selectorELNS0_4arch9wavefront6targetE1EEEvT1_,@function
_ZN7rocprim17ROCPRIM_400000_NS6detail17trampoline_kernelINS0_14default_configENS1_25partition_config_selectorILNS1_17partition_subalgoE3EN6thrust23THRUST_200600_302600_NS5tupleIssNS7_9null_typeES9_S9_S9_S9_S9_S9_S9_EENS0_10empty_typeEbEEZZNS1_14partition_implILS5_3ELb0ES3_jNS7_6detail15normal_iteratorINS7_7pointerISA_NS7_11hip_rocprim3tagENS7_11use_defaultESJ_EEEEPSB_SM_NS0_5tupleIJPSA_SM_EEENSN_IJSM_SM_EEESB_PlJ10is_orderedEEE10hipError_tPvRmT3_T4_T5_T6_T7_T9_mT8_P12ihipStream_tbDpT10_ENKUlT_T0_E_clISt17integral_constantIbLb1EES1B_IbLb0EEEEDaS17_S18_EUlS17_E_NS1_11comp_targetILNS1_3genE8ELNS1_11target_archE1030ELNS1_3gpuE2ELNS1_3repE0EEENS1_30default_config_static_selectorELNS0_4arch9wavefront6targetE1EEEvT1_: ; @_ZN7rocprim17ROCPRIM_400000_NS6detail17trampoline_kernelINS0_14default_configENS1_25partition_config_selectorILNS1_17partition_subalgoE3EN6thrust23THRUST_200600_302600_NS5tupleIssNS7_9null_typeES9_S9_S9_S9_S9_S9_S9_EENS0_10empty_typeEbEEZZNS1_14partition_implILS5_3ELb0ES3_jNS7_6detail15normal_iteratorINS7_7pointerISA_NS7_11hip_rocprim3tagENS7_11use_defaultESJ_EEEEPSB_SM_NS0_5tupleIJPSA_SM_EEENSN_IJSM_SM_EEESB_PlJ10is_orderedEEE10hipError_tPvRmT3_T4_T5_T6_T7_T9_mT8_P12ihipStream_tbDpT10_ENKUlT_T0_E_clISt17integral_constantIbLb1EES1B_IbLb0EEEEDaS17_S18_EUlS17_E_NS1_11comp_targetILNS1_3genE8ELNS1_11target_archE1030ELNS1_3gpuE2ELNS1_3repE0EEENS1_30default_config_static_selectorELNS0_4arch9wavefront6targetE1EEEvT1_
; %bb.0:
	.section	.rodata,"a",@progbits
	.p2align	6, 0x0
	.amdhsa_kernel _ZN7rocprim17ROCPRIM_400000_NS6detail17trampoline_kernelINS0_14default_configENS1_25partition_config_selectorILNS1_17partition_subalgoE3EN6thrust23THRUST_200600_302600_NS5tupleIssNS7_9null_typeES9_S9_S9_S9_S9_S9_S9_EENS0_10empty_typeEbEEZZNS1_14partition_implILS5_3ELb0ES3_jNS7_6detail15normal_iteratorINS7_7pointerISA_NS7_11hip_rocprim3tagENS7_11use_defaultESJ_EEEEPSB_SM_NS0_5tupleIJPSA_SM_EEENSN_IJSM_SM_EEESB_PlJ10is_orderedEEE10hipError_tPvRmT3_T4_T5_T6_T7_T9_mT8_P12ihipStream_tbDpT10_ENKUlT_T0_E_clISt17integral_constantIbLb1EES1B_IbLb0EEEEDaS17_S18_EUlS17_E_NS1_11comp_targetILNS1_3genE8ELNS1_11target_archE1030ELNS1_3gpuE2ELNS1_3repE0EEENS1_30default_config_static_selectorELNS0_4arch9wavefront6targetE1EEEvT1_
		.amdhsa_group_segment_fixed_size 0
		.amdhsa_private_segment_fixed_size 0
		.amdhsa_kernarg_size 120
		.amdhsa_user_sgpr_count 6
		.amdhsa_user_sgpr_private_segment_buffer 1
		.amdhsa_user_sgpr_dispatch_ptr 0
		.amdhsa_user_sgpr_queue_ptr 0
		.amdhsa_user_sgpr_kernarg_segment_ptr 1
		.amdhsa_user_sgpr_dispatch_id 0
		.amdhsa_user_sgpr_flat_scratch_init 0
		.amdhsa_user_sgpr_kernarg_preload_length 0
		.amdhsa_user_sgpr_kernarg_preload_offset 0
		.amdhsa_user_sgpr_private_segment_size 0
		.amdhsa_uses_dynamic_stack 0
		.amdhsa_system_sgpr_private_segment_wavefront_offset 0
		.amdhsa_system_sgpr_workgroup_id_x 1
		.amdhsa_system_sgpr_workgroup_id_y 0
		.amdhsa_system_sgpr_workgroup_id_z 0
		.amdhsa_system_sgpr_workgroup_info 0
		.amdhsa_system_vgpr_workitem_id 0
		.amdhsa_next_free_vgpr 1
		.amdhsa_next_free_sgpr 0
		.amdhsa_accum_offset 4
		.amdhsa_reserve_vcc 0
		.amdhsa_reserve_flat_scratch 0
		.amdhsa_float_round_mode_32 0
		.amdhsa_float_round_mode_16_64 0
		.amdhsa_float_denorm_mode_32 3
		.amdhsa_float_denorm_mode_16_64 3
		.amdhsa_dx10_clamp 1
		.amdhsa_ieee_mode 1
		.amdhsa_fp16_overflow 0
		.amdhsa_tg_split 0
		.amdhsa_exception_fp_ieee_invalid_op 0
		.amdhsa_exception_fp_denorm_src 0
		.amdhsa_exception_fp_ieee_div_zero 0
		.amdhsa_exception_fp_ieee_overflow 0
		.amdhsa_exception_fp_ieee_underflow 0
		.amdhsa_exception_fp_ieee_inexact 0
		.amdhsa_exception_int_div_zero 0
	.end_amdhsa_kernel
	.section	.text._ZN7rocprim17ROCPRIM_400000_NS6detail17trampoline_kernelINS0_14default_configENS1_25partition_config_selectorILNS1_17partition_subalgoE3EN6thrust23THRUST_200600_302600_NS5tupleIssNS7_9null_typeES9_S9_S9_S9_S9_S9_S9_EENS0_10empty_typeEbEEZZNS1_14partition_implILS5_3ELb0ES3_jNS7_6detail15normal_iteratorINS7_7pointerISA_NS7_11hip_rocprim3tagENS7_11use_defaultESJ_EEEEPSB_SM_NS0_5tupleIJPSA_SM_EEENSN_IJSM_SM_EEESB_PlJ10is_orderedEEE10hipError_tPvRmT3_T4_T5_T6_T7_T9_mT8_P12ihipStream_tbDpT10_ENKUlT_T0_E_clISt17integral_constantIbLb1EES1B_IbLb0EEEEDaS17_S18_EUlS17_E_NS1_11comp_targetILNS1_3genE8ELNS1_11target_archE1030ELNS1_3gpuE2ELNS1_3repE0EEENS1_30default_config_static_selectorELNS0_4arch9wavefront6targetE1EEEvT1_,"axG",@progbits,_ZN7rocprim17ROCPRIM_400000_NS6detail17trampoline_kernelINS0_14default_configENS1_25partition_config_selectorILNS1_17partition_subalgoE3EN6thrust23THRUST_200600_302600_NS5tupleIssNS7_9null_typeES9_S9_S9_S9_S9_S9_S9_EENS0_10empty_typeEbEEZZNS1_14partition_implILS5_3ELb0ES3_jNS7_6detail15normal_iteratorINS7_7pointerISA_NS7_11hip_rocprim3tagENS7_11use_defaultESJ_EEEEPSB_SM_NS0_5tupleIJPSA_SM_EEENSN_IJSM_SM_EEESB_PlJ10is_orderedEEE10hipError_tPvRmT3_T4_T5_T6_T7_T9_mT8_P12ihipStream_tbDpT10_ENKUlT_T0_E_clISt17integral_constantIbLb1EES1B_IbLb0EEEEDaS17_S18_EUlS17_E_NS1_11comp_targetILNS1_3genE8ELNS1_11target_archE1030ELNS1_3gpuE2ELNS1_3repE0EEENS1_30default_config_static_selectorELNS0_4arch9wavefront6targetE1EEEvT1_,comdat
.Lfunc_end3552:
	.size	_ZN7rocprim17ROCPRIM_400000_NS6detail17trampoline_kernelINS0_14default_configENS1_25partition_config_selectorILNS1_17partition_subalgoE3EN6thrust23THRUST_200600_302600_NS5tupleIssNS7_9null_typeES9_S9_S9_S9_S9_S9_S9_EENS0_10empty_typeEbEEZZNS1_14partition_implILS5_3ELb0ES3_jNS7_6detail15normal_iteratorINS7_7pointerISA_NS7_11hip_rocprim3tagENS7_11use_defaultESJ_EEEEPSB_SM_NS0_5tupleIJPSA_SM_EEENSN_IJSM_SM_EEESB_PlJ10is_orderedEEE10hipError_tPvRmT3_T4_T5_T6_T7_T9_mT8_P12ihipStream_tbDpT10_ENKUlT_T0_E_clISt17integral_constantIbLb1EES1B_IbLb0EEEEDaS17_S18_EUlS17_E_NS1_11comp_targetILNS1_3genE8ELNS1_11target_archE1030ELNS1_3gpuE2ELNS1_3repE0EEENS1_30default_config_static_selectorELNS0_4arch9wavefront6targetE1EEEvT1_, .Lfunc_end3552-_ZN7rocprim17ROCPRIM_400000_NS6detail17trampoline_kernelINS0_14default_configENS1_25partition_config_selectorILNS1_17partition_subalgoE3EN6thrust23THRUST_200600_302600_NS5tupleIssNS7_9null_typeES9_S9_S9_S9_S9_S9_S9_EENS0_10empty_typeEbEEZZNS1_14partition_implILS5_3ELb0ES3_jNS7_6detail15normal_iteratorINS7_7pointerISA_NS7_11hip_rocprim3tagENS7_11use_defaultESJ_EEEEPSB_SM_NS0_5tupleIJPSA_SM_EEENSN_IJSM_SM_EEESB_PlJ10is_orderedEEE10hipError_tPvRmT3_T4_T5_T6_T7_T9_mT8_P12ihipStream_tbDpT10_ENKUlT_T0_E_clISt17integral_constantIbLb1EES1B_IbLb0EEEEDaS17_S18_EUlS17_E_NS1_11comp_targetILNS1_3genE8ELNS1_11target_archE1030ELNS1_3gpuE2ELNS1_3repE0EEENS1_30default_config_static_selectorELNS0_4arch9wavefront6targetE1EEEvT1_
                                        ; -- End function
	.section	.AMDGPU.csdata,"",@progbits
; Kernel info:
; codeLenInByte = 0
; NumSgprs: 4
; NumVgprs: 0
; NumAgprs: 0
; TotalNumVgprs: 0
; ScratchSize: 0
; MemoryBound: 0
; FloatMode: 240
; IeeeMode: 1
; LDSByteSize: 0 bytes/workgroup (compile time only)
; SGPRBlocks: 0
; VGPRBlocks: 0
; NumSGPRsForWavesPerEU: 4
; NumVGPRsForWavesPerEU: 1
; AccumOffset: 4
; Occupancy: 8
; WaveLimiterHint : 0
; COMPUTE_PGM_RSRC2:SCRATCH_EN: 0
; COMPUTE_PGM_RSRC2:USER_SGPR: 6
; COMPUTE_PGM_RSRC2:TRAP_HANDLER: 0
; COMPUTE_PGM_RSRC2:TGID_X_EN: 1
; COMPUTE_PGM_RSRC2:TGID_Y_EN: 0
; COMPUTE_PGM_RSRC2:TGID_Z_EN: 0
; COMPUTE_PGM_RSRC2:TIDIG_COMP_CNT: 0
; COMPUTE_PGM_RSRC3_GFX90A:ACCUM_OFFSET: 0
; COMPUTE_PGM_RSRC3_GFX90A:TG_SPLIT: 0
	.section	.text._ZN7rocprim17ROCPRIM_400000_NS6detail17trampoline_kernelINS0_14default_configENS1_25partition_config_selectorILNS1_17partition_subalgoE3EN6thrust23THRUST_200600_302600_NS5tupleIssNS7_9null_typeES9_S9_S9_S9_S9_S9_S9_EENS0_10empty_typeEbEEZZNS1_14partition_implILS5_3ELb0ES3_jNS7_6detail15normal_iteratorINS7_7pointerISA_NS7_11hip_rocprim3tagENS7_11use_defaultESJ_EEEEPSB_SM_NS0_5tupleIJPSA_SM_EEENSN_IJSM_SM_EEESB_PlJ10is_orderedEEE10hipError_tPvRmT3_T4_T5_T6_T7_T9_mT8_P12ihipStream_tbDpT10_ENKUlT_T0_E_clISt17integral_constantIbLb0EES1B_IbLb1EEEEDaS17_S18_EUlS17_E_NS1_11comp_targetILNS1_3genE0ELNS1_11target_archE4294967295ELNS1_3gpuE0ELNS1_3repE0EEENS1_30default_config_static_selectorELNS0_4arch9wavefront6targetE1EEEvT1_,"axG",@progbits,_ZN7rocprim17ROCPRIM_400000_NS6detail17trampoline_kernelINS0_14default_configENS1_25partition_config_selectorILNS1_17partition_subalgoE3EN6thrust23THRUST_200600_302600_NS5tupleIssNS7_9null_typeES9_S9_S9_S9_S9_S9_S9_EENS0_10empty_typeEbEEZZNS1_14partition_implILS5_3ELb0ES3_jNS7_6detail15normal_iteratorINS7_7pointerISA_NS7_11hip_rocprim3tagENS7_11use_defaultESJ_EEEEPSB_SM_NS0_5tupleIJPSA_SM_EEENSN_IJSM_SM_EEESB_PlJ10is_orderedEEE10hipError_tPvRmT3_T4_T5_T6_T7_T9_mT8_P12ihipStream_tbDpT10_ENKUlT_T0_E_clISt17integral_constantIbLb0EES1B_IbLb1EEEEDaS17_S18_EUlS17_E_NS1_11comp_targetILNS1_3genE0ELNS1_11target_archE4294967295ELNS1_3gpuE0ELNS1_3repE0EEENS1_30default_config_static_selectorELNS0_4arch9wavefront6targetE1EEEvT1_,comdat
	.protected	_ZN7rocprim17ROCPRIM_400000_NS6detail17trampoline_kernelINS0_14default_configENS1_25partition_config_selectorILNS1_17partition_subalgoE3EN6thrust23THRUST_200600_302600_NS5tupleIssNS7_9null_typeES9_S9_S9_S9_S9_S9_S9_EENS0_10empty_typeEbEEZZNS1_14partition_implILS5_3ELb0ES3_jNS7_6detail15normal_iteratorINS7_7pointerISA_NS7_11hip_rocprim3tagENS7_11use_defaultESJ_EEEEPSB_SM_NS0_5tupleIJPSA_SM_EEENSN_IJSM_SM_EEESB_PlJ10is_orderedEEE10hipError_tPvRmT3_T4_T5_T6_T7_T9_mT8_P12ihipStream_tbDpT10_ENKUlT_T0_E_clISt17integral_constantIbLb0EES1B_IbLb1EEEEDaS17_S18_EUlS17_E_NS1_11comp_targetILNS1_3genE0ELNS1_11target_archE4294967295ELNS1_3gpuE0ELNS1_3repE0EEENS1_30default_config_static_selectorELNS0_4arch9wavefront6targetE1EEEvT1_ ; -- Begin function _ZN7rocprim17ROCPRIM_400000_NS6detail17trampoline_kernelINS0_14default_configENS1_25partition_config_selectorILNS1_17partition_subalgoE3EN6thrust23THRUST_200600_302600_NS5tupleIssNS7_9null_typeES9_S9_S9_S9_S9_S9_S9_EENS0_10empty_typeEbEEZZNS1_14partition_implILS5_3ELb0ES3_jNS7_6detail15normal_iteratorINS7_7pointerISA_NS7_11hip_rocprim3tagENS7_11use_defaultESJ_EEEEPSB_SM_NS0_5tupleIJPSA_SM_EEENSN_IJSM_SM_EEESB_PlJ10is_orderedEEE10hipError_tPvRmT3_T4_T5_T6_T7_T9_mT8_P12ihipStream_tbDpT10_ENKUlT_T0_E_clISt17integral_constantIbLb0EES1B_IbLb1EEEEDaS17_S18_EUlS17_E_NS1_11comp_targetILNS1_3genE0ELNS1_11target_archE4294967295ELNS1_3gpuE0ELNS1_3repE0EEENS1_30default_config_static_selectorELNS0_4arch9wavefront6targetE1EEEvT1_
	.globl	_ZN7rocprim17ROCPRIM_400000_NS6detail17trampoline_kernelINS0_14default_configENS1_25partition_config_selectorILNS1_17partition_subalgoE3EN6thrust23THRUST_200600_302600_NS5tupleIssNS7_9null_typeES9_S9_S9_S9_S9_S9_S9_EENS0_10empty_typeEbEEZZNS1_14partition_implILS5_3ELb0ES3_jNS7_6detail15normal_iteratorINS7_7pointerISA_NS7_11hip_rocprim3tagENS7_11use_defaultESJ_EEEEPSB_SM_NS0_5tupleIJPSA_SM_EEENSN_IJSM_SM_EEESB_PlJ10is_orderedEEE10hipError_tPvRmT3_T4_T5_T6_T7_T9_mT8_P12ihipStream_tbDpT10_ENKUlT_T0_E_clISt17integral_constantIbLb0EES1B_IbLb1EEEEDaS17_S18_EUlS17_E_NS1_11comp_targetILNS1_3genE0ELNS1_11target_archE4294967295ELNS1_3gpuE0ELNS1_3repE0EEENS1_30default_config_static_selectorELNS0_4arch9wavefront6targetE1EEEvT1_
	.p2align	8
	.type	_ZN7rocprim17ROCPRIM_400000_NS6detail17trampoline_kernelINS0_14default_configENS1_25partition_config_selectorILNS1_17partition_subalgoE3EN6thrust23THRUST_200600_302600_NS5tupleIssNS7_9null_typeES9_S9_S9_S9_S9_S9_S9_EENS0_10empty_typeEbEEZZNS1_14partition_implILS5_3ELb0ES3_jNS7_6detail15normal_iteratorINS7_7pointerISA_NS7_11hip_rocprim3tagENS7_11use_defaultESJ_EEEEPSB_SM_NS0_5tupleIJPSA_SM_EEENSN_IJSM_SM_EEESB_PlJ10is_orderedEEE10hipError_tPvRmT3_T4_T5_T6_T7_T9_mT8_P12ihipStream_tbDpT10_ENKUlT_T0_E_clISt17integral_constantIbLb0EES1B_IbLb1EEEEDaS17_S18_EUlS17_E_NS1_11comp_targetILNS1_3genE0ELNS1_11target_archE4294967295ELNS1_3gpuE0ELNS1_3repE0EEENS1_30default_config_static_selectorELNS0_4arch9wavefront6targetE1EEEvT1_,@function
_ZN7rocprim17ROCPRIM_400000_NS6detail17trampoline_kernelINS0_14default_configENS1_25partition_config_selectorILNS1_17partition_subalgoE3EN6thrust23THRUST_200600_302600_NS5tupleIssNS7_9null_typeES9_S9_S9_S9_S9_S9_S9_EENS0_10empty_typeEbEEZZNS1_14partition_implILS5_3ELb0ES3_jNS7_6detail15normal_iteratorINS7_7pointerISA_NS7_11hip_rocprim3tagENS7_11use_defaultESJ_EEEEPSB_SM_NS0_5tupleIJPSA_SM_EEENSN_IJSM_SM_EEESB_PlJ10is_orderedEEE10hipError_tPvRmT3_T4_T5_T6_T7_T9_mT8_P12ihipStream_tbDpT10_ENKUlT_T0_E_clISt17integral_constantIbLb0EES1B_IbLb1EEEEDaS17_S18_EUlS17_E_NS1_11comp_targetILNS1_3genE0ELNS1_11target_archE4294967295ELNS1_3gpuE0ELNS1_3repE0EEENS1_30default_config_static_selectorELNS0_4arch9wavefront6targetE1EEEvT1_: ; @_ZN7rocprim17ROCPRIM_400000_NS6detail17trampoline_kernelINS0_14default_configENS1_25partition_config_selectorILNS1_17partition_subalgoE3EN6thrust23THRUST_200600_302600_NS5tupleIssNS7_9null_typeES9_S9_S9_S9_S9_S9_S9_EENS0_10empty_typeEbEEZZNS1_14partition_implILS5_3ELb0ES3_jNS7_6detail15normal_iteratorINS7_7pointerISA_NS7_11hip_rocprim3tagENS7_11use_defaultESJ_EEEEPSB_SM_NS0_5tupleIJPSA_SM_EEENSN_IJSM_SM_EEESB_PlJ10is_orderedEEE10hipError_tPvRmT3_T4_T5_T6_T7_T9_mT8_P12ihipStream_tbDpT10_ENKUlT_T0_E_clISt17integral_constantIbLb0EES1B_IbLb1EEEEDaS17_S18_EUlS17_E_NS1_11comp_targetILNS1_3genE0ELNS1_11target_archE4294967295ELNS1_3gpuE0ELNS1_3repE0EEENS1_30default_config_static_selectorELNS0_4arch9wavefront6targetE1EEEvT1_
; %bb.0:
	.section	.rodata,"a",@progbits
	.p2align	6, 0x0
	.amdhsa_kernel _ZN7rocprim17ROCPRIM_400000_NS6detail17trampoline_kernelINS0_14default_configENS1_25partition_config_selectorILNS1_17partition_subalgoE3EN6thrust23THRUST_200600_302600_NS5tupleIssNS7_9null_typeES9_S9_S9_S9_S9_S9_S9_EENS0_10empty_typeEbEEZZNS1_14partition_implILS5_3ELb0ES3_jNS7_6detail15normal_iteratorINS7_7pointerISA_NS7_11hip_rocprim3tagENS7_11use_defaultESJ_EEEEPSB_SM_NS0_5tupleIJPSA_SM_EEENSN_IJSM_SM_EEESB_PlJ10is_orderedEEE10hipError_tPvRmT3_T4_T5_T6_T7_T9_mT8_P12ihipStream_tbDpT10_ENKUlT_T0_E_clISt17integral_constantIbLb0EES1B_IbLb1EEEEDaS17_S18_EUlS17_E_NS1_11comp_targetILNS1_3genE0ELNS1_11target_archE4294967295ELNS1_3gpuE0ELNS1_3repE0EEENS1_30default_config_static_selectorELNS0_4arch9wavefront6targetE1EEEvT1_
		.amdhsa_group_segment_fixed_size 0
		.amdhsa_private_segment_fixed_size 0
		.amdhsa_kernarg_size 136
		.amdhsa_user_sgpr_count 6
		.amdhsa_user_sgpr_private_segment_buffer 1
		.amdhsa_user_sgpr_dispatch_ptr 0
		.amdhsa_user_sgpr_queue_ptr 0
		.amdhsa_user_sgpr_kernarg_segment_ptr 1
		.amdhsa_user_sgpr_dispatch_id 0
		.amdhsa_user_sgpr_flat_scratch_init 0
		.amdhsa_user_sgpr_kernarg_preload_length 0
		.amdhsa_user_sgpr_kernarg_preload_offset 0
		.amdhsa_user_sgpr_private_segment_size 0
		.amdhsa_uses_dynamic_stack 0
		.amdhsa_system_sgpr_private_segment_wavefront_offset 0
		.amdhsa_system_sgpr_workgroup_id_x 1
		.amdhsa_system_sgpr_workgroup_id_y 0
		.amdhsa_system_sgpr_workgroup_id_z 0
		.amdhsa_system_sgpr_workgroup_info 0
		.amdhsa_system_vgpr_workitem_id 0
		.amdhsa_next_free_vgpr 1
		.amdhsa_next_free_sgpr 0
		.amdhsa_accum_offset 4
		.amdhsa_reserve_vcc 0
		.amdhsa_reserve_flat_scratch 0
		.amdhsa_float_round_mode_32 0
		.amdhsa_float_round_mode_16_64 0
		.amdhsa_float_denorm_mode_32 3
		.amdhsa_float_denorm_mode_16_64 3
		.amdhsa_dx10_clamp 1
		.amdhsa_ieee_mode 1
		.amdhsa_fp16_overflow 0
		.amdhsa_tg_split 0
		.amdhsa_exception_fp_ieee_invalid_op 0
		.amdhsa_exception_fp_denorm_src 0
		.amdhsa_exception_fp_ieee_div_zero 0
		.amdhsa_exception_fp_ieee_overflow 0
		.amdhsa_exception_fp_ieee_underflow 0
		.amdhsa_exception_fp_ieee_inexact 0
		.amdhsa_exception_int_div_zero 0
	.end_amdhsa_kernel
	.section	.text._ZN7rocprim17ROCPRIM_400000_NS6detail17trampoline_kernelINS0_14default_configENS1_25partition_config_selectorILNS1_17partition_subalgoE3EN6thrust23THRUST_200600_302600_NS5tupleIssNS7_9null_typeES9_S9_S9_S9_S9_S9_S9_EENS0_10empty_typeEbEEZZNS1_14partition_implILS5_3ELb0ES3_jNS7_6detail15normal_iteratorINS7_7pointerISA_NS7_11hip_rocprim3tagENS7_11use_defaultESJ_EEEEPSB_SM_NS0_5tupleIJPSA_SM_EEENSN_IJSM_SM_EEESB_PlJ10is_orderedEEE10hipError_tPvRmT3_T4_T5_T6_T7_T9_mT8_P12ihipStream_tbDpT10_ENKUlT_T0_E_clISt17integral_constantIbLb0EES1B_IbLb1EEEEDaS17_S18_EUlS17_E_NS1_11comp_targetILNS1_3genE0ELNS1_11target_archE4294967295ELNS1_3gpuE0ELNS1_3repE0EEENS1_30default_config_static_selectorELNS0_4arch9wavefront6targetE1EEEvT1_,"axG",@progbits,_ZN7rocprim17ROCPRIM_400000_NS6detail17trampoline_kernelINS0_14default_configENS1_25partition_config_selectorILNS1_17partition_subalgoE3EN6thrust23THRUST_200600_302600_NS5tupleIssNS7_9null_typeES9_S9_S9_S9_S9_S9_S9_EENS0_10empty_typeEbEEZZNS1_14partition_implILS5_3ELb0ES3_jNS7_6detail15normal_iteratorINS7_7pointerISA_NS7_11hip_rocprim3tagENS7_11use_defaultESJ_EEEEPSB_SM_NS0_5tupleIJPSA_SM_EEENSN_IJSM_SM_EEESB_PlJ10is_orderedEEE10hipError_tPvRmT3_T4_T5_T6_T7_T9_mT8_P12ihipStream_tbDpT10_ENKUlT_T0_E_clISt17integral_constantIbLb0EES1B_IbLb1EEEEDaS17_S18_EUlS17_E_NS1_11comp_targetILNS1_3genE0ELNS1_11target_archE4294967295ELNS1_3gpuE0ELNS1_3repE0EEENS1_30default_config_static_selectorELNS0_4arch9wavefront6targetE1EEEvT1_,comdat
.Lfunc_end3553:
	.size	_ZN7rocprim17ROCPRIM_400000_NS6detail17trampoline_kernelINS0_14default_configENS1_25partition_config_selectorILNS1_17partition_subalgoE3EN6thrust23THRUST_200600_302600_NS5tupleIssNS7_9null_typeES9_S9_S9_S9_S9_S9_S9_EENS0_10empty_typeEbEEZZNS1_14partition_implILS5_3ELb0ES3_jNS7_6detail15normal_iteratorINS7_7pointerISA_NS7_11hip_rocprim3tagENS7_11use_defaultESJ_EEEEPSB_SM_NS0_5tupleIJPSA_SM_EEENSN_IJSM_SM_EEESB_PlJ10is_orderedEEE10hipError_tPvRmT3_T4_T5_T6_T7_T9_mT8_P12ihipStream_tbDpT10_ENKUlT_T0_E_clISt17integral_constantIbLb0EES1B_IbLb1EEEEDaS17_S18_EUlS17_E_NS1_11comp_targetILNS1_3genE0ELNS1_11target_archE4294967295ELNS1_3gpuE0ELNS1_3repE0EEENS1_30default_config_static_selectorELNS0_4arch9wavefront6targetE1EEEvT1_, .Lfunc_end3553-_ZN7rocprim17ROCPRIM_400000_NS6detail17trampoline_kernelINS0_14default_configENS1_25partition_config_selectorILNS1_17partition_subalgoE3EN6thrust23THRUST_200600_302600_NS5tupleIssNS7_9null_typeES9_S9_S9_S9_S9_S9_S9_EENS0_10empty_typeEbEEZZNS1_14partition_implILS5_3ELb0ES3_jNS7_6detail15normal_iteratorINS7_7pointerISA_NS7_11hip_rocprim3tagENS7_11use_defaultESJ_EEEEPSB_SM_NS0_5tupleIJPSA_SM_EEENSN_IJSM_SM_EEESB_PlJ10is_orderedEEE10hipError_tPvRmT3_T4_T5_T6_T7_T9_mT8_P12ihipStream_tbDpT10_ENKUlT_T0_E_clISt17integral_constantIbLb0EES1B_IbLb1EEEEDaS17_S18_EUlS17_E_NS1_11comp_targetILNS1_3genE0ELNS1_11target_archE4294967295ELNS1_3gpuE0ELNS1_3repE0EEENS1_30default_config_static_selectorELNS0_4arch9wavefront6targetE1EEEvT1_
                                        ; -- End function
	.section	.AMDGPU.csdata,"",@progbits
; Kernel info:
; codeLenInByte = 0
; NumSgprs: 4
; NumVgprs: 0
; NumAgprs: 0
; TotalNumVgprs: 0
; ScratchSize: 0
; MemoryBound: 0
; FloatMode: 240
; IeeeMode: 1
; LDSByteSize: 0 bytes/workgroup (compile time only)
; SGPRBlocks: 0
; VGPRBlocks: 0
; NumSGPRsForWavesPerEU: 4
; NumVGPRsForWavesPerEU: 1
; AccumOffset: 4
; Occupancy: 8
; WaveLimiterHint : 0
; COMPUTE_PGM_RSRC2:SCRATCH_EN: 0
; COMPUTE_PGM_RSRC2:USER_SGPR: 6
; COMPUTE_PGM_RSRC2:TRAP_HANDLER: 0
; COMPUTE_PGM_RSRC2:TGID_X_EN: 1
; COMPUTE_PGM_RSRC2:TGID_Y_EN: 0
; COMPUTE_PGM_RSRC2:TGID_Z_EN: 0
; COMPUTE_PGM_RSRC2:TIDIG_COMP_CNT: 0
; COMPUTE_PGM_RSRC3_GFX90A:ACCUM_OFFSET: 0
; COMPUTE_PGM_RSRC3_GFX90A:TG_SPLIT: 0
	.section	.text._ZN7rocprim17ROCPRIM_400000_NS6detail17trampoline_kernelINS0_14default_configENS1_25partition_config_selectorILNS1_17partition_subalgoE3EN6thrust23THRUST_200600_302600_NS5tupleIssNS7_9null_typeES9_S9_S9_S9_S9_S9_S9_EENS0_10empty_typeEbEEZZNS1_14partition_implILS5_3ELb0ES3_jNS7_6detail15normal_iteratorINS7_7pointerISA_NS7_11hip_rocprim3tagENS7_11use_defaultESJ_EEEEPSB_SM_NS0_5tupleIJPSA_SM_EEENSN_IJSM_SM_EEESB_PlJ10is_orderedEEE10hipError_tPvRmT3_T4_T5_T6_T7_T9_mT8_P12ihipStream_tbDpT10_ENKUlT_T0_E_clISt17integral_constantIbLb0EES1B_IbLb1EEEEDaS17_S18_EUlS17_E_NS1_11comp_targetILNS1_3genE5ELNS1_11target_archE942ELNS1_3gpuE9ELNS1_3repE0EEENS1_30default_config_static_selectorELNS0_4arch9wavefront6targetE1EEEvT1_,"axG",@progbits,_ZN7rocprim17ROCPRIM_400000_NS6detail17trampoline_kernelINS0_14default_configENS1_25partition_config_selectorILNS1_17partition_subalgoE3EN6thrust23THRUST_200600_302600_NS5tupleIssNS7_9null_typeES9_S9_S9_S9_S9_S9_S9_EENS0_10empty_typeEbEEZZNS1_14partition_implILS5_3ELb0ES3_jNS7_6detail15normal_iteratorINS7_7pointerISA_NS7_11hip_rocprim3tagENS7_11use_defaultESJ_EEEEPSB_SM_NS0_5tupleIJPSA_SM_EEENSN_IJSM_SM_EEESB_PlJ10is_orderedEEE10hipError_tPvRmT3_T4_T5_T6_T7_T9_mT8_P12ihipStream_tbDpT10_ENKUlT_T0_E_clISt17integral_constantIbLb0EES1B_IbLb1EEEEDaS17_S18_EUlS17_E_NS1_11comp_targetILNS1_3genE5ELNS1_11target_archE942ELNS1_3gpuE9ELNS1_3repE0EEENS1_30default_config_static_selectorELNS0_4arch9wavefront6targetE1EEEvT1_,comdat
	.protected	_ZN7rocprim17ROCPRIM_400000_NS6detail17trampoline_kernelINS0_14default_configENS1_25partition_config_selectorILNS1_17partition_subalgoE3EN6thrust23THRUST_200600_302600_NS5tupleIssNS7_9null_typeES9_S9_S9_S9_S9_S9_S9_EENS0_10empty_typeEbEEZZNS1_14partition_implILS5_3ELb0ES3_jNS7_6detail15normal_iteratorINS7_7pointerISA_NS7_11hip_rocprim3tagENS7_11use_defaultESJ_EEEEPSB_SM_NS0_5tupleIJPSA_SM_EEENSN_IJSM_SM_EEESB_PlJ10is_orderedEEE10hipError_tPvRmT3_T4_T5_T6_T7_T9_mT8_P12ihipStream_tbDpT10_ENKUlT_T0_E_clISt17integral_constantIbLb0EES1B_IbLb1EEEEDaS17_S18_EUlS17_E_NS1_11comp_targetILNS1_3genE5ELNS1_11target_archE942ELNS1_3gpuE9ELNS1_3repE0EEENS1_30default_config_static_selectorELNS0_4arch9wavefront6targetE1EEEvT1_ ; -- Begin function _ZN7rocprim17ROCPRIM_400000_NS6detail17trampoline_kernelINS0_14default_configENS1_25partition_config_selectorILNS1_17partition_subalgoE3EN6thrust23THRUST_200600_302600_NS5tupleIssNS7_9null_typeES9_S9_S9_S9_S9_S9_S9_EENS0_10empty_typeEbEEZZNS1_14partition_implILS5_3ELb0ES3_jNS7_6detail15normal_iteratorINS7_7pointerISA_NS7_11hip_rocprim3tagENS7_11use_defaultESJ_EEEEPSB_SM_NS0_5tupleIJPSA_SM_EEENSN_IJSM_SM_EEESB_PlJ10is_orderedEEE10hipError_tPvRmT3_T4_T5_T6_T7_T9_mT8_P12ihipStream_tbDpT10_ENKUlT_T0_E_clISt17integral_constantIbLb0EES1B_IbLb1EEEEDaS17_S18_EUlS17_E_NS1_11comp_targetILNS1_3genE5ELNS1_11target_archE942ELNS1_3gpuE9ELNS1_3repE0EEENS1_30default_config_static_selectorELNS0_4arch9wavefront6targetE1EEEvT1_
	.globl	_ZN7rocprim17ROCPRIM_400000_NS6detail17trampoline_kernelINS0_14default_configENS1_25partition_config_selectorILNS1_17partition_subalgoE3EN6thrust23THRUST_200600_302600_NS5tupleIssNS7_9null_typeES9_S9_S9_S9_S9_S9_S9_EENS0_10empty_typeEbEEZZNS1_14partition_implILS5_3ELb0ES3_jNS7_6detail15normal_iteratorINS7_7pointerISA_NS7_11hip_rocprim3tagENS7_11use_defaultESJ_EEEEPSB_SM_NS0_5tupleIJPSA_SM_EEENSN_IJSM_SM_EEESB_PlJ10is_orderedEEE10hipError_tPvRmT3_T4_T5_T6_T7_T9_mT8_P12ihipStream_tbDpT10_ENKUlT_T0_E_clISt17integral_constantIbLb0EES1B_IbLb1EEEEDaS17_S18_EUlS17_E_NS1_11comp_targetILNS1_3genE5ELNS1_11target_archE942ELNS1_3gpuE9ELNS1_3repE0EEENS1_30default_config_static_selectorELNS0_4arch9wavefront6targetE1EEEvT1_
	.p2align	8
	.type	_ZN7rocprim17ROCPRIM_400000_NS6detail17trampoline_kernelINS0_14default_configENS1_25partition_config_selectorILNS1_17partition_subalgoE3EN6thrust23THRUST_200600_302600_NS5tupleIssNS7_9null_typeES9_S9_S9_S9_S9_S9_S9_EENS0_10empty_typeEbEEZZNS1_14partition_implILS5_3ELb0ES3_jNS7_6detail15normal_iteratorINS7_7pointerISA_NS7_11hip_rocprim3tagENS7_11use_defaultESJ_EEEEPSB_SM_NS0_5tupleIJPSA_SM_EEENSN_IJSM_SM_EEESB_PlJ10is_orderedEEE10hipError_tPvRmT3_T4_T5_T6_T7_T9_mT8_P12ihipStream_tbDpT10_ENKUlT_T0_E_clISt17integral_constantIbLb0EES1B_IbLb1EEEEDaS17_S18_EUlS17_E_NS1_11comp_targetILNS1_3genE5ELNS1_11target_archE942ELNS1_3gpuE9ELNS1_3repE0EEENS1_30default_config_static_selectorELNS0_4arch9wavefront6targetE1EEEvT1_,@function
_ZN7rocprim17ROCPRIM_400000_NS6detail17trampoline_kernelINS0_14default_configENS1_25partition_config_selectorILNS1_17partition_subalgoE3EN6thrust23THRUST_200600_302600_NS5tupleIssNS7_9null_typeES9_S9_S9_S9_S9_S9_S9_EENS0_10empty_typeEbEEZZNS1_14partition_implILS5_3ELb0ES3_jNS7_6detail15normal_iteratorINS7_7pointerISA_NS7_11hip_rocprim3tagENS7_11use_defaultESJ_EEEEPSB_SM_NS0_5tupleIJPSA_SM_EEENSN_IJSM_SM_EEESB_PlJ10is_orderedEEE10hipError_tPvRmT3_T4_T5_T6_T7_T9_mT8_P12ihipStream_tbDpT10_ENKUlT_T0_E_clISt17integral_constantIbLb0EES1B_IbLb1EEEEDaS17_S18_EUlS17_E_NS1_11comp_targetILNS1_3genE5ELNS1_11target_archE942ELNS1_3gpuE9ELNS1_3repE0EEENS1_30default_config_static_selectorELNS0_4arch9wavefront6targetE1EEEvT1_: ; @_ZN7rocprim17ROCPRIM_400000_NS6detail17trampoline_kernelINS0_14default_configENS1_25partition_config_selectorILNS1_17partition_subalgoE3EN6thrust23THRUST_200600_302600_NS5tupleIssNS7_9null_typeES9_S9_S9_S9_S9_S9_S9_EENS0_10empty_typeEbEEZZNS1_14partition_implILS5_3ELb0ES3_jNS7_6detail15normal_iteratorINS7_7pointerISA_NS7_11hip_rocprim3tagENS7_11use_defaultESJ_EEEEPSB_SM_NS0_5tupleIJPSA_SM_EEENSN_IJSM_SM_EEESB_PlJ10is_orderedEEE10hipError_tPvRmT3_T4_T5_T6_T7_T9_mT8_P12ihipStream_tbDpT10_ENKUlT_T0_E_clISt17integral_constantIbLb0EES1B_IbLb1EEEEDaS17_S18_EUlS17_E_NS1_11comp_targetILNS1_3genE5ELNS1_11target_archE942ELNS1_3gpuE9ELNS1_3repE0EEENS1_30default_config_static_selectorELNS0_4arch9wavefront6targetE1EEEvT1_
; %bb.0:
	.section	.rodata,"a",@progbits
	.p2align	6, 0x0
	.amdhsa_kernel _ZN7rocprim17ROCPRIM_400000_NS6detail17trampoline_kernelINS0_14default_configENS1_25partition_config_selectorILNS1_17partition_subalgoE3EN6thrust23THRUST_200600_302600_NS5tupleIssNS7_9null_typeES9_S9_S9_S9_S9_S9_S9_EENS0_10empty_typeEbEEZZNS1_14partition_implILS5_3ELb0ES3_jNS7_6detail15normal_iteratorINS7_7pointerISA_NS7_11hip_rocprim3tagENS7_11use_defaultESJ_EEEEPSB_SM_NS0_5tupleIJPSA_SM_EEENSN_IJSM_SM_EEESB_PlJ10is_orderedEEE10hipError_tPvRmT3_T4_T5_T6_T7_T9_mT8_P12ihipStream_tbDpT10_ENKUlT_T0_E_clISt17integral_constantIbLb0EES1B_IbLb1EEEEDaS17_S18_EUlS17_E_NS1_11comp_targetILNS1_3genE5ELNS1_11target_archE942ELNS1_3gpuE9ELNS1_3repE0EEENS1_30default_config_static_selectorELNS0_4arch9wavefront6targetE1EEEvT1_
		.amdhsa_group_segment_fixed_size 0
		.amdhsa_private_segment_fixed_size 0
		.amdhsa_kernarg_size 136
		.amdhsa_user_sgpr_count 6
		.amdhsa_user_sgpr_private_segment_buffer 1
		.amdhsa_user_sgpr_dispatch_ptr 0
		.amdhsa_user_sgpr_queue_ptr 0
		.amdhsa_user_sgpr_kernarg_segment_ptr 1
		.amdhsa_user_sgpr_dispatch_id 0
		.amdhsa_user_sgpr_flat_scratch_init 0
		.amdhsa_user_sgpr_kernarg_preload_length 0
		.amdhsa_user_sgpr_kernarg_preload_offset 0
		.amdhsa_user_sgpr_private_segment_size 0
		.amdhsa_uses_dynamic_stack 0
		.amdhsa_system_sgpr_private_segment_wavefront_offset 0
		.amdhsa_system_sgpr_workgroup_id_x 1
		.amdhsa_system_sgpr_workgroup_id_y 0
		.amdhsa_system_sgpr_workgroup_id_z 0
		.amdhsa_system_sgpr_workgroup_info 0
		.amdhsa_system_vgpr_workitem_id 0
		.amdhsa_next_free_vgpr 1
		.amdhsa_next_free_sgpr 0
		.amdhsa_accum_offset 4
		.amdhsa_reserve_vcc 0
		.amdhsa_reserve_flat_scratch 0
		.amdhsa_float_round_mode_32 0
		.amdhsa_float_round_mode_16_64 0
		.amdhsa_float_denorm_mode_32 3
		.amdhsa_float_denorm_mode_16_64 3
		.amdhsa_dx10_clamp 1
		.amdhsa_ieee_mode 1
		.amdhsa_fp16_overflow 0
		.amdhsa_tg_split 0
		.amdhsa_exception_fp_ieee_invalid_op 0
		.amdhsa_exception_fp_denorm_src 0
		.amdhsa_exception_fp_ieee_div_zero 0
		.amdhsa_exception_fp_ieee_overflow 0
		.amdhsa_exception_fp_ieee_underflow 0
		.amdhsa_exception_fp_ieee_inexact 0
		.amdhsa_exception_int_div_zero 0
	.end_amdhsa_kernel
	.section	.text._ZN7rocprim17ROCPRIM_400000_NS6detail17trampoline_kernelINS0_14default_configENS1_25partition_config_selectorILNS1_17partition_subalgoE3EN6thrust23THRUST_200600_302600_NS5tupleIssNS7_9null_typeES9_S9_S9_S9_S9_S9_S9_EENS0_10empty_typeEbEEZZNS1_14partition_implILS5_3ELb0ES3_jNS7_6detail15normal_iteratorINS7_7pointerISA_NS7_11hip_rocprim3tagENS7_11use_defaultESJ_EEEEPSB_SM_NS0_5tupleIJPSA_SM_EEENSN_IJSM_SM_EEESB_PlJ10is_orderedEEE10hipError_tPvRmT3_T4_T5_T6_T7_T9_mT8_P12ihipStream_tbDpT10_ENKUlT_T0_E_clISt17integral_constantIbLb0EES1B_IbLb1EEEEDaS17_S18_EUlS17_E_NS1_11comp_targetILNS1_3genE5ELNS1_11target_archE942ELNS1_3gpuE9ELNS1_3repE0EEENS1_30default_config_static_selectorELNS0_4arch9wavefront6targetE1EEEvT1_,"axG",@progbits,_ZN7rocprim17ROCPRIM_400000_NS6detail17trampoline_kernelINS0_14default_configENS1_25partition_config_selectorILNS1_17partition_subalgoE3EN6thrust23THRUST_200600_302600_NS5tupleIssNS7_9null_typeES9_S9_S9_S9_S9_S9_S9_EENS0_10empty_typeEbEEZZNS1_14partition_implILS5_3ELb0ES3_jNS7_6detail15normal_iteratorINS7_7pointerISA_NS7_11hip_rocprim3tagENS7_11use_defaultESJ_EEEEPSB_SM_NS0_5tupleIJPSA_SM_EEENSN_IJSM_SM_EEESB_PlJ10is_orderedEEE10hipError_tPvRmT3_T4_T5_T6_T7_T9_mT8_P12ihipStream_tbDpT10_ENKUlT_T0_E_clISt17integral_constantIbLb0EES1B_IbLb1EEEEDaS17_S18_EUlS17_E_NS1_11comp_targetILNS1_3genE5ELNS1_11target_archE942ELNS1_3gpuE9ELNS1_3repE0EEENS1_30default_config_static_selectorELNS0_4arch9wavefront6targetE1EEEvT1_,comdat
.Lfunc_end3554:
	.size	_ZN7rocprim17ROCPRIM_400000_NS6detail17trampoline_kernelINS0_14default_configENS1_25partition_config_selectorILNS1_17partition_subalgoE3EN6thrust23THRUST_200600_302600_NS5tupleIssNS7_9null_typeES9_S9_S9_S9_S9_S9_S9_EENS0_10empty_typeEbEEZZNS1_14partition_implILS5_3ELb0ES3_jNS7_6detail15normal_iteratorINS7_7pointerISA_NS7_11hip_rocprim3tagENS7_11use_defaultESJ_EEEEPSB_SM_NS0_5tupleIJPSA_SM_EEENSN_IJSM_SM_EEESB_PlJ10is_orderedEEE10hipError_tPvRmT3_T4_T5_T6_T7_T9_mT8_P12ihipStream_tbDpT10_ENKUlT_T0_E_clISt17integral_constantIbLb0EES1B_IbLb1EEEEDaS17_S18_EUlS17_E_NS1_11comp_targetILNS1_3genE5ELNS1_11target_archE942ELNS1_3gpuE9ELNS1_3repE0EEENS1_30default_config_static_selectorELNS0_4arch9wavefront6targetE1EEEvT1_, .Lfunc_end3554-_ZN7rocprim17ROCPRIM_400000_NS6detail17trampoline_kernelINS0_14default_configENS1_25partition_config_selectorILNS1_17partition_subalgoE3EN6thrust23THRUST_200600_302600_NS5tupleIssNS7_9null_typeES9_S9_S9_S9_S9_S9_S9_EENS0_10empty_typeEbEEZZNS1_14partition_implILS5_3ELb0ES3_jNS7_6detail15normal_iteratorINS7_7pointerISA_NS7_11hip_rocprim3tagENS7_11use_defaultESJ_EEEEPSB_SM_NS0_5tupleIJPSA_SM_EEENSN_IJSM_SM_EEESB_PlJ10is_orderedEEE10hipError_tPvRmT3_T4_T5_T6_T7_T9_mT8_P12ihipStream_tbDpT10_ENKUlT_T0_E_clISt17integral_constantIbLb0EES1B_IbLb1EEEEDaS17_S18_EUlS17_E_NS1_11comp_targetILNS1_3genE5ELNS1_11target_archE942ELNS1_3gpuE9ELNS1_3repE0EEENS1_30default_config_static_selectorELNS0_4arch9wavefront6targetE1EEEvT1_
                                        ; -- End function
	.section	.AMDGPU.csdata,"",@progbits
; Kernel info:
; codeLenInByte = 0
; NumSgprs: 4
; NumVgprs: 0
; NumAgprs: 0
; TotalNumVgprs: 0
; ScratchSize: 0
; MemoryBound: 0
; FloatMode: 240
; IeeeMode: 1
; LDSByteSize: 0 bytes/workgroup (compile time only)
; SGPRBlocks: 0
; VGPRBlocks: 0
; NumSGPRsForWavesPerEU: 4
; NumVGPRsForWavesPerEU: 1
; AccumOffset: 4
; Occupancy: 8
; WaveLimiterHint : 0
; COMPUTE_PGM_RSRC2:SCRATCH_EN: 0
; COMPUTE_PGM_RSRC2:USER_SGPR: 6
; COMPUTE_PGM_RSRC2:TRAP_HANDLER: 0
; COMPUTE_PGM_RSRC2:TGID_X_EN: 1
; COMPUTE_PGM_RSRC2:TGID_Y_EN: 0
; COMPUTE_PGM_RSRC2:TGID_Z_EN: 0
; COMPUTE_PGM_RSRC2:TIDIG_COMP_CNT: 0
; COMPUTE_PGM_RSRC3_GFX90A:ACCUM_OFFSET: 0
; COMPUTE_PGM_RSRC3_GFX90A:TG_SPLIT: 0
	.section	.text._ZN7rocprim17ROCPRIM_400000_NS6detail17trampoline_kernelINS0_14default_configENS1_25partition_config_selectorILNS1_17partition_subalgoE3EN6thrust23THRUST_200600_302600_NS5tupleIssNS7_9null_typeES9_S9_S9_S9_S9_S9_S9_EENS0_10empty_typeEbEEZZNS1_14partition_implILS5_3ELb0ES3_jNS7_6detail15normal_iteratorINS7_7pointerISA_NS7_11hip_rocprim3tagENS7_11use_defaultESJ_EEEEPSB_SM_NS0_5tupleIJPSA_SM_EEENSN_IJSM_SM_EEESB_PlJ10is_orderedEEE10hipError_tPvRmT3_T4_T5_T6_T7_T9_mT8_P12ihipStream_tbDpT10_ENKUlT_T0_E_clISt17integral_constantIbLb0EES1B_IbLb1EEEEDaS17_S18_EUlS17_E_NS1_11comp_targetILNS1_3genE4ELNS1_11target_archE910ELNS1_3gpuE8ELNS1_3repE0EEENS1_30default_config_static_selectorELNS0_4arch9wavefront6targetE1EEEvT1_,"axG",@progbits,_ZN7rocprim17ROCPRIM_400000_NS6detail17trampoline_kernelINS0_14default_configENS1_25partition_config_selectorILNS1_17partition_subalgoE3EN6thrust23THRUST_200600_302600_NS5tupleIssNS7_9null_typeES9_S9_S9_S9_S9_S9_S9_EENS0_10empty_typeEbEEZZNS1_14partition_implILS5_3ELb0ES3_jNS7_6detail15normal_iteratorINS7_7pointerISA_NS7_11hip_rocprim3tagENS7_11use_defaultESJ_EEEEPSB_SM_NS0_5tupleIJPSA_SM_EEENSN_IJSM_SM_EEESB_PlJ10is_orderedEEE10hipError_tPvRmT3_T4_T5_T6_T7_T9_mT8_P12ihipStream_tbDpT10_ENKUlT_T0_E_clISt17integral_constantIbLb0EES1B_IbLb1EEEEDaS17_S18_EUlS17_E_NS1_11comp_targetILNS1_3genE4ELNS1_11target_archE910ELNS1_3gpuE8ELNS1_3repE0EEENS1_30default_config_static_selectorELNS0_4arch9wavefront6targetE1EEEvT1_,comdat
	.protected	_ZN7rocprim17ROCPRIM_400000_NS6detail17trampoline_kernelINS0_14default_configENS1_25partition_config_selectorILNS1_17partition_subalgoE3EN6thrust23THRUST_200600_302600_NS5tupleIssNS7_9null_typeES9_S9_S9_S9_S9_S9_S9_EENS0_10empty_typeEbEEZZNS1_14partition_implILS5_3ELb0ES3_jNS7_6detail15normal_iteratorINS7_7pointerISA_NS7_11hip_rocprim3tagENS7_11use_defaultESJ_EEEEPSB_SM_NS0_5tupleIJPSA_SM_EEENSN_IJSM_SM_EEESB_PlJ10is_orderedEEE10hipError_tPvRmT3_T4_T5_T6_T7_T9_mT8_P12ihipStream_tbDpT10_ENKUlT_T0_E_clISt17integral_constantIbLb0EES1B_IbLb1EEEEDaS17_S18_EUlS17_E_NS1_11comp_targetILNS1_3genE4ELNS1_11target_archE910ELNS1_3gpuE8ELNS1_3repE0EEENS1_30default_config_static_selectorELNS0_4arch9wavefront6targetE1EEEvT1_ ; -- Begin function _ZN7rocprim17ROCPRIM_400000_NS6detail17trampoline_kernelINS0_14default_configENS1_25partition_config_selectorILNS1_17partition_subalgoE3EN6thrust23THRUST_200600_302600_NS5tupleIssNS7_9null_typeES9_S9_S9_S9_S9_S9_S9_EENS0_10empty_typeEbEEZZNS1_14partition_implILS5_3ELb0ES3_jNS7_6detail15normal_iteratorINS7_7pointerISA_NS7_11hip_rocprim3tagENS7_11use_defaultESJ_EEEEPSB_SM_NS0_5tupleIJPSA_SM_EEENSN_IJSM_SM_EEESB_PlJ10is_orderedEEE10hipError_tPvRmT3_T4_T5_T6_T7_T9_mT8_P12ihipStream_tbDpT10_ENKUlT_T0_E_clISt17integral_constantIbLb0EES1B_IbLb1EEEEDaS17_S18_EUlS17_E_NS1_11comp_targetILNS1_3genE4ELNS1_11target_archE910ELNS1_3gpuE8ELNS1_3repE0EEENS1_30default_config_static_selectorELNS0_4arch9wavefront6targetE1EEEvT1_
	.globl	_ZN7rocprim17ROCPRIM_400000_NS6detail17trampoline_kernelINS0_14default_configENS1_25partition_config_selectorILNS1_17partition_subalgoE3EN6thrust23THRUST_200600_302600_NS5tupleIssNS7_9null_typeES9_S9_S9_S9_S9_S9_S9_EENS0_10empty_typeEbEEZZNS1_14partition_implILS5_3ELb0ES3_jNS7_6detail15normal_iteratorINS7_7pointerISA_NS7_11hip_rocprim3tagENS7_11use_defaultESJ_EEEEPSB_SM_NS0_5tupleIJPSA_SM_EEENSN_IJSM_SM_EEESB_PlJ10is_orderedEEE10hipError_tPvRmT3_T4_T5_T6_T7_T9_mT8_P12ihipStream_tbDpT10_ENKUlT_T0_E_clISt17integral_constantIbLb0EES1B_IbLb1EEEEDaS17_S18_EUlS17_E_NS1_11comp_targetILNS1_3genE4ELNS1_11target_archE910ELNS1_3gpuE8ELNS1_3repE0EEENS1_30default_config_static_selectorELNS0_4arch9wavefront6targetE1EEEvT1_
	.p2align	8
	.type	_ZN7rocprim17ROCPRIM_400000_NS6detail17trampoline_kernelINS0_14default_configENS1_25partition_config_selectorILNS1_17partition_subalgoE3EN6thrust23THRUST_200600_302600_NS5tupleIssNS7_9null_typeES9_S9_S9_S9_S9_S9_S9_EENS0_10empty_typeEbEEZZNS1_14partition_implILS5_3ELb0ES3_jNS7_6detail15normal_iteratorINS7_7pointerISA_NS7_11hip_rocprim3tagENS7_11use_defaultESJ_EEEEPSB_SM_NS0_5tupleIJPSA_SM_EEENSN_IJSM_SM_EEESB_PlJ10is_orderedEEE10hipError_tPvRmT3_T4_T5_T6_T7_T9_mT8_P12ihipStream_tbDpT10_ENKUlT_T0_E_clISt17integral_constantIbLb0EES1B_IbLb1EEEEDaS17_S18_EUlS17_E_NS1_11comp_targetILNS1_3genE4ELNS1_11target_archE910ELNS1_3gpuE8ELNS1_3repE0EEENS1_30default_config_static_selectorELNS0_4arch9wavefront6targetE1EEEvT1_,@function
_ZN7rocprim17ROCPRIM_400000_NS6detail17trampoline_kernelINS0_14default_configENS1_25partition_config_selectorILNS1_17partition_subalgoE3EN6thrust23THRUST_200600_302600_NS5tupleIssNS7_9null_typeES9_S9_S9_S9_S9_S9_S9_EENS0_10empty_typeEbEEZZNS1_14partition_implILS5_3ELb0ES3_jNS7_6detail15normal_iteratorINS7_7pointerISA_NS7_11hip_rocprim3tagENS7_11use_defaultESJ_EEEEPSB_SM_NS0_5tupleIJPSA_SM_EEENSN_IJSM_SM_EEESB_PlJ10is_orderedEEE10hipError_tPvRmT3_T4_T5_T6_T7_T9_mT8_P12ihipStream_tbDpT10_ENKUlT_T0_E_clISt17integral_constantIbLb0EES1B_IbLb1EEEEDaS17_S18_EUlS17_E_NS1_11comp_targetILNS1_3genE4ELNS1_11target_archE910ELNS1_3gpuE8ELNS1_3repE0EEENS1_30default_config_static_selectorELNS0_4arch9wavefront6targetE1EEEvT1_: ; @_ZN7rocprim17ROCPRIM_400000_NS6detail17trampoline_kernelINS0_14default_configENS1_25partition_config_selectorILNS1_17partition_subalgoE3EN6thrust23THRUST_200600_302600_NS5tupleIssNS7_9null_typeES9_S9_S9_S9_S9_S9_S9_EENS0_10empty_typeEbEEZZNS1_14partition_implILS5_3ELb0ES3_jNS7_6detail15normal_iteratorINS7_7pointerISA_NS7_11hip_rocprim3tagENS7_11use_defaultESJ_EEEEPSB_SM_NS0_5tupleIJPSA_SM_EEENSN_IJSM_SM_EEESB_PlJ10is_orderedEEE10hipError_tPvRmT3_T4_T5_T6_T7_T9_mT8_P12ihipStream_tbDpT10_ENKUlT_T0_E_clISt17integral_constantIbLb0EES1B_IbLb1EEEEDaS17_S18_EUlS17_E_NS1_11comp_targetILNS1_3genE4ELNS1_11target_archE910ELNS1_3gpuE8ELNS1_3repE0EEENS1_30default_config_static_selectorELNS0_4arch9wavefront6targetE1EEEvT1_
; %bb.0:
	s_load_dwordx2 s[28:29], s[4:5], 0x28
	s_load_dwordx4 s[20:23], s[4:5], 0x48
	s_load_dwordx2 s[30:31], s[4:5], 0x58
	s_load_dwordx2 s[34:35], s[4:5], 0x68
	v_cmp_eq_u32_e64 s[0:1], 0, v0
	s_and_saveexec_b64 s[2:3], s[0:1]
	s_cbranch_execz .LBB3555_4
; %bb.1:
	s_mov_b64 s[8:9], exec
	v_mbcnt_lo_u32_b32 v1, s8, 0
	v_mbcnt_hi_u32_b32 v1, s9, v1
	v_cmp_eq_u32_e32 vcc, 0, v1
                                        ; implicit-def: $vgpr2
	s_and_saveexec_b64 s[6:7], vcc
	s_cbranch_execz .LBB3555_3
; %bb.2:
	s_load_dwordx2 s[10:11], s[4:5], 0x78
	s_bcnt1_i32_b64 s8, s[8:9]
	v_mov_b32_e32 v2, 0
	v_mov_b32_e32 v3, s8
	s_waitcnt lgkmcnt(0)
	global_atomic_add v2, v2, v3, s[10:11] glc
.LBB3555_3:
	s_or_b64 exec, exec, s[6:7]
	s_waitcnt vmcnt(0)
	v_readfirstlane_b32 s6, v2
	v_add_u32_e32 v1, s6, v1
	v_mov_b32_e32 v2, 0
	ds_write_b32 v2, v1
.LBB3555_4:
	s_or_b64 exec, exec, s[2:3]
	v_mov_b32_e32 v13, 0
	s_load_dwordx4 s[24:27], s[4:5], 0x8
	s_load_dword s2, s[4:5], 0x70
	s_waitcnt lgkmcnt(0)
	s_barrier
	ds_read_b32 v1, v13
	s_waitcnt lgkmcnt(0)
	s_barrier
	global_load_dwordx2 v[14:15], v13, s[22:23]
	s_lshl_b64 s[4:5], s[26:27], 2
	s_add_u32 s6, s24, s4
	s_addc_u32 s7, s25, s5
	s_add_i32 s4, s2, -1
	s_mulk_i32 s2, 0xa00
	s_add_i32 s3, s2, s26
	s_sub_i32 s33, s30, s3
	s_addk_i32 s33, 0xa00
	s_add_u32 s2, s26, s2
	v_readfirstlane_b32 s42, v1
	s_addc_u32 s3, s27, 0
	s_movk_i32 s8, 0xa00
	s_cmp_eq_u32 s42, s4
	s_cselect_b64 s[22:23], -1, 0
	s_cmp_lg_u32 s42, s4
	v_mul_lo_u32 v12, v1, s8
	v_pk_mov_b32 v[2:3], s[30:31], s[30:31] op_sel:[0,1]
	s_cselect_b64 s[4:5], -1, 0
	v_cmp_lt_u64_e32 vcc, s[2:3], v[2:3]
	v_lshlrev_b64 v[2:3], 2, v[12:13]
	s_or_b64 s[4:5], vcc, s[4:5]
	v_mov_b32_e32 v1, s7
	v_add_co_u32_e32 v2, vcc, s6, v2
	v_addc_co_u32_e32 v3, vcc, v1, v3, vcc
	s_mov_b64 s[2:3], -1
	s_and_b64 vcc, exec, s[4:5]
	v_lshlrev_b32_e32 v1, 2, v0
	s_cbranch_vccz .LBB3555_6
; %bb.5:
	v_add_co_u32_e32 v4, vcc, v2, v1
	v_addc_co_u32_e32 v5, vcc, 0, v3, vcc
	v_add_co_u32_e32 v6, vcc, 0x1000, v4
	v_addc_co_u32_e32 v7, vcc, 0, v5, vcc
	flat_load_dword v8, v[4:5]
	flat_load_dword v9, v[4:5] offset:1024
	flat_load_dword v10, v[4:5] offset:2048
	;; [unrolled: 1-line block ×3, first 2 shown]
	flat_load_dword v13, v[6:7]
	flat_load_dword v16, v[6:7] offset:1024
	flat_load_dword v17, v[6:7] offset:2048
	;; [unrolled: 1-line block ×3, first 2 shown]
	v_add_co_u32_e32 v4, vcc, 0x2000, v4
	v_addc_co_u32_e32 v5, vcc, 0, v5, vcc
	flat_load_dword v6, v[4:5]
	flat_load_dword v7, v[4:5] offset:1024
	s_mov_b64 s[2:3], 0
	s_waitcnt vmcnt(0) lgkmcnt(0)
	ds_write2st64_b32 v1, v8, v9 offset1:4
	ds_write2st64_b32 v1, v10, v11 offset0:8 offset1:12
	ds_write2st64_b32 v1, v13, v16 offset0:16 offset1:20
	ds_write2st64_b32 v1, v17, v18 offset0:24 offset1:28
	ds_write2st64_b32 v1, v6, v7 offset0:32 offset1:36
	s_waitcnt lgkmcnt(0)
	s_barrier
.LBB3555_6:
	s_andn2_b64 vcc, exec, s[2:3]
	v_cmp_gt_u32_e64 s[2:3], s33, v0
	s_cbranch_vccnz .LBB3555_28
; %bb.7:
	v_mov_b32_e32 v4, 0
	v_mov_b32_e32 v5, 0
	s_and_saveexec_b64 s[6:7], s[2:3]
	s_cbranch_execz .LBB3555_9
; %bb.8:
	v_add_co_u32_e32 v6, vcc, v2, v1
	v_addc_co_u32_e32 v7, vcc, 0, v3, vcc
	flat_load_dword v5, v[6:7]
.LBB3555_9:
	s_or_b64 exec, exec, s[6:7]
	v_or_b32_e32 v6, 0x100, v0
	v_cmp_gt_u32_e32 vcc, s33, v6
	s_and_saveexec_b64 s[2:3], vcc
	s_cbranch_execz .LBB3555_11
; %bb.10:
	v_add_co_u32_e32 v6, vcc, v2, v1
	v_addc_co_u32_e32 v7, vcc, 0, v3, vcc
	flat_load_dword v4, v[6:7] offset:1024
.LBB3555_11:
	s_or_b64 exec, exec, s[2:3]
	v_or_b32_e32 v6, 0x200, v0
	v_cmp_gt_u32_e32 vcc, s33, v6
	v_mov_b32_e32 v6, 0
	v_mov_b32_e32 v7, 0
	s_and_saveexec_b64 s[2:3], vcc
	s_cbranch_execz .LBB3555_13
; %bb.12:
	v_add_co_u32_e32 v8, vcc, v2, v1
	v_addc_co_u32_e32 v9, vcc, 0, v3, vcc
	flat_load_dword v7, v[8:9] offset:2048
.LBB3555_13:
	s_or_b64 exec, exec, s[2:3]
	v_or_b32_e32 v8, 0x300, v0
	v_cmp_gt_u32_e32 vcc, s33, v8
	s_and_saveexec_b64 s[2:3], vcc
	s_cbranch_execz .LBB3555_15
; %bb.14:
	v_add_co_u32_e32 v8, vcc, v2, v1
	v_addc_co_u32_e32 v9, vcc, 0, v3, vcc
	flat_load_dword v6, v[8:9] offset:3072
.LBB3555_15:
	s_or_b64 exec, exec, s[2:3]
	v_or_b32_e32 v10, 0x400, v0
	v_cmp_gt_u32_e32 vcc, s33, v10
	v_mov_b32_e32 v8, 0
	v_mov_b32_e32 v9, 0
	s_and_saveexec_b64 s[2:3], vcc
	s_cbranch_execz .LBB3555_17
; %bb.16:
	v_lshlrev_b32_e32 v9, 2, v10
	v_add_co_u32_e32 v10, vcc, v2, v9
	v_addc_co_u32_e32 v11, vcc, 0, v3, vcc
	flat_load_dword v9, v[10:11]
.LBB3555_17:
	s_or_b64 exec, exec, s[2:3]
	v_or_b32_e32 v10, 0x500, v0
	v_cmp_gt_u32_e32 vcc, s33, v10
	s_and_saveexec_b64 s[2:3], vcc
	s_cbranch_execz .LBB3555_19
; %bb.18:
	v_lshlrev_b32_e32 v8, 2, v10
	v_add_co_u32_e32 v10, vcc, v2, v8
	v_addc_co_u32_e32 v11, vcc, 0, v3, vcc
	flat_load_dword v8, v[10:11]
.LBB3555_19:
	s_or_b64 exec, exec, s[2:3]
	v_or_b32_e32 v13, 0x600, v0
	v_cmp_gt_u32_e32 vcc, s33, v13
	v_mov_b32_e32 v10, 0
	v_mov_b32_e32 v11, 0
	s_and_saveexec_b64 s[2:3], vcc
	s_cbranch_execz .LBB3555_21
; %bb.20:
	v_lshlrev_b32_e32 v11, 2, v13
	v_add_co_u32_e32 v16, vcc, v2, v11
	v_addc_co_u32_e32 v17, vcc, 0, v3, vcc
	flat_load_dword v11, v[16:17]
.LBB3555_21:
	s_or_b64 exec, exec, s[2:3]
	v_or_b32_e32 v13, 0x700, v0
	v_cmp_gt_u32_e32 vcc, s33, v13
	s_and_saveexec_b64 s[2:3], vcc
	s_cbranch_execz .LBB3555_23
; %bb.22:
	v_lshlrev_b32_e32 v10, 2, v13
	v_add_co_u32_e32 v16, vcc, v2, v10
	v_addc_co_u32_e32 v17, vcc, 0, v3, vcc
	flat_load_dword v10, v[16:17]
.LBB3555_23:
	;; [unrolled: 24-line block ×3, first 2 shown]
	s_or_b64 exec, exec, s[2:3]
	s_waitcnt vmcnt(0) lgkmcnt(0)
	ds_write2st64_b32 v1, v5, v4 offset1:4
	ds_write2st64_b32 v1, v7, v6 offset0:8 offset1:12
	ds_write2st64_b32 v1, v9, v8 offset0:16 offset1:20
	;; [unrolled: 1-line block ×4, first 2 shown]
	s_waitcnt lgkmcnt(0)
	s_barrier
.LBB3555_28:
	v_mul_u32_u24_e32 v13, 10, v0
	v_lshlrev_b32_e32 v30, 2, v13
	ds_read2_b64 v[6:9], v30 offset1:1
	ds_read2_b64 v[2:5], v30 offset0:2 offset1:3
	ds_read_b64 v[16:17], v30 offset:32
	v_cndmask_b32_e64 v10, 0, 1, s[4:5]
	v_cmp_ne_u32_e64 s[2:3], 1, v10
	s_andn2_b64 vcc, exec, s[4:5]
	s_waitcnt lgkmcnt(2)
	v_cmp_le_i16_sdwa s[6:7], v6, v6 src0_sel:DWORD src1_sel:WORD_1
	v_cmp_le_i16_sdwa s[8:9], v7, v7 src0_sel:DWORD src1_sel:WORD_1
	;; [unrolled: 1-line block ×4, first 2 shown]
	s_waitcnt lgkmcnt(1)
	v_cmp_le_i16_sdwa s[14:15], v2, v2 src0_sel:DWORD src1_sel:WORD_1
	v_cmp_le_i16_sdwa s[16:17], v3, v3 src0_sel:DWORD src1_sel:WORD_1
	;; [unrolled: 1-line block ×4, first 2 shown]
	s_waitcnt lgkmcnt(0)
	v_cmp_le_i16_sdwa s[36:37], v16, v16 src0_sel:DWORD src1_sel:WORD_1
	v_cmp_le_i16_sdwa s[4:5], v17, v17 src0_sel:DWORD src1_sel:WORD_1
	s_barrier
	s_cbranch_vccnz .LBB3555_30
; %bb.29:
	v_cndmask_b32_e64 v11, 0, 1, s[8:9]
	v_cndmask_b32_e64 v10, 0, 1, s[6:7]
	;; [unrolled: 1-line block ×3, first 2 shown]
	v_lshlrev_b16_e32 v11, 8, v11
	v_cndmask_b32_e64 v18, 0, 1, s[10:11]
	v_or_b32_e32 v10, v10, v11
	v_lshlrev_b16_e32 v11, 8, v19
	v_cndmask_b32_e64 v21, 0, 1, s[16:17]
	v_cndmask_b32_e64 v23, 0, 1, s[24:25]
	v_or_b32_sdwa v11, v18, v11 dst_sel:WORD_1 dst_unused:UNUSED_PAD src0_sel:DWORD src1_sel:DWORD
	v_cndmask_b32_e64 v20, 0, 1, s[14:15]
	v_cndmask_b32_e64 v22, 0, 1, s[18:19]
	v_or_b32_sdwa v28, v10, v11 dst_sel:DWORD dst_unused:UNUSED_PAD src0_sel:WORD_0 src1_sel:DWORD
	v_lshlrev_b16_e32 v10, 8, v21
	v_lshlrev_b16_e32 v11, 8, v23
	v_or_b32_e32 v10, v20, v10
	v_or_b32_sdwa v11, v22, v11 dst_sel:WORD_1 dst_unused:UNUSED_PAD src0_sel:DWORD src1_sel:DWORD
	v_cndmask_b32_e64 v26, 0, 1, s[36:37]
	v_or_b32_sdwa v27, v10, v11 dst_sel:DWORD dst_unused:UNUSED_PAD src0_sel:WORD_0 src1_sel:DWORD
	s_and_b64 s[24:25], s[4:5], exec
	s_cbranch_execz .LBB3555_31
	s_branch .LBB3555_32
.LBB3555_30:
                                        ; implicit-def: $sgpr24_sgpr25
                                        ; implicit-def: $vgpr26
                                        ; implicit-def: $vgpr27
                                        ; implicit-def: $vgpr28
.LBB3555_31:
	v_cmp_gt_u32_e32 vcc, s33, v13
	v_cmp_le_i16_sdwa s[4:5], v6, v6 src0_sel:DWORD src1_sel:WORD_1
	v_or_b32_e32 v10, 1, v13
	s_and_b64 s[4:5], vcc, s[4:5]
	v_cndmask_b32_e64 v25, 0, 1, s[4:5]
	v_cmp_gt_u32_e32 vcc, s33, v10
	v_cmp_le_i16_sdwa s[4:5], v7, v7 src0_sel:DWORD src1_sel:WORD_1
	v_add_u32_e32 v11, 2, v13
	s_and_b64 s[4:5], vcc, s[4:5]
	v_cndmask_b32_e64 v10, 0, 1, s[4:5]
	v_cmp_gt_u32_e32 vcc, s33, v11
	v_cmp_le_i16_sdwa s[4:5], v8, v8 src0_sel:DWORD src1_sel:WORD_1
	v_add_u32_e32 v18, 3, v13
	s_and_b64 s[4:5], vcc, s[4:5]
	v_cndmask_b32_e64 v11, 0, 1, s[4:5]
	v_cmp_gt_u32_e32 vcc, s33, v18
	v_cmp_le_i16_sdwa s[4:5], v9, v9 src0_sel:DWORD src1_sel:WORD_1
	v_add_u32_e32 v19, 4, v13
	s_and_b64 s[4:5], vcc, s[4:5]
	v_cndmask_b32_e64 v18, 0, 1, s[4:5]
	v_cmp_gt_u32_e32 vcc, s33, v19
	v_cmp_le_i16_sdwa s[4:5], v2, v2 src0_sel:DWORD src1_sel:WORD_1
	v_add_u32_e32 v20, 5, v13
	s_and_b64 s[4:5], vcc, s[4:5]
	v_cndmask_b32_e64 v19, 0, 1, s[4:5]
	v_cmp_gt_u32_e32 vcc, s33, v20
	v_cmp_le_i16_sdwa s[4:5], v3, v3 src0_sel:DWORD src1_sel:WORD_1
	v_add_u32_e32 v21, 6, v13
	s_and_b64 s[4:5], vcc, s[4:5]
	v_cndmask_b32_e64 v20, 0, 1, s[4:5]
	v_cmp_gt_u32_e32 vcc, s33, v21
	v_cmp_le_i16_sdwa s[4:5], v4, v4 src0_sel:DWORD src1_sel:WORD_1
	v_add_u32_e32 v22, 7, v13
	s_and_b64 s[4:5], vcc, s[4:5]
	v_cndmask_b32_e64 v21, 0, 1, s[4:5]
	v_cmp_gt_u32_e32 vcc, s33, v22
	v_cmp_le_i16_sdwa s[4:5], v5, v5 src0_sel:DWORD src1_sel:WORD_1
	v_add_u32_e32 v23, 8, v13
	s_and_b64 s[4:5], vcc, s[4:5]
	v_cndmask_b32_e64 v22, 0, 1, s[4:5]
	v_cmp_gt_u32_e32 vcc, s33, v23
	v_cmp_le_i16_sdwa s[4:5], v16, v16 src0_sel:DWORD src1_sel:WORD_1
	v_add_u32_e32 v24, 9, v13
	s_and_b64 s[4:5], vcc, s[4:5]
	v_lshlrev_b16_e32 v10, 8, v10
	v_lshlrev_b16_e32 v18, 8, v18
	v_cndmask_b32_e64 v26, 0, 1, s[4:5]
	v_cmp_gt_u32_e32 vcc, s33, v24
	v_cmp_le_i16_sdwa s[4:5], v17, v17 src0_sel:DWORD src1_sel:WORD_1
	v_or_b32_e32 v10, v25, v10
	v_or_b32_sdwa v11, v11, v18 dst_sel:WORD_1 dst_unused:UNUSED_PAD src0_sel:DWORD src1_sel:DWORD
	s_and_b64 s[4:5], vcc, s[4:5]
	v_or_b32_sdwa v28, v10, v11 dst_sel:DWORD dst_unused:UNUSED_PAD src0_sel:WORD_0 src1_sel:DWORD
	v_lshlrev_b16_e32 v10, 8, v20
	v_lshlrev_b16_e32 v11, 8, v22
	v_or_b32_e32 v10, v19, v10
	v_or_b32_sdwa v11, v21, v11 dst_sel:WORD_1 dst_unused:UNUSED_PAD src0_sel:DWORD src1_sel:DWORD
	s_andn2_b64 s[6:7], s[24:25], exec
	s_and_b64 s[4:5], s[4:5], exec
	v_or_b32_sdwa v27, v10, v11 dst_sel:DWORD dst_unused:UNUSED_PAD src0_sel:WORD_0 src1_sel:DWORD
	s_or_b64 s[24:25], s[6:7], s[4:5]
.LBB3555_32:
	v_cndmask_b32_e64 v10, 0, 1, s[24:25]
	v_bfe_u32 v32, v28, 8, 8
	v_bfe_u32 v33, v28, 16, 8
	v_add_u32_sdwa v10, v28, v10 dst_sel:DWORD dst_unused:UNUSED_PAD src0_sel:BYTE_0 src1_sel:DWORD
	v_lshrrev_b32_e32 v31, 24, v28
	v_and_b32_e32 v34, 0xff, v27
	v_add3_u32 v10, v10, v32, v33
	v_bfe_u32 v35, v27, 8, 8
	v_bfe_u32 v36, v27, 16, 8
	v_add3_u32 v10, v10, v31, v34
	v_lshrrev_b32_e32 v29, 24, v27
	v_and_b32_e32 v37, 0xff, v26
	v_add3_u32 v10, v10, v35, v36
	v_add3_u32 v40, v10, v29, v37
	v_mbcnt_lo_u32_b32 v10, -1, 0
	v_mbcnt_hi_u32_b32 v38, -1, v10
	v_and_b32_e32 v10, 15, v38
	v_cmp_eq_u32_e64 s[16:17], 0, v10
	v_cmp_lt_u32_e64 s[14:15], 1, v10
	v_cmp_lt_u32_e64 s[12:13], 3, v10
	;; [unrolled: 1-line block ×3, first 2 shown]
	v_and_b32_e32 v10, 16, v38
	v_cmp_eq_u32_e64 s[8:9], 0, v10
	v_or_b32_e32 v10, 63, v0
	s_cmp_lg_u32 s42, 0
	v_cmp_lt_u32_e64 s[4:5], 31, v38
	v_lshrrev_b32_e32 v39, 6, v0
	v_cmp_eq_u32_e64 s[6:7], v10, v0
	s_cbranch_scc0 .LBB3555_59
; %bb.33:
	v_mov_b32_dpp v10, v40 row_shr:1 row_mask:0xf bank_mask:0xf
	v_cndmask_b32_e64 v10, v10, 0, s[16:17]
	v_add_u32_e32 v10, v10, v40
	s_nop 1
	v_mov_b32_dpp v11, v10 row_shr:2 row_mask:0xf bank_mask:0xf
	v_cndmask_b32_e64 v11, 0, v11, s[14:15]
	v_add_u32_e32 v10, v10, v11
	s_nop 1
	;; [unrolled: 4-line block ×4, first 2 shown]
	v_mov_b32_dpp v11, v10 row_bcast:15 row_mask:0xf bank_mask:0xf
	v_cndmask_b32_e64 v11, v11, 0, s[8:9]
	v_add_u32_e32 v10, v10, v11
	s_nop 1
	v_mov_b32_dpp v11, v10 row_bcast:31 row_mask:0xf bank_mask:0xf
	v_cndmask_b32_e64 v11, 0, v11, s[4:5]
	v_add_u32_e32 v10, v10, v11
	s_and_saveexec_b64 s[18:19], s[6:7]
	s_cbranch_execz .LBB3555_35
; %bb.34:
	v_lshlrev_b32_e32 v11, 2, v39
	ds_write_b32 v11, v10
.LBB3555_35:
	s_or_b64 exec, exec, s[18:19]
	v_cmp_gt_u32_e32 vcc, 4, v0
	s_waitcnt lgkmcnt(0)
	s_barrier
	s_and_saveexec_b64 s[18:19], vcc
	s_cbranch_execz .LBB3555_37
; %bb.36:
	ds_read_b32 v11, v1
	v_and_b32_e32 v18, 3, v38
	v_cmp_ne_u32_e32 vcc, 0, v18
	s_waitcnt lgkmcnt(0)
	v_mov_b32_dpp v19, v11 row_shr:1 row_mask:0xf bank_mask:0xf
	v_cndmask_b32_e32 v19, 0, v19, vcc
	v_add_u32_e32 v11, v19, v11
	v_cmp_lt_u32_e32 vcc, 1, v18
	s_nop 0
	v_mov_b32_dpp v19, v11 row_shr:2 row_mask:0xf bank_mask:0xf
	v_cndmask_b32_e32 v18, 0, v19, vcc
	v_add_u32_e32 v11, v11, v18
	ds_write_b32 v1, v11
.LBB3555_37:
	s_or_b64 exec, exec, s[18:19]
	v_cmp_gt_u32_e32 vcc, 64, v0
	v_cmp_lt_u32_e64 s[18:19], 63, v0
	s_waitcnt lgkmcnt(0)
	s_barrier
	s_waitcnt lgkmcnt(0)
                                        ; implicit-def: $vgpr41
	s_and_saveexec_b64 s[36:37], s[18:19]
	s_cbranch_execz .LBB3555_39
; %bb.38:
	v_lshl_add_u32 v11, v39, 2, -4
	ds_read_b32 v41, v11
	s_waitcnt lgkmcnt(0)
	v_add_u32_e32 v10, v41, v10
.LBB3555_39:
	s_or_b64 exec, exec, s[36:37]
	v_add_u32_e32 v11, -1, v38
	v_and_b32_e32 v18, 64, v38
	v_cmp_lt_i32_e64 s[18:19], v11, v18
	v_cndmask_b32_e64 v11, v11, v38, s[18:19]
	v_lshlrev_b32_e32 v11, 2, v11
	ds_bpermute_b32 v42, v11, v10
	v_cmp_eq_u32_e64 s[18:19], 0, v38
	s_and_saveexec_b64 s[36:37], vcc
	s_cbranch_execz .LBB3555_58
; %bb.40:
	v_mov_b32_e32 v23, 0
	ds_read_b32 v10, v23 offset:12
	s_and_saveexec_b64 s[38:39], s[18:19]
	s_cbranch_execz .LBB3555_42
; %bb.41:
	s_add_i32 s40, s42, 64
	s_mov_b32 s41, 0
	s_lshl_b64 s[40:41], s[40:41], 3
	s_add_u32 s40, s34, s40
	v_mov_b32_e32 v11, 1
	s_addc_u32 s41, s35, s41
	s_waitcnt lgkmcnt(0)
	global_store_dwordx2 v23, v[10:11], s[40:41]
.LBB3555_42:
	s_or_b64 exec, exec, s[38:39]
	v_xad_u32 v18, v38, -1, s42
	v_add_u32_e32 v22, 64, v18
	v_lshlrev_b64 v[20:21], 3, v[22:23]
	v_mov_b32_e32 v11, s35
	v_add_co_u32_e32 v24, vcc, s34, v20
	v_addc_co_u32_e32 v25, vcc, v11, v21, vcc
	global_load_dwordx2 v[20:21], v[24:25], off glc
	s_waitcnt vmcnt(0)
	v_cmp_eq_u16_sdwa s[40:41], v21, v23 src0_sel:BYTE_0 src1_sel:DWORD
	s_and_saveexec_b64 s[38:39], s[40:41]
	s_cbranch_execz .LBB3555_46
; %bb.43:
	s_mov_b64 s[40:41], 0
	v_mov_b32_e32 v11, 0
.LBB3555_44:                            ; =>This Inner Loop Header: Depth=1
	global_load_dwordx2 v[20:21], v[24:25], off glc
	s_waitcnt vmcnt(0)
	v_cmp_ne_u16_sdwa s[44:45], v21, v11 src0_sel:BYTE_0 src1_sel:DWORD
	s_or_b64 s[40:41], s[44:45], s[40:41]
	s_andn2_b64 exec, exec, s[40:41]
	s_cbranch_execnz .LBB3555_44
; %bb.45:
	s_or_b64 exec, exec, s[40:41]
.LBB3555_46:
	s_or_b64 exec, exec, s[38:39]
	v_and_b32_e32 v44, 63, v38
	v_mov_b32_e32 v43, 2
	v_cmp_ne_u32_e32 vcc, 63, v44
	v_cmp_eq_u16_sdwa s[38:39], v21, v43 src0_sel:BYTE_0 src1_sel:DWORD
	v_lshlrev_b64 v[22:23], v38, -1
	v_addc_co_u32_e32 v24, vcc, 0, v38, vcc
	v_and_b32_e32 v11, s39, v23
	v_lshlrev_b32_e32 v45, 2, v24
	v_or_b32_e32 v11, 0x80000000, v11
	ds_bpermute_b32 v24, v45, v20
	v_and_b32_e32 v19, s38, v22
	v_ffbl_b32_e32 v11, v11
	v_add_u32_e32 v11, 32, v11
	v_ffbl_b32_e32 v19, v19
	v_min_u32_e32 v11, v19, v11
	v_cmp_lt_u32_e32 vcc, v44, v11
	s_waitcnt lgkmcnt(0)
	v_cndmask_b32_e32 v19, 0, v24, vcc
	v_cmp_gt_u32_e32 vcc, 62, v44
	v_add_u32_e32 v19, v19, v20
	v_cndmask_b32_e64 v20, 0, 1, vcc
	v_lshlrev_b32_e32 v20, 1, v20
	v_add_lshl_u32 v46, v20, v38, 2
	ds_bpermute_b32 v20, v46, v19
	v_add_u32_e32 v47, 2, v44
	v_cmp_le_u32_e32 vcc, v47, v11
	v_add_u32_e32 v49, 4, v44
	v_add_u32_e32 v51, 8, v44
	s_waitcnt lgkmcnt(0)
	v_cndmask_b32_e32 v20, 0, v20, vcc
	v_cmp_gt_u32_e32 vcc, 60, v44
	v_add_u32_e32 v19, v19, v20
	v_cndmask_b32_e64 v20, 0, 1, vcc
	v_lshlrev_b32_e32 v20, 2, v20
	v_add_lshl_u32 v48, v20, v38, 2
	ds_bpermute_b32 v20, v48, v19
	v_cmp_le_u32_e32 vcc, v49, v11
	v_add_u32_e32 v53, 16, v44
	v_add_u32_e32 v55, 32, v44
	s_waitcnt lgkmcnt(0)
	v_cndmask_b32_e32 v20, 0, v20, vcc
	v_cmp_gt_u32_e32 vcc, 56, v44
	v_add_u32_e32 v19, v19, v20
	v_cndmask_b32_e64 v20, 0, 1, vcc
	v_lshlrev_b32_e32 v20, 3, v20
	v_add_lshl_u32 v50, v20, v38, 2
	ds_bpermute_b32 v20, v50, v19
	v_cmp_le_u32_e32 vcc, v51, v11
	s_waitcnt lgkmcnt(0)
	v_cndmask_b32_e32 v20, 0, v20, vcc
	v_cmp_gt_u32_e32 vcc, 48, v44
	v_add_u32_e32 v19, v19, v20
	v_cndmask_b32_e64 v20, 0, 1, vcc
	v_lshlrev_b32_e32 v20, 4, v20
	v_add_lshl_u32 v52, v20, v38, 2
	ds_bpermute_b32 v20, v52, v19
	v_cmp_le_u32_e32 vcc, v53, v11
	;; [unrolled: 9-line block ×3, first 2 shown]
	s_waitcnt lgkmcnt(0)
	v_cndmask_b32_e32 v11, 0, v20, vcc
	v_add_u32_e32 v20, v19, v11
	v_mov_b32_e32 v19, 0
	s_branch .LBB3555_48
.LBB3555_47:                            ;   in Loop: Header=BB3555_48 Depth=1
	s_or_b64 exec, exec, s[38:39]
	v_cmp_eq_u16_sdwa s[38:39], v21, v43 src0_sel:BYTE_0 src1_sel:DWORD
	v_and_b32_e32 v24, s39, v23
	v_or_b32_e32 v24, 0x80000000, v24
	ds_bpermute_b32 v56, v45, v20
	v_and_b32_e32 v25, s38, v22
	v_ffbl_b32_e32 v24, v24
	v_add_u32_e32 v24, 32, v24
	v_ffbl_b32_e32 v25, v25
	v_min_u32_e32 v24, v25, v24
	v_cmp_lt_u32_e32 vcc, v44, v24
	s_waitcnt lgkmcnt(0)
	v_cndmask_b32_e32 v25, 0, v56, vcc
	v_add_u32_e32 v20, v25, v20
	ds_bpermute_b32 v25, v46, v20
	v_cmp_le_u32_e32 vcc, v47, v24
	v_subrev_u32_e32 v18, 64, v18
	s_waitcnt lgkmcnt(0)
	v_cndmask_b32_e32 v25, 0, v25, vcc
	v_add_u32_e32 v20, v20, v25
	ds_bpermute_b32 v25, v48, v20
	v_cmp_le_u32_e32 vcc, v49, v24
	s_waitcnt lgkmcnt(0)
	v_cndmask_b32_e32 v25, 0, v25, vcc
	v_add_u32_e32 v20, v20, v25
	ds_bpermute_b32 v25, v50, v20
	v_cmp_le_u32_e32 vcc, v51, v24
	;; [unrolled: 5-line block ×4, first 2 shown]
	s_waitcnt lgkmcnt(0)
	v_cndmask_b32_e32 v24, 0, v25, vcc
	v_add3_u32 v20, v24, v11, v20
.LBB3555_48:                            ; =>This Loop Header: Depth=1
                                        ;     Child Loop BB3555_51 Depth 2
	v_cmp_ne_u16_sdwa s[38:39], v21, v43 src0_sel:BYTE_0 src1_sel:DWORD
	v_cndmask_b32_e64 v11, 0, 1, s[38:39]
	;;#ASMSTART
	;;#ASMEND
	v_cmp_ne_u32_e32 vcc, 0, v11
	s_cmp_lg_u64 vcc, exec
	v_mov_b32_e32 v11, v20
	s_cbranch_scc1 .LBB3555_53
; %bb.49:                               ;   in Loop: Header=BB3555_48 Depth=1
	v_lshlrev_b64 v[20:21], 3, v[18:19]
	v_mov_b32_e32 v25, s35
	v_add_co_u32_e32 v24, vcc, s34, v20
	v_addc_co_u32_e32 v25, vcc, v25, v21, vcc
	global_load_dwordx2 v[20:21], v[24:25], off glc
	s_waitcnt vmcnt(0)
	v_cmp_eq_u16_sdwa s[40:41], v21, v19 src0_sel:BYTE_0 src1_sel:DWORD
	s_and_saveexec_b64 s[38:39], s[40:41]
	s_cbranch_execz .LBB3555_47
; %bb.50:                               ;   in Loop: Header=BB3555_48 Depth=1
	s_mov_b64 s[40:41], 0
.LBB3555_51:                            ;   Parent Loop BB3555_48 Depth=1
                                        ; =>  This Inner Loop Header: Depth=2
	global_load_dwordx2 v[20:21], v[24:25], off glc
	s_waitcnt vmcnt(0)
	v_cmp_ne_u16_sdwa s[44:45], v21, v19 src0_sel:BYTE_0 src1_sel:DWORD
	s_or_b64 s[40:41], s[44:45], s[40:41]
	s_andn2_b64 exec, exec, s[40:41]
	s_cbranch_execnz .LBB3555_51
; %bb.52:                               ;   in Loop: Header=BB3555_48 Depth=1
	s_or_b64 exec, exec, s[40:41]
	s_branch .LBB3555_47
.LBB3555_53:                            ;   in Loop: Header=BB3555_48 Depth=1
                                        ; implicit-def: $vgpr20
                                        ; implicit-def: $vgpr21
	s_cbranch_execz .LBB3555_48
; %bb.54:
	s_and_saveexec_b64 s[38:39], s[18:19]
	s_cbranch_execz .LBB3555_56
; %bb.55:
	s_add_i32 s40, s42, 64
	s_mov_b32 s41, 0
	s_lshl_b64 s[40:41], s[40:41], 3
	s_add_u32 s40, s34, s40
	v_add_u32_e32 v18, v11, v10
	v_mov_b32_e32 v19, 2
	s_addc_u32 s41, s35, s41
	v_mov_b32_e32 v20, 0
	global_store_dwordx2 v20, v[18:19], s[40:41]
	ds_write_b64 v20, v[10:11] offset:10240
.LBB3555_56:
	s_or_b64 exec, exec, s[38:39]
	s_and_b64 exec, exec, s[0:1]
	s_cbranch_execz .LBB3555_58
; %bb.57:
	v_mov_b32_e32 v10, 0
	ds_write_b32 v10, v11 offset:12
.LBB3555_58:
	s_or_b64 exec, exec, s[36:37]
	v_mov_b32_e32 v10, 0
	s_waitcnt lgkmcnt(0)
	s_barrier
	ds_read_b32 v11, v10 offset:12
	v_cndmask_b32_e64 v18, v42, v41, s[18:19]
	v_cndmask_b32_e64 v18, v18, 0, s[0:1]
	s_waitcnt lgkmcnt(0)
	s_barrier
	v_add_u32_e32 v42, v11, v18
	v_add_u32_sdwa v41, v42, v28 dst_sel:DWORD dst_unused:UNUSED_PAD src0_sel:DWORD src1_sel:BYTE_0
	v_add_u32_e32 v25, v41, v32
	v_add_u32_e32 v24, v25, v33
	;; [unrolled: 1-line block ×4, first 2 shown]
	ds_read_b64 v[10:11], v10 offset:10240
	v_add_u32_e32 v21, v22, v35
	v_add_u32_e32 v20, v21, v36
	;; [unrolled: 1-line block ×4, first 2 shown]
	s_branch .LBB3555_69
.LBB3555_59:
                                        ; implicit-def: $vgpr11
                                        ; implicit-def: $vgpr18
                                        ; implicit-def: $vgpr19
                                        ; implicit-def: $vgpr20
                                        ; implicit-def: $vgpr21
                                        ; implicit-def: $vgpr22
                                        ; implicit-def: $vgpr23
                                        ; implicit-def: $vgpr24
                                        ; implicit-def: $vgpr25
                                        ; implicit-def: $vgpr41
                                        ; implicit-def: $vgpr42
	s_cbranch_execz .LBB3555_69
; %bb.60:
	s_waitcnt lgkmcnt(0)
	v_mov_b32_dpp v10, v40 row_shr:1 row_mask:0xf bank_mask:0xf
	v_cndmask_b32_e64 v10, v10, 0, s[16:17]
	v_add_u32_e32 v10, v10, v40
	s_nop 1
	v_mov_b32_dpp v11, v10 row_shr:2 row_mask:0xf bank_mask:0xf
	v_cndmask_b32_e64 v11, 0, v11, s[14:15]
	v_add_u32_e32 v10, v10, v11
	s_nop 1
	;; [unrolled: 4-line block ×4, first 2 shown]
	v_mov_b32_dpp v11, v10 row_bcast:15 row_mask:0xf bank_mask:0xf
	v_cndmask_b32_e64 v11, v11, 0, s[8:9]
	v_add_u32_e32 v10, v10, v11
	s_nop 1
	v_mov_b32_dpp v11, v10 row_bcast:31 row_mask:0xf bank_mask:0xf
	v_cndmask_b32_e64 v11, 0, v11, s[4:5]
	v_add_u32_e32 v10, v10, v11
	s_and_saveexec_b64 s[4:5], s[6:7]
	s_cbranch_execz .LBB3555_62
; %bb.61:
	v_lshlrev_b32_e32 v11, 2, v39
	ds_write_b32 v11, v10
.LBB3555_62:
	s_or_b64 exec, exec, s[4:5]
	v_cmp_gt_u32_e32 vcc, 4, v0
	s_waitcnt lgkmcnt(0)
	s_barrier
	s_and_saveexec_b64 s[4:5], vcc
	s_cbranch_execz .LBB3555_64
; %bb.63:
	s_movk_i32 s6, 0xffdc
	v_mad_i32_i24 v11, v0, s6, v30
	ds_read_b32 v18, v11
	v_and_b32_e32 v19, 3, v38
	v_cmp_ne_u32_e32 vcc, 0, v19
	s_waitcnt lgkmcnt(0)
	v_mov_b32_dpp v20, v18 row_shr:1 row_mask:0xf bank_mask:0xf
	v_cndmask_b32_e32 v20, 0, v20, vcc
	v_add_u32_e32 v18, v20, v18
	v_cmp_lt_u32_e32 vcc, 1, v19
	s_nop 0
	v_mov_b32_dpp v20, v18 row_shr:2 row_mask:0xf bank_mask:0xf
	v_cndmask_b32_e32 v19, 0, v20, vcc
	v_add_u32_e32 v18, v18, v19
	ds_write_b32 v11, v18
.LBB3555_64:
	s_or_b64 exec, exec, s[4:5]
	v_cmp_lt_u32_e32 vcc, 63, v0
	v_mov_b32_e32 v11, 0
	v_mov_b32_e32 v18, 0
	s_waitcnt lgkmcnt(0)
	s_barrier
	s_and_saveexec_b64 s[4:5], vcc
	s_cbranch_execz .LBB3555_66
; %bb.65:
	v_lshl_add_u32 v18, v39, 2, -4
	ds_read_b32 v18, v18
.LBB3555_66:
	s_or_b64 exec, exec, s[4:5]
	v_add_u32_e32 v19, -1, v38
	v_and_b32_e32 v20, 64, v38
	v_cmp_lt_i32_e32 vcc, v19, v20
	v_cndmask_b32_e32 v19, v19, v38, vcc
	s_waitcnt lgkmcnt(0)
	v_add_u32_e32 v10, v18, v10
	v_lshlrev_b32_e32 v19, 2, v19
	ds_bpermute_b32 v19, v19, v10
	ds_read_b32 v10, v11 offset:12
	s_and_saveexec_b64 s[4:5], s[0:1]
	s_cbranch_execz .LBB3555_68
; %bb.67:
	v_mov_b32_e32 v20, 0
	v_mov_b32_e32 v11, 2
	s_waitcnt lgkmcnt(0)
	global_store_dwordx2 v20, v[10:11], s[34:35] offset:512
.LBB3555_68:
	s_or_b64 exec, exec, s[4:5]
	v_cmp_eq_u32_e32 vcc, 0, v38
	s_waitcnt lgkmcnt(1)
	v_cndmask_b32_e32 v18, v19, v18, vcc
	v_cndmask_b32_e64 v42, v18, 0, s[0:1]
	v_add_u32_sdwa v41, v42, v28 dst_sel:DWORD dst_unused:UNUSED_PAD src0_sel:DWORD src1_sel:BYTE_0
	v_add_u32_e32 v25, v41, v32
	v_add_u32_e32 v24, v25, v33
	;; [unrolled: 1-line block ×7, first 2 shown]
	v_mov_b32_e32 v11, 0
	v_add_u32_e32 v18, v19, v37
	s_waitcnt lgkmcnt(0)
	s_barrier
.LBB3555_69:
	s_waitcnt lgkmcnt(0)
	v_add_u32_e32 v13, v10, v13
	v_sub_u32_e32 v33, v42, v11
	v_and_b32_e32 v35, 1, v28
	v_sub_u32_e32 v34, v13, v33
	v_cmp_eq_u32_e32 vcc, 1, v35
	v_cndmask_b32_e32 v33, v34, v33, vcc
	v_lshlrev_b32_e32 v33, 2, v33
	v_lshrrev_b32_e32 v32, 8, v28
	ds_write_b32 v33, v6
	v_sub_u32_e32 v6, v41, v11
	v_sub_u32_e32 v33, v13, v6
	v_and_b32_e32 v32, 1, v32
	v_add_u32_e32 v33, 1, v33
	v_cmp_eq_u32_e32 vcc, 1, v32
	v_cndmask_b32_e32 v6, v33, v6, vcc
	v_lshlrev_b32_e32 v6, 2, v6
	ds_write_b32 v6, v7
	v_sub_u32_e32 v6, v25, v11
	v_mov_b32_e32 v25, 1
	v_sub_u32_e32 v7, v13, v6
	v_and_b32_sdwa v28, v25, v28 dst_sel:DWORD dst_unused:UNUSED_PAD src0_sel:DWORD src1_sel:WORD_1
	v_add_u32_e32 v7, 2, v7
	v_cmp_eq_u32_e32 vcc, 1, v28
	v_cndmask_b32_e32 v6, v7, v6, vcc
	v_lshlrev_b32_e32 v6, 2, v6
	ds_write_b32 v6, v8
	v_sub_u32_e32 v6, v24, v11
	v_sub_u32_e32 v7, v13, v6
	v_and_b32_e32 v8, 1, v31
	v_add_u32_e32 v7, 3, v7
	v_cmp_eq_u32_e32 vcc, 1, v8
	v_cndmask_b32_e32 v6, v7, v6, vcc
	v_lshlrev_b32_e32 v6, 2, v6
	ds_write_b32 v6, v9
	v_sub_u32_e32 v6, v23, v11
	v_sub_u32_e32 v7, v13, v6
	v_and_b32_e32 v8, 1, v27
	v_add_u32_e32 v7, 4, v7
	v_cmp_eq_u32_e32 vcc, 1, v8
	v_cndmask_b32_e32 v6, v7, v6, vcc
	v_lshlrev_b32_e32 v6, 2, v6
	v_lshrrev_b32_e32 v30, 8, v27
	ds_write_b32 v6, v2
	v_sub_u32_e32 v2, v22, v11
	v_sub_u32_e32 v6, v13, v2
	v_and_b32_e32 v7, 1, v30
	v_add_u32_e32 v6, 5, v6
	v_cmp_eq_u32_e32 vcc, 1, v7
	v_cndmask_b32_e32 v2, v6, v2, vcc
	v_lshlrev_b32_e32 v2, 2, v2
	ds_write_b32 v2, v3
	v_sub_u32_e32 v2, v21, v11
	v_sub_u32_e32 v3, v13, v2
	v_and_b32_sdwa v6, v25, v27 dst_sel:DWORD dst_unused:UNUSED_PAD src0_sel:DWORD src1_sel:WORD_1
	v_add_u32_e32 v3, 6, v3
	v_cmp_eq_u32_e32 vcc, 1, v6
	v_cndmask_b32_e32 v2, v3, v2, vcc
	v_lshlrev_b32_e32 v2, 2, v2
	ds_write_b32 v2, v4
	v_sub_u32_e32 v2, v20, v11
	v_sub_u32_e32 v3, v13, v2
	v_and_b32_e32 v4, 1, v29
	v_add_u32_e32 v3, 7, v3
	v_cmp_eq_u32_e32 vcc, 1, v4
	v_cndmask_b32_e32 v2, v3, v2, vcc
	v_lshlrev_b32_e32 v2, 2, v2
	ds_write_b32 v2, v5
	v_sub_u32_e32 v2, v19, v11
	v_sub_u32_e32 v3, v13, v2
	v_and_b32_e32 v4, 1, v26
	v_add_u32_e32 v3, 8, v3
	v_cmp_eq_u32_e32 vcc, 1, v4
	v_cndmask_b32_e32 v2, v3, v2, vcc
	v_lshlrev_b32_e32 v2, 2, v2
	ds_write_b32 v2, v16
	v_sub_u32_e32 v2, v18, v11
	v_sub_u32_e32 v3, v13, v2
	v_add_u32_e32 v3, 9, v3
	v_cndmask_b32_e64 v2, v3, v2, s[24:25]
	v_lshlrev_b32_e32 v2, 2, v2
	ds_write_b32 v2, v17
	s_waitcnt lgkmcnt(0)
	s_barrier
	ds_read2st64_b32 v[16:17], v1 offset1:4
	ds_read2st64_b32 v[8:9], v1 offset0:8 offset1:12
	ds_read2st64_b32 v[6:7], v1 offset0:16 offset1:20
	;; [unrolled: 1-line block ×4, first 2 shown]
	s_waitcnt vmcnt(0)
	v_add_co_u32_e32 v1, vcc, v14, v11
	v_addc_co_u32_e32 v11, vcc, 0, v15, vcc
	v_mov_b32_e32 v13, s27
	v_add_co_u32_e32 v12, vcc, s26, v12
	v_addc_co_u32_e32 v13, vcc, 0, v13, vcc
	v_mov_b32_e32 v14, s31
	v_sub_co_u32_e32 v12, vcc, s30, v12
	v_subb_co_u32_e32 v13, vcc, v14, v13, vcc
	v_add_co_u32_e32 v12, vcc, v12, v10
	v_addc_co_u32_e32 v13, vcc, 0, v13, vcc
	s_and_b64 vcc, exec, s[2:3]
	v_add_co_u32_e64 v14, s[2:3], v12, v1
	v_or_b32_e32 v26, 0x100, v0
	v_or_b32_e32 v25, 0x200, v0
	;; [unrolled: 1-line block ×9, first 2 shown]
	v_addc_co_u32_e64 v15, s[2:3], v13, v11, s[2:3]
	s_cbranch_vccnz .LBB3555_114
; %bb.70:
	v_cmp_ge_u32_e32 vcc, v0, v10
                                        ; implicit-def: $vgpr12_vgpr13
	s_and_saveexec_b64 s[2:3], vcc
	s_xor_b64 s[2:3], exec, s[2:3]
; %bb.71:
	v_not_b32_e32 v12, v0
	v_ashrrev_i32_e32 v13, 31, v12
	v_add_co_u32_e32 v12, vcc, v14, v12
	v_addc_co_u32_e32 v13, vcc, v15, v13, vcc
; %bb.72:
	s_andn2_saveexec_b64 s[2:3], s[2:3]
; %bb.73:
	v_add_co_u32_e32 v12, vcc, v1, v0
	v_addc_co_u32_e32 v13, vcc, 0, v11, vcc
; %bb.74:
	s_or_b64 exec, exec, s[2:3]
	v_lshlrev_b64 v[12:13], 2, v[12:13]
	v_mov_b32_e32 v27, s29
	v_add_co_u32_e32 v12, vcc, s28, v12
	v_addc_co_u32_e32 v13, vcc, v27, v13, vcc
	v_cmp_ge_u32_e32 vcc, v26, v10
	s_waitcnt lgkmcnt(4)
	global_store_dword v[12:13], v16, off
                                        ; implicit-def: $vgpr12_vgpr13
	s_and_saveexec_b64 s[2:3], vcc
	s_xor_b64 s[2:3], exec, s[2:3]
; %bb.75:
	v_xor_b32_e32 v12, 0xfffffeff, v0
	v_ashrrev_i32_e32 v13, 31, v12
	v_add_co_u32_e32 v12, vcc, v14, v12
	v_addc_co_u32_e32 v13, vcc, v15, v13, vcc
; %bb.76:
	s_andn2_saveexec_b64 s[2:3], s[2:3]
; %bb.77:
	v_add_co_u32_e32 v12, vcc, v1, v26
	v_addc_co_u32_e32 v13, vcc, 0, v11, vcc
; %bb.78:
	s_or_b64 exec, exec, s[2:3]
	v_lshlrev_b64 v[12:13], 2, v[12:13]
	v_mov_b32_e32 v27, s29
	v_add_co_u32_e32 v12, vcc, s28, v12
	v_addc_co_u32_e32 v13, vcc, v27, v13, vcc
	v_cmp_ge_u32_e32 vcc, v25, v10
	global_store_dword v[12:13], v17, off
                                        ; implicit-def: $vgpr12_vgpr13
	s_and_saveexec_b64 s[2:3], vcc
	s_xor_b64 s[2:3], exec, s[2:3]
; %bb.79:
	v_xor_b32_e32 v12, 0xfffffdff, v0
	v_ashrrev_i32_e32 v13, 31, v12
	v_add_co_u32_e32 v12, vcc, v14, v12
	v_addc_co_u32_e32 v13, vcc, v15, v13, vcc
; %bb.80:
	s_andn2_saveexec_b64 s[2:3], s[2:3]
; %bb.81:
	v_add_co_u32_e32 v12, vcc, v1, v25
	v_addc_co_u32_e32 v13, vcc, 0, v11, vcc
; %bb.82:
	s_or_b64 exec, exec, s[2:3]
	v_lshlrev_b64 v[12:13], 2, v[12:13]
	v_mov_b32_e32 v27, s29
	v_add_co_u32_e32 v12, vcc, s28, v12
	v_addc_co_u32_e32 v13, vcc, v27, v13, vcc
	v_cmp_ge_u32_e32 vcc, v24, v10
	s_waitcnt lgkmcnt(3)
	global_store_dword v[12:13], v8, off
                                        ; implicit-def: $vgpr12_vgpr13
	s_and_saveexec_b64 s[2:3], vcc
	s_xor_b64 s[2:3], exec, s[2:3]
; %bb.83:
	v_xor_b32_e32 v12, 0xfffffcff, v0
	v_ashrrev_i32_e32 v13, 31, v12
	v_add_co_u32_e32 v12, vcc, v14, v12
	v_addc_co_u32_e32 v13, vcc, v15, v13, vcc
; %bb.84:
	s_andn2_saveexec_b64 s[2:3], s[2:3]
; %bb.85:
	v_add_co_u32_e32 v12, vcc, v1, v24
	v_addc_co_u32_e32 v13, vcc, 0, v11, vcc
; %bb.86:
	s_or_b64 exec, exec, s[2:3]
	v_lshlrev_b64 v[12:13], 2, v[12:13]
	v_mov_b32_e32 v27, s29
	v_add_co_u32_e32 v12, vcc, s28, v12
	v_addc_co_u32_e32 v13, vcc, v27, v13, vcc
	v_cmp_ge_u32_e32 vcc, v23, v10
	global_store_dword v[12:13], v9, off
                                        ; implicit-def: $vgpr12_vgpr13
	s_and_saveexec_b64 s[2:3], vcc
	s_xor_b64 s[2:3], exec, s[2:3]
; %bb.87:
	v_xor_b32_e32 v12, 0xfffffbff, v0
	;; [unrolled: 43-line block ×4, first 2 shown]
	v_ashrrev_i32_e32 v13, 31, v12
	v_add_co_u32_e32 v12, vcc, v14, v12
	v_addc_co_u32_e32 v13, vcc, v15, v13, vcc
; %bb.104:
	s_andn2_saveexec_b64 s[2:3], s[2:3]
; %bb.105:
	v_add_co_u32_e32 v12, vcc, v1, v19
	v_addc_co_u32_e32 v13, vcc, 0, v11, vcc
; %bb.106:
	s_or_b64 exec, exec, s[2:3]
	v_lshlrev_b64 v[12:13], 2, v[12:13]
	v_mov_b32_e32 v27, s29
	v_add_co_u32_e32 v12, vcc, s28, v12
	v_addc_co_u32_e32 v13, vcc, v27, v13, vcc
	v_cmp_ge_u32_e32 vcc, v18, v10
	s_waitcnt lgkmcnt(0)
	global_store_dword v[12:13], v2, off
                                        ; implicit-def: $vgpr12_vgpr13
	s_and_saveexec_b64 s[2:3], vcc
	s_xor_b64 s[2:3], exec, s[2:3]
; %bb.107:
	v_xor_b32_e32 v12, 0xfffff6ff, v0
	v_ashrrev_i32_e32 v13, 31, v12
	v_add_co_u32_e32 v12, vcc, v14, v12
	v_addc_co_u32_e32 v13, vcc, v15, v13, vcc
; %bb.108:
	s_andn2_saveexec_b64 s[2:3], s[2:3]
; %bb.109:
	v_add_co_u32_e32 v12, vcc, v1, v18
	v_addc_co_u32_e32 v13, vcc, 0, v11, vcc
; %bb.110:
	s_or_b64 exec, exec, s[2:3]
	s_mov_b64 s[2:3], -1
.LBB3555_111:
	s_and_saveexec_b64 s[4:5], s[2:3]
	s_cbranch_execz .LBB3555_142
.LBB3555_112:
	s_waitcnt lgkmcnt(1)
	v_lshlrev_b64 v[4:5], 2, v[12:13]
	v_mov_b32_e32 v0, s29
	v_add_co_u32_e32 v4, vcc, s28, v4
	v_addc_co_u32_e32 v5, vcc, v0, v5, vcc
	s_waitcnt lgkmcnt(0)
	global_store_dword v[4:5], v3, off
	s_or_b64 exec, exec, s[4:5]
	s_and_b64 s[0:1], s[0:1], s[22:23]
	s_and_saveexec_b64 s[2:3], s[0:1]
	s_cbranch_execnz .LBB3555_143
.LBB3555_113:
	s_endpgm
.LBB3555_114:
	s_mov_b64 s[2:3], 0
                                        ; implicit-def: $vgpr12_vgpr13
	s_cbranch_execz .LBB3555_111
; %bb.115:
	v_cmp_gt_u32_e32 vcc, s33, v0
	s_and_saveexec_b64 s[4:5], vcc
	s_cbranch_execz .LBB3555_144
; %bb.116:
	v_cmp_ge_u32_e32 vcc, v0, v10
                                        ; implicit-def: $vgpr12_vgpr13
	s_and_saveexec_b64 s[6:7], vcc
	s_xor_b64 s[6:7], exec, s[6:7]
; %bb.117:
	v_not_b32_e32 v12, v0
	v_ashrrev_i32_e32 v13, 31, v12
	v_add_co_u32_e32 v12, vcc, v14, v12
	v_addc_co_u32_e32 v13, vcc, v15, v13, vcc
; %bb.118:
	s_andn2_saveexec_b64 s[6:7], s[6:7]
; %bb.119:
	v_add_co_u32_e32 v12, vcc, v1, v0
	v_addc_co_u32_e32 v13, vcc, 0, v11, vcc
; %bb.120:
	s_or_b64 exec, exec, s[6:7]
	v_lshlrev_b64 v[12:13], 2, v[12:13]
	v_mov_b32_e32 v27, s29
	v_add_co_u32_e32 v12, vcc, s28, v12
	v_addc_co_u32_e32 v13, vcc, v27, v13, vcc
	s_waitcnt lgkmcnt(4)
	global_store_dword v[12:13], v16, off
	s_or_b64 exec, exec, s[4:5]
	v_cmp_gt_u32_e32 vcc, s33, v26
	s_and_saveexec_b64 s[4:5], vcc
	s_cbranch_execnz .LBB3555_145
.LBB3555_121:
	s_or_b64 exec, exec, s[4:5]
	v_cmp_gt_u32_e32 vcc, s33, v25
	s_and_saveexec_b64 s[4:5], vcc
	s_cbranch_execz .LBB3555_150
.LBB3555_122:
	v_cmp_ge_u32_e32 vcc, v25, v10
                                        ; implicit-def: $vgpr12_vgpr13
	s_and_saveexec_b64 s[6:7], vcc
	s_xor_b64 s[6:7], exec, s[6:7]
; %bb.123:
	v_xor_b32_e32 v12, 0xfffffdff, v0
	v_ashrrev_i32_e32 v13, 31, v12
	v_add_co_u32_e32 v12, vcc, v14, v12
	v_addc_co_u32_e32 v13, vcc, v15, v13, vcc
                                        ; implicit-def: $vgpr25
; %bb.124:
	s_andn2_saveexec_b64 s[6:7], s[6:7]
; %bb.125:
	v_add_co_u32_e32 v12, vcc, v1, v25
	v_addc_co_u32_e32 v13, vcc, 0, v11, vcc
; %bb.126:
	s_or_b64 exec, exec, s[6:7]
	v_lshlrev_b64 v[12:13], 2, v[12:13]
	s_waitcnt lgkmcnt(4)
	v_mov_b32_e32 v16, s29
	v_add_co_u32_e32 v12, vcc, s28, v12
	v_addc_co_u32_e32 v13, vcc, v16, v13, vcc
	s_waitcnt lgkmcnt(3)
	global_store_dword v[12:13], v8, off
	s_or_b64 exec, exec, s[4:5]
	v_cmp_gt_u32_e32 vcc, s33, v24
	s_and_saveexec_b64 s[4:5], vcc
	s_cbranch_execnz .LBB3555_151
.LBB3555_127:
	s_or_b64 exec, exec, s[4:5]
	v_cmp_gt_u32_e32 vcc, s33, v23
	s_and_saveexec_b64 s[4:5], vcc
	s_cbranch_execz .LBB3555_156
.LBB3555_128:
	v_cmp_ge_u32_e32 vcc, v23, v10
                                        ; implicit-def: $vgpr8_vgpr9
	s_and_saveexec_b64 s[6:7], vcc
	s_xor_b64 s[6:7], exec, s[6:7]
	s_cbranch_execz .LBB3555_130
; %bb.129:
	s_waitcnt lgkmcnt(3)
	v_xor_b32_e32 v8, 0xfffffbff, v0
	v_ashrrev_i32_e32 v9, 31, v8
	v_add_co_u32_e32 v8, vcc, v14, v8
	v_addc_co_u32_e32 v9, vcc, v15, v9, vcc
                                        ; implicit-def: $vgpr23
.LBB3555_130:
	s_andn2_saveexec_b64 s[6:7], s[6:7]
	s_cbranch_execz .LBB3555_132
; %bb.131:
	s_waitcnt lgkmcnt(3)
	v_add_co_u32_e32 v8, vcc, v1, v23
	v_addc_co_u32_e32 v9, vcc, 0, v11, vcc
.LBB3555_132:
	s_or_b64 exec, exec, s[6:7]
	s_waitcnt lgkmcnt(3)
	v_lshlrev_b64 v[8:9], 2, v[8:9]
	v_mov_b32_e32 v12, s29
	v_add_co_u32_e32 v8, vcc, s28, v8
	v_addc_co_u32_e32 v9, vcc, v12, v9, vcc
	s_waitcnt lgkmcnt(2)
	global_store_dword v[8:9], v6, off
	s_or_b64 exec, exec, s[4:5]
	v_cmp_gt_u32_e32 vcc, s33, v22
	s_and_saveexec_b64 s[4:5], vcc
	s_cbranch_execnz .LBB3555_157
.LBB3555_133:
	s_or_b64 exec, exec, s[4:5]
	v_cmp_gt_u32_e32 vcc, s33, v21
	s_and_saveexec_b64 s[4:5], vcc
	s_cbranch_execz .LBB3555_162
.LBB3555_134:
	v_cmp_ge_u32_e32 vcc, v21, v10
                                        ; implicit-def: $vgpr6_vgpr7
	s_and_saveexec_b64 s[6:7], vcc
	s_xor_b64 s[6:7], exec, s[6:7]
	s_cbranch_execz .LBB3555_136
; %bb.135:
	s_waitcnt lgkmcnt(2)
	v_xor_b32_e32 v6, 0xfffff9ff, v0
	v_ashrrev_i32_e32 v7, 31, v6
	v_add_co_u32_e32 v6, vcc, v14, v6
	v_addc_co_u32_e32 v7, vcc, v15, v7, vcc
                                        ; implicit-def: $vgpr21
.LBB3555_136:
	s_andn2_saveexec_b64 s[6:7], s[6:7]
	s_cbranch_execz .LBB3555_138
; %bb.137:
	s_waitcnt lgkmcnt(2)
	v_add_co_u32_e32 v6, vcc, v1, v21
	v_addc_co_u32_e32 v7, vcc, 0, v11, vcc
.LBB3555_138:
	s_or_b64 exec, exec, s[6:7]
	s_waitcnt lgkmcnt(2)
	v_lshlrev_b64 v[6:7], 2, v[6:7]
	v_mov_b32_e32 v8, s29
	v_add_co_u32_e32 v6, vcc, s28, v6
	v_addc_co_u32_e32 v7, vcc, v8, v7, vcc
	s_waitcnt lgkmcnt(1)
	global_store_dword v[6:7], v4, off
	s_or_b64 exec, exec, s[4:5]
	v_cmp_gt_u32_e32 vcc, s33, v20
	s_and_saveexec_b64 s[4:5], vcc
	s_cbranch_execnz .LBB3555_163
.LBB3555_139:
	s_or_b64 exec, exec, s[4:5]
	v_cmp_gt_u32_e32 vcc, s33, v19
	s_and_saveexec_b64 s[4:5], vcc
	s_cbranch_execnz .LBB3555_168
.LBB3555_140:
	s_or_b64 exec, exec, s[4:5]
	v_cmp_gt_u32_e32 vcc, s33, v18
                                        ; implicit-def: $vgpr12_vgpr13
	s_and_saveexec_b64 s[4:5], vcc
	s_cbranch_execnz .LBB3555_173
.LBB3555_141:
	s_or_b64 exec, exec, s[4:5]
	s_and_saveexec_b64 s[4:5], s[2:3]
	s_cbranch_execnz .LBB3555_112
.LBB3555_142:
	s_or_b64 exec, exec, s[4:5]
	s_and_b64 s[0:1], s[0:1], s[22:23]
	s_and_saveexec_b64 s[2:3], s[0:1]
	s_cbranch_execz .LBB3555_113
.LBB3555_143:
	v_add_co_u32_e32 v0, vcc, v1, v10
	s_waitcnt lgkmcnt(0)
	v_mov_b32_e32 v2, 0
	v_addc_co_u32_e32 v1, vcc, 0, v11, vcc
	global_store_dwordx2 v2, v[0:1], s[20:21]
	s_endpgm
.LBB3555_144:
	s_or_b64 exec, exec, s[4:5]
	v_cmp_gt_u32_e32 vcc, s33, v26
	s_and_saveexec_b64 s[4:5], vcc
	s_cbranch_execz .LBB3555_121
.LBB3555_145:
	v_cmp_ge_u32_e32 vcc, v26, v10
                                        ; implicit-def: $vgpr12_vgpr13
	s_and_saveexec_b64 s[6:7], vcc
	s_xor_b64 s[6:7], exec, s[6:7]
; %bb.146:
	v_xor_b32_e32 v12, 0xfffffeff, v0
	v_ashrrev_i32_e32 v13, 31, v12
	v_add_co_u32_e32 v12, vcc, v14, v12
	v_addc_co_u32_e32 v13, vcc, v15, v13, vcc
                                        ; implicit-def: $vgpr26
; %bb.147:
	s_andn2_saveexec_b64 s[6:7], s[6:7]
; %bb.148:
	v_add_co_u32_e32 v12, vcc, v1, v26
	v_addc_co_u32_e32 v13, vcc, 0, v11, vcc
; %bb.149:
	s_or_b64 exec, exec, s[6:7]
	v_lshlrev_b64 v[12:13], 2, v[12:13]
	s_waitcnt lgkmcnt(4)
	v_mov_b32_e32 v16, s29
	v_add_co_u32_e32 v12, vcc, s28, v12
	v_addc_co_u32_e32 v13, vcc, v16, v13, vcc
	global_store_dword v[12:13], v17, off
	s_or_b64 exec, exec, s[4:5]
	v_cmp_gt_u32_e32 vcc, s33, v25
	s_and_saveexec_b64 s[4:5], vcc
	s_cbranch_execnz .LBB3555_122
.LBB3555_150:
	s_or_b64 exec, exec, s[4:5]
	v_cmp_gt_u32_e32 vcc, s33, v24
	s_and_saveexec_b64 s[4:5], vcc
	s_cbranch_execz .LBB3555_127
.LBB3555_151:
	v_cmp_ge_u32_e32 vcc, v24, v10
                                        ; implicit-def: $vgpr12_vgpr13
	s_and_saveexec_b64 s[6:7], vcc
	s_xor_b64 s[6:7], exec, s[6:7]
	s_cbranch_execz .LBB3555_153
; %bb.152:
	s_waitcnt lgkmcnt(3)
	v_xor_b32_e32 v8, 0xfffffcff, v0
	v_ashrrev_i32_e32 v13, 31, v8
	v_add_co_u32_e32 v12, vcc, v14, v8
	v_addc_co_u32_e32 v13, vcc, v15, v13, vcc
                                        ; implicit-def: $vgpr24
.LBB3555_153:
	s_andn2_saveexec_b64 s[6:7], s[6:7]
; %bb.154:
	v_add_co_u32_e32 v12, vcc, v1, v24
	v_addc_co_u32_e32 v13, vcc, 0, v11, vcc
; %bb.155:
	s_or_b64 exec, exec, s[6:7]
	v_lshlrev_b64 v[12:13], 2, v[12:13]
	s_waitcnt lgkmcnt(3)
	v_mov_b32_e32 v8, s29
	v_add_co_u32_e32 v12, vcc, s28, v12
	v_addc_co_u32_e32 v13, vcc, v8, v13, vcc
	global_store_dword v[12:13], v9, off
	s_or_b64 exec, exec, s[4:5]
	v_cmp_gt_u32_e32 vcc, s33, v23
	s_and_saveexec_b64 s[4:5], vcc
	s_cbranch_execnz .LBB3555_128
.LBB3555_156:
	s_or_b64 exec, exec, s[4:5]
	v_cmp_gt_u32_e32 vcc, s33, v22
	s_and_saveexec_b64 s[4:5], vcc
	s_cbranch_execz .LBB3555_133
.LBB3555_157:
	v_cmp_ge_u32_e32 vcc, v22, v10
                                        ; implicit-def: $vgpr8_vgpr9
	s_and_saveexec_b64 s[6:7], vcc
	s_xor_b64 s[6:7], exec, s[6:7]
	s_cbranch_execz .LBB3555_159
; %bb.158:
	s_waitcnt lgkmcnt(2)
	v_xor_b32_e32 v6, 0xfffffaff, v0
	v_ashrrev_i32_e32 v9, 31, v6
	v_add_co_u32_e32 v8, vcc, v14, v6
	v_addc_co_u32_e32 v9, vcc, v15, v9, vcc
                                        ; implicit-def: $vgpr22
.LBB3555_159:
	s_andn2_saveexec_b64 s[6:7], s[6:7]
	s_cbranch_execz .LBB3555_161
; %bb.160:
	s_waitcnt lgkmcnt(3)
	v_add_co_u32_e32 v8, vcc, v1, v22
	v_addc_co_u32_e32 v9, vcc, 0, v11, vcc
.LBB3555_161:
	s_or_b64 exec, exec, s[6:7]
	s_waitcnt lgkmcnt(3)
	v_lshlrev_b64 v[8:9], 2, v[8:9]
	s_waitcnt lgkmcnt(2)
	v_mov_b32_e32 v6, s29
	v_add_co_u32_e32 v8, vcc, s28, v8
	v_addc_co_u32_e32 v9, vcc, v6, v9, vcc
	global_store_dword v[8:9], v7, off
	s_or_b64 exec, exec, s[4:5]
	v_cmp_gt_u32_e32 vcc, s33, v21
	s_and_saveexec_b64 s[4:5], vcc
	s_cbranch_execnz .LBB3555_134
.LBB3555_162:
	s_or_b64 exec, exec, s[4:5]
	v_cmp_gt_u32_e32 vcc, s33, v20
	s_and_saveexec_b64 s[4:5], vcc
	s_cbranch_execz .LBB3555_139
.LBB3555_163:
	v_cmp_ge_u32_e32 vcc, v20, v10
                                        ; implicit-def: $vgpr6_vgpr7
	s_and_saveexec_b64 s[6:7], vcc
	s_xor_b64 s[6:7], exec, s[6:7]
	s_cbranch_execz .LBB3555_165
; %bb.164:
	s_waitcnt lgkmcnt(1)
	v_xor_b32_e32 v4, 0xfffff8ff, v0
	v_ashrrev_i32_e32 v7, 31, v4
	v_add_co_u32_e32 v6, vcc, v14, v4
	v_addc_co_u32_e32 v7, vcc, v15, v7, vcc
                                        ; implicit-def: $vgpr20
.LBB3555_165:
	s_andn2_saveexec_b64 s[6:7], s[6:7]
	s_cbranch_execz .LBB3555_167
; %bb.166:
	s_waitcnt lgkmcnt(2)
	v_add_co_u32_e32 v6, vcc, v1, v20
	v_addc_co_u32_e32 v7, vcc, 0, v11, vcc
.LBB3555_167:
	s_or_b64 exec, exec, s[6:7]
	s_waitcnt lgkmcnt(2)
	v_lshlrev_b64 v[6:7], 2, v[6:7]
	s_waitcnt lgkmcnt(1)
	v_mov_b32_e32 v4, s29
	v_add_co_u32_e32 v6, vcc, s28, v6
	v_addc_co_u32_e32 v7, vcc, v4, v7, vcc
	global_store_dword v[6:7], v5, off
	s_or_b64 exec, exec, s[4:5]
	v_cmp_gt_u32_e32 vcc, s33, v19
	s_and_saveexec_b64 s[4:5], vcc
	s_cbranch_execz .LBB3555_140
.LBB3555_168:
	v_cmp_ge_u32_e32 vcc, v19, v10
                                        ; implicit-def: $vgpr4_vgpr5
	s_and_saveexec_b64 s[6:7], vcc
	s_xor_b64 s[6:7], exec, s[6:7]
	s_cbranch_execz .LBB3555_170
; %bb.169:
	s_waitcnt lgkmcnt(1)
	v_xor_b32_e32 v4, 0xfffff7ff, v0
	v_ashrrev_i32_e32 v5, 31, v4
	v_add_co_u32_e32 v4, vcc, v14, v4
	v_addc_co_u32_e32 v5, vcc, v15, v5, vcc
                                        ; implicit-def: $vgpr19
.LBB3555_170:
	s_andn2_saveexec_b64 s[6:7], s[6:7]
	s_cbranch_execz .LBB3555_172
; %bb.171:
	s_waitcnt lgkmcnt(1)
	v_add_co_u32_e32 v4, vcc, v1, v19
	v_addc_co_u32_e32 v5, vcc, 0, v11, vcc
.LBB3555_172:
	s_or_b64 exec, exec, s[6:7]
	s_waitcnt lgkmcnt(1)
	v_lshlrev_b64 v[4:5], 2, v[4:5]
	v_mov_b32_e32 v6, s29
	v_add_co_u32_e32 v4, vcc, s28, v4
	v_addc_co_u32_e32 v5, vcc, v6, v5, vcc
	s_waitcnt lgkmcnt(0)
	global_store_dword v[4:5], v2, off
	s_or_b64 exec, exec, s[4:5]
	v_cmp_gt_u32_e32 vcc, s33, v18
                                        ; implicit-def: $vgpr12_vgpr13
	s_and_saveexec_b64 s[4:5], vcc
	s_cbranch_execz .LBB3555_141
.LBB3555_173:
	v_cmp_ge_u32_e32 vcc, v18, v10
                                        ; implicit-def: $vgpr12_vgpr13
	s_and_saveexec_b64 s[6:7], vcc
	s_xor_b64 s[6:7], exec, s[6:7]
	s_cbranch_execz .LBB3555_175
; %bb.174:
	v_xor_b32_e32 v0, 0xfffff6ff, v0
	s_waitcnt lgkmcnt(0)
	v_ashrrev_i32_e32 v2, 31, v0
	v_add_co_u32_e32 v12, vcc, v14, v0
	v_addc_co_u32_e32 v13, vcc, v15, v2, vcc
                                        ; implicit-def: $vgpr18
.LBB3555_175:
	s_andn2_saveexec_b64 s[6:7], s[6:7]
; %bb.176:
	v_add_co_u32_e32 v12, vcc, v1, v18
	v_addc_co_u32_e32 v13, vcc, 0, v11, vcc
; %bb.177:
	s_or_b64 exec, exec, s[6:7]
	s_or_b64 s[2:3], s[2:3], exec
	s_or_b64 exec, exec, s[4:5]
	s_and_saveexec_b64 s[4:5], s[2:3]
	s_cbranch_execnz .LBB3555_112
	s_branch .LBB3555_142
	.section	.rodata,"a",@progbits
	.p2align	6, 0x0
	.amdhsa_kernel _ZN7rocprim17ROCPRIM_400000_NS6detail17trampoline_kernelINS0_14default_configENS1_25partition_config_selectorILNS1_17partition_subalgoE3EN6thrust23THRUST_200600_302600_NS5tupleIssNS7_9null_typeES9_S9_S9_S9_S9_S9_S9_EENS0_10empty_typeEbEEZZNS1_14partition_implILS5_3ELb0ES3_jNS7_6detail15normal_iteratorINS7_7pointerISA_NS7_11hip_rocprim3tagENS7_11use_defaultESJ_EEEEPSB_SM_NS0_5tupleIJPSA_SM_EEENSN_IJSM_SM_EEESB_PlJ10is_orderedEEE10hipError_tPvRmT3_T4_T5_T6_T7_T9_mT8_P12ihipStream_tbDpT10_ENKUlT_T0_E_clISt17integral_constantIbLb0EES1B_IbLb1EEEEDaS17_S18_EUlS17_E_NS1_11comp_targetILNS1_3genE4ELNS1_11target_archE910ELNS1_3gpuE8ELNS1_3repE0EEENS1_30default_config_static_selectorELNS0_4arch9wavefront6targetE1EEEvT1_
		.amdhsa_group_segment_fixed_size 10248
		.amdhsa_private_segment_fixed_size 0
		.amdhsa_kernarg_size 136
		.amdhsa_user_sgpr_count 6
		.amdhsa_user_sgpr_private_segment_buffer 1
		.amdhsa_user_sgpr_dispatch_ptr 0
		.amdhsa_user_sgpr_queue_ptr 0
		.amdhsa_user_sgpr_kernarg_segment_ptr 1
		.amdhsa_user_sgpr_dispatch_id 0
		.amdhsa_user_sgpr_flat_scratch_init 0
		.amdhsa_user_sgpr_kernarg_preload_length 0
		.amdhsa_user_sgpr_kernarg_preload_offset 0
		.amdhsa_user_sgpr_private_segment_size 0
		.amdhsa_uses_dynamic_stack 0
		.amdhsa_system_sgpr_private_segment_wavefront_offset 0
		.amdhsa_system_sgpr_workgroup_id_x 1
		.amdhsa_system_sgpr_workgroup_id_y 0
		.amdhsa_system_sgpr_workgroup_id_z 0
		.amdhsa_system_sgpr_workgroup_info 0
		.amdhsa_system_vgpr_workitem_id 0
		.amdhsa_next_free_vgpr 57
		.amdhsa_next_free_sgpr 46
		.amdhsa_accum_offset 60
		.amdhsa_reserve_vcc 1
		.amdhsa_reserve_flat_scratch 0
		.amdhsa_float_round_mode_32 0
		.amdhsa_float_round_mode_16_64 0
		.amdhsa_float_denorm_mode_32 3
		.amdhsa_float_denorm_mode_16_64 3
		.amdhsa_dx10_clamp 1
		.amdhsa_ieee_mode 1
		.amdhsa_fp16_overflow 0
		.amdhsa_tg_split 0
		.amdhsa_exception_fp_ieee_invalid_op 0
		.amdhsa_exception_fp_denorm_src 0
		.amdhsa_exception_fp_ieee_div_zero 0
		.amdhsa_exception_fp_ieee_overflow 0
		.amdhsa_exception_fp_ieee_underflow 0
		.amdhsa_exception_fp_ieee_inexact 0
		.amdhsa_exception_int_div_zero 0
	.end_amdhsa_kernel
	.section	.text._ZN7rocprim17ROCPRIM_400000_NS6detail17trampoline_kernelINS0_14default_configENS1_25partition_config_selectorILNS1_17partition_subalgoE3EN6thrust23THRUST_200600_302600_NS5tupleIssNS7_9null_typeES9_S9_S9_S9_S9_S9_S9_EENS0_10empty_typeEbEEZZNS1_14partition_implILS5_3ELb0ES3_jNS7_6detail15normal_iteratorINS7_7pointerISA_NS7_11hip_rocprim3tagENS7_11use_defaultESJ_EEEEPSB_SM_NS0_5tupleIJPSA_SM_EEENSN_IJSM_SM_EEESB_PlJ10is_orderedEEE10hipError_tPvRmT3_T4_T5_T6_T7_T9_mT8_P12ihipStream_tbDpT10_ENKUlT_T0_E_clISt17integral_constantIbLb0EES1B_IbLb1EEEEDaS17_S18_EUlS17_E_NS1_11comp_targetILNS1_3genE4ELNS1_11target_archE910ELNS1_3gpuE8ELNS1_3repE0EEENS1_30default_config_static_selectorELNS0_4arch9wavefront6targetE1EEEvT1_,"axG",@progbits,_ZN7rocprim17ROCPRIM_400000_NS6detail17trampoline_kernelINS0_14default_configENS1_25partition_config_selectorILNS1_17partition_subalgoE3EN6thrust23THRUST_200600_302600_NS5tupleIssNS7_9null_typeES9_S9_S9_S9_S9_S9_S9_EENS0_10empty_typeEbEEZZNS1_14partition_implILS5_3ELb0ES3_jNS7_6detail15normal_iteratorINS7_7pointerISA_NS7_11hip_rocprim3tagENS7_11use_defaultESJ_EEEEPSB_SM_NS0_5tupleIJPSA_SM_EEENSN_IJSM_SM_EEESB_PlJ10is_orderedEEE10hipError_tPvRmT3_T4_T5_T6_T7_T9_mT8_P12ihipStream_tbDpT10_ENKUlT_T0_E_clISt17integral_constantIbLb0EES1B_IbLb1EEEEDaS17_S18_EUlS17_E_NS1_11comp_targetILNS1_3genE4ELNS1_11target_archE910ELNS1_3gpuE8ELNS1_3repE0EEENS1_30default_config_static_selectorELNS0_4arch9wavefront6targetE1EEEvT1_,comdat
.Lfunc_end3555:
	.size	_ZN7rocprim17ROCPRIM_400000_NS6detail17trampoline_kernelINS0_14default_configENS1_25partition_config_selectorILNS1_17partition_subalgoE3EN6thrust23THRUST_200600_302600_NS5tupleIssNS7_9null_typeES9_S9_S9_S9_S9_S9_S9_EENS0_10empty_typeEbEEZZNS1_14partition_implILS5_3ELb0ES3_jNS7_6detail15normal_iteratorINS7_7pointerISA_NS7_11hip_rocprim3tagENS7_11use_defaultESJ_EEEEPSB_SM_NS0_5tupleIJPSA_SM_EEENSN_IJSM_SM_EEESB_PlJ10is_orderedEEE10hipError_tPvRmT3_T4_T5_T6_T7_T9_mT8_P12ihipStream_tbDpT10_ENKUlT_T0_E_clISt17integral_constantIbLb0EES1B_IbLb1EEEEDaS17_S18_EUlS17_E_NS1_11comp_targetILNS1_3genE4ELNS1_11target_archE910ELNS1_3gpuE8ELNS1_3repE0EEENS1_30default_config_static_selectorELNS0_4arch9wavefront6targetE1EEEvT1_, .Lfunc_end3555-_ZN7rocprim17ROCPRIM_400000_NS6detail17trampoline_kernelINS0_14default_configENS1_25partition_config_selectorILNS1_17partition_subalgoE3EN6thrust23THRUST_200600_302600_NS5tupleIssNS7_9null_typeES9_S9_S9_S9_S9_S9_S9_EENS0_10empty_typeEbEEZZNS1_14partition_implILS5_3ELb0ES3_jNS7_6detail15normal_iteratorINS7_7pointerISA_NS7_11hip_rocprim3tagENS7_11use_defaultESJ_EEEEPSB_SM_NS0_5tupleIJPSA_SM_EEENSN_IJSM_SM_EEESB_PlJ10is_orderedEEE10hipError_tPvRmT3_T4_T5_T6_T7_T9_mT8_P12ihipStream_tbDpT10_ENKUlT_T0_E_clISt17integral_constantIbLb0EES1B_IbLb1EEEEDaS17_S18_EUlS17_E_NS1_11comp_targetILNS1_3genE4ELNS1_11target_archE910ELNS1_3gpuE8ELNS1_3repE0EEENS1_30default_config_static_selectorELNS0_4arch9wavefront6targetE1EEEvT1_
                                        ; -- End function
	.section	.AMDGPU.csdata,"",@progbits
; Kernel info:
; codeLenInByte = 6364
; NumSgprs: 50
; NumVgprs: 57
; NumAgprs: 0
; TotalNumVgprs: 57
; ScratchSize: 0
; MemoryBound: 0
; FloatMode: 240
; IeeeMode: 1
; LDSByteSize: 10248 bytes/workgroup (compile time only)
; SGPRBlocks: 6
; VGPRBlocks: 7
; NumSGPRsForWavesPerEU: 50
; NumVGPRsForWavesPerEU: 57
; AccumOffset: 60
; Occupancy: 6
; WaveLimiterHint : 1
; COMPUTE_PGM_RSRC2:SCRATCH_EN: 0
; COMPUTE_PGM_RSRC2:USER_SGPR: 6
; COMPUTE_PGM_RSRC2:TRAP_HANDLER: 0
; COMPUTE_PGM_RSRC2:TGID_X_EN: 1
; COMPUTE_PGM_RSRC2:TGID_Y_EN: 0
; COMPUTE_PGM_RSRC2:TGID_Z_EN: 0
; COMPUTE_PGM_RSRC2:TIDIG_COMP_CNT: 0
; COMPUTE_PGM_RSRC3_GFX90A:ACCUM_OFFSET: 14
; COMPUTE_PGM_RSRC3_GFX90A:TG_SPLIT: 0
	.section	.text._ZN7rocprim17ROCPRIM_400000_NS6detail17trampoline_kernelINS0_14default_configENS1_25partition_config_selectorILNS1_17partition_subalgoE3EN6thrust23THRUST_200600_302600_NS5tupleIssNS7_9null_typeES9_S9_S9_S9_S9_S9_S9_EENS0_10empty_typeEbEEZZNS1_14partition_implILS5_3ELb0ES3_jNS7_6detail15normal_iteratorINS7_7pointerISA_NS7_11hip_rocprim3tagENS7_11use_defaultESJ_EEEEPSB_SM_NS0_5tupleIJPSA_SM_EEENSN_IJSM_SM_EEESB_PlJ10is_orderedEEE10hipError_tPvRmT3_T4_T5_T6_T7_T9_mT8_P12ihipStream_tbDpT10_ENKUlT_T0_E_clISt17integral_constantIbLb0EES1B_IbLb1EEEEDaS17_S18_EUlS17_E_NS1_11comp_targetILNS1_3genE3ELNS1_11target_archE908ELNS1_3gpuE7ELNS1_3repE0EEENS1_30default_config_static_selectorELNS0_4arch9wavefront6targetE1EEEvT1_,"axG",@progbits,_ZN7rocprim17ROCPRIM_400000_NS6detail17trampoline_kernelINS0_14default_configENS1_25partition_config_selectorILNS1_17partition_subalgoE3EN6thrust23THRUST_200600_302600_NS5tupleIssNS7_9null_typeES9_S9_S9_S9_S9_S9_S9_EENS0_10empty_typeEbEEZZNS1_14partition_implILS5_3ELb0ES3_jNS7_6detail15normal_iteratorINS7_7pointerISA_NS7_11hip_rocprim3tagENS7_11use_defaultESJ_EEEEPSB_SM_NS0_5tupleIJPSA_SM_EEENSN_IJSM_SM_EEESB_PlJ10is_orderedEEE10hipError_tPvRmT3_T4_T5_T6_T7_T9_mT8_P12ihipStream_tbDpT10_ENKUlT_T0_E_clISt17integral_constantIbLb0EES1B_IbLb1EEEEDaS17_S18_EUlS17_E_NS1_11comp_targetILNS1_3genE3ELNS1_11target_archE908ELNS1_3gpuE7ELNS1_3repE0EEENS1_30default_config_static_selectorELNS0_4arch9wavefront6targetE1EEEvT1_,comdat
	.protected	_ZN7rocprim17ROCPRIM_400000_NS6detail17trampoline_kernelINS0_14default_configENS1_25partition_config_selectorILNS1_17partition_subalgoE3EN6thrust23THRUST_200600_302600_NS5tupleIssNS7_9null_typeES9_S9_S9_S9_S9_S9_S9_EENS0_10empty_typeEbEEZZNS1_14partition_implILS5_3ELb0ES3_jNS7_6detail15normal_iteratorINS7_7pointerISA_NS7_11hip_rocprim3tagENS7_11use_defaultESJ_EEEEPSB_SM_NS0_5tupleIJPSA_SM_EEENSN_IJSM_SM_EEESB_PlJ10is_orderedEEE10hipError_tPvRmT3_T4_T5_T6_T7_T9_mT8_P12ihipStream_tbDpT10_ENKUlT_T0_E_clISt17integral_constantIbLb0EES1B_IbLb1EEEEDaS17_S18_EUlS17_E_NS1_11comp_targetILNS1_3genE3ELNS1_11target_archE908ELNS1_3gpuE7ELNS1_3repE0EEENS1_30default_config_static_selectorELNS0_4arch9wavefront6targetE1EEEvT1_ ; -- Begin function _ZN7rocprim17ROCPRIM_400000_NS6detail17trampoline_kernelINS0_14default_configENS1_25partition_config_selectorILNS1_17partition_subalgoE3EN6thrust23THRUST_200600_302600_NS5tupleIssNS7_9null_typeES9_S9_S9_S9_S9_S9_S9_EENS0_10empty_typeEbEEZZNS1_14partition_implILS5_3ELb0ES3_jNS7_6detail15normal_iteratorINS7_7pointerISA_NS7_11hip_rocprim3tagENS7_11use_defaultESJ_EEEEPSB_SM_NS0_5tupleIJPSA_SM_EEENSN_IJSM_SM_EEESB_PlJ10is_orderedEEE10hipError_tPvRmT3_T4_T5_T6_T7_T9_mT8_P12ihipStream_tbDpT10_ENKUlT_T0_E_clISt17integral_constantIbLb0EES1B_IbLb1EEEEDaS17_S18_EUlS17_E_NS1_11comp_targetILNS1_3genE3ELNS1_11target_archE908ELNS1_3gpuE7ELNS1_3repE0EEENS1_30default_config_static_selectorELNS0_4arch9wavefront6targetE1EEEvT1_
	.globl	_ZN7rocprim17ROCPRIM_400000_NS6detail17trampoline_kernelINS0_14default_configENS1_25partition_config_selectorILNS1_17partition_subalgoE3EN6thrust23THRUST_200600_302600_NS5tupleIssNS7_9null_typeES9_S9_S9_S9_S9_S9_S9_EENS0_10empty_typeEbEEZZNS1_14partition_implILS5_3ELb0ES3_jNS7_6detail15normal_iteratorINS7_7pointerISA_NS7_11hip_rocprim3tagENS7_11use_defaultESJ_EEEEPSB_SM_NS0_5tupleIJPSA_SM_EEENSN_IJSM_SM_EEESB_PlJ10is_orderedEEE10hipError_tPvRmT3_T4_T5_T6_T7_T9_mT8_P12ihipStream_tbDpT10_ENKUlT_T0_E_clISt17integral_constantIbLb0EES1B_IbLb1EEEEDaS17_S18_EUlS17_E_NS1_11comp_targetILNS1_3genE3ELNS1_11target_archE908ELNS1_3gpuE7ELNS1_3repE0EEENS1_30default_config_static_selectorELNS0_4arch9wavefront6targetE1EEEvT1_
	.p2align	8
	.type	_ZN7rocprim17ROCPRIM_400000_NS6detail17trampoline_kernelINS0_14default_configENS1_25partition_config_selectorILNS1_17partition_subalgoE3EN6thrust23THRUST_200600_302600_NS5tupleIssNS7_9null_typeES9_S9_S9_S9_S9_S9_S9_EENS0_10empty_typeEbEEZZNS1_14partition_implILS5_3ELb0ES3_jNS7_6detail15normal_iteratorINS7_7pointerISA_NS7_11hip_rocprim3tagENS7_11use_defaultESJ_EEEEPSB_SM_NS0_5tupleIJPSA_SM_EEENSN_IJSM_SM_EEESB_PlJ10is_orderedEEE10hipError_tPvRmT3_T4_T5_T6_T7_T9_mT8_P12ihipStream_tbDpT10_ENKUlT_T0_E_clISt17integral_constantIbLb0EES1B_IbLb1EEEEDaS17_S18_EUlS17_E_NS1_11comp_targetILNS1_3genE3ELNS1_11target_archE908ELNS1_3gpuE7ELNS1_3repE0EEENS1_30default_config_static_selectorELNS0_4arch9wavefront6targetE1EEEvT1_,@function
_ZN7rocprim17ROCPRIM_400000_NS6detail17trampoline_kernelINS0_14default_configENS1_25partition_config_selectorILNS1_17partition_subalgoE3EN6thrust23THRUST_200600_302600_NS5tupleIssNS7_9null_typeES9_S9_S9_S9_S9_S9_S9_EENS0_10empty_typeEbEEZZNS1_14partition_implILS5_3ELb0ES3_jNS7_6detail15normal_iteratorINS7_7pointerISA_NS7_11hip_rocprim3tagENS7_11use_defaultESJ_EEEEPSB_SM_NS0_5tupleIJPSA_SM_EEENSN_IJSM_SM_EEESB_PlJ10is_orderedEEE10hipError_tPvRmT3_T4_T5_T6_T7_T9_mT8_P12ihipStream_tbDpT10_ENKUlT_T0_E_clISt17integral_constantIbLb0EES1B_IbLb1EEEEDaS17_S18_EUlS17_E_NS1_11comp_targetILNS1_3genE3ELNS1_11target_archE908ELNS1_3gpuE7ELNS1_3repE0EEENS1_30default_config_static_selectorELNS0_4arch9wavefront6targetE1EEEvT1_: ; @_ZN7rocprim17ROCPRIM_400000_NS6detail17trampoline_kernelINS0_14default_configENS1_25partition_config_selectorILNS1_17partition_subalgoE3EN6thrust23THRUST_200600_302600_NS5tupleIssNS7_9null_typeES9_S9_S9_S9_S9_S9_S9_EENS0_10empty_typeEbEEZZNS1_14partition_implILS5_3ELb0ES3_jNS7_6detail15normal_iteratorINS7_7pointerISA_NS7_11hip_rocprim3tagENS7_11use_defaultESJ_EEEEPSB_SM_NS0_5tupleIJPSA_SM_EEENSN_IJSM_SM_EEESB_PlJ10is_orderedEEE10hipError_tPvRmT3_T4_T5_T6_T7_T9_mT8_P12ihipStream_tbDpT10_ENKUlT_T0_E_clISt17integral_constantIbLb0EES1B_IbLb1EEEEDaS17_S18_EUlS17_E_NS1_11comp_targetILNS1_3genE3ELNS1_11target_archE908ELNS1_3gpuE7ELNS1_3repE0EEENS1_30default_config_static_selectorELNS0_4arch9wavefront6targetE1EEEvT1_
; %bb.0:
	.section	.rodata,"a",@progbits
	.p2align	6, 0x0
	.amdhsa_kernel _ZN7rocprim17ROCPRIM_400000_NS6detail17trampoline_kernelINS0_14default_configENS1_25partition_config_selectorILNS1_17partition_subalgoE3EN6thrust23THRUST_200600_302600_NS5tupleIssNS7_9null_typeES9_S9_S9_S9_S9_S9_S9_EENS0_10empty_typeEbEEZZNS1_14partition_implILS5_3ELb0ES3_jNS7_6detail15normal_iteratorINS7_7pointerISA_NS7_11hip_rocprim3tagENS7_11use_defaultESJ_EEEEPSB_SM_NS0_5tupleIJPSA_SM_EEENSN_IJSM_SM_EEESB_PlJ10is_orderedEEE10hipError_tPvRmT3_T4_T5_T6_T7_T9_mT8_P12ihipStream_tbDpT10_ENKUlT_T0_E_clISt17integral_constantIbLb0EES1B_IbLb1EEEEDaS17_S18_EUlS17_E_NS1_11comp_targetILNS1_3genE3ELNS1_11target_archE908ELNS1_3gpuE7ELNS1_3repE0EEENS1_30default_config_static_selectorELNS0_4arch9wavefront6targetE1EEEvT1_
		.amdhsa_group_segment_fixed_size 0
		.amdhsa_private_segment_fixed_size 0
		.amdhsa_kernarg_size 136
		.amdhsa_user_sgpr_count 6
		.amdhsa_user_sgpr_private_segment_buffer 1
		.amdhsa_user_sgpr_dispatch_ptr 0
		.amdhsa_user_sgpr_queue_ptr 0
		.amdhsa_user_sgpr_kernarg_segment_ptr 1
		.amdhsa_user_sgpr_dispatch_id 0
		.amdhsa_user_sgpr_flat_scratch_init 0
		.amdhsa_user_sgpr_kernarg_preload_length 0
		.amdhsa_user_sgpr_kernarg_preload_offset 0
		.amdhsa_user_sgpr_private_segment_size 0
		.amdhsa_uses_dynamic_stack 0
		.amdhsa_system_sgpr_private_segment_wavefront_offset 0
		.amdhsa_system_sgpr_workgroup_id_x 1
		.amdhsa_system_sgpr_workgroup_id_y 0
		.amdhsa_system_sgpr_workgroup_id_z 0
		.amdhsa_system_sgpr_workgroup_info 0
		.amdhsa_system_vgpr_workitem_id 0
		.amdhsa_next_free_vgpr 1
		.amdhsa_next_free_sgpr 0
		.amdhsa_accum_offset 4
		.amdhsa_reserve_vcc 0
		.amdhsa_reserve_flat_scratch 0
		.amdhsa_float_round_mode_32 0
		.amdhsa_float_round_mode_16_64 0
		.amdhsa_float_denorm_mode_32 3
		.amdhsa_float_denorm_mode_16_64 3
		.amdhsa_dx10_clamp 1
		.amdhsa_ieee_mode 1
		.amdhsa_fp16_overflow 0
		.amdhsa_tg_split 0
		.amdhsa_exception_fp_ieee_invalid_op 0
		.amdhsa_exception_fp_denorm_src 0
		.amdhsa_exception_fp_ieee_div_zero 0
		.amdhsa_exception_fp_ieee_overflow 0
		.amdhsa_exception_fp_ieee_underflow 0
		.amdhsa_exception_fp_ieee_inexact 0
		.amdhsa_exception_int_div_zero 0
	.end_amdhsa_kernel
	.section	.text._ZN7rocprim17ROCPRIM_400000_NS6detail17trampoline_kernelINS0_14default_configENS1_25partition_config_selectorILNS1_17partition_subalgoE3EN6thrust23THRUST_200600_302600_NS5tupleIssNS7_9null_typeES9_S9_S9_S9_S9_S9_S9_EENS0_10empty_typeEbEEZZNS1_14partition_implILS5_3ELb0ES3_jNS7_6detail15normal_iteratorINS7_7pointerISA_NS7_11hip_rocprim3tagENS7_11use_defaultESJ_EEEEPSB_SM_NS0_5tupleIJPSA_SM_EEENSN_IJSM_SM_EEESB_PlJ10is_orderedEEE10hipError_tPvRmT3_T4_T5_T6_T7_T9_mT8_P12ihipStream_tbDpT10_ENKUlT_T0_E_clISt17integral_constantIbLb0EES1B_IbLb1EEEEDaS17_S18_EUlS17_E_NS1_11comp_targetILNS1_3genE3ELNS1_11target_archE908ELNS1_3gpuE7ELNS1_3repE0EEENS1_30default_config_static_selectorELNS0_4arch9wavefront6targetE1EEEvT1_,"axG",@progbits,_ZN7rocprim17ROCPRIM_400000_NS6detail17trampoline_kernelINS0_14default_configENS1_25partition_config_selectorILNS1_17partition_subalgoE3EN6thrust23THRUST_200600_302600_NS5tupleIssNS7_9null_typeES9_S9_S9_S9_S9_S9_S9_EENS0_10empty_typeEbEEZZNS1_14partition_implILS5_3ELb0ES3_jNS7_6detail15normal_iteratorINS7_7pointerISA_NS7_11hip_rocprim3tagENS7_11use_defaultESJ_EEEEPSB_SM_NS0_5tupleIJPSA_SM_EEENSN_IJSM_SM_EEESB_PlJ10is_orderedEEE10hipError_tPvRmT3_T4_T5_T6_T7_T9_mT8_P12ihipStream_tbDpT10_ENKUlT_T0_E_clISt17integral_constantIbLb0EES1B_IbLb1EEEEDaS17_S18_EUlS17_E_NS1_11comp_targetILNS1_3genE3ELNS1_11target_archE908ELNS1_3gpuE7ELNS1_3repE0EEENS1_30default_config_static_selectorELNS0_4arch9wavefront6targetE1EEEvT1_,comdat
.Lfunc_end3556:
	.size	_ZN7rocprim17ROCPRIM_400000_NS6detail17trampoline_kernelINS0_14default_configENS1_25partition_config_selectorILNS1_17partition_subalgoE3EN6thrust23THRUST_200600_302600_NS5tupleIssNS7_9null_typeES9_S9_S9_S9_S9_S9_S9_EENS0_10empty_typeEbEEZZNS1_14partition_implILS5_3ELb0ES3_jNS7_6detail15normal_iteratorINS7_7pointerISA_NS7_11hip_rocprim3tagENS7_11use_defaultESJ_EEEEPSB_SM_NS0_5tupleIJPSA_SM_EEENSN_IJSM_SM_EEESB_PlJ10is_orderedEEE10hipError_tPvRmT3_T4_T5_T6_T7_T9_mT8_P12ihipStream_tbDpT10_ENKUlT_T0_E_clISt17integral_constantIbLb0EES1B_IbLb1EEEEDaS17_S18_EUlS17_E_NS1_11comp_targetILNS1_3genE3ELNS1_11target_archE908ELNS1_3gpuE7ELNS1_3repE0EEENS1_30default_config_static_selectorELNS0_4arch9wavefront6targetE1EEEvT1_, .Lfunc_end3556-_ZN7rocprim17ROCPRIM_400000_NS6detail17trampoline_kernelINS0_14default_configENS1_25partition_config_selectorILNS1_17partition_subalgoE3EN6thrust23THRUST_200600_302600_NS5tupleIssNS7_9null_typeES9_S9_S9_S9_S9_S9_S9_EENS0_10empty_typeEbEEZZNS1_14partition_implILS5_3ELb0ES3_jNS7_6detail15normal_iteratorINS7_7pointerISA_NS7_11hip_rocprim3tagENS7_11use_defaultESJ_EEEEPSB_SM_NS0_5tupleIJPSA_SM_EEENSN_IJSM_SM_EEESB_PlJ10is_orderedEEE10hipError_tPvRmT3_T4_T5_T6_T7_T9_mT8_P12ihipStream_tbDpT10_ENKUlT_T0_E_clISt17integral_constantIbLb0EES1B_IbLb1EEEEDaS17_S18_EUlS17_E_NS1_11comp_targetILNS1_3genE3ELNS1_11target_archE908ELNS1_3gpuE7ELNS1_3repE0EEENS1_30default_config_static_selectorELNS0_4arch9wavefront6targetE1EEEvT1_
                                        ; -- End function
	.section	.AMDGPU.csdata,"",@progbits
; Kernel info:
; codeLenInByte = 0
; NumSgprs: 4
; NumVgprs: 0
; NumAgprs: 0
; TotalNumVgprs: 0
; ScratchSize: 0
; MemoryBound: 0
; FloatMode: 240
; IeeeMode: 1
; LDSByteSize: 0 bytes/workgroup (compile time only)
; SGPRBlocks: 0
; VGPRBlocks: 0
; NumSGPRsForWavesPerEU: 4
; NumVGPRsForWavesPerEU: 1
; AccumOffset: 4
; Occupancy: 8
; WaveLimiterHint : 0
; COMPUTE_PGM_RSRC2:SCRATCH_EN: 0
; COMPUTE_PGM_RSRC2:USER_SGPR: 6
; COMPUTE_PGM_RSRC2:TRAP_HANDLER: 0
; COMPUTE_PGM_RSRC2:TGID_X_EN: 1
; COMPUTE_PGM_RSRC2:TGID_Y_EN: 0
; COMPUTE_PGM_RSRC2:TGID_Z_EN: 0
; COMPUTE_PGM_RSRC2:TIDIG_COMP_CNT: 0
; COMPUTE_PGM_RSRC3_GFX90A:ACCUM_OFFSET: 0
; COMPUTE_PGM_RSRC3_GFX90A:TG_SPLIT: 0
	.section	.text._ZN7rocprim17ROCPRIM_400000_NS6detail17trampoline_kernelINS0_14default_configENS1_25partition_config_selectorILNS1_17partition_subalgoE3EN6thrust23THRUST_200600_302600_NS5tupleIssNS7_9null_typeES9_S9_S9_S9_S9_S9_S9_EENS0_10empty_typeEbEEZZNS1_14partition_implILS5_3ELb0ES3_jNS7_6detail15normal_iteratorINS7_7pointerISA_NS7_11hip_rocprim3tagENS7_11use_defaultESJ_EEEEPSB_SM_NS0_5tupleIJPSA_SM_EEENSN_IJSM_SM_EEESB_PlJ10is_orderedEEE10hipError_tPvRmT3_T4_T5_T6_T7_T9_mT8_P12ihipStream_tbDpT10_ENKUlT_T0_E_clISt17integral_constantIbLb0EES1B_IbLb1EEEEDaS17_S18_EUlS17_E_NS1_11comp_targetILNS1_3genE2ELNS1_11target_archE906ELNS1_3gpuE6ELNS1_3repE0EEENS1_30default_config_static_selectorELNS0_4arch9wavefront6targetE1EEEvT1_,"axG",@progbits,_ZN7rocprim17ROCPRIM_400000_NS6detail17trampoline_kernelINS0_14default_configENS1_25partition_config_selectorILNS1_17partition_subalgoE3EN6thrust23THRUST_200600_302600_NS5tupleIssNS7_9null_typeES9_S9_S9_S9_S9_S9_S9_EENS0_10empty_typeEbEEZZNS1_14partition_implILS5_3ELb0ES3_jNS7_6detail15normal_iteratorINS7_7pointerISA_NS7_11hip_rocprim3tagENS7_11use_defaultESJ_EEEEPSB_SM_NS0_5tupleIJPSA_SM_EEENSN_IJSM_SM_EEESB_PlJ10is_orderedEEE10hipError_tPvRmT3_T4_T5_T6_T7_T9_mT8_P12ihipStream_tbDpT10_ENKUlT_T0_E_clISt17integral_constantIbLb0EES1B_IbLb1EEEEDaS17_S18_EUlS17_E_NS1_11comp_targetILNS1_3genE2ELNS1_11target_archE906ELNS1_3gpuE6ELNS1_3repE0EEENS1_30default_config_static_selectorELNS0_4arch9wavefront6targetE1EEEvT1_,comdat
	.protected	_ZN7rocprim17ROCPRIM_400000_NS6detail17trampoline_kernelINS0_14default_configENS1_25partition_config_selectorILNS1_17partition_subalgoE3EN6thrust23THRUST_200600_302600_NS5tupleIssNS7_9null_typeES9_S9_S9_S9_S9_S9_S9_EENS0_10empty_typeEbEEZZNS1_14partition_implILS5_3ELb0ES3_jNS7_6detail15normal_iteratorINS7_7pointerISA_NS7_11hip_rocprim3tagENS7_11use_defaultESJ_EEEEPSB_SM_NS0_5tupleIJPSA_SM_EEENSN_IJSM_SM_EEESB_PlJ10is_orderedEEE10hipError_tPvRmT3_T4_T5_T6_T7_T9_mT8_P12ihipStream_tbDpT10_ENKUlT_T0_E_clISt17integral_constantIbLb0EES1B_IbLb1EEEEDaS17_S18_EUlS17_E_NS1_11comp_targetILNS1_3genE2ELNS1_11target_archE906ELNS1_3gpuE6ELNS1_3repE0EEENS1_30default_config_static_selectorELNS0_4arch9wavefront6targetE1EEEvT1_ ; -- Begin function _ZN7rocprim17ROCPRIM_400000_NS6detail17trampoline_kernelINS0_14default_configENS1_25partition_config_selectorILNS1_17partition_subalgoE3EN6thrust23THRUST_200600_302600_NS5tupleIssNS7_9null_typeES9_S9_S9_S9_S9_S9_S9_EENS0_10empty_typeEbEEZZNS1_14partition_implILS5_3ELb0ES3_jNS7_6detail15normal_iteratorINS7_7pointerISA_NS7_11hip_rocprim3tagENS7_11use_defaultESJ_EEEEPSB_SM_NS0_5tupleIJPSA_SM_EEENSN_IJSM_SM_EEESB_PlJ10is_orderedEEE10hipError_tPvRmT3_T4_T5_T6_T7_T9_mT8_P12ihipStream_tbDpT10_ENKUlT_T0_E_clISt17integral_constantIbLb0EES1B_IbLb1EEEEDaS17_S18_EUlS17_E_NS1_11comp_targetILNS1_3genE2ELNS1_11target_archE906ELNS1_3gpuE6ELNS1_3repE0EEENS1_30default_config_static_selectorELNS0_4arch9wavefront6targetE1EEEvT1_
	.globl	_ZN7rocprim17ROCPRIM_400000_NS6detail17trampoline_kernelINS0_14default_configENS1_25partition_config_selectorILNS1_17partition_subalgoE3EN6thrust23THRUST_200600_302600_NS5tupleIssNS7_9null_typeES9_S9_S9_S9_S9_S9_S9_EENS0_10empty_typeEbEEZZNS1_14partition_implILS5_3ELb0ES3_jNS7_6detail15normal_iteratorINS7_7pointerISA_NS7_11hip_rocprim3tagENS7_11use_defaultESJ_EEEEPSB_SM_NS0_5tupleIJPSA_SM_EEENSN_IJSM_SM_EEESB_PlJ10is_orderedEEE10hipError_tPvRmT3_T4_T5_T6_T7_T9_mT8_P12ihipStream_tbDpT10_ENKUlT_T0_E_clISt17integral_constantIbLb0EES1B_IbLb1EEEEDaS17_S18_EUlS17_E_NS1_11comp_targetILNS1_3genE2ELNS1_11target_archE906ELNS1_3gpuE6ELNS1_3repE0EEENS1_30default_config_static_selectorELNS0_4arch9wavefront6targetE1EEEvT1_
	.p2align	8
	.type	_ZN7rocprim17ROCPRIM_400000_NS6detail17trampoline_kernelINS0_14default_configENS1_25partition_config_selectorILNS1_17partition_subalgoE3EN6thrust23THRUST_200600_302600_NS5tupleIssNS7_9null_typeES9_S9_S9_S9_S9_S9_S9_EENS0_10empty_typeEbEEZZNS1_14partition_implILS5_3ELb0ES3_jNS7_6detail15normal_iteratorINS7_7pointerISA_NS7_11hip_rocprim3tagENS7_11use_defaultESJ_EEEEPSB_SM_NS0_5tupleIJPSA_SM_EEENSN_IJSM_SM_EEESB_PlJ10is_orderedEEE10hipError_tPvRmT3_T4_T5_T6_T7_T9_mT8_P12ihipStream_tbDpT10_ENKUlT_T0_E_clISt17integral_constantIbLb0EES1B_IbLb1EEEEDaS17_S18_EUlS17_E_NS1_11comp_targetILNS1_3genE2ELNS1_11target_archE906ELNS1_3gpuE6ELNS1_3repE0EEENS1_30default_config_static_selectorELNS0_4arch9wavefront6targetE1EEEvT1_,@function
_ZN7rocprim17ROCPRIM_400000_NS6detail17trampoline_kernelINS0_14default_configENS1_25partition_config_selectorILNS1_17partition_subalgoE3EN6thrust23THRUST_200600_302600_NS5tupleIssNS7_9null_typeES9_S9_S9_S9_S9_S9_S9_EENS0_10empty_typeEbEEZZNS1_14partition_implILS5_3ELb0ES3_jNS7_6detail15normal_iteratorINS7_7pointerISA_NS7_11hip_rocprim3tagENS7_11use_defaultESJ_EEEEPSB_SM_NS0_5tupleIJPSA_SM_EEENSN_IJSM_SM_EEESB_PlJ10is_orderedEEE10hipError_tPvRmT3_T4_T5_T6_T7_T9_mT8_P12ihipStream_tbDpT10_ENKUlT_T0_E_clISt17integral_constantIbLb0EES1B_IbLb1EEEEDaS17_S18_EUlS17_E_NS1_11comp_targetILNS1_3genE2ELNS1_11target_archE906ELNS1_3gpuE6ELNS1_3repE0EEENS1_30default_config_static_selectorELNS0_4arch9wavefront6targetE1EEEvT1_: ; @_ZN7rocprim17ROCPRIM_400000_NS6detail17trampoline_kernelINS0_14default_configENS1_25partition_config_selectorILNS1_17partition_subalgoE3EN6thrust23THRUST_200600_302600_NS5tupleIssNS7_9null_typeES9_S9_S9_S9_S9_S9_S9_EENS0_10empty_typeEbEEZZNS1_14partition_implILS5_3ELb0ES3_jNS7_6detail15normal_iteratorINS7_7pointerISA_NS7_11hip_rocprim3tagENS7_11use_defaultESJ_EEEEPSB_SM_NS0_5tupleIJPSA_SM_EEENSN_IJSM_SM_EEESB_PlJ10is_orderedEEE10hipError_tPvRmT3_T4_T5_T6_T7_T9_mT8_P12ihipStream_tbDpT10_ENKUlT_T0_E_clISt17integral_constantIbLb0EES1B_IbLb1EEEEDaS17_S18_EUlS17_E_NS1_11comp_targetILNS1_3genE2ELNS1_11target_archE906ELNS1_3gpuE6ELNS1_3repE0EEENS1_30default_config_static_selectorELNS0_4arch9wavefront6targetE1EEEvT1_
; %bb.0:
	.section	.rodata,"a",@progbits
	.p2align	6, 0x0
	.amdhsa_kernel _ZN7rocprim17ROCPRIM_400000_NS6detail17trampoline_kernelINS0_14default_configENS1_25partition_config_selectorILNS1_17partition_subalgoE3EN6thrust23THRUST_200600_302600_NS5tupleIssNS7_9null_typeES9_S9_S9_S9_S9_S9_S9_EENS0_10empty_typeEbEEZZNS1_14partition_implILS5_3ELb0ES3_jNS7_6detail15normal_iteratorINS7_7pointerISA_NS7_11hip_rocprim3tagENS7_11use_defaultESJ_EEEEPSB_SM_NS0_5tupleIJPSA_SM_EEENSN_IJSM_SM_EEESB_PlJ10is_orderedEEE10hipError_tPvRmT3_T4_T5_T6_T7_T9_mT8_P12ihipStream_tbDpT10_ENKUlT_T0_E_clISt17integral_constantIbLb0EES1B_IbLb1EEEEDaS17_S18_EUlS17_E_NS1_11comp_targetILNS1_3genE2ELNS1_11target_archE906ELNS1_3gpuE6ELNS1_3repE0EEENS1_30default_config_static_selectorELNS0_4arch9wavefront6targetE1EEEvT1_
		.amdhsa_group_segment_fixed_size 0
		.amdhsa_private_segment_fixed_size 0
		.amdhsa_kernarg_size 136
		.amdhsa_user_sgpr_count 6
		.amdhsa_user_sgpr_private_segment_buffer 1
		.amdhsa_user_sgpr_dispatch_ptr 0
		.amdhsa_user_sgpr_queue_ptr 0
		.amdhsa_user_sgpr_kernarg_segment_ptr 1
		.amdhsa_user_sgpr_dispatch_id 0
		.amdhsa_user_sgpr_flat_scratch_init 0
		.amdhsa_user_sgpr_kernarg_preload_length 0
		.amdhsa_user_sgpr_kernarg_preload_offset 0
		.amdhsa_user_sgpr_private_segment_size 0
		.amdhsa_uses_dynamic_stack 0
		.amdhsa_system_sgpr_private_segment_wavefront_offset 0
		.amdhsa_system_sgpr_workgroup_id_x 1
		.amdhsa_system_sgpr_workgroup_id_y 0
		.amdhsa_system_sgpr_workgroup_id_z 0
		.amdhsa_system_sgpr_workgroup_info 0
		.amdhsa_system_vgpr_workitem_id 0
		.amdhsa_next_free_vgpr 1
		.amdhsa_next_free_sgpr 0
		.amdhsa_accum_offset 4
		.amdhsa_reserve_vcc 0
		.amdhsa_reserve_flat_scratch 0
		.amdhsa_float_round_mode_32 0
		.amdhsa_float_round_mode_16_64 0
		.amdhsa_float_denorm_mode_32 3
		.amdhsa_float_denorm_mode_16_64 3
		.amdhsa_dx10_clamp 1
		.amdhsa_ieee_mode 1
		.amdhsa_fp16_overflow 0
		.amdhsa_tg_split 0
		.amdhsa_exception_fp_ieee_invalid_op 0
		.amdhsa_exception_fp_denorm_src 0
		.amdhsa_exception_fp_ieee_div_zero 0
		.amdhsa_exception_fp_ieee_overflow 0
		.amdhsa_exception_fp_ieee_underflow 0
		.amdhsa_exception_fp_ieee_inexact 0
		.amdhsa_exception_int_div_zero 0
	.end_amdhsa_kernel
	.section	.text._ZN7rocprim17ROCPRIM_400000_NS6detail17trampoline_kernelINS0_14default_configENS1_25partition_config_selectorILNS1_17partition_subalgoE3EN6thrust23THRUST_200600_302600_NS5tupleIssNS7_9null_typeES9_S9_S9_S9_S9_S9_S9_EENS0_10empty_typeEbEEZZNS1_14partition_implILS5_3ELb0ES3_jNS7_6detail15normal_iteratorINS7_7pointerISA_NS7_11hip_rocprim3tagENS7_11use_defaultESJ_EEEEPSB_SM_NS0_5tupleIJPSA_SM_EEENSN_IJSM_SM_EEESB_PlJ10is_orderedEEE10hipError_tPvRmT3_T4_T5_T6_T7_T9_mT8_P12ihipStream_tbDpT10_ENKUlT_T0_E_clISt17integral_constantIbLb0EES1B_IbLb1EEEEDaS17_S18_EUlS17_E_NS1_11comp_targetILNS1_3genE2ELNS1_11target_archE906ELNS1_3gpuE6ELNS1_3repE0EEENS1_30default_config_static_selectorELNS0_4arch9wavefront6targetE1EEEvT1_,"axG",@progbits,_ZN7rocprim17ROCPRIM_400000_NS6detail17trampoline_kernelINS0_14default_configENS1_25partition_config_selectorILNS1_17partition_subalgoE3EN6thrust23THRUST_200600_302600_NS5tupleIssNS7_9null_typeES9_S9_S9_S9_S9_S9_S9_EENS0_10empty_typeEbEEZZNS1_14partition_implILS5_3ELb0ES3_jNS7_6detail15normal_iteratorINS7_7pointerISA_NS7_11hip_rocprim3tagENS7_11use_defaultESJ_EEEEPSB_SM_NS0_5tupleIJPSA_SM_EEENSN_IJSM_SM_EEESB_PlJ10is_orderedEEE10hipError_tPvRmT3_T4_T5_T6_T7_T9_mT8_P12ihipStream_tbDpT10_ENKUlT_T0_E_clISt17integral_constantIbLb0EES1B_IbLb1EEEEDaS17_S18_EUlS17_E_NS1_11comp_targetILNS1_3genE2ELNS1_11target_archE906ELNS1_3gpuE6ELNS1_3repE0EEENS1_30default_config_static_selectorELNS0_4arch9wavefront6targetE1EEEvT1_,comdat
.Lfunc_end3557:
	.size	_ZN7rocprim17ROCPRIM_400000_NS6detail17trampoline_kernelINS0_14default_configENS1_25partition_config_selectorILNS1_17partition_subalgoE3EN6thrust23THRUST_200600_302600_NS5tupleIssNS7_9null_typeES9_S9_S9_S9_S9_S9_S9_EENS0_10empty_typeEbEEZZNS1_14partition_implILS5_3ELb0ES3_jNS7_6detail15normal_iteratorINS7_7pointerISA_NS7_11hip_rocprim3tagENS7_11use_defaultESJ_EEEEPSB_SM_NS0_5tupleIJPSA_SM_EEENSN_IJSM_SM_EEESB_PlJ10is_orderedEEE10hipError_tPvRmT3_T4_T5_T6_T7_T9_mT8_P12ihipStream_tbDpT10_ENKUlT_T0_E_clISt17integral_constantIbLb0EES1B_IbLb1EEEEDaS17_S18_EUlS17_E_NS1_11comp_targetILNS1_3genE2ELNS1_11target_archE906ELNS1_3gpuE6ELNS1_3repE0EEENS1_30default_config_static_selectorELNS0_4arch9wavefront6targetE1EEEvT1_, .Lfunc_end3557-_ZN7rocprim17ROCPRIM_400000_NS6detail17trampoline_kernelINS0_14default_configENS1_25partition_config_selectorILNS1_17partition_subalgoE3EN6thrust23THRUST_200600_302600_NS5tupleIssNS7_9null_typeES9_S9_S9_S9_S9_S9_S9_EENS0_10empty_typeEbEEZZNS1_14partition_implILS5_3ELb0ES3_jNS7_6detail15normal_iteratorINS7_7pointerISA_NS7_11hip_rocprim3tagENS7_11use_defaultESJ_EEEEPSB_SM_NS0_5tupleIJPSA_SM_EEENSN_IJSM_SM_EEESB_PlJ10is_orderedEEE10hipError_tPvRmT3_T4_T5_T6_T7_T9_mT8_P12ihipStream_tbDpT10_ENKUlT_T0_E_clISt17integral_constantIbLb0EES1B_IbLb1EEEEDaS17_S18_EUlS17_E_NS1_11comp_targetILNS1_3genE2ELNS1_11target_archE906ELNS1_3gpuE6ELNS1_3repE0EEENS1_30default_config_static_selectorELNS0_4arch9wavefront6targetE1EEEvT1_
                                        ; -- End function
	.section	.AMDGPU.csdata,"",@progbits
; Kernel info:
; codeLenInByte = 0
; NumSgprs: 4
; NumVgprs: 0
; NumAgprs: 0
; TotalNumVgprs: 0
; ScratchSize: 0
; MemoryBound: 0
; FloatMode: 240
; IeeeMode: 1
; LDSByteSize: 0 bytes/workgroup (compile time only)
; SGPRBlocks: 0
; VGPRBlocks: 0
; NumSGPRsForWavesPerEU: 4
; NumVGPRsForWavesPerEU: 1
; AccumOffset: 4
; Occupancy: 8
; WaveLimiterHint : 0
; COMPUTE_PGM_RSRC2:SCRATCH_EN: 0
; COMPUTE_PGM_RSRC2:USER_SGPR: 6
; COMPUTE_PGM_RSRC2:TRAP_HANDLER: 0
; COMPUTE_PGM_RSRC2:TGID_X_EN: 1
; COMPUTE_PGM_RSRC2:TGID_Y_EN: 0
; COMPUTE_PGM_RSRC2:TGID_Z_EN: 0
; COMPUTE_PGM_RSRC2:TIDIG_COMP_CNT: 0
; COMPUTE_PGM_RSRC3_GFX90A:ACCUM_OFFSET: 0
; COMPUTE_PGM_RSRC3_GFX90A:TG_SPLIT: 0
	.section	.text._ZN7rocprim17ROCPRIM_400000_NS6detail17trampoline_kernelINS0_14default_configENS1_25partition_config_selectorILNS1_17partition_subalgoE3EN6thrust23THRUST_200600_302600_NS5tupleIssNS7_9null_typeES9_S9_S9_S9_S9_S9_S9_EENS0_10empty_typeEbEEZZNS1_14partition_implILS5_3ELb0ES3_jNS7_6detail15normal_iteratorINS7_7pointerISA_NS7_11hip_rocprim3tagENS7_11use_defaultESJ_EEEEPSB_SM_NS0_5tupleIJPSA_SM_EEENSN_IJSM_SM_EEESB_PlJ10is_orderedEEE10hipError_tPvRmT3_T4_T5_T6_T7_T9_mT8_P12ihipStream_tbDpT10_ENKUlT_T0_E_clISt17integral_constantIbLb0EES1B_IbLb1EEEEDaS17_S18_EUlS17_E_NS1_11comp_targetILNS1_3genE10ELNS1_11target_archE1200ELNS1_3gpuE4ELNS1_3repE0EEENS1_30default_config_static_selectorELNS0_4arch9wavefront6targetE1EEEvT1_,"axG",@progbits,_ZN7rocprim17ROCPRIM_400000_NS6detail17trampoline_kernelINS0_14default_configENS1_25partition_config_selectorILNS1_17partition_subalgoE3EN6thrust23THRUST_200600_302600_NS5tupleIssNS7_9null_typeES9_S9_S9_S9_S9_S9_S9_EENS0_10empty_typeEbEEZZNS1_14partition_implILS5_3ELb0ES3_jNS7_6detail15normal_iteratorINS7_7pointerISA_NS7_11hip_rocprim3tagENS7_11use_defaultESJ_EEEEPSB_SM_NS0_5tupleIJPSA_SM_EEENSN_IJSM_SM_EEESB_PlJ10is_orderedEEE10hipError_tPvRmT3_T4_T5_T6_T7_T9_mT8_P12ihipStream_tbDpT10_ENKUlT_T0_E_clISt17integral_constantIbLb0EES1B_IbLb1EEEEDaS17_S18_EUlS17_E_NS1_11comp_targetILNS1_3genE10ELNS1_11target_archE1200ELNS1_3gpuE4ELNS1_3repE0EEENS1_30default_config_static_selectorELNS0_4arch9wavefront6targetE1EEEvT1_,comdat
	.protected	_ZN7rocprim17ROCPRIM_400000_NS6detail17trampoline_kernelINS0_14default_configENS1_25partition_config_selectorILNS1_17partition_subalgoE3EN6thrust23THRUST_200600_302600_NS5tupleIssNS7_9null_typeES9_S9_S9_S9_S9_S9_S9_EENS0_10empty_typeEbEEZZNS1_14partition_implILS5_3ELb0ES3_jNS7_6detail15normal_iteratorINS7_7pointerISA_NS7_11hip_rocprim3tagENS7_11use_defaultESJ_EEEEPSB_SM_NS0_5tupleIJPSA_SM_EEENSN_IJSM_SM_EEESB_PlJ10is_orderedEEE10hipError_tPvRmT3_T4_T5_T6_T7_T9_mT8_P12ihipStream_tbDpT10_ENKUlT_T0_E_clISt17integral_constantIbLb0EES1B_IbLb1EEEEDaS17_S18_EUlS17_E_NS1_11comp_targetILNS1_3genE10ELNS1_11target_archE1200ELNS1_3gpuE4ELNS1_3repE0EEENS1_30default_config_static_selectorELNS0_4arch9wavefront6targetE1EEEvT1_ ; -- Begin function _ZN7rocprim17ROCPRIM_400000_NS6detail17trampoline_kernelINS0_14default_configENS1_25partition_config_selectorILNS1_17partition_subalgoE3EN6thrust23THRUST_200600_302600_NS5tupleIssNS7_9null_typeES9_S9_S9_S9_S9_S9_S9_EENS0_10empty_typeEbEEZZNS1_14partition_implILS5_3ELb0ES3_jNS7_6detail15normal_iteratorINS7_7pointerISA_NS7_11hip_rocprim3tagENS7_11use_defaultESJ_EEEEPSB_SM_NS0_5tupleIJPSA_SM_EEENSN_IJSM_SM_EEESB_PlJ10is_orderedEEE10hipError_tPvRmT3_T4_T5_T6_T7_T9_mT8_P12ihipStream_tbDpT10_ENKUlT_T0_E_clISt17integral_constantIbLb0EES1B_IbLb1EEEEDaS17_S18_EUlS17_E_NS1_11comp_targetILNS1_3genE10ELNS1_11target_archE1200ELNS1_3gpuE4ELNS1_3repE0EEENS1_30default_config_static_selectorELNS0_4arch9wavefront6targetE1EEEvT1_
	.globl	_ZN7rocprim17ROCPRIM_400000_NS6detail17trampoline_kernelINS0_14default_configENS1_25partition_config_selectorILNS1_17partition_subalgoE3EN6thrust23THRUST_200600_302600_NS5tupleIssNS7_9null_typeES9_S9_S9_S9_S9_S9_S9_EENS0_10empty_typeEbEEZZNS1_14partition_implILS5_3ELb0ES3_jNS7_6detail15normal_iteratorINS7_7pointerISA_NS7_11hip_rocprim3tagENS7_11use_defaultESJ_EEEEPSB_SM_NS0_5tupleIJPSA_SM_EEENSN_IJSM_SM_EEESB_PlJ10is_orderedEEE10hipError_tPvRmT3_T4_T5_T6_T7_T9_mT8_P12ihipStream_tbDpT10_ENKUlT_T0_E_clISt17integral_constantIbLb0EES1B_IbLb1EEEEDaS17_S18_EUlS17_E_NS1_11comp_targetILNS1_3genE10ELNS1_11target_archE1200ELNS1_3gpuE4ELNS1_3repE0EEENS1_30default_config_static_selectorELNS0_4arch9wavefront6targetE1EEEvT1_
	.p2align	8
	.type	_ZN7rocprim17ROCPRIM_400000_NS6detail17trampoline_kernelINS0_14default_configENS1_25partition_config_selectorILNS1_17partition_subalgoE3EN6thrust23THRUST_200600_302600_NS5tupleIssNS7_9null_typeES9_S9_S9_S9_S9_S9_S9_EENS0_10empty_typeEbEEZZNS1_14partition_implILS5_3ELb0ES3_jNS7_6detail15normal_iteratorINS7_7pointerISA_NS7_11hip_rocprim3tagENS7_11use_defaultESJ_EEEEPSB_SM_NS0_5tupleIJPSA_SM_EEENSN_IJSM_SM_EEESB_PlJ10is_orderedEEE10hipError_tPvRmT3_T4_T5_T6_T7_T9_mT8_P12ihipStream_tbDpT10_ENKUlT_T0_E_clISt17integral_constantIbLb0EES1B_IbLb1EEEEDaS17_S18_EUlS17_E_NS1_11comp_targetILNS1_3genE10ELNS1_11target_archE1200ELNS1_3gpuE4ELNS1_3repE0EEENS1_30default_config_static_selectorELNS0_4arch9wavefront6targetE1EEEvT1_,@function
_ZN7rocprim17ROCPRIM_400000_NS6detail17trampoline_kernelINS0_14default_configENS1_25partition_config_selectorILNS1_17partition_subalgoE3EN6thrust23THRUST_200600_302600_NS5tupleIssNS7_9null_typeES9_S9_S9_S9_S9_S9_S9_EENS0_10empty_typeEbEEZZNS1_14partition_implILS5_3ELb0ES3_jNS7_6detail15normal_iteratorINS7_7pointerISA_NS7_11hip_rocprim3tagENS7_11use_defaultESJ_EEEEPSB_SM_NS0_5tupleIJPSA_SM_EEENSN_IJSM_SM_EEESB_PlJ10is_orderedEEE10hipError_tPvRmT3_T4_T5_T6_T7_T9_mT8_P12ihipStream_tbDpT10_ENKUlT_T0_E_clISt17integral_constantIbLb0EES1B_IbLb1EEEEDaS17_S18_EUlS17_E_NS1_11comp_targetILNS1_3genE10ELNS1_11target_archE1200ELNS1_3gpuE4ELNS1_3repE0EEENS1_30default_config_static_selectorELNS0_4arch9wavefront6targetE1EEEvT1_: ; @_ZN7rocprim17ROCPRIM_400000_NS6detail17trampoline_kernelINS0_14default_configENS1_25partition_config_selectorILNS1_17partition_subalgoE3EN6thrust23THRUST_200600_302600_NS5tupleIssNS7_9null_typeES9_S9_S9_S9_S9_S9_S9_EENS0_10empty_typeEbEEZZNS1_14partition_implILS5_3ELb0ES3_jNS7_6detail15normal_iteratorINS7_7pointerISA_NS7_11hip_rocprim3tagENS7_11use_defaultESJ_EEEEPSB_SM_NS0_5tupleIJPSA_SM_EEENSN_IJSM_SM_EEESB_PlJ10is_orderedEEE10hipError_tPvRmT3_T4_T5_T6_T7_T9_mT8_P12ihipStream_tbDpT10_ENKUlT_T0_E_clISt17integral_constantIbLb0EES1B_IbLb1EEEEDaS17_S18_EUlS17_E_NS1_11comp_targetILNS1_3genE10ELNS1_11target_archE1200ELNS1_3gpuE4ELNS1_3repE0EEENS1_30default_config_static_selectorELNS0_4arch9wavefront6targetE1EEEvT1_
; %bb.0:
	.section	.rodata,"a",@progbits
	.p2align	6, 0x0
	.amdhsa_kernel _ZN7rocprim17ROCPRIM_400000_NS6detail17trampoline_kernelINS0_14default_configENS1_25partition_config_selectorILNS1_17partition_subalgoE3EN6thrust23THRUST_200600_302600_NS5tupleIssNS7_9null_typeES9_S9_S9_S9_S9_S9_S9_EENS0_10empty_typeEbEEZZNS1_14partition_implILS5_3ELb0ES3_jNS7_6detail15normal_iteratorINS7_7pointerISA_NS7_11hip_rocprim3tagENS7_11use_defaultESJ_EEEEPSB_SM_NS0_5tupleIJPSA_SM_EEENSN_IJSM_SM_EEESB_PlJ10is_orderedEEE10hipError_tPvRmT3_T4_T5_T6_T7_T9_mT8_P12ihipStream_tbDpT10_ENKUlT_T0_E_clISt17integral_constantIbLb0EES1B_IbLb1EEEEDaS17_S18_EUlS17_E_NS1_11comp_targetILNS1_3genE10ELNS1_11target_archE1200ELNS1_3gpuE4ELNS1_3repE0EEENS1_30default_config_static_selectorELNS0_4arch9wavefront6targetE1EEEvT1_
		.amdhsa_group_segment_fixed_size 0
		.amdhsa_private_segment_fixed_size 0
		.amdhsa_kernarg_size 136
		.amdhsa_user_sgpr_count 6
		.amdhsa_user_sgpr_private_segment_buffer 1
		.amdhsa_user_sgpr_dispatch_ptr 0
		.amdhsa_user_sgpr_queue_ptr 0
		.amdhsa_user_sgpr_kernarg_segment_ptr 1
		.amdhsa_user_sgpr_dispatch_id 0
		.amdhsa_user_sgpr_flat_scratch_init 0
		.amdhsa_user_sgpr_kernarg_preload_length 0
		.amdhsa_user_sgpr_kernarg_preload_offset 0
		.amdhsa_user_sgpr_private_segment_size 0
		.amdhsa_uses_dynamic_stack 0
		.amdhsa_system_sgpr_private_segment_wavefront_offset 0
		.amdhsa_system_sgpr_workgroup_id_x 1
		.amdhsa_system_sgpr_workgroup_id_y 0
		.amdhsa_system_sgpr_workgroup_id_z 0
		.amdhsa_system_sgpr_workgroup_info 0
		.amdhsa_system_vgpr_workitem_id 0
		.amdhsa_next_free_vgpr 1
		.amdhsa_next_free_sgpr 0
		.amdhsa_accum_offset 4
		.amdhsa_reserve_vcc 0
		.amdhsa_reserve_flat_scratch 0
		.amdhsa_float_round_mode_32 0
		.amdhsa_float_round_mode_16_64 0
		.amdhsa_float_denorm_mode_32 3
		.amdhsa_float_denorm_mode_16_64 3
		.amdhsa_dx10_clamp 1
		.amdhsa_ieee_mode 1
		.amdhsa_fp16_overflow 0
		.amdhsa_tg_split 0
		.amdhsa_exception_fp_ieee_invalid_op 0
		.amdhsa_exception_fp_denorm_src 0
		.amdhsa_exception_fp_ieee_div_zero 0
		.amdhsa_exception_fp_ieee_overflow 0
		.amdhsa_exception_fp_ieee_underflow 0
		.amdhsa_exception_fp_ieee_inexact 0
		.amdhsa_exception_int_div_zero 0
	.end_amdhsa_kernel
	.section	.text._ZN7rocprim17ROCPRIM_400000_NS6detail17trampoline_kernelINS0_14default_configENS1_25partition_config_selectorILNS1_17partition_subalgoE3EN6thrust23THRUST_200600_302600_NS5tupleIssNS7_9null_typeES9_S9_S9_S9_S9_S9_S9_EENS0_10empty_typeEbEEZZNS1_14partition_implILS5_3ELb0ES3_jNS7_6detail15normal_iteratorINS7_7pointerISA_NS7_11hip_rocprim3tagENS7_11use_defaultESJ_EEEEPSB_SM_NS0_5tupleIJPSA_SM_EEENSN_IJSM_SM_EEESB_PlJ10is_orderedEEE10hipError_tPvRmT3_T4_T5_T6_T7_T9_mT8_P12ihipStream_tbDpT10_ENKUlT_T0_E_clISt17integral_constantIbLb0EES1B_IbLb1EEEEDaS17_S18_EUlS17_E_NS1_11comp_targetILNS1_3genE10ELNS1_11target_archE1200ELNS1_3gpuE4ELNS1_3repE0EEENS1_30default_config_static_selectorELNS0_4arch9wavefront6targetE1EEEvT1_,"axG",@progbits,_ZN7rocprim17ROCPRIM_400000_NS6detail17trampoline_kernelINS0_14default_configENS1_25partition_config_selectorILNS1_17partition_subalgoE3EN6thrust23THRUST_200600_302600_NS5tupleIssNS7_9null_typeES9_S9_S9_S9_S9_S9_S9_EENS0_10empty_typeEbEEZZNS1_14partition_implILS5_3ELb0ES3_jNS7_6detail15normal_iteratorINS7_7pointerISA_NS7_11hip_rocprim3tagENS7_11use_defaultESJ_EEEEPSB_SM_NS0_5tupleIJPSA_SM_EEENSN_IJSM_SM_EEESB_PlJ10is_orderedEEE10hipError_tPvRmT3_T4_T5_T6_T7_T9_mT8_P12ihipStream_tbDpT10_ENKUlT_T0_E_clISt17integral_constantIbLb0EES1B_IbLb1EEEEDaS17_S18_EUlS17_E_NS1_11comp_targetILNS1_3genE10ELNS1_11target_archE1200ELNS1_3gpuE4ELNS1_3repE0EEENS1_30default_config_static_selectorELNS0_4arch9wavefront6targetE1EEEvT1_,comdat
.Lfunc_end3558:
	.size	_ZN7rocprim17ROCPRIM_400000_NS6detail17trampoline_kernelINS0_14default_configENS1_25partition_config_selectorILNS1_17partition_subalgoE3EN6thrust23THRUST_200600_302600_NS5tupleIssNS7_9null_typeES9_S9_S9_S9_S9_S9_S9_EENS0_10empty_typeEbEEZZNS1_14partition_implILS5_3ELb0ES3_jNS7_6detail15normal_iteratorINS7_7pointerISA_NS7_11hip_rocprim3tagENS7_11use_defaultESJ_EEEEPSB_SM_NS0_5tupleIJPSA_SM_EEENSN_IJSM_SM_EEESB_PlJ10is_orderedEEE10hipError_tPvRmT3_T4_T5_T6_T7_T9_mT8_P12ihipStream_tbDpT10_ENKUlT_T0_E_clISt17integral_constantIbLb0EES1B_IbLb1EEEEDaS17_S18_EUlS17_E_NS1_11comp_targetILNS1_3genE10ELNS1_11target_archE1200ELNS1_3gpuE4ELNS1_3repE0EEENS1_30default_config_static_selectorELNS0_4arch9wavefront6targetE1EEEvT1_, .Lfunc_end3558-_ZN7rocprim17ROCPRIM_400000_NS6detail17trampoline_kernelINS0_14default_configENS1_25partition_config_selectorILNS1_17partition_subalgoE3EN6thrust23THRUST_200600_302600_NS5tupleIssNS7_9null_typeES9_S9_S9_S9_S9_S9_S9_EENS0_10empty_typeEbEEZZNS1_14partition_implILS5_3ELb0ES3_jNS7_6detail15normal_iteratorINS7_7pointerISA_NS7_11hip_rocprim3tagENS7_11use_defaultESJ_EEEEPSB_SM_NS0_5tupleIJPSA_SM_EEENSN_IJSM_SM_EEESB_PlJ10is_orderedEEE10hipError_tPvRmT3_T4_T5_T6_T7_T9_mT8_P12ihipStream_tbDpT10_ENKUlT_T0_E_clISt17integral_constantIbLb0EES1B_IbLb1EEEEDaS17_S18_EUlS17_E_NS1_11comp_targetILNS1_3genE10ELNS1_11target_archE1200ELNS1_3gpuE4ELNS1_3repE0EEENS1_30default_config_static_selectorELNS0_4arch9wavefront6targetE1EEEvT1_
                                        ; -- End function
	.section	.AMDGPU.csdata,"",@progbits
; Kernel info:
; codeLenInByte = 0
; NumSgprs: 4
; NumVgprs: 0
; NumAgprs: 0
; TotalNumVgprs: 0
; ScratchSize: 0
; MemoryBound: 0
; FloatMode: 240
; IeeeMode: 1
; LDSByteSize: 0 bytes/workgroup (compile time only)
; SGPRBlocks: 0
; VGPRBlocks: 0
; NumSGPRsForWavesPerEU: 4
; NumVGPRsForWavesPerEU: 1
; AccumOffset: 4
; Occupancy: 8
; WaveLimiterHint : 0
; COMPUTE_PGM_RSRC2:SCRATCH_EN: 0
; COMPUTE_PGM_RSRC2:USER_SGPR: 6
; COMPUTE_PGM_RSRC2:TRAP_HANDLER: 0
; COMPUTE_PGM_RSRC2:TGID_X_EN: 1
; COMPUTE_PGM_RSRC2:TGID_Y_EN: 0
; COMPUTE_PGM_RSRC2:TGID_Z_EN: 0
; COMPUTE_PGM_RSRC2:TIDIG_COMP_CNT: 0
; COMPUTE_PGM_RSRC3_GFX90A:ACCUM_OFFSET: 0
; COMPUTE_PGM_RSRC3_GFX90A:TG_SPLIT: 0
	.section	.text._ZN7rocprim17ROCPRIM_400000_NS6detail17trampoline_kernelINS0_14default_configENS1_25partition_config_selectorILNS1_17partition_subalgoE3EN6thrust23THRUST_200600_302600_NS5tupleIssNS7_9null_typeES9_S9_S9_S9_S9_S9_S9_EENS0_10empty_typeEbEEZZNS1_14partition_implILS5_3ELb0ES3_jNS7_6detail15normal_iteratorINS7_7pointerISA_NS7_11hip_rocprim3tagENS7_11use_defaultESJ_EEEEPSB_SM_NS0_5tupleIJPSA_SM_EEENSN_IJSM_SM_EEESB_PlJ10is_orderedEEE10hipError_tPvRmT3_T4_T5_T6_T7_T9_mT8_P12ihipStream_tbDpT10_ENKUlT_T0_E_clISt17integral_constantIbLb0EES1B_IbLb1EEEEDaS17_S18_EUlS17_E_NS1_11comp_targetILNS1_3genE9ELNS1_11target_archE1100ELNS1_3gpuE3ELNS1_3repE0EEENS1_30default_config_static_selectorELNS0_4arch9wavefront6targetE1EEEvT1_,"axG",@progbits,_ZN7rocprim17ROCPRIM_400000_NS6detail17trampoline_kernelINS0_14default_configENS1_25partition_config_selectorILNS1_17partition_subalgoE3EN6thrust23THRUST_200600_302600_NS5tupleIssNS7_9null_typeES9_S9_S9_S9_S9_S9_S9_EENS0_10empty_typeEbEEZZNS1_14partition_implILS5_3ELb0ES3_jNS7_6detail15normal_iteratorINS7_7pointerISA_NS7_11hip_rocprim3tagENS7_11use_defaultESJ_EEEEPSB_SM_NS0_5tupleIJPSA_SM_EEENSN_IJSM_SM_EEESB_PlJ10is_orderedEEE10hipError_tPvRmT3_T4_T5_T6_T7_T9_mT8_P12ihipStream_tbDpT10_ENKUlT_T0_E_clISt17integral_constantIbLb0EES1B_IbLb1EEEEDaS17_S18_EUlS17_E_NS1_11comp_targetILNS1_3genE9ELNS1_11target_archE1100ELNS1_3gpuE3ELNS1_3repE0EEENS1_30default_config_static_selectorELNS0_4arch9wavefront6targetE1EEEvT1_,comdat
	.protected	_ZN7rocprim17ROCPRIM_400000_NS6detail17trampoline_kernelINS0_14default_configENS1_25partition_config_selectorILNS1_17partition_subalgoE3EN6thrust23THRUST_200600_302600_NS5tupleIssNS7_9null_typeES9_S9_S9_S9_S9_S9_S9_EENS0_10empty_typeEbEEZZNS1_14partition_implILS5_3ELb0ES3_jNS7_6detail15normal_iteratorINS7_7pointerISA_NS7_11hip_rocprim3tagENS7_11use_defaultESJ_EEEEPSB_SM_NS0_5tupleIJPSA_SM_EEENSN_IJSM_SM_EEESB_PlJ10is_orderedEEE10hipError_tPvRmT3_T4_T5_T6_T7_T9_mT8_P12ihipStream_tbDpT10_ENKUlT_T0_E_clISt17integral_constantIbLb0EES1B_IbLb1EEEEDaS17_S18_EUlS17_E_NS1_11comp_targetILNS1_3genE9ELNS1_11target_archE1100ELNS1_3gpuE3ELNS1_3repE0EEENS1_30default_config_static_selectorELNS0_4arch9wavefront6targetE1EEEvT1_ ; -- Begin function _ZN7rocprim17ROCPRIM_400000_NS6detail17trampoline_kernelINS0_14default_configENS1_25partition_config_selectorILNS1_17partition_subalgoE3EN6thrust23THRUST_200600_302600_NS5tupleIssNS7_9null_typeES9_S9_S9_S9_S9_S9_S9_EENS0_10empty_typeEbEEZZNS1_14partition_implILS5_3ELb0ES3_jNS7_6detail15normal_iteratorINS7_7pointerISA_NS7_11hip_rocprim3tagENS7_11use_defaultESJ_EEEEPSB_SM_NS0_5tupleIJPSA_SM_EEENSN_IJSM_SM_EEESB_PlJ10is_orderedEEE10hipError_tPvRmT3_T4_T5_T6_T7_T9_mT8_P12ihipStream_tbDpT10_ENKUlT_T0_E_clISt17integral_constantIbLb0EES1B_IbLb1EEEEDaS17_S18_EUlS17_E_NS1_11comp_targetILNS1_3genE9ELNS1_11target_archE1100ELNS1_3gpuE3ELNS1_3repE0EEENS1_30default_config_static_selectorELNS0_4arch9wavefront6targetE1EEEvT1_
	.globl	_ZN7rocprim17ROCPRIM_400000_NS6detail17trampoline_kernelINS0_14default_configENS1_25partition_config_selectorILNS1_17partition_subalgoE3EN6thrust23THRUST_200600_302600_NS5tupleIssNS7_9null_typeES9_S9_S9_S9_S9_S9_S9_EENS0_10empty_typeEbEEZZNS1_14partition_implILS5_3ELb0ES3_jNS7_6detail15normal_iteratorINS7_7pointerISA_NS7_11hip_rocprim3tagENS7_11use_defaultESJ_EEEEPSB_SM_NS0_5tupleIJPSA_SM_EEENSN_IJSM_SM_EEESB_PlJ10is_orderedEEE10hipError_tPvRmT3_T4_T5_T6_T7_T9_mT8_P12ihipStream_tbDpT10_ENKUlT_T0_E_clISt17integral_constantIbLb0EES1B_IbLb1EEEEDaS17_S18_EUlS17_E_NS1_11comp_targetILNS1_3genE9ELNS1_11target_archE1100ELNS1_3gpuE3ELNS1_3repE0EEENS1_30default_config_static_selectorELNS0_4arch9wavefront6targetE1EEEvT1_
	.p2align	8
	.type	_ZN7rocprim17ROCPRIM_400000_NS6detail17trampoline_kernelINS0_14default_configENS1_25partition_config_selectorILNS1_17partition_subalgoE3EN6thrust23THRUST_200600_302600_NS5tupleIssNS7_9null_typeES9_S9_S9_S9_S9_S9_S9_EENS0_10empty_typeEbEEZZNS1_14partition_implILS5_3ELb0ES3_jNS7_6detail15normal_iteratorINS7_7pointerISA_NS7_11hip_rocprim3tagENS7_11use_defaultESJ_EEEEPSB_SM_NS0_5tupleIJPSA_SM_EEENSN_IJSM_SM_EEESB_PlJ10is_orderedEEE10hipError_tPvRmT3_T4_T5_T6_T7_T9_mT8_P12ihipStream_tbDpT10_ENKUlT_T0_E_clISt17integral_constantIbLb0EES1B_IbLb1EEEEDaS17_S18_EUlS17_E_NS1_11comp_targetILNS1_3genE9ELNS1_11target_archE1100ELNS1_3gpuE3ELNS1_3repE0EEENS1_30default_config_static_selectorELNS0_4arch9wavefront6targetE1EEEvT1_,@function
_ZN7rocprim17ROCPRIM_400000_NS6detail17trampoline_kernelINS0_14default_configENS1_25partition_config_selectorILNS1_17partition_subalgoE3EN6thrust23THRUST_200600_302600_NS5tupleIssNS7_9null_typeES9_S9_S9_S9_S9_S9_S9_EENS0_10empty_typeEbEEZZNS1_14partition_implILS5_3ELb0ES3_jNS7_6detail15normal_iteratorINS7_7pointerISA_NS7_11hip_rocprim3tagENS7_11use_defaultESJ_EEEEPSB_SM_NS0_5tupleIJPSA_SM_EEENSN_IJSM_SM_EEESB_PlJ10is_orderedEEE10hipError_tPvRmT3_T4_T5_T6_T7_T9_mT8_P12ihipStream_tbDpT10_ENKUlT_T0_E_clISt17integral_constantIbLb0EES1B_IbLb1EEEEDaS17_S18_EUlS17_E_NS1_11comp_targetILNS1_3genE9ELNS1_11target_archE1100ELNS1_3gpuE3ELNS1_3repE0EEENS1_30default_config_static_selectorELNS0_4arch9wavefront6targetE1EEEvT1_: ; @_ZN7rocprim17ROCPRIM_400000_NS6detail17trampoline_kernelINS0_14default_configENS1_25partition_config_selectorILNS1_17partition_subalgoE3EN6thrust23THRUST_200600_302600_NS5tupleIssNS7_9null_typeES9_S9_S9_S9_S9_S9_S9_EENS0_10empty_typeEbEEZZNS1_14partition_implILS5_3ELb0ES3_jNS7_6detail15normal_iteratorINS7_7pointerISA_NS7_11hip_rocprim3tagENS7_11use_defaultESJ_EEEEPSB_SM_NS0_5tupleIJPSA_SM_EEENSN_IJSM_SM_EEESB_PlJ10is_orderedEEE10hipError_tPvRmT3_T4_T5_T6_T7_T9_mT8_P12ihipStream_tbDpT10_ENKUlT_T0_E_clISt17integral_constantIbLb0EES1B_IbLb1EEEEDaS17_S18_EUlS17_E_NS1_11comp_targetILNS1_3genE9ELNS1_11target_archE1100ELNS1_3gpuE3ELNS1_3repE0EEENS1_30default_config_static_selectorELNS0_4arch9wavefront6targetE1EEEvT1_
; %bb.0:
	.section	.rodata,"a",@progbits
	.p2align	6, 0x0
	.amdhsa_kernel _ZN7rocprim17ROCPRIM_400000_NS6detail17trampoline_kernelINS0_14default_configENS1_25partition_config_selectorILNS1_17partition_subalgoE3EN6thrust23THRUST_200600_302600_NS5tupleIssNS7_9null_typeES9_S9_S9_S9_S9_S9_S9_EENS0_10empty_typeEbEEZZNS1_14partition_implILS5_3ELb0ES3_jNS7_6detail15normal_iteratorINS7_7pointerISA_NS7_11hip_rocprim3tagENS7_11use_defaultESJ_EEEEPSB_SM_NS0_5tupleIJPSA_SM_EEENSN_IJSM_SM_EEESB_PlJ10is_orderedEEE10hipError_tPvRmT3_T4_T5_T6_T7_T9_mT8_P12ihipStream_tbDpT10_ENKUlT_T0_E_clISt17integral_constantIbLb0EES1B_IbLb1EEEEDaS17_S18_EUlS17_E_NS1_11comp_targetILNS1_3genE9ELNS1_11target_archE1100ELNS1_3gpuE3ELNS1_3repE0EEENS1_30default_config_static_selectorELNS0_4arch9wavefront6targetE1EEEvT1_
		.amdhsa_group_segment_fixed_size 0
		.amdhsa_private_segment_fixed_size 0
		.amdhsa_kernarg_size 136
		.amdhsa_user_sgpr_count 6
		.amdhsa_user_sgpr_private_segment_buffer 1
		.amdhsa_user_sgpr_dispatch_ptr 0
		.amdhsa_user_sgpr_queue_ptr 0
		.amdhsa_user_sgpr_kernarg_segment_ptr 1
		.amdhsa_user_sgpr_dispatch_id 0
		.amdhsa_user_sgpr_flat_scratch_init 0
		.amdhsa_user_sgpr_kernarg_preload_length 0
		.amdhsa_user_sgpr_kernarg_preload_offset 0
		.amdhsa_user_sgpr_private_segment_size 0
		.amdhsa_uses_dynamic_stack 0
		.amdhsa_system_sgpr_private_segment_wavefront_offset 0
		.amdhsa_system_sgpr_workgroup_id_x 1
		.amdhsa_system_sgpr_workgroup_id_y 0
		.amdhsa_system_sgpr_workgroup_id_z 0
		.amdhsa_system_sgpr_workgroup_info 0
		.amdhsa_system_vgpr_workitem_id 0
		.amdhsa_next_free_vgpr 1
		.amdhsa_next_free_sgpr 0
		.amdhsa_accum_offset 4
		.amdhsa_reserve_vcc 0
		.amdhsa_reserve_flat_scratch 0
		.amdhsa_float_round_mode_32 0
		.amdhsa_float_round_mode_16_64 0
		.amdhsa_float_denorm_mode_32 3
		.amdhsa_float_denorm_mode_16_64 3
		.amdhsa_dx10_clamp 1
		.amdhsa_ieee_mode 1
		.amdhsa_fp16_overflow 0
		.amdhsa_tg_split 0
		.amdhsa_exception_fp_ieee_invalid_op 0
		.amdhsa_exception_fp_denorm_src 0
		.amdhsa_exception_fp_ieee_div_zero 0
		.amdhsa_exception_fp_ieee_overflow 0
		.amdhsa_exception_fp_ieee_underflow 0
		.amdhsa_exception_fp_ieee_inexact 0
		.amdhsa_exception_int_div_zero 0
	.end_amdhsa_kernel
	.section	.text._ZN7rocprim17ROCPRIM_400000_NS6detail17trampoline_kernelINS0_14default_configENS1_25partition_config_selectorILNS1_17partition_subalgoE3EN6thrust23THRUST_200600_302600_NS5tupleIssNS7_9null_typeES9_S9_S9_S9_S9_S9_S9_EENS0_10empty_typeEbEEZZNS1_14partition_implILS5_3ELb0ES3_jNS7_6detail15normal_iteratorINS7_7pointerISA_NS7_11hip_rocprim3tagENS7_11use_defaultESJ_EEEEPSB_SM_NS0_5tupleIJPSA_SM_EEENSN_IJSM_SM_EEESB_PlJ10is_orderedEEE10hipError_tPvRmT3_T4_T5_T6_T7_T9_mT8_P12ihipStream_tbDpT10_ENKUlT_T0_E_clISt17integral_constantIbLb0EES1B_IbLb1EEEEDaS17_S18_EUlS17_E_NS1_11comp_targetILNS1_3genE9ELNS1_11target_archE1100ELNS1_3gpuE3ELNS1_3repE0EEENS1_30default_config_static_selectorELNS0_4arch9wavefront6targetE1EEEvT1_,"axG",@progbits,_ZN7rocprim17ROCPRIM_400000_NS6detail17trampoline_kernelINS0_14default_configENS1_25partition_config_selectorILNS1_17partition_subalgoE3EN6thrust23THRUST_200600_302600_NS5tupleIssNS7_9null_typeES9_S9_S9_S9_S9_S9_S9_EENS0_10empty_typeEbEEZZNS1_14partition_implILS5_3ELb0ES3_jNS7_6detail15normal_iteratorINS7_7pointerISA_NS7_11hip_rocprim3tagENS7_11use_defaultESJ_EEEEPSB_SM_NS0_5tupleIJPSA_SM_EEENSN_IJSM_SM_EEESB_PlJ10is_orderedEEE10hipError_tPvRmT3_T4_T5_T6_T7_T9_mT8_P12ihipStream_tbDpT10_ENKUlT_T0_E_clISt17integral_constantIbLb0EES1B_IbLb1EEEEDaS17_S18_EUlS17_E_NS1_11comp_targetILNS1_3genE9ELNS1_11target_archE1100ELNS1_3gpuE3ELNS1_3repE0EEENS1_30default_config_static_selectorELNS0_4arch9wavefront6targetE1EEEvT1_,comdat
.Lfunc_end3559:
	.size	_ZN7rocprim17ROCPRIM_400000_NS6detail17trampoline_kernelINS0_14default_configENS1_25partition_config_selectorILNS1_17partition_subalgoE3EN6thrust23THRUST_200600_302600_NS5tupleIssNS7_9null_typeES9_S9_S9_S9_S9_S9_S9_EENS0_10empty_typeEbEEZZNS1_14partition_implILS5_3ELb0ES3_jNS7_6detail15normal_iteratorINS7_7pointerISA_NS7_11hip_rocprim3tagENS7_11use_defaultESJ_EEEEPSB_SM_NS0_5tupleIJPSA_SM_EEENSN_IJSM_SM_EEESB_PlJ10is_orderedEEE10hipError_tPvRmT3_T4_T5_T6_T7_T9_mT8_P12ihipStream_tbDpT10_ENKUlT_T0_E_clISt17integral_constantIbLb0EES1B_IbLb1EEEEDaS17_S18_EUlS17_E_NS1_11comp_targetILNS1_3genE9ELNS1_11target_archE1100ELNS1_3gpuE3ELNS1_3repE0EEENS1_30default_config_static_selectorELNS0_4arch9wavefront6targetE1EEEvT1_, .Lfunc_end3559-_ZN7rocprim17ROCPRIM_400000_NS6detail17trampoline_kernelINS0_14default_configENS1_25partition_config_selectorILNS1_17partition_subalgoE3EN6thrust23THRUST_200600_302600_NS5tupleIssNS7_9null_typeES9_S9_S9_S9_S9_S9_S9_EENS0_10empty_typeEbEEZZNS1_14partition_implILS5_3ELb0ES3_jNS7_6detail15normal_iteratorINS7_7pointerISA_NS7_11hip_rocprim3tagENS7_11use_defaultESJ_EEEEPSB_SM_NS0_5tupleIJPSA_SM_EEENSN_IJSM_SM_EEESB_PlJ10is_orderedEEE10hipError_tPvRmT3_T4_T5_T6_T7_T9_mT8_P12ihipStream_tbDpT10_ENKUlT_T0_E_clISt17integral_constantIbLb0EES1B_IbLb1EEEEDaS17_S18_EUlS17_E_NS1_11comp_targetILNS1_3genE9ELNS1_11target_archE1100ELNS1_3gpuE3ELNS1_3repE0EEENS1_30default_config_static_selectorELNS0_4arch9wavefront6targetE1EEEvT1_
                                        ; -- End function
	.section	.AMDGPU.csdata,"",@progbits
; Kernel info:
; codeLenInByte = 0
; NumSgprs: 4
; NumVgprs: 0
; NumAgprs: 0
; TotalNumVgprs: 0
; ScratchSize: 0
; MemoryBound: 0
; FloatMode: 240
; IeeeMode: 1
; LDSByteSize: 0 bytes/workgroup (compile time only)
; SGPRBlocks: 0
; VGPRBlocks: 0
; NumSGPRsForWavesPerEU: 4
; NumVGPRsForWavesPerEU: 1
; AccumOffset: 4
; Occupancy: 8
; WaveLimiterHint : 0
; COMPUTE_PGM_RSRC2:SCRATCH_EN: 0
; COMPUTE_PGM_RSRC2:USER_SGPR: 6
; COMPUTE_PGM_RSRC2:TRAP_HANDLER: 0
; COMPUTE_PGM_RSRC2:TGID_X_EN: 1
; COMPUTE_PGM_RSRC2:TGID_Y_EN: 0
; COMPUTE_PGM_RSRC2:TGID_Z_EN: 0
; COMPUTE_PGM_RSRC2:TIDIG_COMP_CNT: 0
; COMPUTE_PGM_RSRC3_GFX90A:ACCUM_OFFSET: 0
; COMPUTE_PGM_RSRC3_GFX90A:TG_SPLIT: 0
	.section	.text._ZN7rocprim17ROCPRIM_400000_NS6detail17trampoline_kernelINS0_14default_configENS1_25partition_config_selectorILNS1_17partition_subalgoE3EN6thrust23THRUST_200600_302600_NS5tupleIssNS7_9null_typeES9_S9_S9_S9_S9_S9_S9_EENS0_10empty_typeEbEEZZNS1_14partition_implILS5_3ELb0ES3_jNS7_6detail15normal_iteratorINS7_7pointerISA_NS7_11hip_rocprim3tagENS7_11use_defaultESJ_EEEEPSB_SM_NS0_5tupleIJPSA_SM_EEENSN_IJSM_SM_EEESB_PlJ10is_orderedEEE10hipError_tPvRmT3_T4_T5_T6_T7_T9_mT8_P12ihipStream_tbDpT10_ENKUlT_T0_E_clISt17integral_constantIbLb0EES1B_IbLb1EEEEDaS17_S18_EUlS17_E_NS1_11comp_targetILNS1_3genE8ELNS1_11target_archE1030ELNS1_3gpuE2ELNS1_3repE0EEENS1_30default_config_static_selectorELNS0_4arch9wavefront6targetE1EEEvT1_,"axG",@progbits,_ZN7rocprim17ROCPRIM_400000_NS6detail17trampoline_kernelINS0_14default_configENS1_25partition_config_selectorILNS1_17partition_subalgoE3EN6thrust23THRUST_200600_302600_NS5tupleIssNS7_9null_typeES9_S9_S9_S9_S9_S9_S9_EENS0_10empty_typeEbEEZZNS1_14partition_implILS5_3ELb0ES3_jNS7_6detail15normal_iteratorINS7_7pointerISA_NS7_11hip_rocprim3tagENS7_11use_defaultESJ_EEEEPSB_SM_NS0_5tupleIJPSA_SM_EEENSN_IJSM_SM_EEESB_PlJ10is_orderedEEE10hipError_tPvRmT3_T4_T5_T6_T7_T9_mT8_P12ihipStream_tbDpT10_ENKUlT_T0_E_clISt17integral_constantIbLb0EES1B_IbLb1EEEEDaS17_S18_EUlS17_E_NS1_11comp_targetILNS1_3genE8ELNS1_11target_archE1030ELNS1_3gpuE2ELNS1_3repE0EEENS1_30default_config_static_selectorELNS0_4arch9wavefront6targetE1EEEvT1_,comdat
	.protected	_ZN7rocprim17ROCPRIM_400000_NS6detail17trampoline_kernelINS0_14default_configENS1_25partition_config_selectorILNS1_17partition_subalgoE3EN6thrust23THRUST_200600_302600_NS5tupleIssNS7_9null_typeES9_S9_S9_S9_S9_S9_S9_EENS0_10empty_typeEbEEZZNS1_14partition_implILS5_3ELb0ES3_jNS7_6detail15normal_iteratorINS7_7pointerISA_NS7_11hip_rocprim3tagENS7_11use_defaultESJ_EEEEPSB_SM_NS0_5tupleIJPSA_SM_EEENSN_IJSM_SM_EEESB_PlJ10is_orderedEEE10hipError_tPvRmT3_T4_T5_T6_T7_T9_mT8_P12ihipStream_tbDpT10_ENKUlT_T0_E_clISt17integral_constantIbLb0EES1B_IbLb1EEEEDaS17_S18_EUlS17_E_NS1_11comp_targetILNS1_3genE8ELNS1_11target_archE1030ELNS1_3gpuE2ELNS1_3repE0EEENS1_30default_config_static_selectorELNS0_4arch9wavefront6targetE1EEEvT1_ ; -- Begin function _ZN7rocprim17ROCPRIM_400000_NS6detail17trampoline_kernelINS0_14default_configENS1_25partition_config_selectorILNS1_17partition_subalgoE3EN6thrust23THRUST_200600_302600_NS5tupleIssNS7_9null_typeES9_S9_S9_S9_S9_S9_S9_EENS0_10empty_typeEbEEZZNS1_14partition_implILS5_3ELb0ES3_jNS7_6detail15normal_iteratorINS7_7pointerISA_NS7_11hip_rocprim3tagENS7_11use_defaultESJ_EEEEPSB_SM_NS0_5tupleIJPSA_SM_EEENSN_IJSM_SM_EEESB_PlJ10is_orderedEEE10hipError_tPvRmT3_T4_T5_T6_T7_T9_mT8_P12ihipStream_tbDpT10_ENKUlT_T0_E_clISt17integral_constantIbLb0EES1B_IbLb1EEEEDaS17_S18_EUlS17_E_NS1_11comp_targetILNS1_3genE8ELNS1_11target_archE1030ELNS1_3gpuE2ELNS1_3repE0EEENS1_30default_config_static_selectorELNS0_4arch9wavefront6targetE1EEEvT1_
	.globl	_ZN7rocprim17ROCPRIM_400000_NS6detail17trampoline_kernelINS0_14default_configENS1_25partition_config_selectorILNS1_17partition_subalgoE3EN6thrust23THRUST_200600_302600_NS5tupleIssNS7_9null_typeES9_S9_S9_S9_S9_S9_S9_EENS0_10empty_typeEbEEZZNS1_14partition_implILS5_3ELb0ES3_jNS7_6detail15normal_iteratorINS7_7pointerISA_NS7_11hip_rocprim3tagENS7_11use_defaultESJ_EEEEPSB_SM_NS0_5tupleIJPSA_SM_EEENSN_IJSM_SM_EEESB_PlJ10is_orderedEEE10hipError_tPvRmT3_T4_T5_T6_T7_T9_mT8_P12ihipStream_tbDpT10_ENKUlT_T0_E_clISt17integral_constantIbLb0EES1B_IbLb1EEEEDaS17_S18_EUlS17_E_NS1_11comp_targetILNS1_3genE8ELNS1_11target_archE1030ELNS1_3gpuE2ELNS1_3repE0EEENS1_30default_config_static_selectorELNS0_4arch9wavefront6targetE1EEEvT1_
	.p2align	8
	.type	_ZN7rocprim17ROCPRIM_400000_NS6detail17trampoline_kernelINS0_14default_configENS1_25partition_config_selectorILNS1_17partition_subalgoE3EN6thrust23THRUST_200600_302600_NS5tupleIssNS7_9null_typeES9_S9_S9_S9_S9_S9_S9_EENS0_10empty_typeEbEEZZNS1_14partition_implILS5_3ELb0ES3_jNS7_6detail15normal_iteratorINS7_7pointerISA_NS7_11hip_rocprim3tagENS7_11use_defaultESJ_EEEEPSB_SM_NS0_5tupleIJPSA_SM_EEENSN_IJSM_SM_EEESB_PlJ10is_orderedEEE10hipError_tPvRmT3_T4_T5_T6_T7_T9_mT8_P12ihipStream_tbDpT10_ENKUlT_T0_E_clISt17integral_constantIbLb0EES1B_IbLb1EEEEDaS17_S18_EUlS17_E_NS1_11comp_targetILNS1_3genE8ELNS1_11target_archE1030ELNS1_3gpuE2ELNS1_3repE0EEENS1_30default_config_static_selectorELNS0_4arch9wavefront6targetE1EEEvT1_,@function
_ZN7rocprim17ROCPRIM_400000_NS6detail17trampoline_kernelINS0_14default_configENS1_25partition_config_selectorILNS1_17partition_subalgoE3EN6thrust23THRUST_200600_302600_NS5tupleIssNS7_9null_typeES9_S9_S9_S9_S9_S9_S9_EENS0_10empty_typeEbEEZZNS1_14partition_implILS5_3ELb0ES3_jNS7_6detail15normal_iteratorINS7_7pointerISA_NS7_11hip_rocprim3tagENS7_11use_defaultESJ_EEEEPSB_SM_NS0_5tupleIJPSA_SM_EEENSN_IJSM_SM_EEESB_PlJ10is_orderedEEE10hipError_tPvRmT3_T4_T5_T6_T7_T9_mT8_P12ihipStream_tbDpT10_ENKUlT_T0_E_clISt17integral_constantIbLb0EES1B_IbLb1EEEEDaS17_S18_EUlS17_E_NS1_11comp_targetILNS1_3genE8ELNS1_11target_archE1030ELNS1_3gpuE2ELNS1_3repE0EEENS1_30default_config_static_selectorELNS0_4arch9wavefront6targetE1EEEvT1_: ; @_ZN7rocprim17ROCPRIM_400000_NS6detail17trampoline_kernelINS0_14default_configENS1_25partition_config_selectorILNS1_17partition_subalgoE3EN6thrust23THRUST_200600_302600_NS5tupleIssNS7_9null_typeES9_S9_S9_S9_S9_S9_S9_EENS0_10empty_typeEbEEZZNS1_14partition_implILS5_3ELb0ES3_jNS7_6detail15normal_iteratorINS7_7pointerISA_NS7_11hip_rocprim3tagENS7_11use_defaultESJ_EEEEPSB_SM_NS0_5tupleIJPSA_SM_EEENSN_IJSM_SM_EEESB_PlJ10is_orderedEEE10hipError_tPvRmT3_T4_T5_T6_T7_T9_mT8_P12ihipStream_tbDpT10_ENKUlT_T0_E_clISt17integral_constantIbLb0EES1B_IbLb1EEEEDaS17_S18_EUlS17_E_NS1_11comp_targetILNS1_3genE8ELNS1_11target_archE1030ELNS1_3gpuE2ELNS1_3repE0EEENS1_30default_config_static_selectorELNS0_4arch9wavefront6targetE1EEEvT1_
; %bb.0:
	.section	.rodata,"a",@progbits
	.p2align	6, 0x0
	.amdhsa_kernel _ZN7rocprim17ROCPRIM_400000_NS6detail17trampoline_kernelINS0_14default_configENS1_25partition_config_selectorILNS1_17partition_subalgoE3EN6thrust23THRUST_200600_302600_NS5tupleIssNS7_9null_typeES9_S9_S9_S9_S9_S9_S9_EENS0_10empty_typeEbEEZZNS1_14partition_implILS5_3ELb0ES3_jNS7_6detail15normal_iteratorINS7_7pointerISA_NS7_11hip_rocprim3tagENS7_11use_defaultESJ_EEEEPSB_SM_NS0_5tupleIJPSA_SM_EEENSN_IJSM_SM_EEESB_PlJ10is_orderedEEE10hipError_tPvRmT3_T4_T5_T6_T7_T9_mT8_P12ihipStream_tbDpT10_ENKUlT_T0_E_clISt17integral_constantIbLb0EES1B_IbLb1EEEEDaS17_S18_EUlS17_E_NS1_11comp_targetILNS1_3genE8ELNS1_11target_archE1030ELNS1_3gpuE2ELNS1_3repE0EEENS1_30default_config_static_selectorELNS0_4arch9wavefront6targetE1EEEvT1_
		.amdhsa_group_segment_fixed_size 0
		.amdhsa_private_segment_fixed_size 0
		.amdhsa_kernarg_size 136
		.amdhsa_user_sgpr_count 6
		.amdhsa_user_sgpr_private_segment_buffer 1
		.amdhsa_user_sgpr_dispatch_ptr 0
		.amdhsa_user_sgpr_queue_ptr 0
		.amdhsa_user_sgpr_kernarg_segment_ptr 1
		.amdhsa_user_sgpr_dispatch_id 0
		.amdhsa_user_sgpr_flat_scratch_init 0
		.amdhsa_user_sgpr_kernarg_preload_length 0
		.amdhsa_user_sgpr_kernarg_preload_offset 0
		.amdhsa_user_sgpr_private_segment_size 0
		.amdhsa_uses_dynamic_stack 0
		.amdhsa_system_sgpr_private_segment_wavefront_offset 0
		.amdhsa_system_sgpr_workgroup_id_x 1
		.amdhsa_system_sgpr_workgroup_id_y 0
		.amdhsa_system_sgpr_workgroup_id_z 0
		.amdhsa_system_sgpr_workgroup_info 0
		.amdhsa_system_vgpr_workitem_id 0
		.amdhsa_next_free_vgpr 1
		.amdhsa_next_free_sgpr 0
		.amdhsa_accum_offset 4
		.amdhsa_reserve_vcc 0
		.amdhsa_reserve_flat_scratch 0
		.amdhsa_float_round_mode_32 0
		.amdhsa_float_round_mode_16_64 0
		.amdhsa_float_denorm_mode_32 3
		.amdhsa_float_denorm_mode_16_64 3
		.amdhsa_dx10_clamp 1
		.amdhsa_ieee_mode 1
		.amdhsa_fp16_overflow 0
		.amdhsa_tg_split 0
		.amdhsa_exception_fp_ieee_invalid_op 0
		.amdhsa_exception_fp_denorm_src 0
		.amdhsa_exception_fp_ieee_div_zero 0
		.amdhsa_exception_fp_ieee_overflow 0
		.amdhsa_exception_fp_ieee_underflow 0
		.amdhsa_exception_fp_ieee_inexact 0
		.amdhsa_exception_int_div_zero 0
	.end_amdhsa_kernel
	.section	.text._ZN7rocprim17ROCPRIM_400000_NS6detail17trampoline_kernelINS0_14default_configENS1_25partition_config_selectorILNS1_17partition_subalgoE3EN6thrust23THRUST_200600_302600_NS5tupleIssNS7_9null_typeES9_S9_S9_S9_S9_S9_S9_EENS0_10empty_typeEbEEZZNS1_14partition_implILS5_3ELb0ES3_jNS7_6detail15normal_iteratorINS7_7pointerISA_NS7_11hip_rocprim3tagENS7_11use_defaultESJ_EEEEPSB_SM_NS0_5tupleIJPSA_SM_EEENSN_IJSM_SM_EEESB_PlJ10is_orderedEEE10hipError_tPvRmT3_T4_T5_T6_T7_T9_mT8_P12ihipStream_tbDpT10_ENKUlT_T0_E_clISt17integral_constantIbLb0EES1B_IbLb1EEEEDaS17_S18_EUlS17_E_NS1_11comp_targetILNS1_3genE8ELNS1_11target_archE1030ELNS1_3gpuE2ELNS1_3repE0EEENS1_30default_config_static_selectorELNS0_4arch9wavefront6targetE1EEEvT1_,"axG",@progbits,_ZN7rocprim17ROCPRIM_400000_NS6detail17trampoline_kernelINS0_14default_configENS1_25partition_config_selectorILNS1_17partition_subalgoE3EN6thrust23THRUST_200600_302600_NS5tupleIssNS7_9null_typeES9_S9_S9_S9_S9_S9_S9_EENS0_10empty_typeEbEEZZNS1_14partition_implILS5_3ELb0ES3_jNS7_6detail15normal_iteratorINS7_7pointerISA_NS7_11hip_rocprim3tagENS7_11use_defaultESJ_EEEEPSB_SM_NS0_5tupleIJPSA_SM_EEENSN_IJSM_SM_EEESB_PlJ10is_orderedEEE10hipError_tPvRmT3_T4_T5_T6_T7_T9_mT8_P12ihipStream_tbDpT10_ENKUlT_T0_E_clISt17integral_constantIbLb0EES1B_IbLb1EEEEDaS17_S18_EUlS17_E_NS1_11comp_targetILNS1_3genE8ELNS1_11target_archE1030ELNS1_3gpuE2ELNS1_3repE0EEENS1_30default_config_static_selectorELNS0_4arch9wavefront6targetE1EEEvT1_,comdat
.Lfunc_end3560:
	.size	_ZN7rocprim17ROCPRIM_400000_NS6detail17trampoline_kernelINS0_14default_configENS1_25partition_config_selectorILNS1_17partition_subalgoE3EN6thrust23THRUST_200600_302600_NS5tupleIssNS7_9null_typeES9_S9_S9_S9_S9_S9_S9_EENS0_10empty_typeEbEEZZNS1_14partition_implILS5_3ELb0ES3_jNS7_6detail15normal_iteratorINS7_7pointerISA_NS7_11hip_rocprim3tagENS7_11use_defaultESJ_EEEEPSB_SM_NS0_5tupleIJPSA_SM_EEENSN_IJSM_SM_EEESB_PlJ10is_orderedEEE10hipError_tPvRmT3_T4_T5_T6_T7_T9_mT8_P12ihipStream_tbDpT10_ENKUlT_T0_E_clISt17integral_constantIbLb0EES1B_IbLb1EEEEDaS17_S18_EUlS17_E_NS1_11comp_targetILNS1_3genE8ELNS1_11target_archE1030ELNS1_3gpuE2ELNS1_3repE0EEENS1_30default_config_static_selectorELNS0_4arch9wavefront6targetE1EEEvT1_, .Lfunc_end3560-_ZN7rocprim17ROCPRIM_400000_NS6detail17trampoline_kernelINS0_14default_configENS1_25partition_config_selectorILNS1_17partition_subalgoE3EN6thrust23THRUST_200600_302600_NS5tupleIssNS7_9null_typeES9_S9_S9_S9_S9_S9_S9_EENS0_10empty_typeEbEEZZNS1_14partition_implILS5_3ELb0ES3_jNS7_6detail15normal_iteratorINS7_7pointerISA_NS7_11hip_rocprim3tagENS7_11use_defaultESJ_EEEEPSB_SM_NS0_5tupleIJPSA_SM_EEENSN_IJSM_SM_EEESB_PlJ10is_orderedEEE10hipError_tPvRmT3_T4_T5_T6_T7_T9_mT8_P12ihipStream_tbDpT10_ENKUlT_T0_E_clISt17integral_constantIbLb0EES1B_IbLb1EEEEDaS17_S18_EUlS17_E_NS1_11comp_targetILNS1_3genE8ELNS1_11target_archE1030ELNS1_3gpuE2ELNS1_3repE0EEENS1_30default_config_static_selectorELNS0_4arch9wavefront6targetE1EEEvT1_
                                        ; -- End function
	.section	.AMDGPU.csdata,"",@progbits
; Kernel info:
; codeLenInByte = 0
; NumSgprs: 4
; NumVgprs: 0
; NumAgprs: 0
; TotalNumVgprs: 0
; ScratchSize: 0
; MemoryBound: 0
; FloatMode: 240
; IeeeMode: 1
; LDSByteSize: 0 bytes/workgroup (compile time only)
; SGPRBlocks: 0
; VGPRBlocks: 0
; NumSGPRsForWavesPerEU: 4
; NumVGPRsForWavesPerEU: 1
; AccumOffset: 4
; Occupancy: 8
; WaveLimiterHint : 0
; COMPUTE_PGM_RSRC2:SCRATCH_EN: 0
; COMPUTE_PGM_RSRC2:USER_SGPR: 6
; COMPUTE_PGM_RSRC2:TRAP_HANDLER: 0
; COMPUTE_PGM_RSRC2:TGID_X_EN: 1
; COMPUTE_PGM_RSRC2:TGID_Y_EN: 0
; COMPUTE_PGM_RSRC2:TGID_Z_EN: 0
; COMPUTE_PGM_RSRC2:TIDIG_COMP_CNT: 0
; COMPUTE_PGM_RSRC3_GFX90A:ACCUM_OFFSET: 0
; COMPUTE_PGM_RSRC3_GFX90A:TG_SPLIT: 0
	.section	.text._ZN6thrust23THRUST_200600_302600_NS11hip_rocprim14__parallel_for6kernelILj256ENS1_11__transform17unary_transform_fIPNS0_5tupleIssNS0_9null_typeES7_S7_S7_S7_S7_S7_S7_EENS0_12zip_iteratorINS6_INS0_6detail15normal_iteratorINS0_10device_ptrIsEEEESF_S7_S7_S7_S7_S7_S7_S7_S7_EEEENS4_14no_stencil_tagENS0_8identityIS8_EENS4_21always_true_predicateEEElLj1EEEvT0_T1_SO_,"axG",@progbits,_ZN6thrust23THRUST_200600_302600_NS11hip_rocprim14__parallel_for6kernelILj256ENS1_11__transform17unary_transform_fIPNS0_5tupleIssNS0_9null_typeES7_S7_S7_S7_S7_S7_S7_EENS0_12zip_iteratorINS6_INS0_6detail15normal_iteratorINS0_10device_ptrIsEEEESF_S7_S7_S7_S7_S7_S7_S7_S7_EEEENS4_14no_stencil_tagENS0_8identityIS8_EENS4_21always_true_predicateEEElLj1EEEvT0_T1_SO_,comdat
	.protected	_ZN6thrust23THRUST_200600_302600_NS11hip_rocprim14__parallel_for6kernelILj256ENS1_11__transform17unary_transform_fIPNS0_5tupleIssNS0_9null_typeES7_S7_S7_S7_S7_S7_S7_EENS0_12zip_iteratorINS6_INS0_6detail15normal_iteratorINS0_10device_ptrIsEEEESF_S7_S7_S7_S7_S7_S7_S7_S7_EEEENS4_14no_stencil_tagENS0_8identityIS8_EENS4_21always_true_predicateEEElLj1EEEvT0_T1_SO_ ; -- Begin function _ZN6thrust23THRUST_200600_302600_NS11hip_rocprim14__parallel_for6kernelILj256ENS1_11__transform17unary_transform_fIPNS0_5tupleIssNS0_9null_typeES7_S7_S7_S7_S7_S7_S7_EENS0_12zip_iteratorINS6_INS0_6detail15normal_iteratorINS0_10device_ptrIsEEEESF_S7_S7_S7_S7_S7_S7_S7_S7_EEEENS4_14no_stencil_tagENS0_8identityIS8_EENS4_21always_true_predicateEEElLj1EEEvT0_T1_SO_
	.globl	_ZN6thrust23THRUST_200600_302600_NS11hip_rocprim14__parallel_for6kernelILj256ENS1_11__transform17unary_transform_fIPNS0_5tupleIssNS0_9null_typeES7_S7_S7_S7_S7_S7_S7_EENS0_12zip_iteratorINS6_INS0_6detail15normal_iteratorINS0_10device_ptrIsEEEESF_S7_S7_S7_S7_S7_S7_S7_S7_EEEENS4_14no_stencil_tagENS0_8identityIS8_EENS4_21always_true_predicateEEElLj1EEEvT0_T1_SO_
	.p2align	8
	.type	_ZN6thrust23THRUST_200600_302600_NS11hip_rocprim14__parallel_for6kernelILj256ENS1_11__transform17unary_transform_fIPNS0_5tupleIssNS0_9null_typeES7_S7_S7_S7_S7_S7_S7_EENS0_12zip_iteratorINS6_INS0_6detail15normal_iteratorINS0_10device_ptrIsEEEESF_S7_S7_S7_S7_S7_S7_S7_S7_EEEENS4_14no_stencil_tagENS0_8identityIS8_EENS4_21always_true_predicateEEElLj1EEEvT0_T1_SO_,@function
_ZN6thrust23THRUST_200600_302600_NS11hip_rocprim14__parallel_for6kernelILj256ENS1_11__transform17unary_transform_fIPNS0_5tupleIssNS0_9null_typeES7_S7_S7_S7_S7_S7_S7_EENS0_12zip_iteratorINS6_INS0_6detail15normal_iteratorINS0_10device_ptrIsEEEESF_S7_S7_S7_S7_S7_S7_S7_S7_EEEENS4_14no_stencil_tagENS0_8identityIS8_EENS4_21always_true_predicateEEElLj1EEEvT0_T1_SO_: ; @_ZN6thrust23THRUST_200600_302600_NS11hip_rocprim14__parallel_for6kernelILj256ENS1_11__transform17unary_transform_fIPNS0_5tupleIssNS0_9null_typeES7_S7_S7_S7_S7_S7_S7_EENS0_12zip_iteratorINS6_INS0_6detail15normal_iteratorINS0_10device_ptrIsEEEESF_S7_S7_S7_S7_S7_S7_S7_S7_EEEENS4_14no_stencil_tagENS0_8identityIS8_EENS4_21always_true_predicateEEElLj1EEEvT0_T1_SO_
; %bb.0:
	s_load_dwordx4 s[8:11], s[4:5], 0x20
	s_lshl_b32 s0, s6, 8
	v_mov_b32_e32 v2, 0x100
	v_mov_b32_e32 v3, 0
	s_waitcnt lgkmcnt(0)
	s_add_u32 s0, s0, s10
	s_addc_u32 s1, 0, s11
	s_sub_u32 s2, s8, s0
	s_subb_u32 s3, s9, s1
	v_cmp_lt_i64_e32 vcc, s[2:3], v[2:3]
	s_and_b64 s[6:7], vcc, exec
	s_cselect_b32 s6, s2, 0x100
	s_cmpk_eq_i32 s6, 0x100
	s_cselect_b64 s[2:3], -1, 0
	v_cmp_gt_u32_e32 vcc, s6, v0
	s_or_b64 s[2:3], s[2:3], vcc
	s_and_saveexec_b64 s[6:7], s[2:3]
	s_cbranch_execz .LBB3561_2
; %bb.1:
	s_load_dwordx4 s[8:11], s[4:5], 0x0
	s_load_dwordx2 s[2:3], s[4:5], 0x10
	v_mov_b32_e32 v1, s1
	v_add_co_u32_e32 v0, vcc, s0, v0
	v_addc_co_u32_e32 v1, vcc, 0, v1, vcc
	v_lshlrev_b64 v[2:3], 2, v[0:1]
	s_waitcnt lgkmcnt(0)
	v_mov_b32_e32 v4, s9
	v_add_co_u32_e32 v2, vcc, s8, v2
	v_addc_co_u32_e32 v3, vcc, v4, v3, vcc
	global_load_ushort v6, v[2:3], off
	v_lshlrev_b64 v[0:1], 1, v[0:1]
	v_mov_b32_e32 v5, s11
	v_add_co_u32_e32 v4, vcc, s10, v0
	v_addc_co_u32_e32 v5, vcc, v5, v1, vcc
	v_add_co_u32_e32 v0, vcc, s2, v0
	s_waitcnt vmcnt(0)
	global_store_short v[4:5], v6, off
	global_load_ushort v2, v[2:3], off offset:2
	v_mov_b32_e32 v3, s3
	v_addc_co_u32_e32 v1, vcc, v3, v1, vcc
	s_waitcnt vmcnt(0)
	global_store_short v[0:1], v2, off
.LBB3561_2:
	s_endpgm
	.section	.rodata,"a",@progbits
	.p2align	6, 0x0
	.amdhsa_kernel _ZN6thrust23THRUST_200600_302600_NS11hip_rocprim14__parallel_for6kernelILj256ENS1_11__transform17unary_transform_fIPNS0_5tupleIssNS0_9null_typeES7_S7_S7_S7_S7_S7_S7_EENS0_12zip_iteratorINS6_INS0_6detail15normal_iteratorINS0_10device_ptrIsEEEESF_S7_S7_S7_S7_S7_S7_S7_S7_EEEENS4_14no_stencil_tagENS0_8identityIS8_EENS4_21always_true_predicateEEElLj1EEEvT0_T1_SO_
		.amdhsa_group_segment_fixed_size 0
		.amdhsa_private_segment_fixed_size 0
		.amdhsa_kernarg_size 48
		.amdhsa_user_sgpr_count 6
		.amdhsa_user_sgpr_private_segment_buffer 1
		.amdhsa_user_sgpr_dispatch_ptr 0
		.amdhsa_user_sgpr_queue_ptr 0
		.amdhsa_user_sgpr_kernarg_segment_ptr 1
		.amdhsa_user_sgpr_dispatch_id 0
		.amdhsa_user_sgpr_flat_scratch_init 0
		.amdhsa_user_sgpr_kernarg_preload_length 0
		.amdhsa_user_sgpr_kernarg_preload_offset 0
		.amdhsa_user_sgpr_private_segment_size 0
		.amdhsa_uses_dynamic_stack 0
		.amdhsa_system_sgpr_private_segment_wavefront_offset 0
		.amdhsa_system_sgpr_workgroup_id_x 1
		.amdhsa_system_sgpr_workgroup_id_y 0
		.amdhsa_system_sgpr_workgroup_id_z 0
		.amdhsa_system_sgpr_workgroup_info 0
		.amdhsa_system_vgpr_workitem_id 0
		.amdhsa_next_free_vgpr 7
		.amdhsa_next_free_sgpr 12
		.amdhsa_accum_offset 8
		.amdhsa_reserve_vcc 1
		.amdhsa_reserve_flat_scratch 0
		.amdhsa_float_round_mode_32 0
		.amdhsa_float_round_mode_16_64 0
		.amdhsa_float_denorm_mode_32 3
		.amdhsa_float_denorm_mode_16_64 3
		.amdhsa_dx10_clamp 1
		.amdhsa_ieee_mode 1
		.amdhsa_fp16_overflow 0
		.amdhsa_tg_split 0
		.amdhsa_exception_fp_ieee_invalid_op 0
		.amdhsa_exception_fp_denorm_src 0
		.amdhsa_exception_fp_ieee_div_zero 0
		.amdhsa_exception_fp_ieee_overflow 0
		.amdhsa_exception_fp_ieee_underflow 0
		.amdhsa_exception_fp_ieee_inexact 0
		.amdhsa_exception_int_div_zero 0
	.end_amdhsa_kernel
	.section	.text._ZN6thrust23THRUST_200600_302600_NS11hip_rocprim14__parallel_for6kernelILj256ENS1_11__transform17unary_transform_fIPNS0_5tupleIssNS0_9null_typeES7_S7_S7_S7_S7_S7_S7_EENS0_12zip_iteratorINS6_INS0_6detail15normal_iteratorINS0_10device_ptrIsEEEESF_S7_S7_S7_S7_S7_S7_S7_S7_EEEENS4_14no_stencil_tagENS0_8identityIS8_EENS4_21always_true_predicateEEElLj1EEEvT0_T1_SO_,"axG",@progbits,_ZN6thrust23THRUST_200600_302600_NS11hip_rocprim14__parallel_for6kernelILj256ENS1_11__transform17unary_transform_fIPNS0_5tupleIssNS0_9null_typeES7_S7_S7_S7_S7_S7_S7_EENS0_12zip_iteratorINS6_INS0_6detail15normal_iteratorINS0_10device_ptrIsEEEESF_S7_S7_S7_S7_S7_S7_S7_S7_EEEENS4_14no_stencil_tagENS0_8identityIS8_EENS4_21always_true_predicateEEElLj1EEEvT0_T1_SO_,comdat
.Lfunc_end3561:
	.size	_ZN6thrust23THRUST_200600_302600_NS11hip_rocprim14__parallel_for6kernelILj256ENS1_11__transform17unary_transform_fIPNS0_5tupleIssNS0_9null_typeES7_S7_S7_S7_S7_S7_S7_EENS0_12zip_iteratorINS6_INS0_6detail15normal_iteratorINS0_10device_ptrIsEEEESF_S7_S7_S7_S7_S7_S7_S7_S7_EEEENS4_14no_stencil_tagENS0_8identityIS8_EENS4_21always_true_predicateEEElLj1EEEvT0_T1_SO_, .Lfunc_end3561-_ZN6thrust23THRUST_200600_302600_NS11hip_rocprim14__parallel_for6kernelILj256ENS1_11__transform17unary_transform_fIPNS0_5tupleIssNS0_9null_typeES7_S7_S7_S7_S7_S7_S7_EENS0_12zip_iteratorINS6_INS0_6detail15normal_iteratorINS0_10device_ptrIsEEEESF_S7_S7_S7_S7_S7_S7_S7_S7_EEEENS4_14no_stencil_tagENS0_8identityIS8_EENS4_21always_true_predicateEEElLj1EEEvT0_T1_SO_
                                        ; -- End function
	.section	.AMDGPU.csdata,"",@progbits
; Kernel info:
; codeLenInByte = 212
; NumSgprs: 16
; NumVgprs: 7
; NumAgprs: 0
; TotalNumVgprs: 7
; ScratchSize: 0
; MemoryBound: 0
; FloatMode: 240
; IeeeMode: 1
; LDSByteSize: 0 bytes/workgroup (compile time only)
; SGPRBlocks: 1
; VGPRBlocks: 0
; NumSGPRsForWavesPerEU: 16
; NumVGPRsForWavesPerEU: 7
; AccumOffset: 8
; Occupancy: 8
; WaveLimiterHint : 0
; COMPUTE_PGM_RSRC2:SCRATCH_EN: 0
; COMPUTE_PGM_RSRC2:USER_SGPR: 6
; COMPUTE_PGM_RSRC2:TRAP_HANDLER: 0
; COMPUTE_PGM_RSRC2:TGID_X_EN: 1
; COMPUTE_PGM_RSRC2:TGID_Y_EN: 0
; COMPUTE_PGM_RSRC2:TGID_Z_EN: 0
; COMPUTE_PGM_RSRC2:TIDIG_COMP_CNT: 0
; COMPUTE_PGM_RSRC3_GFX90A:ACCUM_OFFSET: 1
; COMPUTE_PGM_RSRC3_GFX90A:TG_SPLIT: 0
	.section	.text._ZN7rocprim17ROCPRIM_400000_NS6detail17trampoline_kernelINS0_14default_configENS1_25partition_config_selectorILNS1_17partition_subalgoE2ExNS0_10empty_typeEbEEZZNS1_14partition_implILS5_2ELb0ES3_jN6thrust23THRUST_200600_302600_NS6detail15normal_iteratorINSA_7pointerIxNSA_11hip_rocprim3tagENSA_11use_defaultESG_EEEEPS6_NSA_18transform_iteratorI10is_orderedNSA_12zip_iteratorINSA_5tupleINSC_INSA_10device_ptrIxEEEESQ_NSA_9null_typeESR_SR_SR_SR_SR_SR_SR_EEEESG_SG_EENS0_5tupleIJPxSJ_EEENSV_IJSJ_SJ_EEES6_PlJS6_EEE10hipError_tPvRmT3_T4_T5_T6_T7_T9_mT8_P12ihipStream_tbDpT10_ENKUlT_T0_E_clISt17integral_constantIbLb0EES1J_EEDaS1E_S1F_EUlS1E_E_NS1_11comp_targetILNS1_3genE0ELNS1_11target_archE4294967295ELNS1_3gpuE0ELNS1_3repE0EEENS1_30default_config_static_selectorELNS0_4arch9wavefront6targetE1EEEvT1_,"axG",@progbits,_ZN7rocprim17ROCPRIM_400000_NS6detail17trampoline_kernelINS0_14default_configENS1_25partition_config_selectorILNS1_17partition_subalgoE2ExNS0_10empty_typeEbEEZZNS1_14partition_implILS5_2ELb0ES3_jN6thrust23THRUST_200600_302600_NS6detail15normal_iteratorINSA_7pointerIxNSA_11hip_rocprim3tagENSA_11use_defaultESG_EEEEPS6_NSA_18transform_iteratorI10is_orderedNSA_12zip_iteratorINSA_5tupleINSC_INSA_10device_ptrIxEEEESQ_NSA_9null_typeESR_SR_SR_SR_SR_SR_SR_EEEESG_SG_EENS0_5tupleIJPxSJ_EEENSV_IJSJ_SJ_EEES6_PlJS6_EEE10hipError_tPvRmT3_T4_T5_T6_T7_T9_mT8_P12ihipStream_tbDpT10_ENKUlT_T0_E_clISt17integral_constantIbLb0EES1J_EEDaS1E_S1F_EUlS1E_E_NS1_11comp_targetILNS1_3genE0ELNS1_11target_archE4294967295ELNS1_3gpuE0ELNS1_3repE0EEENS1_30default_config_static_selectorELNS0_4arch9wavefront6targetE1EEEvT1_,comdat
	.protected	_ZN7rocprim17ROCPRIM_400000_NS6detail17trampoline_kernelINS0_14default_configENS1_25partition_config_selectorILNS1_17partition_subalgoE2ExNS0_10empty_typeEbEEZZNS1_14partition_implILS5_2ELb0ES3_jN6thrust23THRUST_200600_302600_NS6detail15normal_iteratorINSA_7pointerIxNSA_11hip_rocprim3tagENSA_11use_defaultESG_EEEEPS6_NSA_18transform_iteratorI10is_orderedNSA_12zip_iteratorINSA_5tupleINSC_INSA_10device_ptrIxEEEESQ_NSA_9null_typeESR_SR_SR_SR_SR_SR_SR_EEEESG_SG_EENS0_5tupleIJPxSJ_EEENSV_IJSJ_SJ_EEES6_PlJS6_EEE10hipError_tPvRmT3_T4_T5_T6_T7_T9_mT8_P12ihipStream_tbDpT10_ENKUlT_T0_E_clISt17integral_constantIbLb0EES1J_EEDaS1E_S1F_EUlS1E_E_NS1_11comp_targetILNS1_3genE0ELNS1_11target_archE4294967295ELNS1_3gpuE0ELNS1_3repE0EEENS1_30default_config_static_selectorELNS0_4arch9wavefront6targetE1EEEvT1_ ; -- Begin function _ZN7rocprim17ROCPRIM_400000_NS6detail17trampoline_kernelINS0_14default_configENS1_25partition_config_selectorILNS1_17partition_subalgoE2ExNS0_10empty_typeEbEEZZNS1_14partition_implILS5_2ELb0ES3_jN6thrust23THRUST_200600_302600_NS6detail15normal_iteratorINSA_7pointerIxNSA_11hip_rocprim3tagENSA_11use_defaultESG_EEEEPS6_NSA_18transform_iteratorI10is_orderedNSA_12zip_iteratorINSA_5tupleINSC_INSA_10device_ptrIxEEEESQ_NSA_9null_typeESR_SR_SR_SR_SR_SR_SR_EEEESG_SG_EENS0_5tupleIJPxSJ_EEENSV_IJSJ_SJ_EEES6_PlJS6_EEE10hipError_tPvRmT3_T4_T5_T6_T7_T9_mT8_P12ihipStream_tbDpT10_ENKUlT_T0_E_clISt17integral_constantIbLb0EES1J_EEDaS1E_S1F_EUlS1E_E_NS1_11comp_targetILNS1_3genE0ELNS1_11target_archE4294967295ELNS1_3gpuE0ELNS1_3repE0EEENS1_30default_config_static_selectorELNS0_4arch9wavefront6targetE1EEEvT1_
	.globl	_ZN7rocprim17ROCPRIM_400000_NS6detail17trampoline_kernelINS0_14default_configENS1_25partition_config_selectorILNS1_17partition_subalgoE2ExNS0_10empty_typeEbEEZZNS1_14partition_implILS5_2ELb0ES3_jN6thrust23THRUST_200600_302600_NS6detail15normal_iteratorINSA_7pointerIxNSA_11hip_rocprim3tagENSA_11use_defaultESG_EEEEPS6_NSA_18transform_iteratorI10is_orderedNSA_12zip_iteratorINSA_5tupleINSC_INSA_10device_ptrIxEEEESQ_NSA_9null_typeESR_SR_SR_SR_SR_SR_SR_EEEESG_SG_EENS0_5tupleIJPxSJ_EEENSV_IJSJ_SJ_EEES6_PlJS6_EEE10hipError_tPvRmT3_T4_T5_T6_T7_T9_mT8_P12ihipStream_tbDpT10_ENKUlT_T0_E_clISt17integral_constantIbLb0EES1J_EEDaS1E_S1F_EUlS1E_E_NS1_11comp_targetILNS1_3genE0ELNS1_11target_archE4294967295ELNS1_3gpuE0ELNS1_3repE0EEENS1_30default_config_static_selectorELNS0_4arch9wavefront6targetE1EEEvT1_
	.p2align	8
	.type	_ZN7rocprim17ROCPRIM_400000_NS6detail17trampoline_kernelINS0_14default_configENS1_25partition_config_selectorILNS1_17partition_subalgoE2ExNS0_10empty_typeEbEEZZNS1_14partition_implILS5_2ELb0ES3_jN6thrust23THRUST_200600_302600_NS6detail15normal_iteratorINSA_7pointerIxNSA_11hip_rocprim3tagENSA_11use_defaultESG_EEEEPS6_NSA_18transform_iteratorI10is_orderedNSA_12zip_iteratorINSA_5tupleINSC_INSA_10device_ptrIxEEEESQ_NSA_9null_typeESR_SR_SR_SR_SR_SR_SR_EEEESG_SG_EENS0_5tupleIJPxSJ_EEENSV_IJSJ_SJ_EEES6_PlJS6_EEE10hipError_tPvRmT3_T4_T5_T6_T7_T9_mT8_P12ihipStream_tbDpT10_ENKUlT_T0_E_clISt17integral_constantIbLb0EES1J_EEDaS1E_S1F_EUlS1E_E_NS1_11comp_targetILNS1_3genE0ELNS1_11target_archE4294967295ELNS1_3gpuE0ELNS1_3repE0EEENS1_30default_config_static_selectorELNS0_4arch9wavefront6targetE1EEEvT1_,@function
_ZN7rocprim17ROCPRIM_400000_NS6detail17trampoline_kernelINS0_14default_configENS1_25partition_config_selectorILNS1_17partition_subalgoE2ExNS0_10empty_typeEbEEZZNS1_14partition_implILS5_2ELb0ES3_jN6thrust23THRUST_200600_302600_NS6detail15normal_iteratorINSA_7pointerIxNSA_11hip_rocprim3tagENSA_11use_defaultESG_EEEEPS6_NSA_18transform_iteratorI10is_orderedNSA_12zip_iteratorINSA_5tupleINSC_INSA_10device_ptrIxEEEESQ_NSA_9null_typeESR_SR_SR_SR_SR_SR_SR_EEEESG_SG_EENS0_5tupleIJPxSJ_EEENSV_IJSJ_SJ_EEES6_PlJS6_EEE10hipError_tPvRmT3_T4_T5_T6_T7_T9_mT8_P12ihipStream_tbDpT10_ENKUlT_T0_E_clISt17integral_constantIbLb0EES1J_EEDaS1E_S1F_EUlS1E_E_NS1_11comp_targetILNS1_3genE0ELNS1_11target_archE4294967295ELNS1_3gpuE0ELNS1_3repE0EEENS1_30default_config_static_selectorELNS0_4arch9wavefront6targetE1EEEvT1_: ; @_ZN7rocprim17ROCPRIM_400000_NS6detail17trampoline_kernelINS0_14default_configENS1_25partition_config_selectorILNS1_17partition_subalgoE2ExNS0_10empty_typeEbEEZZNS1_14partition_implILS5_2ELb0ES3_jN6thrust23THRUST_200600_302600_NS6detail15normal_iteratorINSA_7pointerIxNSA_11hip_rocprim3tagENSA_11use_defaultESG_EEEEPS6_NSA_18transform_iteratorI10is_orderedNSA_12zip_iteratorINSA_5tupleINSC_INSA_10device_ptrIxEEEESQ_NSA_9null_typeESR_SR_SR_SR_SR_SR_SR_EEEESG_SG_EENS0_5tupleIJPxSJ_EEENSV_IJSJ_SJ_EEES6_PlJS6_EEE10hipError_tPvRmT3_T4_T5_T6_T7_T9_mT8_P12ihipStream_tbDpT10_ENKUlT_T0_E_clISt17integral_constantIbLb0EES1J_EEDaS1E_S1F_EUlS1E_E_NS1_11comp_targetILNS1_3genE0ELNS1_11target_archE4294967295ELNS1_3gpuE0ELNS1_3repE0EEENS1_30default_config_static_selectorELNS0_4arch9wavefront6targetE1EEEvT1_
; %bb.0:
	.section	.rodata,"a",@progbits
	.p2align	6, 0x0
	.amdhsa_kernel _ZN7rocprim17ROCPRIM_400000_NS6detail17trampoline_kernelINS0_14default_configENS1_25partition_config_selectorILNS1_17partition_subalgoE2ExNS0_10empty_typeEbEEZZNS1_14partition_implILS5_2ELb0ES3_jN6thrust23THRUST_200600_302600_NS6detail15normal_iteratorINSA_7pointerIxNSA_11hip_rocprim3tagENSA_11use_defaultESG_EEEEPS6_NSA_18transform_iteratorI10is_orderedNSA_12zip_iteratorINSA_5tupleINSC_INSA_10device_ptrIxEEEESQ_NSA_9null_typeESR_SR_SR_SR_SR_SR_SR_EEEESG_SG_EENS0_5tupleIJPxSJ_EEENSV_IJSJ_SJ_EEES6_PlJS6_EEE10hipError_tPvRmT3_T4_T5_T6_T7_T9_mT8_P12ihipStream_tbDpT10_ENKUlT_T0_E_clISt17integral_constantIbLb0EES1J_EEDaS1E_S1F_EUlS1E_E_NS1_11comp_targetILNS1_3genE0ELNS1_11target_archE4294967295ELNS1_3gpuE0ELNS1_3repE0EEENS1_30default_config_static_selectorELNS0_4arch9wavefront6targetE1EEEvT1_
		.amdhsa_group_segment_fixed_size 0
		.amdhsa_private_segment_fixed_size 0
		.amdhsa_kernarg_size 136
		.amdhsa_user_sgpr_count 6
		.amdhsa_user_sgpr_private_segment_buffer 1
		.amdhsa_user_sgpr_dispatch_ptr 0
		.amdhsa_user_sgpr_queue_ptr 0
		.amdhsa_user_sgpr_kernarg_segment_ptr 1
		.amdhsa_user_sgpr_dispatch_id 0
		.amdhsa_user_sgpr_flat_scratch_init 0
		.amdhsa_user_sgpr_kernarg_preload_length 0
		.amdhsa_user_sgpr_kernarg_preload_offset 0
		.amdhsa_user_sgpr_private_segment_size 0
		.amdhsa_uses_dynamic_stack 0
		.amdhsa_system_sgpr_private_segment_wavefront_offset 0
		.amdhsa_system_sgpr_workgroup_id_x 1
		.amdhsa_system_sgpr_workgroup_id_y 0
		.amdhsa_system_sgpr_workgroup_id_z 0
		.amdhsa_system_sgpr_workgroup_info 0
		.amdhsa_system_vgpr_workitem_id 0
		.amdhsa_next_free_vgpr 1
		.amdhsa_next_free_sgpr 0
		.amdhsa_accum_offset 4
		.amdhsa_reserve_vcc 0
		.amdhsa_reserve_flat_scratch 0
		.amdhsa_float_round_mode_32 0
		.amdhsa_float_round_mode_16_64 0
		.amdhsa_float_denorm_mode_32 3
		.amdhsa_float_denorm_mode_16_64 3
		.amdhsa_dx10_clamp 1
		.amdhsa_ieee_mode 1
		.amdhsa_fp16_overflow 0
		.amdhsa_tg_split 0
		.amdhsa_exception_fp_ieee_invalid_op 0
		.amdhsa_exception_fp_denorm_src 0
		.amdhsa_exception_fp_ieee_div_zero 0
		.amdhsa_exception_fp_ieee_overflow 0
		.amdhsa_exception_fp_ieee_underflow 0
		.amdhsa_exception_fp_ieee_inexact 0
		.amdhsa_exception_int_div_zero 0
	.end_amdhsa_kernel
	.section	.text._ZN7rocprim17ROCPRIM_400000_NS6detail17trampoline_kernelINS0_14default_configENS1_25partition_config_selectorILNS1_17partition_subalgoE2ExNS0_10empty_typeEbEEZZNS1_14partition_implILS5_2ELb0ES3_jN6thrust23THRUST_200600_302600_NS6detail15normal_iteratorINSA_7pointerIxNSA_11hip_rocprim3tagENSA_11use_defaultESG_EEEEPS6_NSA_18transform_iteratorI10is_orderedNSA_12zip_iteratorINSA_5tupleINSC_INSA_10device_ptrIxEEEESQ_NSA_9null_typeESR_SR_SR_SR_SR_SR_SR_EEEESG_SG_EENS0_5tupleIJPxSJ_EEENSV_IJSJ_SJ_EEES6_PlJS6_EEE10hipError_tPvRmT3_T4_T5_T6_T7_T9_mT8_P12ihipStream_tbDpT10_ENKUlT_T0_E_clISt17integral_constantIbLb0EES1J_EEDaS1E_S1F_EUlS1E_E_NS1_11comp_targetILNS1_3genE0ELNS1_11target_archE4294967295ELNS1_3gpuE0ELNS1_3repE0EEENS1_30default_config_static_selectorELNS0_4arch9wavefront6targetE1EEEvT1_,"axG",@progbits,_ZN7rocprim17ROCPRIM_400000_NS6detail17trampoline_kernelINS0_14default_configENS1_25partition_config_selectorILNS1_17partition_subalgoE2ExNS0_10empty_typeEbEEZZNS1_14partition_implILS5_2ELb0ES3_jN6thrust23THRUST_200600_302600_NS6detail15normal_iteratorINSA_7pointerIxNSA_11hip_rocprim3tagENSA_11use_defaultESG_EEEEPS6_NSA_18transform_iteratorI10is_orderedNSA_12zip_iteratorINSA_5tupleINSC_INSA_10device_ptrIxEEEESQ_NSA_9null_typeESR_SR_SR_SR_SR_SR_SR_EEEESG_SG_EENS0_5tupleIJPxSJ_EEENSV_IJSJ_SJ_EEES6_PlJS6_EEE10hipError_tPvRmT3_T4_T5_T6_T7_T9_mT8_P12ihipStream_tbDpT10_ENKUlT_T0_E_clISt17integral_constantIbLb0EES1J_EEDaS1E_S1F_EUlS1E_E_NS1_11comp_targetILNS1_3genE0ELNS1_11target_archE4294967295ELNS1_3gpuE0ELNS1_3repE0EEENS1_30default_config_static_selectorELNS0_4arch9wavefront6targetE1EEEvT1_,comdat
.Lfunc_end3562:
	.size	_ZN7rocprim17ROCPRIM_400000_NS6detail17trampoline_kernelINS0_14default_configENS1_25partition_config_selectorILNS1_17partition_subalgoE2ExNS0_10empty_typeEbEEZZNS1_14partition_implILS5_2ELb0ES3_jN6thrust23THRUST_200600_302600_NS6detail15normal_iteratorINSA_7pointerIxNSA_11hip_rocprim3tagENSA_11use_defaultESG_EEEEPS6_NSA_18transform_iteratorI10is_orderedNSA_12zip_iteratorINSA_5tupleINSC_INSA_10device_ptrIxEEEESQ_NSA_9null_typeESR_SR_SR_SR_SR_SR_SR_EEEESG_SG_EENS0_5tupleIJPxSJ_EEENSV_IJSJ_SJ_EEES6_PlJS6_EEE10hipError_tPvRmT3_T4_T5_T6_T7_T9_mT8_P12ihipStream_tbDpT10_ENKUlT_T0_E_clISt17integral_constantIbLb0EES1J_EEDaS1E_S1F_EUlS1E_E_NS1_11comp_targetILNS1_3genE0ELNS1_11target_archE4294967295ELNS1_3gpuE0ELNS1_3repE0EEENS1_30default_config_static_selectorELNS0_4arch9wavefront6targetE1EEEvT1_, .Lfunc_end3562-_ZN7rocprim17ROCPRIM_400000_NS6detail17trampoline_kernelINS0_14default_configENS1_25partition_config_selectorILNS1_17partition_subalgoE2ExNS0_10empty_typeEbEEZZNS1_14partition_implILS5_2ELb0ES3_jN6thrust23THRUST_200600_302600_NS6detail15normal_iteratorINSA_7pointerIxNSA_11hip_rocprim3tagENSA_11use_defaultESG_EEEEPS6_NSA_18transform_iteratorI10is_orderedNSA_12zip_iteratorINSA_5tupleINSC_INSA_10device_ptrIxEEEESQ_NSA_9null_typeESR_SR_SR_SR_SR_SR_SR_EEEESG_SG_EENS0_5tupleIJPxSJ_EEENSV_IJSJ_SJ_EEES6_PlJS6_EEE10hipError_tPvRmT3_T4_T5_T6_T7_T9_mT8_P12ihipStream_tbDpT10_ENKUlT_T0_E_clISt17integral_constantIbLb0EES1J_EEDaS1E_S1F_EUlS1E_E_NS1_11comp_targetILNS1_3genE0ELNS1_11target_archE4294967295ELNS1_3gpuE0ELNS1_3repE0EEENS1_30default_config_static_selectorELNS0_4arch9wavefront6targetE1EEEvT1_
                                        ; -- End function
	.section	.AMDGPU.csdata,"",@progbits
; Kernel info:
; codeLenInByte = 0
; NumSgprs: 4
; NumVgprs: 0
; NumAgprs: 0
; TotalNumVgprs: 0
; ScratchSize: 0
; MemoryBound: 0
; FloatMode: 240
; IeeeMode: 1
; LDSByteSize: 0 bytes/workgroup (compile time only)
; SGPRBlocks: 0
; VGPRBlocks: 0
; NumSGPRsForWavesPerEU: 4
; NumVGPRsForWavesPerEU: 1
; AccumOffset: 4
; Occupancy: 8
; WaveLimiterHint : 0
; COMPUTE_PGM_RSRC2:SCRATCH_EN: 0
; COMPUTE_PGM_RSRC2:USER_SGPR: 6
; COMPUTE_PGM_RSRC2:TRAP_HANDLER: 0
; COMPUTE_PGM_RSRC2:TGID_X_EN: 1
; COMPUTE_PGM_RSRC2:TGID_Y_EN: 0
; COMPUTE_PGM_RSRC2:TGID_Z_EN: 0
; COMPUTE_PGM_RSRC2:TIDIG_COMP_CNT: 0
; COMPUTE_PGM_RSRC3_GFX90A:ACCUM_OFFSET: 0
; COMPUTE_PGM_RSRC3_GFX90A:TG_SPLIT: 0
	.section	.text._ZN7rocprim17ROCPRIM_400000_NS6detail17trampoline_kernelINS0_14default_configENS1_25partition_config_selectorILNS1_17partition_subalgoE2ExNS0_10empty_typeEbEEZZNS1_14partition_implILS5_2ELb0ES3_jN6thrust23THRUST_200600_302600_NS6detail15normal_iteratorINSA_7pointerIxNSA_11hip_rocprim3tagENSA_11use_defaultESG_EEEEPS6_NSA_18transform_iteratorI10is_orderedNSA_12zip_iteratorINSA_5tupleINSC_INSA_10device_ptrIxEEEESQ_NSA_9null_typeESR_SR_SR_SR_SR_SR_SR_EEEESG_SG_EENS0_5tupleIJPxSJ_EEENSV_IJSJ_SJ_EEES6_PlJS6_EEE10hipError_tPvRmT3_T4_T5_T6_T7_T9_mT8_P12ihipStream_tbDpT10_ENKUlT_T0_E_clISt17integral_constantIbLb0EES1J_EEDaS1E_S1F_EUlS1E_E_NS1_11comp_targetILNS1_3genE5ELNS1_11target_archE942ELNS1_3gpuE9ELNS1_3repE0EEENS1_30default_config_static_selectorELNS0_4arch9wavefront6targetE1EEEvT1_,"axG",@progbits,_ZN7rocprim17ROCPRIM_400000_NS6detail17trampoline_kernelINS0_14default_configENS1_25partition_config_selectorILNS1_17partition_subalgoE2ExNS0_10empty_typeEbEEZZNS1_14partition_implILS5_2ELb0ES3_jN6thrust23THRUST_200600_302600_NS6detail15normal_iteratorINSA_7pointerIxNSA_11hip_rocprim3tagENSA_11use_defaultESG_EEEEPS6_NSA_18transform_iteratorI10is_orderedNSA_12zip_iteratorINSA_5tupleINSC_INSA_10device_ptrIxEEEESQ_NSA_9null_typeESR_SR_SR_SR_SR_SR_SR_EEEESG_SG_EENS0_5tupleIJPxSJ_EEENSV_IJSJ_SJ_EEES6_PlJS6_EEE10hipError_tPvRmT3_T4_T5_T6_T7_T9_mT8_P12ihipStream_tbDpT10_ENKUlT_T0_E_clISt17integral_constantIbLb0EES1J_EEDaS1E_S1F_EUlS1E_E_NS1_11comp_targetILNS1_3genE5ELNS1_11target_archE942ELNS1_3gpuE9ELNS1_3repE0EEENS1_30default_config_static_selectorELNS0_4arch9wavefront6targetE1EEEvT1_,comdat
	.protected	_ZN7rocprim17ROCPRIM_400000_NS6detail17trampoline_kernelINS0_14default_configENS1_25partition_config_selectorILNS1_17partition_subalgoE2ExNS0_10empty_typeEbEEZZNS1_14partition_implILS5_2ELb0ES3_jN6thrust23THRUST_200600_302600_NS6detail15normal_iteratorINSA_7pointerIxNSA_11hip_rocprim3tagENSA_11use_defaultESG_EEEEPS6_NSA_18transform_iteratorI10is_orderedNSA_12zip_iteratorINSA_5tupleINSC_INSA_10device_ptrIxEEEESQ_NSA_9null_typeESR_SR_SR_SR_SR_SR_SR_EEEESG_SG_EENS0_5tupleIJPxSJ_EEENSV_IJSJ_SJ_EEES6_PlJS6_EEE10hipError_tPvRmT3_T4_T5_T6_T7_T9_mT8_P12ihipStream_tbDpT10_ENKUlT_T0_E_clISt17integral_constantIbLb0EES1J_EEDaS1E_S1F_EUlS1E_E_NS1_11comp_targetILNS1_3genE5ELNS1_11target_archE942ELNS1_3gpuE9ELNS1_3repE0EEENS1_30default_config_static_selectorELNS0_4arch9wavefront6targetE1EEEvT1_ ; -- Begin function _ZN7rocprim17ROCPRIM_400000_NS6detail17trampoline_kernelINS0_14default_configENS1_25partition_config_selectorILNS1_17partition_subalgoE2ExNS0_10empty_typeEbEEZZNS1_14partition_implILS5_2ELb0ES3_jN6thrust23THRUST_200600_302600_NS6detail15normal_iteratorINSA_7pointerIxNSA_11hip_rocprim3tagENSA_11use_defaultESG_EEEEPS6_NSA_18transform_iteratorI10is_orderedNSA_12zip_iteratorINSA_5tupleINSC_INSA_10device_ptrIxEEEESQ_NSA_9null_typeESR_SR_SR_SR_SR_SR_SR_EEEESG_SG_EENS0_5tupleIJPxSJ_EEENSV_IJSJ_SJ_EEES6_PlJS6_EEE10hipError_tPvRmT3_T4_T5_T6_T7_T9_mT8_P12ihipStream_tbDpT10_ENKUlT_T0_E_clISt17integral_constantIbLb0EES1J_EEDaS1E_S1F_EUlS1E_E_NS1_11comp_targetILNS1_3genE5ELNS1_11target_archE942ELNS1_3gpuE9ELNS1_3repE0EEENS1_30default_config_static_selectorELNS0_4arch9wavefront6targetE1EEEvT1_
	.globl	_ZN7rocprim17ROCPRIM_400000_NS6detail17trampoline_kernelINS0_14default_configENS1_25partition_config_selectorILNS1_17partition_subalgoE2ExNS0_10empty_typeEbEEZZNS1_14partition_implILS5_2ELb0ES3_jN6thrust23THRUST_200600_302600_NS6detail15normal_iteratorINSA_7pointerIxNSA_11hip_rocprim3tagENSA_11use_defaultESG_EEEEPS6_NSA_18transform_iteratorI10is_orderedNSA_12zip_iteratorINSA_5tupleINSC_INSA_10device_ptrIxEEEESQ_NSA_9null_typeESR_SR_SR_SR_SR_SR_SR_EEEESG_SG_EENS0_5tupleIJPxSJ_EEENSV_IJSJ_SJ_EEES6_PlJS6_EEE10hipError_tPvRmT3_T4_T5_T6_T7_T9_mT8_P12ihipStream_tbDpT10_ENKUlT_T0_E_clISt17integral_constantIbLb0EES1J_EEDaS1E_S1F_EUlS1E_E_NS1_11comp_targetILNS1_3genE5ELNS1_11target_archE942ELNS1_3gpuE9ELNS1_3repE0EEENS1_30default_config_static_selectorELNS0_4arch9wavefront6targetE1EEEvT1_
	.p2align	8
	.type	_ZN7rocprim17ROCPRIM_400000_NS6detail17trampoline_kernelINS0_14default_configENS1_25partition_config_selectorILNS1_17partition_subalgoE2ExNS0_10empty_typeEbEEZZNS1_14partition_implILS5_2ELb0ES3_jN6thrust23THRUST_200600_302600_NS6detail15normal_iteratorINSA_7pointerIxNSA_11hip_rocprim3tagENSA_11use_defaultESG_EEEEPS6_NSA_18transform_iteratorI10is_orderedNSA_12zip_iteratorINSA_5tupleINSC_INSA_10device_ptrIxEEEESQ_NSA_9null_typeESR_SR_SR_SR_SR_SR_SR_EEEESG_SG_EENS0_5tupleIJPxSJ_EEENSV_IJSJ_SJ_EEES6_PlJS6_EEE10hipError_tPvRmT3_T4_T5_T6_T7_T9_mT8_P12ihipStream_tbDpT10_ENKUlT_T0_E_clISt17integral_constantIbLb0EES1J_EEDaS1E_S1F_EUlS1E_E_NS1_11comp_targetILNS1_3genE5ELNS1_11target_archE942ELNS1_3gpuE9ELNS1_3repE0EEENS1_30default_config_static_selectorELNS0_4arch9wavefront6targetE1EEEvT1_,@function
_ZN7rocprim17ROCPRIM_400000_NS6detail17trampoline_kernelINS0_14default_configENS1_25partition_config_selectorILNS1_17partition_subalgoE2ExNS0_10empty_typeEbEEZZNS1_14partition_implILS5_2ELb0ES3_jN6thrust23THRUST_200600_302600_NS6detail15normal_iteratorINSA_7pointerIxNSA_11hip_rocprim3tagENSA_11use_defaultESG_EEEEPS6_NSA_18transform_iteratorI10is_orderedNSA_12zip_iteratorINSA_5tupleINSC_INSA_10device_ptrIxEEEESQ_NSA_9null_typeESR_SR_SR_SR_SR_SR_SR_EEEESG_SG_EENS0_5tupleIJPxSJ_EEENSV_IJSJ_SJ_EEES6_PlJS6_EEE10hipError_tPvRmT3_T4_T5_T6_T7_T9_mT8_P12ihipStream_tbDpT10_ENKUlT_T0_E_clISt17integral_constantIbLb0EES1J_EEDaS1E_S1F_EUlS1E_E_NS1_11comp_targetILNS1_3genE5ELNS1_11target_archE942ELNS1_3gpuE9ELNS1_3repE0EEENS1_30default_config_static_selectorELNS0_4arch9wavefront6targetE1EEEvT1_: ; @_ZN7rocprim17ROCPRIM_400000_NS6detail17trampoline_kernelINS0_14default_configENS1_25partition_config_selectorILNS1_17partition_subalgoE2ExNS0_10empty_typeEbEEZZNS1_14partition_implILS5_2ELb0ES3_jN6thrust23THRUST_200600_302600_NS6detail15normal_iteratorINSA_7pointerIxNSA_11hip_rocprim3tagENSA_11use_defaultESG_EEEEPS6_NSA_18transform_iteratorI10is_orderedNSA_12zip_iteratorINSA_5tupleINSC_INSA_10device_ptrIxEEEESQ_NSA_9null_typeESR_SR_SR_SR_SR_SR_SR_EEEESG_SG_EENS0_5tupleIJPxSJ_EEENSV_IJSJ_SJ_EEES6_PlJS6_EEE10hipError_tPvRmT3_T4_T5_T6_T7_T9_mT8_P12ihipStream_tbDpT10_ENKUlT_T0_E_clISt17integral_constantIbLb0EES1J_EEDaS1E_S1F_EUlS1E_E_NS1_11comp_targetILNS1_3genE5ELNS1_11target_archE942ELNS1_3gpuE9ELNS1_3repE0EEENS1_30default_config_static_selectorELNS0_4arch9wavefront6targetE1EEEvT1_
; %bb.0:
	.section	.rodata,"a",@progbits
	.p2align	6, 0x0
	.amdhsa_kernel _ZN7rocprim17ROCPRIM_400000_NS6detail17trampoline_kernelINS0_14default_configENS1_25partition_config_selectorILNS1_17partition_subalgoE2ExNS0_10empty_typeEbEEZZNS1_14partition_implILS5_2ELb0ES3_jN6thrust23THRUST_200600_302600_NS6detail15normal_iteratorINSA_7pointerIxNSA_11hip_rocprim3tagENSA_11use_defaultESG_EEEEPS6_NSA_18transform_iteratorI10is_orderedNSA_12zip_iteratorINSA_5tupleINSC_INSA_10device_ptrIxEEEESQ_NSA_9null_typeESR_SR_SR_SR_SR_SR_SR_EEEESG_SG_EENS0_5tupleIJPxSJ_EEENSV_IJSJ_SJ_EEES6_PlJS6_EEE10hipError_tPvRmT3_T4_T5_T6_T7_T9_mT8_P12ihipStream_tbDpT10_ENKUlT_T0_E_clISt17integral_constantIbLb0EES1J_EEDaS1E_S1F_EUlS1E_E_NS1_11comp_targetILNS1_3genE5ELNS1_11target_archE942ELNS1_3gpuE9ELNS1_3repE0EEENS1_30default_config_static_selectorELNS0_4arch9wavefront6targetE1EEEvT1_
		.amdhsa_group_segment_fixed_size 0
		.amdhsa_private_segment_fixed_size 0
		.amdhsa_kernarg_size 136
		.amdhsa_user_sgpr_count 6
		.amdhsa_user_sgpr_private_segment_buffer 1
		.amdhsa_user_sgpr_dispatch_ptr 0
		.amdhsa_user_sgpr_queue_ptr 0
		.amdhsa_user_sgpr_kernarg_segment_ptr 1
		.amdhsa_user_sgpr_dispatch_id 0
		.amdhsa_user_sgpr_flat_scratch_init 0
		.amdhsa_user_sgpr_kernarg_preload_length 0
		.amdhsa_user_sgpr_kernarg_preload_offset 0
		.amdhsa_user_sgpr_private_segment_size 0
		.amdhsa_uses_dynamic_stack 0
		.amdhsa_system_sgpr_private_segment_wavefront_offset 0
		.amdhsa_system_sgpr_workgroup_id_x 1
		.amdhsa_system_sgpr_workgroup_id_y 0
		.amdhsa_system_sgpr_workgroup_id_z 0
		.amdhsa_system_sgpr_workgroup_info 0
		.amdhsa_system_vgpr_workitem_id 0
		.amdhsa_next_free_vgpr 1
		.amdhsa_next_free_sgpr 0
		.amdhsa_accum_offset 4
		.amdhsa_reserve_vcc 0
		.amdhsa_reserve_flat_scratch 0
		.amdhsa_float_round_mode_32 0
		.amdhsa_float_round_mode_16_64 0
		.amdhsa_float_denorm_mode_32 3
		.amdhsa_float_denorm_mode_16_64 3
		.amdhsa_dx10_clamp 1
		.amdhsa_ieee_mode 1
		.amdhsa_fp16_overflow 0
		.amdhsa_tg_split 0
		.amdhsa_exception_fp_ieee_invalid_op 0
		.amdhsa_exception_fp_denorm_src 0
		.amdhsa_exception_fp_ieee_div_zero 0
		.amdhsa_exception_fp_ieee_overflow 0
		.amdhsa_exception_fp_ieee_underflow 0
		.amdhsa_exception_fp_ieee_inexact 0
		.amdhsa_exception_int_div_zero 0
	.end_amdhsa_kernel
	.section	.text._ZN7rocprim17ROCPRIM_400000_NS6detail17trampoline_kernelINS0_14default_configENS1_25partition_config_selectorILNS1_17partition_subalgoE2ExNS0_10empty_typeEbEEZZNS1_14partition_implILS5_2ELb0ES3_jN6thrust23THRUST_200600_302600_NS6detail15normal_iteratorINSA_7pointerIxNSA_11hip_rocprim3tagENSA_11use_defaultESG_EEEEPS6_NSA_18transform_iteratorI10is_orderedNSA_12zip_iteratorINSA_5tupleINSC_INSA_10device_ptrIxEEEESQ_NSA_9null_typeESR_SR_SR_SR_SR_SR_SR_EEEESG_SG_EENS0_5tupleIJPxSJ_EEENSV_IJSJ_SJ_EEES6_PlJS6_EEE10hipError_tPvRmT3_T4_T5_T6_T7_T9_mT8_P12ihipStream_tbDpT10_ENKUlT_T0_E_clISt17integral_constantIbLb0EES1J_EEDaS1E_S1F_EUlS1E_E_NS1_11comp_targetILNS1_3genE5ELNS1_11target_archE942ELNS1_3gpuE9ELNS1_3repE0EEENS1_30default_config_static_selectorELNS0_4arch9wavefront6targetE1EEEvT1_,"axG",@progbits,_ZN7rocprim17ROCPRIM_400000_NS6detail17trampoline_kernelINS0_14default_configENS1_25partition_config_selectorILNS1_17partition_subalgoE2ExNS0_10empty_typeEbEEZZNS1_14partition_implILS5_2ELb0ES3_jN6thrust23THRUST_200600_302600_NS6detail15normal_iteratorINSA_7pointerIxNSA_11hip_rocprim3tagENSA_11use_defaultESG_EEEEPS6_NSA_18transform_iteratorI10is_orderedNSA_12zip_iteratorINSA_5tupleINSC_INSA_10device_ptrIxEEEESQ_NSA_9null_typeESR_SR_SR_SR_SR_SR_SR_EEEESG_SG_EENS0_5tupleIJPxSJ_EEENSV_IJSJ_SJ_EEES6_PlJS6_EEE10hipError_tPvRmT3_T4_T5_T6_T7_T9_mT8_P12ihipStream_tbDpT10_ENKUlT_T0_E_clISt17integral_constantIbLb0EES1J_EEDaS1E_S1F_EUlS1E_E_NS1_11comp_targetILNS1_3genE5ELNS1_11target_archE942ELNS1_3gpuE9ELNS1_3repE0EEENS1_30default_config_static_selectorELNS0_4arch9wavefront6targetE1EEEvT1_,comdat
.Lfunc_end3563:
	.size	_ZN7rocprim17ROCPRIM_400000_NS6detail17trampoline_kernelINS0_14default_configENS1_25partition_config_selectorILNS1_17partition_subalgoE2ExNS0_10empty_typeEbEEZZNS1_14partition_implILS5_2ELb0ES3_jN6thrust23THRUST_200600_302600_NS6detail15normal_iteratorINSA_7pointerIxNSA_11hip_rocprim3tagENSA_11use_defaultESG_EEEEPS6_NSA_18transform_iteratorI10is_orderedNSA_12zip_iteratorINSA_5tupleINSC_INSA_10device_ptrIxEEEESQ_NSA_9null_typeESR_SR_SR_SR_SR_SR_SR_EEEESG_SG_EENS0_5tupleIJPxSJ_EEENSV_IJSJ_SJ_EEES6_PlJS6_EEE10hipError_tPvRmT3_T4_T5_T6_T7_T9_mT8_P12ihipStream_tbDpT10_ENKUlT_T0_E_clISt17integral_constantIbLb0EES1J_EEDaS1E_S1F_EUlS1E_E_NS1_11comp_targetILNS1_3genE5ELNS1_11target_archE942ELNS1_3gpuE9ELNS1_3repE0EEENS1_30default_config_static_selectorELNS0_4arch9wavefront6targetE1EEEvT1_, .Lfunc_end3563-_ZN7rocprim17ROCPRIM_400000_NS6detail17trampoline_kernelINS0_14default_configENS1_25partition_config_selectorILNS1_17partition_subalgoE2ExNS0_10empty_typeEbEEZZNS1_14partition_implILS5_2ELb0ES3_jN6thrust23THRUST_200600_302600_NS6detail15normal_iteratorINSA_7pointerIxNSA_11hip_rocprim3tagENSA_11use_defaultESG_EEEEPS6_NSA_18transform_iteratorI10is_orderedNSA_12zip_iteratorINSA_5tupleINSC_INSA_10device_ptrIxEEEESQ_NSA_9null_typeESR_SR_SR_SR_SR_SR_SR_EEEESG_SG_EENS0_5tupleIJPxSJ_EEENSV_IJSJ_SJ_EEES6_PlJS6_EEE10hipError_tPvRmT3_T4_T5_T6_T7_T9_mT8_P12ihipStream_tbDpT10_ENKUlT_T0_E_clISt17integral_constantIbLb0EES1J_EEDaS1E_S1F_EUlS1E_E_NS1_11comp_targetILNS1_3genE5ELNS1_11target_archE942ELNS1_3gpuE9ELNS1_3repE0EEENS1_30default_config_static_selectorELNS0_4arch9wavefront6targetE1EEEvT1_
                                        ; -- End function
	.section	.AMDGPU.csdata,"",@progbits
; Kernel info:
; codeLenInByte = 0
; NumSgprs: 4
; NumVgprs: 0
; NumAgprs: 0
; TotalNumVgprs: 0
; ScratchSize: 0
; MemoryBound: 0
; FloatMode: 240
; IeeeMode: 1
; LDSByteSize: 0 bytes/workgroup (compile time only)
; SGPRBlocks: 0
; VGPRBlocks: 0
; NumSGPRsForWavesPerEU: 4
; NumVGPRsForWavesPerEU: 1
; AccumOffset: 4
; Occupancy: 8
; WaveLimiterHint : 0
; COMPUTE_PGM_RSRC2:SCRATCH_EN: 0
; COMPUTE_PGM_RSRC2:USER_SGPR: 6
; COMPUTE_PGM_RSRC2:TRAP_HANDLER: 0
; COMPUTE_PGM_RSRC2:TGID_X_EN: 1
; COMPUTE_PGM_RSRC2:TGID_Y_EN: 0
; COMPUTE_PGM_RSRC2:TGID_Z_EN: 0
; COMPUTE_PGM_RSRC2:TIDIG_COMP_CNT: 0
; COMPUTE_PGM_RSRC3_GFX90A:ACCUM_OFFSET: 0
; COMPUTE_PGM_RSRC3_GFX90A:TG_SPLIT: 0
	.section	.text._ZN7rocprim17ROCPRIM_400000_NS6detail17trampoline_kernelINS0_14default_configENS1_25partition_config_selectorILNS1_17partition_subalgoE2ExNS0_10empty_typeEbEEZZNS1_14partition_implILS5_2ELb0ES3_jN6thrust23THRUST_200600_302600_NS6detail15normal_iteratorINSA_7pointerIxNSA_11hip_rocprim3tagENSA_11use_defaultESG_EEEEPS6_NSA_18transform_iteratorI10is_orderedNSA_12zip_iteratorINSA_5tupleINSC_INSA_10device_ptrIxEEEESQ_NSA_9null_typeESR_SR_SR_SR_SR_SR_SR_EEEESG_SG_EENS0_5tupleIJPxSJ_EEENSV_IJSJ_SJ_EEES6_PlJS6_EEE10hipError_tPvRmT3_T4_T5_T6_T7_T9_mT8_P12ihipStream_tbDpT10_ENKUlT_T0_E_clISt17integral_constantIbLb0EES1J_EEDaS1E_S1F_EUlS1E_E_NS1_11comp_targetILNS1_3genE4ELNS1_11target_archE910ELNS1_3gpuE8ELNS1_3repE0EEENS1_30default_config_static_selectorELNS0_4arch9wavefront6targetE1EEEvT1_,"axG",@progbits,_ZN7rocprim17ROCPRIM_400000_NS6detail17trampoline_kernelINS0_14default_configENS1_25partition_config_selectorILNS1_17partition_subalgoE2ExNS0_10empty_typeEbEEZZNS1_14partition_implILS5_2ELb0ES3_jN6thrust23THRUST_200600_302600_NS6detail15normal_iteratorINSA_7pointerIxNSA_11hip_rocprim3tagENSA_11use_defaultESG_EEEEPS6_NSA_18transform_iteratorI10is_orderedNSA_12zip_iteratorINSA_5tupleINSC_INSA_10device_ptrIxEEEESQ_NSA_9null_typeESR_SR_SR_SR_SR_SR_SR_EEEESG_SG_EENS0_5tupleIJPxSJ_EEENSV_IJSJ_SJ_EEES6_PlJS6_EEE10hipError_tPvRmT3_T4_T5_T6_T7_T9_mT8_P12ihipStream_tbDpT10_ENKUlT_T0_E_clISt17integral_constantIbLb0EES1J_EEDaS1E_S1F_EUlS1E_E_NS1_11comp_targetILNS1_3genE4ELNS1_11target_archE910ELNS1_3gpuE8ELNS1_3repE0EEENS1_30default_config_static_selectorELNS0_4arch9wavefront6targetE1EEEvT1_,comdat
	.protected	_ZN7rocprim17ROCPRIM_400000_NS6detail17trampoline_kernelINS0_14default_configENS1_25partition_config_selectorILNS1_17partition_subalgoE2ExNS0_10empty_typeEbEEZZNS1_14partition_implILS5_2ELb0ES3_jN6thrust23THRUST_200600_302600_NS6detail15normal_iteratorINSA_7pointerIxNSA_11hip_rocprim3tagENSA_11use_defaultESG_EEEEPS6_NSA_18transform_iteratorI10is_orderedNSA_12zip_iteratorINSA_5tupleINSC_INSA_10device_ptrIxEEEESQ_NSA_9null_typeESR_SR_SR_SR_SR_SR_SR_EEEESG_SG_EENS0_5tupleIJPxSJ_EEENSV_IJSJ_SJ_EEES6_PlJS6_EEE10hipError_tPvRmT3_T4_T5_T6_T7_T9_mT8_P12ihipStream_tbDpT10_ENKUlT_T0_E_clISt17integral_constantIbLb0EES1J_EEDaS1E_S1F_EUlS1E_E_NS1_11comp_targetILNS1_3genE4ELNS1_11target_archE910ELNS1_3gpuE8ELNS1_3repE0EEENS1_30default_config_static_selectorELNS0_4arch9wavefront6targetE1EEEvT1_ ; -- Begin function _ZN7rocprim17ROCPRIM_400000_NS6detail17trampoline_kernelINS0_14default_configENS1_25partition_config_selectorILNS1_17partition_subalgoE2ExNS0_10empty_typeEbEEZZNS1_14partition_implILS5_2ELb0ES3_jN6thrust23THRUST_200600_302600_NS6detail15normal_iteratorINSA_7pointerIxNSA_11hip_rocprim3tagENSA_11use_defaultESG_EEEEPS6_NSA_18transform_iteratorI10is_orderedNSA_12zip_iteratorINSA_5tupleINSC_INSA_10device_ptrIxEEEESQ_NSA_9null_typeESR_SR_SR_SR_SR_SR_SR_EEEESG_SG_EENS0_5tupleIJPxSJ_EEENSV_IJSJ_SJ_EEES6_PlJS6_EEE10hipError_tPvRmT3_T4_T5_T6_T7_T9_mT8_P12ihipStream_tbDpT10_ENKUlT_T0_E_clISt17integral_constantIbLb0EES1J_EEDaS1E_S1F_EUlS1E_E_NS1_11comp_targetILNS1_3genE4ELNS1_11target_archE910ELNS1_3gpuE8ELNS1_3repE0EEENS1_30default_config_static_selectorELNS0_4arch9wavefront6targetE1EEEvT1_
	.globl	_ZN7rocprim17ROCPRIM_400000_NS6detail17trampoline_kernelINS0_14default_configENS1_25partition_config_selectorILNS1_17partition_subalgoE2ExNS0_10empty_typeEbEEZZNS1_14partition_implILS5_2ELb0ES3_jN6thrust23THRUST_200600_302600_NS6detail15normal_iteratorINSA_7pointerIxNSA_11hip_rocprim3tagENSA_11use_defaultESG_EEEEPS6_NSA_18transform_iteratorI10is_orderedNSA_12zip_iteratorINSA_5tupleINSC_INSA_10device_ptrIxEEEESQ_NSA_9null_typeESR_SR_SR_SR_SR_SR_SR_EEEESG_SG_EENS0_5tupleIJPxSJ_EEENSV_IJSJ_SJ_EEES6_PlJS6_EEE10hipError_tPvRmT3_T4_T5_T6_T7_T9_mT8_P12ihipStream_tbDpT10_ENKUlT_T0_E_clISt17integral_constantIbLb0EES1J_EEDaS1E_S1F_EUlS1E_E_NS1_11comp_targetILNS1_3genE4ELNS1_11target_archE910ELNS1_3gpuE8ELNS1_3repE0EEENS1_30default_config_static_selectorELNS0_4arch9wavefront6targetE1EEEvT1_
	.p2align	8
	.type	_ZN7rocprim17ROCPRIM_400000_NS6detail17trampoline_kernelINS0_14default_configENS1_25partition_config_selectorILNS1_17partition_subalgoE2ExNS0_10empty_typeEbEEZZNS1_14partition_implILS5_2ELb0ES3_jN6thrust23THRUST_200600_302600_NS6detail15normal_iteratorINSA_7pointerIxNSA_11hip_rocprim3tagENSA_11use_defaultESG_EEEEPS6_NSA_18transform_iteratorI10is_orderedNSA_12zip_iteratorINSA_5tupleINSC_INSA_10device_ptrIxEEEESQ_NSA_9null_typeESR_SR_SR_SR_SR_SR_SR_EEEESG_SG_EENS0_5tupleIJPxSJ_EEENSV_IJSJ_SJ_EEES6_PlJS6_EEE10hipError_tPvRmT3_T4_T5_T6_T7_T9_mT8_P12ihipStream_tbDpT10_ENKUlT_T0_E_clISt17integral_constantIbLb0EES1J_EEDaS1E_S1F_EUlS1E_E_NS1_11comp_targetILNS1_3genE4ELNS1_11target_archE910ELNS1_3gpuE8ELNS1_3repE0EEENS1_30default_config_static_selectorELNS0_4arch9wavefront6targetE1EEEvT1_,@function
_ZN7rocprim17ROCPRIM_400000_NS6detail17trampoline_kernelINS0_14default_configENS1_25partition_config_selectorILNS1_17partition_subalgoE2ExNS0_10empty_typeEbEEZZNS1_14partition_implILS5_2ELb0ES3_jN6thrust23THRUST_200600_302600_NS6detail15normal_iteratorINSA_7pointerIxNSA_11hip_rocprim3tagENSA_11use_defaultESG_EEEEPS6_NSA_18transform_iteratorI10is_orderedNSA_12zip_iteratorINSA_5tupleINSC_INSA_10device_ptrIxEEEESQ_NSA_9null_typeESR_SR_SR_SR_SR_SR_SR_EEEESG_SG_EENS0_5tupleIJPxSJ_EEENSV_IJSJ_SJ_EEES6_PlJS6_EEE10hipError_tPvRmT3_T4_T5_T6_T7_T9_mT8_P12ihipStream_tbDpT10_ENKUlT_T0_E_clISt17integral_constantIbLb0EES1J_EEDaS1E_S1F_EUlS1E_E_NS1_11comp_targetILNS1_3genE4ELNS1_11target_archE910ELNS1_3gpuE8ELNS1_3repE0EEENS1_30default_config_static_selectorELNS0_4arch9wavefront6targetE1EEEvT1_: ; @_ZN7rocprim17ROCPRIM_400000_NS6detail17trampoline_kernelINS0_14default_configENS1_25partition_config_selectorILNS1_17partition_subalgoE2ExNS0_10empty_typeEbEEZZNS1_14partition_implILS5_2ELb0ES3_jN6thrust23THRUST_200600_302600_NS6detail15normal_iteratorINSA_7pointerIxNSA_11hip_rocprim3tagENSA_11use_defaultESG_EEEEPS6_NSA_18transform_iteratorI10is_orderedNSA_12zip_iteratorINSA_5tupleINSC_INSA_10device_ptrIxEEEESQ_NSA_9null_typeESR_SR_SR_SR_SR_SR_SR_EEEESG_SG_EENS0_5tupleIJPxSJ_EEENSV_IJSJ_SJ_EEES6_PlJS6_EEE10hipError_tPvRmT3_T4_T5_T6_T7_T9_mT8_P12ihipStream_tbDpT10_ENKUlT_T0_E_clISt17integral_constantIbLb0EES1J_EEDaS1E_S1F_EUlS1E_E_NS1_11comp_targetILNS1_3genE4ELNS1_11target_archE910ELNS1_3gpuE8ELNS1_3repE0EEENS1_30default_config_static_selectorELNS0_4arch9wavefront6targetE1EEEvT1_
; %bb.0:
	s_load_dwordx4 s[24:27], s[4:5], 0x8
	s_load_dwordx4 s[20:23], s[4:5], 0x58
	s_load_dwordx2 s[28:29], s[4:5], 0x68
	s_load_dword s0, s[4:5], 0x80
	v_lshlrev_b32_e32 v1, 3, v0
	s_waitcnt lgkmcnt(0)
	s_lshl_b64 s[2:3], s[26:27], 3
	s_add_u32 s7, s24, s2
	s_addc_u32 s8, s25, s3
	s_add_i32 s9, s0, -1
	s_mulk_i32 s0, 0x300
	s_add_i32 s1, s0, s26
	s_sub_i32 s33, s28, s1
	s_addk_i32 s33, 0x300
	s_add_u32 s0, s26, s0
	s_addc_u32 s1, s27, 0
	s_cmp_eq_u32 s6, s9
	s_load_dwordx2 s[30:31], s[22:23], 0x0
	v_pk_mov_b32 v[2:3], s[28:29], s[28:29] op_sel:[0,1]
	s_cselect_b64 s[22:23], -1, 0
	s_cmp_lg_u32 s6, s9
	s_mul_i32 s24, s6, 0x300
	s_mov_b32 s25, 0
	v_cmp_lt_u64_e32 vcc, s[0:1], v[2:3]
	s_cselect_b64 s[0:1], -1, 0
	s_or_b64 s[34:35], s[0:1], vcc
	s_lshl_b64 s[12:13], s[24:25], 3
	s_add_u32 s7, s7, s12
	s_addc_u32 s16, s8, s13
	s_mov_b64 s[0:1], -1
	s_and_b64 vcc, exec, s[34:35]
	v_lshrrev_b32_e32 v10, 2, v0
	s_cbranch_vccz .LBB3564_2
; %bb.1:
	v_mov_b32_e32 v3, s16
	v_add_co_u32_e32 v2, vcc, s7, v1
	v_addc_co_u32_e32 v3, vcc, 0, v3, vcc
	v_add_co_u32_e32 v4, vcc, 0x1000, v2
	v_addc_co_u32_e32 v5, vcc, 0, v3, vcc
	flat_load_dwordx2 v[6:7], v[2:3]
	flat_load_dwordx2 v[8:9], v[2:3] offset:1536
	flat_load_dwordx2 v[12:13], v[2:3] offset:3072
	;; [unrolled: 1-line block ×3, first 2 shown]
	v_add_u32_e32 v3, 0xc0, v0
	v_add_u32_e32 v4, 0x180, v0
	;; [unrolled: 1-line block ×3, first 2 shown]
	v_and_b32_e32 v2, 56, v10
	v_lshrrev_b32_e32 v3, 2, v3
	v_lshrrev_b32_e32 v4, 2, v4
	;; [unrolled: 1-line block ×3, first 2 shown]
	v_add_u32_e32 v2, v2, v1
	v_and_b32_e32 v3, 0x78, v3
	v_and_b32_e32 v4, 0xf8, v4
	;; [unrolled: 1-line block ×3, first 2 shown]
	v_add_u32_e32 v3, v3, v1
	v_add_u32_e32 v4, v4, v1
	;; [unrolled: 1-line block ×3, first 2 shown]
	s_mov_b64 s[0:1], 0
	s_waitcnt vmcnt(0) lgkmcnt(0)
	ds_write_b64 v2, v[6:7]
	ds_write_b64 v3, v[8:9] offset:1536
	ds_write_b64 v4, v[12:13] offset:3072
	;; [unrolled: 1-line block ×3, first 2 shown]
	s_waitcnt lgkmcnt(0)
	s_barrier
.LBB3564_2:
	s_load_dwordx4 s[8:11], s[4:5], 0x20
	s_andn2_b64 vcc, exec, s[0:1]
	v_cmp_gt_u32_e64 s[0:1], s33, v0
	s_cbranch_vccnz .LBB3564_12
; %bb.3:
                                        ; implicit-def: $vgpr2_vgpr3_vgpr4_vgpr5_vgpr6_vgpr7_vgpr8_vgpr9
	s_and_saveexec_b64 s[14:15], s[0:1]
	s_cbranch_execz .LBB3564_5
; %bb.4:
	v_mov_b32_e32 v3, s16
	v_add_co_u32_e32 v2, vcc, s7, v1
	v_addc_co_u32_e32 v3, vcc, 0, v3, vcc
	flat_load_dwordx2 v[2:3], v[2:3]
.LBB3564_5:
	s_or_b64 exec, exec, s[14:15]
	v_add_u32_e32 v11, 0xc0, v0
	v_cmp_gt_u32_e32 vcc, s33, v11
	s_and_saveexec_b64 s[0:1], vcc
	s_cbranch_execz .LBB3564_7
; %bb.6:
	v_mov_b32_e32 v5, s16
	v_add_co_u32_e32 v4, vcc, s7, v1
	v_addc_co_u32_e32 v5, vcc, 0, v5, vcc
	flat_load_dwordx2 v[4:5], v[4:5] offset:1536
.LBB3564_7:
	s_or_b64 exec, exec, s[0:1]
	v_add_u32_e32 v12, 0x180, v0
	v_cmp_gt_u32_e32 vcc, s33, v12
	s_and_saveexec_b64 s[0:1], vcc
	s_cbranch_execz .LBB3564_9
; %bb.8:
	v_mov_b32_e32 v7, s16
	v_add_co_u32_e32 v6, vcc, s7, v1
	v_addc_co_u32_e32 v7, vcc, 0, v7, vcc
	flat_load_dwordx2 v[6:7], v[6:7] offset:3072
.LBB3564_9:
	s_or_b64 exec, exec, s[0:1]
	v_add_u32_e32 v13, 0x240, v0
	v_cmp_gt_u32_e32 vcc, s33, v13
	s_and_saveexec_b64 s[0:1], vcc
	s_cbranch_execz .LBB3564_11
; %bb.10:
	v_lshlrev_b32_e32 v8, 3, v13
	v_mov_b32_e32 v9, s16
	v_add_co_u32_e32 v8, vcc, s7, v8
	v_addc_co_u32_e32 v9, vcc, 0, v9, vcc
	flat_load_dwordx2 v[8:9], v[8:9]
.LBB3564_11:
	s_or_b64 exec, exec, s[0:1]
	v_and_b32_e32 v10, 56, v10
	v_add_u32_e32 v10, v10, v1
	s_waitcnt vmcnt(0) lgkmcnt(0)
	ds_write_b64 v10, v[2:3]
	v_lshrrev_b32_e32 v2, 2, v11
	v_and_b32_e32 v2, 0x78, v2
	v_add_u32_e32 v2, v2, v1
	ds_write_b64 v2, v[4:5] offset:1536
	v_lshrrev_b32_e32 v2, 2, v12
	v_and_b32_e32 v2, 0xf8, v2
	v_add_u32_e32 v2, v2, v1
	ds_write_b64 v2, v[6:7] offset:3072
	;; [unrolled: 4-line block ×3, first 2 shown]
	s_waitcnt lgkmcnt(0)
	s_barrier
.LBB3564_12:
	s_waitcnt lgkmcnt(0)
	s_add_u32 s0, s8, s2
	s_addc_u32 s1, s9, s3
	v_lshlrev_b32_e32 v20, 2, v0
	v_lshrrev_b32_e32 v10, 3, v0
	s_add_u32 s2, s10, s2
	v_add_lshl_u32 v2, v10, v20, 3
	s_addc_u32 s3, s11, s3
	ds_read2_b64 v[6:9], v2 offset1:1
	ds_read2_b64 v[2:5], v2 offset0:2 offset1:3
	s_add_u32 s0, s0, s12
	s_addc_u32 s1, s1, s13
	s_add_u32 s2, s2, s12
	s_addc_u32 s3, s3, s13
	s_mov_b64 s[8:9], -1
	s_and_b64 vcc, exec, s[34:35]
	v_lshrrev_b32_e32 v11, 5, v0
	s_waitcnt lgkmcnt(0)
	s_barrier
	s_cbranch_vccz .LBB3564_14
; %bb.13:
	v_mov_b32_e32 v12, s1
	v_add_co_u32_e32 v21, vcc, s0, v1
	v_addc_co_u32_e32 v27, vcc, 0, v12, vcc
	v_mov_b32_e32 v12, s3
	v_add_co_u32_e32 v28, vcc, s2, v1
	v_addc_co_u32_e32 v29, vcc, 0, v12, vcc
	s_movk_i32 s7, 0x1000
	v_add_co_u32_e32 v26, vcc, s7, v21
	v_addc_co_u32_e32 v27, vcc, 0, v27, vcc
	v_add_co_u32_e32 v28, vcc, s7, v28
	global_load_dwordx2 v[12:13], v1, s[0:1]
	global_load_dwordx2 v[14:15], v1, s[0:1] offset:1536
	global_load_dwordx2 v[16:17], v1, s[2:3]
	global_load_dwordx2 v[18:19], v1, s[0:1] offset:3072
	global_load_dwordx2 v[22:23], v1, s[2:3] offset:1536
	;; [unrolled: 1-line block ×3, first 2 shown]
	v_addc_co_u32_e32 v29, vcc, 0, v29, vcc
	global_load_dwordx2 v[26:27], v[26:27], off offset:512
	v_add_u32_e32 v30, 0xc0, v0
	global_load_dwordx2 v[28:29], v[28:29], off offset:512
	v_add_u32_e32 v31, 0x180, v0
	v_add_u32_e32 v32, 0x240, v0
	v_and_b32_e32 v21, 4, v11
	v_lshrrev_b32_e32 v30, 5, v30
	v_lshrrev_b32_e32 v31, 5, v31
	;; [unrolled: 1-line block ×3, first 2 shown]
	v_add_u32_e32 v21, v21, v0
	v_and_b32_e32 v30, 12, v30
	v_and_b32_e32 v31, 28, v31
	;; [unrolled: 1-line block ×3, first 2 shown]
	v_add_u32_e32 v30, v30, v0
	v_add_u32_e32 v31, v31, v0
	;; [unrolled: 1-line block ×3, first 2 shown]
	s_mov_b64 s[8:9], 0
	s_waitcnt vmcnt(5)
	v_cmp_le_i64_e32 vcc, v[12:13], v[16:17]
	v_cndmask_b32_e64 v12, 0, 1, vcc
	s_waitcnt vmcnt(3)
	v_cmp_le_i64_e32 vcc, v[14:15], v[22:23]
	v_cndmask_b32_e64 v13, 0, 1, vcc
	;; [unrolled: 3-line block ×3, first 2 shown]
	ds_write_b8 v21, v12
	ds_write_b8 v30, v13 offset:192
	ds_write_b8 v31, v14 offset:384
	s_waitcnt vmcnt(0)
	v_cmp_le_i64_e32 vcc, v[26:27], v[28:29]
	v_cndmask_b32_e64 v12, 0, 1, vcc
	ds_write_b8 v32, v12 offset:576
	s_waitcnt lgkmcnt(0)
	s_barrier
.LBB3564_14:
	s_load_dwordx2 s[36:37], s[4:5], 0x78
	s_andn2_b64 vcc, exec, s[8:9]
	s_cbranch_vccnz .LBB3564_24
; %bb.15:
	v_cmp_gt_u32_e32 vcc, s33, v0
	v_mov_b32_e32 v12, 0
	v_mov_b32_e32 v13, 0
	s_and_saveexec_b64 s[8:9], vcc
	s_cbranch_execz .LBB3564_17
; %bb.16:
	global_load_dwordx2 v[14:15], v1, s[0:1]
	global_load_dwordx2 v[16:17], v1, s[2:3]
	s_waitcnt vmcnt(0)
	v_cmp_le_i64_e32 vcc, v[14:15], v[16:17]
	v_cndmask_b32_e64 v13, 0, 1, vcc
.LBB3564_17:
	s_or_b64 exec, exec, s[8:9]
	v_add_u32_e32 v14, 0xc0, v0
	v_cmp_gt_u32_e32 vcc, s33, v14
	s_and_saveexec_b64 s[8:9], vcc
	s_cbranch_execz .LBB3564_19
; %bb.18:
	global_load_dwordx2 v[16:17], v1, s[0:1] offset:1536
	global_load_dwordx2 v[18:19], v1, s[2:3] offset:1536
	s_waitcnt vmcnt(0)
	v_cmp_le_i64_e32 vcc, v[16:17], v[18:19]
	v_cndmask_b32_e64 v12, 0, 1, vcc
.LBB3564_19:
	s_or_b64 exec, exec, s[8:9]
	v_add_u32_e32 v15, 0x180, v0
	v_cmp_gt_u32_e32 vcc, s33, v15
	v_mov_b32_e32 v16, 0
	v_mov_b32_e32 v17, 0
	s_and_saveexec_b64 s[8:9], vcc
	s_cbranch_execz .LBB3564_21
; %bb.20:
	global_load_dwordx2 v[18:19], v1, s[0:1] offset:3072
	global_load_dwordx2 v[22:23], v1, s[2:3] offset:3072
	s_waitcnt vmcnt(0)
	v_cmp_le_i64_e32 vcc, v[18:19], v[22:23]
	v_cndmask_b32_e64 v17, 0, 1, vcc
.LBB3564_21:
	s_or_b64 exec, exec, s[8:9]
	v_add_u32_e32 v18, 0x240, v0
	v_cmp_gt_u32_e32 vcc, s33, v18
	s_and_saveexec_b64 s[8:9], vcc
	s_cbranch_execz .LBB3564_23
; %bb.22:
	v_lshlrev_b32_e32 v16, 3, v18
	global_load_dwordx2 v[22:23], v16, s[0:1]
	global_load_dwordx2 v[24:25], v16, s[2:3]
	s_waitcnt vmcnt(0)
	v_cmp_le_i64_e32 vcc, v[22:23], v[24:25]
	v_cndmask_b32_e64 v16, 0, 1, vcc
.LBB3564_23:
	s_or_b64 exec, exec, s[8:9]
	v_and_b32_e32 v11, 4, v11
	v_add_u32_e32 v11, v11, v0
	ds_write_b8 v11, v13
	v_lshrrev_b32_e32 v11, 5, v14
	v_and_b32_e32 v11, 12, v11
	v_add_u32_e32 v11, v11, v0
	ds_write_b8 v11, v12 offset:192
	v_lshrrev_b32_e32 v11, 5, v15
	v_and_b32_e32 v11, 28, v11
	v_add_u32_e32 v11, v11, v0
	ds_write_b8 v11, v17 offset:384
	;; [unrolled: 4-line block ×3, first 2 shown]
	s_waitcnt lgkmcnt(0)
	s_barrier
.LBB3564_24:
	v_and_b32_e32 v10, 28, v10
	v_add_u32_e32 v10, v10, v20
	s_waitcnt lgkmcnt(0)
	ds_read_b32 v22, v10
	s_cmp_lg_u32 s6, 0
	v_lshrrev_b32_e32 v25, 6, v0
	s_waitcnt lgkmcnt(0)
	s_barrier
	v_lshrrev_b32_e32 v21, 24, v22
	v_bfe_u32 v23, v22, 16, 8
	v_add_u32_sdwa v10, v22, v22 dst_sel:DWORD dst_unused:UNUSED_PAD src0_sel:BYTE_1 src1_sel:BYTE_0
	v_add3_u32 v26, v10, v23, v21
	v_mbcnt_lo_u32_b32 v10, -1, 0
	v_mbcnt_hi_u32_b32 v24, -1, v10
	v_and_b32_e32 v10, 15, v24
	v_cmp_eq_u32_e64 s[14:15], 0, v10
	v_cmp_lt_u32_e64 s[12:13], 1, v10
	v_cmp_lt_u32_e64 s[10:11], 3, v10
	;; [unrolled: 1-line block ×3, first 2 shown]
	v_and_b32_e32 v10, 16, v24
	v_cmp_eq_u32_e64 s[2:3], 0, v10
	v_and_b32_e32 v10, 0xc0, v0
	v_min_u32_e32 v10, 0x80, v10
	v_or_b32_e32 v10, 63, v10
	v_cmp_lt_u32_e64 s[0:1], 31, v24
	v_cmp_eq_u32_e64 s[18:19], v10, v0
	s_cbranch_scc0 .LBB3564_51
; %bb.25:
	v_mov_b32_dpp v10, v26 row_shr:1 row_mask:0xf bank_mask:0xf
	v_cndmask_b32_e64 v10, v10, 0, s[14:15]
	v_add_u32_e32 v10, v10, v26
	s_nop 1
	v_mov_b32_dpp v11, v10 row_shr:2 row_mask:0xf bank_mask:0xf
	v_cndmask_b32_e64 v11, 0, v11, s[12:13]
	v_add_u32_e32 v10, v10, v11
	s_nop 1
	v_mov_b32_dpp v11, v10 row_shr:4 row_mask:0xf bank_mask:0xf
	v_cndmask_b32_e64 v11, 0, v11, s[10:11]
	v_add_u32_e32 v10, v10, v11
	s_nop 1
	v_mov_b32_dpp v11, v10 row_shr:8 row_mask:0xf bank_mask:0xf
	v_cndmask_b32_e64 v11, 0, v11, s[8:9]
	v_add_u32_e32 v10, v10, v11
	s_nop 1
	v_mov_b32_dpp v11, v10 row_bcast:15 row_mask:0xf bank_mask:0xf
	v_cndmask_b32_e64 v11, v11, 0, s[2:3]
	v_add_u32_e32 v10, v10, v11
	s_nop 1
	v_mov_b32_dpp v11, v10 row_bcast:31 row_mask:0xf bank_mask:0xf
	v_cndmask_b32_e64 v11, 0, v11, s[0:1]
	v_add_u32_e32 v10, v10, v11
	s_and_saveexec_b64 s[16:17], s[18:19]
	s_cbranch_execz .LBB3564_27
; %bb.26:
	v_lshlrev_b32_e32 v11, 2, v25
	ds_write_b32 v11, v10
.LBB3564_27:
	s_or_b64 exec, exec, s[16:17]
	v_cmp_gt_u32_e32 vcc, 3, v0
	s_waitcnt lgkmcnt(0)
	s_barrier
	s_and_saveexec_b64 s[16:17], vcc
	s_cbranch_execz .LBB3564_29
; %bb.28:
	ds_read_b32 v11, v20
	v_and_b32_e32 v12, 3, v24
	v_cmp_ne_u32_e32 vcc, 0, v12
	s_waitcnt lgkmcnt(0)
	v_mov_b32_dpp v13, v11 row_shr:1 row_mask:0xf bank_mask:0xf
	v_cndmask_b32_e32 v13, 0, v13, vcc
	v_add_u32_e32 v11, v13, v11
	v_cmp_lt_u32_e32 vcc, 1, v12
	s_nop 0
	v_mov_b32_dpp v13, v11 row_shr:2 row_mask:0xf bank_mask:0xf
	v_cndmask_b32_e32 v12, 0, v13, vcc
	v_add_u32_e32 v11, v11, v12
	ds_write_b32 v20, v11
.LBB3564_29:
	s_or_b64 exec, exec, s[16:17]
	v_cmp_gt_u32_e32 vcc, 64, v0
	v_cmp_lt_u32_e64 s[16:17], 63, v0
	s_waitcnt lgkmcnt(0)
	s_barrier
	s_waitcnt lgkmcnt(0)
                                        ; implicit-def: $vgpr27
	s_and_saveexec_b64 s[38:39], s[16:17]
	s_cbranch_execz .LBB3564_31
; %bb.30:
	v_lshl_add_u32 v11, v25, 2, -4
	ds_read_b32 v27, v11
	s_waitcnt lgkmcnt(0)
	v_add_u32_e32 v10, v27, v10
.LBB3564_31:
	s_or_b64 exec, exec, s[38:39]
	v_add_u32_e32 v11, -1, v24
	v_and_b32_e32 v12, 64, v24
	v_cmp_lt_i32_e64 s[16:17], v11, v12
	v_cndmask_b32_e64 v11, v11, v24, s[16:17]
	v_lshlrev_b32_e32 v11, 2, v11
	ds_bpermute_b32 v28, v11, v10
	v_cmp_eq_u32_e64 s[16:17], 0, v24
	s_and_saveexec_b64 s[38:39], vcc
	s_cbranch_execz .LBB3564_50
; %bb.32:
	v_mov_b32_e32 v17, 0
	ds_read_b32 v10, v17 offset:8
	s_and_saveexec_b64 s[40:41], s[16:17]
	s_cbranch_execz .LBB3564_34
; %bb.33:
	s_add_i32 s42, s6, 64
	s_mov_b32 s43, 0
	s_lshl_b64 s[42:43], s[42:43], 3
	s_add_u32 s42, s36, s42
	v_mov_b32_e32 v11, 1
	s_addc_u32 s43, s37, s43
	s_waitcnt lgkmcnt(0)
	global_store_dwordx2 v17, v[10:11], s[42:43]
.LBB3564_34:
	s_or_b64 exec, exec, s[40:41]
	v_xad_u32 v12, v24, -1, s6
	v_add_u32_e32 v16, 64, v12
	v_lshlrev_b64 v[14:15], 3, v[16:17]
	v_mov_b32_e32 v11, s37
	v_add_co_u32_e32 v18, vcc, s36, v14
	v_addc_co_u32_e32 v19, vcc, v11, v15, vcc
	global_load_dwordx2 v[14:15], v[18:19], off glc
	s_waitcnt vmcnt(0)
	v_cmp_eq_u16_sdwa s[42:43], v15, v17 src0_sel:BYTE_0 src1_sel:DWORD
	s_and_saveexec_b64 s[40:41], s[42:43]
	s_cbranch_execz .LBB3564_38
; %bb.35:
	s_mov_b64 s[42:43], 0
	v_mov_b32_e32 v11, 0
.LBB3564_36:                            ; =>This Inner Loop Header: Depth=1
	global_load_dwordx2 v[14:15], v[18:19], off glc
	s_waitcnt vmcnt(0)
	v_cmp_ne_u16_sdwa s[44:45], v15, v11 src0_sel:BYTE_0 src1_sel:DWORD
	s_or_b64 s[42:43], s[44:45], s[42:43]
	s_andn2_b64 exec, exec, s[42:43]
	s_cbranch_execnz .LBB3564_36
; %bb.37:
	s_or_b64 exec, exec, s[42:43]
.LBB3564_38:
	s_or_b64 exec, exec, s[40:41]
	v_and_b32_e32 v30, 63, v24
	v_mov_b32_e32 v29, 2
	v_cmp_ne_u32_e32 vcc, 63, v30
	v_cmp_eq_u16_sdwa s[40:41], v15, v29 src0_sel:BYTE_0 src1_sel:DWORD
	v_lshlrev_b64 v[16:17], v24, -1
	v_addc_co_u32_e32 v18, vcc, 0, v24, vcc
	v_and_b32_e32 v11, s41, v17
	v_lshlrev_b32_e32 v31, 2, v18
	v_or_b32_e32 v11, 0x80000000, v11
	ds_bpermute_b32 v18, v31, v14
	v_and_b32_e32 v13, s40, v16
	v_ffbl_b32_e32 v11, v11
	v_add_u32_e32 v11, 32, v11
	v_ffbl_b32_e32 v13, v13
	v_min_u32_e32 v11, v13, v11
	v_cmp_lt_u32_e32 vcc, v30, v11
	s_waitcnt lgkmcnt(0)
	v_cndmask_b32_e32 v13, 0, v18, vcc
	v_cmp_gt_u32_e32 vcc, 62, v30
	v_add_u32_e32 v13, v13, v14
	v_cndmask_b32_e64 v14, 0, 1, vcc
	v_lshlrev_b32_e32 v14, 1, v14
	v_add_lshl_u32 v32, v14, v24, 2
	ds_bpermute_b32 v14, v32, v13
	v_add_u32_e32 v33, 2, v30
	v_cmp_le_u32_e32 vcc, v33, v11
	v_add_u32_e32 v35, 4, v30
	v_add_u32_e32 v37, 8, v30
	s_waitcnt lgkmcnt(0)
	v_cndmask_b32_e32 v14, 0, v14, vcc
	v_cmp_gt_u32_e32 vcc, 60, v30
	v_add_u32_e32 v13, v13, v14
	v_cndmask_b32_e64 v14, 0, 1, vcc
	v_lshlrev_b32_e32 v14, 2, v14
	v_add_lshl_u32 v34, v14, v24, 2
	ds_bpermute_b32 v14, v34, v13
	v_cmp_le_u32_e32 vcc, v35, v11
	v_add_u32_e32 v39, 16, v30
	v_add_u32_e32 v41, 32, v30
	s_waitcnt lgkmcnt(0)
	v_cndmask_b32_e32 v14, 0, v14, vcc
	v_cmp_gt_u32_e32 vcc, 56, v30
	v_add_u32_e32 v13, v13, v14
	v_cndmask_b32_e64 v14, 0, 1, vcc
	v_lshlrev_b32_e32 v14, 3, v14
	v_add_lshl_u32 v36, v14, v24, 2
	ds_bpermute_b32 v14, v36, v13
	v_cmp_le_u32_e32 vcc, v37, v11
	s_waitcnt lgkmcnt(0)
	v_cndmask_b32_e32 v14, 0, v14, vcc
	v_cmp_gt_u32_e32 vcc, 48, v30
	v_add_u32_e32 v13, v13, v14
	v_cndmask_b32_e64 v14, 0, 1, vcc
	v_lshlrev_b32_e32 v14, 4, v14
	v_add_lshl_u32 v38, v14, v24, 2
	ds_bpermute_b32 v14, v38, v13
	v_cmp_le_u32_e32 vcc, v39, v11
	;; [unrolled: 9-line block ×3, first 2 shown]
	s_waitcnt lgkmcnt(0)
	v_cndmask_b32_e32 v11, 0, v14, vcc
	v_add_u32_e32 v14, v13, v11
	v_mov_b32_e32 v13, 0
	s_branch .LBB3564_40
.LBB3564_39:                            ;   in Loop: Header=BB3564_40 Depth=1
	s_or_b64 exec, exec, s[40:41]
	v_cmp_eq_u16_sdwa s[40:41], v15, v29 src0_sel:BYTE_0 src1_sel:DWORD
	v_and_b32_e32 v18, s41, v17
	v_or_b32_e32 v18, 0x80000000, v18
	ds_bpermute_b32 v42, v31, v14
	v_and_b32_e32 v19, s40, v16
	v_ffbl_b32_e32 v18, v18
	v_add_u32_e32 v18, 32, v18
	v_ffbl_b32_e32 v19, v19
	v_min_u32_e32 v18, v19, v18
	v_cmp_lt_u32_e32 vcc, v30, v18
	s_waitcnt lgkmcnt(0)
	v_cndmask_b32_e32 v19, 0, v42, vcc
	v_add_u32_e32 v14, v19, v14
	ds_bpermute_b32 v19, v32, v14
	v_cmp_le_u32_e32 vcc, v33, v18
	v_subrev_u32_e32 v12, 64, v12
	s_waitcnt lgkmcnt(0)
	v_cndmask_b32_e32 v19, 0, v19, vcc
	v_add_u32_e32 v14, v14, v19
	ds_bpermute_b32 v19, v34, v14
	v_cmp_le_u32_e32 vcc, v35, v18
	s_waitcnt lgkmcnt(0)
	v_cndmask_b32_e32 v19, 0, v19, vcc
	v_add_u32_e32 v14, v14, v19
	ds_bpermute_b32 v19, v36, v14
	v_cmp_le_u32_e32 vcc, v37, v18
	;; [unrolled: 5-line block ×4, first 2 shown]
	s_waitcnt lgkmcnt(0)
	v_cndmask_b32_e32 v18, 0, v19, vcc
	v_add3_u32 v14, v18, v11, v14
.LBB3564_40:                            ; =>This Loop Header: Depth=1
                                        ;     Child Loop BB3564_43 Depth 2
	v_cmp_ne_u16_sdwa s[40:41], v15, v29 src0_sel:BYTE_0 src1_sel:DWORD
	v_cndmask_b32_e64 v11, 0, 1, s[40:41]
	;;#ASMSTART
	;;#ASMEND
	v_cmp_ne_u32_e32 vcc, 0, v11
	s_cmp_lg_u64 vcc, exec
	v_mov_b32_e32 v11, v14
	s_cbranch_scc1 .LBB3564_45
; %bb.41:                               ;   in Loop: Header=BB3564_40 Depth=1
	v_lshlrev_b64 v[14:15], 3, v[12:13]
	v_mov_b32_e32 v19, s37
	v_add_co_u32_e32 v18, vcc, s36, v14
	v_addc_co_u32_e32 v19, vcc, v19, v15, vcc
	global_load_dwordx2 v[14:15], v[18:19], off glc
	s_waitcnt vmcnt(0)
	v_cmp_eq_u16_sdwa s[42:43], v15, v13 src0_sel:BYTE_0 src1_sel:DWORD
	s_and_saveexec_b64 s[40:41], s[42:43]
	s_cbranch_execz .LBB3564_39
; %bb.42:                               ;   in Loop: Header=BB3564_40 Depth=1
	s_mov_b64 s[42:43], 0
.LBB3564_43:                            ;   Parent Loop BB3564_40 Depth=1
                                        ; =>  This Inner Loop Header: Depth=2
	global_load_dwordx2 v[14:15], v[18:19], off glc
	s_waitcnt vmcnt(0)
	v_cmp_ne_u16_sdwa s[44:45], v15, v13 src0_sel:BYTE_0 src1_sel:DWORD
	s_or_b64 s[42:43], s[44:45], s[42:43]
	s_andn2_b64 exec, exec, s[42:43]
	s_cbranch_execnz .LBB3564_43
; %bb.44:                               ;   in Loop: Header=BB3564_40 Depth=1
	s_or_b64 exec, exec, s[42:43]
	s_branch .LBB3564_39
.LBB3564_45:                            ;   in Loop: Header=BB3564_40 Depth=1
                                        ; implicit-def: $vgpr14
                                        ; implicit-def: $vgpr15
	s_cbranch_execz .LBB3564_40
; %bb.46:
	s_and_saveexec_b64 s[40:41], s[16:17]
	s_cbranch_execz .LBB3564_48
; %bb.47:
	s_add_i32 s6, s6, 64
	s_mov_b32 s7, 0
	s_lshl_b64 s[6:7], s[6:7], 3
	s_add_u32 s6, s36, s6
	v_add_u32_e32 v12, v11, v10
	v_mov_b32_e32 v13, 2
	s_addc_u32 s7, s37, s7
	v_mov_b32_e32 v14, 0
	global_store_dwordx2 v14, v[12:13], s[6:7]
	ds_write_b64 v14, v[10:11] offset:6336
.LBB3564_48:
	s_or_b64 exec, exec, s[40:41]
	v_cmp_eq_u32_e32 vcc, 0, v0
	s_and_b64 exec, exec, vcc
	s_cbranch_execz .LBB3564_50
; %bb.49:
	v_mov_b32_e32 v10, 0
	ds_write_b32 v10, v11 offset:8
.LBB3564_50:
	s_or_b64 exec, exec, s[38:39]
	v_mov_b32_e32 v10, 0
	s_waitcnt lgkmcnt(0)
	s_barrier
	ds_read_b32 v11, v10 offset:8
	v_cndmask_b32_e64 v12, v28, v27, s[16:17]
	v_cmp_ne_u32_e32 vcc, 0, v0
	v_cndmask_b32_e32 v12, 0, v12, vcc
	s_waitcnt lgkmcnt(0)
	v_add_u32_e32 v14, v11, v12
	s_barrier
	ds_read_b64 v[10:11], v10 offset:6336
	v_add_u32_sdwa v15, v14, v22 dst_sel:DWORD dst_unused:UNUSED_PAD src0_sel:DWORD src1_sel:BYTE_0
	v_add_u32_sdwa v13, v15, v22 dst_sel:DWORD dst_unused:UNUSED_PAD src0_sel:DWORD src1_sel:BYTE_1
	v_add_u32_e32 v12, v13, v23
	s_load_dwordx2 s[4:5], s[4:5], 0x38
	s_branch .LBB3564_61
.LBB3564_51:
                                        ; implicit-def: $vgpr11
                                        ; implicit-def: $vgpr12
                                        ; implicit-def: $vgpr13
                                        ; implicit-def: $vgpr15
                                        ; implicit-def: $vgpr14
	s_load_dwordx2 s[4:5], s[4:5], 0x38
	s_cbranch_execz .LBB3564_61
; %bb.52:
	s_waitcnt lgkmcnt(0)
	v_mov_b32_dpp v10, v26 row_shr:1 row_mask:0xf bank_mask:0xf
	v_cndmask_b32_e64 v10, v10, 0, s[14:15]
	v_add_u32_e32 v10, v10, v26
	s_nop 1
	v_mov_b32_dpp v11, v10 row_shr:2 row_mask:0xf bank_mask:0xf
	v_cndmask_b32_e64 v11, 0, v11, s[12:13]
	v_add_u32_e32 v10, v10, v11
	s_nop 1
	;; [unrolled: 4-line block ×4, first 2 shown]
	v_mov_b32_dpp v11, v10 row_bcast:15 row_mask:0xf bank_mask:0xf
	v_cndmask_b32_e64 v11, v11, 0, s[2:3]
	v_add_u32_e32 v10, v10, v11
	s_nop 1
	v_mov_b32_dpp v11, v10 row_bcast:31 row_mask:0xf bank_mask:0xf
	v_cndmask_b32_e64 v11, 0, v11, s[0:1]
	v_add_u32_e32 v10, v10, v11
	s_and_saveexec_b64 s[0:1], s[18:19]
	s_cbranch_execz .LBB3564_54
; %bb.53:
	v_lshlrev_b32_e32 v11, 2, v25
	ds_write_b32 v11, v10
.LBB3564_54:
	s_or_b64 exec, exec, s[0:1]
	v_cmp_gt_u32_e32 vcc, 3, v0
	s_waitcnt lgkmcnt(0)
	s_barrier
	s_and_saveexec_b64 s[0:1], vcc
	s_cbranch_execz .LBB3564_56
; %bb.55:
	ds_read_b32 v11, v20
	v_and_b32_e32 v12, 3, v24
	v_cmp_ne_u32_e32 vcc, 0, v12
	s_waitcnt lgkmcnt(0)
	v_mov_b32_dpp v13, v11 row_shr:1 row_mask:0xf bank_mask:0xf
	v_cndmask_b32_e32 v13, 0, v13, vcc
	v_add_u32_e32 v11, v13, v11
	v_cmp_lt_u32_e32 vcc, 1, v12
	s_nop 0
	v_mov_b32_dpp v13, v11 row_shr:2 row_mask:0xf bank_mask:0xf
	v_cndmask_b32_e32 v12, 0, v13, vcc
	v_add_u32_e32 v11, v11, v12
	ds_write_b32 v20, v11
.LBB3564_56:
	s_or_b64 exec, exec, s[0:1]
	v_cmp_lt_u32_e32 vcc, 63, v0
	v_mov_b32_e32 v11, 0
	v_mov_b32_e32 v12, 0
	s_waitcnt lgkmcnt(0)
	s_barrier
	s_and_saveexec_b64 s[0:1], vcc
	s_cbranch_execz .LBB3564_58
; %bb.57:
	v_lshl_add_u32 v12, v25, 2, -4
	ds_read_b32 v12, v12
.LBB3564_58:
	s_or_b64 exec, exec, s[0:1]
	v_add_u32_e32 v13, -1, v24
	v_and_b32_e32 v14, 64, v24
	v_cmp_lt_i32_e32 vcc, v13, v14
	v_cndmask_b32_e32 v13, v13, v24, vcc
	s_waitcnt lgkmcnt(0)
	v_add_u32_e32 v10, v12, v10
	v_lshlrev_b32_e32 v13, 2, v13
	ds_bpermute_b32 v13, v13, v10
	ds_read_b32 v10, v11 offset:8
	v_cmp_eq_u32_e32 vcc, 0, v0
	s_and_saveexec_b64 s[0:1], vcc
	s_cbranch_execz .LBB3564_60
; %bb.59:
	v_mov_b32_e32 v14, 0
	v_mov_b32_e32 v11, 2
	s_waitcnt lgkmcnt(0)
	global_store_dwordx2 v14, v[10:11], s[36:37] offset:512
.LBB3564_60:
	s_or_b64 exec, exec, s[0:1]
	v_cmp_eq_u32_e64 s[0:1], 0, v24
	s_waitcnt lgkmcnt(1)
	v_cndmask_b32_e64 v12, v13, v12, s[0:1]
	v_cndmask_b32_e64 v14, v12, 0, vcc
	v_add_u32_sdwa v15, v14, v22 dst_sel:DWORD dst_unused:UNUSED_PAD src0_sel:DWORD src1_sel:BYTE_0
	v_add_u32_sdwa v13, v15, v22 dst_sel:DWORD dst_unused:UNUSED_PAD src0_sel:DWORD src1_sel:BYTE_1
	v_mov_b32_e32 v11, 0
	v_add_u32_e32 v12, v13, v23
	s_waitcnt lgkmcnt(0)
	s_barrier
.LBB3564_61:
	s_waitcnt lgkmcnt(0)
	v_add_u32_e32 v17, v10, v20
	v_sub_u32_e32 v14, v14, v11
	v_and_b32_e32 v19, 1, v22
	v_sub_u32_e32 v18, v17, v14
	v_cmp_eq_u32_e32 vcc, 1, v19
	v_cndmask_b32_e32 v14, v18, v14, vcc
	v_lshlrev_b32_e32 v14, 3, v14
	v_lshrrev_b32_e32 v16, 8, v22
	ds_write_b64 v14, v[6:7]
	v_sub_u32_e32 v6, v15, v11
	v_sub_u32_e32 v7, v17, v6
	v_and_b32_e32 v14, 1, v16
	v_add_u32_e32 v7, 1, v7
	v_cmp_eq_u32_e32 vcc, 1, v14
	v_cndmask_b32_e32 v6, v7, v6, vcc
	v_lshlrev_b32_e32 v6, 3, v6
	ds_write_b64 v6, v[8:9]
	v_sub_u32_e32 v6, v13, v11
	v_mov_b32_e32 v8, 1
	v_sub_u32_e32 v7, v17, v6
	v_and_b32_sdwa v8, v8, v22 dst_sel:DWORD dst_unused:UNUSED_PAD src0_sel:DWORD src1_sel:WORD_1
	v_add_u32_e32 v7, 2, v7
	v_cmp_eq_u32_e32 vcc, 1, v8
	v_cndmask_b32_e32 v6, v7, v6, vcc
	v_lshlrev_b32_e32 v6, 3, v6
	ds_write_b64 v6, v[2:3]
	v_sub_u32_e32 v2, v12, v11
	v_sub_u32_e32 v3, v17, v2
	v_and_b32_e32 v6, 1, v21
	v_add_u32_e32 v3, 3, v3
	v_cmp_eq_u32_e32 vcc, 1, v6
	v_cndmask_b32_e32 v2, v3, v2, vcc
	s_add_u32 s0, s26, s24
	v_lshlrev_b32_e32 v2, 3, v2
	s_addc_u32 s1, s27, 0
	ds_write_b64 v2, v[4:5]
	s_waitcnt lgkmcnt(0)
	s_barrier
	ds_read2st64_b64 v[6:9], v1 offset1:3
	ds_read2st64_b64 v[2:5], v1 offset0:6 offset1:9
	v_mov_b32_e32 v12, s31
	v_add_co_u32_e32 v1, vcc, s30, v11
	s_sub_u32 s0, s28, s0
	v_addc_co_u32_e32 v11, vcc, 0, v12, vcc
	s_subb_u32 s1, s29, s1
	v_mov_b32_e32 v12, s1
	v_add_co_u32_e32 v13, vcc, s0, v10
	v_addc_co_u32_e32 v12, vcc, 0, v12, vcc
	v_add_co_u32_e64 v15, s[0:1], v13, v1
	v_add_u32_e32 v18, 0xc0, v0
	v_add_u32_e32 v17, 0x180, v0
	;; [unrolled: 1-line block ×3, first 2 shown]
	s_andn2_b64 vcc, exec, s[34:35]
	v_addc_co_u32_e64 v16, s[0:1], v12, v11, s[0:1]
	s_cbranch_vccnz .LBB3564_79
; %bb.62:
	v_cmp_ge_u32_e32 vcc, v0, v10
                                        ; implicit-def: $vgpr12_vgpr13
	s_and_saveexec_b64 s[0:1], vcc
	s_xor_b64 s[0:1], exec, s[0:1]
; %bb.63:
	v_not_b32_e32 v12, v0
	v_ashrrev_i32_e32 v13, 31, v12
	v_add_co_u32_e32 v12, vcc, v15, v12
	v_addc_co_u32_e32 v13, vcc, v16, v13, vcc
; %bb.64:
	s_andn2_saveexec_b64 s[0:1], s[0:1]
; %bb.65:
	v_add_co_u32_e32 v12, vcc, v1, v0
	v_addc_co_u32_e32 v13, vcc, 0, v11, vcc
; %bb.66:
	s_or_b64 exec, exec, s[0:1]
	v_lshlrev_b64 v[12:13], 3, v[12:13]
	v_mov_b32_e32 v19, s5
	v_add_co_u32_e32 v12, vcc, s4, v12
	v_addc_co_u32_e32 v13, vcc, v19, v13, vcc
	v_cmp_ge_u32_e32 vcc, v18, v10
	s_waitcnt lgkmcnt(1)
	global_store_dwordx2 v[12:13], v[6:7], off
                                        ; implicit-def: $vgpr12_vgpr13
	s_and_saveexec_b64 s[0:1], vcc
	s_xor_b64 s[0:1], exec, s[0:1]
; %bb.67:
	v_sub_u32_e32 v12, 0xffffff3f, v0
	v_ashrrev_i32_e32 v13, 31, v12
	v_add_co_u32_e32 v12, vcc, v15, v12
	v_addc_co_u32_e32 v13, vcc, v16, v13, vcc
; %bb.68:
	s_andn2_saveexec_b64 s[0:1], s[0:1]
; %bb.69:
	v_add_co_u32_e32 v12, vcc, v1, v18
	v_addc_co_u32_e32 v13, vcc, 0, v11, vcc
; %bb.70:
	s_or_b64 exec, exec, s[0:1]
	v_lshlrev_b64 v[12:13], 3, v[12:13]
	v_mov_b32_e32 v19, s5
	v_add_co_u32_e32 v12, vcc, s4, v12
	v_addc_co_u32_e32 v13, vcc, v19, v13, vcc
	v_cmp_ge_u32_e32 vcc, v17, v10
	global_store_dwordx2 v[12:13], v[8:9], off
                                        ; implicit-def: $vgpr12_vgpr13
	s_and_saveexec_b64 s[0:1], vcc
	s_xor_b64 s[0:1], exec, s[0:1]
; %bb.71:
	v_sub_u32_e32 v12, 0xfffffe7f, v0
	v_ashrrev_i32_e32 v13, 31, v12
	v_add_co_u32_e32 v12, vcc, v15, v12
	v_addc_co_u32_e32 v13, vcc, v16, v13, vcc
; %bb.72:
	s_andn2_saveexec_b64 s[0:1], s[0:1]
; %bb.73:
	v_add_co_u32_e32 v12, vcc, v1, v17
	v_addc_co_u32_e32 v13, vcc, 0, v11, vcc
; %bb.74:
	s_or_b64 exec, exec, s[0:1]
	v_lshlrev_b64 v[12:13], 3, v[12:13]
	v_mov_b32_e32 v19, s5
	v_add_co_u32_e32 v12, vcc, s4, v12
	v_addc_co_u32_e32 v13, vcc, v19, v13, vcc
	v_cmp_ge_u32_e32 vcc, v14, v10
	s_waitcnt lgkmcnt(0)
	global_store_dwordx2 v[12:13], v[2:3], off
                                        ; implicit-def: $vgpr12_vgpr13
	s_and_saveexec_b64 s[0:1], vcc
	s_xor_b64 s[0:1], exec, s[0:1]
; %bb.75:
	v_sub_u32_e32 v12, 0xfffffdbf, v0
	v_ashrrev_i32_e32 v13, 31, v12
	v_add_co_u32_e32 v12, vcc, v15, v12
	v_addc_co_u32_e32 v13, vcc, v16, v13, vcc
; %bb.76:
	s_andn2_saveexec_b64 s[0:1], s[0:1]
; %bb.77:
	v_add_co_u32_e32 v12, vcc, v1, v14
	v_addc_co_u32_e32 v13, vcc, 0, v11, vcc
; %bb.78:
	s_or_b64 exec, exec, s[0:1]
	s_mov_b64 s[0:1], -1
	s_branch .LBB3564_105
.LBB3564_79:
	s_mov_b64 s[0:1], 0
                                        ; implicit-def: $vgpr12_vgpr13
	s_cbranch_execz .LBB3564_105
; %bb.80:
	v_cmp_gt_u32_e32 vcc, s33, v0
	s_and_saveexec_b64 s[2:3], vcc
	s_cbranch_execz .LBB3564_88
; %bb.81:
	v_cmp_ge_u32_e32 vcc, v0, v10
                                        ; implicit-def: $vgpr12_vgpr13
	s_and_saveexec_b64 s[6:7], vcc
	s_xor_b64 s[6:7], exec, s[6:7]
; %bb.82:
	v_not_b32_e32 v12, v0
	v_ashrrev_i32_e32 v13, 31, v12
	v_add_co_u32_e32 v12, vcc, v15, v12
	v_addc_co_u32_e32 v13, vcc, v16, v13, vcc
; %bb.83:
	s_andn2_saveexec_b64 s[6:7], s[6:7]
; %bb.84:
	v_add_co_u32_e32 v12, vcc, v1, v0
	v_addc_co_u32_e32 v13, vcc, 0, v11, vcc
; %bb.85:
	s_or_b64 exec, exec, s[6:7]
	v_lshlrev_b64 v[12:13], 3, v[12:13]
	v_mov_b32_e32 v19, s5
	v_add_co_u32_e32 v12, vcc, s4, v12
	v_addc_co_u32_e32 v13, vcc, v19, v13, vcc
	s_waitcnt lgkmcnt(1)
	global_store_dwordx2 v[12:13], v[6:7], off
	s_or_b64 exec, exec, s[2:3]
	v_cmp_gt_u32_e32 vcc, s33, v18
	s_and_saveexec_b64 s[2:3], vcc
	s_cbranch_execnz .LBB3564_89
.LBB3564_86:
	s_or_b64 exec, exec, s[2:3]
	v_cmp_gt_u32_e32 vcc, s33, v17
	s_and_saveexec_b64 s[2:3], vcc
	s_cbranch_execnz .LBB3564_94
.LBB3564_87:
	s_or_b64 exec, exec, s[2:3]
	v_cmp_gt_u32_e32 vcc, s33, v14
                                        ; implicit-def: $vgpr12_vgpr13
	s_and_saveexec_b64 s[2:3], vcc
	s_cbranch_execz .LBB3564_104
	s_branch .LBB3564_99
.LBB3564_88:
	s_or_b64 exec, exec, s[2:3]
	v_cmp_gt_u32_e32 vcc, s33, v18
	s_and_saveexec_b64 s[2:3], vcc
	s_cbranch_execz .LBB3564_86
.LBB3564_89:
	v_cmp_ge_u32_e32 vcc, v18, v10
                                        ; implicit-def: $vgpr6_vgpr7
	s_and_saveexec_b64 s[6:7], vcc
	s_xor_b64 s[6:7], exec, s[6:7]
	s_cbranch_execz .LBB3564_91
; %bb.90:
	s_waitcnt lgkmcnt(1)
	v_sub_u32_e32 v6, 0xffffff3f, v0
	v_ashrrev_i32_e32 v7, 31, v6
	v_add_co_u32_e32 v6, vcc, v15, v6
	v_addc_co_u32_e32 v7, vcc, v16, v7, vcc
                                        ; implicit-def: $vgpr18
.LBB3564_91:
	s_andn2_saveexec_b64 s[6:7], s[6:7]
	s_cbranch_execz .LBB3564_93
; %bb.92:
	s_waitcnt lgkmcnt(1)
	v_add_co_u32_e32 v6, vcc, v1, v18
	v_addc_co_u32_e32 v7, vcc, 0, v11, vcc
.LBB3564_93:
	s_or_b64 exec, exec, s[6:7]
	s_waitcnt lgkmcnt(1)
	v_lshlrev_b64 v[6:7], 3, v[6:7]
	v_mov_b32_e32 v12, s5
	v_add_co_u32_e32 v6, vcc, s4, v6
	v_addc_co_u32_e32 v7, vcc, v12, v7, vcc
	global_store_dwordx2 v[6:7], v[8:9], off
	s_or_b64 exec, exec, s[2:3]
	v_cmp_gt_u32_e32 vcc, s33, v17
	s_and_saveexec_b64 s[2:3], vcc
	s_cbranch_execz .LBB3564_87
.LBB3564_94:
	v_cmp_ge_u32_e32 vcc, v17, v10
                                        ; implicit-def: $vgpr6_vgpr7
	s_and_saveexec_b64 s[6:7], vcc
	s_xor_b64 s[6:7], exec, s[6:7]
	s_cbranch_execz .LBB3564_96
; %bb.95:
	s_waitcnt lgkmcnt(1)
	v_sub_u32_e32 v6, 0xfffffe7f, v0
	v_ashrrev_i32_e32 v7, 31, v6
	v_add_co_u32_e32 v6, vcc, v15, v6
	v_addc_co_u32_e32 v7, vcc, v16, v7, vcc
                                        ; implicit-def: $vgpr17
.LBB3564_96:
	s_andn2_saveexec_b64 s[6:7], s[6:7]
	s_cbranch_execz .LBB3564_98
; %bb.97:
	s_waitcnt lgkmcnt(1)
	v_add_co_u32_e32 v6, vcc, v1, v17
	v_addc_co_u32_e32 v7, vcc, 0, v11, vcc
.LBB3564_98:
	s_or_b64 exec, exec, s[6:7]
	s_waitcnt lgkmcnt(1)
	v_lshlrev_b64 v[6:7], 3, v[6:7]
	v_mov_b32_e32 v8, s5
	v_add_co_u32_e32 v6, vcc, s4, v6
	v_addc_co_u32_e32 v7, vcc, v8, v7, vcc
	s_waitcnt lgkmcnt(0)
	global_store_dwordx2 v[6:7], v[2:3], off
	s_or_b64 exec, exec, s[2:3]
	v_cmp_gt_u32_e32 vcc, s33, v14
                                        ; implicit-def: $vgpr12_vgpr13
	s_and_saveexec_b64 s[2:3], vcc
	s_cbranch_execz .LBB3564_104
.LBB3564_99:
	v_cmp_ge_u32_e32 vcc, v14, v10
                                        ; implicit-def: $vgpr12_vgpr13
	s_and_saveexec_b64 s[6:7], vcc
	s_xor_b64 s[6:7], exec, s[6:7]
	s_cbranch_execz .LBB3564_101
; %bb.100:
	s_waitcnt lgkmcnt(0)
	v_sub_u32_e32 v2, 0xfffffdbf, v0
	v_ashrrev_i32_e32 v3, 31, v2
	v_add_co_u32_e32 v12, vcc, v15, v2
	v_addc_co_u32_e32 v13, vcc, v16, v3, vcc
                                        ; implicit-def: $vgpr14
.LBB3564_101:
	s_andn2_saveexec_b64 s[6:7], s[6:7]
; %bb.102:
	v_add_co_u32_e32 v12, vcc, v1, v14
	v_addc_co_u32_e32 v13, vcc, 0, v11, vcc
; %bb.103:
	s_or_b64 exec, exec, s[6:7]
	s_or_b64 s[0:1], s[0:1], exec
.LBB3564_104:
	s_or_b64 exec, exec, s[2:3]
.LBB3564_105:
	s_and_saveexec_b64 s[2:3], s[0:1]
	s_cbranch_execz .LBB3564_107
; %bb.106:
	s_waitcnt lgkmcnt(0)
	v_lshlrev_b64 v[2:3], 3, v[12:13]
	v_mov_b32_e32 v6, s5
	v_add_co_u32_e32 v2, vcc, s4, v2
	v_addc_co_u32_e32 v3, vcc, v6, v3, vcc
	global_store_dwordx2 v[2:3], v[4:5], off
.LBB3564_107:
	s_or_b64 exec, exec, s[2:3]
	v_cmp_eq_u32_e32 vcc, 0, v0
	s_and_b64 s[0:1], vcc, s[22:23]
	s_and_saveexec_b64 s[2:3], s[0:1]
	s_cbranch_execz .LBB3564_109
; %bb.108:
	v_add_co_u32_e32 v0, vcc, v1, v10
	s_waitcnt lgkmcnt(0)
	v_mov_b32_e32 v2, 0
	v_addc_co_u32_e32 v1, vcc, 0, v11, vcc
	global_store_dwordx2 v2, v[0:1], s[20:21]
.LBB3564_109:
	s_endpgm
	.section	.rodata,"a",@progbits
	.p2align	6, 0x0
	.amdhsa_kernel _ZN7rocprim17ROCPRIM_400000_NS6detail17trampoline_kernelINS0_14default_configENS1_25partition_config_selectorILNS1_17partition_subalgoE2ExNS0_10empty_typeEbEEZZNS1_14partition_implILS5_2ELb0ES3_jN6thrust23THRUST_200600_302600_NS6detail15normal_iteratorINSA_7pointerIxNSA_11hip_rocprim3tagENSA_11use_defaultESG_EEEEPS6_NSA_18transform_iteratorI10is_orderedNSA_12zip_iteratorINSA_5tupleINSC_INSA_10device_ptrIxEEEESQ_NSA_9null_typeESR_SR_SR_SR_SR_SR_SR_EEEESG_SG_EENS0_5tupleIJPxSJ_EEENSV_IJSJ_SJ_EEES6_PlJS6_EEE10hipError_tPvRmT3_T4_T5_T6_T7_T9_mT8_P12ihipStream_tbDpT10_ENKUlT_T0_E_clISt17integral_constantIbLb0EES1J_EEDaS1E_S1F_EUlS1E_E_NS1_11comp_targetILNS1_3genE4ELNS1_11target_archE910ELNS1_3gpuE8ELNS1_3repE0EEENS1_30default_config_static_selectorELNS0_4arch9wavefront6targetE1EEEvT1_
		.amdhsa_group_segment_fixed_size 6344
		.amdhsa_private_segment_fixed_size 0
		.amdhsa_kernarg_size 136
		.amdhsa_user_sgpr_count 6
		.amdhsa_user_sgpr_private_segment_buffer 1
		.amdhsa_user_sgpr_dispatch_ptr 0
		.amdhsa_user_sgpr_queue_ptr 0
		.amdhsa_user_sgpr_kernarg_segment_ptr 1
		.amdhsa_user_sgpr_dispatch_id 0
		.amdhsa_user_sgpr_flat_scratch_init 0
		.amdhsa_user_sgpr_kernarg_preload_length 0
		.amdhsa_user_sgpr_kernarg_preload_offset 0
		.amdhsa_user_sgpr_private_segment_size 0
		.amdhsa_uses_dynamic_stack 0
		.amdhsa_system_sgpr_private_segment_wavefront_offset 0
		.amdhsa_system_sgpr_workgroup_id_x 1
		.amdhsa_system_sgpr_workgroup_id_y 0
		.amdhsa_system_sgpr_workgroup_id_z 0
		.amdhsa_system_sgpr_workgroup_info 0
		.amdhsa_system_vgpr_workitem_id 0
		.amdhsa_next_free_vgpr 43
		.amdhsa_next_free_sgpr 46
		.amdhsa_accum_offset 44
		.amdhsa_reserve_vcc 1
		.amdhsa_reserve_flat_scratch 0
		.amdhsa_float_round_mode_32 0
		.amdhsa_float_round_mode_16_64 0
		.amdhsa_float_denorm_mode_32 3
		.amdhsa_float_denorm_mode_16_64 3
		.amdhsa_dx10_clamp 1
		.amdhsa_ieee_mode 1
		.amdhsa_fp16_overflow 0
		.amdhsa_tg_split 0
		.amdhsa_exception_fp_ieee_invalid_op 0
		.amdhsa_exception_fp_denorm_src 0
		.amdhsa_exception_fp_ieee_div_zero 0
		.amdhsa_exception_fp_ieee_overflow 0
		.amdhsa_exception_fp_ieee_underflow 0
		.amdhsa_exception_fp_ieee_inexact 0
		.amdhsa_exception_int_div_zero 0
	.end_amdhsa_kernel
	.section	.text._ZN7rocprim17ROCPRIM_400000_NS6detail17trampoline_kernelINS0_14default_configENS1_25partition_config_selectorILNS1_17partition_subalgoE2ExNS0_10empty_typeEbEEZZNS1_14partition_implILS5_2ELb0ES3_jN6thrust23THRUST_200600_302600_NS6detail15normal_iteratorINSA_7pointerIxNSA_11hip_rocprim3tagENSA_11use_defaultESG_EEEEPS6_NSA_18transform_iteratorI10is_orderedNSA_12zip_iteratorINSA_5tupleINSC_INSA_10device_ptrIxEEEESQ_NSA_9null_typeESR_SR_SR_SR_SR_SR_SR_EEEESG_SG_EENS0_5tupleIJPxSJ_EEENSV_IJSJ_SJ_EEES6_PlJS6_EEE10hipError_tPvRmT3_T4_T5_T6_T7_T9_mT8_P12ihipStream_tbDpT10_ENKUlT_T0_E_clISt17integral_constantIbLb0EES1J_EEDaS1E_S1F_EUlS1E_E_NS1_11comp_targetILNS1_3genE4ELNS1_11target_archE910ELNS1_3gpuE8ELNS1_3repE0EEENS1_30default_config_static_selectorELNS0_4arch9wavefront6targetE1EEEvT1_,"axG",@progbits,_ZN7rocprim17ROCPRIM_400000_NS6detail17trampoline_kernelINS0_14default_configENS1_25partition_config_selectorILNS1_17partition_subalgoE2ExNS0_10empty_typeEbEEZZNS1_14partition_implILS5_2ELb0ES3_jN6thrust23THRUST_200600_302600_NS6detail15normal_iteratorINSA_7pointerIxNSA_11hip_rocprim3tagENSA_11use_defaultESG_EEEEPS6_NSA_18transform_iteratorI10is_orderedNSA_12zip_iteratorINSA_5tupleINSC_INSA_10device_ptrIxEEEESQ_NSA_9null_typeESR_SR_SR_SR_SR_SR_SR_EEEESG_SG_EENS0_5tupleIJPxSJ_EEENSV_IJSJ_SJ_EEES6_PlJS6_EEE10hipError_tPvRmT3_T4_T5_T6_T7_T9_mT8_P12ihipStream_tbDpT10_ENKUlT_T0_E_clISt17integral_constantIbLb0EES1J_EEDaS1E_S1F_EUlS1E_E_NS1_11comp_targetILNS1_3genE4ELNS1_11target_archE910ELNS1_3gpuE8ELNS1_3repE0EEENS1_30default_config_static_selectorELNS0_4arch9wavefront6targetE1EEEvT1_,comdat
.Lfunc_end3564:
	.size	_ZN7rocprim17ROCPRIM_400000_NS6detail17trampoline_kernelINS0_14default_configENS1_25partition_config_selectorILNS1_17partition_subalgoE2ExNS0_10empty_typeEbEEZZNS1_14partition_implILS5_2ELb0ES3_jN6thrust23THRUST_200600_302600_NS6detail15normal_iteratorINSA_7pointerIxNSA_11hip_rocprim3tagENSA_11use_defaultESG_EEEEPS6_NSA_18transform_iteratorI10is_orderedNSA_12zip_iteratorINSA_5tupleINSC_INSA_10device_ptrIxEEEESQ_NSA_9null_typeESR_SR_SR_SR_SR_SR_SR_EEEESG_SG_EENS0_5tupleIJPxSJ_EEENSV_IJSJ_SJ_EEES6_PlJS6_EEE10hipError_tPvRmT3_T4_T5_T6_T7_T9_mT8_P12ihipStream_tbDpT10_ENKUlT_T0_E_clISt17integral_constantIbLb0EES1J_EEDaS1E_S1F_EUlS1E_E_NS1_11comp_targetILNS1_3genE4ELNS1_11target_archE910ELNS1_3gpuE8ELNS1_3repE0EEENS1_30default_config_static_selectorELNS0_4arch9wavefront6targetE1EEEvT1_, .Lfunc_end3564-_ZN7rocprim17ROCPRIM_400000_NS6detail17trampoline_kernelINS0_14default_configENS1_25partition_config_selectorILNS1_17partition_subalgoE2ExNS0_10empty_typeEbEEZZNS1_14partition_implILS5_2ELb0ES3_jN6thrust23THRUST_200600_302600_NS6detail15normal_iteratorINSA_7pointerIxNSA_11hip_rocprim3tagENSA_11use_defaultESG_EEEEPS6_NSA_18transform_iteratorI10is_orderedNSA_12zip_iteratorINSA_5tupleINSC_INSA_10device_ptrIxEEEESQ_NSA_9null_typeESR_SR_SR_SR_SR_SR_SR_EEEESG_SG_EENS0_5tupleIJPxSJ_EEENSV_IJSJ_SJ_EEES6_PlJS6_EEE10hipError_tPvRmT3_T4_T5_T6_T7_T9_mT8_P12ihipStream_tbDpT10_ENKUlT_T0_E_clISt17integral_constantIbLb0EES1J_EEDaS1E_S1F_EUlS1E_E_NS1_11comp_targetILNS1_3genE4ELNS1_11target_archE910ELNS1_3gpuE8ELNS1_3repE0EEENS1_30default_config_static_selectorELNS0_4arch9wavefront6targetE1EEEvT1_
                                        ; -- End function
	.section	.AMDGPU.csdata,"",@progbits
; Kernel info:
; codeLenInByte = 4476
; NumSgprs: 50
; NumVgprs: 43
; NumAgprs: 0
; TotalNumVgprs: 43
; ScratchSize: 0
; MemoryBound: 0
; FloatMode: 240
; IeeeMode: 1
; LDSByteSize: 6344 bytes/workgroup (compile time only)
; SGPRBlocks: 6
; VGPRBlocks: 5
; NumSGPRsForWavesPerEU: 50
; NumVGPRsForWavesPerEU: 43
; AccumOffset: 44
; Occupancy: 8
; WaveLimiterHint : 1
; COMPUTE_PGM_RSRC2:SCRATCH_EN: 0
; COMPUTE_PGM_RSRC2:USER_SGPR: 6
; COMPUTE_PGM_RSRC2:TRAP_HANDLER: 0
; COMPUTE_PGM_RSRC2:TGID_X_EN: 1
; COMPUTE_PGM_RSRC2:TGID_Y_EN: 0
; COMPUTE_PGM_RSRC2:TGID_Z_EN: 0
; COMPUTE_PGM_RSRC2:TIDIG_COMP_CNT: 0
; COMPUTE_PGM_RSRC3_GFX90A:ACCUM_OFFSET: 10
; COMPUTE_PGM_RSRC3_GFX90A:TG_SPLIT: 0
	.section	.text._ZN7rocprim17ROCPRIM_400000_NS6detail17trampoline_kernelINS0_14default_configENS1_25partition_config_selectorILNS1_17partition_subalgoE2ExNS0_10empty_typeEbEEZZNS1_14partition_implILS5_2ELb0ES3_jN6thrust23THRUST_200600_302600_NS6detail15normal_iteratorINSA_7pointerIxNSA_11hip_rocprim3tagENSA_11use_defaultESG_EEEEPS6_NSA_18transform_iteratorI10is_orderedNSA_12zip_iteratorINSA_5tupleINSC_INSA_10device_ptrIxEEEESQ_NSA_9null_typeESR_SR_SR_SR_SR_SR_SR_EEEESG_SG_EENS0_5tupleIJPxSJ_EEENSV_IJSJ_SJ_EEES6_PlJS6_EEE10hipError_tPvRmT3_T4_T5_T6_T7_T9_mT8_P12ihipStream_tbDpT10_ENKUlT_T0_E_clISt17integral_constantIbLb0EES1J_EEDaS1E_S1F_EUlS1E_E_NS1_11comp_targetILNS1_3genE3ELNS1_11target_archE908ELNS1_3gpuE7ELNS1_3repE0EEENS1_30default_config_static_selectorELNS0_4arch9wavefront6targetE1EEEvT1_,"axG",@progbits,_ZN7rocprim17ROCPRIM_400000_NS6detail17trampoline_kernelINS0_14default_configENS1_25partition_config_selectorILNS1_17partition_subalgoE2ExNS0_10empty_typeEbEEZZNS1_14partition_implILS5_2ELb0ES3_jN6thrust23THRUST_200600_302600_NS6detail15normal_iteratorINSA_7pointerIxNSA_11hip_rocprim3tagENSA_11use_defaultESG_EEEEPS6_NSA_18transform_iteratorI10is_orderedNSA_12zip_iteratorINSA_5tupleINSC_INSA_10device_ptrIxEEEESQ_NSA_9null_typeESR_SR_SR_SR_SR_SR_SR_EEEESG_SG_EENS0_5tupleIJPxSJ_EEENSV_IJSJ_SJ_EEES6_PlJS6_EEE10hipError_tPvRmT3_T4_T5_T6_T7_T9_mT8_P12ihipStream_tbDpT10_ENKUlT_T0_E_clISt17integral_constantIbLb0EES1J_EEDaS1E_S1F_EUlS1E_E_NS1_11comp_targetILNS1_3genE3ELNS1_11target_archE908ELNS1_3gpuE7ELNS1_3repE0EEENS1_30default_config_static_selectorELNS0_4arch9wavefront6targetE1EEEvT1_,comdat
	.protected	_ZN7rocprim17ROCPRIM_400000_NS6detail17trampoline_kernelINS0_14default_configENS1_25partition_config_selectorILNS1_17partition_subalgoE2ExNS0_10empty_typeEbEEZZNS1_14partition_implILS5_2ELb0ES3_jN6thrust23THRUST_200600_302600_NS6detail15normal_iteratorINSA_7pointerIxNSA_11hip_rocprim3tagENSA_11use_defaultESG_EEEEPS6_NSA_18transform_iteratorI10is_orderedNSA_12zip_iteratorINSA_5tupleINSC_INSA_10device_ptrIxEEEESQ_NSA_9null_typeESR_SR_SR_SR_SR_SR_SR_EEEESG_SG_EENS0_5tupleIJPxSJ_EEENSV_IJSJ_SJ_EEES6_PlJS6_EEE10hipError_tPvRmT3_T4_T5_T6_T7_T9_mT8_P12ihipStream_tbDpT10_ENKUlT_T0_E_clISt17integral_constantIbLb0EES1J_EEDaS1E_S1F_EUlS1E_E_NS1_11comp_targetILNS1_3genE3ELNS1_11target_archE908ELNS1_3gpuE7ELNS1_3repE0EEENS1_30default_config_static_selectorELNS0_4arch9wavefront6targetE1EEEvT1_ ; -- Begin function _ZN7rocprim17ROCPRIM_400000_NS6detail17trampoline_kernelINS0_14default_configENS1_25partition_config_selectorILNS1_17partition_subalgoE2ExNS0_10empty_typeEbEEZZNS1_14partition_implILS5_2ELb0ES3_jN6thrust23THRUST_200600_302600_NS6detail15normal_iteratorINSA_7pointerIxNSA_11hip_rocprim3tagENSA_11use_defaultESG_EEEEPS6_NSA_18transform_iteratorI10is_orderedNSA_12zip_iteratorINSA_5tupleINSC_INSA_10device_ptrIxEEEESQ_NSA_9null_typeESR_SR_SR_SR_SR_SR_SR_EEEESG_SG_EENS0_5tupleIJPxSJ_EEENSV_IJSJ_SJ_EEES6_PlJS6_EEE10hipError_tPvRmT3_T4_T5_T6_T7_T9_mT8_P12ihipStream_tbDpT10_ENKUlT_T0_E_clISt17integral_constantIbLb0EES1J_EEDaS1E_S1F_EUlS1E_E_NS1_11comp_targetILNS1_3genE3ELNS1_11target_archE908ELNS1_3gpuE7ELNS1_3repE0EEENS1_30default_config_static_selectorELNS0_4arch9wavefront6targetE1EEEvT1_
	.globl	_ZN7rocprim17ROCPRIM_400000_NS6detail17trampoline_kernelINS0_14default_configENS1_25partition_config_selectorILNS1_17partition_subalgoE2ExNS0_10empty_typeEbEEZZNS1_14partition_implILS5_2ELb0ES3_jN6thrust23THRUST_200600_302600_NS6detail15normal_iteratorINSA_7pointerIxNSA_11hip_rocprim3tagENSA_11use_defaultESG_EEEEPS6_NSA_18transform_iteratorI10is_orderedNSA_12zip_iteratorINSA_5tupleINSC_INSA_10device_ptrIxEEEESQ_NSA_9null_typeESR_SR_SR_SR_SR_SR_SR_EEEESG_SG_EENS0_5tupleIJPxSJ_EEENSV_IJSJ_SJ_EEES6_PlJS6_EEE10hipError_tPvRmT3_T4_T5_T6_T7_T9_mT8_P12ihipStream_tbDpT10_ENKUlT_T0_E_clISt17integral_constantIbLb0EES1J_EEDaS1E_S1F_EUlS1E_E_NS1_11comp_targetILNS1_3genE3ELNS1_11target_archE908ELNS1_3gpuE7ELNS1_3repE0EEENS1_30default_config_static_selectorELNS0_4arch9wavefront6targetE1EEEvT1_
	.p2align	8
	.type	_ZN7rocprim17ROCPRIM_400000_NS6detail17trampoline_kernelINS0_14default_configENS1_25partition_config_selectorILNS1_17partition_subalgoE2ExNS0_10empty_typeEbEEZZNS1_14partition_implILS5_2ELb0ES3_jN6thrust23THRUST_200600_302600_NS6detail15normal_iteratorINSA_7pointerIxNSA_11hip_rocprim3tagENSA_11use_defaultESG_EEEEPS6_NSA_18transform_iteratorI10is_orderedNSA_12zip_iteratorINSA_5tupleINSC_INSA_10device_ptrIxEEEESQ_NSA_9null_typeESR_SR_SR_SR_SR_SR_SR_EEEESG_SG_EENS0_5tupleIJPxSJ_EEENSV_IJSJ_SJ_EEES6_PlJS6_EEE10hipError_tPvRmT3_T4_T5_T6_T7_T9_mT8_P12ihipStream_tbDpT10_ENKUlT_T0_E_clISt17integral_constantIbLb0EES1J_EEDaS1E_S1F_EUlS1E_E_NS1_11comp_targetILNS1_3genE3ELNS1_11target_archE908ELNS1_3gpuE7ELNS1_3repE0EEENS1_30default_config_static_selectorELNS0_4arch9wavefront6targetE1EEEvT1_,@function
_ZN7rocprim17ROCPRIM_400000_NS6detail17trampoline_kernelINS0_14default_configENS1_25partition_config_selectorILNS1_17partition_subalgoE2ExNS0_10empty_typeEbEEZZNS1_14partition_implILS5_2ELb0ES3_jN6thrust23THRUST_200600_302600_NS6detail15normal_iteratorINSA_7pointerIxNSA_11hip_rocprim3tagENSA_11use_defaultESG_EEEEPS6_NSA_18transform_iteratorI10is_orderedNSA_12zip_iteratorINSA_5tupleINSC_INSA_10device_ptrIxEEEESQ_NSA_9null_typeESR_SR_SR_SR_SR_SR_SR_EEEESG_SG_EENS0_5tupleIJPxSJ_EEENSV_IJSJ_SJ_EEES6_PlJS6_EEE10hipError_tPvRmT3_T4_T5_T6_T7_T9_mT8_P12ihipStream_tbDpT10_ENKUlT_T0_E_clISt17integral_constantIbLb0EES1J_EEDaS1E_S1F_EUlS1E_E_NS1_11comp_targetILNS1_3genE3ELNS1_11target_archE908ELNS1_3gpuE7ELNS1_3repE0EEENS1_30default_config_static_selectorELNS0_4arch9wavefront6targetE1EEEvT1_: ; @_ZN7rocprim17ROCPRIM_400000_NS6detail17trampoline_kernelINS0_14default_configENS1_25partition_config_selectorILNS1_17partition_subalgoE2ExNS0_10empty_typeEbEEZZNS1_14partition_implILS5_2ELb0ES3_jN6thrust23THRUST_200600_302600_NS6detail15normal_iteratorINSA_7pointerIxNSA_11hip_rocprim3tagENSA_11use_defaultESG_EEEEPS6_NSA_18transform_iteratorI10is_orderedNSA_12zip_iteratorINSA_5tupleINSC_INSA_10device_ptrIxEEEESQ_NSA_9null_typeESR_SR_SR_SR_SR_SR_SR_EEEESG_SG_EENS0_5tupleIJPxSJ_EEENSV_IJSJ_SJ_EEES6_PlJS6_EEE10hipError_tPvRmT3_T4_T5_T6_T7_T9_mT8_P12ihipStream_tbDpT10_ENKUlT_T0_E_clISt17integral_constantIbLb0EES1J_EEDaS1E_S1F_EUlS1E_E_NS1_11comp_targetILNS1_3genE3ELNS1_11target_archE908ELNS1_3gpuE7ELNS1_3repE0EEENS1_30default_config_static_selectorELNS0_4arch9wavefront6targetE1EEEvT1_
; %bb.0:
	.section	.rodata,"a",@progbits
	.p2align	6, 0x0
	.amdhsa_kernel _ZN7rocprim17ROCPRIM_400000_NS6detail17trampoline_kernelINS0_14default_configENS1_25partition_config_selectorILNS1_17partition_subalgoE2ExNS0_10empty_typeEbEEZZNS1_14partition_implILS5_2ELb0ES3_jN6thrust23THRUST_200600_302600_NS6detail15normal_iteratorINSA_7pointerIxNSA_11hip_rocprim3tagENSA_11use_defaultESG_EEEEPS6_NSA_18transform_iteratorI10is_orderedNSA_12zip_iteratorINSA_5tupleINSC_INSA_10device_ptrIxEEEESQ_NSA_9null_typeESR_SR_SR_SR_SR_SR_SR_EEEESG_SG_EENS0_5tupleIJPxSJ_EEENSV_IJSJ_SJ_EEES6_PlJS6_EEE10hipError_tPvRmT3_T4_T5_T6_T7_T9_mT8_P12ihipStream_tbDpT10_ENKUlT_T0_E_clISt17integral_constantIbLb0EES1J_EEDaS1E_S1F_EUlS1E_E_NS1_11comp_targetILNS1_3genE3ELNS1_11target_archE908ELNS1_3gpuE7ELNS1_3repE0EEENS1_30default_config_static_selectorELNS0_4arch9wavefront6targetE1EEEvT1_
		.amdhsa_group_segment_fixed_size 0
		.amdhsa_private_segment_fixed_size 0
		.amdhsa_kernarg_size 136
		.amdhsa_user_sgpr_count 6
		.amdhsa_user_sgpr_private_segment_buffer 1
		.amdhsa_user_sgpr_dispatch_ptr 0
		.amdhsa_user_sgpr_queue_ptr 0
		.amdhsa_user_sgpr_kernarg_segment_ptr 1
		.amdhsa_user_sgpr_dispatch_id 0
		.amdhsa_user_sgpr_flat_scratch_init 0
		.amdhsa_user_sgpr_kernarg_preload_length 0
		.amdhsa_user_sgpr_kernarg_preload_offset 0
		.amdhsa_user_sgpr_private_segment_size 0
		.amdhsa_uses_dynamic_stack 0
		.amdhsa_system_sgpr_private_segment_wavefront_offset 0
		.amdhsa_system_sgpr_workgroup_id_x 1
		.amdhsa_system_sgpr_workgroup_id_y 0
		.amdhsa_system_sgpr_workgroup_id_z 0
		.amdhsa_system_sgpr_workgroup_info 0
		.amdhsa_system_vgpr_workitem_id 0
		.amdhsa_next_free_vgpr 1
		.amdhsa_next_free_sgpr 0
		.amdhsa_accum_offset 4
		.amdhsa_reserve_vcc 0
		.amdhsa_reserve_flat_scratch 0
		.amdhsa_float_round_mode_32 0
		.amdhsa_float_round_mode_16_64 0
		.amdhsa_float_denorm_mode_32 3
		.amdhsa_float_denorm_mode_16_64 3
		.amdhsa_dx10_clamp 1
		.amdhsa_ieee_mode 1
		.amdhsa_fp16_overflow 0
		.amdhsa_tg_split 0
		.amdhsa_exception_fp_ieee_invalid_op 0
		.amdhsa_exception_fp_denorm_src 0
		.amdhsa_exception_fp_ieee_div_zero 0
		.amdhsa_exception_fp_ieee_overflow 0
		.amdhsa_exception_fp_ieee_underflow 0
		.amdhsa_exception_fp_ieee_inexact 0
		.amdhsa_exception_int_div_zero 0
	.end_amdhsa_kernel
	.section	.text._ZN7rocprim17ROCPRIM_400000_NS6detail17trampoline_kernelINS0_14default_configENS1_25partition_config_selectorILNS1_17partition_subalgoE2ExNS0_10empty_typeEbEEZZNS1_14partition_implILS5_2ELb0ES3_jN6thrust23THRUST_200600_302600_NS6detail15normal_iteratorINSA_7pointerIxNSA_11hip_rocprim3tagENSA_11use_defaultESG_EEEEPS6_NSA_18transform_iteratorI10is_orderedNSA_12zip_iteratorINSA_5tupleINSC_INSA_10device_ptrIxEEEESQ_NSA_9null_typeESR_SR_SR_SR_SR_SR_SR_EEEESG_SG_EENS0_5tupleIJPxSJ_EEENSV_IJSJ_SJ_EEES6_PlJS6_EEE10hipError_tPvRmT3_T4_T5_T6_T7_T9_mT8_P12ihipStream_tbDpT10_ENKUlT_T0_E_clISt17integral_constantIbLb0EES1J_EEDaS1E_S1F_EUlS1E_E_NS1_11comp_targetILNS1_3genE3ELNS1_11target_archE908ELNS1_3gpuE7ELNS1_3repE0EEENS1_30default_config_static_selectorELNS0_4arch9wavefront6targetE1EEEvT1_,"axG",@progbits,_ZN7rocprim17ROCPRIM_400000_NS6detail17trampoline_kernelINS0_14default_configENS1_25partition_config_selectorILNS1_17partition_subalgoE2ExNS0_10empty_typeEbEEZZNS1_14partition_implILS5_2ELb0ES3_jN6thrust23THRUST_200600_302600_NS6detail15normal_iteratorINSA_7pointerIxNSA_11hip_rocprim3tagENSA_11use_defaultESG_EEEEPS6_NSA_18transform_iteratorI10is_orderedNSA_12zip_iteratorINSA_5tupleINSC_INSA_10device_ptrIxEEEESQ_NSA_9null_typeESR_SR_SR_SR_SR_SR_SR_EEEESG_SG_EENS0_5tupleIJPxSJ_EEENSV_IJSJ_SJ_EEES6_PlJS6_EEE10hipError_tPvRmT3_T4_T5_T6_T7_T9_mT8_P12ihipStream_tbDpT10_ENKUlT_T0_E_clISt17integral_constantIbLb0EES1J_EEDaS1E_S1F_EUlS1E_E_NS1_11comp_targetILNS1_3genE3ELNS1_11target_archE908ELNS1_3gpuE7ELNS1_3repE0EEENS1_30default_config_static_selectorELNS0_4arch9wavefront6targetE1EEEvT1_,comdat
.Lfunc_end3565:
	.size	_ZN7rocprim17ROCPRIM_400000_NS6detail17trampoline_kernelINS0_14default_configENS1_25partition_config_selectorILNS1_17partition_subalgoE2ExNS0_10empty_typeEbEEZZNS1_14partition_implILS5_2ELb0ES3_jN6thrust23THRUST_200600_302600_NS6detail15normal_iteratorINSA_7pointerIxNSA_11hip_rocprim3tagENSA_11use_defaultESG_EEEEPS6_NSA_18transform_iteratorI10is_orderedNSA_12zip_iteratorINSA_5tupleINSC_INSA_10device_ptrIxEEEESQ_NSA_9null_typeESR_SR_SR_SR_SR_SR_SR_EEEESG_SG_EENS0_5tupleIJPxSJ_EEENSV_IJSJ_SJ_EEES6_PlJS6_EEE10hipError_tPvRmT3_T4_T5_T6_T7_T9_mT8_P12ihipStream_tbDpT10_ENKUlT_T0_E_clISt17integral_constantIbLb0EES1J_EEDaS1E_S1F_EUlS1E_E_NS1_11comp_targetILNS1_3genE3ELNS1_11target_archE908ELNS1_3gpuE7ELNS1_3repE0EEENS1_30default_config_static_selectorELNS0_4arch9wavefront6targetE1EEEvT1_, .Lfunc_end3565-_ZN7rocprim17ROCPRIM_400000_NS6detail17trampoline_kernelINS0_14default_configENS1_25partition_config_selectorILNS1_17partition_subalgoE2ExNS0_10empty_typeEbEEZZNS1_14partition_implILS5_2ELb0ES3_jN6thrust23THRUST_200600_302600_NS6detail15normal_iteratorINSA_7pointerIxNSA_11hip_rocprim3tagENSA_11use_defaultESG_EEEEPS6_NSA_18transform_iteratorI10is_orderedNSA_12zip_iteratorINSA_5tupleINSC_INSA_10device_ptrIxEEEESQ_NSA_9null_typeESR_SR_SR_SR_SR_SR_SR_EEEESG_SG_EENS0_5tupleIJPxSJ_EEENSV_IJSJ_SJ_EEES6_PlJS6_EEE10hipError_tPvRmT3_T4_T5_T6_T7_T9_mT8_P12ihipStream_tbDpT10_ENKUlT_T0_E_clISt17integral_constantIbLb0EES1J_EEDaS1E_S1F_EUlS1E_E_NS1_11comp_targetILNS1_3genE3ELNS1_11target_archE908ELNS1_3gpuE7ELNS1_3repE0EEENS1_30default_config_static_selectorELNS0_4arch9wavefront6targetE1EEEvT1_
                                        ; -- End function
	.section	.AMDGPU.csdata,"",@progbits
; Kernel info:
; codeLenInByte = 0
; NumSgprs: 4
; NumVgprs: 0
; NumAgprs: 0
; TotalNumVgprs: 0
; ScratchSize: 0
; MemoryBound: 0
; FloatMode: 240
; IeeeMode: 1
; LDSByteSize: 0 bytes/workgroup (compile time only)
; SGPRBlocks: 0
; VGPRBlocks: 0
; NumSGPRsForWavesPerEU: 4
; NumVGPRsForWavesPerEU: 1
; AccumOffset: 4
; Occupancy: 8
; WaveLimiterHint : 0
; COMPUTE_PGM_RSRC2:SCRATCH_EN: 0
; COMPUTE_PGM_RSRC2:USER_SGPR: 6
; COMPUTE_PGM_RSRC2:TRAP_HANDLER: 0
; COMPUTE_PGM_RSRC2:TGID_X_EN: 1
; COMPUTE_PGM_RSRC2:TGID_Y_EN: 0
; COMPUTE_PGM_RSRC2:TGID_Z_EN: 0
; COMPUTE_PGM_RSRC2:TIDIG_COMP_CNT: 0
; COMPUTE_PGM_RSRC3_GFX90A:ACCUM_OFFSET: 0
; COMPUTE_PGM_RSRC3_GFX90A:TG_SPLIT: 0
	.section	.text._ZN7rocprim17ROCPRIM_400000_NS6detail17trampoline_kernelINS0_14default_configENS1_25partition_config_selectorILNS1_17partition_subalgoE2ExNS0_10empty_typeEbEEZZNS1_14partition_implILS5_2ELb0ES3_jN6thrust23THRUST_200600_302600_NS6detail15normal_iteratorINSA_7pointerIxNSA_11hip_rocprim3tagENSA_11use_defaultESG_EEEEPS6_NSA_18transform_iteratorI10is_orderedNSA_12zip_iteratorINSA_5tupleINSC_INSA_10device_ptrIxEEEESQ_NSA_9null_typeESR_SR_SR_SR_SR_SR_SR_EEEESG_SG_EENS0_5tupleIJPxSJ_EEENSV_IJSJ_SJ_EEES6_PlJS6_EEE10hipError_tPvRmT3_T4_T5_T6_T7_T9_mT8_P12ihipStream_tbDpT10_ENKUlT_T0_E_clISt17integral_constantIbLb0EES1J_EEDaS1E_S1F_EUlS1E_E_NS1_11comp_targetILNS1_3genE2ELNS1_11target_archE906ELNS1_3gpuE6ELNS1_3repE0EEENS1_30default_config_static_selectorELNS0_4arch9wavefront6targetE1EEEvT1_,"axG",@progbits,_ZN7rocprim17ROCPRIM_400000_NS6detail17trampoline_kernelINS0_14default_configENS1_25partition_config_selectorILNS1_17partition_subalgoE2ExNS0_10empty_typeEbEEZZNS1_14partition_implILS5_2ELb0ES3_jN6thrust23THRUST_200600_302600_NS6detail15normal_iteratorINSA_7pointerIxNSA_11hip_rocprim3tagENSA_11use_defaultESG_EEEEPS6_NSA_18transform_iteratorI10is_orderedNSA_12zip_iteratorINSA_5tupleINSC_INSA_10device_ptrIxEEEESQ_NSA_9null_typeESR_SR_SR_SR_SR_SR_SR_EEEESG_SG_EENS0_5tupleIJPxSJ_EEENSV_IJSJ_SJ_EEES6_PlJS6_EEE10hipError_tPvRmT3_T4_T5_T6_T7_T9_mT8_P12ihipStream_tbDpT10_ENKUlT_T0_E_clISt17integral_constantIbLb0EES1J_EEDaS1E_S1F_EUlS1E_E_NS1_11comp_targetILNS1_3genE2ELNS1_11target_archE906ELNS1_3gpuE6ELNS1_3repE0EEENS1_30default_config_static_selectorELNS0_4arch9wavefront6targetE1EEEvT1_,comdat
	.protected	_ZN7rocprim17ROCPRIM_400000_NS6detail17trampoline_kernelINS0_14default_configENS1_25partition_config_selectorILNS1_17partition_subalgoE2ExNS0_10empty_typeEbEEZZNS1_14partition_implILS5_2ELb0ES3_jN6thrust23THRUST_200600_302600_NS6detail15normal_iteratorINSA_7pointerIxNSA_11hip_rocprim3tagENSA_11use_defaultESG_EEEEPS6_NSA_18transform_iteratorI10is_orderedNSA_12zip_iteratorINSA_5tupleINSC_INSA_10device_ptrIxEEEESQ_NSA_9null_typeESR_SR_SR_SR_SR_SR_SR_EEEESG_SG_EENS0_5tupleIJPxSJ_EEENSV_IJSJ_SJ_EEES6_PlJS6_EEE10hipError_tPvRmT3_T4_T5_T6_T7_T9_mT8_P12ihipStream_tbDpT10_ENKUlT_T0_E_clISt17integral_constantIbLb0EES1J_EEDaS1E_S1F_EUlS1E_E_NS1_11comp_targetILNS1_3genE2ELNS1_11target_archE906ELNS1_3gpuE6ELNS1_3repE0EEENS1_30default_config_static_selectorELNS0_4arch9wavefront6targetE1EEEvT1_ ; -- Begin function _ZN7rocprim17ROCPRIM_400000_NS6detail17trampoline_kernelINS0_14default_configENS1_25partition_config_selectorILNS1_17partition_subalgoE2ExNS0_10empty_typeEbEEZZNS1_14partition_implILS5_2ELb0ES3_jN6thrust23THRUST_200600_302600_NS6detail15normal_iteratorINSA_7pointerIxNSA_11hip_rocprim3tagENSA_11use_defaultESG_EEEEPS6_NSA_18transform_iteratorI10is_orderedNSA_12zip_iteratorINSA_5tupleINSC_INSA_10device_ptrIxEEEESQ_NSA_9null_typeESR_SR_SR_SR_SR_SR_SR_EEEESG_SG_EENS0_5tupleIJPxSJ_EEENSV_IJSJ_SJ_EEES6_PlJS6_EEE10hipError_tPvRmT3_T4_T5_T6_T7_T9_mT8_P12ihipStream_tbDpT10_ENKUlT_T0_E_clISt17integral_constantIbLb0EES1J_EEDaS1E_S1F_EUlS1E_E_NS1_11comp_targetILNS1_3genE2ELNS1_11target_archE906ELNS1_3gpuE6ELNS1_3repE0EEENS1_30default_config_static_selectorELNS0_4arch9wavefront6targetE1EEEvT1_
	.globl	_ZN7rocprim17ROCPRIM_400000_NS6detail17trampoline_kernelINS0_14default_configENS1_25partition_config_selectorILNS1_17partition_subalgoE2ExNS0_10empty_typeEbEEZZNS1_14partition_implILS5_2ELb0ES3_jN6thrust23THRUST_200600_302600_NS6detail15normal_iteratorINSA_7pointerIxNSA_11hip_rocprim3tagENSA_11use_defaultESG_EEEEPS6_NSA_18transform_iteratorI10is_orderedNSA_12zip_iteratorINSA_5tupleINSC_INSA_10device_ptrIxEEEESQ_NSA_9null_typeESR_SR_SR_SR_SR_SR_SR_EEEESG_SG_EENS0_5tupleIJPxSJ_EEENSV_IJSJ_SJ_EEES6_PlJS6_EEE10hipError_tPvRmT3_T4_T5_T6_T7_T9_mT8_P12ihipStream_tbDpT10_ENKUlT_T0_E_clISt17integral_constantIbLb0EES1J_EEDaS1E_S1F_EUlS1E_E_NS1_11comp_targetILNS1_3genE2ELNS1_11target_archE906ELNS1_3gpuE6ELNS1_3repE0EEENS1_30default_config_static_selectorELNS0_4arch9wavefront6targetE1EEEvT1_
	.p2align	8
	.type	_ZN7rocprim17ROCPRIM_400000_NS6detail17trampoline_kernelINS0_14default_configENS1_25partition_config_selectorILNS1_17partition_subalgoE2ExNS0_10empty_typeEbEEZZNS1_14partition_implILS5_2ELb0ES3_jN6thrust23THRUST_200600_302600_NS6detail15normal_iteratorINSA_7pointerIxNSA_11hip_rocprim3tagENSA_11use_defaultESG_EEEEPS6_NSA_18transform_iteratorI10is_orderedNSA_12zip_iteratorINSA_5tupleINSC_INSA_10device_ptrIxEEEESQ_NSA_9null_typeESR_SR_SR_SR_SR_SR_SR_EEEESG_SG_EENS0_5tupleIJPxSJ_EEENSV_IJSJ_SJ_EEES6_PlJS6_EEE10hipError_tPvRmT3_T4_T5_T6_T7_T9_mT8_P12ihipStream_tbDpT10_ENKUlT_T0_E_clISt17integral_constantIbLb0EES1J_EEDaS1E_S1F_EUlS1E_E_NS1_11comp_targetILNS1_3genE2ELNS1_11target_archE906ELNS1_3gpuE6ELNS1_3repE0EEENS1_30default_config_static_selectorELNS0_4arch9wavefront6targetE1EEEvT1_,@function
_ZN7rocprim17ROCPRIM_400000_NS6detail17trampoline_kernelINS0_14default_configENS1_25partition_config_selectorILNS1_17partition_subalgoE2ExNS0_10empty_typeEbEEZZNS1_14partition_implILS5_2ELb0ES3_jN6thrust23THRUST_200600_302600_NS6detail15normal_iteratorINSA_7pointerIxNSA_11hip_rocprim3tagENSA_11use_defaultESG_EEEEPS6_NSA_18transform_iteratorI10is_orderedNSA_12zip_iteratorINSA_5tupleINSC_INSA_10device_ptrIxEEEESQ_NSA_9null_typeESR_SR_SR_SR_SR_SR_SR_EEEESG_SG_EENS0_5tupleIJPxSJ_EEENSV_IJSJ_SJ_EEES6_PlJS6_EEE10hipError_tPvRmT3_T4_T5_T6_T7_T9_mT8_P12ihipStream_tbDpT10_ENKUlT_T0_E_clISt17integral_constantIbLb0EES1J_EEDaS1E_S1F_EUlS1E_E_NS1_11comp_targetILNS1_3genE2ELNS1_11target_archE906ELNS1_3gpuE6ELNS1_3repE0EEENS1_30default_config_static_selectorELNS0_4arch9wavefront6targetE1EEEvT1_: ; @_ZN7rocprim17ROCPRIM_400000_NS6detail17trampoline_kernelINS0_14default_configENS1_25partition_config_selectorILNS1_17partition_subalgoE2ExNS0_10empty_typeEbEEZZNS1_14partition_implILS5_2ELb0ES3_jN6thrust23THRUST_200600_302600_NS6detail15normal_iteratorINSA_7pointerIxNSA_11hip_rocprim3tagENSA_11use_defaultESG_EEEEPS6_NSA_18transform_iteratorI10is_orderedNSA_12zip_iteratorINSA_5tupleINSC_INSA_10device_ptrIxEEEESQ_NSA_9null_typeESR_SR_SR_SR_SR_SR_SR_EEEESG_SG_EENS0_5tupleIJPxSJ_EEENSV_IJSJ_SJ_EEES6_PlJS6_EEE10hipError_tPvRmT3_T4_T5_T6_T7_T9_mT8_P12ihipStream_tbDpT10_ENKUlT_T0_E_clISt17integral_constantIbLb0EES1J_EEDaS1E_S1F_EUlS1E_E_NS1_11comp_targetILNS1_3genE2ELNS1_11target_archE906ELNS1_3gpuE6ELNS1_3repE0EEENS1_30default_config_static_selectorELNS0_4arch9wavefront6targetE1EEEvT1_
; %bb.0:
	.section	.rodata,"a",@progbits
	.p2align	6, 0x0
	.amdhsa_kernel _ZN7rocprim17ROCPRIM_400000_NS6detail17trampoline_kernelINS0_14default_configENS1_25partition_config_selectorILNS1_17partition_subalgoE2ExNS0_10empty_typeEbEEZZNS1_14partition_implILS5_2ELb0ES3_jN6thrust23THRUST_200600_302600_NS6detail15normal_iteratorINSA_7pointerIxNSA_11hip_rocprim3tagENSA_11use_defaultESG_EEEEPS6_NSA_18transform_iteratorI10is_orderedNSA_12zip_iteratorINSA_5tupleINSC_INSA_10device_ptrIxEEEESQ_NSA_9null_typeESR_SR_SR_SR_SR_SR_SR_EEEESG_SG_EENS0_5tupleIJPxSJ_EEENSV_IJSJ_SJ_EEES6_PlJS6_EEE10hipError_tPvRmT3_T4_T5_T6_T7_T9_mT8_P12ihipStream_tbDpT10_ENKUlT_T0_E_clISt17integral_constantIbLb0EES1J_EEDaS1E_S1F_EUlS1E_E_NS1_11comp_targetILNS1_3genE2ELNS1_11target_archE906ELNS1_3gpuE6ELNS1_3repE0EEENS1_30default_config_static_selectorELNS0_4arch9wavefront6targetE1EEEvT1_
		.amdhsa_group_segment_fixed_size 0
		.amdhsa_private_segment_fixed_size 0
		.amdhsa_kernarg_size 136
		.amdhsa_user_sgpr_count 6
		.amdhsa_user_sgpr_private_segment_buffer 1
		.amdhsa_user_sgpr_dispatch_ptr 0
		.amdhsa_user_sgpr_queue_ptr 0
		.amdhsa_user_sgpr_kernarg_segment_ptr 1
		.amdhsa_user_sgpr_dispatch_id 0
		.amdhsa_user_sgpr_flat_scratch_init 0
		.amdhsa_user_sgpr_kernarg_preload_length 0
		.amdhsa_user_sgpr_kernarg_preload_offset 0
		.amdhsa_user_sgpr_private_segment_size 0
		.amdhsa_uses_dynamic_stack 0
		.amdhsa_system_sgpr_private_segment_wavefront_offset 0
		.amdhsa_system_sgpr_workgroup_id_x 1
		.amdhsa_system_sgpr_workgroup_id_y 0
		.amdhsa_system_sgpr_workgroup_id_z 0
		.amdhsa_system_sgpr_workgroup_info 0
		.amdhsa_system_vgpr_workitem_id 0
		.amdhsa_next_free_vgpr 1
		.amdhsa_next_free_sgpr 0
		.amdhsa_accum_offset 4
		.amdhsa_reserve_vcc 0
		.amdhsa_reserve_flat_scratch 0
		.amdhsa_float_round_mode_32 0
		.amdhsa_float_round_mode_16_64 0
		.amdhsa_float_denorm_mode_32 3
		.amdhsa_float_denorm_mode_16_64 3
		.amdhsa_dx10_clamp 1
		.amdhsa_ieee_mode 1
		.amdhsa_fp16_overflow 0
		.amdhsa_tg_split 0
		.amdhsa_exception_fp_ieee_invalid_op 0
		.amdhsa_exception_fp_denorm_src 0
		.amdhsa_exception_fp_ieee_div_zero 0
		.amdhsa_exception_fp_ieee_overflow 0
		.amdhsa_exception_fp_ieee_underflow 0
		.amdhsa_exception_fp_ieee_inexact 0
		.amdhsa_exception_int_div_zero 0
	.end_amdhsa_kernel
	.section	.text._ZN7rocprim17ROCPRIM_400000_NS6detail17trampoline_kernelINS0_14default_configENS1_25partition_config_selectorILNS1_17partition_subalgoE2ExNS0_10empty_typeEbEEZZNS1_14partition_implILS5_2ELb0ES3_jN6thrust23THRUST_200600_302600_NS6detail15normal_iteratorINSA_7pointerIxNSA_11hip_rocprim3tagENSA_11use_defaultESG_EEEEPS6_NSA_18transform_iteratorI10is_orderedNSA_12zip_iteratorINSA_5tupleINSC_INSA_10device_ptrIxEEEESQ_NSA_9null_typeESR_SR_SR_SR_SR_SR_SR_EEEESG_SG_EENS0_5tupleIJPxSJ_EEENSV_IJSJ_SJ_EEES6_PlJS6_EEE10hipError_tPvRmT3_T4_T5_T6_T7_T9_mT8_P12ihipStream_tbDpT10_ENKUlT_T0_E_clISt17integral_constantIbLb0EES1J_EEDaS1E_S1F_EUlS1E_E_NS1_11comp_targetILNS1_3genE2ELNS1_11target_archE906ELNS1_3gpuE6ELNS1_3repE0EEENS1_30default_config_static_selectorELNS0_4arch9wavefront6targetE1EEEvT1_,"axG",@progbits,_ZN7rocprim17ROCPRIM_400000_NS6detail17trampoline_kernelINS0_14default_configENS1_25partition_config_selectorILNS1_17partition_subalgoE2ExNS0_10empty_typeEbEEZZNS1_14partition_implILS5_2ELb0ES3_jN6thrust23THRUST_200600_302600_NS6detail15normal_iteratorINSA_7pointerIxNSA_11hip_rocprim3tagENSA_11use_defaultESG_EEEEPS6_NSA_18transform_iteratorI10is_orderedNSA_12zip_iteratorINSA_5tupleINSC_INSA_10device_ptrIxEEEESQ_NSA_9null_typeESR_SR_SR_SR_SR_SR_SR_EEEESG_SG_EENS0_5tupleIJPxSJ_EEENSV_IJSJ_SJ_EEES6_PlJS6_EEE10hipError_tPvRmT3_T4_T5_T6_T7_T9_mT8_P12ihipStream_tbDpT10_ENKUlT_T0_E_clISt17integral_constantIbLb0EES1J_EEDaS1E_S1F_EUlS1E_E_NS1_11comp_targetILNS1_3genE2ELNS1_11target_archE906ELNS1_3gpuE6ELNS1_3repE0EEENS1_30default_config_static_selectorELNS0_4arch9wavefront6targetE1EEEvT1_,comdat
.Lfunc_end3566:
	.size	_ZN7rocprim17ROCPRIM_400000_NS6detail17trampoline_kernelINS0_14default_configENS1_25partition_config_selectorILNS1_17partition_subalgoE2ExNS0_10empty_typeEbEEZZNS1_14partition_implILS5_2ELb0ES3_jN6thrust23THRUST_200600_302600_NS6detail15normal_iteratorINSA_7pointerIxNSA_11hip_rocprim3tagENSA_11use_defaultESG_EEEEPS6_NSA_18transform_iteratorI10is_orderedNSA_12zip_iteratorINSA_5tupleINSC_INSA_10device_ptrIxEEEESQ_NSA_9null_typeESR_SR_SR_SR_SR_SR_SR_EEEESG_SG_EENS0_5tupleIJPxSJ_EEENSV_IJSJ_SJ_EEES6_PlJS6_EEE10hipError_tPvRmT3_T4_T5_T6_T7_T9_mT8_P12ihipStream_tbDpT10_ENKUlT_T0_E_clISt17integral_constantIbLb0EES1J_EEDaS1E_S1F_EUlS1E_E_NS1_11comp_targetILNS1_3genE2ELNS1_11target_archE906ELNS1_3gpuE6ELNS1_3repE0EEENS1_30default_config_static_selectorELNS0_4arch9wavefront6targetE1EEEvT1_, .Lfunc_end3566-_ZN7rocprim17ROCPRIM_400000_NS6detail17trampoline_kernelINS0_14default_configENS1_25partition_config_selectorILNS1_17partition_subalgoE2ExNS0_10empty_typeEbEEZZNS1_14partition_implILS5_2ELb0ES3_jN6thrust23THRUST_200600_302600_NS6detail15normal_iteratorINSA_7pointerIxNSA_11hip_rocprim3tagENSA_11use_defaultESG_EEEEPS6_NSA_18transform_iteratorI10is_orderedNSA_12zip_iteratorINSA_5tupleINSC_INSA_10device_ptrIxEEEESQ_NSA_9null_typeESR_SR_SR_SR_SR_SR_SR_EEEESG_SG_EENS0_5tupleIJPxSJ_EEENSV_IJSJ_SJ_EEES6_PlJS6_EEE10hipError_tPvRmT3_T4_T5_T6_T7_T9_mT8_P12ihipStream_tbDpT10_ENKUlT_T0_E_clISt17integral_constantIbLb0EES1J_EEDaS1E_S1F_EUlS1E_E_NS1_11comp_targetILNS1_3genE2ELNS1_11target_archE906ELNS1_3gpuE6ELNS1_3repE0EEENS1_30default_config_static_selectorELNS0_4arch9wavefront6targetE1EEEvT1_
                                        ; -- End function
	.section	.AMDGPU.csdata,"",@progbits
; Kernel info:
; codeLenInByte = 0
; NumSgprs: 4
; NumVgprs: 0
; NumAgprs: 0
; TotalNumVgprs: 0
; ScratchSize: 0
; MemoryBound: 0
; FloatMode: 240
; IeeeMode: 1
; LDSByteSize: 0 bytes/workgroup (compile time only)
; SGPRBlocks: 0
; VGPRBlocks: 0
; NumSGPRsForWavesPerEU: 4
; NumVGPRsForWavesPerEU: 1
; AccumOffset: 4
; Occupancy: 8
; WaveLimiterHint : 0
; COMPUTE_PGM_RSRC2:SCRATCH_EN: 0
; COMPUTE_PGM_RSRC2:USER_SGPR: 6
; COMPUTE_PGM_RSRC2:TRAP_HANDLER: 0
; COMPUTE_PGM_RSRC2:TGID_X_EN: 1
; COMPUTE_PGM_RSRC2:TGID_Y_EN: 0
; COMPUTE_PGM_RSRC2:TGID_Z_EN: 0
; COMPUTE_PGM_RSRC2:TIDIG_COMP_CNT: 0
; COMPUTE_PGM_RSRC3_GFX90A:ACCUM_OFFSET: 0
; COMPUTE_PGM_RSRC3_GFX90A:TG_SPLIT: 0
	.section	.text._ZN7rocprim17ROCPRIM_400000_NS6detail17trampoline_kernelINS0_14default_configENS1_25partition_config_selectorILNS1_17partition_subalgoE2ExNS0_10empty_typeEbEEZZNS1_14partition_implILS5_2ELb0ES3_jN6thrust23THRUST_200600_302600_NS6detail15normal_iteratorINSA_7pointerIxNSA_11hip_rocprim3tagENSA_11use_defaultESG_EEEEPS6_NSA_18transform_iteratorI10is_orderedNSA_12zip_iteratorINSA_5tupleINSC_INSA_10device_ptrIxEEEESQ_NSA_9null_typeESR_SR_SR_SR_SR_SR_SR_EEEESG_SG_EENS0_5tupleIJPxSJ_EEENSV_IJSJ_SJ_EEES6_PlJS6_EEE10hipError_tPvRmT3_T4_T5_T6_T7_T9_mT8_P12ihipStream_tbDpT10_ENKUlT_T0_E_clISt17integral_constantIbLb0EES1J_EEDaS1E_S1F_EUlS1E_E_NS1_11comp_targetILNS1_3genE10ELNS1_11target_archE1200ELNS1_3gpuE4ELNS1_3repE0EEENS1_30default_config_static_selectorELNS0_4arch9wavefront6targetE1EEEvT1_,"axG",@progbits,_ZN7rocprim17ROCPRIM_400000_NS6detail17trampoline_kernelINS0_14default_configENS1_25partition_config_selectorILNS1_17partition_subalgoE2ExNS0_10empty_typeEbEEZZNS1_14partition_implILS5_2ELb0ES3_jN6thrust23THRUST_200600_302600_NS6detail15normal_iteratorINSA_7pointerIxNSA_11hip_rocprim3tagENSA_11use_defaultESG_EEEEPS6_NSA_18transform_iteratorI10is_orderedNSA_12zip_iteratorINSA_5tupleINSC_INSA_10device_ptrIxEEEESQ_NSA_9null_typeESR_SR_SR_SR_SR_SR_SR_EEEESG_SG_EENS0_5tupleIJPxSJ_EEENSV_IJSJ_SJ_EEES6_PlJS6_EEE10hipError_tPvRmT3_T4_T5_T6_T7_T9_mT8_P12ihipStream_tbDpT10_ENKUlT_T0_E_clISt17integral_constantIbLb0EES1J_EEDaS1E_S1F_EUlS1E_E_NS1_11comp_targetILNS1_3genE10ELNS1_11target_archE1200ELNS1_3gpuE4ELNS1_3repE0EEENS1_30default_config_static_selectorELNS0_4arch9wavefront6targetE1EEEvT1_,comdat
	.protected	_ZN7rocprim17ROCPRIM_400000_NS6detail17trampoline_kernelINS0_14default_configENS1_25partition_config_selectorILNS1_17partition_subalgoE2ExNS0_10empty_typeEbEEZZNS1_14partition_implILS5_2ELb0ES3_jN6thrust23THRUST_200600_302600_NS6detail15normal_iteratorINSA_7pointerIxNSA_11hip_rocprim3tagENSA_11use_defaultESG_EEEEPS6_NSA_18transform_iteratorI10is_orderedNSA_12zip_iteratorINSA_5tupleINSC_INSA_10device_ptrIxEEEESQ_NSA_9null_typeESR_SR_SR_SR_SR_SR_SR_EEEESG_SG_EENS0_5tupleIJPxSJ_EEENSV_IJSJ_SJ_EEES6_PlJS6_EEE10hipError_tPvRmT3_T4_T5_T6_T7_T9_mT8_P12ihipStream_tbDpT10_ENKUlT_T0_E_clISt17integral_constantIbLb0EES1J_EEDaS1E_S1F_EUlS1E_E_NS1_11comp_targetILNS1_3genE10ELNS1_11target_archE1200ELNS1_3gpuE4ELNS1_3repE0EEENS1_30default_config_static_selectorELNS0_4arch9wavefront6targetE1EEEvT1_ ; -- Begin function _ZN7rocprim17ROCPRIM_400000_NS6detail17trampoline_kernelINS0_14default_configENS1_25partition_config_selectorILNS1_17partition_subalgoE2ExNS0_10empty_typeEbEEZZNS1_14partition_implILS5_2ELb0ES3_jN6thrust23THRUST_200600_302600_NS6detail15normal_iteratorINSA_7pointerIxNSA_11hip_rocprim3tagENSA_11use_defaultESG_EEEEPS6_NSA_18transform_iteratorI10is_orderedNSA_12zip_iteratorINSA_5tupleINSC_INSA_10device_ptrIxEEEESQ_NSA_9null_typeESR_SR_SR_SR_SR_SR_SR_EEEESG_SG_EENS0_5tupleIJPxSJ_EEENSV_IJSJ_SJ_EEES6_PlJS6_EEE10hipError_tPvRmT3_T4_T5_T6_T7_T9_mT8_P12ihipStream_tbDpT10_ENKUlT_T0_E_clISt17integral_constantIbLb0EES1J_EEDaS1E_S1F_EUlS1E_E_NS1_11comp_targetILNS1_3genE10ELNS1_11target_archE1200ELNS1_3gpuE4ELNS1_3repE0EEENS1_30default_config_static_selectorELNS0_4arch9wavefront6targetE1EEEvT1_
	.globl	_ZN7rocprim17ROCPRIM_400000_NS6detail17trampoline_kernelINS0_14default_configENS1_25partition_config_selectorILNS1_17partition_subalgoE2ExNS0_10empty_typeEbEEZZNS1_14partition_implILS5_2ELb0ES3_jN6thrust23THRUST_200600_302600_NS6detail15normal_iteratorINSA_7pointerIxNSA_11hip_rocprim3tagENSA_11use_defaultESG_EEEEPS6_NSA_18transform_iteratorI10is_orderedNSA_12zip_iteratorINSA_5tupleINSC_INSA_10device_ptrIxEEEESQ_NSA_9null_typeESR_SR_SR_SR_SR_SR_SR_EEEESG_SG_EENS0_5tupleIJPxSJ_EEENSV_IJSJ_SJ_EEES6_PlJS6_EEE10hipError_tPvRmT3_T4_T5_T6_T7_T9_mT8_P12ihipStream_tbDpT10_ENKUlT_T0_E_clISt17integral_constantIbLb0EES1J_EEDaS1E_S1F_EUlS1E_E_NS1_11comp_targetILNS1_3genE10ELNS1_11target_archE1200ELNS1_3gpuE4ELNS1_3repE0EEENS1_30default_config_static_selectorELNS0_4arch9wavefront6targetE1EEEvT1_
	.p2align	8
	.type	_ZN7rocprim17ROCPRIM_400000_NS6detail17trampoline_kernelINS0_14default_configENS1_25partition_config_selectorILNS1_17partition_subalgoE2ExNS0_10empty_typeEbEEZZNS1_14partition_implILS5_2ELb0ES3_jN6thrust23THRUST_200600_302600_NS6detail15normal_iteratorINSA_7pointerIxNSA_11hip_rocprim3tagENSA_11use_defaultESG_EEEEPS6_NSA_18transform_iteratorI10is_orderedNSA_12zip_iteratorINSA_5tupleINSC_INSA_10device_ptrIxEEEESQ_NSA_9null_typeESR_SR_SR_SR_SR_SR_SR_EEEESG_SG_EENS0_5tupleIJPxSJ_EEENSV_IJSJ_SJ_EEES6_PlJS6_EEE10hipError_tPvRmT3_T4_T5_T6_T7_T9_mT8_P12ihipStream_tbDpT10_ENKUlT_T0_E_clISt17integral_constantIbLb0EES1J_EEDaS1E_S1F_EUlS1E_E_NS1_11comp_targetILNS1_3genE10ELNS1_11target_archE1200ELNS1_3gpuE4ELNS1_3repE0EEENS1_30default_config_static_selectorELNS0_4arch9wavefront6targetE1EEEvT1_,@function
_ZN7rocprim17ROCPRIM_400000_NS6detail17trampoline_kernelINS0_14default_configENS1_25partition_config_selectorILNS1_17partition_subalgoE2ExNS0_10empty_typeEbEEZZNS1_14partition_implILS5_2ELb0ES3_jN6thrust23THRUST_200600_302600_NS6detail15normal_iteratorINSA_7pointerIxNSA_11hip_rocprim3tagENSA_11use_defaultESG_EEEEPS6_NSA_18transform_iteratorI10is_orderedNSA_12zip_iteratorINSA_5tupleINSC_INSA_10device_ptrIxEEEESQ_NSA_9null_typeESR_SR_SR_SR_SR_SR_SR_EEEESG_SG_EENS0_5tupleIJPxSJ_EEENSV_IJSJ_SJ_EEES6_PlJS6_EEE10hipError_tPvRmT3_T4_T5_T6_T7_T9_mT8_P12ihipStream_tbDpT10_ENKUlT_T0_E_clISt17integral_constantIbLb0EES1J_EEDaS1E_S1F_EUlS1E_E_NS1_11comp_targetILNS1_3genE10ELNS1_11target_archE1200ELNS1_3gpuE4ELNS1_3repE0EEENS1_30default_config_static_selectorELNS0_4arch9wavefront6targetE1EEEvT1_: ; @_ZN7rocprim17ROCPRIM_400000_NS6detail17trampoline_kernelINS0_14default_configENS1_25partition_config_selectorILNS1_17partition_subalgoE2ExNS0_10empty_typeEbEEZZNS1_14partition_implILS5_2ELb0ES3_jN6thrust23THRUST_200600_302600_NS6detail15normal_iteratorINSA_7pointerIxNSA_11hip_rocprim3tagENSA_11use_defaultESG_EEEEPS6_NSA_18transform_iteratorI10is_orderedNSA_12zip_iteratorINSA_5tupleINSC_INSA_10device_ptrIxEEEESQ_NSA_9null_typeESR_SR_SR_SR_SR_SR_SR_EEEESG_SG_EENS0_5tupleIJPxSJ_EEENSV_IJSJ_SJ_EEES6_PlJS6_EEE10hipError_tPvRmT3_T4_T5_T6_T7_T9_mT8_P12ihipStream_tbDpT10_ENKUlT_T0_E_clISt17integral_constantIbLb0EES1J_EEDaS1E_S1F_EUlS1E_E_NS1_11comp_targetILNS1_3genE10ELNS1_11target_archE1200ELNS1_3gpuE4ELNS1_3repE0EEENS1_30default_config_static_selectorELNS0_4arch9wavefront6targetE1EEEvT1_
; %bb.0:
	.section	.rodata,"a",@progbits
	.p2align	6, 0x0
	.amdhsa_kernel _ZN7rocprim17ROCPRIM_400000_NS6detail17trampoline_kernelINS0_14default_configENS1_25partition_config_selectorILNS1_17partition_subalgoE2ExNS0_10empty_typeEbEEZZNS1_14partition_implILS5_2ELb0ES3_jN6thrust23THRUST_200600_302600_NS6detail15normal_iteratorINSA_7pointerIxNSA_11hip_rocprim3tagENSA_11use_defaultESG_EEEEPS6_NSA_18transform_iteratorI10is_orderedNSA_12zip_iteratorINSA_5tupleINSC_INSA_10device_ptrIxEEEESQ_NSA_9null_typeESR_SR_SR_SR_SR_SR_SR_EEEESG_SG_EENS0_5tupleIJPxSJ_EEENSV_IJSJ_SJ_EEES6_PlJS6_EEE10hipError_tPvRmT3_T4_T5_T6_T7_T9_mT8_P12ihipStream_tbDpT10_ENKUlT_T0_E_clISt17integral_constantIbLb0EES1J_EEDaS1E_S1F_EUlS1E_E_NS1_11comp_targetILNS1_3genE10ELNS1_11target_archE1200ELNS1_3gpuE4ELNS1_3repE0EEENS1_30default_config_static_selectorELNS0_4arch9wavefront6targetE1EEEvT1_
		.amdhsa_group_segment_fixed_size 0
		.amdhsa_private_segment_fixed_size 0
		.amdhsa_kernarg_size 136
		.amdhsa_user_sgpr_count 6
		.amdhsa_user_sgpr_private_segment_buffer 1
		.amdhsa_user_sgpr_dispatch_ptr 0
		.amdhsa_user_sgpr_queue_ptr 0
		.amdhsa_user_sgpr_kernarg_segment_ptr 1
		.amdhsa_user_sgpr_dispatch_id 0
		.amdhsa_user_sgpr_flat_scratch_init 0
		.amdhsa_user_sgpr_kernarg_preload_length 0
		.amdhsa_user_sgpr_kernarg_preload_offset 0
		.amdhsa_user_sgpr_private_segment_size 0
		.amdhsa_uses_dynamic_stack 0
		.amdhsa_system_sgpr_private_segment_wavefront_offset 0
		.amdhsa_system_sgpr_workgroup_id_x 1
		.amdhsa_system_sgpr_workgroup_id_y 0
		.amdhsa_system_sgpr_workgroup_id_z 0
		.amdhsa_system_sgpr_workgroup_info 0
		.amdhsa_system_vgpr_workitem_id 0
		.amdhsa_next_free_vgpr 1
		.amdhsa_next_free_sgpr 0
		.amdhsa_accum_offset 4
		.amdhsa_reserve_vcc 0
		.amdhsa_reserve_flat_scratch 0
		.amdhsa_float_round_mode_32 0
		.amdhsa_float_round_mode_16_64 0
		.amdhsa_float_denorm_mode_32 3
		.amdhsa_float_denorm_mode_16_64 3
		.amdhsa_dx10_clamp 1
		.amdhsa_ieee_mode 1
		.amdhsa_fp16_overflow 0
		.amdhsa_tg_split 0
		.amdhsa_exception_fp_ieee_invalid_op 0
		.amdhsa_exception_fp_denorm_src 0
		.amdhsa_exception_fp_ieee_div_zero 0
		.amdhsa_exception_fp_ieee_overflow 0
		.amdhsa_exception_fp_ieee_underflow 0
		.amdhsa_exception_fp_ieee_inexact 0
		.amdhsa_exception_int_div_zero 0
	.end_amdhsa_kernel
	.section	.text._ZN7rocprim17ROCPRIM_400000_NS6detail17trampoline_kernelINS0_14default_configENS1_25partition_config_selectorILNS1_17partition_subalgoE2ExNS0_10empty_typeEbEEZZNS1_14partition_implILS5_2ELb0ES3_jN6thrust23THRUST_200600_302600_NS6detail15normal_iteratorINSA_7pointerIxNSA_11hip_rocprim3tagENSA_11use_defaultESG_EEEEPS6_NSA_18transform_iteratorI10is_orderedNSA_12zip_iteratorINSA_5tupleINSC_INSA_10device_ptrIxEEEESQ_NSA_9null_typeESR_SR_SR_SR_SR_SR_SR_EEEESG_SG_EENS0_5tupleIJPxSJ_EEENSV_IJSJ_SJ_EEES6_PlJS6_EEE10hipError_tPvRmT3_T4_T5_T6_T7_T9_mT8_P12ihipStream_tbDpT10_ENKUlT_T0_E_clISt17integral_constantIbLb0EES1J_EEDaS1E_S1F_EUlS1E_E_NS1_11comp_targetILNS1_3genE10ELNS1_11target_archE1200ELNS1_3gpuE4ELNS1_3repE0EEENS1_30default_config_static_selectorELNS0_4arch9wavefront6targetE1EEEvT1_,"axG",@progbits,_ZN7rocprim17ROCPRIM_400000_NS6detail17trampoline_kernelINS0_14default_configENS1_25partition_config_selectorILNS1_17partition_subalgoE2ExNS0_10empty_typeEbEEZZNS1_14partition_implILS5_2ELb0ES3_jN6thrust23THRUST_200600_302600_NS6detail15normal_iteratorINSA_7pointerIxNSA_11hip_rocprim3tagENSA_11use_defaultESG_EEEEPS6_NSA_18transform_iteratorI10is_orderedNSA_12zip_iteratorINSA_5tupleINSC_INSA_10device_ptrIxEEEESQ_NSA_9null_typeESR_SR_SR_SR_SR_SR_SR_EEEESG_SG_EENS0_5tupleIJPxSJ_EEENSV_IJSJ_SJ_EEES6_PlJS6_EEE10hipError_tPvRmT3_T4_T5_T6_T7_T9_mT8_P12ihipStream_tbDpT10_ENKUlT_T0_E_clISt17integral_constantIbLb0EES1J_EEDaS1E_S1F_EUlS1E_E_NS1_11comp_targetILNS1_3genE10ELNS1_11target_archE1200ELNS1_3gpuE4ELNS1_3repE0EEENS1_30default_config_static_selectorELNS0_4arch9wavefront6targetE1EEEvT1_,comdat
.Lfunc_end3567:
	.size	_ZN7rocprim17ROCPRIM_400000_NS6detail17trampoline_kernelINS0_14default_configENS1_25partition_config_selectorILNS1_17partition_subalgoE2ExNS0_10empty_typeEbEEZZNS1_14partition_implILS5_2ELb0ES3_jN6thrust23THRUST_200600_302600_NS6detail15normal_iteratorINSA_7pointerIxNSA_11hip_rocprim3tagENSA_11use_defaultESG_EEEEPS6_NSA_18transform_iteratorI10is_orderedNSA_12zip_iteratorINSA_5tupleINSC_INSA_10device_ptrIxEEEESQ_NSA_9null_typeESR_SR_SR_SR_SR_SR_SR_EEEESG_SG_EENS0_5tupleIJPxSJ_EEENSV_IJSJ_SJ_EEES6_PlJS6_EEE10hipError_tPvRmT3_T4_T5_T6_T7_T9_mT8_P12ihipStream_tbDpT10_ENKUlT_T0_E_clISt17integral_constantIbLb0EES1J_EEDaS1E_S1F_EUlS1E_E_NS1_11comp_targetILNS1_3genE10ELNS1_11target_archE1200ELNS1_3gpuE4ELNS1_3repE0EEENS1_30default_config_static_selectorELNS0_4arch9wavefront6targetE1EEEvT1_, .Lfunc_end3567-_ZN7rocprim17ROCPRIM_400000_NS6detail17trampoline_kernelINS0_14default_configENS1_25partition_config_selectorILNS1_17partition_subalgoE2ExNS0_10empty_typeEbEEZZNS1_14partition_implILS5_2ELb0ES3_jN6thrust23THRUST_200600_302600_NS6detail15normal_iteratorINSA_7pointerIxNSA_11hip_rocprim3tagENSA_11use_defaultESG_EEEEPS6_NSA_18transform_iteratorI10is_orderedNSA_12zip_iteratorINSA_5tupleINSC_INSA_10device_ptrIxEEEESQ_NSA_9null_typeESR_SR_SR_SR_SR_SR_SR_EEEESG_SG_EENS0_5tupleIJPxSJ_EEENSV_IJSJ_SJ_EEES6_PlJS6_EEE10hipError_tPvRmT3_T4_T5_T6_T7_T9_mT8_P12ihipStream_tbDpT10_ENKUlT_T0_E_clISt17integral_constantIbLb0EES1J_EEDaS1E_S1F_EUlS1E_E_NS1_11comp_targetILNS1_3genE10ELNS1_11target_archE1200ELNS1_3gpuE4ELNS1_3repE0EEENS1_30default_config_static_selectorELNS0_4arch9wavefront6targetE1EEEvT1_
                                        ; -- End function
	.section	.AMDGPU.csdata,"",@progbits
; Kernel info:
; codeLenInByte = 0
; NumSgprs: 4
; NumVgprs: 0
; NumAgprs: 0
; TotalNumVgprs: 0
; ScratchSize: 0
; MemoryBound: 0
; FloatMode: 240
; IeeeMode: 1
; LDSByteSize: 0 bytes/workgroup (compile time only)
; SGPRBlocks: 0
; VGPRBlocks: 0
; NumSGPRsForWavesPerEU: 4
; NumVGPRsForWavesPerEU: 1
; AccumOffset: 4
; Occupancy: 8
; WaveLimiterHint : 0
; COMPUTE_PGM_RSRC2:SCRATCH_EN: 0
; COMPUTE_PGM_RSRC2:USER_SGPR: 6
; COMPUTE_PGM_RSRC2:TRAP_HANDLER: 0
; COMPUTE_PGM_RSRC2:TGID_X_EN: 1
; COMPUTE_PGM_RSRC2:TGID_Y_EN: 0
; COMPUTE_PGM_RSRC2:TGID_Z_EN: 0
; COMPUTE_PGM_RSRC2:TIDIG_COMP_CNT: 0
; COMPUTE_PGM_RSRC3_GFX90A:ACCUM_OFFSET: 0
; COMPUTE_PGM_RSRC3_GFX90A:TG_SPLIT: 0
	.section	.text._ZN7rocprim17ROCPRIM_400000_NS6detail17trampoline_kernelINS0_14default_configENS1_25partition_config_selectorILNS1_17partition_subalgoE2ExNS0_10empty_typeEbEEZZNS1_14partition_implILS5_2ELb0ES3_jN6thrust23THRUST_200600_302600_NS6detail15normal_iteratorINSA_7pointerIxNSA_11hip_rocprim3tagENSA_11use_defaultESG_EEEEPS6_NSA_18transform_iteratorI10is_orderedNSA_12zip_iteratorINSA_5tupleINSC_INSA_10device_ptrIxEEEESQ_NSA_9null_typeESR_SR_SR_SR_SR_SR_SR_EEEESG_SG_EENS0_5tupleIJPxSJ_EEENSV_IJSJ_SJ_EEES6_PlJS6_EEE10hipError_tPvRmT3_T4_T5_T6_T7_T9_mT8_P12ihipStream_tbDpT10_ENKUlT_T0_E_clISt17integral_constantIbLb0EES1J_EEDaS1E_S1F_EUlS1E_E_NS1_11comp_targetILNS1_3genE9ELNS1_11target_archE1100ELNS1_3gpuE3ELNS1_3repE0EEENS1_30default_config_static_selectorELNS0_4arch9wavefront6targetE1EEEvT1_,"axG",@progbits,_ZN7rocprim17ROCPRIM_400000_NS6detail17trampoline_kernelINS0_14default_configENS1_25partition_config_selectorILNS1_17partition_subalgoE2ExNS0_10empty_typeEbEEZZNS1_14partition_implILS5_2ELb0ES3_jN6thrust23THRUST_200600_302600_NS6detail15normal_iteratorINSA_7pointerIxNSA_11hip_rocprim3tagENSA_11use_defaultESG_EEEEPS6_NSA_18transform_iteratorI10is_orderedNSA_12zip_iteratorINSA_5tupleINSC_INSA_10device_ptrIxEEEESQ_NSA_9null_typeESR_SR_SR_SR_SR_SR_SR_EEEESG_SG_EENS0_5tupleIJPxSJ_EEENSV_IJSJ_SJ_EEES6_PlJS6_EEE10hipError_tPvRmT3_T4_T5_T6_T7_T9_mT8_P12ihipStream_tbDpT10_ENKUlT_T0_E_clISt17integral_constantIbLb0EES1J_EEDaS1E_S1F_EUlS1E_E_NS1_11comp_targetILNS1_3genE9ELNS1_11target_archE1100ELNS1_3gpuE3ELNS1_3repE0EEENS1_30default_config_static_selectorELNS0_4arch9wavefront6targetE1EEEvT1_,comdat
	.protected	_ZN7rocprim17ROCPRIM_400000_NS6detail17trampoline_kernelINS0_14default_configENS1_25partition_config_selectorILNS1_17partition_subalgoE2ExNS0_10empty_typeEbEEZZNS1_14partition_implILS5_2ELb0ES3_jN6thrust23THRUST_200600_302600_NS6detail15normal_iteratorINSA_7pointerIxNSA_11hip_rocprim3tagENSA_11use_defaultESG_EEEEPS6_NSA_18transform_iteratorI10is_orderedNSA_12zip_iteratorINSA_5tupleINSC_INSA_10device_ptrIxEEEESQ_NSA_9null_typeESR_SR_SR_SR_SR_SR_SR_EEEESG_SG_EENS0_5tupleIJPxSJ_EEENSV_IJSJ_SJ_EEES6_PlJS6_EEE10hipError_tPvRmT3_T4_T5_T6_T7_T9_mT8_P12ihipStream_tbDpT10_ENKUlT_T0_E_clISt17integral_constantIbLb0EES1J_EEDaS1E_S1F_EUlS1E_E_NS1_11comp_targetILNS1_3genE9ELNS1_11target_archE1100ELNS1_3gpuE3ELNS1_3repE0EEENS1_30default_config_static_selectorELNS0_4arch9wavefront6targetE1EEEvT1_ ; -- Begin function _ZN7rocprim17ROCPRIM_400000_NS6detail17trampoline_kernelINS0_14default_configENS1_25partition_config_selectorILNS1_17partition_subalgoE2ExNS0_10empty_typeEbEEZZNS1_14partition_implILS5_2ELb0ES3_jN6thrust23THRUST_200600_302600_NS6detail15normal_iteratorINSA_7pointerIxNSA_11hip_rocprim3tagENSA_11use_defaultESG_EEEEPS6_NSA_18transform_iteratorI10is_orderedNSA_12zip_iteratorINSA_5tupleINSC_INSA_10device_ptrIxEEEESQ_NSA_9null_typeESR_SR_SR_SR_SR_SR_SR_EEEESG_SG_EENS0_5tupleIJPxSJ_EEENSV_IJSJ_SJ_EEES6_PlJS6_EEE10hipError_tPvRmT3_T4_T5_T6_T7_T9_mT8_P12ihipStream_tbDpT10_ENKUlT_T0_E_clISt17integral_constantIbLb0EES1J_EEDaS1E_S1F_EUlS1E_E_NS1_11comp_targetILNS1_3genE9ELNS1_11target_archE1100ELNS1_3gpuE3ELNS1_3repE0EEENS1_30default_config_static_selectorELNS0_4arch9wavefront6targetE1EEEvT1_
	.globl	_ZN7rocprim17ROCPRIM_400000_NS6detail17trampoline_kernelINS0_14default_configENS1_25partition_config_selectorILNS1_17partition_subalgoE2ExNS0_10empty_typeEbEEZZNS1_14partition_implILS5_2ELb0ES3_jN6thrust23THRUST_200600_302600_NS6detail15normal_iteratorINSA_7pointerIxNSA_11hip_rocprim3tagENSA_11use_defaultESG_EEEEPS6_NSA_18transform_iteratorI10is_orderedNSA_12zip_iteratorINSA_5tupleINSC_INSA_10device_ptrIxEEEESQ_NSA_9null_typeESR_SR_SR_SR_SR_SR_SR_EEEESG_SG_EENS0_5tupleIJPxSJ_EEENSV_IJSJ_SJ_EEES6_PlJS6_EEE10hipError_tPvRmT3_T4_T5_T6_T7_T9_mT8_P12ihipStream_tbDpT10_ENKUlT_T0_E_clISt17integral_constantIbLb0EES1J_EEDaS1E_S1F_EUlS1E_E_NS1_11comp_targetILNS1_3genE9ELNS1_11target_archE1100ELNS1_3gpuE3ELNS1_3repE0EEENS1_30default_config_static_selectorELNS0_4arch9wavefront6targetE1EEEvT1_
	.p2align	8
	.type	_ZN7rocprim17ROCPRIM_400000_NS6detail17trampoline_kernelINS0_14default_configENS1_25partition_config_selectorILNS1_17partition_subalgoE2ExNS0_10empty_typeEbEEZZNS1_14partition_implILS5_2ELb0ES3_jN6thrust23THRUST_200600_302600_NS6detail15normal_iteratorINSA_7pointerIxNSA_11hip_rocprim3tagENSA_11use_defaultESG_EEEEPS6_NSA_18transform_iteratorI10is_orderedNSA_12zip_iteratorINSA_5tupleINSC_INSA_10device_ptrIxEEEESQ_NSA_9null_typeESR_SR_SR_SR_SR_SR_SR_EEEESG_SG_EENS0_5tupleIJPxSJ_EEENSV_IJSJ_SJ_EEES6_PlJS6_EEE10hipError_tPvRmT3_T4_T5_T6_T7_T9_mT8_P12ihipStream_tbDpT10_ENKUlT_T0_E_clISt17integral_constantIbLb0EES1J_EEDaS1E_S1F_EUlS1E_E_NS1_11comp_targetILNS1_3genE9ELNS1_11target_archE1100ELNS1_3gpuE3ELNS1_3repE0EEENS1_30default_config_static_selectorELNS0_4arch9wavefront6targetE1EEEvT1_,@function
_ZN7rocprim17ROCPRIM_400000_NS6detail17trampoline_kernelINS0_14default_configENS1_25partition_config_selectorILNS1_17partition_subalgoE2ExNS0_10empty_typeEbEEZZNS1_14partition_implILS5_2ELb0ES3_jN6thrust23THRUST_200600_302600_NS6detail15normal_iteratorINSA_7pointerIxNSA_11hip_rocprim3tagENSA_11use_defaultESG_EEEEPS6_NSA_18transform_iteratorI10is_orderedNSA_12zip_iteratorINSA_5tupleINSC_INSA_10device_ptrIxEEEESQ_NSA_9null_typeESR_SR_SR_SR_SR_SR_SR_EEEESG_SG_EENS0_5tupleIJPxSJ_EEENSV_IJSJ_SJ_EEES6_PlJS6_EEE10hipError_tPvRmT3_T4_T5_T6_T7_T9_mT8_P12ihipStream_tbDpT10_ENKUlT_T0_E_clISt17integral_constantIbLb0EES1J_EEDaS1E_S1F_EUlS1E_E_NS1_11comp_targetILNS1_3genE9ELNS1_11target_archE1100ELNS1_3gpuE3ELNS1_3repE0EEENS1_30default_config_static_selectorELNS0_4arch9wavefront6targetE1EEEvT1_: ; @_ZN7rocprim17ROCPRIM_400000_NS6detail17trampoline_kernelINS0_14default_configENS1_25partition_config_selectorILNS1_17partition_subalgoE2ExNS0_10empty_typeEbEEZZNS1_14partition_implILS5_2ELb0ES3_jN6thrust23THRUST_200600_302600_NS6detail15normal_iteratorINSA_7pointerIxNSA_11hip_rocprim3tagENSA_11use_defaultESG_EEEEPS6_NSA_18transform_iteratorI10is_orderedNSA_12zip_iteratorINSA_5tupleINSC_INSA_10device_ptrIxEEEESQ_NSA_9null_typeESR_SR_SR_SR_SR_SR_SR_EEEESG_SG_EENS0_5tupleIJPxSJ_EEENSV_IJSJ_SJ_EEES6_PlJS6_EEE10hipError_tPvRmT3_T4_T5_T6_T7_T9_mT8_P12ihipStream_tbDpT10_ENKUlT_T0_E_clISt17integral_constantIbLb0EES1J_EEDaS1E_S1F_EUlS1E_E_NS1_11comp_targetILNS1_3genE9ELNS1_11target_archE1100ELNS1_3gpuE3ELNS1_3repE0EEENS1_30default_config_static_selectorELNS0_4arch9wavefront6targetE1EEEvT1_
; %bb.0:
	.section	.rodata,"a",@progbits
	.p2align	6, 0x0
	.amdhsa_kernel _ZN7rocprim17ROCPRIM_400000_NS6detail17trampoline_kernelINS0_14default_configENS1_25partition_config_selectorILNS1_17partition_subalgoE2ExNS0_10empty_typeEbEEZZNS1_14partition_implILS5_2ELb0ES3_jN6thrust23THRUST_200600_302600_NS6detail15normal_iteratorINSA_7pointerIxNSA_11hip_rocprim3tagENSA_11use_defaultESG_EEEEPS6_NSA_18transform_iteratorI10is_orderedNSA_12zip_iteratorINSA_5tupleINSC_INSA_10device_ptrIxEEEESQ_NSA_9null_typeESR_SR_SR_SR_SR_SR_SR_EEEESG_SG_EENS0_5tupleIJPxSJ_EEENSV_IJSJ_SJ_EEES6_PlJS6_EEE10hipError_tPvRmT3_T4_T5_T6_T7_T9_mT8_P12ihipStream_tbDpT10_ENKUlT_T0_E_clISt17integral_constantIbLb0EES1J_EEDaS1E_S1F_EUlS1E_E_NS1_11comp_targetILNS1_3genE9ELNS1_11target_archE1100ELNS1_3gpuE3ELNS1_3repE0EEENS1_30default_config_static_selectorELNS0_4arch9wavefront6targetE1EEEvT1_
		.amdhsa_group_segment_fixed_size 0
		.amdhsa_private_segment_fixed_size 0
		.amdhsa_kernarg_size 136
		.amdhsa_user_sgpr_count 6
		.amdhsa_user_sgpr_private_segment_buffer 1
		.amdhsa_user_sgpr_dispatch_ptr 0
		.amdhsa_user_sgpr_queue_ptr 0
		.amdhsa_user_sgpr_kernarg_segment_ptr 1
		.amdhsa_user_sgpr_dispatch_id 0
		.amdhsa_user_sgpr_flat_scratch_init 0
		.amdhsa_user_sgpr_kernarg_preload_length 0
		.amdhsa_user_sgpr_kernarg_preload_offset 0
		.amdhsa_user_sgpr_private_segment_size 0
		.amdhsa_uses_dynamic_stack 0
		.amdhsa_system_sgpr_private_segment_wavefront_offset 0
		.amdhsa_system_sgpr_workgroup_id_x 1
		.amdhsa_system_sgpr_workgroup_id_y 0
		.amdhsa_system_sgpr_workgroup_id_z 0
		.amdhsa_system_sgpr_workgroup_info 0
		.amdhsa_system_vgpr_workitem_id 0
		.amdhsa_next_free_vgpr 1
		.amdhsa_next_free_sgpr 0
		.amdhsa_accum_offset 4
		.amdhsa_reserve_vcc 0
		.amdhsa_reserve_flat_scratch 0
		.amdhsa_float_round_mode_32 0
		.amdhsa_float_round_mode_16_64 0
		.amdhsa_float_denorm_mode_32 3
		.amdhsa_float_denorm_mode_16_64 3
		.amdhsa_dx10_clamp 1
		.amdhsa_ieee_mode 1
		.amdhsa_fp16_overflow 0
		.amdhsa_tg_split 0
		.amdhsa_exception_fp_ieee_invalid_op 0
		.amdhsa_exception_fp_denorm_src 0
		.amdhsa_exception_fp_ieee_div_zero 0
		.amdhsa_exception_fp_ieee_overflow 0
		.amdhsa_exception_fp_ieee_underflow 0
		.amdhsa_exception_fp_ieee_inexact 0
		.amdhsa_exception_int_div_zero 0
	.end_amdhsa_kernel
	.section	.text._ZN7rocprim17ROCPRIM_400000_NS6detail17trampoline_kernelINS0_14default_configENS1_25partition_config_selectorILNS1_17partition_subalgoE2ExNS0_10empty_typeEbEEZZNS1_14partition_implILS5_2ELb0ES3_jN6thrust23THRUST_200600_302600_NS6detail15normal_iteratorINSA_7pointerIxNSA_11hip_rocprim3tagENSA_11use_defaultESG_EEEEPS6_NSA_18transform_iteratorI10is_orderedNSA_12zip_iteratorINSA_5tupleINSC_INSA_10device_ptrIxEEEESQ_NSA_9null_typeESR_SR_SR_SR_SR_SR_SR_EEEESG_SG_EENS0_5tupleIJPxSJ_EEENSV_IJSJ_SJ_EEES6_PlJS6_EEE10hipError_tPvRmT3_T4_T5_T6_T7_T9_mT8_P12ihipStream_tbDpT10_ENKUlT_T0_E_clISt17integral_constantIbLb0EES1J_EEDaS1E_S1F_EUlS1E_E_NS1_11comp_targetILNS1_3genE9ELNS1_11target_archE1100ELNS1_3gpuE3ELNS1_3repE0EEENS1_30default_config_static_selectorELNS0_4arch9wavefront6targetE1EEEvT1_,"axG",@progbits,_ZN7rocprim17ROCPRIM_400000_NS6detail17trampoline_kernelINS0_14default_configENS1_25partition_config_selectorILNS1_17partition_subalgoE2ExNS0_10empty_typeEbEEZZNS1_14partition_implILS5_2ELb0ES3_jN6thrust23THRUST_200600_302600_NS6detail15normal_iteratorINSA_7pointerIxNSA_11hip_rocprim3tagENSA_11use_defaultESG_EEEEPS6_NSA_18transform_iteratorI10is_orderedNSA_12zip_iteratorINSA_5tupleINSC_INSA_10device_ptrIxEEEESQ_NSA_9null_typeESR_SR_SR_SR_SR_SR_SR_EEEESG_SG_EENS0_5tupleIJPxSJ_EEENSV_IJSJ_SJ_EEES6_PlJS6_EEE10hipError_tPvRmT3_T4_T5_T6_T7_T9_mT8_P12ihipStream_tbDpT10_ENKUlT_T0_E_clISt17integral_constantIbLb0EES1J_EEDaS1E_S1F_EUlS1E_E_NS1_11comp_targetILNS1_3genE9ELNS1_11target_archE1100ELNS1_3gpuE3ELNS1_3repE0EEENS1_30default_config_static_selectorELNS0_4arch9wavefront6targetE1EEEvT1_,comdat
.Lfunc_end3568:
	.size	_ZN7rocprim17ROCPRIM_400000_NS6detail17trampoline_kernelINS0_14default_configENS1_25partition_config_selectorILNS1_17partition_subalgoE2ExNS0_10empty_typeEbEEZZNS1_14partition_implILS5_2ELb0ES3_jN6thrust23THRUST_200600_302600_NS6detail15normal_iteratorINSA_7pointerIxNSA_11hip_rocprim3tagENSA_11use_defaultESG_EEEEPS6_NSA_18transform_iteratorI10is_orderedNSA_12zip_iteratorINSA_5tupleINSC_INSA_10device_ptrIxEEEESQ_NSA_9null_typeESR_SR_SR_SR_SR_SR_SR_EEEESG_SG_EENS0_5tupleIJPxSJ_EEENSV_IJSJ_SJ_EEES6_PlJS6_EEE10hipError_tPvRmT3_T4_T5_T6_T7_T9_mT8_P12ihipStream_tbDpT10_ENKUlT_T0_E_clISt17integral_constantIbLb0EES1J_EEDaS1E_S1F_EUlS1E_E_NS1_11comp_targetILNS1_3genE9ELNS1_11target_archE1100ELNS1_3gpuE3ELNS1_3repE0EEENS1_30default_config_static_selectorELNS0_4arch9wavefront6targetE1EEEvT1_, .Lfunc_end3568-_ZN7rocprim17ROCPRIM_400000_NS6detail17trampoline_kernelINS0_14default_configENS1_25partition_config_selectorILNS1_17partition_subalgoE2ExNS0_10empty_typeEbEEZZNS1_14partition_implILS5_2ELb0ES3_jN6thrust23THRUST_200600_302600_NS6detail15normal_iteratorINSA_7pointerIxNSA_11hip_rocprim3tagENSA_11use_defaultESG_EEEEPS6_NSA_18transform_iteratorI10is_orderedNSA_12zip_iteratorINSA_5tupleINSC_INSA_10device_ptrIxEEEESQ_NSA_9null_typeESR_SR_SR_SR_SR_SR_SR_EEEESG_SG_EENS0_5tupleIJPxSJ_EEENSV_IJSJ_SJ_EEES6_PlJS6_EEE10hipError_tPvRmT3_T4_T5_T6_T7_T9_mT8_P12ihipStream_tbDpT10_ENKUlT_T0_E_clISt17integral_constantIbLb0EES1J_EEDaS1E_S1F_EUlS1E_E_NS1_11comp_targetILNS1_3genE9ELNS1_11target_archE1100ELNS1_3gpuE3ELNS1_3repE0EEENS1_30default_config_static_selectorELNS0_4arch9wavefront6targetE1EEEvT1_
                                        ; -- End function
	.section	.AMDGPU.csdata,"",@progbits
; Kernel info:
; codeLenInByte = 0
; NumSgprs: 4
; NumVgprs: 0
; NumAgprs: 0
; TotalNumVgprs: 0
; ScratchSize: 0
; MemoryBound: 0
; FloatMode: 240
; IeeeMode: 1
; LDSByteSize: 0 bytes/workgroup (compile time only)
; SGPRBlocks: 0
; VGPRBlocks: 0
; NumSGPRsForWavesPerEU: 4
; NumVGPRsForWavesPerEU: 1
; AccumOffset: 4
; Occupancy: 8
; WaveLimiterHint : 0
; COMPUTE_PGM_RSRC2:SCRATCH_EN: 0
; COMPUTE_PGM_RSRC2:USER_SGPR: 6
; COMPUTE_PGM_RSRC2:TRAP_HANDLER: 0
; COMPUTE_PGM_RSRC2:TGID_X_EN: 1
; COMPUTE_PGM_RSRC2:TGID_Y_EN: 0
; COMPUTE_PGM_RSRC2:TGID_Z_EN: 0
; COMPUTE_PGM_RSRC2:TIDIG_COMP_CNT: 0
; COMPUTE_PGM_RSRC3_GFX90A:ACCUM_OFFSET: 0
; COMPUTE_PGM_RSRC3_GFX90A:TG_SPLIT: 0
	.section	.text._ZN7rocprim17ROCPRIM_400000_NS6detail17trampoline_kernelINS0_14default_configENS1_25partition_config_selectorILNS1_17partition_subalgoE2ExNS0_10empty_typeEbEEZZNS1_14partition_implILS5_2ELb0ES3_jN6thrust23THRUST_200600_302600_NS6detail15normal_iteratorINSA_7pointerIxNSA_11hip_rocprim3tagENSA_11use_defaultESG_EEEEPS6_NSA_18transform_iteratorI10is_orderedNSA_12zip_iteratorINSA_5tupleINSC_INSA_10device_ptrIxEEEESQ_NSA_9null_typeESR_SR_SR_SR_SR_SR_SR_EEEESG_SG_EENS0_5tupleIJPxSJ_EEENSV_IJSJ_SJ_EEES6_PlJS6_EEE10hipError_tPvRmT3_T4_T5_T6_T7_T9_mT8_P12ihipStream_tbDpT10_ENKUlT_T0_E_clISt17integral_constantIbLb0EES1J_EEDaS1E_S1F_EUlS1E_E_NS1_11comp_targetILNS1_3genE8ELNS1_11target_archE1030ELNS1_3gpuE2ELNS1_3repE0EEENS1_30default_config_static_selectorELNS0_4arch9wavefront6targetE1EEEvT1_,"axG",@progbits,_ZN7rocprim17ROCPRIM_400000_NS6detail17trampoline_kernelINS0_14default_configENS1_25partition_config_selectorILNS1_17partition_subalgoE2ExNS0_10empty_typeEbEEZZNS1_14partition_implILS5_2ELb0ES3_jN6thrust23THRUST_200600_302600_NS6detail15normal_iteratorINSA_7pointerIxNSA_11hip_rocprim3tagENSA_11use_defaultESG_EEEEPS6_NSA_18transform_iteratorI10is_orderedNSA_12zip_iteratorINSA_5tupleINSC_INSA_10device_ptrIxEEEESQ_NSA_9null_typeESR_SR_SR_SR_SR_SR_SR_EEEESG_SG_EENS0_5tupleIJPxSJ_EEENSV_IJSJ_SJ_EEES6_PlJS6_EEE10hipError_tPvRmT3_T4_T5_T6_T7_T9_mT8_P12ihipStream_tbDpT10_ENKUlT_T0_E_clISt17integral_constantIbLb0EES1J_EEDaS1E_S1F_EUlS1E_E_NS1_11comp_targetILNS1_3genE8ELNS1_11target_archE1030ELNS1_3gpuE2ELNS1_3repE0EEENS1_30default_config_static_selectorELNS0_4arch9wavefront6targetE1EEEvT1_,comdat
	.protected	_ZN7rocprim17ROCPRIM_400000_NS6detail17trampoline_kernelINS0_14default_configENS1_25partition_config_selectorILNS1_17partition_subalgoE2ExNS0_10empty_typeEbEEZZNS1_14partition_implILS5_2ELb0ES3_jN6thrust23THRUST_200600_302600_NS6detail15normal_iteratorINSA_7pointerIxNSA_11hip_rocprim3tagENSA_11use_defaultESG_EEEEPS6_NSA_18transform_iteratorI10is_orderedNSA_12zip_iteratorINSA_5tupleINSC_INSA_10device_ptrIxEEEESQ_NSA_9null_typeESR_SR_SR_SR_SR_SR_SR_EEEESG_SG_EENS0_5tupleIJPxSJ_EEENSV_IJSJ_SJ_EEES6_PlJS6_EEE10hipError_tPvRmT3_T4_T5_T6_T7_T9_mT8_P12ihipStream_tbDpT10_ENKUlT_T0_E_clISt17integral_constantIbLb0EES1J_EEDaS1E_S1F_EUlS1E_E_NS1_11comp_targetILNS1_3genE8ELNS1_11target_archE1030ELNS1_3gpuE2ELNS1_3repE0EEENS1_30default_config_static_selectorELNS0_4arch9wavefront6targetE1EEEvT1_ ; -- Begin function _ZN7rocprim17ROCPRIM_400000_NS6detail17trampoline_kernelINS0_14default_configENS1_25partition_config_selectorILNS1_17partition_subalgoE2ExNS0_10empty_typeEbEEZZNS1_14partition_implILS5_2ELb0ES3_jN6thrust23THRUST_200600_302600_NS6detail15normal_iteratorINSA_7pointerIxNSA_11hip_rocprim3tagENSA_11use_defaultESG_EEEEPS6_NSA_18transform_iteratorI10is_orderedNSA_12zip_iteratorINSA_5tupleINSC_INSA_10device_ptrIxEEEESQ_NSA_9null_typeESR_SR_SR_SR_SR_SR_SR_EEEESG_SG_EENS0_5tupleIJPxSJ_EEENSV_IJSJ_SJ_EEES6_PlJS6_EEE10hipError_tPvRmT3_T4_T5_T6_T7_T9_mT8_P12ihipStream_tbDpT10_ENKUlT_T0_E_clISt17integral_constantIbLb0EES1J_EEDaS1E_S1F_EUlS1E_E_NS1_11comp_targetILNS1_3genE8ELNS1_11target_archE1030ELNS1_3gpuE2ELNS1_3repE0EEENS1_30default_config_static_selectorELNS0_4arch9wavefront6targetE1EEEvT1_
	.globl	_ZN7rocprim17ROCPRIM_400000_NS6detail17trampoline_kernelINS0_14default_configENS1_25partition_config_selectorILNS1_17partition_subalgoE2ExNS0_10empty_typeEbEEZZNS1_14partition_implILS5_2ELb0ES3_jN6thrust23THRUST_200600_302600_NS6detail15normal_iteratorINSA_7pointerIxNSA_11hip_rocprim3tagENSA_11use_defaultESG_EEEEPS6_NSA_18transform_iteratorI10is_orderedNSA_12zip_iteratorINSA_5tupleINSC_INSA_10device_ptrIxEEEESQ_NSA_9null_typeESR_SR_SR_SR_SR_SR_SR_EEEESG_SG_EENS0_5tupleIJPxSJ_EEENSV_IJSJ_SJ_EEES6_PlJS6_EEE10hipError_tPvRmT3_T4_T5_T6_T7_T9_mT8_P12ihipStream_tbDpT10_ENKUlT_T0_E_clISt17integral_constantIbLb0EES1J_EEDaS1E_S1F_EUlS1E_E_NS1_11comp_targetILNS1_3genE8ELNS1_11target_archE1030ELNS1_3gpuE2ELNS1_3repE0EEENS1_30default_config_static_selectorELNS0_4arch9wavefront6targetE1EEEvT1_
	.p2align	8
	.type	_ZN7rocprim17ROCPRIM_400000_NS6detail17trampoline_kernelINS0_14default_configENS1_25partition_config_selectorILNS1_17partition_subalgoE2ExNS0_10empty_typeEbEEZZNS1_14partition_implILS5_2ELb0ES3_jN6thrust23THRUST_200600_302600_NS6detail15normal_iteratorINSA_7pointerIxNSA_11hip_rocprim3tagENSA_11use_defaultESG_EEEEPS6_NSA_18transform_iteratorI10is_orderedNSA_12zip_iteratorINSA_5tupleINSC_INSA_10device_ptrIxEEEESQ_NSA_9null_typeESR_SR_SR_SR_SR_SR_SR_EEEESG_SG_EENS0_5tupleIJPxSJ_EEENSV_IJSJ_SJ_EEES6_PlJS6_EEE10hipError_tPvRmT3_T4_T5_T6_T7_T9_mT8_P12ihipStream_tbDpT10_ENKUlT_T0_E_clISt17integral_constantIbLb0EES1J_EEDaS1E_S1F_EUlS1E_E_NS1_11comp_targetILNS1_3genE8ELNS1_11target_archE1030ELNS1_3gpuE2ELNS1_3repE0EEENS1_30default_config_static_selectorELNS0_4arch9wavefront6targetE1EEEvT1_,@function
_ZN7rocprim17ROCPRIM_400000_NS6detail17trampoline_kernelINS0_14default_configENS1_25partition_config_selectorILNS1_17partition_subalgoE2ExNS0_10empty_typeEbEEZZNS1_14partition_implILS5_2ELb0ES3_jN6thrust23THRUST_200600_302600_NS6detail15normal_iteratorINSA_7pointerIxNSA_11hip_rocprim3tagENSA_11use_defaultESG_EEEEPS6_NSA_18transform_iteratorI10is_orderedNSA_12zip_iteratorINSA_5tupleINSC_INSA_10device_ptrIxEEEESQ_NSA_9null_typeESR_SR_SR_SR_SR_SR_SR_EEEESG_SG_EENS0_5tupleIJPxSJ_EEENSV_IJSJ_SJ_EEES6_PlJS6_EEE10hipError_tPvRmT3_T4_T5_T6_T7_T9_mT8_P12ihipStream_tbDpT10_ENKUlT_T0_E_clISt17integral_constantIbLb0EES1J_EEDaS1E_S1F_EUlS1E_E_NS1_11comp_targetILNS1_3genE8ELNS1_11target_archE1030ELNS1_3gpuE2ELNS1_3repE0EEENS1_30default_config_static_selectorELNS0_4arch9wavefront6targetE1EEEvT1_: ; @_ZN7rocprim17ROCPRIM_400000_NS6detail17trampoline_kernelINS0_14default_configENS1_25partition_config_selectorILNS1_17partition_subalgoE2ExNS0_10empty_typeEbEEZZNS1_14partition_implILS5_2ELb0ES3_jN6thrust23THRUST_200600_302600_NS6detail15normal_iteratorINSA_7pointerIxNSA_11hip_rocprim3tagENSA_11use_defaultESG_EEEEPS6_NSA_18transform_iteratorI10is_orderedNSA_12zip_iteratorINSA_5tupleINSC_INSA_10device_ptrIxEEEESQ_NSA_9null_typeESR_SR_SR_SR_SR_SR_SR_EEEESG_SG_EENS0_5tupleIJPxSJ_EEENSV_IJSJ_SJ_EEES6_PlJS6_EEE10hipError_tPvRmT3_T4_T5_T6_T7_T9_mT8_P12ihipStream_tbDpT10_ENKUlT_T0_E_clISt17integral_constantIbLb0EES1J_EEDaS1E_S1F_EUlS1E_E_NS1_11comp_targetILNS1_3genE8ELNS1_11target_archE1030ELNS1_3gpuE2ELNS1_3repE0EEENS1_30default_config_static_selectorELNS0_4arch9wavefront6targetE1EEEvT1_
; %bb.0:
	.section	.rodata,"a",@progbits
	.p2align	6, 0x0
	.amdhsa_kernel _ZN7rocprim17ROCPRIM_400000_NS6detail17trampoline_kernelINS0_14default_configENS1_25partition_config_selectorILNS1_17partition_subalgoE2ExNS0_10empty_typeEbEEZZNS1_14partition_implILS5_2ELb0ES3_jN6thrust23THRUST_200600_302600_NS6detail15normal_iteratorINSA_7pointerIxNSA_11hip_rocprim3tagENSA_11use_defaultESG_EEEEPS6_NSA_18transform_iteratorI10is_orderedNSA_12zip_iteratorINSA_5tupleINSC_INSA_10device_ptrIxEEEESQ_NSA_9null_typeESR_SR_SR_SR_SR_SR_SR_EEEESG_SG_EENS0_5tupleIJPxSJ_EEENSV_IJSJ_SJ_EEES6_PlJS6_EEE10hipError_tPvRmT3_T4_T5_T6_T7_T9_mT8_P12ihipStream_tbDpT10_ENKUlT_T0_E_clISt17integral_constantIbLb0EES1J_EEDaS1E_S1F_EUlS1E_E_NS1_11comp_targetILNS1_3genE8ELNS1_11target_archE1030ELNS1_3gpuE2ELNS1_3repE0EEENS1_30default_config_static_selectorELNS0_4arch9wavefront6targetE1EEEvT1_
		.amdhsa_group_segment_fixed_size 0
		.amdhsa_private_segment_fixed_size 0
		.amdhsa_kernarg_size 136
		.amdhsa_user_sgpr_count 6
		.amdhsa_user_sgpr_private_segment_buffer 1
		.amdhsa_user_sgpr_dispatch_ptr 0
		.amdhsa_user_sgpr_queue_ptr 0
		.amdhsa_user_sgpr_kernarg_segment_ptr 1
		.amdhsa_user_sgpr_dispatch_id 0
		.amdhsa_user_sgpr_flat_scratch_init 0
		.amdhsa_user_sgpr_kernarg_preload_length 0
		.amdhsa_user_sgpr_kernarg_preload_offset 0
		.amdhsa_user_sgpr_private_segment_size 0
		.amdhsa_uses_dynamic_stack 0
		.amdhsa_system_sgpr_private_segment_wavefront_offset 0
		.amdhsa_system_sgpr_workgroup_id_x 1
		.amdhsa_system_sgpr_workgroup_id_y 0
		.amdhsa_system_sgpr_workgroup_id_z 0
		.amdhsa_system_sgpr_workgroup_info 0
		.amdhsa_system_vgpr_workitem_id 0
		.amdhsa_next_free_vgpr 1
		.amdhsa_next_free_sgpr 0
		.amdhsa_accum_offset 4
		.amdhsa_reserve_vcc 0
		.amdhsa_reserve_flat_scratch 0
		.amdhsa_float_round_mode_32 0
		.amdhsa_float_round_mode_16_64 0
		.amdhsa_float_denorm_mode_32 3
		.amdhsa_float_denorm_mode_16_64 3
		.amdhsa_dx10_clamp 1
		.amdhsa_ieee_mode 1
		.amdhsa_fp16_overflow 0
		.amdhsa_tg_split 0
		.amdhsa_exception_fp_ieee_invalid_op 0
		.amdhsa_exception_fp_denorm_src 0
		.amdhsa_exception_fp_ieee_div_zero 0
		.amdhsa_exception_fp_ieee_overflow 0
		.amdhsa_exception_fp_ieee_underflow 0
		.amdhsa_exception_fp_ieee_inexact 0
		.amdhsa_exception_int_div_zero 0
	.end_amdhsa_kernel
	.section	.text._ZN7rocprim17ROCPRIM_400000_NS6detail17trampoline_kernelINS0_14default_configENS1_25partition_config_selectorILNS1_17partition_subalgoE2ExNS0_10empty_typeEbEEZZNS1_14partition_implILS5_2ELb0ES3_jN6thrust23THRUST_200600_302600_NS6detail15normal_iteratorINSA_7pointerIxNSA_11hip_rocprim3tagENSA_11use_defaultESG_EEEEPS6_NSA_18transform_iteratorI10is_orderedNSA_12zip_iteratorINSA_5tupleINSC_INSA_10device_ptrIxEEEESQ_NSA_9null_typeESR_SR_SR_SR_SR_SR_SR_EEEESG_SG_EENS0_5tupleIJPxSJ_EEENSV_IJSJ_SJ_EEES6_PlJS6_EEE10hipError_tPvRmT3_T4_T5_T6_T7_T9_mT8_P12ihipStream_tbDpT10_ENKUlT_T0_E_clISt17integral_constantIbLb0EES1J_EEDaS1E_S1F_EUlS1E_E_NS1_11comp_targetILNS1_3genE8ELNS1_11target_archE1030ELNS1_3gpuE2ELNS1_3repE0EEENS1_30default_config_static_selectorELNS0_4arch9wavefront6targetE1EEEvT1_,"axG",@progbits,_ZN7rocprim17ROCPRIM_400000_NS6detail17trampoline_kernelINS0_14default_configENS1_25partition_config_selectorILNS1_17partition_subalgoE2ExNS0_10empty_typeEbEEZZNS1_14partition_implILS5_2ELb0ES3_jN6thrust23THRUST_200600_302600_NS6detail15normal_iteratorINSA_7pointerIxNSA_11hip_rocprim3tagENSA_11use_defaultESG_EEEEPS6_NSA_18transform_iteratorI10is_orderedNSA_12zip_iteratorINSA_5tupleINSC_INSA_10device_ptrIxEEEESQ_NSA_9null_typeESR_SR_SR_SR_SR_SR_SR_EEEESG_SG_EENS0_5tupleIJPxSJ_EEENSV_IJSJ_SJ_EEES6_PlJS6_EEE10hipError_tPvRmT3_T4_T5_T6_T7_T9_mT8_P12ihipStream_tbDpT10_ENKUlT_T0_E_clISt17integral_constantIbLb0EES1J_EEDaS1E_S1F_EUlS1E_E_NS1_11comp_targetILNS1_3genE8ELNS1_11target_archE1030ELNS1_3gpuE2ELNS1_3repE0EEENS1_30default_config_static_selectorELNS0_4arch9wavefront6targetE1EEEvT1_,comdat
.Lfunc_end3569:
	.size	_ZN7rocprim17ROCPRIM_400000_NS6detail17trampoline_kernelINS0_14default_configENS1_25partition_config_selectorILNS1_17partition_subalgoE2ExNS0_10empty_typeEbEEZZNS1_14partition_implILS5_2ELb0ES3_jN6thrust23THRUST_200600_302600_NS6detail15normal_iteratorINSA_7pointerIxNSA_11hip_rocprim3tagENSA_11use_defaultESG_EEEEPS6_NSA_18transform_iteratorI10is_orderedNSA_12zip_iteratorINSA_5tupleINSC_INSA_10device_ptrIxEEEESQ_NSA_9null_typeESR_SR_SR_SR_SR_SR_SR_EEEESG_SG_EENS0_5tupleIJPxSJ_EEENSV_IJSJ_SJ_EEES6_PlJS6_EEE10hipError_tPvRmT3_T4_T5_T6_T7_T9_mT8_P12ihipStream_tbDpT10_ENKUlT_T0_E_clISt17integral_constantIbLb0EES1J_EEDaS1E_S1F_EUlS1E_E_NS1_11comp_targetILNS1_3genE8ELNS1_11target_archE1030ELNS1_3gpuE2ELNS1_3repE0EEENS1_30default_config_static_selectorELNS0_4arch9wavefront6targetE1EEEvT1_, .Lfunc_end3569-_ZN7rocprim17ROCPRIM_400000_NS6detail17trampoline_kernelINS0_14default_configENS1_25partition_config_selectorILNS1_17partition_subalgoE2ExNS0_10empty_typeEbEEZZNS1_14partition_implILS5_2ELb0ES3_jN6thrust23THRUST_200600_302600_NS6detail15normal_iteratorINSA_7pointerIxNSA_11hip_rocprim3tagENSA_11use_defaultESG_EEEEPS6_NSA_18transform_iteratorI10is_orderedNSA_12zip_iteratorINSA_5tupleINSC_INSA_10device_ptrIxEEEESQ_NSA_9null_typeESR_SR_SR_SR_SR_SR_SR_EEEESG_SG_EENS0_5tupleIJPxSJ_EEENSV_IJSJ_SJ_EEES6_PlJS6_EEE10hipError_tPvRmT3_T4_T5_T6_T7_T9_mT8_P12ihipStream_tbDpT10_ENKUlT_T0_E_clISt17integral_constantIbLb0EES1J_EEDaS1E_S1F_EUlS1E_E_NS1_11comp_targetILNS1_3genE8ELNS1_11target_archE1030ELNS1_3gpuE2ELNS1_3repE0EEENS1_30default_config_static_selectorELNS0_4arch9wavefront6targetE1EEEvT1_
                                        ; -- End function
	.section	.AMDGPU.csdata,"",@progbits
; Kernel info:
; codeLenInByte = 0
; NumSgprs: 4
; NumVgprs: 0
; NumAgprs: 0
; TotalNumVgprs: 0
; ScratchSize: 0
; MemoryBound: 0
; FloatMode: 240
; IeeeMode: 1
; LDSByteSize: 0 bytes/workgroup (compile time only)
; SGPRBlocks: 0
; VGPRBlocks: 0
; NumSGPRsForWavesPerEU: 4
; NumVGPRsForWavesPerEU: 1
; AccumOffset: 4
; Occupancy: 8
; WaveLimiterHint : 0
; COMPUTE_PGM_RSRC2:SCRATCH_EN: 0
; COMPUTE_PGM_RSRC2:USER_SGPR: 6
; COMPUTE_PGM_RSRC2:TRAP_HANDLER: 0
; COMPUTE_PGM_RSRC2:TGID_X_EN: 1
; COMPUTE_PGM_RSRC2:TGID_Y_EN: 0
; COMPUTE_PGM_RSRC2:TGID_Z_EN: 0
; COMPUTE_PGM_RSRC2:TIDIG_COMP_CNT: 0
; COMPUTE_PGM_RSRC3_GFX90A:ACCUM_OFFSET: 0
; COMPUTE_PGM_RSRC3_GFX90A:TG_SPLIT: 0
	.section	.text._ZN7rocprim17ROCPRIM_400000_NS6detail17trampoline_kernelINS0_14default_configENS1_25partition_config_selectorILNS1_17partition_subalgoE2ExNS0_10empty_typeEbEEZZNS1_14partition_implILS5_2ELb0ES3_jN6thrust23THRUST_200600_302600_NS6detail15normal_iteratorINSA_7pointerIxNSA_11hip_rocprim3tagENSA_11use_defaultESG_EEEEPS6_NSA_18transform_iteratorI10is_orderedNSA_12zip_iteratorINSA_5tupleINSC_INSA_10device_ptrIxEEEESQ_NSA_9null_typeESR_SR_SR_SR_SR_SR_SR_EEEESG_SG_EENS0_5tupleIJPxSJ_EEENSV_IJSJ_SJ_EEES6_PlJS6_EEE10hipError_tPvRmT3_T4_T5_T6_T7_T9_mT8_P12ihipStream_tbDpT10_ENKUlT_T0_E_clISt17integral_constantIbLb1EES1J_EEDaS1E_S1F_EUlS1E_E_NS1_11comp_targetILNS1_3genE0ELNS1_11target_archE4294967295ELNS1_3gpuE0ELNS1_3repE0EEENS1_30default_config_static_selectorELNS0_4arch9wavefront6targetE1EEEvT1_,"axG",@progbits,_ZN7rocprim17ROCPRIM_400000_NS6detail17trampoline_kernelINS0_14default_configENS1_25partition_config_selectorILNS1_17partition_subalgoE2ExNS0_10empty_typeEbEEZZNS1_14partition_implILS5_2ELb0ES3_jN6thrust23THRUST_200600_302600_NS6detail15normal_iteratorINSA_7pointerIxNSA_11hip_rocprim3tagENSA_11use_defaultESG_EEEEPS6_NSA_18transform_iteratorI10is_orderedNSA_12zip_iteratorINSA_5tupleINSC_INSA_10device_ptrIxEEEESQ_NSA_9null_typeESR_SR_SR_SR_SR_SR_SR_EEEESG_SG_EENS0_5tupleIJPxSJ_EEENSV_IJSJ_SJ_EEES6_PlJS6_EEE10hipError_tPvRmT3_T4_T5_T6_T7_T9_mT8_P12ihipStream_tbDpT10_ENKUlT_T0_E_clISt17integral_constantIbLb1EES1J_EEDaS1E_S1F_EUlS1E_E_NS1_11comp_targetILNS1_3genE0ELNS1_11target_archE4294967295ELNS1_3gpuE0ELNS1_3repE0EEENS1_30default_config_static_selectorELNS0_4arch9wavefront6targetE1EEEvT1_,comdat
	.protected	_ZN7rocprim17ROCPRIM_400000_NS6detail17trampoline_kernelINS0_14default_configENS1_25partition_config_selectorILNS1_17partition_subalgoE2ExNS0_10empty_typeEbEEZZNS1_14partition_implILS5_2ELb0ES3_jN6thrust23THRUST_200600_302600_NS6detail15normal_iteratorINSA_7pointerIxNSA_11hip_rocprim3tagENSA_11use_defaultESG_EEEEPS6_NSA_18transform_iteratorI10is_orderedNSA_12zip_iteratorINSA_5tupleINSC_INSA_10device_ptrIxEEEESQ_NSA_9null_typeESR_SR_SR_SR_SR_SR_SR_EEEESG_SG_EENS0_5tupleIJPxSJ_EEENSV_IJSJ_SJ_EEES6_PlJS6_EEE10hipError_tPvRmT3_T4_T5_T6_T7_T9_mT8_P12ihipStream_tbDpT10_ENKUlT_T0_E_clISt17integral_constantIbLb1EES1J_EEDaS1E_S1F_EUlS1E_E_NS1_11comp_targetILNS1_3genE0ELNS1_11target_archE4294967295ELNS1_3gpuE0ELNS1_3repE0EEENS1_30default_config_static_selectorELNS0_4arch9wavefront6targetE1EEEvT1_ ; -- Begin function _ZN7rocprim17ROCPRIM_400000_NS6detail17trampoline_kernelINS0_14default_configENS1_25partition_config_selectorILNS1_17partition_subalgoE2ExNS0_10empty_typeEbEEZZNS1_14partition_implILS5_2ELb0ES3_jN6thrust23THRUST_200600_302600_NS6detail15normal_iteratorINSA_7pointerIxNSA_11hip_rocprim3tagENSA_11use_defaultESG_EEEEPS6_NSA_18transform_iteratorI10is_orderedNSA_12zip_iteratorINSA_5tupleINSC_INSA_10device_ptrIxEEEESQ_NSA_9null_typeESR_SR_SR_SR_SR_SR_SR_EEEESG_SG_EENS0_5tupleIJPxSJ_EEENSV_IJSJ_SJ_EEES6_PlJS6_EEE10hipError_tPvRmT3_T4_T5_T6_T7_T9_mT8_P12ihipStream_tbDpT10_ENKUlT_T0_E_clISt17integral_constantIbLb1EES1J_EEDaS1E_S1F_EUlS1E_E_NS1_11comp_targetILNS1_3genE0ELNS1_11target_archE4294967295ELNS1_3gpuE0ELNS1_3repE0EEENS1_30default_config_static_selectorELNS0_4arch9wavefront6targetE1EEEvT1_
	.globl	_ZN7rocprim17ROCPRIM_400000_NS6detail17trampoline_kernelINS0_14default_configENS1_25partition_config_selectorILNS1_17partition_subalgoE2ExNS0_10empty_typeEbEEZZNS1_14partition_implILS5_2ELb0ES3_jN6thrust23THRUST_200600_302600_NS6detail15normal_iteratorINSA_7pointerIxNSA_11hip_rocprim3tagENSA_11use_defaultESG_EEEEPS6_NSA_18transform_iteratorI10is_orderedNSA_12zip_iteratorINSA_5tupleINSC_INSA_10device_ptrIxEEEESQ_NSA_9null_typeESR_SR_SR_SR_SR_SR_SR_EEEESG_SG_EENS0_5tupleIJPxSJ_EEENSV_IJSJ_SJ_EEES6_PlJS6_EEE10hipError_tPvRmT3_T4_T5_T6_T7_T9_mT8_P12ihipStream_tbDpT10_ENKUlT_T0_E_clISt17integral_constantIbLb1EES1J_EEDaS1E_S1F_EUlS1E_E_NS1_11comp_targetILNS1_3genE0ELNS1_11target_archE4294967295ELNS1_3gpuE0ELNS1_3repE0EEENS1_30default_config_static_selectorELNS0_4arch9wavefront6targetE1EEEvT1_
	.p2align	8
	.type	_ZN7rocprim17ROCPRIM_400000_NS6detail17trampoline_kernelINS0_14default_configENS1_25partition_config_selectorILNS1_17partition_subalgoE2ExNS0_10empty_typeEbEEZZNS1_14partition_implILS5_2ELb0ES3_jN6thrust23THRUST_200600_302600_NS6detail15normal_iteratorINSA_7pointerIxNSA_11hip_rocprim3tagENSA_11use_defaultESG_EEEEPS6_NSA_18transform_iteratorI10is_orderedNSA_12zip_iteratorINSA_5tupleINSC_INSA_10device_ptrIxEEEESQ_NSA_9null_typeESR_SR_SR_SR_SR_SR_SR_EEEESG_SG_EENS0_5tupleIJPxSJ_EEENSV_IJSJ_SJ_EEES6_PlJS6_EEE10hipError_tPvRmT3_T4_T5_T6_T7_T9_mT8_P12ihipStream_tbDpT10_ENKUlT_T0_E_clISt17integral_constantIbLb1EES1J_EEDaS1E_S1F_EUlS1E_E_NS1_11comp_targetILNS1_3genE0ELNS1_11target_archE4294967295ELNS1_3gpuE0ELNS1_3repE0EEENS1_30default_config_static_selectorELNS0_4arch9wavefront6targetE1EEEvT1_,@function
_ZN7rocprim17ROCPRIM_400000_NS6detail17trampoline_kernelINS0_14default_configENS1_25partition_config_selectorILNS1_17partition_subalgoE2ExNS0_10empty_typeEbEEZZNS1_14partition_implILS5_2ELb0ES3_jN6thrust23THRUST_200600_302600_NS6detail15normal_iteratorINSA_7pointerIxNSA_11hip_rocprim3tagENSA_11use_defaultESG_EEEEPS6_NSA_18transform_iteratorI10is_orderedNSA_12zip_iteratorINSA_5tupleINSC_INSA_10device_ptrIxEEEESQ_NSA_9null_typeESR_SR_SR_SR_SR_SR_SR_EEEESG_SG_EENS0_5tupleIJPxSJ_EEENSV_IJSJ_SJ_EEES6_PlJS6_EEE10hipError_tPvRmT3_T4_T5_T6_T7_T9_mT8_P12ihipStream_tbDpT10_ENKUlT_T0_E_clISt17integral_constantIbLb1EES1J_EEDaS1E_S1F_EUlS1E_E_NS1_11comp_targetILNS1_3genE0ELNS1_11target_archE4294967295ELNS1_3gpuE0ELNS1_3repE0EEENS1_30default_config_static_selectorELNS0_4arch9wavefront6targetE1EEEvT1_: ; @_ZN7rocprim17ROCPRIM_400000_NS6detail17trampoline_kernelINS0_14default_configENS1_25partition_config_selectorILNS1_17partition_subalgoE2ExNS0_10empty_typeEbEEZZNS1_14partition_implILS5_2ELb0ES3_jN6thrust23THRUST_200600_302600_NS6detail15normal_iteratorINSA_7pointerIxNSA_11hip_rocprim3tagENSA_11use_defaultESG_EEEEPS6_NSA_18transform_iteratorI10is_orderedNSA_12zip_iteratorINSA_5tupleINSC_INSA_10device_ptrIxEEEESQ_NSA_9null_typeESR_SR_SR_SR_SR_SR_SR_EEEESG_SG_EENS0_5tupleIJPxSJ_EEENSV_IJSJ_SJ_EEES6_PlJS6_EEE10hipError_tPvRmT3_T4_T5_T6_T7_T9_mT8_P12ihipStream_tbDpT10_ENKUlT_T0_E_clISt17integral_constantIbLb1EES1J_EEDaS1E_S1F_EUlS1E_E_NS1_11comp_targetILNS1_3genE0ELNS1_11target_archE4294967295ELNS1_3gpuE0ELNS1_3repE0EEENS1_30default_config_static_selectorELNS0_4arch9wavefront6targetE1EEEvT1_
; %bb.0:
	.section	.rodata,"a",@progbits
	.p2align	6, 0x0
	.amdhsa_kernel _ZN7rocprim17ROCPRIM_400000_NS6detail17trampoline_kernelINS0_14default_configENS1_25partition_config_selectorILNS1_17partition_subalgoE2ExNS0_10empty_typeEbEEZZNS1_14partition_implILS5_2ELb0ES3_jN6thrust23THRUST_200600_302600_NS6detail15normal_iteratorINSA_7pointerIxNSA_11hip_rocprim3tagENSA_11use_defaultESG_EEEEPS6_NSA_18transform_iteratorI10is_orderedNSA_12zip_iteratorINSA_5tupleINSC_INSA_10device_ptrIxEEEESQ_NSA_9null_typeESR_SR_SR_SR_SR_SR_SR_EEEESG_SG_EENS0_5tupleIJPxSJ_EEENSV_IJSJ_SJ_EEES6_PlJS6_EEE10hipError_tPvRmT3_T4_T5_T6_T7_T9_mT8_P12ihipStream_tbDpT10_ENKUlT_T0_E_clISt17integral_constantIbLb1EES1J_EEDaS1E_S1F_EUlS1E_E_NS1_11comp_targetILNS1_3genE0ELNS1_11target_archE4294967295ELNS1_3gpuE0ELNS1_3repE0EEENS1_30default_config_static_selectorELNS0_4arch9wavefront6targetE1EEEvT1_
		.amdhsa_group_segment_fixed_size 0
		.amdhsa_private_segment_fixed_size 0
		.amdhsa_kernarg_size 152
		.amdhsa_user_sgpr_count 6
		.amdhsa_user_sgpr_private_segment_buffer 1
		.amdhsa_user_sgpr_dispatch_ptr 0
		.amdhsa_user_sgpr_queue_ptr 0
		.amdhsa_user_sgpr_kernarg_segment_ptr 1
		.amdhsa_user_sgpr_dispatch_id 0
		.amdhsa_user_sgpr_flat_scratch_init 0
		.amdhsa_user_sgpr_kernarg_preload_length 0
		.amdhsa_user_sgpr_kernarg_preload_offset 0
		.amdhsa_user_sgpr_private_segment_size 0
		.amdhsa_uses_dynamic_stack 0
		.amdhsa_system_sgpr_private_segment_wavefront_offset 0
		.amdhsa_system_sgpr_workgroup_id_x 1
		.amdhsa_system_sgpr_workgroup_id_y 0
		.amdhsa_system_sgpr_workgroup_id_z 0
		.amdhsa_system_sgpr_workgroup_info 0
		.amdhsa_system_vgpr_workitem_id 0
		.amdhsa_next_free_vgpr 1
		.amdhsa_next_free_sgpr 0
		.amdhsa_accum_offset 4
		.amdhsa_reserve_vcc 0
		.amdhsa_reserve_flat_scratch 0
		.amdhsa_float_round_mode_32 0
		.amdhsa_float_round_mode_16_64 0
		.amdhsa_float_denorm_mode_32 3
		.amdhsa_float_denorm_mode_16_64 3
		.amdhsa_dx10_clamp 1
		.amdhsa_ieee_mode 1
		.amdhsa_fp16_overflow 0
		.amdhsa_tg_split 0
		.amdhsa_exception_fp_ieee_invalid_op 0
		.amdhsa_exception_fp_denorm_src 0
		.amdhsa_exception_fp_ieee_div_zero 0
		.amdhsa_exception_fp_ieee_overflow 0
		.amdhsa_exception_fp_ieee_underflow 0
		.amdhsa_exception_fp_ieee_inexact 0
		.amdhsa_exception_int_div_zero 0
	.end_amdhsa_kernel
	.section	.text._ZN7rocprim17ROCPRIM_400000_NS6detail17trampoline_kernelINS0_14default_configENS1_25partition_config_selectorILNS1_17partition_subalgoE2ExNS0_10empty_typeEbEEZZNS1_14partition_implILS5_2ELb0ES3_jN6thrust23THRUST_200600_302600_NS6detail15normal_iteratorINSA_7pointerIxNSA_11hip_rocprim3tagENSA_11use_defaultESG_EEEEPS6_NSA_18transform_iteratorI10is_orderedNSA_12zip_iteratorINSA_5tupleINSC_INSA_10device_ptrIxEEEESQ_NSA_9null_typeESR_SR_SR_SR_SR_SR_SR_EEEESG_SG_EENS0_5tupleIJPxSJ_EEENSV_IJSJ_SJ_EEES6_PlJS6_EEE10hipError_tPvRmT3_T4_T5_T6_T7_T9_mT8_P12ihipStream_tbDpT10_ENKUlT_T0_E_clISt17integral_constantIbLb1EES1J_EEDaS1E_S1F_EUlS1E_E_NS1_11comp_targetILNS1_3genE0ELNS1_11target_archE4294967295ELNS1_3gpuE0ELNS1_3repE0EEENS1_30default_config_static_selectorELNS0_4arch9wavefront6targetE1EEEvT1_,"axG",@progbits,_ZN7rocprim17ROCPRIM_400000_NS6detail17trampoline_kernelINS0_14default_configENS1_25partition_config_selectorILNS1_17partition_subalgoE2ExNS0_10empty_typeEbEEZZNS1_14partition_implILS5_2ELb0ES3_jN6thrust23THRUST_200600_302600_NS6detail15normal_iteratorINSA_7pointerIxNSA_11hip_rocprim3tagENSA_11use_defaultESG_EEEEPS6_NSA_18transform_iteratorI10is_orderedNSA_12zip_iteratorINSA_5tupleINSC_INSA_10device_ptrIxEEEESQ_NSA_9null_typeESR_SR_SR_SR_SR_SR_SR_EEEESG_SG_EENS0_5tupleIJPxSJ_EEENSV_IJSJ_SJ_EEES6_PlJS6_EEE10hipError_tPvRmT3_T4_T5_T6_T7_T9_mT8_P12ihipStream_tbDpT10_ENKUlT_T0_E_clISt17integral_constantIbLb1EES1J_EEDaS1E_S1F_EUlS1E_E_NS1_11comp_targetILNS1_3genE0ELNS1_11target_archE4294967295ELNS1_3gpuE0ELNS1_3repE0EEENS1_30default_config_static_selectorELNS0_4arch9wavefront6targetE1EEEvT1_,comdat
.Lfunc_end3570:
	.size	_ZN7rocprim17ROCPRIM_400000_NS6detail17trampoline_kernelINS0_14default_configENS1_25partition_config_selectorILNS1_17partition_subalgoE2ExNS0_10empty_typeEbEEZZNS1_14partition_implILS5_2ELb0ES3_jN6thrust23THRUST_200600_302600_NS6detail15normal_iteratorINSA_7pointerIxNSA_11hip_rocprim3tagENSA_11use_defaultESG_EEEEPS6_NSA_18transform_iteratorI10is_orderedNSA_12zip_iteratorINSA_5tupleINSC_INSA_10device_ptrIxEEEESQ_NSA_9null_typeESR_SR_SR_SR_SR_SR_SR_EEEESG_SG_EENS0_5tupleIJPxSJ_EEENSV_IJSJ_SJ_EEES6_PlJS6_EEE10hipError_tPvRmT3_T4_T5_T6_T7_T9_mT8_P12ihipStream_tbDpT10_ENKUlT_T0_E_clISt17integral_constantIbLb1EES1J_EEDaS1E_S1F_EUlS1E_E_NS1_11comp_targetILNS1_3genE0ELNS1_11target_archE4294967295ELNS1_3gpuE0ELNS1_3repE0EEENS1_30default_config_static_selectorELNS0_4arch9wavefront6targetE1EEEvT1_, .Lfunc_end3570-_ZN7rocprim17ROCPRIM_400000_NS6detail17trampoline_kernelINS0_14default_configENS1_25partition_config_selectorILNS1_17partition_subalgoE2ExNS0_10empty_typeEbEEZZNS1_14partition_implILS5_2ELb0ES3_jN6thrust23THRUST_200600_302600_NS6detail15normal_iteratorINSA_7pointerIxNSA_11hip_rocprim3tagENSA_11use_defaultESG_EEEEPS6_NSA_18transform_iteratorI10is_orderedNSA_12zip_iteratorINSA_5tupleINSC_INSA_10device_ptrIxEEEESQ_NSA_9null_typeESR_SR_SR_SR_SR_SR_SR_EEEESG_SG_EENS0_5tupleIJPxSJ_EEENSV_IJSJ_SJ_EEES6_PlJS6_EEE10hipError_tPvRmT3_T4_T5_T6_T7_T9_mT8_P12ihipStream_tbDpT10_ENKUlT_T0_E_clISt17integral_constantIbLb1EES1J_EEDaS1E_S1F_EUlS1E_E_NS1_11comp_targetILNS1_3genE0ELNS1_11target_archE4294967295ELNS1_3gpuE0ELNS1_3repE0EEENS1_30default_config_static_selectorELNS0_4arch9wavefront6targetE1EEEvT1_
                                        ; -- End function
	.section	.AMDGPU.csdata,"",@progbits
; Kernel info:
; codeLenInByte = 0
; NumSgprs: 4
; NumVgprs: 0
; NumAgprs: 0
; TotalNumVgprs: 0
; ScratchSize: 0
; MemoryBound: 0
; FloatMode: 240
; IeeeMode: 1
; LDSByteSize: 0 bytes/workgroup (compile time only)
; SGPRBlocks: 0
; VGPRBlocks: 0
; NumSGPRsForWavesPerEU: 4
; NumVGPRsForWavesPerEU: 1
; AccumOffset: 4
; Occupancy: 8
; WaveLimiterHint : 0
; COMPUTE_PGM_RSRC2:SCRATCH_EN: 0
; COMPUTE_PGM_RSRC2:USER_SGPR: 6
; COMPUTE_PGM_RSRC2:TRAP_HANDLER: 0
; COMPUTE_PGM_RSRC2:TGID_X_EN: 1
; COMPUTE_PGM_RSRC2:TGID_Y_EN: 0
; COMPUTE_PGM_RSRC2:TGID_Z_EN: 0
; COMPUTE_PGM_RSRC2:TIDIG_COMP_CNT: 0
; COMPUTE_PGM_RSRC3_GFX90A:ACCUM_OFFSET: 0
; COMPUTE_PGM_RSRC3_GFX90A:TG_SPLIT: 0
	.section	.text._ZN7rocprim17ROCPRIM_400000_NS6detail17trampoline_kernelINS0_14default_configENS1_25partition_config_selectorILNS1_17partition_subalgoE2ExNS0_10empty_typeEbEEZZNS1_14partition_implILS5_2ELb0ES3_jN6thrust23THRUST_200600_302600_NS6detail15normal_iteratorINSA_7pointerIxNSA_11hip_rocprim3tagENSA_11use_defaultESG_EEEEPS6_NSA_18transform_iteratorI10is_orderedNSA_12zip_iteratorINSA_5tupleINSC_INSA_10device_ptrIxEEEESQ_NSA_9null_typeESR_SR_SR_SR_SR_SR_SR_EEEESG_SG_EENS0_5tupleIJPxSJ_EEENSV_IJSJ_SJ_EEES6_PlJS6_EEE10hipError_tPvRmT3_T4_T5_T6_T7_T9_mT8_P12ihipStream_tbDpT10_ENKUlT_T0_E_clISt17integral_constantIbLb1EES1J_EEDaS1E_S1F_EUlS1E_E_NS1_11comp_targetILNS1_3genE5ELNS1_11target_archE942ELNS1_3gpuE9ELNS1_3repE0EEENS1_30default_config_static_selectorELNS0_4arch9wavefront6targetE1EEEvT1_,"axG",@progbits,_ZN7rocprim17ROCPRIM_400000_NS6detail17trampoline_kernelINS0_14default_configENS1_25partition_config_selectorILNS1_17partition_subalgoE2ExNS0_10empty_typeEbEEZZNS1_14partition_implILS5_2ELb0ES3_jN6thrust23THRUST_200600_302600_NS6detail15normal_iteratorINSA_7pointerIxNSA_11hip_rocprim3tagENSA_11use_defaultESG_EEEEPS6_NSA_18transform_iteratorI10is_orderedNSA_12zip_iteratorINSA_5tupleINSC_INSA_10device_ptrIxEEEESQ_NSA_9null_typeESR_SR_SR_SR_SR_SR_SR_EEEESG_SG_EENS0_5tupleIJPxSJ_EEENSV_IJSJ_SJ_EEES6_PlJS6_EEE10hipError_tPvRmT3_T4_T5_T6_T7_T9_mT8_P12ihipStream_tbDpT10_ENKUlT_T0_E_clISt17integral_constantIbLb1EES1J_EEDaS1E_S1F_EUlS1E_E_NS1_11comp_targetILNS1_3genE5ELNS1_11target_archE942ELNS1_3gpuE9ELNS1_3repE0EEENS1_30default_config_static_selectorELNS0_4arch9wavefront6targetE1EEEvT1_,comdat
	.protected	_ZN7rocprim17ROCPRIM_400000_NS6detail17trampoline_kernelINS0_14default_configENS1_25partition_config_selectorILNS1_17partition_subalgoE2ExNS0_10empty_typeEbEEZZNS1_14partition_implILS5_2ELb0ES3_jN6thrust23THRUST_200600_302600_NS6detail15normal_iteratorINSA_7pointerIxNSA_11hip_rocprim3tagENSA_11use_defaultESG_EEEEPS6_NSA_18transform_iteratorI10is_orderedNSA_12zip_iteratorINSA_5tupleINSC_INSA_10device_ptrIxEEEESQ_NSA_9null_typeESR_SR_SR_SR_SR_SR_SR_EEEESG_SG_EENS0_5tupleIJPxSJ_EEENSV_IJSJ_SJ_EEES6_PlJS6_EEE10hipError_tPvRmT3_T4_T5_T6_T7_T9_mT8_P12ihipStream_tbDpT10_ENKUlT_T0_E_clISt17integral_constantIbLb1EES1J_EEDaS1E_S1F_EUlS1E_E_NS1_11comp_targetILNS1_3genE5ELNS1_11target_archE942ELNS1_3gpuE9ELNS1_3repE0EEENS1_30default_config_static_selectorELNS0_4arch9wavefront6targetE1EEEvT1_ ; -- Begin function _ZN7rocprim17ROCPRIM_400000_NS6detail17trampoline_kernelINS0_14default_configENS1_25partition_config_selectorILNS1_17partition_subalgoE2ExNS0_10empty_typeEbEEZZNS1_14partition_implILS5_2ELb0ES3_jN6thrust23THRUST_200600_302600_NS6detail15normal_iteratorINSA_7pointerIxNSA_11hip_rocprim3tagENSA_11use_defaultESG_EEEEPS6_NSA_18transform_iteratorI10is_orderedNSA_12zip_iteratorINSA_5tupleINSC_INSA_10device_ptrIxEEEESQ_NSA_9null_typeESR_SR_SR_SR_SR_SR_SR_EEEESG_SG_EENS0_5tupleIJPxSJ_EEENSV_IJSJ_SJ_EEES6_PlJS6_EEE10hipError_tPvRmT3_T4_T5_T6_T7_T9_mT8_P12ihipStream_tbDpT10_ENKUlT_T0_E_clISt17integral_constantIbLb1EES1J_EEDaS1E_S1F_EUlS1E_E_NS1_11comp_targetILNS1_3genE5ELNS1_11target_archE942ELNS1_3gpuE9ELNS1_3repE0EEENS1_30default_config_static_selectorELNS0_4arch9wavefront6targetE1EEEvT1_
	.globl	_ZN7rocprim17ROCPRIM_400000_NS6detail17trampoline_kernelINS0_14default_configENS1_25partition_config_selectorILNS1_17partition_subalgoE2ExNS0_10empty_typeEbEEZZNS1_14partition_implILS5_2ELb0ES3_jN6thrust23THRUST_200600_302600_NS6detail15normal_iteratorINSA_7pointerIxNSA_11hip_rocprim3tagENSA_11use_defaultESG_EEEEPS6_NSA_18transform_iteratorI10is_orderedNSA_12zip_iteratorINSA_5tupleINSC_INSA_10device_ptrIxEEEESQ_NSA_9null_typeESR_SR_SR_SR_SR_SR_SR_EEEESG_SG_EENS0_5tupleIJPxSJ_EEENSV_IJSJ_SJ_EEES6_PlJS6_EEE10hipError_tPvRmT3_T4_T5_T6_T7_T9_mT8_P12ihipStream_tbDpT10_ENKUlT_T0_E_clISt17integral_constantIbLb1EES1J_EEDaS1E_S1F_EUlS1E_E_NS1_11comp_targetILNS1_3genE5ELNS1_11target_archE942ELNS1_3gpuE9ELNS1_3repE0EEENS1_30default_config_static_selectorELNS0_4arch9wavefront6targetE1EEEvT1_
	.p2align	8
	.type	_ZN7rocprim17ROCPRIM_400000_NS6detail17trampoline_kernelINS0_14default_configENS1_25partition_config_selectorILNS1_17partition_subalgoE2ExNS0_10empty_typeEbEEZZNS1_14partition_implILS5_2ELb0ES3_jN6thrust23THRUST_200600_302600_NS6detail15normal_iteratorINSA_7pointerIxNSA_11hip_rocprim3tagENSA_11use_defaultESG_EEEEPS6_NSA_18transform_iteratorI10is_orderedNSA_12zip_iteratorINSA_5tupleINSC_INSA_10device_ptrIxEEEESQ_NSA_9null_typeESR_SR_SR_SR_SR_SR_SR_EEEESG_SG_EENS0_5tupleIJPxSJ_EEENSV_IJSJ_SJ_EEES6_PlJS6_EEE10hipError_tPvRmT3_T4_T5_T6_T7_T9_mT8_P12ihipStream_tbDpT10_ENKUlT_T0_E_clISt17integral_constantIbLb1EES1J_EEDaS1E_S1F_EUlS1E_E_NS1_11comp_targetILNS1_3genE5ELNS1_11target_archE942ELNS1_3gpuE9ELNS1_3repE0EEENS1_30default_config_static_selectorELNS0_4arch9wavefront6targetE1EEEvT1_,@function
_ZN7rocprim17ROCPRIM_400000_NS6detail17trampoline_kernelINS0_14default_configENS1_25partition_config_selectorILNS1_17partition_subalgoE2ExNS0_10empty_typeEbEEZZNS1_14partition_implILS5_2ELb0ES3_jN6thrust23THRUST_200600_302600_NS6detail15normal_iteratorINSA_7pointerIxNSA_11hip_rocprim3tagENSA_11use_defaultESG_EEEEPS6_NSA_18transform_iteratorI10is_orderedNSA_12zip_iteratorINSA_5tupleINSC_INSA_10device_ptrIxEEEESQ_NSA_9null_typeESR_SR_SR_SR_SR_SR_SR_EEEESG_SG_EENS0_5tupleIJPxSJ_EEENSV_IJSJ_SJ_EEES6_PlJS6_EEE10hipError_tPvRmT3_T4_T5_T6_T7_T9_mT8_P12ihipStream_tbDpT10_ENKUlT_T0_E_clISt17integral_constantIbLb1EES1J_EEDaS1E_S1F_EUlS1E_E_NS1_11comp_targetILNS1_3genE5ELNS1_11target_archE942ELNS1_3gpuE9ELNS1_3repE0EEENS1_30default_config_static_selectorELNS0_4arch9wavefront6targetE1EEEvT1_: ; @_ZN7rocprim17ROCPRIM_400000_NS6detail17trampoline_kernelINS0_14default_configENS1_25partition_config_selectorILNS1_17partition_subalgoE2ExNS0_10empty_typeEbEEZZNS1_14partition_implILS5_2ELb0ES3_jN6thrust23THRUST_200600_302600_NS6detail15normal_iteratorINSA_7pointerIxNSA_11hip_rocprim3tagENSA_11use_defaultESG_EEEEPS6_NSA_18transform_iteratorI10is_orderedNSA_12zip_iteratorINSA_5tupleINSC_INSA_10device_ptrIxEEEESQ_NSA_9null_typeESR_SR_SR_SR_SR_SR_SR_EEEESG_SG_EENS0_5tupleIJPxSJ_EEENSV_IJSJ_SJ_EEES6_PlJS6_EEE10hipError_tPvRmT3_T4_T5_T6_T7_T9_mT8_P12ihipStream_tbDpT10_ENKUlT_T0_E_clISt17integral_constantIbLb1EES1J_EEDaS1E_S1F_EUlS1E_E_NS1_11comp_targetILNS1_3genE5ELNS1_11target_archE942ELNS1_3gpuE9ELNS1_3repE0EEENS1_30default_config_static_selectorELNS0_4arch9wavefront6targetE1EEEvT1_
; %bb.0:
	.section	.rodata,"a",@progbits
	.p2align	6, 0x0
	.amdhsa_kernel _ZN7rocprim17ROCPRIM_400000_NS6detail17trampoline_kernelINS0_14default_configENS1_25partition_config_selectorILNS1_17partition_subalgoE2ExNS0_10empty_typeEbEEZZNS1_14partition_implILS5_2ELb0ES3_jN6thrust23THRUST_200600_302600_NS6detail15normal_iteratorINSA_7pointerIxNSA_11hip_rocprim3tagENSA_11use_defaultESG_EEEEPS6_NSA_18transform_iteratorI10is_orderedNSA_12zip_iteratorINSA_5tupleINSC_INSA_10device_ptrIxEEEESQ_NSA_9null_typeESR_SR_SR_SR_SR_SR_SR_EEEESG_SG_EENS0_5tupleIJPxSJ_EEENSV_IJSJ_SJ_EEES6_PlJS6_EEE10hipError_tPvRmT3_T4_T5_T6_T7_T9_mT8_P12ihipStream_tbDpT10_ENKUlT_T0_E_clISt17integral_constantIbLb1EES1J_EEDaS1E_S1F_EUlS1E_E_NS1_11comp_targetILNS1_3genE5ELNS1_11target_archE942ELNS1_3gpuE9ELNS1_3repE0EEENS1_30default_config_static_selectorELNS0_4arch9wavefront6targetE1EEEvT1_
		.amdhsa_group_segment_fixed_size 0
		.amdhsa_private_segment_fixed_size 0
		.amdhsa_kernarg_size 152
		.amdhsa_user_sgpr_count 6
		.amdhsa_user_sgpr_private_segment_buffer 1
		.amdhsa_user_sgpr_dispatch_ptr 0
		.amdhsa_user_sgpr_queue_ptr 0
		.amdhsa_user_sgpr_kernarg_segment_ptr 1
		.amdhsa_user_sgpr_dispatch_id 0
		.amdhsa_user_sgpr_flat_scratch_init 0
		.amdhsa_user_sgpr_kernarg_preload_length 0
		.amdhsa_user_sgpr_kernarg_preload_offset 0
		.amdhsa_user_sgpr_private_segment_size 0
		.amdhsa_uses_dynamic_stack 0
		.amdhsa_system_sgpr_private_segment_wavefront_offset 0
		.amdhsa_system_sgpr_workgroup_id_x 1
		.amdhsa_system_sgpr_workgroup_id_y 0
		.amdhsa_system_sgpr_workgroup_id_z 0
		.amdhsa_system_sgpr_workgroup_info 0
		.amdhsa_system_vgpr_workitem_id 0
		.amdhsa_next_free_vgpr 1
		.amdhsa_next_free_sgpr 0
		.amdhsa_accum_offset 4
		.amdhsa_reserve_vcc 0
		.amdhsa_reserve_flat_scratch 0
		.amdhsa_float_round_mode_32 0
		.amdhsa_float_round_mode_16_64 0
		.amdhsa_float_denorm_mode_32 3
		.amdhsa_float_denorm_mode_16_64 3
		.amdhsa_dx10_clamp 1
		.amdhsa_ieee_mode 1
		.amdhsa_fp16_overflow 0
		.amdhsa_tg_split 0
		.amdhsa_exception_fp_ieee_invalid_op 0
		.amdhsa_exception_fp_denorm_src 0
		.amdhsa_exception_fp_ieee_div_zero 0
		.amdhsa_exception_fp_ieee_overflow 0
		.amdhsa_exception_fp_ieee_underflow 0
		.amdhsa_exception_fp_ieee_inexact 0
		.amdhsa_exception_int_div_zero 0
	.end_amdhsa_kernel
	.section	.text._ZN7rocprim17ROCPRIM_400000_NS6detail17trampoline_kernelINS0_14default_configENS1_25partition_config_selectorILNS1_17partition_subalgoE2ExNS0_10empty_typeEbEEZZNS1_14partition_implILS5_2ELb0ES3_jN6thrust23THRUST_200600_302600_NS6detail15normal_iteratorINSA_7pointerIxNSA_11hip_rocprim3tagENSA_11use_defaultESG_EEEEPS6_NSA_18transform_iteratorI10is_orderedNSA_12zip_iteratorINSA_5tupleINSC_INSA_10device_ptrIxEEEESQ_NSA_9null_typeESR_SR_SR_SR_SR_SR_SR_EEEESG_SG_EENS0_5tupleIJPxSJ_EEENSV_IJSJ_SJ_EEES6_PlJS6_EEE10hipError_tPvRmT3_T4_T5_T6_T7_T9_mT8_P12ihipStream_tbDpT10_ENKUlT_T0_E_clISt17integral_constantIbLb1EES1J_EEDaS1E_S1F_EUlS1E_E_NS1_11comp_targetILNS1_3genE5ELNS1_11target_archE942ELNS1_3gpuE9ELNS1_3repE0EEENS1_30default_config_static_selectorELNS0_4arch9wavefront6targetE1EEEvT1_,"axG",@progbits,_ZN7rocprim17ROCPRIM_400000_NS6detail17trampoline_kernelINS0_14default_configENS1_25partition_config_selectorILNS1_17partition_subalgoE2ExNS0_10empty_typeEbEEZZNS1_14partition_implILS5_2ELb0ES3_jN6thrust23THRUST_200600_302600_NS6detail15normal_iteratorINSA_7pointerIxNSA_11hip_rocprim3tagENSA_11use_defaultESG_EEEEPS6_NSA_18transform_iteratorI10is_orderedNSA_12zip_iteratorINSA_5tupleINSC_INSA_10device_ptrIxEEEESQ_NSA_9null_typeESR_SR_SR_SR_SR_SR_SR_EEEESG_SG_EENS0_5tupleIJPxSJ_EEENSV_IJSJ_SJ_EEES6_PlJS6_EEE10hipError_tPvRmT3_T4_T5_T6_T7_T9_mT8_P12ihipStream_tbDpT10_ENKUlT_T0_E_clISt17integral_constantIbLb1EES1J_EEDaS1E_S1F_EUlS1E_E_NS1_11comp_targetILNS1_3genE5ELNS1_11target_archE942ELNS1_3gpuE9ELNS1_3repE0EEENS1_30default_config_static_selectorELNS0_4arch9wavefront6targetE1EEEvT1_,comdat
.Lfunc_end3571:
	.size	_ZN7rocprim17ROCPRIM_400000_NS6detail17trampoline_kernelINS0_14default_configENS1_25partition_config_selectorILNS1_17partition_subalgoE2ExNS0_10empty_typeEbEEZZNS1_14partition_implILS5_2ELb0ES3_jN6thrust23THRUST_200600_302600_NS6detail15normal_iteratorINSA_7pointerIxNSA_11hip_rocprim3tagENSA_11use_defaultESG_EEEEPS6_NSA_18transform_iteratorI10is_orderedNSA_12zip_iteratorINSA_5tupleINSC_INSA_10device_ptrIxEEEESQ_NSA_9null_typeESR_SR_SR_SR_SR_SR_SR_EEEESG_SG_EENS0_5tupleIJPxSJ_EEENSV_IJSJ_SJ_EEES6_PlJS6_EEE10hipError_tPvRmT3_T4_T5_T6_T7_T9_mT8_P12ihipStream_tbDpT10_ENKUlT_T0_E_clISt17integral_constantIbLb1EES1J_EEDaS1E_S1F_EUlS1E_E_NS1_11comp_targetILNS1_3genE5ELNS1_11target_archE942ELNS1_3gpuE9ELNS1_3repE0EEENS1_30default_config_static_selectorELNS0_4arch9wavefront6targetE1EEEvT1_, .Lfunc_end3571-_ZN7rocprim17ROCPRIM_400000_NS6detail17trampoline_kernelINS0_14default_configENS1_25partition_config_selectorILNS1_17partition_subalgoE2ExNS0_10empty_typeEbEEZZNS1_14partition_implILS5_2ELb0ES3_jN6thrust23THRUST_200600_302600_NS6detail15normal_iteratorINSA_7pointerIxNSA_11hip_rocprim3tagENSA_11use_defaultESG_EEEEPS6_NSA_18transform_iteratorI10is_orderedNSA_12zip_iteratorINSA_5tupleINSC_INSA_10device_ptrIxEEEESQ_NSA_9null_typeESR_SR_SR_SR_SR_SR_SR_EEEESG_SG_EENS0_5tupleIJPxSJ_EEENSV_IJSJ_SJ_EEES6_PlJS6_EEE10hipError_tPvRmT3_T4_T5_T6_T7_T9_mT8_P12ihipStream_tbDpT10_ENKUlT_T0_E_clISt17integral_constantIbLb1EES1J_EEDaS1E_S1F_EUlS1E_E_NS1_11comp_targetILNS1_3genE5ELNS1_11target_archE942ELNS1_3gpuE9ELNS1_3repE0EEENS1_30default_config_static_selectorELNS0_4arch9wavefront6targetE1EEEvT1_
                                        ; -- End function
	.section	.AMDGPU.csdata,"",@progbits
; Kernel info:
; codeLenInByte = 0
; NumSgprs: 4
; NumVgprs: 0
; NumAgprs: 0
; TotalNumVgprs: 0
; ScratchSize: 0
; MemoryBound: 0
; FloatMode: 240
; IeeeMode: 1
; LDSByteSize: 0 bytes/workgroup (compile time only)
; SGPRBlocks: 0
; VGPRBlocks: 0
; NumSGPRsForWavesPerEU: 4
; NumVGPRsForWavesPerEU: 1
; AccumOffset: 4
; Occupancy: 8
; WaveLimiterHint : 0
; COMPUTE_PGM_RSRC2:SCRATCH_EN: 0
; COMPUTE_PGM_RSRC2:USER_SGPR: 6
; COMPUTE_PGM_RSRC2:TRAP_HANDLER: 0
; COMPUTE_PGM_RSRC2:TGID_X_EN: 1
; COMPUTE_PGM_RSRC2:TGID_Y_EN: 0
; COMPUTE_PGM_RSRC2:TGID_Z_EN: 0
; COMPUTE_PGM_RSRC2:TIDIG_COMP_CNT: 0
; COMPUTE_PGM_RSRC3_GFX90A:ACCUM_OFFSET: 0
; COMPUTE_PGM_RSRC3_GFX90A:TG_SPLIT: 0
	.section	.text._ZN7rocprim17ROCPRIM_400000_NS6detail17trampoline_kernelINS0_14default_configENS1_25partition_config_selectorILNS1_17partition_subalgoE2ExNS0_10empty_typeEbEEZZNS1_14partition_implILS5_2ELb0ES3_jN6thrust23THRUST_200600_302600_NS6detail15normal_iteratorINSA_7pointerIxNSA_11hip_rocprim3tagENSA_11use_defaultESG_EEEEPS6_NSA_18transform_iteratorI10is_orderedNSA_12zip_iteratorINSA_5tupleINSC_INSA_10device_ptrIxEEEESQ_NSA_9null_typeESR_SR_SR_SR_SR_SR_SR_EEEESG_SG_EENS0_5tupleIJPxSJ_EEENSV_IJSJ_SJ_EEES6_PlJS6_EEE10hipError_tPvRmT3_T4_T5_T6_T7_T9_mT8_P12ihipStream_tbDpT10_ENKUlT_T0_E_clISt17integral_constantIbLb1EES1J_EEDaS1E_S1F_EUlS1E_E_NS1_11comp_targetILNS1_3genE4ELNS1_11target_archE910ELNS1_3gpuE8ELNS1_3repE0EEENS1_30default_config_static_selectorELNS0_4arch9wavefront6targetE1EEEvT1_,"axG",@progbits,_ZN7rocprim17ROCPRIM_400000_NS6detail17trampoline_kernelINS0_14default_configENS1_25partition_config_selectorILNS1_17partition_subalgoE2ExNS0_10empty_typeEbEEZZNS1_14partition_implILS5_2ELb0ES3_jN6thrust23THRUST_200600_302600_NS6detail15normal_iteratorINSA_7pointerIxNSA_11hip_rocprim3tagENSA_11use_defaultESG_EEEEPS6_NSA_18transform_iteratorI10is_orderedNSA_12zip_iteratorINSA_5tupleINSC_INSA_10device_ptrIxEEEESQ_NSA_9null_typeESR_SR_SR_SR_SR_SR_SR_EEEESG_SG_EENS0_5tupleIJPxSJ_EEENSV_IJSJ_SJ_EEES6_PlJS6_EEE10hipError_tPvRmT3_T4_T5_T6_T7_T9_mT8_P12ihipStream_tbDpT10_ENKUlT_T0_E_clISt17integral_constantIbLb1EES1J_EEDaS1E_S1F_EUlS1E_E_NS1_11comp_targetILNS1_3genE4ELNS1_11target_archE910ELNS1_3gpuE8ELNS1_3repE0EEENS1_30default_config_static_selectorELNS0_4arch9wavefront6targetE1EEEvT1_,comdat
	.protected	_ZN7rocprim17ROCPRIM_400000_NS6detail17trampoline_kernelINS0_14default_configENS1_25partition_config_selectorILNS1_17partition_subalgoE2ExNS0_10empty_typeEbEEZZNS1_14partition_implILS5_2ELb0ES3_jN6thrust23THRUST_200600_302600_NS6detail15normal_iteratorINSA_7pointerIxNSA_11hip_rocprim3tagENSA_11use_defaultESG_EEEEPS6_NSA_18transform_iteratorI10is_orderedNSA_12zip_iteratorINSA_5tupleINSC_INSA_10device_ptrIxEEEESQ_NSA_9null_typeESR_SR_SR_SR_SR_SR_SR_EEEESG_SG_EENS0_5tupleIJPxSJ_EEENSV_IJSJ_SJ_EEES6_PlJS6_EEE10hipError_tPvRmT3_T4_T5_T6_T7_T9_mT8_P12ihipStream_tbDpT10_ENKUlT_T0_E_clISt17integral_constantIbLb1EES1J_EEDaS1E_S1F_EUlS1E_E_NS1_11comp_targetILNS1_3genE4ELNS1_11target_archE910ELNS1_3gpuE8ELNS1_3repE0EEENS1_30default_config_static_selectorELNS0_4arch9wavefront6targetE1EEEvT1_ ; -- Begin function _ZN7rocprim17ROCPRIM_400000_NS6detail17trampoline_kernelINS0_14default_configENS1_25partition_config_selectorILNS1_17partition_subalgoE2ExNS0_10empty_typeEbEEZZNS1_14partition_implILS5_2ELb0ES3_jN6thrust23THRUST_200600_302600_NS6detail15normal_iteratorINSA_7pointerIxNSA_11hip_rocprim3tagENSA_11use_defaultESG_EEEEPS6_NSA_18transform_iteratorI10is_orderedNSA_12zip_iteratorINSA_5tupleINSC_INSA_10device_ptrIxEEEESQ_NSA_9null_typeESR_SR_SR_SR_SR_SR_SR_EEEESG_SG_EENS0_5tupleIJPxSJ_EEENSV_IJSJ_SJ_EEES6_PlJS6_EEE10hipError_tPvRmT3_T4_T5_T6_T7_T9_mT8_P12ihipStream_tbDpT10_ENKUlT_T0_E_clISt17integral_constantIbLb1EES1J_EEDaS1E_S1F_EUlS1E_E_NS1_11comp_targetILNS1_3genE4ELNS1_11target_archE910ELNS1_3gpuE8ELNS1_3repE0EEENS1_30default_config_static_selectorELNS0_4arch9wavefront6targetE1EEEvT1_
	.globl	_ZN7rocprim17ROCPRIM_400000_NS6detail17trampoline_kernelINS0_14default_configENS1_25partition_config_selectorILNS1_17partition_subalgoE2ExNS0_10empty_typeEbEEZZNS1_14partition_implILS5_2ELb0ES3_jN6thrust23THRUST_200600_302600_NS6detail15normal_iteratorINSA_7pointerIxNSA_11hip_rocprim3tagENSA_11use_defaultESG_EEEEPS6_NSA_18transform_iteratorI10is_orderedNSA_12zip_iteratorINSA_5tupleINSC_INSA_10device_ptrIxEEEESQ_NSA_9null_typeESR_SR_SR_SR_SR_SR_SR_EEEESG_SG_EENS0_5tupleIJPxSJ_EEENSV_IJSJ_SJ_EEES6_PlJS6_EEE10hipError_tPvRmT3_T4_T5_T6_T7_T9_mT8_P12ihipStream_tbDpT10_ENKUlT_T0_E_clISt17integral_constantIbLb1EES1J_EEDaS1E_S1F_EUlS1E_E_NS1_11comp_targetILNS1_3genE4ELNS1_11target_archE910ELNS1_3gpuE8ELNS1_3repE0EEENS1_30default_config_static_selectorELNS0_4arch9wavefront6targetE1EEEvT1_
	.p2align	8
	.type	_ZN7rocprim17ROCPRIM_400000_NS6detail17trampoline_kernelINS0_14default_configENS1_25partition_config_selectorILNS1_17partition_subalgoE2ExNS0_10empty_typeEbEEZZNS1_14partition_implILS5_2ELb0ES3_jN6thrust23THRUST_200600_302600_NS6detail15normal_iteratorINSA_7pointerIxNSA_11hip_rocprim3tagENSA_11use_defaultESG_EEEEPS6_NSA_18transform_iteratorI10is_orderedNSA_12zip_iteratorINSA_5tupleINSC_INSA_10device_ptrIxEEEESQ_NSA_9null_typeESR_SR_SR_SR_SR_SR_SR_EEEESG_SG_EENS0_5tupleIJPxSJ_EEENSV_IJSJ_SJ_EEES6_PlJS6_EEE10hipError_tPvRmT3_T4_T5_T6_T7_T9_mT8_P12ihipStream_tbDpT10_ENKUlT_T0_E_clISt17integral_constantIbLb1EES1J_EEDaS1E_S1F_EUlS1E_E_NS1_11comp_targetILNS1_3genE4ELNS1_11target_archE910ELNS1_3gpuE8ELNS1_3repE0EEENS1_30default_config_static_selectorELNS0_4arch9wavefront6targetE1EEEvT1_,@function
_ZN7rocprim17ROCPRIM_400000_NS6detail17trampoline_kernelINS0_14default_configENS1_25partition_config_selectorILNS1_17partition_subalgoE2ExNS0_10empty_typeEbEEZZNS1_14partition_implILS5_2ELb0ES3_jN6thrust23THRUST_200600_302600_NS6detail15normal_iteratorINSA_7pointerIxNSA_11hip_rocprim3tagENSA_11use_defaultESG_EEEEPS6_NSA_18transform_iteratorI10is_orderedNSA_12zip_iteratorINSA_5tupleINSC_INSA_10device_ptrIxEEEESQ_NSA_9null_typeESR_SR_SR_SR_SR_SR_SR_EEEESG_SG_EENS0_5tupleIJPxSJ_EEENSV_IJSJ_SJ_EEES6_PlJS6_EEE10hipError_tPvRmT3_T4_T5_T6_T7_T9_mT8_P12ihipStream_tbDpT10_ENKUlT_T0_E_clISt17integral_constantIbLb1EES1J_EEDaS1E_S1F_EUlS1E_E_NS1_11comp_targetILNS1_3genE4ELNS1_11target_archE910ELNS1_3gpuE8ELNS1_3repE0EEENS1_30default_config_static_selectorELNS0_4arch9wavefront6targetE1EEEvT1_: ; @_ZN7rocprim17ROCPRIM_400000_NS6detail17trampoline_kernelINS0_14default_configENS1_25partition_config_selectorILNS1_17partition_subalgoE2ExNS0_10empty_typeEbEEZZNS1_14partition_implILS5_2ELb0ES3_jN6thrust23THRUST_200600_302600_NS6detail15normal_iteratorINSA_7pointerIxNSA_11hip_rocprim3tagENSA_11use_defaultESG_EEEEPS6_NSA_18transform_iteratorI10is_orderedNSA_12zip_iteratorINSA_5tupleINSC_INSA_10device_ptrIxEEEESQ_NSA_9null_typeESR_SR_SR_SR_SR_SR_SR_EEEESG_SG_EENS0_5tupleIJPxSJ_EEENSV_IJSJ_SJ_EEES6_PlJS6_EEE10hipError_tPvRmT3_T4_T5_T6_T7_T9_mT8_P12ihipStream_tbDpT10_ENKUlT_T0_E_clISt17integral_constantIbLb1EES1J_EEDaS1E_S1F_EUlS1E_E_NS1_11comp_targetILNS1_3genE4ELNS1_11target_archE910ELNS1_3gpuE8ELNS1_3repE0EEENS1_30default_config_static_selectorELNS0_4arch9wavefront6targetE1EEEvT1_
; %bb.0:
	s_load_dwordx2 s[24:25], s[4:5], 0x38
	s_load_dwordx4 s[20:23], s[4:5], 0x58
	s_load_dwordx2 s[26:27], s[4:5], 0x68
	s_load_dwordx2 s[34:35], s[4:5], 0x78
	v_cmp_eq_u32_e64 s[0:1], 0, v0
	s_and_saveexec_b64 s[2:3], s[0:1]
	s_cbranch_execz .LBB3572_4
; %bb.1:
	s_mov_b64 s[8:9], exec
	v_mbcnt_lo_u32_b32 v1, s8, 0
	v_mbcnt_hi_u32_b32 v1, s9, v1
	v_cmp_eq_u32_e32 vcc, 0, v1
                                        ; implicit-def: $vgpr2
	s_and_saveexec_b64 s[6:7], vcc
	s_cbranch_execz .LBB3572_3
; %bb.2:
	s_load_dwordx2 s[10:11], s[4:5], 0x88
	s_bcnt1_i32_b64 s8, s[8:9]
	v_mov_b32_e32 v2, 0
	v_mov_b32_e32 v3, s8
	s_waitcnt lgkmcnt(0)
	global_atomic_add v2, v2, v3, s[10:11] glc
.LBB3572_3:
	s_or_b64 exec, exec, s[6:7]
	s_waitcnt vmcnt(0)
	v_readfirstlane_b32 s6, v2
	v_add_u32_e32 v1, s6, v1
	v_mov_b32_e32 v2, 0
	ds_write_b32 v2, v1
.LBB3572_4:
	s_or_b64 exec, exec, s[2:3]
	v_mov_b32_e32 v1, 0
	s_load_dwordx4 s[16:19], s[4:5], 0x8
	s_load_dwordx4 s[8:11], s[4:5], 0x20
	s_load_dword s2, s[4:5], 0x80
	s_waitcnt lgkmcnt(0)
	s_barrier
	ds_read_b32 v2, v1
	s_waitcnt lgkmcnt(0)
	s_barrier
	global_load_dwordx2 v[10:11], v1, s[22:23]
	s_lshl_b64 s[4:5], s[18:19], 3
	s_add_u32 s12, s16, s4
	s_addc_u32 s13, s17, s5
	s_add_i32 s6, s2, -1
	s_mulk_i32 s2, 0x300
	s_add_i32 s3, s2, s18
	s_sub_i32 s33, s26, s3
	s_addk_i32 s33, 0x300
	s_add_u32 s2, s18, s2
	v_readfirstlane_b32 s42, v2
	s_addc_u32 s3, s19, 0
	s_cmp_eq_u32 s42, s6
	v_pk_mov_b32 v[2:3], s[26:27], s[26:27] op_sel:[0,1]
	s_cselect_b64 s[22:23], -1, 0
	s_cmp_lg_u32 s42, s6
	s_mul_i32 s28, s42, 0x300
	s_mov_b32 s29, 0
	v_cmp_lt_u64_e32 vcc, s[2:3], v[2:3]
	s_cselect_b64 s[2:3], -1, 0
	s_or_b64 s[30:31], vcc, s[2:3]
	s_lshl_b64 s[6:7], s[28:29], 3
	s_add_u32 s14, s12, s6
	s_addc_u32 s15, s13, s7
	s_mov_b64 s[2:3], -1
	s_and_b64 vcc, exec, s[30:31]
	v_lshlrev_b32_e32 v1, 3, v0
	v_lshrrev_b32_e32 v12, 2, v0
	s_cbranch_vccz .LBB3572_6
; %bb.5:
	v_mov_b32_e32 v3, s15
	v_add_co_u32_e32 v2, vcc, s14, v1
	v_addc_co_u32_e32 v3, vcc, 0, v3, vcc
	v_add_co_u32_e32 v4, vcc, 0x1000, v2
	v_addc_co_u32_e32 v5, vcc, 0, v3, vcc
	flat_load_dwordx2 v[6:7], v[2:3]
	flat_load_dwordx2 v[8:9], v[2:3] offset:1536
	flat_load_dwordx2 v[14:15], v[2:3] offset:3072
	;; [unrolled: 1-line block ×3, first 2 shown]
	v_add_u32_e32 v3, 0xc0, v0
	v_add_u32_e32 v4, 0x180, v0
	;; [unrolled: 1-line block ×3, first 2 shown]
	v_and_b32_e32 v2, 56, v12
	v_lshrrev_b32_e32 v3, 2, v3
	v_lshrrev_b32_e32 v4, 2, v4
	;; [unrolled: 1-line block ×3, first 2 shown]
	v_add_u32_e32 v2, v2, v1
	v_and_b32_e32 v3, 0x78, v3
	v_and_b32_e32 v4, 0xf8, v4
	;; [unrolled: 1-line block ×3, first 2 shown]
	v_add_u32_e32 v3, v3, v1
	v_add_u32_e32 v4, v4, v1
	;; [unrolled: 1-line block ×3, first 2 shown]
	s_mov_b64 s[2:3], 0
	s_waitcnt vmcnt(0) lgkmcnt(0)
	ds_write_b64 v2, v[6:7]
	ds_write_b64 v3, v[8:9] offset:1536
	ds_write_b64 v4, v[14:15] offset:3072
	;; [unrolled: 1-line block ×3, first 2 shown]
	s_waitcnt lgkmcnt(0)
	s_barrier
.LBB3572_6:
	s_andn2_b64 vcc, exec, s[2:3]
	v_cmp_gt_u32_e64 s[2:3], s33, v0
	s_cbranch_vccnz .LBB3572_16
; %bb.7:
                                        ; implicit-def: $vgpr2_vgpr3_vgpr4_vgpr5_vgpr6_vgpr7_vgpr8_vgpr9
	s_and_saveexec_b64 s[12:13], s[2:3]
	s_cbranch_execz .LBB3572_9
; %bb.8:
	v_mov_b32_e32 v3, s15
	v_add_co_u32_e32 v2, vcc, s14, v1
	v_addc_co_u32_e32 v3, vcc, 0, v3, vcc
	flat_load_dwordx2 v[2:3], v[2:3]
.LBB3572_9:
	s_or_b64 exec, exec, s[12:13]
	v_add_u32_e32 v13, 0xc0, v0
	v_cmp_gt_u32_e32 vcc, s33, v13
	s_and_saveexec_b64 s[2:3], vcc
	s_cbranch_execz .LBB3572_11
; %bb.10:
	v_mov_b32_e32 v5, s15
	v_add_co_u32_e32 v4, vcc, s14, v1
	v_addc_co_u32_e32 v5, vcc, 0, v5, vcc
	flat_load_dwordx2 v[4:5], v[4:5] offset:1536
.LBB3572_11:
	s_or_b64 exec, exec, s[2:3]
	v_add_u32_e32 v14, 0x180, v0
	v_cmp_gt_u32_e32 vcc, s33, v14
	s_and_saveexec_b64 s[2:3], vcc
	s_cbranch_execz .LBB3572_13
; %bb.12:
	v_mov_b32_e32 v7, s15
	v_add_co_u32_e32 v6, vcc, s14, v1
	v_addc_co_u32_e32 v7, vcc, 0, v7, vcc
	flat_load_dwordx2 v[6:7], v[6:7] offset:3072
.LBB3572_13:
	s_or_b64 exec, exec, s[2:3]
	v_add_u32_e32 v15, 0x240, v0
	v_cmp_gt_u32_e32 vcc, s33, v15
	s_and_saveexec_b64 s[2:3], vcc
	s_cbranch_execz .LBB3572_15
; %bb.14:
	v_lshlrev_b32_e32 v8, 3, v15
	v_mov_b32_e32 v9, s15
	v_add_co_u32_e32 v8, vcc, s14, v8
	v_addc_co_u32_e32 v9, vcc, 0, v9, vcc
	flat_load_dwordx2 v[8:9], v[8:9]
.LBB3572_15:
	s_or_b64 exec, exec, s[2:3]
	v_and_b32_e32 v12, 56, v12
	v_add_u32_e32 v12, v12, v1
	s_waitcnt vmcnt(0) lgkmcnt(0)
	ds_write_b64 v12, v[2:3]
	v_lshrrev_b32_e32 v2, 2, v13
	v_and_b32_e32 v2, 0x78, v2
	v_add_u32_e32 v2, v2, v1
	ds_write_b64 v2, v[4:5] offset:1536
	v_lshrrev_b32_e32 v2, 2, v14
	v_and_b32_e32 v2, 0xf8, v2
	v_add_u32_e32 v2, v2, v1
	ds_write_b64 v2, v[6:7] offset:3072
	v_lshrrev_b32_e32 v2, 2, v15
	v_and_b32_e32 v2, 0xf8, v2
	v_add_u32_e32 v2, v2, v1
	ds_write_b64 v2, v[8:9] offset:4608
	s_waitcnt lgkmcnt(0)
	s_barrier
.LBB3572_16:
	s_add_u32 s2, s8, s4
	s_addc_u32 s3, s9, s5
	v_lshlrev_b32_e32 v22, 2, v0
	v_lshrrev_b32_e32 v12, 3, v0
	s_add_u32 s4, s10, s4
	v_add_lshl_u32 v2, v12, v22, 3
	s_addc_u32 s5, s11, s5
	ds_read2_b64 v[6:9], v2 offset1:1
	ds_read2_b64 v[2:5], v2 offset0:2 offset1:3
	s_add_u32 s2, s2, s6
	s_addc_u32 s3, s3, s7
	s_add_u32 s4, s4, s6
	s_addc_u32 s5, s5, s7
	s_mov_b64 s[6:7], -1
	s_and_b64 vcc, exec, s[30:31]
	v_lshrrev_b32_e32 v13, 5, v0
	s_waitcnt lgkmcnt(0)
	s_barrier
	s_cbranch_vccz .LBB3572_18
; %bb.17:
	v_mov_b32_e32 v14, s3
	v_add_co_u32_e32 v23, vcc, s2, v1
	v_addc_co_u32_e32 v29, vcc, 0, v14, vcc
	v_mov_b32_e32 v14, s5
	v_add_co_u32_e32 v30, vcc, s4, v1
	v_addc_co_u32_e32 v31, vcc, 0, v14, vcc
	s_movk_i32 s6, 0x1000
	v_add_co_u32_e32 v28, vcc, s6, v23
	v_addc_co_u32_e32 v29, vcc, 0, v29, vcc
	v_add_co_u32_e32 v30, vcc, s6, v30
	global_load_dwordx2 v[14:15], v1, s[2:3]
	global_load_dwordx2 v[16:17], v1, s[2:3] offset:1536
	global_load_dwordx2 v[18:19], v1, s[4:5]
	global_load_dwordx2 v[20:21], v1, s[2:3] offset:3072
	global_load_dwordx2 v[24:25], v1, s[4:5] offset:1536
	;; [unrolled: 1-line block ×3, first 2 shown]
	v_addc_co_u32_e32 v31, vcc, 0, v31, vcc
	global_load_dwordx2 v[28:29], v[28:29], off offset:512
	v_add_u32_e32 v32, 0xc0, v0
	global_load_dwordx2 v[30:31], v[30:31], off offset:512
	v_add_u32_e32 v33, 0x180, v0
	v_add_u32_e32 v34, 0x240, v0
	v_and_b32_e32 v23, 4, v13
	v_lshrrev_b32_e32 v32, 5, v32
	v_lshrrev_b32_e32 v33, 5, v33
	v_lshrrev_b32_e32 v34, 5, v34
	v_add_u32_e32 v23, v23, v0
	v_and_b32_e32 v32, 12, v32
	v_and_b32_e32 v33, 28, v33
	;; [unrolled: 1-line block ×3, first 2 shown]
	v_add_u32_e32 v32, v32, v0
	v_add_u32_e32 v33, v33, v0
	;; [unrolled: 1-line block ×3, first 2 shown]
	s_mov_b64 s[6:7], 0
	s_waitcnt vmcnt(5)
	v_cmp_le_i64_e32 vcc, v[14:15], v[18:19]
	v_cndmask_b32_e64 v14, 0, 1, vcc
	s_waitcnt vmcnt(3)
	v_cmp_le_i64_e32 vcc, v[16:17], v[24:25]
	v_cndmask_b32_e64 v15, 0, 1, vcc
	;; [unrolled: 3-line block ×3, first 2 shown]
	ds_write_b8 v23, v14
	ds_write_b8 v32, v15 offset:192
	ds_write_b8 v33, v16 offset:384
	s_waitcnt vmcnt(0)
	v_cmp_le_i64_e32 vcc, v[28:29], v[30:31]
	v_cndmask_b32_e64 v14, 0, 1, vcc
	ds_write_b8 v34, v14 offset:576
	s_waitcnt lgkmcnt(0)
	s_barrier
.LBB3572_18:
	s_andn2_b64 vcc, exec, s[6:7]
	s_cbranch_vccnz .LBB3572_28
; %bb.19:
	v_cmp_gt_u32_e32 vcc, s33, v0
	v_mov_b32_e32 v14, 0
	v_mov_b32_e32 v15, 0
	s_and_saveexec_b64 s[6:7], vcc
	s_cbranch_execz .LBB3572_21
; %bb.20:
	global_load_dwordx2 v[16:17], v1, s[2:3]
	global_load_dwordx2 v[18:19], v1, s[4:5]
	s_waitcnt vmcnt(0)
	v_cmp_le_i64_e32 vcc, v[16:17], v[18:19]
	v_cndmask_b32_e64 v15, 0, 1, vcc
.LBB3572_21:
	s_or_b64 exec, exec, s[6:7]
	v_add_u32_e32 v16, 0xc0, v0
	v_cmp_gt_u32_e32 vcc, s33, v16
	s_and_saveexec_b64 s[6:7], vcc
	s_cbranch_execz .LBB3572_23
; %bb.22:
	global_load_dwordx2 v[18:19], v1, s[2:3] offset:1536
	global_load_dwordx2 v[20:21], v1, s[4:5] offset:1536
	s_waitcnt vmcnt(0)
	v_cmp_le_i64_e32 vcc, v[18:19], v[20:21]
	v_cndmask_b32_e64 v14, 0, 1, vcc
.LBB3572_23:
	s_or_b64 exec, exec, s[6:7]
	v_add_u32_e32 v17, 0x180, v0
	v_cmp_gt_u32_e32 vcc, s33, v17
	v_mov_b32_e32 v18, 0
	v_mov_b32_e32 v19, 0
	s_and_saveexec_b64 s[6:7], vcc
	s_cbranch_execz .LBB3572_25
; %bb.24:
	global_load_dwordx2 v[20:21], v1, s[2:3] offset:3072
	global_load_dwordx2 v[24:25], v1, s[4:5] offset:3072
	s_waitcnt vmcnt(0)
	v_cmp_le_i64_e32 vcc, v[20:21], v[24:25]
	v_cndmask_b32_e64 v19, 0, 1, vcc
.LBB3572_25:
	s_or_b64 exec, exec, s[6:7]
	v_add_u32_e32 v20, 0x240, v0
	v_cmp_gt_u32_e32 vcc, s33, v20
	s_and_saveexec_b64 s[6:7], vcc
	s_cbranch_execz .LBB3572_27
; %bb.26:
	v_lshlrev_b32_e32 v18, 3, v20
	global_load_dwordx2 v[24:25], v18, s[2:3]
	global_load_dwordx2 v[26:27], v18, s[4:5]
	s_waitcnt vmcnt(0)
	v_cmp_le_i64_e32 vcc, v[24:25], v[26:27]
	v_cndmask_b32_e64 v18, 0, 1, vcc
.LBB3572_27:
	s_or_b64 exec, exec, s[6:7]
	v_and_b32_e32 v13, 4, v13
	v_add_u32_e32 v13, v13, v0
	ds_write_b8 v13, v15
	v_lshrrev_b32_e32 v13, 5, v16
	v_and_b32_e32 v13, 12, v13
	v_add_u32_e32 v13, v13, v0
	ds_write_b8 v13, v14 offset:192
	v_lshrrev_b32_e32 v13, 5, v17
	v_and_b32_e32 v13, 28, v13
	v_add_u32_e32 v13, v13, v0
	ds_write_b8 v13, v19 offset:384
	;; [unrolled: 4-line block ×3, first 2 shown]
	s_waitcnt lgkmcnt(0)
	s_barrier
.LBB3572_28:
	v_and_b32_e32 v12, 28, v12
	v_add_u32_e32 v12, v12, v22
	ds_read_b32 v24, v12
	s_cmp_lg_u32 s42, 0
	v_lshrrev_b32_e32 v27, 6, v0
	s_waitcnt lgkmcnt(0)
	s_barrier
	v_lshrrev_b32_e32 v23, 24, v24
	v_bfe_u32 v25, v24, 16, 8
	v_add_u32_sdwa v12, v24, v24 dst_sel:DWORD dst_unused:UNUSED_PAD src0_sel:BYTE_1 src1_sel:BYTE_0
	v_add3_u32 v28, v12, v25, v23
	v_mbcnt_lo_u32_b32 v12, -1, 0
	v_mbcnt_hi_u32_b32 v26, -1, v12
	v_and_b32_e32 v12, 15, v26
	v_cmp_eq_u32_e64 s[14:15], 0, v12
	v_cmp_lt_u32_e64 s[12:13], 1, v12
	v_cmp_lt_u32_e64 s[10:11], 3, v12
	;; [unrolled: 1-line block ×3, first 2 shown]
	v_and_b32_e32 v12, 16, v26
	v_cmp_eq_u32_e64 s[4:5], 0, v12
	v_and_b32_e32 v12, 0xc0, v0
	v_min_u32_e32 v12, 0x80, v12
	v_or_b32_e32 v12, 63, v12
	v_cmp_lt_u32_e64 s[2:3], 31, v26
	v_cmp_eq_u32_e64 s[6:7], v12, v0
	s_cbranch_scc0 .LBB3572_59
; %bb.29:
	v_mov_b32_dpp v12, v28 row_shr:1 row_mask:0xf bank_mask:0xf
	v_cndmask_b32_e64 v12, v12, 0, s[14:15]
	v_add_u32_e32 v12, v12, v28
	s_nop 1
	v_mov_b32_dpp v13, v12 row_shr:2 row_mask:0xf bank_mask:0xf
	v_cndmask_b32_e64 v13, 0, v13, s[12:13]
	v_add_u32_e32 v12, v12, v13
	s_nop 1
	;; [unrolled: 4-line block ×4, first 2 shown]
	v_mov_b32_dpp v13, v12 row_bcast:15 row_mask:0xf bank_mask:0xf
	v_cndmask_b32_e64 v13, v13, 0, s[4:5]
	v_add_u32_e32 v12, v12, v13
	s_nop 1
	v_mov_b32_dpp v13, v12 row_bcast:31 row_mask:0xf bank_mask:0xf
	v_cndmask_b32_e64 v13, 0, v13, s[2:3]
	v_add_u32_e32 v12, v12, v13
	s_and_saveexec_b64 s[16:17], s[6:7]
	s_cbranch_execz .LBB3572_31
; %bb.30:
	v_lshlrev_b32_e32 v13, 2, v27
	ds_write_b32 v13, v12
.LBB3572_31:
	s_or_b64 exec, exec, s[16:17]
	v_cmp_gt_u32_e32 vcc, 3, v0
	s_waitcnt lgkmcnt(0)
	s_barrier
	s_and_saveexec_b64 s[16:17], vcc
	s_cbranch_execz .LBB3572_33
; %bb.32:
	ds_read_b32 v13, v22
	v_and_b32_e32 v14, 3, v26
	v_cmp_ne_u32_e32 vcc, 0, v14
	s_waitcnt lgkmcnt(0)
	v_mov_b32_dpp v15, v13 row_shr:1 row_mask:0xf bank_mask:0xf
	v_cndmask_b32_e32 v15, 0, v15, vcc
	v_add_u32_e32 v13, v15, v13
	v_cmp_lt_u32_e32 vcc, 1, v14
	s_nop 0
	v_mov_b32_dpp v15, v13 row_shr:2 row_mask:0xf bank_mask:0xf
	v_cndmask_b32_e32 v14, 0, v15, vcc
	v_add_u32_e32 v13, v13, v14
	ds_write_b32 v22, v13
.LBB3572_33:
	s_or_b64 exec, exec, s[16:17]
	v_cmp_gt_u32_e32 vcc, 64, v0
	v_cmp_lt_u32_e64 s[16:17], 63, v0
	s_waitcnt lgkmcnt(0)
	s_barrier
	s_waitcnt lgkmcnt(0)
                                        ; implicit-def: $vgpr29
	s_and_saveexec_b64 s[36:37], s[16:17]
	s_cbranch_execz .LBB3572_35
; %bb.34:
	v_lshl_add_u32 v13, v27, 2, -4
	ds_read_b32 v29, v13
	s_waitcnt lgkmcnt(0)
	v_add_u32_e32 v12, v29, v12
.LBB3572_35:
	s_or_b64 exec, exec, s[36:37]
	v_add_u32_e32 v13, -1, v26
	v_and_b32_e32 v14, 64, v26
	v_cmp_lt_i32_e64 s[16:17], v13, v14
	v_cndmask_b32_e64 v13, v13, v26, s[16:17]
	v_lshlrev_b32_e32 v13, 2, v13
	ds_bpermute_b32 v30, v13, v12
	v_cmp_eq_u32_e64 s[16:17], 0, v26
	s_and_saveexec_b64 s[36:37], vcc
	s_cbranch_execz .LBB3572_58
; %bb.36:
	v_mov_b32_e32 v21, 0
	ds_read_b32 v12, v21 offset:8
	s_and_saveexec_b64 s[38:39], s[16:17]
	s_cbranch_execz .LBB3572_38
; %bb.37:
	s_add_i32 s40, s42, 64
	s_mov_b32 s41, 0
	s_lshl_b64 s[40:41], s[40:41], 3
	s_add_u32 s40, s34, s40
	v_mov_b32_e32 v13, 1
	s_addc_u32 s41, s35, s41
	s_waitcnt lgkmcnt(0)
	global_store_dwordx2 v21, v[12:13], s[40:41]
.LBB3572_38:
	s_or_b64 exec, exec, s[38:39]
	v_xad_u32 v14, v26, -1, s42
	v_add_u32_e32 v20, 64, v14
	v_lshlrev_b64 v[16:17], 3, v[20:21]
	v_mov_b32_e32 v13, s35
	v_add_co_u32_e32 v16, vcc, s34, v16
	v_addc_co_u32_e32 v17, vcc, v13, v17, vcc
	global_load_dwordx2 v[18:19], v[16:17], off glc
	s_waitcnt vmcnt(0)
	v_cmp_eq_u16_sdwa s[40:41], v19, v21 src0_sel:BYTE_0 src1_sel:DWORD
	s_and_saveexec_b64 s[38:39], s[40:41]
	s_cbranch_execz .LBB3572_44
; %bb.39:
	s_mov_b32 s29, 1
	s_mov_b64 s[40:41], 0
	v_mov_b32_e32 v13, 0
.LBB3572_40:                            ; =>This Loop Header: Depth=1
                                        ;     Child Loop BB3572_41 Depth 2
	s_max_u32 s43, s29, 1
.LBB3572_41:                            ;   Parent Loop BB3572_40 Depth=1
                                        ; =>  This Inner Loop Header: Depth=2
	s_add_i32 s43, s43, -1
	s_cmp_eq_u32 s43, 0
	s_sleep 1
	s_cbranch_scc0 .LBB3572_41
; %bb.42:                               ;   in Loop: Header=BB3572_40 Depth=1
	global_load_dwordx2 v[18:19], v[16:17], off glc
	s_cmp_lt_u32 s29, 32
	s_cselect_b64 s[44:45], -1, 0
	s_cmp_lg_u64 s[44:45], 0
	s_addc_u32 s29, s29, 0
	s_waitcnt vmcnt(0)
	v_cmp_ne_u16_sdwa s[44:45], v19, v13 src0_sel:BYTE_0 src1_sel:DWORD
	s_or_b64 s[40:41], s[44:45], s[40:41]
	s_andn2_b64 exec, exec, s[40:41]
	s_cbranch_execnz .LBB3572_40
; %bb.43:
	s_or_b64 exec, exec, s[40:41]
.LBB3572_44:
	s_or_b64 exec, exec, s[38:39]
	v_and_b32_e32 v32, 63, v26
	v_mov_b32_e32 v31, 2
	v_cmp_ne_u32_e32 vcc, 63, v32
	v_cmp_eq_u16_sdwa s[38:39], v19, v31 src0_sel:BYTE_0 src1_sel:DWORD
	v_lshlrev_b64 v[16:17], v26, -1
	v_addc_co_u32_e32 v20, vcc, 0, v26, vcc
	v_and_b32_e32 v13, s39, v17
	v_lshlrev_b32_e32 v33, 2, v20
	v_or_b32_e32 v13, 0x80000000, v13
	ds_bpermute_b32 v20, v33, v18
	v_and_b32_e32 v15, s38, v16
	v_ffbl_b32_e32 v13, v13
	v_add_u32_e32 v13, 32, v13
	v_ffbl_b32_e32 v15, v15
	v_min_u32_e32 v13, v15, v13
	v_cmp_lt_u32_e32 vcc, v32, v13
	s_waitcnt lgkmcnt(0)
	v_cndmask_b32_e32 v15, 0, v20, vcc
	v_cmp_gt_u32_e32 vcc, 62, v32
	v_add_u32_e32 v15, v15, v18
	v_cndmask_b32_e64 v18, 0, 1, vcc
	v_lshlrev_b32_e32 v18, 1, v18
	v_add_lshl_u32 v34, v18, v26, 2
	ds_bpermute_b32 v18, v34, v15
	v_add_u32_e32 v35, 2, v32
	v_cmp_le_u32_e32 vcc, v35, v13
	v_add_u32_e32 v37, 4, v32
	v_add_u32_e32 v39, 8, v32
	s_waitcnt lgkmcnt(0)
	v_cndmask_b32_e32 v18, 0, v18, vcc
	v_cmp_gt_u32_e32 vcc, 60, v32
	v_add_u32_e32 v15, v15, v18
	v_cndmask_b32_e64 v18, 0, 1, vcc
	v_lshlrev_b32_e32 v18, 2, v18
	v_add_lshl_u32 v36, v18, v26, 2
	ds_bpermute_b32 v18, v36, v15
	v_cmp_le_u32_e32 vcc, v37, v13
	v_add_u32_e32 v41, 16, v32
	v_add_u32_e32 v43, 32, v32
	s_waitcnt lgkmcnt(0)
	v_cndmask_b32_e32 v18, 0, v18, vcc
	v_cmp_gt_u32_e32 vcc, 56, v32
	v_add_u32_e32 v15, v15, v18
	v_cndmask_b32_e64 v18, 0, 1, vcc
	v_lshlrev_b32_e32 v18, 3, v18
	v_add_lshl_u32 v38, v18, v26, 2
	ds_bpermute_b32 v18, v38, v15
	v_cmp_le_u32_e32 vcc, v39, v13
	s_waitcnt lgkmcnt(0)
	v_cndmask_b32_e32 v18, 0, v18, vcc
	v_cmp_gt_u32_e32 vcc, 48, v32
	v_add_u32_e32 v15, v15, v18
	v_cndmask_b32_e64 v18, 0, 1, vcc
	v_lshlrev_b32_e32 v18, 4, v18
	v_add_lshl_u32 v40, v18, v26, 2
	ds_bpermute_b32 v18, v40, v15
	v_cmp_le_u32_e32 vcc, v41, v13
	;; [unrolled: 9-line block ×3, first 2 shown]
	s_waitcnt lgkmcnt(0)
	v_cndmask_b32_e32 v13, 0, v18, vcc
	v_add_u32_e32 v18, v15, v13
	v_mov_b32_e32 v15, 0
	s_branch .LBB3572_46
.LBB3572_45:                            ;   in Loop: Header=BB3572_46 Depth=1
	s_or_b64 exec, exec, s[38:39]
	v_cmp_eq_u16_sdwa s[38:39], v19, v31 src0_sel:BYTE_0 src1_sel:DWORD
	v_and_b32_e32 v20, s39, v17
	v_or_b32_e32 v20, 0x80000000, v20
	ds_bpermute_b32 v44, v33, v18
	v_and_b32_e32 v21, s38, v16
	v_ffbl_b32_e32 v20, v20
	v_add_u32_e32 v20, 32, v20
	v_ffbl_b32_e32 v21, v21
	v_min_u32_e32 v20, v21, v20
	v_cmp_lt_u32_e32 vcc, v32, v20
	s_waitcnt lgkmcnt(0)
	v_cndmask_b32_e32 v21, 0, v44, vcc
	v_add_u32_e32 v18, v21, v18
	ds_bpermute_b32 v21, v34, v18
	v_cmp_le_u32_e32 vcc, v35, v20
	v_subrev_u32_e32 v14, 64, v14
	s_waitcnt lgkmcnt(0)
	v_cndmask_b32_e32 v21, 0, v21, vcc
	v_add_u32_e32 v18, v18, v21
	ds_bpermute_b32 v21, v36, v18
	v_cmp_le_u32_e32 vcc, v37, v20
	s_waitcnt lgkmcnt(0)
	v_cndmask_b32_e32 v21, 0, v21, vcc
	v_add_u32_e32 v18, v18, v21
	ds_bpermute_b32 v21, v38, v18
	v_cmp_le_u32_e32 vcc, v39, v20
	s_waitcnt lgkmcnt(0)
	v_cndmask_b32_e32 v21, 0, v21, vcc
	v_add_u32_e32 v18, v18, v21
	ds_bpermute_b32 v21, v40, v18
	v_cmp_le_u32_e32 vcc, v41, v20
	s_waitcnt lgkmcnt(0)
	v_cndmask_b32_e32 v21, 0, v21, vcc
	v_add_u32_e32 v18, v18, v21
	ds_bpermute_b32 v21, v42, v18
	v_cmp_le_u32_e32 vcc, v43, v20
	s_waitcnt lgkmcnt(0)
	v_cndmask_b32_e32 v20, 0, v21, vcc
	v_add3_u32 v18, v20, v13, v18
.LBB3572_46:                            ; =>This Loop Header: Depth=1
                                        ;     Child Loop BB3572_49 Depth 2
                                        ;       Child Loop BB3572_50 Depth 3
	v_cmp_ne_u16_sdwa s[38:39], v19, v31 src0_sel:BYTE_0 src1_sel:DWORD
	v_cndmask_b32_e64 v13, 0, 1, s[38:39]
	;;#ASMSTART
	;;#ASMEND
	v_cmp_ne_u32_e32 vcc, 0, v13
	s_cmp_lg_u64 vcc, exec
	v_mov_b32_e32 v13, v18
	s_cbranch_scc1 .LBB3572_53
; %bb.47:                               ;   in Loop: Header=BB3572_46 Depth=1
	v_lshlrev_b64 v[18:19], 3, v[14:15]
	v_mov_b32_e32 v21, s35
	v_add_co_u32_e32 v20, vcc, s34, v18
	v_addc_co_u32_e32 v21, vcc, v21, v19, vcc
	global_load_dwordx2 v[18:19], v[20:21], off glc
	s_waitcnt vmcnt(0)
	v_cmp_eq_u16_sdwa s[40:41], v19, v15 src0_sel:BYTE_0 src1_sel:DWORD
	s_and_saveexec_b64 s[38:39], s[40:41]
	s_cbranch_execz .LBB3572_45
; %bb.48:                               ;   in Loop: Header=BB3572_46 Depth=1
	s_mov_b32 s29, 1
	s_mov_b64 s[40:41], 0
.LBB3572_49:                            ;   Parent Loop BB3572_46 Depth=1
                                        ; =>  This Loop Header: Depth=2
                                        ;       Child Loop BB3572_50 Depth 3
	s_max_u32 s43, s29, 1
.LBB3572_50:                            ;   Parent Loop BB3572_46 Depth=1
                                        ;     Parent Loop BB3572_49 Depth=2
                                        ; =>    This Inner Loop Header: Depth=3
	s_add_i32 s43, s43, -1
	s_cmp_eq_u32 s43, 0
	s_sleep 1
	s_cbranch_scc0 .LBB3572_50
; %bb.51:                               ;   in Loop: Header=BB3572_49 Depth=2
	global_load_dwordx2 v[18:19], v[20:21], off glc
	s_cmp_lt_u32 s29, 32
	s_cselect_b64 s[44:45], -1, 0
	s_cmp_lg_u64 s[44:45], 0
	s_addc_u32 s29, s29, 0
	s_waitcnt vmcnt(0)
	v_cmp_ne_u16_sdwa s[44:45], v19, v15 src0_sel:BYTE_0 src1_sel:DWORD
	s_or_b64 s[40:41], s[44:45], s[40:41]
	s_andn2_b64 exec, exec, s[40:41]
	s_cbranch_execnz .LBB3572_49
; %bb.52:                               ;   in Loop: Header=BB3572_46 Depth=1
	s_or_b64 exec, exec, s[40:41]
	s_branch .LBB3572_45
.LBB3572_53:                            ;   in Loop: Header=BB3572_46 Depth=1
                                        ; implicit-def: $vgpr18
                                        ; implicit-def: $vgpr19
	s_cbranch_execz .LBB3572_46
; %bb.54:
	s_and_saveexec_b64 s[38:39], s[16:17]
	s_cbranch_execz .LBB3572_56
; %bb.55:
	s_add_i32 s40, s42, 64
	s_mov_b32 s41, 0
	s_lshl_b64 s[40:41], s[40:41], 3
	s_add_u32 s40, s34, s40
	v_add_u32_e32 v14, v13, v12
	v_mov_b32_e32 v15, 2
	s_addc_u32 s41, s35, s41
	v_mov_b32_e32 v16, 0
	global_store_dwordx2 v16, v[14:15], s[40:41]
	ds_write_b64 v16, v[12:13] offset:6336
.LBB3572_56:
	s_or_b64 exec, exec, s[38:39]
	s_and_b64 exec, exec, s[0:1]
	s_cbranch_execz .LBB3572_58
; %bb.57:
	v_mov_b32_e32 v12, 0
	ds_write_b32 v12, v13 offset:8
.LBB3572_58:
	s_or_b64 exec, exec, s[36:37]
	v_mov_b32_e32 v12, 0
	s_waitcnt lgkmcnt(0)
	s_barrier
	ds_read_b32 v13, v12 offset:8
	v_cndmask_b32_e64 v14, v30, v29, s[16:17]
	v_cndmask_b32_e64 v14, v14, 0, s[0:1]
	s_waitcnt lgkmcnt(0)
	s_barrier
	v_add_u32_e32 v16, v13, v14
	ds_read_b64 v[12:13], v12 offset:6336
	v_add_u32_sdwa v17, v16, v24 dst_sel:DWORD dst_unused:UNUSED_PAD src0_sel:DWORD src1_sel:BYTE_0
	v_add_u32_sdwa v15, v17, v24 dst_sel:DWORD dst_unused:UNUSED_PAD src0_sel:DWORD src1_sel:BYTE_1
	v_add_u32_e32 v14, v15, v25
	s_branch .LBB3572_69
.LBB3572_59:
                                        ; implicit-def: $vgpr13
                                        ; implicit-def: $vgpr14
                                        ; implicit-def: $vgpr15
                                        ; implicit-def: $vgpr17
                                        ; implicit-def: $vgpr16
	s_cbranch_execz .LBB3572_69
; %bb.60:
	s_waitcnt lgkmcnt(0)
	v_mov_b32_dpp v12, v28 row_shr:1 row_mask:0xf bank_mask:0xf
	v_cndmask_b32_e64 v12, v12, 0, s[14:15]
	v_add_u32_e32 v12, v12, v28
	s_nop 1
	v_mov_b32_dpp v13, v12 row_shr:2 row_mask:0xf bank_mask:0xf
	v_cndmask_b32_e64 v13, 0, v13, s[12:13]
	v_add_u32_e32 v12, v12, v13
	s_nop 1
	v_mov_b32_dpp v13, v12 row_shr:4 row_mask:0xf bank_mask:0xf
	v_cndmask_b32_e64 v13, 0, v13, s[10:11]
	v_add_u32_e32 v12, v12, v13
	s_nop 1
	v_mov_b32_dpp v13, v12 row_shr:8 row_mask:0xf bank_mask:0xf
	v_cndmask_b32_e64 v13, 0, v13, s[8:9]
	v_add_u32_e32 v12, v12, v13
	s_nop 1
	v_mov_b32_dpp v13, v12 row_bcast:15 row_mask:0xf bank_mask:0xf
	v_cndmask_b32_e64 v13, v13, 0, s[4:5]
	v_add_u32_e32 v12, v12, v13
	s_nop 1
	v_mov_b32_dpp v13, v12 row_bcast:31 row_mask:0xf bank_mask:0xf
	v_cndmask_b32_e64 v13, 0, v13, s[2:3]
	v_add_u32_e32 v12, v12, v13
	s_and_saveexec_b64 s[2:3], s[6:7]
	s_cbranch_execz .LBB3572_62
; %bb.61:
	v_lshlrev_b32_e32 v13, 2, v27
	ds_write_b32 v13, v12
.LBB3572_62:
	s_or_b64 exec, exec, s[2:3]
	v_cmp_gt_u32_e32 vcc, 3, v0
	s_waitcnt lgkmcnt(0)
	s_barrier
	s_and_saveexec_b64 s[2:3], vcc
	s_cbranch_execz .LBB3572_64
; %bb.63:
	ds_read_b32 v13, v22
	v_and_b32_e32 v14, 3, v26
	v_cmp_ne_u32_e32 vcc, 0, v14
	s_waitcnt lgkmcnt(0)
	v_mov_b32_dpp v15, v13 row_shr:1 row_mask:0xf bank_mask:0xf
	v_cndmask_b32_e32 v15, 0, v15, vcc
	v_add_u32_e32 v13, v15, v13
	v_cmp_lt_u32_e32 vcc, 1, v14
	s_nop 0
	v_mov_b32_dpp v15, v13 row_shr:2 row_mask:0xf bank_mask:0xf
	v_cndmask_b32_e32 v14, 0, v15, vcc
	v_add_u32_e32 v13, v13, v14
	ds_write_b32 v22, v13
.LBB3572_64:
	s_or_b64 exec, exec, s[2:3]
	v_cmp_lt_u32_e32 vcc, 63, v0
	v_mov_b32_e32 v13, 0
	v_mov_b32_e32 v14, 0
	s_waitcnt lgkmcnt(0)
	s_barrier
	s_and_saveexec_b64 s[2:3], vcc
	s_cbranch_execz .LBB3572_66
; %bb.65:
	v_lshl_add_u32 v14, v27, 2, -4
	ds_read_b32 v14, v14
.LBB3572_66:
	s_or_b64 exec, exec, s[2:3]
	v_add_u32_e32 v15, -1, v26
	v_and_b32_e32 v16, 64, v26
	v_cmp_lt_i32_e32 vcc, v15, v16
	v_cndmask_b32_e32 v15, v15, v26, vcc
	s_waitcnt lgkmcnt(0)
	v_add_u32_e32 v12, v14, v12
	v_lshlrev_b32_e32 v15, 2, v15
	ds_bpermute_b32 v15, v15, v12
	ds_read_b32 v12, v13 offset:8
	s_and_saveexec_b64 s[2:3], s[0:1]
	s_cbranch_execz .LBB3572_68
; %bb.67:
	v_mov_b32_e32 v16, 0
	v_mov_b32_e32 v13, 2
	s_waitcnt lgkmcnt(0)
	global_store_dwordx2 v16, v[12:13], s[34:35] offset:512
.LBB3572_68:
	s_or_b64 exec, exec, s[2:3]
	v_cmp_eq_u32_e32 vcc, 0, v26
	s_waitcnt lgkmcnt(1)
	v_cndmask_b32_e32 v14, v15, v14, vcc
	v_cndmask_b32_e64 v16, v14, 0, s[0:1]
	v_add_u32_sdwa v17, v16, v24 dst_sel:DWORD dst_unused:UNUSED_PAD src0_sel:DWORD src1_sel:BYTE_0
	v_add_u32_sdwa v15, v17, v24 dst_sel:DWORD dst_unused:UNUSED_PAD src0_sel:DWORD src1_sel:BYTE_1
	v_mov_b32_e32 v13, 0
	v_add_u32_e32 v14, v15, v25
	s_waitcnt lgkmcnt(0)
	s_barrier
.LBB3572_69:
	s_waitcnt lgkmcnt(0)
	v_add_u32_e32 v19, v12, v22
	v_sub_u32_e32 v16, v16, v13
	v_and_b32_e32 v21, 1, v24
	v_sub_u32_e32 v20, v19, v16
	v_cmp_eq_u32_e32 vcc, 1, v21
	v_cndmask_b32_e32 v16, v20, v16, vcc
	v_lshlrev_b32_e32 v16, 3, v16
	v_lshrrev_b32_e32 v18, 8, v24
	ds_write_b64 v16, v[6:7]
	v_sub_u32_e32 v6, v17, v13
	v_sub_u32_e32 v7, v19, v6
	v_and_b32_e32 v16, 1, v18
	v_add_u32_e32 v7, 1, v7
	v_cmp_eq_u32_e32 vcc, 1, v16
	v_cndmask_b32_e32 v6, v7, v6, vcc
	v_lshlrev_b32_e32 v6, 3, v6
	ds_write_b64 v6, v[8:9]
	v_sub_u32_e32 v6, v15, v13
	v_mov_b32_e32 v8, 1
	v_sub_u32_e32 v7, v19, v6
	v_and_b32_sdwa v8, v8, v24 dst_sel:DWORD dst_unused:UNUSED_PAD src0_sel:DWORD src1_sel:WORD_1
	v_add_u32_e32 v7, 2, v7
	v_cmp_eq_u32_e32 vcc, 1, v8
	v_cndmask_b32_e32 v6, v7, v6, vcc
	v_lshlrev_b32_e32 v6, 3, v6
	ds_write_b64 v6, v[2:3]
	v_sub_u32_e32 v2, v14, v13
	v_sub_u32_e32 v3, v19, v2
	v_and_b32_e32 v6, 1, v23
	v_add_u32_e32 v3, 3, v3
	v_cmp_eq_u32_e32 vcc, 1, v6
	v_cndmask_b32_e32 v2, v3, v2, vcc
	s_add_u32 s2, s18, s28
	v_lshlrev_b32_e32 v2, 3, v2
	s_addc_u32 s3, s19, 0
	ds_write_b64 v2, v[4:5]
	s_waitcnt lgkmcnt(0)
	s_barrier
	ds_read2st64_b64 v[6:9], v1 offset1:3
	ds_read2st64_b64 v[2:5], v1 offset0:6 offset1:9
	s_waitcnt vmcnt(0)
	v_add_co_u32_e32 v1, vcc, v10, v13
	s_sub_u32 s2, s26, s2
	v_addc_co_u32_e32 v13, vcc, 0, v11, vcc
	s_subb_u32 s3, s27, s3
	v_mov_b32_e32 v10, s3
	v_add_co_u32_e32 v11, vcc, s2, v12
	v_addc_co_u32_e32 v10, vcc, 0, v10, vcc
	v_add_co_u32_e64 v15, s[2:3], v11, v1
	v_add_u32_e32 v18, 0xc0, v0
	v_add_u32_e32 v17, 0x180, v0
	;; [unrolled: 1-line block ×3, first 2 shown]
	s_andn2_b64 vcc, exec, s[30:31]
	v_addc_co_u32_e64 v16, s[2:3], v10, v13, s[2:3]
	s_cbranch_vccnz .LBB3572_90
; %bb.70:
	v_cmp_ge_u32_e32 vcc, v0, v12
                                        ; implicit-def: $vgpr10_vgpr11
	s_and_saveexec_b64 s[2:3], vcc
	s_xor_b64 s[2:3], exec, s[2:3]
; %bb.71:
	v_not_b32_e32 v10, v0
	v_ashrrev_i32_e32 v11, 31, v10
	v_add_co_u32_e32 v10, vcc, v15, v10
	v_addc_co_u32_e32 v11, vcc, v16, v11, vcc
; %bb.72:
	s_andn2_saveexec_b64 s[2:3], s[2:3]
; %bb.73:
	v_add_co_u32_e32 v10, vcc, v1, v0
	v_addc_co_u32_e32 v11, vcc, 0, v13, vcc
; %bb.74:
	s_or_b64 exec, exec, s[2:3]
	v_lshlrev_b64 v[10:11], 3, v[10:11]
	v_mov_b32_e32 v19, s25
	v_add_co_u32_e32 v10, vcc, s24, v10
	v_addc_co_u32_e32 v11, vcc, v19, v11, vcc
	v_cmp_ge_u32_e32 vcc, v18, v12
	s_waitcnt lgkmcnt(1)
	global_store_dwordx2 v[10:11], v[6:7], off
                                        ; implicit-def: $vgpr10_vgpr11
	s_and_saveexec_b64 s[2:3], vcc
	s_xor_b64 s[2:3], exec, s[2:3]
; %bb.75:
	v_sub_u32_e32 v10, 0xffffff3f, v0
	v_ashrrev_i32_e32 v11, 31, v10
	v_add_co_u32_e32 v10, vcc, v15, v10
	v_addc_co_u32_e32 v11, vcc, v16, v11, vcc
; %bb.76:
	s_andn2_saveexec_b64 s[2:3], s[2:3]
; %bb.77:
	v_add_co_u32_e32 v10, vcc, v1, v18
	v_addc_co_u32_e32 v11, vcc, 0, v13, vcc
; %bb.78:
	s_or_b64 exec, exec, s[2:3]
	v_lshlrev_b64 v[10:11], 3, v[10:11]
	v_mov_b32_e32 v19, s25
	v_add_co_u32_e32 v10, vcc, s24, v10
	v_addc_co_u32_e32 v11, vcc, v19, v11, vcc
	v_cmp_ge_u32_e32 vcc, v17, v12
	global_store_dwordx2 v[10:11], v[8:9], off
                                        ; implicit-def: $vgpr10_vgpr11
	s_and_saveexec_b64 s[2:3], vcc
	s_xor_b64 s[2:3], exec, s[2:3]
; %bb.79:
	v_sub_u32_e32 v10, 0xfffffe7f, v0
	v_ashrrev_i32_e32 v11, 31, v10
	v_add_co_u32_e32 v10, vcc, v15, v10
	v_addc_co_u32_e32 v11, vcc, v16, v11, vcc
; %bb.80:
	s_andn2_saveexec_b64 s[2:3], s[2:3]
; %bb.81:
	v_add_co_u32_e32 v10, vcc, v1, v17
	v_addc_co_u32_e32 v11, vcc, 0, v13, vcc
; %bb.82:
	s_or_b64 exec, exec, s[2:3]
	v_lshlrev_b64 v[10:11], 3, v[10:11]
	v_mov_b32_e32 v19, s25
	v_add_co_u32_e32 v10, vcc, s24, v10
	v_addc_co_u32_e32 v11, vcc, v19, v11, vcc
	v_cmp_ge_u32_e32 vcc, v14, v12
	s_waitcnt lgkmcnt(0)
	global_store_dwordx2 v[10:11], v[2:3], off
                                        ; implicit-def: $vgpr10_vgpr11
	s_and_saveexec_b64 s[2:3], vcc
	s_xor_b64 s[2:3], exec, s[2:3]
; %bb.83:
	v_sub_u32_e32 v10, 0xfffffdbf, v0
	v_ashrrev_i32_e32 v11, 31, v10
	v_add_co_u32_e32 v10, vcc, v15, v10
	v_addc_co_u32_e32 v11, vcc, v16, v11, vcc
; %bb.84:
	s_andn2_saveexec_b64 s[2:3], s[2:3]
; %bb.85:
	v_add_co_u32_e32 v10, vcc, v1, v14
	v_addc_co_u32_e32 v11, vcc, 0, v13, vcc
; %bb.86:
	s_or_b64 exec, exec, s[2:3]
	s_mov_b64 s[2:3], -1
.LBB3572_87:
	s_and_saveexec_b64 s[4:5], s[2:3]
	s_cbranch_execz .LBB3572_100
.LBB3572_88:
	s_waitcnt lgkmcnt(0)
	v_lshlrev_b64 v[2:3], 3, v[10:11]
	v_mov_b32_e32 v0, s25
	v_add_co_u32_e32 v2, vcc, s24, v2
	v_addc_co_u32_e32 v3, vcc, v0, v3, vcc
	global_store_dwordx2 v[2:3], v[4:5], off
	s_or_b64 exec, exec, s[4:5]
	s_and_b64 s[0:1], s[0:1], s[22:23]
	s_and_saveexec_b64 s[2:3], s[0:1]
	s_cbranch_execnz .LBB3572_101
.LBB3572_89:
	s_endpgm
.LBB3572_90:
	s_mov_b64 s[2:3], 0
                                        ; implicit-def: $vgpr10_vgpr11
	s_cbranch_execz .LBB3572_87
; %bb.91:
	v_cmp_gt_u32_e32 vcc, s33, v0
	s_and_saveexec_b64 s[4:5], vcc
	s_cbranch_execz .LBB3572_102
; %bb.92:
	v_cmp_ge_u32_e32 vcc, v0, v12
                                        ; implicit-def: $vgpr10_vgpr11
	s_and_saveexec_b64 s[6:7], vcc
	s_xor_b64 s[6:7], exec, s[6:7]
; %bb.93:
	v_not_b32_e32 v10, v0
	v_ashrrev_i32_e32 v11, 31, v10
	v_add_co_u32_e32 v10, vcc, v15, v10
	v_addc_co_u32_e32 v11, vcc, v16, v11, vcc
; %bb.94:
	s_andn2_saveexec_b64 s[6:7], s[6:7]
; %bb.95:
	v_add_co_u32_e32 v10, vcc, v1, v0
	v_addc_co_u32_e32 v11, vcc, 0, v13, vcc
; %bb.96:
	s_or_b64 exec, exec, s[6:7]
	v_lshlrev_b64 v[10:11], 3, v[10:11]
	v_mov_b32_e32 v19, s25
	v_add_co_u32_e32 v10, vcc, s24, v10
	v_addc_co_u32_e32 v11, vcc, v19, v11, vcc
	s_waitcnt lgkmcnt(1)
	global_store_dwordx2 v[10:11], v[6:7], off
	s_or_b64 exec, exec, s[4:5]
	v_cmp_gt_u32_e32 vcc, s33, v18
	s_and_saveexec_b64 s[4:5], vcc
	s_cbranch_execnz .LBB3572_103
.LBB3572_97:
	s_or_b64 exec, exec, s[4:5]
	v_cmp_gt_u32_e32 vcc, s33, v17
	s_and_saveexec_b64 s[4:5], vcc
	s_cbranch_execnz .LBB3572_108
.LBB3572_98:
	s_or_b64 exec, exec, s[4:5]
	v_cmp_gt_u32_e32 vcc, s33, v14
                                        ; implicit-def: $vgpr10_vgpr11
	s_and_saveexec_b64 s[4:5], vcc
	s_cbranch_execnz .LBB3572_113
.LBB3572_99:
	s_or_b64 exec, exec, s[4:5]
	s_and_saveexec_b64 s[4:5], s[2:3]
	s_cbranch_execnz .LBB3572_88
.LBB3572_100:
	s_or_b64 exec, exec, s[4:5]
	s_and_b64 s[0:1], s[0:1], s[22:23]
	s_and_saveexec_b64 s[2:3], s[0:1]
	s_cbranch_execz .LBB3572_89
.LBB3572_101:
	v_add_co_u32_e32 v0, vcc, v1, v12
	s_waitcnt lgkmcnt(0)
	v_mov_b32_e32 v2, 0
	v_addc_co_u32_e32 v1, vcc, 0, v13, vcc
	global_store_dwordx2 v2, v[0:1], s[20:21]
	s_endpgm
.LBB3572_102:
	s_or_b64 exec, exec, s[4:5]
	v_cmp_gt_u32_e32 vcc, s33, v18
	s_and_saveexec_b64 s[4:5], vcc
	s_cbranch_execz .LBB3572_97
.LBB3572_103:
	v_cmp_ge_u32_e32 vcc, v18, v12
                                        ; implicit-def: $vgpr6_vgpr7
	s_and_saveexec_b64 s[6:7], vcc
	s_xor_b64 s[6:7], exec, s[6:7]
	s_cbranch_execz .LBB3572_105
; %bb.104:
	s_waitcnt lgkmcnt(1)
	v_sub_u32_e32 v6, 0xffffff3f, v0
	v_ashrrev_i32_e32 v7, 31, v6
	v_add_co_u32_e32 v6, vcc, v15, v6
	v_addc_co_u32_e32 v7, vcc, v16, v7, vcc
                                        ; implicit-def: $vgpr18
.LBB3572_105:
	s_andn2_saveexec_b64 s[6:7], s[6:7]
	s_cbranch_execz .LBB3572_107
; %bb.106:
	s_waitcnt lgkmcnt(1)
	v_add_co_u32_e32 v6, vcc, v1, v18
	v_addc_co_u32_e32 v7, vcc, 0, v13, vcc
.LBB3572_107:
	s_or_b64 exec, exec, s[6:7]
	s_waitcnt lgkmcnt(1)
	v_lshlrev_b64 v[6:7], 3, v[6:7]
	v_mov_b32_e32 v10, s25
	v_add_co_u32_e32 v6, vcc, s24, v6
	v_addc_co_u32_e32 v7, vcc, v10, v7, vcc
	global_store_dwordx2 v[6:7], v[8:9], off
	s_or_b64 exec, exec, s[4:5]
	v_cmp_gt_u32_e32 vcc, s33, v17
	s_and_saveexec_b64 s[4:5], vcc
	s_cbranch_execz .LBB3572_98
.LBB3572_108:
	v_cmp_ge_u32_e32 vcc, v17, v12
                                        ; implicit-def: $vgpr6_vgpr7
	s_and_saveexec_b64 s[6:7], vcc
	s_xor_b64 s[6:7], exec, s[6:7]
	s_cbranch_execz .LBB3572_110
; %bb.109:
	s_waitcnt lgkmcnt(1)
	v_sub_u32_e32 v6, 0xfffffe7f, v0
	v_ashrrev_i32_e32 v7, 31, v6
	v_add_co_u32_e32 v6, vcc, v15, v6
	v_addc_co_u32_e32 v7, vcc, v16, v7, vcc
                                        ; implicit-def: $vgpr17
.LBB3572_110:
	s_andn2_saveexec_b64 s[6:7], s[6:7]
	s_cbranch_execz .LBB3572_112
; %bb.111:
	s_waitcnt lgkmcnt(1)
	v_add_co_u32_e32 v6, vcc, v1, v17
	v_addc_co_u32_e32 v7, vcc, 0, v13, vcc
.LBB3572_112:
	s_or_b64 exec, exec, s[6:7]
	s_waitcnt lgkmcnt(1)
	v_lshlrev_b64 v[6:7], 3, v[6:7]
	v_mov_b32_e32 v8, s25
	v_add_co_u32_e32 v6, vcc, s24, v6
	v_addc_co_u32_e32 v7, vcc, v8, v7, vcc
	s_waitcnt lgkmcnt(0)
	global_store_dwordx2 v[6:7], v[2:3], off
	s_or_b64 exec, exec, s[4:5]
	v_cmp_gt_u32_e32 vcc, s33, v14
                                        ; implicit-def: $vgpr10_vgpr11
	s_and_saveexec_b64 s[4:5], vcc
	s_cbranch_execz .LBB3572_99
.LBB3572_113:
	v_cmp_ge_u32_e32 vcc, v14, v12
                                        ; implicit-def: $vgpr10_vgpr11
	s_and_saveexec_b64 s[6:7], vcc
	s_xor_b64 s[6:7], exec, s[6:7]
	s_cbranch_execz .LBB3572_115
; %bb.114:
	v_sub_u32_e32 v0, 0xfffffdbf, v0
	s_waitcnt lgkmcnt(0)
	v_ashrrev_i32_e32 v2, 31, v0
	v_add_co_u32_e32 v10, vcc, v15, v0
	v_addc_co_u32_e32 v11, vcc, v16, v2, vcc
                                        ; implicit-def: $vgpr14
.LBB3572_115:
	s_andn2_saveexec_b64 s[6:7], s[6:7]
; %bb.116:
	v_add_co_u32_e32 v10, vcc, v1, v14
	v_addc_co_u32_e32 v11, vcc, 0, v13, vcc
; %bb.117:
	s_or_b64 exec, exec, s[6:7]
	s_or_b64 s[2:3], s[2:3], exec
	s_or_b64 exec, exec, s[4:5]
	s_and_saveexec_b64 s[4:5], s[2:3]
	s_cbranch_execnz .LBB3572_88
	s_branch .LBB3572_100
	.section	.rodata,"a",@progbits
	.p2align	6, 0x0
	.amdhsa_kernel _ZN7rocprim17ROCPRIM_400000_NS6detail17trampoline_kernelINS0_14default_configENS1_25partition_config_selectorILNS1_17partition_subalgoE2ExNS0_10empty_typeEbEEZZNS1_14partition_implILS5_2ELb0ES3_jN6thrust23THRUST_200600_302600_NS6detail15normal_iteratorINSA_7pointerIxNSA_11hip_rocprim3tagENSA_11use_defaultESG_EEEEPS6_NSA_18transform_iteratorI10is_orderedNSA_12zip_iteratorINSA_5tupleINSC_INSA_10device_ptrIxEEEESQ_NSA_9null_typeESR_SR_SR_SR_SR_SR_SR_EEEESG_SG_EENS0_5tupleIJPxSJ_EEENSV_IJSJ_SJ_EEES6_PlJS6_EEE10hipError_tPvRmT3_T4_T5_T6_T7_T9_mT8_P12ihipStream_tbDpT10_ENKUlT_T0_E_clISt17integral_constantIbLb1EES1J_EEDaS1E_S1F_EUlS1E_E_NS1_11comp_targetILNS1_3genE4ELNS1_11target_archE910ELNS1_3gpuE8ELNS1_3repE0EEENS1_30default_config_static_selectorELNS0_4arch9wavefront6targetE1EEEvT1_
		.amdhsa_group_segment_fixed_size 6344
		.amdhsa_private_segment_fixed_size 0
		.amdhsa_kernarg_size 152
		.amdhsa_user_sgpr_count 6
		.amdhsa_user_sgpr_private_segment_buffer 1
		.amdhsa_user_sgpr_dispatch_ptr 0
		.amdhsa_user_sgpr_queue_ptr 0
		.amdhsa_user_sgpr_kernarg_segment_ptr 1
		.amdhsa_user_sgpr_dispatch_id 0
		.amdhsa_user_sgpr_flat_scratch_init 0
		.amdhsa_user_sgpr_kernarg_preload_length 0
		.amdhsa_user_sgpr_kernarg_preload_offset 0
		.amdhsa_user_sgpr_private_segment_size 0
		.amdhsa_uses_dynamic_stack 0
		.amdhsa_system_sgpr_private_segment_wavefront_offset 0
		.amdhsa_system_sgpr_workgroup_id_x 1
		.amdhsa_system_sgpr_workgroup_id_y 0
		.amdhsa_system_sgpr_workgroup_id_z 0
		.amdhsa_system_sgpr_workgroup_info 0
		.amdhsa_system_vgpr_workitem_id 0
		.amdhsa_next_free_vgpr 45
		.amdhsa_next_free_sgpr 46
		.amdhsa_accum_offset 48
		.amdhsa_reserve_vcc 1
		.amdhsa_reserve_flat_scratch 0
		.amdhsa_float_round_mode_32 0
		.amdhsa_float_round_mode_16_64 0
		.amdhsa_float_denorm_mode_32 3
		.amdhsa_float_denorm_mode_16_64 3
		.amdhsa_dx10_clamp 1
		.amdhsa_ieee_mode 1
		.amdhsa_fp16_overflow 0
		.amdhsa_tg_split 0
		.amdhsa_exception_fp_ieee_invalid_op 0
		.amdhsa_exception_fp_denorm_src 0
		.amdhsa_exception_fp_ieee_div_zero 0
		.amdhsa_exception_fp_ieee_overflow 0
		.amdhsa_exception_fp_ieee_underflow 0
		.amdhsa_exception_fp_ieee_inexact 0
		.amdhsa_exception_int_div_zero 0
	.end_amdhsa_kernel
	.section	.text._ZN7rocprim17ROCPRIM_400000_NS6detail17trampoline_kernelINS0_14default_configENS1_25partition_config_selectorILNS1_17partition_subalgoE2ExNS0_10empty_typeEbEEZZNS1_14partition_implILS5_2ELb0ES3_jN6thrust23THRUST_200600_302600_NS6detail15normal_iteratorINSA_7pointerIxNSA_11hip_rocprim3tagENSA_11use_defaultESG_EEEEPS6_NSA_18transform_iteratorI10is_orderedNSA_12zip_iteratorINSA_5tupleINSC_INSA_10device_ptrIxEEEESQ_NSA_9null_typeESR_SR_SR_SR_SR_SR_SR_EEEESG_SG_EENS0_5tupleIJPxSJ_EEENSV_IJSJ_SJ_EEES6_PlJS6_EEE10hipError_tPvRmT3_T4_T5_T6_T7_T9_mT8_P12ihipStream_tbDpT10_ENKUlT_T0_E_clISt17integral_constantIbLb1EES1J_EEDaS1E_S1F_EUlS1E_E_NS1_11comp_targetILNS1_3genE4ELNS1_11target_archE910ELNS1_3gpuE8ELNS1_3repE0EEENS1_30default_config_static_selectorELNS0_4arch9wavefront6targetE1EEEvT1_,"axG",@progbits,_ZN7rocprim17ROCPRIM_400000_NS6detail17trampoline_kernelINS0_14default_configENS1_25partition_config_selectorILNS1_17partition_subalgoE2ExNS0_10empty_typeEbEEZZNS1_14partition_implILS5_2ELb0ES3_jN6thrust23THRUST_200600_302600_NS6detail15normal_iteratorINSA_7pointerIxNSA_11hip_rocprim3tagENSA_11use_defaultESG_EEEEPS6_NSA_18transform_iteratorI10is_orderedNSA_12zip_iteratorINSA_5tupleINSC_INSA_10device_ptrIxEEEESQ_NSA_9null_typeESR_SR_SR_SR_SR_SR_SR_EEEESG_SG_EENS0_5tupleIJPxSJ_EEENSV_IJSJ_SJ_EEES6_PlJS6_EEE10hipError_tPvRmT3_T4_T5_T6_T7_T9_mT8_P12ihipStream_tbDpT10_ENKUlT_T0_E_clISt17integral_constantIbLb1EES1J_EEDaS1E_S1F_EUlS1E_E_NS1_11comp_targetILNS1_3genE4ELNS1_11target_archE910ELNS1_3gpuE8ELNS1_3repE0EEENS1_30default_config_static_selectorELNS0_4arch9wavefront6targetE1EEEvT1_,comdat
.Lfunc_end3572:
	.size	_ZN7rocprim17ROCPRIM_400000_NS6detail17trampoline_kernelINS0_14default_configENS1_25partition_config_selectorILNS1_17partition_subalgoE2ExNS0_10empty_typeEbEEZZNS1_14partition_implILS5_2ELb0ES3_jN6thrust23THRUST_200600_302600_NS6detail15normal_iteratorINSA_7pointerIxNSA_11hip_rocprim3tagENSA_11use_defaultESG_EEEEPS6_NSA_18transform_iteratorI10is_orderedNSA_12zip_iteratorINSA_5tupleINSC_INSA_10device_ptrIxEEEESQ_NSA_9null_typeESR_SR_SR_SR_SR_SR_SR_EEEESG_SG_EENS0_5tupleIJPxSJ_EEENSV_IJSJ_SJ_EEES6_PlJS6_EEE10hipError_tPvRmT3_T4_T5_T6_T7_T9_mT8_P12ihipStream_tbDpT10_ENKUlT_T0_E_clISt17integral_constantIbLb1EES1J_EEDaS1E_S1F_EUlS1E_E_NS1_11comp_targetILNS1_3genE4ELNS1_11target_archE910ELNS1_3gpuE8ELNS1_3repE0EEENS1_30default_config_static_selectorELNS0_4arch9wavefront6targetE1EEEvT1_, .Lfunc_end3572-_ZN7rocprim17ROCPRIM_400000_NS6detail17trampoline_kernelINS0_14default_configENS1_25partition_config_selectorILNS1_17partition_subalgoE2ExNS0_10empty_typeEbEEZZNS1_14partition_implILS5_2ELb0ES3_jN6thrust23THRUST_200600_302600_NS6detail15normal_iteratorINSA_7pointerIxNSA_11hip_rocprim3tagENSA_11use_defaultESG_EEEEPS6_NSA_18transform_iteratorI10is_orderedNSA_12zip_iteratorINSA_5tupleINSC_INSA_10device_ptrIxEEEESQ_NSA_9null_typeESR_SR_SR_SR_SR_SR_SR_EEEESG_SG_EENS0_5tupleIJPxSJ_EEENSV_IJSJ_SJ_EEES6_PlJS6_EEE10hipError_tPvRmT3_T4_T5_T6_T7_T9_mT8_P12ihipStream_tbDpT10_ENKUlT_T0_E_clISt17integral_constantIbLb1EES1J_EEDaS1E_S1F_EUlS1E_E_NS1_11comp_targetILNS1_3genE4ELNS1_11target_archE910ELNS1_3gpuE8ELNS1_3repE0EEENS1_30default_config_static_selectorELNS0_4arch9wavefront6targetE1EEEvT1_
                                        ; -- End function
	.section	.AMDGPU.csdata,"",@progbits
; Kernel info:
; codeLenInByte = 4696
; NumSgprs: 50
; NumVgprs: 45
; NumAgprs: 0
; TotalNumVgprs: 45
; ScratchSize: 0
; MemoryBound: 0
; FloatMode: 240
; IeeeMode: 1
; LDSByteSize: 6344 bytes/workgroup (compile time only)
; SGPRBlocks: 6
; VGPRBlocks: 5
; NumSGPRsForWavesPerEU: 50
; NumVGPRsForWavesPerEU: 45
; AccumOffset: 48
; Occupancy: 8
; WaveLimiterHint : 1
; COMPUTE_PGM_RSRC2:SCRATCH_EN: 0
; COMPUTE_PGM_RSRC2:USER_SGPR: 6
; COMPUTE_PGM_RSRC2:TRAP_HANDLER: 0
; COMPUTE_PGM_RSRC2:TGID_X_EN: 1
; COMPUTE_PGM_RSRC2:TGID_Y_EN: 0
; COMPUTE_PGM_RSRC2:TGID_Z_EN: 0
; COMPUTE_PGM_RSRC2:TIDIG_COMP_CNT: 0
; COMPUTE_PGM_RSRC3_GFX90A:ACCUM_OFFSET: 11
; COMPUTE_PGM_RSRC3_GFX90A:TG_SPLIT: 0
	.section	.text._ZN7rocprim17ROCPRIM_400000_NS6detail17trampoline_kernelINS0_14default_configENS1_25partition_config_selectorILNS1_17partition_subalgoE2ExNS0_10empty_typeEbEEZZNS1_14partition_implILS5_2ELb0ES3_jN6thrust23THRUST_200600_302600_NS6detail15normal_iteratorINSA_7pointerIxNSA_11hip_rocprim3tagENSA_11use_defaultESG_EEEEPS6_NSA_18transform_iteratorI10is_orderedNSA_12zip_iteratorINSA_5tupleINSC_INSA_10device_ptrIxEEEESQ_NSA_9null_typeESR_SR_SR_SR_SR_SR_SR_EEEESG_SG_EENS0_5tupleIJPxSJ_EEENSV_IJSJ_SJ_EEES6_PlJS6_EEE10hipError_tPvRmT3_T4_T5_T6_T7_T9_mT8_P12ihipStream_tbDpT10_ENKUlT_T0_E_clISt17integral_constantIbLb1EES1J_EEDaS1E_S1F_EUlS1E_E_NS1_11comp_targetILNS1_3genE3ELNS1_11target_archE908ELNS1_3gpuE7ELNS1_3repE0EEENS1_30default_config_static_selectorELNS0_4arch9wavefront6targetE1EEEvT1_,"axG",@progbits,_ZN7rocprim17ROCPRIM_400000_NS6detail17trampoline_kernelINS0_14default_configENS1_25partition_config_selectorILNS1_17partition_subalgoE2ExNS0_10empty_typeEbEEZZNS1_14partition_implILS5_2ELb0ES3_jN6thrust23THRUST_200600_302600_NS6detail15normal_iteratorINSA_7pointerIxNSA_11hip_rocprim3tagENSA_11use_defaultESG_EEEEPS6_NSA_18transform_iteratorI10is_orderedNSA_12zip_iteratorINSA_5tupleINSC_INSA_10device_ptrIxEEEESQ_NSA_9null_typeESR_SR_SR_SR_SR_SR_SR_EEEESG_SG_EENS0_5tupleIJPxSJ_EEENSV_IJSJ_SJ_EEES6_PlJS6_EEE10hipError_tPvRmT3_T4_T5_T6_T7_T9_mT8_P12ihipStream_tbDpT10_ENKUlT_T0_E_clISt17integral_constantIbLb1EES1J_EEDaS1E_S1F_EUlS1E_E_NS1_11comp_targetILNS1_3genE3ELNS1_11target_archE908ELNS1_3gpuE7ELNS1_3repE0EEENS1_30default_config_static_selectorELNS0_4arch9wavefront6targetE1EEEvT1_,comdat
	.protected	_ZN7rocprim17ROCPRIM_400000_NS6detail17trampoline_kernelINS0_14default_configENS1_25partition_config_selectorILNS1_17partition_subalgoE2ExNS0_10empty_typeEbEEZZNS1_14partition_implILS5_2ELb0ES3_jN6thrust23THRUST_200600_302600_NS6detail15normal_iteratorINSA_7pointerIxNSA_11hip_rocprim3tagENSA_11use_defaultESG_EEEEPS6_NSA_18transform_iteratorI10is_orderedNSA_12zip_iteratorINSA_5tupleINSC_INSA_10device_ptrIxEEEESQ_NSA_9null_typeESR_SR_SR_SR_SR_SR_SR_EEEESG_SG_EENS0_5tupleIJPxSJ_EEENSV_IJSJ_SJ_EEES6_PlJS6_EEE10hipError_tPvRmT3_T4_T5_T6_T7_T9_mT8_P12ihipStream_tbDpT10_ENKUlT_T0_E_clISt17integral_constantIbLb1EES1J_EEDaS1E_S1F_EUlS1E_E_NS1_11comp_targetILNS1_3genE3ELNS1_11target_archE908ELNS1_3gpuE7ELNS1_3repE0EEENS1_30default_config_static_selectorELNS0_4arch9wavefront6targetE1EEEvT1_ ; -- Begin function _ZN7rocprim17ROCPRIM_400000_NS6detail17trampoline_kernelINS0_14default_configENS1_25partition_config_selectorILNS1_17partition_subalgoE2ExNS0_10empty_typeEbEEZZNS1_14partition_implILS5_2ELb0ES3_jN6thrust23THRUST_200600_302600_NS6detail15normal_iteratorINSA_7pointerIxNSA_11hip_rocprim3tagENSA_11use_defaultESG_EEEEPS6_NSA_18transform_iteratorI10is_orderedNSA_12zip_iteratorINSA_5tupleINSC_INSA_10device_ptrIxEEEESQ_NSA_9null_typeESR_SR_SR_SR_SR_SR_SR_EEEESG_SG_EENS0_5tupleIJPxSJ_EEENSV_IJSJ_SJ_EEES6_PlJS6_EEE10hipError_tPvRmT3_T4_T5_T6_T7_T9_mT8_P12ihipStream_tbDpT10_ENKUlT_T0_E_clISt17integral_constantIbLb1EES1J_EEDaS1E_S1F_EUlS1E_E_NS1_11comp_targetILNS1_3genE3ELNS1_11target_archE908ELNS1_3gpuE7ELNS1_3repE0EEENS1_30default_config_static_selectorELNS0_4arch9wavefront6targetE1EEEvT1_
	.globl	_ZN7rocprim17ROCPRIM_400000_NS6detail17trampoline_kernelINS0_14default_configENS1_25partition_config_selectorILNS1_17partition_subalgoE2ExNS0_10empty_typeEbEEZZNS1_14partition_implILS5_2ELb0ES3_jN6thrust23THRUST_200600_302600_NS6detail15normal_iteratorINSA_7pointerIxNSA_11hip_rocprim3tagENSA_11use_defaultESG_EEEEPS6_NSA_18transform_iteratorI10is_orderedNSA_12zip_iteratorINSA_5tupleINSC_INSA_10device_ptrIxEEEESQ_NSA_9null_typeESR_SR_SR_SR_SR_SR_SR_EEEESG_SG_EENS0_5tupleIJPxSJ_EEENSV_IJSJ_SJ_EEES6_PlJS6_EEE10hipError_tPvRmT3_T4_T5_T6_T7_T9_mT8_P12ihipStream_tbDpT10_ENKUlT_T0_E_clISt17integral_constantIbLb1EES1J_EEDaS1E_S1F_EUlS1E_E_NS1_11comp_targetILNS1_3genE3ELNS1_11target_archE908ELNS1_3gpuE7ELNS1_3repE0EEENS1_30default_config_static_selectorELNS0_4arch9wavefront6targetE1EEEvT1_
	.p2align	8
	.type	_ZN7rocprim17ROCPRIM_400000_NS6detail17trampoline_kernelINS0_14default_configENS1_25partition_config_selectorILNS1_17partition_subalgoE2ExNS0_10empty_typeEbEEZZNS1_14partition_implILS5_2ELb0ES3_jN6thrust23THRUST_200600_302600_NS6detail15normal_iteratorINSA_7pointerIxNSA_11hip_rocprim3tagENSA_11use_defaultESG_EEEEPS6_NSA_18transform_iteratorI10is_orderedNSA_12zip_iteratorINSA_5tupleINSC_INSA_10device_ptrIxEEEESQ_NSA_9null_typeESR_SR_SR_SR_SR_SR_SR_EEEESG_SG_EENS0_5tupleIJPxSJ_EEENSV_IJSJ_SJ_EEES6_PlJS6_EEE10hipError_tPvRmT3_T4_T5_T6_T7_T9_mT8_P12ihipStream_tbDpT10_ENKUlT_T0_E_clISt17integral_constantIbLb1EES1J_EEDaS1E_S1F_EUlS1E_E_NS1_11comp_targetILNS1_3genE3ELNS1_11target_archE908ELNS1_3gpuE7ELNS1_3repE0EEENS1_30default_config_static_selectorELNS0_4arch9wavefront6targetE1EEEvT1_,@function
_ZN7rocprim17ROCPRIM_400000_NS6detail17trampoline_kernelINS0_14default_configENS1_25partition_config_selectorILNS1_17partition_subalgoE2ExNS0_10empty_typeEbEEZZNS1_14partition_implILS5_2ELb0ES3_jN6thrust23THRUST_200600_302600_NS6detail15normal_iteratorINSA_7pointerIxNSA_11hip_rocprim3tagENSA_11use_defaultESG_EEEEPS6_NSA_18transform_iteratorI10is_orderedNSA_12zip_iteratorINSA_5tupleINSC_INSA_10device_ptrIxEEEESQ_NSA_9null_typeESR_SR_SR_SR_SR_SR_SR_EEEESG_SG_EENS0_5tupleIJPxSJ_EEENSV_IJSJ_SJ_EEES6_PlJS6_EEE10hipError_tPvRmT3_T4_T5_T6_T7_T9_mT8_P12ihipStream_tbDpT10_ENKUlT_T0_E_clISt17integral_constantIbLb1EES1J_EEDaS1E_S1F_EUlS1E_E_NS1_11comp_targetILNS1_3genE3ELNS1_11target_archE908ELNS1_3gpuE7ELNS1_3repE0EEENS1_30default_config_static_selectorELNS0_4arch9wavefront6targetE1EEEvT1_: ; @_ZN7rocprim17ROCPRIM_400000_NS6detail17trampoline_kernelINS0_14default_configENS1_25partition_config_selectorILNS1_17partition_subalgoE2ExNS0_10empty_typeEbEEZZNS1_14partition_implILS5_2ELb0ES3_jN6thrust23THRUST_200600_302600_NS6detail15normal_iteratorINSA_7pointerIxNSA_11hip_rocprim3tagENSA_11use_defaultESG_EEEEPS6_NSA_18transform_iteratorI10is_orderedNSA_12zip_iteratorINSA_5tupleINSC_INSA_10device_ptrIxEEEESQ_NSA_9null_typeESR_SR_SR_SR_SR_SR_SR_EEEESG_SG_EENS0_5tupleIJPxSJ_EEENSV_IJSJ_SJ_EEES6_PlJS6_EEE10hipError_tPvRmT3_T4_T5_T6_T7_T9_mT8_P12ihipStream_tbDpT10_ENKUlT_T0_E_clISt17integral_constantIbLb1EES1J_EEDaS1E_S1F_EUlS1E_E_NS1_11comp_targetILNS1_3genE3ELNS1_11target_archE908ELNS1_3gpuE7ELNS1_3repE0EEENS1_30default_config_static_selectorELNS0_4arch9wavefront6targetE1EEEvT1_
; %bb.0:
	.section	.rodata,"a",@progbits
	.p2align	6, 0x0
	.amdhsa_kernel _ZN7rocprim17ROCPRIM_400000_NS6detail17trampoline_kernelINS0_14default_configENS1_25partition_config_selectorILNS1_17partition_subalgoE2ExNS0_10empty_typeEbEEZZNS1_14partition_implILS5_2ELb0ES3_jN6thrust23THRUST_200600_302600_NS6detail15normal_iteratorINSA_7pointerIxNSA_11hip_rocprim3tagENSA_11use_defaultESG_EEEEPS6_NSA_18transform_iteratorI10is_orderedNSA_12zip_iteratorINSA_5tupleINSC_INSA_10device_ptrIxEEEESQ_NSA_9null_typeESR_SR_SR_SR_SR_SR_SR_EEEESG_SG_EENS0_5tupleIJPxSJ_EEENSV_IJSJ_SJ_EEES6_PlJS6_EEE10hipError_tPvRmT3_T4_T5_T6_T7_T9_mT8_P12ihipStream_tbDpT10_ENKUlT_T0_E_clISt17integral_constantIbLb1EES1J_EEDaS1E_S1F_EUlS1E_E_NS1_11comp_targetILNS1_3genE3ELNS1_11target_archE908ELNS1_3gpuE7ELNS1_3repE0EEENS1_30default_config_static_selectorELNS0_4arch9wavefront6targetE1EEEvT1_
		.amdhsa_group_segment_fixed_size 0
		.amdhsa_private_segment_fixed_size 0
		.amdhsa_kernarg_size 152
		.amdhsa_user_sgpr_count 6
		.amdhsa_user_sgpr_private_segment_buffer 1
		.amdhsa_user_sgpr_dispatch_ptr 0
		.amdhsa_user_sgpr_queue_ptr 0
		.amdhsa_user_sgpr_kernarg_segment_ptr 1
		.amdhsa_user_sgpr_dispatch_id 0
		.amdhsa_user_sgpr_flat_scratch_init 0
		.amdhsa_user_sgpr_kernarg_preload_length 0
		.amdhsa_user_sgpr_kernarg_preload_offset 0
		.amdhsa_user_sgpr_private_segment_size 0
		.amdhsa_uses_dynamic_stack 0
		.amdhsa_system_sgpr_private_segment_wavefront_offset 0
		.amdhsa_system_sgpr_workgroup_id_x 1
		.amdhsa_system_sgpr_workgroup_id_y 0
		.amdhsa_system_sgpr_workgroup_id_z 0
		.amdhsa_system_sgpr_workgroup_info 0
		.amdhsa_system_vgpr_workitem_id 0
		.amdhsa_next_free_vgpr 1
		.amdhsa_next_free_sgpr 0
		.amdhsa_accum_offset 4
		.amdhsa_reserve_vcc 0
		.amdhsa_reserve_flat_scratch 0
		.amdhsa_float_round_mode_32 0
		.amdhsa_float_round_mode_16_64 0
		.amdhsa_float_denorm_mode_32 3
		.amdhsa_float_denorm_mode_16_64 3
		.amdhsa_dx10_clamp 1
		.amdhsa_ieee_mode 1
		.amdhsa_fp16_overflow 0
		.amdhsa_tg_split 0
		.amdhsa_exception_fp_ieee_invalid_op 0
		.amdhsa_exception_fp_denorm_src 0
		.amdhsa_exception_fp_ieee_div_zero 0
		.amdhsa_exception_fp_ieee_overflow 0
		.amdhsa_exception_fp_ieee_underflow 0
		.amdhsa_exception_fp_ieee_inexact 0
		.amdhsa_exception_int_div_zero 0
	.end_amdhsa_kernel
	.section	.text._ZN7rocprim17ROCPRIM_400000_NS6detail17trampoline_kernelINS0_14default_configENS1_25partition_config_selectorILNS1_17partition_subalgoE2ExNS0_10empty_typeEbEEZZNS1_14partition_implILS5_2ELb0ES3_jN6thrust23THRUST_200600_302600_NS6detail15normal_iteratorINSA_7pointerIxNSA_11hip_rocprim3tagENSA_11use_defaultESG_EEEEPS6_NSA_18transform_iteratorI10is_orderedNSA_12zip_iteratorINSA_5tupleINSC_INSA_10device_ptrIxEEEESQ_NSA_9null_typeESR_SR_SR_SR_SR_SR_SR_EEEESG_SG_EENS0_5tupleIJPxSJ_EEENSV_IJSJ_SJ_EEES6_PlJS6_EEE10hipError_tPvRmT3_T4_T5_T6_T7_T9_mT8_P12ihipStream_tbDpT10_ENKUlT_T0_E_clISt17integral_constantIbLb1EES1J_EEDaS1E_S1F_EUlS1E_E_NS1_11comp_targetILNS1_3genE3ELNS1_11target_archE908ELNS1_3gpuE7ELNS1_3repE0EEENS1_30default_config_static_selectorELNS0_4arch9wavefront6targetE1EEEvT1_,"axG",@progbits,_ZN7rocprim17ROCPRIM_400000_NS6detail17trampoline_kernelINS0_14default_configENS1_25partition_config_selectorILNS1_17partition_subalgoE2ExNS0_10empty_typeEbEEZZNS1_14partition_implILS5_2ELb0ES3_jN6thrust23THRUST_200600_302600_NS6detail15normal_iteratorINSA_7pointerIxNSA_11hip_rocprim3tagENSA_11use_defaultESG_EEEEPS6_NSA_18transform_iteratorI10is_orderedNSA_12zip_iteratorINSA_5tupleINSC_INSA_10device_ptrIxEEEESQ_NSA_9null_typeESR_SR_SR_SR_SR_SR_SR_EEEESG_SG_EENS0_5tupleIJPxSJ_EEENSV_IJSJ_SJ_EEES6_PlJS6_EEE10hipError_tPvRmT3_T4_T5_T6_T7_T9_mT8_P12ihipStream_tbDpT10_ENKUlT_T0_E_clISt17integral_constantIbLb1EES1J_EEDaS1E_S1F_EUlS1E_E_NS1_11comp_targetILNS1_3genE3ELNS1_11target_archE908ELNS1_3gpuE7ELNS1_3repE0EEENS1_30default_config_static_selectorELNS0_4arch9wavefront6targetE1EEEvT1_,comdat
.Lfunc_end3573:
	.size	_ZN7rocprim17ROCPRIM_400000_NS6detail17trampoline_kernelINS0_14default_configENS1_25partition_config_selectorILNS1_17partition_subalgoE2ExNS0_10empty_typeEbEEZZNS1_14partition_implILS5_2ELb0ES3_jN6thrust23THRUST_200600_302600_NS6detail15normal_iteratorINSA_7pointerIxNSA_11hip_rocprim3tagENSA_11use_defaultESG_EEEEPS6_NSA_18transform_iteratorI10is_orderedNSA_12zip_iteratorINSA_5tupleINSC_INSA_10device_ptrIxEEEESQ_NSA_9null_typeESR_SR_SR_SR_SR_SR_SR_EEEESG_SG_EENS0_5tupleIJPxSJ_EEENSV_IJSJ_SJ_EEES6_PlJS6_EEE10hipError_tPvRmT3_T4_T5_T6_T7_T9_mT8_P12ihipStream_tbDpT10_ENKUlT_T0_E_clISt17integral_constantIbLb1EES1J_EEDaS1E_S1F_EUlS1E_E_NS1_11comp_targetILNS1_3genE3ELNS1_11target_archE908ELNS1_3gpuE7ELNS1_3repE0EEENS1_30default_config_static_selectorELNS0_4arch9wavefront6targetE1EEEvT1_, .Lfunc_end3573-_ZN7rocprim17ROCPRIM_400000_NS6detail17trampoline_kernelINS0_14default_configENS1_25partition_config_selectorILNS1_17partition_subalgoE2ExNS0_10empty_typeEbEEZZNS1_14partition_implILS5_2ELb0ES3_jN6thrust23THRUST_200600_302600_NS6detail15normal_iteratorINSA_7pointerIxNSA_11hip_rocprim3tagENSA_11use_defaultESG_EEEEPS6_NSA_18transform_iteratorI10is_orderedNSA_12zip_iteratorINSA_5tupleINSC_INSA_10device_ptrIxEEEESQ_NSA_9null_typeESR_SR_SR_SR_SR_SR_SR_EEEESG_SG_EENS0_5tupleIJPxSJ_EEENSV_IJSJ_SJ_EEES6_PlJS6_EEE10hipError_tPvRmT3_T4_T5_T6_T7_T9_mT8_P12ihipStream_tbDpT10_ENKUlT_T0_E_clISt17integral_constantIbLb1EES1J_EEDaS1E_S1F_EUlS1E_E_NS1_11comp_targetILNS1_3genE3ELNS1_11target_archE908ELNS1_3gpuE7ELNS1_3repE0EEENS1_30default_config_static_selectorELNS0_4arch9wavefront6targetE1EEEvT1_
                                        ; -- End function
	.section	.AMDGPU.csdata,"",@progbits
; Kernel info:
; codeLenInByte = 0
; NumSgprs: 4
; NumVgprs: 0
; NumAgprs: 0
; TotalNumVgprs: 0
; ScratchSize: 0
; MemoryBound: 0
; FloatMode: 240
; IeeeMode: 1
; LDSByteSize: 0 bytes/workgroup (compile time only)
; SGPRBlocks: 0
; VGPRBlocks: 0
; NumSGPRsForWavesPerEU: 4
; NumVGPRsForWavesPerEU: 1
; AccumOffset: 4
; Occupancy: 8
; WaveLimiterHint : 0
; COMPUTE_PGM_RSRC2:SCRATCH_EN: 0
; COMPUTE_PGM_RSRC2:USER_SGPR: 6
; COMPUTE_PGM_RSRC2:TRAP_HANDLER: 0
; COMPUTE_PGM_RSRC2:TGID_X_EN: 1
; COMPUTE_PGM_RSRC2:TGID_Y_EN: 0
; COMPUTE_PGM_RSRC2:TGID_Z_EN: 0
; COMPUTE_PGM_RSRC2:TIDIG_COMP_CNT: 0
; COMPUTE_PGM_RSRC3_GFX90A:ACCUM_OFFSET: 0
; COMPUTE_PGM_RSRC3_GFX90A:TG_SPLIT: 0
	.section	.text._ZN7rocprim17ROCPRIM_400000_NS6detail17trampoline_kernelINS0_14default_configENS1_25partition_config_selectorILNS1_17partition_subalgoE2ExNS0_10empty_typeEbEEZZNS1_14partition_implILS5_2ELb0ES3_jN6thrust23THRUST_200600_302600_NS6detail15normal_iteratorINSA_7pointerIxNSA_11hip_rocprim3tagENSA_11use_defaultESG_EEEEPS6_NSA_18transform_iteratorI10is_orderedNSA_12zip_iteratorINSA_5tupleINSC_INSA_10device_ptrIxEEEESQ_NSA_9null_typeESR_SR_SR_SR_SR_SR_SR_EEEESG_SG_EENS0_5tupleIJPxSJ_EEENSV_IJSJ_SJ_EEES6_PlJS6_EEE10hipError_tPvRmT3_T4_T5_T6_T7_T9_mT8_P12ihipStream_tbDpT10_ENKUlT_T0_E_clISt17integral_constantIbLb1EES1J_EEDaS1E_S1F_EUlS1E_E_NS1_11comp_targetILNS1_3genE2ELNS1_11target_archE906ELNS1_3gpuE6ELNS1_3repE0EEENS1_30default_config_static_selectorELNS0_4arch9wavefront6targetE1EEEvT1_,"axG",@progbits,_ZN7rocprim17ROCPRIM_400000_NS6detail17trampoline_kernelINS0_14default_configENS1_25partition_config_selectorILNS1_17partition_subalgoE2ExNS0_10empty_typeEbEEZZNS1_14partition_implILS5_2ELb0ES3_jN6thrust23THRUST_200600_302600_NS6detail15normal_iteratorINSA_7pointerIxNSA_11hip_rocprim3tagENSA_11use_defaultESG_EEEEPS6_NSA_18transform_iteratorI10is_orderedNSA_12zip_iteratorINSA_5tupleINSC_INSA_10device_ptrIxEEEESQ_NSA_9null_typeESR_SR_SR_SR_SR_SR_SR_EEEESG_SG_EENS0_5tupleIJPxSJ_EEENSV_IJSJ_SJ_EEES6_PlJS6_EEE10hipError_tPvRmT3_T4_T5_T6_T7_T9_mT8_P12ihipStream_tbDpT10_ENKUlT_T0_E_clISt17integral_constantIbLb1EES1J_EEDaS1E_S1F_EUlS1E_E_NS1_11comp_targetILNS1_3genE2ELNS1_11target_archE906ELNS1_3gpuE6ELNS1_3repE0EEENS1_30default_config_static_selectorELNS0_4arch9wavefront6targetE1EEEvT1_,comdat
	.protected	_ZN7rocprim17ROCPRIM_400000_NS6detail17trampoline_kernelINS0_14default_configENS1_25partition_config_selectorILNS1_17partition_subalgoE2ExNS0_10empty_typeEbEEZZNS1_14partition_implILS5_2ELb0ES3_jN6thrust23THRUST_200600_302600_NS6detail15normal_iteratorINSA_7pointerIxNSA_11hip_rocprim3tagENSA_11use_defaultESG_EEEEPS6_NSA_18transform_iteratorI10is_orderedNSA_12zip_iteratorINSA_5tupleINSC_INSA_10device_ptrIxEEEESQ_NSA_9null_typeESR_SR_SR_SR_SR_SR_SR_EEEESG_SG_EENS0_5tupleIJPxSJ_EEENSV_IJSJ_SJ_EEES6_PlJS6_EEE10hipError_tPvRmT3_T4_T5_T6_T7_T9_mT8_P12ihipStream_tbDpT10_ENKUlT_T0_E_clISt17integral_constantIbLb1EES1J_EEDaS1E_S1F_EUlS1E_E_NS1_11comp_targetILNS1_3genE2ELNS1_11target_archE906ELNS1_3gpuE6ELNS1_3repE0EEENS1_30default_config_static_selectorELNS0_4arch9wavefront6targetE1EEEvT1_ ; -- Begin function _ZN7rocprim17ROCPRIM_400000_NS6detail17trampoline_kernelINS0_14default_configENS1_25partition_config_selectorILNS1_17partition_subalgoE2ExNS0_10empty_typeEbEEZZNS1_14partition_implILS5_2ELb0ES3_jN6thrust23THRUST_200600_302600_NS6detail15normal_iteratorINSA_7pointerIxNSA_11hip_rocprim3tagENSA_11use_defaultESG_EEEEPS6_NSA_18transform_iteratorI10is_orderedNSA_12zip_iteratorINSA_5tupleINSC_INSA_10device_ptrIxEEEESQ_NSA_9null_typeESR_SR_SR_SR_SR_SR_SR_EEEESG_SG_EENS0_5tupleIJPxSJ_EEENSV_IJSJ_SJ_EEES6_PlJS6_EEE10hipError_tPvRmT3_T4_T5_T6_T7_T9_mT8_P12ihipStream_tbDpT10_ENKUlT_T0_E_clISt17integral_constantIbLb1EES1J_EEDaS1E_S1F_EUlS1E_E_NS1_11comp_targetILNS1_3genE2ELNS1_11target_archE906ELNS1_3gpuE6ELNS1_3repE0EEENS1_30default_config_static_selectorELNS0_4arch9wavefront6targetE1EEEvT1_
	.globl	_ZN7rocprim17ROCPRIM_400000_NS6detail17trampoline_kernelINS0_14default_configENS1_25partition_config_selectorILNS1_17partition_subalgoE2ExNS0_10empty_typeEbEEZZNS1_14partition_implILS5_2ELb0ES3_jN6thrust23THRUST_200600_302600_NS6detail15normal_iteratorINSA_7pointerIxNSA_11hip_rocprim3tagENSA_11use_defaultESG_EEEEPS6_NSA_18transform_iteratorI10is_orderedNSA_12zip_iteratorINSA_5tupleINSC_INSA_10device_ptrIxEEEESQ_NSA_9null_typeESR_SR_SR_SR_SR_SR_SR_EEEESG_SG_EENS0_5tupleIJPxSJ_EEENSV_IJSJ_SJ_EEES6_PlJS6_EEE10hipError_tPvRmT3_T4_T5_T6_T7_T9_mT8_P12ihipStream_tbDpT10_ENKUlT_T0_E_clISt17integral_constantIbLb1EES1J_EEDaS1E_S1F_EUlS1E_E_NS1_11comp_targetILNS1_3genE2ELNS1_11target_archE906ELNS1_3gpuE6ELNS1_3repE0EEENS1_30default_config_static_selectorELNS0_4arch9wavefront6targetE1EEEvT1_
	.p2align	8
	.type	_ZN7rocprim17ROCPRIM_400000_NS6detail17trampoline_kernelINS0_14default_configENS1_25partition_config_selectorILNS1_17partition_subalgoE2ExNS0_10empty_typeEbEEZZNS1_14partition_implILS5_2ELb0ES3_jN6thrust23THRUST_200600_302600_NS6detail15normal_iteratorINSA_7pointerIxNSA_11hip_rocprim3tagENSA_11use_defaultESG_EEEEPS6_NSA_18transform_iteratorI10is_orderedNSA_12zip_iteratorINSA_5tupleINSC_INSA_10device_ptrIxEEEESQ_NSA_9null_typeESR_SR_SR_SR_SR_SR_SR_EEEESG_SG_EENS0_5tupleIJPxSJ_EEENSV_IJSJ_SJ_EEES6_PlJS6_EEE10hipError_tPvRmT3_T4_T5_T6_T7_T9_mT8_P12ihipStream_tbDpT10_ENKUlT_T0_E_clISt17integral_constantIbLb1EES1J_EEDaS1E_S1F_EUlS1E_E_NS1_11comp_targetILNS1_3genE2ELNS1_11target_archE906ELNS1_3gpuE6ELNS1_3repE0EEENS1_30default_config_static_selectorELNS0_4arch9wavefront6targetE1EEEvT1_,@function
_ZN7rocprim17ROCPRIM_400000_NS6detail17trampoline_kernelINS0_14default_configENS1_25partition_config_selectorILNS1_17partition_subalgoE2ExNS0_10empty_typeEbEEZZNS1_14partition_implILS5_2ELb0ES3_jN6thrust23THRUST_200600_302600_NS6detail15normal_iteratorINSA_7pointerIxNSA_11hip_rocprim3tagENSA_11use_defaultESG_EEEEPS6_NSA_18transform_iteratorI10is_orderedNSA_12zip_iteratorINSA_5tupleINSC_INSA_10device_ptrIxEEEESQ_NSA_9null_typeESR_SR_SR_SR_SR_SR_SR_EEEESG_SG_EENS0_5tupleIJPxSJ_EEENSV_IJSJ_SJ_EEES6_PlJS6_EEE10hipError_tPvRmT3_T4_T5_T6_T7_T9_mT8_P12ihipStream_tbDpT10_ENKUlT_T0_E_clISt17integral_constantIbLb1EES1J_EEDaS1E_S1F_EUlS1E_E_NS1_11comp_targetILNS1_3genE2ELNS1_11target_archE906ELNS1_3gpuE6ELNS1_3repE0EEENS1_30default_config_static_selectorELNS0_4arch9wavefront6targetE1EEEvT1_: ; @_ZN7rocprim17ROCPRIM_400000_NS6detail17trampoline_kernelINS0_14default_configENS1_25partition_config_selectorILNS1_17partition_subalgoE2ExNS0_10empty_typeEbEEZZNS1_14partition_implILS5_2ELb0ES3_jN6thrust23THRUST_200600_302600_NS6detail15normal_iteratorINSA_7pointerIxNSA_11hip_rocprim3tagENSA_11use_defaultESG_EEEEPS6_NSA_18transform_iteratorI10is_orderedNSA_12zip_iteratorINSA_5tupleINSC_INSA_10device_ptrIxEEEESQ_NSA_9null_typeESR_SR_SR_SR_SR_SR_SR_EEEESG_SG_EENS0_5tupleIJPxSJ_EEENSV_IJSJ_SJ_EEES6_PlJS6_EEE10hipError_tPvRmT3_T4_T5_T6_T7_T9_mT8_P12ihipStream_tbDpT10_ENKUlT_T0_E_clISt17integral_constantIbLb1EES1J_EEDaS1E_S1F_EUlS1E_E_NS1_11comp_targetILNS1_3genE2ELNS1_11target_archE906ELNS1_3gpuE6ELNS1_3repE0EEENS1_30default_config_static_selectorELNS0_4arch9wavefront6targetE1EEEvT1_
; %bb.0:
	.section	.rodata,"a",@progbits
	.p2align	6, 0x0
	.amdhsa_kernel _ZN7rocprim17ROCPRIM_400000_NS6detail17trampoline_kernelINS0_14default_configENS1_25partition_config_selectorILNS1_17partition_subalgoE2ExNS0_10empty_typeEbEEZZNS1_14partition_implILS5_2ELb0ES3_jN6thrust23THRUST_200600_302600_NS6detail15normal_iteratorINSA_7pointerIxNSA_11hip_rocprim3tagENSA_11use_defaultESG_EEEEPS6_NSA_18transform_iteratorI10is_orderedNSA_12zip_iteratorINSA_5tupleINSC_INSA_10device_ptrIxEEEESQ_NSA_9null_typeESR_SR_SR_SR_SR_SR_SR_EEEESG_SG_EENS0_5tupleIJPxSJ_EEENSV_IJSJ_SJ_EEES6_PlJS6_EEE10hipError_tPvRmT3_T4_T5_T6_T7_T9_mT8_P12ihipStream_tbDpT10_ENKUlT_T0_E_clISt17integral_constantIbLb1EES1J_EEDaS1E_S1F_EUlS1E_E_NS1_11comp_targetILNS1_3genE2ELNS1_11target_archE906ELNS1_3gpuE6ELNS1_3repE0EEENS1_30default_config_static_selectorELNS0_4arch9wavefront6targetE1EEEvT1_
		.amdhsa_group_segment_fixed_size 0
		.amdhsa_private_segment_fixed_size 0
		.amdhsa_kernarg_size 152
		.amdhsa_user_sgpr_count 6
		.amdhsa_user_sgpr_private_segment_buffer 1
		.amdhsa_user_sgpr_dispatch_ptr 0
		.amdhsa_user_sgpr_queue_ptr 0
		.amdhsa_user_sgpr_kernarg_segment_ptr 1
		.amdhsa_user_sgpr_dispatch_id 0
		.amdhsa_user_sgpr_flat_scratch_init 0
		.amdhsa_user_sgpr_kernarg_preload_length 0
		.amdhsa_user_sgpr_kernarg_preload_offset 0
		.amdhsa_user_sgpr_private_segment_size 0
		.amdhsa_uses_dynamic_stack 0
		.amdhsa_system_sgpr_private_segment_wavefront_offset 0
		.amdhsa_system_sgpr_workgroup_id_x 1
		.amdhsa_system_sgpr_workgroup_id_y 0
		.amdhsa_system_sgpr_workgroup_id_z 0
		.amdhsa_system_sgpr_workgroup_info 0
		.amdhsa_system_vgpr_workitem_id 0
		.amdhsa_next_free_vgpr 1
		.amdhsa_next_free_sgpr 0
		.amdhsa_accum_offset 4
		.amdhsa_reserve_vcc 0
		.amdhsa_reserve_flat_scratch 0
		.amdhsa_float_round_mode_32 0
		.amdhsa_float_round_mode_16_64 0
		.amdhsa_float_denorm_mode_32 3
		.amdhsa_float_denorm_mode_16_64 3
		.amdhsa_dx10_clamp 1
		.amdhsa_ieee_mode 1
		.amdhsa_fp16_overflow 0
		.amdhsa_tg_split 0
		.amdhsa_exception_fp_ieee_invalid_op 0
		.amdhsa_exception_fp_denorm_src 0
		.amdhsa_exception_fp_ieee_div_zero 0
		.amdhsa_exception_fp_ieee_overflow 0
		.amdhsa_exception_fp_ieee_underflow 0
		.amdhsa_exception_fp_ieee_inexact 0
		.amdhsa_exception_int_div_zero 0
	.end_amdhsa_kernel
	.section	.text._ZN7rocprim17ROCPRIM_400000_NS6detail17trampoline_kernelINS0_14default_configENS1_25partition_config_selectorILNS1_17partition_subalgoE2ExNS0_10empty_typeEbEEZZNS1_14partition_implILS5_2ELb0ES3_jN6thrust23THRUST_200600_302600_NS6detail15normal_iteratorINSA_7pointerIxNSA_11hip_rocprim3tagENSA_11use_defaultESG_EEEEPS6_NSA_18transform_iteratorI10is_orderedNSA_12zip_iteratorINSA_5tupleINSC_INSA_10device_ptrIxEEEESQ_NSA_9null_typeESR_SR_SR_SR_SR_SR_SR_EEEESG_SG_EENS0_5tupleIJPxSJ_EEENSV_IJSJ_SJ_EEES6_PlJS6_EEE10hipError_tPvRmT3_T4_T5_T6_T7_T9_mT8_P12ihipStream_tbDpT10_ENKUlT_T0_E_clISt17integral_constantIbLb1EES1J_EEDaS1E_S1F_EUlS1E_E_NS1_11comp_targetILNS1_3genE2ELNS1_11target_archE906ELNS1_3gpuE6ELNS1_3repE0EEENS1_30default_config_static_selectorELNS0_4arch9wavefront6targetE1EEEvT1_,"axG",@progbits,_ZN7rocprim17ROCPRIM_400000_NS6detail17trampoline_kernelINS0_14default_configENS1_25partition_config_selectorILNS1_17partition_subalgoE2ExNS0_10empty_typeEbEEZZNS1_14partition_implILS5_2ELb0ES3_jN6thrust23THRUST_200600_302600_NS6detail15normal_iteratorINSA_7pointerIxNSA_11hip_rocprim3tagENSA_11use_defaultESG_EEEEPS6_NSA_18transform_iteratorI10is_orderedNSA_12zip_iteratorINSA_5tupleINSC_INSA_10device_ptrIxEEEESQ_NSA_9null_typeESR_SR_SR_SR_SR_SR_SR_EEEESG_SG_EENS0_5tupleIJPxSJ_EEENSV_IJSJ_SJ_EEES6_PlJS6_EEE10hipError_tPvRmT3_T4_T5_T6_T7_T9_mT8_P12ihipStream_tbDpT10_ENKUlT_T0_E_clISt17integral_constantIbLb1EES1J_EEDaS1E_S1F_EUlS1E_E_NS1_11comp_targetILNS1_3genE2ELNS1_11target_archE906ELNS1_3gpuE6ELNS1_3repE0EEENS1_30default_config_static_selectorELNS0_4arch9wavefront6targetE1EEEvT1_,comdat
.Lfunc_end3574:
	.size	_ZN7rocprim17ROCPRIM_400000_NS6detail17trampoline_kernelINS0_14default_configENS1_25partition_config_selectorILNS1_17partition_subalgoE2ExNS0_10empty_typeEbEEZZNS1_14partition_implILS5_2ELb0ES3_jN6thrust23THRUST_200600_302600_NS6detail15normal_iteratorINSA_7pointerIxNSA_11hip_rocprim3tagENSA_11use_defaultESG_EEEEPS6_NSA_18transform_iteratorI10is_orderedNSA_12zip_iteratorINSA_5tupleINSC_INSA_10device_ptrIxEEEESQ_NSA_9null_typeESR_SR_SR_SR_SR_SR_SR_EEEESG_SG_EENS0_5tupleIJPxSJ_EEENSV_IJSJ_SJ_EEES6_PlJS6_EEE10hipError_tPvRmT3_T4_T5_T6_T7_T9_mT8_P12ihipStream_tbDpT10_ENKUlT_T0_E_clISt17integral_constantIbLb1EES1J_EEDaS1E_S1F_EUlS1E_E_NS1_11comp_targetILNS1_3genE2ELNS1_11target_archE906ELNS1_3gpuE6ELNS1_3repE0EEENS1_30default_config_static_selectorELNS0_4arch9wavefront6targetE1EEEvT1_, .Lfunc_end3574-_ZN7rocprim17ROCPRIM_400000_NS6detail17trampoline_kernelINS0_14default_configENS1_25partition_config_selectorILNS1_17partition_subalgoE2ExNS0_10empty_typeEbEEZZNS1_14partition_implILS5_2ELb0ES3_jN6thrust23THRUST_200600_302600_NS6detail15normal_iteratorINSA_7pointerIxNSA_11hip_rocprim3tagENSA_11use_defaultESG_EEEEPS6_NSA_18transform_iteratorI10is_orderedNSA_12zip_iteratorINSA_5tupleINSC_INSA_10device_ptrIxEEEESQ_NSA_9null_typeESR_SR_SR_SR_SR_SR_SR_EEEESG_SG_EENS0_5tupleIJPxSJ_EEENSV_IJSJ_SJ_EEES6_PlJS6_EEE10hipError_tPvRmT3_T4_T5_T6_T7_T9_mT8_P12ihipStream_tbDpT10_ENKUlT_T0_E_clISt17integral_constantIbLb1EES1J_EEDaS1E_S1F_EUlS1E_E_NS1_11comp_targetILNS1_3genE2ELNS1_11target_archE906ELNS1_3gpuE6ELNS1_3repE0EEENS1_30default_config_static_selectorELNS0_4arch9wavefront6targetE1EEEvT1_
                                        ; -- End function
	.section	.AMDGPU.csdata,"",@progbits
; Kernel info:
; codeLenInByte = 0
; NumSgprs: 4
; NumVgprs: 0
; NumAgprs: 0
; TotalNumVgprs: 0
; ScratchSize: 0
; MemoryBound: 0
; FloatMode: 240
; IeeeMode: 1
; LDSByteSize: 0 bytes/workgroup (compile time only)
; SGPRBlocks: 0
; VGPRBlocks: 0
; NumSGPRsForWavesPerEU: 4
; NumVGPRsForWavesPerEU: 1
; AccumOffset: 4
; Occupancy: 8
; WaveLimiterHint : 0
; COMPUTE_PGM_RSRC2:SCRATCH_EN: 0
; COMPUTE_PGM_RSRC2:USER_SGPR: 6
; COMPUTE_PGM_RSRC2:TRAP_HANDLER: 0
; COMPUTE_PGM_RSRC2:TGID_X_EN: 1
; COMPUTE_PGM_RSRC2:TGID_Y_EN: 0
; COMPUTE_PGM_RSRC2:TGID_Z_EN: 0
; COMPUTE_PGM_RSRC2:TIDIG_COMP_CNT: 0
; COMPUTE_PGM_RSRC3_GFX90A:ACCUM_OFFSET: 0
; COMPUTE_PGM_RSRC3_GFX90A:TG_SPLIT: 0
	.section	.text._ZN7rocprim17ROCPRIM_400000_NS6detail17trampoline_kernelINS0_14default_configENS1_25partition_config_selectorILNS1_17partition_subalgoE2ExNS0_10empty_typeEbEEZZNS1_14partition_implILS5_2ELb0ES3_jN6thrust23THRUST_200600_302600_NS6detail15normal_iteratorINSA_7pointerIxNSA_11hip_rocprim3tagENSA_11use_defaultESG_EEEEPS6_NSA_18transform_iteratorI10is_orderedNSA_12zip_iteratorINSA_5tupleINSC_INSA_10device_ptrIxEEEESQ_NSA_9null_typeESR_SR_SR_SR_SR_SR_SR_EEEESG_SG_EENS0_5tupleIJPxSJ_EEENSV_IJSJ_SJ_EEES6_PlJS6_EEE10hipError_tPvRmT3_T4_T5_T6_T7_T9_mT8_P12ihipStream_tbDpT10_ENKUlT_T0_E_clISt17integral_constantIbLb1EES1J_EEDaS1E_S1F_EUlS1E_E_NS1_11comp_targetILNS1_3genE10ELNS1_11target_archE1200ELNS1_3gpuE4ELNS1_3repE0EEENS1_30default_config_static_selectorELNS0_4arch9wavefront6targetE1EEEvT1_,"axG",@progbits,_ZN7rocprim17ROCPRIM_400000_NS6detail17trampoline_kernelINS0_14default_configENS1_25partition_config_selectorILNS1_17partition_subalgoE2ExNS0_10empty_typeEbEEZZNS1_14partition_implILS5_2ELb0ES3_jN6thrust23THRUST_200600_302600_NS6detail15normal_iteratorINSA_7pointerIxNSA_11hip_rocprim3tagENSA_11use_defaultESG_EEEEPS6_NSA_18transform_iteratorI10is_orderedNSA_12zip_iteratorINSA_5tupleINSC_INSA_10device_ptrIxEEEESQ_NSA_9null_typeESR_SR_SR_SR_SR_SR_SR_EEEESG_SG_EENS0_5tupleIJPxSJ_EEENSV_IJSJ_SJ_EEES6_PlJS6_EEE10hipError_tPvRmT3_T4_T5_T6_T7_T9_mT8_P12ihipStream_tbDpT10_ENKUlT_T0_E_clISt17integral_constantIbLb1EES1J_EEDaS1E_S1F_EUlS1E_E_NS1_11comp_targetILNS1_3genE10ELNS1_11target_archE1200ELNS1_3gpuE4ELNS1_3repE0EEENS1_30default_config_static_selectorELNS0_4arch9wavefront6targetE1EEEvT1_,comdat
	.protected	_ZN7rocprim17ROCPRIM_400000_NS6detail17trampoline_kernelINS0_14default_configENS1_25partition_config_selectorILNS1_17partition_subalgoE2ExNS0_10empty_typeEbEEZZNS1_14partition_implILS5_2ELb0ES3_jN6thrust23THRUST_200600_302600_NS6detail15normal_iteratorINSA_7pointerIxNSA_11hip_rocprim3tagENSA_11use_defaultESG_EEEEPS6_NSA_18transform_iteratorI10is_orderedNSA_12zip_iteratorINSA_5tupleINSC_INSA_10device_ptrIxEEEESQ_NSA_9null_typeESR_SR_SR_SR_SR_SR_SR_EEEESG_SG_EENS0_5tupleIJPxSJ_EEENSV_IJSJ_SJ_EEES6_PlJS6_EEE10hipError_tPvRmT3_T4_T5_T6_T7_T9_mT8_P12ihipStream_tbDpT10_ENKUlT_T0_E_clISt17integral_constantIbLb1EES1J_EEDaS1E_S1F_EUlS1E_E_NS1_11comp_targetILNS1_3genE10ELNS1_11target_archE1200ELNS1_3gpuE4ELNS1_3repE0EEENS1_30default_config_static_selectorELNS0_4arch9wavefront6targetE1EEEvT1_ ; -- Begin function _ZN7rocprim17ROCPRIM_400000_NS6detail17trampoline_kernelINS0_14default_configENS1_25partition_config_selectorILNS1_17partition_subalgoE2ExNS0_10empty_typeEbEEZZNS1_14partition_implILS5_2ELb0ES3_jN6thrust23THRUST_200600_302600_NS6detail15normal_iteratorINSA_7pointerIxNSA_11hip_rocprim3tagENSA_11use_defaultESG_EEEEPS6_NSA_18transform_iteratorI10is_orderedNSA_12zip_iteratorINSA_5tupleINSC_INSA_10device_ptrIxEEEESQ_NSA_9null_typeESR_SR_SR_SR_SR_SR_SR_EEEESG_SG_EENS0_5tupleIJPxSJ_EEENSV_IJSJ_SJ_EEES6_PlJS6_EEE10hipError_tPvRmT3_T4_T5_T6_T7_T9_mT8_P12ihipStream_tbDpT10_ENKUlT_T0_E_clISt17integral_constantIbLb1EES1J_EEDaS1E_S1F_EUlS1E_E_NS1_11comp_targetILNS1_3genE10ELNS1_11target_archE1200ELNS1_3gpuE4ELNS1_3repE0EEENS1_30default_config_static_selectorELNS0_4arch9wavefront6targetE1EEEvT1_
	.globl	_ZN7rocprim17ROCPRIM_400000_NS6detail17trampoline_kernelINS0_14default_configENS1_25partition_config_selectorILNS1_17partition_subalgoE2ExNS0_10empty_typeEbEEZZNS1_14partition_implILS5_2ELb0ES3_jN6thrust23THRUST_200600_302600_NS6detail15normal_iteratorINSA_7pointerIxNSA_11hip_rocprim3tagENSA_11use_defaultESG_EEEEPS6_NSA_18transform_iteratorI10is_orderedNSA_12zip_iteratorINSA_5tupleINSC_INSA_10device_ptrIxEEEESQ_NSA_9null_typeESR_SR_SR_SR_SR_SR_SR_EEEESG_SG_EENS0_5tupleIJPxSJ_EEENSV_IJSJ_SJ_EEES6_PlJS6_EEE10hipError_tPvRmT3_T4_T5_T6_T7_T9_mT8_P12ihipStream_tbDpT10_ENKUlT_T0_E_clISt17integral_constantIbLb1EES1J_EEDaS1E_S1F_EUlS1E_E_NS1_11comp_targetILNS1_3genE10ELNS1_11target_archE1200ELNS1_3gpuE4ELNS1_3repE0EEENS1_30default_config_static_selectorELNS0_4arch9wavefront6targetE1EEEvT1_
	.p2align	8
	.type	_ZN7rocprim17ROCPRIM_400000_NS6detail17trampoline_kernelINS0_14default_configENS1_25partition_config_selectorILNS1_17partition_subalgoE2ExNS0_10empty_typeEbEEZZNS1_14partition_implILS5_2ELb0ES3_jN6thrust23THRUST_200600_302600_NS6detail15normal_iteratorINSA_7pointerIxNSA_11hip_rocprim3tagENSA_11use_defaultESG_EEEEPS6_NSA_18transform_iteratorI10is_orderedNSA_12zip_iteratorINSA_5tupleINSC_INSA_10device_ptrIxEEEESQ_NSA_9null_typeESR_SR_SR_SR_SR_SR_SR_EEEESG_SG_EENS0_5tupleIJPxSJ_EEENSV_IJSJ_SJ_EEES6_PlJS6_EEE10hipError_tPvRmT3_T4_T5_T6_T7_T9_mT8_P12ihipStream_tbDpT10_ENKUlT_T0_E_clISt17integral_constantIbLb1EES1J_EEDaS1E_S1F_EUlS1E_E_NS1_11comp_targetILNS1_3genE10ELNS1_11target_archE1200ELNS1_3gpuE4ELNS1_3repE0EEENS1_30default_config_static_selectorELNS0_4arch9wavefront6targetE1EEEvT1_,@function
_ZN7rocprim17ROCPRIM_400000_NS6detail17trampoline_kernelINS0_14default_configENS1_25partition_config_selectorILNS1_17partition_subalgoE2ExNS0_10empty_typeEbEEZZNS1_14partition_implILS5_2ELb0ES3_jN6thrust23THRUST_200600_302600_NS6detail15normal_iteratorINSA_7pointerIxNSA_11hip_rocprim3tagENSA_11use_defaultESG_EEEEPS6_NSA_18transform_iteratorI10is_orderedNSA_12zip_iteratorINSA_5tupleINSC_INSA_10device_ptrIxEEEESQ_NSA_9null_typeESR_SR_SR_SR_SR_SR_SR_EEEESG_SG_EENS0_5tupleIJPxSJ_EEENSV_IJSJ_SJ_EEES6_PlJS6_EEE10hipError_tPvRmT3_T4_T5_T6_T7_T9_mT8_P12ihipStream_tbDpT10_ENKUlT_T0_E_clISt17integral_constantIbLb1EES1J_EEDaS1E_S1F_EUlS1E_E_NS1_11comp_targetILNS1_3genE10ELNS1_11target_archE1200ELNS1_3gpuE4ELNS1_3repE0EEENS1_30default_config_static_selectorELNS0_4arch9wavefront6targetE1EEEvT1_: ; @_ZN7rocprim17ROCPRIM_400000_NS6detail17trampoline_kernelINS0_14default_configENS1_25partition_config_selectorILNS1_17partition_subalgoE2ExNS0_10empty_typeEbEEZZNS1_14partition_implILS5_2ELb0ES3_jN6thrust23THRUST_200600_302600_NS6detail15normal_iteratorINSA_7pointerIxNSA_11hip_rocprim3tagENSA_11use_defaultESG_EEEEPS6_NSA_18transform_iteratorI10is_orderedNSA_12zip_iteratorINSA_5tupleINSC_INSA_10device_ptrIxEEEESQ_NSA_9null_typeESR_SR_SR_SR_SR_SR_SR_EEEESG_SG_EENS0_5tupleIJPxSJ_EEENSV_IJSJ_SJ_EEES6_PlJS6_EEE10hipError_tPvRmT3_T4_T5_T6_T7_T9_mT8_P12ihipStream_tbDpT10_ENKUlT_T0_E_clISt17integral_constantIbLb1EES1J_EEDaS1E_S1F_EUlS1E_E_NS1_11comp_targetILNS1_3genE10ELNS1_11target_archE1200ELNS1_3gpuE4ELNS1_3repE0EEENS1_30default_config_static_selectorELNS0_4arch9wavefront6targetE1EEEvT1_
; %bb.0:
	.section	.rodata,"a",@progbits
	.p2align	6, 0x0
	.amdhsa_kernel _ZN7rocprim17ROCPRIM_400000_NS6detail17trampoline_kernelINS0_14default_configENS1_25partition_config_selectorILNS1_17partition_subalgoE2ExNS0_10empty_typeEbEEZZNS1_14partition_implILS5_2ELb0ES3_jN6thrust23THRUST_200600_302600_NS6detail15normal_iteratorINSA_7pointerIxNSA_11hip_rocprim3tagENSA_11use_defaultESG_EEEEPS6_NSA_18transform_iteratorI10is_orderedNSA_12zip_iteratorINSA_5tupleINSC_INSA_10device_ptrIxEEEESQ_NSA_9null_typeESR_SR_SR_SR_SR_SR_SR_EEEESG_SG_EENS0_5tupleIJPxSJ_EEENSV_IJSJ_SJ_EEES6_PlJS6_EEE10hipError_tPvRmT3_T4_T5_T6_T7_T9_mT8_P12ihipStream_tbDpT10_ENKUlT_T0_E_clISt17integral_constantIbLb1EES1J_EEDaS1E_S1F_EUlS1E_E_NS1_11comp_targetILNS1_3genE10ELNS1_11target_archE1200ELNS1_3gpuE4ELNS1_3repE0EEENS1_30default_config_static_selectorELNS0_4arch9wavefront6targetE1EEEvT1_
		.amdhsa_group_segment_fixed_size 0
		.amdhsa_private_segment_fixed_size 0
		.amdhsa_kernarg_size 152
		.amdhsa_user_sgpr_count 6
		.amdhsa_user_sgpr_private_segment_buffer 1
		.amdhsa_user_sgpr_dispatch_ptr 0
		.amdhsa_user_sgpr_queue_ptr 0
		.amdhsa_user_sgpr_kernarg_segment_ptr 1
		.amdhsa_user_sgpr_dispatch_id 0
		.amdhsa_user_sgpr_flat_scratch_init 0
		.amdhsa_user_sgpr_kernarg_preload_length 0
		.amdhsa_user_sgpr_kernarg_preload_offset 0
		.amdhsa_user_sgpr_private_segment_size 0
		.amdhsa_uses_dynamic_stack 0
		.amdhsa_system_sgpr_private_segment_wavefront_offset 0
		.amdhsa_system_sgpr_workgroup_id_x 1
		.amdhsa_system_sgpr_workgroup_id_y 0
		.amdhsa_system_sgpr_workgroup_id_z 0
		.amdhsa_system_sgpr_workgroup_info 0
		.amdhsa_system_vgpr_workitem_id 0
		.amdhsa_next_free_vgpr 1
		.amdhsa_next_free_sgpr 0
		.amdhsa_accum_offset 4
		.amdhsa_reserve_vcc 0
		.amdhsa_reserve_flat_scratch 0
		.amdhsa_float_round_mode_32 0
		.amdhsa_float_round_mode_16_64 0
		.amdhsa_float_denorm_mode_32 3
		.amdhsa_float_denorm_mode_16_64 3
		.amdhsa_dx10_clamp 1
		.amdhsa_ieee_mode 1
		.amdhsa_fp16_overflow 0
		.amdhsa_tg_split 0
		.amdhsa_exception_fp_ieee_invalid_op 0
		.amdhsa_exception_fp_denorm_src 0
		.amdhsa_exception_fp_ieee_div_zero 0
		.amdhsa_exception_fp_ieee_overflow 0
		.amdhsa_exception_fp_ieee_underflow 0
		.amdhsa_exception_fp_ieee_inexact 0
		.amdhsa_exception_int_div_zero 0
	.end_amdhsa_kernel
	.section	.text._ZN7rocprim17ROCPRIM_400000_NS6detail17trampoline_kernelINS0_14default_configENS1_25partition_config_selectorILNS1_17partition_subalgoE2ExNS0_10empty_typeEbEEZZNS1_14partition_implILS5_2ELb0ES3_jN6thrust23THRUST_200600_302600_NS6detail15normal_iteratorINSA_7pointerIxNSA_11hip_rocprim3tagENSA_11use_defaultESG_EEEEPS6_NSA_18transform_iteratorI10is_orderedNSA_12zip_iteratorINSA_5tupleINSC_INSA_10device_ptrIxEEEESQ_NSA_9null_typeESR_SR_SR_SR_SR_SR_SR_EEEESG_SG_EENS0_5tupleIJPxSJ_EEENSV_IJSJ_SJ_EEES6_PlJS6_EEE10hipError_tPvRmT3_T4_T5_T6_T7_T9_mT8_P12ihipStream_tbDpT10_ENKUlT_T0_E_clISt17integral_constantIbLb1EES1J_EEDaS1E_S1F_EUlS1E_E_NS1_11comp_targetILNS1_3genE10ELNS1_11target_archE1200ELNS1_3gpuE4ELNS1_3repE0EEENS1_30default_config_static_selectorELNS0_4arch9wavefront6targetE1EEEvT1_,"axG",@progbits,_ZN7rocprim17ROCPRIM_400000_NS6detail17trampoline_kernelINS0_14default_configENS1_25partition_config_selectorILNS1_17partition_subalgoE2ExNS0_10empty_typeEbEEZZNS1_14partition_implILS5_2ELb0ES3_jN6thrust23THRUST_200600_302600_NS6detail15normal_iteratorINSA_7pointerIxNSA_11hip_rocprim3tagENSA_11use_defaultESG_EEEEPS6_NSA_18transform_iteratorI10is_orderedNSA_12zip_iteratorINSA_5tupleINSC_INSA_10device_ptrIxEEEESQ_NSA_9null_typeESR_SR_SR_SR_SR_SR_SR_EEEESG_SG_EENS0_5tupleIJPxSJ_EEENSV_IJSJ_SJ_EEES6_PlJS6_EEE10hipError_tPvRmT3_T4_T5_T6_T7_T9_mT8_P12ihipStream_tbDpT10_ENKUlT_T0_E_clISt17integral_constantIbLb1EES1J_EEDaS1E_S1F_EUlS1E_E_NS1_11comp_targetILNS1_3genE10ELNS1_11target_archE1200ELNS1_3gpuE4ELNS1_3repE0EEENS1_30default_config_static_selectorELNS0_4arch9wavefront6targetE1EEEvT1_,comdat
.Lfunc_end3575:
	.size	_ZN7rocprim17ROCPRIM_400000_NS6detail17trampoline_kernelINS0_14default_configENS1_25partition_config_selectorILNS1_17partition_subalgoE2ExNS0_10empty_typeEbEEZZNS1_14partition_implILS5_2ELb0ES3_jN6thrust23THRUST_200600_302600_NS6detail15normal_iteratorINSA_7pointerIxNSA_11hip_rocprim3tagENSA_11use_defaultESG_EEEEPS6_NSA_18transform_iteratorI10is_orderedNSA_12zip_iteratorINSA_5tupleINSC_INSA_10device_ptrIxEEEESQ_NSA_9null_typeESR_SR_SR_SR_SR_SR_SR_EEEESG_SG_EENS0_5tupleIJPxSJ_EEENSV_IJSJ_SJ_EEES6_PlJS6_EEE10hipError_tPvRmT3_T4_T5_T6_T7_T9_mT8_P12ihipStream_tbDpT10_ENKUlT_T0_E_clISt17integral_constantIbLb1EES1J_EEDaS1E_S1F_EUlS1E_E_NS1_11comp_targetILNS1_3genE10ELNS1_11target_archE1200ELNS1_3gpuE4ELNS1_3repE0EEENS1_30default_config_static_selectorELNS0_4arch9wavefront6targetE1EEEvT1_, .Lfunc_end3575-_ZN7rocprim17ROCPRIM_400000_NS6detail17trampoline_kernelINS0_14default_configENS1_25partition_config_selectorILNS1_17partition_subalgoE2ExNS0_10empty_typeEbEEZZNS1_14partition_implILS5_2ELb0ES3_jN6thrust23THRUST_200600_302600_NS6detail15normal_iteratorINSA_7pointerIxNSA_11hip_rocprim3tagENSA_11use_defaultESG_EEEEPS6_NSA_18transform_iteratorI10is_orderedNSA_12zip_iteratorINSA_5tupleINSC_INSA_10device_ptrIxEEEESQ_NSA_9null_typeESR_SR_SR_SR_SR_SR_SR_EEEESG_SG_EENS0_5tupleIJPxSJ_EEENSV_IJSJ_SJ_EEES6_PlJS6_EEE10hipError_tPvRmT3_T4_T5_T6_T7_T9_mT8_P12ihipStream_tbDpT10_ENKUlT_T0_E_clISt17integral_constantIbLb1EES1J_EEDaS1E_S1F_EUlS1E_E_NS1_11comp_targetILNS1_3genE10ELNS1_11target_archE1200ELNS1_3gpuE4ELNS1_3repE0EEENS1_30default_config_static_selectorELNS0_4arch9wavefront6targetE1EEEvT1_
                                        ; -- End function
	.section	.AMDGPU.csdata,"",@progbits
; Kernel info:
; codeLenInByte = 0
; NumSgprs: 4
; NumVgprs: 0
; NumAgprs: 0
; TotalNumVgprs: 0
; ScratchSize: 0
; MemoryBound: 0
; FloatMode: 240
; IeeeMode: 1
; LDSByteSize: 0 bytes/workgroup (compile time only)
; SGPRBlocks: 0
; VGPRBlocks: 0
; NumSGPRsForWavesPerEU: 4
; NumVGPRsForWavesPerEU: 1
; AccumOffset: 4
; Occupancy: 8
; WaveLimiterHint : 0
; COMPUTE_PGM_RSRC2:SCRATCH_EN: 0
; COMPUTE_PGM_RSRC2:USER_SGPR: 6
; COMPUTE_PGM_RSRC2:TRAP_HANDLER: 0
; COMPUTE_PGM_RSRC2:TGID_X_EN: 1
; COMPUTE_PGM_RSRC2:TGID_Y_EN: 0
; COMPUTE_PGM_RSRC2:TGID_Z_EN: 0
; COMPUTE_PGM_RSRC2:TIDIG_COMP_CNT: 0
; COMPUTE_PGM_RSRC3_GFX90A:ACCUM_OFFSET: 0
; COMPUTE_PGM_RSRC3_GFX90A:TG_SPLIT: 0
	.section	.text._ZN7rocprim17ROCPRIM_400000_NS6detail17trampoline_kernelINS0_14default_configENS1_25partition_config_selectorILNS1_17partition_subalgoE2ExNS0_10empty_typeEbEEZZNS1_14partition_implILS5_2ELb0ES3_jN6thrust23THRUST_200600_302600_NS6detail15normal_iteratorINSA_7pointerIxNSA_11hip_rocprim3tagENSA_11use_defaultESG_EEEEPS6_NSA_18transform_iteratorI10is_orderedNSA_12zip_iteratorINSA_5tupleINSC_INSA_10device_ptrIxEEEESQ_NSA_9null_typeESR_SR_SR_SR_SR_SR_SR_EEEESG_SG_EENS0_5tupleIJPxSJ_EEENSV_IJSJ_SJ_EEES6_PlJS6_EEE10hipError_tPvRmT3_T4_T5_T6_T7_T9_mT8_P12ihipStream_tbDpT10_ENKUlT_T0_E_clISt17integral_constantIbLb1EES1J_EEDaS1E_S1F_EUlS1E_E_NS1_11comp_targetILNS1_3genE9ELNS1_11target_archE1100ELNS1_3gpuE3ELNS1_3repE0EEENS1_30default_config_static_selectorELNS0_4arch9wavefront6targetE1EEEvT1_,"axG",@progbits,_ZN7rocprim17ROCPRIM_400000_NS6detail17trampoline_kernelINS0_14default_configENS1_25partition_config_selectorILNS1_17partition_subalgoE2ExNS0_10empty_typeEbEEZZNS1_14partition_implILS5_2ELb0ES3_jN6thrust23THRUST_200600_302600_NS6detail15normal_iteratorINSA_7pointerIxNSA_11hip_rocprim3tagENSA_11use_defaultESG_EEEEPS6_NSA_18transform_iteratorI10is_orderedNSA_12zip_iteratorINSA_5tupleINSC_INSA_10device_ptrIxEEEESQ_NSA_9null_typeESR_SR_SR_SR_SR_SR_SR_EEEESG_SG_EENS0_5tupleIJPxSJ_EEENSV_IJSJ_SJ_EEES6_PlJS6_EEE10hipError_tPvRmT3_T4_T5_T6_T7_T9_mT8_P12ihipStream_tbDpT10_ENKUlT_T0_E_clISt17integral_constantIbLb1EES1J_EEDaS1E_S1F_EUlS1E_E_NS1_11comp_targetILNS1_3genE9ELNS1_11target_archE1100ELNS1_3gpuE3ELNS1_3repE0EEENS1_30default_config_static_selectorELNS0_4arch9wavefront6targetE1EEEvT1_,comdat
	.protected	_ZN7rocprim17ROCPRIM_400000_NS6detail17trampoline_kernelINS0_14default_configENS1_25partition_config_selectorILNS1_17partition_subalgoE2ExNS0_10empty_typeEbEEZZNS1_14partition_implILS5_2ELb0ES3_jN6thrust23THRUST_200600_302600_NS6detail15normal_iteratorINSA_7pointerIxNSA_11hip_rocprim3tagENSA_11use_defaultESG_EEEEPS6_NSA_18transform_iteratorI10is_orderedNSA_12zip_iteratorINSA_5tupleINSC_INSA_10device_ptrIxEEEESQ_NSA_9null_typeESR_SR_SR_SR_SR_SR_SR_EEEESG_SG_EENS0_5tupleIJPxSJ_EEENSV_IJSJ_SJ_EEES6_PlJS6_EEE10hipError_tPvRmT3_T4_T5_T6_T7_T9_mT8_P12ihipStream_tbDpT10_ENKUlT_T0_E_clISt17integral_constantIbLb1EES1J_EEDaS1E_S1F_EUlS1E_E_NS1_11comp_targetILNS1_3genE9ELNS1_11target_archE1100ELNS1_3gpuE3ELNS1_3repE0EEENS1_30default_config_static_selectorELNS0_4arch9wavefront6targetE1EEEvT1_ ; -- Begin function _ZN7rocprim17ROCPRIM_400000_NS6detail17trampoline_kernelINS0_14default_configENS1_25partition_config_selectorILNS1_17partition_subalgoE2ExNS0_10empty_typeEbEEZZNS1_14partition_implILS5_2ELb0ES3_jN6thrust23THRUST_200600_302600_NS6detail15normal_iteratorINSA_7pointerIxNSA_11hip_rocprim3tagENSA_11use_defaultESG_EEEEPS6_NSA_18transform_iteratorI10is_orderedNSA_12zip_iteratorINSA_5tupleINSC_INSA_10device_ptrIxEEEESQ_NSA_9null_typeESR_SR_SR_SR_SR_SR_SR_EEEESG_SG_EENS0_5tupleIJPxSJ_EEENSV_IJSJ_SJ_EEES6_PlJS6_EEE10hipError_tPvRmT3_T4_T5_T6_T7_T9_mT8_P12ihipStream_tbDpT10_ENKUlT_T0_E_clISt17integral_constantIbLb1EES1J_EEDaS1E_S1F_EUlS1E_E_NS1_11comp_targetILNS1_3genE9ELNS1_11target_archE1100ELNS1_3gpuE3ELNS1_3repE0EEENS1_30default_config_static_selectorELNS0_4arch9wavefront6targetE1EEEvT1_
	.globl	_ZN7rocprim17ROCPRIM_400000_NS6detail17trampoline_kernelINS0_14default_configENS1_25partition_config_selectorILNS1_17partition_subalgoE2ExNS0_10empty_typeEbEEZZNS1_14partition_implILS5_2ELb0ES3_jN6thrust23THRUST_200600_302600_NS6detail15normal_iteratorINSA_7pointerIxNSA_11hip_rocprim3tagENSA_11use_defaultESG_EEEEPS6_NSA_18transform_iteratorI10is_orderedNSA_12zip_iteratorINSA_5tupleINSC_INSA_10device_ptrIxEEEESQ_NSA_9null_typeESR_SR_SR_SR_SR_SR_SR_EEEESG_SG_EENS0_5tupleIJPxSJ_EEENSV_IJSJ_SJ_EEES6_PlJS6_EEE10hipError_tPvRmT3_T4_T5_T6_T7_T9_mT8_P12ihipStream_tbDpT10_ENKUlT_T0_E_clISt17integral_constantIbLb1EES1J_EEDaS1E_S1F_EUlS1E_E_NS1_11comp_targetILNS1_3genE9ELNS1_11target_archE1100ELNS1_3gpuE3ELNS1_3repE0EEENS1_30default_config_static_selectorELNS0_4arch9wavefront6targetE1EEEvT1_
	.p2align	8
	.type	_ZN7rocprim17ROCPRIM_400000_NS6detail17trampoline_kernelINS0_14default_configENS1_25partition_config_selectorILNS1_17partition_subalgoE2ExNS0_10empty_typeEbEEZZNS1_14partition_implILS5_2ELb0ES3_jN6thrust23THRUST_200600_302600_NS6detail15normal_iteratorINSA_7pointerIxNSA_11hip_rocprim3tagENSA_11use_defaultESG_EEEEPS6_NSA_18transform_iteratorI10is_orderedNSA_12zip_iteratorINSA_5tupleINSC_INSA_10device_ptrIxEEEESQ_NSA_9null_typeESR_SR_SR_SR_SR_SR_SR_EEEESG_SG_EENS0_5tupleIJPxSJ_EEENSV_IJSJ_SJ_EEES6_PlJS6_EEE10hipError_tPvRmT3_T4_T5_T6_T7_T9_mT8_P12ihipStream_tbDpT10_ENKUlT_T0_E_clISt17integral_constantIbLb1EES1J_EEDaS1E_S1F_EUlS1E_E_NS1_11comp_targetILNS1_3genE9ELNS1_11target_archE1100ELNS1_3gpuE3ELNS1_3repE0EEENS1_30default_config_static_selectorELNS0_4arch9wavefront6targetE1EEEvT1_,@function
_ZN7rocprim17ROCPRIM_400000_NS6detail17trampoline_kernelINS0_14default_configENS1_25partition_config_selectorILNS1_17partition_subalgoE2ExNS0_10empty_typeEbEEZZNS1_14partition_implILS5_2ELb0ES3_jN6thrust23THRUST_200600_302600_NS6detail15normal_iteratorINSA_7pointerIxNSA_11hip_rocprim3tagENSA_11use_defaultESG_EEEEPS6_NSA_18transform_iteratorI10is_orderedNSA_12zip_iteratorINSA_5tupleINSC_INSA_10device_ptrIxEEEESQ_NSA_9null_typeESR_SR_SR_SR_SR_SR_SR_EEEESG_SG_EENS0_5tupleIJPxSJ_EEENSV_IJSJ_SJ_EEES6_PlJS6_EEE10hipError_tPvRmT3_T4_T5_T6_T7_T9_mT8_P12ihipStream_tbDpT10_ENKUlT_T0_E_clISt17integral_constantIbLb1EES1J_EEDaS1E_S1F_EUlS1E_E_NS1_11comp_targetILNS1_3genE9ELNS1_11target_archE1100ELNS1_3gpuE3ELNS1_3repE0EEENS1_30default_config_static_selectorELNS0_4arch9wavefront6targetE1EEEvT1_: ; @_ZN7rocprim17ROCPRIM_400000_NS6detail17trampoline_kernelINS0_14default_configENS1_25partition_config_selectorILNS1_17partition_subalgoE2ExNS0_10empty_typeEbEEZZNS1_14partition_implILS5_2ELb0ES3_jN6thrust23THRUST_200600_302600_NS6detail15normal_iteratorINSA_7pointerIxNSA_11hip_rocprim3tagENSA_11use_defaultESG_EEEEPS6_NSA_18transform_iteratorI10is_orderedNSA_12zip_iteratorINSA_5tupleINSC_INSA_10device_ptrIxEEEESQ_NSA_9null_typeESR_SR_SR_SR_SR_SR_SR_EEEESG_SG_EENS0_5tupleIJPxSJ_EEENSV_IJSJ_SJ_EEES6_PlJS6_EEE10hipError_tPvRmT3_T4_T5_T6_T7_T9_mT8_P12ihipStream_tbDpT10_ENKUlT_T0_E_clISt17integral_constantIbLb1EES1J_EEDaS1E_S1F_EUlS1E_E_NS1_11comp_targetILNS1_3genE9ELNS1_11target_archE1100ELNS1_3gpuE3ELNS1_3repE0EEENS1_30default_config_static_selectorELNS0_4arch9wavefront6targetE1EEEvT1_
; %bb.0:
	.section	.rodata,"a",@progbits
	.p2align	6, 0x0
	.amdhsa_kernel _ZN7rocprim17ROCPRIM_400000_NS6detail17trampoline_kernelINS0_14default_configENS1_25partition_config_selectorILNS1_17partition_subalgoE2ExNS0_10empty_typeEbEEZZNS1_14partition_implILS5_2ELb0ES3_jN6thrust23THRUST_200600_302600_NS6detail15normal_iteratorINSA_7pointerIxNSA_11hip_rocprim3tagENSA_11use_defaultESG_EEEEPS6_NSA_18transform_iteratorI10is_orderedNSA_12zip_iteratorINSA_5tupleINSC_INSA_10device_ptrIxEEEESQ_NSA_9null_typeESR_SR_SR_SR_SR_SR_SR_EEEESG_SG_EENS0_5tupleIJPxSJ_EEENSV_IJSJ_SJ_EEES6_PlJS6_EEE10hipError_tPvRmT3_T4_T5_T6_T7_T9_mT8_P12ihipStream_tbDpT10_ENKUlT_T0_E_clISt17integral_constantIbLb1EES1J_EEDaS1E_S1F_EUlS1E_E_NS1_11comp_targetILNS1_3genE9ELNS1_11target_archE1100ELNS1_3gpuE3ELNS1_3repE0EEENS1_30default_config_static_selectorELNS0_4arch9wavefront6targetE1EEEvT1_
		.amdhsa_group_segment_fixed_size 0
		.amdhsa_private_segment_fixed_size 0
		.amdhsa_kernarg_size 152
		.amdhsa_user_sgpr_count 6
		.amdhsa_user_sgpr_private_segment_buffer 1
		.amdhsa_user_sgpr_dispatch_ptr 0
		.amdhsa_user_sgpr_queue_ptr 0
		.amdhsa_user_sgpr_kernarg_segment_ptr 1
		.amdhsa_user_sgpr_dispatch_id 0
		.amdhsa_user_sgpr_flat_scratch_init 0
		.amdhsa_user_sgpr_kernarg_preload_length 0
		.amdhsa_user_sgpr_kernarg_preload_offset 0
		.amdhsa_user_sgpr_private_segment_size 0
		.amdhsa_uses_dynamic_stack 0
		.amdhsa_system_sgpr_private_segment_wavefront_offset 0
		.amdhsa_system_sgpr_workgroup_id_x 1
		.amdhsa_system_sgpr_workgroup_id_y 0
		.amdhsa_system_sgpr_workgroup_id_z 0
		.amdhsa_system_sgpr_workgroup_info 0
		.amdhsa_system_vgpr_workitem_id 0
		.amdhsa_next_free_vgpr 1
		.amdhsa_next_free_sgpr 0
		.amdhsa_accum_offset 4
		.amdhsa_reserve_vcc 0
		.amdhsa_reserve_flat_scratch 0
		.amdhsa_float_round_mode_32 0
		.amdhsa_float_round_mode_16_64 0
		.amdhsa_float_denorm_mode_32 3
		.amdhsa_float_denorm_mode_16_64 3
		.amdhsa_dx10_clamp 1
		.amdhsa_ieee_mode 1
		.amdhsa_fp16_overflow 0
		.amdhsa_tg_split 0
		.amdhsa_exception_fp_ieee_invalid_op 0
		.amdhsa_exception_fp_denorm_src 0
		.amdhsa_exception_fp_ieee_div_zero 0
		.amdhsa_exception_fp_ieee_overflow 0
		.amdhsa_exception_fp_ieee_underflow 0
		.amdhsa_exception_fp_ieee_inexact 0
		.amdhsa_exception_int_div_zero 0
	.end_amdhsa_kernel
	.section	.text._ZN7rocprim17ROCPRIM_400000_NS6detail17trampoline_kernelINS0_14default_configENS1_25partition_config_selectorILNS1_17partition_subalgoE2ExNS0_10empty_typeEbEEZZNS1_14partition_implILS5_2ELb0ES3_jN6thrust23THRUST_200600_302600_NS6detail15normal_iteratorINSA_7pointerIxNSA_11hip_rocprim3tagENSA_11use_defaultESG_EEEEPS6_NSA_18transform_iteratorI10is_orderedNSA_12zip_iteratorINSA_5tupleINSC_INSA_10device_ptrIxEEEESQ_NSA_9null_typeESR_SR_SR_SR_SR_SR_SR_EEEESG_SG_EENS0_5tupleIJPxSJ_EEENSV_IJSJ_SJ_EEES6_PlJS6_EEE10hipError_tPvRmT3_T4_T5_T6_T7_T9_mT8_P12ihipStream_tbDpT10_ENKUlT_T0_E_clISt17integral_constantIbLb1EES1J_EEDaS1E_S1F_EUlS1E_E_NS1_11comp_targetILNS1_3genE9ELNS1_11target_archE1100ELNS1_3gpuE3ELNS1_3repE0EEENS1_30default_config_static_selectorELNS0_4arch9wavefront6targetE1EEEvT1_,"axG",@progbits,_ZN7rocprim17ROCPRIM_400000_NS6detail17trampoline_kernelINS0_14default_configENS1_25partition_config_selectorILNS1_17partition_subalgoE2ExNS0_10empty_typeEbEEZZNS1_14partition_implILS5_2ELb0ES3_jN6thrust23THRUST_200600_302600_NS6detail15normal_iteratorINSA_7pointerIxNSA_11hip_rocprim3tagENSA_11use_defaultESG_EEEEPS6_NSA_18transform_iteratorI10is_orderedNSA_12zip_iteratorINSA_5tupleINSC_INSA_10device_ptrIxEEEESQ_NSA_9null_typeESR_SR_SR_SR_SR_SR_SR_EEEESG_SG_EENS0_5tupleIJPxSJ_EEENSV_IJSJ_SJ_EEES6_PlJS6_EEE10hipError_tPvRmT3_T4_T5_T6_T7_T9_mT8_P12ihipStream_tbDpT10_ENKUlT_T0_E_clISt17integral_constantIbLb1EES1J_EEDaS1E_S1F_EUlS1E_E_NS1_11comp_targetILNS1_3genE9ELNS1_11target_archE1100ELNS1_3gpuE3ELNS1_3repE0EEENS1_30default_config_static_selectorELNS0_4arch9wavefront6targetE1EEEvT1_,comdat
.Lfunc_end3576:
	.size	_ZN7rocprim17ROCPRIM_400000_NS6detail17trampoline_kernelINS0_14default_configENS1_25partition_config_selectorILNS1_17partition_subalgoE2ExNS0_10empty_typeEbEEZZNS1_14partition_implILS5_2ELb0ES3_jN6thrust23THRUST_200600_302600_NS6detail15normal_iteratorINSA_7pointerIxNSA_11hip_rocprim3tagENSA_11use_defaultESG_EEEEPS6_NSA_18transform_iteratorI10is_orderedNSA_12zip_iteratorINSA_5tupleINSC_INSA_10device_ptrIxEEEESQ_NSA_9null_typeESR_SR_SR_SR_SR_SR_SR_EEEESG_SG_EENS0_5tupleIJPxSJ_EEENSV_IJSJ_SJ_EEES6_PlJS6_EEE10hipError_tPvRmT3_T4_T5_T6_T7_T9_mT8_P12ihipStream_tbDpT10_ENKUlT_T0_E_clISt17integral_constantIbLb1EES1J_EEDaS1E_S1F_EUlS1E_E_NS1_11comp_targetILNS1_3genE9ELNS1_11target_archE1100ELNS1_3gpuE3ELNS1_3repE0EEENS1_30default_config_static_selectorELNS0_4arch9wavefront6targetE1EEEvT1_, .Lfunc_end3576-_ZN7rocprim17ROCPRIM_400000_NS6detail17trampoline_kernelINS0_14default_configENS1_25partition_config_selectorILNS1_17partition_subalgoE2ExNS0_10empty_typeEbEEZZNS1_14partition_implILS5_2ELb0ES3_jN6thrust23THRUST_200600_302600_NS6detail15normal_iteratorINSA_7pointerIxNSA_11hip_rocprim3tagENSA_11use_defaultESG_EEEEPS6_NSA_18transform_iteratorI10is_orderedNSA_12zip_iteratorINSA_5tupleINSC_INSA_10device_ptrIxEEEESQ_NSA_9null_typeESR_SR_SR_SR_SR_SR_SR_EEEESG_SG_EENS0_5tupleIJPxSJ_EEENSV_IJSJ_SJ_EEES6_PlJS6_EEE10hipError_tPvRmT3_T4_T5_T6_T7_T9_mT8_P12ihipStream_tbDpT10_ENKUlT_T0_E_clISt17integral_constantIbLb1EES1J_EEDaS1E_S1F_EUlS1E_E_NS1_11comp_targetILNS1_3genE9ELNS1_11target_archE1100ELNS1_3gpuE3ELNS1_3repE0EEENS1_30default_config_static_selectorELNS0_4arch9wavefront6targetE1EEEvT1_
                                        ; -- End function
	.section	.AMDGPU.csdata,"",@progbits
; Kernel info:
; codeLenInByte = 0
; NumSgprs: 4
; NumVgprs: 0
; NumAgprs: 0
; TotalNumVgprs: 0
; ScratchSize: 0
; MemoryBound: 0
; FloatMode: 240
; IeeeMode: 1
; LDSByteSize: 0 bytes/workgroup (compile time only)
; SGPRBlocks: 0
; VGPRBlocks: 0
; NumSGPRsForWavesPerEU: 4
; NumVGPRsForWavesPerEU: 1
; AccumOffset: 4
; Occupancy: 8
; WaveLimiterHint : 0
; COMPUTE_PGM_RSRC2:SCRATCH_EN: 0
; COMPUTE_PGM_RSRC2:USER_SGPR: 6
; COMPUTE_PGM_RSRC2:TRAP_HANDLER: 0
; COMPUTE_PGM_RSRC2:TGID_X_EN: 1
; COMPUTE_PGM_RSRC2:TGID_Y_EN: 0
; COMPUTE_PGM_RSRC2:TGID_Z_EN: 0
; COMPUTE_PGM_RSRC2:TIDIG_COMP_CNT: 0
; COMPUTE_PGM_RSRC3_GFX90A:ACCUM_OFFSET: 0
; COMPUTE_PGM_RSRC3_GFX90A:TG_SPLIT: 0
	.section	.text._ZN7rocprim17ROCPRIM_400000_NS6detail17trampoline_kernelINS0_14default_configENS1_25partition_config_selectorILNS1_17partition_subalgoE2ExNS0_10empty_typeEbEEZZNS1_14partition_implILS5_2ELb0ES3_jN6thrust23THRUST_200600_302600_NS6detail15normal_iteratorINSA_7pointerIxNSA_11hip_rocprim3tagENSA_11use_defaultESG_EEEEPS6_NSA_18transform_iteratorI10is_orderedNSA_12zip_iteratorINSA_5tupleINSC_INSA_10device_ptrIxEEEESQ_NSA_9null_typeESR_SR_SR_SR_SR_SR_SR_EEEESG_SG_EENS0_5tupleIJPxSJ_EEENSV_IJSJ_SJ_EEES6_PlJS6_EEE10hipError_tPvRmT3_T4_T5_T6_T7_T9_mT8_P12ihipStream_tbDpT10_ENKUlT_T0_E_clISt17integral_constantIbLb1EES1J_EEDaS1E_S1F_EUlS1E_E_NS1_11comp_targetILNS1_3genE8ELNS1_11target_archE1030ELNS1_3gpuE2ELNS1_3repE0EEENS1_30default_config_static_selectorELNS0_4arch9wavefront6targetE1EEEvT1_,"axG",@progbits,_ZN7rocprim17ROCPRIM_400000_NS6detail17trampoline_kernelINS0_14default_configENS1_25partition_config_selectorILNS1_17partition_subalgoE2ExNS0_10empty_typeEbEEZZNS1_14partition_implILS5_2ELb0ES3_jN6thrust23THRUST_200600_302600_NS6detail15normal_iteratorINSA_7pointerIxNSA_11hip_rocprim3tagENSA_11use_defaultESG_EEEEPS6_NSA_18transform_iteratorI10is_orderedNSA_12zip_iteratorINSA_5tupleINSC_INSA_10device_ptrIxEEEESQ_NSA_9null_typeESR_SR_SR_SR_SR_SR_SR_EEEESG_SG_EENS0_5tupleIJPxSJ_EEENSV_IJSJ_SJ_EEES6_PlJS6_EEE10hipError_tPvRmT3_T4_T5_T6_T7_T9_mT8_P12ihipStream_tbDpT10_ENKUlT_T0_E_clISt17integral_constantIbLb1EES1J_EEDaS1E_S1F_EUlS1E_E_NS1_11comp_targetILNS1_3genE8ELNS1_11target_archE1030ELNS1_3gpuE2ELNS1_3repE0EEENS1_30default_config_static_selectorELNS0_4arch9wavefront6targetE1EEEvT1_,comdat
	.protected	_ZN7rocprim17ROCPRIM_400000_NS6detail17trampoline_kernelINS0_14default_configENS1_25partition_config_selectorILNS1_17partition_subalgoE2ExNS0_10empty_typeEbEEZZNS1_14partition_implILS5_2ELb0ES3_jN6thrust23THRUST_200600_302600_NS6detail15normal_iteratorINSA_7pointerIxNSA_11hip_rocprim3tagENSA_11use_defaultESG_EEEEPS6_NSA_18transform_iteratorI10is_orderedNSA_12zip_iteratorINSA_5tupleINSC_INSA_10device_ptrIxEEEESQ_NSA_9null_typeESR_SR_SR_SR_SR_SR_SR_EEEESG_SG_EENS0_5tupleIJPxSJ_EEENSV_IJSJ_SJ_EEES6_PlJS6_EEE10hipError_tPvRmT3_T4_T5_T6_T7_T9_mT8_P12ihipStream_tbDpT10_ENKUlT_T0_E_clISt17integral_constantIbLb1EES1J_EEDaS1E_S1F_EUlS1E_E_NS1_11comp_targetILNS1_3genE8ELNS1_11target_archE1030ELNS1_3gpuE2ELNS1_3repE0EEENS1_30default_config_static_selectorELNS0_4arch9wavefront6targetE1EEEvT1_ ; -- Begin function _ZN7rocprim17ROCPRIM_400000_NS6detail17trampoline_kernelINS0_14default_configENS1_25partition_config_selectorILNS1_17partition_subalgoE2ExNS0_10empty_typeEbEEZZNS1_14partition_implILS5_2ELb0ES3_jN6thrust23THRUST_200600_302600_NS6detail15normal_iteratorINSA_7pointerIxNSA_11hip_rocprim3tagENSA_11use_defaultESG_EEEEPS6_NSA_18transform_iteratorI10is_orderedNSA_12zip_iteratorINSA_5tupleINSC_INSA_10device_ptrIxEEEESQ_NSA_9null_typeESR_SR_SR_SR_SR_SR_SR_EEEESG_SG_EENS0_5tupleIJPxSJ_EEENSV_IJSJ_SJ_EEES6_PlJS6_EEE10hipError_tPvRmT3_T4_T5_T6_T7_T9_mT8_P12ihipStream_tbDpT10_ENKUlT_T0_E_clISt17integral_constantIbLb1EES1J_EEDaS1E_S1F_EUlS1E_E_NS1_11comp_targetILNS1_3genE8ELNS1_11target_archE1030ELNS1_3gpuE2ELNS1_3repE0EEENS1_30default_config_static_selectorELNS0_4arch9wavefront6targetE1EEEvT1_
	.globl	_ZN7rocprim17ROCPRIM_400000_NS6detail17trampoline_kernelINS0_14default_configENS1_25partition_config_selectorILNS1_17partition_subalgoE2ExNS0_10empty_typeEbEEZZNS1_14partition_implILS5_2ELb0ES3_jN6thrust23THRUST_200600_302600_NS6detail15normal_iteratorINSA_7pointerIxNSA_11hip_rocprim3tagENSA_11use_defaultESG_EEEEPS6_NSA_18transform_iteratorI10is_orderedNSA_12zip_iteratorINSA_5tupleINSC_INSA_10device_ptrIxEEEESQ_NSA_9null_typeESR_SR_SR_SR_SR_SR_SR_EEEESG_SG_EENS0_5tupleIJPxSJ_EEENSV_IJSJ_SJ_EEES6_PlJS6_EEE10hipError_tPvRmT3_T4_T5_T6_T7_T9_mT8_P12ihipStream_tbDpT10_ENKUlT_T0_E_clISt17integral_constantIbLb1EES1J_EEDaS1E_S1F_EUlS1E_E_NS1_11comp_targetILNS1_3genE8ELNS1_11target_archE1030ELNS1_3gpuE2ELNS1_3repE0EEENS1_30default_config_static_selectorELNS0_4arch9wavefront6targetE1EEEvT1_
	.p2align	8
	.type	_ZN7rocprim17ROCPRIM_400000_NS6detail17trampoline_kernelINS0_14default_configENS1_25partition_config_selectorILNS1_17partition_subalgoE2ExNS0_10empty_typeEbEEZZNS1_14partition_implILS5_2ELb0ES3_jN6thrust23THRUST_200600_302600_NS6detail15normal_iteratorINSA_7pointerIxNSA_11hip_rocprim3tagENSA_11use_defaultESG_EEEEPS6_NSA_18transform_iteratorI10is_orderedNSA_12zip_iteratorINSA_5tupleINSC_INSA_10device_ptrIxEEEESQ_NSA_9null_typeESR_SR_SR_SR_SR_SR_SR_EEEESG_SG_EENS0_5tupleIJPxSJ_EEENSV_IJSJ_SJ_EEES6_PlJS6_EEE10hipError_tPvRmT3_T4_T5_T6_T7_T9_mT8_P12ihipStream_tbDpT10_ENKUlT_T0_E_clISt17integral_constantIbLb1EES1J_EEDaS1E_S1F_EUlS1E_E_NS1_11comp_targetILNS1_3genE8ELNS1_11target_archE1030ELNS1_3gpuE2ELNS1_3repE0EEENS1_30default_config_static_selectorELNS0_4arch9wavefront6targetE1EEEvT1_,@function
_ZN7rocprim17ROCPRIM_400000_NS6detail17trampoline_kernelINS0_14default_configENS1_25partition_config_selectorILNS1_17partition_subalgoE2ExNS0_10empty_typeEbEEZZNS1_14partition_implILS5_2ELb0ES3_jN6thrust23THRUST_200600_302600_NS6detail15normal_iteratorINSA_7pointerIxNSA_11hip_rocprim3tagENSA_11use_defaultESG_EEEEPS6_NSA_18transform_iteratorI10is_orderedNSA_12zip_iteratorINSA_5tupleINSC_INSA_10device_ptrIxEEEESQ_NSA_9null_typeESR_SR_SR_SR_SR_SR_SR_EEEESG_SG_EENS0_5tupleIJPxSJ_EEENSV_IJSJ_SJ_EEES6_PlJS6_EEE10hipError_tPvRmT3_T4_T5_T6_T7_T9_mT8_P12ihipStream_tbDpT10_ENKUlT_T0_E_clISt17integral_constantIbLb1EES1J_EEDaS1E_S1F_EUlS1E_E_NS1_11comp_targetILNS1_3genE8ELNS1_11target_archE1030ELNS1_3gpuE2ELNS1_3repE0EEENS1_30default_config_static_selectorELNS0_4arch9wavefront6targetE1EEEvT1_: ; @_ZN7rocprim17ROCPRIM_400000_NS6detail17trampoline_kernelINS0_14default_configENS1_25partition_config_selectorILNS1_17partition_subalgoE2ExNS0_10empty_typeEbEEZZNS1_14partition_implILS5_2ELb0ES3_jN6thrust23THRUST_200600_302600_NS6detail15normal_iteratorINSA_7pointerIxNSA_11hip_rocprim3tagENSA_11use_defaultESG_EEEEPS6_NSA_18transform_iteratorI10is_orderedNSA_12zip_iteratorINSA_5tupleINSC_INSA_10device_ptrIxEEEESQ_NSA_9null_typeESR_SR_SR_SR_SR_SR_SR_EEEESG_SG_EENS0_5tupleIJPxSJ_EEENSV_IJSJ_SJ_EEES6_PlJS6_EEE10hipError_tPvRmT3_T4_T5_T6_T7_T9_mT8_P12ihipStream_tbDpT10_ENKUlT_T0_E_clISt17integral_constantIbLb1EES1J_EEDaS1E_S1F_EUlS1E_E_NS1_11comp_targetILNS1_3genE8ELNS1_11target_archE1030ELNS1_3gpuE2ELNS1_3repE0EEENS1_30default_config_static_selectorELNS0_4arch9wavefront6targetE1EEEvT1_
; %bb.0:
	.section	.rodata,"a",@progbits
	.p2align	6, 0x0
	.amdhsa_kernel _ZN7rocprim17ROCPRIM_400000_NS6detail17trampoline_kernelINS0_14default_configENS1_25partition_config_selectorILNS1_17partition_subalgoE2ExNS0_10empty_typeEbEEZZNS1_14partition_implILS5_2ELb0ES3_jN6thrust23THRUST_200600_302600_NS6detail15normal_iteratorINSA_7pointerIxNSA_11hip_rocprim3tagENSA_11use_defaultESG_EEEEPS6_NSA_18transform_iteratorI10is_orderedNSA_12zip_iteratorINSA_5tupleINSC_INSA_10device_ptrIxEEEESQ_NSA_9null_typeESR_SR_SR_SR_SR_SR_SR_EEEESG_SG_EENS0_5tupleIJPxSJ_EEENSV_IJSJ_SJ_EEES6_PlJS6_EEE10hipError_tPvRmT3_T4_T5_T6_T7_T9_mT8_P12ihipStream_tbDpT10_ENKUlT_T0_E_clISt17integral_constantIbLb1EES1J_EEDaS1E_S1F_EUlS1E_E_NS1_11comp_targetILNS1_3genE8ELNS1_11target_archE1030ELNS1_3gpuE2ELNS1_3repE0EEENS1_30default_config_static_selectorELNS0_4arch9wavefront6targetE1EEEvT1_
		.amdhsa_group_segment_fixed_size 0
		.amdhsa_private_segment_fixed_size 0
		.amdhsa_kernarg_size 152
		.amdhsa_user_sgpr_count 6
		.amdhsa_user_sgpr_private_segment_buffer 1
		.amdhsa_user_sgpr_dispatch_ptr 0
		.amdhsa_user_sgpr_queue_ptr 0
		.amdhsa_user_sgpr_kernarg_segment_ptr 1
		.amdhsa_user_sgpr_dispatch_id 0
		.amdhsa_user_sgpr_flat_scratch_init 0
		.amdhsa_user_sgpr_kernarg_preload_length 0
		.amdhsa_user_sgpr_kernarg_preload_offset 0
		.amdhsa_user_sgpr_private_segment_size 0
		.amdhsa_uses_dynamic_stack 0
		.amdhsa_system_sgpr_private_segment_wavefront_offset 0
		.amdhsa_system_sgpr_workgroup_id_x 1
		.amdhsa_system_sgpr_workgroup_id_y 0
		.amdhsa_system_sgpr_workgroup_id_z 0
		.amdhsa_system_sgpr_workgroup_info 0
		.amdhsa_system_vgpr_workitem_id 0
		.amdhsa_next_free_vgpr 1
		.amdhsa_next_free_sgpr 0
		.amdhsa_accum_offset 4
		.amdhsa_reserve_vcc 0
		.amdhsa_reserve_flat_scratch 0
		.amdhsa_float_round_mode_32 0
		.amdhsa_float_round_mode_16_64 0
		.amdhsa_float_denorm_mode_32 3
		.amdhsa_float_denorm_mode_16_64 3
		.amdhsa_dx10_clamp 1
		.amdhsa_ieee_mode 1
		.amdhsa_fp16_overflow 0
		.amdhsa_tg_split 0
		.amdhsa_exception_fp_ieee_invalid_op 0
		.amdhsa_exception_fp_denorm_src 0
		.amdhsa_exception_fp_ieee_div_zero 0
		.amdhsa_exception_fp_ieee_overflow 0
		.amdhsa_exception_fp_ieee_underflow 0
		.amdhsa_exception_fp_ieee_inexact 0
		.amdhsa_exception_int_div_zero 0
	.end_amdhsa_kernel
	.section	.text._ZN7rocprim17ROCPRIM_400000_NS6detail17trampoline_kernelINS0_14default_configENS1_25partition_config_selectorILNS1_17partition_subalgoE2ExNS0_10empty_typeEbEEZZNS1_14partition_implILS5_2ELb0ES3_jN6thrust23THRUST_200600_302600_NS6detail15normal_iteratorINSA_7pointerIxNSA_11hip_rocprim3tagENSA_11use_defaultESG_EEEEPS6_NSA_18transform_iteratorI10is_orderedNSA_12zip_iteratorINSA_5tupleINSC_INSA_10device_ptrIxEEEESQ_NSA_9null_typeESR_SR_SR_SR_SR_SR_SR_EEEESG_SG_EENS0_5tupleIJPxSJ_EEENSV_IJSJ_SJ_EEES6_PlJS6_EEE10hipError_tPvRmT3_T4_T5_T6_T7_T9_mT8_P12ihipStream_tbDpT10_ENKUlT_T0_E_clISt17integral_constantIbLb1EES1J_EEDaS1E_S1F_EUlS1E_E_NS1_11comp_targetILNS1_3genE8ELNS1_11target_archE1030ELNS1_3gpuE2ELNS1_3repE0EEENS1_30default_config_static_selectorELNS0_4arch9wavefront6targetE1EEEvT1_,"axG",@progbits,_ZN7rocprim17ROCPRIM_400000_NS6detail17trampoline_kernelINS0_14default_configENS1_25partition_config_selectorILNS1_17partition_subalgoE2ExNS0_10empty_typeEbEEZZNS1_14partition_implILS5_2ELb0ES3_jN6thrust23THRUST_200600_302600_NS6detail15normal_iteratorINSA_7pointerIxNSA_11hip_rocprim3tagENSA_11use_defaultESG_EEEEPS6_NSA_18transform_iteratorI10is_orderedNSA_12zip_iteratorINSA_5tupleINSC_INSA_10device_ptrIxEEEESQ_NSA_9null_typeESR_SR_SR_SR_SR_SR_SR_EEEESG_SG_EENS0_5tupleIJPxSJ_EEENSV_IJSJ_SJ_EEES6_PlJS6_EEE10hipError_tPvRmT3_T4_T5_T6_T7_T9_mT8_P12ihipStream_tbDpT10_ENKUlT_T0_E_clISt17integral_constantIbLb1EES1J_EEDaS1E_S1F_EUlS1E_E_NS1_11comp_targetILNS1_3genE8ELNS1_11target_archE1030ELNS1_3gpuE2ELNS1_3repE0EEENS1_30default_config_static_selectorELNS0_4arch9wavefront6targetE1EEEvT1_,comdat
.Lfunc_end3577:
	.size	_ZN7rocprim17ROCPRIM_400000_NS6detail17trampoline_kernelINS0_14default_configENS1_25partition_config_selectorILNS1_17partition_subalgoE2ExNS0_10empty_typeEbEEZZNS1_14partition_implILS5_2ELb0ES3_jN6thrust23THRUST_200600_302600_NS6detail15normal_iteratorINSA_7pointerIxNSA_11hip_rocprim3tagENSA_11use_defaultESG_EEEEPS6_NSA_18transform_iteratorI10is_orderedNSA_12zip_iteratorINSA_5tupleINSC_INSA_10device_ptrIxEEEESQ_NSA_9null_typeESR_SR_SR_SR_SR_SR_SR_EEEESG_SG_EENS0_5tupleIJPxSJ_EEENSV_IJSJ_SJ_EEES6_PlJS6_EEE10hipError_tPvRmT3_T4_T5_T6_T7_T9_mT8_P12ihipStream_tbDpT10_ENKUlT_T0_E_clISt17integral_constantIbLb1EES1J_EEDaS1E_S1F_EUlS1E_E_NS1_11comp_targetILNS1_3genE8ELNS1_11target_archE1030ELNS1_3gpuE2ELNS1_3repE0EEENS1_30default_config_static_selectorELNS0_4arch9wavefront6targetE1EEEvT1_, .Lfunc_end3577-_ZN7rocprim17ROCPRIM_400000_NS6detail17trampoline_kernelINS0_14default_configENS1_25partition_config_selectorILNS1_17partition_subalgoE2ExNS0_10empty_typeEbEEZZNS1_14partition_implILS5_2ELb0ES3_jN6thrust23THRUST_200600_302600_NS6detail15normal_iteratorINSA_7pointerIxNSA_11hip_rocprim3tagENSA_11use_defaultESG_EEEEPS6_NSA_18transform_iteratorI10is_orderedNSA_12zip_iteratorINSA_5tupleINSC_INSA_10device_ptrIxEEEESQ_NSA_9null_typeESR_SR_SR_SR_SR_SR_SR_EEEESG_SG_EENS0_5tupleIJPxSJ_EEENSV_IJSJ_SJ_EEES6_PlJS6_EEE10hipError_tPvRmT3_T4_T5_T6_T7_T9_mT8_P12ihipStream_tbDpT10_ENKUlT_T0_E_clISt17integral_constantIbLb1EES1J_EEDaS1E_S1F_EUlS1E_E_NS1_11comp_targetILNS1_3genE8ELNS1_11target_archE1030ELNS1_3gpuE2ELNS1_3repE0EEENS1_30default_config_static_selectorELNS0_4arch9wavefront6targetE1EEEvT1_
                                        ; -- End function
	.section	.AMDGPU.csdata,"",@progbits
; Kernel info:
; codeLenInByte = 0
; NumSgprs: 4
; NumVgprs: 0
; NumAgprs: 0
; TotalNumVgprs: 0
; ScratchSize: 0
; MemoryBound: 0
; FloatMode: 240
; IeeeMode: 1
; LDSByteSize: 0 bytes/workgroup (compile time only)
; SGPRBlocks: 0
; VGPRBlocks: 0
; NumSGPRsForWavesPerEU: 4
; NumVGPRsForWavesPerEU: 1
; AccumOffset: 4
; Occupancy: 8
; WaveLimiterHint : 0
; COMPUTE_PGM_RSRC2:SCRATCH_EN: 0
; COMPUTE_PGM_RSRC2:USER_SGPR: 6
; COMPUTE_PGM_RSRC2:TRAP_HANDLER: 0
; COMPUTE_PGM_RSRC2:TGID_X_EN: 1
; COMPUTE_PGM_RSRC2:TGID_Y_EN: 0
; COMPUTE_PGM_RSRC2:TGID_Z_EN: 0
; COMPUTE_PGM_RSRC2:TIDIG_COMP_CNT: 0
; COMPUTE_PGM_RSRC3_GFX90A:ACCUM_OFFSET: 0
; COMPUTE_PGM_RSRC3_GFX90A:TG_SPLIT: 0
	.section	.text._ZN7rocprim17ROCPRIM_400000_NS6detail17trampoline_kernelINS0_14default_configENS1_25partition_config_selectorILNS1_17partition_subalgoE2ExNS0_10empty_typeEbEEZZNS1_14partition_implILS5_2ELb0ES3_jN6thrust23THRUST_200600_302600_NS6detail15normal_iteratorINSA_7pointerIxNSA_11hip_rocprim3tagENSA_11use_defaultESG_EEEEPS6_NSA_18transform_iteratorI10is_orderedNSA_12zip_iteratorINSA_5tupleINSC_INSA_10device_ptrIxEEEESQ_NSA_9null_typeESR_SR_SR_SR_SR_SR_SR_EEEESG_SG_EENS0_5tupleIJPxSJ_EEENSV_IJSJ_SJ_EEES6_PlJS6_EEE10hipError_tPvRmT3_T4_T5_T6_T7_T9_mT8_P12ihipStream_tbDpT10_ENKUlT_T0_E_clISt17integral_constantIbLb1EES1I_IbLb0EEEEDaS1E_S1F_EUlS1E_E_NS1_11comp_targetILNS1_3genE0ELNS1_11target_archE4294967295ELNS1_3gpuE0ELNS1_3repE0EEENS1_30default_config_static_selectorELNS0_4arch9wavefront6targetE1EEEvT1_,"axG",@progbits,_ZN7rocprim17ROCPRIM_400000_NS6detail17trampoline_kernelINS0_14default_configENS1_25partition_config_selectorILNS1_17partition_subalgoE2ExNS0_10empty_typeEbEEZZNS1_14partition_implILS5_2ELb0ES3_jN6thrust23THRUST_200600_302600_NS6detail15normal_iteratorINSA_7pointerIxNSA_11hip_rocprim3tagENSA_11use_defaultESG_EEEEPS6_NSA_18transform_iteratorI10is_orderedNSA_12zip_iteratorINSA_5tupleINSC_INSA_10device_ptrIxEEEESQ_NSA_9null_typeESR_SR_SR_SR_SR_SR_SR_EEEESG_SG_EENS0_5tupleIJPxSJ_EEENSV_IJSJ_SJ_EEES6_PlJS6_EEE10hipError_tPvRmT3_T4_T5_T6_T7_T9_mT8_P12ihipStream_tbDpT10_ENKUlT_T0_E_clISt17integral_constantIbLb1EES1I_IbLb0EEEEDaS1E_S1F_EUlS1E_E_NS1_11comp_targetILNS1_3genE0ELNS1_11target_archE4294967295ELNS1_3gpuE0ELNS1_3repE0EEENS1_30default_config_static_selectorELNS0_4arch9wavefront6targetE1EEEvT1_,comdat
	.protected	_ZN7rocprim17ROCPRIM_400000_NS6detail17trampoline_kernelINS0_14default_configENS1_25partition_config_selectorILNS1_17partition_subalgoE2ExNS0_10empty_typeEbEEZZNS1_14partition_implILS5_2ELb0ES3_jN6thrust23THRUST_200600_302600_NS6detail15normal_iteratorINSA_7pointerIxNSA_11hip_rocprim3tagENSA_11use_defaultESG_EEEEPS6_NSA_18transform_iteratorI10is_orderedNSA_12zip_iteratorINSA_5tupleINSC_INSA_10device_ptrIxEEEESQ_NSA_9null_typeESR_SR_SR_SR_SR_SR_SR_EEEESG_SG_EENS0_5tupleIJPxSJ_EEENSV_IJSJ_SJ_EEES6_PlJS6_EEE10hipError_tPvRmT3_T4_T5_T6_T7_T9_mT8_P12ihipStream_tbDpT10_ENKUlT_T0_E_clISt17integral_constantIbLb1EES1I_IbLb0EEEEDaS1E_S1F_EUlS1E_E_NS1_11comp_targetILNS1_3genE0ELNS1_11target_archE4294967295ELNS1_3gpuE0ELNS1_3repE0EEENS1_30default_config_static_selectorELNS0_4arch9wavefront6targetE1EEEvT1_ ; -- Begin function _ZN7rocprim17ROCPRIM_400000_NS6detail17trampoline_kernelINS0_14default_configENS1_25partition_config_selectorILNS1_17partition_subalgoE2ExNS0_10empty_typeEbEEZZNS1_14partition_implILS5_2ELb0ES3_jN6thrust23THRUST_200600_302600_NS6detail15normal_iteratorINSA_7pointerIxNSA_11hip_rocprim3tagENSA_11use_defaultESG_EEEEPS6_NSA_18transform_iteratorI10is_orderedNSA_12zip_iteratorINSA_5tupleINSC_INSA_10device_ptrIxEEEESQ_NSA_9null_typeESR_SR_SR_SR_SR_SR_SR_EEEESG_SG_EENS0_5tupleIJPxSJ_EEENSV_IJSJ_SJ_EEES6_PlJS6_EEE10hipError_tPvRmT3_T4_T5_T6_T7_T9_mT8_P12ihipStream_tbDpT10_ENKUlT_T0_E_clISt17integral_constantIbLb1EES1I_IbLb0EEEEDaS1E_S1F_EUlS1E_E_NS1_11comp_targetILNS1_3genE0ELNS1_11target_archE4294967295ELNS1_3gpuE0ELNS1_3repE0EEENS1_30default_config_static_selectorELNS0_4arch9wavefront6targetE1EEEvT1_
	.globl	_ZN7rocprim17ROCPRIM_400000_NS6detail17trampoline_kernelINS0_14default_configENS1_25partition_config_selectorILNS1_17partition_subalgoE2ExNS0_10empty_typeEbEEZZNS1_14partition_implILS5_2ELb0ES3_jN6thrust23THRUST_200600_302600_NS6detail15normal_iteratorINSA_7pointerIxNSA_11hip_rocprim3tagENSA_11use_defaultESG_EEEEPS6_NSA_18transform_iteratorI10is_orderedNSA_12zip_iteratorINSA_5tupleINSC_INSA_10device_ptrIxEEEESQ_NSA_9null_typeESR_SR_SR_SR_SR_SR_SR_EEEESG_SG_EENS0_5tupleIJPxSJ_EEENSV_IJSJ_SJ_EEES6_PlJS6_EEE10hipError_tPvRmT3_T4_T5_T6_T7_T9_mT8_P12ihipStream_tbDpT10_ENKUlT_T0_E_clISt17integral_constantIbLb1EES1I_IbLb0EEEEDaS1E_S1F_EUlS1E_E_NS1_11comp_targetILNS1_3genE0ELNS1_11target_archE4294967295ELNS1_3gpuE0ELNS1_3repE0EEENS1_30default_config_static_selectorELNS0_4arch9wavefront6targetE1EEEvT1_
	.p2align	8
	.type	_ZN7rocprim17ROCPRIM_400000_NS6detail17trampoline_kernelINS0_14default_configENS1_25partition_config_selectorILNS1_17partition_subalgoE2ExNS0_10empty_typeEbEEZZNS1_14partition_implILS5_2ELb0ES3_jN6thrust23THRUST_200600_302600_NS6detail15normal_iteratorINSA_7pointerIxNSA_11hip_rocprim3tagENSA_11use_defaultESG_EEEEPS6_NSA_18transform_iteratorI10is_orderedNSA_12zip_iteratorINSA_5tupleINSC_INSA_10device_ptrIxEEEESQ_NSA_9null_typeESR_SR_SR_SR_SR_SR_SR_EEEESG_SG_EENS0_5tupleIJPxSJ_EEENSV_IJSJ_SJ_EEES6_PlJS6_EEE10hipError_tPvRmT3_T4_T5_T6_T7_T9_mT8_P12ihipStream_tbDpT10_ENKUlT_T0_E_clISt17integral_constantIbLb1EES1I_IbLb0EEEEDaS1E_S1F_EUlS1E_E_NS1_11comp_targetILNS1_3genE0ELNS1_11target_archE4294967295ELNS1_3gpuE0ELNS1_3repE0EEENS1_30default_config_static_selectorELNS0_4arch9wavefront6targetE1EEEvT1_,@function
_ZN7rocprim17ROCPRIM_400000_NS6detail17trampoline_kernelINS0_14default_configENS1_25partition_config_selectorILNS1_17partition_subalgoE2ExNS0_10empty_typeEbEEZZNS1_14partition_implILS5_2ELb0ES3_jN6thrust23THRUST_200600_302600_NS6detail15normal_iteratorINSA_7pointerIxNSA_11hip_rocprim3tagENSA_11use_defaultESG_EEEEPS6_NSA_18transform_iteratorI10is_orderedNSA_12zip_iteratorINSA_5tupleINSC_INSA_10device_ptrIxEEEESQ_NSA_9null_typeESR_SR_SR_SR_SR_SR_SR_EEEESG_SG_EENS0_5tupleIJPxSJ_EEENSV_IJSJ_SJ_EEES6_PlJS6_EEE10hipError_tPvRmT3_T4_T5_T6_T7_T9_mT8_P12ihipStream_tbDpT10_ENKUlT_T0_E_clISt17integral_constantIbLb1EES1I_IbLb0EEEEDaS1E_S1F_EUlS1E_E_NS1_11comp_targetILNS1_3genE0ELNS1_11target_archE4294967295ELNS1_3gpuE0ELNS1_3repE0EEENS1_30default_config_static_selectorELNS0_4arch9wavefront6targetE1EEEvT1_: ; @_ZN7rocprim17ROCPRIM_400000_NS6detail17trampoline_kernelINS0_14default_configENS1_25partition_config_selectorILNS1_17partition_subalgoE2ExNS0_10empty_typeEbEEZZNS1_14partition_implILS5_2ELb0ES3_jN6thrust23THRUST_200600_302600_NS6detail15normal_iteratorINSA_7pointerIxNSA_11hip_rocprim3tagENSA_11use_defaultESG_EEEEPS6_NSA_18transform_iteratorI10is_orderedNSA_12zip_iteratorINSA_5tupleINSC_INSA_10device_ptrIxEEEESQ_NSA_9null_typeESR_SR_SR_SR_SR_SR_SR_EEEESG_SG_EENS0_5tupleIJPxSJ_EEENSV_IJSJ_SJ_EEES6_PlJS6_EEE10hipError_tPvRmT3_T4_T5_T6_T7_T9_mT8_P12ihipStream_tbDpT10_ENKUlT_T0_E_clISt17integral_constantIbLb1EES1I_IbLb0EEEEDaS1E_S1F_EUlS1E_E_NS1_11comp_targetILNS1_3genE0ELNS1_11target_archE4294967295ELNS1_3gpuE0ELNS1_3repE0EEENS1_30default_config_static_selectorELNS0_4arch9wavefront6targetE1EEEvT1_
; %bb.0:
	.section	.rodata,"a",@progbits
	.p2align	6, 0x0
	.amdhsa_kernel _ZN7rocprim17ROCPRIM_400000_NS6detail17trampoline_kernelINS0_14default_configENS1_25partition_config_selectorILNS1_17partition_subalgoE2ExNS0_10empty_typeEbEEZZNS1_14partition_implILS5_2ELb0ES3_jN6thrust23THRUST_200600_302600_NS6detail15normal_iteratorINSA_7pointerIxNSA_11hip_rocprim3tagENSA_11use_defaultESG_EEEEPS6_NSA_18transform_iteratorI10is_orderedNSA_12zip_iteratorINSA_5tupleINSC_INSA_10device_ptrIxEEEESQ_NSA_9null_typeESR_SR_SR_SR_SR_SR_SR_EEEESG_SG_EENS0_5tupleIJPxSJ_EEENSV_IJSJ_SJ_EEES6_PlJS6_EEE10hipError_tPvRmT3_T4_T5_T6_T7_T9_mT8_P12ihipStream_tbDpT10_ENKUlT_T0_E_clISt17integral_constantIbLb1EES1I_IbLb0EEEEDaS1E_S1F_EUlS1E_E_NS1_11comp_targetILNS1_3genE0ELNS1_11target_archE4294967295ELNS1_3gpuE0ELNS1_3repE0EEENS1_30default_config_static_selectorELNS0_4arch9wavefront6targetE1EEEvT1_
		.amdhsa_group_segment_fixed_size 0
		.amdhsa_private_segment_fixed_size 0
		.amdhsa_kernarg_size 136
		.amdhsa_user_sgpr_count 6
		.amdhsa_user_sgpr_private_segment_buffer 1
		.amdhsa_user_sgpr_dispatch_ptr 0
		.amdhsa_user_sgpr_queue_ptr 0
		.amdhsa_user_sgpr_kernarg_segment_ptr 1
		.amdhsa_user_sgpr_dispatch_id 0
		.amdhsa_user_sgpr_flat_scratch_init 0
		.amdhsa_user_sgpr_kernarg_preload_length 0
		.amdhsa_user_sgpr_kernarg_preload_offset 0
		.amdhsa_user_sgpr_private_segment_size 0
		.amdhsa_uses_dynamic_stack 0
		.amdhsa_system_sgpr_private_segment_wavefront_offset 0
		.amdhsa_system_sgpr_workgroup_id_x 1
		.amdhsa_system_sgpr_workgroup_id_y 0
		.amdhsa_system_sgpr_workgroup_id_z 0
		.amdhsa_system_sgpr_workgroup_info 0
		.amdhsa_system_vgpr_workitem_id 0
		.amdhsa_next_free_vgpr 1
		.amdhsa_next_free_sgpr 0
		.amdhsa_accum_offset 4
		.amdhsa_reserve_vcc 0
		.amdhsa_reserve_flat_scratch 0
		.amdhsa_float_round_mode_32 0
		.amdhsa_float_round_mode_16_64 0
		.amdhsa_float_denorm_mode_32 3
		.amdhsa_float_denorm_mode_16_64 3
		.amdhsa_dx10_clamp 1
		.amdhsa_ieee_mode 1
		.amdhsa_fp16_overflow 0
		.amdhsa_tg_split 0
		.amdhsa_exception_fp_ieee_invalid_op 0
		.amdhsa_exception_fp_denorm_src 0
		.amdhsa_exception_fp_ieee_div_zero 0
		.amdhsa_exception_fp_ieee_overflow 0
		.amdhsa_exception_fp_ieee_underflow 0
		.amdhsa_exception_fp_ieee_inexact 0
		.amdhsa_exception_int_div_zero 0
	.end_amdhsa_kernel
	.section	.text._ZN7rocprim17ROCPRIM_400000_NS6detail17trampoline_kernelINS0_14default_configENS1_25partition_config_selectorILNS1_17partition_subalgoE2ExNS0_10empty_typeEbEEZZNS1_14partition_implILS5_2ELb0ES3_jN6thrust23THRUST_200600_302600_NS6detail15normal_iteratorINSA_7pointerIxNSA_11hip_rocprim3tagENSA_11use_defaultESG_EEEEPS6_NSA_18transform_iteratorI10is_orderedNSA_12zip_iteratorINSA_5tupleINSC_INSA_10device_ptrIxEEEESQ_NSA_9null_typeESR_SR_SR_SR_SR_SR_SR_EEEESG_SG_EENS0_5tupleIJPxSJ_EEENSV_IJSJ_SJ_EEES6_PlJS6_EEE10hipError_tPvRmT3_T4_T5_T6_T7_T9_mT8_P12ihipStream_tbDpT10_ENKUlT_T0_E_clISt17integral_constantIbLb1EES1I_IbLb0EEEEDaS1E_S1F_EUlS1E_E_NS1_11comp_targetILNS1_3genE0ELNS1_11target_archE4294967295ELNS1_3gpuE0ELNS1_3repE0EEENS1_30default_config_static_selectorELNS0_4arch9wavefront6targetE1EEEvT1_,"axG",@progbits,_ZN7rocprim17ROCPRIM_400000_NS6detail17trampoline_kernelINS0_14default_configENS1_25partition_config_selectorILNS1_17partition_subalgoE2ExNS0_10empty_typeEbEEZZNS1_14partition_implILS5_2ELb0ES3_jN6thrust23THRUST_200600_302600_NS6detail15normal_iteratorINSA_7pointerIxNSA_11hip_rocprim3tagENSA_11use_defaultESG_EEEEPS6_NSA_18transform_iteratorI10is_orderedNSA_12zip_iteratorINSA_5tupleINSC_INSA_10device_ptrIxEEEESQ_NSA_9null_typeESR_SR_SR_SR_SR_SR_SR_EEEESG_SG_EENS0_5tupleIJPxSJ_EEENSV_IJSJ_SJ_EEES6_PlJS6_EEE10hipError_tPvRmT3_T4_T5_T6_T7_T9_mT8_P12ihipStream_tbDpT10_ENKUlT_T0_E_clISt17integral_constantIbLb1EES1I_IbLb0EEEEDaS1E_S1F_EUlS1E_E_NS1_11comp_targetILNS1_3genE0ELNS1_11target_archE4294967295ELNS1_3gpuE0ELNS1_3repE0EEENS1_30default_config_static_selectorELNS0_4arch9wavefront6targetE1EEEvT1_,comdat
.Lfunc_end3578:
	.size	_ZN7rocprim17ROCPRIM_400000_NS6detail17trampoline_kernelINS0_14default_configENS1_25partition_config_selectorILNS1_17partition_subalgoE2ExNS0_10empty_typeEbEEZZNS1_14partition_implILS5_2ELb0ES3_jN6thrust23THRUST_200600_302600_NS6detail15normal_iteratorINSA_7pointerIxNSA_11hip_rocprim3tagENSA_11use_defaultESG_EEEEPS6_NSA_18transform_iteratorI10is_orderedNSA_12zip_iteratorINSA_5tupleINSC_INSA_10device_ptrIxEEEESQ_NSA_9null_typeESR_SR_SR_SR_SR_SR_SR_EEEESG_SG_EENS0_5tupleIJPxSJ_EEENSV_IJSJ_SJ_EEES6_PlJS6_EEE10hipError_tPvRmT3_T4_T5_T6_T7_T9_mT8_P12ihipStream_tbDpT10_ENKUlT_T0_E_clISt17integral_constantIbLb1EES1I_IbLb0EEEEDaS1E_S1F_EUlS1E_E_NS1_11comp_targetILNS1_3genE0ELNS1_11target_archE4294967295ELNS1_3gpuE0ELNS1_3repE0EEENS1_30default_config_static_selectorELNS0_4arch9wavefront6targetE1EEEvT1_, .Lfunc_end3578-_ZN7rocprim17ROCPRIM_400000_NS6detail17trampoline_kernelINS0_14default_configENS1_25partition_config_selectorILNS1_17partition_subalgoE2ExNS0_10empty_typeEbEEZZNS1_14partition_implILS5_2ELb0ES3_jN6thrust23THRUST_200600_302600_NS6detail15normal_iteratorINSA_7pointerIxNSA_11hip_rocprim3tagENSA_11use_defaultESG_EEEEPS6_NSA_18transform_iteratorI10is_orderedNSA_12zip_iteratorINSA_5tupleINSC_INSA_10device_ptrIxEEEESQ_NSA_9null_typeESR_SR_SR_SR_SR_SR_SR_EEEESG_SG_EENS0_5tupleIJPxSJ_EEENSV_IJSJ_SJ_EEES6_PlJS6_EEE10hipError_tPvRmT3_T4_T5_T6_T7_T9_mT8_P12ihipStream_tbDpT10_ENKUlT_T0_E_clISt17integral_constantIbLb1EES1I_IbLb0EEEEDaS1E_S1F_EUlS1E_E_NS1_11comp_targetILNS1_3genE0ELNS1_11target_archE4294967295ELNS1_3gpuE0ELNS1_3repE0EEENS1_30default_config_static_selectorELNS0_4arch9wavefront6targetE1EEEvT1_
                                        ; -- End function
	.section	.AMDGPU.csdata,"",@progbits
; Kernel info:
; codeLenInByte = 0
; NumSgprs: 4
; NumVgprs: 0
; NumAgprs: 0
; TotalNumVgprs: 0
; ScratchSize: 0
; MemoryBound: 0
; FloatMode: 240
; IeeeMode: 1
; LDSByteSize: 0 bytes/workgroup (compile time only)
; SGPRBlocks: 0
; VGPRBlocks: 0
; NumSGPRsForWavesPerEU: 4
; NumVGPRsForWavesPerEU: 1
; AccumOffset: 4
; Occupancy: 8
; WaveLimiterHint : 0
; COMPUTE_PGM_RSRC2:SCRATCH_EN: 0
; COMPUTE_PGM_RSRC2:USER_SGPR: 6
; COMPUTE_PGM_RSRC2:TRAP_HANDLER: 0
; COMPUTE_PGM_RSRC2:TGID_X_EN: 1
; COMPUTE_PGM_RSRC2:TGID_Y_EN: 0
; COMPUTE_PGM_RSRC2:TGID_Z_EN: 0
; COMPUTE_PGM_RSRC2:TIDIG_COMP_CNT: 0
; COMPUTE_PGM_RSRC3_GFX90A:ACCUM_OFFSET: 0
; COMPUTE_PGM_RSRC3_GFX90A:TG_SPLIT: 0
	.section	.text._ZN7rocprim17ROCPRIM_400000_NS6detail17trampoline_kernelINS0_14default_configENS1_25partition_config_selectorILNS1_17partition_subalgoE2ExNS0_10empty_typeEbEEZZNS1_14partition_implILS5_2ELb0ES3_jN6thrust23THRUST_200600_302600_NS6detail15normal_iteratorINSA_7pointerIxNSA_11hip_rocprim3tagENSA_11use_defaultESG_EEEEPS6_NSA_18transform_iteratorI10is_orderedNSA_12zip_iteratorINSA_5tupleINSC_INSA_10device_ptrIxEEEESQ_NSA_9null_typeESR_SR_SR_SR_SR_SR_SR_EEEESG_SG_EENS0_5tupleIJPxSJ_EEENSV_IJSJ_SJ_EEES6_PlJS6_EEE10hipError_tPvRmT3_T4_T5_T6_T7_T9_mT8_P12ihipStream_tbDpT10_ENKUlT_T0_E_clISt17integral_constantIbLb1EES1I_IbLb0EEEEDaS1E_S1F_EUlS1E_E_NS1_11comp_targetILNS1_3genE5ELNS1_11target_archE942ELNS1_3gpuE9ELNS1_3repE0EEENS1_30default_config_static_selectorELNS0_4arch9wavefront6targetE1EEEvT1_,"axG",@progbits,_ZN7rocprim17ROCPRIM_400000_NS6detail17trampoline_kernelINS0_14default_configENS1_25partition_config_selectorILNS1_17partition_subalgoE2ExNS0_10empty_typeEbEEZZNS1_14partition_implILS5_2ELb0ES3_jN6thrust23THRUST_200600_302600_NS6detail15normal_iteratorINSA_7pointerIxNSA_11hip_rocprim3tagENSA_11use_defaultESG_EEEEPS6_NSA_18transform_iteratorI10is_orderedNSA_12zip_iteratorINSA_5tupleINSC_INSA_10device_ptrIxEEEESQ_NSA_9null_typeESR_SR_SR_SR_SR_SR_SR_EEEESG_SG_EENS0_5tupleIJPxSJ_EEENSV_IJSJ_SJ_EEES6_PlJS6_EEE10hipError_tPvRmT3_T4_T5_T6_T7_T9_mT8_P12ihipStream_tbDpT10_ENKUlT_T0_E_clISt17integral_constantIbLb1EES1I_IbLb0EEEEDaS1E_S1F_EUlS1E_E_NS1_11comp_targetILNS1_3genE5ELNS1_11target_archE942ELNS1_3gpuE9ELNS1_3repE0EEENS1_30default_config_static_selectorELNS0_4arch9wavefront6targetE1EEEvT1_,comdat
	.protected	_ZN7rocprim17ROCPRIM_400000_NS6detail17trampoline_kernelINS0_14default_configENS1_25partition_config_selectorILNS1_17partition_subalgoE2ExNS0_10empty_typeEbEEZZNS1_14partition_implILS5_2ELb0ES3_jN6thrust23THRUST_200600_302600_NS6detail15normal_iteratorINSA_7pointerIxNSA_11hip_rocprim3tagENSA_11use_defaultESG_EEEEPS6_NSA_18transform_iteratorI10is_orderedNSA_12zip_iteratorINSA_5tupleINSC_INSA_10device_ptrIxEEEESQ_NSA_9null_typeESR_SR_SR_SR_SR_SR_SR_EEEESG_SG_EENS0_5tupleIJPxSJ_EEENSV_IJSJ_SJ_EEES6_PlJS6_EEE10hipError_tPvRmT3_T4_T5_T6_T7_T9_mT8_P12ihipStream_tbDpT10_ENKUlT_T0_E_clISt17integral_constantIbLb1EES1I_IbLb0EEEEDaS1E_S1F_EUlS1E_E_NS1_11comp_targetILNS1_3genE5ELNS1_11target_archE942ELNS1_3gpuE9ELNS1_3repE0EEENS1_30default_config_static_selectorELNS0_4arch9wavefront6targetE1EEEvT1_ ; -- Begin function _ZN7rocprim17ROCPRIM_400000_NS6detail17trampoline_kernelINS0_14default_configENS1_25partition_config_selectorILNS1_17partition_subalgoE2ExNS0_10empty_typeEbEEZZNS1_14partition_implILS5_2ELb0ES3_jN6thrust23THRUST_200600_302600_NS6detail15normal_iteratorINSA_7pointerIxNSA_11hip_rocprim3tagENSA_11use_defaultESG_EEEEPS6_NSA_18transform_iteratorI10is_orderedNSA_12zip_iteratorINSA_5tupleINSC_INSA_10device_ptrIxEEEESQ_NSA_9null_typeESR_SR_SR_SR_SR_SR_SR_EEEESG_SG_EENS0_5tupleIJPxSJ_EEENSV_IJSJ_SJ_EEES6_PlJS6_EEE10hipError_tPvRmT3_T4_T5_T6_T7_T9_mT8_P12ihipStream_tbDpT10_ENKUlT_T0_E_clISt17integral_constantIbLb1EES1I_IbLb0EEEEDaS1E_S1F_EUlS1E_E_NS1_11comp_targetILNS1_3genE5ELNS1_11target_archE942ELNS1_3gpuE9ELNS1_3repE0EEENS1_30default_config_static_selectorELNS0_4arch9wavefront6targetE1EEEvT1_
	.globl	_ZN7rocprim17ROCPRIM_400000_NS6detail17trampoline_kernelINS0_14default_configENS1_25partition_config_selectorILNS1_17partition_subalgoE2ExNS0_10empty_typeEbEEZZNS1_14partition_implILS5_2ELb0ES3_jN6thrust23THRUST_200600_302600_NS6detail15normal_iteratorINSA_7pointerIxNSA_11hip_rocprim3tagENSA_11use_defaultESG_EEEEPS6_NSA_18transform_iteratorI10is_orderedNSA_12zip_iteratorINSA_5tupleINSC_INSA_10device_ptrIxEEEESQ_NSA_9null_typeESR_SR_SR_SR_SR_SR_SR_EEEESG_SG_EENS0_5tupleIJPxSJ_EEENSV_IJSJ_SJ_EEES6_PlJS6_EEE10hipError_tPvRmT3_T4_T5_T6_T7_T9_mT8_P12ihipStream_tbDpT10_ENKUlT_T0_E_clISt17integral_constantIbLb1EES1I_IbLb0EEEEDaS1E_S1F_EUlS1E_E_NS1_11comp_targetILNS1_3genE5ELNS1_11target_archE942ELNS1_3gpuE9ELNS1_3repE0EEENS1_30default_config_static_selectorELNS0_4arch9wavefront6targetE1EEEvT1_
	.p2align	8
	.type	_ZN7rocprim17ROCPRIM_400000_NS6detail17trampoline_kernelINS0_14default_configENS1_25partition_config_selectorILNS1_17partition_subalgoE2ExNS0_10empty_typeEbEEZZNS1_14partition_implILS5_2ELb0ES3_jN6thrust23THRUST_200600_302600_NS6detail15normal_iteratorINSA_7pointerIxNSA_11hip_rocprim3tagENSA_11use_defaultESG_EEEEPS6_NSA_18transform_iteratorI10is_orderedNSA_12zip_iteratorINSA_5tupleINSC_INSA_10device_ptrIxEEEESQ_NSA_9null_typeESR_SR_SR_SR_SR_SR_SR_EEEESG_SG_EENS0_5tupleIJPxSJ_EEENSV_IJSJ_SJ_EEES6_PlJS6_EEE10hipError_tPvRmT3_T4_T5_T6_T7_T9_mT8_P12ihipStream_tbDpT10_ENKUlT_T0_E_clISt17integral_constantIbLb1EES1I_IbLb0EEEEDaS1E_S1F_EUlS1E_E_NS1_11comp_targetILNS1_3genE5ELNS1_11target_archE942ELNS1_3gpuE9ELNS1_3repE0EEENS1_30default_config_static_selectorELNS0_4arch9wavefront6targetE1EEEvT1_,@function
_ZN7rocprim17ROCPRIM_400000_NS6detail17trampoline_kernelINS0_14default_configENS1_25partition_config_selectorILNS1_17partition_subalgoE2ExNS0_10empty_typeEbEEZZNS1_14partition_implILS5_2ELb0ES3_jN6thrust23THRUST_200600_302600_NS6detail15normal_iteratorINSA_7pointerIxNSA_11hip_rocprim3tagENSA_11use_defaultESG_EEEEPS6_NSA_18transform_iteratorI10is_orderedNSA_12zip_iteratorINSA_5tupleINSC_INSA_10device_ptrIxEEEESQ_NSA_9null_typeESR_SR_SR_SR_SR_SR_SR_EEEESG_SG_EENS0_5tupleIJPxSJ_EEENSV_IJSJ_SJ_EEES6_PlJS6_EEE10hipError_tPvRmT3_T4_T5_T6_T7_T9_mT8_P12ihipStream_tbDpT10_ENKUlT_T0_E_clISt17integral_constantIbLb1EES1I_IbLb0EEEEDaS1E_S1F_EUlS1E_E_NS1_11comp_targetILNS1_3genE5ELNS1_11target_archE942ELNS1_3gpuE9ELNS1_3repE0EEENS1_30default_config_static_selectorELNS0_4arch9wavefront6targetE1EEEvT1_: ; @_ZN7rocprim17ROCPRIM_400000_NS6detail17trampoline_kernelINS0_14default_configENS1_25partition_config_selectorILNS1_17partition_subalgoE2ExNS0_10empty_typeEbEEZZNS1_14partition_implILS5_2ELb0ES3_jN6thrust23THRUST_200600_302600_NS6detail15normal_iteratorINSA_7pointerIxNSA_11hip_rocprim3tagENSA_11use_defaultESG_EEEEPS6_NSA_18transform_iteratorI10is_orderedNSA_12zip_iteratorINSA_5tupleINSC_INSA_10device_ptrIxEEEESQ_NSA_9null_typeESR_SR_SR_SR_SR_SR_SR_EEEESG_SG_EENS0_5tupleIJPxSJ_EEENSV_IJSJ_SJ_EEES6_PlJS6_EEE10hipError_tPvRmT3_T4_T5_T6_T7_T9_mT8_P12ihipStream_tbDpT10_ENKUlT_T0_E_clISt17integral_constantIbLb1EES1I_IbLb0EEEEDaS1E_S1F_EUlS1E_E_NS1_11comp_targetILNS1_3genE5ELNS1_11target_archE942ELNS1_3gpuE9ELNS1_3repE0EEENS1_30default_config_static_selectorELNS0_4arch9wavefront6targetE1EEEvT1_
; %bb.0:
	.section	.rodata,"a",@progbits
	.p2align	6, 0x0
	.amdhsa_kernel _ZN7rocprim17ROCPRIM_400000_NS6detail17trampoline_kernelINS0_14default_configENS1_25partition_config_selectorILNS1_17partition_subalgoE2ExNS0_10empty_typeEbEEZZNS1_14partition_implILS5_2ELb0ES3_jN6thrust23THRUST_200600_302600_NS6detail15normal_iteratorINSA_7pointerIxNSA_11hip_rocprim3tagENSA_11use_defaultESG_EEEEPS6_NSA_18transform_iteratorI10is_orderedNSA_12zip_iteratorINSA_5tupleINSC_INSA_10device_ptrIxEEEESQ_NSA_9null_typeESR_SR_SR_SR_SR_SR_SR_EEEESG_SG_EENS0_5tupleIJPxSJ_EEENSV_IJSJ_SJ_EEES6_PlJS6_EEE10hipError_tPvRmT3_T4_T5_T6_T7_T9_mT8_P12ihipStream_tbDpT10_ENKUlT_T0_E_clISt17integral_constantIbLb1EES1I_IbLb0EEEEDaS1E_S1F_EUlS1E_E_NS1_11comp_targetILNS1_3genE5ELNS1_11target_archE942ELNS1_3gpuE9ELNS1_3repE0EEENS1_30default_config_static_selectorELNS0_4arch9wavefront6targetE1EEEvT1_
		.amdhsa_group_segment_fixed_size 0
		.amdhsa_private_segment_fixed_size 0
		.amdhsa_kernarg_size 136
		.amdhsa_user_sgpr_count 6
		.amdhsa_user_sgpr_private_segment_buffer 1
		.amdhsa_user_sgpr_dispatch_ptr 0
		.amdhsa_user_sgpr_queue_ptr 0
		.amdhsa_user_sgpr_kernarg_segment_ptr 1
		.amdhsa_user_sgpr_dispatch_id 0
		.amdhsa_user_sgpr_flat_scratch_init 0
		.amdhsa_user_sgpr_kernarg_preload_length 0
		.amdhsa_user_sgpr_kernarg_preload_offset 0
		.amdhsa_user_sgpr_private_segment_size 0
		.amdhsa_uses_dynamic_stack 0
		.amdhsa_system_sgpr_private_segment_wavefront_offset 0
		.amdhsa_system_sgpr_workgroup_id_x 1
		.amdhsa_system_sgpr_workgroup_id_y 0
		.amdhsa_system_sgpr_workgroup_id_z 0
		.amdhsa_system_sgpr_workgroup_info 0
		.amdhsa_system_vgpr_workitem_id 0
		.amdhsa_next_free_vgpr 1
		.amdhsa_next_free_sgpr 0
		.amdhsa_accum_offset 4
		.amdhsa_reserve_vcc 0
		.amdhsa_reserve_flat_scratch 0
		.amdhsa_float_round_mode_32 0
		.amdhsa_float_round_mode_16_64 0
		.amdhsa_float_denorm_mode_32 3
		.amdhsa_float_denorm_mode_16_64 3
		.amdhsa_dx10_clamp 1
		.amdhsa_ieee_mode 1
		.amdhsa_fp16_overflow 0
		.amdhsa_tg_split 0
		.amdhsa_exception_fp_ieee_invalid_op 0
		.amdhsa_exception_fp_denorm_src 0
		.amdhsa_exception_fp_ieee_div_zero 0
		.amdhsa_exception_fp_ieee_overflow 0
		.amdhsa_exception_fp_ieee_underflow 0
		.amdhsa_exception_fp_ieee_inexact 0
		.amdhsa_exception_int_div_zero 0
	.end_amdhsa_kernel
	.section	.text._ZN7rocprim17ROCPRIM_400000_NS6detail17trampoline_kernelINS0_14default_configENS1_25partition_config_selectorILNS1_17partition_subalgoE2ExNS0_10empty_typeEbEEZZNS1_14partition_implILS5_2ELb0ES3_jN6thrust23THRUST_200600_302600_NS6detail15normal_iteratorINSA_7pointerIxNSA_11hip_rocprim3tagENSA_11use_defaultESG_EEEEPS6_NSA_18transform_iteratorI10is_orderedNSA_12zip_iteratorINSA_5tupleINSC_INSA_10device_ptrIxEEEESQ_NSA_9null_typeESR_SR_SR_SR_SR_SR_SR_EEEESG_SG_EENS0_5tupleIJPxSJ_EEENSV_IJSJ_SJ_EEES6_PlJS6_EEE10hipError_tPvRmT3_T4_T5_T6_T7_T9_mT8_P12ihipStream_tbDpT10_ENKUlT_T0_E_clISt17integral_constantIbLb1EES1I_IbLb0EEEEDaS1E_S1F_EUlS1E_E_NS1_11comp_targetILNS1_3genE5ELNS1_11target_archE942ELNS1_3gpuE9ELNS1_3repE0EEENS1_30default_config_static_selectorELNS0_4arch9wavefront6targetE1EEEvT1_,"axG",@progbits,_ZN7rocprim17ROCPRIM_400000_NS6detail17trampoline_kernelINS0_14default_configENS1_25partition_config_selectorILNS1_17partition_subalgoE2ExNS0_10empty_typeEbEEZZNS1_14partition_implILS5_2ELb0ES3_jN6thrust23THRUST_200600_302600_NS6detail15normal_iteratorINSA_7pointerIxNSA_11hip_rocprim3tagENSA_11use_defaultESG_EEEEPS6_NSA_18transform_iteratorI10is_orderedNSA_12zip_iteratorINSA_5tupleINSC_INSA_10device_ptrIxEEEESQ_NSA_9null_typeESR_SR_SR_SR_SR_SR_SR_EEEESG_SG_EENS0_5tupleIJPxSJ_EEENSV_IJSJ_SJ_EEES6_PlJS6_EEE10hipError_tPvRmT3_T4_T5_T6_T7_T9_mT8_P12ihipStream_tbDpT10_ENKUlT_T0_E_clISt17integral_constantIbLb1EES1I_IbLb0EEEEDaS1E_S1F_EUlS1E_E_NS1_11comp_targetILNS1_3genE5ELNS1_11target_archE942ELNS1_3gpuE9ELNS1_3repE0EEENS1_30default_config_static_selectorELNS0_4arch9wavefront6targetE1EEEvT1_,comdat
.Lfunc_end3579:
	.size	_ZN7rocprim17ROCPRIM_400000_NS6detail17trampoline_kernelINS0_14default_configENS1_25partition_config_selectorILNS1_17partition_subalgoE2ExNS0_10empty_typeEbEEZZNS1_14partition_implILS5_2ELb0ES3_jN6thrust23THRUST_200600_302600_NS6detail15normal_iteratorINSA_7pointerIxNSA_11hip_rocprim3tagENSA_11use_defaultESG_EEEEPS6_NSA_18transform_iteratorI10is_orderedNSA_12zip_iteratorINSA_5tupleINSC_INSA_10device_ptrIxEEEESQ_NSA_9null_typeESR_SR_SR_SR_SR_SR_SR_EEEESG_SG_EENS0_5tupleIJPxSJ_EEENSV_IJSJ_SJ_EEES6_PlJS6_EEE10hipError_tPvRmT3_T4_T5_T6_T7_T9_mT8_P12ihipStream_tbDpT10_ENKUlT_T0_E_clISt17integral_constantIbLb1EES1I_IbLb0EEEEDaS1E_S1F_EUlS1E_E_NS1_11comp_targetILNS1_3genE5ELNS1_11target_archE942ELNS1_3gpuE9ELNS1_3repE0EEENS1_30default_config_static_selectorELNS0_4arch9wavefront6targetE1EEEvT1_, .Lfunc_end3579-_ZN7rocprim17ROCPRIM_400000_NS6detail17trampoline_kernelINS0_14default_configENS1_25partition_config_selectorILNS1_17partition_subalgoE2ExNS0_10empty_typeEbEEZZNS1_14partition_implILS5_2ELb0ES3_jN6thrust23THRUST_200600_302600_NS6detail15normal_iteratorINSA_7pointerIxNSA_11hip_rocprim3tagENSA_11use_defaultESG_EEEEPS6_NSA_18transform_iteratorI10is_orderedNSA_12zip_iteratorINSA_5tupleINSC_INSA_10device_ptrIxEEEESQ_NSA_9null_typeESR_SR_SR_SR_SR_SR_SR_EEEESG_SG_EENS0_5tupleIJPxSJ_EEENSV_IJSJ_SJ_EEES6_PlJS6_EEE10hipError_tPvRmT3_T4_T5_T6_T7_T9_mT8_P12ihipStream_tbDpT10_ENKUlT_T0_E_clISt17integral_constantIbLb1EES1I_IbLb0EEEEDaS1E_S1F_EUlS1E_E_NS1_11comp_targetILNS1_3genE5ELNS1_11target_archE942ELNS1_3gpuE9ELNS1_3repE0EEENS1_30default_config_static_selectorELNS0_4arch9wavefront6targetE1EEEvT1_
                                        ; -- End function
	.section	.AMDGPU.csdata,"",@progbits
; Kernel info:
; codeLenInByte = 0
; NumSgprs: 4
; NumVgprs: 0
; NumAgprs: 0
; TotalNumVgprs: 0
; ScratchSize: 0
; MemoryBound: 0
; FloatMode: 240
; IeeeMode: 1
; LDSByteSize: 0 bytes/workgroup (compile time only)
; SGPRBlocks: 0
; VGPRBlocks: 0
; NumSGPRsForWavesPerEU: 4
; NumVGPRsForWavesPerEU: 1
; AccumOffset: 4
; Occupancy: 8
; WaveLimiterHint : 0
; COMPUTE_PGM_RSRC2:SCRATCH_EN: 0
; COMPUTE_PGM_RSRC2:USER_SGPR: 6
; COMPUTE_PGM_RSRC2:TRAP_HANDLER: 0
; COMPUTE_PGM_RSRC2:TGID_X_EN: 1
; COMPUTE_PGM_RSRC2:TGID_Y_EN: 0
; COMPUTE_PGM_RSRC2:TGID_Z_EN: 0
; COMPUTE_PGM_RSRC2:TIDIG_COMP_CNT: 0
; COMPUTE_PGM_RSRC3_GFX90A:ACCUM_OFFSET: 0
; COMPUTE_PGM_RSRC3_GFX90A:TG_SPLIT: 0
	.section	.text._ZN7rocprim17ROCPRIM_400000_NS6detail17trampoline_kernelINS0_14default_configENS1_25partition_config_selectorILNS1_17partition_subalgoE2ExNS0_10empty_typeEbEEZZNS1_14partition_implILS5_2ELb0ES3_jN6thrust23THRUST_200600_302600_NS6detail15normal_iteratorINSA_7pointerIxNSA_11hip_rocprim3tagENSA_11use_defaultESG_EEEEPS6_NSA_18transform_iteratorI10is_orderedNSA_12zip_iteratorINSA_5tupleINSC_INSA_10device_ptrIxEEEESQ_NSA_9null_typeESR_SR_SR_SR_SR_SR_SR_EEEESG_SG_EENS0_5tupleIJPxSJ_EEENSV_IJSJ_SJ_EEES6_PlJS6_EEE10hipError_tPvRmT3_T4_T5_T6_T7_T9_mT8_P12ihipStream_tbDpT10_ENKUlT_T0_E_clISt17integral_constantIbLb1EES1I_IbLb0EEEEDaS1E_S1F_EUlS1E_E_NS1_11comp_targetILNS1_3genE4ELNS1_11target_archE910ELNS1_3gpuE8ELNS1_3repE0EEENS1_30default_config_static_selectorELNS0_4arch9wavefront6targetE1EEEvT1_,"axG",@progbits,_ZN7rocprim17ROCPRIM_400000_NS6detail17trampoline_kernelINS0_14default_configENS1_25partition_config_selectorILNS1_17partition_subalgoE2ExNS0_10empty_typeEbEEZZNS1_14partition_implILS5_2ELb0ES3_jN6thrust23THRUST_200600_302600_NS6detail15normal_iteratorINSA_7pointerIxNSA_11hip_rocprim3tagENSA_11use_defaultESG_EEEEPS6_NSA_18transform_iteratorI10is_orderedNSA_12zip_iteratorINSA_5tupleINSC_INSA_10device_ptrIxEEEESQ_NSA_9null_typeESR_SR_SR_SR_SR_SR_SR_EEEESG_SG_EENS0_5tupleIJPxSJ_EEENSV_IJSJ_SJ_EEES6_PlJS6_EEE10hipError_tPvRmT3_T4_T5_T6_T7_T9_mT8_P12ihipStream_tbDpT10_ENKUlT_T0_E_clISt17integral_constantIbLb1EES1I_IbLb0EEEEDaS1E_S1F_EUlS1E_E_NS1_11comp_targetILNS1_3genE4ELNS1_11target_archE910ELNS1_3gpuE8ELNS1_3repE0EEENS1_30default_config_static_selectorELNS0_4arch9wavefront6targetE1EEEvT1_,comdat
	.protected	_ZN7rocprim17ROCPRIM_400000_NS6detail17trampoline_kernelINS0_14default_configENS1_25partition_config_selectorILNS1_17partition_subalgoE2ExNS0_10empty_typeEbEEZZNS1_14partition_implILS5_2ELb0ES3_jN6thrust23THRUST_200600_302600_NS6detail15normal_iteratorINSA_7pointerIxNSA_11hip_rocprim3tagENSA_11use_defaultESG_EEEEPS6_NSA_18transform_iteratorI10is_orderedNSA_12zip_iteratorINSA_5tupleINSC_INSA_10device_ptrIxEEEESQ_NSA_9null_typeESR_SR_SR_SR_SR_SR_SR_EEEESG_SG_EENS0_5tupleIJPxSJ_EEENSV_IJSJ_SJ_EEES6_PlJS6_EEE10hipError_tPvRmT3_T4_T5_T6_T7_T9_mT8_P12ihipStream_tbDpT10_ENKUlT_T0_E_clISt17integral_constantIbLb1EES1I_IbLb0EEEEDaS1E_S1F_EUlS1E_E_NS1_11comp_targetILNS1_3genE4ELNS1_11target_archE910ELNS1_3gpuE8ELNS1_3repE0EEENS1_30default_config_static_selectorELNS0_4arch9wavefront6targetE1EEEvT1_ ; -- Begin function _ZN7rocprim17ROCPRIM_400000_NS6detail17trampoline_kernelINS0_14default_configENS1_25partition_config_selectorILNS1_17partition_subalgoE2ExNS0_10empty_typeEbEEZZNS1_14partition_implILS5_2ELb0ES3_jN6thrust23THRUST_200600_302600_NS6detail15normal_iteratorINSA_7pointerIxNSA_11hip_rocprim3tagENSA_11use_defaultESG_EEEEPS6_NSA_18transform_iteratorI10is_orderedNSA_12zip_iteratorINSA_5tupleINSC_INSA_10device_ptrIxEEEESQ_NSA_9null_typeESR_SR_SR_SR_SR_SR_SR_EEEESG_SG_EENS0_5tupleIJPxSJ_EEENSV_IJSJ_SJ_EEES6_PlJS6_EEE10hipError_tPvRmT3_T4_T5_T6_T7_T9_mT8_P12ihipStream_tbDpT10_ENKUlT_T0_E_clISt17integral_constantIbLb1EES1I_IbLb0EEEEDaS1E_S1F_EUlS1E_E_NS1_11comp_targetILNS1_3genE4ELNS1_11target_archE910ELNS1_3gpuE8ELNS1_3repE0EEENS1_30default_config_static_selectorELNS0_4arch9wavefront6targetE1EEEvT1_
	.globl	_ZN7rocprim17ROCPRIM_400000_NS6detail17trampoline_kernelINS0_14default_configENS1_25partition_config_selectorILNS1_17partition_subalgoE2ExNS0_10empty_typeEbEEZZNS1_14partition_implILS5_2ELb0ES3_jN6thrust23THRUST_200600_302600_NS6detail15normal_iteratorINSA_7pointerIxNSA_11hip_rocprim3tagENSA_11use_defaultESG_EEEEPS6_NSA_18transform_iteratorI10is_orderedNSA_12zip_iteratorINSA_5tupleINSC_INSA_10device_ptrIxEEEESQ_NSA_9null_typeESR_SR_SR_SR_SR_SR_SR_EEEESG_SG_EENS0_5tupleIJPxSJ_EEENSV_IJSJ_SJ_EEES6_PlJS6_EEE10hipError_tPvRmT3_T4_T5_T6_T7_T9_mT8_P12ihipStream_tbDpT10_ENKUlT_T0_E_clISt17integral_constantIbLb1EES1I_IbLb0EEEEDaS1E_S1F_EUlS1E_E_NS1_11comp_targetILNS1_3genE4ELNS1_11target_archE910ELNS1_3gpuE8ELNS1_3repE0EEENS1_30default_config_static_selectorELNS0_4arch9wavefront6targetE1EEEvT1_
	.p2align	8
	.type	_ZN7rocprim17ROCPRIM_400000_NS6detail17trampoline_kernelINS0_14default_configENS1_25partition_config_selectorILNS1_17partition_subalgoE2ExNS0_10empty_typeEbEEZZNS1_14partition_implILS5_2ELb0ES3_jN6thrust23THRUST_200600_302600_NS6detail15normal_iteratorINSA_7pointerIxNSA_11hip_rocprim3tagENSA_11use_defaultESG_EEEEPS6_NSA_18transform_iteratorI10is_orderedNSA_12zip_iteratorINSA_5tupleINSC_INSA_10device_ptrIxEEEESQ_NSA_9null_typeESR_SR_SR_SR_SR_SR_SR_EEEESG_SG_EENS0_5tupleIJPxSJ_EEENSV_IJSJ_SJ_EEES6_PlJS6_EEE10hipError_tPvRmT3_T4_T5_T6_T7_T9_mT8_P12ihipStream_tbDpT10_ENKUlT_T0_E_clISt17integral_constantIbLb1EES1I_IbLb0EEEEDaS1E_S1F_EUlS1E_E_NS1_11comp_targetILNS1_3genE4ELNS1_11target_archE910ELNS1_3gpuE8ELNS1_3repE0EEENS1_30default_config_static_selectorELNS0_4arch9wavefront6targetE1EEEvT1_,@function
_ZN7rocprim17ROCPRIM_400000_NS6detail17trampoline_kernelINS0_14default_configENS1_25partition_config_selectorILNS1_17partition_subalgoE2ExNS0_10empty_typeEbEEZZNS1_14partition_implILS5_2ELb0ES3_jN6thrust23THRUST_200600_302600_NS6detail15normal_iteratorINSA_7pointerIxNSA_11hip_rocprim3tagENSA_11use_defaultESG_EEEEPS6_NSA_18transform_iteratorI10is_orderedNSA_12zip_iteratorINSA_5tupleINSC_INSA_10device_ptrIxEEEESQ_NSA_9null_typeESR_SR_SR_SR_SR_SR_SR_EEEESG_SG_EENS0_5tupleIJPxSJ_EEENSV_IJSJ_SJ_EEES6_PlJS6_EEE10hipError_tPvRmT3_T4_T5_T6_T7_T9_mT8_P12ihipStream_tbDpT10_ENKUlT_T0_E_clISt17integral_constantIbLb1EES1I_IbLb0EEEEDaS1E_S1F_EUlS1E_E_NS1_11comp_targetILNS1_3genE4ELNS1_11target_archE910ELNS1_3gpuE8ELNS1_3repE0EEENS1_30default_config_static_selectorELNS0_4arch9wavefront6targetE1EEEvT1_: ; @_ZN7rocprim17ROCPRIM_400000_NS6detail17trampoline_kernelINS0_14default_configENS1_25partition_config_selectorILNS1_17partition_subalgoE2ExNS0_10empty_typeEbEEZZNS1_14partition_implILS5_2ELb0ES3_jN6thrust23THRUST_200600_302600_NS6detail15normal_iteratorINSA_7pointerIxNSA_11hip_rocprim3tagENSA_11use_defaultESG_EEEEPS6_NSA_18transform_iteratorI10is_orderedNSA_12zip_iteratorINSA_5tupleINSC_INSA_10device_ptrIxEEEESQ_NSA_9null_typeESR_SR_SR_SR_SR_SR_SR_EEEESG_SG_EENS0_5tupleIJPxSJ_EEENSV_IJSJ_SJ_EEES6_PlJS6_EEE10hipError_tPvRmT3_T4_T5_T6_T7_T9_mT8_P12ihipStream_tbDpT10_ENKUlT_T0_E_clISt17integral_constantIbLb1EES1I_IbLb0EEEEDaS1E_S1F_EUlS1E_E_NS1_11comp_targetILNS1_3genE4ELNS1_11target_archE910ELNS1_3gpuE8ELNS1_3repE0EEENS1_30default_config_static_selectorELNS0_4arch9wavefront6targetE1EEEvT1_
; %bb.0:
	s_load_dwordx4 s[24:27], s[4:5], 0x8
	s_load_dwordx4 s[20:23], s[4:5], 0x58
	s_load_dwordx2 s[28:29], s[4:5], 0x68
	s_load_dword s0, s[4:5], 0x80
	v_lshlrev_b32_e32 v1, 3, v0
	s_waitcnt lgkmcnt(0)
	s_lshl_b64 s[2:3], s[26:27], 3
	s_add_u32 s7, s24, s2
	s_addc_u32 s8, s25, s3
	s_add_i32 s9, s0, -1
	s_mulk_i32 s0, 0x300
	s_add_i32 s1, s0, s26
	s_sub_i32 s33, s28, s1
	s_addk_i32 s33, 0x300
	s_add_u32 s0, s26, s0
	s_addc_u32 s1, s27, 0
	s_cmp_eq_u32 s6, s9
	s_load_dwordx2 s[30:31], s[22:23], 0x0
	v_pk_mov_b32 v[2:3], s[28:29], s[28:29] op_sel:[0,1]
	s_cselect_b64 s[22:23], -1, 0
	s_cmp_lg_u32 s6, s9
	s_mul_i32 s24, s6, 0x300
	s_mov_b32 s25, 0
	v_cmp_lt_u64_e32 vcc, s[0:1], v[2:3]
	s_cselect_b64 s[0:1], -1, 0
	s_or_b64 s[34:35], s[0:1], vcc
	s_lshl_b64 s[12:13], s[24:25], 3
	s_add_u32 s7, s7, s12
	s_addc_u32 s16, s8, s13
	s_mov_b64 s[0:1], -1
	s_and_b64 vcc, exec, s[34:35]
	v_lshrrev_b32_e32 v10, 2, v0
	s_cbranch_vccz .LBB3580_2
; %bb.1:
	v_mov_b32_e32 v3, s16
	v_add_co_u32_e32 v2, vcc, s7, v1
	v_addc_co_u32_e32 v3, vcc, 0, v3, vcc
	v_add_co_u32_e32 v4, vcc, 0x1000, v2
	v_addc_co_u32_e32 v5, vcc, 0, v3, vcc
	flat_load_dwordx2 v[6:7], v[2:3]
	flat_load_dwordx2 v[8:9], v[2:3] offset:1536
	flat_load_dwordx2 v[12:13], v[2:3] offset:3072
	;; [unrolled: 1-line block ×3, first 2 shown]
	v_add_u32_e32 v3, 0xc0, v0
	v_add_u32_e32 v4, 0x180, v0
	;; [unrolled: 1-line block ×3, first 2 shown]
	v_and_b32_e32 v2, 56, v10
	v_lshrrev_b32_e32 v3, 2, v3
	v_lshrrev_b32_e32 v4, 2, v4
	;; [unrolled: 1-line block ×3, first 2 shown]
	v_add_u32_e32 v2, v2, v1
	v_and_b32_e32 v3, 0x78, v3
	v_and_b32_e32 v4, 0xf8, v4
	;; [unrolled: 1-line block ×3, first 2 shown]
	v_add_u32_e32 v3, v3, v1
	v_add_u32_e32 v4, v4, v1
	;; [unrolled: 1-line block ×3, first 2 shown]
	s_mov_b64 s[0:1], 0
	s_waitcnt vmcnt(0) lgkmcnt(0)
	ds_write_b64 v2, v[6:7]
	ds_write_b64 v3, v[8:9] offset:1536
	ds_write_b64 v4, v[12:13] offset:3072
	;; [unrolled: 1-line block ×3, first 2 shown]
	s_waitcnt lgkmcnt(0)
	s_barrier
.LBB3580_2:
	s_load_dwordx4 s[8:11], s[4:5], 0x20
	s_andn2_b64 vcc, exec, s[0:1]
	v_cmp_gt_u32_e64 s[0:1], s33, v0
	s_cbranch_vccnz .LBB3580_12
; %bb.3:
                                        ; implicit-def: $vgpr2_vgpr3_vgpr4_vgpr5_vgpr6_vgpr7_vgpr8_vgpr9
	s_and_saveexec_b64 s[14:15], s[0:1]
	s_cbranch_execz .LBB3580_5
; %bb.4:
	v_mov_b32_e32 v3, s16
	v_add_co_u32_e32 v2, vcc, s7, v1
	v_addc_co_u32_e32 v3, vcc, 0, v3, vcc
	flat_load_dwordx2 v[2:3], v[2:3]
.LBB3580_5:
	s_or_b64 exec, exec, s[14:15]
	v_add_u32_e32 v11, 0xc0, v0
	v_cmp_gt_u32_e32 vcc, s33, v11
	s_and_saveexec_b64 s[0:1], vcc
	s_cbranch_execz .LBB3580_7
; %bb.6:
	v_mov_b32_e32 v5, s16
	v_add_co_u32_e32 v4, vcc, s7, v1
	v_addc_co_u32_e32 v5, vcc, 0, v5, vcc
	flat_load_dwordx2 v[4:5], v[4:5] offset:1536
.LBB3580_7:
	s_or_b64 exec, exec, s[0:1]
	v_add_u32_e32 v12, 0x180, v0
	v_cmp_gt_u32_e32 vcc, s33, v12
	s_and_saveexec_b64 s[0:1], vcc
	s_cbranch_execz .LBB3580_9
; %bb.8:
	v_mov_b32_e32 v7, s16
	v_add_co_u32_e32 v6, vcc, s7, v1
	v_addc_co_u32_e32 v7, vcc, 0, v7, vcc
	flat_load_dwordx2 v[6:7], v[6:7] offset:3072
.LBB3580_9:
	s_or_b64 exec, exec, s[0:1]
	v_add_u32_e32 v13, 0x240, v0
	v_cmp_gt_u32_e32 vcc, s33, v13
	s_and_saveexec_b64 s[0:1], vcc
	s_cbranch_execz .LBB3580_11
; %bb.10:
	v_lshlrev_b32_e32 v8, 3, v13
	v_mov_b32_e32 v9, s16
	v_add_co_u32_e32 v8, vcc, s7, v8
	v_addc_co_u32_e32 v9, vcc, 0, v9, vcc
	flat_load_dwordx2 v[8:9], v[8:9]
.LBB3580_11:
	s_or_b64 exec, exec, s[0:1]
	v_and_b32_e32 v10, 56, v10
	v_add_u32_e32 v10, v10, v1
	s_waitcnt vmcnt(0) lgkmcnt(0)
	ds_write_b64 v10, v[2:3]
	v_lshrrev_b32_e32 v2, 2, v11
	v_and_b32_e32 v2, 0x78, v2
	v_add_u32_e32 v2, v2, v1
	ds_write_b64 v2, v[4:5] offset:1536
	v_lshrrev_b32_e32 v2, 2, v12
	v_and_b32_e32 v2, 0xf8, v2
	v_add_u32_e32 v2, v2, v1
	ds_write_b64 v2, v[6:7] offset:3072
	;; [unrolled: 4-line block ×3, first 2 shown]
	s_waitcnt lgkmcnt(0)
	s_barrier
.LBB3580_12:
	s_waitcnt lgkmcnt(0)
	s_add_u32 s0, s8, s2
	s_addc_u32 s1, s9, s3
	v_lshlrev_b32_e32 v20, 2, v0
	v_lshrrev_b32_e32 v10, 3, v0
	s_add_u32 s2, s10, s2
	v_add_lshl_u32 v2, v10, v20, 3
	s_addc_u32 s3, s11, s3
	ds_read2_b64 v[6:9], v2 offset1:1
	ds_read2_b64 v[2:5], v2 offset0:2 offset1:3
	s_add_u32 s0, s0, s12
	s_addc_u32 s1, s1, s13
	s_add_u32 s2, s2, s12
	s_addc_u32 s3, s3, s13
	s_mov_b64 s[8:9], -1
	s_and_b64 vcc, exec, s[34:35]
	v_lshrrev_b32_e32 v11, 5, v0
	s_waitcnt lgkmcnt(0)
	s_barrier
	s_cbranch_vccz .LBB3580_14
; %bb.13:
	v_mov_b32_e32 v12, s1
	v_add_co_u32_e32 v21, vcc, s0, v1
	v_addc_co_u32_e32 v27, vcc, 0, v12, vcc
	v_mov_b32_e32 v12, s3
	v_add_co_u32_e32 v28, vcc, s2, v1
	v_addc_co_u32_e32 v29, vcc, 0, v12, vcc
	s_movk_i32 s7, 0x1000
	v_add_co_u32_e32 v26, vcc, s7, v21
	v_addc_co_u32_e32 v27, vcc, 0, v27, vcc
	v_add_co_u32_e32 v28, vcc, s7, v28
	global_load_dwordx2 v[12:13], v1, s[0:1]
	global_load_dwordx2 v[14:15], v1, s[0:1] offset:1536
	global_load_dwordx2 v[16:17], v1, s[2:3]
	global_load_dwordx2 v[18:19], v1, s[0:1] offset:3072
	global_load_dwordx2 v[22:23], v1, s[2:3] offset:1536
	;; [unrolled: 1-line block ×3, first 2 shown]
	v_addc_co_u32_e32 v29, vcc, 0, v29, vcc
	global_load_dwordx2 v[26:27], v[26:27], off offset:512
	v_add_u32_e32 v30, 0xc0, v0
	global_load_dwordx2 v[28:29], v[28:29], off offset:512
	v_add_u32_e32 v31, 0x180, v0
	v_add_u32_e32 v32, 0x240, v0
	v_and_b32_e32 v21, 4, v11
	v_lshrrev_b32_e32 v30, 5, v30
	v_lshrrev_b32_e32 v31, 5, v31
	;; [unrolled: 1-line block ×3, first 2 shown]
	v_add_u32_e32 v21, v21, v0
	v_and_b32_e32 v30, 12, v30
	v_and_b32_e32 v31, 28, v31
	;; [unrolled: 1-line block ×3, first 2 shown]
	v_add_u32_e32 v30, v30, v0
	v_add_u32_e32 v31, v31, v0
	;; [unrolled: 1-line block ×3, first 2 shown]
	s_mov_b64 s[8:9], 0
	s_waitcnt vmcnt(5)
	v_cmp_le_i64_e32 vcc, v[12:13], v[16:17]
	v_cndmask_b32_e64 v12, 0, 1, vcc
	s_waitcnt vmcnt(3)
	v_cmp_le_i64_e32 vcc, v[14:15], v[22:23]
	v_cndmask_b32_e64 v13, 0, 1, vcc
	;; [unrolled: 3-line block ×3, first 2 shown]
	ds_write_b8 v21, v12
	ds_write_b8 v30, v13 offset:192
	ds_write_b8 v31, v14 offset:384
	s_waitcnt vmcnt(0)
	v_cmp_le_i64_e32 vcc, v[26:27], v[28:29]
	v_cndmask_b32_e64 v12, 0, 1, vcc
	ds_write_b8 v32, v12 offset:576
	s_waitcnt lgkmcnt(0)
	s_barrier
.LBB3580_14:
	s_load_dwordx2 s[36:37], s[4:5], 0x78
	s_andn2_b64 vcc, exec, s[8:9]
	s_cbranch_vccnz .LBB3580_24
; %bb.15:
	v_cmp_gt_u32_e32 vcc, s33, v0
	v_mov_b32_e32 v12, 0
	v_mov_b32_e32 v13, 0
	s_and_saveexec_b64 s[8:9], vcc
	s_cbranch_execz .LBB3580_17
; %bb.16:
	global_load_dwordx2 v[14:15], v1, s[0:1]
	global_load_dwordx2 v[16:17], v1, s[2:3]
	s_waitcnt vmcnt(0)
	v_cmp_le_i64_e32 vcc, v[14:15], v[16:17]
	v_cndmask_b32_e64 v13, 0, 1, vcc
.LBB3580_17:
	s_or_b64 exec, exec, s[8:9]
	v_add_u32_e32 v14, 0xc0, v0
	v_cmp_gt_u32_e32 vcc, s33, v14
	s_and_saveexec_b64 s[8:9], vcc
	s_cbranch_execz .LBB3580_19
; %bb.18:
	global_load_dwordx2 v[16:17], v1, s[0:1] offset:1536
	global_load_dwordx2 v[18:19], v1, s[2:3] offset:1536
	s_waitcnt vmcnt(0)
	v_cmp_le_i64_e32 vcc, v[16:17], v[18:19]
	v_cndmask_b32_e64 v12, 0, 1, vcc
.LBB3580_19:
	s_or_b64 exec, exec, s[8:9]
	v_add_u32_e32 v15, 0x180, v0
	v_cmp_gt_u32_e32 vcc, s33, v15
	v_mov_b32_e32 v16, 0
	v_mov_b32_e32 v17, 0
	s_and_saveexec_b64 s[8:9], vcc
	s_cbranch_execz .LBB3580_21
; %bb.20:
	global_load_dwordx2 v[18:19], v1, s[0:1] offset:3072
	global_load_dwordx2 v[22:23], v1, s[2:3] offset:3072
	s_waitcnt vmcnt(0)
	v_cmp_le_i64_e32 vcc, v[18:19], v[22:23]
	v_cndmask_b32_e64 v17, 0, 1, vcc
.LBB3580_21:
	s_or_b64 exec, exec, s[8:9]
	v_add_u32_e32 v18, 0x240, v0
	v_cmp_gt_u32_e32 vcc, s33, v18
	s_and_saveexec_b64 s[8:9], vcc
	s_cbranch_execz .LBB3580_23
; %bb.22:
	v_lshlrev_b32_e32 v16, 3, v18
	global_load_dwordx2 v[22:23], v16, s[0:1]
	global_load_dwordx2 v[24:25], v16, s[2:3]
	s_waitcnt vmcnt(0)
	v_cmp_le_i64_e32 vcc, v[22:23], v[24:25]
	v_cndmask_b32_e64 v16, 0, 1, vcc
.LBB3580_23:
	s_or_b64 exec, exec, s[8:9]
	v_and_b32_e32 v11, 4, v11
	v_add_u32_e32 v11, v11, v0
	ds_write_b8 v11, v13
	v_lshrrev_b32_e32 v11, 5, v14
	v_and_b32_e32 v11, 12, v11
	v_add_u32_e32 v11, v11, v0
	ds_write_b8 v11, v12 offset:192
	v_lshrrev_b32_e32 v11, 5, v15
	v_and_b32_e32 v11, 28, v11
	v_add_u32_e32 v11, v11, v0
	ds_write_b8 v11, v17 offset:384
	v_lshrrev_b32_e32 v11, 5, v18
	v_and_b32_e32 v11, 28, v11
	v_add_u32_e32 v11, v11, v0
	ds_write_b8 v11, v16 offset:576
	s_waitcnt lgkmcnt(0)
	s_barrier
.LBB3580_24:
	v_and_b32_e32 v10, 28, v10
	v_add_u32_e32 v10, v10, v20
	s_waitcnt lgkmcnt(0)
	ds_read_b32 v22, v10
	s_cmp_lg_u32 s6, 0
	v_lshrrev_b32_e32 v25, 6, v0
	s_waitcnt lgkmcnt(0)
	s_barrier
	v_lshrrev_b32_e32 v21, 24, v22
	v_bfe_u32 v23, v22, 16, 8
	v_add_u32_sdwa v10, v22, v22 dst_sel:DWORD dst_unused:UNUSED_PAD src0_sel:BYTE_1 src1_sel:BYTE_0
	v_add3_u32 v26, v10, v23, v21
	v_mbcnt_lo_u32_b32 v10, -1, 0
	v_mbcnt_hi_u32_b32 v24, -1, v10
	v_and_b32_e32 v10, 15, v24
	v_cmp_eq_u32_e64 s[14:15], 0, v10
	v_cmp_lt_u32_e64 s[12:13], 1, v10
	v_cmp_lt_u32_e64 s[10:11], 3, v10
	;; [unrolled: 1-line block ×3, first 2 shown]
	v_and_b32_e32 v10, 16, v24
	v_cmp_eq_u32_e64 s[2:3], 0, v10
	v_and_b32_e32 v10, 0xc0, v0
	v_min_u32_e32 v10, 0x80, v10
	v_or_b32_e32 v10, 63, v10
	v_cmp_lt_u32_e64 s[0:1], 31, v24
	v_cmp_eq_u32_e64 s[18:19], v10, v0
	s_cbranch_scc0 .LBB3580_55
; %bb.25:
	v_mov_b32_dpp v10, v26 row_shr:1 row_mask:0xf bank_mask:0xf
	v_cndmask_b32_e64 v10, v10, 0, s[14:15]
	v_add_u32_e32 v10, v10, v26
	s_nop 1
	v_mov_b32_dpp v11, v10 row_shr:2 row_mask:0xf bank_mask:0xf
	v_cndmask_b32_e64 v11, 0, v11, s[12:13]
	v_add_u32_e32 v10, v10, v11
	s_nop 1
	;; [unrolled: 4-line block ×4, first 2 shown]
	v_mov_b32_dpp v11, v10 row_bcast:15 row_mask:0xf bank_mask:0xf
	v_cndmask_b32_e64 v11, v11, 0, s[2:3]
	v_add_u32_e32 v10, v10, v11
	s_nop 1
	v_mov_b32_dpp v11, v10 row_bcast:31 row_mask:0xf bank_mask:0xf
	v_cndmask_b32_e64 v11, 0, v11, s[0:1]
	v_add_u32_e32 v10, v10, v11
	s_and_saveexec_b64 s[16:17], s[18:19]
	s_cbranch_execz .LBB3580_27
; %bb.26:
	v_lshlrev_b32_e32 v11, 2, v25
	ds_write_b32 v11, v10
.LBB3580_27:
	s_or_b64 exec, exec, s[16:17]
	v_cmp_gt_u32_e32 vcc, 3, v0
	s_waitcnt lgkmcnt(0)
	s_barrier
	s_and_saveexec_b64 s[16:17], vcc
	s_cbranch_execz .LBB3580_29
; %bb.28:
	ds_read_b32 v11, v20
	v_and_b32_e32 v12, 3, v24
	v_cmp_ne_u32_e32 vcc, 0, v12
	s_waitcnt lgkmcnt(0)
	v_mov_b32_dpp v13, v11 row_shr:1 row_mask:0xf bank_mask:0xf
	v_cndmask_b32_e32 v13, 0, v13, vcc
	v_add_u32_e32 v11, v13, v11
	v_cmp_lt_u32_e32 vcc, 1, v12
	s_nop 0
	v_mov_b32_dpp v13, v11 row_shr:2 row_mask:0xf bank_mask:0xf
	v_cndmask_b32_e32 v12, 0, v13, vcc
	v_add_u32_e32 v11, v11, v12
	ds_write_b32 v20, v11
.LBB3580_29:
	s_or_b64 exec, exec, s[16:17]
	v_cmp_gt_u32_e32 vcc, 64, v0
	v_cmp_lt_u32_e64 s[16:17], 63, v0
	s_waitcnt lgkmcnt(0)
	s_barrier
	s_waitcnt lgkmcnt(0)
                                        ; implicit-def: $vgpr27
	s_and_saveexec_b64 s[38:39], s[16:17]
	s_cbranch_execz .LBB3580_31
; %bb.30:
	v_lshl_add_u32 v11, v25, 2, -4
	ds_read_b32 v27, v11
	s_waitcnt lgkmcnt(0)
	v_add_u32_e32 v10, v27, v10
.LBB3580_31:
	s_or_b64 exec, exec, s[38:39]
	v_add_u32_e32 v11, -1, v24
	v_and_b32_e32 v12, 64, v24
	v_cmp_lt_i32_e64 s[16:17], v11, v12
	v_cndmask_b32_e64 v11, v11, v24, s[16:17]
	v_lshlrev_b32_e32 v11, 2, v11
	ds_bpermute_b32 v28, v11, v10
	v_cmp_eq_u32_e64 s[16:17], 0, v24
	s_and_saveexec_b64 s[38:39], vcc
	s_cbranch_execz .LBB3580_54
; %bb.32:
	v_mov_b32_e32 v19, 0
	ds_read_b32 v10, v19 offset:8
	s_and_saveexec_b64 s[40:41], s[16:17]
	s_cbranch_execz .LBB3580_34
; %bb.33:
	s_add_i32 s42, s6, 64
	s_mov_b32 s43, 0
	s_lshl_b64 s[42:43], s[42:43], 3
	s_add_u32 s42, s36, s42
	v_mov_b32_e32 v11, 1
	s_addc_u32 s43, s37, s43
	s_waitcnt lgkmcnt(0)
	global_store_dwordx2 v19, v[10:11], s[42:43]
.LBB3580_34:
	s_or_b64 exec, exec, s[40:41]
	v_xad_u32 v12, v24, -1, s6
	v_add_u32_e32 v18, 64, v12
	v_lshlrev_b64 v[14:15], 3, v[18:19]
	v_mov_b32_e32 v11, s37
	v_add_co_u32_e32 v14, vcc, s36, v14
	v_addc_co_u32_e32 v15, vcc, v11, v15, vcc
	global_load_dwordx2 v[16:17], v[14:15], off glc
	s_waitcnt vmcnt(0)
	v_cmp_eq_u16_sdwa s[42:43], v17, v19 src0_sel:BYTE_0 src1_sel:DWORD
	s_and_saveexec_b64 s[40:41], s[42:43]
	s_cbranch_execz .LBB3580_40
; %bb.35:
	s_mov_b32 s7, 1
	s_mov_b64 s[42:43], 0
	v_mov_b32_e32 v11, 0
.LBB3580_36:                            ; =>This Loop Header: Depth=1
                                        ;     Child Loop BB3580_37 Depth 2
	s_max_u32 s25, s7, 1
.LBB3580_37:                            ;   Parent Loop BB3580_36 Depth=1
                                        ; =>  This Inner Loop Header: Depth=2
	s_add_i32 s25, s25, -1
	s_cmp_eq_u32 s25, 0
	s_sleep 1
	s_cbranch_scc0 .LBB3580_37
; %bb.38:                               ;   in Loop: Header=BB3580_36 Depth=1
	global_load_dwordx2 v[16:17], v[14:15], off glc
	s_cmp_lt_u32 s7, 32
	s_cselect_b64 s[44:45], -1, 0
	s_cmp_lg_u64 s[44:45], 0
	s_addc_u32 s7, s7, 0
	s_waitcnt vmcnt(0)
	v_cmp_ne_u16_sdwa s[44:45], v17, v11 src0_sel:BYTE_0 src1_sel:DWORD
	s_or_b64 s[42:43], s[44:45], s[42:43]
	s_andn2_b64 exec, exec, s[42:43]
	s_cbranch_execnz .LBB3580_36
; %bb.39:
	s_or_b64 exec, exec, s[42:43]
.LBB3580_40:
	s_or_b64 exec, exec, s[40:41]
	v_and_b32_e32 v30, 63, v24
	v_mov_b32_e32 v29, 2
	v_cmp_ne_u32_e32 vcc, 63, v30
	v_cmp_eq_u16_sdwa s[40:41], v17, v29 src0_sel:BYTE_0 src1_sel:DWORD
	v_lshlrev_b64 v[14:15], v24, -1
	v_addc_co_u32_e32 v18, vcc, 0, v24, vcc
	v_and_b32_e32 v11, s41, v15
	v_lshlrev_b32_e32 v31, 2, v18
	v_or_b32_e32 v11, 0x80000000, v11
	ds_bpermute_b32 v18, v31, v16
	v_and_b32_e32 v13, s40, v14
	v_ffbl_b32_e32 v11, v11
	v_add_u32_e32 v11, 32, v11
	v_ffbl_b32_e32 v13, v13
	v_min_u32_e32 v11, v13, v11
	v_cmp_lt_u32_e32 vcc, v30, v11
	s_waitcnt lgkmcnt(0)
	v_cndmask_b32_e32 v13, 0, v18, vcc
	v_cmp_gt_u32_e32 vcc, 62, v30
	v_add_u32_e32 v13, v13, v16
	v_cndmask_b32_e64 v16, 0, 1, vcc
	v_lshlrev_b32_e32 v16, 1, v16
	v_add_lshl_u32 v32, v16, v24, 2
	ds_bpermute_b32 v16, v32, v13
	v_add_u32_e32 v33, 2, v30
	v_cmp_le_u32_e32 vcc, v33, v11
	v_add_u32_e32 v35, 4, v30
	v_add_u32_e32 v37, 8, v30
	s_waitcnt lgkmcnt(0)
	v_cndmask_b32_e32 v16, 0, v16, vcc
	v_cmp_gt_u32_e32 vcc, 60, v30
	v_add_u32_e32 v13, v13, v16
	v_cndmask_b32_e64 v16, 0, 1, vcc
	v_lshlrev_b32_e32 v16, 2, v16
	v_add_lshl_u32 v34, v16, v24, 2
	ds_bpermute_b32 v16, v34, v13
	v_cmp_le_u32_e32 vcc, v35, v11
	v_add_u32_e32 v39, 16, v30
	v_add_u32_e32 v41, 32, v30
	s_waitcnt lgkmcnt(0)
	v_cndmask_b32_e32 v16, 0, v16, vcc
	v_cmp_gt_u32_e32 vcc, 56, v30
	v_add_u32_e32 v13, v13, v16
	v_cndmask_b32_e64 v16, 0, 1, vcc
	v_lshlrev_b32_e32 v16, 3, v16
	v_add_lshl_u32 v36, v16, v24, 2
	ds_bpermute_b32 v16, v36, v13
	v_cmp_le_u32_e32 vcc, v37, v11
	s_waitcnt lgkmcnt(0)
	v_cndmask_b32_e32 v16, 0, v16, vcc
	v_cmp_gt_u32_e32 vcc, 48, v30
	v_add_u32_e32 v13, v13, v16
	v_cndmask_b32_e64 v16, 0, 1, vcc
	v_lshlrev_b32_e32 v16, 4, v16
	v_add_lshl_u32 v38, v16, v24, 2
	ds_bpermute_b32 v16, v38, v13
	v_cmp_le_u32_e32 vcc, v39, v11
	;; [unrolled: 9-line block ×3, first 2 shown]
	s_waitcnt lgkmcnt(0)
	v_cndmask_b32_e32 v11, 0, v16, vcc
	v_add_u32_e32 v16, v13, v11
	v_mov_b32_e32 v13, 0
	s_branch .LBB3580_42
.LBB3580_41:                            ;   in Loop: Header=BB3580_42 Depth=1
	s_or_b64 exec, exec, s[40:41]
	v_cmp_eq_u16_sdwa s[40:41], v17, v29 src0_sel:BYTE_0 src1_sel:DWORD
	v_and_b32_e32 v18, s41, v15
	v_or_b32_e32 v18, 0x80000000, v18
	ds_bpermute_b32 v42, v31, v16
	v_and_b32_e32 v19, s40, v14
	v_ffbl_b32_e32 v18, v18
	v_add_u32_e32 v18, 32, v18
	v_ffbl_b32_e32 v19, v19
	v_min_u32_e32 v18, v19, v18
	v_cmp_lt_u32_e32 vcc, v30, v18
	s_waitcnt lgkmcnt(0)
	v_cndmask_b32_e32 v19, 0, v42, vcc
	v_add_u32_e32 v16, v19, v16
	ds_bpermute_b32 v19, v32, v16
	v_cmp_le_u32_e32 vcc, v33, v18
	v_subrev_u32_e32 v12, 64, v12
	s_waitcnt lgkmcnt(0)
	v_cndmask_b32_e32 v19, 0, v19, vcc
	v_add_u32_e32 v16, v16, v19
	ds_bpermute_b32 v19, v34, v16
	v_cmp_le_u32_e32 vcc, v35, v18
	s_waitcnt lgkmcnt(0)
	v_cndmask_b32_e32 v19, 0, v19, vcc
	v_add_u32_e32 v16, v16, v19
	ds_bpermute_b32 v19, v36, v16
	v_cmp_le_u32_e32 vcc, v37, v18
	;; [unrolled: 5-line block ×4, first 2 shown]
	s_waitcnt lgkmcnt(0)
	v_cndmask_b32_e32 v18, 0, v19, vcc
	v_add3_u32 v16, v18, v11, v16
.LBB3580_42:                            ; =>This Loop Header: Depth=1
                                        ;     Child Loop BB3580_45 Depth 2
                                        ;       Child Loop BB3580_46 Depth 3
	v_cmp_ne_u16_sdwa s[40:41], v17, v29 src0_sel:BYTE_0 src1_sel:DWORD
	v_cndmask_b32_e64 v11, 0, 1, s[40:41]
	;;#ASMSTART
	;;#ASMEND
	v_cmp_ne_u32_e32 vcc, 0, v11
	s_cmp_lg_u64 vcc, exec
	v_mov_b32_e32 v11, v16
	s_cbranch_scc1 .LBB3580_49
; %bb.43:                               ;   in Loop: Header=BB3580_42 Depth=1
	v_lshlrev_b64 v[16:17], 3, v[12:13]
	v_mov_b32_e32 v19, s37
	v_add_co_u32_e32 v18, vcc, s36, v16
	v_addc_co_u32_e32 v19, vcc, v19, v17, vcc
	global_load_dwordx2 v[16:17], v[18:19], off glc
	s_waitcnt vmcnt(0)
	v_cmp_eq_u16_sdwa s[42:43], v17, v13 src0_sel:BYTE_0 src1_sel:DWORD
	s_and_saveexec_b64 s[40:41], s[42:43]
	s_cbranch_execz .LBB3580_41
; %bb.44:                               ;   in Loop: Header=BB3580_42 Depth=1
	s_mov_b32 s7, 1
	s_mov_b64 s[42:43], 0
.LBB3580_45:                            ;   Parent Loop BB3580_42 Depth=1
                                        ; =>  This Loop Header: Depth=2
                                        ;       Child Loop BB3580_46 Depth 3
	s_max_u32 s25, s7, 1
.LBB3580_46:                            ;   Parent Loop BB3580_42 Depth=1
                                        ;     Parent Loop BB3580_45 Depth=2
                                        ; =>    This Inner Loop Header: Depth=3
	s_add_i32 s25, s25, -1
	s_cmp_eq_u32 s25, 0
	s_sleep 1
	s_cbranch_scc0 .LBB3580_46
; %bb.47:                               ;   in Loop: Header=BB3580_45 Depth=2
	global_load_dwordx2 v[16:17], v[18:19], off glc
	s_cmp_lt_u32 s7, 32
	s_cselect_b64 s[44:45], -1, 0
	s_cmp_lg_u64 s[44:45], 0
	s_addc_u32 s7, s7, 0
	s_waitcnt vmcnt(0)
	v_cmp_ne_u16_sdwa s[44:45], v17, v13 src0_sel:BYTE_0 src1_sel:DWORD
	s_or_b64 s[42:43], s[44:45], s[42:43]
	s_andn2_b64 exec, exec, s[42:43]
	s_cbranch_execnz .LBB3580_45
; %bb.48:                               ;   in Loop: Header=BB3580_42 Depth=1
	s_or_b64 exec, exec, s[42:43]
	s_branch .LBB3580_41
.LBB3580_49:                            ;   in Loop: Header=BB3580_42 Depth=1
                                        ; implicit-def: $vgpr16
                                        ; implicit-def: $vgpr17
	s_cbranch_execz .LBB3580_42
; %bb.50:
	s_and_saveexec_b64 s[40:41], s[16:17]
	s_cbranch_execz .LBB3580_52
; %bb.51:
	s_add_i32 s6, s6, 64
	s_mov_b32 s7, 0
	s_lshl_b64 s[6:7], s[6:7], 3
	s_add_u32 s6, s36, s6
	v_add_u32_e32 v12, v11, v10
	v_mov_b32_e32 v13, 2
	s_addc_u32 s7, s37, s7
	v_mov_b32_e32 v14, 0
	global_store_dwordx2 v14, v[12:13], s[6:7]
	ds_write_b64 v14, v[10:11] offset:6336
.LBB3580_52:
	s_or_b64 exec, exec, s[40:41]
	v_cmp_eq_u32_e32 vcc, 0, v0
	s_and_b64 exec, exec, vcc
	s_cbranch_execz .LBB3580_54
; %bb.53:
	v_mov_b32_e32 v10, 0
	ds_write_b32 v10, v11 offset:8
.LBB3580_54:
	s_or_b64 exec, exec, s[38:39]
	v_mov_b32_e32 v10, 0
	s_waitcnt lgkmcnt(0)
	s_barrier
	ds_read_b32 v11, v10 offset:8
	v_cndmask_b32_e64 v12, v28, v27, s[16:17]
	v_cmp_ne_u32_e32 vcc, 0, v0
	v_cndmask_b32_e32 v12, 0, v12, vcc
	s_waitcnt lgkmcnt(0)
	v_add_u32_e32 v14, v11, v12
	s_barrier
	ds_read_b64 v[10:11], v10 offset:6336
	v_add_u32_sdwa v15, v14, v22 dst_sel:DWORD dst_unused:UNUSED_PAD src0_sel:DWORD src1_sel:BYTE_0
	v_add_u32_sdwa v13, v15, v22 dst_sel:DWORD dst_unused:UNUSED_PAD src0_sel:DWORD src1_sel:BYTE_1
	v_add_u32_e32 v12, v13, v23
	s_load_dwordx2 s[4:5], s[4:5], 0x38
	s_branch .LBB3580_65
.LBB3580_55:
                                        ; implicit-def: $vgpr11
                                        ; implicit-def: $vgpr12
                                        ; implicit-def: $vgpr13
                                        ; implicit-def: $vgpr15
                                        ; implicit-def: $vgpr14
	s_load_dwordx2 s[4:5], s[4:5], 0x38
	s_cbranch_execz .LBB3580_65
; %bb.56:
	s_waitcnt lgkmcnt(0)
	v_mov_b32_dpp v10, v26 row_shr:1 row_mask:0xf bank_mask:0xf
	v_cndmask_b32_e64 v10, v10, 0, s[14:15]
	v_add_u32_e32 v10, v10, v26
	s_nop 1
	v_mov_b32_dpp v11, v10 row_shr:2 row_mask:0xf bank_mask:0xf
	v_cndmask_b32_e64 v11, 0, v11, s[12:13]
	v_add_u32_e32 v10, v10, v11
	s_nop 1
	v_mov_b32_dpp v11, v10 row_shr:4 row_mask:0xf bank_mask:0xf
	v_cndmask_b32_e64 v11, 0, v11, s[10:11]
	v_add_u32_e32 v10, v10, v11
	s_nop 1
	v_mov_b32_dpp v11, v10 row_shr:8 row_mask:0xf bank_mask:0xf
	v_cndmask_b32_e64 v11, 0, v11, s[8:9]
	v_add_u32_e32 v10, v10, v11
	s_nop 1
	v_mov_b32_dpp v11, v10 row_bcast:15 row_mask:0xf bank_mask:0xf
	v_cndmask_b32_e64 v11, v11, 0, s[2:3]
	v_add_u32_e32 v10, v10, v11
	s_nop 1
	v_mov_b32_dpp v11, v10 row_bcast:31 row_mask:0xf bank_mask:0xf
	v_cndmask_b32_e64 v11, 0, v11, s[0:1]
	v_add_u32_e32 v10, v10, v11
	s_and_saveexec_b64 s[0:1], s[18:19]
	s_cbranch_execz .LBB3580_58
; %bb.57:
	v_lshlrev_b32_e32 v11, 2, v25
	ds_write_b32 v11, v10
.LBB3580_58:
	s_or_b64 exec, exec, s[0:1]
	v_cmp_gt_u32_e32 vcc, 3, v0
	s_waitcnt lgkmcnt(0)
	s_barrier
	s_and_saveexec_b64 s[0:1], vcc
	s_cbranch_execz .LBB3580_60
; %bb.59:
	ds_read_b32 v11, v20
	v_and_b32_e32 v12, 3, v24
	v_cmp_ne_u32_e32 vcc, 0, v12
	s_waitcnt lgkmcnt(0)
	v_mov_b32_dpp v13, v11 row_shr:1 row_mask:0xf bank_mask:0xf
	v_cndmask_b32_e32 v13, 0, v13, vcc
	v_add_u32_e32 v11, v13, v11
	v_cmp_lt_u32_e32 vcc, 1, v12
	s_nop 0
	v_mov_b32_dpp v13, v11 row_shr:2 row_mask:0xf bank_mask:0xf
	v_cndmask_b32_e32 v12, 0, v13, vcc
	v_add_u32_e32 v11, v11, v12
	ds_write_b32 v20, v11
.LBB3580_60:
	s_or_b64 exec, exec, s[0:1]
	v_cmp_lt_u32_e32 vcc, 63, v0
	v_mov_b32_e32 v11, 0
	v_mov_b32_e32 v12, 0
	s_waitcnt lgkmcnt(0)
	s_barrier
	s_and_saveexec_b64 s[0:1], vcc
	s_cbranch_execz .LBB3580_62
; %bb.61:
	v_lshl_add_u32 v12, v25, 2, -4
	ds_read_b32 v12, v12
.LBB3580_62:
	s_or_b64 exec, exec, s[0:1]
	v_add_u32_e32 v13, -1, v24
	v_and_b32_e32 v14, 64, v24
	v_cmp_lt_i32_e32 vcc, v13, v14
	v_cndmask_b32_e32 v13, v13, v24, vcc
	s_waitcnt lgkmcnt(0)
	v_add_u32_e32 v10, v12, v10
	v_lshlrev_b32_e32 v13, 2, v13
	ds_bpermute_b32 v13, v13, v10
	ds_read_b32 v10, v11 offset:8
	v_cmp_eq_u32_e32 vcc, 0, v0
	s_and_saveexec_b64 s[0:1], vcc
	s_cbranch_execz .LBB3580_64
; %bb.63:
	v_mov_b32_e32 v14, 0
	v_mov_b32_e32 v11, 2
	s_waitcnt lgkmcnt(0)
	global_store_dwordx2 v14, v[10:11], s[36:37] offset:512
.LBB3580_64:
	s_or_b64 exec, exec, s[0:1]
	v_cmp_eq_u32_e64 s[0:1], 0, v24
	s_waitcnt lgkmcnt(1)
	v_cndmask_b32_e64 v12, v13, v12, s[0:1]
	v_cndmask_b32_e64 v14, v12, 0, vcc
	v_add_u32_sdwa v15, v14, v22 dst_sel:DWORD dst_unused:UNUSED_PAD src0_sel:DWORD src1_sel:BYTE_0
	v_add_u32_sdwa v13, v15, v22 dst_sel:DWORD dst_unused:UNUSED_PAD src0_sel:DWORD src1_sel:BYTE_1
	v_mov_b32_e32 v11, 0
	v_add_u32_e32 v12, v13, v23
	s_waitcnt lgkmcnt(0)
	s_barrier
.LBB3580_65:
	s_waitcnt lgkmcnt(0)
	v_add_u32_e32 v17, v10, v20
	v_sub_u32_e32 v14, v14, v11
	v_and_b32_e32 v19, 1, v22
	v_sub_u32_e32 v18, v17, v14
	v_cmp_eq_u32_e32 vcc, 1, v19
	v_cndmask_b32_e32 v14, v18, v14, vcc
	v_lshlrev_b32_e32 v14, 3, v14
	v_lshrrev_b32_e32 v16, 8, v22
	ds_write_b64 v14, v[6:7]
	v_sub_u32_e32 v6, v15, v11
	v_sub_u32_e32 v7, v17, v6
	v_and_b32_e32 v14, 1, v16
	v_add_u32_e32 v7, 1, v7
	v_cmp_eq_u32_e32 vcc, 1, v14
	v_cndmask_b32_e32 v6, v7, v6, vcc
	v_lshlrev_b32_e32 v6, 3, v6
	ds_write_b64 v6, v[8:9]
	v_sub_u32_e32 v6, v13, v11
	v_mov_b32_e32 v8, 1
	v_sub_u32_e32 v7, v17, v6
	v_and_b32_sdwa v8, v8, v22 dst_sel:DWORD dst_unused:UNUSED_PAD src0_sel:DWORD src1_sel:WORD_1
	v_add_u32_e32 v7, 2, v7
	v_cmp_eq_u32_e32 vcc, 1, v8
	v_cndmask_b32_e32 v6, v7, v6, vcc
	v_lshlrev_b32_e32 v6, 3, v6
	ds_write_b64 v6, v[2:3]
	v_sub_u32_e32 v2, v12, v11
	v_sub_u32_e32 v3, v17, v2
	v_and_b32_e32 v6, 1, v21
	v_add_u32_e32 v3, 3, v3
	v_cmp_eq_u32_e32 vcc, 1, v6
	v_cndmask_b32_e32 v2, v3, v2, vcc
	s_add_u32 s0, s26, s24
	v_lshlrev_b32_e32 v2, 3, v2
	s_addc_u32 s1, s27, 0
	ds_write_b64 v2, v[4:5]
	s_waitcnt lgkmcnt(0)
	s_barrier
	ds_read2st64_b64 v[6:9], v1 offset1:3
	ds_read2st64_b64 v[2:5], v1 offset0:6 offset1:9
	v_mov_b32_e32 v12, s31
	v_add_co_u32_e32 v1, vcc, s30, v11
	s_sub_u32 s0, s28, s0
	v_addc_co_u32_e32 v11, vcc, 0, v12, vcc
	s_subb_u32 s1, s29, s1
	v_mov_b32_e32 v12, s1
	v_add_co_u32_e32 v13, vcc, s0, v10
	v_addc_co_u32_e32 v12, vcc, 0, v12, vcc
	v_add_co_u32_e64 v15, s[0:1], v13, v1
	v_add_u32_e32 v18, 0xc0, v0
	v_add_u32_e32 v17, 0x180, v0
	;; [unrolled: 1-line block ×3, first 2 shown]
	s_andn2_b64 vcc, exec, s[34:35]
	v_addc_co_u32_e64 v16, s[0:1], v12, v11, s[0:1]
	s_cbranch_vccnz .LBB3580_83
; %bb.66:
	v_cmp_ge_u32_e32 vcc, v0, v10
                                        ; implicit-def: $vgpr12_vgpr13
	s_and_saveexec_b64 s[0:1], vcc
	s_xor_b64 s[0:1], exec, s[0:1]
; %bb.67:
	v_not_b32_e32 v12, v0
	v_ashrrev_i32_e32 v13, 31, v12
	v_add_co_u32_e32 v12, vcc, v15, v12
	v_addc_co_u32_e32 v13, vcc, v16, v13, vcc
; %bb.68:
	s_andn2_saveexec_b64 s[0:1], s[0:1]
; %bb.69:
	v_add_co_u32_e32 v12, vcc, v1, v0
	v_addc_co_u32_e32 v13, vcc, 0, v11, vcc
; %bb.70:
	s_or_b64 exec, exec, s[0:1]
	v_lshlrev_b64 v[12:13], 3, v[12:13]
	v_mov_b32_e32 v19, s5
	v_add_co_u32_e32 v12, vcc, s4, v12
	v_addc_co_u32_e32 v13, vcc, v19, v13, vcc
	v_cmp_ge_u32_e32 vcc, v18, v10
	s_waitcnt lgkmcnt(1)
	global_store_dwordx2 v[12:13], v[6:7], off
                                        ; implicit-def: $vgpr12_vgpr13
	s_and_saveexec_b64 s[0:1], vcc
	s_xor_b64 s[0:1], exec, s[0:1]
; %bb.71:
	v_sub_u32_e32 v12, 0xffffff3f, v0
	v_ashrrev_i32_e32 v13, 31, v12
	v_add_co_u32_e32 v12, vcc, v15, v12
	v_addc_co_u32_e32 v13, vcc, v16, v13, vcc
; %bb.72:
	s_andn2_saveexec_b64 s[0:1], s[0:1]
; %bb.73:
	v_add_co_u32_e32 v12, vcc, v1, v18
	v_addc_co_u32_e32 v13, vcc, 0, v11, vcc
; %bb.74:
	s_or_b64 exec, exec, s[0:1]
	v_lshlrev_b64 v[12:13], 3, v[12:13]
	v_mov_b32_e32 v19, s5
	v_add_co_u32_e32 v12, vcc, s4, v12
	v_addc_co_u32_e32 v13, vcc, v19, v13, vcc
	v_cmp_ge_u32_e32 vcc, v17, v10
	global_store_dwordx2 v[12:13], v[8:9], off
                                        ; implicit-def: $vgpr12_vgpr13
	s_and_saveexec_b64 s[0:1], vcc
	s_xor_b64 s[0:1], exec, s[0:1]
; %bb.75:
	v_sub_u32_e32 v12, 0xfffffe7f, v0
	v_ashrrev_i32_e32 v13, 31, v12
	v_add_co_u32_e32 v12, vcc, v15, v12
	v_addc_co_u32_e32 v13, vcc, v16, v13, vcc
; %bb.76:
	s_andn2_saveexec_b64 s[0:1], s[0:1]
; %bb.77:
	v_add_co_u32_e32 v12, vcc, v1, v17
	v_addc_co_u32_e32 v13, vcc, 0, v11, vcc
; %bb.78:
	s_or_b64 exec, exec, s[0:1]
	v_lshlrev_b64 v[12:13], 3, v[12:13]
	v_mov_b32_e32 v19, s5
	v_add_co_u32_e32 v12, vcc, s4, v12
	v_addc_co_u32_e32 v13, vcc, v19, v13, vcc
	v_cmp_ge_u32_e32 vcc, v14, v10
	s_waitcnt lgkmcnt(0)
	global_store_dwordx2 v[12:13], v[2:3], off
                                        ; implicit-def: $vgpr12_vgpr13
	s_and_saveexec_b64 s[0:1], vcc
	s_xor_b64 s[0:1], exec, s[0:1]
; %bb.79:
	v_sub_u32_e32 v12, 0xfffffdbf, v0
	v_ashrrev_i32_e32 v13, 31, v12
	v_add_co_u32_e32 v12, vcc, v15, v12
	v_addc_co_u32_e32 v13, vcc, v16, v13, vcc
; %bb.80:
	s_andn2_saveexec_b64 s[0:1], s[0:1]
; %bb.81:
	v_add_co_u32_e32 v12, vcc, v1, v14
	v_addc_co_u32_e32 v13, vcc, 0, v11, vcc
; %bb.82:
	s_or_b64 exec, exec, s[0:1]
	s_mov_b64 s[0:1], -1
	s_branch .LBB3580_109
.LBB3580_83:
	s_mov_b64 s[0:1], 0
                                        ; implicit-def: $vgpr12_vgpr13
	s_cbranch_execz .LBB3580_109
; %bb.84:
	v_cmp_gt_u32_e32 vcc, s33, v0
	s_and_saveexec_b64 s[2:3], vcc
	s_cbranch_execz .LBB3580_92
; %bb.85:
	v_cmp_ge_u32_e32 vcc, v0, v10
                                        ; implicit-def: $vgpr12_vgpr13
	s_and_saveexec_b64 s[6:7], vcc
	s_xor_b64 s[6:7], exec, s[6:7]
; %bb.86:
	v_not_b32_e32 v12, v0
	v_ashrrev_i32_e32 v13, 31, v12
	v_add_co_u32_e32 v12, vcc, v15, v12
	v_addc_co_u32_e32 v13, vcc, v16, v13, vcc
; %bb.87:
	s_andn2_saveexec_b64 s[6:7], s[6:7]
; %bb.88:
	v_add_co_u32_e32 v12, vcc, v1, v0
	v_addc_co_u32_e32 v13, vcc, 0, v11, vcc
; %bb.89:
	s_or_b64 exec, exec, s[6:7]
	v_lshlrev_b64 v[12:13], 3, v[12:13]
	v_mov_b32_e32 v19, s5
	v_add_co_u32_e32 v12, vcc, s4, v12
	v_addc_co_u32_e32 v13, vcc, v19, v13, vcc
	s_waitcnt lgkmcnt(1)
	global_store_dwordx2 v[12:13], v[6:7], off
	s_or_b64 exec, exec, s[2:3]
	v_cmp_gt_u32_e32 vcc, s33, v18
	s_and_saveexec_b64 s[2:3], vcc
	s_cbranch_execnz .LBB3580_93
.LBB3580_90:
	s_or_b64 exec, exec, s[2:3]
	v_cmp_gt_u32_e32 vcc, s33, v17
	s_and_saveexec_b64 s[2:3], vcc
	s_cbranch_execnz .LBB3580_98
.LBB3580_91:
	s_or_b64 exec, exec, s[2:3]
	v_cmp_gt_u32_e32 vcc, s33, v14
                                        ; implicit-def: $vgpr12_vgpr13
	s_and_saveexec_b64 s[2:3], vcc
	s_cbranch_execz .LBB3580_108
	s_branch .LBB3580_103
.LBB3580_92:
	s_or_b64 exec, exec, s[2:3]
	v_cmp_gt_u32_e32 vcc, s33, v18
	s_and_saveexec_b64 s[2:3], vcc
	s_cbranch_execz .LBB3580_90
.LBB3580_93:
	v_cmp_ge_u32_e32 vcc, v18, v10
                                        ; implicit-def: $vgpr6_vgpr7
	s_and_saveexec_b64 s[6:7], vcc
	s_xor_b64 s[6:7], exec, s[6:7]
	s_cbranch_execz .LBB3580_95
; %bb.94:
	s_waitcnt lgkmcnt(1)
	v_sub_u32_e32 v6, 0xffffff3f, v0
	v_ashrrev_i32_e32 v7, 31, v6
	v_add_co_u32_e32 v6, vcc, v15, v6
	v_addc_co_u32_e32 v7, vcc, v16, v7, vcc
                                        ; implicit-def: $vgpr18
.LBB3580_95:
	s_andn2_saveexec_b64 s[6:7], s[6:7]
	s_cbranch_execz .LBB3580_97
; %bb.96:
	s_waitcnt lgkmcnt(1)
	v_add_co_u32_e32 v6, vcc, v1, v18
	v_addc_co_u32_e32 v7, vcc, 0, v11, vcc
.LBB3580_97:
	s_or_b64 exec, exec, s[6:7]
	s_waitcnt lgkmcnt(1)
	v_lshlrev_b64 v[6:7], 3, v[6:7]
	v_mov_b32_e32 v12, s5
	v_add_co_u32_e32 v6, vcc, s4, v6
	v_addc_co_u32_e32 v7, vcc, v12, v7, vcc
	global_store_dwordx2 v[6:7], v[8:9], off
	s_or_b64 exec, exec, s[2:3]
	v_cmp_gt_u32_e32 vcc, s33, v17
	s_and_saveexec_b64 s[2:3], vcc
	s_cbranch_execz .LBB3580_91
.LBB3580_98:
	v_cmp_ge_u32_e32 vcc, v17, v10
                                        ; implicit-def: $vgpr6_vgpr7
	s_and_saveexec_b64 s[6:7], vcc
	s_xor_b64 s[6:7], exec, s[6:7]
	s_cbranch_execz .LBB3580_100
; %bb.99:
	s_waitcnt lgkmcnt(1)
	v_sub_u32_e32 v6, 0xfffffe7f, v0
	v_ashrrev_i32_e32 v7, 31, v6
	v_add_co_u32_e32 v6, vcc, v15, v6
	v_addc_co_u32_e32 v7, vcc, v16, v7, vcc
                                        ; implicit-def: $vgpr17
.LBB3580_100:
	s_andn2_saveexec_b64 s[6:7], s[6:7]
	s_cbranch_execz .LBB3580_102
; %bb.101:
	s_waitcnt lgkmcnt(1)
	v_add_co_u32_e32 v6, vcc, v1, v17
	v_addc_co_u32_e32 v7, vcc, 0, v11, vcc
.LBB3580_102:
	s_or_b64 exec, exec, s[6:7]
	s_waitcnt lgkmcnt(1)
	v_lshlrev_b64 v[6:7], 3, v[6:7]
	v_mov_b32_e32 v8, s5
	v_add_co_u32_e32 v6, vcc, s4, v6
	v_addc_co_u32_e32 v7, vcc, v8, v7, vcc
	s_waitcnt lgkmcnt(0)
	global_store_dwordx2 v[6:7], v[2:3], off
	s_or_b64 exec, exec, s[2:3]
	v_cmp_gt_u32_e32 vcc, s33, v14
                                        ; implicit-def: $vgpr12_vgpr13
	s_and_saveexec_b64 s[2:3], vcc
	s_cbranch_execz .LBB3580_108
.LBB3580_103:
	v_cmp_ge_u32_e32 vcc, v14, v10
                                        ; implicit-def: $vgpr12_vgpr13
	s_and_saveexec_b64 s[6:7], vcc
	s_xor_b64 s[6:7], exec, s[6:7]
	s_cbranch_execz .LBB3580_105
; %bb.104:
	s_waitcnt lgkmcnt(0)
	v_sub_u32_e32 v2, 0xfffffdbf, v0
	v_ashrrev_i32_e32 v3, 31, v2
	v_add_co_u32_e32 v12, vcc, v15, v2
	v_addc_co_u32_e32 v13, vcc, v16, v3, vcc
                                        ; implicit-def: $vgpr14
.LBB3580_105:
	s_andn2_saveexec_b64 s[6:7], s[6:7]
; %bb.106:
	v_add_co_u32_e32 v12, vcc, v1, v14
	v_addc_co_u32_e32 v13, vcc, 0, v11, vcc
; %bb.107:
	s_or_b64 exec, exec, s[6:7]
	s_or_b64 s[0:1], s[0:1], exec
.LBB3580_108:
	s_or_b64 exec, exec, s[2:3]
.LBB3580_109:
	s_and_saveexec_b64 s[2:3], s[0:1]
	s_cbranch_execz .LBB3580_111
; %bb.110:
	s_waitcnt lgkmcnt(0)
	v_lshlrev_b64 v[2:3], 3, v[12:13]
	v_mov_b32_e32 v6, s5
	v_add_co_u32_e32 v2, vcc, s4, v2
	v_addc_co_u32_e32 v3, vcc, v6, v3, vcc
	global_store_dwordx2 v[2:3], v[4:5], off
.LBB3580_111:
	s_or_b64 exec, exec, s[2:3]
	v_cmp_eq_u32_e32 vcc, 0, v0
	s_and_b64 s[0:1], vcc, s[22:23]
	s_and_saveexec_b64 s[2:3], s[0:1]
	s_cbranch_execz .LBB3580_113
; %bb.112:
	v_add_co_u32_e32 v0, vcc, v1, v10
	s_waitcnt lgkmcnt(0)
	v_mov_b32_e32 v2, 0
	v_addc_co_u32_e32 v1, vcc, 0, v11, vcc
	global_store_dwordx2 v2, v[0:1], s[20:21]
.LBB3580_113:
	s_endpgm
	.section	.rodata,"a",@progbits
	.p2align	6, 0x0
	.amdhsa_kernel _ZN7rocprim17ROCPRIM_400000_NS6detail17trampoline_kernelINS0_14default_configENS1_25partition_config_selectorILNS1_17partition_subalgoE2ExNS0_10empty_typeEbEEZZNS1_14partition_implILS5_2ELb0ES3_jN6thrust23THRUST_200600_302600_NS6detail15normal_iteratorINSA_7pointerIxNSA_11hip_rocprim3tagENSA_11use_defaultESG_EEEEPS6_NSA_18transform_iteratorI10is_orderedNSA_12zip_iteratorINSA_5tupleINSC_INSA_10device_ptrIxEEEESQ_NSA_9null_typeESR_SR_SR_SR_SR_SR_SR_EEEESG_SG_EENS0_5tupleIJPxSJ_EEENSV_IJSJ_SJ_EEES6_PlJS6_EEE10hipError_tPvRmT3_T4_T5_T6_T7_T9_mT8_P12ihipStream_tbDpT10_ENKUlT_T0_E_clISt17integral_constantIbLb1EES1I_IbLb0EEEEDaS1E_S1F_EUlS1E_E_NS1_11comp_targetILNS1_3genE4ELNS1_11target_archE910ELNS1_3gpuE8ELNS1_3repE0EEENS1_30default_config_static_selectorELNS0_4arch9wavefront6targetE1EEEvT1_
		.amdhsa_group_segment_fixed_size 6344
		.amdhsa_private_segment_fixed_size 0
		.amdhsa_kernarg_size 136
		.amdhsa_user_sgpr_count 6
		.amdhsa_user_sgpr_private_segment_buffer 1
		.amdhsa_user_sgpr_dispatch_ptr 0
		.amdhsa_user_sgpr_queue_ptr 0
		.amdhsa_user_sgpr_kernarg_segment_ptr 1
		.amdhsa_user_sgpr_dispatch_id 0
		.amdhsa_user_sgpr_flat_scratch_init 0
		.amdhsa_user_sgpr_kernarg_preload_length 0
		.amdhsa_user_sgpr_kernarg_preload_offset 0
		.amdhsa_user_sgpr_private_segment_size 0
		.amdhsa_uses_dynamic_stack 0
		.amdhsa_system_sgpr_private_segment_wavefront_offset 0
		.amdhsa_system_sgpr_workgroup_id_x 1
		.amdhsa_system_sgpr_workgroup_id_y 0
		.amdhsa_system_sgpr_workgroup_id_z 0
		.amdhsa_system_sgpr_workgroup_info 0
		.amdhsa_system_vgpr_workitem_id 0
		.amdhsa_next_free_vgpr 43
		.amdhsa_next_free_sgpr 46
		.amdhsa_accum_offset 44
		.amdhsa_reserve_vcc 1
		.amdhsa_reserve_flat_scratch 0
		.amdhsa_float_round_mode_32 0
		.amdhsa_float_round_mode_16_64 0
		.amdhsa_float_denorm_mode_32 3
		.amdhsa_float_denorm_mode_16_64 3
		.amdhsa_dx10_clamp 1
		.amdhsa_ieee_mode 1
		.amdhsa_fp16_overflow 0
		.amdhsa_tg_split 0
		.amdhsa_exception_fp_ieee_invalid_op 0
		.amdhsa_exception_fp_denorm_src 0
		.amdhsa_exception_fp_ieee_div_zero 0
		.amdhsa_exception_fp_ieee_overflow 0
		.amdhsa_exception_fp_ieee_underflow 0
		.amdhsa_exception_fp_ieee_inexact 0
		.amdhsa_exception_int_div_zero 0
	.end_amdhsa_kernel
	.section	.text._ZN7rocprim17ROCPRIM_400000_NS6detail17trampoline_kernelINS0_14default_configENS1_25partition_config_selectorILNS1_17partition_subalgoE2ExNS0_10empty_typeEbEEZZNS1_14partition_implILS5_2ELb0ES3_jN6thrust23THRUST_200600_302600_NS6detail15normal_iteratorINSA_7pointerIxNSA_11hip_rocprim3tagENSA_11use_defaultESG_EEEEPS6_NSA_18transform_iteratorI10is_orderedNSA_12zip_iteratorINSA_5tupleINSC_INSA_10device_ptrIxEEEESQ_NSA_9null_typeESR_SR_SR_SR_SR_SR_SR_EEEESG_SG_EENS0_5tupleIJPxSJ_EEENSV_IJSJ_SJ_EEES6_PlJS6_EEE10hipError_tPvRmT3_T4_T5_T6_T7_T9_mT8_P12ihipStream_tbDpT10_ENKUlT_T0_E_clISt17integral_constantIbLb1EES1I_IbLb0EEEEDaS1E_S1F_EUlS1E_E_NS1_11comp_targetILNS1_3genE4ELNS1_11target_archE910ELNS1_3gpuE8ELNS1_3repE0EEENS1_30default_config_static_selectorELNS0_4arch9wavefront6targetE1EEEvT1_,"axG",@progbits,_ZN7rocprim17ROCPRIM_400000_NS6detail17trampoline_kernelINS0_14default_configENS1_25partition_config_selectorILNS1_17partition_subalgoE2ExNS0_10empty_typeEbEEZZNS1_14partition_implILS5_2ELb0ES3_jN6thrust23THRUST_200600_302600_NS6detail15normal_iteratorINSA_7pointerIxNSA_11hip_rocprim3tagENSA_11use_defaultESG_EEEEPS6_NSA_18transform_iteratorI10is_orderedNSA_12zip_iteratorINSA_5tupleINSC_INSA_10device_ptrIxEEEESQ_NSA_9null_typeESR_SR_SR_SR_SR_SR_SR_EEEESG_SG_EENS0_5tupleIJPxSJ_EEENSV_IJSJ_SJ_EEES6_PlJS6_EEE10hipError_tPvRmT3_T4_T5_T6_T7_T9_mT8_P12ihipStream_tbDpT10_ENKUlT_T0_E_clISt17integral_constantIbLb1EES1I_IbLb0EEEEDaS1E_S1F_EUlS1E_E_NS1_11comp_targetILNS1_3genE4ELNS1_11target_archE910ELNS1_3gpuE8ELNS1_3repE0EEENS1_30default_config_static_selectorELNS0_4arch9wavefront6targetE1EEEvT1_,comdat
.Lfunc_end3580:
	.size	_ZN7rocprim17ROCPRIM_400000_NS6detail17trampoline_kernelINS0_14default_configENS1_25partition_config_selectorILNS1_17partition_subalgoE2ExNS0_10empty_typeEbEEZZNS1_14partition_implILS5_2ELb0ES3_jN6thrust23THRUST_200600_302600_NS6detail15normal_iteratorINSA_7pointerIxNSA_11hip_rocprim3tagENSA_11use_defaultESG_EEEEPS6_NSA_18transform_iteratorI10is_orderedNSA_12zip_iteratorINSA_5tupleINSC_INSA_10device_ptrIxEEEESQ_NSA_9null_typeESR_SR_SR_SR_SR_SR_SR_EEEESG_SG_EENS0_5tupleIJPxSJ_EEENSV_IJSJ_SJ_EEES6_PlJS6_EEE10hipError_tPvRmT3_T4_T5_T6_T7_T9_mT8_P12ihipStream_tbDpT10_ENKUlT_T0_E_clISt17integral_constantIbLb1EES1I_IbLb0EEEEDaS1E_S1F_EUlS1E_E_NS1_11comp_targetILNS1_3genE4ELNS1_11target_archE910ELNS1_3gpuE8ELNS1_3repE0EEENS1_30default_config_static_selectorELNS0_4arch9wavefront6targetE1EEEvT1_, .Lfunc_end3580-_ZN7rocprim17ROCPRIM_400000_NS6detail17trampoline_kernelINS0_14default_configENS1_25partition_config_selectorILNS1_17partition_subalgoE2ExNS0_10empty_typeEbEEZZNS1_14partition_implILS5_2ELb0ES3_jN6thrust23THRUST_200600_302600_NS6detail15normal_iteratorINSA_7pointerIxNSA_11hip_rocprim3tagENSA_11use_defaultESG_EEEEPS6_NSA_18transform_iteratorI10is_orderedNSA_12zip_iteratorINSA_5tupleINSC_INSA_10device_ptrIxEEEESQ_NSA_9null_typeESR_SR_SR_SR_SR_SR_SR_EEEESG_SG_EENS0_5tupleIJPxSJ_EEENSV_IJSJ_SJ_EEES6_PlJS6_EEE10hipError_tPvRmT3_T4_T5_T6_T7_T9_mT8_P12ihipStream_tbDpT10_ENKUlT_T0_E_clISt17integral_constantIbLb1EES1I_IbLb0EEEEDaS1E_S1F_EUlS1E_E_NS1_11comp_targetILNS1_3genE4ELNS1_11target_archE910ELNS1_3gpuE8ELNS1_3repE0EEENS1_30default_config_static_selectorELNS0_4arch9wavefront6targetE1EEEvT1_
                                        ; -- End function
	.section	.AMDGPU.csdata,"",@progbits
; Kernel info:
; codeLenInByte = 4556
; NumSgprs: 50
; NumVgprs: 43
; NumAgprs: 0
; TotalNumVgprs: 43
; ScratchSize: 0
; MemoryBound: 0
; FloatMode: 240
; IeeeMode: 1
; LDSByteSize: 6344 bytes/workgroup (compile time only)
; SGPRBlocks: 6
; VGPRBlocks: 5
; NumSGPRsForWavesPerEU: 50
; NumVGPRsForWavesPerEU: 43
; AccumOffset: 44
; Occupancy: 8
; WaveLimiterHint : 1
; COMPUTE_PGM_RSRC2:SCRATCH_EN: 0
; COMPUTE_PGM_RSRC2:USER_SGPR: 6
; COMPUTE_PGM_RSRC2:TRAP_HANDLER: 0
; COMPUTE_PGM_RSRC2:TGID_X_EN: 1
; COMPUTE_PGM_RSRC2:TGID_Y_EN: 0
; COMPUTE_PGM_RSRC2:TGID_Z_EN: 0
; COMPUTE_PGM_RSRC2:TIDIG_COMP_CNT: 0
; COMPUTE_PGM_RSRC3_GFX90A:ACCUM_OFFSET: 10
; COMPUTE_PGM_RSRC3_GFX90A:TG_SPLIT: 0
	.section	.text._ZN7rocprim17ROCPRIM_400000_NS6detail17trampoline_kernelINS0_14default_configENS1_25partition_config_selectorILNS1_17partition_subalgoE2ExNS0_10empty_typeEbEEZZNS1_14partition_implILS5_2ELb0ES3_jN6thrust23THRUST_200600_302600_NS6detail15normal_iteratorINSA_7pointerIxNSA_11hip_rocprim3tagENSA_11use_defaultESG_EEEEPS6_NSA_18transform_iteratorI10is_orderedNSA_12zip_iteratorINSA_5tupleINSC_INSA_10device_ptrIxEEEESQ_NSA_9null_typeESR_SR_SR_SR_SR_SR_SR_EEEESG_SG_EENS0_5tupleIJPxSJ_EEENSV_IJSJ_SJ_EEES6_PlJS6_EEE10hipError_tPvRmT3_T4_T5_T6_T7_T9_mT8_P12ihipStream_tbDpT10_ENKUlT_T0_E_clISt17integral_constantIbLb1EES1I_IbLb0EEEEDaS1E_S1F_EUlS1E_E_NS1_11comp_targetILNS1_3genE3ELNS1_11target_archE908ELNS1_3gpuE7ELNS1_3repE0EEENS1_30default_config_static_selectorELNS0_4arch9wavefront6targetE1EEEvT1_,"axG",@progbits,_ZN7rocprim17ROCPRIM_400000_NS6detail17trampoline_kernelINS0_14default_configENS1_25partition_config_selectorILNS1_17partition_subalgoE2ExNS0_10empty_typeEbEEZZNS1_14partition_implILS5_2ELb0ES3_jN6thrust23THRUST_200600_302600_NS6detail15normal_iteratorINSA_7pointerIxNSA_11hip_rocprim3tagENSA_11use_defaultESG_EEEEPS6_NSA_18transform_iteratorI10is_orderedNSA_12zip_iteratorINSA_5tupleINSC_INSA_10device_ptrIxEEEESQ_NSA_9null_typeESR_SR_SR_SR_SR_SR_SR_EEEESG_SG_EENS0_5tupleIJPxSJ_EEENSV_IJSJ_SJ_EEES6_PlJS6_EEE10hipError_tPvRmT3_T4_T5_T6_T7_T9_mT8_P12ihipStream_tbDpT10_ENKUlT_T0_E_clISt17integral_constantIbLb1EES1I_IbLb0EEEEDaS1E_S1F_EUlS1E_E_NS1_11comp_targetILNS1_3genE3ELNS1_11target_archE908ELNS1_3gpuE7ELNS1_3repE0EEENS1_30default_config_static_selectorELNS0_4arch9wavefront6targetE1EEEvT1_,comdat
	.protected	_ZN7rocprim17ROCPRIM_400000_NS6detail17trampoline_kernelINS0_14default_configENS1_25partition_config_selectorILNS1_17partition_subalgoE2ExNS0_10empty_typeEbEEZZNS1_14partition_implILS5_2ELb0ES3_jN6thrust23THRUST_200600_302600_NS6detail15normal_iteratorINSA_7pointerIxNSA_11hip_rocprim3tagENSA_11use_defaultESG_EEEEPS6_NSA_18transform_iteratorI10is_orderedNSA_12zip_iteratorINSA_5tupleINSC_INSA_10device_ptrIxEEEESQ_NSA_9null_typeESR_SR_SR_SR_SR_SR_SR_EEEESG_SG_EENS0_5tupleIJPxSJ_EEENSV_IJSJ_SJ_EEES6_PlJS6_EEE10hipError_tPvRmT3_T4_T5_T6_T7_T9_mT8_P12ihipStream_tbDpT10_ENKUlT_T0_E_clISt17integral_constantIbLb1EES1I_IbLb0EEEEDaS1E_S1F_EUlS1E_E_NS1_11comp_targetILNS1_3genE3ELNS1_11target_archE908ELNS1_3gpuE7ELNS1_3repE0EEENS1_30default_config_static_selectorELNS0_4arch9wavefront6targetE1EEEvT1_ ; -- Begin function _ZN7rocprim17ROCPRIM_400000_NS6detail17trampoline_kernelINS0_14default_configENS1_25partition_config_selectorILNS1_17partition_subalgoE2ExNS0_10empty_typeEbEEZZNS1_14partition_implILS5_2ELb0ES3_jN6thrust23THRUST_200600_302600_NS6detail15normal_iteratorINSA_7pointerIxNSA_11hip_rocprim3tagENSA_11use_defaultESG_EEEEPS6_NSA_18transform_iteratorI10is_orderedNSA_12zip_iteratorINSA_5tupleINSC_INSA_10device_ptrIxEEEESQ_NSA_9null_typeESR_SR_SR_SR_SR_SR_SR_EEEESG_SG_EENS0_5tupleIJPxSJ_EEENSV_IJSJ_SJ_EEES6_PlJS6_EEE10hipError_tPvRmT3_T4_T5_T6_T7_T9_mT8_P12ihipStream_tbDpT10_ENKUlT_T0_E_clISt17integral_constantIbLb1EES1I_IbLb0EEEEDaS1E_S1F_EUlS1E_E_NS1_11comp_targetILNS1_3genE3ELNS1_11target_archE908ELNS1_3gpuE7ELNS1_3repE0EEENS1_30default_config_static_selectorELNS0_4arch9wavefront6targetE1EEEvT1_
	.globl	_ZN7rocprim17ROCPRIM_400000_NS6detail17trampoline_kernelINS0_14default_configENS1_25partition_config_selectorILNS1_17partition_subalgoE2ExNS0_10empty_typeEbEEZZNS1_14partition_implILS5_2ELb0ES3_jN6thrust23THRUST_200600_302600_NS6detail15normal_iteratorINSA_7pointerIxNSA_11hip_rocprim3tagENSA_11use_defaultESG_EEEEPS6_NSA_18transform_iteratorI10is_orderedNSA_12zip_iteratorINSA_5tupleINSC_INSA_10device_ptrIxEEEESQ_NSA_9null_typeESR_SR_SR_SR_SR_SR_SR_EEEESG_SG_EENS0_5tupleIJPxSJ_EEENSV_IJSJ_SJ_EEES6_PlJS6_EEE10hipError_tPvRmT3_T4_T5_T6_T7_T9_mT8_P12ihipStream_tbDpT10_ENKUlT_T0_E_clISt17integral_constantIbLb1EES1I_IbLb0EEEEDaS1E_S1F_EUlS1E_E_NS1_11comp_targetILNS1_3genE3ELNS1_11target_archE908ELNS1_3gpuE7ELNS1_3repE0EEENS1_30default_config_static_selectorELNS0_4arch9wavefront6targetE1EEEvT1_
	.p2align	8
	.type	_ZN7rocprim17ROCPRIM_400000_NS6detail17trampoline_kernelINS0_14default_configENS1_25partition_config_selectorILNS1_17partition_subalgoE2ExNS0_10empty_typeEbEEZZNS1_14partition_implILS5_2ELb0ES3_jN6thrust23THRUST_200600_302600_NS6detail15normal_iteratorINSA_7pointerIxNSA_11hip_rocprim3tagENSA_11use_defaultESG_EEEEPS6_NSA_18transform_iteratorI10is_orderedNSA_12zip_iteratorINSA_5tupleINSC_INSA_10device_ptrIxEEEESQ_NSA_9null_typeESR_SR_SR_SR_SR_SR_SR_EEEESG_SG_EENS0_5tupleIJPxSJ_EEENSV_IJSJ_SJ_EEES6_PlJS6_EEE10hipError_tPvRmT3_T4_T5_T6_T7_T9_mT8_P12ihipStream_tbDpT10_ENKUlT_T0_E_clISt17integral_constantIbLb1EES1I_IbLb0EEEEDaS1E_S1F_EUlS1E_E_NS1_11comp_targetILNS1_3genE3ELNS1_11target_archE908ELNS1_3gpuE7ELNS1_3repE0EEENS1_30default_config_static_selectorELNS0_4arch9wavefront6targetE1EEEvT1_,@function
_ZN7rocprim17ROCPRIM_400000_NS6detail17trampoline_kernelINS0_14default_configENS1_25partition_config_selectorILNS1_17partition_subalgoE2ExNS0_10empty_typeEbEEZZNS1_14partition_implILS5_2ELb0ES3_jN6thrust23THRUST_200600_302600_NS6detail15normal_iteratorINSA_7pointerIxNSA_11hip_rocprim3tagENSA_11use_defaultESG_EEEEPS6_NSA_18transform_iteratorI10is_orderedNSA_12zip_iteratorINSA_5tupleINSC_INSA_10device_ptrIxEEEESQ_NSA_9null_typeESR_SR_SR_SR_SR_SR_SR_EEEESG_SG_EENS0_5tupleIJPxSJ_EEENSV_IJSJ_SJ_EEES6_PlJS6_EEE10hipError_tPvRmT3_T4_T5_T6_T7_T9_mT8_P12ihipStream_tbDpT10_ENKUlT_T0_E_clISt17integral_constantIbLb1EES1I_IbLb0EEEEDaS1E_S1F_EUlS1E_E_NS1_11comp_targetILNS1_3genE3ELNS1_11target_archE908ELNS1_3gpuE7ELNS1_3repE0EEENS1_30default_config_static_selectorELNS0_4arch9wavefront6targetE1EEEvT1_: ; @_ZN7rocprim17ROCPRIM_400000_NS6detail17trampoline_kernelINS0_14default_configENS1_25partition_config_selectorILNS1_17partition_subalgoE2ExNS0_10empty_typeEbEEZZNS1_14partition_implILS5_2ELb0ES3_jN6thrust23THRUST_200600_302600_NS6detail15normal_iteratorINSA_7pointerIxNSA_11hip_rocprim3tagENSA_11use_defaultESG_EEEEPS6_NSA_18transform_iteratorI10is_orderedNSA_12zip_iteratorINSA_5tupleINSC_INSA_10device_ptrIxEEEESQ_NSA_9null_typeESR_SR_SR_SR_SR_SR_SR_EEEESG_SG_EENS0_5tupleIJPxSJ_EEENSV_IJSJ_SJ_EEES6_PlJS6_EEE10hipError_tPvRmT3_T4_T5_T6_T7_T9_mT8_P12ihipStream_tbDpT10_ENKUlT_T0_E_clISt17integral_constantIbLb1EES1I_IbLb0EEEEDaS1E_S1F_EUlS1E_E_NS1_11comp_targetILNS1_3genE3ELNS1_11target_archE908ELNS1_3gpuE7ELNS1_3repE0EEENS1_30default_config_static_selectorELNS0_4arch9wavefront6targetE1EEEvT1_
; %bb.0:
	.section	.rodata,"a",@progbits
	.p2align	6, 0x0
	.amdhsa_kernel _ZN7rocprim17ROCPRIM_400000_NS6detail17trampoline_kernelINS0_14default_configENS1_25partition_config_selectorILNS1_17partition_subalgoE2ExNS0_10empty_typeEbEEZZNS1_14partition_implILS5_2ELb0ES3_jN6thrust23THRUST_200600_302600_NS6detail15normal_iteratorINSA_7pointerIxNSA_11hip_rocprim3tagENSA_11use_defaultESG_EEEEPS6_NSA_18transform_iteratorI10is_orderedNSA_12zip_iteratorINSA_5tupleINSC_INSA_10device_ptrIxEEEESQ_NSA_9null_typeESR_SR_SR_SR_SR_SR_SR_EEEESG_SG_EENS0_5tupleIJPxSJ_EEENSV_IJSJ_SJ_EEES6_PlJS6_EEE10hipError_tPvRmT3_T4_T5_T6_T7_T9_mT8_P12ihipStream_tbDpT10_ENKUlT_T0_E_clISt17integral_constantIbLb1EES1I_IbLb0EEEEDaS1E_S1F_EUlS1E_E_NS1_11comp_targetILNS1_3genE3ELNS1_11target_archE908ELNS1_3gpuE7ELNS1_3repE0EEENS1_30default_config_static_selectorELNS0_4arch9wavefront6targetE1EEEvT1_
		.amdhsa_group_segment_fixed_size 0
		.amdhsa_private_segment_fixed_size 0
		.amdhsa_kernarg_size 136
		.amdhsa_user_sgpr_count 6
		.amdhsa_user_sgpr_private_segment_buffer 1
		.amdhsa_user_sgpr_dispatch_ptr 0
		.amdhsa_user_sgpr_queue_ptr 0
		.amdhsa_user_sgpr_kernarg_segment_ptr 1
		.amdhsa_user_sgpr_dispatch_id 0
		.amdhsa_user_sgpr_flat_scratch_init 0
		.amdhsa_user_sgpr_kernarg_preload_length 0
		.amdhsa_user_sgpr_kernarg_preload_offset 0
		.amdhsa_user_sgpr_private_segment_size 0
		.amdhsa_uses_dynamic_stack 0
		.amdhsa_system_sgpr_private_segment_wavefront_offset 0
		.amdhsa_system_sgpr_workgroup_id_x 1
		.amdhsa_system_sgpr_workgroup_id_y 0
		.amdhsa_system_sgpr_workgroup_id_z 0
		.amdhsa_system_sgpr_workgroup_info 0
		.amdhsa_system_vgpr_workitem_id 0
		.amdhsa_next_free_vgpr 1
		.amdhsa_next_free_sgpr 0
		.amdhsa_accum_offset 4
		.amdhsa_reserve_vcc 0
		.amdhsa_reserve_flat_scratch 0
		.amdhsa_float_round_mode_32 0
		.amdhsa_float_round_mode_16_64 0
		.amdhsa_float_denorm_mode_32 3
		.amdhsa_float_denorm_mode_16_64 3
		.amdhsa_dx10_clamp 1
		.amdhsa_ieee_mode 1
		.amdhsa_fp16_overflow 0
		.amdhsa_tg_split 0
		.amdhsa_exception_fp_ieee_invalid_op 0
		.amdhsa_exception_fp_denorm_src 0
		.amdhsa_exception_fp_ieee_div_zero 0
		.amdhsa_exception_fp_ieee_overflow 0
		.amdhsa_exception_fp_ieee_underflow 0
		.amdhsa_exception_fp_ieee_inexact 0
		.amdhsa_exception_int_div_zero 0
	.end_amdhsa_kernel
	.section	.text._ZN7rocprim17ROCPRIM_400000_NS6detail17trampoline_kernelINS0_14default_configENS1_25partition_config_selectorILNS1_17partition_subalgoE2ExNS0_10empty_typeEbEEZZNS1_14partition_implILS5_2ELb0ES3_jN6thrust23THRUST_200600_302600_NS6detail15normal_iteratorINSA_7pointerIxNSA_11hip_rocprim3tagENSA_11use_defaultESG_EEEEPS6_NSA_18transform_iteratorI10is_orderedNSA_12zip_iteratorINSA_5tupleINSC_INSA_10device_ptrIxEEEESQ_NSA_9null_typeESR_SR_SR_SR_SR_SR_SR_EEEESG_SG_EENS0_5tupleIJPxSJ_EEENSV_IJSJ_SJ_EEES6_PlJS6_EEE10hipError_tPvRmT3_T4_T5_T6_T7_T9_mT8_P12ihipStream_tbDpT10_ENKUlT_T0_E_clISt17integral_constantIbLb1EES1I_IbLb0EEEEDaS1E_S1F_EUlS1E_E_NS1_11comp_targetILNS1_3genE3ELNS1_11target_archE908ELNS1_3gpuE7ELNS1_3repE0EEENS1_30default_config_static_selectorELNS0_4arch9wavefront6targetE1EEEvT1_,"axG",@progbits,_ZN7rocprim17ROCPRIM_400000_NS6detail17trampoline_kernelINS0_14default_configENS1_25partition_config_selectorILNS1_17partition_subalgoE2ExNS0_10empty_typeEbEEZZNS1_14partition_implILS5_2ELb0ES3_jN6thrust23THRUST_200600_302600_NS6detail15normal_iteratorINSA_7pointerIxNSA_11hip_rocprim3tagENSA_11use_defaultESG_EEEEPS6_NSA_18transform_iteratorI10is_orderedNSA_12zip_iteratorINSA_5tupleINSC_INSA_10device_ptrIxEEEESQ_NSA_9null_typeESR_SR_SR_SR_SR_SR_SR_EEEESG_SG_EENS0_5tupleIJPxSJ_EEENSV_IJSJ_SJ_EEES6_PlJS6_EEE10hipError_tPvRmT3_T4_T5_T6_T7_T9_mT8_P12ihipStream_tbDpT10_ENKUlT_T0_E_clISt17integral_constantIbLb1EES1I_IbLb0EEEEDaS1E_S1F_EUlS1E_E_NS1_11comp_targetILNS1_3genE3ELNS1_11target_archE908ELNS1_3gpuE7ELNS1_3repE0EEENS1_30default_config_static_selectorELNS0_4arch9wavefront6targetE1EEEvT1_,comdat
.Lfunc_end3581:
	.size	_ZN7rocprim17ROCPRIM_400000_NS6detail17trampoline_kernelINS0_14default_configENS1_25partition_config_selectorILNS1_17partition_subalgoE2ExNS0_10empty_typeEbEEZZNS1_14partition_implILS5_2ELb0ES3_jN6thrust23THRUST_200600_302600_NS6detail15normal_iteratorINSA_7pointerIxNSA_11hip_rocprim3tagENSA_11use_defaultESG_EEEEPS6_NSA_18transform_iteratorI10is_orderedNSA_12zip_iteratorINSA_5tupleINSC_INSA_10device_ptrIxEEEESQ_NSA_9null_typeESR_SR_SR_SR_SR_SR_SR_EEEESG_SG_EENS0_5tupleIJPxSJ_EEENSV_IJSJ_SJ_EEES6_PlJS6_EEE10hipError_tPvRmT3_T4_T5_T6_T7_T9_mT8_P12ihipStream_tbDpT10_ENKUlT_T0_E_clISt17integral_constantIbLb1EES1I_IbLb0EEEEDaS1E_S1F_EUlS1E_E_NS1_11comp_targetILNS1_3genE3ELNS1_11target_archE908ELNS1_3gpuE7ELNS1_3repE0EEENS1_30default_config_static_selectorELNS0_4arch9wavefront6targetE1EEEvT1_, .Lfunc_end3581-_ZN7rocprim17ROCPRIM_400000_NS6detail17trampoline_kernelINS0_14default_configENS1_25partition_config_selectorILNS1_17partition_subalgoE2ExNS0_10empty_typeEbEEZZNS1_14partition_implILS5_2ELb0ES3_jN6thrust23THRUST_200600_302600_NS6detail15normal_iteratorINSA_7pointerIxNSA_11hip_rocprim3tagENSA_11use_defaultESG_EEEEPS6_NSA_18transform_iteratorI10is_orderedNSA_12zip_iteratorINSA_5tupleINSC_INSA_10device_ptrIxEEEESQ_NSA_9null_typeESR_SR_SR_SR_SR_SR_SR_EEEESG_SG_EENS0_5tupleIJPxSJ_EEENSV_IJSJ_SJ_EEES6_PlJS6_EEE10hipError_tPvRmT3_T4_T5_T6_T7_T9_mT8_P12ihipStream_tbDpT10_ENKUlT_T0_E_clISt17integral_constantIbLb1EES1I_IbLb0EEEEDaS1E_S1F_EUlS1E_E_NS1_11comp_targetILNS1_3genE3ELNS1_11target_archE908ELNS1_3gpuE7ELNS1_3repE0EEENS1_30default_config_static_selectorELNS0_4arch9wavefront6targetE1EEEvT1_
                                        ; -- End function
	.section	.AMDGPU.csdata,"",@progbits
; Kernel info:
; codeLenInByte = 0
; NumSgprs: 4
; NumVgprs: 0
; NumAgprs: 0
; TotalNumVgprs: 0
; ScratchSize: 0
; MemoryBound: 0
; FloatMode: 240
; IeeeMode: 1
; LDSByteSize: 0 bytes/workgroup (compile time only)
; SGPRBlocks: 0
; VGPRBlocks: 0
; NumSGPRsForWavesPerEU: 4
; NumVGPRsForWavesPerEU: 1
; AccumOffset: 4
; Occupancy: 8
; WaveLimiterHint : 0
; COMPUTE_PGM_RSRC2:SCRATCH_EN: 0
; COMPUTE_PGM_RSRC2:USER_SGPR: 6
; COMPUTE_PGM_RSRC2:TRAP_HANDLER: 0
; COMPUTE_PGM_RSRC2:TGID_X_EN: 1
; COMPUTE_PGM_RSRC2:TGID_Y_EN: 0
; COMPUTE_PGM_RSRC2:TGID_Z_EN: 0
; COMPUTE_PGM_RSRC2:TIDIG_COMP_CNT: 0
; COMPUTE_PGM_RSRC3_GFX90A:ACCUM_OFFSET: 0
; COMPUTE_PGM_RSRC3_GFX90A:TG_SPLIT: 0
	.section	.text._ZN7rocprim17ROCPRIM_400000_NS6detail17trampoline_kernelINS0_14default_configENS1_25partition_config_selectorILNS1_17partition_subalgoE2ExNS0_10empty_typeEbEEZZNS1_14partition_implILS5_2ELb0ES3_jN6thrust23THRUST_200600_302600_NS6detail15normal_iteratorINSA_7pointerIxNSA_11hip_rocprim3tagENSA_11use_defaultESG_EEEEPS6_NSA_18transform_iteratorI10is_orderedNSA_12zip_iteratorINSA_5tupleINSC_INSA_10device_ptrIxEEEESQ_NSA_9null_typeESR_SR_SR_SR_SR_SR_SR_EEEESG_SG_EENS0_5tupleIJPxSJ_EEENSV_IJSJ_SJ_EEES6_PlJS6_EEE10hipError_tPvRmT3_T4_T5_T6_T7_T9_mT8_P12ihipStream_tbDpT10_ENKUlT_T0_E_clISt17integral_constantIbLb1EES1I_IbLb0EEEEDaS1E_S1F_EUlS1E_E_NS1_11comp_targetILNS1_3genE2ELNS1_11target_archE906ELNS1_3gpuE6ELNS1_3repE0EEENS1_30default_config_static_selectorELNS0_4arch9wavefront6targetE1EEEvT1_,"axG",@progbits,_ZN7rocprim17ROCPRIM_400000_NS6detail17trampoline_kernelINS0_14default_configENS1_25partition_config_selectorILNS1_17partition_subalgoE2ExNS0_10empty_typeEbEEZZNS1_14partition_implILS5_2ELb0ES3_jN6thrust23THRUST_200600_302600_NS6detail15normal_iteratorINSA_7pointerIxNSA_11hip_rocprim3tagENSA_11use_defaultESG_EEEEPS6_NSA_18transform_iteratorI10is_orderedNSA_12zip_iteratorINSA_5tupleINSC_INSA_10device_ptrIxEEEESQ_NSA_9null_typeESR_SR_SR_SR_SR_SR_SR_EEEESG_SG_EENS0_5tupleIJPxSJ_EEENSV_IJSJ_SJ_EEES6_PlJS6_EEE10hipError_tPvRmT3_T4_T5_T6_T7_T9_mT8_P12ihipStream_tbDpT10_ENKUlT_T0_E_clISt17integral_constantIbLb1EES1I_IbLb0EEEEDaS1E_S1F_EUlS1E_E_NS1_11comp_targetILNS1_3genE2ELNS1_11target_archE906ELNS1_3gpuE6ELNS1_3repE0EEENS1_30default_config_static_selectorELNS0_4arch9wavefront6targetE1EEEvT1_,comdat
	.protected	_ZN7rocprim17ROCPRIM_400000_NS6detail17trampoline_kernelINS0_14default_configENS1_25partition_config_selectorILNS1_17partition_subalgoE2ExNS0_10empty_typeEbEEZZNS1_14partition_implILS5_2ELb0ES3_jN6thrust23THRUST_200600_302600_NS6detail15normal_iteratorINSA_7pointerIxNSA_11hip_rocprim3tagENSA_11use_defaultESG_EEEEPS6_NSA_18transform_iteratorI10is_orderedNSA_12zip_iteratorINSA_5tupleINSC_INSA_10device_ptrIxEEEESQ_NSA_9null_typeESR_SR_SR_SR_SR_SR_SR_EEEESG_SG_EENS0_5tupleIJPxSJ_EEENSV_IJSJ_SJ_EEES6_PlJS6_EEE10hipError_tPvRmT3_T4_T5_T6_T7_T9_mT8_P12ihipStream_tbDpT10_ENKUlT_T0_E_clISt17integral_constantIbLb1EES1I_IbLb0EEEEDaS1E_S1F_EUlS1E_E_NS1_11comp_targetILNS1_3genE2ELNS1_11target_archE906ELNS1_3gpuE6ELNS1_3repE0EEENS1_30default_config_static_selectorELNS0_4arch9wavefront6targetE1EEEvT1_ ; -- Begin function _ZN7rocprim17ROCPRIM_400000_NS6detail17trampoline_kernelINS0_14default_configENS1_25partition_config_selectorILNS1_17partition_subalgoE2ExNS0_10empty_typeEbEEZZNS1_14partition_implILS5_2ELb0ES3_jN6thrust23THRUST_200600_302600_NS6detail15normal_iteratorINSA_7pointerIxNSA_11hip_rocprim3tagENSA_11use_defaultESG_EEEEPS6_NSA_18transform_iteratorI10is_orderedNSA_12zip_iteratorINSA_5tupleINSC_INSA_10device_ptrIxEEEESQ_NSA_9null_typeESR_SR_SR_SR_SR_SR_SR_EEEESG_SG_EENS0_5tupleIJPxSJ_EEENSV_IJSJ_SJ_EEES6_PlJS6_EEE10hipError_tPvRmT3_T4_T5_T6_T7_T9_mT8_P12ihipStream_tbDpT10_ENKUlT_T0_E_clISt17integral_constantIbLb1EES1I_IbLb0EEEEDaS1E_S1F_EUlS1E_E_NS1_11comp_targetILNS1_3genE2ELNS1_11target_archE906ELNS1_3gpuE6ELNS1_3repE0EEENS1_30default_config_static_selectorELNS0_4arch9wavefront6targetE1EEEvT1_
	.globl	_ZN7rocprim17ROCPRIM_400000_NS6detail17trampoline_kernelINS0_14default_configENS1_25partition_config_selectorILNS1_17partition_subalgoE2ExNS0_10empty_typeEbEEZZNS1_14partition_implILS5_2ELb0ES3_jN6thrust23THRUST_200600_302600_NS6detail15normal_iteratorINSA_7pointerIxNSA_11hip_rocprim3tagENSA_11use_defaultESG_EEEEPS6_NSA_18transform_iteratorI10is_orderedNSA_12zip_iteratorINSA_5tupleINSC_INSA_10device_ptrIxEEEESQ_NSA_9null_typeESR_SR_SR_SR_SR_SR_SR_EEEESG_SG_EENS0_5tupleIJPxSJ_EEENSV_IJSJ_SJ_EEES6_PlJS6_EEE10hipError_tPvRmT3_T4_T5_T6_T7_T9_mT8_P12ihipStream_tbDpT10_ENKUlT_T0_E_clISt17integral_constantIbLb1EES1I_IbLb0EEEEDaS1E_S1F_EUlS1E_E_NS1_11comp_targetILNS1_3genE2ELNS1_11target_archE906ELNS1_3gpuE6ELNS1_3repE0EEENS1_30default_config_static_selectorELNS0_4arch9wavefront6targetE1EEEvT1_
	.p2align	8
	.type	_ZN7rocprim17ROCPRIM_400000_NS6detail17trampoline_kernelINS0_14default_configENS1_25partition_config_selectorILNS1_17partition_subalgoE2ExNS0_10empty_typeEbEEZZNS1_14partition_implILS5_2ELb0ES3_jN6thrust23THRUST_200600_302600_NS6detail15normal_iteratorINSA_7pointerIxNSA_11hip_rocprim3tagENSA_11use_defaultESG_EEEEPS6_NSA_18transform_iteratorI10is_orderedNSA_12zip_iteratorINSA_5tupleINSC_INSA_10device_ptrIxEEEESQ_NSA_9null_typeESR_SR_SR_SR_SR_SR_SR_EEEESG_SG_EENS0_5tupleIJPxSJ_EEENSV_IJSJ_SJ_EEES6_PlJS6_EEE10hipError_tPvRmT3_T4_T5_T6_T7_T9_mT8_P12ihipStream_tbDpT10_ENKUlT_T0_E_clISt17integral_constantIbLb1EES1I_IbLb0EEEEDaS1E_S1F_EUlS1E_E_NS1_11comp_targetILNS1_3genE2ELNS1_11target_archE906ELNS1_3gpuE6ELNS1_3repE0EEENS1_30default_config_static_selectorELNS0_4arch9wavefront6targetE1EEEvT1_,@function
_ZN7rocprim17ROCPRIM_400000_NS6detail17trampoline_kernelINS0_14default_configENS1_25partition_config_selectorILNS1_17partition_subalgoE2ExNS0_10empty_typeEbEEZZNS1_14partition_implILS5_2ELb0ES3_jN6thrust23THRUST_200600_302600_NS6detail15normal_iteratorINSA_7pointerIxNSA_11hip_rocprim3tagENSA_11use_defaultESG_EEEEPS6_NSA_18transform_iteratorI10is_orderedNSA_12zip_iteratorINSA_5tupleINSC_INSA_10device_ptrIxEEEESQ_NSA_9null_typeESR_SR_SR_SR_SR_SR_SR_EEEESG_SG_EENS0_5tupleIJPxSJ_EEENSV_IJSJ_SJ_EEES6_PlJS6_EEE10hipError_tPvRmT3_T4_T5_T6_T7_T9_mT8_P12ihipStream_tbDpT10_ENKUlT_T0_E_clISt17integral_constantIbLb1EES1I_IbLb0EEEEDaS1E_S1F_EUlS1E_E_NS1_11comp_targetILNS1_3genE2ELNS1_11target_archE906ELNS1_3gpuE6ELNS1_3repE0EEENS1_30default_config_static_selectorELNS0_4arch9wavefront6targetE1EEEvT1_: ; @_ZN7rocprim17ROCPRIM_400000_NS6detail17trampoline_kernelINS0_14default_configENS1_25partition_config_selectorILNS1_17partition_subalgoE2ExNS0_10empty_typeEbEEZZNS1_14partition_implILS5_2ELb0ES3_jN6thrust23THRUST_200600_302600_NS6detail15normal_iteratorINSA_7pointerIxNSA_11hip_rocprim3tagENSA_11use_defaultESG_EEEEPS6_NSA_18transform_iteratorI10is_orderedNSA_12zip_iteratorINSA_5tupleINSC_INSA_10device_ptrIxEEEESQ_NSA_9null_typeESR_SR_SR_SR_SR_SR_SR_EEEESG_SG_EENS0_5tupleIJPxSJ_EEENSV_IJSJ_SJ_EEES6_PlJS6_EEE10hipError_tPvRmT3_T4_T5_T6_T7_T9_mT8_P12ihipStream_tbDpT10_ENKUlT_T0_E_clISt17integral_constantIbLb1EES1I_IbLb0EEEEDaS1E_S1F_EUlS1E_E_NS1_11comp_targetILNS1_3genE2ELNS1_11target_archE906ELNS1_3gpuE6ELNS1_3repE0EEENS1_30default_config_static_selectorELNS0_4arch9wavefront6targetE1EEEvT1_
; %bb.0:
	.section	.rodata,"a",@progbits
	.p2align	6, 0x0
	.amdhsa_kernel _ZN7rocprim17ROCPRIM_400000_NS6detail17trampoline_kernelINS0_14default_configENS1_25partition_config_selectorILNS1_17partition_subalgoE2ExNS0_10empty_typeEbEEZZNS1_14partition_implILS5_2ELb0ES3_jN6thrust23THRUST_200600_302600_NS6detail15normal_iteratorINSA_7pointerIxNSA_11hip_rocprim3tagENSA_11use_defaultESG_EEEEPS6_NSA_18transform_iteratorI10is_orderedNSA_12zip_iteratorINSA_5tupleINSC_INSA_10device_ptrIxEEEESQ_NSA_9null_typeESR_SR_SR_SR_SR_SR_SR_EEEESG_SG_EENS0_5tupleIJPxSJ_EEENSV_IJSJ_SJ_EEES6_PlJS6_EEE10hipError_tPvRmT3_T4_T5_T6_T7_T9_mT8_P12ihipStream_tbDpT10_ENKUlT_T0_E_clISt17integral_constantIbLb1EES1I_IbLb0EEEEDaS1E_S1F_EUlS1E_E_NS1_11comp_targetILNS1_3genE2ELNS1_11target_archE906ELNS1_3gpuE6ELNS1_3repE0EEENS1_30default_config_static_selectorELNS0_4arch9wavefront6targetE1EEEvT1_
		.amdhsa_group_segment_fixed_size 0
		.amdhsa_private_segment_fixed_size 0
		.amdhsa_kernarg_size 136
		.amdhsa_user_sgpr_count 6
		.amdhsa_user_sgpr_private_segment_buffer 1
		.amdhsa_user_sgpr_dispatch_ptr 0
		.amdhsa_user_sgpr_queue_ptr 0
		.amdhsa_user_sgpr_kernarg_segment_ptr 1
		.amdhsa_user_sgpr_dispatch_id 0
		.amdhsa_user_sgpr_flat_scratch_init 0
		.amdhsa_user_sgpr_kernarg_preload_length 0
		.amdhsa_user_sgpr_kernarg_preload_offset 0
		.amdhsa_user_sgpr_private_segment_size 0
		.amdhsa_uses_dynamic_stack 0
		.amdhsa_system_sgpr_private_segment_wavefront_offset 0
		.amdhsa_system_sgpr_workgroup_id_x 1
		.amdhsa_system_sgpr_workgroup_id_y 0
		.amdhsa_system_sgpr_workgroup_id_z 0
		.amdhsa_system_sgpr_workgroup_info 0
		.amdhsa_system_vgpr_workitem_id 0
		.amdhsa_next_free_vgpr 1
		.amdhsa_next_free_sgpr 0
		.amdhsa_accum_offset 4
		.amdhsa_reserve_vcc 0
		.amdhsa_reserve_flat_scratch 0
		.amdhsa_float_round_mode_32 0
		.amdhsa_float_round_mode_16_64 0
		.amdhsa_float_denorm_mode_32 3
		.amdhsa_float_denorm_mode_16_64 3
		.amdhsa_dx10_clamp 1
		.amdhsa_ieee_mode 1
		.amdhsa_fp16_overflow 0
		.amdhsa_tg_split 0
		.amdhsa_exception_fp_ieee_invalid_op 0
		.amdhsa_exception_fp_denorm_src 0
		.amdhsa_exception_fp_ieee_div_zero 0
		.amdhsa_exception_fp_ieee_overflow 0
		.amdhsa_exception_fp_ieee_underflow 0
		.amdhsa_exception_fp_ieee_inexact 0
		.amdhsa_exception_int_div_zero 0
	.end_amdhsa_kernel
	.section	.text._ZN7rocprim17ROCPRIM_400000_NS6detail17trampoline_kernelINS0_14default_configENS1_25partition_config_selectorILNS1_17partition_subalgoE2ExNS0_10empty_typeEbEEZZNS1_14partition_implILS5_2ELb0ES3_jN6thrust23THRUST_200600_302600_NS6detail15normal_iteratorINSA_7pointerIxNSA_11hip_rocprim3tagENSA_11use_defaultESG_EEEEPS6_NSA_18transform_iteratorI10is_orderedNSA_12zip_iteratorINSA_5tupleINSC_INSA_10device_ptrIxEEEESQ_NSA_9null_typeESR_SR_SR_SR_SR_SR_SR_EEEESG_SG_EENS0_5tupleIJPxSJ_EEENSV_IJSJ_SJ_EEES6_PlJS6_EEE10hipError_tPvRmT3_T4_T5_T6_T7_T9_mT8_P12ihipStream_tbDpT10_ENKUlT_T0_E_clISt17integral_constantIbLb1EES1I_IbLb0EEEEDaS1E_S1F_EUlS1E_E_NS1_11comp_targetILNS1_3genE2ELNS1_11target_archE906ELNS1_3gpuE6ELNS1_3repE0EEENS1_30default_config_static_selectorELNS0_4arch9wavefront6targetE1EEEvT1_,"axG",@progbits,_ZN7rocprim17ROCPRIM_400000_NS6detail17trampoline_kernelINS0_14default_configENS1_25partition_config_selectorILNS1_17partition_subalgoE2ExNS0_10empty_typeEbEEZZNS1_14partition_implILS5_2ELb0ES3_jN6thrust23THRUST_200600_302600_NS6detail15normal_iteratorINSA_7pointerIxNSA_11hip_rocprim3tagENSA_11use_defaultESG_EEEEPS6_NSA_18transform_iteratorI10is_orderedNSA_12zip_iteratorINSA_5tupleINSC_INSA_10device_ptrIxEEEESQ_NSA_9null_typeESR_SR_SR_SR_SR_SR_SR_EEEESG_SG_EENS0_5tupleIJPxSJ_EEENSV_IJSJ_SJ_EEES6_PlJS6_EEE10hipError_tPvRmT3_T4_T5_T6_T7_T9_mT8_P12ihipStream_tbDpT10_ENKUlT_T0_E_clISt17integral_constantIbLb1EES1I_IbLb0EEEEDaS1E_S1F_EUlS1E_E_NS1_11comp_targetILNS1_3genE2ELNS1_11target_archE906ELNS1_3gpuE6ELNS1_3repE0EEENS1_30default_config_static_selectorELNS0_4arch9wavefront6targetE1EEEvT1_,comdat
.Lfunc_end3582:
	.size	_ZN7rocprim17ROCPRIM_400000_NS6detail17trampoline_kernelINS0_14default_configENS1_25partition_config_selectorILNS1_17partition_subalgoE2ExNS0_10empty_typeEbEEZZNS1_14partition_implILS5_2ELb0ES3_jN6thrust23THRUST_200600_302600_NS6detail15normal_iteratorINSA_7pointerIxNSA_11hip_rocprim3tagENSA_11use_defaultESG_EEEEPS6_NSA_18transform_iteratorI10is_orderedNSA_12zip_iteratorINSA_5tupleINSC_INSA_10device_ptrIxEEEESQ_NSA_9null_typeESR_SR_SR_SR_SR_SR_SR_EEEESG_SG_EENS0_5tupleIJPxSJ_EEENSV_IJSJ_SJ_EEES6_PlJS6_EEE10hipError_tPvRmT3_T4_T5_T6_T7_T9_mT8_P12ihipStream_tbDpT10_ENKUlT_T0_E_clISt17integral_constantIbLb1EES1I_IbLb0EEEEDaS1E_S1F_EUlS1E_E_NS1_11comp_targetILNS1_3genE2ELNS1_11target_archE906ELNS1_3gpuE6ELNS1_3repE0EEENS1_30default_config_static_selectorELNS0_4arch9wavefront6targetE1EEEvT1_, .Lfunc_end3582-_ZN7rocprim17ROCPRIM_400000_NS6detail17trampoline_kernelINS0_14default_configENS1_25partition_config_selectorILNS1_17partition_subalgoE2ExNS0_10empty_typeEbEEZZNS1_14partition_implILS5_2ELb0ES3_jN6thrust23THRUST_200600_302600_NS6detail15normal_iteratorINSA_7pointerIxNSA_11hip_rocprim3tagENSA_11use_defaultESG_EEEEPS6_NSA_18transform_iteratorI10is_orderedNSA_12zip_iteratorINSA_5tupleINSC_INSA_10device_ptrIxEEEESQ_NSA_9null_typeESR_SR_SR_SR_SR_SR_SR_EEEESG_SG_EENS0_5tupleIJPxSJ_EEENSV_IJSJ_SJ_EEES6_PlJS6_EEE10hipError_tPvRmT3_T4_T5_T6_T7_T9_mT8_P12ihipStream_tbDpT10_ENKUlT_T0_E_clISt17integral_constantIbLb1EES1I_IbLb0EEEEDaS1E_S1F_EUlS1E_E_NS1_11comp_targetILNS1_3genE2ELNS1_11target_archE906ELNS1_3gpuE6ELNS1_3repE0EEENS1_30default_config_static_selectorELNS0_4arch9wavefront6targetE1EEEvT1_
                                        ; -- End function
	.section	.AMDGPU.csdata,"",@progbits
; Kernel info:
; codeLenInByte = 0
; NumSgprs: 4
; NumVgprs: 0
; NumAgprs: 0
; TotalNumVgprs: 0
; ScratchSize: 0
; MemoryBound: 0
; FloatMode: 240
; IeeeMode: 1
; LDSByteSize: 0 bytes/workgroup (compile time only)
; SGPRBlocks: 0
; VGPRBlocks: 0
; NumSGPRsForWavesPerEU: 4
; NumVGPRsForWavesPerEU: 1
; AccumOffset: 4
; Occupancy: 8
; WaveLimiterHint : 0
; COMPUTE_PGM_RSRC2:SCRATCH_EN: 0
; COMPUTE_PGM_RSRC2:USER_SGPR: 6
; COMPUTE_PGM_RSRC2:TRAP_HANDLER: 0
; COMPUTE_PGM_RSRC2:TGID_X_EN: 1
; COMPUTE_PGM_RSRC2:TGID_Y_EN: 0
; COMPUTE_PGM_RSRC2:TGID_Z_EN: 0
; COMPUTE_PGM_RSRC2:TIDIG_COMP_CNT: 0
; COMPUTE_PGM_RSRC3_GFX90A:ACCUM_OFFSET: 0
; COMPUTE_PGM_RSRC3_GFX90A:TG_SPLIT: 0
	.section	.text._ZN7rocprim17ROCPRIM_400000_NS6detail17trampoline_kernelINS0_14default_configENS1_25partition_config_selectorILNS1_17partition_subalgoE2ExNS0_10empty_typeEbEEZZNS1_14partition_implILS5_2ELb0ES3_jN6thrust23THRUST_200600_302600_NS6detail15normal_iteratorINSA_7pointerIxNSA_11hip_rocprim3tagENSA_11use_defaultESG_EEEEPS6_NSA_18transform_iteratorI10is_orderedNSA_12zip_iteratorINSA_5tupleINSC_INSA_10device_ptrIxEEEESQ_NSA_9null_typeESR_SR_SR_SR_SR_SR_SR_EEEESG_SG_EENS0_5tupleIJPxSJ_EEENSV_IJSJ_SJ_EEES6_PlJS6_EEE10hipError_tPvRmT3_T4_T5_T6_T7_T9_mT8_P12ihipStream_tbDpT10_ENKUlT_T0_E_clISt17integral_constantIbLb1EES1I_IbLb0EEEEDaS1E_S1F_EUlS1E_E_NS1_11comp_targetILNS1_3genE10ELNS1_11target_archE1200ELNS1_3gpuE4ELNS1_3repE0EEENS1_30default_config_static_selectorELNS0_4arch9wavefront6targetE1EEEvT1_,"axG",@progbits,_ZN7rocprim17ROCPRIM_400000_NS6detail17trampoline_kernelINS0_14default_configENS1_25partition_config_selectorILNS1_17partition_subalgoE2ExNS0_10empty_typeEbEEZZNS1_14partition_implILS5_2ELb0ES3_jN6thrust23THRUST_200600_302600_NS6detail15normal_iteratorINSA_7pointerIxNSA_11hip_rocprim3tagENSA_11use_defaultESG_EEEEPS6_NSA_18transform_iteratorI10is_orderedNSA_12zip_iteratorINSA_5tupleINSC_INSA_10device_ptrIxEEEESQ_NSA_9null_typeESR_SR_SR_SR_SR_SR_SR_EEEESG_SG_EENS0_5tupleIJPxSJ_EEENSV_IJSJ_SJ_EEES6_PlJS6_EEE10hipError_tPvRmT3_T4_T5_T6_T7_T9_mT8_P12ihipStream_tbDpT10_ENKUlT_T0_E_clISt17integral_constantIbLb1EES1I_IbLb0EEEEDaS1E_S1F_EUlS1E_E_NS1_11comp_targetILNS1_3genE10ELNS1_11target_archE1200ELNS1_3gpuE4ELNS1_3repE0EEENS1_30default_config_static_selectorELNS0_4arch9wavefront6targetE1EEEvT1_,comdat
	.protected	_ZN7rocprim17ROCPRIM_400000_NS6detail17trampoline_kernelINS0_14default_configENS1_25partition_config_selectorILNS1_17partition_subalgoE2ExNS0_10empty_typeEbEEZZNS1_14partition_implILS5_2ELb0ES3_jN6thrust23THRUST_200600_302600_NS6detail15normal_iteratorINSA_7pointerIxNSA_11hip_rocprim3tagENSA_11use_defaultESG_EEEEPS6_NSA_18transform_iteratorI10is_orderedNSA_12zip_iteratorINSA_5tupleINSC_INSA_10device_ptrIxEEEESQ_NSA_9null_typeESR_SR_SR_SR_SR_SR_SR_EEEESG_SG_EENS0_5tupleIJPxSJ_EEENSV_IJSJ_SJ_EEES6_PlJS6_EEE10hipError_tPvRmT3_T4_T5_T6_T7_T9_mT8_P12ihipStream_tbDpT10_ENKUlT_T0_E_clISt17integral_constantIbLb1EES1I_IbLb0EEEEDaS1E_S1F_EUlS1E_E_NS1_11comp_targetILNS1_3genE10ELNS1_11target_archE1200ELNS1_3gpuE4ELNS1_3repE0EEENS1_30default_config_static_selectorELNS0_4arch9wavefront6targetE1EEEvT1_ ; -- Begin function _ZN7rocprim17ROCPRIM_400000_NS6detail17trampoline_kernelINS0_14default_configENS1_25partition_config_selectorILNS1_17partition_subalgoE2ExNS0_10empty_typeEbEEZZNS1_14partition_implILS5_2ELb0ES3_jN6thrust23THRUST_200600_302600_NS6detail15normal_iteratorINSA_7pointerIxNSA_11hip_rocprim3tagENSA_11use_defaultESG_EEEEPS6_NSA_18transform_iteratorI10is_orderedNSA_12zip_iteratorINSA_5tupleINSC_INSA_10device_ptrIxEEEESQ_NSA_9null_typeESR_SR_SR_SR_SR_SR_SR_EEEESG_SG_EENS0_5tupleIJPxSJ_EEENSV_IJSJ_SJ_EEES6_PlJS6_EEE10hipError_tPvRmT3_T4_T5_T6_T7_T9_mT8_P12ihipStream_tbDpT10_ENKUlT_T0_E_clISt17integral_constantIbLb1EES1I_IbLb0EEEEDaS1E_S1F_EUlS1E_E_NS1_11comp_targetILNS1_3genE10ELNS1_11target_archE1200ELNS1_3gpuE4ELNS1_3repE0EEENS1_30default_config_static_selectorELNS0_4arch9wavefront6targetE1EEEvT1_
	.globl	_ZN7rocprim17ROCPRIM_400000_NS6detail17trampoline_kernelINS0_14default_configENS1_25partition_config_selectorILNS1_17partition_subalgoE2ExNS0_10empty_typeEbEEZZNS1_14partition_implILS5_2ELb0ES3_jN6thrust23THRUST_200600_302600_NS6detail15normal_iteratorINSA_7pointerIxNSA_11hip_rocprim3tagENSA_11use_defaultESG_EEEEPS6_NSA_18transform_iteratorI10is_orderedNSA_12zip_iteratorINSA_5tupleINSC_INSA_10device_ptrIxEEEESQ_NSA_9null_typeESR_SR_SR_SR_SR_SR_SR_EEEESG_SG_EENS0_5tupleIJPxSJ_EEENSV_IJSJ_SJ_EEES6_PlJS6_EEE10hipError_tPvRmT3_T4_T5_T6_T7_T9_mT8_P12ihipStream_tbDpT10_ENKUlT_T0_E_clISt17integral_constantIbLb1EES1I_IbLb0EEEEDaS1E_S1F_EUlS1E_E_NS1_11comp_targetILNS1_3genE10ELNS1_11target_archE1200ELNS1_3gpuE4ELNS1_3repE0EEENS1_30default_config_static_selectorELNS0_4arch9wavefront6targetE1EEEvT1_
	.p2align	8
	.type	_ZN7rocprim17ROCPRIM_400000_NS6detail17trampoline_kernelINS0_14default_configENS1_25partition_config_selectorILNS1_17partition_subalgoE2ExNS0_10empty_typeEbEEZZNS1_14partition_implILS5_2ELb0ES3_jN6thrust23THRUST_200600_302600_NS6detail15normal_iteratorINSA_7pointerIxNSA_11hip_rocprim3tagENSA_11use_defaultESG_EEEEPS6_NSA_18transform_iteratorI10is_orderedNSA_12zip_iteratorINSA_5tupleINSC_INSA_10device_ptrIxEEEESQ_NSA_9null_typeESR_SR_SR_SR_SR_SR_SR_EEEESG_SG_EENS0_5tupleIJPxSJ_EEENSV_IJSJ_SJ_EEES6_PlJS6_EEE10hipError_tPvRmT3_T4_T5_T6_T7_T9_mT8_P12ihipStream_tbDpT10_ENKUlT_T0_E_clISt17integral_constantIbLb1EES1I_IbLb0EEEEDaS1E_S1F_EUlS1E_E_NS1_11comp_targetILNS1_3genE10ELNS1_11target_archE1200ELNS1_3gpuE4ELNS1_3repE0EEENS1_30default_config_static_selectorELNS0_4arch9wavefront6targetE1EEEvT1_,@function
_ZN7rocprim17ROCPRIM_400000_NS6detail17trampoline_kernelINS0_14default_configENS1_25partition_config_selectorILNS1_17partition_subalgoE2ExNS0_10empty_typeEbEEZZNS1_14partition_implILS5_2ELb0ES3_jN6thrust23THRUST_200600_302600_NS6detail15normal_iteratorINSA_7pointerIxNSA_11hip_rocprim3tagENSA_11use_defaultESG_EEEEPS6_NSA_18transform_iteratorI10is_orderedNSA_12zip_iteratorINSA_5tupleINSC_INSA_10device_ptrIxEEEESQ_NSA_9null_typeESR_SR_SR_SR_SR_SR_SR_EEEESG_SG_EENS0_5tupleIJPxSJ_EEENSV_IJSJ_SJ_EEES6_PlJS6_EEE10hipError_tPvRmT3_T4_T5_T6_T7_T9_mT8_P12ihipStream_tbDpT10_ENKUlT_T0_E_clISt17integral_constantIbLb1EES1I_IbLb0EEEEDaS1E_S1F_EUlS1E_E_NS1_11comp_targetILNS1_3genE10ELNS1_11target_archE1200ELNS1_3gpuE4ELNS1_3repE0EEENS1_30default_config_static_selectorELNS0_4arch9wavefront6targetE1EEEvT1_: ; @_ZN7rocprim17ROCPRIM_400000_NS6detail17trampoline_kernelINS0_14default_configENS1_25partition_config_selectorILNS1_17partition_subalgoE2ExNS0_10empty_typeEbEEZZNS1_14partition_implILS5_2ELb0ES3_jN6thrust23THRUST_200600_302600_NS6detail15normal_iteratorINSA_7pointerIxNSA_11hip_rocprim3tagENSA_11use_defaultESG_EEEEPS6_NSA_18transform_iteratorI10is_orderedNSA_12zip_iteratorINSA_5tupleINSC_INSA_10device_ptrIxEEEESQ_NSA_9null_typeESR_SR_SR_SR_SR_SR_SR_EEEESG_SG_EENS0_5tupleIJPxSJ_EEENSV_IJSJ_SJ_EEES6_PlJS6_EEE10hipError_tPvRmT3_T4_T5_T6_T7_T9_mT8_P12ihipStream_tbDpT10_ENKUlT_T0_E_clISt17integral_constantIbLb1EES1I_IbLb0EEEEDaS1E_S1F_EUlS1E_E_NS1_11comp_targetILNS1_3genE10ELNS1_11target_archE1200ELNS1_3gpuE4ELNS1_3repE0EEENS1_30default_config_static_selectorELNS0_4arch9wavefront6targetE1EEEvT1_
; %bb.0:
	.section	.rodata,"a",@progbits
	.p2align	6, 0x0
	.amdhsa_kernel _ZN7rocprim17ROCPRIM_400000_NS6detail17trampoline_kernelINS0_14default_configENS1_25partition_config_selectorILNS1_17partition_subalgoE2ExNS0_10empty_typeEbEEZZNS1_14partition_implILS5_2ELb0ES3_jN6thrust23THRUST_200600_302600_NS6detail15normal_iteratorINSA_7pointerIxNSA_11hip_rocprim3tagENSA_11use_defaultESG_EEEEPS6_NSA_18transform_iteratorI10is_orderedNSA_12zip_iteratorINSA_5tupleINSC_INSA_10device_ptrIxEEEESQ_NSA_9null_typeESR_SR_SR_SR_SR_SR_SR_EEEESG_SG_EENS0_5tupleIJPxSJ_EEENSV_IJSJ_SJ_EEES6_PlJS6_EEE10hipError_tPvRmT3_T4_T5_T6_T7_T9_mT8_P12ihipStream_tbDpT10_ENKUlT_T0_E_clISt17integral_constantIbLb1EES1I_IbLb0EEEEDaS1E_S1F_EUlS1E_E_NS1_11comp_targetILNS1_3genE10ELNS1_11target_archE1200ELNS1_3gpuE4ELNS1_3repE0EEENS1_30default_config_static_selectorELNS0_4arch9wavefront6targetE1EEEvT1_
		.amdhsa_group_segment_fixed_size 0
		.amdhsa_private_segment_fixed_size 0
		.amdhsa_kernarg_size 136
		.amdhsa_user_sgpr_count 6
		.amdhsa_user_sgpr_private_segment_buffer 1
		.amdhsa_user_sgpr_dispatch_ptr 0
		.amdhsa_user_sgpr_queue_ptr 0
		.amdhsa_user_sgpr_kernarg_segment_ptr 1
		.amdhsa_user_sgpr_dispatch_id 0
		.amdhsa_user_sgpr_flat_scratch_init 0
		.amdhsa_user_sgpr_kernarg_preload_length 0
		.amdhsa_user_sgpr_kernarg_preload_offset 0
		.amdhsa_user_sgpr_private_segment_size 0
		.amdhsa_uses_dynamic_stack 0
		.amdhsa_system_sgpr_private_segment_wavefront_offset 0
		.amdhsa_system_sgpr_workgroup_id_x 1
		.amdhsa_system_sgpr_workgroup_id_y 0
		.amdhsa_system_sgpr_workgroup_id_z 0
		.amdhsa_system_sgpr_workgroup_info 0
		.amdhsa_system_vgpr_workitem_id 0
		.amdhsa_next_free_vgpr 1
		.amdhsa_next_free_sgpr 0
		.amdhsa_accum_offset 4
		.amdhsa_reserve_vcc 0
		.amdhsa_reserve_flat_scratch 0
		.amdhsa_float_round_mode_32 0
		.amdhsa_float_round_mode_16_64 0
		.amdhsa_float_denorm_mode_32 3
		.amdhsa_float_denorm_mode_16_64 3
		.amdhsa_dx10_clamp 1
		.amdhsa_ieee_mode 1
		.amdhsa_fp16_overflow 0
		.amdhsa_tg_split 0
		.amdhsa_exception_fp_ieee_invalid_op 0
		.amdhsa_exception_fp_denorm_src 0
		.amdhsa_exception_fp_ieee_div_zero 0
		.amdhsa_exception_fp_ieee_overflow 0
		.amdhsa_exception_fp_ieee_underflow 0
		.amdhsa_exception_fp_ieee_inexact 0
		.amdhsa_exception_int_div_zero 0
	.end_amdhsa_kernel
	.section	.text._ZN7rocprim17ROCPRIM_400000_NS6detail17trampoline_kernelINS0_14default_configENS1_25partition_config_selectorILNS1_17partition_subalgoE2ExNS0_10empty_typeEbEEZZNS1_14partition_implILS5_2ELb0ES3_jN6thrust23THRUST_200600_302600_NS6detail15normal_iteratorINSA_7pointerIxNSA_11hip_rocprim3tagENSA_11use_defaultESG_EEEEPS6_NSA_18transform_iteratorI10is_orderedNSA_12zip_iteratorINSA_5tupleINSC_INSA_10device_ptrIxEEEESQ_NSA_9null_typeESR_SR_SR_SR_SR_SR_SR_EEEESG_SG_EENS0_5tupleIJPxSJ_EEENSV_IJSJ_SJ_EEES6_PlJS6_EEE10hipError_tPvRmT3_T4_T5_T6_T7_T9_mT8_P12ihipStream_tbDpT10_ENKUlT_T0_E_clISt17integral_constantIbLb1EES1I_IbLb0EEEEDaS1E_S1F_EUlS1E_E_NS1_11comp_targetILNS1_3genE10ELNS1_11target_archE1200ELNS1_3gpuE4ELNS1_3repE0EEENS1_30default_config_static_selectorELNS0_4arch9wavefront6targetE1EEEvT1_,"axG",@progbits,_ZN7rocprim17ROCPRIM_400000_NS6detail17trampoline_kernelINS0_14default_configENS1_25partition_config_selectorILNS1_17partition_subalgoE2ExNS0_10empty_typeEbEEZZNS1_14partition_implILS5_2ELb0ES3_jN6thrust23THRUST_200600_302600_NS6detail15normal_iteratorINSA_7pointerIxNSA_11hip_rocprim3tagENSA_11use_defaultESG_EEEEPS6_NSA_18transform_iteratorI10is_orderedNSA_12zip_iteratorINSA_5tupleINSC_INSA_10device_ptrIxEEEESQ_NSA_9null_typeESR_SR_SR_SR_SR_SR_SR_EEEESG_SG_EENS0_5tupleIJPxSJ_EEENSV_IJSJ_SJ_EEES6_PlJS6_EEE10hipError_tPvRmT3_T4_T5_T6_T7_T9_mT8_P12ihipStream_tbDpT10_ENKUlT_T0_E_clISt17integral_constantIbLb1EES1I_IbLb0EEEEDaS1E_S1F_EUlS1E_E_NS1_11comp_targetILNS1_3genE10ELNS1_11target_archE1200ELNS1_3gpuE4ELNS1_3repE0EEENS1_30default_config_static_selectorELNS0_4arch9wavefront6targetE1EEEvT1_,comdat
.Lfunc_end3583:
	.size	_ZN7rocprim17ROCPRIM_400000_NS6detail17trampoline_kernelINS0_14default_configENS1_25partition_config_selectorILNS1_17partition_subalgoE2ExNS0_10empty_typeEbEEZZNS1_14partition_implILS5_2ELb0ES3_jN6thrust23THRUST_200600_302600_NS6detail15normal_iteratorINSA_7pointerIxNSA_11hip_rocprim3tagENSA_11use_defaultESG_EEEEPS6_NSA_18transform_iteratorI10is_orderedNSA_12zip_iteratorINSA_5tupleINSC_INSA_10device_ptrIxEEEESQ_NSA_9null_typeESR_SR_SR_SR_SR_SR_SR_EEEESG_SG_EENS0_5tupleIJPxSJ_EEENSV_IJSJ_SJ_EEES6_PlJS6_EEE10hipError_tPvRmT3_T4_T5_T6_T7_T9_mT8_P12ihipStream_tbDpT10_ENKUlT_T0_E_clISt17integral_constantIbLb1EES1I_IbLb0EEEEDaS1E_S1F_EUlS1E_E_NS1_11comp_targetILNS1_3genE10ELNS1_11target_archE1200ELNS1_3gpuE4ELNS1_3repE0EEENS1_30default_config_static_selectorELNS0_4arch9wavefront6targetE1EEEvT1_, .Lfunc_end3583-_ZN7rocprim17ROCPRIM_400000_NS6detail17trampoline_kernelINS0_14default_configENS1_25partition_config_selectorILNS1_17partition_subalgoE2ExNS0_10empty_typeEbEEZZNS1_14partition_implILS5_2ELb0ES3_jN6thrust23THRUST_200600_302600_NS6detail15normal_iteratorINSA_7pointerIxNSA_11hip_rocprim3tagENSA_11use_defaultESG_EEEEPS6_NSA_18transform_iteratorI10is_orderedNSA_12zip_iteratorINSA_5tupleINSC_INSA_10device_ptrIxEEEESQ_NSA_9null_typeESR_SR_SR_SR_SR_SR_SR_EEEESG_SG_EENS0_5tupleIJPxSJ_EEENSV_IJSJ_SJ_EEES6_PlJS6_EEE10hipError_tPvRmT3_T4_T5_T6_T7_T9_mT8_P12ihipStream_tbDpT10_ENKUlT_T0_E_clISt17integral_constantIbLb1EES1I_IbLb0EEEEDaS1E_S1F_EUlS1E_E_NS1_11comp_targetILNS1_3genE10ELNS1_11target_archE1200ELNS1_3gpuE4ELNS1_3repE0EEENS1_30default_config_static_selectorELNS0_4arch9wavefront6targetE1EEEvT1_
                                        ; -- End function
	.section	.AMDGPU.csdata,"",@progbits
; Kernel info:
; codeLenInByte = 0
; NumSgprs: 4
; NumVgprs: 0
; NumAgprs: 0
; TotalNumVgprs: 0
; ScratchSize: 0
; MemoryBound: 0
; FloatMode: 240
; IeeeMode: 1
; LDSByteSize: 0 bytes/workgroup (compile time only)
; SGPRBlocks: 0
; VGPRBlocks: 0
; NumSGPRsForWavesPerEU: 4
; NumVGPRsForWavesPerEU: 1
; AccumOffset: 4
; Occupancy: 8
; WaveLimiterHint : 0
; COMPUTE_PGM_RSRC2:SCRATCH_EN: 0
; COMPUTE_PGM_RSRC2:USER_SGPR: 6
; COMPUTE_PGM_RSRC2:TRAP_HANDLER: 0
; COMPUTE_PGM_RSRC2:TGID_X_EN: 1
; COMPUTE_PGM_RSRC2:TGID_Y_EN: 0
; COMPUTE_PGM_RSRC2:TGID_Z_EN: 0
; COMPUTE_PGM_RSRC2:TIDIG_COMP_CNT: 0
; COMPUTE_PGM_RSRC3_GFX90A:ACCUM_OFFSET: 0
; COMPUTE_PGM_RSRC3_GFX90A:TG_SPLIT: 0
	.section	.text._ZN7rocprim17ROCPRIM_400000_NS6detail17trampoline_kernelINS0_14default_configENS1_25partition_config_selectorILNS1_17partition_subalgoE2ExNS0_10empty_typeEbEEZZNS1_14partition_implILS5_2ELb0ES3_jN6thrust23THRUST_200600_302600_NS6detail15normal_iteratorINSA_7pointerIxNSA_11hip_rocprim3tagENSA_11use_defaultESG_EEEEPS6_NSA_18transform_iteratorI10is_orderedNSA_12zip_iteratorINSA_5tupleINSC_INSA_10device_ptrIxEEEESQ_NSA_9null_typeESR_SR_SR_SR_SR_SR_SR_EEEESG_SG_EENS0_5tupleIJPxSJ_EEENSV_IJSJ_SJ_EEES6_PlJS6_EEE10hipError_tPvRmT3_T4_T5_T6_T7_T9_mT8_P12ihipStream_tbDpT10_ENKUlT_T0_E_clISt17integral_constantIbLb1EES1I_IbLb0EEEEDaS1E_S1F_EUlS1E_E_NS1_11comp_targetILNS1_3genE9ELNS1_11target_archE1100ELNS1_3gpuE3ELNS1_3repE0EEENS1_30default_config_static_selectorELNS0_4arch9wavefront6targetE1EEEvT1_,"axG",@progbits,_ZN7rocprim17ROCPRIM_400000_NS6detail17trampoline_kernelINS0_14default_configENS1_25partition_config_selectorILNS1_17partition_subalgoE2ExNS0_10empty_typeEbEEZZNS1_14partition_implILS5_2ELb0ES3_jN6thrust23THRUST_200600_302600_NS6detail15normal_iteratorINSA_7pointerIxNSA_11hip_rocprim3tagENSA_11use_defaultESG_EEEEPS6_NSA_18transform_iteratorI10is_orderedNSA_12zip_iteratorINSA_5tupleINSC_INSA_10device_ptrIxEEEESQ_NSA_9null_typeESR_SR_SR_SR_SR_SR_SR_EEEESG_SG_EENS0_5tupleIJPxSJ_EEENSV_IJSJ_SJ_EEES6_PlJS6_EEE10hipError_tPvRmT3_T4_T5_T6_T7_T9_mT8_P12ihipStream_tbDpT10_ENKUlT_T0_E_clISt17integral_constantIbLb1EES1I_IbLb0EEEEDaS1E_S1F_EUlS1E_E_NS1_11comp_targetILNS1_3genE9ELNS1_11target_archE1100ELNS1_3gpuE3ELNS1_3repE0EEENS1_30default_config_static_selectorELNS0_4arch9wavefront6targetE1EEEvT1_,comdat
	.protected	_ZN7rocprim17ROCPRIM_400000_NS6detail17trampoline_kernelINS0_14default_configENS1_25partition_config_selectorILNS1_17partition_subalgoE2ExNS0_10empty_typeEbEEZZNS1_14partition_implILS5_2ELb0ES3_jN6thrust23THRUST_200600_302600_NS6detail15normal_iteratorINSA_7pointerIxNSA_11hip_rocprim3tagENSA_11use_defaultESG_EEEEPS6_NSA_18transform_iteratorI10is_orderedNSA_12zip_iteratorINSA_5tupleINSC_INSA_10device_ptrIxEEEESQ_NSA_9null_typeESR_SR_SR_SR_SR_SR_SR_EEEESG_SG_EENS0_5tupleIJPxSJ_EEENSV_IJSJ_SJ_EEES6_PlJS6_EEE10hipError_tPvRmT3_T4_T5_T6_T7_T9_mT8_P12ihipStream_tbDpT10_ENKUlT_T0_E_clISt17integral_constantIbLb1EES1I_IbLb0EEEEDaS1E_S1F_EUlS1E_E_NS1_11comp_targetILNS1_3genE9ELNS1_11target_archE1100ELNS1_3gpuE3ELNS1_3repE0EEENS1_30default_config_static_selectorELNS0_4arch9wavefront6targetE1EEEvT1_ ; -- Begin function _ZN7rocprim17ROCPRIM_400000_NS6detail17trampoline_kernelINS0_14default_configENS1_25partition_config_selectorILNS1_17partition_subalgoE2ExNS0_10empty_typeEbEEZZNS1_14partition_implILS5_2ELb0ES3_jN6thrust23THRUST_200600_302600_NS6detail15normal_iteratorINSA_7pointerIxNSA_11hip_rocprim3tagENSA_11use_defaultESG_EEEEPS6_NSA_18transform_iteratorI10is_orderedNSA_12zip_iteratorINSA_5tupleINSC_INSA_10device_ptrIxEEEESQ_NSA_9null_typeESR_SR_SR_SR_SR_SR_SR_EEEESG_SG_EENS0_5tupleIJPxSJ_EEENSV_IJSJ_SJ_EEES6_PlJS6_EEE10hipError_tPvRmT3_T4_T5_T6_T7_T9_mT8_P12ihipStream_tbDpT10_ENKUlT_T0_E_clISt17integral_constantIbLb1EES1I_IbLb0EEEEDaS1E_S1F_EUlS1E_E_NS1_11comp_targetILNS1_3genE9ELNS1_11target_archE1100ELNS1_3gpuE3ELNS1_3repE0EEENS1_30default_config_static_selectorELNS0_4arch9wavefront6targetE1EEEvT1_
	.globl	_ZN7rocprim17ROCPRIM_400000_NS6detail17trampoline_kernelINS0_14default_configENS1_25partition_config_selectorILNS1_17partition_subalgoE2ExNS0_10empty_typeEbEEZZNS1_14partition_implILS5_2ELb0ES3_jN6thrust23THRUST_200600_302600_NS6detail15normal_iteratorINSA_7pointerIxNSA_11hip_rocprim3tagENSA_11use_defaultESG_EEEEPS6_NSA_18transform_iteratorI10is_orderedNSA_12zip_iteratorINSA_5tupleINSC_INSA_10device_ptrIxEEEESQ_NSA_9null_typeESR_SR_SR_SR_SR_SR_SR_EEEESG_SG_EENS0_5tupleIJPxSJ_EEENSV_IJSJ_SJ_EEES6_PlJS6_EEE10hipError_tPvRmT3_T4_T5_T6_T7_T9_mT8_P12ihipStream_tbDpT10_ENKUlT_T0_E_clISt17integral_constantIbLb1EES1I_IbLb0EEEEDaS1E_S1F_EUlS1E_E_NS1_11comp_targetILNS1_3genE9ELNS1_11target_archE1100ELNS1_3gpuE3ELNS1_3repE0EEENS1_30default_config_static_selectorELNS0_4arch9wavefront6targetE1EEEvT1_
	.p2align	8
	.type	_ZN7rocprim17ROCPRIM_400000_NS6detail17trampoline_kernelINS0_14default_configENS1_25partition_config_selectorILNS1_17partition_subalgoE2ExNS0_10empty_typeEbEEZZNS1_14partition_implILS5_2ELb0ES3_jN6thrust23THRUST_200600_302600_NS6detail15normal_iteratorINSA_7pointerIxNSA_11hip_rocprim3tagENSA_11use_defaultESG_EEEEPS6_NSA_18transform_iteratorI10is_orderedNSA_12zip_iteratorINSA_5tupleINSC_INSA_10device_ptrIxEEEESQ_NSA_9null_typeESR_SR_SR_SR_SR_SR_SR_EEEESG_SG_EENS0_5tupleIJPxSJ_EEENSV_IJSJ_SJ_EEES6_PlJS6_EEE10hipError_tPvRmT3_T4_T5_T6_T7_T9_mT8_P12ihipStream_tbDpT10_ENKUlT_T0_E_clISt17integral_constantIbLb1EES1I_IbLb0EEEEDaS1E_S1F_EUlS1E_E_NS1_11comp_targetILNS1_3genE9ELNS1_11target_archE1100ELNS1_3gpuE3ELNS1_3repE0EEENS1_30default_config_static_selectorELNS0_4arch9wavefront6targetE1EEEvT1_,@function
_ZN7rocprim17ROCPRIM_400000_NS6detail17trampoline_kernelINS0_14default_configENS1_25partition_config_selectorILNS1_17partition_subalgoE2ExNS0_10empty_typeEbEEZZNS1_14partition_implILS5_2ELb0ES3_jN6thrust23THRUST_200600_302600_NS6detail15normal_iteratorINSA_7pointerIxNSA_11hip_rocprim3tagENSA_11use_defaultESG_EEEEPS6_NSA_18transform_iteratorI10is_orderedNSA_12zip_iteratorINSA_5tupleINSC_INSA_10device_ptrIxEEEESQ_NSA_9null_typeESR_SR_SR_SR_SR_SR_SR_EEEESG_SG_EENS0_5tupleIJPxSJ_EEENSV_IJSJ_SJ_EEES6_PlJS6_EEE10hipError_tPvRmT3_T4_T5_T6_T7_T9_mT8_P12ihipStream_tbDpT10_ENKUlT_T0_E_clISt17integral_constantIbLb1EES1I_IbLb0EEEEDaS1E_S1F_EUlS1E_E_NS1_11comp_targetILNS1_3genE9ELNS1_11target_archE1100ELNS1_3gpuE3ELNS1_3repE0EEENS1_30default_config_static_selectorELNS0_4arch9wavefront6targetE1EEEvT1_: ; @_ZN7rocprim17ROCPRIM_400000_NS6detail17trampoline_kernelINS0_14default_configENS1_25partition_config_selectorILNS1_17partition_subalgoE2ExNS0_10empty_typeEbEEZZNS1_14partition_implILS5_2ELb0ES3_jN6thrust23THRUST_200600_302600_NS6detail15normal_iteratorINSA_7pointerIxNSA_11hip_rocprim3tagENSA_11use_defaultESG_EEEEPS6_NSA_18transform_iteratorI10is_orderedNSA_12zip_iteratorINSA_5tupleINSC_INSA_10device_ptrIxEEEESQ_NSA_9null_typeESR_SR_SR_SR_SR_SR_SR_EEEESG_SG_EENS0_5tupleIJPxSJ_EEENSV_IJSJ_SJ_EEES6_PlJS6_EEE10hipError_tPvRmT3_T4_T5_T6_T7_T9_mT8_P12ihipStream_tbDpT10_ENKUlT_T0_E_clISt17integral_constantIbLb1EES1I_IbLb0EEEEDaS1E_S1F_EUlS1E_E_NS1_11comp_targetILNS1_3genE9ELNS1_11target_archE1100ELNS1_3gpuE3ELNS1_3repE0EEENS1_30default_config_static_selectorELNS0_4arch9wavefront6targetE1EEEvT1_
; %bb.0:
	.section	.rodata,"a",@progbits
	.p2align	6, 0x0
	.amdhsa_kernel _ZN7rocprim17ROCPRIM_400000_NS6detail17trampoline_kernelINS0_14default_configENS1_25partition_config_selectorILNS1_17partition_subalgoE2ExNS0_10empty_typeEbEEZZNS1_14partition_implILS5_2ELb0ES3_jN6thrust23THRUST_200600_302600_NS6detail15normal_iteratorINSA_7pointerIxNSA_11hip_rocprim3tagENSA_11use_defaultESG_EEEEPS6_NSA_18transform_iteratorI10is_orderedNSA_12zip_iteratorINSA_5tupleINSC_INSA_10device_ptrIxEEEESQ_NSA_9null_typeESR_SR_SR_SR_SR_SR_SR_EEEESG_SG_EENS0_5tupleIJPxSJ_EEENSV_IJSJ_SJ_EEES6_PlJS6_EEE10hipError_tPvRmT3_T4_T5_T6_T7_T9_mT8_P12ihipStream_tbDpT10_ENKUlT_T0_E_clISt17integral_constantIbLb1EES1I_IbLb0EEEEDaS1E_S1F_EUlS1E_E_NS1_11comp_targetILNS1_3genE9ELNS1_11target_archE1100ELNS1_3gpuE3ELNS1_3repE0EEENS1_30default_config_static_selectorELNS0_4arch9wavefront6targetE1EEEvT1_
		.amdhsa_group_segment_fixed_size 0
		.amdhsa_private_segment_fixed_size 0
		.amdhsa_kernarg_size 136
		.amdhsa_user_sgpr_count 6
		.amdhsa_user_sgpr_private_segment_buffer 1
		.amdhsa_user_sgpr_dispatch_ptr 0
		.amdhsa_user_sgpr_queue_ptr 0
		.amdhsa_user_sgpr_kernarg_segment_ptr 1
		.amdhsa_user_sgpr_dispatch_id 0
		.amdhsa_user_sgpr_flat_scratch_init 0
		.amdhsa_user_sgpr_kernarg_preload_length 0
		.amdhsa_user_sgpr_kernarg_preload_offset 0
		.amdhsa_user_sgpr_private_segment_size 0
		.amdhsa_uses_dynamic_stack 0
		.amdhsa_system_sgpr_private_segment_wavefront_offset 0
		.amdhsa_system_sgpr_workgroup_id_x 1
		.amdhsa_system_sgpr_workgroup_id_y 0
		.amdhsa_system_sgpr_workgroup_id_z 0
		.amdhsa_system_sgpr_workgroup_info 0
		.amdhsa_system_vgpr_workitem_id 0
		.amdhsa_next_free_vgpr 1
		.amdhsa_next_free_sgpr 0
		.amdhsa_accum_offset 4
		.amdhsa_reserve_vcc 0
		.amdhsa_reserve_flat_scratch 0
		.amdhsa_float_round_mode_32 0
		.amdhsa_float_round_mode_16_64 0
		.amdhsa_float_denorm_mode_32 3
		.amdhsa_float_denorm_mode_16_64 3
		.amdhsa_dx10_clamp 1
		.amdhsa_ieee_mode 1
		.amdhsa_fp16_overflow 0
		.amdhsa_tg_split 0
		.amdhsa_exception_fp_ieee_invalid_op 0
		.amdhsa_exception_fp_denorm_src 0
		.amdhsa_exception_fp_ieee_div_zero 0
		.amdhsa_exception_fp_ieee_overflow 0
		.amdhsa_exception_fp_ieee_underflow 0
		.amdhsa_exception_fp_ieee_inexact 0
		.amdhsa_exception_int_div_zero 0
	.end_amdhsa_kernel
	.section	.text._ZN7rocprim17ROCPRIM_400000_NS6detail17trampoline_kernelINS0_14default_configENS1_25partition_config_selectorILNS1_17partition_subalgoE2ExNS0_10empty_typeEbEEZZNS1_14partition_implILS5_2ELb0ES3_jN6thrust23THRUST_200600_302600_NS6detail15normal_iteratorINSA_7pointerIxNSA_11hip_rocprim3tagENSA_11use_defaultESG_EEEEPS6_NSA_18transform_iteratorI10is_orderedNSA_12zip_iteratorINSA_5tupleINSC_INSA_10device_ptrIxEEEESQ_NSA_9null_typeESR_SR_SR_SR_SR_SR_SR_EEEESG_SG_EENS0_5tupleIJPxSJ_EEENSV_IJSJ_SJ_EEES6_PlJS6_EEE10hipError_tPvRmT3_T4_T5_T6_T7_T9_mT8_P12ihipStream_tbDpT10_ENKUlT_T0_E_clISt17integral_constantIbLb1EES1I_IbLb0EEEEDaS1E_S1F_EUlS1E_E_NS1_11comp_targetILNS1_3genE9ELNS1_11target_archE1100ELNS1_3gpuE3ELNS1_3repE0EEENS1_30default_config_static_selectorELNS0_4arch9wavefront6targetE1EEEvT1_,"axG",@progbits,_ZN7rocprim17ROCPRIM_400000_NS6detail17trampoline_kernelINS0_14default_configENS1_25partition_config_selectorILNS1_17partition_subalgoE2ExNS0_10empty_typeEbEEZZNS1_14partition_implILS5_2ELb0ES3_jN6thrust23THRUST_200600_302600_NS6detail15normal_iteratorINSA_7pointerIxNSA_11hip_rocprim3tagENSA_11use_defaultESG_EEEEPS6_NSA_18transform_iteratorI10is_orderedNSA_12zip_iteratorINSA_5tupleINSC_INSA_10device_ptrIxEEEESQ_NSA_9null_typeESR_SR_SR_SR_SR_SR_SR_EEEESG_SG_EENS0_5tupleIJPxSJ_EEENSV_IJSJ_SJ_EEES6_PlJS6_EEE10hipError_tPvRmT3_T4_T5_T6_T7_T9_mT8_P12ihipStream_tbDpT10_ENKUlT_T0_E_clISt17integral_constantIbLb1EES1I_IbLb0EEEEDaS1E_S1F_EUlS1E_E_NS1_11comp_targetILNS1_3genE9ELNS1_11target_archE1100ELNS1_3gpuE3ELNS1_3repE0EEENS1_30default_config_static_selectorELNS0_4arch9wavefront6targetE1EEEvT1_,comdat
.Lfunc_end3584:
	.size	_ZN7rocprim17ROCPRIM_400000_NS6detail17trampoline_kernelINS0_14default_configENS1_25partition_config_selectorILNS1_17partition_subalgoE2ExNS0_10empty_typeEbEEZZNS1_14partition_implILS5_2ELb0ES3_jN6thrust23THRUST_200600_302600_NS6detail15normal_iteratorINSA_7pointerIxNSA_11hip_rocprim3tagENSA_11use_defaultESG_EEEEPS6_NSA_18transform_iteratorI10is_orderedNSA_12zip_iteratorINSA_5tupleINSC_INSA_10device_ptrIxEEEESQ_NSA_9null_typeESR_SR_SR_SR_SR_SR_SR_EEEESG_SG_EENS0_5tupleIJPxSJ_EEENSV_IJSJ_SJ_EEES6_PlJS6_EEE10hipError_tPvRmT3_T4_T5_T6_T7_T9_mT8_P12ihipStream_tbDpT10_ENKUlT_T0_E_clISt17integral_constantIbLb1EES1I_IbLb0EEEEDaS1E_S1F_EUlS1E_E_NS1_11comp_targetILNS1_3genE9ELNS1_11target_archE1100ELNS1_3gpuE3ELNS1_3repE0EEENS1_30default_config_static_selectorELNS0_4arch9wavefront6targetE1EEEvT1_, .Lfunc_end3584-_ZN7rocprim17ROCPRIM_400000_NS6detail17trampoline_kernelINS0_14default_configENS1_25partition_config_selectorILNS1_17partition_subalgoE2ExNS0_10empty_typeEbEEZZNS1_14partition_implILS5_2ELb0ES3_jN6thrust23THRUST_200600_302600_NS6detail15normal_iteratorINSA_7pointerIxNSA_11hip_rocprim3tagENSA_11use_defaultESG_EEEEPS6_NSA_18transform_iteratorI10is_orderedNSA_12zip_iteratorINSA_5tupleINSC_INSA_10device_ptrIxEEEESQ_NSA_9null_typeESR_SR_SR_SR_SR_SR_SR_EEEESG_SG_EENS0_5tupleIJPxSJ_EEENSV_IJSJ_SJ_EEES6_PlJS6_EEE10hipError_tPvRmT3_T4_T5_T6_T7_T9_mT8_P12ihipStream_tbDpT10_ENKUlT_T0_E_clISt17integral_constantIbLb1EES1I_IbLb0EEEEDaS1E_S1F_EUlS1E_E_NS1_11comp_targetILNS1_3genE9ELNS1_11target_archE1100ELNS1_3gpuE3ELNS1_3repE0EEENS1_30default_config_static_selectorELNS0_4arch9wavefront6targetE1EEEvT1_
                                        ; -- End function
	.section	.AMDGPU.csdata,"",@progbits
; Kernel info:
; codeLenInByte = 0
; NumSgprs: 4
; NumVgprs: 0
; NumAgprs: 0
; TotalNumVgprs: 0
; ScratchSize: 0
; MemoryBound: 0
; FloatMode: 240
; IeeeMode: 1
; LDSByteSize: 0 bytes/workgroup (compile time only)
; SGPRBlocks: 0
; VGPRBlocks: 0
; NumSGPRsForWavesPerEU: 4
; NumVGPRsForWavesPerEU: 1
; AccumOffset: 4
; Occupancy: 8
; WaveLimiterHint : 0
; COMPUTE_PGM_RSRC2:SCRATCH_EN: 0
; COMPUTE_PGM_RSRC2:USER_SGPR: 6
; COMPUTE_PGM_RSRC2:TRAP_HANDLER: 0
; COMPUTE_PGM_RSRC2:TGID_X_EN: 1
; COMPUTE_PGM_RSRC2:TGID_Y_EN: 0
; COMPUTE_PGM_RSRC2:TGID_Z_EN: 0
; COMPUTE_PGM_RSRC2:TIDIG_COMP_CNT: 0
; COMPUTE_PGM_RSRC3_GFX90A:ACCUM_OFFSET: 0
; COMPUTE_PGM_RSRC3_GFX90A:TG_SPLIT: 0
	.section	.text._ZN7rocprim17ROCPRIM_400000_NS6detail17trampoline_kernelINS0_14default_configENS1_25partition_config_selectorILNS1_17partition_subalgoE2ExNS0_10empty_typeEbEEZZNS1_14partition_implILS5_2ELb0ES3_jN6thrust23THRUST_200600_302600_NS6detail15normal_iteratorINSA_7pointerIxNSA_11hip_rocprim3tagENSA_11use_defaultESG_EEEEPS6_NSA_18transform_iteratorI10is_orderedNSA_12zip_iteratorINSA_5tupleINSC_INSA_10device_ptrIxEEEESQ_NSA_9null_typeESR_SR_SR_SR_SR_SR_SR_EEEESG_SG_EENS0_5tupleIJPxSJ_EEENSV_IJSJ_SJ_EEES6_PlJS6_EEE10hipError_tPvRmT3_T4_T5_T6_T7_T9_mT8_P12ihipStream_tbDpT10_ENKUlT_T0_E_clISt17integral_constantIbLb1EES1I_IbLb0EEEEDaS1E_S1F_EUlS1E_E_NS1_11comp_targetILNS1_3genE8ELNS1_11target_archE1030ELNS1_3gpuE2ELNS1_3repE0EEENS1_30default_config_static_selectorELNS0_4arch9wavefront6targetE1EEEvT1_,"axG",@progbits,_ZN7rocprim17ROCPRIM_400000_NS6detail17trampoline_kernelINS0_14default_configENS1_25partition_config_selectorILNS1_17partition_subalgoE2ExNS0_10empty_typeEbEEZZNS1_14partition_implILS5_2ELb0ES3_jN6thrust23THRUST_200600_302600_NS6detail15normal_iteratorINSA_7pointerIxNSA_11hip_rocprim3tagENSA_11use_defaultESG_EEEEPS6_NSA_18transform_iteratorI10is_orderedNSA_12zip_iteratorINSA_5tupleINSC_INSA_10device_ptrIxEEEESQ_NSA_9null_typeESR_SR_SR_SR_SR_SR_SR_EEEESG_SG_EENS0_5tupleIJPxSJ_EEENSV_IJSJ_SJ_EEES6_PlJS6_EEE10hipError_tPvRmT3_T4_T5_T6_T7_T9_mT8_P12ihipStream_tbDpT10_ENKUlT_T0_E_clISt17integral_constantIbLb1EES1I_IbLb0EEEEDaS1E_S1F_EUlS1E_E_NS1_11comp_targetILNS1_3genE8ELNS1_11target_archE1030ELNS1_3gpuE2ELNS1_3repE0EEENS1_30default_config_static_selectorELNS0_4arch9wavefront6targetE1EEEvT1_,comdat
	.protected	_ZN7rocprim17ROCPRIM_400000_NS6detail17trampoline_kernelINS0_14default_configENS1_25partition_config_selectorILNS1_17partition_subalgoE2ExNS0_10empty_typeEbEEZZNS1_14partition_implILS5_2ELb0ES3_jN6thrust23THRUST_200600_302600_NS6detail15normal_iteratorINSA_7pointerIxNSA_11hip_rocprim3tagENSA_11use_defaultESG_EEEEPS6_NSA_18transform_iteratorI10is_orderedNSA_12zip_iteratorINSA_5tupleINSC_INSA_10device_ptrIxEEEESQ_NSA_9null_typeESR_SR_SR_SR_SR_SR_SR_EEEESG_SG_EENS0_5tupleIJPxSJ_EEENSV_IJSJ_SJ_EEES6_PlJS6_EEE10hipError_tPvRmT3_T4_T5_T6_T7_T9_mT8_P12ihipStream_tbDpT10_ENKUlT_T0_E_clISt17integral_constantIbLb1EES1I_IbLb0EEEEDaS1E_S1F_EUlS1E_E_NS1_11comp_targetILNS1_3genE8ELNS1_11target_archE1030ELNS1_3gpuE2ELNS1_3repE0EEENS1_30default_config_static_selectorELNS0_4arch9wavefront6targetE1EEEvT1_ ; -- Begin function _ZN7rocprim17ROCPRIM_400000_NS6detail17trampoline_kernelINS0_14default_configENS1_25partition_config_selectorILNS1_17partition_subalgoE2ExNS0_10empty_typeEbEEZZNS1_14partition_implILS5_2ELb0ES3_jN6thrust23THRUST_200600_302600_NS6detail15normal_iteratorINSA_7pointerIxNSA_11hip_rocprim3tagENSA_11use_defaultESG_EEEEPS6_NSA_18transform_iteratorI10is_orderedNSA_12zip_iteratorINSA_5tupleINSC_INSA_10device_ptrIxEEEESQ_NSA_9null_typeESR_SR_SR_SR_SR_SR_SR_EEEESG_SG_EENS0_5tupleIJPxSJ_EEENSV_IJSJ_SJ_EEES6_PlJS6_EEE10hipError_tPvRmT3_T4_T5_T6_T7_T9_mT8_P12ihipStream_tbDpT10_ENKUlT_T0_E_clISt17integral_constantIbLb1EES1I_IbLb0EEEEDaS1E_S1F_EUlS1E_E_NS1_11comp_targetILNS1_3genE8ELNS1_11target_archE1030ELNS1_3gpuE2ELNS1_3repE0EEENS1_30default_config_static_selectorELNS0_4arch9wavefront6targetE1EEEvT1_
	.globl	_ZN7rocprim17ROCPRIM_400000_NS6detail17trampoline_kernelINS0_14default_configENS1_25partition_config_selectorILNS1_17partition_subalgoE2ExNS0_10empty_typeEbEEZZNS1_14partition_implILS5_2ELb0ES3_jN6thrust23THRUST_200600_302600_NS6detail15normal_iteratorINSA_7pointerIxNSA_11hip_rocprim3tagENSA_11use_defaultESG_EEEEPS6_NSA_18transform_iteratorI10is_orderedNSA_12zip_iteratorINSA_5tupleINSC_INSA_10device_ptrIxEEEESQ_NSA_9null_typeESR_SR_SR_SR_SR_SR_SR_EEEESG_SG_EENS0_5tupleIJPxSJ_EEENSV_IJSJ_SJ_EEES6_PlJS6_EEE10hipError_tPvRmT3_T4_T5_T6_T7_T9_mT8_P12ihipStream_tbDpT10_ENKUlT_T0_E_clISt17integral_constantIbLb1EES1I_IbLb0EEEEDaS1E_S1F_EUlS1E_E_NS1_11comp_targetILNS1_3genE8ELNS1_11target_archE1030ELNS1_3gpuE2ELNS1_3repE0EEENS1_30default_config_static_selectorELNS0_4arch9wavefront6targetE1EEEvT1_
	.p2align	8
	.type	_ZN7rocprim17ROCPRIM_400000_NS6detail17trampoline_kernelINS0_14default_configENS1_25partition_config_selectorILNS1_17partition_subalgoE2ExNS0_10empty_typeEbEEZZNS1_14partition_implILS5_2ELb0ES3_jN6thrust23THRUST_200600_302600_NS6detail15normal_iteratorINSA_7pointerIxNSA_11hip_rocprim3tagENSA_11use_defaultESG_EEEEPS6_NSA_18transform_iteratorI10is_orderedNSA_12zip_iteratorINSA_5tupleINSC_INSA_10device_ptrIxEEEESQ_NSA_9null_typeESR_SR_SR_SR_SR_SR_SR_EEEESG_SG_EENS0_5tupleIJPxSJ_EEENSV_IJSJ_SJ_EEES6_PlJS6_EEE10hipError_tPvRmT3_T4_T5_T6_T7_T9_mT8_P12ihipStream_tbDpT10_ENKUlT_T0_E_clISt17integral_constantIbLb1EES1I_IbLb0EEEEDaS1E_S1F_EUlS1E_E_NS1_11comp_targetILNS1_3genE8ELNS1_11target_archE1030ELNS1_3gpuE2ELNS1_3repE0EEENS1_30default_config_static_selectorELNS0_4arch9wavefront6targetE1EEEvT1_,@function
_ZN7rocprim17ROCPRIM_400000_NS6detail17trampoline_kernelINS0_14default_configENS1_25partition_config_selectorILNS1_17partition_subalgoE2ExNS0_10empty_typeEbEEZZNS1_14partition_implILS5_2ELb0ES3_jN6thrust23THRUST_200600_302600_NS6detail15normal_iteratorINSA_7pointerIxNSA_11hip_rocprim3tagENSA_11use_defaultESG_EEEEPS6_NSA_18transform_iteratorI10is_orderedNSA_12zip_iteratorINSA_5tupleINSC_INSA_10device_ptrIxEEEESQ_NSA_9null_typeESR_SR_SR_SR_SR_SR_SR_EEEESG_SG_EENS0_5tupleIJPxSJ_EEENSV_IJSJ_SJ_EEES6_PlJS6_EEE10hipError_tPvRmT3_T4_T5_T6_T7_T9_mT8_P12ihipStream_tbDpT10_ENKUlT_T0_E_clISt17integral_constantIbLb1EES1I_IbLb0EEEEDaS1E_S1F_EUlS1E_E_NS1_11comp_targetILNS1_3genE8ELNS1_11target_archE1030ELNS1_3gpuE2ELNS1_3repE0EEENS1_30default_config_static_selectorELNS0_4arch9wavefront6targetE1EEEvT1_: ; @_ZN7rocprim17ROCPRIM_400000_NS6detail17trampoline_kernelINS0_14default_configENS1_25partition_config_selectorILNS1_17partition_subalgoE2ExNS0_10empty_typeEbEEZZNS1_14partition_implILS5_2ELb0ES3_jN6thrust23THRUST_200600_302600_NS6detail15normal_iteratorINSA_7pointerIxNSA_11hip_rocprim3tagENSA_11use_defaultESG_EEEEPS6_NSA_18transform_iteratorI10is_orderedNSA_12zip_iteratorINSA_5tupleINSC_INSA_10device_ptrIxEEEESQ_NSA_9null_typeESR_SR_SR_SR_SR_SR_SR_EEEESG_SG_EENS0_5tupleIJPxSJ_EEENSV_IJSJ_SJ_EEES6_PlJS6_EEE10hipError_tPvRmT3_T4_T5_T6_T7_T9_mT8_P12ihipStream_tbDpT10_ENKUlT_T0_E_clISt17integral_constantIbLb1EES1I_IbLb0EEEEDaS1E_S1F_EUlS1E_E_NS1_11comp_targetILNS1_3genE8ELNS1_11target_archE1030ELNS1_3gpuE2ELNS1_3repE0EEENS1_30default_config_static_selectorELNS0_4arch9wavefront6targetE1EEEvT1_
; %bb.0:
	.section	.rodata,"a",@progbits
	.p2align	6, 0x0
	.amdhsa_kernel _ZN7rocprim17ROCPRIM_400000_NS6detail17trampoline_kernelINS0_14default_configENS1_25partition_config_selectorILNS1_17partition_subalgoE2ExNS0_10empty_typeEbEEZZNS1_14partition_implILS5_2ELb0ES3_jN6thrust23THRUST_200600_302600_NS6detail15normal_iteratorINSA_7pointerIxNSA_11hip_rocprim3tagENSA_11use_defaultESG_EEEEPS6_NSA_18transform_iteratorI10is_orderedNSA_12zip_iteratorINSA_5tupleINSC_INSA_10device_ptrIxEEEESQ_NSA_9null_typeESR_SR_SR_SR_SR_SR_SR_EEEESG_SG_EENS0_5tupleIJPxSJ_EEENSV_IJSJ_SJ_EEES6_PlJS6_EEE10hipError_tPvRmT3_T4_T5_T6_T7_T9_mT8_P12ihipStream_tbDpT10_ENKUlT_T0_E_clISt17integral_constantIbLb1EES1I_IbLb0EEEEDaS1E_S1F_EUlS1E_E_NS1_11comp_targetILNS1_3genE8ELNS1_11target_archE1030ELNS1_3gpuE2ELNS1_3repE0EEENS1_30default_config_static_selectorELNS0_4arch9wavefront6targetE1EEEvT1_
		.amdhsa_group_segment_fixed_size 0
		.amdhsa_private_segment_fixed_size 0
		.amdhsa_kernarg_size 136
		.amdhsa_user_sgpr_count 6
		.amdhsa_user_sgpr_private_segment_buffer 1
		.amdhsa_user_sgpr_dispatch_ptr 0
		.amdhsa_user_sgpr_queue_ptr 0
		.amdhsa_user_sgpr_kernarg_segment_ptr 1
		.amdhsa_user_sgpr_dispatch_id 0
		.amdhsa_user_sgpr_flat_scratch_init 0
		.amdhsa_user_sgpr_kernarg_preload_length 0
		.amdhsa_user_sgpr_kernarg_preload_offset 0
		.amdhsa_user_sgpr_private_segment_size 0
		.amdhsa_uses_dynamic_stack 0
		.amdhsa_system_sgpr_private_segment_wavefront_offset 0
		.amdhsa_system_sgpr_workgroup_id_x 1
		.amdhsa_system_sgpr_workgroup_id_y 0
		.amdhsa_system_sgpr_workgroup_id_z 0
		.amdhsa_system_sgpr_workgroup_info 0
		.amdhsa_system_vgpr_workitem_id 0
		.amdhsa_next_free_vgpr 1
		.amdhsa_next_free_sgpr 0
		.amdhsa_accum_offset 4
		.amdhsa_reserve_vcc 0
		.amdhsa_reserve_flat_scratch 0
		.amdhsa_float_round_mode_32 0
		.amdhsa_float_round_mode_16_64 0
		.amdhsa_float_denorm_mode_32 3
		.amdhsa_float_denorm_mode_16_64 3
		.amdhsa_dx10_clamp 1
		.amdhsa_ieee_mode 1
		.amdhsa_fp16_overflow 0
		.amdhsa_tg_split 0
		.amdhsa_exception_fp_ieee_invalid_op 0
		.amdhsa_exception_fp_denorm_src 0
		.amdhsa_exception_fp_ieee_div_zero 0
		.amdhsa_exception_fp_ieee_overflow 0
		.amdhsa_exception_fp_ieee_underflow 0
		.amdhsa_exception_fp_ieee_inexact 0
		.amdhsa_exception_int_div_zero 0
	.end_amdhsa_kernel
	.section	.text._ZN7rocprim17ROCPRIM_400000_NS6detail17trampoline_kernelINS0_14default_configENS1_25partition_config_selectorILNS1_17partition_subalgoE2ExNS0_10empty_typeEbEEZZNS1_14partition_implILS5_2ELb0ES3_jN6thrust23THRUST_200600_302600_NS6detail15normal_iteratorINSA_7pointerIxNSA_11hip_rocprim3tagENSA_11use_defaultESG_EEEEPS6_NSA_18transform_iteratorI10is_orderedNSA_12zip_iteratorINSA_5tupleINSC_INSA_10device_ptrIxEEEESQ_NSA_9null_typeESR_SR_SR_SR_SR_SR_SR_EEEESG_SG_EENS0_5tupleIJPxSJ_EEENSV_IJSJ_SJ_EEES6_PlJS6_EEE10hipError_tPvRmT3_T4_T5_T6_T7_T9_mT8_P12ihipStream_tbDpT10_ENKUlT_T0_E_clISt17integral_constantIbLb1EES1I_IbLb0EEEEDaS1E_S1F_EUlS1E_E_NS1_11comp_targetILNS1_3genE8ELNS1_11target_archE1030ELNS1_3gpuE2ELNS1_3repE0EEENS1_30default_config_static_selectorELNS0_4arch9wavefront6targetE1EEEvT1_,"axG",@progbits,_ZN7rocprim17ROCPRIM_400000_NS6detail17trampoline_kernelINS0_14default_configENS1_25partition_config_selectorILNS1_17partition_subalgoE2ExNS0_10empty_typeEbEEZZNS1_14partition_implILS5_2ELb0ES3_jN6thrust23THRUST_200600_302600_NS6detail15normal_iteratorINSA_7pointerIxNSA_11hip_rocprim3tagENSA_11use_defaultESG_EEEEPS6_NSA_18transform_iteratorI10is_orderedNSA_12zip_iteratorINSA_5tupleINSC_INSA_10device_ptrIxEEEESQ_NSA_9null_typeESR_SR_SR_SR_SR_SR_SR_EEEESG_SG_EENS0_5tupleIJPxSJ_EEENSV_IJSJ_SJ_EEES6_PlJS6_EEE10hipError_tPvRmT3_T4_T5_T6_T7_T9_mT8_P12ihipStream_tbDpT10_ENKUlT_T0_E_clISt17integral_constantIbLb1EES1I_IbLb0EEEEDaS1E_S1F_EUlS1E_E_NS1_11comp_targetILNS1_3genE8ELNS1_11target_archE1030ELNS1_3gpuE2ELNS1_3repE0EEENS1_30default_config_static_selectorELNS0_4arch9wavefront6targetE1EEEvT1_,comdat
.Lfunc_end3585:
	.size	_ZN7rocprim17ROCPRIM_400000_NS6detail17trampoline_kernelINS0_14default_configENS1_25partition_config_selectorILNS1_17partition_subalgoE2ExNS0_10empty_typeEbEEZZNS1_14partition_implILS5_2ELb0ES3_jN6thrust23THRUST_200600_302600_NS6detail15normal_iteratorINSA_7pointerIxNSA_11hip_rocprim3tagENSA_11use_defaultESG_EEEEPS6_NSA_18transform_iteratorI10is_orderedNSA_12zip_iteratorINSA_5tupleINSC_INSA_10device_ptrIxEEEESQ_NSA_9null_typeESR_SR_SR_SR_SR_SR_SR_EEEESG_SG_EENS0_5tupleIJPxSJ_EEENSV_IJSJ_SJ_EEES6_PlJS6_EEE10hipError_tPvRmT3_T4_T5_T6_T7_T9_mT8_P12ihipStream_tbDpT10_ENKUlT_T0_E_clISt17integral_constantIbLb1EES1I_IbLb0EEEEDaS1E_S1F_EUlS1E_E_NS1_11comp_targetILNS1_3genE8ELNS1_11target_archE1030ELNS1_3gpuE2ELNS1_3repE0EEENS1_30default_config_static_selectorELNS0_4arch9wavefront6targetE1EEEvT1_, .Lfunc_end3585-_ZN7rocprim17ROCPRIM_400000_NS6detail17trampoline_kernelINS0_14default_configENS1_25partition_config_selectorILNS1_17partition_subalgoE2ExNS0_10empty_typeEbEEZZNS1_14partition_implILS5_2ELb0ES3_jN6thrust23THRUST_200600_302600_NS6detail15normal_iteratorINSA_7pointerIxNSA_11hip_rocprim3tagENSA_11use_defaultESG_EEEEPS6_NSA_18transform_iteratorI10is_orderedNSA_12zip_iteratorINSA_5tupleINSC_INSA_10device_ptrIxEEEESQ_NSA_9null_typeESR_SR_SR_SR_SR_SR_SR_EEEESG_SG_EENS0_5tupleIJPxSJ_EEENSV_IJSJ_SJ_EEES6_PlJS6_EEE10hipError_tPvRmT3_T4_T5_T6_T7_T9_mT8_P12ihipStream_tbDpT10_ENKUlT_T0_E_clISt17integral_constantIbLb1EES1I_IbLb0EEEEDaS1E_S1F_EUlS1E_E_NS1_11comp_targetILNS1_3genE8ELNS1_11target_archE1030ELNS1_3gpuE2ELNS1_3repE0EEENS1_30default_config_static_selectorELNS0_4arch9wavefront6targetE1EEEvT1_
                                        ; -- End function
	.section	.AMDGPU.csdata,"",@progbits
; Kernel info:
; codeLenInByte = 0
; NumSgprs: 4
; NumVgprs: 0
; NumAgprs: 0
; TotalNumVgprs: 0
; ScratchSize: 0
; MemoryBound: 0
; FloatMode: 240
; IeeeMode: 1
; LDSByteSize: 0 bytes/workgroup (compile time only)
; SGPRBlocks: 0
; VGPRBlocks: 0
; NumSGPRsForWavesPerEU: 4
; NumVGPRsForWavesPerEU: 1
; AccumOffset: 4
; Occupancy: 8
; WaveLimiterHint : 0
; COMPUTE_PGM_RSRC2:SCRATCH_EN: 0
; COMPUTE_PGM_RSRC2:USER_SGPR: 6
; COMPUTE_PGM_RSRC2:TRAP_HANDLER: 0
; COMPUTE_PGM_RSRC2:TGID_X_EN: 1
; COMPUTE_PGM_RSRC2:TGID_Y_EN: 0
; COMPUTE_PGM_RSRC2:TGID_Z_EN: 0
; COMPUTE_PGM_RSRC2:TIDIG_COMP_CNT: 0
; COMPUTE_PGM_RSRC3_GFX90A:ACCUM_OFFSET: 0
; COMPUTE_PGM_RSRC3_GFX90A:TG_SPLIT: 0
	.section	.text._ZN7rocprim17ROCPRIM_400000_NS6detail17trampoline_kernelINS0_14default_configENS1_25partition_config_selectorILNS1_17partition_subalgoE2ExNS0_10empty_typeEbEEZZNS1_14partition_implILS5_2ELb0ES3_jN6thrust23THRUST_200600_302600_NS6detail15normal_iteratorINSA_7pointerIxNSA_11hip_rocprim3tagENSA_11use_defaultESG_EEEEPS6_NSA_18transform_iteratorI10is_orderedNSA_12zip_iteratorINSA_5tupleINSC_INSA_10device_ptrIxEEEESQ_NSA_9null_typeESR_SR_SR_SR_SR_SR_SR_EEEESG_SG_EENS0_5tupleIJPxSJ_EEENSV_IJSJ_SJ_EEES6_PlJS6_EEE10hipError_tPvRmT3_T4_T5_T6_T7_T9_mT8_P12ihipStream_tbDpT10_ENKUlT_T0_E_clISt17integral_constantIbLb0EES1I_IbLb1EEEEDaS1E_S1F_EUlS1E_E_NS1_11comp_targetILNS1_3genE0ELNS1_11target_archE4294967295ELNS1_3gpuE0ELNS1_3repE0EEENS1_30default_config_static_selectorELNS0_4arch9wavefront6targetE1EEEvT1_,"axG",@progbits,_ZN7rocprim17ROCPRIM_400000_NS6detail17trampoline_kernelINS0_14default_configENS1_25partition_config_selectorILNS1_17partition_subalgoE2ExNS0_10empty_typeEbEEZZNS1_14partition_implILS5_2ELb0ES3_jN6thrust23THRUST_200600_302600_NS6detail15normal_iteratorINSA_7pointerIxNSA_11hip_rocprim3tagENSA_11use_defaultESG_EEEEPS6_NSA_18transform_iteratorI10is_orderedNSA_12zip_iteratorINSA_5tupleINSC_INSA_10device_ptrIxEEEESQ_NSA_9null_typeESR_SR_SR_SR_SR_SR_SR_EEEESG_SG_EENS0_5tupleIJPxSJ_EEENSV_IJSJ_SJ_EEES6_PlJS6_EEE10hipError_tPvRmT3_T4_T5_T6_T7_T9_mT8_P12ihipStream_tbDpT10_ENKUlT_T0_E_clISt17integral_constantIbLb0EES1I_IbLb1EEEEDaS1E_S1F_EUlS1E_E_NS1_11comp_targetILNS1_3genE0ELNS1_11target_archE4294967295ELNS1_3gpuE0ELNS1_3repE0EEENS1_30default_config_static_selectorELNS0_4arch9wavefront6targetE1EEEvT1_,comdat
	.protected	_ZN7rocprim17ROCPRIM_400000_NS6detail17trampoline_kernelINS0_14default_configENS1_25partition_config_selectorILNS1_17partition_subalgoE2ExNS0_10empty_typeEbEEZZNS1_14partition_implILS5_2ELb0ES3_jN6thrust23THRUST_200600_302600_NS6detail15normal_iteratorINSA_7pointerIxNSA_11hip_rocprim3tagENSA_11use_defaultESG_EEEEPS6_NSA_18transform_iteratorI10is_orderedNSA_12zip_iteratorINSA_5tupleINSC_INSA_10device_ptrIxEEEESQ_NSA_9null_typeESR_SR_SR_SR_SR_SR_SR_EEEESG_SG_EENS0_5tupleIJPxSJ_EEENSV_IJSJ_SJ_EEES6_PlJS6_EEE10hipError_tPvRmT3_T4_T5_T6_T7_T9_mT8_P12ihipStream_tbDpT10_ENKUlT_T0_E_clISt17integral_constantIbLb0EES1I_IbLb1EEEEDaS1E_S1F_EUlS1E_E_NS1_11comp_targetILNS1_3genE0ELNS1_11target_archE4294967295ELNS1_3gpuE0ELNS1_3repE0EEENS1_30default_config_static_selectorELNS0_4arch9wavefront6targetE1EEEvT1_ ; -- Begin function _ZN7rocprim17ROCPRIM_400000_NS6detail17trampoline_kernelINS0_14default_configENS1_25partition_config_selectorILNS1_17partition_subalgoE2ExNS0_10empty_typeEbEEZZNS1_14partition_implILS5_2ELb0ES3_jN6thrust23THRUST_200600_302600_NS6detail15normal_iteratorINSA_7pointerIxNSA_11hip_rocprim3tagENSA_11use_defaultESG_EEEEPS6_NSA_18transform_iteratorI10is_orderedNSA_12zip_iteratorINSA_5tupleINSC_INSA_10device_ptrIxEEEESQ_NSA_9null_typeESR_SR_SR_SR_SR_SR_SR_EEEESG_SG_EENS0_5tupleIJPxSJ_EEENSV_IJSJ_SJ_EEES6_PlJS6_EEE10hipError_tPvRmT3_T4_T5_T6_T7_T9_mT8_P12ihipStream_tbDpT10_ENKUlT_T0_E_clISt17integral_constantIbLb0EES1I_IbLb1EEEEDaS1E_S1F_EUlS1E_E_NS1_11comp_targetILNS1_3genE0ELNS1_11target_archE4294967295ELNS1_3gpuE0ELNS1_3repE0EEENS1_30default_config_static_selectorELNS0_4arch9wavefront6targetE1EEEvT1_
	.globl	_ZN7rocprim17ROCPRIM_400000_NS6detail17trampoline_kernelINS0_14default_configENS1_25partition_config_selectorILNS1_17partition_subalgoE2ExNS0_10empty_typeEbEEZZNS1_14partition_implILS5_2ELb0ES3_jN6thrust23THRUST_200600_302600_NS6detail15normal_iteratorINSA_7pointerIxNSA_11hip_rocprim3tagENSA_11use_defaultESG_EEEEPS6_NSA_18transform_iteratorI10is_orderedNSA_12zip_iteratorINSA_5tupleINSC_INSA_10device_ptrIxEEEESQ_NSA_9null_typeESR_SR_SR_SR_SR_SR_SR_EEEESG_SG_EENS0_5tupleIJPxSJ_EEENSV_IJSJ_SJ_EEES6_PlJS6_EEE10hipError_tPvRmT3_T4_T5_T6_T7_T9_mT8_P12ihipStream_tbDpT10_ENKUlT_T0_E_clISt17integral_constantIbLb0EES1I_IbLb1EEEEDaS1E_S1F_EUlS1E_E_NS1_11comp_targetILNS1_3genE0ELNS1_11target_archE4294967295ELNS1_3gpuE0ELNS1_3repE0EEENS1_30default_config_static_selectorELNS0_4arch9wavefront6targetE1EEEvT1_
	.p2align	8
	.type	_ZN7rocprim17ROCPRIM_400000_NS6detail17trampoline_kernelINS0_14default_configENS1_25partition_config_selectorILNS1_17partition_subalgoE2ExNS0_10empty_typeEbEEZZNS1_14partition_implILS5_2ELb0ES3_jN6thrust23THRUST_200600_302600_NS6detail15normal_iteratorINSA_7pointerIxNSA_11hip_rocprim3tagENSA_11use_defaultESG_EEEEPS6_NSA_18transform_iteratorI10is_orderedNSA_12zip_iteratorINSA_5tupleINSC_INSA_10device_ptrIxEEEESQ_NSA_9null_typeESR_SR_SR_SR_SR_SR_SR_EEEESG_SG_EENS0_5tupleIJPxSJ_EEENSV_IJSJ_SJ_EEES6_PlJS6_EEE10hipError_tPvRmT3_T4_T5_T6_T7_T9_mT8_P12ihipStream_tbDpT10_ENKUlT_T0_E_clISt17integral_constantIbLb0EES1I_IbLb1EEEEDaS1E_S1F_EUlS1E_E_NS1_11comp_targetILNS1_3genE0ELNS1_11target_archE4294967295ELNS1_3gpuE0ELNS1_3repE0EEENS1_30default_config_static_selectorELNS0_4arch9wavefront6targetE1EEEvT1_,@function
_ZN7rocprim17ROCPRIM_400000_NS6detail17trampoline_kernelINS0_14default_configENS1_25partition_config_selectorILNS1_17partition_subalgoE2ExNS0_10empty_typeEbEEZZNS1_14partition_implILS5_2ELb0ES3_jN6thrust23THRUST_200600_302600_NS6detail15normal_iteratorINSA_7pointerIxNSA_11hip_rocprim3tagENSA_11use_defaultESG_EEEEPS6_NSA_18transform_iteratorI10is_orderedNSA_12zip_iteratorINSA_5tupleINSC_INSA_10device_ptrIxEEEESQ_NSA_9null_typeESR_SR_SR_SR_SR_SR_SR_EEEESG_SG_EENS0_5tupleIJPxSJ_EEENSV_IJSJ_SJ_EEES6_PlJS6_EEE10hipError_tPvRmT3_T4_T5_T6_T7_T9_mT8_P12ihipStream_tbDpT10_ENKUlT_T0_E_clISt17integral_constantIbLb0EES1I_IbLb1EEEEDaS1E_S1F_EUlS1E_E_NS1_11comp_targetILNS1_3genE0ELNS1_11target_archE4294967295ELNS1_3gpuE0ELNS1_3repE0EEENS1_30default_config_static_selectorELNS0_4arch9wavefront6targetE1EEEvT1_: ; @_ZN7rocprim17ROCPRIM_400000_NS6detail17trampoline_kernelINS0_14default_configENS1_25partition_config_selectorILNS1_17partition_subalgoE2ExNS0_10empty_typeEbEEZZNS1_14partition_implILS5_2ELb0ES3_jN6thrust23THRUST_200600_302600_NS6detail15normal_iteratorINSA_7pointerIxNSA_11hip_rocprim3tagENSA_11use_defaultESG_EEEEPS6_NSA_18transform_iteratorI10is_orderedNSA_12zip_iteratorINSA_5tupleINSC_INSA_10device_ptrIxEEEESQ_NSA_9null_typeESR_SR_SR_SR_SR_SR_SR_EEEESG_SG_EENS0_5tupleIJPxSJ_EEENSV_IJSJ_SJ_EEES6_PlJS6_EEE10hipError_tPvRmT3_T4_T5_T6_T7_T9_mT8_P12ihipStream_tbDpT10_ENKUlT_T0_E_clISt17integral_constantIbLb0EES1I_IbLb1EEEEDaS1E_S1F_EUlS1E_E_NS1_11comp_targetILNS1_3genE0ELNS1_11target_archE4294967295ELNS1_3gpuE0ELNS1_3repE0EEENS1_30default_config_static_selectorELNS0_4arch9wavefront6targetE1EEEvT1_
; %bb.0:
	.section	.rodata,"a",@progbits
	.p2align	6, 0x0
	.amdhsa_kernel _ZN7rocprim17ROCPRIM_400000_NS6detail17trampoline_kernelINS0_14default_configENS1_25partition_config_selectorILNS1_17partition_subalgoE2ExNS0_10empty_typeEbEEZZNS1_14partition_implILS5_2ELb0ES3_jN6thrust23THRUST_200600_302600_NS6detail15normal_iteratorINSA_7pointerIxNSA_11hip_rocprim3tagENSA_11use_defaultESG_EEEEPS6_NSA_18transform_iteratorI10is_orderedNSA_12zip_iteratorINSA_5tupleINSC_INSA_10device_ptrIxEEEESQ_NSA_9null_typeESR_SR_SR_SR_SR_SR_SR_EEEESG_SG_EENS0_5tupleIJPxSJ_EEENSV_IJSJ_SJ_EEES6_PlJS6_EEE10hipError_tPvRmT3_T4_T5_T6_T7_T9_mT8_P12ihipStream_tbDpT10_ENKUlT_T0_E_clISt17integral_constantIbLb0EES1I_IbLb1EEEEDaS1E_S1F_EUlS1E_E_NS1_11comp_targetILNS1_3genE0ELNS1_11target_archE4294967295ELNS1_3gpuE0ELNS1_3repE0EEENS1_30default_config_static_selectorELNS0_4arch9wavefront6targetE1EEEvT1_
		.amdhsa_group_segment_fixed_size 0
		.amdhsa_private_segment_fixed_size 0
		.amdhsa_kernarg_size 152
		.amdhsa_user_sgpr_count 6
		.amdhsa_user_sgpr_private_segment_buffer 1
		.amdhsa_user_sgpr_dispatch_ptr 0
		.amdhsa_user_sgpr_queue_ptr 0
		.amdhsa_user_sgpr_kernarg_segment_ptr 1
		.amdhsa_user_sgpr_dispatch_id 0
		.amdhsa_user_sgpr_flat_scratch_init 0
		.amdhsa_user_sgpr_kernarg_preload_length 0
		.amdhsa_user_sgpr_kernarg_preload_offset 0
		.amdhsa_user_sgpr_private_segment_size 0
		.amdhsa_uses_dynamic_stack 0
		.amdhsa_system_sgpr_private_segment_wavefront_offset 0
		.amdhsa_system_sgpr_workgroup_id_x 1
		.amdhsa_system_sgpr_workgroup_id_y 0
		.amdhsa_system_sgpr_workgroup_id_z 0
		.amdhsa_system_sgpr_workgroup_info 0
		.amdhsa_system_vgpr_workitem_id 0
		.amdhsa_next_free_vgpr 1
		.amdhsa_next_free_sgpr 0
		.amdhsa_accum_offset 4
		.amdhsa_reserve_vcc 0
		.amdhsa_reserve_flat_scratch 0
		.amdhsa_float_round_mode_32 0
		.amdhsa_float_round_mode_16_64 0
		.amdhsa_float_denorm_mode_32 3
		.amdhsa_float_denorm_mode_16_64 3
		.amdhsa_dx10_clamp 1
		.amdhsa_ieee_mode 1
		.amdhsa_fp16_overflow 0
		.amdhsa_tg_split 0
		.amdhsa_exception_fp_ieee_invalid_op 0
		.amdhsa_exception_fp_denorm_src 0
		.amdhsa_exception_fp_ieee_div_zero 0
		.amdhsa_exception_fp_ieee_overflow 0
		.amdhsa_exception_fp_ieee_underflow 0
		.amdhsa_exception_fp_ieee_inexact 0
		.amdhsa_exception_int_div_zero 0
	.end_amdhsa_kernel
	.section	.text._ZN7rocprim17ROCPRIM_400000_NS6detail17trampoline_kernelINS0_14default_configENS1_25partition_config_selectorILNS1_17partition_subalgoE2ExNS0_10empty_typeEbEEZZNS1_14partition_implILS5_2ELb0ES3_jN6thrust23THRUST_200600_302600_NS6detail15normal_iteratorINSA_7pointerIxNSA_11hip_rocprim3tagENSA_11use_defaultESG_EEEEPS6_NSA_18transform_iteratorI10is_orderedNSA_12zip_iteratorINSA_5tupleINSC_INSA_10device_ptrIxEEEESQ_NSA_9null_typeESR_SR_SR_SR_SR_SR_SR_EEEESG_SG_EENS0_5tupleIJPxSJ_EEENSV_IJSJ_SJ_EEES6_PlJS6_EEE10hipError_tPvRmT3_T4_T5_T6_T7_T9_mT8_P12ihipStream_tbDpT10_ENKUlT_T0_E_clISt17integral_constantIbLb0EES1I_IbLb1EEEEDaS1E_S1F_EUlS1E_E_NS1_11comp_targetILNS1_3genE0ELNS1_11target_archE4294967295ELNS1_3gpuE0ELNS1_3repE0EEENS1_30default_config_static_selectorELNS0_4arch9wavefront6targetE1EEEvT1_,"axG",@progbits,_ZN7rocprim17ROCPRIM_400000_NS6detail17trampoline_kernelINS0_14default_configENS1_25partition_config_selectorILNS1_17partition_subalgoE2ExNS0_10empty_typeEbEEZZNS1_14partition_implILS5_2ELb0ES3_jN6thrust23THRUST_200600_302600_NS6detail15normal_iteratorINSA_7pointerIxNSA_11hip_rocprim3tagENSA_11use_defaultESG_EEEEPS6_NSA_18transform_iteratorI10is_orderedNSA_12zip_iteratorINSA_5tupleINSC_INSA_10device_ptrIxEEEESQ_NSA_9null_typeESR_SR_SR_SR_SR_SR_SR_EEEESG_SG_EENS0_5tupleIJPxSJ_EEENSV_IJSJ_SJ_EEES6_PlJS6_EEE10hipError_tPvRmT3_T4_T5_T6_T7_T9_mT8_P12ihipStream_tbDpT10_ENKUlT_T0_E_clISt17integral_constantIbLb0EES1I_IbLb1EEEEDaS1E_S1F_EUlS1E_E_NS1_11comp_targetILNS1_3genE0ELNS1_11target_archE4294967295ELNS1_3gpuE0ELNS1_3repE0EEENS1_30default_config_static_selectorELNS0_4arch9wavefront6targetE1EEEvT1_,comdat
.Lfunc_end3586:
	.size	_ZN7rocprim17ROCPRIM_400000_NS6detail17trampoline_kernelINS0_14default_configENS1_25partition_config_selectorILNS1_17partition_subalgoE2ExNS0_10empty_typeEbEEZZNS1_14partition_implILS5_2ELb0ES3_jN6thrust23THRUST_200600_302600_NS6detail15normal_iteratorINSA_7pointerIxNSA_11hip_rocprim3tagENSA_11use_defaultESG_EEEEPS6_NSA_18transform_iteratorI10is_orderedNSA_12zip_iteratorINSA_5tupleINSC_INSA_10device_ptrIxEEEESQ_NSA_9null_typeESR_SR_SR_SR_SR_SR_SR_EEEESG_SG_EENS0_5tupleIJPxSJ_EEENSV_IJSJ_SJ_EEES6_PlJS6_EEE10hipError_tPvRmT3_T4_T5_T6_T7_T9_mT8_P12ihipStream_tbDpT10_ENKUlT_T0_E_clISt17integral_constantIbLb0EES1I_IbLb1EEEEDaS1E_S1F_EUlS1E_E_NS1_11comp_targetILNS1_3genE0ELNS1_11target_archE4294967295ELNS1_3gpuE0ELNS1_3repE0EEENS1_30default_config_static_selectorELNS0_4arch9wavefront6targetE1EEEvT1_, .Lfunc_end3586-_ZN7rocprim17ROCPRIM_400000_NS6detail17trampoline_kernelINS0_14default_configENS1_25partition_config_selectorILNS1_17partition_subalgoE2ExNS0_10empty_typeEbEEZZNS1_14partition_implILS5_2ELb0ES3_jN6thrust23THRUST_200600_302600_NS6detail15normal_iteratorINSA_7pointerIxNSA_11hip_rocprim3tagENSA_11use_defaultESG_EEEEPS6_NSA_18transform_iteratorI10is_orderedNSA_12zip_iteratorINSA_5tupleINSC_INSA_10device_ptrIxEEEESQ_NSA_9null_typeESR_SR_SR_SR_SR_SR_SR_EEEESG_SG_EENS0_5tupleIJPxSJ_EEENSV_IJSJ_SJ_EEES6_PlJS6_EEE10hipError_tPvRmT3_T4_T5_T6_T7_T9_mT8_P12ihipStream_tbDpT10_ENKUlT_T0_E_clISt17integral_constantIbLb0EES1I_IbLb1EEEEDaS1E_S1F_EUlS1E_E_NS1_11comp_targetILNS1_3genE0ELNS1_11target_archE4294967295ELNS1_3gpuE0ELNS1_3repE0EEENS1_30default_config_static_selectorELNS0_4arch9wavefront6targetE1EEEvT1_
                                        ; -- End function
	.section	.AMDGPU.csdata,"",@progbits
; Kernel info:
; codeLenInByte = 0
; NumSgprs: 4
; NumVgprs: 0
; NumAgprs: 0
; TotalNumVgprs: 0
; ScratchSize: 0
; MemoryBound: 0
; FloatMode: 240
; IeeeMode: 1
; LDSByteSize: 0 bytes/workgroup (compile time only)
; SGPRBlocks: 0
; VGPRBlocks: 0
; NumSGPRsForWavesPerEU: 4
; NumVGPRsForWavesPerEU: 1
; AccumOffset: 4
; Occupancy: 8
; WaveLimiterHint : 0
; COMPUTE_PGM_RSRC2:SCRATCH_EN: 0
; COMPUTE_PGM_RSRC2:USER_SGPR: 6
; COMPUTE_PGM_RSRC2:TRAP_HANDLER: 0
; COMPUTE_PGM_RSRC2:TGID_X_EN: 1
; COMPUTE_PGM_RSRC2:TGID_Y_EN: 0
; COMPUTE_PGM_RSRC2:TGID_Z_EN: 0
; COMPUTE_PGM_RSRC2:TIDIG_COMP_CNT: 0
; COMPUTE_PGM_RSRC3_GFX90A:ACCUM_OFFSET: 0
; COMPUTE_PGM_RSRC3_GFX90A:TG_SPLIT: 0
	.section	.text._ZN7rocprim17ROCPRIM_400000_NS6detail17trampoline_kernelINS0_14default_configENS1_25partition_config_selectorILNS1_17partition_subalgoE2ExNS0_10empty_typeEbEEZZNS1_14partition_implILS5_2ELb0ES3_jN6thrust23THRUST_200600_302600_NS6detail15normal_iteratorINSA_7pointerIxNSA_11hip_rocprim3tagENSA_11use_defaultESG_EEEEPS6_NSA_18transform_iteratorI10is_orderedNSA_12zip_iteratorINSA_5tupleINSC_INSA_10device_ptrIxEEEESQ_NSA_9null_typeESR_SR_SR_SR_SR_SR_SR_EEEESG_SG_EENS0_5tupleIJPxSJ_EEENSV_IJSJ_SJ_EEES6_PlJS6_EEE10hipError_tPvRmT3_T4_T5_T6_T7_T9_mT8_P12ihipStream_tbDpT10_ENKUlT_T0_E_clISt17integral_constantIbLb0EES1I_IbLb1EEEEDaS1E_S1F_EUlS1E_E_NS1_11comp_targetILNS1_3genE5ELNS1_11target_archE942ELNS1_3gpuE9ELNS1_3repE0EEENS1_30default_config_static_selectorELNS0_4arch9wavefront6targetE1EEEvT1_,"axG",@progbits,_ZN7rocprim17ROCPRIM_400000_NS6detail17trampoline_kernelINS0_14default_configENS1_25partition_config_selectorILNS1_17partition_subalgoE2ExNS0_10empty_typeEbEEZZNS1_14partition_implILS5_2ELb0ES3_jN6thrust23THRUST_200600_302600_NS6detail15normal_iteratorINSA_7pointerIxNSA_11hip_rocprim3tagENSA_11use_defaultESG_EEEEPS6_NSA_18transform_iteratorI10is_orderedNSA_12zip_iteratorINSA_5tupleINSC_INSA_10device_ptrIxEEEESQ_NSA_9null_typeESR_SR_SR_SR_SR_SR_SR_EEEESG_SG_EENS0_5tupleIJPxSJ_EEENSV_IJSJ_SJ_EEES6_PlJS6_EEE10hipError_tPvRmT3_T4_T5_T6_T7_T9_mT8_P12ihipStream_tbDpT10_ENKUlT_T0_E_clISt17integral_constantIbLb0EES1I_IbLb1EEEEDaS1E_S1F_EUlS1E_E_NS1_11comp_targetILNS1_3genE5ELNS1_11target_archE942ELNS1_3gpuE9ELNS1_3repE0EEENS1_30default_config_static_selectorELNS0_4arch9wavefront6targetE1EEEvT1_,comdat
	.protected	_ZN7rocprim17ROCPRIM_400000_NS6detail17trampoline_kernelINS0_14default_configENS1_25partition_config_selectorILNS1_17partition_subalgoE2ExNS0_10empty_typeEbEEZZNS1_14partition_implILS5_2ELb0ES3_jN6thrust23THRUST_200600_302600_NS6detail15normal_iteratorINSA_7pointerIxNSA_11hip_rocprim3tagENSA_11use_defaultESG_EEEEPS6_NSA_18transform_iteratorI10is_orderedNSA_12zip_iteratorINSA_5tupleINSC_INSA_10device_ptrIxEEEESQ_NSA_9null_typeESR_SR_SR_SR_SR_SR_SR_EEEESG_SG_EENS0_5tupleIJPxSJ_EEENSV_IJSJ_SJ_EEES6_PlJS6_EEE10hipError_tPvRmT3_T4_T5_T6_T7_T9_mT8_P12ihipStream_tbDpT10_ENKUlT_T0_E_clISt17integral_constantIbLb0EES1I_IbLb1EEEEDaS1E_S1F_EUlS1E_E_NS1_11comp_targetILNS1_3genE5ELNS1_11target_archE942ELNS1_3gpuE9ELNS1_3repE0EEENS1_30default_config_static_selectorELNS0_4arch9wavefront6targetE1EEEvT1_ ; -- Begin function _ZN7rocprim17ROCPRIM_400000_NS6detail17trampoline_kernelINS0_14default_configENS1_25partition_config_selectorILNS1_17partition_subalgoE2ExNS0_10empty_typeEbEEZZNS1_14partition_implILS5_2ELb0ES3_jN6thrust23THRUST_200600_302600_NS6detail15normal_iteratorINSA_7pointerIxNSA_11hip_rocprim3tagENSA_11use_defaultESG_EEEEPS6_NSA_18transform_iteratorI10is_orderedNSA_12zip_iteratorINSA_5tupleINSC_INSA_10device_ptrIxEEEESQ_NSA_9null_typeESR_SR_SR_SR_SR_SR_SR_EEEESG_SG_EENS0_5tupleIJPxSJ_EEENSV_IJSJ_SJ_EEES6_PlJS6_EEE10hipError_tPvRmT3_T4_T5_T6_T7_T9_mT8_P12ihipStream_tbDpT10_ENKUlT_T0_E_clISt17integral_constantIbLb0EES1I_IbLb1EEEEDaS1E_S1F_EUlS1E_E_NS1_11comp_targetILNS1_3genE5ELNS1_11target_archE942ELNS1_3gpuE9ELNS1_3repE0EEENS1_30default_config_static_selectorELNS0_4arch9wavefront6targetE1EEEvT1_
	.globl	_ZN7rocprim17ROCPRIM_400000_NS6detail17trampoline_kernelINS0_14default_configENS1_25partition_config_selectorILNS1_17partition_subalgoE2ExNS0_10empty_typeEbEEZZNS1_14partition_implILS5_2ELb0ES3_jN6thrust23THRUST_200600_302600_NS6detail15normal_iteratorINSA_7pointerIxNSA_11hip_rocprim3tagENSA_11use_defaultESG_EEEEPS6_NSA_18transform_iteratorI10is_orderedNSA_12zip_iteratorINSA_5tupleINSC_INSA_10device_ptrIxEEEESQ_NSA_9null_typeESR_SR_SR_SR_SR_SR_SR_EEEESG_SG_EENS0_5tupleIJPxSJ_EEENSV_IJSJ_SJ_EEES6_PlJS6_EEE10hipError_tPvRmT3_T4_T5_T6_T7_T9_mT8_P12ihipStream_tbDpT10_ENKUlT_T0_E_clISt17integral_constantIbLb0EES1I_IbLb1EEEEDaS1E_S1F_EUlS1E_E_NS1_11comp_targetILNS1_3genE5ELNS1_11target_archE942ELNS1_3gpuE9ELNS1_3repE0EEENS1_30default_config_static_selectorELNS0_4arch9wavefront6targetE1EEEvT1_
	.p2align	8
	.type	_ZN7rocprim17ROCPRIM_400000_NS6detail17trampoline_kernelINS0_14default_configENS1_25partition_config_selectorILNS1_17partition_subalgoE2ExNS0_10empty_typeEbEEZZNS1_14partition_implILS5_2ELb0ES3_jN6thrust23THRUST_200600_302600_NS6detail15normal_iteratorINSA_7pointerIxNSA_11hip_rocprim3tagENSA_11use_defaultESG_EEEEPS6_NSA_18transform_iteratorI10is_orderedNSA_12zip_iteratorINSA_5tupleINSC_INSA_10device_ptrIxEEEESQ_NSA_9null_typeESR_SR_SR_SR_SR_SR_SR_EEEESG_SG_EENS0_5tupleIJPxSJ_EEENSV_IJSJ_SJ_EEES6_PlJS6_EEE10hipError_tPvRmT3_T4_T5_T6_T7_T9_mT8_P12ihipStream_tbDpT10_ENKUlT_T0_E_clISt17integral_constantIbLb0EES1I_IbLb1EEEEDaS1E_S1F_EUlS1E_E_NS1_11comp_targetILNS1_3genE5ELNS1_11target_archE942ELNS1_3gpuE9ELNS1_3repE0EEENS1_30default_config_static_selectorELNS0_4arch9wavefront6targetE1EEEvT1_,@function
_ZN7rocprim17ROCPRIM_400000_NS6detail17trampoline_kernelINS0_14default_configENS1_25partition_config_selectorILNS1_17partition_subalgoE2ExNS0_10empty_typeEbEEZZNS1_14partition_implILS5_2ELb0ES3_jN6thrust23THRUST_200600_302600_NS6detail15normal_iteratorINSA_7pointerIxNSA_11hip_rocprim3tagENSA_11use_defaultESG_EEEEPS6_NSA_18transform_iteratorI10is_orderedNSA_12zip_iteratorINSA_5tupleINSC_INSA_10device_ptrIxEEEESQ_NSA_9null_typeESR_SR_SR_SR_SR_SR_SR_EEEESG_SG_EENS0_5tupleIJPxSJ_EEENSV_IJSJ_SJ_EEES6_PlJS6_EEE10hipError_tPvRmT3_T4_T5_T6_T7_T9_mT8_P12ihipStream_tbDpT10_ENKUlT_T0_E_clISt17integral_constantIbLb0EES1I_IbLb1EEEEDaS1E_S1F_EUlS1E_E_NS1_11comp_targetILNS1_3genE5ELNS1_11target_archE942ELNS1_3gpuE9ELNS1_3repE0EEENS1_30default_config_static_selectorELNS0_4arch9wavefront6targetE1EEEvT1_: ; @_ZN7rocprim17ROCPRIM_400000_NS6detail17trampoline_kernelINS0_14default_configENS1_25partition_config_selectorILNS1_17partition_subalgoE2ExNS0_10empty_typeEbEEZZNS1_14partition_implILS5_2ELb0ES3_jN6thrust23THRUST_200600_302600_NS6detail15normal_iteratorINSA_7pointerIxNSA_11hip_rocprim3tagENSA_11use_defaultESG_EEEEPS6_NSA_18transform_iteratorI10is_orderedNSA_12zip_iteratorINSA_5tupleINSC_INSA_10device_ptrIxEEEESQ_NSA_9null_typeESR_SR_SR_SR_SR_SR_SR_EEEESG_SG_EENS0_5tupleIJPxSJ_EEENSV_IJSJ_SJ_EEES6_PlJS6_EEE10hipError_tPvRmT3_T4_T5_T6_T7_T9_mT8_P12ihipStream_tbDpT10_ENKUlT_T0_E_clISt17integral_constantIbLb0EES1I_IbLb1EEEEDaS1E_S1F_EUlS1E_E_NS1_11comp_targetILNS1_3genE5ELNS1_11target_archE942ELNS1_3gpuE9ELNS1_3repE0EEENS1_30default_config_static_selectorELNS0_4arch9wavefront6targetE1EEEvT1_
; %bb.0:
	.section	.rodata,"a",@progbits
	.p2align	6, 0x0
	.amdhsa_kernel _ZN7rocprim17ROCPRIM_400000_NS6detail17trampoline_kernelINS0_14default_configENS1_25partition_config_selectorILNS1_17partition_subalgoE2ExNS0_10empty_typeEbEEZZNS1_14partition_implILS5_2ELb0ES3_jN6thrust23THRUST_200600_302600_NS6detail15normal_iteratorINSA_7pointerIxNSA_11hip_rocprim3tagENSA_11use_defaultESG_EEEEPS6_NSA_18transform_iteratorI10is_orderedNSA_12zip_iteratorINSA_5tupleINSC_INSA_10device_ptrIxEEEESQ_NSA_9null_typeESR_SR_SR_SR_SR_SR_SR_EEEESG_SG_EENS0_5tupleIJPxSJ_EEENSV_IJSJ_SJ_EEES6_PlJS6_EEE10hipError_tPvRmT3_T4_T5_T6_T7_T9_mT8_P12ihipStream_tbDpT10_ENKUlT_T0_E_clISt17integral_constantIbLb0EES1I_IbLb1EEEEDaS1E_S1F_EUlS1E_E_NS1_11comp_targetILNS1_3genE5ELNS1_11target_archE942ELNS1_3gpuE9ELNS1_3repE0EEENS1_30default_config_static_selectorELNS0_4arch9wavefront6targetE1EEEvT1_
		.amdhsa_group_segment_fixed_size 0
		.amdhsa_private_segment_fixed_size 0
		.amdhsa_kernarg_size 152
		.amdhsa_user_sgpr_count 6
		.amdhsa_user_sgpr_private_segment_buffer 1
		.amdhsa_user_sgpr_dispatch_ptr 0
		.amdhsa_user_sgpr_queue_ptr 0
		.amdhsa_user_sgpr_kernarg_segment_ptr 1
		.amdhsa_user_sgpr_dispatch_id 0
		.amdhsa_user_sgpr_flat_scratch_init 0
		.amdhsa_user_sgpr_kernarg_preload_length 0
		.amdhsa_user_sgpr_kernarg_preload_offset 0
		.amdhsa_user_sgpr_private_segment_size 0
		.amdhsa_uses_dynamic_stack 0
		.amdhsa_system_sgpr_private_segment_wavefront_offset 0
		.amdhsa_system_sgpr_workgroup_id_x 1
		.amdhsa_system_sgpr_workgroup_id_y 0
		.amdhsa_system_sgpr_workgroup_id_z 0
		.amdhsa_system_sgpr_workgroup_info 0
		.amdhsa_system_vgpr_workitem_id 0
		.amdhsa_next_free_vgpr 1
		.amdhsa_next_free_sgpr 0
		.amdhsa_accum_offset 4
		.amdhsa_reserve_vcc 0
		.amdhsa_reserve_flat_scratch 0
		.amdhsa_float_round_mode_32 0
		.amdhsa_float_round_mode_16_64 0
		.amdhsa_float_denorm_mode_32 3
		.amdhsa_float_denorm_mode_16_64 3
		.amdhsa_dx10_clamp 1
		.amdhsa_ieee_mode 1
		.amdhsa_fp16_overflow 0
		.amdhsa_tg_split 0
		.amdhsa_exception_fp_ieee_invalid_op 0
		.amdhsa_exception_fp_denorm_src 0
		.amdhsa_exception_fp_ieee_div_zero 0
		.amdhsa_exception_fp_ieee_overflow 0
		.amdhsa_exception_fp_ieee_underflow 0
		.amdhsa_exception_fp_ieee_inexact 0
		.amdhsa_exception_int_div_zero 0
	.end_amdhsa_kernel
	.section	.text._ZN7rocprim17ROCPRIM_400000_NS6detail17trampoline_kernelINS0_14default_configENS1_25partition_config_selectorILNS1_17partition_subalgoE2ExNS0_10empty_typeEbEEZZNS1_14partition_implILS5_2ELb0ES3_jN6thrust23THRUST_200600_302600_NS6detail15normal_iteratorINSA_7pointerIxNSA_11hip_rocprim3tagENSA_11use_defaultESG_EEEEPS6_NSA_18transform_iteratorI10is_orderedNSA_12zip_iteratorINSA_5tupleINSC_INSA_10device_ptrIxEEEESQ_NSA_9null_typeESR_SR_SR_SR_SR_SR_SR_EEEESG_SG_EENS0_5tupleIJPxSJ_EEENSV_IJSJ_SJ_EEES6_PlJS6_EEE10hipError_tPvRmT3_T4_T5_T6_T7_T9_mT8_P12ihipStream_tbDpT10_ENKUlT_T0_E_clISt17integral_constantIbLb0EES1I_IbLb1EEEEDaS1E_S1F_EUlS1E_E_NS1_11comp_targetILNS1_3genE5ELNS1_11target_archE942ELNS1_3gpuE9ELNS1_3repE0EEENS1_30default_config_static_selectorELNS0_4arch9wavefront6targetE1EEEvT1_,"axG",@progbits,_ZN7rocprim17ROCPRIM_400000_NS6detail17trampoline_kernelINS0_14default_configENS1_25partition_config_selectorILNS1_17partition_subalgoE2ExNS0_10empty_typeEbEEZZNS1_14partition_implILS5_2ELb0ES3_jN6thrust23THRUST_200600_302600_NS6detail15normal_iteratorINSA_7pointerIxNSA_11hip_rocprim3tagENSA_11use_defaultESG_EEEEPS6_NSA_18transform_iteratorI10is_orderedNSA_12zip_iteratorINSA_5tupleINSC_INSA_10device_ptrIxEEEESQ_NSA_9null_typeESR_SR_SR_SR_SR_SR_SR_EEEESG_SG_EENS0_5tupleIJPxSJ_EEENSV_IJSJ_SJ_EEES6_PlJS6_EEE10hipError_tPvRmT3_T4_T5_T6_T7_T9_mT8_P12ihipStream_tbDpT10_ENKUlT_T0_E_clISt17integral_constantIbLb0EES1I_IbLb1EEEEDaS1E_S1F_EUlS1E_E_NS1_11comp_targetILNS1_3genE5ELNS1_11target_archE942ELNS1_3gpuE9ELNS1_3repE0EEENS1_30default_config_static_selectorELNS0_4arch9wavefront6targetE1EEEvT1_,comdat
.Lfunc_end3587:
	.size	_ZN7rocprim17ROCPRIM_400000_NS6detail17trampoline_kernelINS0_14default_configENS1_25partition_config_selectorILNS1_17partition_subalgoE2ExNS0_10empty_typeEbEEZZNS1_14partition_implILS5_2ELb0ES3_jN6thrust23THRUST_200600_302600_NS6detail15normal_iteratorINSA_7pointerIxNSA_11hip_rocprim3tagENSA_11use_defaultESG_EEEEPS6_NSA_18transform_iteratorI10is_orderedNSA_12zip_iteratorINSA_5tupleINSC_INSA_10device_ptrIxEEEESQ_NSA_9null_typeESR_SR_SR_SR_SR_SR_SR_EEEESG_SG_EENS0_5tupleIJPxSJ_EEENSV_IJSJ_SJ_EEES6_PlJS6_EEE10hipError_tPvRmT3_T4_T5_T6_T7_T9_mT8_P12ihipStream_tbDpT10_ENKUlT_T0_E_clISt17integral_constantIbLb0EES1I_IbLb1EEEEDaS1E_S1F_EUlS1E_E_NS1_11comp_targetILNS1_3genE5ELNS1_11target_archE942ELNS1_3gpuE9ELNS1_3repE0EEENS1_30default_config_static_selectorELNS0_4arch9wavefront6targetE1EEEvT1_, .Lfunc_end3587-_ZN7rocprim17ROCPRIM_400000_NS6detail17trampoline_kernelINS0_14default_configENS1_25partition_config_selectorILNS1_17partition_subalgoE2ExNS0_10empty_typeEbEEZZNS1_14partition_implILS5_2ELb0ES3_jN6thrust23THRUST_200600_302600_NS6detail15normal_iteratorINSA_7pointerIxNSA_11hip_rocprim3tagENSA_11use_defaultESG_EEEEPS6_NSA_18transform_iteratorI10is_orderedNSA_12zip_iteratorINSA_5tupleINSC_INSA_10device_ptrIxEEEESQ_NSA_9null_typeESR_SR_SR_SR_SR_SR_SR_EEEESG_SG_EENS0_5tupleIJPxSJ_EEENSV_IJSJ_SJ_EEES6_PlJS6_EEE10hipError_tPvRmT3_T4_T5_T6_T7_T9_mT8_P12ihipStream_tbDpT10_ENKUlT_T0_E_clISt17integral_constantIbLb0EES1I_IbLb1EEEEDaS1E_S1F_EUlS1E_E_NS1_11comp_targetILNS1_3genE5ELNS1_11target_archE942ELNS1_3gpuE9ELNS1_3repE0EEENS1_30default_config_static_selectorELNS0_4arch9wavefront6targetE1EEEvT1_
                                        ; -- End function
	.section	.AMDGPU.csdata,"",@progbits
; Kernel info:
; codeLenInByte = 0
; NumSgprs: 4
; NumVgprs: 0
; NumAgprs: 0
; TotalNumVgprs: 0
; ScratchSize: 0
; MemoryBound: 0
; FloatMode: 240
; IeeeMode: 1
; LDSByteSize: 0 bytes/workgroup (compile time only)
; SGPRBlocks: 0
; VGPRBlocks: 0
; NumSGPRsForWavesPerEU: 4
; NumVGPRsForWavesPerEU: 1
; AccumOffset: 4
; Occupancy: 8
; WaveLimiterHint : 0
; COMPUTE_PGM_RSRC2:SCRATCH_EN: 0
; COMPUTE_PGM_RSRC2:USER_SGPR: 6
; COMPUTE_PGM_RSRC2:TRAP_HANDLER: 0
; COMPUTE_PGM_RSRC2:TGID_X_EN: 1
; COMPUTE_PGM_RSRC2:TGID_Y_EN: 0
; COMPUTE_PGM_RSRC2:TGID_Z_EN: 0
; COMPUTE_PGM_RSRC2:TIDIG_COMP_CNT: 0
; COMPUTE_PGM_RSRC3_GFX90A:ACCUM_OFFSET: 0
; COMPUTE_PGM_RSRC3_GFX90A:TG_SPLIT: 0
	.section	.text._ZN7rocprim17ROCPRIM_400000_NS6detail17trampoline_kernelINS0_14default_configENS1_25partition_config_selectorILNS1_17partition_subalgoE2ExNS0_10empty_typeEbEEZZNS1_14partition_implILS5_2ELb0ES3_jN6thrust23THRUST_200600_302600_NS6detail15normal_iteratorINSA_7pointerIxNSA_11hip_rocprim3tagENSA_11use_defaultESG_EEEEPS6_NSA_18transform_iteratorI10is_orderedNSA_12zip_iteratorINSA_5tupleINSC_INSA_10device_ptrIxEEEESQ_NSA_9null_typeESR_SR_SR_SR_SR_SR_SR_EEEESG_SG_EENS0_5tupleIJPxSJ_EEENSV_IJSJ_SJ_EEES6_PlJS6_EEE10hipError_tPvRmT3_T4_T5_T6_T7_T9_mT8_P12ihipStream_tbDpT10_ENKUlT_T0_E_clISt17integral_constantIbLb0EES1I_IbLb1EEEEDaS1E_S1F_EUlS1E_E_NS1_11comp_targetILNS1_3genE4ELNS1_11target_archE910ELNS1_3gpuE8ELNS1_3repE0EEENS1_30default_config_static_selectorELNS0_4arch9wavefront6targetE1EEEvT1_,"axG",@progbits,_ZN7rocprim17ROCPRIM_400000_NS6detail17trampoline_kernelINS0_14default_configENS1_25partition_config_selectorILNS1_17partition_subalgoE2ExNS0_10empty_typeEbEEZZNS1_14partition_implILS5_2ELb0ES3_jN6thrust23THRUST_200600_302600_NS6detail15normal_iteratorINSA_7pointerIxNSA_11hip_rocprim3tagENSA_11use_defaultESG_EEEEPS6_NSA_18transform_iteratorI10is_orderedNSA_12zip_iteratorINSA_5tupleINSC_INSA_10device_ptrIxEEEESQ_NSA_9null_typeESR_SR_SR_SR_SR_SR_SR_EEEESG_SG_EENS0_5tupleIJPxSJ_EEENSV_IJSJ_SJ_EEES6_PlJS6_EEE10hipError_tPvRmT3_T4_T5_T6_T7_T9_mT8_P12ihipStream_tbDpT10_ENKUlT_T0_E_clISt17integral_constantIbLb0EES1I_IbLb1EEEEDaS1E_S1F_EUlS1E_E_NS1_11comp_targetILNS1_3genE4ELNS1_11target_archE910ELNS1_3gpuE8ELNS1_3repE0EEENS1_30default_config_static_selectorELNS0_4arch9wavefront6targetE1EEEvT1_,comdat
	.protected	_ZN7rocprim17ROCPRIM_400000_NS6detail17trampoline_kernelINS0_14default_configENS1_25partition_config_selectorILNS1_17partition_subalgoE2ExNS0_10empty_typeEbEEZZNS1_14partition_implILS5_2ELb0ES3_jN6thrust23THRUST_200600_302600_NS6detail15normal_iteratorINSA_7pointerIxNSA_11hip_rocprim3tagENSA_11use_defaultESG_EEEEPS6_NSA_18transform_iteratorI10is_orderedNSA_12zip_iteratorINSA_5tupleINSC_INSA_10device_ptrIxEEEESQ_NSA_9null_typeESR_SR_SR_SR_SR_SR_SR_EEEESG_SG_EENS0_5tupleIJPxSJ_EEENSV_IJSJ_SJ_EEES6_PlJS6_EEE10hipError_tPvRmT3_T4_T5_T6_T7_T9_mT8_P12ihipStream_tbDpT10_ENKUlT_T0_E_clISt17integral_constantIbLb0EES1I_IbLb1EEEEDaS1E_S1F_EUlS1E_E_NS1_11comp_targetILNS1_3genE4ELNS1_11target_archE910ELNS1_3gpuE8ELNS1_3repE0EEENS1_30default_config_static_selectorELNS0_4arch9wavefront6targetE1EEEvT1_ ; -- Begin function _ZN7rocprim17ROCPRIM_400000_NS6detail17trampoline_kernelINS0_14default_configENS1_25partition_config_selectorILNS1_17partition_subalgoE2ExNS0_10empty_typeEbEEZZNS1_14partition_implILS5_2ELb0ES3_jN6thrust23THRUST_200600_302600_NS6detail15normal_iteratorINSA_7pointerIxNSA_11hip_rocprim3tagENSA_11use_defaultESG_EEEEPS6_NSA_18transform_iteratorI10is_orderedNSA_12zip_iteratorINSA_5tupleINSC_INSA_10device_ptrIxEEEESQ_NSA_9null_typeESR_SR_SR_SR_SR_SR_SR_EEEESG_SG_EENS0_5tupleIJPxSJ_EEENSV_IJSJ_SJ_EEES6_PlJS6_EEE10hipError_tPvRmT3_T4_T5_T6_T7_T9_mT8_P12ihipStream_tbDpT10_ENKUlT_T0_E_clISt17integral_constantIbLb0EES1I_IbLb1EEEEDaS1E_S1F_EUlS1E_E_NS1_11comp_targetILNS1_3genE4ELNS1_11target_archE910ELNS1_3gpuE8ELNS1_3repE0EEENS1_30default_config_static_selectorELNS0_4arch9wavefront6targetE1EEEvT1_
	.globl	_ZN7rocprim17ROCPRIM_400000_NS6detail17trampoline_kernelINS0_14default_configENS1_25partition_config_selectorILNS1_17partition_subalgoE2ExNS0_10empty_typeEbEEZZNS1_14partition_implILS5_2ELb0ES3_jN6thrust23THRUST_200600_302600_NS6detail15normal_iteratorINSA_7pointerIxNSA_11hip_rocprim3tagENSA_11use_defaultESG_EEEEPS6_NSA_18transform_iteratorI10is_orderedNSA_12zip_iteratorINSA_5tupleINSC_INSA_10device_ptrIxEEEESQ_NSA_9null_typeESR_SR_SR_SR_SR_SR_SR_EEEESG_SG_EENS0_5tupleIJPxSJ_EEENSV_IJSJ_SJ_EEES6_PlJS6_EEE10hipError_tPvRmT3_T4_T5_T6_T7_T9_mT8_P12ihipStream_tbDpT10_ENKUlT_T0_E_clISt17integral_constantIbLb0EES1I_IbLb1EEEEDaS1E_S1F_EUlS1E_E_NS1_11comp_targetILNS1_3genE4ELNS1_11target_archE910ELNS1_3gpuE8ELNS1_3repE0EEENS1_30default_config_static_selectorELNS0_4arch9wavefront6targetE1EEEvT1_
	.p2align	8
	.type	_ZN7rocprim17ROCPRIM_400000_NS6detail17trampoline_kernelINS0_14default_configENS1_25partition_config_selectorILNS1_17partition_subalgoE2ExNS0_10empty_typeEbEEZZNS1_14partition_implILS5_2ELb0ES3_jN6thrust23THRUST_200600_302600_NS6detail15normal_iteratorINSA_7pointerIxNSA_11hip_rocprim3tagENSA_11use_defaultESG_EEEEPS6_NSA_18transform_iteratorI10is_orderedNSA_12zip_iteratorINSA_5tupleINSC_INSA_10device_ptrIxEEEESQ_NSA_9null_typeESR_SR_SR_SR_SR_SR_SR_EEEESG_SG_EENS0_5tupleIJPxSJ_EEENSV_IJSJ_SJ_EEES6_PlJS6_EEE10hipError_tPvRmT3_T4_T5_T6_T7_T9_mT8_P12ihipStream_tbDpT10_ENKUlT_T0_E_clISt17integral_constantIbLb0EES1I_IbLb1EEEEDaS1E_S1F_EUlS1E_E_NS1_11comp_targetILNS1_3genE4ELNS1_11target_archE910ELNS1_3gpuE8ELNS1_3repE0EEENS1_30default_config_static_selectorELNS0_4arch9wavefront6targetE1EEEvT1_,@function
_ZN7rocprim17ROCPRIM_400000_NS6detail17trampoline_kernelINS0_14default_configENS1_25partition_config_selectorILNS1_17partition_subalgoE2ExNS0_10empty_typeEbEEZZNS1_14partition_implILS5_2ELb0ES3_jN6thrust23THRUST_200600_302600_NS6detail15normal_iteratorINSA_7pointerIxNSA_11hip_rocprim3tagENSA_11use_defaultESG_EEEEPS6_NSA_18transform_iteratorI10is_orderedNSA_12zip_iteratorINSA_5tupleINSC_INSA_10device_ptrIxEEEESQ_NSA_9null_typeESR_SR_SR_SR_SR_SR_SR_EEEESG_SG_EENS0_5tupleIJPxSJ_EEENSV_IJSJ_SJ_EEES6_PlJS6_EEE10hipError_tPvRmT3_T4_T5_T6_T7_T9_mT8_P12ihipStream_tbDpT10_ENKUlT_T0_E_clISt17integral_constantIbLb0EES1I_IbLb1EEEEDaS1E_S1F_EUlS1E_E_NS1_11comp_targetILNS1_3genE4ELNS1_11target_archE910ELNS1_3gpuE8ELNS1_3repE0EEENS1_30default_config_static_selectorELNS0_4arch9wavefront6targetE1EEEvT1_: ; @_ZN7rocprim17ROCPRIM_400000_NS6detail17trampoline_kernelINS0_14default_configENS1_25partition_config_selectorILNS1_17partition_subalgoE2ExNS0_10empty_typeEbEEZZNS1_14partition_implILS5_2ELb0ES3_jN6thrust23THRUST_200600_302600_NS6detail15normal_iteratorINSA_7pointerIxNSA_11hip_rocprim3tagENSA_11use_defaultESG_EEEEPS6_NSA_18transform_iteratorI10is_orderedNSA_12zip_iteratorINSA_5tupleINSC_INSA_10device_ptrIxEEEESQ_NSA_9null_typeESR_SR_SR_SR_SR_SR_SR_EEEESG_SG_EENS0_5tupleIJPxSJ_EEENSV_IJSJ_SJ_EEES6_PlJS6_EEE10hipError_tPvRmT3_T4_T5_T6_T7_T9_mT8_P12ihipStream_tbDpT10_ENKUlT_T0_E_clISt17integral_constantIbLb0EES1I_IbLb1EEEEDaS1E_S1F_EUlS1E_E_NS1_11comp_targetILNS1_3genE4ELNS1_11target_archE910ELNS1_3gpuE8ELNS1_3repE0EEENS1_30default_config_static_selectorELNS0_4arch9wavefront6targetE1EEEvT1_
; %bb.0:
	s_load_dwordx2 s[24:25], s[4:5], 0x38
	s_load_dwordx4 s[20:23], s[4:5], 0x58
	s_load_dwordx2 s[26:27], s[4:5], 0x68
	s_load_dwordx2 s[34:35], s[4:5], 0x78
	v_cmp_eq_u32_e64 s[0:1], 0, v0
	s_and_saveexec_b64 s[2:3], s[0:1]
	s_cbranch_execz .LBB3588_4
; %bb.1:
	s_mov_b64 s[8:9], exec
	v_mbcnt_lo_u32_b32 v1, s8, 0
	v_mbcnt_hi_u32_b32 v1, s9, v1
	v_cmp_eq_u32_e32 vcc, 0, v1
                                        ; implicit-def: $vgpr2
	s_and_saveexec_b64 s[6:7], vcc
	s_cbranch_execz .LBB3588_3
; %bb.2:
	s_load_dwordx2 s[10:11], s[4:5], 0x88
	s_bcnt1_i32_b64 s8, s[8:9]
	v_mov_b32_e32 v2, 0
	v_mov_b32_e32 v3, s8
	s_waitcnt lgkmcnt(0)
	global_atomic_add v2, v2, v3, s[10:11] glc
.LBB3588_3:
	s_or_b64 exec, exec, s[6:7]
	s_waitcnt vmcnt(0)
	v_readfirstlane_b32 s6, v2
	v_add_u32_e32 v1, s6, v1
	v_mov_b32_e32 v2, 0
	ds_write_b32 v2, v1
.LBB3588_4:
	s_or_b64 exec, exec, s[2:3]
	v_mov_b32_e32 v1, 0
	s_load_dwordx4 s[16:19], s[4:5], 0x8
	s_load_dwordx4 s[8:11], s[4:5], 0x20
	s_load_dword s2, s[4:5], 0x80
	s_waitcnt lgkmcnt(0)
	s_barrier
	ds_read_b32 v2, v1
	s_waitcnt lgkmcnt(0)
	s_barrier
	global_load_dwordx2 v[10:11], v1, s[22:23]
	s_lshl_b64 s[4:5], s[18:19], 3
	s_add_u32 s12, s16, s4
	s_addc_u32 s13, s17, s5
	s_add_i32 s6, s2, -1
	s_mulk_i32 s2, 0x300
	s_add_i32 s3, s2, s18
	s_sub_i32 s33, s26, s3
	s_addk_i32 s33, 0x300
	s_add_u32 s2, s18, s2
	v_readfirstlane_b32 s42, v2
	s_addc_u32 s3, s19, 0
	s_cmp_eq_u32 s42, s6
	v_pk_mov_b32 v[2:3], s[26:27], s[26:27] op_sel:[0,1]
	s_cselect_b64 s[22:23], -1, 0
	s_cmp_lg_u32 s42, s6
	s_mul_i32 s28, s42, 0x300
	s_mov_b32 s29, 0
	v_cmp_lt_u64_e32 vcc, s[2:3], v[2:3]
	s_cselect_b64 s[2:3], -1, 0
	s_or_b64 s[30:31], vcc, s[2:3]
	s_lshl_b64 s[6:7], s[28:29], 3
	s_add_u32 s14, s12, s6
	s_addc_u32 s15, s13, s7
	s_mov_b64 s[2:3], -1
	s_and_b64 vcc, exec, s[30:31]
	v_lshlrev_b32_e32 v1, 3, v0
	v_lshrrev_b32_e32 v12, 2, v0
	s_cbranch_vccz .LBB3588_6
; %bb.5:
	v_mov_b32_e32 v3, s15
	v_add_co_u32_e32 v2, vcc, s14, v1
	v_addc_co_u32_e32 v3, vcc, 0, v3, vcc
	v_add_co_u32_e32 v4, vcc, 0x1000, v2
	v_addc_co_u32_e32 v5, vcc, 0, v3, vcc
	flat_load_dwordx2 v[6:7], v[2:3]
	flat_load_dwordx2 v[8:9], v[2:3] offset:1536
	flat_load_dwordx2 v[14:15], v[2:3] offset:3072
	;; [unrolled: 1-line block ×3, first 2 shown]
	v_add_u32_e32 v3, 0xc0, v0
	v_add_u32_e32 v4, 0x180, v0
	;; [unrolled: 1-line block ×3, first 2 shown]
	v_and_b32_e32 v2, 56, v12
	v_lshrrev_b32_e32 v3, 2, v3
	v_lshrrev_b32_e32 v4, 2, v4
	;; [unrolled: 1-line block ×3, first 2 shown]
	v_add_u32_e32 v2, v2, v1
	v_and_b32_e32 v3, 0x78, v3
	v_and_b32_e32 v4, 0xf8, v4
	;; [unrolled: 1-line block ×3, first 2 shown]
	v_add_u32_e32 v3, v3, v1
	v_add_u32_e32 v4, v4, v1
	;; [unrolled: 1-line block ×3, first 2 shown]
	s_mov_b64 s[2:3], 0
	s_waitcnt vmcnt(0) lgkmcnt(0)
	ds_write_b64 v2, v[6:7]
	ds_write_b64 v3, v[8:9] offset:1536
	ds_write_b64 v4, v[14:15] offset:3072
	;; [unrolled: 1-line block ×3, first 2 shown]
	s_waitcnt lgkmcnt(0)
	s_barrier
.LBB3588_6:
	s_andn2_b64 vcc, exec, s[2:3]
	v_cmp_gt_u32_e64 s[2:3], s33, v0
	s_cbranch_vccnz .LBB3588_16
; %bb.7:
                                        ; implicit-def: $vgpr2_vgpr3_vgpr4_vgpr5_vgpr6_vgpr7_vgpr8_vgpr9
	s_and_saveexec_b64 s[12:13], s[2:3]
	s_cbranch_execz .LBB3588_9
; %bb.8:
	v_mov_b32_e32 v3, s15
	v_add_co_u32_e32 v2, vcc, s14, v1
	v_addc_co_u32_e32 v3, vcc, 0, v3, vcc
	flat_load_dwordx2 v[2:3], v[2:3]
.LBB3588_9:
	s_or_b64 exec, exec, s[12:13]
	v_add_u32_e32 v13, 0xc0, v0
	v_cmp_gt_u32_e32 vcc, s33, v13
	s_and_saveexec_b64 s[2:3], vcc
	s_cbranch_execz .LBB3588_11
; %bb.10:
	v_mov_b32_e32 v5, s15
	v_add_co_u32_e32 v4, vcc, s14, v1
	v_addc_co_u32_e32 v5, vcc, 0, v5, vcc
	flat_load_dwordx2 v[4:5], v[4:5] offset:1536
.LBB3588_11:
	s_or_b64 exec, exec, s[2:3]
	v_add_u32_e32 v14, 0x180, v0
	v_cmp_gt_u32_e32 vcc, s33, v14
	s_and_saveexec_b64 s[2:3], vcc
	s_cbranch_execz .LBB3588_13
; %bb.12:
	v_mov_b32_e32 v7, s15
	v_add_co_u32_e32 v6, vcc, s14, v1
	v_addc_co_u32_e32 v7, vcc, 0, v7, vcc
	flat_load_dwordx2 v[6:7], v[6:7] offset:3072
.LBB3588_13:
	s_or_b64 exec, exec, s[2:3]
	v_add_u32_e32 v15, 0x240, v0
	v_cmp_gt_u32_e32 vcc, s33, v15
	s_and_saveexec_b64 s[2:3], vcc
	s_cbranch_execz .LBB3588_15
; %bb.14:
	v_lshlrev_b32_e32 v8, 3, v15
	v_mov_b32_e32 v9, s15
	v_add_co_u32_e32 v8, vcc, s14, v8
	v_addc_co_u32_e32 v9, vcc, 0, v9, vcc
	flat_load_dwordx2 v[8:9], v[8:9]
.LBB3588_15:
	s_or_b64 exec, exec, s[2:3]
	v_and_b32_e32 v12, 56, v12
	v_add_u32_e32 v12, v12, v1
	s_waitcnt vmcnt(0) lgkmcnt(0)
	ds_write_b64 v12, v[2:3]
	v_lshrrev_b32_e32 v2, 2, v13
	v_and_b32_e32 v2, 0x78, v2
	v_add_u32_e32 v2, v2, v1
	ds_write_b64 v2, v[4:5] offset:1536
	v_lshrrev_b32_e32 v2, 2, v14
	v_and_b32_e32 v2, 0xf8, v2
	v_add_u32_e32 v2, v2, v1
	ds_write_b64 v2, v[6:7] offset:3072
	;; [unrolled: 4-line block ×3, first 2 shown]
	s_waitcnt lgkmcnt(0)
	s_barrier
.LBB3588_16:
	s_add_u32 s2, s8, s4
	s_addc_u32 s3, s9, s5
	v_lshlrev_b32_e32 v22, 2, v0
	v_lshrrev_b32_e32 v12, 3, v0
	s_add_u32 s4, s10, s4
	v_add_lshl_u32 v2, v12, v22, 3
	s_addc_u32 s5, s11, s5
	ds_read2_b64 v[6:9], v2 offset1:1
	ds_read2_b64 v[2:5], v2 offset0:2 offset1:3
	s_add_u32 s2, s2, s6
	s_addc_u32 s3, s3, s7
	s_add_u32 s4, s4, s6
	s_addc_u32 s5, s5, s7
	s_mov_b64 s[6:7], -1
	s_and_b64 vcc, exec, s[30:31]
	v_lshrrev_b32_e32 v13, 5, v0
	s_waitcnt lgkmcnt(0)
	s_barrier
	s_cbranch_vccz .LBB3588_18
; %bb.17:
	v_mov_b32_e32 v14, s3
	v_add_co_u32_e32 v23, vcc, s2, v1
	v_addc_co_u32_e32 v29, vcc, 0, v14, vcc
	v_mov_b32_e32 v14, s5
	v_add_co_u32_e32 v30, vcc, s4, v1
	v_addc_co_u32_e32 v31, vcc, 0, v14, vcc
	s_movk_i32 s6, 0x1000
	v_add_co_u32_e32 v28, vcc, s6, v23
	v_addc_co_u32_e32 v29, vcc, 0, v29, vcc
	v_add_co_u32_e32 v30, vcc, s6, v30
	global_load_dwordx2 v[14:15], v1, s[2:3]
	global_load_dwordx2 v[16:17], v1, s[2:3] offset:1536
	global_load_dwordx2 v[18:19], v1, s[4:5]
	global_load_dwordx2 v[20:21], v1, s[2:3] offset:3072
	global_load_dwordx2 v[24:25], v1, s[4:5] offset:1536
	;; [unrolled: 1-line block ×3, first 2 shown]
	v_addc_co_u32_e32 v31, vcc, 0, v31, vcc
	global_load_dwordx2 v[28:29], v[28:29], off offset:512
	v_add_u32_e32 v32, 0xc0, v0
	global_load_dwordx2 v[30:31], v[30:31], off offset:512
	v_add_u32_e32 v33, 0x180, v0
	v_add_u32_e32 v34, 0x240, v0
	v_and_b32_e32 v23, 4, v13
	v_lshrrev_b32_e32 v32, 5, v32
	v_lshrrev_b32_e32 v33, 5, v33
	v_lshrrev_b32_e32 v34, 5, v34
	v_add_u32_e32 v23, v23, v0
	v_and_b32_e32 v32, 12, v32
	v_and_b32_e32 v33, 28, v33
	;; [unrolled: 1-line block ×3, first 2 shown]
	v_add_u32_e32 v32, v32, v0
	v_add_u32_e32 v33, v33, v0
	;; [unrolled: 1-line block ×3, first 2 shown]
	s_mov_b64 s[6:7], 0
	s_waitcnt vmcnt(5)
	v_cmp_le_i64_e32 vcc, v[14:15], v[18:19]
	v_cndmask_b32_e64 v14, 0, 1, vcc
	s_waitcnt vmcnt(3)
	v_cmp_le_i64_e32 vcc, v[16:17], v[24:25]
	v_cndmask_b32_e64 v15, 0, 1, vcc
	;; [unrolled: 3-line block ×3, first 2 shown]
	ds_write_b8 v23, v14
	ds_write_b8 v32, v15 offset:192
	ds_write_b8 v33, v16 offset:384
	s_waitcnt vmcnt(0)
	v_cmp_le_i64_e32 vcc, v[28:29], v[30:31]
	v_cndmask_b32_e64 v14, 0, 1, vcc
	ds_write_b8 v34, v14 offset:576
	s_waitcnt lgkmcnt(0)
	s_barrier
.LBB3588_18:
	s_andn2_b64 vcc, exec, s[6:7]
	s_cbranch_vccnz .LBB3588_28
; %bb.19:
	v_cmp_gt_u32_e32 vcc, s33, v0
	v_mov_b32_e32 v14, 0
	v_mov_b32_e32 v15, 0
	s_and_saveexec_b64 s[6:7], vcc
	s_cbranch_execz .LBB3588_21
; %bb.20:
	global_load_dwordx2 v[16:17], v1, s[2:3]
	global_load_dwordx2 v[18:19], v1, s[4:5]
	s_waitcnt vmcnt(0)
	v_cmp_le_i64_e32 vcc, v[16:17], v[18:19]
	v_cndmask_b32_e64 v15, 0, 1, vcc
.LBB3588_21:
	s_or_b64 exec, exec, s[6:7]
	v_add_u32_e32 v16, 0xc0, v0
	v_cmp_gt_u32_e32 vcc, s33, v16
	s_and_saveexec_b64 s[6:7], vcc
	s_cbranch_execz .LBB3588_23
; %bb.22:
	global_load_dwordx2 v[18:19], v1, s[2:3] offset:1536
	global_load_dwordx2 v[20:21], v1, s[4:5] offset:1536
	s_waitcnt vmcnt(0)
	v_cmp_le_i64_e32 vcc, v[18:19], v[20:21]
	v_cndmask_b32_e64 v14, 0, 1, vcc
.LBB3588_23:
	s_or_b64 exec, exec, s[6:7]
	v_add_u32_e32 v17, 0x180, v0
	v_cmp_gt_u32_e32 vcc, s33, v17
	v_mov_b32_e32 v18, 0
	v_mov_b32_e32 v19, 0
	s_and_saveexec_b64 s[6:7], vcc
	s_cbranch_execz .LBB3588_25
; %bb.24:
	global_load_dwordx2 v[20:21], v1, s[2:3] offset:3072
	global_load_dwordx2 v[24:25], v1, s[4:5] offset:3072
	s_waitcnt vmcnt(0)
	v_cmp_le_i64_e32 vcc, v[20:21], v[24:25]
	v_cndmask_b32_e64 v19, 0, 1, vcc
.LBB3588_25:
	s_or_b64 exec, exec, s[6:7]
	v_add_u32_e32 v20, 0x240, v0
	v_cmp_gt_u32_e32 vcc, s33, v20
	s_and_saveexec_b64 s[6:7], vcc
	s_cbranch_execz .LBB3588_27
; %bb.26:
	v_lshlrev_b32_e32 v18, 3, v20
	global_load_dwordx2 v[24:25], v18, s[2:3]
	global_load_dwordx2 v[26:27], v18, s[4:5]
	s_waitcnt vmcnt(0)
	v_cmp_le_i64_e32 vcc, v[24:25], v[26:27]
	v_cndmask_b32_e64 v18, 0, 1, vcc
.LBB3588_27:
	s_or_b64 exec, exec, s[6:7]
	v_and_b32_e32 v13, 4, v13
	v_add_u32_e32 v13, v13, v0
	ds_write_b8 v13, v15
	v_lshrrev_b32_e32 v13, 5, v16
	v_and_b32_e32 v13, 12, v13
	v_add_u32_e32 v13, v13, v0
	ds_write_b8 v13, v14 offset:192
	v_lshrrev_b32_e32 v13, 5, v17
	v_and_b32_e32 v13, 28, v13
	v_add_u32_e32 v13, v13, v0
	ds_write_b8 v13, v19 offset:384
	;; [unrolled: 4-line block ×3, first 2 shown]
	s_waitcnt lgkmcnt(0)
	s_barrier
.LBB3588_28:
	v_and_b32_e32 v12, 28, v12
	v_add_u32_e32 v12, v12, v22
	ds_read_b32 v24, v12
	s_cmp_lg_u32 s42, 0
	v_lshrrev_b32_e32 v27, 6, v0
	s_waitcnt lgkmcnt(0)
	s_barrier
	v_lshrrev_b32_e32 v23, 24, v24
	v_bfe_u32 v25, v24, 16, 8
	v_add_u32_sdwa v12, v24, v24 dst_sel:DWORD dst_unused:UNUSED_PAD src0_sel:BYTE_1 src1_sel:BYTE_0
	v_add3_u32 v28, v12, v25, v23
	v_mbcnt_lo_u32_b32 v12, -1, 0
	v_mbcnt_hi_u32_b32 v26, -1, v12
	v_and_b32_e32 v12, 15, v26
	v_cmp_eq_u32_e64 s[14:15], 0, v12
	v_cmp_lt_u32_e64 s[12:13], 1, v12
	v_cmp_lt_u32_e64 s[10:11], 3, v12
	;; [unrolled: 1-line block ×3, first 2 shown]
	v_and_b32_e32 v12, 16, v26
	v_cmp_eq_u32_e64 s[4:5], 0, v12
	v_and_b32_e32 v12, 0xc0, v0
	v_min_u32_e32 v12, 0x80, v12
	v_or_b32_e32 v12, 63, v12
	v_cmp_lt_u32_e64 s[2:3], 31, v26
	v_cmp_eq_u32_e64 s[6:7], v12, v0
	s_cbranch_scc0 .LBB3588_55
; %bb.29:
	v_mov_b32_dpp v12, v28 row_shr:1 row_mask:0xf bank_mask:0xf
	v_cndmask_b32_e64 v12, v12, 0, s[14:15]
	v_add_u32_e32 v12, v12, v28
	s_nop 1
	v_mov_b32_dpp v13, v12 row_shr:2 row_mask:0xf bank_mask:0xf
	v_cndmask_b32_e64 v13, 0, v13, s[12:13]
	v_add_u32_e32 v12, v12, v13
	s_nop 1
	;; [unrolled: 4-line block ×4, first 2 shown]
	v_mov_b32_dpp v13, v12 row_bcast:15 row_mask:0xf bank_mask:0xf
	v_cndmask_b32_e64 v13, v13, 0, s[4:5]
	v_add_u32_e32 v12, v12, v13
	s_nop 1
	v_mov_b32_dpp v13, v12 row_bcast:31 row_mask:0xf bank_mask:0xf
	v_cndmask_b32_e64 v13, 0, v13, s[2:3]
	v_add_u32_e32 v12, v12, v13
	s_and_saveexec_b64 s[16:17], s[6:7]
	s_cbranch_execz .LBB3588_31
; %bb.30:
	v_lshlrev_b32_e32 v13, 2, v27
	ds_write_b32 v13, v12
.LBB3588_31:
	s_or_b64 exec, exec, s[16:17]
	v_cmp_gt_u32_e32 vcc, 3, v0
	s_waitcnt lgkmcnt(0)
	s_barrier
	s_and_saveexec_b64 s[16:17], vcc
	s_cbranch_execz .LBB3588_33
; %bb.32:
	ds_read_b32 v13, v22
	v_and_b32_e32 v14, 3, v26
	v_cmp_ne_u32_e32 vcc, 0, v14
	s_waitcnt lgkmcnt(0)
	v_mov_b32_dpp v15, v13 row_shr:1 row_mask:0xf bank_mask:0xf
	v_cndmask_b32_e32 v15, 0, v15, vcc
	v_add_u32_e32 v13, v15, v13
	v_cmp_lt_u32_e32 vcc, 1, v14
	s_nop 0
	v_mov_b32_dpp v15, v13 row_shr:2 row_mask:0xf bank_mask:0xf
	v_cndmask_b32_e32 v14, 0, v15, vcc
	v_add_u32_e32 v13, v13, v14
	ds_write_b32 v22, v13
.LBB3588_33:
	s_or_b64 exec, exec, s[16:17]
	v_cmp_gt_u32_e32 vcc, 64, v0
	v_cmp_lt_u32_e64 s[16:17], 63, v0
	s_waitcnt lgkmcnt(0)
	s_barrier
	s_waitcnt lgkmcnt(0)
                                        ; implicit-def: $vgpr29
	s_and_saveexec_b64 s[36:37], s[16:17]
	s_cbranch_execz .LBB3588_35
; %bb.34:
	v_lshl_add_u32 v13, v27, 2, -4
	ds_read_b32 v29, v13
	s_waitcnt lgkmcnt(0)
	v_add_u32_e32 v12, v29, v12
.LBB3588_35:
	s_or_b64 exec, exec, s[36:37]
	v_add_u32_e32 v13, -1, v26
	v_and_b32_e32 v14, 64, v26
	v_cmp_lt_i32_e64 s[16:17], v13, v14
	v_cndmask_b32_e64 v13, v13, v26, s[16:17]
	v_lshlrev_b32_e32 v13, 2, v13
	ds_bpermute_b32 v30, v13, v12
	v_cmp_eq_u32_e64 s[16:17], 0, v26
	s_and_saveexec_b64 s[36:37], vcc
	s_cbranch_execz .LBB3588_54
; %bb.36:
	v_mov_b32_e32 v19, 0
	ds_read_b32 v12, v19 offset:8
	s_and_saveexec_b64 s[38:39], s[16:17]
	s_cbranch_execz .LBB3588_38
; %bb.37:
	s_add_i32 s40, s42, 64
	s_mov_b32 s41, 0
	s_lshl_b64 s[40:41], s[40:41], 3
	s_add_u32 s40, s34, s40
	v_mov_b32_e32 v13, 1
	s_addc_u32 s41, s35, s41
	s_waitcnt lgkmcnt(0)
	global_store_dwordx2 v19, v[12:13], s[40:41]
.LBB3588_38:
	s_or_b64 exec, exec, s[38:39]
	v_xad_u32 v14, v26, -1, s42
	v_add_u32_e32 v18, 64, v14
	v_lshlrev_b64 v[16:17], 3, v[18:19]
	v_mov_b32_e32 v13, s35
	v_add_co_u32_e32 v20, vcc, s34, v16
	v_addc_co_u32_e32 v21, vcc, v13, v17, vcc
	global_load_dwordx2 v[16:17], v[20:21], off glc
	s_waitcnt vmcnt(0)
	v_cmp_eq_u16_sdwa s[40:41], v17, v19 src0_sel:BYTE_0 src1_sel:DWORD
	s_and_saveexec_b64 s[38:39], s[40:41]
	s_cbranch_execz .LBB3588_42
; %bb.39:
	s_mov_b64 s[40:41], 0
	v_mov_b32_e32 v13, 0
.LBB3588_40:                            ; =>This Inner Loop Header: Depth=1
	global_load_dwordx2 v[16:17], v[20:21], off glc
	s_waitcnt vmcnt(0)
	v_cmp_ne_u16_sdwa s[44:45], v17, v13 src0_sel:BYTE_0 src1_sel:DWORD
	s_or_b64 s[40:41], s[44:45], s[40:41]
	s_andn2_b64 exec, exec, s[40:41]
	s_cbranch_execnz .LBB3588_40
; %bb.41:
	s_or_b64 exec, exec, s[40:41]
.LBB3588_42:
	s_or_b64 exec, exec, s[38:39]
	v_and_b32_e32 v32, 63, v26
	v_mov_b32_e32 v31, 2
	v_cmp_ne_u32_e32 vcc, 63, v32
	v_cmp_eq_u16_sdwa s[38:39], v17, v31 src0_sel:BYTE_0 src1_sel:DWORD
	v_lshlrev_b64 v[18:19], v26, -1
	v_addc_co_u32_e32 v20, vcc, 0, v26, vcc
	v_and_b32_e32 v13, s39, v19
	v_lshlrev_b32_e32 v33, 2, v20
	v_or_b32_e32 v13, 0x80000000, v13
	ds_bpermute_b32 v20, v33, v16
	v_and_b32_e32 v15, s38, v18
	v_ffbl_b32_e32 v13, v13
	v_add_u32_e32 v13, 32, v13
	v_ffbl_b32_e32 v15, v15
	v_min_u32_e32 v13, v15, v13
	v_cmp_lt_u32_e32 vcc, v32, v13
	s_waitcnt lgkmcnt(0)
	v_cndmask_b32_e32 v15, 0, v20, vcc
	v_cmp_gt_u32_e32 vcc, 62, v32
	v_add_u32_e32 v15, v15, v16
	v_cndmask_b32_e64 v16, 0, 1, vcc
	v_lshlrev_b32_e32 v16, 1, v16
	v_add_lshl_u32 v34, v16, v26, 2
	ds_bpermute_b32 v16, v34, v15
	v_add_u32_e32 v35, 2, v32
	v_cmp_le_u32_e32 vcc, v35, v13
	v_add_u32_e32 v37, 4, v32
	v_add_u32_e32 v39, 8, v32
	s_waitcnt lgkmcnt(0)
	v_cndmask_b32_e32 v16, 0, v16, vcc
	v_cmp_gt_u32_e32 vcc, 60, v32
	v_add_u32_e32 v15, v15, v16
	v_cndmask_b32_e64 v16, 0, 1, vcc
	v_lshlrev_b32_e32 v16, 2, v16
	v_add_lshl_u32 v36, v16, v26, 2
	ds_bpermute_b32 v16, v36, v15
	v_cmp_le_u32_e32 vcc, v37, v13
	v_add_u32_e32 v41, 16, v32
	v_add_u32_e32 v43, 32, v32
	s_waitcnt lgkmcnt(0)
	v_cndmask_b32_e32 v16, 0, v16, vcc
	v_cmp_gt_u32_e32 vcc, 56, v32
	v_add_u32_e32 v15, v15, v16
	v_cndmask_b32_e64 v16, 0, 1, vcc
	v_lshlrev_b32_e32 v16, 3, v16
	v_add_lshl_u32 v38, v16, v26, 2
	ds_bpermute_b32 v16, v38, v15
	v_cmp_le_u32_e32 vcc, v39, v13
	s_waitcnt lgkmcnt(0)
	v_cndmask_b32_e32 v16, 0, v16, vcc
	v_cmp_gt_u32_e32 vcc, 48, v32
	v_add_u32_e32 v15, v15, v16
	v_cndmask_b32_e64 v16, 0, 1, vcc
	v_lshlrev_b32_e32 v16, 4, v16
	v_add_lshl_u32 v40, v16, v26, 2
	ds_bpermute_b32 v16, v40, v15
	v_cmp_le_u32_e32 vcc, v41, v13
	;; [unrolled: 9-line block ×3, first 2 shown]
	s_waitcnt lgkmcnt(0)
	v_cndmask_b32_e32 v13, 0, v16, vcc
	v_add_u32_e32 v16, v15, v13
	v_mov_b32_e32 v15, 0
	s_branch .LBB3588_44
.LBB3588_43:                            ;   in Loop: Header=BB3588_44 Depth=1
	s_or_b64 exec, exec, s[38:39]
	v_cmp_eq_u16_sdwa s[38:39], v17, v31 src0_sel:BYTE_0 src1_sel:DWORD
	v_and_b32_e32 v20, s39, v19
	v_or_b32_e32 v20, 0x80000000, v20
	ds_bpermute_b32 v44, v33, v16
	v_and_b32_e32 v21, s38, v18
	v_ffbl_b32_e32 v20, v20
	v_add_u32_e32 v20, 32, v20
	v_ffbl_b32_e32 v21, v21
	v_min_u32_e32 v20, v21, v20
	v_cmp_lt_u32_e32 vcc, v32, v20
	s_waitcnt lgkmcnt(0)
	v_cndmask_b32_e32 v21, 0, v44, vcc
	v_add_u32_e32 v16, v21, v16
	ds_bpermute_b32 v21, v34, v16
	v_cmp_le_u32_e32 vcc, v35, v20
	v_subrev_u32_e32 v14, 64, v14
	s_waitcnt lgkmcnt(0)
	v_cndmask_b32_e32 v21, 0, v21, vcc
	v_add_u32_e32 v16, v16, v21
	ds_bpermute_b32 v21, v36, v16
	v_cmp_le_u32_e32 vcc, v37, v20
	s_waitcnt lgkmcnt(0)
	v_cndmask_b32_e32 v21, 0, v21, vcc
	v_add_u32_e32 v16, v16, v21
	ds_bpermute_b32 v21, v38, v16
	v_cmp_le_u32_e32 vcc, v39, v20
	;; [unrolled: 5-line block ×4, first 2 shown]
	s_waitcnt lgkmcnt(0)
	v_cndmask_b32_e32 v20, 0, v21, vcc
	v_add3_u32 v16, v20, v13, v16
.LBB3588_44:                            ; =>This Loop Header: Depth=1
                                        ;     Child Loop BB3588_47 Depth 2
	v_cmp_ne_u16_sdwa s[38:39], v17, v31 src0_sel:BYTE_0 src1_sel:DWORD
	v_cndmask_b32_e64 v13, 0, 1, s[38:39]
	;;#ASMSTART
	;;#ASMEND
	v_cmp_ne_u32_e32 vcc, 0, v13
	s_cmp_lg_u64 vcc, exec
	v_mov_b32_e32 v13, v16
	s_cbranch_scc1 .LBB3588_49
; %bb.45:                               ;   in Loop: Header=BB3588_44 Depth=1
	v_lshlrev_b64 v[16:17], 3, v[14:15]
	v_mov_b32_e32 v21, s35
	v_add_co_u32_e32 v20, vcc, s34, v16
	v_addc_co_u32_e32 v21, vcc, v21, v17, vcc
	global_load_dwordx2 v[16:17], v[20:21], off glc
	s_waitcnt vmcnt(0)
	v_cmp_eq_u16_sdwa s[40:41], v17, v15 src0_sel:BYTE_0 src1_sel:DWORD
	s_and_saveexec_b64 s[38:39], s[40:41]
	s_cbranch_execz .LBB3588_43
; %bb.46:                               ;   in Loop: Header=BB3588_44 Depth=1
	s_mov_b64 s[40:41], 0
.LBB3588_47:                            ;   Parent Loop BB3588_44 Depth=1
                                        ; =>  This Inner Loop Header: Depth=2
	global_load_dwordx2 v[16:17], v[20:21], off glc
	s_waitcnt vmcnt(0)
	v_cmp_ne_u16_sdwa s[44:45], v17, v15 src0_sel:BYTE_0 src1_sel:DWORD
	s_or_b64 s[40:41], s[44:45], s[40:41]
	s_andn2_b64 exec, exec, s[40:41]
	s_cbranch_execnz .LBB3588_47
; %bb.48:                               ;   in Loop: Header=BB3588_44 Depth=1
	s_or_b64 exec, exec, s[40:41]
	s_branch .LBB3588_43
.LBB3588_49:                            ;   in Loop: Header=BB3588_44 Depth=1
                                        ; implicit-def: $vgpr16
                                        ; implicit-def: $vgpr17
	s_cbranch_execz .LBB3588_44
; %bb.50:
	s_and_saveexec_b64 s[38:39], s[16:17]
	s_cbranch_execz .LBB3588_52
; %bb.51:
	s_add_i32 s40, s42, 64
	s_mov_b32 s41, 0
	s_lshl_b64 s[40:41], s[40:41], 3
	s_add_u32 s40, s34, s40
	v_add_u32_e32 v14, v13, v12
	v_mov_b32_e32 v15, 2
	s_addc_u32 s41, s35, s41
	v_mov_b32_e32 v16, 0
	global_store_dwordx2 v16, v[14:15], s[40:41]
	ds_write_b64 v16, v[12:13] offset:6336
.LBB3588_52:
	s_or_b64 exec, exec, s[38:39]
	s_and_b64 exec, exec, s[0:1]
	s_cbranch_execz .LBB3588_54
; %bb.53:
	v_mov_b32_e32 v12, 0
	ds_write_b32 v12, v13 offset:8
.LBB3588_54:
	s_or_b64 exec, exec, s[36:37]
	v_mov_b32_e32 v12, 0
	s_waitcnt lgkmcnt(0)
	s_barrier
	ds_read_b32 v13, v12 offset:8
	v_cndmask_b32_e64 v14, v30, v29, s[16:17]
	v_cndmask_b32_e64 v14, v14, 0, s[0:1]
	s_waitcnt lgkmcnt(0)
	s_barrier
	v_add_u32_e32 v16, v13, v14
	ds_read_b64 v[12:13], v12 offset:6336
	v_add_u32_sdwa v17, v16, v24 dst_sel:DWORD dst_unused:UNUSED_PAD src0_sel:DWORD src1_sel:BYTE_0
	v_add_u32_sdwa v15, v17, v24 dst_sel:DWORD dst_unused:UNUSED_PAD src0_sel:DWORD src1_sel:BYTE_1
	v_add_u32_e32 v14, v15, v25
	s_branch .LBB3588_65
.LBB3588_55:
                                        ; implicit-def: $vgpr13
                                        ; implicit-def: $vgpr14
                                        ; implicit-def: $vgpr15
                                        ; implicit-def: $vgpr17
                                        ; implicit-def: $vgpr16
	s_cbranch_execz .LBB3588_65
; %bb.56:
	s_waitcnt lgkmcnt(0)
	v_mov_b32_dpp v12, v28 row_shr:1 row_mask:0xf bank_mask:0xf
	v_cndmask_b32_e64 v12, v12, 0, s[14:15]
	v_add_u32_e32 v12, v12, v28
	s_nop 1
	v_mov_b32_dpp v13, v12 row_shr:2 row_mask:0xf bank_mask:0xf
	v_cndmask_b32_e64 v13, 0, v13, s[12:13]
	v_add_u32_e32 v12, v12, v13
	s_nop 1
	;; [unrolled: 4-line block ×4, first 2 shown]
	v_mov_b32_dpp v13, v12 row_bcast:15 row_mask:0xf bank_mask:0xf
	v_cndmask_b32_e64 v13, v13, 0, s[4:5]
	v_add_u32_e32 v12, v12, v13
	s_nop 1
	v_mov_b32_dpp v13, v12 row_bcast:31 row_mask:0xf bank_mask:0xf
	v_cndmask_b32_e64 v13, 0, v13, s[2:3]
	v_add_u32_e32 v12, v12, v13
	s_and_saveexec_b64 s[2:3], s[6:7]
	s_cbranch_execz .LBB3588_58
; %bb.57:
	v_lshlrev_b32_e32 v13, 2, v27
	ds_write_b32 v13, v12
.LBB3588_58:
	s_or_b64 exec, exec, s[2:3]
	v_cmp_gt_u32_e32 vcc, 3, v0
	s_waitcnt lgkmcnt(0)
	s_barrier
	s_and_saveexec_b64 s[2:3], vcc
	s_cbranch_execz .LBB3588_60
; %bb.59:
	ds_read_b32 v13, v22
	v_and_b32_e32 v14, 3, v26
	v_cmp_ne_u32_e32 vcc, 0, v14
	s_waitcnt lgkmcnt(0)
	v_mov_b32_dpp v15, v13 row_shr:1 row_mask:0xf bank_mask:0xf
	v_cndmask_b32_e32 v15, 0, v15, vcc
	v_add_u32_e32 v13, v15, v13
	v_cmp_lt_u32_e32 vcc, 1, v14
	s_nop 0
	v_mov_b32_dpp v15, v13 row_shr:2 row_mask:0xf bank_mask:0xf
	v_cndmask_b32_e32 v14, 0, v15, vcc
	v_add_u32_e32 v13, v13, v14
	ds_write_b32 v22, v13
.LBB3588_60:
	s_or_b64 exec, exec, s[2:3]
	v_cmp_lt_u32_e32 vcc, 63, v0
	v_mov_b32_e32 v13, 0
	v_mov_b32_e32 v14, 0
	s_waitcnt lgkmcnt(0)
	s_barrier
	s_and_saveexec_b64 s[2:3], vcc
	s_cbranch_execz .LBB3588_62
; %bb.61:
	v_lshl_add_u32 v14, v27, 2, -4
	ds_read_b32 v14, v14
.LBB3588_62:
	s_or_b64 exec, exec, s[2:3]
	v_add_u32_e32 v15, -1, v26
	v_and_b32_e32 v16, 64, v26
	v_cmp_lt_i32_e32 vcc, v15, v16
	v_cndmask_b32_e32 v15, v15, v26, vcc
	s_waitcnt lgkmcnt(0)
	v_add_u32_e32 v12, v14, v12
	v_lshlrev_b32_e32 v15, 2, v15
	ds_bpermute_b32 v15, v15, v12
	ds_read_b32 v12, v13 offset:8
	s_and_saveexec_b64 s[2:3], s[0:1]
	s_cbranch_execz .LBB3588_64
; %bb.63:
	v_mov_b32_e32 v16, 0
	v_mov_b32_e32 v13, 2
	s_waitcnt lgkmcnt(0)
	global_store_dwordx2 v16, v[12:13], s[34:35] offset:512
.LBB3588_64:
	s_or_b64 exec, exec, s[2:3]
	v_cmp_eq_u32_e32 vcc, 0, v26
	s_waitcnt lgkmcnt(1)
	v_cndmask_b32_e32 v14, v15, v14, vcc
	v_cndmask_b32_e64 v16, v14, 0, s[0:1]
	v_add_u32_sdwa v17, v16, v24 dst_sel:DWORD dst_unused:UNUSED_PAD src0_sel:DWORD src1_sel:BYTE_0
	v_add_u32_sdwa v15, v17, v24 dst_sel:DWORD dst_unused:UNUSED_PAD src0_sel:DWORD src1_sel:BYTE_1
	v_mov_b32_e32 v13, 0
	v_add_u32_e32 v14, v15, v25
	s_waitcnt lgkmcnt(0)
	s_barrier
.LBB3588_65:
	s_waitcnt lgkmcnt(0)
	v_add_u32_e32 v19, v12, v22
	v_sub_u32_e32 v16, v16, v13
	v_and_b32_e32 v21, 1, v24
	v_sub_u32_e32 v20, v19, v16
	v_cmp_eq_u32_e32 vcc, 1, v21
	v_cndmask_b32_e32 v16, v20, v16, vcc
	v_lshlrev_b32_e32 v16, 3, v16
	v_lshrrev_b32_e32 v18, 8, v24
	ds_write_b64 v16, v[6:7]
	v_sub_u32_e32 v6, v17, v13
	v_sub_u32_e32 v7, v19, v6
	v_and_b32_e32 v16, 1, v18
	v_add_u32_e32 v7, 1, v7
	v_cmp_eq_u32_e32 vcc, 1, v16
	v_cndmask_b32_e32 v6, v7, v6, vcc
	v_lshlrev_b32_e32 v6, 3, v6
	ds_write_b64 v6, v[8:9]
	v_sub_u32_e32 v6, v15, v13
	v_mov_b32_e32 v8, 1
	v_sub_u32_e32 v7, v19, v6
	v_and_b32_sdwa v8, v8, v24 dst_sel:DWORD dst_unused:UNUSED_PAD src0_sel:DWORD src1_sel:WORD_1
	v_add_u32_e32 v7, 2, v7
	v_cmp_eq_u32_e32 vcc, 1, v8
	v_cndmask_b32_e32 v6, v7, v6, vcc
	v_lshlrev_b32_e32 v6, 3, v6
	ds_write_b64 v6, v[2:3]
	v_sub_u32_e32 v2, v14, v13
	v_sub_u32_e32 v3, v19, v2
	v_and_b32_e32 v6, 1, v23
	v_add_u32_e32 v3, 3, v3
	v_cmp_eq_u32_e32 vcc, 1, v6
	v_cndmask_b32_e32 v2, v3, v2, vcc
	s_add_u32 s2, s18, s28
	v_lshlrev_b32_e32 v2, 3, v2
	s_addc_u32 s3, s19, 0
	ds_write_b64 v2, v[4:5]
	s_waitcnt lgkmcnt(0)
	s_barrier
	ds_read2st64_b64 v[6:9], v1 offset1:3
	ds_read2st64_b64 v[2:5], v1 offset0:6 offset1:9
	s_waitcnt vmcnt(0)
	v_add_co_u32_e32 v1, vcc, v10, v13
	s_sub_u32 s2, s26, s2
	v_addc_co_u32_e32 v13, vcc, 0, v11, vcc
	s_subb_u32 s3, s27, s3
	v_mov_b32_e32 v10, s3
	v_add_co_u32_e32 v11, vcc, s2, v12
	v_addc_co_u32_e32 v10, vcc, 0, v10, vcc
	v_add_co_u32_e64 v15, s[2:3], v11, v1
	v_add_u32_e32 v18, 0xc0, v0
	v_add_u32_e32 v17, 0x180, v0
	;; [unrolled: 1-line block ×3, first 2 shown]
	s_andn2_b64 vcc, exec, s[30:31]
	v_addc_co_u32_e64 v16, s[2:3], v10, v13, s[2:3]
	s_cbranch_vccnz .LBB3588_86
; %bb.66:
	v_cmp_ge_u32_e32 vcc, v0, v12
                                        ; implicit-def: $vgpr10_vgpr11
	s_and_saveexec_b64 s[2:3], vcc
	s_xor_b64 s[2:3], exec, s[2:3]
; %bb.67:
	v_not_b32_e32 v10, v0
	v_ashrrev_i32_e32 v11, 31, v10
	v_add_co_u32_e32 v10, vcc, v15, v10
	v_addc_co_u32_e32 v11, vcc, v16, v11, vcc
; %bb.68:
	s_andn2_saveexec_b64 s[2:3], s[2:3]
; %bb.69:
	v_add_co_u32_e32 v10, vcc, v1, v0
	v_addc_co_u32_e32 v11, vcc, 0, v13, vcc
; %bb.70:
	s_or_b64 exec, exec, s[2:3]
	v_lshlrev_b64 v[10:11], 3, v[10:11]
	v_mov_b32_e32 v19, s25
	v_add_co_u32_e32 v10, vcc, s24, v10
	v_addc_co_u32_e32 v11, vcc, v19, v11, vcc
	v_cmp_ge_u32_e32 vcc, v18, v12
	s_waitcnt lgkmcnt(1)
	global_store_dwordx2 v[10:11], v[6:7], off
                                        ; implicit-def: $vgpr10_vgpr11
	s_and_saveexec_b64 s[2:3], vcc
	s_xor_b64 s[2:3], exec, s[2:3]
; %bb.71:
	v_sub_u32_e32 v10, 0xffffff3f, v0
	v_ashrrev_i32_e32 v11, 31, v10
	v_add_co_u32_e32 v10, vcc, v15, v10
	v_addc_co_u32_e32 v11, vcc, v16, v11, vcc
; %bb.72:
	s_andn2_saveexec_b64 s[2:3], s[2:3]
; %bb.73:
	v_add_co_u32_e32 v10, vcc, v1, v18
	v_addc_co_u32_e32 v11, vcc, 0, v13, vcc
; %bb.74:
	s_or_b64 exec, exec, s[2:3]
	v_lshlrev_b64 v[10:11], 3, v[10:11]
	v_mov_b32_e32 v19, s25
	v_add_co_u32_e32 v10, vcc, s24, v10
	v_addc_co_u32_e32 v11, vcc, v19, v11, vcc
	v_cmp_ge_u32_e32 vcc, v17, v12
	global_store_dwordx2 v[10:11], v[8:9], off
                                        ; implicit-def: $vgpr10_vgpr11
	s_and_saveexec_b64 s[2:3], vcc
	s_xor_b64 s[2:3], exec, s[2:3]
; %bb.75:
	v_sub_u32_e32 v10, 0xfffffe7f, v0
	v_ashrrev_i32_e32 v11, 31, v10
	v_add_co_u32_e32 v10, vcc, v15, v10
	v_addc_co_u32_e32 v11, vcc, v16, v11, vcc
; %bb.76:
	s_andn2_saveexec_b64 s[2:3], s[2:3]
; %bb.77:
	v_add_co_u32_e32 v10, vcc, v1, v17
	v_addc_co_u32_e32 v11, vcc, 0, v13, vcc
; %bb.78:
	s_or_b64 exec, exec, s[2:3]
	v_lshlrev_b64 v[10:11], 3, v[10:11]
	v_mov_b32_e32 v19, s25
	v_add_co_u32_e32 v10, vcc, s24, v10
	v_addc_co_u32_e32 v11, vcc, v19, v11, vcc
	v_cmp_ge_u32_e32 vcc, v14, v12
	s_waitcnt lgkmcnt(0)
	global_store_dwordx2 v[10:11], v[2:3], off
                                        ; implicit-def: $vgpr10_vgpr11
	s_and_saveexec_b64 s[2:3], vcc
	s_xor_b64 s[2:3], exec, s[2:3]
; %bb.79:
	v_sub_u32_e32 v10, 0xfffffdbf, v0
	v_ashrrev_i32_e32 v11, 31, v10
	v_add_co_u32_e32 v10, vcc, v15, v10
	v_addc_co_u32_e32 v11, vcc, v16, v11, vcc
; %bb.80:
	s_andn2_saveexec_b64 s[2:3], s[2:3]
; %bb.81:
	v_add_co_u32_e32 v10, vcc, v1, v14
	v_addc_co_u32_e32 v11, vcc, 0, v13, vcc
; %bb.82:
	s_or_b64 exec, exec, s[2:3]
	s_mov_b64 s[2:3], -1
.LBB3588_83:
	s_and_saveexec_b64 s[4:5], s[2:3]
	s_cbranch_execz .LBB3588_96
.LBB3588_84:
	s_waitcnt lgkmcnt(0)
	v_lshlrev_b64 v[2:3], 3, v[10:11]
	v_mov_b32_e32 v0, s25
	v_add_co_u32_e32 v2, vcc, s24, v2
	v_addc_co_u32_e32 v3, vcc, v0, v3, vcc
	global_store_dwordx2 v[2:3], v[4:5], off
	s_or_b64 exec, exec, s[4:5]
	s_and_b64 s[0:1], s[0:1], s[22:23]
	s_and_saveexec_b64 s[2:3], s[0:1]
	s_cbranch_execnz .LBB3588_97
.LBB3588_85:
	s_endpgm
.LBB3588_86:
	s_mov_b64 s[2:3], 0
                                        ; implicit-def: $vgpr10_vgpr11
	s_cbranch_execz .LBB3588_83
; %bb.87:
	v_cmp_gt_u32_e32 vcc, s33, v0
	s_and_saveexec_b64 s[4:5], vcc
	s_cbranch_execz .LBB3588_98
; %bb.88:
	v_cmp_ge_u32_e32 vcc, v0, v12
                                        ; implicit-def: $vgpr10_vgpr11
	s_and_saveexec_b64 s[6:7], vcc
	s_xor_b64 s[6:7], exec, s[6:7]
; %bb.89:
	v_not_b32_e32 v10, v0
	v_ashrrev_i32_e32 v11, 31, v10
	v_add_co_u32_e32 v10, vcc, v15, v10
	v_addc_co_u32_e32 v11, vcc, v16, v11, vcc
; %bb.90:
	s_andn2_saveexec_b64 s[6:7], s[6:7]
; %bb.91:
	v_add_co_u32_e32 v10, vcc, v1, v0
	v_addc_co_u32_e32 v11, vcc, 0, v13, vcc
; %bb.92:
	s_or_b64 exec, exec, s[6:7]
	v_lshlrev_b64 v[10:11], 3, v[10:11]
	v_mov_b32_e32 v19, s25
	v_add_co_u32_e32 v10, vcc, s24, v10
	v_addc_co_u32_e32 v11, vcc, v19, v11, vcc
	s_waitcnt lgkmcnt(1)
	global_store_dwordx2 v[10:11], v[6:7], off
	s_or_b64 exec, exec, s[4:5]
	v_cmp_gt_u32_e32 vcc, s33, v18
	s_and_saveexec_b64 s[4:5], vcc
	s_cbranch_execnz .LBB3588_99
.LBB3588_93:
	s_or_b64 exec, exec, s[4:5]
	v_cmp_gt_u32_e32 vcc, s33, v17
	s_and_saveexec_b64 s[4:5], vcc
	s_cbranch_execnz .LBB3588_104
.LBB3588_94:
	s_or_b64 exec, exec, s[4:5]
	v_cmp_gt_u32_e32 vcc, s33, v14
                                        ; implicit-def: $vgpr10_vgpr11
	s_and_saveexec_b64 s[4:5], vcc
	s_cbranch_execnz .LBB3588_109
.LBB3588_95:
	s_or_b64 exec, exec, s[4:5]
	s_and_saveexec_b64 s[4:5], s[2:3]
	s_cbranch_execnz .LBB3588_84
.LBB3588_96:
	s_or_b64 exec, exec, s[4:5]
	s_and_b64 s[0:1], s[0:1], s[22:23]
	s_and_saveexec_b64 s[2:3], s[0:1]
	s_cbranch_execz .LBB3588_85
.LBB3588_97:
	v_add_co_u32_e32 v0, vcc, v1, v12
	s_waitcnt lgkmcnt(0)
	v_mov_b32_e32 v2, 0
	v_addc_co_u32_e32 v1, vcc, 0, v13, vcc
	global_store_dwordx2 v2, v[0:1], s[20:21]
	s_endpgm
.LBB3588_98:
	s_or_b64 exec, exec, s[4:5]
	v_cmp_gt_u32_e32 vcc, s33, v18
	s_and_saveexec_b64 s[4:5], vcc
	s_cbranch_execz .LBB3588_93
.LBB3588_99:
	v_cmp_ge_u32_e32 vcc, v18, v12
                                        ; implicit-def: $vgpr6_vgpr7
	s_and_saveexec_b64 s[6:7], vcc
	s_xor_b64 s[6:7], exec, s[6:7]
	s_cbranch_execz .LBB3588_101
; %bb.100:
	s_waitcnt lgkmcnt(1)
	v_sub_u32_e32 v6, 0xffffff3f, v0
	v_ashrrev_i32_e32 v7, 31, v6
	v_add_co_u32_e32 v6, vcc, v15, v6
	v_addc_co_u32_e32 v7, vcc, v16, v7, vcc
                                        ; implicit-def: $vgpr18
.LBB3588_101:
	s_andn2_saveexec_b64 s[6:7], s[6:7]
	s_cbranch_execz .LBB3588_103
; %bb.102:
	s_waitcnt lgkmcnt(1)
	v_add_co_u32_e32 v6, vcc, v1, v18
	v_addc_co_u32_e32 v7, vcc, 0, v13, vcc
.LBB3588_103:
	s_or_b64 exec, exec, s[6:7]
	s_waitcnt lgkmcnt(1)
	v_lshlrev_b64 v[6:7], 3, v[6:7]
	v_mov_b32_e32 v10, s25
	v_add_co_u32_e32 v6, vcc, s24, v6
	v_addc_co_u32_e32 v7, vcc, v10, v7, vcc
	global_store_dwordx2 v[6:7], v[8:9], off
	s_or_b64 exec, exec, s[4:5]
	v_cmp_gt_u32_e32 vcc, s33, v17
	s_and_saveexec_b64 s[4:5], vcc
	s_cbranch_execz .LBB3588_94
.LBB3588_104:
	v_cmp_ge_u32_e32 vcc, v17, v12
                                        ; implicit-def: $vgpr6_vgpr7
	s_and_saveexec_b64 s[6:7], vcc
	s_xor_b64 s[6:7], exec, s[6:7]
	s_cbranch_execz .LBB3588_106
; %bb.105:
	s_waitcnt lgkmcnt(1)
	v_sub_u32_e32 v6, 0xfffffe7f, v0
	v_ashrrev_i32_e32 v7, 31, v6
	v_add_co_u32_e32 v6, vcc, v15, v6
	v_addc_co_u32_e32 v7, vcc, v16, v7, vcc
                                        ; implicit-def: $vgpr17
.LBB3588_106:
	s_andn2_saveexec_b64 s[6:7], s[6:7]
	s_cbranch_execz .LBB3588_108
; %bb.107:
	s_waitcnt lgkmcnt(1)
	v_add_co_u32_e32 v6, vcc, v1, v17
	v_addc_co_u32_e32 v7, vcc, 0, v13, vcc
.LBB3588_108:
	s_or_b64 exec, exec, s[6:7]
	s_waitcnt lgkmcnt(1)
	v_lshlrev_b64 v[6:7], 3, v[6:7]
	v_mov_b32_e32 v8, s25
	v_add_co_u32_e32 v6, vcc, s24, v6
	v_addc_co_u32_e32 v7, vcc, v8, v7, vcc
	s_waitcnt lgkmcnt(0)
	global_store_dwordx2 v[6:7], v[2:3], off
	s_or_b64 exec, exec, s[4:5]
	v_cmp_gt_u32_e32 vcc, s33, v14
                                        ; implicit-def: $vgpr10_vgpr11
	s_and_saveexec_b64 s[4:5], vcc
	s_cbranch_execz .LBB3588_95
.LBB3588_109:
	v_cmp_ge_u32_e32 vcc, v14, v12
                                        ; implicit-def: $vgpr10_vgpr11
	s_and_saveexec_b64 s[6:7], vcc
	s_xor_b64 s[6:7], exec, s[6:7]
	s_cbranch_execz .LBB3588_111
; %bb.110:
	v_sub_u32_e32 v0, 0xfffffdbf, v0
	s_waitcnt lgkmcnt(0)
	v_ashrrev_i32_e32 v2, 31, v0
	v_add_co_u32_e32 v10, vcc, v15, v0
	v_addc_co_u32_e32 v11, vcc, v16, v2, vcc
                                        ; implicit-def: $vgpr14
.LBB3588_111:
	s_andn2_saveexec_b64 s[6:7], s[6:7]
; %bb.112:
	v_add_co_u32_e32 v10, vcc, v1, v14
	v_addc_co_u32_e32 v11, vcc, 0, v13, vcc
; %bb.113:
	s_or_b64 exec, exec, s[6:7]
	s_or_b64 s[2:3], s[2:3], exec
	s_or_b64 exec, exec, s[4:5]
	s_and_saveexec_b64 s[4:5], s[2:3]
	s_cbranch_execnz .LBB3588_84
	s_branch .LBB3588_96
	.section	.rodata,"a",@progbits
	.p2align	6, 0x0
	.amdhsa_kernel _ZN7rocprim17ROCPRIM_400000_NS6detail17trampoline_kernelINS0_14default_configENS1_25partition_config_selectorILNS1_17partition_subalgoE2ExNS0_10empty_typeEbEEZZNS1_14partition_implILS5_2ELb0ES3_jN6thrust23THRUST_200600_302600_NS6detail15normal_iteratorINSA_7pointerIxNSA_11hip_rocprim3tagENSA_11use_defaultESG_EEEEPS6_NSA_18transform_iteratorI10is_orderedNSA_12zip_iteratorINSA_5tupleINSC_INSA_10device_ptrIxEEEESQ_NSA_9null_typeESR_SR_SR_SR_SR_SR_SR_EEEESG_SG_EENS0_5tupleIJPxSJ_EEENSV_IJSJ_SJ_EEES6_PlJS6_EEE10hipError_tPvRmT3_T4_T5_T6_T7_T9_mT8_P12ihipStream_tbDpT10_ENKUlT_T0_E_clISt17integral_constantIbLb0EES1I_IbLb1EEEEDaS1E_S1F_EUlS1E_E_NS1_11comp_targetILNS1_3genE4ELNS1_11target_archE910ELNS1_3gpuE8ELNS1_3repE0EEENS1_30default_config_static_selectorELNS0_4arch9wavefront6targetE1EEEvT1_
		.amdhsa_group_segment_fixed_size 6344
		.amdhsa_private_segment_fixed_size 0
		.amdhsa_kernarg_size 152
		.amdhsa_user_sgpr_count 6
		.amdhsa_user_sgpr_private_segment_buffer 1
		.amdhsa_user_sgpr_dispatch_ptr 0
		.amdhsa_user_sgpr_queue_ptr 0
		.amdhsa_user_sgpr_kernarg_segment_ptr 1
		.amdhsa_user_sgpr_dispatch_id 0
		.amdhsa_user_sgpr_flat_scratch_init 0
		.amdhsa_user_sgpr_kernarg_preload_length 0
		.amdhsa_user_sgpr_kernarg_preload_offset 0
		.amdhsa_user_sgpr_private_segment_size 0
		.amdhsa_uses_dynamic_stack 0
		.amdhsa_system_sgpr_private_segment_wavefront_offset 0
		.amdhsa_system_sgpr_workgroup_id_x 1
		.amdhsa_system_sgpr_workgroup_id_y 0
		.amdhsa_system_sgpr_workgroup_id_z 0
		.amdhsa_system_sgpr_workgroup_info 0
		.amdhsa_system_vgpr_workitem_id 0
		.amdhsa_next_free_vgpr 45
		.amdhsa_next_free_sgpr 46
		.amdhsa_accum_offset 48
		.amdhsa_reserve_vcc 1
		.amdhsa_reserve_flat_scratch 0
		.amdhsa_float_round_mode_32 0
		.amdhsa_float_round_mode_16_64 0
		.amdhsa_float_denorm_mode_32 3
		.amdhsa_float_denorm_mode_16_64 3
		.amdhsa_dx10_clamp 1
		.amdhsa_ieee_mode 1
		.amdhsa_fp16_overflow 0
		.amdhsa_tg_split 0
		.amdhsa_exception_fp_ieee_invalid_op 0
		.amdhsa_exception_fp_denorm_src 0
		.amdhsa_exception_fp_ieee_div_zero 0
		.amdhsa_exception_fp_ieee_overflow 0
		.amdhsa_exception_fp_ieee_underflow 0
		.amdhsa_exception_fp_ieee_inexact 0
		.amdhsa_exception_int_div_zero 0
	.end_amdhsa_kernel
	.section	.text._ZN7rocprim17ROCPRIM_400000_NS6detail17trampoline_kernelINS0_14default_configENS1_25partition_config_selectorILNS1_17partition_subalgoE2ExNS0_10empty_typeEbEEZZNS1_14partition_implILS5_2ELb0ES3_jN6thrust23THRUST_200600_302600_NS6detail15normal_iteratorINSA_7pointerIxNSA_11hip_rocprim3tagENSA_11use_defaultESG_EEEEPS6_NSA_18transform_iteratorI10is_orderedNSA_12zip_iteratorINSA_5tupleINSC_INSA_10device_ptrIxEEEESQ_NSA_9null_typeESR_SR_SR_SR_SR_SR_SR_EEEESG_SG_EENS0_5tupleIJPxSJ_EEENSV_IJSJ_SJ_EEES6_PlJS6_EEE10hipError_tPvRmT3_T4_T5_T6_T7_T9_mT8_P12ihipStream_tbDpT10_ENKUlT_T0_E_clISt17integral_constantIbLb0EES1I_IbLb1EEEEDaS1E_S1F_EUlS1E_E_NS1_11comp_targetILNS1_3genE4ELNS1_11target_archE910ELNS1_3gpuE8ELNS1_3repE0EEENS1_30default_config_static_selectorELNS0_4arch9wavefront6targetE1EEEvT1_,"axG",@progbits,_ZN7rocprim17ROCPRIM_400000_NS6detail17trampoline_kernelINS0_14default_configENS1_25partition_config_selectorILNS1_17partition_subalgoE2ExNS0_10empty_typeEbEEZZNS1_14partition_implILS5_2ELb0ES3_jN6thrust23THRUST_200600_302600_NS6detail15normal_iteratorINSA_7pointerIxNSA_11hip_rocprim3tagENSA_11use_defaultESG_EEEEPS6_NSA_18transform_iteratorI10is_orderedNSA_12zip_iteratorINSA_5tupleINSC_INSA_10device_ptrIxEEEESQ_NSA_9null_typeESR_SR_SR_SR_SR_SR_SR_EEEESG_SG_EENS0_5tupleIJPxSJ_EEENSV_IJSJ_SJ_EEES6_PlJS6_EEE10hipError_tPvRmT3_T4_T5_T6_T7_T9_mT8_P12ihipStream_tbDpT10_ENKUlT_T0_E_clISt17integral_constantIbLb0EES1I_IbLb1EEEEDaS1E_S1F_EUlS1E_E_NS1_11comp_targetILNS1_3genE4ELNS1_11target_archE910ELNS1_3gpuE8ELNS1_3repE0EEENS1_30default_config_static_selectorELNS0_4arch9wavefront6targetE1EEEvT1_,comdat
.Lfunc_end3588:
	.size	_ZN7rocprim17ROCPRIM_400000_NS6detail17trampoline_kernelINS0_14default_configENS1_25partition_config_selectorILNS1_17partition_subalgoE2ExNS0_10empty_typeEbEEZZNS1_14partition_implILS5_2ELb0ES3_jN6thrust23THRUST_200600_302600_NS6detail15normal_iteratorINSA_7pointerIxNSA_11hip_rocprim3tagENSA_11use_defaultESG_EEEEPS6_NSA_18transform_iteratorI10is_orderedNSA_12zip_iteratorINSA_5tupleINSC_INSA_10device_ptrIxEEEESQ_NSA_9null_typeESR_SR_SR_SR_SR_SR_SR_EEEESG_SG_EENS0_5tupleIJPxSJ_EEENSV_IJSJ_SJ_EEES6_PlJS6_EEE10hipError_tPvRmT3_T4_T5_T6_T7_T9_mT8_P12ihipStream_tbDpT10_ENKUlT_T0_E_clISt17integral_constantIbLb0EES1I_IbLb1EEEEDaS1E_S1F_EUlS1E_E_NS1_11comp_targetILNS1_3genE4ELNS1_11target_archE910ELNS1_3gpuE8ELNS1_3repE0EEENS1_30default_config_static_selectorELNS0_4arch9wavefront6targetE1EEEvT1_, .Lfunc_end3588-_ZN7rocprim17ROCPRIM_400000_NS6detail17trampoline_kernelINS0_14default_configENS1_25partition_config_selectorILNS1_17partition_subalgoE2ExNS0_10empty_typeEbEEZZNS1_14partition_implILS5_2ELb0ES3_jN6thrust23THRUST_200600_302600_NS6detail15normal_iteratorINSA_7pointerIxNSA_11hip_rocprim3tagENSA_11use_defaultESG_EEEEPS6_NSA_18transform_iteratorI10is_orderedNSA_12zip_iteratorINSA_5tupleINSC_INSA_10device_ptrIxEEEESQ_NSA_9null_typeESR_SR_SR_SR_SR_SR_SR_EEEESG_SG_EENS0_5tupleIJPxSJ_EEENSV_IJSJ_SJ_EEES6_PlJS6_EEE10hipError_tPvRmT3_T4_T5_T6_T7_T9_mT8_P12ihipStream_tbDpT10_ENKUlT_T0_E_clISt17integral_constantIbLb0EES1I_IbLb1EEEEDaS1E_S1F_EUlS1E_E_NS1_11comp_targetILNS1_3genE4ELNS1_11target_archE910ELNS1_3gpuE8ELNS1_3repE0EEENS1_30default_config_static_selectorELNS0_4arch9wavefront6targetE1EEEvT1_
                                        ; -- End function
	.section	.AMDGPU.csdata,"",@progbits
; Kernel info:
; codeLenInByte = 4616
; NumSgprs: 50
; NumVgprs: 45
; NumAgprs: 0
; TotalNumVgprs: 45
; ScratchSize: 0
; MemoryBound: 0
; FloatMode: 240
; IeeeMode: 1
; LDSByteSize: 6344 bytes/workgroup (compile time only)
; SGPRBlocks: 6
; VGPRBlocks: 5
; NumSGPRsForWavesPerEU: 50
; NumVGPRsForWavesPerEU: 45
; AccumOffset: 48
; Occupancy: 8
; WaveLimiterHint : 1
; COMPUTE_PGM_RSRC2:SCRATCH_EN: 0
; COMPUTE_PGM_RSRC2:USER_SGPR: 6
; COMPUTE_PGM_RSRC2:TRAP_HANDLER: 0
; COMPUTE_PGM_RSRC2:TGID_X_EN: 1
; COMPUTE_PGM_RSRC2:TGID_Y_EN: 0
; COMPUTE_PGM_RSRC2:TGID_Z_EN: 0
; COMPUTE_PGM_RSRC2:TIDIG_COMP_CNT: 0
; COMPUTE_PGM_RSRC3_GFX90A:ACCUM_OFFSET: 11
; COMPUTE_PGM_RSRC3_GFX90A:TG_SPLIT: 0
	.section	.text._ZN7rocprim17ROCPRIM_400000_NS6detail17trampoline_kernelINS0_14default_configENS1_25partition_config_selectorILNS1_17partition_subalgoE2ExNS0_10empty_typeEbEEZZNS1_14partition_implILS5_2ELb0ES3_jN6thrust23THRUST_200600_302600_NS6detail15normal_iteratorINSA_7pointerIxNSA_11hip_rocprim3tagENSA_11use_defaultESG_EEEEPS6_NSA_18transform_iteratorI10is_orderedNSA_12zip_iteratorINSA_5tupleINSC_INSA_10device_ptrIxEEEESQ_NSA_9null_typeESR_SR_SR_SR_SR_SR_SR_EEEESG_SG_EENS0_5tupleIJPxSJ_EEENSV_IJSJ_SJ_EEES6_PlJS6_EEE10hipError_tPvRmT3_T4_T5_T6_T7_T9_mT8_P12ihipStream_tbDpT10_ENKUlT_T0_E_clISt17integral_constantIbLb0EES1I_IbLb1EEEEDaS1E_S1F_EUlS1E_E_NS1_11comp_targetILNS1_3genE3ELNS1_11target_archE908ELNS1_3gpuE7ELNS1_3repE0EEENS1_30default_config_static_selectorELNS0_4arch9wavefront6targetE1EEEvT1_,"axG",@progbits,_ZN7rocprim17ROCPRIM_400000_NS6detail17trampoline_kernelINS0_14default_configENS1_25partition_config_selectorILNS1_17partition_subalgoE2ExNS0_10empty_typeEbEEZZNS1_14partition_implILS5_2ELb0ES3_jN6thrust23THRUST_200600_302600_NS6detail15normal_iteratorINSA_7pointerIxNSA_11hip_rocprim3tagENSA_11use_defaultESG_EEEEPS6_NSA_18transform_iteratorI10is_orderedNSA_12zip_iteratorINSA_5tupleINSC_INSA_10device_ptrIxEEEESQ_NSA_9null_typeESR_SR_SR_SR_SR_SR_SR_EEEESG_SG_EENS0_5tupleIJPxSJ_EEENSV_IJSJ_SJ_EEES6_PlJS6_EEE10hipError_tPvRmT3_T4_T5_T6_T7_T9_mT8_P12ihipStream_tbDpT10_ENKUlT_T0_E_clISt17integral_constantIbLb0EES1I_IbLb1EEEEDaS1E_S1F_EUlS1E_E_NS1_11comp_targetILNS1_3genE3ELNS1_11target_archE908ELNS1_3gpuE7ELNS1_3repE0EEENS1_30default_config_static_selectorELNS0_4arch9wavefront6targetE1EEEvT1_,comdat
	.protected	_ZN7rocprim17ROCPRIM_400000_NS6detail17trampoline_kernelINS0_14default_configENS1_25partition_config_selectorILNS1_17partition_subalgoE2ExNS0_10empty_typeEbEEZZNS1_14partition_implILS5_2ELb0ES3_jN6thrust23THRUST_200600_302600_NS6detail15normal_iteratorINSA_7pointerIxNSA_11hip_rocprim3tagENSA_11use_defaultESG_EEEEPS6_NSA_18transform_iteratorI10is_orderedNSA_12zip_iteratorINSA_5tupleINSC_INSA_10device_ptrIxEEEESQ_NSA_9null_typeESR_SR_SR_SR_SR_SR_SR_EEEESG_SG_EENS0_5tupleIJPxSJ_EEENSV_IJSJ_SJ_EEES6_PlJS6_EEE10hipError_tPvRmT3_T4_T5_T6_T7_T9_mT8_P12ihipStream_tbDpT10_ENKUlT_T0_E_clISt17integral_constantIbLb0EES1I_IbLb1EEEEDaS1E_S1F_EUlS1E_E_NS1_11comp_targetILNS1_3genE3ELNS1_11target_archE908ELNS1_3gpuE7ELNS1_3repE0EEENS1_30default_config_static_selectorELNS0_4arch9wavefront6targetE1EEEvT1_ ; -- Begin function _ZN7rocprim17ROCPRIM_400000_NS6detail17trampoline_kernelINS0_14default_configENS1_25partition_config_selectorILNS1_17partition_subalgoE2ExNS0_10empty_typeEbEEZZNS1_14partition_implILS5_2ELb0ES3_jN6thrust23THRUST_200600_302600_NS6detail15normal_iteratorINSA_7pointerIxNSA_11hip_rocprim3tagENSA_11use_defaultESG_EEEEPS6_NSA_18transform_iteratorI10is_orderedNSA_12zip_iteratorINSA_5tupleINSC_INSA_10device_ptrIxEEEESQ_NSA_9null_typeESR_SR_SR_SR_SR_SR_SR_EEEESG_SG_EENS0_5tupleIJPxSJ_EEENSV_IJSJ_SJ_EEES6_PlJS6_EEE10hipError_tPvRmT3_T4_T5_T6_T7_T9_mT8_P12ihipStream_tbDpT10_ENKUlT_T0_E_clISt17integral_constantIbLb0EES1I_IbLb1EEEEDaS1E_S1F_EUlS1E_E_NS1_11comp_targetILNS1_3genE3ELNS1_11target_archE908ELNS1_3gpuE7ELNS1_3repE0EEENS1_30default_config_static_selectorELNS0_4arch9wavefront6targetE1EEEvT1_
	.globl	_ZN7rocprim17ROCPRIM_400000_NS6detail17trampoline_kernelINS0_14default_configENS1_25partition_config_selectorILNS1_17partition_subalgoE2ExNS0_10empty_typeEbEEZZNS1_14partition_implILS5_2ELb0ES3_jN6thrust23THRUST_200600_302600_NS6detail15normal_iteratorINSA_7pointerIxNSA_11hip_rocprim3tagENSA_11use_defaultESG_EEEEPS6_NSA_18transform_iteratorI10is_orderedNSA_12zip_iteratorINSA_5tupleINSC_INSA_10device_ptrIxEEEESQ_NSA_9null_typeESR_SR_SR_SR_SR_SR_SR_EEEESG_SG_EENS0_5tupleIJPxSJ_EEENSV_IJSJ_SJ_EEES6_PlJS6_EEE10hipError_tPvRmT3_T4_T5_T6_T7_T9_mT8_P12ihipStream_tbDpT10_ENKUlT_T0_E_clISt17integral_constantIbLb0EES1I_IbLb1EEEEDaS1E_S1F_EUlS1E_E_NS1_11comp_targetILNS1_3genE3ELNS1_11target_archE908ELNS1_3gpuE7ELNS1_3repE0EEENS1_30default_config_static_selectorELNS0_4arch9wavefront6targetE1EEEvT1_
	.p2align	8
	.type	_ZN7rocprim17ROCPRIM_400000_NS6detail17trampoline_kernelINS0_14default_configENS1_25partition_config_selectorILNS1_17partition_subalgoE2ExNS0_10empty_typeEbEEZZNS1_14partition_implILS5_2ELb0ES3_jN6thrust23THRUST_200600_302600_NS6detail15normal_iteratorINSA_7pointerIxNSA_11hip_rocprim3tagENSA_11use_defaultESG_EEEEPS6_NSA_18transform_iteratorI10is_orderedNSA_12zip_iteratorINSA_5tupleINSC_INSA_10device_ptrIxEEEESQ_NSA_9null_typeESR_SR_SR_SR_SR_SR_SR_EEEESG_SG_EENS0_5tupleIJPxSJ_EEENSV_IJSJ_SJ_EEES6_PlJS6_EEE10hipError_tPvRmT3_T4_T5_T6_T7_T9_mT8_P12ihipStream_tbDpT10_ENKUlT_T0_E_clISt17integral_constantIbLb0EES1I_IbLb1EEEEDaS1E_S1F_EUlS1E_E_NS1_11comp_targetILNS1_3genE3ELNS1_11target_archE908ELNS1_3gpuE7ELNS1_3repE0EEENS1_30default_config_static_selectorELNS0_4arch9wavefront6targetE1EEEvT1_,@function
_ZN7rocprim17ROCPRIM_400000_NS6detail17trampoline_kernelINS0_14default_configENS1_25partition_config_selectorILNS1_17partition_subalgoE2ExNS0_10empty_typeEbEEZZNS1_14partition_implILS5_2ELb0ES3_jN6thrust23THRUST_200600_302600_NS6detail15normal_iteratorINSA_7pointerIxNSA_11hip_rocprim3tagENSA_11use_defaultESG_EEEEPS6_NSA_18transform_iteratorI10is_orderedNSA_12zip_iteratorINSA_5tupleINSC_INSA_10device_ptrIxEEEESQ_NSA_9null_typeESR_SR_SR_SR_SR_SR_SR_EEEESG_SG_EENS0_5tupleIJPxSJ_EEENSV_IJSJ_SJ_EEES6_PlJS6_EEE10hipError_tPvRmT3_T4_T5_T6_T7_T9_mT8_P12ihipStream_tbDpT10_ENKUlT_T0_E_clISt17integral_constantIbLb0EES1I_IbLb1EEEEDaS1E_S1F_EUlS1E_E_NS1_11comp_targetILNS1_3genE3ELNS1_11target_archE908ELNS1_3gpuE7ELNS1_3repE0EEENS1_30default_config_static_selectorELNS0_4arch9wavefront6targetE1EEEvT1_: ; @_ZN7rocprim17ROCPRIM_400000_NS6detail17trampoline_kernelINS0_14default_configENS1_25partition_config_selectorILNS1_17partition_subalgoE2ExNS0_10empty_typeEbEEZZNS1_14partition_implILS5_2ELb0ES3_jN6thrust23THRUST_200600_302600_NS6detail15normal_iteratorINSA_7pointerIxNSA_11hip_rocprim3tagENSA_11use_defaultESG_EEEEPS6_NSA_18transform_iteratorI10is_orderedNSA_12zip_iteratorINSA_5tupleINSC_INSA_10device_ptrIxEEEESQ_NSA_9null_typeESR_SR_SR_SR_SR_SR_SR_EEEESG_SG_EENS0_5tupleIJPxSJ_EEENSV_IJSJ_SJ_EEES6_PlJS6_EEE10hipError_tPvRmT3_T4_T5_T6_T7_T9_mT8_P12ihipStream_tbDpT10_ENKUlT_T0_E_clISt17integral_constantIbLb0EES1I_IbLb1EEEEDaS1E_S1F_EUlS1E_E_NS1_11comp_targetILNS1_3genE3ELNS1_11target_archE908ELNS1_3gpuE7ELNS1_3repE0EEENS1_30default_config_static_selectorELNS0_4arch9wavefront6targetE1EEEvT1_
; %bb.0:
	.section	.rodata,"a",@progbits
	.p2align	6, 0x0
	.amdhsa_kernel _ZN7rocprim17ROCPRIM_400000_NS6detail17trampoline_kernelINS0_14default_configENS1_25partition_config_selectorILNS1_17partition_subalgoE2ExNS0_10empty_typeEbEEZZNS1_14partition_implILS5_2ELb0ES3_jN6thrust23THRUST_200600_302600_NS6detail15normal_iteratorINSA_7pointerIxNSA_11hip_rocprim3tagENSA_11use_defaultESG_EEEEPS6_NSA_18transform_iteratorI10is_orderedNSA_12zip_iteratorINSA_5tupleINSC_INSA_10device_ptrIxEEEESQ_NSA_9null_typeESR_SR_SR_SR_SR_SR_SR_EEEESG_SG_EENS0_5tupleIJPxSJ_EEENSV_IJSJ_SJ_EEES6_PlJS6_EEE10hipError_tPvRmT3_T4_T5_T6_T7_T9_mT8_P12ihipStream_tbDpT10_ENKUlT_T0_E_clISt17integral_constantIbLb0EES1I_IbLb1EEEEDaS1E_S1F_EUlS1E_E_NS1_11comp_targetILNS1_3genE3ELNS1_11target_archE908ELNS1_3gpuE7ELNS1_3repE0EEENS1_30default_config_static_selectorELNS0_4arch9wavefront6targetE1EEEvT1_
		.amdhsa_group_segment_fixed_size 0
		.amdhsa_private_segment_fixed_size 0
		.amdhsa_kernarg_size 152
		.amdhsa_user_sgpr_count 6
		.amdhsa_user_sgpr_private_segment_buffer 1
		.amdhsa_user_sgpr_dispatch_ptr 0
		.amdhsa_user_sgpr_queue_ptr 0
		.amdhsa_user_sgpr_kernarg_segment_ptr 1
		.amdhsa_user_sgpr_dispatch_id 0
		.amdhsa_user_sgpr_flat_scratch_init 0
		.amdhsa_user_sgpr_kernarg_preload_length 0
		.amdhsa_user_sgpr_kernarg_preload_offset 0
		.amdhsa_user_sgpr_private_segment_size 0
		.amdhsa_uses_dynamic_stack 0
		.amdhsa_system_sgpr_private_segment_wavefront_offset 0
		.amdhsa_system_sgpr_workgroup_id_x 1
		.amdhsa_system_sgpr_workgroup_id_y 0
		.amdhsa_system_sgpr_workgroup_id_z 0
		.amdhsa_system_sgpr_workgroup_info 0
		.amdhsa_system_vgpr_workitem_id 0
		.amdhsa_next_free_vgpr 1
		.amdhsa_next_free_sgpr 0
		.amdhsa_accum_offset 4
		.amdhsa_reserve_vcc 0
		.amdhsa_reserve_flat_scratch 0
		.amdhsa_float_round_mode_32 0
		.amdhsa_float_round_mode_16_64 0
		.amdhsa_float_denorm_mode_32 3
		.amdhsa_float_denorm_mode_16_64 3
		.amdhsa_dx10_clamp 1
		.amdhsa_ieee_mode 1
		.amdhsa_fp16_overflow 0
		.amdhsa_tg_split 0
		.amdhsa_exception_fp_ieee_invalid_op 0
		.amdhsa_exception_fp_denorm_src 0
		.amdhsa_exception_fp_ieee_div_zero 0
		.amdhsa_exception_fp_ieee_overflow 0
		.amdhsa_exception_fp_ieee_underflow 0
		.amdhsa_exception_fp_ieee_inexact 0
		.amdhsa_exception_int_div_zero 0
	.end_amdhsa_kernel
	.section	.text._ZN7rocprim17ROCPRIM_400000_NS6detail17trampoline_kernelINS0_14default_configENS1_25partition_config_selectorILNS1_17partition_subalgoE2ExNS0_10empty_typeEbEEZZNS1_14partition_implILS5_2ELb0ES3_jN6thrust23THRUST_200600_302600_NS6detail15normal_iteratorINSA_7pointerIxNSA_11hip_rocprim3tagENSA_11use_defaultESG_EEEEPS6_NSA_18transform_iteratorI10is_orderedNSA_12zip_iteratorINSA_5tupleINSC_INSA_10device_ptrIxEEEESQ_NSA_9null_typeESR_SR_SR_SR_SR_SR_SR_EEEESG_SG_EENS0_5tupleIJPxSJ_EEENSV_IJSJ_SJ_EEES6_PlJS6_EEE10hipError_tPvRmT3_T4_T5_T6_T7_T9_mT8_P12ihipStream_tbDpT10_ENKUlT_T0_E_clISt17integral_constantIbLb0EES1I_IbLb1EEEEDaS1E_S1F_EUlS1E_E_NS1_11comp_targetILNS1_3genE3ELNS1_11target_archE908ELNS1_3gpuE7ELNS1_3repE0EEENS1_30default_config_static_selectorELNS0_4arch9wavefront6targetE1EEEvT1_,"axG",@progbits,_ZN7rocprim17ROCPRIM_400000_NS6detail17trampoline_kernelINS0_14default_configENS1_25partition_config_selectorILNS1_17partition_subalgoE2ExNS0_10empty_typeEbEEZZNS1_14partition_implILS5_2ELb0ES3_jN6thrust23THRUST_200600_302600_NS6detail15normal_iteratorINSA_7pointerIxNSA_11hip_rocprim3tagENSA_11use_defaultESG_EEEEPS6_NSA_18transform_iteratorI10is_orderedNSA_12zip_iteratorINSA_5tupleINSC_INSA_10device_ptrIxEEEESQ_NSA_9null_typeESR_SR_SR_SR_SR_SR_SR_EEEESG_SG_EENS0_5tupleIJPxSJ_EEENSV_IJSJ_SJ_EEES6_PlJS6_EEE10hipError_tPvRmT3_T4_T5_T6_T7_T9_mT8_P12ihipStream_tbDpT10_ENKUlT_T0_E_clISt17integral_constantIbLb0EES1I_IbLb1EEEEDaS1E_S1F_EUlS1E_E_NS1_11comp_targetILNS1_3genE3ELNS1_11target_archE908ELNS1_3gpuE7ELNS1_3repE0EEENS1_30default_config_static_selectorELNS0_4arch9wavefront6targetE1EEEvT1_,comdat
.Lfunc_end3589:
	.size	_ZN7rocprim17ROCPRIM_400000_NS6detail17trampoline_kernelINS0_14default_configENS1_25partition_config_selectorILNS1_17partition_subalgoE2ExNS0_10empty_typeEbEEZZNS1_14partition_implILS5_2ELb0ES3_jN6thrust23THRUST_200600_302600_NS6detail15normal_iteratorINSA_7pointerIxNSA_11hip_rocprim3tagENSA_11use_defaultESG_EEEEPS6_NSA_18transform_iteratorI10is_orderedNSA_12zip_iteratorINSA_5tupleINSC_INSA_10device_ptrIxEEEESQ_NSA_9null_typeESR_SR_SR_SR_SR_SR_SR_EEEESG_SG_EENS0_5tupleIJPxSJ_EEENSV_IJSJ_SJ_EEES6_PlJS6_EEE10hipError_tPvRmT3_T4_T5_T6_T7_T9_mT8_P12ihipStream_tbDpT10_ENKUlT_T0_E_clISt17integral_constantIbLb0EES1I_IbLb1EEEEDaS1E_S1F_EUlS1E_E_NS1_11comp_targetILNS1_3genE3ELNS1_11target_archE908ELNS1_3gpuE7ELNS1_3repE0EEENS1_30default_config_static_selectorELNS0_4arch9wavefront6targetE1EEEvT1_, .Lfunc_end3589-_ZN7rocprim17ROCPRIM_400000_NS6detail17trampoline_kernelINS0_14default_configENS1_25partition_config_selectorILNS1_17partition_subalgoE2ExNS0_10empty_typeEbEEZZNS1_14partition_implILS5_2ELb0ES3_jN6thrust23THRUST_200600_302600_NS6detail15normal_iteratorINSA_7pointerIxNSA_11hip_rocprim3tagENSA_11use_defaultESG_EEEEPS6_NSA_18transform_iteratorI10is_orderedNSA_12zip_iteratorINSA_5tupleINSC_INSA_10device_ptrIxEEEESQ_NSA_9null_typeESR_SR_SR_SR_SR_SR_SR_EEEESG_SG_EENS0_5tupleIJPxSJ_EEENSV_IJSJ_SJ_EEES6_PlJS6_EEE10hipError_tPvRmT3_T4_T5_T6_T7_T9_mT8_P12ihipStream_tbDpT10_ENKUlT_T0_E_clISt17integral_constantIbLb0EES1I_IbLb1EEEEDaS1E_S1F_EUlS1E_E_NS1_11comp_targetILNS1_3genE3ELNS1_11target_archE908ELNS1_3gpuE7ELNS1_3repE0EEENS1_30default_config_static_selectorELNS0_4arch9wavefront6targetE1EEEvT1_
                                        ; -- End function
	.section	.AMDGPU.csdata,"",@progbits
; Kernel info:
; codeLenInByte = 0
; NumSgprs: 4
; NumVgprs: 0
; NumAgprs: 0
; TotalNumVgprs: 0
; ScratchSize: 0
; MemoryBound: 0
; FloatMode: 240
; IeeeMode: 1
; LDSByteSize: 0 bytes/workgroup (compile time only)
; SGPRBlocks: 0
; VGPRBlocks: 0
; NumSGPRsForWavesPerEU: 4
; NumVGPRsForWavesPerEU: 1
; AccumOffset: 4
; Occupancy: 8
; WaveLimiterHint : 0
; COMPUTE_PGM_RSRC2:SCRATCH_EN: 0
; COMPUTE_PGM_RSRC2:USER_SGPR: 6
; COMPUTE_PGM_RSRC2:TRAP_HANDLER: 0
; COMPUTE_PGM_RSRC2:TGID_X_EN: 1
; COMPUTE_PGM_RSRC2:TGID_Y_EN: 0
; COMPUTE_PGM_RSRC2:TGID_Z_EN: 0
; COMPUTE_PGM_RSRC2:TIDIG_COMP_CNT: 0
; COMPUTE_PGM_RSRC3_GFX90A:ACCUM_OFFSET: 0
; COMPUTE_PGM_RSRC3_GFX90A:TG_SPLIT: 0
	.section	.text._ZN7rocprim17ROCPRIM_400000_NS6detail17trampoline_kernelINS0_14default_configENS1_25partition_config_selectorILNS1_17partition_subalgoE2ExNS0_10empty_typeEbEEZZNS1_14partition_implILS5_2ELb0ES3_jN6thrust23THRUST_200600_302600_NS6detail15normal_iteratorINSA_7pointerIxNSA_11hip_rocprim3tagENSA_11use_defaultESG_EEEEPS6_NSA_18transform_iteratorI10is_orderedNSA_12zip_iteratorINSA_5tupleINSC_INSA_10device_ptrIxEEEESQ_NSA_9null_typeESR_SR_SR_SR_SR_SR_SR_EEEESG_SG_EENS0_5tupleIJPxSJ_EEENSV_IJSJ_SJ_EEES6_PlJS6_EEE10hipError_tPvRmT3_T4_T5_T6_T7_T9_mT8_P12ihipStream_tbDpT10_ENKUlT_T0_E_clISt17integral_constantIbLb0EES1I_IbLb1EEEEDaS1E_S1F_EUlS1E_E_NS1_11comp_targetILNS1_3genE2ELNS1_11target_archE906ELNS1_3gpuE6ELNS1_3repE0EEENS1_30default_config_static_selectorELNS0_4arch9wavefront6targetE1EEEvT1_,"axG",@progbits,_ZN7rocprim17ROCPRIM_400000_NS6detail17trampoline_kernelINS0_14default_configENS1_25partition_config_selectorILNS1_17partition_subalgoE2ExNS0_10empty_typeEbEEZZNS1_14partition_implILS5_2ELb0ES3_jN6thrust23THRUST_200600_302600_NS6detail15normal_iteratorINSA_7pointerIxNSA_11hip_rocprim3tagENSA_11use_defaultESG_EEEEPS6_NSA_18transform_iteratorI10is_orderedNSA_12zip_iteratorINSA_5tupleINSC_INSA_10device_ptrIxEEEESQ_NSA_9null_typeESR_SR_SR_SR_SR_SR_SR_EEEESG_SG_EENS0_5tupleIJPxSJ_EEENSV_IJSJ_SJ_EEES6_PlJS6_EEE10hipError_tPvRmT3_T4_T5_T6_T7_T9_mT8_P12ihipStream_tbDpT10_ENKUlT_T0_E_clISt17integral_constantIbLb0EES1I_IbLb1EEEEDaS1E_S1F_EUlS1E_E_NS1_11comp_targetILNS1_3genE2ELNS1_11target_archE906ELNS1_3gpuE6ELNS1_3repE0EEENS1_30default_config_static_selectorELNS0_4arch9wavefront6targetE1EEEvT1_,comdat
	.protected	_ZN7rocprim17ROCPRIM_400000_NS6detail17trampoline_kernelINS0_14default_configENS1_25partition_config_selectorILNS1_17partition_subalgoE2ExNS0_10empty_typeEbEEZZNS1_14partition_implILS5_2ELb0ES3_jN6thrust23THRUST_200600_302600_NS6detail15normal_iteratorINSA_7pointerIxNSA_11hip_rocprim3tagENSA_11use_defaultESG_EEEEPS6_NSA_18transform_iteratorI10is_orderedNSA_12zip_iteratorINSA_5tupleINSC_INSA_10device_ptrIxEEEESQ_NSA_9null_typeESR_SR_SR_SR_SR_SR_SR_EEEESG_SG_EENS0_5tupleIJPxSJ_EEENSV_IJSJ_SJ_EEES6_PlJS6_EEE10hipError_tPvRmT3_T4_T5_T6_T7_T9_mT8_P12ihipStream_tbDpT10_ENKUlT_T0_E_clISt17integral_constantIbLb0EES1I_IbLb1EEEEDaS1E_S1F_EUlS1E_E_NS1_11comp_targetILNS1_3genE2ELNS1_11target_archE906ELNS1_3gpuE6ELNS1_3repE0EEENS1_30default_config_static_selectorELNS0_4arch9wavefront6targetE1EEEvT1_ ; -- Begin function _ZN7rocprim17ROCPRIM_400000_NS6detail17trampoline_kernelINS0_14default_configENS1_25partition_config_selectorILNS1_17partition_subalgoE2ExNS0_10empty_typeEbEEZZNS1_14partition_implILS5_2ELb0ES3_jN6thrust23THRUST_200600_302600_NS6detail15normal_iteratorINSA_7pointerIxNSA_11hip_rocprim3tagENSA_11use_defaultESG_EEEEPS6_NSA_18transform_iteratorI10is_orderedNSA_12zip_iteratorINSA_5tupleINSC_INSA_10device_ptrIxEEEESQ_NSA_9null_typeESR_SR_SR_SR_SR_SR_SR_EEEESG_SG_EENS0_5tupleIJPxSJ_EEENSV_IJSJ_SJ_EEES6_PlJS6_EEE10hipError_tPvRmT3_T4_T5_T6_T7_T9_mT8_P12ihipStream_tbDpT10_ENKUlT_T0_E_clISt17integral_constantIbLb0EES1I_IbLb1EEEEDaS1E_S1F_EUlS1E_E_NS1_11comp_targetILNS1_3genE2ELNS1_11target_archE906ELNS1_3gpuE6ELNS1_3repE0EEENS1_30default_config_static_selectorELNS0_4arch9wavefront6targetE1EEEvT1_
	.globl	_ZN7rocprim17ROCPRIM_400000_NS6detail17trampoline_kernelINS0_14default_configENS1_25partition_config_selectorILNS1_17partition_subalgoE2ExNS0_10empty_typeEbEEZZNS1_14partition_implILS5_2ELb0ES3_jN6thrust23THRUST_200600_302600_NS6detail15normal_iteratorINSA_7pointerIxNSA_11hip_rocprim3tagENSA_11use_defaultESG_EEEEPS6_NSA_18transform_iteratorI10is_orderedNSA_12zip_iteratorINSA_5tupleINSC_INSA_10device_ptrIxEEEESQ_NSA_9null_typeESR_SR_SR_SR_SR_SR_SR_EEEESG_SG_EENS0_5tupleIJPxSJ_EEENSV_IJSJ_SJ_EEES6_PlJS6_EEE10hipError_tPvRmT3_T4_T5_T6_T7_T9_mT8_P12ihipStream_tbDpT10_ENKUlT_T0_E_clISt17integral_constantIbLb0EES1I_IbLb1EEEEDaS1E_S1F_EUlS1E_E_NS1_11comp_targetILNS1_3genE2ELNS1_11target_archE906ELNS1_3gpuE6ELNS1_3repE0EEENS1_30default_config_static_selectorELNS0_4arch9wavefront6targetE1EEEvT1_
	.p2align	8
	.type	_ZN7rocprim17ROCPRIM_400000_NS6detail17trampoline_kernelINS0_14default_configENS1_25partition_config_selectorILNS1_17partition_subalgoE2ExNS0_10empty_typeEbEEZZNS1_14partition_implILS5_2ELb0ES3_jN6thrust23THRUST_200600_302600_NS6detail15normal_iteratorINSA_7pointerIxNSA_11hip_rocprim3tagENSA_11use_defaultESG_EEEEPS6_NSA_18transform_iteratorI10is_orderedNSA_12zip_iteratorINSA_5tupleINSC_INSA_10device_ptrIxEEEESQ_NSA_9null_typeESR_SR_SR_SR_SR_SR_SR_EEEESG_SG_EENS0_5tupleIJPxSJ_EEENSV_IJSJ_SJ_EEES6_PlJS6_EEE10hipError_tPvRmT3_T4_T5_T6_T7_T9_mT8_P12ihipStream_tbDpT10_ENKUlT_T0_E_clISt17integral_constantIbLb0EES1I_IbLb1EEEEDaS1E_S1F_EUlS1E_E_NS1_11comp_targetILNS1_3genE2ELNS1_11target_archE906ELNS1_3gpuE6ELNS1_3repE0EEENS1_30default_config_static_selectorELNS0_4arch9wavefront6targetE1EEEvT1_,@function
_ZN7rocprim17ROCPRIM_400000_NS6detail17trampoline_kernelINS0_14default_configENS1_25partition_config_selectorILNS1_17partition_subalgoE2ExNS0_10empty_typeEbEEZZNS1_14partition_implILS5_2ELb0ES3_jN6thrust23THRUST_200600_302600_NS6detail15normal_iteratorINSA_7pointerIxNSA_11hip_rocprim3tagENSA_11use_defaultESG_EEEEPS6_NSA_18transform_iteratorI10is_orderedNSA_12zip_iteratorINSA_5tupleINSC_INSA_10device_ptrIxEEEESQ_NSA_9null_typeESR_SR_SR_SR_SR_SR_SR_EEEESG_SG_EENS0_5tupleIJPxSJ_EEENSV_IJSJ_SJ_EEES6_PlJS6_EEE10hipError_tPvRmT3_T4_T5_T6_T7_T9_mT8_P12ihipStream_tbDpT10_ENKUlT_T0_E_clISt17integral_constantIbLb0EES1I_IbLb1EEEEDaS1E_S1F_EUlS1E_E_NS1_11comp_targetILNS1_3genE2ELNS1_11target_archE906ELNS1_3gpuE6ELNS1_3repE0EEENS1_30default_config_static_selectorELNS0_4arch9wavefront6targetE1EEEvT1_: ; @_ZN7rocprim17ROCPRIM_400000_NS6detail17trampoline_kernelINS0_14default_configENS1_25partition_config_selectorILNS1_17partition_subalgoE2ExNS0_10empty_typeEbEEZZNS1_14partition_implILS5_2ELb0ES3_jN6thrust23THRUST_200600_302600_NS6detail15normal_iteratorINSA_7pointerIxNSA_11hip_rocprim3tagENSA_11use_defaultESG_EEEEPS6_NSA_18transform_iteratorI10is_orderedNSA_12zip_iteratorINSA_5tupleINSC_INSA_10device_ptrIxEEEESQ_NSA_9null_typeESR_SR_SR_SR_SR_SR_SR_EEEESG_SG_EENS0_5tupleIJPxSJ_EEENSV_IJSJ_SJ_EEES6_PlJS6_EEE10hipError_tPvRmT3_T4_T5_T6_T7_T9_mT8_P12ihipStream_tbDpT10_ENKUlT_T0_E_clISt17integral_constantIbLb0EES1I_IbLb1EEEEDaS1E_S1F_EUlS1E_E_NS1_11comp_targetILNS1_3genE2ELNS1_11target_archE906ELNS1_3gpuE6ELNS1_3repE0EEENS1_30default_config_static_selectorELNS0_4arch9wavefront6targetE1EEEvT1_
; %bb.0:
	.section	.rodata,"a",@progbits
	.p2align	6, 0x0
	.amdhsa_kernel _ZN7rocprim17ROCPRIM_400000_NS6detail17trampoline_kernelINS0_14default_configENS1_25partition_config_selectorILNS1_17partition_subalgoE2ExNS0_10empty_typeEbEEZZNS1_14partition_implILS5_2ELb0ES3_jN6thrust23THRUST_200600_302600_NS6detail15normal_iteratorINSA_7pointerIxNSA_11hip_rocprim3tagENSA_11use_defaultESG_EEEEPS6_NSA_18transform_iteratorI10is_orderedNSA_12zip_iteratorINSA_5tupleINSC_INSA_10device_ptrIxEEEESQ_NSA_9null_typeESR_SR_SR_SR_SR_SR_SR_EEEESG_SG_EENS0_5tupleIJPxSJ_EEENSV_IJSJ_SJ_EEES6_PlJS6_EEE10hipError_tPvRmT3_T4_T5_T6_T7_T9_mT8_P12ihipStream_tbDpT10_ENKUlT_T0_E_clISt17integral_constantIbLb0EES1I_IbLb1EEEEDaS1E_S1F_EUlS1E_E_NS1_11comp_targetILNS1_3genE2ELNS1_11target_archE906ELNS1_3gpuE6ELNS1_3repE0EEENS1_30default_config_static_selectorELNS0_4arch9wavefront6targetE1EEEvT1_
		.amdhsa_group_segment_fixed_size 0
		.amdhsa_private_segment_fixed_size 0
		.amdhsa_kernarg_size 152
		.amdhsa_user_sgpr_count 6
		.amdhsa_user_sgpr_private_segment_buffer 1
		.amdhsa_user_sgpr_dispatch_ptr 0
		.amdhsa_user_sgpr_queue_ptr 0
		.amdhsa_user_sgpr_kernarg_segment_ptr 1
		.amdhsa_user_sgpr_dispatch_id 0
		.amdhsa_user_sgpr_flat_scratch_init 0
		.amdhsa_user_sgpr_kernarg_preload_length 0
		.amdhsa_user_sgpr_kernarg_preload_offset 0
		.amdhsa_user_sgpr_private_segment_size 0
		.amdhsa_uses_dynamic_stack 0
		.amdhsa_system_sgpr_private_segment_wavefront_offset 0
		.amdhsa_system_sgpr_workgroup_id_x 1
		.amdhsa_system_sgpr_workgroup_id_y 0
		.amdhsa_system_sgpr_workgroup_id_z 0
		.amdhsa_system_sgpr_workgroup_info 0
		.amdhsa_system_vgpr_workitem_id 0
		.amdhsa_next_free_vgpr 1
		.amdhsa_next_free_sgpr 0
		.amdhsa_accum_offset 4
		.amdhsa_reserve_vcc 0
		.amdhsa_reserve_flat_scratch 0
		.amdhsa_float_round_mode_32 0
		.amdhsa_float_round_mode_16_64 0
		.amdhsa_float_denorm_mode_32 3
		.amdhsa_float_denorm_mode_16_64 3
		.amdhsa_dx10_clamp 1
		.amdhsa_ieee_mode 1
		.amdhsa_fp16_overflow 0
		.amdhsa_tg_split 0
		.amdhsa_exception_fp_ieee_invalid_op 0
		.amdhsa_exception_fp_denorm_src 0
		.amdhsa_exception_fp_ieee_div_zero 0
		.amdhsa_exception_fp_ieee_overflow 0
		.amdhsa_exception_fp_ieee_underflow 0
		.amdhsa_exception_fp_ieee_inexact 0
		.amdhsa_exception_int_div_zero 0
	.end_amdhsa_kernel
	.section	.text._ZN7rocprim17ROCPRIM_400000_NS6detail17trampoline_kernelINS0_14default_configENS1_25partition_config_selectorILNS1_17partition_subalgoE2ExNS0_10empty_typeEbEEZZNS1_14partition_implILS5_2ELb0ES3_jN6thrust23THRUST_200600_302600_NS6detail15normal_iteratorINSA_7pointerIxNSA_11hip_rocprim3tagENSA_11use_defaultESG_EEEEPS6_NSA_18transform_iteratorI10is_orderedNSA_12zip_iteratorINSA_5tupleINSC_INSA_10device_ptrIxEEEESQ_NSA_9null_typeESR_SR_SR_SR_SR_SR_SR_EEEESG_SG_EENS0_5tupleIJPxSJ_EEENSV_IJSJ_SJ_EEES6_PlJS6_EEE10hipError_tPvRmT3_T4_T5_T6_T7_T9_mT8_P12ihipStream_tbDpT10_ENKUlT_T0_E_clISt17integral_constantIbLb0EES1I_IbLb1EEEEDaS1E_S1F_EUlS1E_E_NS1_11comp_targetILNS1_3genE2ELNS1_11target_archE906ELNS1_3gpuE6ELNS1_3repE0EEENS1_30default_config_static_selectorELNS0_4arch9wavefront6targetE1EEEvT1_,"axG",@progbits,_ZN7rocprim17ROCPRIM_400000_NS6detail17trampoline_kernelINS0_14default_configENS1_25partition_config_selectorILNS1_17partition_subalgoE2ExNS0_10empty_typeEbEEZZNS1_14partition_implILS5_2ELb0ES3_jN6thrust23THRUST_200600_302600_NS6detail15normal_iteratorINSA_7pointerIxNSA_11hip_rocprim3tagENSA_11use_defaultESG_EEEEPS6_NSA_18transform_iteratorI10is_orderedNSA_12zip_iteratorINSA_5tupleINSC_INSA_10device_ptrIxEEEESQ_NSA_9null_typeESR_SR_SR_SR_SR_SR_SR_EEEESG_SG_EENS0_5tupleIJPxSJ_EEENSV_IJSJ_SJ_EEES6_PlJS6_EEE10hipError_tPvRmT3_T4_T5_T6_T7_T9_mT8_P12ihipStream_tbDpT10_ENKUlT_T0_E_clISt17integral_constantIbLb0EES1I_IbLb1EEEEDaS1E_S1F_EUlS1E_E_NS1_11comp_targetILNS1_3genE2ELNS1_11target_archE906ELNS1_3gpuE6ELNS1_3repE0EEENS1_30default_config_static_selectorELNS0_4arch9wavefront6targetE1EEEvT1_,comdat
.Lfunc_end3590:
	.size	_ZN7rocprim17ROCPRIM_400000_NS6detail17trampoline_kernelINS0_14default_configENS1_25partition_config_selectorILNS1_17partition_subalgoE2ExNS0_10empty_typeEbEEZZNS1_14partition_implILS5_2ELb0ES3_jN6thrust23THRUST_200600_302600_NS6detail15normal_iteratorINSA_7pointerIxNSA_11hip_rocprim3tagENSA_11use_defaultESG_EEEEPS6_NSA_18transform_iteratorI10is_orderedNSA_12zip_iteratorINSA_5tupleINSC_INSA_10device_ptrIxEEEESQ_NSA_9null_typeESR_SR_SR_SR_SR_SR_SR_EEEESG_SG_EENS0_5tupleIJPxSJ_EEENSV_IJSJ_SJ_EEES6_PlJS6_EEE10hipError_tPvRmT3_T4_T5_T6_T7_T9_mT8_P12ihipStream_tbDpT10_ENKUlT_T0_E_clISt17integral_constantIbLb0EES1I_IbLb1EEEEDaS1E_S1F_EUlS1E_E_NS1_11comp_targetILNS1_3genE2ELNS1_11target_archE906ELNS1_3gpuE6ELNS1_3repE0EEENS1_30default_config_static_selectorELNS0_4arch9wavefront6targetE1EEEvT1_, .Lfunc_end3590-_ZN7rocprim17ROCPRIM_400000_NS6detail17trampoline_kernelINS0_14default_configENS1_25partition_config_selectorILNS1_17partition_subalgoE2ExNS0_10empty_typeEbEEZZNS1_14partition_implILS5_2ELb0ES3_jN6thrust23THRUST_200600_302600_NS6detail15normal_iteratorINSA_7pointerIxNSA_11hip_rocprim3tagENSA_11use_defaultESG_EEEEPS6_NSA_18transform_iteratorI10is_orderedNSA_12zip_iteratorINSA_5tupleINSC_INSA_10device_ptrIxEEEESQ_NSA_9null_typeESR_SR_SR_SR_SR_SR_SR_EEEESG_SG_EENS0_5tupleIJPxSJ_EEENSV_IJSJ_SJ_EEES6_PlJS6_EEE10hipError_tPvRmT3_T4_T5_T6_T7_T9_mT8_P12ihipStream_tbDpT10_ENKUlT_T0_E_clISt17integral_constantIbLb0EES1I_IbLb1EEEEDaS1E_S1F_EUlS1E_E_NS1_11comp_targetILNS1_3genE2ELNS1_11target_archE906ELNS1_3gpuE6ELNS1_3repE0EEENS1_30default_config_static_selectorELNS0_4arch9wavefront6targetE1EEEvT1_
                                        ; -- End function
	.section	.AMDGPU.csdata,"",@progbits
; Kernel info:
; codeLenInByte = 0
; NumSgprs: 4
; NumVgprs: 0
; NumAgprs: 0
; TotalNumVgprs: 0
; ScratchSize: 0
; MemoryBound: 0
; FloatMode: 240
; IeeeMode: 1
; LDSByteSize: 0 bytes/workgroup (compile time only)
; SGPRBlocks: 0
; VGPRBlocks: 0
; NumSGPRsForWavesPerEU: 4
; NumVGPRsForWavesPerEU: 1
; AccumOffset: 4
; Occupancy: 8
; WaveLimiterHint : 0
; COMPUTE_PGM_RSRC2:SCRATCH_EN: 0
; COMPUTE_PGM_RSRC2:USER_SGPR: 6
; COMPUTE_PGM_RSRC2:TRAP_HANDLER: 0
; COMPUTE_PGM_RSRC2:TGID_X_EN: 1
; COMPUTE_PGM_RSRC2:TGID_Y_EN: 0
; COMPUTE_PGM_RSRC2:TGID_Z_EN: 0
; COMPUTE_PGM_RSRC2:TIDIG_COMP_CNT: 0
; COMPUTE_PGM_RSRC3_GFX90A:ACCUM_OFFSET: 0
; COMPUTE_PGM_RSRC3_GFX90A:TG_SPLIT: 0
	.section	.text._ZN7rocprim17ROCPRIM_400000_NS6detail17trampoline_kernelINS0_14default_configENS1_25partition_config_selectorILNS1_17partition_subalgoE2ExNS0_10empty_typeEbEEZZNS1_14partition_implILS5_2ELb0ES3_jN6thrust23THRUST_200600_302600_NS6detail15normal_iteratorINSA_7pointerIxNSA_11hip_rocprim3tagENSA_11use_defaultESG_EEEEPS6_NSA_18transform_iteratorI10is_orderedNSA_12zip_iteratorINSA_5tupleINSC_INSA_10device_ptrIxEEEESQ_NSA_9null_typeESR_SR_SR_SR_SR_SR_SR_EEEESG_SG_EENS0_5tupleIJPxSJ_EEENSV_IJSJ_SJ_EEES6_PlJS6_EEE10hipError_tPvRmT3_T4_T5_T6_T7_T9_mT8_P12ihipStream_tbDpT10_ENKUlT_T0_E_clISt17integral_constantIbLb0EES1I_IbLb1EEEEDaS1E_S1F_EUlS1E_E_NS1_11comp_targetILNS1_3genE10ELNS1_11target_archE1200ELNS1_3gpuE4ELNS1_3repE0EEENS1_30default_config_static_selectorELNS0_4arch9wavefront6targetE1EEEvT1_,"axG",@progbits,_ZN7rocprim17ROCPRIM_400000_NS6detail17trampoline_kernelINS0_14default_configENS1_25partition_config_selectorILNS1_17partition_subalgoE2ExNS0_10empty_typeEbEEZZNS1_14partition_implILS5_2ELb0ES3_jN6thrust23THRUST_200600_302600_NS6detail15normal_iteratorINSA_7pointerIxNSA_11hip_rocprim3tagENSA_11use_defaultESG_EEEEPS6_NSA_18transform_iteratorI10is_orderedNSA_12zip_iteratorINSA_5tupleINSC_INSA_10device_ptrIxEEEESQ_NSA_9null_typeESR_SR_SR_SR_SR_SR_SR_EEEESG_SG_EENS0_5tupleIJPxSJ_EEENSV_IJSJ_SJ_EEES6_PlJS6_EEE10hipError_tPvRmT3_T4_T5_T6_T7_T9_mT8_P12ihipStream_tbDpT10_ENKUlT_T0_E_clISt17integral_constantIbLb0EES1I_IbLb1EEEEDaS1E_S1F_EUlS1E_E_NS1_11comp_targetILNS1_3genE10ELNS1_11target_archE1200ELNS1_3gpuE4ELNS1_3repE0EEENS1_30default_config_static_selectorELNS0_4arch9wavefront6targetE1EEEvT1_,comdat
	.protected	_ZN7rocprim17ROCPRIM_400000_NS6detail17trampoline_kernelINS0_14default_configENS1_25partition_config_selectorILNS1_17partition_subalgoE2ExNS0_10empty_typeEbEEZZNS1_14partition_implILS5_2ELb0ES3_jN6thrust23THRUST_200600_302600_NS6detail15normal_iteratorINSA_7pointerIxNSA_11hip_rocprim3tagENSA_11use_defaultESG_EEEEPS6_NSA_18transform_iteratorI10is_orderedNSA_12zip_iteratorINSA_5tupleINSC_INSA_10device_ptrIxEEEESQ_NSA_9null_typeESR_SR_SR_SR_SR_SR_SR_EEEESG_SG_EENS0_5tupleIJPxSJ_EEENSV_IJSJ_SJ_EEES6_PlJS6_EEE10hipError_tPvRmT3_T4_T5_T6_T7_T9_mT8_P12ihipStream_tbDpT10_ENKUlT_T0_E_clISt17integral_constantIbLb0EES1I_IbLb1EEEEDaS1E_S1F_EUlS1E_E_NS1_11comp_targetILNS1_3genE10ELNS1_11target_archE1200ELNS1_3gpuE4ELNS1_3repE0EEENS1_30default_config_static_selectorELNS0_4arch9wavefront6targetE1EEEvT1_ ; -- Begin function _ZN7rocprim17ROCPRIM_400000_NS6detail17trampoline_kernelINS0_14default_configENS1_25partition_config_selectorILNS1_17partition_subalgoE2ExNS0_10empty_typeEbEEZZNS1_14partition_implILS5_2ELb0ES3_jN6thrust23THRUST_200600_302600_NS6detail15normal_iteratorINSA_7pointerIxNSA_11hip_rocprim3tagENSA_11use_defaultESG_EEEEPS6_NSA_18transform_iteratorI10is_orderedNSA_12zip_iteratorINSA_5tupleINSC_INSA_10device_ptrIxEEEESQ_NSA_9null_typeESR_SR_SR_SR_SR_SR_SR_EEEESG_SG_EENS0_5tupleIJPxSJ_EEENSV_IJSJ_SJ_EEES6_PlJS6_EEE10hipError_tPvRmT3_T4_T5_T6_T7_T9_mT8_P12ihipStream_tbDpT10_ENKUlT_T0_E_clISt17integral_constantIbLb0EES1I_IbLb1EEEEDaS1E_S1F_EUlS1E_E_NS1_11comp_targetILNS1_3genE10ELNS1_11target_archE1200ELNS1_3gpuE4ELNS1_3repE0EEENS1_30default_config_static_selectorELNS0_4arch9wavefront6targetE1EEEvT1_
	.globl	_ZN7rocprim17ROCPRIM_400000_NS6detail17trampoline_kernelINS0_14default_configENS1_25partition_config_selectorILNS1_17partition_subalgoE2ExNS0_10empty_typeEbEEZZNS1_14partition_implILS5_2ELb0ES3_jN6thrust23THRUST_200600_302600_NS6detail15normal_iteratorINSA_7pointerIxNSA_11hip_rocprim3tagENSA_11use_defaultESG_EEEEPS6_NSA_18transform_iteratorI10is_orderedNSA_12zip_iteratorINSA_5tupleINSC_INSA_10device_ptrIxEEEESQ_NSA_9null_typeESR_SR_SR_SR_SR_SR_SR_EEEESG_SG_EENS0_5tupleIJPxSJ_EEENSV_IJSJ_SJ_EEES6_PlJS6_EEE10hipError_tPvRmT3_T4_T5_T6_T7_T9_mT8_P12ihipStream_tbDpT10_ENKUlT_T0_E_clISt17integral_constantIbLb0EES1I_IbLb1EEEEDaS1E_S1F_EUlS1E_E_NS1_11comp_targetILNS1_3genE10ELNS1_11target_archE1200ELNS1_3gpuE4ELNS1_3repE0EEENS1_30default_config_static_selectorELNS0_4arch9wavefront6targetE1EEEvT1_
	.p2align	8
	.type	_ZN7rocprim17ROCPRIM_400000_NS6detail17trampoline_kernelINS0_14default_configENS1_25partition_config_selectorILNS1_17partition_subalgoE2ExNS0_10empty_typeEbEEZZNS1_14partition_implILS5_2ELb0ES3_jN6thrust23THRUST_200600_302600_NS6detail15normal_iteratorINSA_7pointerIxNSA_11hip_rocprim3tagENSA_11use_defaultESG_EEEEPS6_NSA_18transform_iteratorI10is_orderedNSA_12zip_iteratorINSA_5tupleINSC_INSA_10device_ptrIxEEEESQ_NSA_9null_typeESR_SR_SR_SR_SR_SR_SR_EEEESG_SG_EENS0_5tupleIJPxSJ_EEENSV_IJSJ_SJ_EEES6_PlJS6_EEE10hipError_tPvRmT3_T4_T5_T6_T7_T9_mT8_P12ihipStream_tbDpT10_ENKUlT_T0_E_clISt17integral_constantIbLb0EES1I_IbLb1EEEEDaS1E_S1F_EUlS1E_E_NS1_11comp_targetILNS1_3genE10ELNS1_11target_archE1200ELNS1_3gpuE4ELNS1_3repE0EEENS1_30default_config_static_selectorELNS0_4arch9wavefront6targetE1EEEvT1_,@function
_ZN7rocprim17ROCPRIM_400000_NS6detail17trampoline_kernelINS0_14default_configENS1_25partition_config_selectorILNS1_17partition_subalgoE2ExNS0_10empty_typeEbEEZZNS1_14partition_implILS5_2ELb0ES3_jN6thrust23THRUST_200600_302600_NS6detail15normal_iteratorINSA_7pointerIxNSA_11hip_rocprim3tagENSA_11use_defaultESG_EEEEPS6_NSA_18transform_iteratorI10is_orderedNSA_12zip_iteratorINSA_5tupleINSC_INSA_10device_ptrIxEEEESQ_NSA_9null_typeESR_SR_SR_SR_SR_SR_SR_EEEESG_SG_EENS0_5tupleIJPxSJ_EEENSV_IJSJ_SJ_EEES6_PlJS6_EEE10hipError_tPvRmT3_T4_T5_T6_T7_T9_mT8_P12ihipStream_tbDpT10_ENKUlT_T0_E_clISt17integral_constantIbLb0EES1I_IbLb1EEEEDaS1E_S1F_EUlS1E_E_NS1_11comp_targetILNS1_3genE10ELNS1_11target_archE1200ELNS1_3gpuE4ELNS1_3repE0EEENS1_30default_config_static_selectorELNS0_4arch9wavefront6targetE1EEEvT1_: ; @_ZN7rocprim17ROCPRIM_400000_NS6detail17trampoline_kernelINS0_14default_configENS1_25partition_config_selectorILNS1_17partition_subalgoE2ExNS0_10empty_typeEbEEZZNS1_14partition_implILS5_2ELb0ES3_jN6thrust23THRUST_200600_302600_NS6detail15normal_iteratorINSA_7pointerIxNSA_11hip_rocprim3tagENSA_11use_defaultESG_EEEEPS6_NSA_18transform_iteratorI10is_orderedNSA_12zip_iteratorINSA_5tupleINSC_INSA_10device_ptrIxEEEESQ_NSA_9null_typeESR_SR_SR_SR_SR_SR_SR_EEEESG_SG_EENS0_5tupleIJPxSJ_EEENSV_IJSJ_SJ_EEES6_PlJS6_EEE10hipError_tPvRmT3_T4_T5_T6_T7_T9_mT8_P12ihipStream_tbDpT10_ENKUlT_T0_E_clISt17integral_constantIbLb0EES1I_IbLb1EEEEDaS1E_S1F_EUlS1E_E_NS1_11comp_targetILNS1_3genE10ELNS1_11target_archE1200ELNS1_3gpuE4ELNS1_3repE0EEENS1_30default_config_static_selectorELNS0_4arch9wavefront6targetE1EEEvT1_
; %bb.0:
	.section	.rodata,"a",@progbits
	.p2align	6, 0x0
	.amdhsa_kernel _ZN7rocprim17ROCPRIM_400000_NS6detail17trampoline_kernelINS0_14default_configENS1_25partition_config_selectorILNS1_17partition_subalgoE2ExNS0_10empty_typeEbEEZZNS1_14partition_implILS5_2ELb0ES3_jN6thrust23THRUST_200600_302600_NS6detail15normal_iteratorINSA_7pointerIxNSA_11hip_rocprim3tagENSA_11use_defaultESG_EEEEPS6_NSA_18transform_iteratorI10is_orderedNSA_12zip_iteratorINSA_5tupleINSC_INSA_10device_ptrIxEEEESQ_NSA_9null_typeESR_SR_SR_SR_SR_SR_SR_EEEESG_SG_EENS0_5tupleIJPxSJ_EEENSV_IJSJ_SJ_EEES6_PlJS6_EEE10hipError_tPvRmT3_T4_T5_T6_T7_T9_mT8_P12ihipStream_tbDpT10_ENKUlT_T0_E_clISt17integral_constantIbLb0EES1I_IbLb1EEEEDaS1E_S1F_EUlS1E_E_NS1_11comp_targetILNS1_3genE10ELNS1_11target_archE1200ELNS1_3gpuE4ELNS1_3repE0EEENS1_30default_config_static_selectorELNS0_4arch9wavefront6targetE1EEEvT1_
		.amdhsa_group_segment_fixed_size 0
		.amdhsa_private_segment_fixed_size 0
		.amdhsa_kernarg_size 152
		.amdhsa_user_sgpr_count 6
		.amdhsa_user_sgpr_private_segment_buffer 1
		.amdhsa_user_sgpr_dispatch_ptr 0
		.amdhsa_user_sgpr_queue_ptr 0
		.amdhsa_user_sgpr_kernarg_segment_ptr 1
		.amdhsa_user_sgpr_dispatch_id 0
		.amdhsa_user_sgpr_flat_scratch_init 0
		.amdhsa_user_sgpr_kernarg_preload_length 0
		.amdhsa_user_sgpr_kernarg_preload_offset 0
		.amdhsa_user_sgpr_private_segment_size 0
		.amdhsa_uses_dynamic_stack 0
		.amdhsa_system_sgpr_private_segment_wavefront_offset 0
		.amdhsa_system_sgpr_workgroup_id_x 1
		.amdhsa_system_sgpr_workgroup_id_y 0
		.amdhsa_system_sgpr_workgroup_id_z 0
		.amdhsa_system_sgpr_workgroup_info 0
		.amdhsa_system_vgpr_workitem_id 0
		.amdhsa_next_free_vgpr 1
		.amdhsa_next_free_sgpr 0
		.amdhsa_accum_offset 4
		.amdhsa_reserve_vcc 0
		.amdhsa_reserve_flat_scratch 0
		.amdhsa_float_round_mode_32 0
		.amdhsa_float_round_mode_16_64 0
		.amdhsa_float_denorm_mode_32 3
		.amdhsa_float_denorm_mode_16_64 3
		.amdhsa_dx10_clamp 1
		.amdhsa_ieee_mode 1
		.amdhsa_fp16_overflow 0
		.amdhsa_tg_split 0
		.amdhsa_exception_fp_ieee_invalid_op 0
		.amdhsa_exception_fp_denorm_src 0
		.amdhsa_exception_fp_ieee_div_zero 0
		.amdhsa_exception_fp_ieee_overflow 0
		.amdhsa_exception_fp_ieee_underflow 0
		.amdhsa_exception_fp_ieee_inexact 0
		.amdhsa_exception_int_div_zero 0
	.end_amdhsa_kernel
	.section	.text._ZN7rocprim17ROCPRIM_400000_NS6detail17trampoline_kernelINS0_14default_configENS1_25partition_config_selectorILNS1_17partition_subalgoE2ExNS0_10empty_typeEbEEZZNS1_14partition_implILS5_2ELb0ES3_jN6thrust23THRUST_200600_302600_NS6detail15normal_iteratorINSA_7pointerIxNSA_11hip_rocprim3tagENSA_11use_defaultESG_EEEEPS6_NSA_18transform_iteratorI10is_orderedNSA_12zip_iteratorINSA_5tupleINSC_INSA_10device_ptrIxEEEESQ_NSA_9null_typeESR_SR_SR_SR_SR_SR_SR_EEEESG_SG_EENS0_5tupleIJPxSJ_EEENSV_IJSJ_SJ_EEES6_PlJS6_EEE10hipError_tPvRmT3_T4_T5_T6_T7_T9_mT8_P12ihipStream_tbDpT10_ENKUlT_T0_E_clISt17integral_constantIbLb0EES1I_IbLb1EEEEDaS1E_S1F_EUlS1E_E_NS1_11comp_targetILNS1_3genE10ELNS1_11target_archE1200ELNS1_3gpuE4ELNS1_3repE0EEENS1_30default_config_static_selectorELNS0_4arch9wavefront6targetE1EEEvT1_,"axG",@progbits,_ZN7rocprim17ROCPRIM_400000_NS6detail17trampoline_kernelINS0_14default_configENS1_25partition_config_selectorILNS1_17partition_subalgoE2ExNS0_10empty_typeEbEEZZNS1_14partition_implILS5_2ELb0ES3_jN6thrust23THRUST_200600_302600_NS6detail15normal_iteratorINSA_7pointerIxNSA_11hip_rocprim3tagENSA_11use_defaultESG_EEEEPS6_NSA_18transform_iteratorI10is_orderedNSA_12zip_iteratorINSA_5tupleINSC_INSA_10device_ptrIxEEEESQ_NSA_9null_typeESR_SR_SR_SR_SR_SR_SR_EEEESG_SG_EENS0_5tupleIJPxSJ_EEENSV_IJSJ_SJ_EEES6_PlJS6_EEE10hipError_tPvRmT3_T4_T5_T6_T7_T9_mT8_P12ihipStream_tbDpT10_ENKUlT_T0_E_clISt17integral_constantIbLb0EES1I_IbLb1EEEEDaS1E_S1F_EUlS1E_E_NS1_11comp_targetILNS1_3genE10ELNS1_11target_archE1200ELNS1_3gpuE4ELNS1_3repE0EEENS1_30default_config_static_selectorELNS0_4arch9wavefront6targetE1EEEvT1_,comdat
.Lfunc_end3591:
	.size	_ZN7rocprim17ROCPRIM_400000_NS6detail17trampoline_kernelINS0_14default_configENS1_25partition_config_selectorILNS1_17partition_subalgoE2ExNS0_10empty_typeEbEEZZNS1_14partition_implILS5_2ELb0ES3_jN6thrust23THRUST_200600_302600_NS6detail15normal_iteratorINSA_7pointerIxNSA_11hip_rocprim3tagENSA_11use_defaultESG_EEEEPS6_NSA_18transform_iteratorI10is_orderedNSA_12zip_iteratorINSA_5tupleINSC_INSA_10device_ptrIxEEEESQ_NSA_9null_typeESR_SR_SR_SR_SR_SR_SR_EEEESG_SG_EENS0_5tupleIJPxSJ_EEENSV_IJSJ_SJ_EEES6_PlJS6_EEE10hipError_tPvRmT3_T4_T5_T6_T7_T9_mT8_P12ihipStream_tbDpT10_ENKUlT_T0_E_clISt17integral_constantIbLb0EES1I_IbLb1EEEEDaS1E_S1F_EUlS1E_E_NS1_11comp_targetILNS1_3genE10ELNS1_11target_archE1200ELNS1_3gpuE4ELNS1_3repE0EEENS1_30default_config_static_selectorELNS0_4arch9wavefront6targetE1EEEvT1_, .Lfunc_end3591-_ZN7rocprim17ROCPRIM_400000_NS6detail17trampoline_kernelINS0_14default_configENS1_25partition_config_selectorILNS1_17partition_subalgoE2ExNS0_10empty_typeEbEEZZNS1_14partition_implILS5_2ELb0ES3_jN6thrust23THRUST_200600_302600_NS6detail15normal_iteratorINSA_7pointerIxNSA_11hip_rocprim3tagENSA_11use_defaultESG_EEEEPS6_NSA_18transform_iteratorI10is_orderedNSA_12zip_iteratorINSA_5tupleINSC_INSA_10device_ptrIxEEEESQ_NSA_9null_typeESR_SR_SR_SR_SR_SR_SR_EEEESG_SG_EENS0_5tupleIJPxSJ_EEENSV_IJSJ_SJ_EEES6_PlJS6_EEE10hipError_tPvRmT3_T4_T5_T6_T7_T9_mT8_P12ihipStream_tbDpT10_ENKUlT_T0_E_clISt17integral_constantIbLb0EES1I_IbLb1EEEEDaS1E_S1F_EUlS1E_E_NS1_11comp_targetILNS1_3genE10ELNS1_11target_archE1200ELNS1_3gpuE4ELNS1_3repE0EEENS1_30default_config_static_selectorELNS0_4arch9wavefront6targetE1EEEvT1_
                                        ; -- End function
	.section	.AMDGPU.csdata,"",@progbits
; Kernel info:
; codeLenInByte = 0
; NumSgprs: 4
; NumVgprs: 0
; NumAgprs: 0
; TotalNumVgprs: 0
; ScratchSize: 0
; MemoryBound: 0
; FloatMode: 240
; IeeeMode: 1
; LDSByteSize: 0 bytes/workgroup (compile time only)
; SGPRBlocks: 0
; VGPRBlocks: 0
; NumSGPRsForWavesPerEU: 4
; NumVGPRsForWavesPerEU: 1
; AccumOffset: 4
; Occupancy: 8
; WaveLimiterHint : 0
; COMPUTE_PGM_RSRC2:SCRATCH_EN: 0
; COMPUTE_PGM_RSRC2:USER_SGPR: 6
; COMPUTE_PGM_RSRC2:TRAP_HANDLER: 0
; COMPUTE_PGM_RSRC2:TGID_X_EN: 1
; COMPUTE_PGM_RSRC2:TGID_Y_EN: 0
; COMPUTE_PGM_RSRC2:TGID_Z_EN: 0
; COMPUTE_PGM_RSRC2:TIDIG_COMP_CNT: 0
; COMPUTE_PGM_RSRC3_GFX90A:ACCUM_OFFSET: 0
; COMPUTE_PGM_RSRC3_GFX90A:TG_SPLIT: 0
	.section	.text._ZN7rocprim17ROCPRIM_400000_NS6detail17trampoline_kernelINS0_14default_configENS1_25partition_config_selectorILNS1_17partition_subalgoE2ExNS0_10empty_typeEbEEZZNS1_14partition_implILS5_2ELb0ES3_jN6thrust23THRUST_200600_302600_NS6detail15normal_iteratorINSA_7pointerIxNSA_11hip_rocprim3tagENSA_11use_defaultESG_EEEEPS6_NSA_18transform_iteratorI10is_orderedNSA_12zip_iteratorINSA_5tupleINSC_INSA_10device_ptrIxEEEESQ_NSA_9null_typeESR_SR_SR_SR_SR_SR_SR_EEEESG_SG_EENS0_5tupleIJPxSJ_EEENSV_IJSJ_SJ_EEES6_PlJS6_EEE10hipError_tPvRmT3_T4_T5_T6_T7_T9_mT8_P12ihipStream_tbDpT10_ENKUlT_T0_E_clISt17integral_constantIbLb0EES1I_IbLb1EEEEDaS1E_S1F_EUlS1E_E_NS1_11comp_targetILNS1_3genE9ELNS1_11target_archE1100ELNS1_3gpuE3ELNS1_3repE0EEENS1_30default_config_static_selectorELNS0_4arch9wavefront6targetE1EEEvT1_,"axG",@progbits,_ZN7rocprim17ROCPRIM_400000_NS6detail17trampoline_kernelINS0_14default_configENS1_25partition_config_selectorILNS1_17partition_subalgoE2ExNS0_10empty_typeEbEEZZNS1_14partition_implILS5_2ELb0ES3_jN6thrust23THRUST_200600_302600_NS6detail15normal_iteratorINSA_7pointerIxNSA_11hip_rocprim3tagENSA_11use_defaultESG_EEEEPS6_NSA_18transform_iteratorI10is_orderedNSA_12zip_iteratorINSA_5tupleINSC_INSA_10device_ptrIxEEEESQ_NSA_9null_typeESR_SR_SR_SR_SR_SR_SR_EEEESG_SG_EENS0_5tupleIJPxSJ_EEENSV_IJSJ_SJ_EEES6_PlJS6_EEE10hipError_tPvRmT3_T4_T5_T6_T7_T9_mT8_P12ihipStream_tbDpT10_ENKUlT_T0_E_clISt17integral_constantIbLb0EES1I_IbLb1EEEEDaS1E_S1F_EUlS1E_E_NS1_11comp_targetILNS1_3genE9ELNS1_11target_archE1100ELNS1_3gpuE3ELNS1_3repE0EEENS1_30default_config_static_selectorELNS0_4arch9wavefront6targetE1EEEvT1_,comdat
	.protected	_ZN7rocprim17ROCPRIM_400000_NS6detail17trampoline_kernelINS0_14default_configENS1_25partition_config_selectorILNS1_17partition_subalgoE2ExNS0_10empty_typeEbEEZZNS1_14partition_implILS5_2ELb0ES3_jN6thrust23THRUST_200600_302600_NS6detail15normal_iteratorINSA_7pointerIxNSA_11hip_rocprim3tagENSA_11use_defaultESG_EEEEPS6_NSA_18transform_iteratorI10is_orderedNSA_12zip_iteratorINSA_5tupleINSC_INSA_10device_ptrIxEEEESQ_NSA_9null_typeESR_SR_SR_SR_SR_SR_SR_EEEESG_SG_EENS0_5tupleIJPxSJ_EEENSV_IJSJ_SJ_EEES6_PlJS6_EEE10hipError_tPvRmT3_T4_T5_T6_T7_T9_mT8_P12ihipStream_tbDpT10_ENKUlT_T0_E_clISt17integral_constantIbLb0EES1I_IbLb1EEEEDaS1E_S1F_EUlS1E_E_NS1_11comp_targetILNS1_3genE9ELNS1_11target_archE1100ELNS1_3gpuE3ELNS1_3repE0EEENS1_30default_config_static_selectorELNS0_4arch9wavefront6targetE1EEEvT1_ ; -- Begin function _ZN7rocprim17ROCPRIM_400000_NS6detail17trampoline_kernelINS0_14default_configENS1_25partition_config_selectorILNS1_17partition_subalgoE2ExNS0_10empty_typeEbEEZZNS1_14partition_implILS5_2ELb0ES3_jN6thrust23THRUST_200600_302600_NS6detail15normal_iteratorINSA_7pointerIxNSA_11hip_rocprim3tagENSA_11use_defaultESG_EEEEPS6_NSA_18transform_iteratorI10is_orderedNSA_12zip_iteratorINSA_5tupleINSC_INSA_10device_ptrIxEEEESQ_NSA_9null_typeESR_SR_SR_SR_SR_SR_SR_EEEESG_SG_EENS0_5tupleIJPxSJ_EEENSV_IJSJ_SJ_EEES6_PlJS6_EEE10hipError_tPvRmT3_T4_T5_T6_T7_T9_mT8_P12ihipStream_tbDpT10_ENKUlT_T0_E_clISt17integral_constantIbLb0EES1I_IbLb1EEEEDaS1E_S1F_EUlS1E_E_NS1_11comp_targetILNS1_3genE9ELNS1_11target_archE1100ELNS1_3gpuE3ELNS1_3repE0EEENS1_30default_config_static_selectorELNS0_4arch9wavefront6targetE1EEEvT1_
	.globl	_ZN7rocprim17ROCPRIM_400000_NS6detail17trampoline_kernelINS0_14default_configENS1_25partition_config_selectorILNS1_17partition_subalgoE2ExNS0_10empty_typeEbEEZZNS1_14partition_implILS5_2ELb0ES3_jN6thrust23THRUST_200600_302600_NS6detail15normal_iteratorINSA_7pointerIxNSA_11hip_rocprim3tagENSA_11use_defaultESG_EEEEPS6_NSA_18transform_iteratorI10is_orderedNSA_12zip_iteratorINSA_5tupleINSC_INSA_10device_ptrIxEEEESQ_NSA_9null_typeESR_SR_SR_SR_SR_SR_SR_EEEESG_SG_EENS0_5tupleIJPxSJ_EEENSV_IJSJ_SJ_EEES6_PlJS6_EEE10hipError_tPvRmT3_T4_T5_T6_T7_T9_mT8_P12ihipStream_tbDpT10_ENKUlT_T0_E_clISt17integral_constantIbLb0EES1I_IbLb1EEEEDaS1E_S1F_EUlS1E_E_NS1_11comp_targetILNS1_3genE9ELNS1_11target_archE1100ELNS1_3gpuE3ELNS1_3repE0EEENS1_30default_config_static_selectorELNS0_4arch9wavefront6targetE1EEEvT1_
	.p2align	8
	.type	_ZN7rocprim17ROCPRIM_400000_NS6detail17trampoline_kernelINS0_14default_configENS1_25partition_config_selectorILNS1_17partition_subalgoE2ExNS0_10empty_typeEbEEZZNS1_14partition_implILS5_2ELb0ES3_jN6thrust23THRUST_200600_302600_NS6detail15normal_iteratorINSA_7pointerIxNSA_11hip_rocprim3tagENSA_11use_defaultESG_EEEEPS6_NSA_18transform_iteratorI10is_orderedNSA_12zip_iteratorINSA_5tupleINSC_INSA_10device_ptrIxEEEESQ_NSA_9null_typeESR_SR_SR_SR_SR_SR_SR_EEEESG_SG_EENS0_5tupleIJPxSJ_EEENSV_IJSJ_SJ_EEES6_PlJS6_EEE10hipError_tPvRmT3_T4_T5_T6_T7_T9_mT8_P12ihipStream_tbDpT10_ENKUlT_T0_E_clISt17integral_constantIbLb0EES1I_IbLb1EEEEDaS1E_S1F_EUlS1E_E_NS1_11comp_targetILNS1_3genE9ELNS1_11target_archE1100ELNS1_3gpuE3ELNS1_3repE0EEENS1_30default_config_static_selectorELNS0_4arch9wavefront6targetE1EEEvT1_,@function
_ZN7rocprim17ROCPRIM_400000_NS6detail17trampoline_kernelINS0_14default_configENS1_25partition_config_selectorILNS1_17partition_subalgoE2ExNS0_10empty_typeEbEEZZNS1_14partition_implILS5_2ELb0ES3_jN6thrust23THRUST_200600_302600_NS6detail15normal_iteratorINSA_7pointerIxNSA_11hip_rocprim3tagENSA_11use_defaultESG_EEEEPS6_NSA_18transform_iteratorI10is_orderedNSA_12zip_iteratorINSA_5tupleINSC_INSA_10device_ptrIxEEEESQ_NSA_9null_typeESR_SR_SR_SR_SR_SR_SR_EEEESG_SG_EENS0_5tupleIJPxSJ_EEENSV_IJSJ_SJ_EEES6_PlJS6_EEE10hipError_tPvRmT3_T4_T5_T6_T7_T9_mT8_P12ihipStream_tbDpT10_ENKUlT_T0_E_clISt17integral_constantIbLb0EES1I_IbLb1EEEEDaS1E_S1F_EUlS1E_E_NS1_11comp_targetILNS1_3genE9ELNS1_11target_archE1100ELNS1_3gpuE3ELNS1_3repE0EEENS1_30default_config_static_selectorELNS0_4arch9wavefront6targetE1EEEvT1_: ; @_ZN7rocprim17ROCPRIM_400000_NS6detail17trampoline_kernelINS0_14default_configENS1_25partition_config_selectorILNS1_17partition_subalgoE2ExNS0_10empty_typeEbEEZZNS1_14partition_implILS5_2ELb0ES3_jN6thrust23THRUST_200600_302600_NS6detail15normal_iteratorINSA_7pointerIxNSA_11hip_rocprim3tagENSA_11use_defaultESG_EEEEPS6_NSA_18transform_iteratorI10is_orderedNSA_12zip_iteratorINSA_5tupleINSC_INSA_10device_ptrIxEEEESQ_NSA_9null_typeESR_SR_SR_SR_SR_SR_SR_EEEESG_SG_EENS0_5tupleIJPxSJ_EEENSV_IJSJ_SJ_EEES6_PlJS6_EEE10hipError_tPvRmT3_T4_T5_T6_T7_T9_mT8_P12ihipStream_tbDpT10_ENKUlT_T0_E_clISt17integral_constantIbLb0EES1I_IbLb1EEEEDaS1E_S1F_EUlS1E_E_NS1_11comp_targetILNS1_3genE9ELNS1_11target_archE1100ELNS1_3gpuE3ELNS1_3repE0EEENS1_30default_config_static_selectorELNS0_4arch9wavefront6targetE1EEEvT1_
; %bb.0:
	.section	.rodata,"a",@progbits
	.p2align	6, 0x0
	.amdhsa_kernel _ZN7rocprim17ROCPRIM_400000_NS6detail17trampoline_kernelINS0_14default_configENS1_25partition_config_selectorILNS1_17partition_subalgoE2ExNS0_10empty_typeEbEEZZNS1_14partition_implILS5_2ELb0ES3_jN6thrust23THRUST_200600_302600_NS6detail15normal_iteratorINSA_7pointerIxNSA_11hip_rocprim3tagENSA_11use_defaultESG_EEEEPS6_NSA_18transform_iteratorI10is_orderedNSA_12zip_iteratorINSA_5tupleINSC_INSA_10device_ptrIxEEEESQ_NSA_9null_typeESR_SR_SR_SR_SR_SR_SR_EEEESG_SG_EENS0_5tupleIJPxSJ_EEENSV_IJSJ_SJ_EEES6_PlJS6_EEE10hipError_tPvRmT3_T4_T5_T6_T7_T9_mT8_P12ihipStream_tbDpT10_ENKUlT_T0_E_clISt17integral_constantIbLb0EES1I_IbLb1EEEEDaS1E_S1F_EUlS1E_E_NS1_11comp_targetILNS1_3genE9ELNS1_11target_archE1100ELNS1_3gpuE3ELNS1_3repE0EEENS1_30default_config_static_selectorELNS0_4arch9wavefront6targetE1EEEvT1_
		.amdhsa_group_segment_fixed_size 0
		.amdhsa_private_segment_fixed_size 0
		.amdhsa_kernarg_size 152
		.amdhsa_user_sgpr_count 6
		.amdhsa_user_sgpr_private_segment_buffer 1
		.amdhsa_user_sgpr_dispatch_ptr 0
		.amdhsa_user_sgpr_queue_ptr 0
		.amdhsa_user_sgpr_kernarg_segment_ptr 1
		.amdhsa_user_sgpr_dispatch_id 0
		.amdhsa_user_sgpr_flat_scratch_init 0
		.amdhsa_user_sgpr_kernarg_preload_length 0
		.amdhsa_user_sgpr_kernarg_preload_offset 0
		.amdhsa_user_sgpr_private_segment_size 0
		.amdhsa_uses_dynamic_stack 0
		.amdhsa_system_sgpr_private_segment_wavefront_offset 0
		.amdhsa_system_sgpr_workgroup_id_x 1
		.amdhsa_system_sgpr_workgroup_id_y 0
		.amdhsa_system_sgpr_workgroup_id_z 0
		.amdhsa_system_sgpr_workgroup_info 0
		.amdhsa_system_vgpr_workitem_id 0
		.amdhsa_next_free_vgpr 1
		.amdhsa_next_free_sgpr 0
		.amdhsa_accum_offset 4
		.amdhsa_reserve_vcc 0
		.amdhsa_reserve_flat_scratch 0
		.amdhsa_float_round_mode_32 0
		.amdhsa_float_round_mode_16_64 0
		.amdhsa_float_denorm_mode_32 3
		.amdhsa_float_denorm_mode_16_64 3
		.amdhsa_dx10_clamp 1
		.amdhsa_ieee_mode 1
		.amdhsa_fp16_overflow 0
		.amdhsa_tg_split 0
		.amdhsa_exception_fp_ieee_invalid_op 0
		.amdhsa_exception_fp_denorm_src 0
		.amdhsa_exception_fp_ieee_div_zero 0
		.amdhsa_exception_fp_ieee_overflow 0
		.amdhsa_exception_fp_ieee_underflow 0
		.amdhsa_exception_fp_ieee_inexact 0
		.amdhsa_exception_int_div_zero 0
	.end_amdhsa_kernel
	.section	.text._ZN7rocprim17ROCPRIM_400000_NS6detail17trampoline_kernelINS0_14default_configENS1_25partition_config_selectorILNS1_17partition_subalgoE2ExNS0_10empty_typeEbEEZZNS1_14partition_implILS5_2ELb0ES3_jN6thrust23THRUST_200600_302600_NS6detail15normal_iteratorINSA_7pointerIxNSA_11hip_rocprim3tagENSA_11use_defaultESG_EEEEPS6_NSA_18transform_iteratorI10is_orderedNSA_12zip_iteratorINSA_5tupleINSC_INSA_10device_ptrIxEEEESQ_NSA_9null_typeESR_SR_SR_SR_SR_SR_SR_EEEESG_SG_EENS0_5tupleIJPxSJ_EEENSV_IJSJ_SJ_EEES6_PlJS6_EEE10hipError_tPvRmT3_T4_T5_T6_T7_T9_mT8_P12ihipStream_tbDpT10_ENKUlT_T0_E_clISt17integral_constantIbLb0EES1I_IbLb1EEEEDaS1E_S1F_EUlS1E_E_NS1_11comp_targetILNS1_3genE9ELNS1_11target_archE1100ELNS1_3gpuE3ELNS1_3repE0EEENS1_30default_config_static_selectorELNS0_4arch9wavefront6targetE1EEEvT1_,"axG",@progbits,_ZN7rocprim17ROCPRIM_400000_NS6detail17trampoline_kernelINS0_14default_configENS1_25partition_config_selectorILNS1_17partition_subalgoE2ExNS0_10empty_typeEbEEZZNS1_14partition_implILS5_2ELb0ES3_jN6thrust23THRUST_200600_302600_NS6detail15normal_iteratorINSA_7pointerIxNSA_11hip_rocprim3tagENSA_11use_defaultESG_EEEEPS6_NSA_18transform_iteratorI10is_orderedNSA_12zip_iteratorINSA_5tupleINSC_INSA_10device_ptrIxEEEESQ_NSA_9null_typeESR_SR_SR_SR_SR_SR_SR_EEEESG_SG_EENS0_5tupleIJPxSJ_EEENSV_IJSJ_SJ_EEES6_PlJS6_EEE10hipError_tPvRmT3_T4_T5_T6_T7_T9_mT8_P12ihipStream_tbDpT10_ENKUlT_T0_E_clISt17integral_constantIbLb0EES1I_IbLb1EEEEDaS1E_S1F_EUlS1E_E_NS1_11comp_targetILNS1_3genE9ELNS1_11target_archE1100ELNS1_3gpuE3ELNS1_3repE0EEENS1_30default_config_static_selectorELNS0_4arch9wavefront6targetE1EEEvT1_,comdat
.Lfunc_end3592:
	.size	_ZN7rocprim17ROCPRIM_400000_NS6detail17trampoline_kernelINS0_14default_configENS1_25partition_config_selectorILNS1_17partition_subalgoE2ExNS0_10empty_typeEbEEZZNS1_14partition_implILS5_2ELb0ES3_jN6thrust23THRUST_200600_302600_NS6detail15normal_iteratorINSA_7pointerIxNSA_11hip_rocprim3tagENSA_11use_defaultESG_EEEEPS6_NSA_18transform_iteratorI10is_orderedNSA_12zip_iteratorINSA_5tupleINSC_INSA_10device_ptrIxEEEESQ_NSA_9null_typeESR_SR_SR_SR_SR_SR_SR_EEEESG_SG_EENS0_5tupleIJPxSJ_EEENSV_IJSJ_SJ_EEES6_PlJS6_EEE10hipError_tPvRmT3_T4_T5_T6_T7_T9_mT8_P12ihipStream_tbDpT10_ENKUlT_T0_E_clISt17integral_constantIbLb0EES1I_IbLb1EEEEDaS1E_S1F_EUlS1E_E_NS1_11comp_targetILNS1_3genE9ELNS1_11target_archE1100ELNS1_3gpuE3ELNS1_3repE0EEENS1_30default_config_static_selectorELNS0_4arch9wavefront6targetE1EEEvT1_, .Lfunc_end3592-_ZN7rocprim17ROCPRIM_400000_NS6detail17trampoline_kernelINS0_14default_configENS1_25partition_config_selectorILNS1_17partition_subalgoE2ExNS0_10empty_typeEbEEZZNS1_14partition_implILS5_2ELb0ES3_jN6thrust23THRUST_200600_302600_NS6detail15normal_iteratorINSA_7pointerIxNSA_11hip_rocprim3tagENSA_11use_defaultESG_EEEEPS6_NSA_18transform_iteratorI10is_orderedNSA_12zip_iteratorINSA_5tupleINSC_INSA_10device_ptrIxEEEESQ_NSA_9null_typeESR_SR_SR_SR_SR_SR_SR_EEEESG_SG_EENS0_5tupleIJPxSJ_EEENSV_IJSJ_SJ_EEES6_PlJS6_EEE10hipError_tPvRmT3_T4_T5_T6_T7_T9_mT8_P12ihipStream_tbDpT10_ENKUlT_T0_E_clISt17integral_constantIbLb0EES1I_IbLb1EEEEDaS1E_S1F_EUlS1E_E_NS1_11comp_targetILNS1_3genE9ELNS1_11target_archE1100ELNS1_3gpuE3ELNS1_3repE0EEENS1_30default_config_static_selectorELNS0_4arch9wavefront6targetE1EEEvT1_
                                        ; -- End function
	.section	.AMDGPU.csdata,"",@progbits
; Kernel info:
; codeLenInByte = 0
; NumSgprs: 4
; NumVgprs: 0
; NumAgprs: 0
; TotalNumVgprs: 0
; ScratchSize: 0
; MemoryBound: 0
; FloatMode: 240
; IeeeMode: 1
; LDSByteSize: 0 bytes/workgroup (compile time only)
; SGPRBlocks: 0
; VGPRBlocks: 0
; NumSGPRsForWavesPerEU: 4
; NumVGPRsForWavesPerEU: 1
; AccumOffset: 4
; Occupancy: 8
; WaveLimiterHint : 0
; COMPUTE_PGM_RSRC2:SCRATCH_EN: 0
; COMPUTE_PGM_RSRC2:USER_SGPR: 6
; COMPUTE_PGM_RSRC2:TRAP_HANDLER: 0
; COMPUTE_PGM_RSRC2:TGID_X_EN: 1
; COMPUTE_PGM_RSRC2:TGID_Y_EN: 0
; COMPUTE_PGM_RSRC2:TGID_Z_EN: 0
; COMPUTE_PGM_RSRC2:TIDIG_COMP_CNT: 0
; COMPUTE_PGM_RSRC3_GFX90A:ACCUM_OFFSET: 0
; COMPUTE_PGM_RSRC3_GFX90A:TG_SPLIT: 0
	.section	.text._ZN7rocprim17ROCPRIM_400000_NS6detail17trampoline_kernelINS0_14default_configENS1_25partition_config_selectorILNS1_17partition_subalgoE2ExNS0_10empty_typeEbEEZZNS1_14partition_implILS5_2ELb0ES3_jN6thrust23THRUST_200600_302600_NS6detail15normal_iteratorINSA_7pointerIxNSA_11hip_rocprim3tagENSA_11use_defaultESG_EEEEPS6_NSA_18transform_iteratorI10is_orderedNSA_12zip_iteratorINSA_5tupleINSC_INSA_10device_ptrIxEEEESQ_NSA_9null_typeESR_SR_SR_SR_SR_SR_SR_EEEESG_SG_EENS0_5tupleIJPxSJ_EEENSV_IJSJ_SJ_EEES6_PlJS6_EEE10hipError_tPvRmT3_T4_T5_T6_T7_T9_mT8_P12ihipStream_tbDpT10_ENKUlT_T0_E_clISt17integral_constantIbLb0EES1I_IbLb1EEEEDaS1E_S1F_EUlS1E_E_NS1_11comp_targetILNS1_3genE8ELNS1_11target_archE1030ELNS1_3gpuE2ELNS1_3repE0EEENS1_30default_config_static_selectorELNS0_4arch9wavefront6targetE1EEEvT1_,"axG",@progbits,_ZN7rocprim17ROCPRIM_400000_NS6detail17trampoline_kernelINS0_14default_configENS1_25partition_config_selectorILNS1_17partition_subalgoE2ExNS0_10empty_typeEbEEZZNS1_14partition_implILS5_2ELb0ES3_jN6thrust23THRUST_200600_302600_NS6detail15normal_iteratorINSA_7pointerIxNSA_11hip_rocprim3tagENSA_11use_defaultESG_EEEEPS6_NSA_18transform_iteratorI10is_orderedNSA_12zip_iteratorINSA_5tupleINSC_INSA_10device_ptrIxEEEESQ_NSA_9null_typeESR_SR_SR_SR_SR_SR_SR_EEEESG_SG_EENS0_5tupleIJPxSJ_EEENSV_IJSJ_SJ_EEES6_PlJS6_EEE10hipError_tPvRmT3_T4_T5_T6_T7_T9_mT8_P12ihipStream_tbDpT10_ENKUlT_T0_E_clISt17integral_constantIbLb0EES1I_IbLb1EEEEDaS1E_S1F_EUlS1E_E_NS1_11comp_targetILNS1_3genE8ELNS1_11target_archE1030ELNS1_3gpuE2ELNS1_3repE0EEENS1_30default_config_static_selectorELNS0_4arch9wavefront6targetE1EEEvT1_,comdat
	.protected	_ZN7rocprim17ROCPRIM_400000_NS6detail17trampoline_kernelINS0_14default_configENS1_25partition_config_selectorILNS1_17partition_subalgoE2ExNS0_10empty_typeEbEEZZNS1_14partition_implILS5_2ELb0ES3_jN6thrust23THRUST_200600_302600_NS6detail15normal_iteratorINSA_7pointerIxNSA_11hip_rocprim3tagENSA_11use_defaultESG_EEEEPS6_NSA_18transform_iteratorI10is_orderedNSA_12zip_iteratorINSA_5tupleINSC_INSA_10device_ptrIxEEEESQ_NSA_9null_typeESR_SR_SR_SR_SR_SR_SR_EEEESG_SG_EENS0_5tupleIJPxSJ_EEENSV_IJSJ_SJ_EEES6_PlJS6_EEE10hipError_tPvRmT3_T4_T5_T6_T7_T9_mT8_P12ihipStream_tbDpT10_ENKUlT_T0_E_clISt17integral_constantIbLb0EES1I_IbLb1EEEEDaS1E_S1F_EUlS1E_E_NS1_11comp_targetILNS1_3genE8ELNS1_11target_archE1030ELNS1_3gpuE2ELNS1_3repE0EEENS1_30default_config_static_selectorELNS0_4arch9wavefront6targetE1EEEvT1_ ; -- Begin function _ZN7rocprim17ROCPRIM_400000_NS6detail17trampoline_kernelINS0_14default_configENS1_25partition_config_selectorILNS1_17partition_subalgoE2ExNS0_10empty_typeEbEEZZNS1_14partition_implILS5_2ELb0ES3_jN6thrust23THRUST_200600_302600_NS6detail15normal_iteratorINSA_7pointerIxNSA_11hip_rocprim3tagENSA_11use_defaultESG_EEEEPS6_NSA_18transform_iteratorI10is_orderedNSA_12zip_iteratorINSA_5tupleINSC_INSA_10device_ptrIxEEEESQ_NSA_9null_typeESR_SR_SR_SR_SR_SR_SR_EEEESG_SG_EENS0_5tupleIJPxSJ_EEENSV_IJSJ_SJ_EEES6_PlJS6_EEE10hipError_tPvRmT3_T4_T5_T6_T7_T9_mT8_P12ihipStream_tbDpT10_ENKUlT_T0_E_clISt17integral_constantIbLb0EES1I_IbLb1EEEEDaS1E_S1F_EUlS1E_E_NS1_11comp_targetILNS1_3genE8ELNS1_11target_archE1030ELNS1_3gpuE2ELNS1_3repE0EEENS1_30default_config_static_selectorELNS0_4arch9wavefront6targetE1EEEvT1_
	.globl	_ZN7rocprim17ROCPRIM_400000_NS6detail17trampoline_kernelINS0_14default_configENS1_25partition_config_selectorILNS1_17partition_subalgoE2ExNS0_10empty_typeEbEEZZNS1_14partition_implILS5_2ELb0ES3_jN6thrust23THRUST_200600_302600_NS6detail15normal_iteratorINSA_7pointerIxNSA_11hip_rocprim3tagENSA_11use_defaultESG_EEEEPS6_NSA_18transform_iteratorI10is_orderedNSA_12zip_iteratorINSA_5tupleINSC_INSA_10device_ptrIxEEEESQ_NSA_9null_typeESR_SR_SR_SR_SR_SR_SR_EEEESG_SG_EENS0_5tupleIJPxSJ_EEENSV_IJSJ_SJ_EEES6_PlJS6_EEE10hipError_tPvRmT3_T4_T5_T6_T7_T9_mT8_P12ihipStream_tbDpT10_ENKUlT_T0_E_clISt17integral_constantIbLb0EES1I_IbLb1EEEEDaS1E_S1F_EUlS1E_E_NS1_11comp_targetILNS1_3genE8ELNS1_11target_archE1030ELNS1_3gpuE2ELNS1_3repE0EEENS1_30default_config_static_selectorELNS0_4arch9wavefront6targetE1EEEvT1_
	.p2align	8
	.type	_ZN7rocprim17ROCPRIM_400000_NS6detail17trampoline_kernelINS0_14default_configENS1_25partition_config_selectorILNS1_17partition_subalgoE2ExNS0_10empty_typeEbEEZZNS1_14partition_implILS5_2ELb0ES3_jN6thrust23THRUST_200600_302600_NS6detail15normal_iteratorINSA_7pointerIxNSA_11hip_rocprim3tagENSA_11use_defaultESG_EEEEPS6_NSA_18transform_iteratorI10is_orderedNSA_12zip_iteratorINSA_5tupleINSC_INSA_10device_ptrIxEEEESQ_NSA_9null_typeESR_SR_SR_SR_SR_SR_SR_EEEESG_SG_EENS0_5tupleIJPxSJ_EEENSV_IJSJ_SJ_EEES6_PlJS6_EEE10hipError_tPvRmT3_T4_T5_T6_T7_T9_mT8_P12ihipStream_tbDpT10_ENKUlT_T0_E_clISt17integral_constantIbLb0EES1I_IbLb1EEEEDaS1E_S1F_EUlS1E_E_NS1_11comp_targetILNS1_3genE8ELNS1_11target_archE1030ELNS1_3gpuE2ELNS1_3repE0EEENS1_30default_config_static_selectorELNS0_4arch9wavefront6targetE1EEEvT1_,@function
_ZN7rocprim17ROCPRIM_400000_NS6detail17trampoline_kernelINS0_14default_configENS1_25partition_config_selectorILNS1_17partition_subalgoE2ExNS0_10empty_typeEbEEZZNS1_14partition_implILS5_2ELb0ES3_jN6thrust23THRUST_200600_302600_NS6detail15normal_iteratorINSA_7pointerIxNSA_11hip_rocprim3tagENSA_11use_defaultESG_EEEEPS6_NSA_18transform_iteratorI10is_orderedNSA_12zip_iteratorINSA_5tupleINSC_INSA_10device_ptrIxEEEESQ_NSA_9null_typeESR_SR_SR_SR_SR_SR_SR_EEEESG_SG_EENS0_5tupleIJPxSJ_EEENSV_IJSJ_SJ_EEES6_PlJS6_EEE10hipError_tPvRmT3_T4_T5_T6_T7_T9_mT8_P12ihipStream_tbDpT10_ENKUlT_T0_E_clISt17integral_constantIbLb0EES1I_IbLb1EEEEDaS1E_S1F_EUlS1E_E_NS1_11comp_targetILNS1_3genE8ELNS1_11target_archE1030ELNS1_3gpuE2ELNS1_3repE0EEENS1_30default_config_static_selectorELNS0_4arch9wavefront6targetE1EEEvT1_: ; @_ZN7rocprim17ROCPRIM_400000_NS6detail17trampoline_kernelINS0_14default_configENS1_25partition_config_selectorILNS1_17partition_subalgoE2ExNS0_10empty_typeEbEEZZNS1_14partition_implILS5_2ELb0ES3_jN6thrust23THRUST_200600_302600_NS6detail15normal_iteratorINSA_7pointerIxNSA_11hip_rocprim3tagENSA_11use_defaultESG_EEEEPS6_NSA_18transform_iteratorI10is_orderedNSA_12zip_iteratorINSA_5tupleINSC_INSA_10device_ptrIxEEEESQ_NSA_9null_typeESR_SR_SR_SR_SR_SR_SR_EEEESG_SG_EENS0_5tupleIJPxSJ_EEENSV_IJSJ_SJ_EEES6_PlJS6_EEE10hipError_tPvRmT3_T4_T5_T6_T7_T9_mT8_P12ihipStream_tbDpT10_ENKUlT_T0_E_clISt17integral_constantIbLb0EES1I_IbLb1EEEEDaS1E_S1F_EUlS1E_E_NS1_11comp_targetILNS1_3genE8ELNS1_11target_archE1030ELNS1_3gpuE2ELNS1_3repE0EEENS1_30default_config_static_selectorELNS0_4arch9wavefront6targetE1EEEvT1_
; %bb.0:
	.section	.rodata,"a",@progbits
	.p2align	6, 0x0
	.amdhsa_kernel _ZN7rocprim17ROCPRIM_400000_NS6detail17trampoline_kernelINS0_14default_configENS1_25partition_config_selectorILNS1_17partition_subalgoE2ExNS0_10empty_typeEbEEZZNS1_14partition_implILS5_2ELb0ES3_jN6thrust23THRUST_200600_302600_NS6detail15normal_iteratorINSA_7pointerIxNSA_11hip_rocprim3tagENSA_11use_defaultESG_EEEEPS6_NSA_18transform_iteratorI10is_orderedNSA_12zip_iteratorINSA_5tupleINSC_INSA_10device_ptrIxEEEESQ_NSA_9null_typeESR_SR_SR_SR_SR_SR_SR_EEEESG_SG_EENS0_5tupleIJPxSJ_EEENSV_IJSJ_SJ_EEES6_PlJS6_EEE10hipError_tPvRmT3_T4_T5_T6_T7_T9_mT8_P12ihipStream_tbDpT10_ENKUlT_T0_E_clISt17integral_constantIbLb0EES1I_IbLb1EEEEDaS1E_S1F_EUlS1E_E_NS1_11comp_targetILNS1_3genE8ELNS1_11target_archE1030ELNS1_3gpuE2ELNS1_3repE0EEENS1_30default_config_static_selectorELNS0_4arch9wavefront6targetE1EEEvT1_
		.amdhsa_group_segment_fixed_size 0
		.amdhsa_private_segment_fixed_size 0
		.amdhsa_kernarg_size 152
		.amdhsa_user_sgpr_count 6
		.amdhsa_user_sgpr_private_segment_buffer 1
		.amdhsa_user_sgpr_dispatch_ptr 0
		.amdhsa_user_sgpr_queue_ptr 0
		.amdhsa_user_sgpr_kernarg_segment_ptr 1
		.amdhsa_user_sgpr_dispatch_id 0
		.amdhsa_user_sgpr_flat_scratch_init 0
		.amdhsa_user_sgpr_kernarg_preload_length 0
		.amdhsa_user_sgpr_kernarg_preload_offset 0
		.amdhsa_user_sgpr_private_segment_size 0
		.amdhsa_uses_dynamic_stack 0
		.amdhsa_system_sgpr_private_segment_wavefront_offset 0
		.amdhsa_system_sgpr_workgroup_id_x 1
		.amdhsa_system_sgpr_workgroup_id_y 0
		.amdhsa_system_sgpr_workgroup_id_z 0
		.amdhsa_system_sgpr_workgroup_info 0
		.amdhsa_system_vgpr_workitem_id 0
		.amdhsa_next_free_vgpr 1
		.amdhsa_next_free_sgpr 0
		.amdhsa_accum_offset 4
		.amdhsa_reserve_vcc 0
		.amdhsa_reserve_flat_scratch 0
		.amdhsa_float_round_mode_32 0
		.amdhsa_float_round_mode_16_64 0
		.amdhsa_float_denorm_mode_32 3
		.amdhsa_float_denorm_mode_16_64 3
		.amdhsa_dx10_clamp 1
		.amdhsa_ieee_mode 1
		.amdhsa_fp16_overflow 0
		.amdhsa_tg_split 0
		.amdhsa_exception_fp_ieee_invalid_op 0
		.amdhsa_exception_fp_denorm_src 0
		.amdhsa_exception_fp_ieee_div_zero 0
		.amdhsa_exception_fp_ieee_overflow 0
		.amdhsa_exception_fp_ieee_underflow 0
		.amdhsa_exception_fp_ieee_inexact 0
		.amdhsa_exception_int_div_zero 0
	.end_amdhsa_kernel
	.section	.text._ZN7rocprim17ROCPRIM_400000_NS6detail17trampoline_kernelINS0_14default_configENS1_25partition_config_selectorILNS1_17partition_subalgoE2ExNS0_10empty_typeEbEEZZNS1_14partition_implILS5_2ELb0ES3_jN6thrust23THRUST_200600_302600_NS6detail15normal_iteratorINSA_7pointerIxNSA_11hip_rocprim3tagENSA_11use_defaultESG_EEEEPS6_NSA_18transform_iteratorI10is_orderedNSA_12zip_iteratorINSA_5tupleINSC_INSA_10device_ptrIxEEEESQ_NSA_9null_typeESR_SR_SR_SR_SR_SR_SR_EEEESG_SG_EENS0_5tupleIJPxSJ_EEENSV_IJSJ_SJ_EEES6_PlJS6_EEE10hipError_tPvRmT3_T4_T5_T6_T7_T9_mT8_P12ihipStream_tbDpT10_ENKUlT_T0_E_clISt17integral_constantIbLb0EES1I_IbLb1EEEEDaS1E_S1F_EUlS1E_E_NS1_11comp_targetILNS1_3genE8ELNS1_11target_archE1030ELNS1_3gpuE2ELNS1_3repE0EEENS1_30default_config_static_selectorELNS0_4arch9wavefront6targetE1EEEvT1_,"axG",@progbits,_ZN7rocprim17ROCPRIM_400000_NS6detail17trampoline_kernelINS0_14default_configENS1_25partition_config_selectorILNS1_17partition_subalgoE2ExNS0_10empty_typeEbEEZZNS1_14partition_implILS5_2ELb0ES3_jN6thrust23THRUST_200600_302600_NS6detail15normal_iteratorINSA_7pointerIxNSA_11hip_rocprim3tagENSA_11use_defaultESG_EEEEPS6_NSA_18transform_iteratorI10is_orderedNSA_12zip_iteratorINSA_5tupleINSC_INSA_10device_ptrIxEEEESQ_NSA_9null_typeESR_SR_SR_SR_SR_SR_SR_EEEESG_SG_EENS0_5tupleIJPxSJ_EEENSV_IJSJ_SJ_EEES6_PlJS6_EEE10hipError_tPvRmT3_T4_T5_T6_T7_T9_mT8_P12ihipStream_tbDpT10_ENKUlT_T0_E_clISt17integral_constantIbLb0EES1I_IbLb1EEEEDaS1E_S1F_EUlS1E_E_NS1_11comp_targetILNS1_3genE8ELNS1_11target_archE1030ELNS1_3gpuE2ELNS1_3repE0EEENS1_30default_config_static_selectorELNS0_4arch9wavefront6targetE1EEEvT1_,comdat
.Lfunc_end3593:
	.size	_ZN7rocprim17ROCPRIM_400000_NS6detail17trampoline_kernelINS0_14default_configENS1_25partition_config_selectorILNS1_17partition_subalgoE2ExNS0_10empty_typeEbEEZZNS1_14partition_implILS5_2ELb0ES3_jN6thrust23THRUST_200600_302600_NS6detail15normal_iteratorINSA_7pointerIxNSA_11hip_rocprim3tagENSA_11use_defaultESG_EEEEPS6_NSA_18transform_iteratorI10is_orderedNSA_12zip_iteratorINSA_5tupleINSC_INSA_10device_ptrIxEEEESQ_NSA_9null_typeESR_SR_SR_SR_SR_SR_SR_EEEESG_SG_EENS0_5tupleIJPxSJ_EEENSV_IJSJ_SJ_EEES6_PlJS6_EEE10hipError_tPvRmT3_T4_T5_T6_T7_T9_mT8_P12ihipStream_tbDpT10_ENKUlT_T0_E_clISt17integral_constantIbLb0EES1I_IbLb1EEEEDaS1E_S1F_EUlS1E_E_NS1_11comp_targetILNS1_3genE8ELNS1_11target_archE1030ELNS1_3gpuE2ELNS1_3repE0EEENS1_30default_config_static_selectorELNS0_4arch9wavefront6targetE1EEEvT1_, .Lfunc_end3593-_ZN7rocprim17ROCPRIM_400000_NS6detail17trampoline_kernelINS0_14default_configENS1_25partition_config_selectorILNS1_17partition_subalgoE2ExNS0_10empty_typeEbEEZZNS1_14partition_implILS5_2ELb0ES3_jN6thrust23THRUST_200600_302600_NS6detail15normal_iteratorINSA_7pointerIxNSA_11hip_rocprim3tagENSA_11use_defaultESG_EEEEPS6_NSA_18transform_iteratorI10is_orderedNSA_12zip_iteratorINSA_5tupleINSC_INSA_10device_ptrIxEEEESQ_NSA_9null_typeESR_SR_SR_SR_SR_SR_SR_EEEESG_SG_EENS0_5tupleIJPxSJ_EEENSV_IJSJ_SJ_EEES6_PlJS6_EEE10hipError_tPvRmT3_T4_T5_T6_T7_T9_mT8_P12ihipStream_tbDpT10_ENKUlT_T0_E_clISt17integral_constantIbLb0EES1I_IbLb1EEEEDaS1E_S1F_EUlS1E_E_NS1_11comp_targetILNS1_3genE8ELNS1_11target_archE1030ELNS1_3gpuE2ELNS1_3repE0EEENS1_30default_config_static_selectorELNS0_4arch9wavefront6targetE1EEEvT1_
                                        ; -- End function
	.section	.AMDGPU.csdata,"",@progbits
; Kernel info:
; codeLenInByte = 0
; NumSgprs: 4
; NumVgprs: 0
; NumAgprs: 0
; TotalNumVgprs: 0
; ScratchSize: 0
; MemoryBound: 0
; FloatMode: 240
; IeeeMode: 1
; LDSByteSize: 0 bytes/workgroup (compile time only)
; SGPRBlocks: 0
; VGPRBlocks: 0
; NumSGPRsForWavesPerEU: 4
; NumVGPRsForWavesPerEU: 1
; AccumOffset: 4
; Occupancy: 8
; WaveLimiterHint : 0
; COMPUTE_PGM_RSRC2:SCRATCH_EN: 0
; COMPUTE_PGM_RSRC2:USER_SGPR: 6
; COMPUTE_PGM_RSRC2:TRAP_HANDLER: 0
; COMPUTE_PGM_RSRC2:TGID_X_EN: 1
; COMPUTE_PGM_RSRC2:TGID_Y_EN: 0
; COMPUTE_PGM_RSRC2:TGID_Z_EN: 0
; COMPUTE_PGM_RSRC2:TIDIG_COMP_CNT: 0
; COMPUTE_PGM_RSRC3_GFX90A:ACCUM_OFFSET: 0
; COMPUTE_PGM_RSRC3_GFX90A:TG_SPLIT: 0
	.section	.text._ZN7rocprim17ROCPRIM_400000_NS6detail17trampoline_kernelINS0_14default_configENS1_25partition_config_selectorILNS1_17partition_subalgoE2EiNS0_10empty_typeEbEEZZNS1_14partition_implILS5_2ELb0ES3_jN6thrust23THRUST_200600_302600_NS6detail15normal_iteratorINSA_7pointerIiNSA_11hip_rocprim3tagENSA_11use_defaultESG_EEEEPS6_NSA_18transform_iteratorI10is_orderedNSA_12zip_iteratorINSA_5tupleINSC_INSA_10device_ptrIiEEEESQ_NSA_9null_typeESR_SR_SR_SR_SR_SR_SR_EEEESG_SG_EENS0_5tupleIJPiSJ_EEENSV_IJSJ_SJ_EEES6_PlJS6_EEE10hipError_tPvRmT3_T4_T5_T6_T7_T9_mT8_P12ihipStream_tbDpT10_ENKUlT_T0_E_clISt17integral_constantIbLb0EES1J_EEDaS1E_S1F_EUlS1E_E_NS1_11comp_targetILNS1_3genE0ELNS1_11target_archE4294967295ELNS1_3gpuE0ELNS1_3repE0EEENS1_30default_config_static_selectorELNS0_4arch9wavefront6targetE1EEEvT1_,"axG",@progbits,_ZN7rocprim17ROCPRIM_400000_NS6detail17trampoline_kernelINS0_14default_configENS1_25partition_config_selectorILNS1_17partition_subalgoE2EiNS0_10empty_typeEbEEZZNS1_14partition_implILS5_2ELb0ES3_jN6thrust23THRUST_200600_302600_NS6detail15normal_iteratorINSA_7pointerIiNSA_11hip_rocprim3tagENSA_11use_defaultESG_EEEEPS6_NSA_18transform_iteratorI10is_orderedNSA_12zip_iteratorINSA_5tupleINSC_INSA_10device_ptrIiEEEESQ_NSA_9null_typeESR_SR_SR_SR_SR_SR_SR_EEEESG_SG_EENS0_5tupleIJPiSJ_EEENSV_IJSJ_SJ_EEES6_PlJS6_EEE10hipError_tPvRmT3_T4_T5_T6_T7_T9_mT8_P12ihipStream_tbDpT10_ENKUlT_T0_E_clISt17integral_constantIbLb0EES1J_EEDaS1E_S1F_EUlS1E_E_NS1_11comp_targetILNS1_3genE0ELNS1_11target_archE4294967295ELNS1_3gpuE0ELNS1_3repE0EEENS1_30default_config_static_selectorELNS0_4arch9wavefront6targetE1EEEvT1_,comdat
	.protected	_ZN7rocprim17ROCPRIM_400000_NS6detail17trampoline_kernelINS0_14default_configENS1_25partition_config_selectorILNS1_17partition_subalgoE2EiNS0_10empty_typeEbEEZZNS1_14partition_implILS5_2ELb0ES3_jN6thrust23THRUST_200600_302600_NS6detail15normal_iteratorINSA_7pointerIiNSA_11hip_rocprim3tagENSA_11use_defaultESG_EEEEPS6_NSA_18transform_iteratorI10is_orderedNSA_12zip_iteratorINSA_5tupleINSC_INSA_10device_ptrIiEEEESQ_NSA_9null_typeESR_SR_SR_SR_SR_SR_SR_EEEESG_SG_EENS0_5tupleIJPiSJ_EEENSV_IJSJ_SJ_EEES6_PlJS6_EEE10hipError_tPvRmT3_T4_T5_T6_T7_T9_mT8_P12ihipStream_tbDpT10_ENKUlT_T0_E_clISt17integral_constantIbLb0EES1J_EEDaS1E_S1F_EUlS1E_E_NS1_11comp_targetILNS1_3genE0ELNS1_11target_archE4294967295ELNS1_3gpuE0ELNS1_3repE0EEENS1_30default_config_static_selectorELNS0_4arch9wavefront6targetE1EEEvT1_ ; -- Begin function _ZN7rocprim17ROCPRIM_400000_NS6detail17trampoline_kernelINS0_14default_configENS1_25partition_config_selectorILNS1_17partition_subalgoE2EiNS0_10empty_typeEbEEZZNS1_14partition_implILS5_2ELb0ES3_jN6thrust23THRUST_200600_302600_NS6detail15normal_iteratorINSA_7pointerIiNSA_11hip_rocprim3tagENSA_11use_defaultESG_EEEEPS6_NSA_18transform_iteratorI10is_orderedNSA_12zip_iteratorINSA_5tupleINSC_INSA_10device_ptrIiEEEESQ_NSA_9null_typeESR_SR_SR_SR_SR_SR_SR_EEEESG_SG_EENS0_5tupleIJPiSJ_EEENSV_IJSJ_SJ_EEES6_PlJS6_EEE10hipError_tPvRmT3_T4_T5_T6_T7_T9_mT8_P12ihipStream_tbDpT10_ENKUlT_T0_E_clISt17integral_constantIbLb0EES1J_EEDaS1E_S1F_EUlS1E_E_NS1_11comp_targetILNS1_3genE0ELNS1_11target_archE4294967295ELNS1_3gpuE0ELNS1_3repE0EEENS1_30default_config_static_selectorELNS0_4arch9wavefront6targetE1EEEvT1_
	.globl	_ZN7rocprim17ROCPRIM_400000_NS6detail17trampoline_kernelINS0_14default_configENS1_25partition_config_selectorILNS1_17partition_subalgoE2EiNS0_10empty_typeEbEEZZNS1_14partition_implILS5_2ELb0ES3_jN6thrust23THRUST_200600_302600_NS6detail15normal_iteratorINSA_7pointerIiNSA_11hip_rocprim3tagENSA_11use_defaultESG_EEEEPS6_NSA_18transform_iteratorI10is_orderedNSA_12zip_iteratorINSA_5tupleINSC_INSA_10device_ptrIiEEEESQ_NSA_9null_typeESR_SR_SR_SR_SR_SR_SR_EEEESG_SG_EENS0_5tupleIJPiSJ_EEENSV_IJSJ_SJ_EEES6_PlJS6_EEE10hipError_tPvRmT3_T4_T5_T6_T7_T9_mT8_P12ihipStream_tbDpT10_ENKUlT_T0_E_clISt17integral_constantIbLb0EES1J_EEDaS1E_S1F_EUlS1E_E_NS1_11comp_targetILNS1_3genE0ELNS1_11target_archE4294967295ELNS1_3gpuE0ELNS1_3repE0EEENS1_30default_config_static_selectorELNS0_4arch9wavefront6targetE1EEEvT1_
	.p2align	8
	.type	_ZN7rocprim17ROCPRIM_400000_NS6detail17trampoline_kernelINS0_14default_configENS1_25partition_config_selectorILNS1_17partition_subalgoE2EiNS0_10empty_typeEbEEZZNS1_14partition_implILS5_2ELb0ES3_jN6thrust23THRUST_200600_302600_NS6detail15normal_iteratorINSA_7pointerIiNSA_11hip_rocprim3tagENSA_11use_defaultESG_EEEEPS6_NSA_18transform_iteratorI10is_orderedNSA_12zip_iteratorINSA_5tupleINSC_INSA_10device_ptrIiEEEESQ_NSA_9null_typeESR_SR_SR_SR_SR_SR_SR_EEEESG_SG_EENS0_5tupleIJPiSJ_EEENSV_IJSJ_SJ_EEES6_PlJS6_EEE10hipError_tPvRmT3_T4_T5_T6_T7_T9_mT8_P12ihipStream_tbDpT10_ENKUlT_T0_E_clISt17integral_constantIbLb0EES1J_EEDaS1E_S1F_EUlS1E_E_NS1_11comp_targetILNS1_3genE0ELNS1_11target_archE4294967295ELNS1_3gpuE0ELNS1_3repE0EEENS1_30default_config_static_selectorELNS0_4arch9wavefront6targetE1EEEvT1_,@function
_ZN7rocprim17ROCPRIM_400000_NS6detail17trampoline_kernelINS0_14default_configENS1_25partition_config_selectorILNS1_17partition_subalgoE2EiNS0_10empty_typeEbEEZZNS1_14partition_implILS5_2ELb0ES3_jN6thrust23THRUST_200600_302600_NS6detail15normal_iteratorINSA_7pointerIiNSA_11hip_rocprim3tagENSA_11use_defaultESG_EEEEPS6_NSA_18transform_iteratorI10is_orderedNSA_12zip_iteratorINSA_5tupleINSC_INSA_10device_ptrIiEEEESQ_NSA_9null_typeESR_SR_SR_SR_SR_SR_SR_EEEESG_SG_EENS0_5tupleIJPiSJ_EEENSV_IJSJ_SJ_EEES6_PlJS6_EEE10hipError_tPvRmT3_T4_T5_T6_T7_T9_mT8_P12ihipStream_tbDpT10_ENKUlT_T0_E_clISt17integral_constantIbLb0EES1J_EEDaS1E_S1F_EUlS1E_E_NS1_11comp_targetILNS1_3genE0ELNS1_11target_archE4294967295ELNS1_3gpuE0ELNS1_3repE0EEENS1_30default_config_static_selectorELNS0_4arch9wavefront6targetE1EEEvT1_: ; @_ZN7rocprim17ROCPRIM_400000_NS6detail17trampoline_kernelINS0_14default_configENS1_25partition_config_selectorILNS1_17partition_subalgoE2EiNS0_10empty_typeEbEEZZNS1_14partition_implILS5_2ELb0ES3_jN6thrust23THRUST_200600_302600_NS6detail15normal_iteratorINSA_7pointerIiNSA_11hip_rocprim3tagENSA_11use_defaultESG_EEEEPS6_NSA_18transform_iteratorI10is_orderedNSA_12zip_iteratorINSA_5tupleINSC_INSA_10device_ptrIiEEEESQ_NSA_9null_typeESR_SR_SR_SR_SR_SR_SR_EEEESG_SG_EENS0_5tupleIJPiSJ_EEENSV_IJSJ_SJ_EEES6_PlJS6_EEE10hipError_tPvRmT3_T4_T5_T6_T7_T9_mT8_P12ihipStream_tbDpT10_ENKUlT_T0_E_clISt17integral_constantIbLb0EES1J_EEDaS1E_S1F_EUlS1E_E_NS1_11comp_targetILNS1_3genE0ELNS1_11target_archE4294967295ELNS1_3gpuE0ELNS1_3repE0EEENS1_30default_config_static_selectorELNS0_4arch9wavefront6targetE1EEEvT1_
; %bb.0:
	.section	.rodata,"a",@progbits
	.p2align	6, 0x0
	.amdhsa_kernel _ZN7rocprim17ROCPRIM_400000_NS6detail17trampoline_kernelINS0_14default_configENS1_25partition_config_selectorILNS1_17partition_subalgoE2EiNS0_10empty_typeEbEEZZNS1_14partition_implILS5_2ELb0ES3_jN6thrust23THRUST_200600_302600_NS6detail15normal_iteratorINSA_7pointerIiNSA_11hip_rocprim3tagENSA_11use_defaultESG_EEEEPS6_NSA_18transform_iteratorI10is_orderedNSA_12zip_iteratorINSA_5tupleINSC_INSA_10device_ptrIiEEEESQ_NSA_9null_typeESR_SR_SR_SR_SR_SR_SR_EEEESG_SG_EENS0_5tupleIJPiSJ_EEENSV_IJSJ_SJ_EEES6_PlJS6_EEE10hipError_tPvRmT3_T4_T5_T6_T7_T9_mT8_P12ihipStream_tbDpT10_ENKUlT_T0_E_clISt17integral_constantIbLb0EES1J_EEDaS1E_S1F_EUlS1E_E_NS1_11comp_targetILNS1_3genE0ELNS1_11target_archE4294967295ELNS1_3gpuE0ELNS1_3repE0EEENS1_30default_config_static_selectorELNS0_4arch9wavefront6targetE1EEEvT1_
		.amdhsa_group_segment_fixed_size 0
		.amdhsa_private_segment_fixed_size 0
		.amdhsa_kernarg_size 136
		.amdhsa_user_sgpr_count 6
		.amdhsa_user_sgpr_private_segment_buffer 1
		.amdhsa_user_sgpr_dispatch_ptr 0
		.amdhsa_user_sgpr_queue_ptr 0
		.amdhsa_user_sgpr_kernarg_segment_ptr 1
		.amdhsa_user_sgpr_dispatch_id 0
		.amdhsa_user_sgpr_flat_scratch_init 0
		.amdhsa_user_sgpr_kernarg_preload_length 0
		.amdhsa_user_sgpr_kernarg_preload_offset 0
		.amdhsa_user_sgpr_private_segment_size 0
		.amdhsa_uses_dynamic_stack 0
		.amdhsa_system_sgpr_private_segment_wavefront_offset 0
		.amdhsa_system_sgpr_workgroup_id_x 1
		.amdhsa_system_sgpr_workgroup_id_y 0
		.amdhsa_system_sgpr_workgroup_id_z 0
		.amdhsa_system_sgpr_workgroup_info 0
		.amdhsa_system_vgpr_workitem_id 0
		.amdhsa_next_free_vgpr 1
		.amdhsa_next_free_sgpr 0
		.amdhsa_accum_offset 4
		.amdhsa_reserve_vcc 0
		.amdhsa_reserve_flat_scratch 0
		.amdhsa_float_round_mode_32 0
		.amdhsa_float_round_mode_16_64 0
		.amdhsa_float_denorm_mode_32 3
		.amdhsa_float_denorm_mode_16_64 3
		.amdhsa_dx10_clamp 1
		.amdhsa_ieee_mode 1
		.amdhsa_fp16_overflow 0
		.amdhsa_tg_split 0
		.amdhsa_exception_fp_ieee_invalid_op 0
		.amdhsa_exception_fp_denorm_src 0
		.amdhsa_exception_fp_ieee_div_zero 0
		.amdhsa_exception_fp_ieee_overflow 0
		.amdhsa_exception_fp_ieee_underflow 0
		.amdhsa_exception_fp_ieee_inexact 0
		.amdhsa_exception_int_div_zero 0
	.end_amdhsa_kernel
	.section	.text._ZN7rocprim17ROCPRIM_400000_NS6detail17trampoline_kernelINS0_14default_configENS1_25partition_config_selectorILNS1_17partition_subalgoE2EiNS0_10empty_typeEbEEZZNS1_14partition_implILS5_2ELb0ES3_jN6thrust23THRUST_200600_302600_NS6detail15normal_iteratorINSA_7pointerIiNSA_11hip_rocprim3tagENSA_11use_defaultESG_EEEEPS6_NSA_18transform_iteratorI10is_orderedNSA_12zip_iteratorINSA_5tupleINSC_INSA_10device_ptrIiEEEESQ_NSA_9null_typeESR_SR_SR_SR_SR_SR_SR_EEEESG_SG_EENS0_5tupleIJPiSJ_EEENSV_IJSJ_SJ_EEES6_PlJS6_EEE10hipError_tPvRmT3_T4_T5_T6_T7_T9_mT8_P12ihipStream_tbDpT10_ENKUlT_T0_E_clISt17integral_constantIbLb0EES1J_EEDaS1E_S1F_EUlS1E_E_NS1_11comp_targetILNS1_3genE0ELNS1_11target_archE4294967295ELNS1_3gpuE0ELNS1_3repE0EEENS1_30default_config_static_selectorELNS0_4arch9wavefront6targetE1EEEvT1_,"axG",@progbits,_ZN7rocprim17ROCPRIM_400000_NS6detail17trampoline_kernelINS0_14default_configENS1_25partition_config_selectorILNS1_17partition_subalgoE2EiNS0_10empty_typeEbEEZZNS1_14partition_implILS5_2ELb0ES3_jN6thrust23THRUST_200600_302600_NS6detail15normal_iteratorINSA_7pointerIiNSA_11hip_rocprim3tagENSA_11use_defaultESG_EEEEPS6_NSA_18transform_iteratorI10is_orderedNSA_12zip_iteratorINSA_5tupleINSC_INSA_10device_ptrIiEEEESQ_NSA_9null_typeESR_SR_SR_SR_SR_SR_SR_EEEESG_SG_EENS0_5tupleIJPiSJ_EEENSV_IJSJ_SJ_EEES6_PlJS6_EEE10hipError_tPvRmT3_T4_T5_T6_T7_T9_mT8_P12ihipStream_tbDpT10_ENKUlT_T0_E_clISt17integral_constantIbLb0EES1J_EEDaS1E_S1F_EUlS1E_E_NS1_11comp_targetILNS1_3genE0ELNS1_11target_archE4294967295ELNS1_3gpuE0ELNS1_3repE0EEENS1_30default_config_static_selectorELNS0_4arch9wavefront6targetE1EEEvT1_,comdat
.Lfunc_end3594:
	.size	_ZN7rocprim17ROCPRIM_400000_NS6detail17trampoline_kernelINS0_14default_configENS1_25partition_config_selectorILNS1_17partition_subalgoE2EiNS0_10empty_typeEbEEZZNS1_14partition_implILS5_2ELb0ES3_jN6thrust23THRUST_200600_302600_NS6detail15normal_iteratorINSA_7pointerIiNSA_11hip_rocprim3tagENSA_11use_defaultESG_EEEEPS6_NSA_18transform_iteratorI10is_orderedNSA_12zip_iteratorINSA_5tupleINSC_INSA_10device_ptrIiEEEESQ_NSA_9null_typeESR_SR_SR_SR_SR_SR_SR_EEEESG_SG_EENS0_5tupleIJPiSJ_EEENSV_IJSJ_SJ_EEES6_PlJS6_EEE10hipError_tPvRmT3_T4_T5_T6_T7_T9_mT8_P12ihipStream_tbDpT10_ENKUlT_T0_E_clISt17integral_constantIbLb0EES1J_EEDaS1E_S1F_EUlS1E_E_NS1_11comp_targetILNS1_3genE0ELNS1_11target_archE4294967295ELNS1_3gpuE0ELNS1_3repE0EEENS1_30default_config_static_selectorELNS0_4arch9wavefront6targetE1EEEvT1_, .Lfunc_end3594-_ZN7rocprim17ROCPRIM_400000_NS6detail17trampoline_kernelINS0_14default_configENS1_25partition_config_selectorILNS1_17partition_subalgoE2EiNS0_10empty_typeEbEEZZNS1_14partition_implILS5_2ELb0ES3_jN6thrust23THRUST_200600_302600_NS6detail15normal_iteratorINSA_7pointerIiNSA_11hip_rocprim3tagENSA_11use_defaultESG_EEEEPS6_NSA_18transform_iteratorI10is_orderedNSA_12zip_iteratorINSA_5tupleINSC_INSA_10device_ptrIiEEEESQ_NSA_9null_typeESR_SR_SR_SR_SR_SR_SR_EEEESG_SG_EENS0_5tupleIJPiSJ_EEENSV_IJSJ_SJ_EEES6_PlJS6_EEE10hipError_tPvRmT3_T4_T5_T6_T7_T9_mT8_P12ihipStream_tbDpT10_ENKUlT_T0_E_clISt17integral_constantIbLb0EES1J_EEDaS1E_S1F_EUlS1E_E_NS1_11comp_targetILNS1_3genE0ELNS1_11target_archE4294967295ELNS1_3gpuE0ELNS1_3repE0EEENS1_30default_config_static_selectorELNS0_4arch9wavefront6targetE1EEEvT1_
                                        ; -- End function
	.section	.AMDGPU.csdata,"",@progbits
; Kernel info:
; codeLenInByte = 0
; NumSgprs: 4
; NumVgprs: 0
; NumAgprs: 0
; TotalNumVgprs: 0
; ScratchSize: 0
; MemoryBound: 0
; FloatMode: 240
; IeeeMode: 1
; LDSByteSize: 0 bytes/workgroup (compile time only)
; SGPRBlocks: 0
; VGPRBlocks: 0
; NumSGPRsForWavesPerEU: 4
; NumVGPRsForWavesPerEU: 1
; AccumOffset: 4
; Occupancy: 8
; WaveLimiterHint : 0
; COMPUTE_PGM_RSRC2:SCRATCH_EN: 0
; COMPUTE_PGM_RSRC2:USER_SGPR: 6
; COMPUTE_PGM_RSRC2:TRAP_HANDLER: 0
; COMPUTE_PGM_RSRC2:TGID_X_EN: 1
; COMPUTE_PGM_RSRC2:TGID_Y_EN: 0
; COMPUTE_PGM_RSRC2:TGID_Z_EN: 0
; COMPUTE_PGM_RSRC2:TIDIG_COMP_CNT: 0
; COMPUTE_PGM_RSRC3_GFX90A:ACCUM_OFFSET: 0
; COMPUTE_PGM_RSRC3_GFX90A:TG_SPLIT: 0
	.section	.text._ZN7rocprim17ROCPRIM_400000_NS6detail17trampoline_kernelINS0_14default_configENS1_25partition_config_selectorILNS1_17partition_subalgoE2EiNS0_10empty_typeEbEEZZNS1_14partition_implILS5_2ELb0ES3_jN6thrust23THRUST_200600_302600_NS6detail15normal_iteratorINSA_7pointerIiNSA_11hip_rocprim3tagENSA_11use_defaultESG_EEEEPS6_NSA_18transform_iteratorI10is_orderedNSA_12zip_iteratorINSA_5tupleINSC_INSA_10device_ptrIiEEEESQ_NSA_9null_typeESR_SR_SR_SR_SR_SR_SR_EEEESG_SG_EENS0_5tupleIJPiSJ_EEENSV_IJSJ_SJ_EEES6_PlJS6_EEE10hipError_tPvRmT3_T4_T5_T6_T7_T9_mT8_P12ihipStream_tbDpT10_ENKUlT_T0_E_clISt17integral_constantIbLb0EES1J_EEDaS1E_S1F_EUlS1E_E_NS1_11comp_targetILNS1_3genE5ELNS1_11target_archE942ELNS1_3gpuE9ELNS1_3repE0EEENS1_30default_config_static_selectorELNS0_4arch9wavefront6targetE1EEEvT1_,"axG",@progbits,_ZN7rocprim17ROCPRIM_400000_NS6detail17trampoline_kernelINS0_14default_configENS1_25partition_config_selectorILNS1_17partition_subalgoE2EiNS0_10empty_typeEbEEZZNS1_14partition_implILS5_2ELb0ES3_jN6thrust23THRUST_200600_302600_NS6detail15normal_iteratorINSA_7pointerIiNSA_11hip_rocprim3tagENSA_11use_defaultESG_EEEEPS6_NSA_18transform_iteratorI10is_orderedNSA_12zip_iteratorINSA_5tupleINSC_INSA_10device_ptrIiEEEESQ_NSA_9null_typeESR_SR_SR_SR_SR_SR_SR_EEEESG_SG_EENS0_5tupleIJPiSJ_EEENSV_IJSJ_SJ_EEES6_PlJS6_EEE10hipError_tPvRmT3_T4_T5_T6_T7_T9_mT8_P12ihipStream_tbDpT10_ENKUlT_T0_E_clISt17integral_constantIbLb0EES1J_EEDaS1E_S1F_EUlS1E_E_NS1_11comp_targetILNS1_3genE5ELNS1_11target_archE942ELNS1_3gpuE9ELNS1_3repE0EEENS1_30default_config_static_selectorELNS0_4arch9wavefront6targetE1EEEvT1_,comdat
	.protected	_ZN7rocprim17ROCPRIM_400000_NS6detail17trampoline_kernelINS0_14default_configENS1_25partition_config_selectorILNS1_17partition_subalgoE2EiNS0_10empty_typeEbEEZZNS1_14partition_implILS5_2ELb0ES3_jN6thrust23THRUST_200600_302600_NS6detail15normal_iteratorINSA_7pointerIiNSA_11hip_rocprim3tagENSA_11use_defaultESG_EEEEPS6_NSA_18transform_iteratorI10is_orderedNSA_12zip_iteratorINSA_5tupleINSC_INSA_10device_ptrIiEEEESQ_NSA_9null_typeESR_SR_SR_SR_SR_SR_SR_EEEESG_SG_EENS0_5tupleIJPiSJ_EEENSV_IJSJ_SJ_EEES6_PlJS6_EEE10hipError_tPvRmT3_T4_T5_T6_T7_T9_mT8_P12ihipStream_tbDpT10_ENKUlT_T0_E_clISt17integral_constantIbLb0EES1J_EEDaS1E_S1F_EUlS1E_E_NS1_11comp_targetILNS1_3genE5ELNS1_11target_archE942ELNS1_3gpuE9ELNS1_3repE0EEENS1_30default_config_static_selectorELNS0_4arch9wavefront6targetE1EEEvT1_ ; -- Begin function _ZN7rocprim17ROCPRIM_400000_NS6detail17trampoline_kernelINS0_14default_configENS1_25partition_config_selectorILNS1_17partition_subalgoE2EiNS0_10empty_typeEbEEZZNS1_14partition_implILS5_2ELb0ES3_jN6thrust23THRUST_200600_302600_NS6detail15normal_iteratorINSA_7pointerIiNSA_11hip_rocprim3tagENSA_11use_defaultESG_EEEEPS6_NSA_18transform_iteratorI10is_orderedNSA_12zip_iteratorINSA_5tupleINSC_INSA_10device_ptrIiEEEESQ_NSA_9null_typeESR_SR_SR_SR_SR_SR_SR_EEEESG_SG_EENS0_5tupleIJPiSJ_EEENSV_IJSJ_SJ_EEES6_PlJS6_EEE10hipError_tPvRmT3_T4_T5_T6_T7_T9_mT8_P12ihipStream_tbDpT10_ENKUlT_T0_E_clISt17integral_constantIbLb0EES1J_EEDaS1E_S1F_EUlS1E_E_NS1_11comp_targetILNS1_3genE5ELNS1_11target_archE942ELNS1_3gpuE9ELNS1_3repE0EEENS1_30default_config_static_selectorELNS0_4arch9wavefront6targetE1EEEvT1_
	.globl	_ZN7rocprim17ROCPRIM_400000_NS6detail17trampoline_kernelINS0_14default_configENS1_25partition_config_selectorILNS1_17partition_subalgoE2EiNS0_10empty_typeEbEEZZNS1_14partition_implILS5_2ELb0ES3_jN6thrust23THRUST_200600_302600_NS6detail15normal_iteratorINSA_7pointerIiNSA_11hip_rocprim3tagENSA_11use_defaultESG_EEEEPS6_NSA_18transform_iteratorI10is_orderedNSA_12zip_iteratorINSA_5tupleINSC_INSA_10device_ptrIiEEEESQ_NSA_9null_typeESR_SR_SR_SR_SR_SR_SR_EEEESG_SG_EENS0_5tupleIJPiSJ_EEENSV_IJSJ_SJ_EEES6_PlJS6_EEE10hipError_tPvRmT3_T4_T5_T6_T7_T9_mT8_P12ihipStream_tbDpT10_ENKUlT_T0_E_clISt17integral_constantIbLb0EES1J_EEDaS1E_S1F_EUlS1E_E_NS1_11comp_targetILNS1_3genE5ELNS1_11target_archE942ELNS1_3gpuE9ELNS1_3repE0EEENS1_30default_config_static_selectorELNS0_4arch9wavefront6targetE1EEEvT1_
	.p2align	8
	.type	_ZN7rocprim17ROCPRIM_400000_NS6detail17trampoline_kernelINS0_14default_configENS1_25partition_config_selectorILNS1_17partition_subalgoE2EiNS0_10empty_typeEbEEZZNS1_14partition_implILS5_2ELb0ES3_jN6thrust23THRUST_200600_302600_NS6detail15normal_iteratorINSA_7pointerIiNSA_11hip_rocprim3tagENSA_11use_defaultESG_EEEEPS6_NSA_18transform_iteratorI10is_orderedNSA_12zip_iteratorINSA_5tupleINSC_INSA_10device_ptrIiEEEESQ_NSA_9null_typeESR_SR_SR_SR_SR_SR_SR_EEEESG_SG_EENS0_5tupleIJPiSJ_EEENSV_IJSJ_SJ_EEES6_PlJS6_EEE10hipError_tPvRmT3_T4_T5_T6_T7_T9_mT8_P12ihipStream_tbDpT10_ENKUlT_T0_E_clISt17integral_constantIbLb0EES1J_EEDaS1E_S1F_EUlS1E_E_NS1_11comp_targetILNS1_3genE5ELNS1_11target_archE942ELNS1_3gpuE9ELNS1_3repE0EEENS1_30default_config_static_selectorELNS0_4arch9wavefront6targetE1EEEvT1_,@function
_ZN7rocprim17ROCPRIM_400000_NS6detail17trampoline_kernelINS0_14default_configENS1_25partition_config_selectorILNS1_17partition_subalgoE2EiNS0_10empty_typeEbEEZZNS1_14partition_implILS5_2ELb0ES3_jN6thrust23THRUST_200600_302600_NS6detail15normal_iteratorINSA_7pointerIiNSA_11hip_rocprim3tagENSA_11use_defaultESG_EEEEPS6_NSA_18transform_iteratorI10is_orderedNSA_12zip_iteratorINSA_5tupleINSC_INSA_10device_ptrIiEEEESQ_NSA_9null_typeESR_SR_SR_SR_SR_SR_SR_EEEESG_SG_EENS0_5tupleIJPiSJ_EEENSV_IJSJ_SJ_EEES6_PlJS6_EEE10hipError_tPvRmT3_T4_T5_T6_T7_T9_mT8_P12ihipStream_tbDpT10_ENKUlT_T0_E_clISt17integral_constantIbLb0EES1J_EEDaS1E_S1F_EUlS1E_E_NS1_11comp_targetILNS1_3genE5ELNS1_11target_archE942ELNS1_3gpuE9ELNS1_3repE0EEENS1_30default_config_static_selectorELNS0_4arch9wavefront6targetE1EEEvT1_: ; @_ZN7rocprim17ROCPRIM_400000_NS6detail17trampoline_kernelINS0_14default_configENS1_25partition_config_selectorILNS1_17partition_subalgoE2EiNS0_10empty_typeEbEEZZNS1_14partition_implILS5_2ELb0ES3_jN6thrust23THRUST_200600_302600_NS6detail15normal_iteratorINSA_7pointerIiNSA_11hip_rocprim3tagENSA_11use_defaultESG_EEEEPS6_NSA_18transform_iteratorI10is_orderedNSA_12zip_iteratorINSA_5tupleINSC_INSA_10device_ptrIiEEEESQ_NSA_9null_typeESR_SR_SR_SR_SR_SR_SR_EEEESG_SG_EENS0_5tupleIJPiSJ_EEENSV_IJSJ_SJ_EEES6_PlJS6_EEE10hipError_tPvRmT3_T4_T5_T6_T7_T9_mT8_P12ihipStream_tbDpT10_ENKUlT_T0_E_clISt17integral_constantIbLb0EES1J_EEDaS1E_S1F_EUlS1E_E_NS1_11comp_targetILNS1_3genE5ELNS1_11target_archE942ELNS1_3gpuE9ELNS1_3repE0EEENS1_30default_config_static_selectorELNS0_4arch9wavefront6targetE1EEEvT1_
; %bb.0:
	.section	.rodata,"a",@progbits
	.p2align	6, 0x0
	.amdhsa_kernel _ZN7rocprim17ROCPRIM_400000_NS6detail17trampoline_kernelINS0_14default_configENS1_25partition_config_selectorILNS1_17partition_subalgoE2EiNS0_10empty_typeEbEEZZNS1_14partition_implILS5_2ELb0ES3_jN6thrust23THRUST_200600_302600_NS6detail15normal_iteratorINSA_7pointerIiNSA_11hip_rocprim3tagENSA_11use_defaultESG_EEEEPS6_NSA_18transform_iteratorI10is_orderedNSA_12zip_iteratorINSA_5tupleINSC_INSA_10device_ptrIiEEEESQ_NSA_9null_typeESR_SR_SR_SR_SR_SR_SR_EEEESG_SG_EENS0_5tupleIJPiSJ_EEENSV_IJSJ_SJ_EEES6_PlJS6_EEE10hipError_tPvRmT3_T4_T5_T6_T7_T9_mT8_P12ihipStream_tbDpT10_ENKUlT_T0_E_clISt17integral_constantIbLb0EES1J_EEDaS1E_S1F_EUlS1E_E_NS1_11comp_targetILNS1_3genE5ELNS1_11target_archE942ELNS1_3gpuE9ELNS1_3repE0EEENS1_30default_config_static_selectorELNS0_4arch9wavefront6targetE1EEEvT1_
		.amdhsa_group_segment_fixed_size 0
		.amdhsa_private_segment_fixed_size 0
		.amdhsa_kernarg_size 136
		.amdhsa_user_sgpr_count 6
		.amdhsa_user_sgpr_private_segment_buffer 1
		.amdhsa_user_sgpr_dispatch_ptr 0
		.amdhsa_user_sgpr_queue_ptr 0
		.amdhsa_user_sgpr_kernarg_segment_ptr 1
		.amdhsa_user_sgpr_dispatch_id 0
		.amdhsa_user_sgpr_flat_scratch_init 0
		.amdhsa_user_sgpr_kernarg_preload_length 0
		.amdhsa_user_sgpr_kernarg_preload_offset 0
		.amdhsa_user_sgpr_private_segment_size 0
		.amdhsa_uses_dynamic_stack 0
		.amdhsa_system_sgpr_private_segment_wavefront_offset 0
		.amdhsa_system_sgpr_workgroup_id_x 1
		.amdhsa_system_sgpr_workgroup_id_y 0
		.amdhsa_system_sgpr_workgroup_id_z 0
		.amdhsa_system_sgpr_workgroup_info 0
		.amdhsa_system_vgpr_workitem_id 0
		.amdhsa_next_free_vgpr 1
		.amdhsa_next_free_sgpr 0
		.amdhsa_accum_offset 4
		.amdhsa_reserve_vcc 0
		.amdhsa_reserve_flat_scratch 0
		.amdhsa_float_round_mode_32 0
		.amdhsa_float_round_mode_16_64 0
		.amdhsa_float_denorm_mode_32 3
		.amdhsa_float_denorm_mode_16_64 3
		.amdhsa_dx10_clamp 1
		.amdhsa_ieee_mode 1
		.amdhsa_fp16_overflow 0
		.amdhsa_tg_split 0
		.amdhsa_exception_fp_ieee_invalid_op 0
		.amdhsa_exception_fp_denorm_src 0
		.amdhsa_exception_fp_ieee_div_zero 0
		.amdhsa_exception_fp_ieee_overflow 0
		.amdhsa_exception_fp_ieee_underflow 0
		.amdhsa_exception_fp_ieee_inexact 0
		.amdhsa_exception_int_div_zero 0
	.end_amdhsa_kernel
	.section	.text._ZN7rocprim17ROCPRIM_400000_NS6detail17trampoline_kernelINS0_14default_configENS1_25partition_config_selectorILNS1_17partition_subalgoE2EiNS0_10empty_typeEbEEZZNS1_14partition_implILS5_2ELb0ES3_jN6thrust23THRUST_200600_302600_NS6detail15normal_iteratorINSA_7pointerIiNSA_11hip_rocprim3tagENSA_11use_defaultESG_EEEEPS6_NSA_18transform_iteratorI10is_orderedNSA_12zip_iteratorINSA_5tupleINSC_INSA_10device_ptrIiEEEESQ_NSA_9null_typeESR_SR_SR_SR_SR_SR_SR_EEEESG_SG_EENS0_5tupleIJPiSJ_EEENSV_IJSJ_SJ_EEES6_PlJS6_EEE10hipError_tPvRmT3_T4_T5_T6_T7_T9_mT8_P12ihipStream_tbDpT10_ENKUlT_T0_E_clISt17integral_constantIbLb0EES1J_EEDaS1E_S1F_EUlS1E_E_NS1_11comp_targetILNS1_3genE5ELNS1_11target_archE942ELNS1_3gpuE9ELNS1_3repE0EEENS1_30default_config_static_selectorELNS0_4arch9wavefront6targetE1EEEvT1_,"axG",@progbits,_ZN7rocprim17ROCPRIM_400000_NS6detail17trampoline_kernelINS0_14default_configENS1_25partition_config_selectorILNS1_17partition_subalgoE2EiNS0_10empty_typeEbEEZZNS1_14partition_implILS5_2ELb0ES3_jN6thrust23THRUST_200600_302600_NS6detail15normal_iteratorINSA_7pointerIiNSA_11hip_rocprim3tagENSA_11use_defaultESG_EEEEPS6_NSA_18transform_iteratorI10is_orderedNSA_12zip_iteratorINSA_5tupleINSC_INSA_10device_ptrIiEEEESQ_NSA_9null_typeESR_SR_SR_SR_SR_SR_SR_EEEESG_SG_EENS0_5tupleIJPiSJ_EEENSV_IJSJ_SJ_EEES6_PlJS6_EEE10hipError_tPvRmT3_T4_T5_T6_T7_T9_mT8_P12ihipStream_tbDpT10_ENKUlT_T0_E_clISt17integral_constantIbLb0EES1J_EEDaS1E_S1F_EUlS1E_E_NS1_11comp_targetILNS1_3genE5ELNS1_11target_archE942ELNS1_3gpuE9ELNS1_3repE0EEENS1_30default_config_static_selectorELNS0_4arch9wavefront6targetE1EEEvT1_,comdat
.Lfunc_end3595:
	.size	_ZN7rocprim17ROCPRIM_400000_NS6detail17trampoline_kernelINS0_14default_configENS1_25partition_config_selectorILNS1_17partition_subalgoE2EiNS0_10empty_typeEbEEZZNS1_14partition_implILS5_2ELb0ES3_jN6thrust23THRUST_200600_302600_NS6detail15normal_iteratorINSA_7pointerIiNSA_11hip_rocprim3tagENSA_11use_defaultESG_EEEEPS6_NSA_18transform_iteratorI10is_orderedNSA_12zip_iteratorINSA_5tupleINSC_INSA_10device_ptrIiEEEESQ_NSA_9null_typeESR_SR_SR_SR_SR_SR_SR_EEEESG_SG_EENS0_5tupleIJPiSJ_EEENSV_IJSJ_SJ_EEES6_PlJS6_EEE10hipError_tPvRmT3_T4_T5_T6_T7_T9_mT8_P12ihipStream_tbDpT10_ENKUlT_T0_E_clISt17integral_constantIbLb0EES1J_EEDaS1E_S1F_EUlS1E_E_NS1_11comp_targetILNS1_3genE5ELNS1_11target_archE942ELNS1_3gpuE9ELNS1_3repE0EEENS1_30default_config_static_selectorELNS0_4arch9wavefront6targetE1EEEvT1_, .Lfunc_end3595-_ZN7rocprim17ROCPRIM_400000_NS6detail17trampoline_kernelINS0_14default_configENS1_25partition_config_selectorILNS1_17partition_subalgoE2EiNS0_10empty_typeEbEEZZNS1_14partition_implILS5_2ELb0ES3_jN6thrust23THRUST_200600_302600_NS6detail15normal_iteratorINSA_7pointerIiNSA_11hip_rocprim3tagENSA_11use_defaultESG_EEEEPS6_NSA_18transform_iteratorI10is_orderedNSA_12zip_iteratorINSA_5tupleINSC_INSA_10device_ptrIiEEEESQ_NSA_9null_typeESR_SR_SR_SR_SR_SR_SR_EEEESG_SG_EENS0_5tupleIJPiSJ_EEENSV_IJSJ_SJ_EEES6_PlJS6_EEE10hipError_tPvRmT3_T4_T5_T6_T7_T9_mT8_P12ihipStream_tbDpT10_ENKUlT_T0_E_clISt17integral_constantIbLb0EES1J_EEDaS1E_S1F_EUlS1E_E_NS1_11comp_targetILNS1_3genE5ELNS1_11target_archE942ELNS1_3gpuE9ELNS1_3repE0EEENS1_30default_config_static_selectorELNS0_4arch9wavefront6targetE1EEEvT1_
                                        ; -- End function
	.section	.AMDGPU.csdata,"",@progbits
; Kernel info:
; codeLenInByte = 0
; NumSgprs: 4
; NumVgprs: 0
; NumAgprs: 0
; TotalNumVgprs: 0
; ScratchSize: 0
; MemoryBound: 0
; FloatMode: 240
; IeeeMode: 1
; LDSByteSize: 0 bytes/workgroup (compile time only)
; SGPRBlocks: 0
; VGPRBlocks: 0
; NumSGPRsForWavesPerEU: 4
; NumVGPRsForWavesPerEU: 1
; AccumOffset: 4
; Occupancy: 8
; WaveLimiterHint : 0
; COMPUTE_PGM_RSRC2:SCRATCH_EN: 0
; COMPUTE_PGM_RSRC2:USER_SGPR: 6
; COMPUTE_PGM_RSRC2:TRAP_HANDLER: 0
; COMPUTE_PGM_RSRC2:TGID_X_EN: 1
; COMPUTE_PGM_RSRC2:TGID_Y_EN: 0
; COMPUTE_PGM_RSRC2:TGID_Z_EN: 0
; COMPUTE_PGM_RSRC2:TIDIG_COMP_CNT: 0
; COMPUTE_PGM_RSRC3_GFX90A:ACCUM_OFFSET: 0
; COMPUTE_PGM_RSRC3_GFX90A:TG_SPLIT: 0
	.section	.text._ZN7rocprim17ROCPRIM_400000_NS6detail17trampoline_kernelINS0_14default_configENS1_25partition_config_selectorILNS1_17partition_subalgoE2EiNS0_10empty_typeEbEEZZNS1_14partition_implILS5_2ELb0ES3_jN6thrust23THRUST_200600_302600_NS6detail15normal_iteratorINSA_7pointerIiNSA_11hip_rocprim3tagENSA_11use_defaultESG_EEEEPS6_NSA_18transform_iteratorI10is_orderedNSA_12zip_iteratorINSA_5tupleINSC_INSA_10device_ptrIiEEEESQ_NSA_9null_typeESR_SR_SR_SR_SR_SR_SR_EEEESG_SG_EENS0_5tupleIJPiSJ_EEENSV_IJSJ_SJ_EEES6_PlJS6_EEE10hipError_tPvRmT3_T4_T5_T6_T7_T9_mT8_P12ihipStream_tbDpT10_ENKUlT_T0_E_clISt17integral_constantIbLb0EES1J_EEDaS1E_S1F_EUlS1E_E_NS1_11comp_targetILNS1_3genE4ELNS1_11target_archE910ELNS1_3gpuE8ELNS1_3repE0EEENS1_30default_config_static_selectorELNS0_4arch9wavefront6targetE1EEEvT1_,"axG",@progbits,_ZN7rocprim17ROCPRIM_400000_NS6detail17trampoline_kernelINS0_14default_configENS1_25partition_config_selectorILNS1_17partition_subalgoE2EiNS0_10empty_typeEbEEZZNS1_14partition_implILS5_2ELb0ES3_jN6thrust23THRUST_200600_302600_NS6detail15normal_iteratorINSA_7pointerIiNSA_11hip_rocprim3tagENSA_11use_defaultESG_EEEEPS6_NSA_18transform_iteratorI10is_orderedNSA_12zip_iteratorINSA_5tupleINSC_INSA_10device_ptrIiEEEESQ_NSA_9null_typeESR_SR_SR_SR_SR_SR_SR_EEEESG_SG_EENS0_5tupleIJPiSJ_EEENSV_IJSJ_SJ_EEES6_PlJS6_EEE10hipError_tPvRmT3_T4_T5_T6_T7_T9_mT8_P12ihipStream_tbDpT10_ENKUlT_T0_E_clISt17integral_constantIbLb0EES1J_EEDaS1E_S1F_EUlS1E_E_NS1_11comp_targetILNS1_3genE4ELNS1_11target_archE910ELNS1_3gpuE8ELNS1_3repE0EEENS1_30default_config_static_selectorELNS0_4arch9wavefront6targetE1EEEvT1_,comdat
	.protected	_ZN7rocprim17ROCPRIM_400000_NS6detail17trampoline_kernelINS0_14default_configENS1_25partition_config_selectorILNS1_17partition_subalgoE2EiNS0_10empty_typeEbEEZZNS1_14partition_implILS5_2ELb0ES3_jN6thrust23THRUST_200600_302600_NS6detail15normal_iteratorINSA_7pointerIiNSA_11hip_rocprim3tagENSA_11use_defaultESG_EEEEPS6_NSA_18transform_iteratorI10is_orderedNSA_12zip_iteratorINSA_5tupleINSC_INSA_10device_ptrIiEEEESQ_NSA_9null_typeESR_SR_SR_SR_SR_SR_SR_EEEESG_SG_EENS0_5tupleIJPiSJ_EEENSV_IJSJ_SJ_EEES6_PlJS6_EEE10hipError_tPvRmT3_T4_T5_T6_T7_T9_mT8_P12ihipStream_tbDpT10_ENKUlT_T0_E_clISt17integral_constantIbLb0EES1J_EEDaS1E_S1F_EUlS1E_E_NS1_11comp_targetILNS1_3genE4ELNS1_11target_archE910ELNS1_3gpuE8ELNS1_3repE0EEENS1_30default_config_static_selectorELNS0_4arch9wavefront6targetE1EEEvT1_ ; -- Begin function _ZN7rocprim17ROCPRIM_400000_NS6detail17trampoline_kernelINS0_14default_configENS1_25partition_config_selectorILNS1_17partition_subalgoE2EiNS0_10empty_typeEbEEZZNS1_14partition_implILS5_2ELb0ES3_jN6thrust23THRUST_200600_302600_NS6detail15normal_iteratorINSA_7pointerIiNSA_11hip_rocprim3tagENSA_11use_defaultESG_EEEEPS6_NSA_18transform_iteratorI10is_orderedNSA_12zip_iteratorINSA_5tupleINSC_INSA_10device_ptrIiEEEESQ_NSA_9null_typeESR_SR_SR_SR_SR_SR_SR_EEEESG_SG_EENS0_5tupleIJPiSJ_EEENSV_IJSJ_SJ_EEES6_PlJS6_EEE10hipError_tPvRmT3_T4_T5_T6_T7_T9_mT8_P12ihipStream_tbDpT10_ENKUlT_T0_E_clISt17integral_constantIbLb0EES1J_EEDaS1E_S1F_EUlS1E_E_NS1_11comp_targetILNS1_3genE4ELNS1_11target_archE910ELNS1_3gpuE8ELNS1_3repE0EEENS1_30default_config_static_selectorELNS0_4arch9wavefront6targetE1EEEvT1_
	.globl	_ZN7rocprim17ROCPRIM_400000_NS6detail17trampoline_kernelINS0_14default_configENS1_25partition_config_selectorILNS1_17partition_subalgoE2EiNS0_10empty_typeEbEEZZNS1_14partition_implILS5_2ELb0ES3_jN6thrust23THRUST_200600_302600_NS6detail15normal_iteratorINSA_7pointerIiNSA_11hip_rocprim3tagENSA_11use_defaultESG_EEEEPS6_NSA_18transform_iteratorI10is_orderedNSA_12zip_iteratorINSA_5tupleINSC_INSA_10device_ptrIiEEEESQ_NSA_9null_typeESR_SR_SR_SR_SR_SR_SR_EEEESG_SG_EENS0_5tupleIJPiSJ_EEENSV_IJSJ_SJ_EEES6_PlJS6_EEE10hipError_tPvRmT3_T4_T5_T6_T7_T9_mT8_P12ihipStream_tbDpT10_ENKUlT_T0_E_clISt17integral_constantIbLb0EES1J_EEDaS1E_S1F_EUlS1E_E_NS1_11comp_targetILNS1_3genE4ELNS1_11target_archE910ELNS1_3gpuE8ELNS1_3repE0EEENS1_30default_config_static_selectorELNS0_4arch9wavefront6targetE1EEEvT1_
	.p2align	8
	.type	_ZN7rocprim17ROCPRIM_400000_NS6detail17trampoline_kernelINS0_14default_configENS1_25partition_config_selectorILNS1_17partition_subalgoE2EiNS0_10empty_typeEbEEZZNS1_14partition_implILS5_2ELb0ES3_jN6thrust23THRUST_200600_302600_NS6detail15normal_iteratorINSA_7pointerIiNSA_11hip_rocprim3tagENSA_11use_defaultESG_EEEEPS6_NSA_18transform_iteratorI10is_orderedNSA_12zip_iteratorINSA_5tupleINSC_INSA_10device_ptrIiEEEESQ_NSA_9null_typeESR_SR_SR_SR_SR_SR_SR_EEEESG_SG_EENS0_5tupleIJPiSJ_EEENSV_IJSJ_SJ_EEES6_PlJS6_EEE10hipError_tPvRmT3_T4_T5_T6_T7_T9_mT8_P12ihipStream_tbDpT10_ENKUlT_T0_E_clISt17integral_constantIbLb0EES1J_EEDaS1E_S1F_EUlS1E_E_NS1_11comp_targetILNS1_3genE4ELNS1_11target_archE910ELNS1_3gpuE8ELNS1_3repE0EEENS1_30default_config_static_selectorELNS0_4arch9wavefront6targetE1EEEvT1_,@function
_ZN7rocprim17ROCPRIM_400000_NS6detail17trampoline_kernelINS0_14default_configENS1_25partition_config_selectorILNS1_17partition_subalgoE2EiNS0_10empty_typeEbEEZZNS1_14partition_implILS5_2ELb0ES3_jN6thrust23THRUST_200600_302600_NS6detail15normal_iteratorINSA_7pointerIiNSA_11hip_rocprim3tagENSA_11use_defaultESG_EEEEPS6_NSA_18transform_iteratorI10is_orderedNSA_12zip_iteratorINSA_5tupleINSC_INSA_10device_ptrIiEEEESQ_NSA_9null_typeESR_SR_SR_SR_SR_SR_SR_EEEESG_SG_EENS0_5tupleIJPiSJ_EEENSV_IJSJ_SJ_EEES6_PlJS6_EEE10hipError_tPvRmT3_T4_T5_T6_T7_T9_mT8_P12ihipStream_tbDpT10_ENKUlT_T0_E_clISt17integral_constantIbLb0EES1J_EEDaS1E_S1F_EUlS1E_E_NS1_11comp_targetILNS1_3genE4ELNS1_11target_archE910ELNS1_3gpuE8ELNS1_3repE0EEENS1_30default_config_static_selectorELNS0_4arch9wavefront6targetE1EEEvT1_: ; @_ZN7rocprim17ROCPRIM_400000_NS6detail17trampoline_kernelINS0_14default_configENS1_25partition_config_selectorILNS1_17partition_subalgoE2EiNS0_10empty_typeEbEEZZNS1_14partition_implILS5_2ELb0ES3_jN6thrust23THRUST_200600_302600_NS6detail15normal_iteratorINSA_7pointerIiNSA_11hip_rocprim3tagENSA_11use_defaultESG_EEEEPS6_NSA_18transform_iteratorI10is_orderedNSA_12zip_iteratorINSA_5tupleINSC_INSA_10device_ptrIiEEEESQ_NSA_9null_typeESR_SR_SR_SR_SR_SR_SR_EEEESG_SG_EENS0_5tupleIJPiSJ_EEENSV_IJSJ_SJ_EEES6_PlJS6_EEE10hipError_tPvRmT3_T4_T5_T6_T7_T9_mT8_P12ihipStream_tbDpT10_ENKUlT_T0_E_clISt17integral_constantIbLb0EES1J_EEDaS1E_S1F_EUlS1E_E_NS1_11comp_targetILNS1_3genE4ELNS1_11target_archE910ELNS1_3gpuE8ELNS1_3repE0EEENS1_30default_config_static_selectorELNS0_4arch9wavefront6targetE1EEEvT1_
; %bb.0:
	s_load_dwordx4 s[24:27], s[4:5], 0x8
	s_load_dwordx4 s[20:23], s[4:5], 0x58
	s_load_dwordx2 s[28:29], s[4:5], 0x68
	s_load_dword s0, s[4:5], 0x80
	v_lshlrev_b32_e32 v1, 2, v0
	s_waitcnt lgkmcnt(0)
	s_lshl_b64 s[2:3], s[26:27], 2
	s_add_u32 s7, s24, s2
	s_addc_u32 s8, s25, s3
	s_add_i32 s9, s0, -1
	s_mulk_i32 s0, 0xa00
	s_add_i32 s1, s0, s26
	s_sub_i32 s33, s28, s1
	s_addk_i32 s33, 0xa00
	s_add_u32 s0, s26, s0
	s_addc_u32 s1, s27, 0
	s_cmp_eq_u32 s6, s9
	s_load_dwordx2 s[30:31], s[22:23], 0x0
	v_pk_mov_b32 v[2:3], s[28:29], s[28:29] op_sel:[0,1]
	s_cselect_b64 s[22:23], -1, 0
	s_cmp_lg_u32 s6, s9
	s_mul_i32 s24, s6, 0xa00
	s_mov_b32 s25, 0
	v_cmp_lt_u64_e32 vcc, s[0:1], v[2:3]
	s_cselect_b64 s[0:1], -1, 0
	s_or_b64 s[34:35], s[0:1], vcc
	s_lshl_b64 s[12:13], s[24:25], 2
	s_add_u32 s7, s7, s12
	s_addc_u32 s16, s8, s13
	s_mov_b64 s[0:1], -1
	s_and_b64 vcc, exec, s[34:35]
	s_cbranch_vccz .LBB3596_2
; %bb.1:
	v_mov_b32_e32 v3, s16
	v_add_co_u32_e32 v2, vcc, s7, v1
	v_addc_co_u32_e32 v3, vcc, 0, v3, vcc
	v_add_co_u32_e32 v4, vcc, 0x1000, v2
	v_addc_co_u32_e32 v5, vcc, 0, v3, vcc
	flat_load_dword v6, v[2:3]
	flat_load_dword v7, v[2:3] offset:1024
	flat_load_dword v8, v[2:3] offset:2048
	;; [unrolled: 1-line block ×3, first 2 shown]
	flat_load_dword v10, v[4:5]
	flat_load_dword v11, v[4:5] offset:1024
	flat_load_dword v12, v[4:5] offset:2048
	;; [unrolled: 1-line block ×3, first 2 shown]
	v_add_co_u32_e32 v2, vcc, 0x2000, v2
	v_addc_co_u32_e32 v3, vcc, 0, v3, vcc
	flat_load_dword v4, v[2:3]
	flat_load_dword v5, v[2:3] offset:1024
	s_mov_b64 s[0:1], 0
	s_waitcnt vmcnt(0) lgkmcnt(0)
	ds_write2st64_b32 v1, v6, v7 offset1:4
	ds_write2st64_b32 v1, v8, v9 offset0:8 offset1:12
	ds_write2st64_b32 v1, v10, v11 offset0:16 offset1:20
	;; [unrolled: 1-line block ×4, first 2 shown]
	s_waitcnt lgkmcnt(0)
	s_barrier
.LBB3596_2:
	s_load_dwordx4 s[8:11], s[4:5], 0x20
	s_andn2_b64 vcc, exec, s[0:1]
	v_cmp_gt_u32_e64 s[0:1], s33, v0
	s_cbranch_vccnz .LBB3596_24
; %bb.3:
                                        ; implicit-def: $vgpr2_vgpr3_vgpr4_vgpr5_vgpr6_vgpr7_vgpr8_vgpr9_vgpr10_vgpr11
	s_and_saveexec_b64 s[14:15], s[0:1]
	s_cbranch_execz .LBB3596_5
; %bb.4:
	v_mov_b32_e32 v3, s16
	v_add_co_u32_e32 v2, vcc, s7, v1
	v_addc_co_u32_e32 v3, vcc, 0, v3, vcc
	flat_load_dword v2, v[2:3]
.LBB3596_5:
	s_or_b64 exec, exec, s[14:15]
	v_or_b32_e32 v12, 0x100, v0
	v_cmp_gt_u32_e32 vcc, s33, v12
	s_and_saveexec_b64 s[0:1], vcc
	s_cbranch_execz .LBB3596_7
; %bb.6:
	v_mov_b32_e32 v3, s16
	v_add_co_u32_e32 v12, vcc, s7, v1
	v_addc_co_u32_e32 v13, vcc, 0, v3, vcc
	flat_load_dword v3, v[12:13] offset:1024
.LBB3596_7:
	s_or_b64 exec, exec, s[0:1]
	v_or_b32_e32 v12, 0x200, v0
	v_cmp_gt_u32_e32 vcc, s33, v12
	s_and_saveexec_b64 s[0:1], vcc
	s_cbranch_execz .LBB3596_9
; %bb.8:
	v_mov_b32_e32 v4, s16
	v_add_co_u32_e32 v12, vcc, s7, v1
	v_addc_co_u32_e32 v13, vcc, 0, v4, vcc
	flat_load_dword v4, v[12:13] offset:2048
.LBB3596_9:
	;; [unrolled: 11-line block ×3, first 2 shown]
	s_or_b64 exec, exec, s[0:1]
	v_or_b32_e32 v12, 0x400, v0
	v_cmp_gt_u32_e32 vcc, s33, v12
	s_and_saveexec_b64 s[0:1], vcc
	s_cbranch_execz .LBB3596_13
; %bb.12:
	v_lshlrev_b32_e32 v6, 2, v12
	v_mov_b32_e32 v13, s16
	v_add_co_u32_e32 v12, vcc, s7, v6
	v_addc_co_u32_e32 v13, vcc, 0, v13, vcc
	flat_load_dword v6, v[12:13]
.LBB3596_13:
	s_or_b64 exec, exec, s[0:1]
	v_or_b32_e32 v12, 0x500, v0
	v_cmp_gt_u32_e32 vcc, s33, v12
	s_and_saveexec_b64 s[0:1], vcc
	s_cbranch_execz .LBB3596_15
; %bb.14:
	v_lshlrev_b32_e32 v7, 2, v12
	v_mov_b32_e32 v13, s16
	v_add_co_u32_e32 v12, vcc, s7, v7
	v_addc_co_u32_e32 v13, vcc, 0, v13, vcc
	flat_load_dword v7, v[12:13]
.LBB3596_15:
	;; [unrolled: 12-line block ×6, first 2 shown]
	s_or_b64 exec, exec, s[0:1]
	s_waitcnt vmcnt(0) lgkmcnt(0)
	ds_write2st64_b32 v1, v2, v3 offset1:4
	ds_write2st64_b32 v1, v4, v5 offset0:8 offset1:12
	ds_write2st64_b32 v1, v6, v7 offset0:16 offset1:20
	;; [unrolled: 1-line block ×4, first 2 shown]
	s_waitcnt lgkmcnt(0)
	s_barrier
.LBB3596_24:
	s_waitcnt lgkmcnt(0)
	s_add_u32 s0, s8, s2
	v_mul_u32_u24_e32 v24, 10, v0
	s_addc_u32 s1, s9, s3
	v_lshlrev_b32_e32 v10, 2, v24
	s_add_u32 s2, s10, s2
	ds_read2_b64 v[6:9], v10 offset1:1
	ds_read2_b64 v[2:5], v10 offset0:2 offset1:3
	ds_read_b64 v[12:13], v10 offset:32
	s_addc_u32 s3, s11, s3
	s_add_u32 s0, s0, s12
	s_addc_u32 s1, s1, s13
	s_add_u32 s2, s2, s12
	s_addc_u32 s3, s3, s13
	s_mov_b64 s[8:9], -1
	s_and_b64 vcc, exec, s[34:35]
	s_waitcnt lgkmcnt(0)
	s_barrier
	s_cbranch_vccz .LBB3596_26
; %bb.25:
	v_mov_b32_e32 v10, s1
	v_add_co_u32_e32 v14, vcc, s0, v1
	v_addc_co_u32_e32 v15, vcc, 0, v10, vcc
	v_mov_b32_e32 v10, s3
	v_add_co_u32_e32 v18, vcc, s2, v1
	v_addc_co_u32_e32 v19, vcc, 0, v10, vcc
	s_movk_i32 s7, 0x1000
	v_add_co_u32_e32 v10, vcc, s7, v14
	global_load_dword v20, v1, s[0:1]
	global_load_dword v21, v1, s[0:1] offset:1024
	global_load_dword v22, v1, s[0:1] offset:2048
	;; [unrolled: 1-line block ×5, first 2 shown]
	global_load_dword v27, v1, s[2:3]
	global_load_dword v28, v1, s[0:1] offset:3072
	v_addc_co_u32_e32 v11, vcc, 0, v15, vcc
	s_movk_i32 s8, 0x2000
	v_add_co_u32_e32 v14, vcc, s8, v14
	v_addc_co_u32_e32 v15, vcc, 0, v15, vcc
	global_load_dword v29, v[14:15], off offset:-4096
	v_add_co_u32_e32 v16, vcc, s7, v18
	v_addc_co_u32_e32 v17, vcc, 0, v19, vcc
	v_add_co_u32_e32 v18, vcc, s8, v18
	v_addc_co_u32_e32 v19, vcc, 0, v19, vcc
	global_load_dword v30, v[18:19], off offset:-4096
	global_load_dword v31, v[10:11], off offset:1024
	global_load_dword v32, v[16:17], off offset:1024
	;; [unrolled: 1-line block ×6, first 2 shown]
	global_load_dword v37, v[18:19], off
	global_load_dword v38, v[14:15], off
	global_load_dword v39, v[14:15], off offset:1024
	global_load_dword v40, v[18:19], off offset:1024
	s_mov_b64 s[8:9], 0
	s_waitcnt vmcnt(13)
	v_cmp_le_i32_e32 vcc, v20, v27
	v_cndmask_b32_e64 v10, 0, 1, vcc
	v_cmp_le_i32_e32 vcc, v21, v23
	v_cndmask_b32_e64 v11, 0, 1, vcc
	;; [unrolled: 2-line block ×3, first 2 shown]
	s_waitcnt vmcnt(12)
	v_cmp_le_i32_e32 vcc, v28, v26
	v_cndmask_b32_e64 v15, 0, 1, vcc
	ds_write_b8 v0, v10
	ds_write_b8 v0, v11 offset:256
	ds_write_b8 v0, v14 offset:512
	;; [unrolled: 1-line block ×3, first 2 shown]
	s_waitcnt vmcnt(10)
	v_cmp_le_i32_e32 vcc, v29, v30
	v_cndmask_b32_e64 v10, 0, 1, vcc
	s_waitcnt vmcnt(8)
	v_cmp_le_i32_e32 vcc, v31, v32
	v_cndmask_b32_e64 v11, 0, 1, vcc
	;; [unrolled: 3-line block ×6, first 2 shown]
	ds_write_b8 v0, v10 offset:1024
	ds_write_b8 v0, v11 offset:1280
	;; [unrolled: 1-line block ×6, first 2 shown]
	s_waitcnt lgkmcnt(0)
	s_barrier
.LBB3596_26:
	s_load_dwordx2 s[36:37], s[4:5], 0x78
	s_andn2_b64 vcc, exec, s[8:9]
	s_cbranch_vccnz .LBB3596_48
; %bb.27:
	v_cmp_gt_u32_e32 vcc, s33, v0
	v_mov_b32_e32 v10, 0
	v_mov_b32_e32 v11, 0
	s_and_saveexec_b64 s[8:9], vcc
	s_cbranch_execz .LBB3596_29
; %bb.28:
	global_load_dword v11, v1, s[0:1]
	global_load_dword v14, v1, s[2:3]
	s_waitcnt vmcnt(0)
	v_cmp_le_i32_e32 vcc, v11, v14
	v_cndmask_b32_e64 v11, 0, 1, vcc
.LBB3596_29:
	s_or_b64 exec, exec, s[8:9]
	v_or_b32_e32 v14, 0x100, v0
	v_cmp_gt_u32_e32 vcc, s33, v14
	s_and_saveexec_b64 s[8:9], vcc
	s_cbranch_execz .LBB3596_31
; %bb.30:
	global_load_dword v10, v1, s[0:1] offset:1024
	global_load_dword v14, v1, s[2:3] offset:1024
	s_waitcnt vmcnt(0)
	v_cmp_le_i32_e32 vcc, v10, v14
	v_cndmask_b32_e64 v10, 0, 1, vcc
.LBB3596_31:
	s_or_b64 exec, exec, s[8:9]
	v_or_b32_e32 v14, 0x200, v0
	v_cmp_gt_u32_e32 vcc, s33, v14
	v_mov_b32_e32 v14, 0
	v_mov_b32_e32 v15, 0
	s_and_saveexec_b64 s[8:9], vcc
	s_cbranch_execz .LBB3596_33
; %bb.32:
	global_load_dword v15, v1, s[0:1] offset:2048
	global_load_dword v16, v1, s[2:3] offset:2048
	s_waitcnt vmcnt(0)
	v_cmp_le_i32_e32 vcc, v15, v16
	v_cndmask_b32_e64 v15, 0, 1, vcc
.LBB3596_33:
	s_or_b64 exec, exec, s[8:9]
	v_or_b32_e32 v16, 0x300, v0
	v_cmp_gt_u32_e32 vcc, s33, v16
	s_and_saveexec_b64 s[8:9], vcc
	s_cbranch_execz .LBB3596_35
; %bb.34:
	global_load_dword v14, v1, s[0:1] offset:3072
	global_load_dword v16, v1, s[2:3] offset:3072
	s_waitcnt vmcnt(0)
	v_cmp_le_i32_e32 vcc, v14, v16
	v_cndmask_b32_e64 v14, 0, 1, vcc
.LBB3596_35:
	s_or_b64 exec, exec, s[8:9]
	v_or_b32_e32 v18, 0x400, v0
	v_cmp_gt_u32_e32 vcc, s33, v18
	v_mov_b32_e32 v16, 0
	v_mov_b32_e32 v17, 0
	s_and_saveexec_b64 s[8:9], vcc
	s_cbranch_execz .LBB3596_37
; %bb.36:
	v_lshlrev_b32_e32 v17, 2, v18
	global_load_dword v18, v17, s[0:1]
	global_load_dword v19, v17, s[2:3]
	s_waitcnt vmcnt(0)
	v_cmp_le_i32_e32 vcc, v18, v19
	v_cndmask_b32_e64 v17, 0, 1, vcc
.LBB3596_37:
	s_or_b64 exec, exec, s[8:9]
	v_or_b32_e32 v18, 0x500, v0
	v_cmp_gt_u32_e32 vcc, s33, v18
	s_and_saveexec_b64 s[8:9], vcc
	s_cbranch_execz .LBB3596_39
; %bb.38:
	v_lshlrev_b32_e32 v16, 2, v18
	global_load_dword v18, v16, s[0:1]
	global_load_dword v19, v16, s[2:3]
	s_waitcnt vmcnt(0)
	v_cmp_le_i32_e32 vcc, v18, v19
	v_cndmask_b32_e64 v16, 0, 1, vcc
.LBB3596_39:
	s_or_b64 exec, exec, s[8:9]
	v_or_b32_e32 v20, 0x600, v0
	v_cmp_gt_u32_e32 vcc, s33, v20
	v_mov_b32_e32 v18, 0
	v_mov_b32_e32 v19, 0
	s_and_saveexec_b64 s[8:9], vcc
	s_cbranch_execz .LBB3596_41
; %bb.40:
	v_lshlrev_b32_e32 v19, 2, v20
	global_load_dword v20, v19, s[0:1]
	global_load_dword v21, v19, s[2:3]
	s_waitcnt vmcnt(0)
	v_cmp_le_i32_e32 vcc, v20, v21
	v_cndmask_b32_e64 v19, 0, 1, vcc
.LBB3596_41:
	s_or_b64 exec, exec, s[8:9]
	v_or_b32_e32 v20, 0x700, v0
	v_cmp_gt_u32_e32 vcc, s33, v20
	s_and_saveexec_b64 s[8:9], vcc
	s_cbranch_execz .LBB3596_43
; %bb.42:
	v_lshlrev_b32_e32 v18, 2, v20
	global_load_dword v20, v18, s[0:1]
	global_load_dword v21, v18, s[2:3]
	s_waitcnt vmcnt(0)
	v_cmp_le_i32_e32 vcc, v20, v21
	v_cndmask_b32_e64 v18, 0, 1, vcc
.LBB3596_43:
	;; [unrolled: 28-line block ×3, first 2 shown]
	s_or_b64 exec, exec, s[8:9]
	ds_write_b8 v0, v11
	ds_write_b8 v0, v10 offset:256
	ds_write_b8 v0, v15 offset:512
	;; [unrolled: 1-line block ×9, first 2 shown]
	s_waitcnt lgkmcnt(0)
	s_barrier
.LBB3596_48:
	s_waitcnt lgkmcnt(0)
	ds_read_b64 v[14:15], v24
	ds_read_u16 v26, v24 offset:8
	s_cmp_lg_u32 s6, 0
	v_lshrrev_b32_e32 v35, 6, v0
	s_waitcnt lgkmcnt(0)
	v_lshrrev_b32_e32 v28, 24, v14
	v_bfe_u32 v33, v14, 16, 8
	v_add_u32_sdwa v10, v14, v14 dst_sel:DWORD dst_unused:UNUSED_PAD src0_sel:BYTE_1 src1_sel:BYTE_0
	v_and_b32_e32 v30, 0xff, v15
	v_bfe_u32 v31, v15, 8, 8
	v_add3_u32 v10, v10, v33, v28
	v_lshrrev_b32_e32 v27, 24, v15
	v_bfe_u32 v32, v15, 16, 8
	v_add3_u32 v10, v10, v30, v31
	v_lshrrev_b16_e32 v25, 8, v26
	v_and_b32_e32 v29, 0xff, v26
	v_add3_u32 v10, v10, v32, v27
	v_add3_u32 v36, v10, v29, v25
	v_mbcnt_lo_u32_b32 v10, -1, 0
	v_mbcnt_hi_u32_b32 v34, -1, v10
	v_and_b32_e32 v10, 15, v34
	v_cmp_eq_u32_e64 s[14:15], 0, v10
	v_cmp_lt_u32_e64 s[12:13], 1, v10
	v_cmp_lt_u32_e64 s[10:11], 3, v10
	;; [unrolled: 1-line block ×3, first 2 shown]
	v_and_b32_e32 v10, 16, v34
	v_cmp_eq_u32_e64 s[18:19], 0, v10
	v_or_b32_e32 v10, 63, v0
	v_cmp_lt_u32_e64 s[0:1], 31, v34
	v_cmp_eq_u32_e64 s[2:3], v10, v0
	s_barrier
	s_cbranch_scc0 .LBB3596_75
; %bb.49:
	v_mov_b32_dpp v10, v36 row_shr:1 row_mask:0xf bank_mask:0xf
	v_cndmask_b32_e64 v10, v10, 0, s[14:15]
	v_add_u32_e32 v10, v10, v36
	s_nop 1
	v_mov_b32_dpp v11, v10 row_shr:2 row_mask:0xf bank_mask:0xf
	v_cndmask_b32_e64 v11, 0, v11, s[12:13]
	v_add_u32_e32 v10, v10, v11
	s_nop 1
	;; [unrolled: 4-line block ×4, first 2 shown]
	v_mov_b32_dpp v11, v10 row_bcast:15 row_mask:0xf bank_mask:0xf
	v_cndmask_b32_e64 v11, v11, 0, s[18:19]
	v_add_u32_e32 v10, v10, v11
	s_nop 1
	v_mov_b32_dpp v11, v10 row_bcast:31 row_mask:0xf bank_mask:0xf
	v_cndmask_b32_e64 v11, 0, v11, s[0:1]
	v_add_u32_e32 v10, v10, v11
	s_and_saveexec_b64 s[16:17], s[2:3]
	s_cbranch_execz .LBB3596_51
; %bb.50:
	v_lshlrev_b32_e32 v11, 2, v35
	ds_write_b32 v11, v10
.LBB3596_51:
	s_or_b64 exec, exec, s[16:17]
	v_cmp_gt_u32_e32 vcc, 4, v0
	s_waitcnt lgkmcnt(0)
	s_barrier
	s_and_saveexec_b64 s[16:17], vcc
	s_cbranch_execz .LBB3596_53
; %bb.52:
	ds_read_b32 v11, v1
	v_and_b32_e32 v16, 3, v34
	v_cmp_ne_u32_e32 vcc, 0, v16
	s_waitcnt lgkmcnt(0)
	v_mov_b32_dpp v17, v11 row_shr:1 row_mask:0xf bank_mask:0xf
	v_cndmask_b32_e32 v17, 0, v17, vcc
	v_add_u32_e32 v11, v17, v11
	v_cmp_lt_u32_e32 vcc, 1, v16
	s_nop 0
	v_mov_b32_dpp v17, v11 row_shr:2 row_mask:0xf bank_mask:0xf
	v_cndmask_b32_e32 v16, 0, v17, vcc
	v_add_u32_e32 v11, v11, v16
	ds_write_b32 v1, v11
.LBB3596_53:
	s_or_b64 exec, exec, s[16:17]
	v_cmp_gt_u32_e32 vcc, 64, v0
	v_cmp_lt_u32_e64 s[16:17], 63, v0
	s_waitcnt lgkmcnt(0)
	s_barrier
	s_waitcnt lgkmcnt(0)
                                        ; implicit-def: $vgpr37
	s_and_saveexec_b64 s[38:39], s[16:17]
	s_cbranch_execz .LBB3596_55
; %bb.54:
	v_lshl_add_u32 v11, v35, 2, -4
	ds_read_b32 v37, v11
	s_waitcnt lgkmcnt(0)
	v_add_u32_e32 v10, v37, v10
.LBB3596_55:
	s_or_b64 exec, exec, s[38:39]
	v_add_u32_e32 v11, -1, v34
	v_and_b32_e32 v16, 64, v34
	v_cmp_lt_i32_e64 s[16:17], v11, v16
	v_cndmask_b32_e64 v11, v11, v34, s[16:17]
	v_lshlrev_b32_e32 v11, 2, v11
	ds_bpermute_b32 v38, v11, v10
	v_cmp_eq_u32_e64 s[16:17], 0, v34
	s_and_saveexec_b64 s[38:39], vcc
	s_cbranch_execz .LBB3596_74
; %bb.56:
	v_mov_b32_e32 v21, 0
	ds_read_b32 v10, v21 offset:12
	s_and_saveexec_b64 s[40:41], s[16:17]
	s_cbranch_execz .LBB3596_58
; %bb.57:
	s_add_i32 s42, s6, 64
	s_mov_b32 s43, 0
	s_lshl_b64 s[42:43], s[42:43], 3
	s_add_u32 s42, s36, s42
	v_mov_b32_e32 v11, 1
	s_addc_u32 s43, s37, s43
	s_waitcnt lgkmcnt(0)
	global_store_dwordx2 v21, v[10:11], s[42:43]
.LBB3596_58:
	s_or_b64 exec, exec, s[40:41]
	v_xad_u32 v16, v34, -1, s6
	v_add_u32_e32 v20, 64, v16
	v_lshlrev_b64 v[18:19], 3, v[20:21]
	v_mov_b32_e32 v11, s37
	v_add_co_u32_e32 v22, vcc, s36, v18
	v_addc_co_u32_e32 v23, vcc, v11, v19, vcc
	global_load_dwordx2 v[18:19], v[22:23], off glc
	s_waitcnt vmcnt(0)
	v_cmp_eq_u16_sdwa s[42:43], v19, v21 src0_sel:BYTE_0 src1_sel:DWORD
	s_and_saveexec_b64 s[40:41], s[42:43]
	s_cbranch_execz .LBB3596_62
; %bb.59:
	s_mov_b64 s[42:43], 0
	v_mov_b32_e32 v11, 0
.LBB3596_60:                            ; =>This Inner Loop Header: Depth=1
	global_load_dwordx2 v[18:19], v[22:23], off glc
	s_waitcnt vmcnt(0)
	v_cmp_ne_u16_sdwa s[44:45], v19, v11 src0_sel:BYTE_0 src1_sel:DWORD
	s_or_b64 s[42:43], s[44:45], s[42:43]
	s_andn2_b64 exec, exec, s[42:43]
	s_cbranch_execnz .LBB3596_60
; %bb.61:
	s_or_b64 exec, exec, s[42:43]
.LBB3596_62:
	s_or_b64 exec, exec, s[40:41]
	v_and_b32_e32 v40, 63, v34
	v_mov_b32_e32 v39, 2
	v_cmp_ne_u32_e32 vcc, 63, v40
	v_cmp_eq_u16_sdwa s[40:41], v19, v39 src0_sel:BYTE_0 src1_sel:DWORD
	v_lshlrev_b64 v[20:21], v34, -1
	v_addc_co_u32_e32 v22, vcc, 0, v34, vcc
	v_and_b32_e32 v11, s41, v21
	v_lshlrev_b32_e32 v41, 2, v22
	v_or_b32_e32 v11, 0x80000000, v11
	ds_bpermute_b32 v22, v41, v18
	v_and_b32_e32 v17, s40, v20
	v_ffbl_b32_e32 v11, v11
	v_add_u32_e32 v11, 32, v11
	v_ffbl_b32_e32 v17, v17
	v_min_u32_e32 v11, v17, v11
	v_cmp_lt_u32_e32 vcc, v40, v11
	s_waitcnt lgkmcnt(0)
	v_cndmask_b32_e32 v17, 0, v22, vcc
	v_cmp_gt_u32_e32 vcc, 62, v40
	v_add_u32_e32 v17, v17, v18
	v_cndmask_b32_e64 v18, 0, 1, vcc
	v_lshlrev_b32_e32 v18, 1, v18
	v_add_lshl_u32 v42, v18, v34, 2
	ds_bpermute_b32 v18, v42, v17
	v_add_u32_e32 v43, 2, v40
	v_cmp_le_u32_e32 vcc, v43, v11
	v_add_u32_e32 v45, 4, v40
	v_add_u32_e32 v47, 8, v40
	s_waitcnt lgkmcnt(0)
	v_cndmask_b32_e32 v18, 0, v18, vcc
	v_cmp_gt_u32_e32 vcc, 60, v40
	v_add_u32_e32 v17, v17, v18
	v_cndmask_b32_e64 v18, 0, 1, vcc
	v_lshlrev_b32_e32 v18, 2, v18
	v_add_lshl_u32 v44, v18, v34, 2
	ds_bpermute_b32 v18, v44, v17
	v_cmp_le_u32_e32 vcc, v45, v11
	v_add_u32_e32 v49, 16, v40
	v_add_u32_e32 v51, 32, v40
	s_waitcnt lgkmcnt(0)
	v_cndmask_b32_e32 v18, 0, v18, vcc
	v_cmp_gt_u32_e32 vcc, 56, v40
	v_add_u32_e32 v17, v17, v18
	v_cndmask_b32_e64 v18, 0, 1, vcc
	v_lshlrev_b32_e32 v18, 3, v18
	v_add_lshl_u32 v46, v18, v34, 2
	ds_bpermute_b32 v18, v46, v17
	v_cmp_le_u32_e32 vcc, v47, v11
	s_waitcnt lgkmcnt(0)
	v_cndmask_b32_e32 v18, 0, v18, vcc
	v_cmp_gt_u32_e32 vcc, 48, v40
	v_add_u32_e32 v17, v17, v18
	v_cndmask_b32_e64 v18, 0, 1, vcc
	v_lshlrev_b32_e32 v18, 4, v18
	v_add_lshl_u32 v48, v18, v34, 2
	ds_bpermute_b32 v18, v48, v17
	v_cmp_le_u32_e32 vcc, v49, v11
	;; [unrolled: 9-line block ×3, first 2 shown]
	s_waitcnt lgkmcnt(0)
	v_cndmask_b32_e32 v11, 0, v18, vcc
	v_add_u32_e32 v18, v17, v11
	v_mov_b32_e32 v17, 0
	s_branch .LBB3596_64
.LBB3596_63:                            ;   in Loop: Header=BB3596_64 Depth=1
	s_or_b64 exec, exec, s[40:41]
	v_cmp_eq_u16_sdwa s[40:41], v19, v39 src0_sel:BYTE_0 src1_sel:DWORD
	v_and_b32_e32 v22, s41, v21
	v_or_b32_e32 v22, 0x80000000, v22
	ds_bpermute_b32 v52, v41, v18
	v_and_b32_e32 v23, s40, v20
	v_ffbl_b32_e32 v22, v22
	v_add_u32_e32 v22, 32, v22
	v_ffbl_b32_e32 v23, v23
	v_min_u32_e32 v22, v23, v22
	v_cmp_lt_u32_e32 vcc, v40, v22
	s_waitcnt lgkmcnt(0)
	v_cndmask_b32_e32 v23, 0, v52, vcc
	v_add_u32_e32 v18, v23, v18
	ds_bpermute_b32 v23, v42, v18
	v_cmp_le_u32_e32 vcc, v43, v22
	v_subrev_u32_e32 v16, 64, v16
	s_waitcnt lgkmcnt(0)
	v_cndmask_b32_e32 v23, 0, v23, vcc
	v_add_u32_e32 v18, v18, v23
	ds_bpermute_b32 v23, v44, v18
	v_cmp_le_u32_e32 vcc, v45, v22
	s_waitcnt lgkmcnt(0)
	v_cndmask_b32_e32 v23, 0, v23, vcc
	v_add_u32_e32 v18, v18, v23
	ds_bpermute_b32 v23, v46, v18
	v_cmp_le_u32_e32 vcc, v47, v22
	;; [unrolled: 5-line block ×4, first 2 shown]
	s_waitcnt lgkmcnt(0)
	v_cndmask_b32_e32 v22, 0, v23, vcc
	v_add3_u32 v18, v22, v11, v18
.LBB3596_64:                            ; =>This Loop Header: Depth=1
                                        ;     Child Loop BB3596_67 Depth 2
	v_cmp_ne_u16_sdwa s[40:41], v19, v39 src0_sel:BYTE_0 src1_sel:DWORD
	v_cndmask_b32_e64 v11, 0, 1, s[40:41]
	;;#ASMSTART
	;;#ASMEND
	v_cmp_ne_u32_e32 vcc, 0, v11
	s_cmp_lg_u64 vcc, exec
	v_mov_b32_e32 v11, v18
	s_cbranch_scc1 .LBB3596_69
; %bb.65:                               ;   in Loop: Header=BB3596_64 Depth=1
	v_lshlrev_b64 v[18:19], 3, v[16:17]
	v_mov_b32_e32 v23, s37
	v_add_co_u32_e32 v22, vcc, s36, v18
	v_addc_co_u32_e32 v23, vcc, v23, v19, vcc
	global_load_dwordx2 v[18:19], v[22:23], off glc
	s_waitcnt vmcnt(0)
	v_cmp_eq_u16_sdwa s[42:43], v19, v17 src0_sel:BYTE_0 src1_sel:DWORD
	s_and_saveexec_b64 s[40:41], s[42:43]
	s_cbranch_execz .LBB3596_63
; %bb.66:                               ;   in Loop: Header=BB3596_64 Depth=1
	s_mov_b64 s[42:43], 0
.LBB3596_67:                            ;   Parent Loop BB3596_64 Depth=1
                                        ; =>  This Inner Loop Header: Depth=2
	global_load_dwordx2 v[18:19], v[22:23], off glc
	s_waitcnt vmcnt(0)
	v_cmp_ne_u16_sdwa s[44:45], v19, v17 src0_sel:BYTE_0 src1_sel:DWORD
	s_or_b64 s[42:43], s[44:45], s[42:43]
	s_andn2_b64 exec, exec, s[42:43]
	s_cbranch_execnz .LBB3596_67
; %bb.68:                               ;   in Loop: Header=BB3596_64 Depth=1
	s_or_b64 exec, exec, s[42:43]
	s_branch .LBB3596_63
.LBB3596_69:                            ;   in Loop: Header=BB3596_64 Depth=1
                                        ; implicit-def: $vgpr18
                                        ; implicit-def: $vgpr19
	s_cbranch_execz .LBB3596_64
; %bb.70:
	s_and_saveexec_b64 s[40:41], s[16:17]
	s_cbranch_execz .LBB3596_72
; %bb.71:
	s_add_i32 s6, s6, 64
	s_mov_b32 s7, 0
	s_lshl_b64 s[6:7], s[6:7], 3
	s_add_u32 s6, s36, s6
	v_add_u32_e32 v16, v11, v10
	v_mov_b32_e32 v17, 2
	s_addc_u32 s7, s37, s7
	v_mov_b32_e32 v18, 0
	global_store_dwordx2 v18, v[16:17], s[6:7]
	ds_write_b64 v18, v[10:11] offset:10240
.LBB3596_72:
	s_or_b64 exec, exec, s[40:41]
	v_cmp_eq_u32_e32 vcc, 0, v0
	s_and_b64 exec, exec, vcc
	s_cbranch_execz .LBB3596_74
; %bb.73:
	v_mov_b32_e32 v10, 0
	ds_write_b32 v10, v11 offset:12
.LBB3596_74:
	s_or_b64 exec, exec, s[38:39]
	v_mov_b32_e32 v10, 0
	s_waitcnt lgkmcnt(0)
	s_barrier
	ds_read_b32 v11, v10 offset:12
	v_cndmask_b32_e64 v16, v38, v37, s[16:17]
	v_cmp_ne_u32_e32 vcc, 0, v0
	v_cndmask_b32_e32 v16, 0, v16, vcc
	s_waitcnt lgkmcnt(0)
	v_add_u32_e32 v38, v11, v16
	v_add_u32_sdwa v37, v38, v14 dst_sel:DWORD dst_unused:UNUSED_PAD src0_sel:DWORD src1_sel:BYTE_0
	v_add_u32_sdwa v23, v37, v14 dst_sel:DWORD dst_unused:UNUSED_PAD src0_sel:DWORD src1_sel:BYTE_1
	v_add_u32_e32 v22, v23, v33
	v_add_u32_e32 v21, v22, v28
	;; [unrolled: 1-line block ×3, first 2 shown]
	s_barrier
	ds_read_b64 v[10:11], v10 offset:10240
	v_add_u32_e32 v19, v20, v31
	v_add_u32_e32 v18, v19, v32
	;; [unrolled: 1-line block ×4, first 2 shown]
	s_load_dwordx2 s[4:5], s[4:5], 0x38
	s_branch .LBB3596_85
.LBB3596_75:
                                        ; implicit-def: $vgpr11
                                        ; implicit-def: $vgpr16
                                        ; implicit-def: $vgpr17
                                        ; implicit-def: $vgpr18
                                        ; implicit-def: $vgpr19
                                        ; implicit-def: $vgpr20
                                        ; implicit-def: $vgpr21
                                        ; implicit-def: $vgpr22
                                        ; implicit-def: $vgpr23
                                        ; implicit-def: $vgpr37
                                        ; implicit-def: $vgpr38
	s_load_dwordx2 s[4:5], s[4:5], 0x38
	s_cbranch_execz .LBB3596_85
; %bb.76:
	s_waitcnt lgkmcnt(0)
	v_mov_b32_dpp v10, v36 row_shr:1 row_mask:0xf bank_mask:0xf
	v_cndmask_b32_e64 v10, v10, 0, s[14:15]
	v_add_u32_e32 v10, v10, v36
	s_nop 1
	v_mov_b32_dpp v11, v10 row_shr:2 row_mask:0xf bank_mask:0xf
	v_cndmask_b32_e64 v11, 0, v11, s[12:13]
	v_add_u32_e32 v10, v10, v11
	s_nop 1
	;; [unrolled: 4-line block ×4, first 2 shown]
	v_mov_b32_dpp v11, v10 row_bcast:15 row_mask:0xf bank_mask:0xf
	v_cndmask_b32_e64 v11, v11, 0, s[18:19]
	v_add_u32_e32 v10, v10, v11
	s_nop 1
	v_mov_b32_dpp v11, v10 row_bcast:31 row_mask:0xf bank_mask:0xf
	v_cndmask_b32_e64 v11, 0, v11, s[0:1]
	v_add_u32_e32 v10, v10, v11
	s_and_saveexec_b64 s[0:1], s[2:3]
	s_cbranch_execz .LBB3596_78
; %bb.77:
	v_lshlrev_b32_e32 v11, 2, v35
	ds_write_b32 v11, v10
.LBB3596_78:
	s_or_b64 exec, exec, s[0:1]
	v_cmp_gt_u32_e32 vcc, 4, v0
	s_waitcnt lgkmcnt(0)
	s_barrier
	s_and_saveexec_b64 s[0:1], vcc
	s_cbranch_execz .LBB3596_80
; %bb.79:
	v_mad_i32_i24 v11, v0, -6, v24
	ds_read_b32 v16, v11
	v_and_b32_e32 v17, 3, v34
	v_cmp_ne_u32_e32 vcc, 0, v17
	s_waitcnt lgkmcnt(0)
	v_mov_b32_dpp v18, v16 row_shr:1 row_mask:0xf bank_mask:0xf
	v_cndmask_b32_e32 v18, 0, v18, vcc
	v_add_u32_e32 v16, v18, v16
	v_cmp_lt_u32_e32 vcc, 1, v17
	s_nop 0
	v_mov_b32_dpp v18, v16 row_shr:2 row_mask:0xf bank_mask:0xf
	v_cndmask_b32_e32 v17, 0, v18, vcc
	v_add_u32_e32 v16, v16, v17
	ds_write_b32 v11, v16
.LBB3596_80:
	s_or_b64 exec, exec, s[0:1]
	v_cmp_lt_u32_e32 vcc, 63, v0
	v_mov_b32_e32 v11, 0
	v_mov_b32_e32 v16, 0
	s_waitcnt lgkmcnt(0)
	s_barrier
	s_and_saveexec_b64 s[0:1], vcc
	s_cbranch_execz .LBB3596_82
; %bb.81:
	v_lshl_add_u32 v16, v35, 2, -4
	ds_read_b32 v16, v16
.LBB3596_82:
	s_or_b64 exec, exec, s[0:1]
	v_add_u32_e32 v17, -1, v34
	v_and_b32_e32 v18, 64, v34
	v_cmp_lt_i32_e32 vcc, v17, v18
	v_cndmask_b32_e32 v17, v17, v34, vcc
	s_waitcnt lgkmcnt(0)
	v_add_u32_e32 v10, v16, v10
	v_lshlrev_b32_e32 v17, 2, v17
	ds_bpermute_b32 v17, v17, v10
	ds_read_b32 v10, v11 offset:12
	v_cmp_eq_u32_e32 vcc, 0, v0
	s_and_saveexec_b64 s[0:1], vcc
	s_cbranch_execz .LBB3596_84
; %bb.83:
	v_mov_b32_e32 v18, 0
	v_mov_b32_e32 v11, 2
	s_waitcnt lgkmcnt(0)
	global_store_dwordx2 v18, v[10:11], s[36:37] offset:512
.LBB3596_84:
	s_or_b64 exec, exec, s[0:1]
	v_cmp_eq_u32_e64 s[0:1], 0, v34
	s_waitcnt lgkmcnt(1)
	v_cndmask_b32_e64 v16, v17, v16, s[0:1]
	v_cndmask_b32_e64 v38, v16, 0, vcc
	v_add_u32_sdwa v37, v38, v14 dst_sel:DWORD dst_unused:UNUSED_PAD src0_sel:DWORD src1_sel:BYTE_0
	v_add_u32_sdwa v23, v37, v14 dst_sel:DWORD dst_unused:UNUSED_PAD src0_sel:DWORD src1_sel:BYTE_1
	v_add_u32_e32 v22, v23, v33
	v_add_u32_e32 v21, v22, v28
	;; [unrolled: 1-line block ×6, first 2 shown]
	v_mov_b32_e32 v11, 0
	v_add_u32_e32 v16, v17, v29
	s_waitcnt lgkmcnt(0)
	s_barrier
.LBB3596_85:
	s_waitcnt lgkmcnt(0)
	v_add_u32_e32 v24, v10, v24
	v_sub_u32_e32 v31, v38, v11
	v_and_b32_e32 v33, 1, v14
	v_sub_u32_e32 v32, v24, v31
	v_cmp_eq_u32_e32 vcc, 1, v33
	v_cndmask_b32_e32 v31, v32, v31, vcc
	v_lshlrev_b32_e32 v31, 2, v31
	v_lshrrev_b32_e32 v30, 8, v14
	ds_write_b32 v31, v6
	v_sub_u32_e32 v6, v37, v11
	v_sub_u32_e32 v31, v24, v6
	v_and_b32_e32 v30, 1, v30
	v_add_u32_e32 v31, 1, v31
	v_cmp_eq_u32_e32 vcc, 1, v30
	v_cndmask_b32_e32 v6, v31, v6, vcc
	v_lshlrev_b32_e32 v6, 2, v6
	ds_write_b32 v6, v7
	v_sub_u32_e32 v6, v23, v11
	v_mov_b32_e32 v23, 1
	v_sub_u32_e32 v7, v24, v6
	v_and_b32_sdwa v14, v23, v14 dst_sel:DWORD dst_unused:UNUSED_PAD src0_sel:DWORD src1_sel:WORD_1
	v_add_u32_e32 v7, 2, v7
	v_cmp_eq_u32_e32 vcc, 1, v14
	v_cndmask_b32_e32 v6, v7, v6, vcc
	v_lshlrev_b32_e32 v6, 2, v6
	ds_write_b32 v6, v8
	v_sub_u32_e32 v6, v22, v11
	v_sub_u32_e32 v7, v24, v6
	v_and_b32_e32 v8, 1, v28
	v_add_u32_e32 v7, 3, v7
	v_cmp_eq_u32_e32 vcc, 1, v8
	v_cndmask_b32_e32 v6, v7, v6, vcc
	v_lshlrev_b32_e32 v6, 2, v6
	ds_write_b32 v6, v9
	v_sub_u32_e32 v6, v21, v11
	v_sub_u32_e32 v7, v24, v6
	v_and_b32_e32 v8, 1, v15
	v_add_u32_e32 v7, 4, v7
	v_cmp_eq_u32_e32 vcc, 1, v8
	v_cndmask_b32_e32 v6, v7, v6, vcc
	v_lshlrev_b32_e32 v6, 2, v6
	v_lshrrev_b32_e32 v29, 8, v15
	ds_write_b32 v6, v2
	v_sub_u32_e32 v2, v20, v11
	v_sub_u32_e32 v6, v24, v2
	v_and_b32_e32 v7, 1, v29
	v_add_u32_e32 v6, 5, v6
	v_cmp_eq_u32_e32 vcc, 1, v7
	v_cndmask_b32_e32 v2, v6, v2, vcc
	v_lshlrev_b32_e32 v2, 2, v2
	ds_write_b32 v2, v3
	v_sub_u32_e32 v2, v19, v11
	v_sub_u32_e32 v3, v24, v2
	v_and_b32_sdwa v6, v23, v15 dst_sel:DWORD dst_unused:UNUSED_PAD src0_sel:DWORD src1_sel:WORD_1
	v_add_u32_e32 v3, 6, v3
	v_cmp_eq_u32_e32 vcc, 1, v6
	v_cndmask_b32_e32 v2, v3, v2, vcc
	v_lshlrev_b32_e32 v2, 2, v2
	ds_write_b32 v2, v4
	v_sub_u32_e32 v2, v18, v11
	v_sub_u32_e32 v3, v24, v2
	v_and_b32_e32 v4, 1, v27
	v_add_u32_e32 v3, 7, v3
	v_cmp_eq_u32_e32 vcc, 1, v4
	v_cndmask_b32_e32 v2, v3, v2, vcc
	v_lshlrev_b32_e32 v2, 2, v2
	ds_write_b32 v2, v5
	v_sub_u32_e32 v2, v17, v11
	v_sub_u32_e32 v3, v24, v2
	v_and_b32_e32 v4, 1, v26
	;; [unrolled: 8-line block ×3, first 2 shown]
	v_add_u32_e32 v3, 9, v3
	v_cmp_eq_u32_e32 vcc, 1, v4
	v_cndmask_b32_e32 v2, v3, v2, vcc
	s_add_u32 s0, s26, s24
	v_lshlrev_b32_e32 v2, 2, v2
	s_addc_u32 s1, s27, 0
	ds_write_b32 v2, v13
	s_waitcnt lgkmcnt(0)
	s_barrier
	ds_read2st64_b32 v[12:13], v1 offset1:4
	ds_read2st64_b32 v[8:9], v1 offset0:8 offset1:12
	ds_read2st64_b32 v[6:7], v1 offset0:16 offset1:20
	;; [unrolled: 1-line block ×4, first 2 shown]
	v_mov_b32_e32 v14, s31
	v_add_co_u32_e32 v1, vcc, s30, v11
	s_sub_u32 s0, s28, s0
	v_addc_co_u32_e32 v11, vcc, 0, v14, vcc
	s_subb_u32 s1, s29, s1
	v_mov_b32_e32 v14, s1
	v_add_co_u32_e32 v15, vcc, s0, v10
	v_addc_co_u32_e32 v14, vcc, 0, v14, vcc
	v_add_co_u32_e64 v17, s[0:1], v15, v1
	v_or_b32_e32 v26, 0x100, v0
	v_or_b32_e32 v25, 0x200, v0
	;; [unrolled: 1-line block ×9, first 2 shown]
	s_andn2_b64 vcc, exec, s[34:35]
	v_addc_co_u32_e64 v18, s[0:1], v14, v11, s[0:1]
	s_cbranch_vccnz .LBB3596_127
; %bb.86:
	v_cmp_ge_u32_e32 vcc, v0, v10
                                        ; implicit-def: $vgpr14_vgpr15
	s_and_saveexec_b64 s[0:1], vcc
	s_xor_b64 s[0:1], exec, s[0:1]
; %bb.87:
	v_not_b32_e32 v14, v0
	v_ashrrev_i32_e32 v15, 31, v14
	v_add_co_u32_e32 v14, vcc, v17, v14
	v_addc_co_u32_e32 v15, vcc, v18, v15, vcc
; %bb.88:
	s_andn2_saveexec_b64 s[0:1], s[0:1]
; %bb.89:
	v_add_co_u32_e32 v14, vcc, v1, v0
	v_addc_co_u32_e32 v15, vcc, 0, v11, vcc
; %bb.90:
	s_or_b64 exec, exec, s[0:1]
	v_lshlrev_b64 v[14:15], 2, v[14:15]
	v_mov_b32_e32 v27, s5
	v_add_co_u32_e32 v14, vcc, s4, v14
	v_addc_co_u32_e32 v15, vcc, v27, v15, vcc
	v_cmp_ge_u32_e32 vcc, v26, v10
	s_waitcnt lgkmcnt(4)
	global_store_dword v[14:15], v12, off
                                        ; implicit-def: $vgpr14_vgpr15
	s_and_saveexec_b64 s[0:1], vcc
	s_xor_b64 s[0:1], exec, s[0:1]
; %bb.91:
	v_xor_b32_e32 v14, 0xfffffeff, v0
	v_ashrrev_i32_e32 v15, 31, v14
	v_add_co_u32_e32 v14, vcc, v17, v14
	v_addc_co_u32_e32 v15, vcc, v18, v15, vcc
; %bb.92:
	s_andn2_saveexec_b64 s[0:1], s[0:1]
; %bb.93:
	v_add_co_u32_e32 v14, vcc, v1, v26
	v_addc_co_u32_e32 v15, vcc, 0, v11, vcc
; %bb.94:
	s_or_b64 exec, exec, s[0:1]
	v_lshlrev_b64 v[14:15], 2, v[14:15]
	v_mov_b32_e32 v27, s5
	v_add_co_u32_e32 v14, vcc, s4, v14
	v_addc_co_u32_e32 v15, vcc, v27, v15, vcc
	v_cmp_ge_u32_e32 vcc, v25, v10
	global_store_dword v[14:15], v13, off
                                        ; implicit-def: $vgpr14_vgpr15
	s_and_saveexec_b64 s[0:1], vcc
	s_xor_b64 s[0:1], exec, s[0:1]
; %bb.95:
	v_xor_b32_e32 v14, 0xfffffdff, v0
	v_ashrrev_i32_e32 v15, 31, v14
	v_add_co_u32_e32 v14, vcc, v17, v14
	v_addc_co_u32_e32 v15, vcc, v18, v15, vcc
; %bb.96:
	s_andn2_saveexec_b64 s[0:1], s[0:1]
; %bb.97:
	v_add_co_u32_e32 v14, vcc, v1, v25
	v_addc_co_u32_e32 v15, vcc, 0, v11, vcc
; %bb.98:
	s_or_b64 exec, exec, s[0:1]
	v_lshlrev_b64 v[14:15], 2, v[14:15]
	v_mov_b32_e32 v27, s5
	v_add_co_u32_e32 v14, vcc, s4, v14
	v_addc_co_u32_e32 v15, vcc, v27, v15, vcc
	v_cmp_ge_u32_e32 vcc, v24, v10
	s_waitcnt lgkmcnt(3)
	global_store_dword v[14:15], v8, off
                                        ; implicit-def: $vgpr14_vgpr15
	s_and_saveexec_b64 s[0:1], vcc
	s_xor_b64 s[0:1], exec, s[0:1]
; %bb.99:
	v_xor_b32_e32 v14, 0xfffffcff, v0
	v_ashrrev_i32_e32 v15, 31, v14
	v_add_co_u32_e32 v14, vcc, v17, v14
	v_addc_co_u32_e32 v15, vcc, v18, v15, vcc
; %bb.100:
	s_andn2_saveexec_b64 s[0:1], s[0:1]
; %bb.101:
	v_add_co_u32_e32 v14, vcc, v1, v24
	v_addc_co_u32_e32 v15, vcc, 0, v11, vcc
; %bb.102:
	s_or_b64 exec, exec, s[0:1]
	v_lshlrev_b64 v[14:15], 2, v[14:15]
	v_mov_b32_e32 v27, s5
	v_add_co_u32_e32 v14, vcc, s4, v14
	v_addc_co_u32_e32 v15, vcc, v27, v15, vcc
	v_cmp_ge_u32_e32 vcc, v23, v10
	global_store_dword v[14:15], v9, off
                                        ; implicit-def: $vgpr14_vgpr15
	s_and_saveexec_b64 s[0:1], vcc
	s_xor_b64 s[0:1], exec, s[0:1]
; %bb.103:
	v_xor_b32_e32 v14, 0xfffffbff, v0
	;; [unrolled: 43-line block ×4, first 2 shown]
	v_ashrrev_i32_e32 v15, 31, v14
	v_add_co_u32_e32 v14, vcc, v17, v14
	v_addc_co_u32_e32 v15, vcc, v18, v15, vcc
; %bb.120:
	s_andn2_saveexec_b64 s[0:1], s[0:1]
; %bb.121:
	v_add_co_u32_e32 v14, vcc, v1, v19
	v_addc_co_u32_e32 v15, vcc, 0, v11, vcc
; %bb.122:
	s_or_b64 exec, exec, s[0:1]
	v_lshlrev_b64 v[14:15], 2, v[14:15]
	v_mov_b32_e32 v27, s5
	v_add_co_u32_e32 v14, vcc, s4, v14
	v_addc_co_u32_e32 v15, vcc, v27, v15, vcc
	v_cmp_ge_u32_e32 vcc, v16, v10
	s_waitcnt lgkmcnt(0)
	global_store_dword v[14:15], v2, off
                                        ; implicit-def: $vgpr14_vgpr15
	s_and_saveexec_b64 s[0:1], vcc
	s_xor_b64 s[0:1], exec, s[0:1]
; %bb.123:
	v_xor_b32_e32 v14, 0xfffff6ff, v0
	v_ashrrev_i32_e32 v15, 31, v14
	v_add_co_u32_e32 v14, vcc, v17, v14
	v_addc_co_u32_e32 v15, vcc, v18, v15, vcc
; %bb.124:
	s_andn2_saveexec_b64 s[0:1], s[0:1]
; %bb.125:
	v_add_co_u32_e32 v14, vcc, v1, v16
	v_addc_co_u32_e32 v15, vcc, 0, v11, vcc
; %bb.126:
	s_or_b64 exec, exec, s[0:1]
	s_mov_b64 s[0:1], -1
	s_branch .LBB3596_189
.LBB3596_127:
	s_mov_b64 s[0:1], 0
                                        ; implicit-def: $vgpr14_vgpr15
	s_cbranch_execz .LBB3596_189
; %bb.128:
	v_cmp_gt_u32_e32 vcc, s33, v0
	s_and_saveexec_b64 s[2:3], vcc
	s_cbranch_execz .LBB3596_154
; %bb.129:
	v_cmp_ge_u32_e32 vcc, v0, v10
                                        ; implicit-def: $vgpr14_vgpr15
	s_and_saveexec_b64 s[6:7], vcc
	s_xor_b64 s[6:7], exec, s[6:7]
; %bb.130:
	v_not_b32_e32 v14, v0
	v_ashrrev_i32_e32 v15, 31, v14
	v_add_co_u32_e32 v14, vcc, v17, v14
	v_addc_co_u32_e32 v15, vcc, v18, v15, vcc
; %bb.131:
	s_andn2_saveexec_b64 s[6:7], s[6:7]
; %bb.132:
	v_add_co_u32_e32 v14, vcc, v1, v0
	v_addc_co_u32_e32 v15, vcc, 0, v11, vcc
; %bb.133:
	s_or_b64 exec, exec, s[6:7]
	v_lshlrev_b64 v[14:15], 2, v[14:15]
	v_mov_b32_e32 v27, s5
	v_add_co_u32_e32 v14, vcc, s4, v14
	v_addc_co_u32_e32 v15, vcc, v27, v15, vcc
	s_waitcnt lgkmcnt(4)
	global_store_dword v[14:15], v12, off
	s_or_b64 exec, exec, s[2:3]
	v_cmp_gt_u32_e32 vcc, s33, v26
	s_and_saveexec_b64 s[2:3], vcc
	s_cbranch_execnz .LBB3596_155
.LBB3596_134:
	s_or_b64 exec, exec, s[2:3]
	v_cmp_gt_u32_e32 vcc, s33, v25
	s_and_saveexec_b64 s[2:3], vcc
	s_cbranch_execz .LBB3596_160
.LBB3596_135:
	v_cmp_ge_u32_e32 vcc, v25, v10
                                        ; implicit-def: $vgpr12_vgpr13
	s_and_saveexec_b64 s[6:7], vcc
	s_xor_b64 s[6:7], exec, s[6:7]
	s_cbranch_execz .LBB3596_137
; %bb.136:
	s_waitcnt lgkmcnt(4)
	v_xor_b32_e32 v12, 0xfffffdff, v0
	v_ashrrev_i32_e32 v13, 31, v12
	v_add_co_u32_e32 v12, vcc, v17, v12
	v_addc_co_u32_e32 v13, vcc, v18, v13, vcc
                                        ; implicit-def: $vgpr25
.LBB3596_137:
	s_andn2_saveexec_b64 s[6:7], s[6:7]
	s_cbranch_execz .LBB3596_139
; %bb.138:
	s_waitcnt lgkmcnt(4)
	v_add_co_u32_e32 v12, vcc, v1, v25
	v_addc_co_u32_e32 v13, vcc, 0, v11, vcc
.LBB3596_139:
	s_or_b64 exec, exec, s[6:7]
	s_waitcnt lgkmcnt(4)
	v_lshlrev_b64 v[12:13], 2, v[12:13]
	v_mov_b32_e32 v14, s5
	v_add_co_u32_e32 v12, vcc, s4, v12
	v_addc_co_u32_e32 v13, vcc, v14, v13, vcc
	s_waitcnt lgkmcnt(3)
	global_store_dword v[12:13], v8, off
	s_or_b64 exec, exec, s[2:3]
	v_cmp_gt_u32_e32 vcc, s33, v24
	s_and_saveexec_b64 s[2:3], vcc
	s_cbranch_execnz .LBB3596_161
.LBB3596_140:
	s_or_b64 exec, exec, s[2:3]
	v_cmp_gt_u32_e32 vcc, s33, v23
	s_and_saveexec_b64 s[2:3], vcc
	s_cbranch_execz .LBB3596_166
.LBB3596_141:
	v_cmp_ge_u32_e32 vcc, v23, v10
                                        ; implicit-def: $vgpr8_vgpr9
	s_and_saveexec_b64 s[6:7], vcc
	s_xor_b64 s[6:7], exec, s[6:7]
	s_cbranch_execz .LBB3596_143
; %bb.142:
	s_waitcnt lgkmcnt(3)
	v_xor_b32_e32 v8, 0xfffffbff, v0
	v_ashrrev_i32_e32 v9, 31, v8
	v_add_co_u32_e32 v8, vcc, v17, v8
	v_addc_co_u32_e32 v9, vcc, v18, v9, vcc
                                        ; implicit-def: $vgpr23
.LBB3596_143:
	s_andn2_saveexec_b64 s[6:7], s[6:7]
	s_cbranch_execz .LBB3596_145
; %bb.144:
	s_waitcnt lgkmcnt(3)
	v_add_co_u32_e32 v8, vcc, v1, v23
	v_addc_co_u32_e32 v9, vcc, 0, v11, vcc
.LBB3596_145:
	s_or_b64 exec, exec, s[6:7]
	s_waitcnt lgkmcnt(3)
	v_lshlrev_b64 v[8:9], 2, v[8:9]
	v_mov_b32_e32 v12, s5
	v_add_co_u32_e32 v8, vcc, s4, v8
	v_addc_co_u32_e32 v9, vcc, v12, v9, vcc
	s_waitcnt lgkmcnt(2)
	global_store_dword v[8:9], v6, off
	s_or_b64 exec, exec, s[2:3]
	v_cmp_gt_u32_e32 vcc, s33, v22
	s_and_saveexec_b64 s[2:3], vcc
	s_cbranch_execnz .LBB3596_167
.LBB3596_146:
	s_or_b64 exec, exec, s[2:3]
	v_cmp_gt_u32_e32 vcc, s33, v21
	s_and_saveexec_b64 s[2:3], vcc
	s_cbranch_execz .LBB3596_172
.LBB3596_147:
	v_cmp_ge_u32_e32 vcc, v21, v10
                                        ; implicit-def: $vgpr6_vgpr7
	s_and_saveexec_b64 s[6:7], vcc
	s_xor_b64 s[6:7], exec, s[6:7]
	s_cbranch_execz .LBB3596_149
; %bb.148:
	s_waitcnt lgkmcnt(2)
	v_xor_b32_e32 v6, 0xfffff9ff, v0
	v_ashrrev_i32_e32 v7, 31, v6
	v_add_co_u32_e32 v6, vcc, v17, v6
	v_addc_co_u32_e32 v7, vcc, v18, v7, vcc
                                        ; implicit-def: $vgpr21
.LBB3596_149:
	s_andn2_saveexec_b64 s[6:7], s[6:7]
	s_cbranch_execz .LBB3596_151
; %bb.150:
	s_waitcnt lgkmcnt(2)
	v_add_co_u32_e32 v6, vcc, v1, v21
	v_addc_co_u32_e32 v7, vcc, 0, v11, vcc
.LBB3596_151:
	s_or_b64 exec, exec, s[6:7]
	s_waitcnt lgkmcnt(2)
	v_lshlrev_b64 v[6:7], 2, v[6:7]
	v_mov_b32_e32 v8, s5
	v_add_co_u32_e32 v6, vcc, s4, v6
	v_addc_co_u32_e32 v7, vcc, v8, v7, vcc
	s_waitcnt lgkmcnt(1)
	global_store_dword v[6:7], v4, off
	s_or_b64 exec, exec, s[2:3]
	v_cmp_gt_u32_e32 vcc, s33, v20
	s_and_saveexec_b64 s[2:3], vcc
	s_cbranch_execnz .LBB3596_173
.LBB3596_152:
	s_or_b64 exec, exec, s[2:3]
	v_cmp_gt_u32_e32 vcc, s33, v19
	s_and_saveexec_b64 s[2:3], vcc
	s_cbranch_execnz .LBB3596_178
.LBB3596_153:
	s_or_b64 exec, exec, s[2:3]
	v_cmp_gt_u32_e32 vcc, s33, v16
                                        ; implicit-def: $vgpr14_vgpr15
	s_and_saveexec_b64 s[2:3], vcc
	s_cbranch_execz .LBB3596_188
	s_branch .LBB3596_183
.LBB3596_154:
	s_or_b64 exec, exec, s[2:3]
	v_cmp_gt_u32_e32 vcc, s33, v26
	s_and_saveexec_b64 s[2:3], vcc
	s_cbranch_execz .LBB3596_134
.LBB3596_155:
	v_cmp_ge_u32_e32 vcc, v26, v10
                                        ; implicit-def: $vgpr14_vgpr15
	s_and_saveexec_b64 s[6:7], vcc
	s_xor_b64 s[6:7], exec, s[6:7]
	s_cbranch_execz .LBB3596_157
; %bb.156:
	s_waitcnt lgkmcnt(4)
	v_xor_b32_e32 v12, 0xfffffeff, v0
	v_ashrrev_i32_e32 v15, 31, v12
	v_add_co_u32_e32 v14, vcc, v17, v12
	v_addc_co_u32_e32 v15, vcc, v18, v15, vcc
                                        ; implicit-def: $vgpr26
.LBB3596_157:
	s_andn2_saveexec_b64 s[6:7], s[6:7]
; %bb.158:
	v_add_co_u32_e32 v14, vcc, v1, v26
	v_addc_co_u32_e32 v15, vcc, 0, v11, vcc
; %bb.159:
	s_or_b64 exec, exec, s[6:7]
	v_lshlrev_b64 v[14:15], 2, v[14:15]
	s_waitcnt lgkmcnt(4)
	v_mov_b32_e32 v12, s5
	v_add_co_u32_e32 v14, vcc, s4, v14
	v_addc_co_u32_e32 v15, vcc, v12, v15, vcc
	global_store_dword v[14:15], v13, off
	s_or_b64 exec, exec, s[2:3]
	v_cmp_gt_u32_e32 vcc, s33, v25
	s_and_saveexec_b64 s[2:3], vcc
	s_cbranch_execnz .LBB3596_135
.LBB3596_160:
	s_or_b64 exec, exec, s[2:3]
	v_cmp_gt_u32_e32 vcc, s33, v24
	s_and_saveexec_b64 s[2:3], vcc
	s_cbranch_execz .LBB3596_140
.LBB3596_161:
	v_cmp_ge_u32_e32 vcc, v24, v10
                                        ; implicit-def: $vgpr12_vgpr13
	s_and_saveexec_b64 s[6:7], vcc
	s_xor_b64 s[6:7], exec, s[6:7]
	s_cbranch_execz .LBB3596_163
; %bb.162:
	s_waitcnt lgkmcnt(3)
	v_xor_b32_e32 v8, 0xfffffcff, v0
	v_ashrrev_i32_e32 v13, 31, v8
	v_add_co_u32_e32 v12, vcc, v17, v8
	v_addc_co_u32_e32 v13, vcc, v18, v13, vcc
                                        ; implicit-def: $vgpr24
.LBB3596_163:
	s_andn2_saveexec_b64 s[6:7], s[6:7]
	s_cbranch_execz .LBB3596_165
; %bb.164:
	s_waitcnt lgkmcnt(4)
	v_add_co_u32_e32 v12, vcc, v1, v24
	v_addc_co_u32_e32 v13, vcc, 0, v11, vcc
.LBB3596_165:
	s_or_b64 exec, exec, s[6:7]
	s_waitcnt lgkmcnt(4)
	v_lshlrev_b64 v[12:13], 2, v[12:13]
	s_waitcnt lgkmcnt(3)
	v_mov_b32_e32 v8, s5
	v_add_co_u32_e32 v12, vcc, s4, v12
	v_addc_co_u32_e32 v13, vcc, v8, v13, vcc
	global_store_dword v[12:13], v9, off
	s_or_b64 exec, exec, s[2:3]
	v_cmp_gt_u32_e32 vcc, s33, v23
	s_and_saveexec_b64 s[2:3], vcc
	s_cbranch_execnz .LBB3596_141
.LBB3596_166:
	s_or_b64 exec, exec, s[2:3]
	v_cmp_gt_u32_e32 vcc, s33, v22
	s_and_saveexec_b64 s[2:3], vcc
	s_cbranch_execz .LBB3596_146
.LBB3596_167:
	v_cmp_ge_u32_e32 vcc, v22, v10
                                        ; implicit-def: $vgpr8_vgpr9
	s_and_saveexec_b64 s[6:7], vcc
	s_xor_b64 s[6:7], exec, s[6:7]
	s_cbranch_execz .LBB3596_169
; %bb.168:
	s_waitcnt lgkmcnt(2)
	v_xor_b32_e32 v6, 0xfffffaff, v0
	v_ashrrev_i32_e32 v9, 31, v6
	v_add_co_u32_e32 v8, vcc, v17, v6
	v_addc_co_u32_e32 v9, vcc, v18, v9, vcc
                                        ; implicit-def: $vgpr22
.LBB3596_169:
	s_andn2_saveexec_b64 s[6:7], s[6:7]
	s_cbranch_execz .LBB3596_171
; %bb.170:
	s_waitcnt lgkmcnt(3)
	v_add_co_u32_e32 v8, vcc, v1, v22
	v_addc_co_u32_e32 v9, vcc, 0, v11, vcc
.LBB3596_171:
	s_or_b64 exec, exec, s[6:7]
	s_waitcnt lgkmcnt(3)
	v_lshlrev_b64 v[8:9], 2, v[8:9]
	s_waitcnt lgkmcnt(2)
	v_mov_b32_e32 v6, s5
	v_add_co_u32_e32 v8, vcc, s4, v8
	v_addc_co_u32_e32 v9, vcc, v6, v9, vcc
	global_store_dword v[8:9], v7, off
	s_or_b64 exec, exec, s[2:3]
	v_cmp_gt_u32_e32 vcc, s33, v21
	s_and_saveexec_b64 s[2:3], vcc
	s_cbranch_execnz .LBB3596_147
.LBB3596_172:
	s_or_b64 exec, exec, s[2:3]
	v_cmp_gt_u32_e32 vcc, s33, v20
	s_and_saveexec_b64 s[2:3], vcc
	s_cbranch_execz .LBB3596_152
.LBB3596_173:
	v_cmp_ge_u32_e32 vcc, v20, v10
                                        ; implicit-def: $vgpr6_vgpr7
	s_and_saveexec_b64 s[6:7], vcc
	s_xor_b64 s[6:7], exec, s[6:7]
	s_cbranch_execz .LBB3596_175
; %bb.174:
	s_waitcnt lgkmcnt(1)
	v_xor_b32_e32 v4, 0xfffff8ff, v0
	v_ashrrev_i32_e32 v7, 31, v4
	v_add_co_u32_e32 v6, vcc, v17, v4
	v_addc_co_u32_e32 v7, vcc, v18, v7, vcc
                                        ; implicit-def: $vgpr20
.LBB3596_175:
	s_andn2_saveexec_b64 s[6:7], s[6:7]
	s_cbranch_execz .LBB3596_177
; %bb.176:
	s_waitcnt lgkmcnt(2)
	v_add_co_u32_e32 v6, vcc, v1, v20
	v_addc_co_u32_e32 v7, vcc, 0, v11, vcc
.LBB3596_177:
	s_or_b64 exec, exec, s[6:7]
	s_waitcnt lgkmcnt(2)
	v_lshlrev_b64 v[6:7], 2, v[6:7]
	s_waitcnt lgkmcnt(1)
	v_mov_b32_e32 v4, s5
	v_add_co_u32_e32 v6, vcc, s4, v6
	v_addc_co_u32_e32 v7, vcc, v4, v7, vcc
	global_store_dword v[6:7], v5, off
	s_or_b64 exec, exec, s[2:3]
	v_cmp_gt_u32_e32 vcc, s33, v19
	s_and_saveexec_b64 s[2:3], vcc
	s_cbranch_execz .LBB3596_153
.LBB3596_178:
	v_cmp_ge_u32_e32 vcc, v19, v10
                                        ; implicit-def: $vgpr4_vgpr5
	s_and_saveexec_b64 s[6:7], vcc
	s_xor_b64 s[6:7], exec, s[6:7]
	s_cbranch_execz .LBB3596_180
; %bb.179:
	s_waitcnt lgkmcnt(1)
	v_xor_b32_e32 v4, 0xfffff7ff, v0
	v_ashrrev_i32_e32 v5, 31, v4
	v_add_co_u32_e32 v4, vcc, v17, v4
	v_addc_co_u32_e32 v5, vcc, v18, v5, vcc
                                        ; implicit-def: $vgpr19
.LBB3596_180:
	s_andn2_saveexec_b64 s[6:7], s[6:7]
	s_cbranch_execz .LBB3596_182
; %bb.181:
	s_waitcnt lgkmcnt(1)
	v_add_co_u32_e32 v4, vcc, v1, v19
	v_addc_co_u32_e32 v5, vcc, 0, v11, vcc
.LBB3596_182:
	s_or_b64 exec, exec, s[6:7]
	s_waitcnt lgkmcnt(1)
	v_lshlrev_b64 v[4:5], 2, v[4:5]
	v_mov_b32_e32 v6, s5
	v_add_co_u32_e32 v4, vcc, s4, v4
	v_addc_co_u32_e32 v5, vcc, v6, v5, vcc
	s_waitcnt lgkmcnt(0)
	global_store_dword v[4:5], v2, off
	s_or_b64 exec, exec, s[2:3]
	v_cmp_gt_u32_e32 vcc, s33, v16
                                        ; implicit-def: $vgpr14_vgpr15
	s_and_saveexec_b64 s[2:3], vcc
	s_cbranch_execz .LBB3596_188
.LBB3596_183:
	v_cmp_ge_u32_e32 vcc, v16, v10
                                        ; implicit-def: $vgpr14_vgpr15
	s_and_saveexec_b64 s[6:7], vcc
	s_xor_b64 s[6:7], exec, s[6:7]
	s_cbranch_execz .LBB3596_185
; %bb.184:
	s_waitcnt lgkmcnt(0)
	v_xor_b32_e32 v2, 0xfffff6ff, v0
	v_ashrrev_i32_e32 v4, 31, v2
	v_add_co_u32_e32 v14, vcc, v17, v2
	v_addc_co_u32_e32 v15, vcc, v18, v4, vcc
                                        ; implicit-def: $vgpr16
.LBB3596_185:
	s_andn2_saveexec_b64 s[6:7], s[6:7]
; %bb.186:
	v_add_co_u32_e32 v14, vcc, v1, v16
	v_addc_co_u32_e32 v15, vcc, 0, v11, vcc
; %bb.187:
	s_or_b64 exec, exec, s[6:7]
	s_or_b64 s[0:1], s[0:1], exec
.LBB3596_188:
	s_or_b64 exec, exec, s[2:3]
.LBB3596_189:
	s_and_saveexec_b64 s[2:3], s[0:1]
	s_cbranch_execz .LBB3596_191
; %bb.190:
	s_waitcnt lgkmcnt(1)
	v_lshlrev_b64 v[4:5], 2, v[14:15]
	s_waitcnt lgkmcnt(0)
	v_mov_b32_e32 v2, s5
	v_add_co_u32_e32 v4, vcc, s4, v4
	v_addc_co_u32_e32 v5, vcc, v2, v5, vcc
	global_store_dword v[4:5], v3, off
.LBB3596_191:
	s_or_b64 exec, exec, s[2:3]
	v_cmp_eq_u32_e32 vcc, 0, v0
	s_and_b64 s[0:1], vcc, s[22:23]
	s_and_saveexec_b64 s[2:3], s[0:1]
	s_cbranch_execz .LBB3596_193
; %bb.192:
	v_add_co_u32_e32 v0, vcc, v1, v10
	s_waitcnt lgkmcnt(0)
	v_mov_b32_e32 v2, 0
	v_addc_co_u32_e32 v1, vcc, 0, v11, vcc
	global_store_dwordx2 v2, v[0:1], s[20:21]
.LBB3596_193:
	s_endpgm
	.section	.rodata,"a",@progbits
	.p2align	6, 0x0
	.amdhsa_kernel _ZN7rocprim17ROCPRIM_400000_NS6detail17trampoline_kernelINS0_14default_configENS1_25partition_config_selectorILNS1_17partition_subalgoE2EiNS0_10empty_typeEbEEZZNS1_14partition_implILS5_2ELb0ES3_jN6thrust23THRUST_200600_302600_NS6detail15normal_iteratorINSA_7pointerIiNSA_11hip_rocprim3tagENSA_11use_defaultESG_EEEEPS6_NSA_18transform_iteratorI10is_orderedNSA_12zip_iteratorINSA_5tupleINSC_INSA_10device_ptrIiEEEESQ_NSA_9null_typeESR_SR_SR_SR_SR_SR_SR_EEEESG_SG_EENS0_5tupleIJPiSJ_EEENSV_IJSJ_SJ_EEES6_PlJS6_EEE10hipError_tPvRmT3_T4_T5_T6_T7_T9_mT8_P12ihipStream_tbDpT10_ENKUlT_T0_E_clISt17integral_constantIbLb0EES1J_EEDaS1E_S1F_EUlS1E_E_NS1_11comp_targetILNS1_3genE4ELNS1_11target_archE910ELNS1_3gpuE8ELNS1_3repE0EEENS1_30default_config_static_selectorELNS0_4arch9wavefront6targetE1EEEvT1_
		.amdhsa_group_segment_fixed_size 10248
		.amdhsa_private_segment_fixed_size 0
		.amdhsa_kernarg_size 136
		.amdhsa_user_sgpr_count 6
		.amdhsa_user_sgpr_private_segment_buffer 1
		.amdhsa_user_sgpr_dispatch_ptr 0
		.amdhsa_user_sgpr_queue_ptr 0
		.amdhsa_user_sgpr_kernarg_segment_ptr 1
		.amdhsa_user_sgpr_dispatch_id 0
		.amdhsa_user_sgpr_flat_scratch_init 0
		.amdhsa_user_sgpr_kernarg_preload_length 0
		.amdhsa_user_sgpr_kernarg_preload_offset 0
		.amdhsa_user_sgpr_private_segment_size 0
		.amdhsa_uses_dynamic_stack 0
		.amdhsa_system_sgpr_private_segment_wavefront_offset 0
		.amdhsa_system_sgpr_workgroup_id_x 1
		.amdhsa_system_sgpr_workgroup_id_y 0
		.amdhsa_system_sgpr_workgroup_id_z 0
		.amdhsa_system_sgpr_workgroup_info 0
		.amdhsa_system_vgpr_workitem_id 0
		.amdhsa_next_free_vgpr 53
		.amdhsa_next_free_sgpr 46
		.amdhsa_accum_offset 56
		.amdhsa_reserve_vcc 1
		.amdhsa_reserve_flat_scratch 0
		.amdhsa_float_round_mode_32 0
		.amdhsa_float_round_mode_16_64 0
		.amdhsa_float_denorm_mode_32 3
		.amdhsa_float_denorm_mode_16_64 3
		.amdhsa_dx10_clamp 1
		.amdhsa_ieee_mode 1
		.amdhsa_fp16_overflow 0
		.amdhsa_tg_split 0
		.amdhsa_exception_fp_ieee_invalid_op 0
		.amdhsa_exception_fp_denorm_src 0
		.amdhsa_exception_fp_ieee_div_zero 0
		.amdhsa_exception_fp_ieee_overflow 0
		.amdhsa_exception_fp_ieee_underflow 0
		.amdhsa_exception_fp_ieee_inexact 0
		.amdhsa_exception_int_div_zero 0
	.end_amdhsa_kernel
	.section	.text._ZN7rocprim17ROCPRIM_400000_NS6detail17trampoline_kernelINS0_14default_configENS1_25partition_config_selectorILNS1_17partition_subalgoE2EiNS0_10empty_typeEbEEZZNS1_14partition_implILS5_2ELb0ES3_jN6thrust23THRUST_200600_302600_NS6detail15normal_iteratorINSA_7pointerIiNSA_11hip_rocprim3tagENSA_11use_defaultESG_EEEEPS6_NSA_18transform_iteratorI10is_orderedNSA_12zip_iteratorINSA_5tupleINSC_INSA_10device_ptrIiEEEESQ_NSA_9null_typeESR_SR_SR_SR_SR_SR_SR_EEEESG_SG_EENS0_5tupleIJPiSJ_EEENSV_IJSJ_SJ_EEES6_PlJS6_EEE10hipError_tPvRmT3_T4_T5_T6_T7_T9_mT8_P12ihipStream_tbDpT10_ENKUlT_T0_E_clISt17integral_constantIbLb0EES1J_EEDaS1E_S1F_EUlS1E_E_NS1_11comp_targetILNS1_3genE4ELNS1_11target_archE910ELNS1_3gpuE8ELNS1_3repE0EEENS1_30default_config_static_selectorELNS0_4arch9wavefront6targetE1EEEvT1_,"axG",@progbits,_ZN7rocprim17ROCPRIM_400000_NS6detail17trampoline_kernelINS0_14default_configENS1_25partition_config_selectorILNS1_17partition_subalgoE2EiNS0_10empty_typeEbEEZZNS1_14partition_implILS5_2ELb0ES3_jN6thrust23THRUST_200600_302600_NS6detail15normal_iteratorINSA_7pointerIiNSA_11hip_rocprim3tagENSA_11use_defaultESG_EEEEPS6_NSA_18transform_iteratorI10is_orderedNSA_12zip_iteratorINSA_5tupleINSC_INSA_10device_ptrIiEEEESQ_NSA_9null_typeESR_SR_SR_SR_SR_SR_SR_EEEESG_SG_EENS0_5tupleIJPiSJ_EEENSV_IJSJ_SJ_EEES6_PlJS6_EEE10hipError_tPvRmT3_T4_T5_T6_T7_T9_mT8_P12ihipStream_tbDpT10_ENKUlT_T0_E_clISt17integral_constantIbLb0EES1J_EEDaS1E_S1F_EUlS1E_E_NS1_11comp_targetILNS1_3genE4ELNS1_11target_archE910ELNS1_3gpuE8ELNS1_3repE0EEENS1_30default_config_static_selectorELNS0_4arch9wavefront6targetE1EEEvT1_,comdat
.Lfunc_end3596:
	.size	_ZN7rocprim17ROCPRIM_400000_NS6detail17trampoline_kernelINS0_14default_configENS1_25partition_config_selectorILNS1_17partition_subalgoE2EiNS0_10empty_typeEbEEZZNS1_14partition_implILS5_2ELb0ES3_jN6thrust23THRUST_200600_302600_NS6detail15normal_iteratorINSA_7pointerIiNSA_11hip_rocprim3tagENSA_11use_defaultESG_EEEEPS6_NSA_18transform_iteratorI10is_orderedNSA_12zip_iteratorINSA_5tupleINSC_INSA_10device_ptrIiEEEESQ_NSA_9null_typeESR_SR_SR_SR_SR_SR_SR_EEEESG_SG_EENS0_5tupleIJPiSJ_EEENSV_IJSJ_SJ_EEES6_PlJS6_EEE10hipError_tPvRmT3_T4_T5_T6_T7_T9_mT8_P12ihipStream_tbDpT10_ENKUlT_T0_E_clISt17integral_constantIbLb0EES1J_EEDaS1E_S1F_EUlS1E_E_NS1_11comp_targetILNS1_3genE4ELNS1_11target_archE910ELNS1_3gpuE8ELNS1_3repE0EEENS1_30default_config_static_selectorELNS0_4arch9wavefront6targetE1EEEvT1_, .Lfunc_end3596-_ZN7rocprim17ROCPRIM_400000_NS6detail17trampoline_kernelINS0_14default_configENS1_25partition_config_selectorILNS1_17partition_subalgoE2EiNS0_10empty_typeEbEEZZNS1_14partition_implILS5_2ELb0ES3_jN6thrust23THRUST_200600_302600_NS6detail15normal_iteratorINSA_7pointerIiNSA_11hip_rocprim3tagENSA_11use_defaultESG_EEEEPS6_NSA_18transform_iteratorI10is_orderedNSA_12zip_iteratorINSA_5tupleINSC_INSA_10device_ptrIiEEEESQ_NSA_9null_typeESR_SR_SR_SR_SR_SR_SR_EEEESG_SG_EENS0_5tupleIJPiSJ_EEENSV_IJSJ_SJ_EEES6_PlJS6_EEE10hipError_tPvRmT3_T4_T5_T6_T7_T9_mT8_P12ihipStream_tbDpT10_ENKUlT_T0_E_clISt17integral_constantIbLb0EES1J_EEDaS1E_S1F_EUlS1E_E_NS1_11comp_targetILNS1_3genE4ELNS1_11target_archE910ELNS1_3gpuE8ELNS1_3repE0EEENS1_30default_config_static_selectorELNS0_4arch9wavefront6targetE1EEEvT1_
                                        ; -- End function
	.section	.AMDGPU.csdata,"",@progbits
; Kernel info:
; codeLenInByte = 6916
; NumSgprs: 50
; NumVgprs: 53
; NumAgprs: 0
; TotalNumVgprs: 53
; ScratchSize: 0
; MemoryBound: 0
; FloatMode: 240
; IeeeMode: 1
; LDSByteSize: 10248 bytes/workgroup (compile time only)
; SGPRBlocks: 6
; VGPRBlocks: 6
; NumSGPRsForWavesPerEU: 50
; NumVGPRsForWavesPerEU: 53
; AccumOffset: 56
; Occupancy: 6
; WaveLimiterHint : 1
; COMPUTE_PGM_RSRC2:SCRATCH_EN: 0
; COMPUTE_PGM_RSRC2:USER_SGPR: 6
; COMPUTE_PGM_RSRC2:TRAP_HANDLER: 0
; COMPUTE_PGM_RSRC2:TGID_X_EN: 1
; COMPUTE_PGM_RSRC2:TGID_Y_EN: 0
; COMPUTE_PGM_RSRC2:TGID_Z_EN: 0
; COMPUTE_PGM_RSRC2:TIDIG_COMP_CNT: 0
; COMPUTE_PGM_RSRC3_GFX90A:ACCUM_OFFSET: 13
; COMPUTE_PGM_RSRC3_GFX90A:TG_SPLIT: 0
	.section	.text._ZN7rocprim17ROCPRIM_400000_NS6detail17trampoline_kernelINS0_14default_configENS1_25partition_config_selectorILNS1_17partition_subalgoE2EiNS0_10empty_typeEbEEZZNS1_14partition_implILS5_2ELb0ES3_jN6thrust23THRUST_200600_302600_NS6detail15normal_iteratorINSA_7pointerIiNSA_11hip_rocprim3tagENSA_11use_defaultESG_EEEEPS6_NSA_18transform_iteratorI10is_orderedNSA_12zip_iteratorINSA_5tupleINSC_INSA_10device_ptrIiEEEESQ_NSA_9null_typeESR_SR_SR_SR_SR_SR_SR_EEEESG_SG_EENS0_5tupleIJPiSJ_EEENSV_IJSJ_SJ_EEES6_PlJS6_EEE10hipError_tPvRmT3_T4_T5_T6_T7_T9_mT8_P12ihipStream_tbDpT10_ENKUlT_T0_E_clISt17integral_constantIbLb0EES1J_EEDaS1E_S1F_EUlS1E_E_NS1_11comp_targetILNS1_3genE3ELNS1_11target_archE908ELNS1_3gpuE7ELNS1_3repE0EEENS1_30default_config_static_selectorELNS0_4arch9wavefront6targetE1EEEvT1_,"axG",@progbits,_ZN7rocprim17ROCPRIM_400000_NS6detail17trampoline_kernelINS0_14default_configENS1_25partition_config_selectorILNS1_17partition_subalgoE2EiNS0_10empty_typeEbEEZZNS1_14partition_implILS5_2ELb0ES3_jN6thrust23THRUST_200600_302600_NS6detail15normal_iteratorINSA_7pointerIiNSA_11hip_rocprim3tagENSA_11use_defaultESG_EEEEPS6_NSA_18transform_iteratorI10is_orderedNSA_12zip_iteratorINSA_5tupleINSC_INSA_10device_ptrIiEEEESQ_NSA_9null_typeESR_SR_SR_SR_SR_SR_SR_EEEESG_SG_EENS0_5tupleIJPiSJ_EEENSV_IJSJ_SJ_EEES6_PlJS6_EEE10hipError_tPvRmT3_T4_T5_T6_T7_T9_mT8_P12ihipStream_tbDpT10_ENKUlT_T0_E_clISt17integral_constantIbLb0EES1J_EEDaS1E_S1F_EUlS1E_E_NS1_11comp_targetILNS1_3genE3ELNS1_11target_archE908ELNS1_3gpuE7ELNS1_3repE0EEENS1_30default_config_static_selectorELNS0_4arch9wavefront6targetE1EEEvT1_,comdat
	.protected	_ZN7rocprim17ROCPRIM_400000_NS6detail17trampoline_kernelINS0_14default_configENS1_25partition_config_selectorILNS1_17partition_subalgoE2EiNS0_10empty_typeEbEEZZNS1_14partition_implILS5_2ELb0ES3_jN6thrust23THRUST_200600_302600_NS6detail15normal_iteratorINSA_7pointerIiNSA_11hip_rocprim3tagENSA_11use_defaultESG_EEEEPS6_NSA_18transform_iteratorI10is_orderedNSA_12zip_iteratorINSA_5tupleINSC_INSA_10device_ptrIiEEEESQ_NSA_9null_typeESR_SR_SR_SR_SR_SR_SR_EEEESG_SG_EENS0_5tupleIJPiSJ_EEENSV_IJSJ_SJ_EEES6_PlJS6_EEE10hipError_tPvRmT3_T4_T5_T6_T7_T9_mT8_P12ihipStream_tbDpT10_ENKUlT_T0_E_clISt17integral_constantIbLb0EES1J_EEDaS1E_S1F_EUlS1E_E_NS1_11comp_targetILNS1_3genE3ELNS1_11target_archE908ELNS1_3gpuE7ELNS1_3repE0EEENS1_30default_config_static_selectorELNS0_4arch9wavefront6targetE1EEEvT1_ ; -- Begin function _ZN7rocprim17ROCPRIM_400000_NS6detail17trampoline_kernelINS0_14default_configENS1_25partition_config_selectorILNS1_17partition_subalgoE2EiNS0_10empty_typeEbEEZZNS1_14partition_implILS5_2ELb0ES3_jN6thrust23THRUST_200600_302600_NS6detail15normal_iteratorINSA_7pointerIiNSA_11hip_rocprim3tagENSA_11use_defaultESG_EEEEPS6_NSA_18transform_iteratorI10is_orderedNSA_12zip_iteratorINSA_5tupleINSC_INSA_10device_ptrIiEEEESQ_NSA_9null_typeESR_SR_SR_SR_SR_SR_SR_EEEESG_SG_EENS0_5tupleIJPiSJ_EEENSV_IJSJ_SJ_EEES6_PlJS6_EEE10hipError_tPvRmT3_T4_T5_T6_T7_T9_mT8_P12ihipStream_tbDpT10_ENKUlT_T0_E_clISt17integral_constantIbLb0EES1J_EEDaS1E_S1F_EUlS1E_E_NS1_11comp_targetILNS1_3genE3ELNS1_11target_archE908ELNS1_3gpuE7ELNS1_3repE0EEENS1_30default_config_static_selectorELNS0_4arch9wavefront6targetE1EEEvT1_
	.globl	_ZN7rocprim17ROCPRIM_400000_NS6detail17trampoline_kernelINS0_14default_configENS1_25partition_config_selectorILNS1_17partition_subalgoE2EiNS0_10empty_typeEbEEZZNS1_14partition_implILS5_2ELb0ES3_jN6thrust23THRUST_200600_302600_NS6detail15normal_iteratorINSA_7pointerIiNSA_11hip_rocprim3tagENSA_11use_defaultESG_EEEEPS6_NSA_18transform_iteratorI10is_orderedNSA_12zip_iteratorINSA_5tupleINSC_INSA_10device_ptrIiEEEESQ_NSA_9null_typeESR_SR_SR_SR_SR_SR_SR_EEEESG_SG_EENS0_5tupleIJPiSJ_EEENSV_IJSJ_SJ_EEES6_PlJS6_EEE10hipError_tPvRmT3_T4_T5_T6_T7_T9_mT8_P12ihipStream_tbDpT10_ENKUlT_T0_E_clISt17integral_constantIbLb0EES1J_EEDaS1E_S1F_EUlS1E_E_NS1_11comp_targetILNS1_3genE3ELNS1_11target_archE908ELNS1_3gpuE7ELNS1_3repE0EEENS1_30default_config_static_selectorELNS0_4arch9wavefront6targetE1EEEvT1_
	.p2align	8
	.type	_ZN7rocprim17ROCPRIM_400000_NS6detail17trampoline_kernelINS0_14default_configENS1_25partition_config_selectorILNS1_17partition_subalgoE2EiNS0_10empty_typeEbEEZZNS1_14partition_implILS5_2ELb0ES3_jN6thrust23THRUST_200600_302600_NS6detail15normal_iteratorINSA_7pointerIiNSA_11hip_rocprim3tagENSA_11use_defaultESG_EEEEPS6_NSA_18transform_iteratorI10is_orderedNSA_12zip_iteratorINSA_5tupleINSC_INSA_10device_ptrIiEEEESQ_NSA_9null_typeESR_SR_SR_SR_SR_SR_SR_EEEESG_SG_EENS0_5tupleIJPiSJ_EEENSV_IJSJ_SJ_EEES6_PlJS6_EEE10hipError_tPvRmT3_T4_T5_T6_T7_T9_mT8_P12ihipStream_tbDpT10_ENKUlT_T0_E_clISt17integral_constantIbLb0EES1J_EEDaS1E_S1F_EUlS1E_E_NS1_11comp_targetILNS1_3genE3ELNS1_11target_archE908ELNS1_3gpuE7ELNS1_3repE0EEENS1_30default_config_static_selectorELNS0_4arch9wavefront6targetE1EEEvT1_,@function
_ZN7rocprim17ROCPRIM_400000_NS6detail17trampoline_kernelINS0_14default_configENS1_25partition_config_selectorILNS1_17partition_subalgoE2EiNS0_10empty_typeEbEEZZNS1_14partition_implILS5_2ELb0ES3_jN6thrust23THRUST_200600_302600_NS6detail15normal_iteratorINSA_7pointerIiNSA_11hip_rocprim3tagENSA_11use_defaultESG_EEEEPS6_NSA_18transform_iteratorI10is_orderedNSA_12zip_iteratorINSA_5tupleINSC_INSA_10device_ptrIiEEEESQ_NSA_9null_typeESR_SR_SR_SR_SR_SR_SR_EEEESG_SG_EENS0_5tupleIJPiSJ_EEENSV_IJSJ_SJ_EEES6_PlJS6_EEE10hipError_tPvRmT3_T4_T5_T6_T7_T9_mT8_P12ihipStream_tbDpT10_ENKUlT_T0_E_clISt17integral_constantIbLb0EES1J_EEDaS1E_S1F_EUlS1E_E_NS1_11comp_targetILNS1_3genE3ELNS1_11target_archE908ELNS1_3gpuE7ELNS1_3repE0EEENS1_30default_config_static_selectorELNS0_4arch9wavefront6targetE1EEEvT1_: ; @_ZN7rocprim17ROCPRIM_400000_NS6detail17trampoline_kernelINS0_14default_configENS1_25partition_config_selectorILNS1_17partition_subalgoE2EiNS0_10empty_typeEbEEZZNS1_14partition_implILS5_2ELb0ES3_jN6thrust23THRUST_200600_302600_NS6detail15normal_iteratorINSA_7pointerIiNSA_11hip_rocprim3tagENSA_11use_defaultESG_EEEEPS6_NSA_18transform_iteratorI10is_orderedNSA_12zip_iteratorINSA_5tupleINSC_INSA_10device_ptrIiEEEESQ_NSA_9null_typeESR_SR_SR_SR_SR_SR_SR_EEEESG_SG_EENS0_5tupleIJPiSJ_EEENSV_IJSJ_SJ_EEES6_PlJS6_EEE10hipError_tPvRmT3_T4_T5_T6_T7_T9_mT8_P12ihipStream_tbDpT10_ENKUlT_T0_E_clISt17integral_constantIbLb0EES1J_EEDaS1E_S1F_EUlS1E_E_NS1_11comp_targetILNS1_3genE3ELNS1_11target_archE908ELNS1_3gpuE7ELNS1_3repE0EEENS1_30default_config_static_selectorELNS0_4arch9wavefront6targetE1EEEvT1_
; %bb.0:
	.section	.rodata,"a",@progbits
	.p2align	6, 0x0
	.amdhsa_kernel _ZN7rocprim17ROCPRIM_400000_NS6detail17trampoline_kernelINS0_14default_configENS1_25partition_config_selectorILNS1_17partition_subalgoE2EiNS0_10empty_typeEbEEZZNS1_14partition_implILS5_2ELb0ES3_jN6thrust23THRUST_200600_302600_NS6detail15normal_iteratorINSA_7pointerIiNSA_11hip_rocprim3tagENSA_11use_defaultESG_EEEEPS6_NSA_18transform_iteratorI10is_orderedNSA_12zip_iteratorINSA_5tupleINSC_INSA_10device_ptrIiEEEESQ_NSA_9null_typeESR_SR_SR_SR_SR_SR_SR_EEEESG_SG_EENS0_5tupleIJPiSJ_EEENSV_IJSJ_SJ_EEES6_PlJS6_EEE10hipError_tPvRmT3_T4_T5_T6_T7_T9_mT8_P12ihipStream_tbDpT10_ENKUlT_T0_E_clISt17integral_constantIbLb0EES1J_EEDaS1E_S1F_EUlS1E_E_NS1_11comp_targetILNS1_3genE3ELNS1_11target_archE908ELNS1_3gpuE7ELNS1_3repE0EEENS1_30default_config_static_selectorELNS0_4arch9wavefront6targetE1EEEvT1_
		.amdhsa_group_segment_fixed_size 0
		.amdhsa_private_segment_fixed_size 0
		.amdhsa_kernarg_size 136
		.amdhsa_user_sgpr_count 6
		.amdhsa_user_sgpr_private_segment_buffer 1
		.amdhsa_user_sgpr_dispatch_ptr 0
		.amdhsa_user_sgpr_queue_ptr 0
		.amdhsa_user_sgpr_kernarg_segment_ptr 1
		.amdhsa_user_sgpr_dispatch_id 0
		.amdhsa_user_sgpr_flat_scratch_init 0
		.amdhsa_user_sgpr_kernarg_preload_length 0
		.amdhsa_user_sgpr_kernarg_preload_offset 0
		.amdhsa_user_sgpr_private_segment_size 0
		.amdhsa_uses_dynamic_stack 0
		.amdhsa_system_sgpr_private_segment_wavefront_offset 0
		.amdhsa_system_sgpr_workgroup_id_x 1
		.amdhsa_system_sgpr_workgroup_id_y 0
		.amdhsa_system_sgpr_workgroup_id_z 0
		.amdhsa_system_sgpr_workgroup_info 0
		.amdhsa_system_vgpr_workitem_id 0
		.amdhsa_next_free_vgpr 1
		.amdhsa_next_free_sgpr 0
		.amdhsa_accum_offset 4
		.amdhsa_reserve_vcc 0
		.amdhsa_reserve_flat_scratch 0
		.amdhsa_float_round_mode_32 0
		.amdhsa_float_round_mode_16_64 0
		.amdhsa_float_denorm_mode_32 3
		.amdhsa_float_denorm_mode_16_64 3
		.amdhsa_dx10_clamp 1
		.amdhsa_ieee_mode 1
		.amdhsa_fp16_overflow 0
		.amdhsa_tg_split 0
		.amdhsa_exception_fp_ieee_invalid_op 0
		.amdhsa_exception_fp_denorm_src 0
		.amdhsa_exception_fp_ieee_div_zero 0
		.amdhsa_exception_fp_ieee_overflow 0
		.amdhsa_exception_fp_ieee_underflow 0
		.amdhsa_exception_fp_ieee_inexact 0
		.amdhsa_exception_int_div_zero 0
	.end_amdhsa_kernel
	.section	.text._ZN7rocprim17ROCPRIM_400000_NS6detail17trampoline_kernelINS0_14default_configENS1_25partition_config_selectorILNS1_17partition_subalgoE2EiNS0_10empty_typeEbEEZZNS1_14partition_implILS5_2ELb0ES3_jN6thrust23THRUST_200600_302600_NS6detail15normal_iteratorINSA_7pointerIiNSA_11hip_rocprim3tagENSA_11use_defaultESG_EEEEPS6_NSA_18transform_iteratorI10is_orderedNSA_12zip_iteratorINSA_5tupleINSC_INSA_10device_ptrIiEEEESQ_NSA_9null_typeESR_SR_SR_SR_SR_SR_SR_EEEESG_SG_EENS0_5tupleIJPiSJ_EEENSV_IJSJ_SJ_EEES6_PlJS6_EEE10hipError_tPvRmT3_T4_T5_T6_T7_T9_mT8_P12ihipStream_tbDpT10_ENKUlT_T0_E_clISt17integral_constantIbLb0EES1J_EEDaS1E_S1F_EUlS1E_E_NS1_11comp_targetILNS1_3genE3ELNS1_11target_archE908ELNS1_3gpuE7ELNS1_3repE0EEENS1_30default_config_static_selectorELNS0_4arch9wavefront6targetE1EEEvT1_,"axG",@progbits,_ZN7rocprim17ROCPRIM_400000_NS6detail17trampoline_kernelINS0_14default_configENS1_25partition_config_selectorILNS1_17partition_subalgoE2EiNS0_10empty_typeEbEEZZNS1_14partition_implILS5_2ELb0ES3_jN6thrust23THRUST_200600_302600_NS6detail15normal_iteratorINSA_7pointerIiNSA_11hip_rocprim3tagENSA_11use_defaultESG_EEEEPS6_NSA_18transform_iteratorI10is_orderedNSA_12zip_iteratorINSA_5tupleINSC_INSA_10device_ptrIiEEEESQ_NSA_9null_typeESR_SR_SR_SR_SR_SR_SR_EEEESG_SG_EENS0_5tupleIJPiSJ_EEENSV_IJSJ_SJ_EEES6_PlJS6_EEE10hipError_tPvRmT3_T4_T5_T6_T7_T9_mT8_P12ihipStream_tbDpT10_ENKUlT_T0_E_clISt17integral_constantIbLb0EES1J_EEDaS1E_S1F_EUlS1E_E_NS1_11comp_targetILNS1_3genE3ELNS1_11target_archE908ELNS1_3gpuE7ELNS1_3repE0EEENS1_30default_config_static_selectorELNS0_4arch9wavefront6targetE1EEEvT1_,comdat
.Lfunc_end3597:
	.size	_ZN7rocprim17ROCPRIM_400000_NS6detail17trampoline_kernelINS0_14default_configENS1_25partition_config_selectorILNS1_17partition_subalgoE2EiNS0_10empty_typeEbEEZZNS1_14partition_implILS5_2ELb0ES3_jN6thrust23THRUST_200600_302600_NS6detail15normal_iteratorINSA_7pointerIiNSA_11hip_rocprim3tagENSA_11use_defaultESG_EEEEPS6_NSA_18transform_iteratorI10is_orderedNSA_12zip_iteratorINSA_5tupleINSC_INSA_10device_ptrIiEEEESQ_NSA_9null_typeESR_SR_SR_SR_SR_SR_SR_EEEESG_SG_EENS0_5tupleIJPiSJ_EEENSV_IJSJ_SJ_EEES6_PlJS6_EEE10hipError_tPvRmT3_T4_T5_T6_T7_T9_mT8_P12ihipStream_tbDpT10_ENKUlT_T0_E_clISt17integral_constantIbLb0EES1J_EEDaS1E_S1F_EUlS1E_E_NS1_11comp_targetILNS1_3genE3ELNS1_11target_archE908ELNS1_3gpuE7ELNS1_3repE0EEENS1_30default_config_static_selectorELNS0_4arch9wavefront6targetE1EEEvT1_, .Lfunc_end3597-_ZN7rocprim17ROCPRIM_400000_NS6detail17trampoline_kernelINS0_14default_configENS1_25partition_config_selectorILNS1_17partition_subalgoE2EiNS0_10empty_typeEbEEZZNS1_14partition_implILS5_2ELb0ES3_jN6thrust23THRUST_200600_302600_NS6detail15normal_iteratorINSA_7pointerIiNSA_11hip_rocprim3tagENSA_11use_defaultESG_EEEEPS6_NSA_18transform_iteratorI10is_orderedNSA_12zip_iteratorINSA_5tupleINSC_INSA_10device_ptrIiEEEESQ_NSA_9null_typeESR_SR_SR_SR_SR_SR_SR_EEEESG_SG_EENS0_5tupleIJPiSJ_EEENSV_IJSJ_SJ_EEES6_PlJS6_EEE10hipError_tPvRmT3_T4_T5_T6_T7_T9_mT8_P12ihipStream_tbDpT10_ENKUlT_T0_E_clISt17integral_constantIbLb0EES1J_EEDaS1E_S1F_EUlS1E_E_NS1_11comp_targetILNS1_3genE3ELNS1_11target_archE908ELNS1_3gpuE7ELNS1_3repE0EEENS1_30default_config_static_selectorELNS0_4arch9wavefront6targetE1EEEvT1_
                                        ; -- End function
	.section	.AMDGPU.csdata,"",@progbits
; Kernel info:
; codeLenInByte = 0
; NumSgprs: 4
; NumVgprs: 0
; NumAgprs: 0
; TotalNumVgprs: 0
; ScratchSize: 0
; MemoryBound: 0
; FloatMode: 240
; IeeeMode: 1
; LDSByteSize: 0 bytes/workgroup (compile time only)
; SGPRBlocks: 0
; VGPRBlocks: 0
; NumSGPRsForWavesPerEU: 4
; NumVGPRsForWavesPerEU: 1
; AccumOffset: 4
; Occupancy: 8
; WaveLimiterHint : 0
; COMPUTE_PGM_RSRC2:SCRATCH_EN: 0
; COMPUTE_PGM_RSRC2:USER_SGPR: 6
; COMPUTE_PGM_RSRC2:TRAP_HANDLER: 0
; COMPUTE_PGM_RSRC2:TGID_X_EN: 1
; COMPUTE_PGM_RSRC2:TGID_Y_EN: 0
; COMPUTE_PGM_RSRC2:TGID_Z_EN: 0
; COMPUTE_PGM_RSRC2:TIDIG_COMP_CNT: 0
; COMPUTE_PGM_RSRC3_GFX90A:ACCUM_OFFSET: 0
; COMPUTE_PGM_RSRC3_GFX90A:TG_SPLIT: 0
	.section	.text._ZN7rocprim17ROCPRIM_400000_NS6detail17trampoline_kernelINS0_14default_configENS1_25partition_config_selectorILNS1_17partition_subalgoE2EiNS0_10empty_typeEbEEZZNS1_14partition_implILS5_2ELb0ES3_jN6thrust23THRUST_200600_302600_NS6detail15normal_iteratorINSA_7pointerIiNSA_11hip_rocprim3tagENSA_11use_defaultESG_EEEEPS6_NSA_18transform_iteratorI10is_orderedNSA_12zip_iteratorINSA_5tupleINSC_INSA_10device_ptrIiEEEESQ_NSA_9null_typeESR_SR_SR_SR_SR_SR_SR_EEEESG_SG_EENS0_5tupleIJPiSJ_EEENSV_IJSJ_SJ_EEES6_PlJS6_EEE10hipError_tPvRmT3_T4_T5_T6_T7_T9_mT8_P12ihipStream_tbDpT10_ENKUlT_T0_E_clISt17integral_constantIbLb0EES1J_EEDaS1E_S1F_EUlS1E_E_NS1_11comp_targetILNS1_3genE2ELNS1_11target_archE906ELNS1_3gpuE6ELNS1_3repE0EEENS1_30default_config_static_selectorELNS0_4arch9wavefront6targetE1EEEvT1_,"axG",@progbits,_ZN7rocprim17ROCPRIM_400000_NS6detail17trampoline_kernelINS0_14default_configENS1_25partition_config_selectorILNS1_17partition_subalgoE2EiNS0_10empty_typeEbEEZZNS1_14partition_implILS5_2ELb0ES3_jN6thrust23THRUST_200600_302600_NS6detail15normal_iteratorINSA_7pointerIiNSA_11hip_rocprim3tagENSA_11use_defaultESG_EEEEPS6_NSA_18transform_iteratorI10is_orderedNSA_12zip_iteratorINSA_5tupleINSC_INSA_10device_ptrIiEEEESQ_NSA_9null_typeESR_SR_SR_SR_SR_SR_SR_EEEESG_SG_EENS0_5tupleIJPiSJ_EEENSV_IJSJ_SJ_EEES6_PlJS6_EEE10hipError_tPvRmT3_T4_T5_T6_T7_T9_mT8_P12ihipStream_tbDpT10_ENKUlT_T0_E_clISt17integral_constantIbLb0EES1J_EEDaS1E_S1F_EUlS1E_E_NS1_11comp_targetILNS1_3genE2ELNS1_11target_archE906ELNS1_3gpuE6ELNS1_3repE0EEENS1_30default_config_static_selectorELNS0_4arch9wavefront6targetE1EEEvT1_,comdat
	.protected	_ZN7rocprim17ROCPRIM_400000_NS6detail17trampoline_kernelINS0_14default_configENS1_25partition_config_selectorILNS1_17partition_subalgoE2EiNS0_10empty_typeEbEEZZNS1_14partition_implILS5_2ELb0ES3_jN6thrust23THRUST_200600_302600_NS6detail15normal_iteratorINSA_7pointerIiNSA_11hip_rocprim3tagENSA_11use_defaultESG_EEEEPS6_NSA_18transform_iteratorI10is_orderedNSA_12zip_iteratorINSA_5tupleINSC_INSA_10device_ptrIiEEEESQ_NSA_9null_typeESR_SR_SR_SR_SR_SR_SR_EEEESG_SG_EENS0_5tupleIJPiSJ_EEENSV_IJSJ_SJ_EEES6_PlJS6_EEE10hipError_tPvRmT3_T4_T5_T6_T7_T9_mT8_P12ihipStream_tbDpT10_ENKUlT_T0_E_clISt17integral_constantIbLb0EES1J_EEDaS1E_S1F_EUlS1E_E_NS1_11comp_targetILNS1_3genE2ELNS1_11target_archE906ELNS1_3gpuE6ELNS1_3repE0EEENS1_30default_config_static_selectorELNS0_4arch9wavefront6targetE1EEEvT1_ ; -- Begin function _ZN7rocprim17ROCPRIM_400000_NS6detail17trampoline_kernelINS0_14default_configENS1_25partition_config_selectorILNS1_17partition_subalgoE2EiNS0_10empty_typeEbEEZZNS1_14partition_implILS5_2ELb0ES3_jN6thrust23THRUST_200600_302600_NS6detail15normal_iteratorINSA_7pointerIiNSA_11hip_rocprim3tagENSA_11use_defaultESG_EEEEPS6_NSA_18transform_iteratorI10is_orderedNSA_12zip_iteratorINSA_5tupleINSC_INSA_10device_ptrIiEEEESQ_NSA_9null_typeESR_SR_SR_SR_SR_SR_SR_EEEESG_SG_EENS0_5tupleIJPiSJ_EEENSV_IJSJ_SJ_EEES6_PlJS6_EEE10hipError_tPvRmT3_T4_T5_T6_T7_T9_mT8_P12ihipStream_tbDpT10_ENKUlT_T0_E_clISt17integral_constantIbLb0EES1J_EEDaS1E_S1F_EUlS1E_E_NS1_11comp_targetILNS1_3genE2ELNS1_11target_archE906ELNS1_3gpuE6ELNS1_3repE0EEENS1_30default_config_static_selectorELNS0_4arch9wavefront6targetE1EEEvT1_
	.globl	_ZN7rocprim17ROCPRIM_400000_NS6detail17trampoline_kernelINS0_14default_configENS1_25partition_config_selectorILNS1_17partition_subalgoE2EiNS0_10empty_typeEbEEZZNS1_14partition_implILS5_2ELb0ES3_jN6thrust23THRUST_200600_302600_NS6detail15normal_iteratorINSA_7pointerIiNSA_11hip_rocprim3tagENSA_11use_defaultESG_EEEEPS6_NSA_18transform_iteratorI10is_orderedNSA_12zip_iteratorINSA_5tupleINSC_INSA_10device_ptrIiEEEESQ_NSA_9null_typeESR_SR_SR_SR_SR_SR_SR_EEEESG_SG_EENS0_5tupleIJPiSJ_EEENSV_IJSJ_SJ_EEES6_PlJS6_EEE10hipError_tPvRmT3_T4_T5_T6_T7_T9_mT8_P12ihipStream_tbDpT10_ENKUlT_T0_E_clISt17integral_constantIbLb0EES1J_EEDaS1E_S1F_EUlS1E_E_NS1_11comp_targetILNS1_3genE2ELNS1_11target_archE906ELNS1_3gpuE6ELNS1_3repE0EEENS1_30default_config_static_selectorELNS0_4arch9wavefront6targetE1EEEvT1_
	.p2align	8
	.type	_ZN7rocprim17ROCPRIM_400000_NS6detail17trampoline_kernelINS0_14default_configENS1_25partition_config_selectorILNS1_17partition_subalgoE2EiNS0_10empty_typeEbEEZZNS1_14partition_implILS5_2ELb0ES3_jN6thrust23THRUST_200600_302600_NS6detail15normal_iteratorINSA_7pointerIiNSA_11hip_rocprim3tagENSA_11use_defaultESG_EEEEPS6_NSA_18transform_iteratorI10is_orderedNSA_12zip_iteratorINSA_5tupleINSC_INSA_10device_ptrIiEEEESQ_NSA_9null_typeESR_SR_SR_SR_SR_SR_SR_EEEESG_SG_EENS0_5tupleIJPiSJ_EEENSV_IJSJ_SJ_EEES6_PlJS6_EEE10hipError_tPvRmT3_T4_T5_T6_T7_T9_mT8_P12ihipStream_tbDpT10_ENKUlT_T0_E_clISt17integral_constantIbLb0EES1J_EEDaS1E_S1F_EUlS1E_E_NS1_11comp_targetILNS1_3genE2ELNS1_11target_archE906ELNS1_3gpuE6ELNS1_3repE0EEENS1_30default_config_static_selectorELNS0_4arch9wavefront6targetE1EEEvT1_,@function
_ZN7rocprim17ROCPRIM_400000_NS6detail17trampoline_kernelINS0_14default_configENS1_25partition_config_selectorILNS1_17partition_subalgoE2EiNS0_10empty_typeEbEEZZNS1_14partition_implILS5_2ELb0ES3_jN6thrust23THRUST_200600_302600_NS6detail15normal_iteratorINSA_7pointerIiNSA_11hip_rocprim3tagENSA_11use_defaultESG_EEEEPS6_NSA_18transform_iteratorI10is_orderedNSA_12zip_iteratorINSA_5tupleINSC_INSA_10device_ptrIiEEEESQ_NSA_9null_typeESR_SR_SR_SR_SR_SR_SR_EEEESG_SG_EENS0_5tupleIJPiSJ_EEENSV_IJSJ_SJ_EEES6_PlJS6_EEE10hipError_tPvRmT3_T4_T5_T6_T7_T9_mT8_P12ihipStream_tbDpT10_ENKUlT_T0_E_clISt17integral_constantIbLb0EES1J_EEDaS1E_S1F_EUlS1E_E_NS1_11comp_targetILNS1_3genE2ELNS1_11target_archE906ELNS1_3gpuE6ELNS1_3repE0EEENS1_30default_config_static_selectorELNS0_4arch9wavefront6targetE1EEEvT1_: ; @_ZN7rocprim17ROCPRIM_400000_NS6detail17trampoline_kernelINS0_14default_configENS1_25partition_config_selectorILNS1_17partition_subalgoE2EiNS0_10empty_typeEbEEZZNS1_14partition_implILS5_2ELb0ES3_jN6thrust23THRUST_200600_302600_NS6detail15normal_iteratorINSA_7pointerIiNSA_11hip_rocprim3tagENSA_11use_defaultESG_EEEEPS6_NSA_18transform_iteratorI10is_orderedNSA_12zip_iteratorINSA_5tupleINSC_INSA_10device_ptrIiEEEESQ_NSA_9null_typeESR_SR_SR_SR_SR_SR_SR_EEEESG_SG_EENS0_5tupleIJPiSJ_EEENSV_IJSJ_SJ_EEES6_PlJS6_EEE10hipError_tPvRmT3_T4_T5_T6_T7_T9_mT8_P12ihipStream_tbDpT10_ENKUlT_T0_E_clISt17integral_constantIbLb0EES1J_EEDaS1E_S1F_EUlS1E_E_NS1_11comp_targetILNS1_3genE2ELNS1_11target_archE906ELNS1_3gpuE6ELNS1_3repE0EEENS1_30default_config_static_selectorELNS0_4arch9wavefront6targetE1EEEvT1_
; %bb.0:
	.section	.rodata,"a",@progbits
	.p2align	6, 0x0
	.amdhsa_kernel _ZN7rocprim17ROCPRIM_400000_NS6detail17trampoline_kernelINS0_14default_configENS1_25partition_config_selectorILNS1_17partition_subalgoE2EiNS0_10empty_typeEbEEZZNS1_14partition_implILS5_2ELb0ES3_jN6thrust23THRUST_200600_302600_NS6detail15normal_iteratorINSA_7pointerIiNSA_11hip_rocprim3tagENSA_11use_defaultESG_EEEEPS6_NSA_18transform_iteratorI10is_orderedNSA_12zip_iteratorINSA_5tupleINSC_INSA_10device_ptrIiEEEESQ_NSA_9null_typeESR_SR_SR_SR_SR_SR_SR_EEEESG_SG_EENS0_5tupleIJPiSJ_EEENSV_IJSJ_SJ_EEES6_PlJS6_EEE10hipError_tPvRmT3_T4_T5_T6_T7_T9_mT8_P12ihipStream_tbDpT10_ENKUlT_T0_E_clISt17integral_constantIbLb0EES1J_EEDaS1E_S1F_EUlS1E_E_NS1_11comp_targetILNS1_3genE2ELNS1_11target_archE906ELNS1_3gpuE6ELNS1_3repE0EEENS1_30default_config_static_selectorELNS0_4arch9wavefront6targetE1EEEvT1_
		.amdhsa_group_segment_fixed_size 0
		.amdhsa_private_segment_fixed_size 0
		.amdhsa_kernarg_size 136
		.amdhsa_user_sgpr_count 6
		.amdhsa_user_sgpr_private_segment_buffer 1
		.amdhsa_user_sgpr_dispatch_ptr 0
		.amdhsa_user_sgpr_queue_ptr 0
		.amdhsa_user_sgpr_kernarg_segment_ptr 1
		.amdhsa_user_sgpr_dispatch_id 0
		.amdhsa_user_sgpr_flat_scratch_init 0
		.amdhsa_user_sgpr_kernarg_preload_length 0
		.amdhsa_user_sgpr_kernarg_preload_offset 0
		.amdhsa_user_sgpr_private_segment_size 0
		.amdhsa_uses_dynamic_stack 0
		.amdhsa_system_sgpr_private_segment_wavefront_offset 0
		.amdhsa_system_sgpr_workgroup_id_x 1
		.amdhsa_system_sgpr_workgroup_id_y 0
		.amdhsa_system_sgpr_workgroup_id_z 0
		.amdhsa_system_sgpr_workgroup_info 0
		.amdhsa_system_vgpr_workitem_id 0
		.amdhsa_next_free_vgpr 1
		.amdhsa_next_free_sgpr 0
		.amdhsa_accum_offset 4
		.amdhsa_reserve_vcc 0
		.amdhsa_reserve_flat_scratch 0
		.amdhsa_float_round_mode_32 0
		.amdhsa_float_round_mode_16_64 0
		.amdhsa_float_denorm_mode_32 3
		.amdhsa_float_denorm_mode_16_64 3
		.amdhsa_dx10_clamp 1
		.amdhsa_ieee_mode 1
		.amdhsa_fp16_overflow 0
		.amdhsa_tg_split 0
		.amdhsa_exception_fp_ieee_invalid_op 0
		.amdhsa_exception_fp_denorm_src 0
		.amdhsa_exception_fp_ieee_div_zero 0
		.amdhsa_exception_fp_ieee_overflow 0
		.amdhsa_exception_fp_ieee_underflow 0
		.amdhsa_exception_fp_ieee_inexact 0
		.amdhsa_exception_int_div_zero 0
	.end_amdhsa_kernel
	.section	.text._ZN7rocprim17ROCPRIM_400000_NS6detail17trampoline_kernelINS0_14default_configENS1_25partition_config_selectorILNS1_17partition_subalgoE2EiNS0_10empty_typeEbEEZZNS1_14partition_implILS5_2ELb0ES3_jN6thrust23THRUST_200600_302600_NS6detail15normal_iteratorINSA_7pointerIiNSA_11hip_rocprim3tagENSA_11use_defaultESG_EEEEPS6_NSA_18transform_iteratorI10is_orderedNSA_12zip_iteratorINSA_5tupleINSC_INSA_10device_ptrIiEEEESQ_NSA_9null_typeESR_SR_SR_SR_SR_SR_SR_EEEESG_SG_EENS0_5tupleIJPiSJ_EEENSV_IJSJ_SJ_EEES6_PlJS6_EEE10hipError_tPvRmT3_T4_T5_T6_T7_T9_mT8_P12ihipStream_tbDpT10_ENKUlT_T0_E_clISt17integral_constantIbLb0EES1J_EEDaS1E_S1F_EUlS1E_E_NS1_11comp_targetILNS1_3genE2ELNS1_11target_archE906ELNS1_3gpuE6ELNS1_3repE0EEENS1_30default_config_static_selectorELNS0_4arch9wavefront6targetE1EEEvT1_,"axG",@progbits,_ZN7rocprim17ROCPRIM_400000_NS6detail17trampoline_kernelINS0_14default_configENS1_25partition_config_selectorILNS1_17partition_subalgoE2EiNS0_10empty_typeEbEEZZNS1_14partition_implILS5_2ELb0ES3_jN6thrust23THRUST_200600_302600_NS6detail15normal_iteratorINSA_7pointerIiNSA_11hip_rocprim3tagENSA_11use_defaultESG_EEEEPS6_NSA_18transform_iteratorI10is_orderedNSA_12zip_iteratorINSA_5tupleINSC_INSA_10device_ptrIiEEEESQ_NSA_9null_typeESR_SR_SR_SR_SR_SR_SR_EEEESG_SG_EENS0_5tupleIJPiSJ_EEENSV_IJSJ_SJ_EEES6_PlJS6_EEE10hipError_tPvRmT3_T4_T5_T6_T7_T9_mT8_P12ihipStream_tbDpT10_ENKUlT_T0_E_clISt17integral_constantIbLb0EES1J_EEDaS1E_S1F_EUlS1E_E_NS1_11comp_targetILNS1_3genE2ELNS1_11target_archE906ELNS1_3gpuE6ELNS1_3repE0EEENS1_30default_config_static_selectorELNS0_4arch9wavefront6targetE1EEEvT1_,comdat
.Lfunc_end3598:
	.size	_ZN7rocprim17ROCPRIM_400000_NS6detail17trampoline_kernelINS0_14default_configENS1_25partition_config_selectorILNS1_17partition_subalgoE2EiNS0_10empty_typeEbEEZZNS1_14partition_implILS5_2ELb0ES3_jN6thrust23THRUST_200600_302600_NS6detail15normal_iteratorINSA_7pointerIiNSA_11hip_rocprim3tagENSA_11use_defaultESG_EEEEPS6_NSA_18transform_iteratorI10is_orderedNSA_12zip_iteratorINSA_5tupleINSC_INSA_10device_ptrIiEEEESQ_NSA_9null_typeESR_SR_SR_SR_SR_SR_SR_EEEESG_SG_EENS0_5tupleIJPiSJ_EEENSV_IJSJ_SJ_EEES6_PlJS6_EEE10hipError_tPvRmT3_T4_T5_T6_T7_T9_mT8_P12ihipStream_tbDpT10_ENKUlT_T0_E_clISt17integral_constantIbLb0EES1J_EEDaS1E_S1F_EUlS1E_E_NS1_11comp_targetILNS1_3genE2ELNS1_11target_archE906ELNS1_3gpuE6ELNS1_3repE0EEENS1_30default_config_static_selectorELNS0_4arch9wavefront6targetE1EEEvT1_, .Lfunc_end3598-_ZN7rocprim17ROCPRIM_400000_NS6detail17trampoline_kernelINS0_14default_configENS1_25partition_config_selectorILNS1_17partition_subalgoE2EiNS0_10empty_typeEbEEZZNS1_14partition_implILS5_2ELb0ES3_jN6thrust23THRUST_200600_302600_NS6detail15normal_iteratorINSA_7pointerIiNSA_11hip_rocprim3tagENSA_11use_defaultESG_EEEEPS6_NSA_18transform_iteratorI10is_orderedNSA_12zip_iteratorINSA_5tupleINSC_INSA_10device_ptrIiEEEESQ_NSA_9null_typeESR_SR_SR_SR_SR_SR_SR_EEEESG_SG_EENS0_5tupleIJPiSJ_EEENSV_IJSJ_SJ_EEES6_PlJS6_EEE10hipError_tPvRmT3_T4_T5_T6_T7_T9_mT8_P12ihipStream_tbDpT10_ENKUlT_T0_E_clISt17integral_constantIbLb0EES1J_EEDaS1E_S1F_EUlS1E_E_NS1_11comp_targetILNS1_3genE2ELNS1_11target_archE906ELNS1_3gpuE6ELNS1_3repE0EEENS1_30default_config_static_selectorELNS0_4arch9wavefront6targetE1EEEvT1_
                                        ; -- End function
	.section	.AMDGPU.csdata,"",@progbits
; Kernel info:
; codeLenInByte = 0
; NumSgprs: 4
; NumVgprs: 0
; NumAgprs: 0
; TotalNumVgprs: 0
; ScratchSize: 0
; MemoryBound: 0
; FloatMode: 240
; IeeeMode: 1
; LDSByteSize: 0 bytes/workgroup (compile time only)
; SGPRBlocks: 0
; VGPRBlocks: 0
; NumSGPRsForWavesPerEU: 4
; NumVGPRsForWavesPerEU: 1
; AccumOffset: 4
; Occupancy: 8
; WaveLimiterHint : 0
; COMPUTE_PGM_RSRC2:SCRATCH_EN: 0
; COMPUTE_PGM_RSRC2:USER_SGPR: 6
; COMPUTE_PGM_RSRC2:TRAP_HANDLER: 0
; COMPUTE_PGM_RSRC2:TGID_X_EN: 1
; COMPUTE_PGM_RSRC2:TGID_Y_EN: 0
; COMPUTE_PGM_RSRC2:TGID_Z_EN: 0
; COMPUTE_PGM_RSRC2:TIDIG_COMP_CNT: 0
; COMPUTE_PGM_RSRC3_GFX90A:ACCUM_OFFSET: 0
; COMPUTE_PGM_RSRC3_GFX90A:TG_SPLIT: 0
	.section	.text._ZN7rocprim17ROCPRIM_400000_NS6detail17trampoline_kernelINS0_14default_configENS1_25partition_config_selectorILNS1_17partition_subalgoE2EiNS0_10empty_typeEbEEZZNS1_14partition_implILS5_2ELb0ES3_jN6thrust23THRUST_200600_302600_NS6detail15normal_iteratorINSA_7pointerIiNSA_11hip_rocprim3tagENSA_11use_defaultESG_EEEEPS6_NSA_18transform_iteratorI10is_orderedNSA_12zip_iteratorINSA_5tupleINSC_INSA_10device_ptrIiEEEESQ_NSA_9null_typeESR_SR_SR_SR_SR_SR_SR_EEEESG_SG_EENS0_5tupleIJPiSJ_EEENSV_IJSJ_SJ_EEES6_PlJS6_EEE10hipError_tPvRmT3_T4_T5_T6_T7_T9_mT8_P12ihipStream_tbDpT10_ENKUlT_T0_E_clISt17integral_constantIbLb0EES1J_EEDaS1E_S1F_EUlS1E_E_NS1_11comp_targetILNS1_3genE10ELNS1_11target_archE1200ELNS1_3gpuE4ELNS1_3repE0EEENS1_30default_config_static_selectorELNS0_4arch9wavefront6targetE1EEEvT1_,"axG",@progbits,_ZN7rocprim17ROCPRIM_400000_NS6detail17trampoline_kernelINS0_14default_configENS1_25partition_config_selectorILNS1_17partition_subalgoE2EiNS0_10empty_typeEbEEZZNS1_14partition_implILS5_2ELb0ES3_jN6thrust23THRUST_200600_302600_NS6detail15normal_iteratorINSA_7pointerIiNSA_11hip_rocprim3tagENSA_11use_defaultESG_EEEEPS6_NSA_18transform_iteratorI10is_orderedNSA_12zip_iteratorINSA_5tupleINSC_INSA_10device_ptrIiEEEESQ_NSA_9null_typeESR_SR_SR_SR_SR_SR_SR_EEEESG_SG_EENS0_5tupleIJPiSJ_EEENSV_IJSJ_SJ_EEES6_PlJS6_EEE10hipError_tPvRmT3_T4_T5_T6_T7_T9_mT8_P12ihipStream_tbDpT10_ENKUlT_T0_E_clISt17integral_constantIbLb0EES1J_EEDaS1E_S1F_EUlS1E_E_NS1_11comp_targetILNS1_3genE10ELNS1_11target_archE1200ELNS1_3gpuE4ELNS1_3repE0EEENS1_30default_config_static_selectorELNS0_4arch9wavefront6targetE1EEEvT1_,comdat
	.protected	_ZN7rocprim17ROCPRIM_400000_NS6detail17trampoline_kernelINS0_14default_configENS1_25partition_config_selectorILNS1_17partition_subalgoE2EiNS0_10empty_typeEbEEZZNS1_14partition_implILS5_2ELb0ES3_jN6thrust23THRUST_200600_302600_NS6detail15normal_iteratorINSA_7pointerIiNSA_11hip_rocprim3tagENSA_11use_defaultESG_EEEEPS6_NSA_18transform_iteratorI10is_orderedNSA_12zip_iteratorINSA_5tupleINSC_INSA_10device_ptrIiEEEESQ_NSA_9null_typeESR_SR_SR_SR_SR_SR_SR_EEEESG_SG_EENS0_5tupleIJPiSJ_EEENSV_IJSJ_SJ_EEES6_PlJS6_EEE10hipError_tPvRmT3_T4_T5_T6_T7_T9_mT8_P12ihipStream_tbDpT10_ENKUlT_T0_E_clISt17integral_constantIbLb0EES1J_EEDaS1E_S1F_EUlS1E_E_NS1_11comp_targetILNS1_3genE10ELNS1_11target_archE1200ELNS1_3gpuE4ELNS1_3repE0EEENS1_30default_config_static_selectorELNS0_4arch9wavefront6targetE1EEEvT1_ ; -- Begin function _ZN7rocprim17ROCPRIM_400000_NS6detail17trampoline_kernelINS0_14default_configENS1_25partition_config_selectorILNS1_17partition_subalgoE2EiNS0_10empty_typeEbEEZZNS1_14partition_implILS5_2ELb0ES3_jN6thrust23THRUST_200600_302600_NS6detail15normal_iteratorINSA_7pointerIiNSA_11hip_rocprim3tagENSA_11use_defaultESG_EEEEPS6_NSA_18transform_iteratorI10is_orderedNSA_12zip_iteratorINSA_5tupleINSC_INSA_10device_ptrIiEEEESQ_NSA_9null_typeESR_SR_SR_SR_SR_SR_SR_EEEESG_SG_EENS0_5tupleIJPiSJ_EEENSV_IJSJ_SJ_EEES6_PlJS6_EEE10hipError_tPvRmT3_T4_T5_T6_T7_T9_mT8_P12ihipStream_tbDpT10_ENKUlT_T0_E_clISt17integral_constantIbLb0EES1J_EEDaS1E_S1F_EUlS1E_E_NS1_11comp_targetILNS1_3genE10ELNS1_11target_archE1200ELNS1_3gpuE4ELNS1_3repE0EEENS1_30default_config_static_selectorELNS0_4arch9wavefront6targetE1EEEvT1_
	.globl	_ZN7rocprim17ROCPRIM_400000_NS6detail17trampoline_kernelINS0_14default_configENS1_25partition_config_selectorILNS1_17partition_subalgoE2EiNS0_10empty_typeEbEEZZNS1_14partition_implILS5_2ELb0ES3_jN6thrust23THRUST_200600_302600_NS6detail15normal_iteratorINSA_7pointerIiNSA_11hip_rocprim3tagENSA_11use_defaultESG_EEEEPS6_NSA_18transform_iteratorI10is_orderedNSA_12zip_iteratorINSA_5tupleINSC_INSA_10device_ptrIiEEEESQ_NSA_9null_typeESR_SR_SR_SR_SR_SR_SR_EEEESG_SG_EENS0_5tupleIJPiSJ_EEENSV_IJSJ_SJ_EEES6_PlJS6_EEE10hipError_tPvRmT3_T4_T5_T6_T7_T9_mT8_P12ihipStream_tbDpT10_ENKUlT_T0_E_clISt17integral_constantIbLb0EES1J_EEDaS1E_S1F_EUlS1E_E_NS1_11comp_targetILNS1_3genE10ELNS1_11target_archE1200ELNS1_3gpuE4ELNS1_3repE0EEENS1_30default_config_static_selectorELNS0_4arch9wavefront6targetE1EEEvT1_
	.p2align	8
	.type	_ZN7rocprim17ROCPRIM_400000_NS6detail17trampoline_kernelINS0_14default_configENS1_25partition_config_selectorILNS1_17partition_subalgoE2EiNS0_10empty_typeEbEEZZNS1_14partition_implILS5_2ELb0ES3_jN6thrust23THRUST_200600_302600_NS6detail15normal_iteratorINSA_7pointerIiNSA_11hip_rocprim3tagENSA_11use_defaultESG_EEEEPS6_NSA_18transform_iteratorI10is_orderedNSA_12zip_iteratorINSA_5tupleINSC_INSA_10device_ptrIiEEEESQ_NSA_9null_typeESR_SR_SR_SR_SR_SR_SR_EEEESG_SG_EENS0_5tupleIJPiSJ_EEENSV_IJSJ_SJ_EEES6_PlJS6_EEE10hipError_tPvRmT3_T4_T5_T6_T7_T9_mT8_P12ihipStream_tbDpT10_ENKUlT_T0_E_clISt17integral_constantIbLb0EES1J_EEDaS1E_S1F_EUlS1E_E_NS1_11comp_targetILNS1_3genE10ELNS1_11target_archE1200ELNS1_3gpuE4ELNS1_3repE0EEENS1_30default_config_static_selectorELNS0_4arch9wavefront6targetE1EEEvT1_,@function
_ZN7rocprim17ROCPRIM_400000_NS6detail17trampoline_kernelINS0_14default_configENS1_25partition_config_selectorILNS1_17partition_subalgoE2EiNS0_10empty_typeEbEEZZNS1_14partition_implILS5_2ELb0ES3_jN6thrust23THRUST_200600_302600_NS6detail15normal_iteratorINSA_7pointerIiNSA_11hip_rocprim3tagENSA_11use_defaultESG_EEEEPS6_NSA_18transform_iteratorI10is_orderedNSA_12zip_iteratorINSA_5tupleINSC_INSA_10device_ptrIiEEEESQ_NSA_9null_typeESR_SR_SR_SR_SR_SR_SR_EEEESG_SG_EENS0_5tupleIJPiSJ_EEENSV_IJSJ_SJ_EEES6_PlJS6_EEE10hipError_tPvRmT3_T4_T5_T6_T7_T9_mT8_P12ihipStream_tbDpT10_ENKUlT_T0_E_clISt17integral_constantIbLb0EES1J_EEDaS1E_S1F_EUlS1E_E_NS1_11comp_targetILNS1_3genE10ELNS1_11target_archE1200ELNS1_3gpuE4ELNS1_3repE0EEENS1_30default_config_static_selectorELNS0_4arch9wavefront6targetE1EEEvT1_: ; @_ZN7rocprim17ROCPRIM_400000_NS6detail17trampoline_kernelINS0_14default_configENS1_25partition_config_selectorILNS1_17partition_subalgoE2EiNS0_10empty_typeEbEEZZNS1_14partition_implILS5_2ELb0ES3_jN6thrust23THRUST_200600_302600_NS6detail15normal_iteratorINSA_7pointerIiNSA_11hip_rocprim3tagENSA_11use_defaultESG_EEEEPS6_NSA_18transform_iteratorI10is_orderedNSA_12zip_iteratorINSA_5tupleINSC_INSA_10device_ptrIiEEEESQ_NSA_9null_typeESR_SR_SR_SR_SR_SR_SR_EEEESG_SG_EENS0_5tupleIJPiSJ_EEENSV_IJSJ_SJ_EEES6_PlJS6_EEE10hipError_tPvRmT3_T4_T5_T6_T7_T9_mT8_P12ihipStream_tbDpT10_ENKUlT_T0_E_clISt17integral_constantIbLb0EES1J_EEDaS1E_S1F_EUlS1E_E_NS1_11comp_targetILNS1_3genE10ELNS1_11target_archE1200ELNS1_3gpuE4ELNS1_3repE0EEENS1_30default_config_static_selectorELNS0_4arch9wavefront6targetE1EEEvT1_
; %bb.0:
	.section	.rodata,"a",@progbits
	.p2align	6, 0x0
	.amdhsa_kernel _ZN7rocprim17ROCPRIM_400000_NS6detail17trampoline_kernelINS0_14default_configENS1_25partition_config_selectorILNS1_17partition_subalgoE2EiNS0_10empty_typeEbEEZZNS1_14partition_implILS5_2ELb0ES3_jN6thrust23THRUST_200600_302600_NS6detail15normal_iteratorINSA_7pointerIiNSA_11hip_rocprim3tagENSA_11use_defaultESG_EEEEPS6_NSA_18transform_iteratorI10is_orderedNSA_12zip_iteratorINSA_5tupleINSC_INSA_10device_ptrIiEEEESQ_NSA_9null_typeESR_SR_SR_SR_SR_SR_SR_EEEESG_SG_EENS0_5tupleIJPiSJ_EEENSV_IJSJ_SJ_EEES6_PlJS6_EEE10hipError_tPvRmT3_T4_T5_T6_T7_T9_mT8_P12ihipStream_tbDpT10_ENKUlT_T0_E_clISt17integral_constantIbLb0EES1J_EEDaS1E_S1F_EUlS1E_E_NS1_11comp_targetILNS1_3genE10ELNS1_11target_archE1200ELNS1_3gpuE4ELNS1_3repE0EEENS1_30default_config_static_selectorELNS0_4arch9wavefront6targetE1EEEvT1_
		.amdhsa_group_segment_fixed_size 0
		.amdhsa_private_segment_fixed_size 0
		.amdhsa_kernarg_size 136
		.amdhsa_user_sgpr_count 6
		.amdhsa_user_sgpr_private_segment_buffer 1
		.amdhsa_user_sgpr_dispatch_ptr 0
		.amdhsa_user_sgpr_queue_ptr 0
		.amdhsa_user_sgpr_kernarg_segment_ptr 1
		.amdhsa_user_sgpr_dispatch_id 0
		.amdhsa_user_sgpr_flat_scratch_init 0
		.amdhsa_user_sgpr_kernarg_preload_length 0
		.amdhsa_user_sgpr_kernarg_preload_offset 0
		.amdhsa_user_sgpr_private_segment_size 0
		.amdhsa_uses_dynamic_stack 0
		.amdhsa_system_sgpr_private_segment_wavefront_offset 0
		.amdhsa_system_sgpr_workgroup_id_x 1
		.amdhsa_system_sgpr_workgroup_id_y 0
		.amdhsa_system_sgpr_workgroup_id_z 0
		.amdhsa_system_sgpr_workgroup_info 0
		.amdhsa_system_vgpr_workitem_id 0
		.amdhsa_next_free_vgpr 1
		.amdhsa_next_free_sgpr 0
		.amdhsa_accum_offset 4
		.amdhsa_reserve_vcc 0
		.amdhsa_reserve_flat_scratch 0
		.amdhsa_float_round_mode_32 0
		.amdhsa_float_round_mode_16_64 0
		.amdhsa_float_denorm_mode_32 3
		.amdhsa_float_denorm_mode_16_64 3
		.amdhsa_dx10_clamp 1
		.amdhsa_ieee_mode 1
		.amdhsa_fp16_overflow 0
		.amdhsa_tg_split 0
		.amdhsa_exception_fp_ieee_invalid_op 0
		.amdhsa_exception_fp_denorm_src 0
		.amdhsa_exception_fp_ieee_div_zero 0
		.amdhsa_exception_fp_ieee_overflow 0
		.amdhsa_exception_fp_ieee_underflow 0
		.amdhsa_exception_fp_ieee_inexact 0
		.amdhsa_exception_int_div_zero 0
	.end_amdhsa_kernel
	.section	.text._ZN7rocprim17ROCPRIM_400000_NS6detail17trampoline_kernelINS0_14default_configENS1_25partition_config_selectorILNS1_17partition_subalgoE2EiNS0_10empty_typeEbEEZZNS1_14partition_implILS5_2ELb0ES3_jN6thrust23THRUST_200600_302600_NS6detail15normal_iteratorINSA_7pointerIiNSA_11hip_rocprim3tagENSA_11use_defaultESG_EEEEPS6_NSA_18transform_iteratorI10is_orderedNSA_12zip_iteratorINSA_5tupleINSC_INSA_10device_ptrIiEEEESQ_NSA_9null_typeESR_SR_SR_SR_SR_SR_SR_EEEESG_SG_EENS0_5tupleIJPiSJ_EEENSV_IJSJ_SJ_EEES6_PlJS6_EEE10hipError_tPvRmT3_T4_T5_T6_T7_T9_mT8_P12ihipStream_tbDpT10_ENKUlT_T0_E_clISt17integral_constantIbLb0EES1J_EEDaS1E_S1F_EUlS1E_E_NS1_11comp_targetILNS1_3genE10ELNS1_11target_archE1200ELNS1_3gpuE4ELNS1_3repE0EEENS1_30default_config_static_selectorELNS0_4arch9wavefront6targetE1EEEvT1_,"axG",@progbits,_ZN7rocprim17ROCPRIM_400000_NS6detail17trampoline_kernelINS0_14default_configENS1_25partition_config_selectorILNS1_17partition_subalgoE2EiNS0_10empty_typeEbEEZZNS1_14partition_implILS5_2ELb0ES3_jN6thrust23THRUST_200600_302600_NS6detail15normal_iteratorINSA_7pointerIiNSA_11hip_rocprim3tagENSA_11use_defaultESG_EEEEPS6_NSA_18transform_iteratorI10is_orderedNSA_12zip_iteratorINSA_5tupleINSC_INSA_10device_ptrIiEEEESQ_NSA_9null_typeESR_SR_SR_SR_SR_SR_SR_EEEESG_SG_EENS0_5tupleIJPiSJ_EEENSV_IJSJ_SJ_EEES6_PlJS6_EEE10hipError_tPvRmT3_T4_T5_T6_T7_T9_mT8_P12ihipStream_tbDpT10_ENKUlT_T0_E_clISt17integral_constantIbLb0EES1J_EEDaS1E_S1F_EUlS1E_E_NS1_11comp_targetILNS1_3genE10ELNS1_11target_archE1200ELNS1_3gpuE4ELNS1_3repE0EEENS1_30default_config_static_selectorELNS0_4arch9wavefront6targetE1EEEvT1_,comdat
.Lfunc_end3599:
	.size	_ZN7rocprim17ROCPRIM_400000_NS6detail17trampoline_kernelINS0_14default_configENS1_25partition_config_selectorILNS1_17partition_subalgoE2EiNS0_10empty_typeEbEEZZNS1_14partition_implILS5_2ELb0ES3_jN6thrust23THRUST_200600_302600_NS6detail15normal_iteratorINSA_7pointerIiNSA_11hip_rocprim3tagENSA_11use_defaultESG_EEEEPS6_NSA_18transform_iteratorI10is_orderedNSA_12zip_iteratorINSA_5tupleINSC_INSA_10device_ptrIiEEEESQ_NSA_9null_typeESR_SR_SR_SR_SR_SR_SR_EEEESG_SG_EENS0_5tupleIJPiSJ_EEENSV_IJSJ_SJ_EEES6_PlJS6_EEE10hipError_tPvRmT3_T4_T5_T6_T7_T9_mT8_P12ihipStream_tbDpT10_ENKUlT_T0_E_clISt17integral_constantIbLb0EES1J_EEDaS1E_S1F_EUlS1E_E_NS1_11comp_targetILNS1_3genE10ELNS1_11target_archE1200ELNS1_3gpuE4ELNS1_3repE0EEENS1_30default_config_static_selectorELNS0_4arch9wavefront6targetE1EEEvT1_, .Lfunc_end3599-_ZN7rocprim17ROCPRIM_400000_NS6detail17trampoline_kernelINS0_14default_configENS1_25partition_config_selectorILNS1_17partition_subalgoE2EiNS0_10empty_typeEbEEZZNS1_14partition_implILS5_2ELb0ES3_jN6thrust23THRUST_200600_302600_NS6detail15normal_iteratorINSA_7pointerIiNSA_11hip_rocprim3tagENSA_11use_defaultESG_EEEEPS6_NSA_18transform_iteratorI10is_orderedNSA_12zip_iteratorINSA_5tupleINSC_INSA_10device_ptrIiEEEESQ_NSA_9null_typeESR_SR_SR_SR_SR_SR_SR_EEEESG_SG_EENS0_5tupleIJPiSJ_EEENSV_IJSJ_SJ_EEES6_PlJS6_EEE10hipError_tPvRmT3_T4_T5_T6_T7_T9_mT8_P12ihipStream_tbDpT10_ENKUlT_T0_E_clISt17integral_constantIbLb0EES1J_EEDaS1E_S1F_EUlS1E_E_NS1_11comp_targetILNS1_3genE10ELNS1_11target_archE1200ELNS1_3gpuE4ELNS1_3repE0EEENS1_30default_config_static_selectorELNS0_4arch9wavefront6targetE1EEEvT1_
                                        ; -- End function
	.section	.AMDGPU.csdata,"",@progbits
; Kernel info:
; codeLenInByte = 0
; NumSgprs: 4
; NumVgprs: 0
; NumAgprs: 0
; TotalNumVgprs: 0
; ScratchSize: 0
; MemoryBound: 0
; FloatMode: 240
; IeeeMode: 1
; LDSByteSize: 0 bytes/workgroup (compile time only)
; SGPRBlocks: 0
; VGPRBlocks: 0
; NumSGPRsForWavesPerEU: 4
; NumVGPRsForWavesPerEU: 1
; AccumOffset: 4
; Occupancy: 8
; WaveLimiterHint : 0
; COMPUTE_PGM_RSRC2:SCRATCH_EN: 0
; COMPUTE_PGM_RSRC2:USER_SGPR: 6
; COMPUTE_PGM_RSRC2:TRAP_HANDLER: 0
; COMPUTE_PGM_RSRC2:TGID_X_EN: 1
; COMPUTE_PGM_RSRC2:TGID_Y_EN: 0
; COMPUTE_PGM_RSRC2:TGID_Z_EN: 0
; COMPUTE_PGM_RSRC2:TIDIG_COMP_CNT: 0
; COMPUTE_PGM_RSRC3_GFX90A:ACCUM_OFFSET: 0
; COMPUTE_PGM_RSRC3_GFX90A:TG_SPLIT: 0
	.section	.text._ZN7rocprim17ROCPRIM_400000_NS6detail17trampoline_kernelINS0_14default_configENS1_25partition_config_selectorILNS1_17partition_subalgoE2EiNS0_10empty_typeEbEEZZNS1_14partition_implILS5_2ELb0ES3_jN6thrust23THRUST_200600_302600_NS6detail15normal_iteratorINSA_7pointerIiNSA_11hip_rocprim3tagENSA_11use_defaultESG_EEEEPS6_NSA_18transform_iteratorI10is_orderedNSA_12zip_iteratorINSA_5tupleINSC_INSA_10device_ptrIiEEEESQ_NSA_9null_typeESR_SR_SR_SR_SR_SR_SR_EEEESG_SG_EENS0_5tupleIJPiSJ_EEENSV_IJSJ_SJ_EEES6_PlJS6_EEE10hipError_tPvRmT3_T4_T5_T6_T7_T9_mT8_P12ihipStream_tbDpT10_ENKUlT_T0_E_clISt17integral_constantIbLb0EES1J_EEDaS1E_S1F_EUlS1E_E_NS1_11comp_targetILNS1_3genE9ELNS1_11target_archE1100ELNS1_3gpuE3ELNS1_3repE0EEENS1_30default_config_static_selectorELNS0_4arch9wavefront6targetE1EEEvT1_,"axG",@progbits,_ZN7rocprim17ROCPRIM_400000_NS6detail17trampoline_kernelINS0_14default_configENS1_25partition_config_selectorILNS1_17partition_subalgoE2EiNS0_10empty_typeEbEEZZNS1_14partition_implILS5_2ELb0ES3_jN6thrust23THRUST_200600_302600_NS6detail15normal_iteratorINSA_7pointerIiNSA_11hip_rocprim3tagENSA_11use_defaultESG_EEEEPS6_NSA_18transform_iteratorI10is_orderedNSA_12zip_iteratorINSA_5tupleINSC_INSA_10device_ptrIiEEEESQ_NSA_9null_typeESR_SR_SR_SR_SR_SR_SR_EEEESG_SG_EENS0_5tupleIJPiSJ_EEENSV_IJSJ_SJ_EEES6_PlJS6_EEE10hipError_tPvRmT3_T4_T5_T6_T7_T9_mT8_P12ihipStream_tbDpT10_ENKUlT_T0_E_clISt17integral_constantIbLb0EES1J_EEDaS1E_S1F_EUlS1E_E_NS1_11comp_targetILNS1_3genE9ELNS1_11target_archE1100ELNS1_3gpuE3ELNS1_3repE0EEENS1_30default_config_static_selectorELNS0_4arch9wavefront6targetE1EEEvT1_,comdat
	.protected	_ZN7rocprim17ROCPRIM_400000_NS6detail17trampoline_kernelINS0_14default_configENS1_25partition_config_selectorILNS1_17partition_subalgoE2EiNS0_10empty_typeEbEEZZNS1_14partition_implILS5_2ELb0ES3_jN6thrust23THRUST_200600_302600_NS6detail15normal_iteratorINSA_7pointerIiNSA_11hip_rocprim3tagENSA_11use_defaultESG_EEEEPS6_NSA_18transform_iteratorI10is_orderedNSA_12zip_iteratorINSA_5tupleINSC_INSA_10device_ptrIiEEEESQ_NSA_9null_typeESR_SR_SR_SR_SR_SR_SR_EEEESG_SG_EENS0_5tupleIJPiSJ_EEENSV_IJSJ_SJ_EEES6_PlJS6_EEE10hipError_tPvRmT3_T4_T5_T6_T7_T9_mT8_P12ihipStream_tbDpT10_ENKUlT_T0_E_clISt17integral_constantIbLb0EES1J_EEDaS1E_S1F_EUlS1E_E_NS1_11comp_targetILNS1_3genE9ELNS1_11target_archE1100ELNS1_3gpuE3ELNS1_3repE0EEENS1_30default_config_static_selectorELNS0_4arch9wavefront6targetE1EEEvT1_ ; -- Begin function _ZN7rocprim17ROCPRIM_400000_NS6detail17trampoline_kernelINS0_14default_configENS1_25partition_config_selectorILNS1_17partition_subalgoE2EiNS0_10empty_typeEbEEZZNS1_14partition_implILS5_2ELb0ES3_jN6thrust23THRUST_200600_302600_NS6detail15normal_iteratorINSA_7pointerIiNSA_11hip_rocprim3tagENSA_11use_defaultESG_EEEEPS6_NSA_18transform_iteratorI10is_orderedNSA_12zip_iteratorINSA_5tupleINSC_INSA_10device_ptrIiEEEESQ_NSA_9null_typeESR_SR_SR_SR_SR_SR_SR_EEEESG_SG_EENS0_5tupleIJPiSJ_EEENSV_IJSJ_SJ_EEES6_PlJS6_EEE10hipError_tPvRmT3_T4_T5_T6_T7_T9_mT8_P12ihipStream_tbDpT10_ENKUlT_T0_E_clISt17integral_constantIbLb0EES1J_EEDaS1E_S1F_EUlS1E_E_NS1_11comp_targetILNS1_3genE9ELNS1_11target_archE1100ELNS1_3gpuE3ELNS1_3repE0EEENS1_30default_config_static_selectorELNS0_4arch9wavefront6targetE1EEEvT1_
	.globl	_ZN7rocprim17ROCPRIM_400000_NS6detail17trampoline_kernelINS0_14default_configENS1_25partition_config_selectorILNS1_17partition_subalgoE2EiNS0_10empty_typeEbEEZZNS1_14partition_implILS5_2ELb0ES3_jN6thrust23THRUST_200600_302600_NS6detail15normal_iteratorINSA_7pointerIiNSA_11hip_rocprim3tagENSA_11use_defaultESG_EEEEPS6_NSA_18transform_iteratorI10is_orderedNSA_12zip_iteratorINSA_5tupleINSC_INSA_10device_ptrIiEEEESQ_NSA_9null_typeESR_SR_SR_SR_SR_SR_SR_EEEESG_SG_EENS0_5tupleIJPiSJ_EEENSV_IJSJ_SJ_EEES6_PlJS6_EEE10hipError_tPvRmT3_T4_T5_T6_T7_T9_mT8_P12ihipStream_tbDpT10_ENKUlT_T0_E_clISt17integral_constantIbLb0EES1J_EEDaS1E_S1F_EUlS1E_E_NS1_11comp_targetILNS1_3genE9ELNS1_11target_archE1100ELNS1_3gpuE3ELNS1_3repE0EEENS1_30default_config_static_selectorELNS0_4arch9wavefront6targetE1EEEvT1_
	.p2align	8
	.type	_ZN7rocprim17ROCPRIM_400000_NS6detail17trampoline_kernelINS0_14default_configENS1_25partition_config_selectorILNS1_17partition_subalgoE2EiNS0_10empty_typeEbEEZZNS1_14partition_implILS5_2ELb0ES3_jN6thrust23THRUST_200600_302600_NS6detail15normal_iteratorINSA_7pointerIiNSA_11hip_rocprim3tagENSA_11use_defaultESG_EEEEPS6_NSA_18transform_iteratorI10is_orderedNSA_12zip_iteratorINSA_5tupleINSC_INSA_10device_ptrIiEEEESQ_NSA_9null_typeESR_SR_SR_SR_SR_SR_SR_EEEESG_SG_EENS0_5tupleIJPiSJ_EEENSV_IJSJ_SJ_EEES6_PlJS6_EEE10hipError_tPvRmT3_T4_T5_T6_T7_T9_mT8_P12ihipStream_tbDpT10_ENKUlT_T0_E_clISt17integral_constantIbLb0EES1J_EEDaS1E_S1F_EUlS1E_E_NS1_11comp_targetILNS1_3genE9ELNS1_11target_archE1100ELNS1_3gpuE3ELNS1_3repE0EEENS1_30default_config_static_selectorELNS0_4arch9wavefront6targetE1EEEvT1_,@function
_ZN7rocprim17ROCPRIM_400000_NS6detail17trampoline_kernelINS0_14default_configENS1_25partition_config_selectorILNS1_17partition_subalgoE2EiNS0_10empty_typeEbEEZZNS1_14partition_implILS5_2ELb0ES3_jN6thrust23THRUST_200600_302600_NS6detail15normal_iteratorINSA_7pointerIiNSA_11hip_rocprim3tagENSA_11use_defaultESG_EEEEPS6_NSA_18transform_iteratorI10is_orderedNSA_12zip_iteratorINSA_5tupleINSC_INSA_10device_ptrIiEEEESQ_NSA_9null_typeESR_SR_SR_SR_SR_SR_SR_EEEESG_SG_EENS0_5tupleIJPiSJ_EEENSV_IJSJ_SJ_EEES6_PlJS6_EEE10hipError_tPvRmT3_T4_T5_T6_T7_T9_mT8_P12ihipStream_tbDpT10_ENKUlT_T0_E_clISt17integral_constantIbLb0EES1J_EEDaS1E_S1F_EUlS1E_E_NS1_11comp_targetILNS1_3genE9ELNS1_11target_archE1100ELNS1_3gpuE3ELNS1_3repE0EEENS1_30default_config_static_selectorELNS0_4arch9wavefront6targetE1EEEvT1_: ; @_ZN7rocprim17ROCPRIM_400000_NS6detail17trampoline_kernelINS0_14default_configENS1_25partition_config_selectorILNS1_17partition_subalgoE2EiNS0_10empty_typeEbEEZZNS1_14partition_implILS5_2ELb0ES3_jN6thrust23THRUST_200600_302600_NS6detail15normal_iteratorINSA_7pointerIiNSA_11hip_rocprim3tagENSA_11use_defaultESG_EEEEPS6_NSA_18transform_iteratorI10is_orderedNSA_12zip_iteratorINSA_5tupleINSC_INSA_10device_ptrIiEEEESQ_NSA_9null_typeESR_SR_SR_SR_SR_SR_SR_EEEESG_SG_EENS0_5tupleIJPiSJ_EEENSV_IJSJ_SJ_EEES6_PlJS6_EEE10hipError_tPvRmT3_T4_T5_T6_T7_T9_mT8_P12ihipStream_tbDpT10_ENKUlT_T0_E_clISt17integral_constantIbLb0EES1J_EEDaS1E_S1F_EUlS1E_E_NS1_11comp_targetILNS1_3genE9ELNS1_11target_archE1100ELNS1_3gpuE3ELNS1_3repE0EEENS1_30default_config_static_selectorELNS0_4arch9wavefront6targetE1EEEvT1_
; %bb.0:
	.section	.rodata,"a",@progbits
	.p2align	6, 0x0
	.amdhsa_kernel _ZN7rocprim17ROCPRIM_400000_NS6detail17trampoline_kernelINS0_14default_configENS1_25partition_config_selectorILNS1_17partition_subalgoE2EiNS0_10empty_typeEbEEZZNS1_14partition_implILS5_2ELb0ES3_jN6thrust23THRUST_200600_302600_NS6detail15normal_iteratorINSA_7pointerIiNSA_11hip_rocprim3tagENSA_11use_defaultESG_EEEEPS6_NSA_18transform_iteratorI10is_orderedNSA_12zip_iteratorINSA_5tupleINSC_INSA_10device_ptrIiEEEESQ_NSA_9null_typeESR_SR_SR_SR_SR_SR_SR_EEEESG_SG_EENS0_5tupleIJPiSJ_EEENSV_IJSJ_SJ_EEES6_PlJS6_EEE10hipError_tPvRmT3_T4_T5_T6_T7_T9_mT8_P12ihipStream_tbDpT10_ENKUlT_T0_E_clISt17integral_constantIbLb0EES1J_EEDaS1E_S1F_EUlS1E_E_NS1_11comp_targetILNS1_3genE9ELNS1_11target_archE1100ELNS1_3gpuE3ELNS1_3repE0EEENS1_30default_config_static_selectorELNS0_4arch9wavefront6targetE1EEEvT1_
		.amdhsa_group_segment_fixed_size 0
		.amdhsa_private_segment_fixed_size 0
		.amdhsa_kernarg_size 136
		.amdhsa_user_sgpr_count 6
		.amdhsa_user_sgpr_private_segment_buffer 1
		.amdhsa_user_sgpr_dispatch_ptr 0
		.amdhsa_user_sgpr_queue_ptr 0
		.amdhsa_user_sgpr_kernarg_segment_ptr 1
		.amdhsa_user_sgpr_dispatch_id 0
		.amdhsa_user_sgpr_flat_scratch_init 0
		.amdhsa_user_sgpr_kernarg_preload_length 0
		.amdhsa_user_sgpr_kernarg_preload_offset 0
		.amdhsa_user_sgpr_private_segment_size 0
		.amdhsa_uses_dynamic_stack 0
		.amdhsa_system_sgpr_private_segment_wavefront_offset 0
		.amdhsa_system_sgpr_workgroup_id_x 1
		.amdhsa_system_sgpr_workgroup_id_y 0
		.amdhsa_system_sgpr_workgroup_id_z 0
		.amdhsa_system_sgpr_workgroup_info 0
		.amdhsa_system_vgpr_workitem_id 0
		.amdhsa_next_free_vgpr 1
		.amdhsa_next_free_sgpr 0
		.amdhsa_accum_offset 4
		.amdhsa_reserve_vcc 0
		.amdhsa_reserve_flat_scratch 0
		.amdhsa_float_round_mode_32 0
		.amdhsa_float_round_mode_16_64 0
		.amdhsa_float_denorm_mode_32 3
		.amdhsa_float_denorm_mode_16_64 3
		.amdhsa_dx10_clamp 1
		.amdhsa_ieee_mode 1
		.amdhsa_fp16_overflow 0
		.amdhsa_tg_split 0
		.amdhsa_exception_fp_ieee_invalid_op 0
		.amdhsa_exception_fp_denorm_src 0
		.amdhsa_exception_fp_ieee_div_zero 0
		.amdhsa_exception_fp_ieee_overflow 0
		.amdhsa_exception_fp_ieee_underflow 0
		.amdhsa_exception_fp_ieee_inexact 0
		.amdhsa_exception_int_div_zero 0
	.end_amdhsa_kernel
	.section	.text._ZN7rocprim17ROCPRIM_400000_NS6detail17trampoline_kernelINS0_14default_configENS1_25partition_config_selectorILNS1_17partition_subalgoE2EiNS0_10empty_typeEbEEZZNS1_14partition_implILS5_2ELb0ES3_jN6thrust23THRUST_200600_302600_NS6detail15normal_iteratorINSA_7pointerIiNSA_11hip_rocprim3tagENSA_11use_defaultESG_EEEEPS6_NSA_18transform_iteratorI10is_orderedNSA_12zip_iteratorINSA_5tupleINSC_INSA_10device_ptrIiEEEESQ_NSA_9null_typeESR_SR_SR_SR_SR_SR_SR_EEEESG_SG_EENS0_5tupleIJPiSJ_EEENSV_IJSJ_SJ_EEES6_PlJS6_EEE10hipError_tPvRmT3_T4_T5_T6_T7_T9_mT8_P12ihipStream_tbDpT10_ENKUlT_T0_E_clISt17integral_constantIbLb0EES1J_EEDaS1E_S1F_EUlS1E_E_NS1_11comp_targetILNS1_3genE9ELNS1_11target_archE1100ELNS1_3gpuE3ELNS1_3repE0EEENS1_30default_config_static_selectorELNS0_4arch9wavefront6targetE1EEEvT1_,"axG",@progbits,_ZN7rocprim17ROCPRIM_400000_NS6detail17trampoline_kernelINS0_14default_configENS1_25partition_config_selectorILNS1_17partition_subalgoE2EiNS0_10empty_typeEbEEZZNS1_14partition_implILS5_2ELb0ES3_jN6thrust23THRUST_200600_302600_NS6detail15normal_iteratorINSA_7pointerIiNSA_11hip_rocprim3tagENSA_11use_defaultESG_EEEEPS6_NSA_18transform_iteratorI10is_orderedNSA_12zip_iteratorINSA_5tupleINSC_INSA_10device_ptrIiEEEESQ_NSA_9null_typeESR_SR_SR_SR_SR_SR_SR_EEEESG_SG_EENS0_5tupleIJPiSJ_EEENSV_IJSJ_SJ_EEES6_PlJS6_EEE10hipError_tPvRmT3_T4_T5_T6_T7_T9_mT8_P12ihipStream_tbDpT10_ENKUlT_T0_E_clISt17integral_constantIbLb0EES1J_EEDaS1E_S1F_EUlS1E_E_NS1_11comp_targetILNS1_3genE9ELNS1_11target_archE1100ELNS1_3gpuE3ELNS1_3repE0EEENS1_30default_config_static_selectorELNS0_4arch9wavefront6targetE1EEEvT1_,comdat
.Lfunc_end3600:
	.size	_ZN7rocprim17ROCPRIM_400000_NS6detail17trampoline_kernelINS0_14default_configENS1_25partition_config_selectorILNS1_17partition_subalgoE2EiNS0_10empty_typeEbEEZZNS1_14partition_implILS5_2ELb0ES3_jN6thrust23THRUST_200600_302600_NS6detail15normal_iteratorINSA_7pointerIiNSA_11hip_rocprim3tagENSA_11use_defaultESG_EEEEPS6_NSA_18transform_iteratorI10is_orderedNSA_12zip_iteratorINSA_5tupleINSC_INSA_10device_ptrIiEEEESQ_NSA_9null_typeESR_SR_SR_SR_SR_SR_SR_EEEESG_SG_EENS0_5tupleIJPiSJ_EEENSV_IJSJ_SJ_EEES6_PlJS6_EEE10hipError_tPvRmT3_T4_T5_T6_T7_T9_mT8_P12ihipStream_tbDpT10_ENKUlT_T0_E_clISt17integral_constantIbLb0EES1J_EEDaS1E_S1F_EUlS1E_E_NS1_11comp_targetILNS1_3genE9ELNS1_11target_archE1100ELNS1_3gpuE3ELNS1_3repE0EEENS1_30default_config_static_selectorELNS0_4arch9wavefront6targetE1EEEvT1_, .Lfunc_end3600-_ZN7rocprim17ROCPRIM_400000_NS6detail17trampoline_kernelINS0_14default_configENS1_25partition_config_selectorILNS1_17partition_subalgoE2EiNS0_10empty_typeEbEEZZNS1_14partition_implILS5_2ELb0ES3_jN6thrust23THRUST_200600_302600_NS6detail15normal_iteratorINSA_7pointerIiNSA_11hip_rocprim3tagENSA_11use_defaultESG_EEEEPS6_NSA_18transform_iteratorI10is_orderedNSA_12zip_iteratorINSA_5tupleINSC_INSA_10device_ptrIiEEEESQ_NSA_9null_typeESR_SR_SR_SR_SR_SR_SR_EEEESG_SG_EENS0_5tupleIJPiSJ_EEENSV_IJSJ_SJ_EEES6_PlJS6_EEE10hipError_tPvRmT3_T4_T5_T6_T7_T9_mT8_P12ihipStream_tbDpT10_ENKUlT_T0_E_clISt17integral_constantIbLb0EES1J_EEDaS1E_S1F_EUlS1E_E_NS1_11comp_targetILNS1_3genE9ELNS1_11target_archE1100ELNS1_3gpuE3ELNS1_3repE0EEENS1_30default_config_static_selectorELNS0_4arch9wavefront6targetE1EEEvT1_
                                        ; -- End function
	.section	.AMDGPU.csdata,"",@progbits
; Kernel info:
; codeLenInByte = 0
; NumSgprs: 4
; NumVgprs: 0
; NumAgprs: 0
; TotalNumVgprs: 0
; ScratchSize: 0
; MemoryBound: 0
; FloatMode: 240
; IeeeMode: 1
; LDSByteSize: 0 bytes/workgroup (compile time only)
; SGPRBlocks: 0
; VGPRBlocks: 0
; NumSGPRsForWavesPerEU: 4
; NumVGPRsForWavesPerEU: 1
; AccumOffset: 4
; Occupancy: 8
; WaveLimiterHint : 0
; COMPUTE_PGM_RSRC2:SCRATCH_EN: 0
; COMPUTE_PGM_RSRC2:USER_SGPR: 6
; COMPUTE_PGM_RSRC2:TRAP_HANDLER: 0
; COMPUTE_PGM_RSRC2:TGID_X_EN: 1
; COMPUTE_PGM_RSRC2:TGID_Y_EN: 0
; COMPUTE_PGM_RSRC2:TGID_Z_EN: 0
; COMPUTE_PGM_RSRC2:TIDIG_COMP_CNT: 0
; COMPUTE_PGM_RSRC3_GFX90A:ACCUM_OFFSET: 0
; COMPUTE_PGM_RSRC3_GFX90A:TG_SPLIT: 0
	.section	.text._ZN7rocprim17ROCPRIM_400000_NS6detail17trampoline_kernelINS0_14default_configENS1_25partition_config_selectorILNS1_17partition_subalgoE2EiNS0_10empty_typeEbEEZZNS1_14partition_implILS5_2ELb0ES3_jN6thrust23THRUST_200600_302600_NS6detail15normal_iteratorINSA_7pointerIiNSA_11hip_rocprim3tagENSA_11use_defaultESG_EEEEPS6_NSA_18transform_iteratorI10is_orderedNSA_12zip_iteratorINSA_5tupleINSC_INSA_10device_ptrIiEEEESQ_NSA_9null_typeESR_SR_SR_SR_SR_SR_SR_EEEESG_SG_EENS0_5tupleIJPiSJ_EEENSV_IJSJ_SJ_EEES6_PlJS6_EEE10hipError_tPvRmT3_T4_T5_T6_T7_T9_mT8_P12ihipStream_tbDpT10_ENKUlT_T0_E_clISt17integral_constantIbLb0EES1J_EEDaS1E_S1F_EUlS1E_E_NS1_11comp_targetILNS1_3genE8ELNS1_11target_archE1030ELNS1_3gpuE2ELNS1_3repE0EEENS1_30default_config_static_selectorELNS0_4arch9wavefront6targetE1EEEvT1_,"axG",@progbits,_ZN7rocprim17ROCPRIM_400000_NS6detail17trampoline_kernelINS0_14default_configENS1_25partition_config_selectorILNS1_17partition_subalgoE2EiNS0_10empty_typeEbEEZZNS1_14partition_implILS5_2ELb0ES3_jN6thrust23THRUST_200600_302600_NS6detail15normal_iteratorINSA_7pointerIiNSA_11hip_rocprim3tagENSA_11use_defaultESG_EEEEPS6_NSA_18transform_iteratorI10is_orderedNSA_12zip_iteratorINSA_5tupleINSC_INSA_10device_ptrIiEEEESQ_NSA_9null_typeESR_SR_SR_SR_SR_SR_SR_EEEESG_SG_EENS0_5tupleIJPiSJ_EEENSV_IJSJ_SJ_EEES6_PlJS6_EEE10hipError_tPvRmT3_T4_T5_T6_T7_T9_mT8_P12ihipStream_tbDpT10_ENKUlT_T0_E_clISt17integral_constantIbLb0EES1J_EEDaS1E_S1F_EUlS1E_E_NS1_11comp_targetILNS1_3genE8ELNS1_11target_archE1030ELNS1_3gpuE2ELNS1_3repE0EEENS1_30default_config_static_selectorELNS0_4arch9wavefront6targetE1EEEvT1_,comdat
	.protected	_ZN7rocprim17ROCPRIM_400000_NS6detail17trampoline_kernelINS0_14default_configENS1_25partition_config_selectorILNS1_17partition_subalgoE2EiNS0_10empty_typeEbEEZZNS1_14partition_implILS5_2ELb0ES3_jN6thrust23THRUST_200600_302600_NS6detail15normal_iteratorINSA_7pointerIiNSA_11hip_rocprim3tagENSA_11use_defaultESG_EEEEPS6_NSA_18transform_iteratorI10is_orderedNSA_12zip_iteratorINSA_5tupleINSC_INSA_10device_ptrIiEEEESQ_NSA_9null_typeESR_SR_SR_SR_SR_SR_SR_EEEESG_SG_EENS0_5tupleIJPiSJ_EEENSV_IJSJ_SJ_EEES6_PlJS6_EEE10hipError_tPvRmT3_T4_T5_T6_T7_T9_mT8_P12ihipStream_tbDpT10_ENKUlT_T0_E_clISt17integral_constantIbLb0EES1J_EEDaS1E_S1F_EUlS1E_E_NS1_11comp_targetILNS1_3genE8ELNS1_11target_archE1030ELNS1_3gpuE2ELNS1_3repE0EEENS1_30default_config_static_selectorELNS0_4arch9wavefront6targetE1EEEvT1_ ; -- Begin function _ZN7rocprim17ROCPRIM_400000_NS6detail17trampoline_kernelINS0_14default_configENS1_25partition_config_selectorILNS1_17partition_subalgoE2EiNS0_10empty_typeEbEEZZNS1_14partition_implILS5_2ELb0ES3_jN6thrust23THRUST_200600_302600_NS6detail15normal_iteratorINSA_7pointerIiNSA_11hip_rocprim3tagENSA_11use_defaultESG_EEEEPS6_NSA_18transform_iteratorI10is_orderedNSA_12zip_iteratorINSA_5tupleINSC_INSA_10device_ptrIiEEEESQ_NSA_9null_typeESR_SR_SR_SR_SR_SR_SR_EEEESG_SG_EENS0_5tupleIJPiSJ_EEENSV_IJSJ_SJ_EEES6_PlJS6_EEE10hipError_tPvRmT3_T4_T5_T6_T7_T9_mT8_P12ihipStream_tbDpT10_ENKUlT_T0_E_clISt17integral_constantIbLb0EES1J_EEDaS1E_S1F_EUlS1E_E_NS1_11comp_targetILNS1_3genE8ELNS1_11target_archE1030ELNS1_3gpuE2ELNS1_3repE0EEENS1_30default_config_static_selectorELNS0_4arch9wavefront6targetE1EEEvT1_
	.globl	_ZN7rocprim17ROCPRIM_400000_NS6detail17trampoline_kernelINS0_14default_configENS1_25partition_config_selectorILNS1_17partition_subalgoE2EiNS0_10empty_typeEbEEZZNS1_14partition_implILS5_2ELb0ES3_jN6thrust23THRUST_200600_302600_NS6detail15normal_iteratorINSA_7pointerIiNSA_11hip_rocprim3tagENSA_11use_defaultESG_EEEEPS6_NSA_18transform_iteratorI10is_orderedNSA_12zip_iteratorINSA_5tupleINSC_INSA_10device_ptrIiEEEESQ_NSA_9null_typeESR_SR_SR_SR_SR_SR_SR_EEEESG_SG_EENS0_5tupleIJPiSJ_EEENSV_IJSJ_SJ_EEES6_PlJS6_EEE10hipError_tPvRmT3_T4_T5_T6_T7_T9_mT8_P12ihipStream_tbDpT10_ENKUlT_T0_E_clISt17integral_constantIbLb0EES1J_EEDaS1E_S1F_EUlS1E_E_NS1_11comp_targetILNS1_3genE8ELNS1_11target_archE1030ELNS1_3gpuE2ELNS1_3repE0EEENS1_30default_config_static_selectorELNS0_4arch9wavefront6targetE1EEEvT1_
	.p2align	8
	.type	_ZN7rocprim17ROCPRIM_400000_NS6detail17trampoline_kernelINS0_14default_configENS1_25partition_config_selectorILNS1_17partition_subalgoE2EiNS0_10empty_typeEbEEZZNS1_14partition_implILS5_2ELb0ES3_jN6thrust23THRUST_200600_302600_NS6detail15normal_iteratorINSA_7pointerIiNSA_11hip_rocprim3tagENSA_11use_defaultESG_EEEEPS6_NSA_18transform_iteratorI10is_orderedNSA_12zip_iteratorINSA_5tupleINSC_INSA_10device_ptrIiEEEESQ_NSA_9null_typeESR_SR_SR_SR_SR_SR_SR_EEEESG_SG_EENS0_5tupleIJPiSJ_EEENSV_IJSJ_SJ_EEES6_PlJS6_EEE10hipError_tPvRmT3_T4_T5_T6_T7_T9_mT8_P12ihipStream_tbDpT10_ENKUlT_T0_E_clISt17integral_constantIbLb0EES1J_EEDaS1E_S1F_EUlS1E_E_NS1_11comp_targetILNS1_3genE8ELNS1_11target_archE1030ELNS1_3gpuE2ELNS1_3repE0EEENS1_30default_config_static_selectorELNS0_4arch9wavefront6targetE1EEEvT1_,@function
_ZN7rocprim17ROCPRIM_400000_NS6detail17trampoline_kernelINS0_14default_configENS1_25partition_config_selectorILNS1_17partition_subalgoE2EiNS0_10empty_typeEbEEZZNS1_14partition_implILS5_2ELb0ES3_jN6thrust23THRUST_200600_302600_NS6detail15normal_iteratorINSA_7pointerIiNSA_11hip_rocprim3tagENSA_11use_defaultESG_EEEEPS6_NSA_18transform_iteratorI10is_orderedNSA_12zip_iteratorINSA_5tupleINSC_INSA_10device_ptrIiEEEESQ_NSA_9null_typeESR_SR_SR_SR_SR_SR_SR_EEEESG_SG_EENS0_5tupleIJPiSJ_EEENSV_IJSJ_SJ_EEES6_PlJS6_EEE10hipError_tPvRmT3_T4_T5_T6_T7_T9_mT8_P12ihipStream_tbDpT10_ENKUlT_T0_E_clISt17integral_constantIbLb0EES1J_EEDaS1E_S1F_EUlS1E_E_NS1_11comp_targetILNS1_3genE8ELNS1_11target_archE1030ELNS1_3gpuE2ELNS1_3repE0EEENS1_30default_config_static_selectorELNS0_4arch9wavefront6targetE1EEEvT1_: ; @_ZN7rocprim17ROCPRIM_400000_NS6detail17trampoline_kernelINS0_14default_configENS1_25partition_config_selectorILNS1_17partition_subalgoE2EiNS0_10empty_typeEbEEZZNS1_14partition_implILS5_2ELb0ES3_jN6thrust23THRUST_200600_302600_NS6detail15normal_iteratorINSA_7pointerIiNSA_11hip_rocprim3tagENSA_11use_defaultESG_EEEEPS6_NSA_18transform_iteratorI10is_orderedNSA_12zip_iteratorINSA_5tupleINSC_INSA_10device_ptrIiEEEESQ_NSA_9null_typeESR_SR_SR_SR_SR_SR_SR_EEEESG_SG_EENS0_5tupleIJPiSJ_EEENSV_IJSJ_SJ_EEES6_PlJS6_EEE10hipError_tPvRmT3_T4_T5_T6_T7_T9_mT8_P12ihipStream_tbDpT10_ENKUlT_T0_E_clISt17integral_constantIbLb0EES1J_EEDaS1E_S1F_EUlS1E_E_NS1_11comp_targetILNS1_3genE8ELNS1_11target_archE1030ELNS1_3gpuE2ELNS1_3repE0EEENS1_30default_config_static_selectorELNS0_4arch9wavefront6targetE1EEEvT1_
; %bb.0:
	.section	.rodata,"a",@progbits
	.p2align	6, 0x0
	.amdhsa_kernel _ZN7rocprim17ROCPRIM_400000_NS6detail17trampoline_kernelINS0_14default_configENS1_25partition_config_selectorILNS1_17partition_subalgoE2EiNS0_10empty_typeEbEEZZNS1_14partition_implILS5_2ELb0ES3_jN6thrust23THRUST_200600_302600_NS6detail15normal_iteratorINSA_7pointerIiNSA_11hip_rocprim3tagENSA_11use_defaultESG_EEEEPS6_NSA_18transform_iteratorI10is_orderedNSA_12zip_iteratorINSA_5tupleINSC_INSA_10device_ptrIiEEEESQ_NSA_9null_typeESR_SR_SR_SR_SR_SR_SR_EEEESG_SG_EENS0_5tupleIJPiSJ_EEENSV_IJSJ_SJ_EEES6_PlJS6_EEE10hipError_tPvRmT3_T4_T5_T6_T7_T9_mT8_P12ihipStream_tbDpT10_ENKUlT_T0_E_clISt17integral_constantIbLb0EES1J_EEDaS1E_S1F_EUlS1E_E_NS1_11comp_targetILNS1_3genE8ELNS1_11target_archE1030ELNS1_3gpuE2ELNS1_3repE0EEENS1_30default_config_static_selectorELNS0_4arch9wavefront6targetE1EEEvT1_
		.amdhsa_group_segment_fixed_size 0
		.amdhsa_private_segment_fixed_size 0
		.amdhsa_kernarg_size 136
		.amdhsa_user_sgpr_count 6
		.amdhsa_user_sgpr_private_segment_buffer 1
		.amdhsa_user_sgpr_dispatch_ptr 0
		.amdhsa_user_sgpr_queue_ptr 0
		.amdhsa_user_sgpr_kernarg_segment_ptr 1
		.amdhsa_user_sgpr_dispatch_id 0
		.amdhsa_user_sgpr_flat_scratch_init 0
		.amdhsa_user_sgpr_kernarg_preload_length 0
		.amdhsa_user_sgpr_kernarg_preload_offset 0
		.amdhsa_user_sgpr_private_segment_size 0
		.amdhsa_uses_dynamic_stack 0
		.amdhsa_system_sgpr_private_segment_wavefront_offset 0
		.amdhsa_system_sgpr_workgroup_id_x 1
		.amdhsa_system_sgpr_workgroup_id_y 0
		.amdhsa_system_sgpr_workgroup_id_z 0
		.amdhsa_system_sgpr_workgroup_info 0
		.amdhsa_system_vgpr_workitem_id 0
		.amdhsa_next_free_vgpr 1
		.amdhsa_next_free_sgpr 0
		.amdhsa_accum_offset 4
		.amdhsa_reserve_vcc 0
		.amdhsa_reserve_flat_scratch 0
		.amdhsa_float_round_mode_32 0
		.amdhsa_float_round_mode_16_64 0
		.amdhsa_float_denorm_mode_32 3
		.amdhsa_float_denorm_mode_16_64 3
		.amdhsa_dx10_clamp 1
		.amdhsa_ieee_mode 1
		.amdhsa_fp16_overflow 0
		.amdhsa_tg_split 0
		.amdhsa_exception_fp_ieee_invalid_op 0
		.amdhsa_exception_fp_denorm_src 0
		.amdhsa_exception_fp_ieee_div_zero 0
		.amdhsa_exception_fp_ieee_overflow 0
		.amdhsa_exception_fp_ieee_underflow 0
		.amdhsa_exception_fp_ieee_inexact 0
		.amdhsa_exception_int_div_zero 0
	.end_amdhsa_kernel
	.section	.text._ZN7rocprim17ROCPRIM_400000_NS6detail17trampoline_kernelINS0_14default_configENS1_25partition_config_selectorILNS1_17partition_subalgoE2EiNS0_10empty_typeEbEEZZNS1_14partition_implILS5_2ELb0ES3_jN6thrust23THRUST_200600_302600_NS6detail15normal_iteratorINSA_7pointerIiNSA_11hip_rocprim3tagENSA_11use_defaultESG_EEEEPS6_NSA_18transform_iteratorI10is_orderedNSA_12zip_iteratorINSA_5tupleINSC_INSA_10device_ptrIiEEEESQ_NSA_9null_typeESR_SR_SR_SR_SR_SR_SR_EEEESG_SG_EENS0_5tupleIJPiSJ_EEENSV_IJSJ_SJ_EEES6_PlJS6_EEE10hipError_tPvRmT3_T4_T5_T6_T7_T9_mT8_P12ihipStream_tbDpT10_ENKUlT_T0_E_clISt17integral_constantIbLb0EES1J_EEDaS1E_S1F_EUlS1E_E_NS1_11comp_targetILNS1_3genE8ELNS1_11target_archE1030ELNS1_3gpuE2ELNS1_3repE0EEENS1_30default_config_static_selectorELNS0_4arch9wavefront6targetE1EEEvT1_,"axG",@progbits,_ZN7rocprim17ROCPRIM_400000_NS6detail17trampoline_kernelINS0_14default_configENS1_25partition_config_selectorILNS1_17partition_subalgoE2EiNS0_10empty_typeEbEEZZNS1_14partition_implILS5_2ELb0ES3_jN6thrust23THRUST_200600_302600_NS6detail15normal_iteratorINSA_7pointerIiNSA_11hip_rocprim3tagENSA_11use_defaultESG_EEEEPS6_NSA_18transform_iteratorI10is_orderedNSA_12zip_iteratorINSA_5tupleINSC_INSA_10device_ptrIiEEEESQ_NSA_9null_typeESR_SR_SR_SR_SR_SR_SR_EEEESG_SG_EENS0_5tupleIJPiSJ_EEENSV_IJSJ_SJ_EEES6_PlJS6_EEE10hipError_tPvRmT3_T4_T5_T6_T7_T9_mT8_P12ihipStream_tbDpT10_ENKUlT_T0_E_clISt17integral_constantIbLb0EES1J_EEDaS1E_S1F_EUlS1E_E_NS1_11comp_targetILNS1_3genE8ELNS1_11target_archE1030ELNS1_3gpuE2ELNS1_3repE0EEENS1_30default_config_static_selectorELNS0_4arch9wavefront6targetE1EEEvT1_,comdat
.Lfunc_end3601:
	.size	_ZN7rocprim17ROCPRIM_400000_NS6detail17trampoline_kernelINS0_14default_configENS1_25partition_config_selectorILNS1_17partition_subalgoE2EiNS0_10empty_typeEbEEZZNS1_14partition_implILS5_2ELb0ES3_jN6thrust23THRUST_200600_302600_NS6detail15normal_iteratorINSA_7pointerIiNSA_11hip_rocprim3tagENSA_11use_defaultESG_EEEEPS6_NSA_18transform_iteratorI10is_orderedNSA_12zip_iteratorINSA_5tupleINSC_INSA_10device_ptrIiEEEESQ_NSA_9null_typeESR_SR_SR_SR_SR_SR_SR_EEEESG_SG_EENS0_5tupleIJPiSJ_EEENSV_IJSJ_SJ_EEES6_PlJS6_EEE10hipError_tPvRmT3_T4_T5_T6_T7_T9_mT8_P12ihipStream_tbDpT10_ENKUlT_T0_E_clISt17integral_constantIbLb0EES1J_EEDaS1E_S1F_EUlS1E_E_NS1_11comp_targetILNS1_3genE8ELNS1_11target_archE1030ELNS1_3gpuE2ELNS1_3repE0EEENS1_30default_config_static_selectorELNS0_4arch9wavefront6targetE1EEEvT1_, .Lfunc_end3601-_ZN7rocprim17ROCPRIM_400000_NS6detail17trampoline_kernelINS0_14default_configENS1_25partition_config_selectorILNS1_17partition_subalgoE2EiNS0_10empty_typeEbEEZZNS1_14partition_implILS5_2ELb0ES3_jN6thrust23THRUST_200600_302600_NS6detail15normal_iteratorINSA_7pointerIiNSA_11hip_rocprim3tagENSA_11use_defaultESG_EEEEPS6_NSA_18transform_iteratorI10is_orderedNSA_12zip_iteratorINSA_5tupleINSC_INSA_10device_ptrIiEEEESQ_NSA_9null_typeESR_SR_SR_SR_SR_SR_SR_EEEESG_SG_EENS0_5tupleIJPiSJ_EEENSV_IJSJ_SJ_EEES6_PlJS6_EEE10hipError_tPvRmT3_T4_T5_T6_T7_T9_mT8_P12ihipStream_tbDpT10_ENKUlT_T0_E_clISt17integral_constantIbLb0EES1J_EEDaS1E_S1F_EUlS1E_E_NS1_11comp_targetILNS1_3genE8ELNS1_11target_archE1030ELNS1_3gpuE2ELNS1_3repE0EEENS1_30default_config_static_selectorELNS0_4arch9wavefront6targetE1EEEvT1_
                                        ; -- End function
	.section	.AMDGPU.csdata,"",@progbits
; Kernel info:
; codeLenInByte = 0
; NumSgprs: 4
; NumVgprs: 0
; NumAgprs: 0
; TotalNumVgprs: 0
; ScratchSize: 0
; MemoryBound: 0
; FloatMode: 240
; IeeeMode: 1
; LDSByteSize: 0 bytes/workgroup (compile time only)
; SGPRBlocks: 0
; VGPRBlocks: 0
; NumSGPRsForWavesPerEU: 4
; NumVGPRsForWavesPerEU: 1
; AccumOffset: 4
; Occupancy: 8
; WaveLimiterHint : 0
; COMPUTE_PGM_RSRC2:SCRATCH_EN: 0
; COMPUTE_PGM_RSRC2:USER_SGPR: 6
; COMPUTE_PGM_RSRC2:TRAP_HANDLER: 0
; COMPUTE_PGM_RSRC2:TGID_X_EN: 1
; COMPUTE_PGM_RSRC2:TGID_Y_EN: 0
; COMPUTE_PGM_RSRC2:TGID_Z_EN: 0
; COMPUTE_PGM_RSRC2:TIDIG_COMP_CNT: 0
; COMPUTE_PGM_RSRC3_GFX90A:ACCUM_OFFSET: 0
; COMPUTE_PGM_RSRC3_GFX90A:TG_SPLIT: 0
	.section	.text._ZN7rocprim17ROCPRIM_400000_NS6detail17trampoline_kernelINS0_14default_configENS1_25partition_config_selectorILNS1_17partition_subalgoE2EiNS0_10empty_typeEbEEZZNS1_14partition_implILS5_2ELb0ES3_jN6thrust23THRUST_200600_302600_NS6detail15normal_iteratorINSA_7pointerIiNSA_11hip_rocprim3tagENSA_11use_defaultESG_EEEEPS6_NSA_18transform_iteratorI10is_orderedNSA_12zip_iteratorINSA_5tupleINSC_INSA_10device_ptrIiEEEESQ_NSA_9null_typeESR_SR_SR_SR_SR_SR_SR_EEEESG_SG_EENS0_5tupleIJPiSJ_EEENSV_IJSJ_SJ_EEES6_PlJS6_EEE10hipError_tPvRmT3_T4_T5_T6_T7_T9_mT8_P12ihipStream_tbDpT10_ENKUlT_T0_E_clISt17integral_constantIbLb1EES1J_EEDaS1E_S1F_EUlS1E_E_NS1_11comp_targetILNS1_3genE0ELNS1_11target_archE4294967295ELNS1_3gpuE0ELNS1_3repE0EEENS1_30default_config_static_selectorELNS0_4arch9wavefront6targetE1EEEvT1_,"axG",@progbits,_ZN7rocprim17ROCPRIM_400000_NS6detail17trampoline_kernelINS0_14default_configENS1_25partition_config_selectorILNS1_17partition_subalgoE2EiNS0_10empty_typeEbEEZZNS1_14partition_implILS5_2ELb0ES3_jN6thrust23THRUST_200600_302600_NS6detail15normal_iteratorINSA_7pointerIiNSA_11hip_rocprim3tagENSA_11use_defaultESG_EEEEPS6_NSA_18transform_iteratorI10is_orderedNSA_12zip_iteratorINSA_5tupleINSC_INSA_10device_ptrIiEEEESQ_NSA_9null_typeESR_SR_SR_SR_SR_SR_SR_EEEESG_SG_EENS0_5tupleIJPiSJ_EEENSV_IJSJ_SJ_EEES6_PlJS6_EEE10hipError_tPvRmT3_T4_T5_T6_T7_T9_mT8_P12ihipStream_tbDpT10_ENKUlT_T0_E_clISt17integral_constantIbLb1EES1J_EEDaS1E_S1F_EUlS1E_E_NS1_11comp_targetILNS1_3genE0ELNS1_11target_archE4294967295ELNS1_3gpuE0ELNS1_3repE0EEENS1_30default_config_static_selectorELNS0_4arch9wavefront6targetE1EEEvT1_,comdat
	.protected	_ZN7rocprim17ROCPRIM_400000_NS6detail17trampoline_kernelINS0_14default_configENS1_25partition_config_selectorILNS1_17partition_subalgoE2EiNS0_10empty_typeEbEEZZNS1_14partition_implILS5_2ELb0ES3_jN6thrust23THRUST_200600_302600_NS6detail15normal_iteratorINSA_7pointerIiNSA_11hip_rocprim3tagENSA_11use_defaultESG_EEEEPS6_NSA_18transform_iteratorI10is_orderedNSA_12zip_iteratorINSA_5tupleINSC_INSA_10device_ptrIiEEEESQ_NSA_9null_typeESR_SR_SR_SR_SR_SR_SR_EEEESG_SG_EENS0_5tupleIJPiSJ_EEENSV_IJSJ_SJ_EEES6_PlJS6_EEE10hipError_tPvRmT3_T4_T5_T6_T7_T9_mT8_P12ihipStream_tbDpT10_ENKUlT_T0_E_clISt17integral_constantIbLb1EES1J_EEDaS1E_S1F_EUlS1E_E_NS1_11comp_targetILNS1_3genE0ELNS1_11target_archE4294967295ELNS1_3gpuE0ELNS1_3repE0EEENS1_30default_config_static_selectorELNS0_4arch9wavefront6targetE1EEEvT1_ ; -- Begin function _ZN7rocprim17ROCPRIM_400000_NS6detail17trampoline_kernelINS0_14default_configENS1_25partition_config_selectorILNS1_17partition_subalgoE2EiNS0_10empty_typeEbEEZZNS1_14partition_implILS5_2ELb0ES3_jN6thrust23THRUST_200600_302600_NS6detail15normal_iteratorINSA_7pointerIiNSA_11hip_rocprim3tagENSA_11use_defaultESG_EEEEPS6_NSA_18transform_iteratorI10is_orderedNSA_12zip_iteratorINSA_5tupleINSC_INSA_10device_ptrIiEEEESQ_NSA_9null_typeESR_SR_SR_SR_SR_SR_SR_EEEESG_SG_EENS0_5tupleIJPiSJ_EEENSV_IJSJ_SJ_EEES6_PlJS6_EEE10hipError_tPvRmT3_T4_T5_T6_T7_T9_mT8_P12ihipStream_tbDpT10_ENKUlT_T0_E_clISt17integral_constantIbLb1EES1J_EEDaS1E_S1F_EUlS1E_E_NS1_11comp_targetILNS1_3genE0ELNS1_11target_archE4294967295ELNS1_3gpuE0ELNS1_3repE0EEENS1_30default_config_static_selectorELNS0_4arch9wavefront6targetE1EEEvT1_
	.globl	_ZN7rocprim17ROCPRIM_400000_NS6detail17trampoline_kernelINS0_14default_configENS1_25partition_config_selectorILNS1_17partition_subalgoE2EiNS0_10empty_typeEbEEZZNS1_14partition_implILS5_2ELb0ES3_jN6thrust23THRUST_200600_302600_NS6detail15normal_iteratorINSA_7pointerIiNSA_11hip_rocprim3tagENSA_11use_defaultESG_EEEEPS6_NSA_18transform_iteratorI10is_orderedNSA_12zip_iteratorINSA_5tupleINSC_INSA_10device_ptrIiEEEESQ_NSA_9null_typeESR_SR_SR_SR_SR_SR_SR_EEEESG_SG_EENS0_5tupleIJPiSJ_EEENSV_IJSJ_SJ_EEES6_PlJS6_EEE10hipError_tPvRmT3_T4_T5_T6_T7_T9_mT8_P12ihipStream_tbDpT10_ENKUlT_T0_E_clISt17integral_constantIbLb1EES1J_EEDaS1E_S1F_EUlS1E_E_NS1_11comp_targetILNS1_3genE0ELNS1_11target_archE4294967295ELNS1_3gpuE0ELNS1_3repE0EEENS1_30default_config_static_selectorELNS0_4arch9wavefront6targetE1EEEvT1_
	.p2align	8
	.type	_ZN7rocprim17ROCPRIM_400000_NS6detail17trampoline_kernelINS0_14default_configENS1_25partition_config_selectorILNS1_17partition_subalgoE2EiNS0_10empty_typeEbEEZZNS1_14partition_implILS5_2ELb0ES3_jN6thrust23THRUST_200600_302600_NS6detail15normal_iteratorINSA_7pointerIiNSA_11hip_rocprim3tagENSA_11use_defaultESG_EEEEPS6_NSA_18transform_iteratorI10is_orderedNSA_12zip_iteratorINSA_5tupleINSC_INSA_10device_ptrIiEEEESQ_NSA_9null_typeESR_SR_SR_SR_SR_SR_SR_EEEESG_SG_EENS0_5tupleIJPiSJ_EEENSV_IJSJ_SJ_EEES6_PlJS6_EEE10hipError_tPvRmT3_T4_T5_T6_T7_T9_mT8_P12ihipStream_tbDpT10_ENKUlT_T0_E_clISt17integral_constantIbLb1EES1J_EEDaS1E_S1F_EUlS1E_E_NS1_11comp_targetILNS1_3genE0ELNS1_11target_archE4294967295ELNS1_3gpuE0ELNS1_3repE0EEENS1_30default_config_static_selectorELNS0_4arch9wavefront6targetE1EEEvT1_,@function
_ZN7rocprim17ROCPRIM_400000_NS6detail17trampoline_kernelINS0_14default_configENS1_25partition_config_selectorILNS1_17partition_subalgoE2EiNS0_10empty_typeEbEEZZNS1_14partition_implILS5_2ELb0ES3_jN6thrust23THRUST_200600_302600_NS6detail15normal_iteratorINSA_7pointerIiNSA_11hip_rocprim3tagENSA_11use_defaultESG_EEEEPS6_NSA_18transform_iteratorI10is_orderedNSA_12zip_iteratorINSA_5tupleINSC_INSA_10device_ptrIiEEEESQ_NSA_9null_typeESR_SR_SR_SR_SR_SR_SR_EEEESG_SG_EENS0_5tupleIJPiSJ_EEENSV_IJSJ_SJ_EEES6_PlJS6_EEE10hipError_tPvRmT3_T4_T5_T6_T7_T9_mT8_P12ihipStream_tbDpT10_ENKUlT_T0_E_clISt17integral_constantIbLb1EES1J_EEDaS1E_S1F_EUlS1E_E_NS1_11comp_targetILNS1_3genE0ELNS1_11target_archE4294967295ELNS1_3gpuE0ELNS1_3repE0EEENS1_30default_config_static_selectorELNS0_4arch9wavefront6targetE1EEEvT1_: ; @_ZN7rocprim17ROCPRIM_400000_NS6detail17trampoline_kernelINS0_14default_configENS1_25partition_config_selectorILNS1_17partition_subalgoE2EiNS0_10empty_typeEbEEZZNS1_14partition_implILS5_2ELb0ES3_jN6thrust23THRUST_200600_302600_NS6detail15normal_iteratorINSA_7pointerIiNSA_11hip_rocprim3tagENSA_11use_defaultESG_EEEEPS6_NSA_18transform_iteratorI10is_orderedNSA_12zip_iteratorINSA_5tupleINSC_INSA_10device_ptrIiEEEESQ_NSA_9null_typeESR_SR_SR_SR_SR_SR_SR_EEEESG_SG_EENS0_5tupleIJPiSJ_EEENSV_IJSJ_SJ_EEES6_PlJS6_EEE10hipError_tPvRmT3_T4_T5_T6_T7_T9_mT8_P12ihipStream_tbDpT10_ENKUlT_T0_E_clISt17integral_constantIbLb1EES1J_EEDaS1E_S1F_EUlS1E_E_NS1_11comp_targetILNS1_3genE0ELNS1_11target_archE4294967295ELNS1_3gpuE0ELNS1_3repE0EEENS1_30default_config_static_selectorELNS0_4arch9wavefront6targetE1EEEvT1_
; %bb.0:
	.section	.rodata,"a",@progbits
	.p2align	6, 0x0
	.amdhsa_kernel _ZN7rocprim17ROCPRIM_400000_NS6detail17trampoline_kernelINS0_14default_configENS1_25partition_config_selectorILNS1_17partition_subalgoE2EiNS0_10empty_typeEbEEZZNS1_14partition_implILS5_2ELb0ES3_jN6thrust23THRUST_200600_302600_NS6detail15normal_iteratorINSA_7pointerIiNSA_11hip_rocprim3tagENSA_11use_defaultESG_EEEEPS6_NSA_18transform_iteratorI10is_orderedNSA_12zip_iteratorINSA_5tupleINSC_INSA_10device_ptrIiEEEESQ_NSA_9null_typeESR_SR_SR_SR_SR_SR_SR_EEEESG_SG_EENS0_5tupleIJPiSJ_EEENSV_IJSJ_SJ_EEES6_PlJS6_EEE10hipError_tPvRmT3_T4_T5_T6_T7_T9_mT8_P12ihipStream_tbDpT10_ENKUlT_T0_E_clISt17integral_constantIbLb1EES1J_EEDaS1E_S1F_EUlS1E_E_NS1_11comp_targetILNS1_3genE0ELNS1_11target_archE4294967295ELNS1_3gpuE0ELNS1_3repE0EEENS1_30default_config_static_selectorELNS0_4arch9wavefront6targetE1EEEvT1_
		.amdhsa_group_segment_fixed_size 0
		.amdhsa_private_segment_fixed_size 0
		.amdhsa_kernarg_size 152
		.amdhsa_user_sgpr_count 6
		.amdhsa_user_sgpr_private_segment_buffer 1
		.amdhsa_user_sgpr_dispatch_ptr 0
		.amdhsa_user_sgpr_queue_ptr 0
		.amdhsa_user_sgpr_kernarg_segment_ptr 1
		.amdhsa_user_sgpr_dispatch_id 0
		.amdhsa_user_sgpr_flat_scratch_init 0
		.amdhsa_user_sgpr_kernarg_preload_length 0
		.amdhsa_user_sgpr_kernarg_preload_offset 0
		.amdhsa_user_sgpr_private_segment_size 0
		.amdhsa_uses_dynamic_stack 0
		.amdhsa_system_sgpr_private_segment_wavefront_offset 0
		.amdhsa_system_sgpr_workgroup_id_x 1
		.amdhsa_system_sgpr_workgroup_id_y 0
		.amdhsa_system_sgpr_workgroup_id_z 0
		.amdhsa_system_sgpr_workgroup_info 0
		.amdhsa_system_vgpr_workitem_id 0
		.amdhsa_next_free_vgpr 1
		.amdhsa_next_free_sgpr 0
		.amdhsa_accum_offset 4
		.amdhsa_reserve_vcc 0
		.amdhsa_reserve_flat_scratch 0
		.amdhsa_float_round_mode_32 0
		.amdhsa_float_round_mode_16_64 0
		.amdhsa_float_denorm_mode_32 3
		.amdhsa_float_denorm_mode_16_64 3
		.amdhsa_dx10_clamp 1
		.amdhsa_ieee_mode 1
		.amdhsa_fp16_overflow 0
		.amdhsa_tg_split 0
		.amdhsa_exception_fp_ieee_invalid_op 0
		.amdhsa_exception_fp_denorm_src 0
		.amdhsa_exception_fp_ieee_div_zero 0
		.amdhsa_exception_fp_ieee_overflow 0
		.amdhsa_exception_fp_ieee_underflow 0
		.amdhsa_exception_fp_ieee_inexact 0
		.amdhsa_exception_int_div_zero 0
	.end_amdhsa_kernel
	.section	.text._ZN7rocprim17ROCPRIM_400000_NS6detail17trampoline_kernelINS0_14default_configENS1_25partition_config_selectorILNS1_17partition_subalgoE2EiNS0_10empty_typeEbEEZZNS1_14partition_implILS5_2ELb0ES3_jN6thrust23THRUST_200600_302600_NS6detail15normal_iteratorINSA_7pointerIiNSA_11hip_rocprim3tagENSA_11use_defaultESG_EEEEPS6_NSA_18transform_iteratorI10is_orderedNSA_12zip_iteratorINSA_5tupleINSC_INSA_10device_ptrIiEEEESQ_NSA_9null_typeESR_SR_SR_SR_SR_SR_SR_EEEESG_SG_EENS0_5tupleIJPiSJ_EEENSV_IJSJ_SJ_EEES6_PlJS6_EEE10hipError_tPvRmT3_T4_T5_T6_T7_T9_mT8_P12ihipStream_tbDpT10_ENKUlT_T0_E_clISt17integral_constantIbLb1EES1J_EEDaS1E_S1F_EUlS1E_E_NS1_11comp_targetILNS1_3genE0ELNS1_11target_archE4294967295ELNS1_3gpuE0ELNS1_3repE0EEENS1_30default_config_static_selectorELNS0_4arch9wavefront6targetE1EEEvT1_,"axG",@progbits,_ZN7rocprim17ROCPRIM_400000_NS6detail17trampoline_kernelINS0_14default_configENS1_25partition_config_selectorILNS1_17partition_subalgoE2EiNS0_10empty_typeEbEEZZNS1_14partition_implILS5_2ELb0ES3_jN6thrust23THRUST_200600_302600_NS6detail15normal_iteratorINSA_7pointerIiNSA_11hip_rocprim3tagENSA_11use_defaultESG_EEEEPS6_NSA_18transform_iteratorI10is_orderedNSA_12zip_iteratorINSA_5tupleINSC_INSA_10device_ptrIiEEEESQ_NSA_9null_typeESR_SR_SR_SR_SR_SR_SR_EEEESG_SG_EENS0_5tupleIJPiSJ_EEENSV_IJSJ_SJ_EEES6_PlJS6_EEE10hipError_tPvRmT3_T4_T5_T6_T7_T9_mT8_P12ihipStream_tbDpT10_ENKUlT_T0_E_clISt17integral_constantIbLb1EES1J_EEDaS1E_S1F_EUlS1E_E_NS1_11comp_targetILNS1_3genE0ELNS1_11target_archE4294967295ELNS1_3gpuE0ELNS1_3repE0EEENS1_30default_config_static_selectorELNS0_4arch9wavefront6targetE1EEEvT1_,comdat
.Lfunc_end3602:
	.size	_ZN7rocprim17ROCPRIM_400000_NS6detail17trampoline_kernelINS0_14default_configENS1_25partition_config_selectorILNS1_17partition_subalgoE2EiNS0_10empty_typeEbEEZZNS1_14partition_implILS5_2ELb0ES3_jN6thrust23THRUST_200600_302600_NS6detail15normal_iteratorINSA_7pointerIiNSA_11hip_rocprim3tagENSA_11use_defaultESG_EEEEPS6_NSA_18transform_iteratorI10is_orderedNSA_12zip_iteratorINSA_5tupleINSC_INSA_10device_ptrIiEEEESQ_NSA_9null_typeESR_SR_SR_SR_SR_SR_SR_EEEESG_SG_EENS0_5tupleIJPiSJ_EEENSV_IJSJ_SJ_EEES6_PlJS6_EEE10hipError_tPvRmT3_T4_T5_T6_T7_T9_mT8_P12ihipStream_tbDpT10_ENKUlT_T0_E_clISt17integral_constantIbLb1EES1J_EEDaS1E_S1F_EUlS1E_E_NS1_11comp_targetILNS1_3genE0ELNS1_11target_archE4294967295ELNS1_3gpuE0ELNS1_3repE0EEENS1_30default_config_static_selectorELNS0_4arch9wavefront6targetE1EEEvT1_, .Lfunc_end3602-_ZN7rocprim17ROCPRIM_400000_NS6detail17trampoline_kernelINS0_14default_configENS1_25partition_config_selectorILNS1_17partition_subalgoE2EiNS0_10empty_typeEbEEZZNS1_14partition_implILS5_2ELb0ES3_jN6thrust23THRUST_200600_302600_NS6detail15normal_iteratorINSA_7pointerIiNSA_11hip_rocprim3tagENSA_11use_defaultESG_EEEEPS6_NSA_18transform_iteratorI10is_orderedNSA_12zip_iteratorINSA_5tupleINSC_INSA_10device_ptrIiEEEESQ_NSA_9null_typeESR_SR_SR_SR_SR_SR_SR_EEEESG_SG_EENS0_5tupleIJPiSJ_EEENSV_IJSJ_SJ_EEES6_PlJS6_EEE10hipError_tPvRmT3_T4_T5_T6_T7_T9_mT8_P12ihipStream_tbDpT10_ENKUlT_T0_E_clISt17integral_constantIbLb1EES1J_EEDaS1E_S1F_EUlS1E_E_NS1_11comp_targetILNS1_3genE0ELNS1_11target_archE4294967295ELNS1_3gpuE0ELNS1_3repE0EEENS1_30default_config_static_selectorELNS0_4arch9wavefront6targetE1EEEvT1_
                                        ; -- End function
	.section	.AMDGPU.csdata,"",@progbits
; Kernel info:
; codeLenInByte = 0
; NumSgprs: 4
; NumVgprs: 0
; NumAgprs: 0
; TotalNumVgprs: 0
; ScratchSize: 0
; MemoryBound: 0
; FloatMode: 240
; IeeeMode: 1
; LDSByteSize: 0 bytes/workgroup (compile time only)
; SGPRBlocks: 0
; VGPRBlocks: 0
; NumSGPRsForWavesPerEU: 4
; NumVGPRsForWavesPerEU: 1
; AccumOffset: 4
; Occupancy: 8
; WaveLimiterHint : 0
; COMPUTE_PGM_RSRC2:SCRATCH_EN: 0
; COMPUTE_PGM_RSRC2:USER_SGPR: 6
; COMPUTE_PGM_RSRC2:TRAP_HANDLER: 0
; COMPUTE_PGM_RSRC2:TGID_X_EN: 1
; COMPUTE_PGM_RSRC2:TGID_Y_EN: 0
; COMPUTE_PGM_RSRC2:TGID_Z_EN: 0
; COMPUTE_PGM_RSRC2:TIDIG_COMP_CNT: 0
; COMPUTE_PGM_RSRC3_GFX90A:ACCUM_OFFSET: 0
; COMPUTE_PGM_RSRC3_GFX90A:TG_SPLIT: 0
	.section	.text._ZN7rocprim17ROCPRIM_400000_NS6detail17trampoline_kernelINS0_14default_configENS1_25partition_config_selectorILNS1_17partition_subalgoE2EiNS0_10empty_typeEbEEZZNS1_14partition_implILS5_2ELb0ES3_jN6thrust23THRUST_200600_302600_NS6detail15normal_iteratorINSA_7pointerIiNSA_11hip_rocprim3tagENSA_11use_defaultESG_EEEEPS6_NSA_18transform_iteratorI10is_orderedNSA_12zip_iteratorINSA_5tupleINSC_INSA_10device_ptrIiEEEESQ_NSA_9null_typeESR_SR_SR_SR_SR_SR_SR_EEEESG_SG_EENS0_5tupleIJPiSJ_EEENSV_IJSJ_SJ_EEES6_PlJS6_EEE10hipError_tPvRmT3_T4_T5_T6_T7_T9_mT8_P12ihipStream_tbDpT10_ENKUlT_T0_E_clISt17integral_constantIbLb1EES1J_EEDaS1E_S1F_EUlS1E_E_NS1_11comp_targetILNS1_3genE5ELNS1_11target_archE942ELNS1_3gpuE9ELNS1_3repE0EEENS1_30default_config_static_selectorELNS0_4arch9wavefront6targetE1EEEvT1_,"axG",@progbits,_ZN7rocprim17ROCPRIM_400000_NS6detail17trampoline_kernelINS0_14default_configENS1_25partition_config_selectorILNS1_17partition_subalgoE2EiNS0_10empty_typeEbEEZZNS1_14partition_implILS5_2ELb0ES3_jN6thrust23THRUST_200600_302600_NS6detail15normal_iteratorINSA_7pointerIiNSA_11hip_rocprim3tagENSA_11use_defaultESG_EEEEPS6_NSA_18transform_iteratorI10is_orderedNSA_12zip_iteratorINSA_5tupleINSC_INSA_10device_ptrIiEEEESQ_NSA_9null_typeESR_SR_SR_SR_SR_SR_SR_EEEESG_SG_EENS0_5tupleIJPiSJ_EEENSV_IJSJ_SJ_EEES6_PlJS6_EEE10hipError_tPvRmT3_T4_T5_T6_T7_T9_mT8_P12ihipStream_tbDpT10_ENKUlT_T0_E_clISt17integral_constantIbLb1EES1J_EEDaS1E_S1F_EUlS1E_E_NS1_11comp_targetILNS1_3genE5ELNS1_11target_archE942ELNS1_3gpuE9ELNS1_3repE0EEENS1_30default_config_static_selectorELNS0_4arch9wavefront6targetE1EEEvT1_,comdat
	.protected	_ZN7rocprim17ROCPRIM_400000_NS6detail17trampoline_kernelINS0_14default_configENS1_25partition_config_selectorILNS1_17partition_subalgoE2EiNS0_10empty_typeEbEEZZNS1_14partition_implILS5_2ELb0ES3_jN6thrust23THRUST_200600_302600_NS6detail15normal_iteratorINSA_7pointerIiNSA_11hip_rocprim3tagENSA_11use_defaultESG_EEEEPS6_NSA_18transform_iteratorI10is_orderedNSA_12zip_iteratorINSA_5tupleINSC_INSA_10device_ptrIiEEEESQ_NSA_9null_typeESR_SR_SR_SR_SR_SR_SR_EEEESG_SG_EENS0_5tupleIJPiSJ_EEENSV_IJSJ_SJ_EEES6_PlJS6_EEE10hipError_tPvRmT3_T4_T5_T6_T7_T9_mT8_P12ihipStream_tbDpT10_ENKUlT_T0_E_clISt17integral_constantIbLb1EES1J_EEDaS1E_S1F_EUlS1E_E_NS1_11comp_targetILNS1_3genE5ELNS1_11target_archE942ELNS1_3gpuE9ELNS1_3repE0EEENS1_30default_config_static_selectorELNS0_4arch9wavefront6targetE1EEEvT1_ ; -- Begin function _ZN7rocprim17ROCPRIM_400000_NS6detail17trampoline_kernelINS0_14default_configENS1_25partition_config_selectorILNS1_17partition_subalgoE2EiNS0_10empty_typeEbEEZZNS1_14partition_implILS5_2ELb0ES3_jN6thrust23THRUST_200600_302600_NS6detail15normal_iteratorINSA_7pointerIiNSA_11hip_rocprim3tagENSA_11use_defaultESG_EEEEPS6_NSA_18transform_iteratorI10is_orderedNSA_12zip_iteratorINSA_5tupleINSC_INSA_10device_ptrIiEEEESQ_NSA_9null_typeESR_SR_SR_SR_SR_SR_SR_EEEESG_SG_EENS0_5tupleIJPiSJ_EEENSV_IJSJ_SJ_EEES6_PlJS6_EEE10hipError_tPvRmT3_T4_T5_T6_T7_T9_mT8_P12ihipStream_tbDpT10_ENKUlT_T0_E_clISt17integral_constantIbLb1EES1J_EEDaS1E_S1F_EUlS1E_E_NS1_11comp_targetILNS1_3genE5ELNS1_11target_archE942ELNS1_3gpuE9ELNS1_3repE0EEENS1_30default_config_static_selectorELNS0_4arch9wavefront6targetE1EEEvT1_
	.globl	_ZN7rocprim17ROCPRIM_400000_NS6detail17trampoline_kernelINS0_14default_configENS1_25partition_config_selectorILNS1_17partition_subalgoE2EiNS0_10empty_typeEbEEZZNS1_14partition_implILS5_2ELb0ES3_jN6thrust23THRUST_200600_302600_NS6detail15normal_iteratorINSA_7pointerIiNSA_11hip_rocprim3tagENSA_11use_defaultESG_EEEEPS6_NSA_18transform_iteratorI10is_orderedNSA_12zip_iteratorINSA_5tupleINSC_INSA_10device_ptrIiEEEESQ_NSA_9null_typeESR_SR_SR_SR_SR_SR_SR_EEEESG_SG_EENS0_5tupleIJPiSJ_EEENSV_IJSJ_SJ_EEES6_PlJS6_EEE10hipError_tPvRmT3_T4_T5_T6_T7_T9_mT8_P12ihipStream_tbDpT10_ENKUlT_T0_E_clISt17integral_constantIbLb1EES1J_EEDaS1E_S1F_EUlS1E_E_NS1_11comp_targetILNS1_3genE5ELNS1_11target_archE942ELNS1_3gpuE9ELNS1_3repE0EEENS1_30default_config_static_selectorELNS0_4arch9wavefront6targetE1EEEvT1_
	.p2align	8
	.type	_ZN7rocprim17ROCPRIM_400000_NS6detail17trampoline_kernelINS0_14default_configENS1_25partition_config_selectorILNS1_17partition_subalgoE2EiNS0_10empty_typeEbEEZZNS1_14partition_implILS5_2ELb0ES3_jN6thrust23THRUST_200600_302600_NS6detail15normal_iteratorINSA_7pointerIiNSA_11hip_rocprim3tagENSA_11use_defaultESG_EEEEPS6_NSA_18transform_iteratorI10is_orderedNSA_12zip_iteratorINSA_5tupleINSC_INSA_10device_ptrIiEEEESQ_NSA_9null_typeESR_SR_SR_SR_SR_SR_SR_EEEESG_SG_EENS0_5tupleIJPiSJ_EEENSV_IJSJ_SJ_EEES6_PlJS6_EEE10hipError_tPvRmT3_T4_T5_T6_T7_T9_mT8_P12ihipStream_tbDpT10_ENKUlT_T0_E_clISt17integral_constantIbLb1EES1J_EEDaS1E_S1F_EUlS1E_E_NS1_11comp_targetILNS1_3genE5ELNS1_11target_archE942ELNS1_3gpuE9ELNS1_3repE0EEENS1_30default_config_static_selectorELNS0_4arch9wavefront6targetE1EEEvT1_,@function
_ZN7rocprim17ROCPRIM_400000_NS6detail17trampoline_kernelINS0_14default_configENS1_25partition_config_selectorILNS1_17partition_subalgoE2EiNS0_10empty_typeEbEEZZNS1_14partition_implILS5_2ELb0ES3_jN6thrust23THRUST_200600_302600_NS6detail15normal_iteratorINSA_7pointerIiNSA_11hip_rocprim3tagENSA_11use_defaultESG_EEEEPS6_NSA_18transform_iteratorI10is_orderedNSA_12zip_iteratorINSA_5tupleINSC_INSA_10device_ptrIiEEEESQ_NSA_9null_typeESR_SR_SR_SR_SR_SR_SR_EEEESG_SG_EENS0_5tupleIJPiSJ_EEENSV_IJSJ_SJ_EEES6_PlJS6_EEE10hipError_tPvRmT3_T4_T5_T6_T7_T9_mT8_P12ihipStream_tbDpT10_ENKUlT_T0_E_clISt17integral_constantIbLb1EES1J_EEDaS1E_S1F_EUlS1E_E_NS1_11comp_targetILNS1_3genE5ELNS1_11target_archE942ELNS1_3gpuE9ELNS1_3repE0EEENS1_30default_config_static_selectorELNS0_4arch9wavefront6targetE1EEEvT1_: ; @_ZN7rocprim17ROCPRIM_400000_NS6detail17trampoline_kernelINS0_14default_configENS1_25partition_config_selectorILNS1_17partition_subalgoE2EiNS0_10empty_typeEbEEZZNS1_14partition_implILS5_2ELb0ES3_jN6thrust23THRUST_200600_302600_NS6detail15normal_iteratorINSA_7pointerIiNSA_11hip_rocprim3tagENSA_11use_defaultESG_EEEEPS6_NSA_18transform_iteratorI10is_orderedNSA_12zip_iteratorINSA_5tupleINSC_INSA_10device_ptrIiEEEESQ_NSA_9null_typeESR_SR_SR_SR_SR_SR_SR_EEEESG_SG_EENS0_5tupleIJPiSJ_EEENSV_IJSJ_SJ_EEES6_PlJS6_EEE10hipError_tPvRmT3_T4_T5_T6_T7_T9_mT8_P12ihipStream_tbDpT10_ENKUlT_T0_E_clISt17integral_constantIbLb1EES1J_EEDaS1E_S1F_EUlS1E_E_NS1_11comp_targetILNS1_3genE5ELNS1_11target_archE942ELNS1_3gpuE9ELNS1_3repE0EEENS1_30default_config_static_selectorELNS0_4arch9wavefront6targetE1EEEvT1_
; %bb.0:
	.section	.rodata,"a",@progbits
	.p2align	6, 0x0
	.amdhsa_kernel _ZN7rocprim17ROCPRIM_400000_NS6detail17trampoline_kernelINS0_14default_configENS1_25partition_config_selectorILNS1_17partition_subalgoE2EiNS0_10empty_typeEbEEZZNS1_14partition_implILS5_2ELb0ES3_jN6thrust23THRUST_200600_302600_NS6detail15normal_iteratorINSA_7pointerIiNSA_11hip_rocprim3tagENSA_11use_defaultESG_EEEEPS6_NSA_18transform_iteratorI10is_orderedNSA_12zip_iteratorINSA_5tupleINSC_INSA_10device_ptrIiEEEESQ_NSA_9null_typeESR_SR_SR_SR_SR_SR_SR_EEEESG_SG_EENS0_5tupleIJPiSJ_EEENSV_IJSJ_SJ_EEES6_PlJS6_EEE10hipError_tPvRmT3_T4_T5_T6_T7_T9_mT8_P12ihipStream_tbDpT10_ENKUlT_T0_E_clISt17integral_constantIbLb1EES1J_EEDaS1E_S1F_EUlS1E_E_NS1_11comp_targetILNS1_3genE5ELNS1_11target_archE942ELNS1_3gpuE9ELNS1_3repE0EEENS1_30default_config_static_selectorELNS0_4arch9wavefront6targetE1EEEvT1_
		.amdhsa_group_segment_fixed_size 0
		.amdhsa_private_segment_fixed_size 0
		.amdhsa_kernarg_size 152
		.amdhsa_user_sgpr_count 6
		.amdhsa_user_sgpr_private_segment_buffer 1
		.amdhsa_user_sgpr_dispatch_ptr 0
		.amdhsa_user_sgpr_queue_ptr 0
		.amdhsa_user_sgpr_kernarg_segment_ptr 1
		.amdhsa_user_sgpr_dispatch_id 0
		.amdhsa_user_sgpr_flat_scratch_init 0
		.amdhsa_user_sgpr_kernarg_preload_length 0
		.amdhsa_user_sgpr_kernarg_preload_offset 0
		.amdhsa_user_sgpr_private_segment_size 0
		.amdhsa_uses_dynamic_stack 0
		.amdhsa_system_sgpr_private_segment_wavefront_offset 0
		.amdhsa_system_sgpr_workgroup_id_x 1
		.amdhsa_system_sgpr_workgroup_id_y 0
		.amdhsa_system_sgpr_workgroup_id_z 0
		.amdhsa_system_sgpr_workgroup_info 0
		.amdhsa_system_vgpr_workitem_id 0
		.amdhsa_next_free_vgpr 1
		.amdhsa_next_free_sgpr 0
		.amdhsa_accum_offset 4
		.amdhsa_reserve_vcc 0
		.amdhsa_reserve_flat_scratch 0
		.amdhsa_float_round_mode_32 0
		.amdhsa_float_round_mode_16_64 0
		.amdhsa_float_denorm_mode_32 3
		.amdhsa_float_denorm_mode_16_64 3
		.amdhsa_dx10_clamp 1
		.amdhsa_ieee_mode 1
		.amdhsa_fp16_overflow 0
		.amdhsa_tg_split 0
		.amdhsa_exception_fp_ieee_invalid_op 0
		.amdhsa_exception_fp_denorm_src 0
		.amdhsa_exception_fp_ieee_div_zero 0
		.amdhsa_exception_fp_ieee_overflow 0
		.amdhsa_exception_fp_ieee_underflow 0
		.amdhsa_exception_fp_ieee_inexact 0
		.amdhsa_exception_int_div_zero 0
	.end_amdhsa_kernel
	.section	.text._ZN7rocprim17ROCPRIM_400000_NS6detail17trampoline_kernelINS0_14default_configENS1_25partition_config_selectorILNS1_17partition_subalgoE2EiNS0_10empty_typeEbEEZZNS1_14partition_implILS5_2ELb0ES3_jN6thrust23THRUST_200600_302600_NS6detail15normal_iteratorINSA_7pointerIiNSA_11hip_rocprim3tagENSA_11use_defaultESG_EEEEPS6_NSA_18transform_iteratorI10is_orderedNSA_12zip_iteratorINSA_5tupleINSC_INSA_10device_ptrIiEEEESQ_NSA_9null_typeESR_SR_SR_SR_SR_SR_SR_EEEESG_SG_EENS0_5tupleIJPiSJ_EEENSV_IJSJ_SJ_EEES6_PlJS6_EEE10hipError_tPvRmT3_T4_T5_T6_T7_T9_mT8_P12ihipStream_tbDpT10_ENKUlT_T0_E_clISt17integral_constantIbLb1EES1J_EEDaS1E_S1F_EUlS1E_E_NS1_11comp_targetILNS1_3genE5ELNS1_11target_archE942ELNS1_3gpuE9ELNS1_3repE0EEENS1_30default_config_static_selectorELNS0_4arch9wavefront6targetE1EEEvT1_,"axG",@progbits,_ZN7rocprim17ROCPRIM_400000_NS6detail17trampoline_kernelINS0_14default_configENS1_25partition_config_selectorILNS1_17partition_subalgoE2EiNS0_10empty_typeEbEEZZNS1_14partition_implILS5_2ELb0ES3_jN6thrust23THRUST_200600_302600_NS6detail15normal_iteratorINSA_7pointerIiNSA_11hip_rocprim3tagENSA_11use_defaultESG_EEEEPS6_NSA_18transform_iteratorI10is_orderedNSA_12zip_iteratorINSA_5tupleINSC_INSA_10device_ptrIiEEEESQ_NSA_9null_typeESR_SR_SR_SR_SR_SR_SR_EEEESG_SG_EENS0_5tupleIJPiSJ_EEENSV_IJSJ_SJ_EEES6_PlJS6_EEE10hipError_tPvRmT3_T4_T5_T6_T7_T9_mT8_P12ihipStream_tbDpT10_ENKUlT_T0_E_clISt17integral_constantIbLb1EES1J_EEDaS1E_S1F_EUlS1E_E_NS1_11comp_targetILNS1_3genE5ELNS1_11target_archE942ELNS1_3gpuE9ELNS1_3repE0EEENS1_30default_config_static_selectorELNS0_4arch9wavefront6targetE1EEEvT1_,comdat
.Lfunc_end3603:
	.size	_ZN7rocprim17ROCPRIM_400000_NS6detail17trampoline_kernelINS0_14default_configENS1_25partition_config_selectorILNS1_17partition_subalgoE2EiNS0_10empty_typeEbEEZZNS1_14partition_implILS5_2ELb0ES3_jN6thrust23THRUST_200600_302600_NS6detail15normal_iteratorINSA_7pointerIiNSA_11hip_rocprim3tagENSA_11use_defaultESG_EEEEPS6_NSA_18transform_iteratorI10is_orderedNSA_12zip_iteratorINSA_5tupleINSC_INSA_10device_ptrIiEEEESQ_NSA_9null_typeESR_SR_SR_SR_SR_SR_SR_EEEESG_SG_EENS0_5tupleIJPiSJ_EEENSV_IJSJ_SJ_EEES6_PlJS6_EEE10hipError_tPvRmT3_T4_T5_T6_T7_T9_mT8_P12ihipStream_tbDpT10_ENKUlT_T0_E_clISt17integral_constantIbLb1EES1J_EEDaS1E_S1F_EUlS1E_E_NS1_11comp_targetILNS1_3genE5ELNS1_11target_archE942ELNS1_3gpuE9ELNS1_3repE0EEENS1_30default_config_static_selectorELNS0_4arch9wavefront6targetE1EEEvT1_, .Lfunc_end3603-_ZN7rocprim17ROCPRIM_400000_NS6detail17trampoline_kernelINS0_14default_configENS1_25partition_config_selectorILNS1_17partition_subalgoE2EiNS0_10empty_typeEbEEZZNS1_14partition_implILS5_2ELb0ES3_jN6thrust23THRUST_200600_302600_NS6detail15normal_iteratorINSA_7pointerIiNSA_11hip_rocprim3tagENSA_11use_defaultESG_EEEEPS6_NSA_18transform_iteratorI10is_orderedNSA_12zip_iteratorINSA_5tupleINSC_INSA_10device_ptrIiEEEESQ_NSA_9null_typeESR_SR_SR_SR_SR_SR_SR_EEEESG_SG_EENS0_5tupleIJPiSJ_EEENSV_IJSJ_SJ_EEES6_PlJS6_EEE10hipError_tPvRmT3_T4_T5_T6_T7_T9_mT8_P12ihipStream_tbDpT10_ENKUlT_T0_E_clISt17integral_constantIbLb1EES1J_EEDaS1E_S1F_EUlS1E_E_NS1_11comp_targetILNS1_3genE5ELNS1_11target_archE942ELNS1_3gpuE9ELNS1_3repE0EEENS1_30default_config_static_selectorELNS0_4arch9wavefront6targetE1EEEvT1_
                                        ; -- End function
	.section	.AMDGPU.csdata,"",@progbits
; Kernel info:
; codeLenInByte = 0
; NumSgprs: 4
; NumVgprs: 0
; NumAgprs: 0
; TotalNumVgprs: 0
; ScratchSize: 0
; MemoryBound: 0
; FloatMode: 240
; IeeeMode: 1
; LDSByteSize: 0 bytes/workgroup (compile time only)
; SGPRBlocks: 0
; VGPRBlocks: 0
; NumSGPRsForWavesPerEU: 4
; NumVGPRsForWavesPerEU: 1
; AccumOffset: 4
; Occupancy: 8
; WaveLimiterHint : 0
; COMPUTE_PGM_RSRC2:SCRATCH_EN: 0
; COMPUTE_PGM_RSRC2:USER_SGPR: 6
; COMPUTE_PGM_RSRC2:TRAP_HANDLER: 0
; COMPUTE_PGM_RSRC2:TGID_X_EN: 1
; COMPUTE_PGM_RSRC2:TGID_Y_EN: 0
; COMPUTE_PGM_RSRC2:TGID_Z_EN: 0
; COMPUTE_PGM_RSRC2:TIDIG_COMP_CNT: 0
; COMPUTE_PGM_RSRC3_GFX90A:ACCUM_OFFSET: 0
; COMPUTE_PGM_RSRC3_GFX90A:TG_SPLIT: 0
	.section	.text._ZN7rocprim17ROCPRIM_400000_NS6detail17trampoline_kernelINS0_14default_configENS1_25partition_config_selectorILNS1_17partition_subalgoE2EiNS0_10empty_typeEbEEZZNS1_14partition_implILS5_2ELb0ES3_jN6thrust23THRUST_200600_302600_NS6detail15normal_iteratorINSA_7pointerIiNSA_11hip_rocprim3tagENSA_11use_defaultESG_EEEEPS6_NSA_18transform_iteratorI10is_orderedNSA_12zip_iteratorINSA_5tupleINSC_INSA_10device_ptrIiEEEESQ_NSA_9null_typeESR_SR_SR_SR_SR_SR_SR_EEEESG_SG_EENS0_5tupleIJPiSJ_EEENSV_IJSJ_SJ_EEES6_PlJS6_EEE10hipError_tPvRmT3_T4_T5_T6_T7_T9_mT8_P12ihipStream_tbDpT10_ENKUlT_T0_E_clISt17integral_constantIbLb1EES1J_EEDaS1E_S1F_EUlS1E_E_NS1_11comp_targetILNS1_3genE4ELNS1_11target_archE910ELNS1_3gpuE8ELNS1_3repE0EEENS1_30default_config_static_selectorELNS0_4arch9wavefront6targetE1EEEvT1_,"axG",@progbits,_ZN7rocprim17ROCPRIM_400000_NS6detail17trampoline_kernelINS0_14default_configENS1_25partition_config_selectorILNS1_17partition_subalgoE2EiNS0_10empty_typeEbEEZZNS1_14partition_implILS5_2ELb0ES3_jN6thrust23THRUST_200600_302600_NS6detail15normal_iteratorINSA_7pointerIiNSA_11hip_rocprim3tagENSA_11use_defaultESG_EEEEPS6_NSA_18transform_iteratorI10is_orderedNSA_12zip_iteratorINSA_5tupleINSC_INSA_10device_ptrIiEEEESQ_NSA_9null_typeESR_SR_SR_SR_SR_SR_SR_EEEESG_SG_EENS0_5tupleIJPiSJ_EEENSV_IJSJ_SJ_EEES6_PlJS6_EEE10hipError_tPvRmT3_T4_T5_T6_T7_T9_mT8_P12ihipStream_tbDpT10_ENKUlT_T0_E_clISt17integral_constantIbLb1EES1J_EEDaS1E_S1F_EUlS1E_E_NS1_11comp_targetILNS1_3genE4ELNS1_11target_archE910ELNS1_3gpuE8ELNS1_3repE0EEENS1_30default_config_static_selectorELNS0_4arch9wavefront6targetE1EEEvT1_,comdat
	.protected	_ZN7rocprim17ROCPRIM_400000_NS6detail17trampoline_kernelINS0_14default_configENS1_25partition_config_selectorILNS1_17partition_subalgoE2EiNS0_10empty_typeEbEEZZNS1_14partition_implILS5_2ELb0ES3_jN6thrust23THRUST_200600_302600_NS6detail15normal_iteratorINSA_7pointerIiNSA_11hip_rocprim3tagENSA_11use_defaultESG_EEEEPS6_NSA_18transform_iteratorI10is_orderedNSA_12zip_iteratorINSA_5tupleINSC_INSA_10device_ptrIiEEEESQ_NSA_9null_typeESR_SR_SR_SR_SR_SR_SR_EEEESG_SG_EENS0_5tupleIJPiSJ_EEENSV_IJSJ_SJ_EEES6_PlJS6_EEE10hipError_tPvRmT3_T4_T5_T6_T7_T9_mT8_P12ihipStream_tbDpT10_ENKUlT_T0_E_clISt17integral_constantIbLb1EES1J_EEDaS1E_S1F_EUlS1E_E_NS1_11comp_targetILNS1_3genE4ELNS1_11target_archE910ELNS1_3gpuE8ELNS1_3repE0EEENS1_30default_config_static_selectorELNS0_4arch9wavefront6targetE1EEEvT1_ ; -- Begin function _ZN7rocprim17ROCPRIM_400000_NS6detail17trampoline_kernelINS0_14default_configENS1_25partition_config_selectorILNS1_17partition_subalgoE2EiNS0_10empty_typeEbEEZZNS1_14partition_implILS5_2ELb0ES3_jN6thrust23THRUST_200600_302600_NS6detail15normal_iteratorINSA_7pointerIiNSA_11hip_rocprim3tagENSA_11use_defaultESG_EEEEPS6_NSA_18transform_iteratorI10is_orderedNSA_12zip_iteratorINSA_5tupleINSC_INSA_10device_ptrIiEEEESQ_NSA_9null_typeESR_SR_SR_SR_SR_SR_SR_EEEESG_SG_EENS0_5tupleIJPiSJ_EEENSV_IJSJ_SJ_EEES6_PlJS6_EEE10hipError_tPvRmT3_T4_T5_T6_T7_T9_mT8_P12ihipStream_tbDpT10_ENKUlT_T0_E_clISt17integral_constantIbLb1EES1J_EEDaS1E_S1F_EUlS1E_E_NS1_11comp_targetILNS1_3genE4ELNS1_11target_archE910ELNS1_3gpuE8ELNS1_3repE0EEENS1_30default_config_static_selectorELNS0_4arch9wavefront6targetE1EEEvT1_
	.globl	_ZN7rocprim17ROCPRIM_400000_NS6detail17trampoline_kernelINS0_14default_configENS1_25partition_config_selectorILNS1_17partition_subalgoE2EiNS0_10empty_typeEbEEZZNS1_14partition_implILS5_2ELb0ES3_jN6thrust23THRUST_200600_302600_NS6detail15normal_iteratorINSA_7pointerIiNSA_11hip_rocprim3tagENSA_11use_defaultESG_EEEEPS6_NSA_18transform_iteratorI10is_orderedNSA_12zip_iteratorINSA_5tupleINSC_INSA_10device_ptrIiEEEESQ_NSA_9null_typeESR_SR_SR_SR_SR_SR_SR_EEEESG_SG_EENS0_5tupleIJPiSJ_EEENSV_IJSJ_SJ_EEES6_PlJS6_EEE10hipError_tPvRmT3_T4_T5_T6_T7_T9_mT8_P12ihipStream_tbDpT10_ENKUlT_T0_E_clISt17integral_constantIbLb1EES1J_EEDaS1E_S1F_EUlS1E_E_NS1_11comp_targetILNS1_3genE4ELNS1_11target_archE910ELNS1_3gpuE8ELNS1_3repE0EEENS1_30default_config_static_selectorELNS0_4arch9wavefront6targetE1EEEvT1_
	.p2align	8
	.type	_ZN7rocprim17ROCPRIM_400000_NS6detail17trampoline_kernelINS0_14default_configENS1_25partition_config_selectorILNS1_17partition_subalgoE2EiNS0_10empty_typeEbEEZZNS1_14partition_implILS5_2ELb0ES3_jN6thrust23THRUST_200600_302600_NS6detail15normal_iteratorINSA_7pointerIiNSA_11hip_rocprim3tagENSA_11use_defaultESG_EEEEPS6_NSA_18transform_iteratorI10is_orderedNSA_12zip_iteratorINSA_5tupleINSC_INSA_10device_ptrIiEEEESQ_NSA_9null_typeESR_SR_SR_SR_SR_SR_SR_EEEESG_SG_EENS0_5tupleIJPiSJ_EEENSV_IJSJ_SJ_EEES6_PlJS6_EEE10hipError_tPvRmT3_T4_T5_T6_T7_T9_mT8_P12ihipStream_tbDpT10_ENKUlT_T0_E_clISt17integral_constantIbLb1EES1J_EEDaS1E_S1F_EUlS1E_E_NS1_11comp_targetILNS1_3genE4ELNS1_11target_archE910ELNS1_3gpuE8ELNS1_3repE0EEENS1_30default_config_static_selectorELNS0_4arch9wavefront6targetE1EEEvT1_,@function
_ZN7rocprim17ROCPRIM_400000_NS6detail17trampoline_kernelINS0_14default_configENS1_25partition_config_selectorILNS1_17partition_subalgoE2EiNS0_10empty_typeEbEEZZNS1_14partition_implILS5_2ELb0ES3_jN6thrust23THRUST_200600_302600_NS6detail15normal_iteratorINSA_7pointerIiNSA_11hip_rocprim3tagENSA_11use_defaultESG_EEEEPS6_NSA_18transform_iteratorI10is_orderedNSA_12zip_iteratorINSA_5tupleINSC_INSA_10device_ptrIiEEEESQ_NSA_9null_typeESR_SR_SR_SR_SR_SR_SR_EEEESG_SG_EENS0_5tupleIJPiSJ_EEENSV_IJSJ_SJ_EEES6_PlJS6_EEE10hipError_tPvRmT3_T4_T5_T6_T7_T9_mT8_P12ihipStream_tbDpT10_ENKUlT_T0_E_clISt17integral_constantIbLb1EES1J_EEDaS1E_S1F_EUlS1E_E_NS1_11comp_targetILNS1_3genE4ELNS1_11target_archE910ELNS1_3gpuE8ELNS1_3repE0EEENS1_30default_config_static_selectorELNS0_4arch9wavefront6targetE1EEEvT1_: ; @_ZN7rocprim17ROCPRIM_400000_NS6detail17trampoline_kernelINS0_14default_configENS1_25partition_config_selectorILNS1_17partition_subalgoE2EiNS0_10empty_typeEbEEZZNS1_14partition_implILS5_2ELb0ES3_jN6thrust23THRUST_200600_302600_NS6detail15normal_iteratorINSA_7pointerIiNSA_11hip_rocprim3tagENSA_11use_defaultESG_EEEEPS6_NSA_18transform_iteratorI10is_orderedNSA_12zip_iteratorINSA_5tupleINSC_INSA_10device_ptrIiEEEESQ_NSA_9null_typeESR_SR_SR_SR_SR_SR_SR_EEEESG_SG_EENS0_5tupleIJPiSJ_EEENSV_IJSJ_SJ_EEES6_PlJS6_EEE10hipError_tPvRmT3_T4_T5_T6_T7_T9_mT8_P12ihipStream_tbDpT10_ENKUlT_T0_E_clISt17integral_constantIbLb1EES1J_EEDaS1E_S1F_EUlS1E_E_NS1_11comp_targetILNS1_3genE4ELNS1_11target_archE910ELNS1_3gpuE8ELNS1_3repE0EEENS1_30default_config_static_selectorELNS0_4arch9wavefront6targetE1EEEvT1_
; %bb.0:
	s_load_dwordx2 s[24:25], s[4:5], 0x38
	s_load_dwordx4 s[20:23], s[4:5], 0x58
	s_load_dwordx2 s[26:27], s[4:5], 0x68
	s_load_dwordx2 s[34:35], s[4:5], 0x78
	v_cmp_eq_u32_e64 s[0:1], 0, v0
	s_and_saveexec_b64 s[2:3], s[0:1]
	s_cbranch_execz .LBB3604_4
; %bb.1:
	s_mov_b64 s[8:9], exec
	v_mbcnt_lo_u32_b32 v1, s8, 0
	v_mbcnt_hi_u32_b32 v1, s9, v1
	v_cmp_eq_u32_e32 vcc, 0, v1
                                        ; implicit-def: $vgpr2
	s_and_saveexec_b64 s[6:7], vcc
	s_cbranch_execz .LBB3604_3
; %bb.2:
	s_load_dwordx2 s[10:11], s[4:5], 0x88
	s_bcnt1_i32_b64 s8, s[8:9]
	v_mov_b32_e32 v2, 0
	v_mov_b32_e32 v3, s8
	s_waitcnt lgkmcnt(0)
	global_atomic_add v2, v2, v3, s[10:11] glc
.LBB3604_3:
	s_or_b64 exec, exec, s[6:7]
	s_waitcnt vmcnt(0)
	v_readfirstlane_b32 s6, v2
	v_add_u32_e32 v1, s6, v1
	v_mov_b32_e32 v2, 0
	ds_write_b32 v2, v1
.LBB3604_4:
	s_or_b64 exec, exec, s[2:3]
	v_mov_b32_e32 v1, 0
	s_load_dwordx4 s[16:19], s[4:5], 0x8
	s_load_dwordx4 s[8:11], s[4:5], 0x20
	s_load_dword s2, s[4:5], 0x80
	s_waitcnt lgkmcnt(0)
	s_barrier
	ds_read_b32 v2, v1
	s_waitcnt lgkmcnt(0)
	s_barrier
	global_load_dwordx2 v[12:13], v1, s[22:23]
	s_lshl_b64 s[4:5], s[18:19], 2
	s_add_u32 s12, s16, s4
	s_addc_u32 s13, s17, s5
	s_add_i32 s6, s2, -1
	s_mulk_i32 s2, 0xa00
	s_add_i32 s3, s2, s18
	s_sub_i32 s33, s26, s3
	s_addk_i32 s33, 0xa00
	s_add_u32 s2, s18, s2
	v_readfirstlane_b32 s42, v2
	s_addc_u32 s3, s19, 0
	s_cmp_eq_u32 s42, s6
	v_pk_mov_b32 v[2:3], s[26:27], s[26:27] op_sel:[0,1]
	s_cselect_b64 s[22:23], -1, 0
	s_cmp_lg_u32 s42, s6
	s_mul_i32 s28, s42, 0xa00
	s_mov_b32 s29, 0
	v_cmp_lt_u64_e32 vcc, s[2:3], v[2:3]
	s_cselect_b64 s[2:3], -1, 0
	s_or_b64 s[30:31], vcc, s[2:3]
	s_lshl_b64 s[6:7], s[28:29], 2
	s_add_u32 s14, s12, s6
	s_addc_u32 s15, s13, s7
	s_mov_b64 s[2:3], -1
	s_and_b64 vcc, exec, s[30:31]
	v_lshlrev_b32_e32 v1, 2, v0
	s_cbranch_vccz .LBB3604_6
; %bb.5:
	v_mov_b32_e32 v3, s15
	v_add_co_u32_e32 v2, vcc, s14, v1
	v_addc_co_u32_e32 v3, vcc, 0, v3, vcc
	v_add_co_u32_e32 v4, vcc, 0x1000, v2
	v_addc_co_u32_e32 v5, vcc, 0, v3, vcc
	flat_load_dword v6, v[2:3]
	flat_load_dword v7, v[2:3] offset:1024
	flat_load_dword v8, v[2:3] offset:2048
	;; [unrolled: 1-line block ×3, first 2 shown]
	flat_load_dword v10, v[4:5]
	flat_load_dword v11, v[4:5] offset:1024
	flat_load_dword v14, v[4:5] offset:2048
	;; [unrolled: 1-line block ×3, first 2 shown]
	v_add_co_u32_e32 v2, vcc, 0x2000, v2
	v_addc_co_u32_e32 v3, vcc, 0, v3, vcc
	flat_load_dword v4, v[2:3]
	flat_load_dword v5, v[2:3] offset:1024
	s_mov_b64 s[2:3], 0
	s_waitcnt vmcnt(0) lgkmcnt(0)
	ds_write2st64_b32 v1, v6, v7 offset1:4
	ds_write2st64_b32 v1, v8, v9 offset0:8 offset1:12
	ds_write2st64_b32 v1, v10, v11 offset0:16 offset1:20
	;; [unrolled: 1-line block ×4, first 2 shown]
	s_waitcnt lgkmcnt(0)
	s_barrier
.LBB3604_6:
	s_andn2_b64 vcc, exec, s[2:3]
	v_cmp_gt_u32_e64 s[2:3], s33, v0
	s_cbranch_vccnz .LBB3604_28
; %bb.7:
                                        ; implicit-def: $vgpr2_vgpr3_vgpr4_vgpr5_vgpr6_vgpr7_vgpr8_vgpr9_vgpr10_vgpr11
	s_and_saveexec_b64 s[12:13], s[2:3]
	s_cbranch_execz .LBB3604_9
; %bb.8:
	v_mov_b32_e32 v3, s15
	v_add_co_u32_e32 v2, vcc, s14, v1
	v_addc_co_u32_e32 v3, vcc, 0, v3, vcc
	flat_load_dword v2, v[2:3]
.LBB3604_9:
	s_or_b64 exec, exec, s[12:13]
	v_or_b32_e32 v14, 0x100, v0
	v_cmp_gt_u32_e32 vcc, s33, v14
	s_and_saveexec_b64 s[2:3], vcc
	s_cbranch_execz .LBB3604_11
; %bb.10:
	v_mov_b32_e32 v3, s15
	v_add_co_u32_e32 v14, vcc, s14, v1
	v_addc_co_u32_e32 v15, vcc, 0, v3, vcc
	flat_load_dword v3, v[14:15] offset:1024
.LBB3604_11:
	s_or_b64 exec, exec, s[2:3]
	v_or_b32_e32 v14, 0x200, v0
	v_cmp_gt_u32_e32 vcc, s33, v14
	s_and_saveexec_b64 s[2:3], vcc
	s_cbranch_execz .LBB3604_13
; %bb.12:
	v_mov_b32_e32 v4, s15
	v_add_co_u32_e32 v14, vcc, s14, v1
	v_addc_co_u32_e32 v15, vcc, 0, v4, vcc
	flat_load_dword v4, v[14:15] offset:2048
.LBB3604_13:
	;; [unrolled: 11-line block ×3, first 2 shown]
	s_or_b64 exec, exec, s[2:3]
	v_or_b32_e32 v14, 0x400, v0
	v_cmp_gt_u32_e32 vcc, s33, v14
	s_and_saveexec_b64 s[2:3], vcc
	s_cbranch_execz .LBB3604_17
; %bb.16:
	v_lshlrev_b32_e32 v6, 2, v14
	v_mov_b32_e32 v15, s15
	v_add_co_u32_e32 v14, vcc, s14, v6
	v_addc_co_u32_e32 v15, vcc, 0, v15, vcc
	flat_load_dword v6, v[14:15]
.LBB3604_17:
	s_or_b64 exec, exec, s[2:3]
	v_or_b32_e32 v14, 0x500, v0
	v_cmp_gt_u32_e32 vcc, s33, v14
	s_and_saveexec_b64 s[2:3], vcc
	s_cbranch_execz .LBB3604_19
; %bb.18:
	v_lshlrev_b32_e32 v7, 2, v14
	v_mov_b32_e32 v15, s15
	v_add_co_u32_e32 v14, vcc, s14, v7
	v_addc_co_u32_e32 v15, vcc, 0, v15, vcc
	flat_load_dword v7, v[14:15]
.LBB3604_19:
	;; [unrolled: 12-line block ×6, first 2 shown]
	s_or_b64 exec, exec, s[2:3]
	s_waitcnt vmcnt(0) lgkmcnt(0)
	ds_write2st64_b32 v1, v2, v3 offset1:4
	ds_write2st64_b32 v1, v4, v5 offset0:8 offset1:12
	ds_write2st64_b32 v1, v6, v7 offset0:16 offset1:20
	;; [unrolled: 1-line block ×4, first 2 shown]
	s_waitcnt lgkmcnt(0)
	s_barrier
.LBB3604_28:
	s_add_u32 s2, s8, s4
	v_mul_u32_u24_e32 v26, 10, v0
	s_addc_u32 s3, s9, s5
	v_lshlrev_b32_e32 v10, 2, v26
	s_add_u32 s4, s10, s4
	ds_read2_b64 v[6:9], v10 offset1:1
	ds_read2_b64 v[2:5], v10 offset0:2 offset1:3
	ds_read_b64 v[14:15], v10 offset:32
	s_addc_u32 s5, s11, s5
	s_add_u32 s2, s2, s6
	s_addc_u32 s3, s3, s7
	s_add_u32 s4, s4, s6
	s_addc_u32 s5, s5, s7
	s_mov_b64 s[6:7], -1
	s_and_b64 vcc, exec, s[30:31]
	s_waitcnt lgkmcnt(0)
	s_barrier
	s_cbranch_vccz .LBB3604_30
; %bb.29:
	v_mov_b32_e32 v10, s3
	v_add_co_u32_e32 v16, vcc, s2, v1
	v_addc_co_u32_e32 v17, vcc, 0, v10, vcc
	v_mov_b32_e32 v10, s5
	v_add_co_u32_e32 v20, vcc, s4, v1
	v_addc_co_u32_e32 v21, vcc, 0, v10, vcc
	s_movk_i32 s6, 0x1000
	v_add_co_u32_e32 v10, vcc, s6, v16
	global_load_dword v22, v1, s[2:3]
	global_load_dword v23, v1, s[2:3] offset:1024
	global_load_dword v24, v1, s[2:3] offset:2048
	;; [unrolled: 1-line block ×5, first 2 shown]
	global_load_dword v29, v1, s[4:5]
	global_load_dword v30, v1, s[2:3] offset:3072
	v_addc_co_u32_e32 v11, vcc, 0, v17, vcc
	s_movk_i32 s7, 0x2000
	v_add_co_u32_e32 v16, vcc, s7, v16
	v_addc_co_u32_e32 v17, vcc, 0, v17, vcc
	global_load_dword v31, v[16:17], off offset:-4096
	v_add_co_u32_e32 v18, vcc, s6, v20
	v_addc_co_u32_e32 v19, vcc, 0, v21, vcc
	v_add_co_u32_e32 v20, vcc, s7, v20
	v_addc_co_u32_e32 v21, vcc, 0, v21, vcc
	global_load_dword v32, v[20:21], off offset:-4096
	global_load_dword v33, v[10:11], off offset:1024
	global_load_dword v34, v[18:19], off offset:1024
	global_load_dword v35, v[18:19], off offset:2048
	global_load_dword v36, v[10:11], off offset:2048
	global_load_dword v37, v[10:11], off offset:3072
	global_load_dword v38, v[18:19], off offset:3072
	global_load_dword v39, v[20:21], off
	global_load_dword v40, v[16:17], off
	global_load_dword v41, v[16:17], off offset:1024
	global_load_dword v42, v[20:21], off offset:1024
	s_mov_b64 s[6:7], 0
	s_waitcnt vmcnt(13)
	v_cmp_le_i32_e32 vcc, v22, v29
	v_cndmask_b32_e64 v10, 0, 1, vcc
	v_cmp_le_i32_e32 vcc, v23, v25
	v_cndmask_b32_e64 v11, 0, 1, vcc
	;; [unrolled: 2-line block ×3, first 2 shown]
	s_waitcnt vmcnt(12)
	v_cmp_le_i32_e32 vcc, v30, v28
	v_cndmask_b32_e64 v17, 0, 1, vcc
	ds_write_b8 v0, v10
	ds_write_b8 v0, v11 offset:256
	ds_write_b8 v0, v16 offset:512
	;; [unrolled: 1-line block ×3, first 2 shown]
	s_waitcnt vmcnt(10)
	v_cmp_le_i32_e32 vcc, v31, v32
	v_cndmask_b32_e64 v10, 0, 1, vcc
	s_waitcnt vmcnt(8)
	v_cmp_le_i32_e32 vcc, v33, v34
	v_cndmask_b32_e64 v11, 0, 1, vcc
	;; [unrolled: 3-line block ×6, first 2 shown]
	ds_write_b8 v0, v10 offset:1024
	ds_write_b8 v0, v11 offset:1280
	;; [unrolled: 1-line block ×6, first 2 shown]
	s_waitcnt lgkmcnt(0)
	s_barrier
.LBB3604_30:
	s_andn2_b64 vcc, exec, s[6:7]
	s_cbranch_vccnz .LBB3604_52
; %bb.31:
	v_cmp_gt_u32_e32 vcc, s33, v0
	v_mov_b32_e32 v10, 0
	v_mov_b32_e32 v11, 0
	s_and_saveexec_b64 s[6:7], vcc
	s_cbranch_execz .LBB3604_33
; %bb.32:
	global_load_dword v11, v1, s[2:3]
	global_load_dword v16, v1, s[4:5]
	s_waitcnt vmcnt(0)
	v_cmp_le_i32_e32 vcc, v11, v16
	v_cndmask_b32_e64 v11, 0, 1, vcc
.LBB3604_33:
	s_or_b64 exec, exec, s[6:7]
	v_or_b32_e32 v16, 0x100, v0
	v_cmp_gt_u32_e32 vcc, s33, v16
	s_and_saveexec_b64 s[6:7], vcc
	s_cbranch_execz .LBB3604_35
; %bb.34:
	global_load_dword v10, v1, s[2:3] offset:1024
	global_load_dword v16, v1, s[4:5] offset:1024
	s_waitcnt vmcnt(0)
	v_cmp_le_i32_e32 vcc, v10, v16
	v_cndmask_b32_e64 v10, 0, 1, vcc
.LBB3604_35:
	s_or_b64 exec, exec, s[6:7]
	v_or_b32_e32 v16, 0x200, v0
	v_cmp_gt_u32_e32 vcc, s33, v16
	v_mov_b32_e32 v16, 0
	v_mov_b32_e32 v17, 0
	s_and_saveexec_b64 s[6:7], vcc
	s_cbranch_execz .LBB3604_37
; %bb.36:
	global_load_dword v17, v1, s[2:3] offset:2048
	global_load_dword v18, v1, s[4:5] offset:2048
	s_waitcnt vmcnt(0)
	v_cmp_le_i32_e32 vcc, v17, v18
	v_cndmask_b32_e64 v17, 0, 1, vcc
.LBB3604_37:
	s_or_b64 exec, exec, s[6:7]
	v_or_b32_e32 v18, 0x300, v0
	v_cmp_gt_u32_e32 vcc, s33, v18
	s_and_saveexec_b64 s[6:7], vcc
	s_cbranch_execz .LBB3604_39
; %bb.38:
	global_load_dword v16, v1, s[2:3] offset:3072
	global_load_dword v18, v1, s[4:5] offset:3072
	s_waitcnt vmcnt(0)
	v_cmp_le_i32_e32 vcc, v16, v18
	v_cndmask_b32_e64 v16, 0, 1, vcc
.LBB3604_39:
	s_or_b64 exec, exec, s[6:7]
	v_or_b32_e32 v20, 0x400, v0
	v_cmp_gt_u32_e32 vcc, s33, v20
	v_mov_b32_e32 v18, 0
	v_mov_b32_e32 v19, 0
	s_and_saveexec_b64 s[6:7], vcc
	s_cbranch_execz .LBB3604_41
; %bb.40:
	v_lshlrev_b32_e32 v19, 2, v20
	global_load_dword v20, v19, s[2:3]
	global_load_dword v21, v19, s[4:5]
	s_waitcnt vmcnt(0)
	v_cmp_le_i32_e32 vcc, v20, v21
	v_cndmask_b32_e64 v19, 0, 1, vcc
.LBB3604_41:
	s_or_b64 exec, exec, s[6:7]
	v_or_b32_e32 v20, 0x500, v0
	v_cmp_gt_u32_e32 vcc, s33, v20
	s_and_saveexec_b64 s[6:7], vcc
	s_cbranch_execz .LBB3604_43
; %bb.42:
	v_lshlrev_b32_e32 v18, 2, v20
	global_load_dword v20, v18, s[2:3]
	global_load_dword v21, v18, s[4:5]
	s_waitcnt vmcnt(0)
	v_cmp_le_i32_e32 vcc, v20, v21
	v_cndmask_b32_e64 v18, 0, 1, vcc
.LBB3604_43:
	s_or_b64 exec, exec, s[6:7]
	v_or_b32_e32 v22, 0x600, v0
	v_cmp_gt_u32_e32 vcc, s33, v22
	v_mov_b32_e32 v20, 0
	v_mov_b32_e32 v21, 0
	s_and_saveexec_b64 s[6:7], vcc
	s_cbranch_execz .LBB3604_45
; %bb.44:
	v_lshlrev_b32_e32 v21, 2, v22
	global_load_dword v22, v21, s[2:3]
	global_load_dword v23, v21, s[4:5]
	s_waitcnt vmcnt(0)
	v_cmp_le_i32_e32 vcc, v22, v23
	v_cndmask_b32_e64 v21, 0, 1, vcc
.LBB3604_45:
	s_or_b64 exec, exec, s[6:7]
	v_or_b32_e32 v22, 0x700, v0
	v_cmp_gt_u32_e32 vcc, s33, v22
	s_and_saveexec_b64 s[6:7], vcc
	s_cbranch_execz .LBB3604_47
; %bb.46:
	v_lshlrev_b32_e32 v20, 2, v22
	global_load_dword v22, v20, s[2:3]
	global_load_dword v23, v20, s[4:5]
	s_waitcnt vmcnt(0)
	v_cmp_le_i32_e32 vcc, v22, v23
	v_cndmask_b32_e64 v20, 0, 1, vcc
.LBB3604_47:
	;; [unrolled: 28-line block ×3, first 2 shown]
	s_or_b64 exec, exec, s[6:7]
	ds_write_b8 v0, v11
	ds_write_b8 v0, v10 offset:256
	ds_write_b8 v0, v17 offset:512
	;; [unrolled: 1-line block ×9, first 2 shown]
	s_waitcnt lgkmcnt(0)
	s_barrier
.LBB3604_52:
	ds_read_b64 v[16:17], v26
	ds_read_u16 v28, v26 offset:8
	s_cmp_lg_u32 s42, 0
	v_lshrrev_b32_e32 v37, 6, v0
	s_waitcnt lgkmcnt(0)
	v_lshrrev_b32_e32 v30, 24, v16
	v_bfe_u32 v35, v16, 16, 8
	v_add_u32_sdwa v10, v16, v16 dst_sel:DWORD dst_unused:UNUSED_PAD src0_sel:BYTE_1 src1_sel:BYTE_0
	v_and_b32_e32 v32, 0xff, v17
	v_bfe_u32 v33, v17, 8, 8
	v_add3_u32 v10, v10, v35, v30
	v_lshrrev_b32_e32 v29, 24, v17
	v_bfe_u32 v34, v17, 16, 8
	v_add3_u32 v10, v10, v32, v33
	v_lshrrev_b16_e32 v27, 8, v28
	v_and_b32_e32 v31, 0xff, v28
	v_add3_u32 v10, v10, v34, v29
	v_add3_u32 v38, v10, v31, v27
	v_mbcnt_lo_u32_b32 v10, -1, 0
	v_mbcnt_hi_u32_b32 v36, -1, v10
	v_and_b32_e32 v10, 15, v36
	v_cmp_eq_u32_e64 s[14:15], 0, v10
	v_cmp_lt_u32_e64 s[12:13], 1, v10
	v_cmp_lt_u32_e64 s[10:11], 3, v10
	;; [unrolled: 1-line block ×3, first 2 shown]
	v_and_b32_e32 v10, 16, v36
	v_cmp_eq_u32_e64 s[6:7], 0, v10
	v_or_b32_e32 v10, 63, v0
	v_cmp_lt_u32_e64 s[2:3], 31, v36
	v_cmp_eq_u32_e64 s[4:5], v10, v0
	s_barrier
	s_cbranch_scc0 .LBB3604_83
; %bb.53:
	v_mov_b32_dpp v10, v38 row_shr:1 row_mask:0xf bank_mask:0xf
	v_cndmask_b32_e64 v10, v10, 0, s[14:15]
	v_add_u32_e32 v10, v10, v38
	s_nop 1
	v_mov_b32_dpp v11, v10 row_shr:2 row_mask:0xf bank_mask:0xf
	v_cndmask_b32_e64 v11, 0, v11, s[12:13]
	v_add_u32_e32 v10, v10, v11
	s_nop 1
	;; [unrolled: 4-line block ×4, first 2 shown]
	v_mov_b32_dpp v11, v10 row_bcast:15 row_mask:0xf bank_mask:0xf
	v_cndmask_b32_e64 v11, v11, 0, s[6:7]
	v_add_u32_e32 v10, v10, v11
	s_nop 1
	v_mov_b32_dpp v11, v10 row_bcast:31 row_mask:0xf bank_mask:0xf
	v_cndmask_b32_e64 v11, 0, v11, s[2:3]
	v_add_u32_e32 v10, v10, v11
	s_and_saveexec_b64 s[16:17], s[4:5]
	s_cbranch_execz .LBB3604_55
; %bb.54:
	v_lshlrev_b32_e32 v11, 2, v37
	ds_write_b32 v11, v10
.LBB3604_55:
	s_or_b64 exec, exec, s[16:17]
	v_cmp_gt_u32_e32 vcc, 4, v0
	s_waitcnt lgkmcnt(0)
	s_barrier
	s_and_saveexec_b64 s[16:17], vcc
	s_cbranch_execz .LBB3604_57
; %bb.56:
	ds_read_b32 v11, v1
	v_and_b32_e32 v18, 3, v36
	v_cmp_ne_u32_e32 vcc, 0, v18
	s_waitcnt lgkmcnt(0)
	v_mov_b32_dpp v19, v11 row_shr:1 row_mask:0xf bank_mask:0xf
	v_cndmask_b32_e32 v19, 0, v19, vcc
	v_add_u32_e32 v11, v19, v11
	v_cmp_lt_u32_e32 vcc, 1, v18
	s_nop 0
	v_mov_b32_dpp v19, v11 row_shr:2 row_mask:0xf bank_mask:0xf
	v_cndmask_b32_e32 v18, 0, v19, vcc
	v_add_u32_e32 v11, v11, v18
	ds_write_b32 v1, v11
.LBB3604_57:
	s_or_b64 exec, exec, s[16:17]
	v_cmp_gt_u32_e32 vcc, 64, v0
	v_cmp_lt_u32_e64 s[16:17], 63, v0
	s_waitcnt lgkmcnt(0)
	s_barrier
	s_waitcnt lgkmcnt(0)
                                        ; implicit-def: $vgpr39
	s_and_saveexec_b64 s[36:37], s[16:17]
	s_cbranch_execz .LBB3604_59
; %bb.58:
	v_lshl_add_u32 v11, v37, 2, -4
	ds_read_b32 v39, v11
	s_waitcnt lgkmcnt(0)
	v_add_u32_e32 v10, v39, v10
.LBB3604_59:
	s_or_b64 exec, exec, s[36:37]
	v_add_u32_e32 v11, -1, v36
	v_and_b32_e32 v18, 64, v36
	v_cmp_lt_i32_e64 s[16:17], v11, v18
	v_cndmask_b32_e64 v11, v11, v36, s[16:17]
	v_lshlrev_b32_e32 v11, 2, v11
	ds_bpermute_b32 v40, v11, v10
	v_cmp_eq_u32_e64 s[16:17], 0, v36
	s_and_saveexec_b64 s[36:37], vcc
	s_cbranch_execz .LBB3604_82
; %bb.60:
	v_mov_b32_e32 v25, 0
	ds_read_b32 v10, v25 offset:12
	s_and_saveexec_b64 s[38:39], s[16:17]
	s_cbranch_execz .LBB3604_62
; %bb.61:
	s_add_i32 s40, s42, 64
	s_mov_b32 s41, 0
	s_lshl_b64 s[40:41], s[40:41], 3
	s_add_u32 s40, s34, s40
	v_mov_b32_e32 v11, 1
	s_addc_u32 s41, s35, s41
	s_waitcnt lgkmcnt(0)
	global_store_dwordx2 v25, v[10:11], s[40:41]
.LBB3604_62:
	s_or_b64 exec, exec, s[38:39]
	v_xad_u32 v18, v36, -1, s42
	v_add_u32_e32 v24, 64, v18
	v_lshlrev_b64 v[20:21], 3, v[24:25]
	v_mov_b32_e32 v11, s35
	v_add_co_u32_e32 v20, vcc, s34, v20
	v_addc_co_u32_e32 v21, vcc, v11, v21, vcc
	global_load_dwordx2 v[22:23], v[20:21], off glc
	s_waitcnt vmcnt(0)
	v_cmp_eq_u16_sdwa s[40:41], v23, v25 src0_sel:BYTE_0 src1_sel:DWORD
	s_and_saveexec_b64 s[38:39], s[40:41]
	s_cbranch_execz .LBB3604_68
; %bb.63:
	s_mov_b32 s29, 1
	s_mov_b64 s[40:41], 0
	v_mov_b32_e32 v11, 0
.LBB3604_64:                            ; =>This Loop Header: Depth=1
                                        ;     Child Loop BB3604_65 Depth 2
	s_max_u32 s43, s29, 1
.LBB3604_65:                            ;   Parent Loop BB3604_64 Depth=1
                                        ; =>  This Inner Loop Header: Depth=2
	s_add_i32 s43, s43, -1
	s_cmp_eq_u32 s43, 0
	s_sleep 1
	s_cbranch_scc0 .LBB3604_65
; %bb.66:                               ;   in Loop: Header=BB3604_64 Depth=1
	global_load_dwordx2 v[22:23], v[20:21], off glc
	s_cmp_lt_u32 s29, 32
	s_cselect_b64 s[44:45], -1, 0
	s_cmp_lg_u64 s[44:45], 0
	s_addc_u32 s29, s29, 0
	s_waitcnt vmcnt(0)
	v_cmp_ne_u16_sdwa s[44:45], v23, v11 src0_sel:BYTE_0 src1_sel:DWORD
	s_or_b64 s[40:41], s[44:45], s[40:41]
	s_andn2_b64 exec, exec, s[40:41]
	s_cbranch_execnz .LBB3604_64
; %bb.67:
	s_or_b64 exec, exec, s[40:41]
.LBB3604_68:
	s_or_b64 exec, exec, s[38:39]
	v_and_b32_e32 v42, 63, v36
	v_mov_b32_e32 v41, 2
	v_cmp_ne_u32_e32 vcc, 63, v42
	v_cmp_eq_u16_sdwa s[38:39], v23, v41 src0_sel:BYTE_0 src1_sel:DWORD
	v_lshlrev_b64 v[20:21], v36, -1
	v_addc_co_u32_e32 v24, vcc, 0, v36, vcc
	v_and_b32_e32 v11, s39, v21
	v_lshlrev_b32_e32 v43, 2, v24
	v_or_b32_e32 v11, 0x80000000, v11
	ds_bpermute_b32 v24, v43, v22
	v_and_b32_e32 v19, s38, v20
	v_ffbl_b32_e32 v11, v11
	v_add_u32_e32 v11, 32, v11
	v_ffbl_b32_e32 v19, v19
	v_min_u32_e32 v11, v19, v11
	v_cmp_lt_u32_e32 vcc, v42, v11
	s_waitcnt lgkmcnt(0)
	v_cndmask_b32_e32 v19, 0, v24, vcc
	v_cmp_gt_u32_e32 vcc, 62, v42
	v_add_u32_e32 v19, v19, v22
	v_cndmask_b32_e64 v22, 0, 1, vcc
	v_lshlrev_b32_e32 v22, 1, v22
	v_add_lshl_u32 v44, v22, v36, 2
	ds_bpermute_b32 v22, v44, v19
	v_add_u32_e32 v45, 2, v42
	v_cmp_le_u32_e32 vcc, v45, v11
	v_add_u32_e32 v47, 4, v42
	v_add_u32_e32 v49, 8, v42
	s_waitcnt lgkmcnt(0)
	v_cndmask_b32_e32 v22, 0, v22, vcc
	v_cmp_gt_u32_e32 vcc, 60, v42
	v_add_u32_e32 v19, v19, v22
	v_cndmask_b32_e64 v22, 0, 1, vcc
	v_lshlrev_b32_e32 v22, 2, v22
	v_add_lshl_u32 v46, v22, v36, 2
	ds_bpermute_b32 v22, v46, v19
	v_cmp_le_u32_e32 vcc, v47, v11
	v_add_u32_e32 v51, 16, v42
	v_add_u32_e32 v53, 32, v42
	s_waitcnt lgkmcnt(0)
	v_cndmask_b32_e32 v22, 0, v22, vcc
	v_cmp_gt_u32_e32 vcc, 56, v42
	v_add_u32_e32 v19, v19, v22
	v_cndmask_b32_e64 v22, 0, 1, vcc
	v_lshlrev_b32_e32 v22, 3, v22
	v_add_lshl_u32 v48, v22, v36, 2
	ds_bpermute_b32 v22, v48, v19
	v_cmp_le_u32_e32 vcc, v49, v11
	s_waitcnt lgkmcnt(0)
	v_cndmask_b32_e32 v22, 0, v22, vcc
	v_cmp_gt_u32_e32 vcc, 48, v42
	v_add_u32_e32 v19, v19, v22
	v_cndmask_b32_e64 v22, 0, 1, vcc
	v_lshlrev_b32_e32 v22, 4, v22
	v_add_lshl_u32 v50, v22, v36, 2
	ds_bpermute_b32 v22, v50, v19
	v_cmp_le_u32_e32 vcc, v51, v11
	;; [unrolled: 9-line block ×3, first 2 shown]
	s_waitcnt lgkmcnt(0)
	v_cndmask_b32_e32 v11, 0, v22, vcc
	v_add_u32_e32 v22, v19, v11
	v_mov_b32_e32 v19, 0
	s_branch .LBB3604_70
.LBB3604_69:                            ;   in Loop: Header=BB3604_70 Depth=1
	s_or_b64 exec, exec, s[38:39]
	v_cmp_eq_u16_sdwa s[38:39], v23, v41 src0_sel:BYTE_0 src1_sel:DWORD
	v_and_b32_e32 v24, s39, v21
	v_or_b32_e32 v24, 0x80000000, v24
	ds_bpermute_b32 v54, v43, v22
	v_and_b32_e32 v25, s38, v20
	v_ffbl_b32_e32 v24, v24
	v_add_u32_e32 v24, 32, v24
	v_ffbl_b32_e32 v25, v25
	v_min_u32_e32 v24, v25, v24
	v_cmp_lt_u32_e32 vcc, v42, v24
	s_waitcnt lgkmcnt(0)
	v_cndmask_b32_e32 v25, 0, v54, vcc
	v_add_u32_e32 v22, v25, v22
	ds_bpermute_b32 v25, v44, v22
	v_cmp_le_u32_e32 vcc, v45, v24
	v_subrev_u32_e32 v18, 64, v18
	s_waitcnt lgkmcnt(0)
	v_cndmask_b32_e32 v25, 0, v25, vcc
	v_add_u32_e32 v22, v22, v25
	ds_bpermute_b32 v25, v46, v22
	v_cmp_le_u32_e32 vcc, v47, v24
	s_waitcnt lgkmcnt(0)
	v_cndmask_b32_e32 v25, 0, v25, vcc
	v_add_u32_e32 v22, v22, v25
	ds_bpermute_b32 v25, v48, v22
	v_cmp_le_u32_e32 vcc, v49, v24
	;; [unrolled: 5-line block ×4, first 2 shown]
	s_waitcnt lgkmcnt(0)
	v_cndmask_b32_e32 v24, 0, v25, vcc
	v_add3_u32 v22, v24, v11, v22
.LBB3604_70:                            ; =>This Loop Header: Depth=1
                                        ;     Child Loop BB3604_73 Depth 2
                                        ;       Child Loop BB3604_74 Depth 3
	v_cmp_ne_u16_sdwa s[38:39], v23, v41 src0_sel:BYTE_0 src1_sel:DWORD
	v_cndmask_b32_e64 v11, 0, 1, s[38:39]
	;;#ASMSTART
	;;#ASMEND
	v_cmp_ne_u32_e32 vcc, 0, v11
	s_cmp_lg_u64 vcc, exec
	v_mov_b32_e32 v11, v22
	s_cbranch_scc1 .LBB3604_77
; %bb.71:                               ;   in Loop: Header=BB3604_70 Depth=1
	v_lshlrev_b64 v[22:23], 3, v[18:19]
	v_mov_b32_e32 v25, s35
	v_add_co_u32_e32 v24, vcc, s34, v22
	v_addc_co_u32_e32 v25, vcc, v25, v23, vcc
	global_load_dwordx2 v[22:23], v[24:25], off glc
	s_waitcnt vmcnt(0)
	v_cmp_eq_u16_sdwa s[40:41], v23, v19 src0_sel:BYTE_0 src1_sel:DWORD
	s_and_saveexec_b64 s[38:39], s[40:41]
	s_cbranch_execz .LBB3604_69
; %bb.72:                               ;   in Loop: Header=BB3604_70 Depth=1
	s_mov_b32 s29, 1
	s_mov_b64 s[40:41], 0
.LBB3604_73:                            ;   Parent Loop BB3604_70 Depth=1
                                        ; =>  This Loop Header: Depth=2
                                        ;       Child Loop BB3604_74 Depth 3
	s_max_u32 s43, s29, 1
.LBB3604_74:                            ;   Parent Loop BB3604_70 Depth=1
                                        ;     Parent Loop BB3604_73 Depth=2
                                        ; =>    This Inner Loop Header: Depth=3
	s_add_i32 s43, s43, -1
	s_cmp_eq_u32 s43, 0
	s_sleep 1
	s_cbranch_scc0 .LBB3604_74
; %bb.75:                               ;   in Loop: Header=BB3604_73 Depth=2
	global_load_dwordx2 v[22:23], v[24:25], off glc
	s_cmp_lt_u32 s29, 32
	s_cselect_b64 s[44:45], -1, 0
	s_cmp_lg_u64 s[44:45], 0
	s_addc_u32 s29, s29, 0
	s_waitcnt vmcnt(0)
	v_cmp_ne_u16_sdwa s[44:45], v23, v19 src0_sel:BYTE_0 src1_sel:DWORD
	s_or_b64 s[40:41], s[44:45], s[40:41]
	s_andn2_b64 exec, exec, s[40:41]
	s_cbranch_execnz .LBB3604_73
; %bb.76:                               ;   in Loop: Header=BB3604_70 Depth=1
	s_or_b64 exec, exec, s[40:41]
	s_branch .LBB3604_69
.LBB3604_77:                            ;   in Loop: Header=BB3604_70 Depth=1
                                        ; implicit-def: $vgpr22
                                        ; implicit-def: $vgpr23
	s_cbranch_execz .LBB3604_70
; %bb.78:
	s_and_saveexec_b64 s[38:39], s[16:17]
	s_cbranch_execz .LBB3604_80
; %bb.79:
	s_add_i32 s40, s42, 64
	s_mov_b32 s41, 0
	s_lshl_b64 s[40:41], s[40:41], 3
	s_add_u32 s40, s34, s40
	v_add_u32_e32 v18, v11, v10
	v_mov_b32_e32 v19, 2
	s_addc_u32 s41, s35, s41
	v_mov_b32_e32 v20, 0
	global_store_dwordx2 v20, v[18:19], s[40:41]
	ds_write_b64 v20, v[10:11] offset:10240
.LBB3604_80:
	s_or_b64 exec, exec, s[38:39]
	s_and_b64 exec, exec, s[0:1]
	s_cbranch_execz .LBB3604_82
; %bb.81:
	v_mov_b32_e32 v10, 0
	ds_write_b32 v10, v11 offset:12
.LBB3604_82:
	s_or_b64 exec, exec, s[36:37]
	v_mov_b32_e32 v10, 0
	s_waitcnt lgkmcnt(0)
	s_barrier
	ds_read_b32 v11, v10 offset:12
	v_cndmask_b32_e64 v18, v40, v39, s[16:17]
	v_cndmask_b32_e64 v18, v18, 0, s[0:1]
	s_waitcnt lgkmcnt(0)
	s_barrier
	v_add_u32_e32 v40, v11, v18
	v_add_u32_sdwa v39, v40, v16 dst_sel:DWORD dst_unused:UNUSED_PAD src0_sel:DWORD src1_sel:BYTE_0
	v_add_u32_sdwa v25, v39, v16 dst_sel:DWORD dst_unused:UNUSED_PAD src0_sel:DWORD src1_sel:BYTE_1
	v_add_u32_e32 v24, v25, v35
	v_add_u32_e32 v23, v24, v30
	v_add_u32_e32 v22, v23, v32
	ds_read_b64 v[10:11], v10 offset:10240
	v_add_u32_e32 v21, v22, v33
	v_add_u32_e32 v20, v21, v34
	;; [unrolled: 1-line block ×4, first 2 shown]
	s_branch .LBB3604_93
.LBB3604_83:
                                        ; implicit-def: $vgpr11
                                        ; implicit-def: $vgpr18
                                        ; implicit-def: $vgpr19
                                        ; implicit-def: $vgpr20
                                        ; implicit-def: $vgpr21
                                        ; implicit-def: $vgpr22
                                        ; implicit-def: $vgpr23
                                        ; implicit-def: $vgpr24
                                        ; implicit-def: $vgpr25
                                        ; implicit-def: $vgpr39
                                        ; implicit-def: $vgpr40
	s_cbranch_execz .LBB3604_93
; %bb.84:
	s_waitcnt lgkmcnt(0)
	v_mov_b32_dpp v10, v38 row_shr:1 row_mask:0xf bank_mask:0xf
	v_cndmask_b32_e64 v10, v10, 0, s[14:15]
	v_add_u32_e32 v10, v10, v38
	s_nop 1
	v_mov_b32_dpp v11, v10 row_shr:2 row_mask:0xf bank_mask:0xf
	v_cndmask_b32_e64 v11, 0, v11, s[12:13]
	v_add_u32_e32 v10, v10, v11
	s_nop 1
	;; [unrolled: 4-line block ×4, first 2 shown]
	v_mov_b32_dpp v11, v10 row_bcast:15 row_mask:0xf bank_mask:0xf
	v_cndmask_b32_e64 v11, v11, 0, s[6:7]
	v_add_u32_e32 v10, v10, v11
	s_nop 1
	v_mov_b32_dpp v11, v10 row_bcast:31 row_mask:0xf bank_mask:0xf
	v_cndmask_b32_e64 v11, 0, v11, s[2:3]
	v_add_u32_e32 v10, v10, v11
	s_and_saveexec_b64 s[2:3], s[4:5]
	s_cbranch_execz .LBB3604_86
; %bb.85:
	v_lshlrev_b32_e32 v11, 2, v37
	ds_write_b32 v11, v10
.LBB3604_86:
	s_or_b64 exec, exec, s[2:3]
	v_cmp_gt_u32_e32 vcc, 4, v0
	s_waitcnt lgkmcnt(0)
	s_barrier
	s_and_saveexec_b64 s[2:3], vcc
	s_cbranch_execz .LBB3604_88
; %bb.87:
	v_mad_i32_i24 v11, v0, -6, v26
	ds_read_b32 v18, v11
	v_and_b32_e32 v19, 3, v36
	v_cmp_ne_u32_e32 vcc, 0, v19
	s_waitcnt lgkmcnt(0)
	v_mov_b32_dpp v20, v18 row_shr:1 row_mask:0xf bank_mask:0xf
	v_cndmask_b32_e32 v20, 0, v20, vcc
	v_add_u32_e32 v18, v20, v18
	v_cmp_lt_u32_e32 vcc, 1, v19
	s_nop 0
	v_mov_b32_dpp v20, v18 row_shr:2 row_mask:0xf bank_mask:0xf
	v_cndmask_b32_e32 v19, 0, v20, vcc
	v_add_u32_e32 v18, v18, v19
	ds_write_b32 v11, v18
.LBB3604_88:
	s_or_b64 exec, exec, s[2:3]
	v_cmp_lt_u32_e32 vcc, 63, v0
	v_mov_b32_e32 v11, 0
	v_mov_b32_e32 v18, 0
	s_waitcnt lgkmcnt(0)
	s_barrier
	s_and_saveexec_b64 s[2:3], vcc
	s_cbranch_execz .LBB3604_90
; %bb.89:
	v_lshl_add_u32 v18, v37, 2, -4
	ds_read_b32 v18, v18
.LBB3604_90:
	s_or_b64 exec, exec, s[2:3]
	v_add_u32_e32 v19, -1, v36
	v_and_b32_e32 v20, 64, v36
	v_cmp_lt_i32_e32 vcc, v19, v20
	v_cndmask_b32_e32 v19, v19, v36, vcc
	s_waitcnt lgkmcnt(0)
	v_add_u32_e32 v10, v18, v10
	v_lshlrev_b32_e32 v19, 2, v19
	ds_bpermute_b32 v19, v19, v10
	ds_read_b32 v10, v11 offset:12
	s_and_saveexec_b64 s[2:3], s[0:1]
	s_cbranch_execz .LBB3604_92
; %bb.91:
	v_mov_b32_e32 v20, 0
	v_mov_b32_e32 v11, 2
	s_waitcnt lgkmcnt(0)
	global_store_dwordx2 v20, v[10:11], s[34:35] offset:512
.LBB3604_92:
	s_or_b64 exec, exec, s[2:3]
	v_cmp_eq_u32_e32 vcc, 0, v36
	s_waitcnt lgkmcnt(1)
	v_cndmask_b32_e32 v18, v19, v18, vcc
	v_cndmask_b32_e64 v40, v18, 0, s[0:1]
	v_add_u32_sdwa v39, v40, v16 dst_sel:DWORD dst_unused:UNUSED_PAD src0_sel:DWORD src1_sel:BYTE_0
	v_add_u32_sdwa v25, v39, v16 dst_sel:DWORD dst_unused:UNUSED_PAD src0_sel:DWORD src1_sel:BYTE_1
	v_add_u32_e32 v24, v25, v35
	v_add_u32_e32 v23, v24, v30
	;; [unrolled: 1-line block ×6, first 2 shown]
	v_mov_b32_e32 v11, 0
	v_add_u32_e32 v18, v19, v31
	s_waitcnt lgkmcnt(0)
	s_barrier
.LBB3604_93:
	s_waitcnt lgkmcnt(0)
	v_add_u32_e32 v26, v10, v26
	v_sub_u32_e32 v33, v40, v11
	v_and_b32_e32 v35, 1, v16
	v_sub_u32_e32 v34, v26, v33
	v_cmp_eq_u32_e32 vcc, 1, v35
	v_cndmask_b32_e32 v33, v34, v33, vcc
	v_lshlrev_b32_e32 v33, 2, v33
	v_lshrrev_b32_e32 v32, 8, v16
	ds_write_b32 v33, v6
	v_sub_u32_e32 v6, v39, v11
	v_sub_u32_e32 v33, v26, v6
	v_and_b32_e32 v32, 1, v32
	v_add_u32_e32 v33, 1, v33
	v_cmp_eq_u32_e32 vcc, 1, v32
	v_cndmask_b32_e32 v6, v33, v6, vcc
	v_lshlrev_b32_e32 v6, 2, v6
	ds_write_b32 v6, v7
	v_sub_u32_e32 v6, v25, v11
	v_mov_b32_e32 v25, 1
	v_sub_u32_e32 v7, v26, v6
	v_and_b32_sdwa v16, v25, v16 dst_sel:DWORD dst_unused:UNUSED_PAD src0_sel:DWORD src1_sel:WORD_1
	v_add_u32_e32 v7, 2, v7
	v_cmp_eq_u32_e32 vcc, 1, v16
	v_cndmask_b32_e32 v6, v7, v6, vcc
	v_lshlrev_b32_e32 v6, 2, v6
	ds_write_b32 v6, v8
	v_sub_u32_e32 v6, v24, v11
	v_sub_u32_e32 v7, v26, v6
	v_and_b32_e32 v8, 1, v30
	v_add_u32_e32 v7, 3, v7
	v_cmp_eq_u32_e32 vcc, 1, v8
	v_cndmask_b32_e32 v6, v7, v6, vcc
	v_lshlrev_b32_e32 v6, 2, v6
	ds_write_b32 v6, v9
	v_sub_u32_e32 v6, v23, v11
	v_sub_u32_e32 v7, v26, v6
	v_and_b32_e32 v8, 1, v17
	v_add_u32_e32 v7, 4, v7
	v_cmp_eq_u32_e32 vcc, 1, v8
	v_cndmask_b32_e32 v6, v7, v6, vcc
	v_lshlrev_b32_e32 v6, 2, v6
	v_lshrrev_b32_e32 v31, 8, v17
	ds_write_b32 v6, v2
	v_sub_u32_e32 v2, v22, v11
	v_sub_u32_e32 v6, v26, v2
	v_and_b32_e32 v7, 1, v31
	v_add_u32_e32 v6, 5, v6
	v_cmp_eq_u32_e32 vcc, 1, v7
	v_cndmask_b32_e32 v2, v6, v2, vcc
	v_lshlrev_b32_e32 v2, 2, v2
	ds_write_b32 v2, v3
	v_sub_u32_e32 v2, v21, v11
	v_sub_u32_e32 v3, v26, v2
	v_and_b32_sdwa v6, v25, v17 dst_sel:DWORD dst_unused:UNUSED_PAD src0_sel:DWORD src1_sel:WORD_1
	v_add_u32_e32 v3, 6, v3
	v_cmp_eq_u32_e32 vcc, 1, v6
	v_cndmask_b32_e32 v2, v3, v2, vcc
	v_lshlrev_b32_e32 v2, 2, v2
	ds_write_b32 v2, v4
	v_sub_u32_e32 v2, v20, v11
	v_sub_u32_e32 v3, v26, v2
	v_and_b32_e32 v4, 1, v29
	v_add_u32_e32 v3, 7, v3
	v_cmp_eq_u32_e32 vcc, 1, v4
	v_cndmask_b32_e32 v2, v3, v2, vcc
	v_lshlrev_b32_e32 v2, 2, v2
	ds_write_b32 v2, v5
	v_sub_u32_e32 v2, v19, v11
	v_sub_u32_e32 v3, v26, v2
	v_and_b32_e32 v4, 1, v28
	;; [unrolled: 8-line block ×3, first 2 shown]
	v_add_u32_e32 v3, 9, v3
	v_cmp_eq_u32_e32 vcc, 1, v4
	v_cndmask_b32_e32 v2, v3, v2, vcc
	s_add_u32 s2, s18, s28
	v_lshlrev_b32_e32 v2, 2, v2
	s_addc_u32 s3, s19, 0
	ds_write_b32 v2, v15
	s_waitcnt lgkmcnt(0)
	s_barrier
	ds_read2st64_b32 v[14:15], v1 offset1:4
	ds_read2st64_b32 v[8:9], v1 offset0:8 offset1:12
	ds_read2st64_b32 v[6:7], v1 offset0:16 offset1:20
	;; [unrolled: 1-line block ×4, first 2 shown]
	s_waitcnt vmcnt(0)
	v_add_co_u32_e32 v1, vcc, v12, v11
	s_sub_u32 s2, s26, s2
	v_addc_co_u32_e32 v11, vcc, 0, v13, vcc
	s_subb_u32 s3, s27, s3
	v_mov_b32_e32 v12, s3
	v_add_co_u32_e32 v13, vcc, s2, v10
	v_addc_co_u32_e32 v12, vcc, 0, v12, vcc
	v_add_co_u32_e64 v17, s[2:3], v13, v1
	v_or_b32_e32 v26, 0x100, v0
	v_or_b32_e32 v25, 0x200, v0
	;; [unrolled: 1-line block ×9, first 2 shown]
	s_andn2_b64 vcc, exec, s[30:31]
	v_addc_co_u32_e64 v18, s[2:3], v12, v11, s[2:3]
	s_cbranch_vccnz .LBB3604_138
; %bb.94:
	v_cmp_ge_u32_e32 vcc, v0, v10
                                        ; implicit-def: $vgpr12_vgpr13
	s_and_saveexec_b64 s[2:3], vcc
	s_xor_b64 s[2:3], exec, s[2:3]
; %bb.95:
	v_not_b32_e32 v12, v0
	v_ashrrev_i32_e32 v13, 31, v12
	v_add_co_u32_e32 v12, vcc, v17, v12
	v_addc_co_u32_e32 v13, vcc, v18, v13, vcc
; %bb.96:
	s_andn2_saveexec_b64 s[2:3], s[2:3]
; %bb.97:
	v_add_co_u32_e32 v12, vcc, v1, v0
	v_addc_co_u32_e32 v13, vcc, 0, v11, vcc
; %bb.98:
	s_or_b64 exec, exec, s[2:3]
	v_lshlrev_b64 v[12:13], 2, v[12:13]
	v_mov_b32_e32 v27, s25
	v_add_co_u32_e32 v12, vcc, s24, v12
	v_addc_co_u32_e32 v13, vcc, v27, v13, vcc
	v_cmp_ge_u32_e32 vcc, v26, v10
	s_waitcnt lgkmcnt(4)
	global_store_dword v[12:13], v14, off
                                        ; implicit-def: $vgpr12_vgpr13
	s_and_saveexec_b64 s[2:3], vcc
	s_xor_b64 s[2:3], exec, s[2:3]
; %bb.99:
	v_xor_b32_e32 v12, 0xfffffeff, v0
	v_ashrrev_i32_e32 v13, 31, v12
	v_add_co_u32_e32 v12, vcc, v17, v12
	v_addc_co_u32_e32 v13, vcc, v18, v13, vcc
; %bb.100:
	s_andn2_saveexec_b64 s[2:3], s[2:3]
; %bb.101:
	v_add_co_u32_e32 v12, vcc, v1, v26
	v_addc_co_u32_e32 v13, vcc, 0, v11, vcc
; %bb.102:
	s_or_b64 exec, exec, s[2:3]
	v_lshlrev_b64 v[12:13], 2, v[12:13]
	v_mov_b32_e32 v27, s25
	v_add_co_u32_e32 v12, vcc, s24, v12
	v_addc_co_u32_e32 v13, vcc, v27, v13, vcc
	v_cmp_ge_u32_e32 vcc, v25, v10
	global_store_dword v[12:13], v15, off
                                        ; implicit-def: $vgpr12_vgpr13
	s_and_saveexec_b64 s[2:3], vcc
	s_xor_b64 s[2:3], exec, s[2:3]
; %bb.103:
	v_xor_b32_e32 v12, 0xfffffdff, v0
	v_ashrrev_i32_e32 v13, 31, v12
	v_add_co_u32_e32 v12, vcc, v17, v12
	v_addc_co_u32_e32 v13, vcc, v18, v13, vcc
; %bb.104:
	s_andn2_saveexec_b64 s[2:3], s[2:3]
; %bb.105:
	v_add_co_u32_e32 v12, vcc, v1, v25
	v_addc_co_u32_e32 v13, vcc, 0, v11, vcc
; %bb.106:
	s_or_b64 exec, exec, s[2:3]
	v_lshlrev_b64 v[12:13], 2, v[12:13]
	v_mov_b32_e32 v27, s25
	v_add_co_u32_e32 v12, vcc, s24, v12
	v_addc_co_u32_e32 v13, vcc, v27, v13, vcc
	v_cmp_ge_u32_e32 vcc, v24, v10
	s_waitcnt lgkmcnt(3)
	global_store_dword v[12:13], v8, off
                                        ; implicit-def: $vgpr12_vgpr13
	s_and_saveexec_b64 s[2:3], vcc
	s_xor_b64 s[2:3], exec, s[2:3]
; %bb.107:
	v_xor_b32_e32 v12, 0xfffffcff, v0
	v_ashrrev_i32_e32 v13, 31, v12
	v_add_co_u32_e32 v12, vcc, v17, v12
	v_addc_co_u32_e32 v13, vcc, v18, v13, vcc
; %bb.108:
	s_andn2_saveexec_b64 s[2:3], s[2:3]
; %bb.109:
	v_add_co_u32_e32 v12, vcc, v1, v24
	v_addc_co_u32_e32 v13, vcc, 0, v11, vcc
; %bb.110:
	s_or_b64 exec, exec, s[2:3]
	v_lshlrev_b64 v[12:13], 2, v[12:13]
	v_mov_b32_e32 v27, s25
	v_add_co_u32_e32 v12, vcc, s24, v12
	v_addc_co_u32_e32 v13, vcc, v27, v13, vcc
	v_cmp_ge_u32_e32 vcc, v23, v10
	global_store_dword v[12:13], v9, off
                                        ; implicit-def: $vgpr12_vgpr13
	s_and_saveexec_b64 s[2:3], vcc
	s_xor_b64 s[2:3], exec, s[2:3]
; %bb.111:
	v_xor_b32_e32 v12, 0xfffffbff, v0
	v_ashrrev_i32_e32 v13, 31, v12
	v_add_co_u32_e32 v12, vcc, v17, v12
	v_addc_co_u32_e32 v13, vcc, v18, v13, vcc
; %bb.112:
	s_andn2_saveexec_b64 s[2:3], s[2:3]
; %bb.113:
	v_add_co_u32_e32 v12, vcc, v1, v23
	v_addc_co_u32_e32 v13, vcc, 0, v11, vcc
; %bb.114:
	s_or_b64 exec, exec, s[2:3]
	v_lshlrev_b64 v[12:13], 2, v[12:13]
	v_mov_b32_e32 v27, s25
	v_add_co_u32_e32 v12, vcc, s24, v12
	v_addc_co_u32_e32 v13, vcc, v27, v13, vcc
	v_cmp_ge_u32_e32 vcc, v22, v10
	s_waitcnt lgkmcnt(2)
	global_store_dword v[12:13], v6, off
                                        ; implicit-def: $vgpr12_vgpr13
	s_and_saveexec_b64 s[2:3], vcc
	s_xor_b64 s[2:3], exec, s[2:3]
; %bb.115:
	v_xor_b32_e32 v12, 0xfffffaff, v0
	v_ashrrev_i32_e32 v13, 31, v12
	v_add_co_u32_e32 v12, vcc, v17, v12
	v_addc_co_u32_e32 v13, vcc, v18, v13, vcc
; %bb.116:
	s_andn2_saveexec_b64 s[2:3], s[2:3]
; %bb.117:
	v_add_co_u32_e32 v12, vcc, v1, v22
	v_addc_co_u32_e32 v13, vcc, 0, v11, vcc
; %bb.118:
	s_or_b64 exec, exec, s[2:3]
	v_lshlrev_b64 v[12:13], 2, v[12:13]
	v_mov_b32_e32 v27, s25
	v_add_co_u32_e32 v12, vcc, s24, v12
	v_addc_co_u32_e32 v13, vcc, v27, v13, vcc
	v_cmp_ge_u32_e32 vcc, v21, v10
	global_store_dword v[12:13], v7, off
                                        ; implicit-def: $vgpr12_vgpr13
	s_and_saveexec_b64 s[2:3], vcc
	s_xor_b64 s[2:3], exec, s[2:3]
; %bb.119:
	v_xor_b32_e32 v12, 0xfffff9ff, v0
	v_ashrrev_i32_e32 v13, 31, v12
	v_add_co_u32_e32 v12, vcc, v17, v12
	v_addc_co_u32_e32 v13, vcc, v18, v13, vcc
; %bb.120:
	s_andn2_saveexec_b64 s[2:3], s[2:3]
; %bb.121:
	v_add_co_u32_e32 v12, vcc, v1, v21
	v_addc_co_u32_e32 v13, vcc, 0, v11, vcc
; %bb.122:
	s_or_b64 exec, exec, s[2:3]
	v_lshlrev_b64 v[12:13], 2, v[12:13]
	v_mov_b32_e32 v27, s25
	v_add_co_u32_e32 v12, vcc, s24, v12
	v_addc_co_u32_e32 v13, vcc, v27, v13, vcc
	v_cmp_ge_u32_e32 vcc, v20, v10
	s_waitcnt lgkmcnt(1)
	global_store_dword v[12:13], v4, off
                                        ; implicit-def: $vgpr12_vgpr13
	s_and_saveexec_b64 s[2:3], vcc
	s_xor_b64 s[2:3], exec, s[2:3]
; %bb.123:
	v_xor_b32_e32 v12, 0xfffff8ff, v0
	v_ashrrev_i32_e32 v13, 31, v12
	v_add_co_u32_e32 v12, vcc, v17, v12
	v_addc_co_u32_e32 v13, vcc, v18, v13, vcc
; %bb.124:
	s_andn2_saveexec_b64 s[2:3], s[2:3]
; %bb.125:
	v_add_co_u32_e32 v12, vcc, v1, v20
	v_addc_co_u32_e32 v13, vcc, 0, v11, vcc
; %bb.126:
	s_or_b64 exec, exec, s[2:3]
	v_lshlrev_b64 v[12:13], 2, v[12:13]
	v_mov_b32_e32 v27, s25
	v_add_co_u32_e32 v12, vcc, s24, v12
	v_addc_co_u32_e32 v13, vcc, v27, v13, vcc
	v_cmp_ge_u32_e32 vcc, v19, v10
	global_store_dword v[12:13], v5, off
                                        ; implicit-def: $vgpr12_vgpr13
	s_and_saveexec_b64 s[2:3], vcc
	s_xor_b64 s[2:3], exec, s[2:3]
; %bb.127:
	v_xor_b32_e32 v12, 0xfffff7ff, v0
	v_ashrrev_i32_e32 v13, 31, v12
	v_add_co_u32_e32 v12, vcc, v17, v12
	v_addc_co_u32_e32 v13, vcc, v18, v13, vcc
; %bb.128:
	s_andn2_saveexec_b64 s[2:3], s[2:3]
; %bb.129:
	v_add_co_u32_e32 v12, vcc, v1, v19
	v_addc_co_u32_e32 v13, vcc, 0, v11, vcc
; %bb.130:
	s_or_b64 exec, exec, s[2:3]
	v_lshlrev_b64 v[12:13], 2, v[12:13]
	v_mov_b32_e32 v27, s25
	v_add_co_u32_e32 v12, vcc, s24, v12
	v_addc_co_u32_e32 v13, vcc, v27, v13, vcc
	v_cmp_ge_u32_e32 vcc, v16, v10
	s_waitcnt lgkmcnt(0)
	global_store_dword v[12:13], v2, off
                                        ; implicit-def: $vgpr12_vgpr13
	s_and_saveexec_b64 s[2:3], vcc
	s_xor_b64 s[2:3], exec, s[2:3]
; %bb.131:
	v_xor_b32_e32 v12, 0xfffff6ff, v0
	v_ashrrev_i32_e32 v13, 31, v12
	v_add_co_u32_e32 v12, vcc, v17, v12
	v_addc_co_u32_e32 v13, vcc, v18, v13, vcc
; %bb.132:
	s_andn2_saveexec_b64 s[2:3], s[2:3]
; %bb.133:
	v_add_co_u32_e32 v12, vcc, v1, v16
	v_addc_co_u32_e32 v13, vcc, 0, v11, vcc
; %bb.134:
	s_or_b64 exec, exec, s[2:3]
	s_mov_b64 s[2:3], -1
.LBB3604_135:
	s_and_saveexec_b64 s[4:5], s[2:3]
	s_cbranch_execz .LBB3604_166
.LBB3604_136:
	s_waitcnt lgkmcnt(1)
	v_lshlrev_b64 v[4:5], 2, v[12:13]
	v_mov_b32_e32 v0, s25
	v_add_co_u32_e32 v4, vcc, s24, v4
	v_addc_co_u32_e32 v5, vcc, v0, v5, vcc
	s_waitcnt lgkmcnt(0)
	global_store_dword v[4:5], v3, off
	s_or_b64 exec, exec, s[4:5]
	s_and_b64 s[0:1], s[0:1], s[22:23]
	s_and_saveexec_b64 s[2:3], s[0:1]
	s_cbranch_execnz .LBB3604_167
.LBB3604_137:
	s_endpgm
.LBB3604_138:
	s_mov_b64 s[2:3], 0
                                        ; implicit-def: $vgpr12_vgpr13
	s_cbranch_execz .LBB3604_135
; %bb.139:
	v_cmp_gt_u32_e32 vcc, s33, v0
	s_and_saveexec_b64 s[4:5], vcc
	s_cbranch_execz .LBB3604_168
; %bb.140:
	v_cmp_ge_u32_e32 vcc, v0, v10
                                        ; implicit-def: $vgpr12_vgpr13
	s_and_saveexec_b64 s[6:7], vcc
	s_xor_b64 s[6:7], exec, s[6:7]
; %bb.141:
	v_not_b32_e32 v12, v0
	v_ashrrev_i32_e32 v13, 31, v12
	v_add_co_u32_e32 v12, vcc, v17, v12
	v_addc_co_u32_e32 v13, vcc, v18, v13, vcc
; %bb.142:
	s_andn2_saveexec_b64 s[6:7], s[6:7]
; %bb.143:
	v_add_co_u32_e32 v12, vcc, v1, v0
	v_addc_co_u32_e32 v13, vcc, 0, v11, vcc
; %bb.144:
	s_or_b64 exec, exec, s[6:7]
	v_lshlrev_b64 v[12:13], 2, v[12:13]
	v_mov_b32_e32 v27, s25
	v_add_co_u32_e32 v12, vcc, s24, v12
	v_addc_co_u32_e32 v13, vcc, v27, v13, vcc
	s_waitcnt lgkmcnt(4)
	global_store_dword v[12:13], v14, off
	s_or_b64 exec, exec, s[4:5]
	v_cmp_gt_u32_e32 vcc, s33, v26
	s_and_saveexec_b64 s[4:5], vcc
	s_cbranch_execnz .LBB3604_169
.LBB3604_145:
	s_or_b64 exec, exec, s[4:5]
	v_cmp_gt_u32_e32 vcc, s33, v25
	s_and_saveexec_b64 s[4:5], vcc
	s_cbranch_execz .LBB3604_174
.LBB3604_146:
	v_cmp_ge_u32_e32 vcc, v25, v10
                                        ; implicit-def: $vgpr12_vgpr13
	s_and_saveexec_b64 s[6:7], vcc
	s_xor_b64 s[6:7], exec, s[6:7]
; %bb.147:
	v_xor_b32_e32 v12, 0xfffffdff, v0
	v_ashrrev_i32_e32 v13, 31, v12
	v_add_co_u32_e32 v12, vcc, v17, v12
	v_addc_co_u32_e32 v13, vcc, v18, v13, vcc
                                        ; implicit-def: $vgpr25
; %bb.148:
	s_andn2_saveexec_b64 s[6:7], s[6:7]
; %bb.149:
	v_add_co_u32_e32 v12, vcc, v1, v25
	v_addc_co_u32_e32 v13, vcc, 0, v11, vcc
; %bb.150:
	s_or_b64 exec, exec, s[6:7]
	v_lshlrev_b64 v[12:13], 2, v[12:13]
	s_waitcnt lgkmcnt(4)
	v_mov_b32_e32 v14, s25
	v_add_co_u32_e32 v12, vcc, s24, v12
	v_addc_co_u32_e32 v13, vcc, v14, v13, vcc
	s_waitcnt lgkmcnt(3)
	global_store_dword v[12:13], v8, off
	s_or_b64 exec, exec, s[4:5]
	v_cmp_gt_u32_e32 vcc, s33, v24
	s_and_saveexec_b64 s[4:5], vcc
	s_cbranch_execnz .LBB3604_175
.LBB3604_151:
	s_or_b64 exec, exec, s[4:5]
	v_cmp_gt_u32_e32 vcc, s33, v23
	s_and_saveexec_b64 s[4:5], vcc
	s_cbranch_execz .LBB3604_180
.LBB3604_152:
	v_cmp_ge_u32_e32 vcc, v23, v10
                                        ; implicit-def: $vgpr8_vgpr9
	s_and_saveexec_b64 s[6:7], vcc
	s_xor_b64 s[6:7], exec, s[6:7]
	s_cbranch_execz .LBB3604_154
; %bb.153:
	s_waitcnt lgkmcnt(3)
	v_xor_b32_e32 v8, 0xfffffbff, v0
	v_ashrrev_i32_e32 v9, 31, v8
	v_add_co_u32_e32 v8, vcc, v17, v8
	v_addc_co_u32_e32 v9, vcc, v18, v9, vcc
                                        ; implicit-def: $vgpr23
.LBB3604_154:
	s_andn2_saveexec_b64 s[6:7], s[6:7]
	s_cbranch_execz .LBB3604_156
; %bb.155:
	s_waitcnt lgkmcnt(3)
	v_add_co_u32_e32 v8, vcc, v1, v23
	v_addc_co_u32_e32 v9, vcc, 0, v11, vcc
.LBB3604_156:
	s_or_b64 exec, exec, s[6:7]
	s_waitcnt lgkmcnt(3)
	v_lshlrev_b64 v[8:9], 2, v[8:9]
	v_mov_b32_e32 v12, s25
	v_add_co_u32_e32 v8, vcc, s24, v8
	v_addc_co_u32_e32 v9, vcc, v12, v9, vcc
	s_waitcnt lgkmcnt(2)
	global_store_dword v[8:9], v6, off
	s_or_b64 exec, exec, s[4:5]
	v_cmp_gt_u32_e32 vcc, s33, v22
	s_and_saveexec_b64 s[4:5], vcc
	s_cbranch_execnz .LBB3604_181
.LBB3604_157:
	s_or_b64 exec, exec, s[4:5]
	v_cmp_gt_u32_e32 vcc, s33, v21
	s_and_saveexec_b64 s[4:5], vcc
	s_cbranch_execz .LBB3604_186
.LBB3604_158:
	v_cmp_ge_u32_e32 vcc, v21, v10
                                        ; implicit-def: $vgpr6_vgpr7
	s_and_saveexec_b64 s[6:7], vcc
	s_xor_b64 s[6:7], exec, s[6:7]
	s_cbranch_execz .LBB3604_160
; %bb.159:
	s_waitcnt lgkmcnt(2)
	v_xor_b32_e32 v6, 0xfffff9ff, v0
	v_ashrrev_i32_e32 v7, 31, v6
	v_add_co_u32_e32 v6, vcc, v17, v6
	v_addc_co_u32_e32 v7, vcc, v18, v7, vcc
                                        ; implicit-def: $vgpr21
.LBB3604_160:
	s_andn2_saveexec_b64 s[6:7], s[6:7]
	s_cbranch_execz .LBB3604_162
; %bb.161:
	s_waitcnt lgkmcnt(2)
	v_add_co_u32_e32 v6, vcc, v1, v21
	v_addc_co_u32_e32 v7, vcc, 0, v11, vcc
.LBB3604_162:
	s_or_b64 exec, exec, s[6:7]
	s_waitcnt lgkmcnt(2)
	v_lshlrev_b64 v[6:7], 2, v[6:7]
	v_mov_b32_e32 v8, s25
	v_add_co_u32_e32 v6, vcc, s24, v6
	v_addc_co_u32_e32 v7, vcc, v8, v7, vcc
	s_waitcnt lgkmcnt(1)
	global_store_dword v[6:7], v4, off
	s_or_b64 exec, exec, s[4:5]
	v_cmp_gt_u32_e32 vcc, s33, v20
	s_and_saveexec_b64 s[4:5], vcc
	s_cbranch_execnz .LBB3604_187
.LBB3604_163:
	s_or_b64 exec, exec, s[4:5]
	v_cmp_gt_u32_e32 vcc, s33, v19
	s_and_saveexec_b64 s[4:5], vcc
	s_cbranch_execnz .LBB3604_192
.LBB3604_164:
	s_or_b64 exec, exec, s[4:5]
	v_cmp_gt_u32_e32 vcc, s33, v16
                                        ; implicit-def: $vgpr12_vgpr13
	s_and_saveexec_b64 s[4:5], vcc
	s_cbranch_execnz .LBB3604_197
.LBB3604_165:
	s_or_b64 exec, exec, s[4:5]
	s_and_saveexec_b64 s[4:5], s[2:3]
	s_cbranch_execnz .LBB3604_136
.LBB3604_166:
	s_or_b64 exec, exec, s[4:5]
	s_and_b64 s[0:1], s[0:1], s[22:23]
	s_and_saveexec_b64 s[2:3], s[0:1]
	s_cbranch_execz .LBB3604_137
.LBB3604_167:
	v_add_co_u32_e32 v0, vcc, v1, v10
	s_waitcnt lgkmcnt(0)
	v_mov_b32_e32 v2, 0
	v_addc_co_u32_e32 v1, vcc, 0, v11, vcc
	global_store_dwordx2 v2, v[0:1], s[20:21]
	s_endpgm
.LBB3604_168:
	s_or_b64 exec, exec, s[4:5]
	v_cmp_gt_u32_e32 vcc, s33, v26
	s_and_saveexec_b64 s[4:5], vcc
	s_cbranch_execz .LBB3604_145
.LBB3604_169:
	v_cmp_ge_u32_e32 vcc, v26, v10
                                        ; implicit-def: $vgpr12_vgpr13
	s_and_saveexec_b64 s[6:7], vcc
	s_xor_b64 s[6:7], exec, s[6:7]
; %bb.170:
	v_xor_b32_e32 v12, 0xfffffeff, v0
	v_ashrrev_i32_e32 v13, 31, v12
	v_add_co_u32_e32 v12, vcc, v17, v12
	v_addc_co_u32_e32 v13, vcc, v18, v13, vcc
                                        ; implicit-def: $vgpr26
; %bb.171:
	s_andn2_saveexec_b64 s[6:7], s[6:7]
; %bb.172:
	v_add_co_u32_e32 v12, vcc, v1, v26
	v_addc_co_u32_e32 v13, vcc, 0, v11, vcc
; %bb.173:
	s_or_b64 exec, exec, s[6:7]
	v_lshlrev_b64 v[12:13], 2, v[12:13]
	s_waitcnt lgkmcnt(4)
	v_mov_b32_e32 v14, s25
	v_add_co_u32_e32 v12, vcc, s24, v12
	v_addc_co_u32_e32 v13, vcc, v14, v13, vcc
	global_store_dword v[12:13], v15, off
	s_or_b64 exec, exec, s[4:5]
	v_cmp_gt_u32_e32 vcc, s33, v25
	s_and_saveexec_b64 s[4:5], vcc
	s_cbranch_execnz .LBB3604_146
.LBB3604_174:
	s_or_b64 exec, exec, s[4:5]
	v_cmp_gt_u32_e32 vcc, s33, v24
	s_and_saveexec_b64 s[4:5], vcc
	s_cbranch_execz .LBB3604_151
.LBB3604_175:
	v_cmp_ge_u32_e32 vcc, v24, v10
                                        ; implicit-def: $vgpr12_vgpr13
	s_and_saveexec_b64 s[6:7], vcc
	s_xor_b64 s[6:7], exec, s[6:7]
	s_cbranch_execz .LBB3604_177
; %bb.176:
	s_waitcnt lgkmcnt(3)
	v_xor_b32_e32 v8, 0xfffffcff, v0
	v_ashrrev_i32_e32 v13, 31, v8
	v_add_co_u32_e32 v12, vcc, v17, v8
	v_addc_co_u32_e32 v13, vcc, v18, v13, vcc
                                        ; implicit-def: $vgpr24
.LBB3604_177:
	s_andn2_saveexec_b64 s[6:7], s[6:7]
; %bb.178:
	v_add_co_u32_e32 v12, vcc, v1, v24
	v_addc_co_u32_e32 v13, vcc, 0, v11, vcc
; %bb.179:
	s_or_b64 exec, exec, s[6:7]
	v_lshlrev_b64 v[12:13], 2, v[12:13]
	s_waitcnt lgkmcnt(3)
	v_mov_b32_e32 v8, s25
	v_add_co_u32_e32 v12, vcc, s24, v12
	v_addc_co_u32_e32 v13, vcc, v8, v13, vcc
	global_store_dword v[12:13], v9, off
	s_or_b64 exec, exec, s[4:5]
	v_cmp_gt_u32_e32 vcc, s33, v23
	s_and_saveexec_b64 s[4:5], vcc
	s_cbranch_execnz .LBB3604_152
.LBB3604_180:
	s_or_b64 exec, exec, s[4:5]
	v_cmp_gt_u32_e32 vcc, s33, v22
	s_and_saveexec_b64 s[4:5], vcc
	s_cbranch_execz .LBB3604_157
.LBB3604_181:
	v_cmp_ge_u32_e32 vcc, v22, v10
                                        ; implicit-def: $vgpr8_vgpr9
	s_and_saveexec_b64 s[6:7], vcc
	s_xor_b64 s[6:7], exec, s[6:7]
	s_cbranch_execz .LBB3604_183
; %bb.182:
	s_waitcnt lgkmcnt(2)
	v_xor_b32_e32 v6, 0xfffffaff, v0
	v_ashrrev_i32_e32 v9, 31, v6
	v_add_co_u32_e32 v8, vcc, v17, v6
	v_addc_co_u32_e32 v9, vcc, v18, v9, vcc
                                        ; implicit-def: $vgpr22
.LBB3604_183:
	s_andn2_saveexec_b64 s[6:7], s[6:7]
	s_cbranch_execz .LBB3604_185
; %bb.184:
	s_waitcnt lgkmcnt(3)
	v_add_co_u32_e32 v8, vcc, v1, v22
	v_addc_co_u32_e32 v9, vcc, 0, v11, vcc
.LBB3604_185:
	s_or_b64 exec, exec, s[6:7]
	s_waitcnt lgkmcnt(3)
	v_lshlrev_b64 v[8:9], 2, v[8:9]
	s_waitcnt lgkmcnt(2)
	v_mov_b32_e32 v6, s25
	v_add_co_u32_e32 v8, vcc, s24, v8
	v_addc_co_u32_e32 v9, vcc, v6, v9, vcc
	global_store_dword v[8:9], v7, off
	s_or_b64 exec, exec, s[4:5]
	v_cmp_gt_u32_e32 vcc, s33, v21
	s_and_saveexec_b64 s[4:5], vcc
	s_cbranch_execnz .LBB3604_158
.LBB3604_186:
	s_or_b64 exec, exec, s[4:5]
	v_cmp_gt_u32_e32 vcc, s33, v20
	s_and_saveexec_b64 s[4:5], vcc
	s_cbranch_execz .LBB3604_163
.LBB3604_187:
	v_cmp_ge_u32_e32 vcc, v20, v10
                                        ; implicit-def: $vgpr6_vgpr7
	s_and_saveexec_b64 s[6:7], vcc
	s_xor_b64 s[6:7], exec, s[6:7]
	s_cbranch_execz .LBB3604_189
; %bb.188:
	s_waitcnt lgkmcnt(1)
	v_xor_b32_e32 v4, 0xfffff8ff, v0
	v_ashrrev_i32_e32 v7, 31, v4
	v_add_co_u32_e32 v6, vcc, v17, v4
	v_addc_co_u32_e32 v7, vcc, v18, v7, vcc
                                        ; implicit-def: $vgpr20
.LBB3604_189:
	s_andn2_saveexec_b64 s[6:7], s[6:7]
	s_cbranch_execz .LBB3604_191
; %bb.190:
	s_waitcnt lgkmcnt(2)
	v_add_co_u32_e32 v6, vcc, v1, v20
	v_addc_co_u32_e32 v7, vcc, 0, v11, vcc
.LBB3604_191:
	s_or_b64 exec, exec, s[6:7]
	s_waitcnt lgkmcnt(2)
	v_lshlrev_b64 v[6:7], 2, v[6:7]
	s_waitcnt lgkmcnt(1)
	v_mov_b32_e32 v4, s25
	v_add_co_u32_e32 v6, vcc, s24, v6
	v_addc_co_u32_e32 v7, vcc, v4, v7, vcc
	global_store_dword v[6:7], v5, off
	s_or_b64 exec, exec, s[4:5]
	v_cmp_gt_u32_e32 vcc, s33, v19
	s_and_saveexec_b64 s[4:5], vcc
	s_cbranch_execz .LBB3604_164
.LBB3604_192:
	v_cmp_ge_u32_e32 vcc, v19, v10
                                        ; implicit-def: $vgpr4_vgpr5
	s_and_saveexec_b64 s[6:7], vcc
	s_xor_b64 s[6:7], exec, s[6:7]
	s_cbranch_execz .LBB3604_194
; %bb.193:
	s_waitcnt lgkmcnt(1)
	v_xor_b32_e32 v4, 0xfffff7ff, v0
	v_ashrrev_i32_e32 v5, 31, v4
	v_add_co_u32_e32 v4, vcc, v17, v4
	v_addc_co_u32_e32 v5, vcc, v18, v5, vcc
                                        ; implicit-def: $vgpr19
.LBB3604_194:
	s_andn2_saveexec_b64 s[6:7], s[6:7]
	s_cbranch_execz .LBB3604_196
; %bb.195:
	s_waitcnt lgkmcnt(1)
	v_add_co_u32_e32 v4, vcc, v1, v19
	v_addc_co_u32_e32 v5, vcc, 0, v11, vcc
.LBB3604_196:
	s_or_b64 exec, exec, s[6:7]
	s_waitcnt lgkmcnt(1)
	v_lshlrev_b64 v[4:5], 2, v[4:5]
	v_mov_b32_e32 v6, s25
	v_add_co_u32_e32 v4, vcc, s24, v4
	v_addc_co_u32_e32 v5, vcc, v6, v5, vcc
	s_waitcnt lgkmcnt(0)
	global_store_dword v[4:5], v2, off
	s_or_b64 exec, exec, s[4:5]
	v_cmp_gt_u32_e32 vcc, s33, v16
                                        ; implicit-def: $vgpr12_vgpr13
	s_and_saveexec_b64 s[4:5], vcc
	s_cbranch_execz .LBB3604_165
.LBB3604_197:
	v_cmp_ge_u32_e32 vcc, v16, v10
                                        ; implicit-def: $vgpr12_vgpr13
	s_and_saveexec_b64 s[6:7], vcc
	s_xor_b64 s[6:7], exec, s[6:7]
	s_cbranch_execz .LBB3604_199
; %bb.198:
	v_xor_b32_e32 v0, 0xfffff6ff, v0
	s_waitcnt lgkmcnt(0)
	v_ashrrev_i32_e32 v2, 31, v0
	v_add_co_u32_e32 v12, vcc, v17, v0
	v_addc_co_u32_e32 v13, vcc, v18, v2, vcc
                                        ; implicit-def: $vgpr16
.LBB3604_199:
	s_andn2_saveexec_b64 s[6:7], s[6:7]
; %bb.200:
	v_add_co_u32_e32 v12, vcc, v1, v16
	v_addc_co_u32_e32 v13, vcc, 0, v11, vcc
; %bb.201:
	s_or_b64 exec, exec, s[6:7]
	s_or_b64 s[2:3], s[2:3], exec
	s_or_b64 exec, exec, s[4:5]
	s_and_saveexec_b64 s[4:5], s[2:3]
	s_cbranch_execnz .LBB3604_136
	s_branch .LBB3604_166
	.section	.rodata,"a",@progbits
	.p2align	6, 0x0
	.amdhsa_kernel _ZN7rocprim17ROCPRIM_400000_NS6detail17trampoline_kernelINS0_14default_configENS1_25partition_config_selectorILNS1_17partition_subalgoE2EiNS0_10empty_typeEbEEZZNS1_14partition_implILS5_2ELb0ES3_jN6thrust23THRUST_200600_302600_NS6detail15normal_iteratorINSA_7pointerIiNSA_11hip_rocprim3tagENSA_11use_defaultESG_EEEEPS6_NSA_18transform_iteratorI10is_orderedNSA_12zip_iteratorINSA_5tupleINSC_INSA_10device_ptrIiEEEESQ_NSA_9null_typeESR_SR_SR_SR_SR_SR_SR_EEEESG_SG_EENS0_5tupleIJPiSJ_EEENSV_IJSJ_SJ_EEES6_PlJS6_EEE10hipError_tPvRmT3_T4_T5_T6_T7_T9_mT8_P12ihipStream_tbDpT10_ENKUlT_T0_E_clISt17integral_constantIbLb1EES1J_EEDaS1E_S1F_EUlS1E_E_NS1_11comp_targetILNS1_3genE4ELNS1_11target_archE910ELNS1_3gpuE8ELNS1_3repE0EEENS1_30default_config_static_selectorELNS0_4arch9wavefront6targetE1EEEvT1_
		.amdhsa_group_segment_fixed_size 10248
		.amdhsa_private_segment_fixed_size 0
		.amdhsa_kernarg_size 152
		.amdhsa_user_sgpr_count 6
		.amdhsa_user_sgpr_private_segment_buffer 1
		.amdhsa_user_sgpr_dispatch_ptr 0
		.amdhsa_user_sgpr_queue_ptr 0
		.amdhsa_user_sgpr_kernarg_segment_ptr 1
		.amdhsa_user_sgpr_dispatch_id 0
		.amdhsa_user_sgpr_flat_scratch_init 0
		.amdhsa_user_sgpr_kernarg_preload_length 0
		.amdhsa_user_sgpr_kernarg_preload_offset 0
		.amdhsa_user_sgpr_private_segment_size 0
		.amdhsa_uses_dynamic_stack 0
		.amdhsa_system_sgpr_private_segment_wavefront_offset 0
		.amdhsa_system_sgpr_workgroup_id_x 1
		.amdhsa_system_sgpr_workgroup_id_y 0
		.amdhsa_system_sgpr_workgroup_id_z 0
		.amdhsa_system_sgpr_workgroup_info 0
		.amdhsa_system_vgpr_workitem_id 0
		.amdhsa_next_free_vgpr 55
		.amdhsa_next_free_sgpr 46
		.amdhsa_accum_offset 56
		.amdhsa_reserve_vcc 1
		.amdhsa_reserve_flat_scratch 0
		.amdhsa_float_round_mode_32 0
		.amdhsa_float_round_mode_16_64 0
		.amdhsa_float_denorm_mode_32 3
		.amdhsa_float_denorm_mode_16_64 3
		.amdhsa_dx10_clamp 1
		.amdhsa_ieee_mode 1
		.amdhsa_fp16_overflow 0
		.amdhsa_tg_split 0
		.amdhsa_exception_fp_ieee_invalid_op 0
		.amdhsa_exception_fp_denorm_src 0
		.amdhsa_exception_fp_ieee_div_zero 0
		.amdhsa_exception_fp_ieee_overflow 0
		.amdhsa_exception_fp_ieee_underflow 0
		.amdhsa_exception_fp_ieee_inexact 0
		.amdhsa_exception_int_div_zero 0
	.end_amdhsa_kernel
	.section	.text._ZN7rocprim17ROCPRIM_400000_NS6detail17trampoline_kernelINS0_14default_configENS1_25partition_config_selectorILNS1_17partition_subalgoE2EiNS0_10empty_typeEbEEZZNS1_14partition_implILS5_2ELb0ES3_jN6thrust23THRUST_200600_302600_NS6detail15normal_iteratorINSA_7pointerIiNSA_11hip_rocprim3tagENSA_11use_defaultESG_EEEEPS6_NSA_18transform_iteratorI10is_orderedNSA_12zip_iteratorINSA_5tupleINSC_INSA_10device_ptrIiEEEESQ_NSA_9null_typeESR_SR_SR_SR_SR_SR_SR_EEEESG_SG_EENS0_5tupleIJPiSJ_EEENSV_IJSJ_SJ_EEES6_PlJS6_EEE10hipError_tPvRmT3_T4_T5_T6_T7_T9_mT8_P12ihipStream_tbDpT10_ENKUlT_T0_E_clISt17integral_constantIbLb1EES1J_EEDaS1E_S1F_EUlS1E_E_NS1_11comp_targetILNS1_3genE4ELNS1_11target_archE910ELNS1_3gpuE8ELNS1_3repE0EEENS1_30default_config_static_selectorELNS0_4arch9wavefront6targetE1EEEvT1_,"axG",@progbits,_ZN7rocprim17ROCPRIM_400000_NS6detail17trampoline_kernelINS0_14default_configENS1_25partition_config_selectorILNS1_17partition_subalgoE2EiNS0_10empty_typeEbEEZZNS1_14partition_implILS5_2ELb0ES3_jN6thrust23THRUST_200600_302600_NS6detail15normal_iteratorINSA_7pointerIiNSA_11hip_rocprim3tagENSA_11use_defaultESG_EEEEPS6_NSA_18transform_iteratorI10is_orderedNSA_12zip_iteratorINSA_5tupleINSC_INSA_10device_ptrIiEEEESQ_NSA_9null_typeESR_SR_SR_SR_SR_SR_SR_EEEESG_SG_EENS0_5tupleIJPiSJ_EEENSV_IJSJ_SJ_EEES6_PlJS6_EEE10hipError_tPvRmT3_T4_T5_T6_T7_T9_mT8_P12ihipStream_tbDpT10_ENKUlT_T0_E_clISt17integral_constantIbLb1EES1J_EEDaS1E_S1F_EUlS1E_E_NS1_11comp_targetILNS1_3genE4ELNS1_11target_archE910ELNS1_3gpuE8ELNS1_3repE0EEENS1_30default_config_static_selectorELNS0_4arch9wavefront6targetE1EEEvT1_,comdat
.Lfunc_end3604:
	.size	_ZN7rocprim17ROCPRIM_400000_NS6detail17trampoline_kernelINS0_14default_configENS1_25partition_config_selectorILNS1_17partition_subalgoE2EiNS0_10empty_typeEbEEZZNS1_14partition_implILS5_2ELb0ES3_jN6thrust23THRUST_200600_302600_NS6detail15normal_iteratorINSA_7pointerIiNSA_11hip_rocprim3tagENSA_11use_defaultESG_EEEEPS6_NSA_18transform_iteratorI10is_orderedNSA_12zip_iteratorINSA_5tupleINSC_INSA_10device_ptrIiEEEESQ_NSA_9null_typeESR_SR_SR_SR_SR_SR_SR_EEEESG_SG_EENS0_5tupleIJPiSJ_EEENSV_IJSJ_SJ_EEES6_PlJS6_EEE10hipError_tPvRmT3_T4_T5_T6_T7_T9_mT8_P12ihipStream_tbDpT10_ENKUlT_T0_E_clISt17integral_constantIbLb1EES1J_EEDaS1E_S1F_EUlS1E_E_NS1_11comp_targetILNS1_3genE4ELNS1_11target_archE910ELNS1_3gpuE8ELNS1_3repE0EEENS1_30default_config_static_selectorELNS0_4arch9wavefront6targetE1EEEvT1_, .Lfunc_end3604-_ZN7rocprim17ROCPRIM_400000_NS6detail17trampoline_kernelINS0_14default_configENS1_25partition_config_selectorILNS1_17partition_subalgoE2EiNS0_10empty_typeEbEEZZNS1_14partition_implILS5_2ELb0ES3_jN6thrust23THRUST_200600_302600_NS6detail15normal_iteratorINSA_7pointerIiNSA_11hip_rocprim3tagENSA_11use_defaultESG_EEEEPS6_NSA_18transform_iteratorI10is_orderedNSA_12zip_iteratorINSA_5tupleINSC_INSA_10device_ptrIiEEEESQ_NSA_9null_typeESR_SR_SR_SR_SR_SR_SR_EEEESG_SG_EENS0_5tupleIJPiSJ_EEENSV_IJSJ_SJ_EEES6_PlJS6_EEE10hipError_tPvRmT3_T4_T5_T6_T7_T9_mT8_P12ihipStream_tbDpT10_ENKUlT_T0_E_clISt17integral_constantIbLb1EES1J_EEDaS1E_S1F_EUlS1E_E_NS1_11comp_targetILNS1_3genE4ELNS1_11target_archE910ELNS1_3gpuE8ELNS1_3repE0EEENS1_30default_config_static_selectorELNS0_4arch9wavefront6targetE1EEEvT1_
                                        ; -- End function
	.section	.AMDGPU.csdata,"",@progbits
; Kernel info:
; codeLenInByte = 7100
; NumSgprs: 50
; NumVgprs: 55
; NumAgprs: 0
; TotalNumVgprs: 55
; ScratchSize: 0
; MemoryBound: 0
; FloatMode: 240
; IeeeMode: 1
; LDSByteSize: 10248 bytes/workgroup (compile time only)
; SGPRBlocks: 6
; VGPRBlocks: 6
; NumSGPRsForWavesPerEU: 50
; NumVGPRsForWavesPerEU: 55
; AccumOffset: 56
; Occupancy: 6
; WaveLimiterHint : 1
; COMPUTE_PGM_RSRC2:SCRATCH_EN: 0
; COMPUTE_PGM_RSRC2:USER_SGPR: 6
; COMPUTE_PGM_RSRC2:TRAP_HANDLER: 0
; COMPUTE_PGM_RSRC2:TGID_X_EN: 1
; COMPUTE_PGM_RSRC2:TGID_Y_EN: 0
; COMPUTE_PGM_RSRC2:TGID_Z_EN: 0
; COMPUTE_PGM_RSRC2:TIDIG_COMP_CNT: 0
; COMPUTE_PGM_RSRC3_GFX90A:ACCUM_OFFSET: 13
; COMPUTE_PGM_RSRC3_GFX90A:TG_SPLIT: 0
	.section	.text._ZN7rocprim17ROCPRIM_400000_NS6detail17trampoline_kernelINS0_14default_configENS1_25partition_config_selectorILNS1_17partition_subalgoE2EiNS0_10empty_typeEbEEZZNS1_14partition_implILS5_2ELb0ES3_jN6thrust23THRUST_200600_302600_NS6detail15normal_iteratorINSA_7pointerIiNSA_11hip_rocprim3tagENSA_11use_defaultESG_EEEEPS6_NSA_18transform_iteratorI10is_orderedNSA_12zip_iteratorINSA_5tupleINSC_INSA_10device_ptrIiEEEESQ_NSA_9null_typeESR_SR_SR_SR_SR_SR_SR_EEEESG_SG_EENS0_5tupleIJPiSJ_EEENSV_IJSJ_SJ_EEES6_PlJS6_EEE10hipError_tPvRmT3_T4_T5_T6_T7_T9_mT8_P12ihipStream_tbDpT10_ENKUlT_T0_E_clISt17integral_constantIbLb1EES1J_EEDaS1E_S1F_EUlS1E_E_NS1_11comp_targetILNS1_3genE3ELNS1_11target_archE908ELNS1_3gpuE7ELNS1_3repE0EEENS1_30default_config_static_selectorELNS0_4arch9wavefront6targetE1EEEvT1_,"axG",@progbits,_ZN7rocprim17ROCPRIM_400000_NS6detail17trampoline_kernelINS0_14default_configENS1_25partition_config_selectorILNS1_17partition_subalgoE2EiNS0_10empty_typeEbEEZZNS1_14partition_implILS5_2ELb0ES3_jN6thrust23THRUST_200600_302600_NS6detail15normal_iteratorINSA_7pointerIiNSA_11hip_rocprim3tagENSA_11use_defaultESG_EEEEPS6_NSA_18transform_iteratorI10is_orderedNSA_12zip_iteratorINSA_5tupleINSC_INSA_10device_ptrIiEEEESQ_NSA_9null_typeESR_SR_SR_SR_SR_SR_SR_EEEESG_SG_EENS0_5tupleIJPiSJ_EEENSV_IJSJ_SJ_EEES6_PlJS6_EEE10hipError_tPvRmT3_T4_T5_T6_T7_T9_mT8_P12ihipStream_tbDpT10_ENKUlT_T0_E_clISt17integral_constantIbLb1EES1J_EEDaS1E_S1F_EUlS1E_E_NS1_11comp_targetILNS1_3genE3ELNS1_11target_archE908ELNS1_3gpuE7ELNS1_3repE0EEENS1_30default_config_static_selectorELNS0_4arch9wavefront6targetE1EEEvT1_,comdat
	.protected	_ZN7rocprim17ROCPRIM_400000_NS6detail17trampoline_kernelINS0_14default_configENS1_25partition_config_selectorILNS1_17partition_subalgoE2EiNS0_10empty_typeEbEEZZNS1_14partition_implILS5_2ELb0ES3_jN6thrust23THRUST_200600_302600_NS6detail15normal_iteratorINSA_7pointerIiNSA_11hip_rocprim3tagENSA_11use_defaultESG_EEEEPS6_NSA_18transform_iteratorI10is_orderedNSA_12zip_iteratorINSA_5tupleINSC_INSA_10device_ptrIiEEEESQ_NSA_9null_typeESR_SR_SR_SR_SR_SR_SR_EEEESG_SG_EENS0_5tupleIJPiSJ_EEENSV_IJSJ_SJ_EEES6_PlJS6_EEE10hipError_tPvRmT3_T4_T5_T6_T7_T9_mT8_P12ihipStream_tbDpT10_ENKUlT_T0_E_clISt17integral_constantIbLb1EES1J_EEDaS1E_S1F_EUlS1E_E_NS1_11comp_targetILNS1_3genE3ELNS1_11target_archE908ELNS1_3gpuE7ELNS1_3repE0EEENS1_30default_config_static_selectorELNS0_4arch9wavefront6targetE1EEEvT1_ ; -- Begin function _ZN7rocprim17ROCPRIM_400000_NS6detail17trampoline_kernelINS0_14default_configENS1_25partition_config_selectorILNS1_17partition_subalgoE2EiNS0_10empty_typeEbEEZZNS1_14partition_implILS5_2ELb0ES3_jN6thrust23THRUST_200600_302600_NS6detail15normal_iteratorINSA_7pointerIiNSA_11hip_rocprim3tagENSA_11use_defaultESG_EEEEPS6_NSA_18transform_iteratorI10is_orderedNSA_12zip_iteratorINSA_5tupleINSC_INSA_10device_ptrIiEEEESQ_NSA_9null_typeESR_SR_SR_SR_SR_SR_SR_EEEESG_SG_EENS0_5tupleIJPiSJ_EEENSV_IJSJ_SJ_EEES6_PlJS6_EEE10hipError_tPvRmT3_T4_T5_T6_T7_T9_mT8_P12ihipStream_tbDpT10_ENKUlT_T0_E_clISt17integral_constantIbLb1EES1J_EEDaS1E_S1F_EUlS1E_E_NS1_11comp_targetILNS1_3genE3ELNS1_11target_archE908ELNS1_3gpuE7ELNS1_3repE0EEENS1_30default_config_static_selectorELNS0_4arch9wavefront6targetE1EEEvT1_
	.globl	_ZN7rocprim17ROCPRIM_400000_NS6detail17trampoline_kernelINS0_14default_configENS1_25partition_config_selectorILNS1_17partition_subalgoE2EiNS0_10empty_typeEbEEZZNS1_14partition_implILS5_2ELb0ES3_jN6thrust23THRUST_200600_302600_NS6detail15normal_iteratorINSA_7pointerIiNSA_11hip_rocprim3tagENSA_11use_defaultESG_EEEEPS6_NSA_18transform_iteratorI10is_orderedNSA_12zip_iteratorINSA_5tupleINSC_INSA_10device_ptrIiEEEESQ_NSA_9null_typeESR_SR_SR_SR_SR_SR_SR_EEEESG_SG_EENS0_5tupleIJPiSJ_EEENSV_IJSJ_SJ_EEES6_PlJS6_EEE10hipError_tPvRmT3_T4_T5_T6_T7_T9_mT8_P12ihipStream_tbDpT10_ENKUlT_T0_E_clISt17integral_constantIbLb1EES1J_EEDaS1E_S1F_EUlS1E_E_NS1_11comp_targetILNS1_3genE3ELNS1_11target_archE908ELNS1_3gpuE7ELNS1_3repE0EEENS1_30default_config_static_selectorELNS0_4arch9wavefront6targetE1EEEvT1_
	.p2align	8
	.type	_ZN7rocprim17ROCPRIM_400000_NS6detail17trampoline_kernelINS0_14default_configENS1_25partition_config_selectorILNS1_17partition_subalgoE2EiNS0_10empty_typeEbEEZZNS1_14partition_implILS5_2ELb0ES3_jN6thrust23THRUST_200600_302600_NS6detail15normal_iteratorINSA_7pointerIiNSA_11hip_rocprim3tagENSA_11use_defaultESG_EEEEPS6_NSA_18transform_iteratorI10is_orderedNSA_12zip_iteratorINSA_5tupleINSC_INSA_10device_ptrIiEEEESQ_NSA_9null_typeESR_SR_SR_SR_SR_SR_SR_EEEESG_SG_EENS0_5tupleIJPiSJ_EEENSV_IJSJ_SJ_EEES6_PlJS6_EEE10hipError_tPvRmT3_T4_T5_T6_T7_T9_mT8_P12ihipStream_tbDpT10_ENKUlT_T0_E_clISt17integral_constantIbLb1EES1J_EEDaS1E_S1F_EUlS1E_E_NS1_11comp_targetILNS1_3genE3ELNS1_11target_archE908ELNS1_3gpuE7ELNS1_3repE0EEENS1_30default_config_static_selectorELNS0_4arch9wavefront6targetE1EEEvT1_,@function
_ZN7rocprim17ROCPRIM_400000_NS6detail17trampoline_kernelINS0_14default_configENS1_25partition_config_selectorILNS1_17partition_subalgoE2EiNS0_10empty_typeEbEEZZNS1_14partition_implILS5_2ELb0ES3_jN6thrust23THRUST_200600_302600_NS6detail15normal_iteratorINSA_7pointerIiNSA_11hip_rocprim3tagENSA_11use_defaultESG_EEEEPS6_NSA_18transform_iteratorI10is_orderedNSA_12zip_iteratorINSA_5tupleINSC_INSA_10device_ptrIiEEEESQ_NSA_9null_typeESR_SR_SR_SR_SR_SR_SR_EEEESG_SG_EENS0_5tupleIJPiSJ_EEENSV_IJSJ_SJ_EEES6_PlJS6_EEE10hipError_tPvRmT3_T4_T5_T6_T7_T9_mT8_P12ihipStream_tbDpT10_ENKUlT_T0_E_clISt17integral_constantIbLb1EES1J_EEDaS1E_S1F_EUlS1E_E_NS1_11comp_targetILNS1_3genE3ELNS1_11target_archE908ELNS1_3gpuE7ELNS1_3repE0EEENS1_30default_config_static_selectorELNS0_4arch9wavefront6targetE1EEEvT1_: ; @_ZN7rocprim17ROCPRIM_400000_NS6detail17trampoline_kernelINS0_14default_configENS1_25partition_config_selectorILNS1_17partition_subalgoE2EiNS0_10empty_typeEbEEZZNS1_14partition_implILS5_2ELb0ES3_jN6thrust23THRUST_200600_302600_NS6detail15normal_iteratorINSA_7pointerIiNSA_11hip_rocprim3tagENSA_11use_defaultESG_EEEEPS6_NSA_18transform_iteratorI10is_orderedNSA_12zip_iteratorINSA_5tupleINSC_INSA_10device_ptrIiEEEESQ_NSA_9null_typeESR_SR_SR_SR_SR_SR_SR_EEEESG_SG_EENS0_5tupleIJPiSJ_EEENSV_IJSJ_SJ_EEES6_PlJS6_EEE10hipError_tPvRmT3_T4_T5_T6_T7_T9_mT8_P12ihipStream_tbDpT10_ENKUlT_T0_E_clISt17integral_constantIbLb1EES1J_EEDaS1E_S1F_EUlS1E_E_NS1_11comp_targetILNS1_3genE3ELNS1_11target_archE908ELNS1_3gpuE7ELNS1_3repE0EEENS1_30default_config_static_selectorELNS0_4arch9wavefront6targetE1EEEvT1_
; %bb.0:
	.section	.rodata,"a",@progbits
	.p2align	6, 0x0
	.amdhsa_kernel _ZN7rocprim17ROCPRIM_400000_NS6detail17trampoline_kernelINS0_14default_configENS1_25partition_config_selectorILNS1_17partition_subalgoE2EiNS0_10empty_typeEbEEZZNS1_14partition_implILS5_2ELb0ES3_jN6thrust23THRUST_200600_302600_NS6detail15normal_iteratorINSA_7pointerIiNSA_11hip_rocprim3tagENSA_11use_defaultESG_EEEEPS6_NSA_18transform_iteratorI10is_orderedNSA_12zip_iteratorINSA_5tupleINSC_INSA_10device_ptrIiEEEESQ_NSA_9null_typeESR_SR_SR_SR_SR_SR_SR_EEEESG_SG_EENS0_5tupleIJPiSJ_EEENSV_IJSJ_SJ_EEES6_PlJS6_EEE10hipError_tPvRmT3_T4_T5_T6_T7_T9_mT8_P12ihipStream_tbDpT10_ENKUlT_T0_E_clISt17integral_constantIbLb1EES1J_EEDaS1E_S1F_EUlS1E_E_NS1_11comp_targetILNS1_3genE3ELNS1_11target_archE908ELNS1_3gpuE7ELNS1_3repE0EEENS1_30default_config_static_selectorELNS0_4arch9wavefront6targetE1EEEvT1_
		.amdhsa_group_segment_fixed_size 0
		.amdhsa_private_segment_fixed_size 0
		.amdhsa_kernarg_size 152
		.amdhsa_user_sgpr_count 6
		.amdhsa_user_sgpr_private_segment_buffer 1
		.amdhsa_user_sgpr_dispatch_ptr 0
		.amdhsa_user_sgpr_queue_ptr 0
		.amdhsa_user_sgpr_kernarg_segment_ptr 1
		.amdhsa_user_sgpr_dispatch_id 0
		.amdhsa_user_sgpr_flat_scratch_init 0
		.amdhsa_user_sgpr_kernarg_preload_length 0
		.amdhsa_user_sgpr_kernarg_preload_offset 0
		.amdhsa_user_sgpr_private_segment_size 0
		.amdhsa_uses_dynamic_stack 0
		.amdhsa_system_sgpr_private_segment_wavefront_offset 0
		.amdhsa_system_sgpr_workgroup_id_x 1
		.amdhsa_system_sgpr_workgroup_id_y 0
		.amdhsa_system_sgpr_workgroup_id_z 0
		.amdhsa_system_sgpr_workgroup_info 0
		.amdhsa_system_vgpr_workitem_id 0
		.amdhsa_next_free_vgpr 1
		.amdhsa_next_free_sgpr 0
		.amdhsa_accum_offset 4
		.amdhsa_reserve_vcc 0
		.amdhsa_reserve_flat_scratch 0
		.amdhsa_float_round_mode_32 0
		.amdhsa_float_round_mode_16_64 0
		.amdhsa_float_denorm_mode_32 3
		.amdhsa_float_denorm_mode_16_64 3
		.amdhsa_dx10_clamp 1
		.amdhsa_ieee_mode 1
		.amdhsa_fp16_overflow 0
		.amdhsa_tg_split 0
		.amdhsa_exception_fp_ieee_invalid_op 0
		.amdhsa_exception_fp_denorm_src 0
		.amdhsa_exception_fp_ieee_div_zero 0
		.amdhsa_exception_fp_ieee_overflow 0
		.amdhsa_exception_fp_ieee_underflow 0
		.amdhsa_exception_fp_ieee_inexact 0
		.amdhsa_exception_int_div_zero 0
	.end_amdhsa_kernel
	.section	.text._ZN7rocprim17ROCPRIM_400000_NS6detail17trampoline_kernelINS0_14default_configENS1_25partition_config_selectorILNS1_17partition_subalgoE2EiNS0_10empty_typeEbEEZZNS1_14partition_implILS5_2ELb0ES3_jN6thrust23THRUST_200600_302600_NS6detail15normal_iteratorINSA_7pointerIiNSA_11hip_rocprim3tagENSA_11use_defaultESG_EEEEPS6_NSA_18transform_iteratorI10is_orderedNSA_12zip_iteratorINSA_5tupleINSC_INSA_10device_ptrIiEEEESQ_NSA_9null_typeESR_SR_SR_SR_SR_SR_SR_EEEESG_SG_EENS0_5tupleIJPiSJ_EEENSV_IJSJ_SJ_EEES6_PlJS6_EEE10hipError_tPvRmT3_T4_T5_T6_T7_T9_mT8_P12ihipStream_tbDpT10_ENKUlT_T0_E_clISt17integral_constantIbLb1EES1J_EEDaS1E_S1F_EUlS1E_E_NS1_11comp_targetILNS1_3genE3ELNS1_11target_archE908ELNS1_3gpuE7ELNS1_3repE0EEENS1_30default_config_static_selectorELNS0_4arch9wavefront6targetE1EEEvT1_,"axG",@progbits,_ZN7rocprim17ROCPRIM_400000_NS6detail17trampoline_kernelINS0_14default_configENS1_25partition_config_selectorILNS1_17partition_subalgoE2EiNS0_10empty_typeEbEEZZNS1_14partition_implILS5_2ELb0ES3_jN6thrust23THRUST_200600_302600_NS6detail15normal_iteratorINSA_7pointerIiNSA_11hip_rocprim3tagENSA_11use_defaultESG_EEEEPS6_NSA_18transform_iteratorI10is_orderedNSA_12zip_iteratorINSA_5tupleINSC_INSA_10device_ptrIiEEEESQ_NSA_9null_typeESR_SR_SR_SR_SR_SR_SR_EEEESG_SG_EENS0_5tupleIJPiSJ_EEENSV_IJSJ_SJ_EEES6_PlJS6_EEE10hipError_tPvRmT3_T4_T5_T6_T7_T9_mT8_P12ihipStream_tbDpT10_ENKUlT_T0_E_clISt17integral_constantIbLb1EES1J_EEDaS1E_S1F_EUlS1E_E_NS1_11comp_targetILNS1_3genE3ELNS1_11target_archE908ELNS1_3gpuE7ELNS1_3repE0EEENS1_30default_config_static_selectorELNS0_4arch9wavefront6targetE1EEEvT1_,comdat
.Lfunc_end3605:
	.size	_ZN7rocprim17ROCPRIM_400000_NS6detail17trampoline_kernelINS0_14default_configENS1_25partition_config_selectorILNS1_17partition_subalgoE2EiNS0_10empty_typeEbEEZZNS1_14partition_implILS5_2ELb0ES3_jN6thrust23THRUST_200600_302600_NS6detail15normal_iteratorINSA_7pointerIiNSA_11hip_rocprim3tagENSA_11use_defaultESG_EEEEPS6_NSA_18transform_iteratorI10is_orderedNSA_12zip_iteratorINSA_5tupleINSC_INSA_10device_ptrIiEEEESQ_NSA_9null_typeESR_SR_SR_SR_SR_SR_SR_EEEESG_SG_EENS0_5tupleIJPiSJ_EEENSV_IJSJ_SJ_EEES6_PlJS6_EEE10hipError_tPvRmT3_T4_T5_T6_T7_T9_mT8_P12ihipStream_tbDpT10_ENKUlT_T0_E_clISt17integral_constantIbLb1EES1J_EEDaS1E_S1F_EUlS1E_E_NS1_11comp_targetILNS1_3genE3ELNS1_11target_archE908ELNS1_3gpuE7ELNS1_3repE0EEENS1_30default_config_static_selectorELNS0_4arch9wavefront6targetE1EEEvT1_, .Lfunc_end3605-_ZN7rocprim17ROCPRIM_400000_NS6detail17trampoline_kernelINS0_14default_configENS1_25partition_config_selectorILNS1_17partition_subalgoE2EiNS0_10empty_typeEbEEZZNS1_14partition_implILS5_2ELb0ES3_jN6thrust23THRUST_200600_302600_NS6detail15normal_iteratorINSA_7pointerIiNSA_11hip_rocprim3tagENSA_11use_defaultESG_EEEEPS6_NSA_18transform_iteratorI10is_orderedNSA_12zip_iteratorINSA_5tupleINSC_INSA_10device_ptrIiEEEESQ_NSA_9null_typeESR_SR_SR_SR_SR_SR_SR_EEEESG_SG_EENS0_5tupleIJPiSJ_EEENSV_IJSJ_SJ_EEES6_PlJS6_EEE10hipError_tPvRmT3_T4_T5_T6_T7_T9_mT8_P12ihipStream_tbDpT10_ENKUlT_T0_E_clISt17integral_constantIbLb1EES1J_EEDaS1E_S1F_EUlS1E_E_NS1_11comp_targetILNS1_3genE3ELNS1_11target_archE908ELNS1_3gpuE7ELNS1_3repE0EEENS1_30default_config_static_selectorELNS0_4arch9wavefront6targetE1EEEvT1_
                                        ; -- End function
	.section	.AMDGPU.csdata,"",@progbits
; Kernel info:
; codeLenInByte = 0
; NumSgprs: 4
; NumVgprs: 0
; NumAgprs: 0
; TotalNumVgprs: 0
; ScratchSize: 0
; MemoryBound: 0
; FloatMode: 240
; IeeeMode: 1
; LDSByteSize: 0 bytes/workgroup (compile time only)
; SGPRBlocks: 0
; VGPRBlocks: 0
; NumSGPRsForWavesPerEU: 4
; NumVGPRsForWavesPerEU: 1
; AccumOffset: 4
; Occupancy: 8
; WaveLimiterHint : 0
; COMPUTE_PGM_RSRC2:SCRATCH_EN: 0
; COMPUTE_PGM_RSRC2:USER_SGPR: 6
; COMPUTE_PGM_RSRC2:TRAP_HANDLER: 0
; COMPUTE_PGM_RSRC2:TGID_X_EN: 1
; COMPUTE_PGM_RSRC2:TGID_Y_EN: 0
; COMPUTE_PGM_RSRC2:TGID_Z_EN: 0
; COMPUTE_PGM_RSRC2:TIDIG_COMP_CNT: 0
; COMPUTE_PGM_RSRC3_GFX90A:ACCUM_OFFSET: 0
; COMPUTE_PGM_RSRC3_GFX90A:TG_SPLIT: 0
	.section	.text._ZN7rocprim17ROCPRIM_400000_NS6detail17trampoline_kernelINS0_14default_configENS1_25partition_config_selectorILNS1_17partition_subalgoE2EiNS0_10empty_typeEbEEZZNS1_14partition_implILS5_2ELb0ES3_jN6thrust23THRUST_200600_302600_NS6detail15normal_iteratorINSA_7pointerIiNSA_11hip_rocprim3tagENSA_11use_defaultESG_EEEEPS6_NSA_18transform_iteratorI10is_orderedNSA_12zip_iteratorINSA_5tupleINSC_INSA_10device_ptrIiEEEESQ_NSA_9null_typeESR_SR_SR_SR_SR_SR_SR_EEEESG_SG_EENS0_5tupleIJPiSJ_EEENSV_IJSJ_SJ_EEES6_PlJS6_EEE10hipError_tPvRmT3_T4_T5_T6_T7_T9_mT8_P12ihipStream_tbDpT10_ENKUlT_T0_E_clISt17integral_constantIbLb1EES1J_EEDaS1E_S1F_EUlS1E_E_NS1_11comp_targetILNS1_3genE2ELNS1_11target_archE906ELNS1_3gpuE6ELNS1_3repE0EEENS1_30default_config_static_selectorELNS0_4arch9wavefront6targetE1EEEvT1_,"axG",@progbits,_ZN7rocprim17ROCPRIM_400000_NS6detail17trampoline_kernelINS0_14default_configENS1_25partition_config_selectorILNS1_17partition_subalgoE2EiNS0_10empty_typeEbEEZZNS1_14partition_implILS5_2ELb0ES3_jN6thrust23THRUST_200600_302600_NS6detail15normal_iteratorINSA_7pointerIiNSA_11hip_rocprim3tagENSA_11use_defaultESG_EEEEPS6_NSA_18transform_iteratorI10is_orderedNSA_12zip_iteratorINSA_5tupleINSC_INSA_10device_ptrIiEEEESQ_NSA_9null_typeESR_SR_SR_SR_SR_SR_SR_EEEESG_SG_EENS0_5tupleIJPiSJ_EEENSV_IJSJ_SJ_EEES6_PlJS6_EEE10hipError_tPvRmT3_T4_T5_T6_T7_T9_mT8_P12ihipStream_tbDpT10_ENKUlT_T0_E_clISt17integral_constantIbLb1EES1J_EEDaS1E_S1F_EUlS1E_E_NS1_11comp_targetILNS1_3genE2ELNS1_11target_archE906ELNS1_3gpuE6ELNS1_3repE0EEENS1_30default_config_static_selectorELNS0_4arch9wavefront6targetE1EEEvT1_,comdat
	.protected	_ZN7rocprim17ROCPRIM_400000_NS6detail17trampoline_kernelINS0_14default_configENS1_25partition_config_selectorILNS1_17partition_subalgoE2EiNS0_10empty_typeEbEEZZNS1_14partition_implILS5_2ELb0ES3_jN6thrust23THRUST_200600_302600_NS6detail15normal_iteratorINSA_7pointerIiNSA_11hip_rocprim3tagENSA_11use_defaultESG_EEEEPS6_NSA_18transform_iteratorI10is_orderedNSA_12zip_iteratorINSA_5tupleINSC_INSA_10device_ptrIiEEEESQ_NSA_9null_typeESR_SR_SR_SR_SR_SR_SR_EEEESG_SG_EENS0_5tupleIJPiSJ_EEENSV_IJSJ_SJ_EEES6_PlJS6_EEE10hipError_tPvRmT3_T4_T5_T6_T7_T9_mT8_P12ihipStream_tbDpT10_ENKUlT_T0_E_clISt17integral_constantIbLb1EES1J_EEDaS1E_S1F_EUlS1E_E_NS1_11comp_targetILNS1_3genE2ELNS1_11target_archE906ELNS1_3gpuE6ELNS1_3repE0EEENS1_30default_config_static_selectorELNS0_4arch9wavefront6targetE1EEEvT1_ ; -- Begin function _ZN7rocprim17ROCPRIM_400000_NS6detail17trampoline_kernelINS0_14default_configENS1_25partition_config_selectorILNS1_17partition_subalgoE2EiNS0_10empty_typeEbEEZZNS1_14partition_implILS5_2ELb0ES3_jN6thrust23THRUST_200600_302600_NS6detail15normal_iteratorINSA_7pointerIiNSA_11hip_rocprim3tagENSA_11use_defaultESG_EEEEPS6_NSA_18transform_iteratorI10is_orderedNSA_12zip_iteratorINSA_5tupleINSC_INSA_10device_ptrIiEEEESQ_NSA_9null_typeESR_SR_SR_SR_SR_SR_SR_EEEESG_SG_EENS0_5tupleIJPiSJ_EEENSV_IJSJ_SJ_EEES6_PlJS6_EEE10hipError_tPvRmT3_T4_T5_T6_T7_T9_mT8_P12ihipStream_tbDpT10_ENKUlT_T0_E_clISt17integral_constantIbLb1EES1J_EEDaS1E_S1F_EUlS1E_E_NS1_11comp_targetILNS1_3genE2ELNS1_11target_archE906ELNS1_3gpuE6ELNS1_3repE0EEENS1_30default_config_static_selectorELNS0_4arch9wavefront6targetE1EEEvT1_
	.globl	_ZN7rocprim17ROCPRIM_400000_NS6detail17trampoline_kernelINS0_14default_configENS1_25partition_config_selectorILNS1_17partition_subalgoE2EiNS0_10empty_typeEbEEZZNS1_14partition_implILS5_2ELb0ES3_jN6thrust23THRUST_200600_302600_NS6detail15normal_iteratorINSA_7pointerIiNSA_11hip_rocprim3tagENSA_11use_defaultESG_EEEEPS6_NSA_18transform_iteratorI10is_orderedNSA_12zip_iteratorINSA_5tupleINSC_INSA_10device_ptrIiEEEESQ_NSA_9null_typeESR_SR_SR_SR_SR_SR_SR_EEEESG_SG_EENS0_5tupleIJPiSJ_EEENSV_IJSJ_SJ_EEES6_PlJS6_EEE10hipError_tPvRmT3_T4_T5_T6_T7_T9_mT8_P12ihipStream_tbDpT10_ENKUlT_T0_E_clISt17integral_constantIbLb1EES1J_EEDaS1E_S1F_EUlS1E_E_NS1_11comp_targetILNS1_3genE2ELNS1_11target_archE906ELNS1_3gpuE6ELNS1_3repE0EEENS1_30default_config_static_selectorELNS0_4arch9wavefront6targetE1EEEvT1_
	.p2align	8
	.type	_ZN7rocprim17ROCPRIM_400000_NS6detail17trampoline_kernelINS0_14default_configENS1_25partition_config_selectorILNS1_17partition_subalgoE2EiNS0_10empty_typeEbEEZZNS1_14partition_implILS5_2ELb0ES3_jN6thrust23THRUST_200600_302600_NS6detail15normal_iteratorINSA_7pointerIiNSA_11hip_rocprim3tagENSA_11use_defaultESG_EEEEPS6_NSA_18transform_iteratorI10is_orderedNSA_12zip_iteratorINSA_5tupleINSC_INSA_10device_ptrIiEEEESQ_NSA_9null_typeESR_SR_SR_SR_SR_SR_SR_EEEESG_SG_EENS0_5tupleIJPiSJ_EEENSV_IJSJ_SJ_EEES6_PlJS6_EEE10hipError_tPvRmT3_T4_T5_T6_T7_T9_mT8_P12ihipStream_tbDpT10_ENKUlT_T0_E_clISt17integral_constantIbLb1EES1J_EEDaS1E_S1F_EUlS1E_E_NS1_11comp_targetILNS1_3genE2ELNS1_11target_archE906ELNS1_3gpuE6ELNS1_3repE0EEENS1_30default_config_static_selectorELNS0_4arch9wavefront6targetE1EEEvT1_,@function
_ZN7rocprim17ROCPRIM_400000_NS6detail17trampoline_kernelINS0_14default_configENS1_25partition_config_selectorILNS1_17partition_subalgoE2EiNS0_10empty_typeEbEEZZNS1_14partition_implILS5_2ELb0ES3_jN6thrust23THRUST_200600_302600_NS6detail15normal_iteratorINSA_7pointerIiNSA_11hip_rocprim3tagENSA_11use_defaultESG_EEEEPS6_NSA_18transform_iteratorI10is_orderedNSA_12zip_iteratorINSA_5tupleINSC_INSA_10device_ptrIiEEEESQ_NSA_9null_typeESR_SR_SR_SR_SR_SR_SR_EEEESG_SG_EENS0_5tupleIJPiSJ_EEENSV_IJSJ_SJ_EEES6_PlJS6_EEE10hipError_tPvRmT3_T4_T5_T6_T7_T9_mT8_P12ihipStream_tbDpT10_ENKUlT_T0_E_clISt17integral_constantIbLb1EES1J_EEDaS1E_S1F_EUlS1E_E_NS1_11comp_targetILNS1_3genE2ELNS1_11target_archE906ELNS1_3gpuE6ELNS1_3repE0EEENS1_30default_config_static_selectorELNS0_4arch9wavefront6targetE1EEEvT1_: ; @_ZN7rocprim17ROCPRIM_400000_NS6detail17trampoline_kernelINS0_14default_configENS1_25partition_config_selectorILNS1_17partition_subalgoE2EiNS0_10empty_typeEbEEZZNS1_14partition_implILS5_2ELb0ES3_jN6thrust23THRUST_200600_302600_NS6detail15normal_iteratorINSA_7pointerIiNSA_11hip_rocprim3tagENSA_11use_defaultESG_EEEEPS6_NSA_18transform_iteratorI10is_orderedNSA_12zip_iteratorINSA_5tupleINSC_INSA_10device_ptrIiEEEESQ_NSA_9null_typeESR_SR_SR_SR_SR_SR_SR_EEEESG_SG_EENS0_5tupleIJPiSJ_EEENSV_IJSJ_SJ_EEES6_PlJS6_EEE10hipError_tPvRmT3_T4_T5_T6_T7_T9_mT8_P12ihipStream_tbDpT10_ENKUlT_T0_E_clISt17integral_constantIbLb1EES1J_EEDaS1E_S1F_EUlS1E_E_NS1_11comp_targetILNS1_3genE2ELNS1_11target_archE906ELNS1_3gpuE6ELNS1_3repE0EEENS1_30default_config_static_selectorELNS0_4arch9wavefront6targetE1EEEvT1_
; %bb.0:
	.section	.rodata,"a",@progbits
	.p2align	6, 0x0
	.amdhsa_kernel _ZN7rocprim17ROCPRIM_400000_NS6detail17trampoline_kernelINS0_14default_configENS1_25partition_config_selectorILNS1_17partition_subalgoE2EiNS0_10empty_typeEbEEZZNS1_14partition_implILS5_2ELb0ES3_jN6thrust23THRUST_200600_302600_NS6detail15normal_iteratorINSA_7pointerIiNSA_11hip_rocprim3tagENSA_11use_defaultESG_EEEEPS6_NSA_18transform_iteratorI10is_orderedNSA_12zip_iteratorINSA_5tupleINSC_INSA_10device_ptrIiEEEESQ_NSA_9null_typeESR_SR_SR_SR_SR_SR_SR_EEEESG_SG_EENS0_5tupleIJPiSJ_EEENSV_IJSJ_SJ_EEES6_PlJS6_EEE10hipError_tPvRmT3_T4_T5_T6_T7_T9_mT8_P12ihipStream_tbDpT10_ENKUlT_T0_E_clISt17integral_constantIbLb1EES1J_EEDaS1E_S1F_EUlS1E_E_NS1_11comp_targetILNS1_3genE2ELNS1_11target_archE906ELNS1_3gpuE6ELNS1_3repE0EEENS1_30default_config_static_selectorELNS0_4arch9wavefront6targetE1EEEvT1_
		.amdhsa_group_segment_fixed_size 0
		.amdhsa_private_segment_fixed_size 0
		.amdhsa_kernarg_size 152
		.amdhsa_user_sgpr_count 6
		.amdhsa_user_sgpr_private_segment_buffer 1
		.amdhsa_user_sgpr_dispatch_ptr 0
		.amdhsa_user_sgpr_queue_ptr 0
		.amdhsa_user_sgpr_kernarg_segment_ptr 1
		.amdhsa_user_sgpr_dispatch_id 0
		.amdhsa_user_sgpr_flat_scratch_init 0
		.amdhsa_user_sgpr_kernarg_preload_length 0
		.amdhsa_user_sgpr_kernarg_preload_offset 0
		.amdhsa_user_sgpr_private_segment_size 0
		.amdhsa_uses_dynamic_stack 0
		.amdhsa_system_sgpr_private_segment_wavefront_offset 0
		.amdhsa_system_sgpr_workgroup_id_x 1
		.amdhsa_system_sgpr_workgroup_id_y 0
		.amdhsa_system_sgpr_workgroup_id_z 0
		.amdhsa_system_sgpr_workgroup_info 0
		.amdhsa_system_vgpr_workitem_id 0
		.amdhsa_next_free_vgpr 1
		.amdhsa_next_free_sgpr 0
		.amdhsa_accum_offset 4
		.amdhsa_reserve_vcc 0
		.amdhsa_reserve_flat_scratch 0
		.amdhsa_float_round_mode_32 0
		.amdhsa_float_round_mode_16_64 0
		.amdhsa_float_denorm_mode_32 3
		.amdhsa_float_denorm_mode_16_64 3
		.amdhsa_dx10_clamp 1
		.amdhsa_ieee_mode 1
		.amdhsa_fp16_overflow 0
		.amdhsa_tg_split 0
		.amdhsa_exception_fp_ieee_invalid_op 0
		.amdhsa_exception_fp_denorm_src 0
		.amdhsa_exception_fp_ieee_div_zero 0
		.amdhsa_exception_fp_ieee_overflow 0
		.amdhsa_exception_fp_ieee_underflow 0
		.amdhsa_exception_fp_ieee_inexact 0
		.amdhsa_exception_int_div_zero 0
	.end_amdhsa_kernel
	.section	.text._ZN7rocprim17ROCPRIM_400000_NS6detail17trampoline_kernelINS0_14default_configENS1_25partition_config_selectorILNS1_17partition_subalgoE2EiNS0_10empty_typeEbEEZZNS1_14partition_implILS5_2ELb0ES3_jN6thrust23THRUST_200600_302600_NS6detail15normal_iteratorINSA_7pointerIiNSA_11hip_rocprim3tagENSA_11use_defaultESG_EEEEPS6_NSA_18transform_iteratorI10is_orderedNSA_12zip_iteratorINSA_5tupleINSC_INSA_10device_ptrIiEEEESQ_NSA_9null_typeESR_SR_SR_SR_SR_SR_SR_EEEESG_SG_EENS0_5tupleIJPiSJ_EEENSV_IJSJ_SJ_EEES6_PlJS6_EEE10hipError_tPvRmT3_T4_T5_T6_T7_T9_mT8_P12ihipStream_tbDpT10_ENKUlT_T0_E_clISt17integral_constantIbLb1EES1J_EEDaS1E_S1F_EUlS1E_E_NS1_11comp_targetILNS1_3genE2ELNS1_11target_archE906ELNS1_3gpuE6ELNS1_3repE0EEENS1_30default_config_static_selectorELNS0_4arch9wavefront6targetE1EEEvT1_,"axG",@progbits,_ZN7rocprim17ROCPRIM_400000_NS6detail17trampoline_kernelINS0_14default_configENS1_25partition_config_selectorILNS1_17partition_subalgoE2EiNS0_10empty_typeEbEEZZNS1_14partition_implILS5_2ELb0ES3_jN6thrust23THRUST_200600_302600_NS6detail15normal_iteratorINSA_7pointerIiNSA_11hip_rocprim3tagENSA_11use_defaultESG_EEEEPS6_NSA_18transform_iteratorI10is_orderedNSA_12zip_iteratorINSA_5tupleINSC_INSA_10device_ptrIiEEEESQ_NSA_9null_typeESR_SR_SR_SR_SR_SR_SR_EEEESG_SG_EENS0_5tupleIJPiSJ_EEENSV_IJSJ_SJ_EEES6_PlJS6_EEE10hipError_tPvRmT3_T4_T5_T6_T7_T9_mT8_P12ihipStream_tbDpT10_ENKUlT_T0_E_clISt17integral_constantIbLb1EES1J_EEDaS1E_S1F_EUlS1E_E_NS1_11comp_targetILNS1_3genE2ELNS1_11target_archE906ELNS1_3gpuE6ELNS1_3repE0EEENS1_30default_config_static_selectorELNS0_4arch9wavefront6targetE1EEEvT1_,comdat
.Lfunc_end3606:
	.size	_ZN7rocprim17ROCPRIM_400000_NS6detail17trampoline_kernelINS0_14default_configENS1_25partition_config_selectorILNS1_17partition_subalgoE2EiNS0_10empty_typeEbEEZZNS1_14partition_implILS5_2ELb0ES3_jN6thrust23THRUST_200600_302600_NS6detail15normal_iteratorINSA_7pointerIiNSA_11hip_rocprim3tagENSA_11use_defaultESG_EEEEPS6_NSA_18transform_iteratorI10is_orderedNSA_12zip_iteratorINSA_5tupleINSC_INSA_10device_ptrIiEEEESQ_NSA_9null_typeESR_SR_SR_SR_SR_SR_SR_EEEESG_SG_EENS0_5tupleIJPiSJ_EEENSV_IJSJ_SJ_EEES6_PlJS6_EEE10hipError_tPvRmT3_T4_T5_T6_T7_T9_mT8_P12ihipStream_tbDpT10_ENKUlT_T0_E_clISt17integral_constantIbLb1EES1J_EEDaS1E_S1F_EUlS1E_E_NS1_11comp_targetILNS1_3genE2ELNS1_11target_archE906ELNS1_3gpuE6ELNS1_3repE0EEENS1_30default_config_static_selectorELNS0_4arch9wavefront6targetE1EEEvT1_, .Lfunc_end3606-_ZN7rocprim17ROCPRIM_400000_NS6detail17trampoline_kernelINS0_14default_configENS1_25partition_config_selectorILNS1_17partition_subalgoE2EiNS0_10empty_typeEbEEZZNS1_14partition_implILS5_2ELb0ES3_jN6thrust23THRUST_200600_302600_NS6detail15normal_iteratorINSA_7pointerIiNSA_11hip_rocprim3tagENSA_11use_defaultESG_EEEEPS6_NSA_18transform_iteratorI10is_orderedNSA_12zip_iteratorINSA_5tupleINSC_INSA_10device_ptrIiEEEESQ_NSA_9null_typeESR_SR_SR_SR_SR_SR_SR_EEEESG_SG_EENS0_5tupleIJPiSJ_EEENSV_IJSJ_SJ_EEES6_PlJS6_EEE10hipError_tPvRmT3_T4_T5_T6_T7_T9_mT8_P12ihipStream_tbDpT10_ENKUlT_T0_E_clISt17integral_constantIbLb1EES1J_EEDaS1E_S1F_EUlS1E_E_NS1_11comp_targetILNS1_3genE2ELNS1_11target_archE906ELNS1_3gpuE6ELNS1_3repE0EEENS1_30default_config_static_selectorELNS0_4arch9wavefront6targetE1EEEvT1_
                                        ; -- End function
	.section	.AMDGPU.csdata,"",@progbits
; Kernel info:
; codeLenInByte = 0
; NumSgprs: 4
; NumVgprs: 0
; NumAgprs: 0
; TotalNumVgprs: 0
; ScratchSize: 0
; MemoryBound: 0
; FloatMode: 240
; IeeeMode: 1
; LDSByteSize: 0 bytes/workgroup (compile time only)
; SGPRBlocks: 0
; VGPRBlocks: 0
; NumSGPRsForWavesPerEU: 4
; NumVGPRsForWavesPerEU: 1
; AccumOffset: 4
; Occupancy: 8
; WaveLimiterHint : 0
; COMPUTE_PGM_RSRC2:SCRATCH_EN: 0
; COMPUTE_PGM_RSRC2:USER_SGPR: 6
; COMPUTE_PGM_RSRC2:TRAP_HANDLER: 0
; COMPUTE_PGM_RSRC2:TGID_X_EN: 1
; COMPUTE_PGM_RSRC2:TGID_Y_EN: 0
; COMPUTE_PGM_RSRC2:TGID_Z_EN: 0
; COMPUTE_PGM_RSRC2:TIDIG_COMP_CNT: 0
; COMPUTE_PGM_RSRC3_GFX90A:ACCUM_OFFSET: 0
; COMPUTE_PGM_RSRC3_GFX90A:TG_SPLIT: 0
	.section	.text._ZN7rocprim17ROCPRIM_400000_NS6detail17trampoline_kernelINS0_14default_configENS1_25partition_config_selectorILNS1_17partition_subalgoE2EiNS0_10empty_typeEbEEZZNS1_14partition_implILS5_2ELb0ES3_jN6thrust23THRUST_200600_302600_NS6detail15normal_iteratorINSA_7pointerIiNSA_11hip_rocprim3tagENSA_11use_defaultESG_EEEEPS6_NSA_18transform_iteratorI10is_orderedNSA_12zip_iteratorINSA_5tupleINSC_INSA_10device_ptrIiEEEESQ_NSA_9null_typeESR_SR_SR_SR_SR_SR_SR_EEEESG_SG_EENS0_5tupleIJPiSJ_EEENSV_IJSJ_SJ_EEES6_PlJS6_EEE10hipError_tPvRmT3_T4_T5_T6_T7_T9_mT8_P12ihipStream_tbDpT10_ENKUlT_T0_E_clISt17integral_constantIbLb1EES1J_EEDaS1E_S1F_EUlS1E_E_NS1_11comp_targetILNS1_3genE10ELNS1_11target_archE1200ELNS1_3gpuE4ELNS1_3repE0EEENS1_30default_config_static_selectorELNS0_4arch9wavefront6targetE1EEEvT1_,"axG",@progbits,_ZN7rocprim17ROCPRIM_400000_NS6detail17trampoline_kernelINS0_14default_configENS1_25partition_config_selectorILNS1_17partition_subalgoE2EiNS0_10empty_typeEbEEZZNS1_14partition_implILS5_2ELb0ES3_jN6thrust23THRUST_200600_302600_NS6detail15normal_iteratorINSA_7pointerIiNSA_11hip_rocprim3tagENSA_11use_defaultESG_EEEEPS6_NSA_18transform_iteratorI10is_orderedNSA_12zip_iteratorINSA_5tupleINSC_INSA_10device_ptrIiEEEESQ_NSA_9null_typeESR_SR_SR_SR_SR_SR_SR_EEEESG_SG_EENS0_5tupleIJPiSJ_EEENSV_IJSJ_SJ_EEES6_PlJS6_EEE10hipError_tPvRmT3_T4_T5_T6_T7_T9_mT8_P12ihipStream_tbDpT10_ENKUlT_T0_E_clISt17integral_constantIbLb1EES1J_EEDaS1E_S1F_EUlS1E_E_NS1_11comp_targetILNS1_3genE10ELNS1_11target_archE1200ELNS1_3gpuE4ELNS1_3repE0EEENS1_30default_config_static_selectorELNS0_4arch9wavefront6targetE1EEEvT1_,comdat
	.protected	_ZN7rocprim17ROCPRIM_400000_NS6detail17trampoline_kernelINS0_14default_configENS1_25partition_config_selectorILNS1_17partition_subalgoE2EiNS0_10empty_typeEbEEZZNS1_14partition_implILS5_2ELb0ES3_jN6thrust23THRUST_200600_302600_NS6detail15normal_iteratorINSA_7pointerIiNSA_11hip_rocprim3tagENSA_11use_defaultESG_EEEEPS6_NSA_18transform_iteratorI10is_orderedNSA_12zip_iteratorINSA_5tupleINSC_INSA_10device_ptrIiEEEESQ_NSA_9null_typeESR_SR_SR_SR_SR_SR_SR_EEEESG_SG_EENS0_5tupleIJPiSJ_EEENSV_IJSJ_SJ_EEES6_PlJS6_EEE10hipError_tPvRmT3_T4_T5_T6_T7_T9_mT8_P12ihipStream_tbDpT10_ENKUlT_T0_E_clISt17integral_constantIbLb1EES1J_EEDaS1E_S1F_EUlS1E_E_NS1_11comp_targetILNS1_3genE10ELNS1_11target_archE1200ELNS1_3gpuE4ELNS1_3repE0EEENS1_30default_config_static_selectorELNS0_4arch9wavefront6targetE1EEEvT1_ ; -- Begin function _ZN7rocprim17ROCPRIM_400000_NS6detail17trampoline_kernelINS0_14default_configENS1_25partition_config_selectorILNS1_17partition_subalgoE2EiNS0_10empty_typeEbEEZZNS1_14partition_implILS5_2ELb0ES3_jN6thrust23THRUST_200600_302600_NS6detail15normal_iteratorINSA_7pointerIiNSA_11hip_rocprim3tagENSA_11use_defaultESG_EEEEPS6_NSA_18transform_iteratorI10is_orderedNSA_12zip_iteratorINSA_5tupleINSC_INSA_10device_ptrIiEEEESQ_NSA_9null_typeESR_SR_SR_SR_SR_SR_SR_EEEESG_SG_EENS0_5tupleIJPiSJ_EEENSV_IJSJ_SJ_EEES6_PlJS6_EEE10hipError_tPvRmT3_T4_T5_T6_T7_T9_mT8_P12ihipStream_tbDpT10_ENKUlT_T0_E_clISt17integral_constantIbLb1EES1J_EEDaS1E_S1F_EUlS1E_E_NS1_11comp_targetILNS1_3genE10ELNS1_11target_archE1200ELNS1_3gpuE4ELNS1_3repE0EEENS1_30default_config_static_selectorELNS0_4arch9wavefront6targetE1EEEvT1_
	.globl	_ZN7rocprim17ROCPRIM_400000_NS6detail17trampoline_kernelINS0_14default_configENS1_25partition_config_selectorILNS1_17partition_subalgoE2EiNS0_10empty_typeEbEEZZNS1_14partition_implILS5_2ELb0ES3_jN6thrust23THRUST_200600_302600_NS6detail15normal_iteratorINSA_7pointerIiNSA_11hip_rocprim3tagENSA_11use_defaultESG_EEEEPS6_NSA_18transform_iteratorI10is_orderedNSA_12zip_iteratorINSA_5tupleINSC_INSA_10device_ptrIiEEEESQ_NSA_9null_typeESR_SR_SR_SR_SR_SR_SR_EEEESG_SG_EENS0_5tupleIJPiSJ_EEENSV_IJSJ_SJ_EEES6_PlJS6_EEE10hipError_tPvRmT3_T4_T5_T6_T7_T9_mT8_P12ihipStream_tbDpT10_ENKUlT_T0_E_clISt17integral_constantIbLb1EES1J_EEDaS1E_S1F_EUlS1E_E_NS1_11comp_targetILNS1_3genE10ELNS1_11target_archE1200ELNS1_3gpuE4ELNS1_3repE0EEENS1_30default_config_static_selectorELNS0_4arch9wavefront6targetE1EEEvT1_
	.p2align	8
	.type	_ZN7rocprim17ROCPRIM_400000_NS6detail17trampoline_kernelINS0_14default_configENS1_25partition_config_selectorILNS1_17partition_subalgoE2EiNS0_10empty_typeEbEEZZNS1_14partition_implILS5_2ELb0ES3_jN6thrust23THRUST_200600_302600_NS6detail15normal_iteratorINSA_7pointerIiNSA_11hip_rocprim3tagENSA_11use_defaultESG_EEEEPS6_NSA_18transform_iteratorI10is_orderedNSA_12zip_iteratorINSA_5tupleINSC_INSA_10device_ptrIiEEEESQ_NSA_9null_typeESR_SR_SR_SR_SR_SR_SR_EEEESG_SG_EENS0_5tupleIJPiSJ_EEENSV_IJSJ_SJ_EEES6_PlJS6_EEE10hipError_tPvRmT3_T4_T5_T6_T7_T9_mT8_P12ihipStream_tbDpT10_ENKUlT_T0_E_clISt17integral_constantIbLb1EES1J_EEDaS1E_S1F_EUlS1E_E_NS1_11comp_targetILNS1_3genE10ELNS1_11target_archE1200ELNS1_3gpuE4ELNS1_3repE0EEENS1_30default_config_static_selectorELNS0_4arch9wavefront6targetE1EEEvT1_,@function
_ZN7rocprim17ROCPRIM_400000_NS6detail17trampoline_kernelINS0_14default_configENS1_25partition_config_selectorILNS1_17partition_subalgoE2EiNS0_10empty_typeEbEEZZNS1_14partition_implILS5_2ELb0ES3_jN6thrust23THRUST_200600_302600_NS6detail15normal_iteratorINSA_7pointerIiNSA_11hip_rocprim3tagENSA_11use_defaultESG_EEEEPS6_NSA_18transform_iteratorI10is_orderedNSA_12zip_iteratorINSA_5tupleINSC_INSA_10device_ptrIiEEEESQ_NSA_9null_typeESR_SR_SR_SR_SR_SR_SR_EEEESG_SG_EENS0_5tupleIJPiSJ_EEENSV_IJSJ_SJ_EEES6_PlJS6_EEE10hipError_tPvRmT3_T4_T5_T6_T7_T9_mT8_P12ihipStream_tbDpT10_ENKUlT_T0_E_clISt17integral_constantIbLb1EES1J_EEDaS1E_S1F_EUlS1E_E_NS1_11comp_targetILNS1_3genE10ELNS1_11target_archE1200ELNS1_3gpuE4ELNS1_3repE0EEENS1_30default_config_static_selectorELNS0_4arch9wavefront6targetE1EEEvT1_: ; @_ZN7rocprim17ROCPRIM_400000_NS6detail17trampoline_kernelINS0_14default_configENS1_25partition_config_selectorILNS1_17partition_subalgoE2EiNS0_10empty_typeEbEEZZNS1_14partition_implILS5_2ELb0ES3_jN6thrust23THRUST_200600_302600_NS6detail15normal_iteratorINSA_7pointerIiNSA_11hip_rocprim3tagENSA_11use_defaultESG_EEEEPS6_NSA_18transform_iteratorI10is_orderedNSA_12zip_iteratorINSA_5tupleINSC_INSA_10device_ptrIiEEEESQ_NSA_9null_typeESR_SR_SR_SR_SR_SR_SR_EEEESG_SG_EENS0_5tupleIJPiSJ_EEENSV_IJSJ_SJ_EEES6_PlJS6_EEE10hipError_tPvRmT3_T4_T5_T6_T7_T9_mT8_P12ihipStream_tbDpT10_ENKUlT_T0_E_clISt17integral_constantIbLb1EES1J_EEDaS1E_S1F_EUlS1E_E_NS1_11comp_targetILNS1_3genE10ELNS1_11target_archE1200ELNS1_3gpuE4ELNS1_3repE0EEENS1_30default_config_static_selectorELNS0_4arch9wavefront6targetE1EEEvT1_
; %bb.0:
	.section	.rodata,"a",@progbits
	.p2align	6, 0x0
	.amdhsa_kernel _ZN7rocprim17ROCPRIM_400000_NS6detail17trampoline_kernelINS0_14default_configENS1_25partition_config_selectorILNS1_17partition_subalgoE2EiNS0_10empty_typeEbEEZZNS1_14partition_implILS5_2ELb0ES3_jN6thrust23THRUST_200600_302600_NS6detail15normal_iteratorINSA_7pointerIiNSA_11hip_rocprim3tagENSA_11use_defaultESG_EEEEPS6_NSA_18transform_iteratorI10is_orderedNSA_12zip_iteratorINSA_5tupleINSC_INSA_10device_ptrIiEEEESQ_NSA_9null_typeESR_SR_SR_SR_SR_SR_SR_EEEESG_SG_EENS0_5tupleIJPiSJ_EEENSV_IJSJ_SJ_EEES6_PlJS6_EEE10hipError_tPvRmT3_T4_T5_T6_T7_T9_mT8_P12ihipStream_tbDpT10_ENKUlT_T0_E_clISt17integral_constantIbLb1EES1J_EEDaS1E_S1F_EUlS1E_E_NS1_11comp_targetILNS1_3genE10ELNS1_11target_archE1200ELNS1_3gpuE4ELNS1_3repE0EEENS1_30default_config_static_selectorELNS0_4arch9wavefront6targetE1EEEvT1_
		.amdhsa_group_segment_fixed_size 0
		.amdhsa_private_segment_fixed_size 0
		.amdhsa_kernarg_size 152
		.amdhsa_user_sgpr_count 6
		.amdhsa_user_sgpr_private_segment_buffer 1
		.amdhsa_user_sgpr_dispatch_ptr 0
		.amdhsa_user_sgpr_queue_ptr 0
		.amdhsa_user_sgpr_kernarg_segment_ptr 1
		.amdhsa_user_sgpr_dispatch_id 0
		.amdhsa_user_sgpr_flat_scratch_init 0
		.amdhsa_user_sgpr_kernarg_preload_length 0
		.amdhsa_user_sgpr_kernarg_preload_offset 0
		.amdhsa_user_sgpr_private_segment_size 0
		.amdhsa_uses_dynamic_stack 0
		.amdhsa_system_sgpr_private_segment_wavefront_offset 0
		.amdhsa_system_sgpr_workgroup_id_x 1
		.amdhsa_system_sgpr_workgroup_id_y 0
		.amdhsa_system_sgpr_workgroup_id_z 0
		.amdhsa_system_sgpr_workgroup_info 0
		.amdhsa_system_vgpr_workitem_id 0
		.amdhsa_next_free_vgpr 1
		.amdhsa_next_free_sgpr 0
		.amdhsa_accum_offset 4
		.amdhsa_reserve_vcc 0
		.amdhsa_reserve_flat_scratch 0
		.amdhsa_float_round_mode_32 0
		.amdhsa_float_round_mode_16_64 0
		.amdhsa_float_denorm_mode_32 3
		.amdhsa_float_denorm_mode_16_64 3
		.amdhsa_dx10_clamp 1
		.amdhsa_ieee_mode 1
		.amdhsa_fp16_overflow 0
		.amdhsa_tg_split 0
		.amdhsa_exception_fp_ieee_invalid_op 0
		.amdhsa_exception_fp_denorm_src 0
		.amdhsa_exception_fp_ieee_div_zero 0
		.amdhsa_exception_fp_ieee_overflow 0
		.amdhsa_exception_fp_ieee_underflow 0
		.amdhsa_exception_fp_ieee_inexact 0
		.amdhsa_exception_int_div_zero 0
	.end_amdhsa_kernel
	.section	.text._ZN7rocprim17ROCPRIM_400000_NS6detail17trampoline_kernelINS0_14default_configENS1_25partition_config_selectorILNS1_17partition_subalgoE2EiNS0_10empty_typeEbEEZZNS1_14partition_implILS5_2ELb0ES3_jN6thrust23THRUST_200600_302600_NS6detail15normal_iteratorINSA_7pointerIiNSA_11hip_rocprim3tagENSA_11use_defaultESG_EEEEPS6_NSA_18transform_iteratorI10is_orderedNSA_12zip_iteratorINSA_5tupleINSC_INSA_10device_ptrIiEEEESQ_NSA_9null_typeESR_SR_SR_SR_SR_SR_SR_EEEESG_SG_EENS0_5tupleIJPiSJ_EEENSV_IJSJ_SJ_EEES6_PlJS6_EEE10hipError_tPvRmT3_T4_T5_T6_T7_T9_mT8_P12ihipStream_tbDpT10_ENKUlT_T0_E_clISt17integral_constantIbLb1EES1J_EEDaS1E_S1F_EUlS1E_E_NS1_11comp_targetILNS1_3genE10ELNS1_11target_archE1200ELNS1_3gpuE4ELNS1_3repE0EEENS1_30default_config_static_selectorELNS0_4arch9wavefront6targetE1EEEvT1_,"axG",@progbits,_ZN7rocprim17ROCPRIM_400000_NS6detail17trampoline_kernelINS0_14default_configENS1_25partition_config_selectorILNS1_17partition_subalgoE2EiNS0_10empty_typeEbEEZZNS1_14partition_implILS5_2ELb0ES3_jN6thrust23THRUST_200600_302600_NS6detail15normal_iteratorINSA_7pointerIiNSA_11hip_rocprim3tagENSA_11use_defaultESG_EEEEPS6_NSA_18transform_iteratorI10is_orderedNSA_12zip_iteratorINSA_5tupleINSC_INSA_10device_ptrIiEEEESQ_NSA_9null_typeESR_SR_SR_SR_SR_SR_SR_EEEESG_SG_EENS0_5tupleIJPiSJ_EEENSV_IJSJ_SJ_EEES6_PlJS6_EEE10hipError_tPvRmT3_T4_T5_T6_T7_T9_mT8_P12ihipStream_tbDpT10_ENKUlT_T0_E_clISt17integral_constantIbLb1EES1J_EEDaS1E_S1F_EUlS1E_E_NS1_11comp_targetILNS1_3genE10ELNS1_11target_archE1200ELNS1_3gpuE4ELNS1_3repE0EEENS1_30default_config_static_selectorELNS0_4arch9wavefront6targetE1EEEvT1_,comdat
.Lfunc_end3607:
	.size	_ZN7rocprim17ROCPRIM_400000_NS6detail17trampoline_kernelINS0_14default_configENS1_25partition_config_selectorILNS1_17partition_subalgoE2EiNS0_10empty_typeEbEEZZNS1_14partition_implILS5_2ELb0ES3_jN6thrust23THRUST_200600_302600_NS6detail15normal_iteratorINSA_7pointerIiNSA_11hip_rocprim3tagENSA_11use_defaultESG_EEEEPS6_NSA_18transform_iteratorI10is_orderedNSA_12zip_iteratorINSA_5tupleINSC_INSA_10device_ptrIiEEEESQ_NSA_9null_typeESR_SR_SR_SR_SR_SR_SR_EEEESG_SG_EENS0_5tupleIJPiSJ_EEENSV_IJSJ_SJ_EEES6_PlJS6_EEE10hipError_tPvRmT3_T4_T5_T6_T7_T9_mT8_P12ihipStream_tbDpT10_ENKUlT_T0_E_clISt17integral_constantIbLb1EES1J_EEDaS1E_S1F_EUlS1E_E_NS1_11comp_targetILNS1_3genE10ELNS1_11target_archE1200ELNS1_3gpuE4ELNS1_3repE0EEENS1_30default_config_static_selectorELNS0_4arch9wavefront6targetE1EEEvT1_, .Lfunc_end3607-_ZN7rocprim17ROCPRIM_400000_NS6detail17trampoline_kernelINS0_14default_configENS1_25partition_config_selectorILNS1_17partition_subalgoE2EiNS0_10empty_typeEbEEZZNS1_14partition_implILS5_2ELb0ES3_jN6thrust23THRUST_200600_302600_NS6detail15normal_iteratorINSA_7pointerIiNSA_11hip_rocprim3tagENSA_11use_defaultESG_EEEEPS6_NSA_18transform_iteratorI10is_orderedNSA_12zip_iteratorINSA_5tupleINSC_INSA_10device_ptrIiEEEESQ_NSA_9null_typeESR_SR_SR_SR_SR_SR_SR_EEEESG_SG_EENS0_5tupleIJPiSJ_EEENSV_IJSJ_SJ_EEES6_PlJS6_EEE10hipError_tPvRmT3_T4_T5_T6_T7_T9_mT8_P12ihipStream_tbDpT10_ENKUlT_T0_E_clISt17integral_constantIbLb1EES1J_EEDaS1E_S1F_EUlS1E_E_NS1_11comp_targetILNS1_3genE10ELNS1_11target_archE1200ELNS1_3gpuE4ELNS1_3repE0EEENS1_30default_config_static_selectorELNS0_4arch9wavefront6targetE1EEEvT1_
                                        ; -- End function
	.section	.AMDGPU.csdata,"",@progbits
; Kernel info:
; codeLenInByte = 0
; NumSgprs: 4
; NumVgprs: 0
; NumAgprs: 0
; TotalNumVgprs: 0
; ScratchSize: 0
; MemoryBound: 0
; FloatMode: 240
; IeeeMode: 1
; LDSByteSize: 0 bytes/workgroup (compile time only)
; SGPRBlocks: 0
; VGPRBlocks: 0
; NumSGPRsForWavesPerEU: 4
; NumVGPRsForWavesPerEU: 1
; AccumOffset: 4
; Occupancy: 8
; WaveLimiterHint : 0
; COMPUTE_PGM_RSRC2:SCRATCH_EN: 0
; COMPUTE_PGM_RSRC2:USER_SGPR: 6
; COMPUTE_PGM_RSRC2:TRAP_HANDLER: 0
; COMPUTE_PGM_RSRC2:TGID_X_EN: 1
; COMPUTE_PGM_RSRC2:TGID_Y_EN: 0
; COMPUTE_PGM_RSRC2:TGID_Z_EN: 0
; COMPUTE_PGM_RSRC2:TIDIG_COMP_CNT: 0
; COMPUTE_PGM_RSRC3_GFX90A:ACCUM_OFFSET: 0
; COMPUTE_PGM_RSRC3_GFX90A:TG_SPLIT: 0
	.section	.text._ZN7rocprim17ROCPRIM_400000_NS6detail17trampoline_kernelINS0_14default_configENS1_25partition_config_selectorILNS1_17partition_subalgoE2EiNS0_10empty_typeEbEEZZNS1_14partition_implILS5_2ELb0ES3_jN6thrust23THRUST_200600_302600_NS6detail15normal_iteratorINSA_7pointerIiNSA_11hip_rocprim3tagENSA_11use_defaultESG_EEEEPS6_NSA_18transform_iteratorI10is_orderedNSA_12zip_iteratorINSA_5tupleINSC_INSA_10device_ptrIiEEEESQ_NSA_9null_typeESR_SR_SR_SR_SR_SR_SR_EEEESG_SG_EENS0_5tupleIJPiSJ_EEENSV_IJSJ_SJ_EEES6_PlJS6_EEE10hipError_tPvRmT3_T4_T5_T6_T7_T9_mT8_P12ihipStream_tbDpT10_ENKUlT_T0_E_clISt17integral_constantIbLb1EES1J_EEDaS1E_S1F_EUlS1E_E_NS1_11comp_targetILNS1_3genE9ELNS1_11target_archE1100ELNS1_3gpuE3ELNS1_3repE0EEENS1_30default_config_static_selectorELNS0_4arch9wavefront6targetE1EEEvT1_,"axG",@progbits,_ZN7rocprim17ROCPRIM_400000_NS6detail17trampoline_kernelINS0_14default_configENS1_25partition_config_selectorILNS1_17partition_subalgoE2EiNS0_10empty_typeEbEEZZNS1_14partition_implILS5_2ELb0ES3_jN6thrust23THRUST_200600_302600_NS6detail15normal_iteratorINSA_7pointerIiNSA_11hip_rocprim3tagENSA_11use_defaultESG_EEEEPS6_NSA_18transform_iteratorI10is_orderedNSA_12zip_iteratorINSA_5tupleINSC_INSA_10device_ptrIiEEEESQ_NSA_9null_typeESR_SR_SR_SR_SR_SR_SR_EEEESG_SG_EENS0_5tupleIJPiSJ_EEENSV_IJSJ_SJ_EEES6_PlJS6_EEE10hipError_tPvRmT3_T4_T5_T6_T7_T9_mT8_P12ihipStream_tbDpT10_ENKUlT_T0_E_clISt17integral_constantIbLb1EES1J_EEDaS1E_S1F_EUlS1E_E_NS1_11comp_targetILNS1_3genE9ELNS1_11target_archE1100ELNS1_3gpuE3ELNS1_3repE0EEENS1_30default_config_static_selectorELNS0_4arch9wavefront6targetE1EEEvT1_,comdat
	.protected	_ZN7rocprim17ROCPRIM_400000_NS6detail17trampoline_kernelINS0_14default_configENS1_25partition_config_selectorILNS1_17partition_subalgoE2EiNS0_10empty_typeEbEEZZNS1_14partition_implILS5_2ELb0ES3_jN6thrust23THRUST_200600_302600_NS6detail15normal_iteratorINSA_7pointerIiNSA_11hip_rocprim3tagENSA_11use_defaultESG_EEEEPS6_NSA_18transform_iteratorI10is_orderedNSA_12zip_iteratorINSA_5tupleINSC_INSA_10device_ptrIiEEEESQ_NSA_9null_typeESR_SR_SR_SR_SR_SR_SR_EEEESG_SG_EENS0_5tupleIJPiSJ_EEENSV_IJSJ_SJ_EEES6_PlJS6_EEE10hipError_tPvRmT3_T4_T5_T6_T7_T9_mT8_P12ihipStream_tbDpT10_ENKUlT_T0_E_clISt17integral_constantIbLb1EES1J_EEDaS1E_S1F_EUlS1E_E_NS1_11comp_targetILNS1_3genE9ELNS1_11target_archE1100ELNS1_3gpuE3ELNS1_3repE0EEENS1_30default_config_static_selectorELNS0_4arch9wavefront6targetE1EEEvT1_ ; -- Begin function _ZN7rocprim17ROCPRIM_400000_NS6detail17trampoline_kernelINS0_14default_configENS1_25partition_config_selectorILNS1_17partition_subalgoE2EiNS0_10empty_typeEbEEZZNS1_14partition_implILS5_2ELb0ES3_jN6thrust23THRUST_200600_302600_NS6detail15normal_iteratorINSA_7pointerIiNSA_11hip_rocprim3tagENSA_11use_defaultESG_EEEEPS6_NSA_18transform_iteratorI10is_orderedNSA_12zip_iteratorINSA_5tupleINSC_INSA_10device_ptrIiEEEESQ_NSA_9null_typeESR_SR_SR_SR_SR_SR_SR_EEEESG_SG_EENS0_5tupleIJPiSJ_EEENSV_IJSJ_SJ_EEES6_PlJS6_EEE10hipError_tPvRmT3_T4_T5_T6_T7_T9_mT8_P12ihipStream_tbDpT10_ENKUlT_T0_E_clISt17integral_constantIbLb1EES1J_EEDaS1E_S1F_EUlS1E_E_NS1_11comp_targetILNS1_3genE9ELNS1_11target_archE1100ELNS1_3gpuE3ELNS1_3repE0EEENS1_30default_config_static_selectorELNS0_4arch9wavefront6targetE1EEEvT1_
	.globl	_ZN7rocprim17ROCPRIM_400000_NS6detail17trampoline_kernelINS0_14default_configENS1_25partition_config_selectorILNS1_17partition_subalgoE2EiNS0_10empty_typeEbEEZZNS1_14partition_implILS5_2ELb0ES3_jN6thrust23THRUST_200600_302600_NS6detail15normal_iteratorINSA_7pointerIiNSA_11hip_rocprim3tagENSA_11use_defaultESG_EEEEPS6_NSA_18transform_iteratorI10is_orderedNSA_12zip_iteratorINSA_5tupleINSC_INSA_10device_ptrIiEEEESQ_NSA_9null_typeESR_SR_SR_SR_SR_SR_SR_EEEESG_SG_EENS0_5tupleIJPiSJ_EEENSV_IJSJ_SJ_EEES6_PlJS6_EEE10hipError_tPvRmT3_T4_T5_T6_T7_T9_mT8_P12ihipStream_tbDpT10_ENKUlT_T0_E_clISt17integral_constantIbLb1EES1J_EEDaS1E_S1F_EUlS1E_E_NS1_11comp_targetILNS1_3genE9ELNS1_11target_archE1100ELNS1_3gpuE3ELNS1_3repE0EEENS1_30default_config_static_selectorELNS0_4arch9wavefront6targetE1EEEvT1_
	.p2align	8
	.type	_ZN7rocprim17ROCPRIM_400000_NS6detail17trampoline_kernelINS0_14default_configENS1_25partition_config_selectorILNS1_17partition_subalgoE2EiNS0_10empty_typeEbEEZZNS1_14partition_implILS5_2ELb0ES3_jN6thrust23THRUST_200600_302600_NS6detail15normal_iteratorINSA_7pointerIiNSA_11hip_rocprim3tagENSA_11use_defaultESG_EEEEPS6_NSA_18transform_iteratorI10is_orderedNSA_12zip_iteratorINSA_5tupleINSC_INSA_10device_ptrIiEEEESQ_NSA_9null_typeESR_SR_SR_SR_SR_SR_SR_EEEESG_SG_EENS0_5tupleIJPiSJ_EEENSV_IJSJ_SJ_EEES6_PlJS6_EEE10hipError_tPvRmT3_T4_T5_T6_T7_T9_mT8_P12ihipStream_tbDpT10_ENKUlT_T0_E_clISt17integral_constantIbLb1EES1J_EEDaS1E_S1F_EUlS1E_E_NS1_11comp_targetILNS1_3genE9ELNS1_11target_archE1100ELNS1_3gpuE3ELNS1_3repE0EEENS1_30default_config_static_selectorELNS0_4arch9wavefront6targetE1EEEvT1_,@function
_ZN7rocprim17ROCPRIM_400000_NS6detail17trampoline_kernelINS0_14default_configENS1_25partition_config_selectorILNS1_17partition_subalgoE2EiNS0_10empty_typeEbEEZZNS1_14partition_implILS5_2ELb0ES3_jN6thrust23THRUST_200600_302600_NS6detail15normal_iteratorINSA_7pointerIiNSA_11hip_rocprim3tagENSA_11use_defaultESG_EEEEPS6_NSA_18transform_iteratorI10is_orderedNSA_12zip_iteratorINSA_5tupleINSC_INSA_10device_ptrIiEEEESQ_NSA_9null_typeESR_SR_SR_SR_SR_SR_SR_EEEESG_SG_EENS0_5tupleIJPiSJ_EEENSV_IJSJ_SJ_EEES6_PlJS6_EEE10hipError_tPvRmT3_T4_T5_T6_T7_T9_mT8_P12ihipStream_tbDpT10_ENKUlT_T0_E_clISt17integral_constantIbLb1EES1J_EEDaS1E_S1F_EUlS1E_E_NS1_11comp_targetILNS1_3genE9ELNS1_11target_archE1100ELNS1_3gpuE3ELNS1_3repE0EEENS1_30default_config_static_selectorELNS0_4arch9wavefront6targetE1EEEvT1_: ; @_ZN7rocprim17ROCPRIM_400000_NS6detail17trampoline_kernelINS0_14default_configENS1_25partition_config_selectorILNS1_17partition_subalgoE2EiNS0_10empty_typeEbEEZZNS1_14partition_implILS5_2ELb0ES3_jN6thrust23THRUST_200600_302600_NS6detail15normal_iteratorINSA_7pointerIiNSA_11hip_rocprim3tagENSA_11use_defaultESG_EEEEPS6_NSA_18transform_iteratorI10is_orderedNSA_12zip_iteratorINSA_5tupleINSC_INSA_10device_ptrIiEEEESQ_NSA_9null_typeESR_SR_SR_SR_SR_SR_SR_EEEESG_SG_EENS0_5tupleIJPiSJ_EEENSV_IJSJ_SJ_EEES6_PlJS6_EEE10hipError_tPvRmT3_T4_T5_T6_T7_T9_mT8_P12ihipStream_tbDpT10_ENKUlT_T0_E_clISt17integral_constantIbLb1EES1J_EEDaS1E_S1F_EUlS1E_E_NS1_11comp_targetILNS1_3genE9ELNS1_11target_archE1100ELNS1_3gpuE3ELNS1_3repE0EEENS1_30default_config_static_selectorELNS0_4arch9wavefront6targetE1EEEvT1_
; %bb.0:
	.section	.rodata,"a",@progbits
	.p2align	6, 0x0
	.amdhsa_kernel _ZN7rocprim17ROCPRIM_400000_NS6detail17trampoline_kernelINS0_14default_configENS1_25partition_config_selectorILNS1_17partition_subalgoE2EiNS0_10empty_typeEbEEZZNS1_14partition_implILS5_2ELb0ES3_jN6thrust23THRUST_200600_302600_NS6detail15normal_iteratorINSA_7pointerIiNSA_11hip_rocprim3tagENSA_11use_defaultESG_EEEEPS6_NSA_18transform_iteratorI10is_orderedNSA_12zip_iteratorINSA_5tupleINSC_INSA_10device_ptrIiEEEESQ_NSA_9null_typeESR_SR_SR_SR_SR_SR_SR_EEEESG_SG_EENS0_5tupleIJPiSJ_EEENSV_IJSJ_SJ_EEES6_PlJS6_EEE10hipError_tPvRmT3_T4_T5_T6_T7_T9_mT8_P12ihipStream_tbDpT10_ENKUlT_T0_E_clISt17integral_constantIbLb1EES1J_EEDaS1E_S1F_EUlS1E_E_NS1_11comp_targetILNS1_3genE9ELNS1_11target_archE1100ELNS1_3gpuE3ELNS1_3repE0EEENS1_30default_config_static_selectorELNS0_4arch9wavefront6targetE1EEEvT1_
		.amdhsa_group_segment_fixed_size 0
		.amdhsa_private_segment_fixed_size 0
		.amdhsa_kernarg_size 152
		.amdhsa_user_sgpr_count 6
		.amdhsa_user_sgpr_private_segment_buffer 1
		.amdhsa_user_sgpr_dispatch_ptr 0
		.amdhsa_user_sgpr_queue_ptr 0
		.amdhsa_user_sgpr_kernarg_segment_ptr 1
		.amdhsa_user_sgpr_dispatch_id 0
		.amdhsa_user_sgpr_flat_scratch_init 0
		.amdhsa_user_sgpr_kernarg_preload_length 0
		.amdhsa_user_sgpr_kernarg_preload_offset 0
		.amdhsa_user_sgpr_private_segment_size 0
		.amdhsa_uses_dynamic_stack 0
		.amdhsa_system_sgpr_private_segment_wavefront_offset 0
		.amdhsa_system_sgpr_workgroup_id_x 1
		.amdhsa_system_sgpr_workgroup_id_y 0
		.amdhsa_system_sgpr_workgroup_id_z 0
		.amdhsa_system_sgpr_workgroup_info 0
		.amdhsa_system_vgpr_workitem_id 0
		.amdhsa_next_free_vgpr 1
		.amdhsa_next_free_sgpr 0
		.amdhsa_accum_offset 4
		.amdhsa_reserve_vcc 0
		.amdhsa_reserve_flat_scratch 0
		.amdhsa_float_round_mode_32 0
		.amdhsa_float_round_mode_16_64 0
		.amdhsa_float_denorm_mode_32 3
		.amdhsa_float_denorm_mode_16_64 3
		.amdhsa_dx10_clamp 1
		.amdhsa_ieee_mode 1
		.amdhsa_fp16_overflow 0
		.amdhsa_tg_split 0
		.amdhsa_exception_fp_ieee_invalid_op 0
		.amdhsa_exception_fp_denorm_src 0
		.amdhsa_exception_fp_ieee_div_zero 0
		.amdhsa_exception_fp_ieee_overflow 0
		.amdhsa_exception_fp_ieee_underflow 0
		.amdhsa_exception_fp_ieee_inexact 0
		.amdhsa_exception_int_div_zero 0
	.end_amdhsa_kernel
	.section	.text._ZN7rocprim17ROCPRIM_400000_NS6detail17trampoline_kernelINS0_14default_configENS1_25partition_config_selectorILNS1_17partition_subalgoE2EiNS0_10empty_typeEbEEZZNS1_14partition_implILS5_2ELb0ES3_jN6thrust23THRUST_200600_302600_NS6detail15normal_iteratorINSA_7pointerIiNSA_11hip_rocprim3tagENSA_11use_defaultESG_EEEEPS6_NSA_18transform_iteratorI10is_orderedNSA_12zip_iteratorINSA_5tupleINSC_INSA_10device_ptrIiEEEESQ_NSA_9null_typeESR_SR_SR_SR_SR_SR_SR_EEEESG_SG_EENS0_5tupleIJPiSJ_EEENSV_IJSJ_SJ_EEES6_PlJS6_EEE10hipError_tPvRmT3_T4_T5_T6_T7_T9_mT8_P12ihipStream_tbDpT10_ENKUlT_T0_E_clISt17integral_constantIbLb1EES1J_EEDaS1E_S1F_EUlS1E_E_NS1_11comp_targetILNS1_3genE9ELNS1_11target_archE1100ELNS1_3gpuE3ELNS1_3repE0EEENS1_30default_config_static_selectorELNS0_4arch9wavefront6targetE1EEEvT1_,"axG",@progbits,_ZN7rocprim17ROCPRIM_400000_NS6detail17trampoline_kernelINS0_14default_configENS1_25partition_config_selectorILNS1_17partition_subalgoE2EiNS0_10empty_typeEbEEZZNS1_14partition_implILS5_2ELb0ES3_jN6thrust23THRUST_200600_302600_NS6detail15normal_iteratorINSA_7pointerIiNSA_11hip_rocprim3tagENSA_11use_defaultESG_EEEEPS6_NSA_18transform_iteratorI10is_orderedNSA_12zip_iteratorINSA_5tupleINSC_INSA_10device_ptrIiEEEESQ_NSA_9null_typeESR_SR_SR_SR_SR_SR_SR_EEEESG_SG_EENS0_5tupleIJPiSJ_EEENSV_IJSJ_SJ_EEES6_PlJS6_EEE10hipError_tPvRmT3_T4_T5_T6_T7_T9_mT8_P12ihipStream_tbDpT10_ENKUlT_T0_E_clISt17integral_constantIbLb1EES1J_EEDaS1E_S1F_EUlS1E_E_NS1_11comp_targetILNS1_3genE9ELNS1_11target_archE1100ELNS1_3gpuE3ELNS1_3repE0EEENS1_30default_config_static_selectorELNS0_4arch9wavefront6targetE1EEEvT1_,comdat
.Lfunc_end3608:
	.size	_ZN7rocprim17ROCPRIM_400000_NS6detail17trampoline_kernelINS0_14default_configENS1_25partition_config_selectorILNS1_17partition_subalgoE2EiNS0_10empty_typeEbEEZZNS1_14partition_implILS5_2ELb0ES3_jN6thrust23THRUST_200600_302600_NS6detail15normal_iteratorINSA_7pointerIiNSA_11hip_rocprim3tagENSA_11use_defaultESG_EEEEPS6_NSA_18transform_iteratorI10is_orderedNSA_12zip_iteratorINSA_5tupleINSC_INSA_10device_ptrIiEEEESQ_NSA_9null_typeESR_SR_SR_SR_SR_SR_SR_EEEESG_SG_EENS0_5tupleIJPiSJ_EEENSV_IJSJ_SJ_EEES6_PlJS6_EEE10hipError_tPvRmT3_T4_T5_T6_T7_T9_mT8_P12ihipStream_tbDpT10_ENKUlT_T0_E_clISt17integral_constantIbLb1EES1J_EEDaS1E_S1F_EUlS1E_E_NS1_11comp_targetILNS1_3genE9ELNS1_11target_archE1100ELNS1_3gpuE3ELNS1_3repE0EEENS1_30default_config_static_selectorELNS0_4arch9wavefront6targetE1EEEvT1_, .Lfunc_end3608-_ZN7rocprim17ROCPRIM_400000_NS6detail17trampoline_kernelINS0_14default_configENS1_25partition_config_selectorILNS1_17partition_subalgoE2EiNS0_10empty_typeEbEEZZNS1_14partition_implILS5_2ELb0ES3_jN6thrust23THRUST_200600_302600_NS6detail15normal_iteratorINSA_7pointerIiNSA_11hip_rocprim3tagENSA_11use_defaultESG_EEEEPS6_NSA_18transform_iteratorI10is_orderedNSA_12zip_iteratorINSA_5tupleINSC_INSA_10device_ptrIiEEEESQ_NSA_9null_typeESR_SR_SR_SR_SR_SR_SR_EEEESG_SG_EENS0_5tupleIJPiSJ_EEENSV_IJSJ_SJ_EEES6_PlJS6_EEE10hipError_tPvRmT3_T4_T5_T6_T7_T9_mT8_P12ihipStream_tbDpT10_ENKUlT_T0_E_clISt17integral_constantIbLb1EES1J_EEDaS1E_S1F_EUlS1E_E_NS1_11comp_targetILNS1_3genE9ELNS1_11target_archE1100ELNS1_3gpuE3ELNS1_3repE0EEENS1_30default_config_static_selectorELNS0_4arch9wavefront6targetE1EEEvT1_
                                        ; -- End function
	.section	.AMDGPU.csdata,"",@progbits
; Kernel info:
; codeLenInByte = 0
; NumSgprs: 4
; NumVgprs: 0
; NumAgprs: 0
; TotalNumVgprs: 0
; ScratchSize: 0
; MemoryBound: 0
; FloatMode: 240
; IeeeMode: 1
; LDSByteSize: 0 bytes/workgroup (compile time only)
; SGPRBlocks: 0
; VGPRBlocks: 0
; NumSGPRsForWavesPerEU: 4
; NumVGPRsForWavesPerEU: 1
; AccumOffset: 4
; Occupancy: 8
; WaveLimiterHint : 0
; COMPUTE_PGM_RSRC2:SCRATCH_EN: 0
; COMPUTE_PGM_RSRC2:USER_SGPR: 6
; COMPUTE_PGM_RSRC2:TRAP_HANDLER: 0
; COMPUTE_PGM_RSRC2:TGID_X_EN: 1
; COMPUTE_PGM_RSRC2:TGID_Y_EN: 0
; COMPUTE_PGM_RSRC2:TGID_Z_EN: 0
; COMPUTE_PGM_RSRC2:TIDIG_COMP_CNT: 0
; COMPUTE_PGM_RSRC3_GFX90A:ACCUM_OFFSET: 0
; COMPUTE_PGM_RSRC3_GFX90A:TG_SPLIT: 0
	.section	.text._ZN7rocprim17ROCPRIM_400000_NS6detail17trampoline_kernelINS0_14default_configENS1_25partition_config_selectorILNS1_17partition_subalgoE2EiNS0_10empty_typeEbEEZZNS1_14partition_implILS5_2ELb0ES3_jN6thrust23THRUST_200600_302600_NS6detail15normal_iteratorINSA_7pointerIiNSA_11hip_rocprim3tagENSA_11use_defaultESG_EEEEPS6_NSA_18transform_iteratorI10is_orderedNSA_12zip_iteratorINSA_5tupleINSC_INSA_10device_ptrIiEEEESQ_NSA_9null_typeESR_SR_SR_SR_SR_SR_SR_EEEESG_SG_EENS0_5tupleIJPiSJ_EEENSV_IJSJ_SJ_EEES6_PlJS6_EEE10hipError_tPvRmT3_T4_T5_T6_T7_T9_mT8_P12ihipStream_tbDpT10_ENKUlT_T0_E_clISt17integral_constantIbLb1EES1J_EEDaS1E_S1F_EUlS1E_E_NS1_11comp_targetILNS1_3genE8ELNS1_11target_archE1030ELNS1_3gpuE2ELNS1_3repE0EEENS1_30default_config_static_selectorELNS0_4arch9wavefront6targetE1EEEvT1_,"axG",@progbits,_ZN7rocprim17ROCPRIM_400000_NS6detail17trampoline_kernelINS0_14default_configENS1_25partition_config_selectorILNS1_17partition_subalgoE2EiNS0_10empty_typeEbEEZZNS1_14partition_implILS5_2ELb0ES3_jN6thrust23THRUST_200600_302600_NS6detail15normal_iteratorINSA_7pointerIiNSA_11hip_rocprim3tagENSA_11use_defaultESG_EEEEPS6_NSA_18transform_iteratorI10is_orderedNSA_12zip_iteratorINSA_5tupleINSC_INSA_10device_ptrIiEEEESQ_NSA_9null_typeESR_SR_SR_SR_SR_SR_SR_EEEESG_SG_EENS0_5tupleIJPiSJ_EEENSV_IJSJ_SJ_EEES6_PlJS6_EEE10hipError_tPvRmT3_T4_T5_T6_T7_T9_mT8_P12ihipStream_tbDpT10_ENKUlT_T0_E_clISt17integral_constantIbLb1EES1J_EEDaS1E_S1F_EUlS1E_E_NS1_11comp_targetILNS1_3genE8ELNS1_11target_archE1030ELNS1_3gpuE2ELNS1_3repE0EEENS1_30default_config_static_selectorELNS0_4arch9wavefront6targetE1EEEvT1_,comdat
	.protected	_ZN7rocprim17ROCPRIM_400000_NS6detail17trampoline_kernelINS0_14default_configENS1_25partition_config_selectorILNS1_17partition_subalgoE2EiNS0_10empty_typeEbEEZZNS1_14partition_implILS5_2ELb0ES3_jN6thrust23THRUST_200600_302600_NS6detail15normal_iteratorINSA_7pointerIiNSA_11hip_rocprim3tagENSA_11use_defaultESG_EEEEPS6_NSA_18transform_iteratorI10is_orderedNSA_12zip_iteratorINSA_5tupleINSC_INSA_10device_ptrIiEEEESQ_NSA_9null_typeESR_SR_SR_SR_SR_SR_SR_EEEESG_SG_EENS0_5tupleIJPiSJ_EEENSV_IJSJ_SJ_EEES6_PlJS6_EEE10hipError_tPvRmT3_T4_T5_T6_T7_T9_mT8_P12ihipStream_tbDpT10_ENKUlT_T0_E_clISt17integral_constantIbLb1EES1J_EEDaS1E_S1F_EUlS1E_E_NS1_11comp_targetILNS1_3genE8ELNS1_11target_archE1030ELNS1_3gpuE2ELNS1_3repE0EEENS1_30default_config_static_selectorELNS0_4arch9wavefront6targetE1EEEvT1_ ; -- Begin function _ZN7rocprim17ROCPRIM_400000_NS6detail17trampoline_kernelINS0_14default_configENS1_25partition_config_selectorILNS1_17partition_subalgoE2EiNS0_10empty_typeEbEEZZNS1_14partition_implILS5_2ELb0ES3_jN6thrust23THRUST_200600_302600_NS6detail15normal_iteratorINSA_7pointerIiNSA_11hip_rocprim3tagENSA_11use_defaultESG_EEEEPS6_NSA_18transform_iteratorI10is_orderedNSA_12zip_iteratorINSA_5tupleINSC_INSA_10device_ptrIiEEEESQ_NSA_9null_typeESR_SR_SR_SR_SR_SR_SR_EEEESG_SG_EENS0_5tupleIJPiSJ_EEENSV_IJSJ_SJ_EEES6_PlJS6_EEE10hipError_tPvRmT3_T4_T5_T6_T7_T9_mT8_P12ihipStream_tbDpT10_ENKUlT_T0_E_clISt17integral_constantIbLb1EES1J_EEDaS1E_S1F_EUlS1E_E_NS1_11comp_targetILNS1_3genE8ELNS1_11target_archE1030ELNS1_3gpuE2ELNS1_3repE0EEENS1_30default_config_static_selectorELNS0_4arch9wavefront6targetE1EEEvT1_
	.globl	_ZN7rocprim17ROCPRIM_400000_NS6detail17trampoline_kernelINS0_14default_configENS1_25partition_config_selectorILNS1_17partition_subalgoE2EiNS0_10empty_typeEbEEZZNS1_14partition_implILS5_2ELb0ES3_jN6thrust23THRUST_200600_302600_NS6detail15normal_iteratorINSA_7pointerIiNSA_11hip_rocprim3tagENSA_11use_defaultESG_EEEEPS6_NSA_18transform_iteratorI10is_orderedNSA_12zip_iteratorINSA_5tupleINSC_INSA_10device_ptrIiEEEESQ_NSA_9null_typeESR_SR_SR_SR_SR_SR_SR_EEEESG_SG_EENS0_5tupleIJPiSJ_EEENSV_IJSJ_SJ_EEES6_PlJS6_EEE10hipError_tPvRmT3_T4_T5_T6_T7_T9_mT8_P12ihipStream_tbDpT10_ENKUlT_T0_E_clISt17integral_constantIbLb1EES1J_EEDaS1E_S1F_EUlS1E_E_NS1_11comp_targetILNS1_3genE8ELNS1_11target_archE1030ELNS1_3gpuE2ELNS1_3repE0EEENS1_30default_config_static_selectorELNS0_4arch9wavefront6targetE1EEEvT1_
	.p2align	8
	.type	_ZN7rocprim17ROCPRIM_400000_NS6detail17trampoline_kernelINS0_14default_configENS1_25partition_config_selectorILNS1_17partition_subalgoE2EiNS0_10empty_typeEbEEZZNS1_14partition_implILS5_2ELb0ES3_jN6thrust23THRUST_200600_302600_NS6detail15normal_iteratorINSA_7pointerIiNSA_11hip_rocprim3tagENSA_11use_defaultESG_EEEEPS6_NSA_18transform_iteratorI10is_orderedNSA_12zip_iteratorINSA_5tupleINSC_INSA_10device_ptrIiEEEESQ_NSA_9null_typeESR_SR_SR_SR_SR_SR_SR_EEEESG_SG_EENS0_5tupleIJPiSJ_EEENSV_IJSJ_SJ_EEES6_PlJS6_EEE10hipError_tPvRmT3_T4_T5_T6_T7_T9_mT8_P12ihipStream_tbDpT10_ENKUlT_T0_E_clISt17integral_constantIbLb1EES1J_EEDaS1E_S1F_EUlS1E_E_NS1_11comp_targetILNS1_3genE8ELNS1_11target_archE1030ELNS1_3gpuE2ELNS1_3repE0EEENS1_30default_config_static_selectorELNS0_4arch9wavefront6targetE1EEEvT1_,@function
_ZN7rocprim17ROCPRIM_400000_NS6detail17trampoline_kernelINS0_14default_configENS1_25partition_config_selectorILNS1_17partition_subalgoE2EiNS0_10empty_typeEbEEZZNS1_14partition_implILS5_2ELb0ES3_jN6thrust23THRUST_200600_302600_NS6detail15normal_iteratorINSA_7pointerIiNSA_11hip_rocprim3tagENSA_11use_defaultESG_EEEEPS6_NSA_18transform_iteratorI10is_orderedNSA_12zip_iteratorINSA_5tupleINSC_INSA_10device_ptrIiEEEESQ_NSA_9null_typeESR_SR_SR_SR_SR_SR_SR_EEEESG_SG_EENS0_5tupleIJPiSJ_EEENSV_IJSJ_SJ_EEES6_PlJS6_EEE10hipError_tPvRmT3_T4_T5_T6_T7_T9_mT8_P12ihipStream_tbDpT10_ENKUlT_T0_E_clISt17integral_constantIbLb1EES1J_EEDaS1E_S1F_EUlS1E_E_NS1_11comp_targetILNS1_3genE8ELNS1_11target_archE1030ELNS1_3gpuE2ELNS1_3repE0EEENS1_30default_config_static_selectorELNS0_4arch9wavefront6targetE1EEEvT1_: ; @_ZN7rocprim17ROCPRIM_400000_NS6detail17trampoline_kernelINS0_14default_configENS1_25partition_config_selectorILNS1_17partition_subalgoE2EiNS0_10empty_typeEbEEZZNS1_14partition_implILS5_2ELb0ES3_jN6thrust23THRUST_200600_302600_NS6detail15normal_iteratorINSA_7pointerIiNSA_11hip_rocprim3tagENSA_11use_defaultESG_EEEEPS6_NSA_18transform_iteratorI10is_orderedNSA_12zip_iteratorINSA_5tupleINSC_INSA_10device_ptrIiEEEESQ_NSA_9null_typeESR_SR_SR_SR_SR_SR_SR_EEEESG_SG_EENS0_5tupleIJPiSJ_EEENSV_IJSJ_SJ_EEES6_PlJS6_EEE10hipError_tPvRmT3_T4_T5_T6_T7_T9_mT8_P12ihipStream_tbDpT10_ENKUlT_T0_E_clISt17integral_constantIbLb1EES1J_EEDaS1E_S1F_EUlS1E_E_NS1_11comp_targetILNS1_3genE8ELNS1_11target_archE1030ELNS1_3gpuE2ELNS1_3repE0EEENS1_30default_config_static_selectorELNS0_4arch9wavefront6targetE1EEEvT1_
; %bb.0:
	.section	.rodata,"a",@progbits
	.p2align	6, 0x0
	.amdhsa_kernel _ZN7rocprim17ROCPRIM_400000_NS6detail17trampoline_kernelINS0_14default_configENS1_25partition_config_selectorILNS1_17partition_subalgoE2EiNS0_10empty_typeEbEEZZNS1_14partition_implILS5_2ELb0ES3_jN6thrust23THRUST_200600_302600_NS6detail15normal_iteratorINSA_7pointerIiNSA_11hip_rocprim3tagENSA_11use_defaultESG_EEEEPS6_NSA_18transform_iteratorI10is_orderedNSA_12zip_iteratorINSA_5tupleINSC_INSA_10device_ptrIiEEEESQ_NSA_9null_typeESR_SR_SR_SR_SR_SR_SR_EEEESG_SG_EENS0_5tupleIJPiSJ_EEENSV_IJSJ_SJ_EEES6_PlJS6_EEE10hipError_tPvRmT3_T4_T5_T6_T7_T9_mT8_P12ihipStream_tbDpT10_ENKUlT_T0_E_clISt17integral_constantIbLb1EES1J_EEDaS1E_S1F_EUlS1E_E_NS1_11comp_targetILNS1_3genE8ELNS1_11target_archE1030ELNS1_3gpuE2ELNS1_3repE0EEENS1_30default_config_static_selectorELNS0_4arch9wavefront6targetE1EEEvT1_
		.amdhsa_group_segment_fixed_size 0
		.amdhsa_private_segment_fixed_size 0
		.amdhsa_kernarg_size 152
		.amdhsa_user_sgpr_count 6
		.amdhsa_user_sgpr_private_segment_buffer 1
		.amdhsa_user_sgpr_dispatch_ptr 0
		.amdhsa_user_sgpr_queue_ptr 0
		.amdhsa_user_sgpr_kernarg_segment_ptr 1
		.amdhsa_user_sgpr_dispatch_id 0
		.amdhsa_user_sgpr_flat_scratch_init 0
		.amdhsa_user_sgpr_kernarg_preload_length 0
		.amdhsa_user_sgpr_kernarg_preload_offset 0
		.amdhsa_user_sgpr_private_segment_size 0
		.amdhsa_uses_dynamic_stack 0
		.amdhsa_system_sgpr_private_segment_wavefront_offset 0
		.amdhsa_system_sgpr_workgroup_id_x 1
		.amdhsa_system_sgpr_workgroup_id_y 0
		.amdhsa_system_sgpr_workgroup_id_z 0
		.amdhsa_system_sgpr_workgroup_info 0
		.amdhsa_system_vgpr_workitem_id 0
		.amdhsa_next_free_vgpr 1
		.amdhsa_next_free_sgpr 0
		.amdhsa_accum_offset 4
		.amdhsa_reserve_vcc 0
		.amdhsa_reserve_flat_scratch 0
		.amdhsa_float_round_mode_32 0
		.amdhsa_float_round_mode_16_64 0
		.amdhsa_float_denorm_mode_32 3
		.amdhsa_float_denorm_mode_16_64 3
		.amdhsa_dx10_clamp 1
		.amdhsa_ieee_mode 1
		.amdhsa_fp16_overflow 0
		.amdhsa_tg_split 0
		.amdhsa_exception_fp_ieee_invalid_op 0
		.amdhsa_exception_fp_denorm_src 0
		.amdhsa_exception_fp_ieee_div_zero 0
		.amdhsa_exception_fp_ieee_overflow 0
		.amdhsa_exception_fp_ieee_underflow 0
		.amdhsa_exception_fp_ieee_inexact 0
		.amdhsa_exception_int_div_zero 0
	.end_amdhsa_kernel
	.section	.text._ZN7rocprim17ROCPRIM_400000_NS6detail17trampoline_kernelINS0_14default_configENS1_25partition_config_selectorILNS1_17partition_subalgoE2EiNS0_10empty_typeEbEEZZNS1_14partition_implILS5_2ELb0ES3_jN6thrust23THRUST_200600_302600_NS6detail15normal_iteratorINSA_7pointerIiNSA_11hip_rocprim3tagENSA_11use_defaultESG_EEEEPS6_NSA_18transform_iteratorI10is_orderedNSA_12zip_iteratorINSA_5tupleINSC_INSA_10device_ptrIiEEEESQ_NSA_9null_typeESR_SR_SR_SR_SR_SR_SR_EEEESG_SG_EENS0_5tupleIJPiSJ_EEENSV_IJSJ_SJ_EEES6_PlJS6_EEE10hipError_tPvRmT3_T4_T5_T6_T7_T9_mT8_P12ihipStream_tbDpT10_ENKUlT_T0_E_clISt17integral_constantIbLb1EES1J_EEDaS1E_S1F_EUlS1E_E_NS1_11comp_targetILNS1_3genE8ELNS1_11target_archE1030ELNS1_3gpuE2ELNS1_3repE0EEENS1_30default_config_static_selectorELNS0_4arch9wavefront6targetE1EEEvT1_,"axG",@progbits,_ZN7rocprim17ROCPRIM_400000_NS6detail17trampoline_kernelINS0_14default_configENS1_25partition_config_selectorILNS1_17partition_subalgoE2EiNS0_10empty_typeEbEEZZNS1_14partition_implILS5_2ELb0ES3_jN6thrust23THRUST_200600_302600_NS6detail15normal_iteratorINSA_7pointerIiNSA_11hip_rocprim3tagENSA_11use_defaultESG_EEEEPS6_NSA_18transform_iteratorI10is_orderedNSA_12zip_iteratorINSA_5tupleINSC_INSA_10device_ptrIiEEEESQ_NSA_9null_typeESR_SR_SR_SR_SR_SR_SR_EEEESG_SG_EENS0_5tupleIJPiSJ_EEENSV_IJSJ_SJ_EEES6_PlJS6_EEE10hipError_tPvRmT3_T4_T5_T6_T7_T9_mT8_P12ihipStream_tbDpT10_ENKUlT_T0_E_clISt17integral_constantIbLb1EES1J_EEDaS1E_S1F_EUlS1E_E_NS1_11comp_targetILNS1_3genE8ELNS1_11target_archE1030ELNS1_3gpuE2ELNS1_3repE0EEENS1_30default_config_static_selectorELNS0_4arch9wavefront6targetE1EEEvT1_,comdat
.Lfunc_end3609:
	.size	_ZN7rocprim17ROCPRIM_400000_NS6detail17trampoline_kernelINS0_14default_configENS1_25partition_config_selectorILNS1_17partition_subalgoE2EiNS0_10empty_typeEbEEZZNS1_14partition_implILS5_2ELb0ES3_jN6thrust23THRUST_200600_302600_NS6detail15normal_iteratorINSA_7pointerIiNSA_11hip_rocprim3tagENSA_11use_defaultESG_EEEEPS6_NSA_18transform_iteratorI10is_orderedNSA_12zip_iteratorINSA_5tupleINSC_INSA_10device_ptrIiEEEESQ_NSA_9null_typeESR_SR_SR_SR_SR_SR_SR_EEEESG_SG_EENS0_5tupleIJPiSJ_EEENSV_IJSJ_SJ_EEES6_PlJS6_EEE10hipError_tPvRmT3_T4_T5_T6_T7_T9_mT8_P12ihipStream_tbDpT10_ENKUlT_T0_E_clISt17integral_constantIbLb1EES1J_EEDaS1E_S1F_EUlS1E_E_NS1_11comp_targetILNS1_3genE8ELNS1_11target_archE1030ELNS1_3gpuE2ELNS1_3repE0EEENS1_30default_config_static_selectorELNS0_4arch9wavefront6targetE1EEEvT1_, .Lfunc_end3609-_ZN7rocprim17ROCPRIM_400000_NS6detail17trampoline_kernelINS0_14default_configENS1_25partition_config_selectorILNS1_17partition_subalgoE2EiNS0_10empty_typeEbEEZZNS1_14partition_implILS5_2ELb0ES3_jN6thrust23THRUST_200600_302600_NS6detail15normal_iteratorINSA_7pointerIiNSA_11hip_rocprim3tagENSA_11use_defaultESG_EEEEPS6_NSA_18transform_iteratorI10is_orderedNSA_12zip_iteratorINSA_5tupleINSC_INSA_10device_ptrIiEEEESQ_NSA_9null_typeESR_SR_SR_SR_SR_SR_SR_EEEESG_SG_EENS0_5tupleIJPiSJ_EEENSV_IJSJ_SJ_EEES6_PlJS6_EEE10hipError_tPvRmT3_T4_T5_T6_T7_T9_mT8_P12ihipStream_tbDpT10_ENKUlT_T0_E_clISt17integral_constantIbLb1EES1J_EEDaS1E_S1F_EUlS1E_E_NS1_11comp_targetILNS1_3genE8ELNS1_11target_archE1030ELNS1_3gpuE2ELNS1_3repE0EEENS1_30default_config_static_selectorELNS0_4arch9wavefront6targetE1EEEvT1_
                                        ; -- End function
	.section	.AMDGPU.csdata,"",@progbits
; Kernel info:
; codeLenInByte = 0
; NumSgprs: 4
; NumVgprs: 0
; NumAgprs: 0
; TotalNumVgprs: 0
; ScratchSize: 0
; MemoryBound: 0
; FloatMode: 240
; IeeeMode: 1
; LDSByteSize: 0 bytes/workgroup (compile time only)
; SGPRBlocks: 0
; VGPRBlocks: 0
; NumSGPRsForWavesPerEU: 4
; NumVGPRsForWavesPerEU: 1
; AccumOffset: 4
; Occupancy: 8
; WaveLimiterHint : 0
; COMPUTE_PGM_RSRC2:SCRATCH_EN: 0
; COMPUTE_PGM_RSRC2:USER_SGPR: 6
; COMPUTE_PGM_RSRC2:TRAP_HANDLER: 0
; COMPUTE_PGM_RSRC2:TGID_X_EN: 1
; COMPUTE_PGM_RSRC2:TGID_Y_EN: 0
; COMPUTE_PGM_RSRC2:TGID_Z_EN: 0
; COMPUTE_PGM_RSRC2:TIDIG_COMP_CNT: 0
; COMPUTE_PGM_RSRC3_GFX90A:ACCUM_OFFSET: 0
; COMPUTE_PGM_RSRC3_GFX90A:TG_SPLIT: 0
	.section	.text._ZN7rocprim17ROCPRIM_400000_NS6detail17trampoline_kernelINS0_14default_configENS1_25partition_config_selectorILNS1_17partition_subalgoE2EiNS0_10empty_typeEbEEZZNS1_14partition_implILS5_2ELb0ES3_jN6thrust23THRUST_200600_302600_NS6detail15normal_iteratorINSA_7pointerIiNSA_11hip_rocprim3tagENSA_11use_defaultESG_EEEEPS6_NSA_18transform_iteratorI10is_orderedNSA_12zip_iteratorINSA_5tupleINSC_INSA_10device_ptrIiEEEESQ_NSA_9null_typeESR_SR_SR_SR_SR_SR_SR_EEEESG_SG_EENS0_5tupleIJPiSJ_EEENSV_IJSJ_SJ_EEES6_PlJS6_EEE10hipError_tPvRmT3_T4_T5_T6_T7_T9_mT8_P12ihipStream_tbDpT10_ENKUlT_T0_E_clISt17integral_constantIbLb1EES1I_IbLb0EEEEDaS1E_S1F_EUlS1E_E_NS1_11comp_targetILNS1_3genE0ELNS1_11target_archE4294967295ELNS1_3gpuE0ELNS1_3repE0EEENS1_30default_config_static_selectorELNS0_4arch9wavefront6targetE1EEEvT1_,"axG",@progbits,_ZN7rocprim17ROCPRIM_400000_NS6detail17trampoline_kernelINS0_14default_configENS1_25partition_config_selectorILNS1_17partition_subalgoE2EiNS0_10empty_typeEbEEZZNS1_14partition_implILS5_2ELb0ES3_jN6thrust23THRUST_200600_302600_NS6detail15normal_iteratorINSA_7pointerIiNSA_11hip_rocprim3tagENSA_11use_defaultESG_EEEEPS6_NSA_18transform_iteratorI10is_orderedNSA_12zip_iteratorINSA_5tupleINSC_INSA_10device_ptrIiEEEESQ_NSA_9null_typeESR_SR_SR_SR_SR_SR_SR_EEEESG_SG_EENS0_5tupleIJPiSJ_EEENSV_IJSJ_SJ_EEES6_PlJS6_EEE10hipError_tPvRmT3_T4_T5_T6_T7_T9_mT8_P12ihipStream_tbDpT10_ENKUlT_T0_E_clISt17integral_constantIbLb1EES1I_IbLb0EEEEDaS1E_S1F_EUlS1E_E_NS1_11comp_targetILNS1_3genE0ELNS1_11target_archE4294967295ELNS1_3gpuE0ELNS1_3repE0EEENS1_30default_config_static_selectorELNS0_4arch9wavefront6targetE1EEEvT1_,comdat
	.protected	_ZN7rocprim17ROCPRIM_400000_NS6detail17trampoline_kernelINS0_14default_configENS1_25partition_config_selectorILNS1_17partition_subalgoE2EiNS0_10empty_typeEbEEZZNS1_14partition_implILS5_2ELb0ES3_jN6thrust23THRUST_200600_302600_NS6detail15normal_iteratorINSA_7pointerIiNSA_11hip_rocprim3tagENSA_11use_defaultESG_EEEEPS6_NSA_18transform_iteratorI10is_orderedNSA_12zip_iteratorINSA_5tupleINSC_INSA_10device_ptrIiEEEESQ_NSA_9null_typeESR_SR_SR_SR_SR_SR_SR_EEEESG_SG_EENS0_5tupleIJPiSJ_EEENSV_IJSJ_SJ_EEES6_PlJS6_EEE10hipError_tPvRmT3_T4_T5_T6_T7_T9_mT8_P12ihipStream_tbDpT10_ENKUlT_T0_E_clISt17integral_constantIbLb1EES1I_IbLb0EEEEDaS1E_S1F_EUlS1E_E_NS1_11comp_targetILNS1_3genE0ELNS1_11target_archE4294967295ELNS1_3gpuE0ELNS1_3repE0EEENS1_30default_config_static_selectorELNS0_4arch9wavefront6targetE1EEEvT1_ ; -- Begin function _ZN7rocprim17ROCPRIM_400000_NS6detail17trampoline_kernelINS0_14default_configENS1_25partition_config_selectorILNS1_17partition_subalgoE2EiNS0_10empty_typeEbEEZZNS1_14partition_implILS5_2ELb0ES3_jN6thrust23THRUST_200600_302600_NS6detail15normal_iteratorINSA_7pointerIiNSA_11hip_rocprim3tagENSA_11use_defaultESG_EEEEPS6_NSA_18transform_iteratorI10is_orderedNSA_12zip_iteratorINSA_5tupleINSC_INSA_10device_ptrIiEEEESQ_NSA_9null_typeESR_SR_SR_SR_SR_SR_SR_EEEESG_SG_EENS0_5tupleIJPiSJ_EEENSV_IJSJ_SJ_EEES6_PlJS6_EEE10hipError_tPvRmT3_T4_T5_T6_T7_T9_mT8_P12ihipStream_tbDpT10_ENKUlT_T0_E_clISt17integral_constantIbLb1EES1I_IbLb0EEEEDaS1E_S1F_EUlS1E_E_NS1_11comp_targetILNS1_3genE0ELNS1_11target_archE4294967295ELNS1_3gpuE0ELNS1_3repE0EEENS1_30default_config_static_selectorELNS0_4arch9wavefront6targetE1EEEvT1_
	.globl	_ZN7rocprim17ROCPRIM_400000_NS6detail17trampoline_kernelINS0_14default_configENS1_25partition_config_selectorILNS1_17partition_subalgoE2EiNS0_10empty_typeEbEEZZNS1_14partition_implILS5_2ELb0ES3_jN6thrust23THRUST_200600_302600_NS6detail15normal_iteratorINSA_7pointerIiNSA_11hip_rocprim3tagENSA_11use_defaultESG_EEEEPS6_NSA_18transform_iteratorI10is_orderedNSA_12zip_iteratorINSA_5tupleINSC_INSA_10device_ptrIiEEEESQ_NSA_9null_typeESR_SR_SR_SR_SR_SR_SR_EEEESG_SG_EENS0_5tupleIJPiSJ_EEENSV_IJSJ_SJ_EEES6_PlJS6_EEE10hipError_tPvRmT3_T4_T5_T6_T7_T9_mT8_P12ihipStream_tbDpT10_ENKUlT_T0_E_clISt17integral_constantIbLb1EES1I_IbLb0EEEEDaS1E_S1F_EUlS1E_E_NS1_11comp_targetILNS1_3genE0ELNS1_11target_archE4294967295ELNS1_3gpuE0ELNS1_3repE0EEENS1_30default_config_static_selectorELNS0_4arch9wavefront6targetE1EEEvT1_
	.p2align	8
	.type	_ZN7rocprim17ROCPRIM_400000_NS6detail17trampoline_kernelINS0_14default_configENS1_25partition_config_selectorILNS1_17partition_subalgoE2EiNS0_10empty_typeEbEEZZNS1_14partition_implILS5_2ELb0ES3_jN6thrust23THRUST_200600_302600_NS6detail15normal_iteratorINSA_7pointerIiNSA_11hip_rocprim3tagENSA_11use_defaultESG_EEEEPS6_NSA_18transform_iteratorI10is_orderedNSA_12zip_iteratorINSA_5tupleINSC_INSA_10device_ptrIiEEEESQ_NSA_9null_typeESR_SR_SR_SR_SR_SR_SR_EEEESG_SG_EENS0_5tupleIJPiSJ_EEENSV_IJSJ_SJ_EEES6_PlJS6_EEE10hipError_tPvRmT3_T4_T5_T6_T7_T9_mT8_P12ihipStream_tbDpT10_ENKUlT_T0_E_clISt17integral_constantIbLb1EES1I_IbLb0EEEEDaS1E_S1F_EUlS1E_E_NS1_11comp_targetILNS1_3genE0ELNS1_11target_archE4294967295ELNS1_3gpuE0ELNS1_3repE0EEENS1_30default_config_static_selectorELNS0_4arch9wavefront6targetE1EEEvT1_,@function
_ZN7rocprim17ROCPRIM_400000_NS6detail17trampoline_kernelINS0_14default_configENS1_25partition_config_selectorILNS1_17partition_subalgoE2EiNS0_10empty_typeEbEEZZNS1_14partition_implILS5_2ELb0ES3_jN6thrust23THRUST_200600_302600_NS6detail15normal_iteratorINSA_7pointerIiNSA_11hip_rocprim3tagENSA_11use_defaultESG_EEEEPS6_NSA_18transform_iteratorI10is_orderedNSA_12zip_iteratorINSA_5tupleINSC_INSA_10device_ptrIiEEEESQ_NSA_9null_typeESR_SR_SR_SR_SR_SR_SR_EEEESG_SG_EENS0_5tupleIJPiSJ_EEENSV_IJSJ_SJ_EEES6_PlJS6_EEE10hipError_tPvRmT3_T4_T5_T6_T7_T9_mT8_P12ihipStream_tbDpT10_ENKUlT_T0_E_clISt17integral_constantIbLb1EES1I_IbLb0EEEEDaS1E_S1F_EUlS1E_E_NS1_11comp_targetILNS1_3genE0ELNS1_11target_archE4294967295ELNS1_3gpuE0ELNS1_3repE0EEENS1_30default_config_static_selectorELNS0_4arch9wavefront6targetE1EEEvT1_: ; @_ZN7rocprim17ROCPRIM_400000_NS6detail17trampoline_kernelINS0_14default_configENS1_25partition_config_selectorILNS1_17partition_subalgoE2EiNS0_10empty_typeEbEEZZNS1_14partition_implILS5_2ELb0ES3_jN6thrust23THRUST_200600_302600_NS6detail15normal_iteratorINSA_7pointerIiNSA_11hip_rocprim3tagENSA_11use_defaultESG_EEEEPS6_NSA_18transform_iteratorI10is_orderedNSA_12zip_iteratorINSA_5tupleINSC_INSA_10device_ptrIiEEEESQ_NSA_9null_typeESR_SR_SR_SR_SR_SR_SR_EEEESG_SG_EENS0_5tupleIJPiSJ_EEENSV_IJSJ_SJ_EEES6_PlJS6_EEE10hipError_tPvRmT3_T4_T5_T6_T7_T9_mT8_P12ihipStream_tbDpT10_ENKUlT_T0_E_clISt17integral_constantIbLb1EES1I_IbLb0EEEEDaS1E_S1F_EUlS1E_E_NS1_11comp_targetILNS1_3genE0ELNS1_11target_archE4294967295ELNS1_3gpuE0ELNS1_3repE0EEENS1_30default_config_static_selectorELNS0_4arch9wavefront6targetE1EEEvT1_
; %bb.0:
	.section	.rodata,"a",@progbits
	.p2align	6, 0x0
	.amdhsa_kernel _ZN7rocprim17ROCPRIM_400000_NS6detail17trampoline_kernelINS0_14default_configENS1_25partition_config_selectorILNS1_17partition_subalgoE2EiNS0_10empty_typeEbEEZZNS1_14partition_implILS5_2ELb0ES3_jN6thrust23THRUST_200600_302600_NS6detail15normal_iteratorINSA_7pointerIiNSA_11hip_rocprim3tagENSA_11use_defaultESG_EEEEPS6_NSA_18transform_iteratorI10is_orderedNSA_12zip_iteratorINSA_5tupleINSC_INSA_10device_ptrIiEEEESQ_NSA_9null_typeESR_SR_SR_SR_SR_SR_SR_EEEESG_SG_EENS0_5tupleIJPiSJ_EEENSV_IJSJ_SJ_EEES6_PlJS6_EEE10hipError_tPvRmT3_T4_T5_T6_T7_T9_mT8_P12ihipStream_tbDpT10_ENKUlT_T0_E_clISt17integral_constantIbLb1EES1I_IbLb0EEEEDaS1E_S1F_EUlS1E_E_NS1_11comp_targetILNS1_3genE0ELNS1_11target_archE4294967295ELNS1_3gpuE0ELNS1_3repE0EEENS1_30default_config_static_selectorELNS0_4arch9wavefront6targetE1EEEvT1_
		.amdhsa_group_segment_fixed_size 0
		.amdhsa_private_segment_fixed_size 0
		.amdhsa_kernarg_size 136
		.amdhsa_user_sgpr_count 6
		.amdhsa_user_sgpr_private_segment_buffer 1
		.amdhsa_user_sgpr_dispatch_ptr 0
		.amdhsa_user_sgpr_queue_ptr 0
		.amdhsa_user_sgpr_kernarg_segment_ptr 1
		.amdhsa_user_sgpr_dispatch_id 0
		.amdhsa_user_sgpr_flat_scratch_init 0
		.amdhsa_user_sgpr_kernarg_preload_length 0
		.amdhsa_user_sgpr_kernarg_preload_offset 0
		.amdhsa_user_sgpr_private_segment_size 0
		.amdhsa_uses_dynamic_stack 0
		.amdhsa_system_sgpr_private_segment_wavefront_offset 0
		.amdhsa_system_sgpr_workgroup_id_x 1
		.amdhsa_system_sgpr_workgroup_id_y 0
		.amdhsa_system_sgpr_workgroup_id_z 0
		.amdhsa_system_sgpr_workgroup_info 0
		.amdhsa_system_vgpr_workitem_id 0
		.amdhsa_next_free_vgpr 1
		.amdhsa_next_free_sgpr 0
		.amdhsa_accum_offset 4
		.amdhsa_reserve_vcc 0
		.amdhsa_reserve_flat_scratch 0
		.amdhsa_float_round_mode_32 0
		.amdhsa_float_round_mode_16_64 0
		.amdhsa_float_denorm_mode_32 3
		.amdhsa_float_denorm_mode_16_64 3
		.amdhsa_dx10_clamp 1
		.amdhsa_ieee_mode 1
		.amdhsa_fp16_overflow 0
		.amdhsa_tg_split 0
		.amdhsa_exception_fp_ieee_invalid_op 0
		.amdhsa_exception_fp_denorm_src 0
		.amdhsa_exception_fp_ieee_div_zero 0
		.amdhsa_exception_fp_ieee_overflow 0
		.amdhsa_exception_fp_ieee_underflow 0
		.amdhsa_exception_fp_ieee_inexact 0
		.amdhsa_exception_int_div_zero 0
	.end_amdhsa_kernel
	.section	.text._ZN7rocprim17ROCPRIM_400000_NS6detail17trampoline_kernelINS0_14default_configENS1_25partition_config_selectorILNS1_17partition_subalgoE2EiNS0_10empty_typeEbEEZZNS1_14partition_implILS5_2ELb0ES3_jN6thrust23THRUST_200600_302600_NS6detail15normal_iteratorINSA_7pointerIiNSA_11hip_rocprim3tagENSA_11use_defaultESG_EEEEPS6_NSA_18transform_iteratorI10is_orderedNSA_12zip_iteratorINSA_5tupleINSC_INSA_10device_ptrIiEEEESQ_NSA_9null_typeESR_SR_SR_SR_SR_SR_SR_EEEESG_SG_EENS0_5tupleIJPiSJ_EEENSV_IJSJ_SJ_EEES6_PlJS6_EEE10hipError_tPvRmT3_T4_T5_T6_T7_T9_mT8_P12ihipStream_tbDpT10_ENKUlT_T0_E_clISt17integral_constantIbLb1EES1I_IbLb0EEEEDaS1E_S1F_EUlS1E_E_NS1_11comp_targetILNS1_3genE0ELNS1_11target_archE4294967295ELNS1_3gpuE0ELNS1_3repE0EEENS1_30default_config_static_selectorELNS0_4arch9wavefront6targetE1EEEvT1_,"axG",@progbits,_ZN7rocprim17ROCPRIM_400000_NS6detail17trampoline_kernelINS0_14default_configENS1_25partition_config_selectorILNS1_17partition_subalgoE2EiNS0_10empty_typeEbEEZZNS1_14partition_implILS5_2ELb0ES3_jN6thrust23THRUST_200600_302600_NS6detail15normal_iteratorINSA_7pointerIiNSA_11hip_rocprim3tagENSA_11use_defaultESG_EEEEPS6_NSA_18transform_iteratorI10is_orderedNSA_12zip_iteratorINSA_5tupleINSC_INSA_10device_ptrIiEEEESQ_NSA_9null_typeESR_SR_SR_SR_SR_SR_SR_EEEESG_SG_EENS0_5tupleIJPiSJ_EEENSV_IJSJ_SJ_EEES6_PlJS6_EEE10hipError_tPvRmT3_T4_T5_T6_T7_T9_mT8_P12ihipStream_tbDpT10_ENKUlT_T0_E_clISt17integral_constantIbLb1EES1I_IbLb0EEEEDaS1E_S1F_EUlS1E_E_NS1_11comp_targetILNS1_3genE0ELNS1_11target_archE4294967295ELNS1_3gpuE0ELNS1_3repE0EEENS1_30default_config_static_selectorELNS0_4arch9wavefront6targetE1EEEvT1_,comdat
.Lfunc_end3610:
	.size	_ZN7rocprim17ROCPRIM_400000_NS6detail17trampoline_kernelINS0_14default_configENS1_25partition_config_selectorILNS1_17partition_subalgoE2EiNS0_10empty_typeEbEEZZNS1_14partition_implILS5_2ELb0ES3_jN6thrust23THRUST_200600_302600_NS6detail15normal_iteratorINSA_7pointerIiNSA_11hip_rocprim3tagENSA_11use_defaultESG_EEEEPS6_NSA_18transform_iteratorI10is_orderedNSA_12zip_iteratorINSA_5tupleINSC_INSA_10device_ptrIiEEEESQ_NSA_9null_typeESR_SR_SR_SR_SR_SR_SR_EEEESG_SG_EENS0_5tupleIJPiSJ_EEENSV_IJSJ_SJ_EEES6_PlJS6_EEE10hipError_tPvRmT3_T4_T5_T6_T7_T9_mT8_P12ihipStream_tbDpT10_ENKUlT_T0_E_clISt17integral_constantIbLb1EES1I_IbLb0EEEEDaS1E_S1F_EUlS1E_E_NS1_11comp_targetILNS1_3genE0ELNS1_11target_archE4294967295ELNS1_3gpuE0ELNS1_3repE0EEENS1_30default_config_static_selectorELNS0_4arch9wavefront6targetE1EEEvT1_, .Lfunc_end3610-_ZN7rocprim17ROCPRIM_400000_NS6detail17trampoline_kernelINS0_14default_configENS1_25partition_config_selectorILNS1_17partition_subalgoE2EiNS0_10empty_typeEbEEZZNS1_14partition_implILS5_2ELb0ES3_jN6thrust23THRUST_200600_302600_NS6detail15normal_iteratorINSA_7pointerIiNSA_11hip_rocprim3tagENSA_11use_defaultESG_EEEEPS6_NSA_18transform_iteratorI10is_orderedNSA_12zip_iteratorINSA_5tupleINSC_INSA_10device_ptrIiEEEESQ_NSA_9null_typeESR_SR_SR_SR_SR_SR_SR_EEEESG_SG_EENS0_5tupleIJPiSJ_EEENSV_IJSJ_SJ_EEES6_PlJS6_EEE10hipError_tPvRmT3_T4_T5_T6_T7_T9_mT8_P12ihipStream_tbDpT10_ENKUlT_T0_E_clISt17integral_constantIbLb1EES1I_IbLb0EEEEDaS1E_S1F_EUlS1E_E_NS1_11comp_targetILNS1_3genE0ELNS1_11target_archE4294967295ELNS1_3gpuE0ELNS1_3repE0EEENS1_30default_config_static_selectorELNS0_4arch9wavefront6targetE1EEEvT1_
                                        ; -- End function
	.section	.AMDGPU.csdata,"",@progbits
; Kernel info:
; codeLenInByte = 0
; NumSgprs: 4
; NumVgprs: 0
; NumAgprs: 0
; TotalNumVgprs: 0
; ScratchSize: 0
; MemoryBound: 0
; FloatMode: 240
; IeeeMode: 1
; LDSByteSize: 0 bytes/workgroup (compile time only)
; SGPRBlocks: 0
; VGPRBlocks: 0
; NumSGPRsForWavesPerEU: 4
; NumVGPRsForWavesPerEU: 1
; AccumOffset: 4
; Occupancy: 8
; WaveLimiterHint : 0
; COMPUTE_PGM_RSRC2:SCRATCH_EN: 0
; COMPUTE_PGM_RSRC2:USER_SGPR: 6
; COMPUTE_PGM_RSRC2:TRAP_HANDLER: 0
; COMPUTE_PGM_RSRC2:TGID_X_EN: 1
; COMPUTE_PGM_RSRC2:TGID_Y_EN: 0
; COMPUTE_PGM_RSRC2:TGID_Z_EN: 0
; COMPUTE_PGM_RSRC2:TIDIG_COMP_CNT: 0
; COMPUTE_PGM_RSRC3_GFX90A:ACCUM_OFFSET: 0
; COMPUTE_PGM_RSRC3_GFX90A:TG_SPLIT: 0
	.section	.text._ZN7rocprim17ROCPRIM_400000_NS6detail17trampoline_kernelINS0_14default_configENS1_25partition_config_selectorILNS1_17partition_subalgoE2EiNS0_10empty_typeEbEEZZNS1_14partition_implILS5_2ELb0ES3_jN6thrust23THRUST_200600_302600_NS6detail15normal_iteratorINSA_7pointerIiNSA_11hip_rocprim3tagENSA_11use_defaultESG_EEEEPS6_NSA_18transform_iteratorI10is_orderedNSA_12zip_iteratorINSA_5tupleINSC_INSA_10device_ptrIiEEEESQ_NSA_9null_typeESR_SR_SR_SR_SR_SR_SR_EEEESG_SG_EENS0_5tupleIJPiSJ_EEENSV_IJSJ_SJ_EEES6_PlJS6_EEE10hipError_tPvRmT3_T4_T5_T6_T7_T9_mT8_P12ihipStream_tbDpT10_ENKUlT_T0_E_clISt17integral_constantIbLb1EES1I_IbLb0EEEEDaS1E_S1F_EUlS1E_E_NS1_11comp_targetILNS1_3genE5ELNS1_11target_archE942ELNS1_3gpuE9ELNS1_3repE0EEENS1_30default_config_static_selectorELNS0_4arch9wavefront6targetE1EEEvT1_,"axG",@progbits,_ZN7rocprim17ROCPRIM_400000_NS6detail17trampoline_kernelINS0_14default_configENS1_25partition_config_selectorILNS1_17partition_subalgoE2EiNS0_10empty_typeEbEEZZNS1_14partition_implILS5_2ELb0ES3_jN6thrust23THRUST_200600_302600_NS6detail15normal_iteratorINSA_7pointerIiNSA_11hip_rocprim3tagENSA_11use_defaultESG_EEEEPS6_NSA_18transform_iteratorI10is_orderedNSA_12zip_iteratorINSA_5tupleINSC_INSA_10device_ptrIiEEEESQ_NSA_9null_typeESR_SR_SR_SR_SR_SR_SR_EEEESG_SG_EENS0_5tupleIJPiSJ_EEENSV_IJSJ_SJ_EEES6_PlJS6_EEE10hipError_tPvRmT3_T4_T5_T6_T7_T9_mT8_P12ihipStream_tbDpT10_ENKUlT_T0_E_clISt17integral_constantIbLb1EES1I_IbLb0EEEEDaS1E_S1F_EUlS1E_E_NS1_11comp_targetILNS1_3genE5ELNS1_11target_archE942ELNS1_3gpuE9ELNS1_3repE0EEENS1_30default_config_static_selectorELNS0_4arch9wavefront6targetE1EEEvT1_,comdat
	.protected	_ZN7rocprim17ROCPRIM_400000_NS6detail17trampoline_kernelINS0_14default_configENS1_25partition_config_selectorILNS1_17partition_subalgoE2EiNS0_10empty_typeEbEEZZNS1_14partition_implILS5_2ELb0ES3_jN6thrust23THRUST_200600_302600_NS6detail15normal_iteratorINSA_7pointerIiNSA_11hip_rocprim3tagENSA_11use_defaultESG_EEEEPS6_NSA_18transform_iteratorI10is_orderedNSA_12zip_iteratorINSA_5tupleINSC_INSA_10device_ptrIiEEEESQ_NSA_9null_typeESR_SR_SR_SR_SR_SR_SR_EEEESG_SG_EENS0_5tupleIJPiSJ_EEENSV_IJSJ_SJ_EEES6_PlJS6_EEE10hipError_tPvRmT3_T4_T5_T6_T7_T9_mT8_P12ihipStream_tbDpT10_ENKUlT_T0_E_clISt17integral_constantIbLb1EES1I_IbLb0EEEEDaS1E_S1F_EUlS1E_E_NS1_11comp_targetILNS1_3genE5ELNS1_11target_archE942ELNS1_3gpuE9ELNS1_3repE0EEENS1_30default_config_static_selectorELNS0_4arch9wavefront6targetE1EEEvT1_ ; -- Begin function _ZN7rocprim17ROCPRIM_400000_NS6detail17trampoline_kernelINS0_14default_configENS1_25partition_config_selectorILNS1_17partition_subalgoE2EiNS0_10empty_typeEbEEZZNS1_14partition_implILS5_2ELb0ES3_jN6thrust23THRUST_200600_302600_NS6detail15normal_iteratorINSA_7pointerIiNSA_11hip_rocprim3tagENSA_11use_defaultESG_EEEEPS6_NSA_18transform_iteratorI10is_orderedNSA_12zip_iteratorINSA_5tupleINSC_INSA_10device_ptrIiEEEESQ_NSA_9null_typeESR_SR_SR_SR_SR_SR_SR_EEEESG_SG_EENS0_5tupleIJPiSJ_EEENSV_IJSJ_SJ_EEES6_PlJS6_EEE10hipError_tPvRmT3_T4_T5_T6_T7_T9_mT8_P12ihipStream_tbDpT10_ENKUlT_T0_E_clISt17integral_constantIbLb1EES1I_IbLb0EEEEDaS1E_S1F_EUlS1E_E_NS1_11comp_targetILNS1_3genE5ELNS1_11target_archE942ELNS1_3gpuE9ELNS1_3repE0EEENS1_30default_config_static_selectorELNS0_4arch9wavefront6targetE1EEEvT1_
	.globl	_ZN7rocprim17ROCPRIM_400000_NS6detail17trampoline_kernelINS0_14default_configENS1_25partition_config_selectorILNS1_17partition_subalgoE2EiNS0_10empty_typeEbEEZZNS1_14partition_implILS5_2ELb0ES3_jN6thrust23THRUST_200600_302600_NS6detail15normal_iteratorINSA_7pointerIiNSA_11hip_rocprim3tagENSA_11use_defaultESG_EEEEPS6_NSA_18transform_iteratorI10is_orderedNSA_12zip_iteratorINSA_5tupleINSC_INSA_10device_ptrIiEEEESQ_NSA_9null_typeESR_SR_SR_SR_SR_SR_SR_EEEESG_SG_EENS0_5tupleIJPiSJ_EEENSV_IJSJ_SJ_EEES6_PlJS6_EEE10hipError_tPvRmT3_T4_T5_T6_T7_T9_mT8_P12ihipStream_tbDpT10_ENKUlT_T0_E_clISt17integral_constantIbLb1EES1I_IbLb0EEEEDaS1E_S1F_EUlS1E_E_NS1_11comp_targetILNS1_3genE5ELNS1_11target_archE942ELNS1_3gpuE9ELNS1_3repE0EEENS1_30default_config_static_selectorELNS0_4arch9wavefront6targetE1EEEvT1_
	.p2align	8
	.type	_ZN7rocprim17ROCPRIM_400000_NS6detail17trampoline_kernelINS0_14default_configENS1_25partition_config_selectorILNS1_17partition_subalgoE2EiNS0_10empty_typeEbEEZZNS1_14partition_implILS5_2ELb0ES3_jN6thrust23THRUST_200600_302600_NS6detail15normal_iteratorINSA_7pointerIiNSA_11hip_rocprim3tagENSA_11use_defaultESG_EEEEPS6_NSA_18transform_iteratorI10is_orderedNSA_12zip_iteratorINSA_5tupleINSC_INSA_10device_ptrIiEEEESQ_NSA_9null_typeESR_SR_SR_SR_SR_SR_SR_EEEESG_SG_EENS0_5tupleIJPiSJ_EEENSV_IJSJ_SJ_EEES6_PlJS6_EEE10hipError_tPvRmT3_T4_T5_T6_T7_T9_mT8_P12ihipStream_tbDpT10_ENKUlT_T0_E_clISt17integral_constantIbLb1EES1I_IbLb0EEEEDaS1E_S1F_EUlS1E_E_NS1_11comp_targetILNS1_3genE5ELNS1_11target_archE942ELNS1_3gpuE9ELNS1_3repE0EEENS1_30default_config_static_selectorELNS0_4arch9wavefront6targetE1EEEvT1_,@function
_ZN7rocprim17ROCPRIM_400000_NS6detail17trampoline_kernelINS0_14default_configENS1_25partition_config_selectorILNS1_17partition_subalgoE2EiNS0_10empty_typeEbEEZZNS1_14partition_implILS5_2ELb0ES3_jN6thrust23THRUST_200600_302600_NS6detail15normal_iteratorINSA_7pointerIiNSA_11hip_rocprim3tagENSA_11use_defaultESG_EEEEPS6_NSA_18transform_iteratorI10is_orderedNSA_12zip_iteratorINSA_5tupleINSC_INSA_10device_ptrIiEEEESQ_NSA_9null_typeESR_SR_SR_SR_SR_SR_SR_EEEESG_SG_EENS0_5tupleIJPiSJ_EEENSV_IJSJ_SJ_EEES6_PlJS6_EEE10hipError_tPvRmT3_T4_T5_T6_T7_T9_mT8_P12ihipStream_tbDpT10_ENKUlT_T0_E_clISt17integral_constantIbLb1EES1I_IbLb0EEEEDaS1E_S1F_EUlS1E_E_NS1_11comp_targetILNS1_3genE5ELNS1_11target_archE942ELNS1_3gpuE9ELNS1_3repE0EEENS1_30default_config_static_selectorELNS0_4arch9wavefront6targetE1EEEvT1_: ; @_ZN7rocprim17ROCPRIM_400000_NS6detail17trampoline_kernelINS0_14default_configENS1_25partition_config_selectorILNS1_17partition_subalgoE2EiNS0_10empty_typeEbEEZZNS1_14partition_implILS5_2ELb0ES3_jN6thrust23THRUST_200600_302600_NS6detail15normal_iteratorINSA_7pointerIiNSA_11hip_rocprim3tagENSA_11use_defaultESG_EEEEPS6_NSA_18transform_iteratorI10is_orderedNSA_12zip_iteratorINSA_5tupleINSC_INSA_10device_ptrIiEEEESQ_NSA_9null_typeESR_SR_SR_SR_SR_SR_SR_EEEESG_SG_EENS0_5tupleIJPiSJ_EEENSV_IJSJ_SJ_EEES6_PlJS6_EEE10hipError_tPvRmT3_T4_T5_T6_T7_T9_mT8_P12ihipStream_tbDpT10_ENKUlT_T0_E_clISt17integral_constantIbLb1EES1I_IbLb0EEEEDaS1E_S1F_EUlS1E_E_NS1_11comp_targetILNS1_3genE5ELNS1_11target_archE942ELNS1_3gpuE9ELNS1_3repE0EEENS1_30default_config_static_selectorELNS0_4arch9wavefront6targetE1EEEvT1_
; %bb.0:
	.section	.rodata,"a",@progbits
	.p2align	6, 0x0
	.amdhsa_kernel _ZN7rocprim17ROCPRIM_400000_NS6detail17trampoline_kernelINS0_14default_configENS1_25partition_config_selectorILNS1_17partition_subalgoE2EiNS0_10empty_typeEbEEZZNS1_14partition_implILS5_2ELb0ES3_jN6thrust23THRUST_200600_302600_NS6detail15normal_iteratorINSA_7pointerIiNSA_11hip_rocprim3tagENSA_11use_defaultESG_EEEEPS6_NSA_18transform_iteratorI10is_orderedNSA_12zip_iteratorINSA_5tupleINSC_INSA_10device_ptrIiEEEESQ_NSA_9null_typeESR_SR_SR_SR_SR_SR_SR_EEEESG_SG_EENS0_5tupleIJPiSJ_EEENSV_IJSJ_SJ_EEES6_PlJS6_EEE10hipError_tPvRmT3_T4_T5_T6_T7_T9_mT8_P12ihipStream_tbDpT10_ENKUlT_T0_E_clISt17integral_constantIbLb1EES1I_IbLb0EEEEDaS1E_S1F_EUlS1E_E_NS1_11comp_targetILNS1_3genE5ELNS1_11target_archE942ELNS1_3gpuE9ELNS1_3repE0EEENS1_30default_config_static_selectorELNS0_4arch9wavefront6targetE1EEEvT1_
		.amdhsa_group_segment_fixed_size 0
		.amdhsa_private_segment_fixed_size 0
		.amdhsa_kernarg_size 136
		.amdhsa_user_sgpr_count 6
		.amdhsa_user_sgpr_private_segment_buffer 1
		.amdhsa_user_sgpr_dispatch_ptr 0
		.amdhsa_user_sgpr_queue_ptr 0
		.amdhsa_user_sgpr_kernarg_segment_ptr 1
		.amdhsa_user_sgpr_dispatch_id 0
		.amdhsa_user_sgpr_flat_scratch_init 0
		.amdhsa_user_sgpr_kernarg_preload_length 0
		.amdhsa_user_sgpr_kernarg_preload_offset 0
		.amdhsa_user_sgpr_private_segment_size 0
		.amdhsa_uses_dynamic_stack 0
		.amdhsa_system_sgpr_private_segment_wavefront_offset 0
		.amdhsa_system_sgpr_workgroup_id_x 1
		.amdhsa_system_sgpr_workgroup_id_y 0
		.amdhsa_system_sgpr_workgroup_id_z 0
		.amdhsa_system_sgpr_workgroup_info 0
		.amdhsa_system_vgpr_workitem_id 0
		.amdhsa_next_free_vgpr 1
		.amdhsa_next_free_sgpr 0
		.amdhsa_accum_offset 4
		.amdhsa_reserve_vcc 0
		.amdhsa_reserve_flat_scratch 0
		.amdhsa_float_round_mode_32 0
		.amdhsa_float_round_mode_16_64 0
		.amdhsa_float_denorm_mode_32 3
		.amdhsa_float_denorm_mode_16_64 3
		.amdhsa_dx10_clamp 1
		.amdhsa_ieee_mode 1
		.amdhsa_fp16_overflow 0
		.amdhsa_tg_split 0
		.amdhsa_exception_fp_ieee_invalid_op 0
		.amdhsa_exception_fp_denorm_src 0
		.amdhsa_exception_fp_ieee_div_zero 0
		.amdhsa_exception_fp_ieee_overflow 0
		.amdhsa_exception_fp_ieee_underflow 0
		.amdhsa_exception_fp_ieee_inexact 0
		.amdhsa_exception_int_div_zero 0
	.end_amdhsa_kernel
	.section	.text._ZN7rocprim17ROCPRIM_400000_NS6detail17trampoline_kernelINS0_14default_configENS1_25partition_config_selectorILNS1_17partition_subalgoE2EiNS0_10empty_typeEbEEZZNS1_14partition_implILS5_2ELb0ES3_jN6thrust23THRUST_200600_302600_NS6detail15normal_iteratorINSA_7pointerIiNSA_11hip_rocprim3tagENSA_11use_defaultESG_EEEEPS6_NSA_18transform_iteratorI10is_orderedNSA_12zip_iteratorINSA_5tupleINSC_INSA_10device_ptrIiEEEESQ_NSA_9null_typeESR_SR_SR_SR_SR_SR_SR_EEEESG_SG_EENS0_5tupleIJPiSJ_EEENSV_IJSJ_SJ_EEES6_PlJS6_EEE10hipError_tPvRmT3_T4_T5_T6_T7_T9_mT8_P12ihipStream_tbDpT10_ENKUlT_T0_E_clISt17integral_constantIbLb1EES1I_IbLb0EEEEDaS1E_S1F_EUlS1E_E_NS1_11comp_targetILNS1_3genE5ELNS1_11target_archE942ELNS1_3gpuE9ELNS1_3repE0EEENS1_30default_config_static_selectorELNS0_4arch9wavefront6targetE1EEEvT1_,"axG",@progbits,_ZN7rocprim17ROCPRIM_400000_NS6detail17trampoline_kernelINS0_14default_configENS1_25partition_config_selectorILNS1_17partition_subalgoE2EiNS0_10empty_typeEbEEZZNS1_14partition_implILS5_2ELb0ES3_jN6thrust23THRUST_200600_302600_NS6detail15normal_iteratorINSA_7pointerIiNSA_11hip_rocprim3tagENSA_11use_defaultESG_EEEEPS6_NSA_18transform_iteratorI10is_orderedNSA_12zip_iteratorINSA_5tupleINSC_INSA_10device_ptrIiEEEESQ_NSA_9null_typeESR_SR_SR_SR_SR_SR_SR_EEEESG_SG_EENS0_5tupleIJPiSJ_EEENSV_IJSJ_SJ_EEES6_PlJS6_EEE10hipError_tPvRmT3_T4_T5_T6_T7_T9_mT8_P12ihipStream_tbDpT10_ENKUlT_T0_E_clISt17integral_constantIbLb1EES1I_IbLb0EEEEDaS1E_S1F_EUlS1E_E_NS1_11comp_targetILNS1_3genE5ELNS1_11target_archE942ELNS1_3gpuE9ELNS1_3repE0EEENS1_30default_config_static_selectorELNS0_4arch9wavefront6targetE1EEEvT1_,comdat
.Lfunc_end3611:
	.size	_ZN7rocprim17ROCPRIM_400000_NS6detail17trampoline_kernelINS0_14default_configENS1_25partition_config_selectorILNS1_17partition_subalgoE2EiNS0_10empty_typeEbEEZZNS1_14partition_implILS5_2ELb0ES3_jN6thrust23THRUST_200600_302600_NS6detail15normal_iteratorINSA_7pointerIiNSA_11hip_rocprim3tagENSA_11use_defaultESG_EEEEPS6_NSA_18transform_iteratorI10is_orderedNSA_12zip_iteratorINSA_5tupleINSC_INSA_10device_ptrIiEEEESQ_NSA_9null_typeESR_SR_SR_SR_SR_SR_SR_EEEESG_SG_EENS0_5tupleIJPiSJ_EEENSV_IJSJ_SJ_EEES6_PlJS6_EEE10hipError_tPvRmT3_T4_T5_T6_T7_T9_mT8_P12ihipStream_tbDpT10_ENKUlT_T0_E_clISt17integral_constantIbLb1EES1I_IbLb0EEEEDaS1E_S1F_EUlS1E_E_NS1_11comp_targetILNS1_3genE5ELNS1_11target_archE942ELNS1_3gpuE9ELNS1_3repE0EEENS1_30default_config_static_selectorELNS0_4arch9wavefront6targetE1EEEvT1_, .Lfunc_end3611-_ZN7rocprim17ROCPRIM_400000_NS6detail17trampoline_kernelINS0_14default_configENS1_25partition_config_selectorILNS1_17partition_subalgoE2EiNS0_10empty_typeEbEEZZNS1_14partition_implILS5_2ELb0ES3_jN6thrust23THRUST_200600_302600_NS6detail15normal_iteratorINSA_7pointerIiNSA_11hip_rocprim3tagENSA_11use_defaultESG_EEEEPS6_NSA_18transform_iteratorI10is_orderedNSA_12zip_iteratorINSA_5tupleINSC_INSA_10device_ptrIiEEEESQ_NSA_9null_typeESR_SR_SR_SR_SR_SR_SR_EEEESG_SG_EENS0_5tupleIJPiSJ_EEENSV_IJSJ_SJ_EEES6_PlJS6_EEE10hipError_tPvRmT3_T4_T5_T6_T7_T9_mT8_P12ihipStream_tbDpT10_ENKUlT_T0_E_clISt17integral_constantIbLb1EES1I_IbLb0EEEEDaS1E_S1F_EUlS1E_E_NS1_11comp_targetILNS1_3genE5ELNS1_11target_archE942ELNS1_3gpuE9ELNS1_3repE0EEENS1_30default_config_static_selectorELNS0_4arch9wavefront6targetE1EEEvT1_
                                        ; -- End function
	.section	.AMDGPU.csdata,"",@progbits
; Kernel info:
; codeLenInByte = 0
; NumSgprs: 4
; NumVgprs: 0
; NumAgprs: 0
; TotalNumVgprs: 0
; ScratchSize: 0
; MemoryBound: 0
; FloatMode: 240
; IeeeMode: 1
; LDSByteSize: 0 bytes/workgroup (compile time only)
; SGPRBlocks: 0
; VGPRBlocks: 0
; NumSGPRsForWavesPerEU: 4
; NumVGPRsForWavesPerEU: 1
; AccumOffset: 4
; Occupancy: 8
; WaveLimiterHint : 0
; COMPUTE_PGM_RSRC2:SCRATCH_EN: 0
; COMPUTE_PGM_RSRC2:USER_SGPR: 6
; COMPUTE_PGM_RSRC2:TRAP_HANDLER: 0
; COMPUTE_PGM_RSRC2:TGID_X_EN: 1
; COMPUTE_PGM_RSRC2:TGID_Y_EN: 0
; COMPUTE_PGM_RSRC2:TGID_Z_EN: 0
; COMPUTE_PGM_RSRC2:TIDIG_COMP_CNT: 0
; COMPUTE_PGM_RSRC3_GFX90A:ACCUM_OFFSET: 0
; COMPUTE_PGM_RSRC3_GFX90A:TG_SPLIT: 0
	.section	.text._ZN7rocprim17ROCPRIM_400000_NS6detail17trampoline_kernelINS0_14default_configENS1_25partition_config_selectorILNS1_17partition_subalgoE2EiNS0_10empty_typeEbEEZZNS1_14partition_implILS5_2ELb0ES3_jN6thrust23THRUST_200600_302600_NS6detail15normal_iteratorINSA_7pointerIiNSA_11hip_rocprim3tagENSA_11use_defaultESG_EEEEPS6_NSA_18transform_iteratorI10is_orderedNSA_12zip_iteratorINSA_5tupleINSC_INSA_10device_ptrIiEEEESQ_NSA_9null_typeESR_SR_SR_SR_SR_SR_SR_EEEESG_SG_EENS0_5tupleIJPiSJ_EEENSV_IJSJ_SJ_EEES6_PlJS6_EEE10hipError_tPvRmT3_T4_T5_T6_T7_T9_mT8_P12ihipStream_tbDpT10_ENKUlT_T0_E_clISt17integral_constantIbLb1EES1I_IbLb0EEEEDaS1E_S1F_EUlS1E_E_NS1_11comp_targetILNS1_3genE4ELNS1_11target_archE910ELNS1_3gpuE8ELNS1_3repE0EEENS1_30default_config_static_selectorELNS0_4arch9wavefront6targetE1EEEvT1_,"axG",@progbits,_ZN7rocprim17ROCPRIM_400000_NS6detail17trampoline_kernelINS0_14default_configENS1_25partition_config_selectorILNS1_17partition_subalgoE2EiNS0_10empty_typeEbEEZZNS1_14partition_implILS5_2ELb0ES3_jN6thrust23THRUST_200600_302600_NS6detail15normal_iteratorINSA_7pointerIiNSA_11hip_rocprim3tagENSA_11use_defaultESG_EEEEPS6_NSA_18transform_iteratorI10is_orderedNSA_12zip_iteratorINSA_5tupleINSC_INSA_10device_ptrIiEEEESQ_NSA_9null_typeESR_SR_SR_SR_SR_SR_SR_EEEESG_SG_EENS0_5tupleIJPiSJ_EEENSV_IJSJ_SJ_EEES6_PlJS6_EEE10hipError_tPvRmT3_T4_T5_T6_T7_T9_mT8_P12ihipStream_tbDpT10_ENKUlT_T0_E_clISt17integral_constantIbLb1EES1I_IbLb0EEEEDaS1E_S1F_EUlS1E_E_NS1_11comp_targetILNS1_3genE4ELNS1_11target_archE910ELNS1_3gpuE8ELNS1_3repE0EEENS1_30default_config_static_selectorELNS0_4arch9wavefront6targetE1EEEvT1_,comdat
	.protected	_ZN7rocprim17ROCPRIM_400000_NS6detail17trampoline_kernelINS0_14default_configENS1_25partition_config_selectorILNS1_17partition_subalgoE2EiNS0_10empty_typeEbEEZZNS1_14partition_implILS5_2ELb0ES3_jN6thrust23THRUST_200600_302600_NS6detail15normal_iteratorINSA_7pointerIiNSA_11hip_rocprim3tagENSA_11use_defaultESG_EEEEPS6_NSA_18transform_iteratorI10is_orderedNSA_12zip_iteratorINSA_5tupleINSC_INSA_10device_ptrIiEEEESQ_NSA_9null_typeESR_SR_SR_SR_SR_SR_SR_EEEESG_SG_EENS0_5tupleIJPiSJ_EEENSV_IJSJ_SJ_EEES6_PlJS6_EEE10hipError_tPvRmT3_T4_T5_T6_T7_T9_mT8_P12ihipStream_tbDpT10_ENKUlT_T0_E_clISt17integral_constantIbLb1EES1I_IbLb0EEEEDaS1E_S1F_EUlS1E_E_NS1_11comp_targetILNS1_3genE4ELNS1_11target_archE910ELNS1_3gpuE8ELNS1_3repE0EEENS1_30default_config_static_selectorELNS0_4arch9wavefront6targetE1EEEvT1_ ; -- Begin function _ZN7rocprim17ROCPRIM_400000_NS6detail17trampoline_kernelINS0_14default_configENS1_25partition_config_selectorILNS1_17partition_subalgoE2EiNS0_10empty_typeEbEEZZNS1_14partition_implILS5_2ELb0ES3_jN6thrust23THRUST_200600_302600_NS6detail15normal_iteratorINSA_7pointerIiNSA_11hip_rocprim3tagENSA_11use_defaultESG_EEEEPS6_NSA_18transform_iteratorI10is_orderedNSA_12zip_iteratorINSA_5tupleINSC_INSA_10device_ptrIiEEEESQ_NSA_9null_typeESR_SR_SR_SR_SR_SR_SR_EEEESG_SG_EENS0_5tupleIJPiSJ_EEENSV_IJSJ_SJ_EEES6_PlJS6_EEE10hipError_tPvRmT3_T4_T5_T6_T7_T9_mT8_P12ihipStream_tbDpT10_ENKUlT_T0_E_clISt17integral_constantIbLb1EES1I_IbLb0EEEEDaS1E_S1F_EUlS1E_E_NS1_11comp_targetILNS1_3genE4ELNS1_11target_archE910ELNS1_3gpuE8ELNS1_3repE0EEENS1_30default_config_static_selectorELNS0_4arch9wavefront6targetE1EEEvT1_
	.globl	_ZN7rocprim17ROCPRIM_400000_NS6detail17trampoline_kernelINS0_14default_configENS1_25partition_config_selectorILNS1_17partition_subalgoE2EiNS0_10empty_typeEbEEZZNS1_14partition_implILS5_2ELb0ES3_jN6thrust23THRUST_200600_302600_NS6detail15normal_iteratorINSA_7pointerIiNSA_11hip_rocprim3tagENSA_11use_defaultESG_EEEEPS6_NSA_18transform_iteratorI10is_orderedNSA_12zip_iteratorINSA_5tupleINSC_INSA_10device_ptrIiEEEESQ_NSA_9null_typeESR_SR_SR_SR_SR_SR_SR_EEEESG_SG_EENS0_5tupleIJPiSJ_EEENSV_IJSJ_SJ_EEES6_PlJS6_EEE10hipError_tPvRmT3_T4_T5_T6_T7_T9_mT8_P12ihipStream_tbDpT10_ENKUlT_T0_E_clISt17integral_constantIbLb1EES1I_IbLb0EEEEDaS1E_S1F_EUlS1E_E_NS1_11comp_targetILNS1_3genE4ELNS1_11target_archE910ELNS1_3gpuE8ELNS1_3repE0EEENS1_30default_config_static_selectorELNS0_4arch9wavefront6targetE1EEEvT1_
	.p2align	8
	.type	_ZN7rocprim17ROCPRIM_400000_NS6detail17trampoline_kernelINS0_14default_configENS1_25partition_config_selectorILNS1_17partition_subalgoE2EiNS0_10empty_typeEbEEZZNS1_14partition_implILS5_2ELb0ES3_jN6thrust23THRUST_200600_302600_NS6detail15normal_iteratorINSA_7pointerIiNSA_11hip_rocprim3tagENSA_11use_defaultESG_EEEEPS6_NSA_18transform_iteratorI10is_orderedNSA_12zip_iteratorINSA_5tupleINSC_INSA_10device_ptrIiEEEESQ_NSA_9null_typeESR_SR_SR_SR_SR_SR_SR_EEEESG_SG_EENS0_5tupleIJPiSJ_EEENSV_IJSJ_SJ_EEES6_PlJS6_EEE10hipError_tPvRmT3_T4_T5_T6_T7_T9_mT8_P12ihipStream_tbDpT10_ENKUlT_T0_E_clISt17integral_constantIbLb1EES1I_IbLb0EEEEDaS1E_S1F_EUlS1E_E_NS1_11comp_targetILNS1_3genE4ELNS1_11target_archE910ELNS1_3gpuE8ELNS1_3repE0EEENS1_30default_config_static_selectorELNS0_4arch9wavefront6targetE1EEEvT1_,@function
_ZN7rocprim17ROCPRIM_400000_NS6detail17trampoline_kernelINS0_14default_configENS1_25partition_config_selectorILNS1_17partition_subalgoE2EiNS0_10empty_typeEbEEZZNS1_14partition_implILS5_2ELb0ES3_jN6thrust23THRUST_200600_302600_NS6detail15normal_iteratorINSA_7pointerIiNSA_11hip_rocprim3tagENSA_11use_defaultESG_EEEEPS6_NSA_18transform_iteratorI10is_orderedNSA_12zip_iteratorINSA_5tupleINSC_INSA_10device_ptrIiEEEESQ_NSA_9null_typeESR_SR_SR_SR_SR_SR_SR_EEEESG_SG_EENS0_5tupleIJPiSJ_EEENSV_IJSJ_SJ_EEES6_PlJS6_EEE10hipError_tPvRmT3_T4_T5_T6_T7_T9_mT8_P12ihipStream_tbDpT10_ENKUlT_T0_E_clISt17integral_constantIbLb1EES1I_IbLb0EEEEDaS1E_S1F_EUlS1E_E_NS1_11comp_targetILNS1_3genE4ELNS1_11target_archE910ELNS1_3gpuE8ELNS1_3repE0EEENS1_30default_config_static_selectorELNS0_4arch9wavefront6targetE1EEEvT1_: ; @_ZN7rocprim17ROCPRIM_400000_NS6detail17trampoline_kernelINS0_14default_configENS1_25partition_config_selectorILNS1_17partition_subalgoE2EiNS0_10empty_typeEbEEZZNS1_14partition_implILS5_2ELb0ES3_jN6thrust23THRUST_200600_302600_NS6detail15normal_iteratorINSA_7pointerIiNSA_11hip_rocprim3tagENSA_11use_defaultESG_EEEEPS6_NSA_18transform_iteratorI10is_orderedNSA_12zip_iteratorINSA_5tupleINSC_INSA_10device_ptrIiEEEESQ_NSA_9null_typeESR_SR_SR_SR_SR_SR_SR_EEEESG_SG_EENS0_5tupleIJPiSJ_EEENSV_IJSJ_SJ_EEES6_PlJS6_EEE10hipError_tPvRmT3_T4_T5_T6_T7_T9_mT8_P12ihipStream_tbDpT10_ENKUlT_T0_E_clISt17integral_constantIbLb1EES1I_IbLb0EEEEDaS1E_S1F_EUlS1E_E_NS1_11comp_targetILNS1_3genE4ELNS1_11target_archE910ELNS1_3gpuE8ELNS1_3repE0EEENS1_30default_config_static_selectorELNS0_4arch9wavefront6targetE1EEEvT1_
; %bb.0:
	s_load_dwordx4 s[24:27], s[4:5], 0x8
	s_load_dwordx4 s[20:23], s[4:5], 0x58
	s_load_dwordx2 s[28:29], s[4:5], 0x68
	s_load_dword s0, s[4:5], 0x80
	v_lshlrev_b32_e32 v1, 2, v0
	s_waitcnt lgkmcnt(0)
	s_lshl_b64 s[2:3], s[26:27], 2
	s_add_u32 s7, s24, s2
	s_addc_u32 s8, s25, s3
	s_add_i32 s9, s0, -1
	s_mulk_i32 s0, 0xa00
	s_add_i32 s1, s0, s26
	s_sub_i32 s33, s28, s1
	s_addk_i32 s33, 0xa00
	s_add_u32 s0, s26, s0
	s_addc_u32 s1, s27, 0
	s_cmp_eq_u32 s6, s9
	s_load_dwordx2 s[30:31], s[22:23], 0x0
	v_pk_mov_b32 v[2:3], s[28:29], s[28:29] op_sel:[0,1]
	s_cselect_b64 s[22:23], -1, 0
	s_cmp_lg_u32 s6, s9
	s_mul_i32 s24, s6, 0xa00
	s_mov_b32 s25, 0
	v_cmp_lt_u64_e32 vcc, s[0:1], v[2:3]
	s_cselect_b64 s[0:1], -1, 0
	s_or_b64 s[34:35], s[0:1], vcc
	s_lshl_b64 s[12:13], s[24:25], 2
	s_add_u32 s7, s7, s12
	s_addc_u32 s16, s8, s13
	s_mov_b64 s[0:1], -1
	s_and_b64 vcc, exec, s[34:35]
	s_cbranch_vccz .LBB3612_2
; %bb.1:
	v_mov_b32_e32 v3, s16
	v_add_co_u32_e32 v2, vcc, s7, v1
	v_addc_co_u32_e32 v3, vcc, 0, v3, vcc
	v_add_co_u32_e32 v4, vcc, 0x1000, v2
	v_addc_co_u32_e32 v5, vcc, 0, v3, vcc
	flat_load_dword v6, v[2:3]
	flat_load_dword v7, v[2:3] offset:1024
	flat_load_dword v8, v[2:3] offset:2048
	;; [unrolled: 1-line block ×3, first 2 shown]
	flat_load_dword v10, v[4:5]
	flat_load_dword v11, v[4:5] offset:1024
	flat_load_dword v12, v[4:5] offset:2048
	;; [unrolled: 1-line block ×3, first 2 shown]
	v_add_co_u32_e32 v2, vcc, 0x2000, v2
	v_addc_co_u32_e32 v3, vcc, 0, v3, vcc
	flat_load_dword v4, v[2:3]
	flat_load_dword v5, v[2:3] offset:1024
	s_mov_b64 s[0:1], 0
	s_waitcnt vmcnt(0) lgkmcnt(0)
	ds_write2st64_b32 v1, v6, v7 offset1:4
	ds_write2st64_b32 v1, v8, v9 offset0:8 offset1:12
	ds_write2st64_b32 v1, v10, v11 offset0:16 offset1:20
	;; [unrolled: 1-line block ×4, first 2 shown]
	s_waitcnt lgkmcnt(0)
	s_barrier
.LBB3612_2:
	s_load_dwordx4 s[8:11], s[4:5], 0x20
	s_andn2_b64 vcc, exec, s[0:1]
	v_cmp_gt_u32_e64 s[0:1], s33, v0
	s_cbranch_vccnz .LBB3612_24
; %bb.3:
                                        ; implicit-def: $vgpr2_vgpr3_vgpr4_vgpr5_vgpr6_vgpr7_vgpr8_vgpr9_vgpr10_vgpr11
	s_and_saveexec_b64 s[14:15], s[0:1]
	s_cbranch_execz .LBB3612_5
; %bb.4:
	v_mov_b32_e32 v3, s16
	v_add_co_u32_e32 v2, vcc, s7, v1
	v_addc_co_u32_e32 v3, vcc, 0, v3, vcc
	flat_load_dword v2, v[2:3]
.LBB3612_5:
	s_or_b64 exec, exec, s[14:15]
	v_or_b32_e32 v12, 0x100, v0
	v_cmp_gt_u32_e32 vcc, s33, v12
	s_and_saveexec_b64 s[0:1], vcc
	s_cbranch_execz .LBB3612_7
; %bb.6:
	v_mov_b32_e32 v3, s16
	v_add_co_u32_e32 v12, vcc, s7, v1
	v_addc_co_u32_e32 v13, vcc, 0, v3, vcc
	flat_load_dword v3, v[12:13] offset:1024
.LBB3612_7:
	s_or_b64 exec, exec, s[0:1]
	v_or_b32_e32 v12, 0x200, v0
	v_cmp_gt_u32_e32 vcc, s33, v12
	s_and_saveexec_b64 s[0:1], vcc
	s_cbranch_execz .LBB3612_9
; %bb.8:
	v_mov_b32_e32 v4, s16
	v_add_co_u32_e32 v12, vcc, s7, v1
	v_addc_co_u32_e32 v13, vcc, 0, v4, vcc
	flat_load_dword v4, v[12:13] offset:2048
.LBB3612_9:
	;; [unrolled: 11-line block ×3, first 2 shown]
	s_or_b64 exec, exec, s[0:1]
	v_or_b32_e32 v12, 0x400, v0
	v_cmp_gt_u32_e32 vcc, s33, v12
	s_and_saveexec_b64 s[0:1], vcc
	s_cbranch_execz .LBB3612_13
; %bb.12:
	v_lshlrev_b32_e32 v6, 2, v12
	v_mov_b32_e32 v13, s16
	v_add_co_u32_e32 v12, vcc, s7, v6
	v_addc_co_u32_e32 v13, vcc, 0, v13, vcc
	flat_load_dword v6, v[12:13]
.LBB3612_13:
	s_or_b64 exec, exec, s[0:1]
	v_or_b32_e32 v12, 0x500, v0
	v_cmp_gt_u32_e32 vcc, s33, v12
	s_and_saveexec_b64 s[0:1], vcc
	s_cbranch_execz .LBB3612_15
; %bb.14:
	v_lshlrev_b32_e32 v7, 2, v12
	v_mov_b32_e32 v13, s16
	v_add_co_u32_e32 v12, vcc, s7, v7
	v_addc_co_u32_e32 v13, vcc, 0, v13, vcc
	flat_load_dword v7, v[12:13]
.LBB3612_15:
	;; [unrolled: 12-line block ×6, first 2 shown]
	s_or_b64 exec, exec, s[0:1]
	s_waitcnt vmcnt(0) lgkmcnt(0)
	ds_write2st64_b32 v1, v2, v3 offset1:4
	ds_write2st64_b32 v1, v4, v5 offset0:8 offset1:12
	ds_write2st64_b32 v1, v6, v7 offset0:16 offset1:20
	;; [unrolled: 1-line block ×4, first 2 shown]
	s_waitcnt lgkmcnt(0)
	s_barrier
.LBB3612_24:
	s_waitcnt lgkmcnt(0)
	s_add_u32 s0, s8, s2
	v_mul_u32_u24_e32 v24, 10, v0
	s_addc_u32 s1, s9, s3
	v_lshlrev_b32_e32 v10, 2, v24
	s_add_u32 s2, s10, s2
	ds_read2_b64 v[6:9], v10 offset1:1
	ds_read2_b64 v[2:5], v10 offset0:2 offset1:3
	ds_read_b64 v[12:13], v10 offset:32
	s_addc_u32 s3, s11, s3
	s_add_u32 s0, s0, s12
	s_addc_u32 s1, s1, s13
	s_add_u32 s2, s2, s12
	s_addc_u32 s3, s3, s13
	s_mov_b64 s[8:9], -1
	s_and_b64 vcc, exec, s[34:35]
	s_waitcnt lgkmcnt(0)
	s_barrier
	s_cbranch_vccz .LBB3612_26
; %bb.25:
	v_mov_b32_e32 v10, s1
	v_add_co_u32_e32 v14, vcc, s0, v1
	v_addc_co_u32_e32 v15, vcc, 0, v10, vcc
	v_mov_b32_e32 v10, s3
	v_add_co_u32_e32 v18, vcc, s2, v1
	v_addc_co_u32_e32 v19, vcc, 0, v10, vcc
	s_movk_i32 s7, 0x1000
	v_add_co_u32_e32 v10, vcc, s7, v14
	global_load_dword v20, v1, s[0:1]
	global_load_dword v21, v1, s[0:1] offset:1024
	global_load_dword v22, v1, s[0:1] offset:2048
	;; [unrolled: 1-line block ×5, first 2 shown]
	global_load_dword v27, v1, s[2:3]
	global_load_dword v28, v1, s[0:1] offset:3072
	v_addc_co_u32_e32 v11, vcc, 0, v15, vcc
	s_movk_i32 s8, 0x2000
	v_add_co_u32_e32 v14, vcc, s8, v14
	v_addc_co_u32_e32 v15, vcc, 0, v15, vcc
	global_load_dword v29, v[14:15], off offset:-4096
	v_add_co_u32_e32 v16, vcc, s7, v18
	v_addc_co_u32_e32 v17, vcc, 0, v19, vcc
	v_add_co_u32_e32 v18, vcc, s8, v18
	v_addc_co_u32_e32 v19, vcc, 0, v19, vcc
	global_load_dword v30, v[18:19], off offset:-4096
	global_load_dword v31, v[10:11], off offset:1024
	global_load_dword v32, v[16:17], off offset:1024
	;; [unrolled: 1-line block ×6, first 2 shown]
	global_load_dword v37, v[18:19], off
	global_load_dword v38, v[14:15], off
	global_load_dword v39, v[14:15], off offset:1024
	global_load_dword v40, v[18:19], off offset:1024
	s_mov_b64 s[8:9], 0
	s_waitcnt vmcnt(13)
	v_cmp_le_i32_e32 vcc, v20, v27
	v_cndmask_b32_e64 v10, 0, 1, vcc
	v_cmp_le_i32_e32 vcc, v21, v23
	v_cndmask_b32_e64 v11, 0, 1, vcc
	;; [unrolled: 2-line block ×3, first 2 shown]
	s_waitcnt vmcnt(12)
	v_cmp_le_i32_e32 vcc, v28, v26
	v_cndmask_b32_e64 v15, 0, 1, vcc
	ds_write_b8 v0, v10
	ds_write_b8 v0, v11 offset:256
	ds_write_b8 v0, v14 offset:512
	;; [unrolled: 1-line block ×3, first 2 shown]
	s_waitcnt vmcnt(10)
	v_cmp_le_i32_e32 vcc, v29, v30
	v_cndmask_b32_e64 v10, 0, 1, vcc
	s_waitcnt vmcnt(8)
	v_cmp_le_i32_e32 vcc, v31, v32
	v_cndmask_b32_e64 v11, 0, 1, vcc
	;; [unrolled: 3-line block ×6, first 2 shown]
	ds_write_b8 v0, v10 offset:1024
	ds_write_b8 v0, v11 offset:1280
	;; [unrolled: 1-line block ×6, first 2 shown]
	s_waitcnt lgkmcnt(0)
	s_barrier
.LBB3612_26:
	s_load_dwordx2 s[36:37], s[4:5], 0x78
	s_andn2_b64 vcc, exec, s[8:9]
	s_cbranch_vccnz .LBB3612_48
; %bb.27:
	v_cmp_gt_u32_e32 vcc, s33, v0
	v_mov_b32_e32 v10, 0
	v_mov_b32_e32 v11, 0
	s_and_saveexec_b64 s[8:9], vcc
	s_cbranch_execz .LBB3612_29
; %bb.28:
	global_load_dword v11, v1, s[0:1]
	global_load_dword v14, v1, s[2:3]
	s_waitcnt vmcnt(0)
	v_cmp_le_i32_e32 vcc, v11, v14
	v_cndmask_b32_e64 v11, 0, 1, vcc
.LBB3612_29:
	s_or_b64 exec, exec, s[8:9]
	v_or_b32_e32 v14, 0x100, v0
	v_cmp_gt_u32_e32 vcc, s33, v14
	s_and_saveexec_b64 s[8:9], vcc
	s_cbranch_execz .LBB3612_31
; %bb.30:
	global_load_dword v10, v1, s[0:1] offset:1024
	global_load_dword v14, v1, s[2:3] offset:1024
	s_waitcnt vmcnt(0)
	v_cmp_le_i32_e32 vcc, v10, v14
	v_cndmask_b32_e64 v10, 0, 1, vcc
.LBB3612_31:
	s_or_b64 exec, exec, s[8:9]
	v_or_b32_e32 v14, 0x200, v0
	v_cmp_gt_u32_e32 vcc, s33, v14
	v_mov_b32_e32 v14, 0
	v_mov_b32_e32 v15, 0
	s_and_saveexec_b64 s[8:9], vcc
	s_cbranch_execz .LBB3612_33
; %bb.32:
	global_load_dword v15, v1, s[0:1] offset:2048
	global_load_dword v16, v1, s[2:3] offset:2048
	s_waitcnt vmcnt(0)
	v_cmp_le_i32_e32 vcc, v15, v16
	v_cndmask_b32_e64 v15, 0, 1, vcc
.LBB3612_33:
	s_or_b64 exec, exec, s[8:9]
	v_or_b32_e32 v16, 0x300, v0
	v_cmp_gt_u32_e32 vcc, s33, v16
	s_and_saveexec_b64 s[8:9], vcc
	s_cbranch_execz .LBB3612_35
; %bb.34:
	global_load_dword v14, v1, s[0:1] offset:3072
	global_load_dword v16, v1, s[2:3] offset:3072
	s_waitcnt vmcnt(0)
	v_cmp_le_i32_e32 vcc, v14, v16
	v_cndmask_b32_e64 v14, 0, 1, vcc
.LBB3612_35:
	s_or_b64 exec, exec, s[8:9]
	v_or_b32_e32 v18, 0x400, v0
	v_cmp_gt_u32_e32 vcc, s33, v18
	v_mov_b32_e32 v16, 0
	v_mov_b32_e32 v17, 0
	s_and_saveexec_b64 s[8:9], vcc
	s_cbranch_execz .LBB3612_37
; %bb.36:
	v_lshlrev_b32_e32 v17, 2, v18
	global_load_dword v18, v17, s[0:1]
	global_load_dword v19, v17, s[2:3]
	s_waitcnt vmcnt(0)
	v_cmp_le_i32_e32 vcc, v18, v19
	v_cndmask_b32_e64 v17, 0, 1, vcc
.LBB3612_37:
	s_or_b64 exec, exec, s[8:9]
	v_or_b32_e32 v18, 0x500, v0
	v_cmp_gt_u32_e32 vcc, s33, v18
	s_and_saveexec_b64 s[8:9], vcc
	s_cbranch_execz .LBB3612_39
; %bb.38:
	v_lshlrev_b32_e32 v16, 2, v18
	global_load_dword v18, v16, s[0:1]
	global_load_dword v19, v16, s[2:3]
	s_waitcnt vmcnt(0)
	v_cmp_le_i32_e32 vcc, v18, v19
	v_cndmask_b32_e64 v16, 0, 1, vcc
.LBB3612_39:
	s_or_b64 exec, exec, s[8:9]
	v_or_b32_e32 v20, 0x600, v0
	v_cmp_gt_u32_e32 vcc, s33, v20
	v_mov_b32_e32 v18, 0
	v_mov_b32_e32 v19, 0
	s_and_saveexec_b64 s[8:9], vcc
	s_cbranch_execz .LBB3612_41
; %bb.40:
	v_lshlrev_b32_e32 v19, 2, v20
	global_load_dword v20, v19, s[0:1]
	global_load_dword v21, v19, s[2:3]
	s_waitcnt vmcnt(0)
	v_cmp_le_i32_e32 vcc, v20, v21
	v_cndmask_b32_e64 v19, 0, 1, vcc
.LBB3612_41:
	s_or_b64 exec, exec, s[8:9]
	v_or_b32_e32 v20, 0x700, v0
	v_cmp_gt_u32_e32 vcc, s33, v20
	s_and_saveexec_b64 s[8:9], vcc
	s_cbranch_execz .LBB3612_43
; %bb.42:
	v_lshlrev_b32_e32 v18, 2, v20
	global_load_dword v20, v18, s[0:1]
	global_load_dword v21, v18, s[2:3]
	s_waitcnt vmcnt(0)
	v_cmp_le_i32_e32 vcc, v20, v21
	v_cndmask_b32_e64 v18, 0, 1, vcc
.LBB3612_43:
	;; [unrolled: 28-line block ×3, first 2 shown]
	s_or_b64 exec, exec, s[8:9]
	ds_write_b8 v0, v11
	ds_write_b8 v0, v10 offset:256
	ds_write_b8 v0, v15 offset:512
	;; [unrolled: 1-line block ×9, first 2 shown]
	s_waitcnt lgkmcnt(0)
	s_barrier
.LBB3612_48:
	s_waitcnt lgkmcnt(0)
	ds_read_b64 v[14:15], v24
	ds_read_u16 v26, v24 offset:8
	s_cmp_lg_u32 s6, 0
	v_lshrrev_b32_e32 v35, 6, v0
	s_waitcnt lgkmcnt(0)
	v_lshrrev_b32_e32 v28, 24, v14
	v_bfe_u32 v33, v14, 16, 8
	v_add_u32_sdwa v10, v14, v14 dst_sel:DWORD dst_unused:UNUSED_PAD src0_sel:BYTE_1 src1_sel:BYTE_0
	v_and_b32_e32 v30, 0xff, v15
	v_bfe_u32 v31, v15, 8, 8
	v_add3_u32 v10, v10, v33, v28
	v_lshrrev_b32_e32 v27, 24, v15
	v_bfe_u32 v32, v15, 16, 8
	v_add3_u32 v10, v10, v30, v31
	v_lshrrev_b16_e32 v25, 8, v26
	v_and_b32_e32 v29, 0xff, v26
	v_add3_u32 v10, v10, v32, v27
	v_add3_u32 v36, v10, v29, v25
	v_mbcnt_lo_u32_b32 v10, -1, 0
	v_mbcnt_hi_u32_b32 v34, -1, v10
	v_and_b32_e32 v10, 15, v34
	v_cmp_eq_u32_e64 s[14:15], 0, v10
	v_cmp_lt_u32_e64 s[12:13], 1, v10
	v_cmp_lt_u32_e64 s[10:11], 3, v10
	;; [unrolled: 1-line block ×3, first 2 shown]
	v_and_b32_e32 v10, 16, v34
	v_cmp_eq_u32_e64 s[18:19], 0, v10
	v_or_b32_e32 v10, 63, v0
	v_cmp_lt_u32_e64 s[0:1], 31, v34
	v_cmp_eq_u32_e64 s[2:3], v10, v0
	s_barrier
	s_cbranch_scc0 .LBB3612_79
; %bb.49:
	v_mov_b32_dpp v10, v36 row_shr:1 row_mask:0xf bank_mask:0xf
	v_cndmask_b32_e64 v10, v10, 0, s[14:15]
	v_add_u32_e32 v10, v10, v36
	s_nop 1
	v_mov_b32_dpp v11, v10 row_shr:2 row_mask:0xf bank_mask:0xf
	v_cndmask_b32_e64 v11, 0, v11, s[12:13]
	v_add_u32_e32 v10, v10, v11
	s_nop 1
	;; [unrolled: 4-line block ×4, first 2 shown]
	v_mov_b32_dpp v11, v10 row_bcast:15 row_mask:0xf bank_mask:0xf
	v_cndmask_b32_e64 v11, v11, 0, s[18:19]
	v_add_u32_e32 v10, v10, v11
	s_nop 1
	v_mov_b32_dpp v11, v10 row_bcast:31 row_mask:0xf bank_mask:0xf
	v_cndmask_b32_e64 v11, 0, v11, s[0:1]
	v_add_u32_e32 v10, v10, v11
	s_and_saveexec_b64 s[16:17], s[2:3]
	s_cbranch_execz .LBB3612_51
; %bb.50:
	v_lshlrev_b32_e32 v11, 2, v35
	ds_write_b32 v11, v10
.LBB3612_51:
	s_or_b64 exec, exec, s[16:17]
	v_cmp_gt_u32_e32 vcc, 4, v0
	s_waitcnt lgkmcnt(0)
	s_barrier
	s_and_saveexec_b64 s[16:17], vcc
	s_cbranch_execz .LBB3612_53
; %bb.52:
	ds_read_b32 v11, v1
	v_and_b32_e32 v16, 3, v34
	v_cmp_ne_u32_e32 vcc, 0, v16
	s_waitcnt lgkmcnt(0)
	v_mov_b32_dpp v17, v11 row_shr:1 row_mask:0xf bank_mask:0xf
	v_cndmask_b32_e32 v17, 0, v17, vcc
	v_add_u32_e32 v11, v17, v11
	v_cmp_lt_u32_e32 vcc, 1, v16
	s_nop 0
	v_mov_b32_dpp v17, v11 row_shr:2 row_mask:0xf bank_mask:0xf
	v_cndmask_b32_e32 v16, 0, v17, vcc
	v_add_u32_e32 v11, v11, v16
	ds_write_b32 v1, v11
.LBB3612_53:
	s_or_b64 exec, exec, s[16:17]
	v_cmp_gt_u32_e32 vcc, 64, v0
	v_cmp_lt_u32_e64 s[16:17], 63, v0
	s_waitcnt lgkmcnt(0)
	s_barrier
	s_waitcnt lgkmcnt(0)
                                        ; implicit-def: $vgpr37
	s_and_saveexec_b64 s[38:39], s[16:17]
	s_cbranch_execz .LBB3612_55
; %bb.54:
	v_lshl_add_u32 v11, v35, 2, -4
	ds_read_b32 v37, v11
	s_waitcnt lgkmcnt(0)
	v_add_u32_e32 v10, v37, v10
.LBB3612_55:
	s_or_b64 exec, exec, s[38:39]
	v_add_u32_e32 v11, -1, v34
	v_and_b32_e32 v16, 64, v34
	v_cmp_lt_i32_e64 s[16:17], v11, v16
	v_cndmask_b32_e64 v11, v11, v34, s[16:17]
	v_lshlrev_b32_e32 v11, 2, v11
	ds_bpermute_b32 v38, v11, v10
	v_cmp_eq_u32_e64 s[16:17], 0, v34
	s_and_saveexec_b64 s[38:39], vcc
	s_cbranch_execz .LBB3612_78
; %bb.56:
	v_mov_b32_e32 v23, 0
	ds_read_b32 v10, v23 offset:12
	s_and_saveexec_b64 s[40:41], s[16:17]
	s_cbranch_execz .LBB3612_58
; %bb.57:
	s_add_i32 s42, s6, 64
	s_mov_b32 s43, 0
	s_lshl_b64 s[42:43], s[42:43], 3
	s_add_u32 s42, s36, s42
	v_mov_b32_e32 v11, 1
	s_addc_u32 s43, s37, s43
	s_waitcnt lgkmcnt(0)
	global_store_dwordx2 v23, v[10:11], s[42:43]
.LBB3612_58:
	s_or_b64 exec, exec, s[40:41]
	v_xad_u32 v16, v34, -1, s6
	v_add_u32_e32 v22, 64, v16
	v_lshlrev_b64 v[18:19], 3, v[22:23]
	v_mov_b32_e32 v11, s37
	v_add_co_u32_e32 v18, vcc, s36, v18
	v_addc_co_u32_e32 v19, vcc, v11, v19, vcc
	global_load_dwordx2 v[20:21], v[18:19], off glc
	s_waitcnt vmcnt(0)
	v_cmp_eq_u16_sdwa s[42:43], v21, v23 src0_sel:BYTE_0 src1_sel:DWORD
	s_and_saveexec_b64 s[40:41], s[42:43]
	s_cbranch_execz .LBB3612_64
; %bb.59:
	s_mov_b32 s7, 1
	s_mov_b64 s[42:43], 0
	v_mov_b32_e32 v11, 0
.LBB3612_60:                            ; =>This Loop Header: Depth=1
                                        ;     Child Loop BB3612_61 Depth 2
	s_max_u32 s25, s7, 1
.LBB3612_61:                            ;   Parent Loop BB3612_60 Depth=1
                                        ; =>  This Inner Loop Header: Depth=2
	s_add_i32 s25, s25, -1
	s_cmp_eq_u32 s25, 0
	s_sleep 1
	s_cbranch_scc0 .LBB3612_61
; %bb.62:                               ;   in Loop: Header=BB3612_60 Depth=1
	global_load_dwordx2 v[20:21], v[18:19], off glc
	s_cmp_lt_u32 s7, 32
	s_cselect_b64 s[44:45], -1, 0
	s_cmp_lg_u64 s[44:45], 0
	s_addc_u32 s7, s7, 0
	s_waitcnt vmcnt(0)
	v_cmp_ne_u16_sdwa s[44:45], v21, v11 src0_sel:BYTE_0 src1_sel:DWORD
	s_or_b64 s[42:43], s[44:45], s[42:43]
	s_andn2_b64 exec, exec, s[42:43]
	s_cbranch_execnz .LBB3612_60
; %bb.63:
	s_or_b64 exec, exec, s[42:43]
.LBB3612_64:
	s_or_b64 exec, exec, s[40:41]
	v_and_b32_e32 v40, 63, v34
	v_mov_b32_e32 v39, 2
	v_cmp_ne_u32_e32 vcc, 63, v40
	v_cmp_eq_u16_sdwa s[40:41], v21, v39 src0_sel:BYTE_0 src1_sel:DWORD
	v_lshlrev_b64 v[18:19], v34, -1
	v_addc_co_u32_e32 v22, vcc, 0, v34, vcc
	v_and_b32_e32 v11, s41, v19
	v_lshlrev_b32_e32 v41, 2, v22
	v_or_b32_e32 v11, 0x80000000, v11
	ds_bpermute_b32 v22, v41, v20
	v_and_b32_e32 v17, s40, v18
	v_ffbl_b32_e32 v11, v11
	v_add_u32_e32 v11, 32, v11
	v_ffbl_b32_e32 v17, v17
	v_min_u32_e32 v11, v17, v11
	v_cmp_lt_u32_e32 vcc, v40, v11
	s_waitcnt lgkmcnt(0)
	v_cndmask_b32_e32 v17, 0, v22, vcc
	v_cmp_gt_u32_e32 vcc, 62, v40
	v_add_u32_e32 v17, v17, v20
	v_cndmask_b32_e64 v20, 0, 1, vcc
	v_lshlrev_b32_e32 v20, 1, v20
	v_add_lshl_u32 v42, v20, v34, 2
	ds_bpermute_b32 v20, v42, v17
	v_add_u32_e32 v43, 2, v40
	v_cmp_le_u32_e32 vcc, v43, v11
	v_add_u32_e32 v45, 4, v40
	v_add_u32_e32 v47, 8, v40
	s_waitcnt lgkmcnt(0)
	v_cndmask_b32_e32 v20, 0, v20, vcc
	v_cmp_gt_u32_e32 vcc, 60, v40
	v_add_u32_e32 v17, v17, v20
	v_cndmask_b32_e64 v20, 0, 1, vcc
	v_lshlrev_b32_e32 v20, 2, v20
	v_add_lshl_u32 v44, v20, v34, 2
	ds_bpermute_b32 v20, v44, v17
	v_cmp_le_u32_e32 vcc, v45, v11
	v_add_u32_e32 v49, 16, v40
	v_add_u32_e32 v51, 32, v40
	s_waitcnt lgkmcnt(0)
	v_cndmask_b32_e32 v20, 0, v20, vcc
	v_cmp_gt_u32_e32 vcc, 56, v40
	v_add_u32_e32 v17, v17, v20
	v_cndmask_b32_e64 v20, 0, 1, vcc
	v_lshlrev_b32_e32 v20, 3, v20
	v_add_lshl_u32 v46, v20, v34, 2
	ds_bpermute_b32 v20, v46, v17
	v_cmp_le_u32_e32 vcc, v47, v11
	s_waitcnt lgkmcnt(0)
	v_cndmask_b32_e32 v20, 0, v20, vcc
	v_cmp_gt_u32_e32 vcc, 48, v40
	v_add_u32_e32 v17, v17, v20
	v_cndmask_b32_e64 v20, 0, 1, vcc
	v_lshlrev_b32_e32 v20, 4, v20
	v_add_lshl_u32 v48, v20, v34, 2
	ds_bpermute_b32 v20, v48, v17
	v_cmp_le_u32_e32 vcc, v49, v11
	;; [unrolled: 9-line block ×3, first 2 shown]
	s_waitcnt lgkmcnt(0)
	v_cndmask_b32_e32 v11, 0, v20, vcc
	v_add_u32_e32 v20, v17, v11
	v_mov_b32_e32 v17, 0
	s_branch .LBB3612_66
.LBB3612_65:                            ;   in Loop: Header=BB3612_66 Depth=1
	s_or_b64 exec, exec, s[40:41]
	v_cmp_eq_u16_sdwa s[40:41], v21, v39 src0_sel:BYTE_0 src1_sel:DWORD
	v_and_b32_e32 v22, s41, v19
	v_or_b32_e32 v22, 0x80000000, v22
	ds_bpermute_b32 v52, v41, v20
	v_and_b32_e32 v23, s40, v18
	v_ffbl_b32_e32 v22, v22
	v_add_u32_e32 v22, 32, v22
	v_ffbl_b32_e32 v23, v23
	v_min_u32_e32 v22, v23, v22
	v_cmp_lt_u32_e32 vcc, v40, v22
	s_waitcnt lgkmcnt(0)
	v_cndmask_b32_e32 v23, 0, v52, vcc
	v_add_u32_e32 v20, v23, v20
	ds_bpermute_b32 v23, v42, v20
	v_cmp_le_u32_e32 vcc, v43, v22
	v_subrev_u32_e32 v16, 64, v16
	s_waitcnt lgkmcnt(0)
	v_cndmask_b32_e32 v23, 0, v23, vcc
	v_add_u32_e32 v20, v20, v23
	ds_bpermute_b32 v23, v44, v20
	v_cmp_le_u32_e32 vcc, v45, v22
	s_waitcnt lgkmcnt(0)
	v_cndmask_b32_e32 v23, 0, v23, vcc
	v_add_u32_e32 v20, v20, v23
	ds_bpermute_b32 v23, v46, v20
	v_cmp_le_u32_e32 vcc, v47, v22
	;; [unrolled: 5-line block ×4, first 2 shown]
	s_waitcnt lgkmcnt(0)
	v_cndmask_b32_e32 v22, 0, v23, vcc
	v_add3_u32 v20, v22, v11, v20
.LBB3612_66:                            ; =>This Loop Header: Depth=1
                                        ;     Child Loop BB3612_69 Depth 2
                                        ;       Child Loop BB3612_70 Depth 3
	v_cmp_ne_u16_sdwa s[40:41], v21, v39 src0_sel:BYTE_0 src1_sel:DWORD
	v_cndmask_b32_e64 v11, 0, 1, s[40:41]
	;;#ASMSTART
	;;#ASMEND
	v_cmp_ne_u32_e32 vcc, 0, v11
	s_cmp_lg_u64 vcc, exec
	v_mov_b32_e32 v11, v20
	s_cbranch_scc1 .LBB3612_73
; %bb.67:                               ;   in Loop: Header=BB3612_66 Depth=1
	v_lshlrev_b64 v[20:21], 3, v[16:17]
	v_mov_b32_e32 v23, s37
	v_add_co_u32_e32 v22, vcc, s36, v20
	v_addc_co_u32_e32 v23, vcc, v23, v21, vcc
	global_load_dwordx2 v[20:21], v[22:23], off glc
	s_waitcnt vmcnt(0)
	v_cmp_eq_u16_sdwa s[42:43], v21, v17 src0_sel:BYTE_0 src1_sel:DWORD
	s_and_saveexec_b64 s[40:41], s[42:43]
	s_cbranch_execz .LBB3612_65
; %bb.68:                               ;   in Loop: Header=BB3612_66 Depth=1
	s_mov_b32 s7, 1
	s_mov_b64 s[42:43], 0
.LBB3612_69:                            ;   Parent Loop BB3612_66 Depth=1
                                        ; =>  This Loop Header: Depth=2
                                        ;       Child Loop BB3612_70 Depth 3
	s_max_u32 s25, s7, 1
.LBB3612_70:                            ;   Parent Loop BB3612_66 Depth=1
                                        ;     Parent Loop BB3612_69 Depth=2
                                        ; =>    This Inner Loop Header: Depth=3
	s_add_i32 s25, s25, -1
	s_cmp_eq_u32 s25, 0
	s_sleep 1
	s_cbranch_scc0 .LBB3612_70
; %bb.71:                               ;   in Loop: Header=BB3612_69 Depth=2
	global_load_dwordx2 v[20:21], v[22:23], off glc
	s_cmp_lt_u32 s7, 32
	s_cselect_b64 s[44:45], -1, 0
	s_cmp_lg_u64 s[44:45], 0
	s_addc_u32 s7, s7, 0
	s_waitcnt vmcnt(0)
	v_cmp_ne_u16_sdwa s[44:45], v21, v17 src0_sel:BYTE_0 src1_sel:DWORD
	s_or_b64 s[42:43], s[44:45], s[42:43]
	s_andn2_b64 exec, exec, s[42:43]
	s_cbranch_execnz .LBB3612_69
; %bb.72:                               ;   in Loop: Header=BB3612_66 Depth=1
	s_or_b64 exec, exec, s[42:43]
	s_branch .LBB3612_65
.LBB3612_73:                            ;   in Loop: Header=BB3612_66 Depth=1
                                        ; implicit-def: $vgpr20
                                        ; implicit-def: $vgpr21
	s_cbranch_execz .LBB3612_66
; %bb.74:
	s_and_saveexec_b64 s[40:41], s[16:17]
	s_cbranch_execz .LBB3612_76
; %bb.75:
	s_add_i32 s6, s6, 64
	s_mov_b32 s7, 0
	s_lshl_b64 s[6:7], s[6:7], 3
	s_add_u32 s6, s36, s6
	v_add_u32_e32 v16, v11, v10
	v_mov_b32_e32 v17, 2
	s_addc_u32 s7, s37, s7
	v_mov_b32_e32 v18, 0
	global_store_dwordx2 v18, v[16:17], s[6:7]
	ds_write_b64 v18, v[10:11] offset:10240
.LBB3612_76:
	s_or_b64 exec, exec, s[40:41]
	v_cmp_eq_u32_e32 vcc, 0, v0
	s_and_b64 exec, exec, vcc
	s_cbranch_execz .LBB3612_78
; %bb.77:
	v_mov_b32_e32 v10, 0
	ds_write_b32 v10, v11 offset:12
.LBB3612_78:
	s_or_b64 exec, exec, s[38:39]
	v_mov_b32_e32 v10, 0
	s_waitcnt lgkmcnt(0)
	s_barrier
	ds_read_b32 v11, v10 offset:12
	v_cndmask_b32_e64 v16, v38, v37, s[16:17]
	v_cmp_ne_u32_e32 vcc, 0, v0
	v_cndmask_b32_e32 v16, 0, v16, vcc
	s_waitcnt lgkmcnt(0)
	v_add_u32_e32 v38, v11, v16
	v_add_u32_sdwa v37, v38, v14 dst_sel:DWORD dst_unused:UNUSED_PAD src0_sel:DWORD src1_sel:BYTE_0
	v_add_u32_sdwa v23, v37, v14 dst_sel:DWORD dst_unused:UNUSED_PAD src0_sel:DWORD src1_sel:BYTE_1
	v_add_u32_e32 v22, v23, v33
	v_add_u32_e32 v21, v22, v28
	;; [unrolled: 1-line block ×3, first 2 shown]
	s_barrier
	ds_read_b64 v[10:11], v10 offset:10240
	v_add_u32_e32 v19, v20, v31
	v_add_u32_e32 v18, v19, v32
	;; [unrolled: 1-line block ×4, first 2 shown]
	s_load_dwordx2 s[4:5], s[4:5], 0x38
	s_branch .LBB3612_89
.LBB3612_79:
                                        ; implicit-def: $vgpr11
                                        ; implicit-def: $vgpr16
                                        ; implicit-def: $vgpr17
                                        ; implicit-def: $vgpr18
                                        ; implicit-def: $vgpr19
                                        ; implicit-def: $vgpr20
                                        ; implicit-def: $vgpr21
                                        ; implicit-def: $vgpr22
                                        ; implicit-def: $vgpr23
                                        ; implicit-def: $vgpr37
                                        ; implicit-def: $vgpr38
	s_load_dwordx2 s[4:5], s[4:5], 0x38
	s_cbranch_execz .LBB3612_89
; %bb.80:
	s_waitcnt lgkmcnt(0)
	v_mov_b32_dpp v10, v36 row_shr:1 row_mask:0xf bank_mask:0xf
	v_cndmask_b32_e64 v10, v10, 0, s[14:15]
	v_add_u32_e32 v10, v10, v36
	s_nop 1
	v_mov_b32_dpp v11, v10 row_shr:2 row_mask:0xf bank_mask:0xf
	v_cndmask_b32_e64 v11, 0, v11, s[12:13]
	v_add_u32_e32 v10, v10, v11
	s_nop 1
	;; [unrolled: 4-line block ×4, first 2 shown]
	v_mov_b32_dpp v11, v10 row_bcast:15 row_mask:0xf bank_mask:0xf
	v_cndmask_b32_e64 v11, v11, 0, s[18:19]
	v_add_u32_e32 v10, v10, v11
	s_nop 1
	v_mov_b32_dpp v11, v10 row_bcast:31 row_mask:0xf bank_mask:0xf
	v_cndmask_b32_e64 v11, 0, v11, s[0:1]
	v_add_u32_e32 v10, v10, v11
	s_and_saveexec_b64 s[0:1], s[2:3]
	s_cbranch_execz .LBB3612_82
; %bb.81:
	v_lshlrev_b32_e32 v11, 2, v35
	ds_write_b32 v11, v10
.LBB3612_82:
	s_or_b64 exec, exec, s[0:1]
	v_cmp_gt_u32_e32 vcc, 4, v0
	s_waitcnt lgkmcnt(0)
	s_barrier
	s_and_saveexec_b64 s[0:1], vcc
	s_cbranch_execz .LBB3612_84
; %bb.83:
	v_mad_i32_i24 v11, v0, -6, v24
	ds_read_b32 v16, v11
	v_and_b32_e32 v17, 3, v34
	v_cmp_ne_u32_e32 vcc, 0, v17
	s_waitcnt lgkmcnt(0)
	v_mov_b32_dpp v18, v16 row_shr:1 row_mask:0xf bank_mask:0xf
	v_cndmask_b32_e32 v18, 0, v18, vcc
	v_add_u32_e32 v16, v18, v16
	v_cmp_lt_u32_e32 vcc, 1, v17
	s_nop 0
	v_mov_b32_dpp v18, v16 row_shr:2 row_mask:0xf bank_mask:0xf
	v_cndmask_b32_e32 v17, 0, v18, vcc
	v_add_u32_e32 v16, v16, v17
	ds_write_b32 v11, v16
.LBB3612_84:
	s_or_b64 exec, exec, s[0:1]
	v_cmp_lt_u32_e32 vcc, 63, v0
	v_mov_b32_e32 v11, 0
	v_mov_b32_e32 v16, 0
	s_waitcnt lgkmcnt(0)
	s_barrier
	s_and_saveexec_b64 s[0:1], vcc
	s_cbranch_execz .LBB3612_86
; %bb.85:
	v_lshl_add_u32 v16, v35, 2, -4
	ds_read_b32 v16, v16
.LBB3612_86:
	s_or_b64 exec, exec, s[0:1]
	v_add_u32_e32 v17, -1, v34
	v_and_b32_e32 v18, 64, v34
	v_cmp_lt_i32_e32 vcc, v17, v18
	v_cndmask_b32_e32 v17, v17, v34, vcc
	s_waitcnt lgkmcnt(0)
	v_add_u32_e32 v10, v16, v10
	v_lshlrev_b32_e32 v17, 2, v17
	ds_bpermute_b32 v17, v17, v10
	ds_read_b32 v10, v11 offset:12
	v_cmp_eq_u32_e32 vcc, 0, v0
	s_and_saveexec_b64 s[0:1], vcc
	s_cbranch_execz .LBB3612_88
; %bb.87:
	v_mov_b32_e32 v18, 0
	v_mov_b32_e32 v11, 2
	s_waitcnt lgkmcnt(0)
	global_store_dwordx2 v18, v[10:11], s[36:37] offset:512
.LBB3612_88:
	s_or_b64 exec, exec, s[0:1]
	v_cmp_eq_u32_e64 s[0:1], 0, v34
	s_waitcnt lgkmcnt(1)
	v_cndmask_b32_e64 v16, v17, v16, s[0:1]
	v_cndmask_b32_e64 v38, v16, 0, vcc
	v_add_u32_sdwa v37, v38, v14 dst_sel:DWORD dst_unused:UNUSED_PAD src0_sel:DWORD src1_sel:BYTE_0
	v_add_u32_sdwa v23, v37, v14 dst_sel:DWORD dst_unused:UNUSED_PAD src0_sel:DWORD src1_sel:BYTE_1
	v_add_u32_e32 v22, v23, v33
	v_add_u32_e32 v21, v22, v28
	;; [unrolled: 1-line block ×6, first 2 shown]
	v_mov_b32_e32 v11, 0
	v_add_u32_e32 v16, v17, v29
	s_waitcnt lgkmcnt(0)
	s_barrier
.LBB3612_89:
	s_waitcnt lgkmcnt(0)
	v_add_u32_e32 v24, v10, v24
	v_sub_u32_e32 v31, v38, v11
	v_and_b32_e32 v33, 1, v14
	v_sub_u32_e32 v32, v24, v31
	v_cmp_eq_u32_e32 vcc, 1, v33
	v_cndmask_b32_e32 v31, v32, v31, vcc
	v_lshlrev_b32_e32 v31, 2, v31
	v_lshrrev_b32_e32 v30, 8, v14
	ds_write_b32 v31, v6
	v_sub_u32_e32 v6, v37, v11
	v_sub_u32_e32 v31, v24, v6
	v_and_b32_e32 v30, 1, v30
	v_add_u32_e32 v31, 1, v31
	v_cmp_eq_u32_e32 vcc, 1, v30
	v_cndmask_b32_e32 v6, v31, v6, vcc
	v_lshlrev_b32_e32 v6, 2, v6
	ds_write_b32 v6, v7
	v_sub_u32_e32 v6, v23, v11
	v_mov_b32_e32 v23, 1
	v_sub_u32_e32 v7, v24, v6
	v_and_b32_sdwa v14, v23, v14 dst_sel:DWORD dst_unused:UNUSED_PAD src0_sel:DWORD src1_sel:WORD_1
	v_add_u32_e32 v7, 2, v7
	v_cmp_eq_u32_e32 vcc, 1, v14
	v_cndmask_b32_e32 v6, v7, v6, vcc
	v_lshlrev_b32_e32 v6, 2, v6
	ds_write_b32 v6, v8
	v_sub_u32_e32 v6, v22, v11
	v_sub_u32_e32 v7, v24, v6
	v_and_b32_e32 v8, 1, v28
	v_add_u32_e32 v7, 3, v7
	v_cmp_eq_u32_e32 vcc, 1, v8
	v_cndmask_b32_e32 v6, v7, v6, vcc
	v_lshlrev_b32_e32 v6, 2, v6
	ds_write_b32 v6, v9
	v_sub_u32_e32 v6, v21, v11
	v_sub_u32_e32 v7, v24, v6
	v_and_b32_e32 v8, 1, v15
	v_add_u32_e32 v7, 4, v7
	v_cmp_eq_u32_e32 vcc, 1, v8
	v_cndmask_b32_e32 v6, v7, v6, vcc
	v_lshlrev_b32_e32 v6, 2, v6
	v_lshrrev_b32_e32 v29, 8, v15
	ds_write_b32 v6, v2
	v_sub_u32_e32 v2, v20, v11
	v_sub_u32_e32 v6, v24, v2
	v_and_b32_e32 v7, 1, v29
	v_add_u32_e32 v6, 5, v6
	v_cmp_eq_u32_e32 vcc, 1, v7
	v_cndmask_b32_e32 v2, v6, v2, vcc
	v_lshlrev_b32_e32 v2, 2, v2
	ds_write_b32 v2, v3
	v_sub_u32_e32 v2, v19, v11
	v_sub_u32_e32 v3, v24, v2
	v_and_b32_sdwa v6, v23, v15 dst_sel:DWORD dst_unused:UNUSED_PAD src0_sel:DWORD src1_sel:WORD_1
	v_add_u32_e32 v3, 6, v3
	v_cmp_eq_u32_e32 vcc, 1, v6
	v_cndmask_b32_e32 v2, v3, v2, vcc
	v_lshlrev_b32_e32 v2, 2, v2
	ds_write_b32 v2, v4
	v_sub_u32_e32 v2, v18, v11
	v_sub_u32_e32 v3, v24, v2
	v_and_b32_e32 v4, 1, v27
	v_add_u32_e32 v3, 7, v3
	v_cmp_eq_u32_e32 vcc, 1, v4
	v_cndmask_b32_e32 v2, v3, v2, vcc
	v_lshlrev_b32_e32 v2, 2, v2
	ds_write_b32 v2, v5
	v_sub_u32_e32 v2, v17, v11
	v_sub_u32_e32 v3, v24, v2
	v_and_b32_e32 v4, 1, v26
	;; [unrolled: 8-line block ×3, first 2 shown]
	v_add_u32_e32 v3, 9, v3
	v_cmp_eq_u32_e32 vcc, 1, v4
	v_cndmask_b32_e32 v2, v3, v2, vcc
	s_add_u32 s0, s26, s24
	v_lshlrev_b32_e32 v2, 2, v2
	s_addc_u32 s1, s27, 0
	ds_write_b32 v2, v13
	s_waitcnt lgkmcnt(0)
	s_barrier
	ds_read2st64_b32 v[12:13], v1 offset1:4
	ds_read2st64_b32 v[8:9], v1 offset0:8 offset1:12
	ds_read2st64_b32 v[6:7], v1 offset0:16 offset1:20
	;; [unrolled: 1-line block ×4, first 2 shown]
	v_mov_b32_e32 v14, s31
	v_add_co_u32_e32 v1, vcc, s30, v11
	s_sub_u32 s0, s28, s0
	v_addc_co_u32_e32 v11, vcc, 0, v14, vcc
	s_subb_u32 s1, s29, s1
	v_mov_b32_e32 v14, s1
	v_add_co_u32_e32 v15, vcc, s0, v10
	v_addc_co_u32_e32 v14, vcc, 0, v14, vcc
	v_add_co_u32_e64 v17, s[0:1], v15, v1
	v_or_b32_e32 v26, 0x100, v0
	v_or_b32_e32 v25, 0x200, v0
	;; [unrolled: 1-line block ×9, first 2 shown]
	s_andn2_b64 vcc, exec, s[34:35]
	v_addc_co_u32_e64 v18, s[0:1], v14, v11, s[0:1]
	s_cbranch_vccnz .LBB3612_131
; %bb.90:
	v_cmp_ge_u32_e32 vcc, v0, v10
                                        ; implicit-def: $vgpr14_vgpr15
	s_and_saveexec_b64 s[0:1], vcc
	s_xor_b64 s[0:1], exec, s[0:1]
; %bb.91:
	v_not_b32_e32 v14, v0
	v_ashrrev_i32_e32 v15, 31, v14
	v_add_co_u32_e32 v14, vcc, v17, v14
	v_addc_co_u32_e32 v15, vcc, v18, v15, vcc
; %bb.92:
	s_andn2_saveexec_b64 s[0:1], s[0:1]
; %bb.93:
	v_add_co_u32_e32 v14, vcc, v1, v0
	v_addc_co_u32_e32 v15, vcc, 0, v11, vcc
; %bb.94:
	s_or_b64 exec, exec, s[0:1]
	v_lshlrev_b64 v[14:15], 2, v[14:15]
	v_mov_b32_e32 v27, s5
	v_add_co_u32_e32 v14, vcc, s4, v14
	v_addc_co_u32_e32 v15, vcc, v27, v15, vcc
	v_cmp_ge_u32_e32 vcc, v26, v10
	s_waitcnt lgkmcnt(4)
	global_store_dword v[14:15], v12, off
                                        ; implicit-def: $vgpr14_vgpr15
	s_and_saveexec_b64 s[0:1], vcc
	s_xor_b64 s[0:1], exec, s[0:1]
; %bb.95:
	v_xor_b32_e32 v14, 0xfffffeff, v0
	v_ashrrev_i32_e32 v15, 31, v14
	v_add_co_u32_e32 v14, vcc, v17, v14
	v_addc_co_u32_e32 v15, vcc, v18, v15, vcc
; %bb.96:
	s_andn2_saveexec_b64 s[0:1], s[0:1]
; %bb.97:
	v_add_co_u32_e32 v14, vcc, v1, v26
	v_addc_co_u32_e32 v15, vcc, 0, v11, vcc
; %bb.98:
	s_or_b64 exec, exec, s[0:1]
	v_lshlrev_b64 v[14:15], 2, v[14:15]
	v_mov_b32_e32 v27, s5
	v_add_co_u32_e32 v14, vcc, s4, v14
	v_addc_co_u32_e32 v15, vcc, v27, v15, vcc
	v_cmp_ge_u32_e32 vcc, v25, v10
	global_store_dword v[14:15], v13, off
                                        ; implicit-def: $vgpr14_vgpr15
	s_and_saveexec_b64 s[0:1], vcc
	s_xor_b64 s[0:1], exec, s[0:1]
; %bb.99:
	v_xor_b32_e32 v14, 0xfffffdff, v0
	v_ashrrev_i32_e32 v15, 31, v14
	v_add_co_u32_e32 v14, vcc, v17, v14
	v_addc_co_u32_e32 v15, vcc, v18, v15, vcc
; %bb.100:
	s_andn2_saveexec_b64 s[0:1], s[0:1]
; %bb.101:
	v_add_co_u32_e32 v14, vcc, v1, v25
	v_addc_co_u32_e32 v15, vcc, 0, v11, vcc
; %bb.102:
	s_or_b64 exec, exec, s[0:1]
	v_lshlrev_b64 v[14:15], 2, v[14:15]
	v_mov_b32_e32 v27, s5
	v_add_co_u32_e32 v14, vcc, s4, v14
	v_addc_co_u32_e32 v15, vcc, v27, v15, vcc
	v_cmp_ge_u32_e32 vcc, v24, v10
	s_waitcnt lgkmcnt(3)
	global_store_dword v[14:15], v8, off
                                        ; implicit-def: $vgpr14_vgpr15
	s_and_saveexec_b64 s[0:1], vcc
	s_xor_b64 s[0:1], exec, s[0:1]
; %bb.103:
	v_xor_b32_e32 v14, 0xfffffcff, v0
	v_ashrrev_i32_e32 v15, 31, v14
	v_add_co_u32_e32 v14, vcc, v17, v14
	v_addc_co_u32_e32 v15, vcc, v18, v15, vcc
; %bb.104:
	s_andn2_saveexec_b64 s[0:1], s[0:1]
; %bb.105:
	v_add_co_u32_e32 v14, vcc, v1, v24
	v_addc_co_u32_e32 v15, vcc, 0, v11, vcc
; %bb.106:
	s_or_b64 exec, exec, s[0:1]
	v_lshlrev_b64 v[14:15], 2, v[14:15]
	v_mov_b32_e32 v27, s5
	v_add_co_u32_e32 v14, vcc, s4, v14
	v_addc_co_u32_e32 v15, vcc, v27, v15, vcc
	v_cmp_ge_u32_e32 vcc, v23, v10
	global_store_dword v[14:15], v9, off
                                        ; implicit-def: $vgpr14_vgpr15
	s_and_saveexec_b64 s[0:1], vcc
	s_xor_b64 s[0:1], exec, s[0:1]
; %bb.107:
	v_xor_b32_e32 v14, 0xfffffbff, v0
	;; [unrolled: 43-line block ×4, first 2 shown]
	v_ashrrev_i32_e32 v15, 31, v14
	v_add_co_u32_e32 v14, vcc, v17, v14
	v_addc_co_u32_e32 v15, vcc, v18, v15, vcc
; %bb.124:
	s_andn2_saveexec_b64 s[0:1], s[0:1]
; %bb.125:
	v_add_co_u32_e32 v14, vcc, v1, v19
	v_addc_co_u32_e32 v15, vcc, 0, v11, vcc
; %bb.126:
	s_or_b64 exec, exec, s[0:1]
	v_lshlrev_b64 v[14:15], 2, v[14:15]
	v_mov_b32_e32 v27, s5
	v_add_co_u32_e32 v14, vcc, s4, v14
	v_addc_co_u32_e32 v15, vcc, v27, v15, vcc
	v_cmp_ge_u32_e32 vcc, v16, v10
	s_waitcnt lgkmcnt(0)
	global_store_dword v[14:15], v2, off
                                        ; implicit-def: $vgpr14_vgpr15
	s_and_saveexec_b64 s[0:1], vcc
	s_xor_b64 s[0:1], exec, s[0:1]
; %bb.127:
	v_xor_b32_e32 v14, 0xfffff6ff, v0
	v_ashrrev_i32_e32 v15, 31, v14
	v_add_co_u32_e32 v14, vcc, v17, v14
	v_addc_co_u32_e32 v15, vcc, v18, v15, vcc
; %bb.128:
	s_andn2_saveexec_b64 s[0:1], s[0:1]
; %bb.129:
	v_add_co_u32_e32 v14, vcc, v1, v16
	v_addc_co_u32_e32 v15, vcc, 0, v11, vcc
; %bb.130:
	s_or_b64 exec, exec, s[0:1]
	s_mov_b64 s[0:1], -1
	s_branch .LBB3612_193
.LBB3612_131:
	s_mov_b64 s[0:1], 0
                                        ; implicit-def: $vgpr14_vgpr15
	s_cbranch_execz .LBB3612_193
; %bb.132:
	v_cmp_gt_u32_e32 vcc, s33, v0
	s_and_saveexec_b64 s[2:3], vcc
	s_cbranch_execz .LBB3612_158
; %bb.133:
	v_cmp_ge_u32_e32 vcc, v0, v10
                                        ; implicit-def: $vgpr14_vgpr15
	s_and_saveexec_b64 s[6:7], vcc
	s_xor_b64 s[6:7], exec, s[6:7]
; %bb.134:
	v_not_b32_e32 v14, v0
	v_ashrrev_i32_e32 v15, 31, v14
	v_add_co_u32_e32 v14, vcc, v17, v14
	v_addc_co_u32_e32 v15, vcc, v18, v15, vcc
; %bb.135:
	s_andn2_saveexec_b64 s[6:7], s[6:7]
; %bb.136:
	v_add_co_u32_e32 v14, vcc, v1, v0
	v_addc_co_u32_e32 v15, vcc, 0, v11, vcc
; %bb.137:
	s_or_b64 exec, exec, s[6:7]
	v_lshlrev_b64 v[14:15], 2, v[14:15]
	v_mov_b32_e32 v27, s5
	v_add_co_u32_e32 v14, vcc, s4, v14
	v_addc_co_u32_e32 v15, vcc, v27, v15, vcc
	s_waitcnt lgkmcnt(4)
	global_store_dword v[14:15], v12, off
	s_or_b64 exec, exec, s[2:3]
	v_cmp_gt_u32_e32 vcc, s33, v26
	s_and_saveexec_b64 s[2:3], vcc
	s_cbranch_execnz .LBB3612_159
.LBB3612_138:
	s_or_b64 exec, exec, s[2:3]
	v_cmp_gt_u32_e32 vcc, s33, v25
	s_and_saveexec_b64 s[2:3], vcc
	s_cbranch_execz .LBB3612_164
.LBB3612_139:
	v_cmp_ge_u32_e32 vcc, v25, v10
                                        ; implicit-def: $vgpr12_vgpr13
	s_and_saveexec_b64 s[6:7], vcc
	s_xor_b64 s[6:7], exec, s[6:7]
	s_cbranch_execz .LBB3612_141
; %bb.140:
	s_waitcnt lgkmcnt(4)
	v_xor_b32_e32 v12, 0xfffffdff, v0
	v_ashrrev_i32_e32 v13, 31, v12
	v_add_co_u32_e32 v12, vcc, v17, v12
	v_addc_co_u32_e32 v13, vcc, v18, v13, vcc
                                        ; implicit-def: $vgpr25
.LBB3612_141:
	s_andn2_saveexec_b64 s[6:7], s[6:7]
	s_cbranch_execz .LBB3612_143
; %bb.142:
	s_waitcnt lgkmcnt(4)
	v_add_co_u32_e32 v12, vcc, v1, v25
	v_addc_co_u32_e32 v13, vcc, 0, v11, vcc
.LBB3612_143:
	s_or_b64 exec, exec, s[6:7]
	s_waitcnt lgkmcnt(4)
	v_lshlrev_b64 v[12:13], 2, v[12:13]
	v_mov_b32_e32 v14, s5
	v_add_co_u32_e32 v12, vcc, s4, v12
	v_addc_co_u32_e32 v13, vcc, v14, v13, vcc
	s_waitcnt lgkmcnt(3)
	global_store_dword v[12:13], v8, off
	s_or_b64 exec, exec, s[2:3]
	v_cmp_gt_u32_e32 vcc, s33, v24
	s_and_saveexec_b64 s[2:3], vcc
	s_cbranch_execnz .LBB3612_165
.LBB3612_144:
	s_or_b64 exec, exec, s[2:3]
	v_cmp_gt_u32_e32 vcc, s33, v23
	s_and_saveexec_b64 s[2:3], vcc
	s_cbranch_execz .LBB3612_170
.LBB3612_145:
	v_cmp_ge_u32_e32 vcc, v23, v10
                                        ; implicit-def: $vgpr8_vgpr9
	s_and_saveexec_b64 s[6:7], vcc
	s_xor_b64 s[6:7], exec, s[6:7]
	s_cbranch_execz .LBB3612_147
; %bb.146:
	s_waitcnt lgkmcnt(3)
	v_xor_b32_e32 v8, 0xfffffbff, v0
	v_ashrrev_i32_e32 v9, 31, v8
	v_add_co_u32_e32 v8, vcc, v17, v8
	v_addc_co_u32_e32 v9, vcc, v18, v9, vcc
                                        ; implicit-def: $vgpr23
.LBB3612_147:
	s_andn2_saveexec_b64 s[6:7], s[6:7]
	s_cbranch_execz .LBB3612_149
; %bb.148:
	s_waitcnt lgkmcnt(3)
	v_add_co_u32_e32 v8, vcc, v1, v23
	v_addc_co_u32_e32 v9, vcc, 0, v11, vcc
.LBB3612_149:
	s_or_b64 exec, exec, s[6:7]
	s_waitcnt lgkmcnt(3)
	v_lshlrev_b64 v[8:9], 2, v[8:9]
	v_mov_b32_e32 v12, s5
	v_add_co_u32_e32 v8, vcc, s4, v8
	v_addc_co_u32_e32 v9, vcc, v12, v9, vcc
	s_waitcnt lgkmcnt(2)
	global_store_dword v[8:9], v6, off
	s_or_b64 exec, exec, s[2:3]
	v_cmp_gt_u32_e32 vcc, s33, v22
	s_and_saveexec_b64 s[2:3], vcc
	s_cbranch_execnz .LBB3612_171
.LBB3612_150:
	s_or_b64 exec, exec, s[2:3]
	v_cmp_gt_u32_e32 vcc, s33, v21
	s_and_saveexec_b64 s[2:3], vcc
	s_cbranch_execz .LBB3612_176
.LBB3612_151:
	v_cmp_ge_u32_e32 vcc, v21, v10
                                        ; implicit-def: $vgpr6_vgpr7
	s_and_saveexec_b64 s[6:7], vcc
	s_xor_b64 s[6:7], exec, s[6:7]
	s_cbranch_execz .LBB3612_153
; %bb.152:
	s_waitcnt lgkmcnt(2)
	v_xor_b32_e32 v6, 0xfffff9ff, v0
	v_ashrrev_i32_e32 v7, 31, v6
	v_add_co_u32_e32 v6, vcc, v17, v6
	v_addc_co_u32_e32 v7, vcc, v18, v7, vcc
                                        ; implicit-def: $vgpr21
.LBB3612_153:
	s_andn2_saveexec_b64 s[6:7], s[6:7]
	s_cbranch_execz .LBB3612_155
; %bb.154:
	s_waitcnt lgkmcnt(2)
	v_add_co_u32_e32 v6, vcc, v1, v21
	v_addc_co_u32_e32 v7, vcc, 0, v11, vcc
.LBB3612_155:
	s_or_b64 exec, exec, s[6:7]
	s_waitcnt lgkmcnt(2)
	v_lshlrev_b64 v[6:7], 2, v[6:7]
	v_mov_b32_e32 v8, s5
	v_add_co_u32_e32 v6, vcc, s4, v6
	v_addc_co_u32_e32 v7, vcc, v8, v7, vcc
	s_waitcnt lgkmcnt(1)
	global_store_dword v[6:7], v4, off
	s_or_b64 exec, exec, s[2:3]
	v_cmp_gt_u32_e32 vcc, s33, v20
	s_and_saveexec_b64 s[2:3], vcc
	s_cbranch_execnz .LBB3612_177
.LBB3612_156:
	s_or_b64 exec, exec, s[2:3]
	v_cmp_gt_u32_e32 vcc, s33, v19
	s_and_saveexec_b64 s[2:3], vcc
	s_cbranch_execnz .LBB3612_182
.LBB3612_157:
	s_or_b64 exec, exec, s[2:3]
	v_cmp_gt_u32_e32 vcc, s33, v16
                                        ; implicit-def: $vgpr14_vgpr15
	s_and_saveexec_b64 s[2:3], vcc
	s_cbranch_execz .LBB3612_192
	s_branch .LBB3612_187
.LBB3612_158:
	s_or_b64 exec, exec, s[2:3]
	v_cmp_gt_u32_e32 vcc, s33, v26
	s_and_saveexec_b64 s[2:3], vcc
	s_cbranch_execz .LBB3612_138
.LBB3612_159:
	v_cmp_ge_u32_e32 vcc, v26, v10
                                        ; implicit-def: $vgpr14_vgpr15
	s_and_saveexec_b64 s[6:7], vcc
	s_xor_b64 s[6:7], exec, s[6:7]
	s_cbranch_execz .LBB3612_161
; %bb.160:
	s_waitcnt lgkmcnt(4)
	v_xor_b32_e32 v12, 0xfffffeff, v0
	v_ashrrev_i32_e32 v15, 31, v12
	v_add_co_u32_e32 v14, vcc, v17, v12
	v_addc_co_u32_e32 v15, vcc, v18, v15, vcc
                                        ; implicit-def: $vgpr26
.LBB3612_161:
	s_andn2_saveexec_b64 s[6:7], s[6:7]
; %bb.162:
	v_add_co_u32_e32 v14, vcc, v1, v26
	v_addc_co_u32_e32 v15, vcc, 0, v11, vcc
; %bb.163:
	s_or_b64 exec, exec, s[6:7]
	v_lshlrev_b64 v[14:15], 2, v[14:15]
	s_waitcnt lgkmcnt(4)
	v_mov_b32_e32 v12, s5
	v_add_co_u32_e32 v14, vcc, s4, v14
	v_addc_co_u32_e32 v15, vcc, v12, v15, vcc
	global_store_dword v[14:15], v13, off
	s_or_b64 exec, exec, s[2:3]
	v_cmp_gt_u32_e32 vcc, s33, v25
	s_and_saveexec_b64 s[2:3], vcc
	s_cbranch_execnz .LBB3612_139
.LBB3612_164:
	s_or_b64 exec, exec, s[2:3]
	v_cmp_gt_u32_e32 vcc, s33, v24
	s_and_saveexec_b64 s[2:3], vcc
	s_cbranch_execz .LBB3612_144
.LBB3612_165:
	v_cmp_ge_u32_e32 vcc, v24, v10
                                        ; implicit-def: $vgpr12_vgpr13
	s_and_saveexec_b64 s[6:7], vcc
	s_xor_b64 s[6:7], exec, s[6:7]
	s_cbranch_execz .LBB3612_167
; %bb.166:
	s_waitcnt lgkmcnt(3)
	v_xor_b32_e32 v8, 0xfffffcff, v0
	v_ashrrev_i32_e32 v13, 31, v8
	v_add_co_u32_e32 v12, vcc, v17, v8
	v_addc_co_u32_e32 v13, vcc, v18, v13, vcc
                                        ; implicit-def: $vgpr24
.LBB3612_167:
	s_andn2_saveexec_b64 s[6:7], s[6:7]
	s_cbranch_execz .LBB3612_169
; %bb.168:
	s_waitcnt lgkmcnt(4)
	v_add_co_u32_e32 v12, vcc, v1, v24
	v_addc_co_u32_e32 v13, vcc, 0, v11, vcc
.LBB3612_169:
	s_or_b64 exec, exec, s[6:7]
	s_waitcnt lgkmcnt(4)
	v_lshlrev_b64 v[12:13], 2, v[12:13]
	s_waitcnt lgkmcnt(3)
	v_mov_b32_e32 v8, s5
	v_add_co_u32_e32 v12, vcc, s4, v12
	v_addc_co_u32_e32 v13, vcc, v8, v13, vcc
	global_store_dword v[12:13], v9, off
	s_or_b64 exec, exec, s[2:3]
	v_cmp_gt_u32_e32 vcc, s33, v23
	s_and_saveexec_b64 s[2:3], vcc
	s_cbranch_execnz .LBB3612_145
.LBB3612_170:
	s_or_b64 exec, exec, s[2:3]
	v_cmp_gt_u32_e32 vcc, s33, v22
	s_and_saveexec_b64 s[2:3], vcc
	s_cbranch_execz .LBB3612_150
.LBB3612_171:
	v_cmp_ge_u32_e32 vcc, v22, v10
                                        ; implicit-def: $vgpr8_vgpr9
	s_and_saveexec_b64 s[6:7], vcc
	s_xor_b64 s[6:7], exec, s[6:7]
	s_cbranch_execz .LBB3612_173
; %bb.172:
	s_waitcnt lgkmcnt(2)
	v_xor_b32_e32 v6, 0xfffffaff, v0
	v_ashrrev_i32_e32 v9, 31, v6
	v_add_co_u32_e32 v8, vcc, v17, v6
	v_addc_co_u32_e32 v9, vcc, v18, v9, vcc
                                        ; implicit-def: $vgpr22
.LBB3612_173:
	s_andn2_saveexec_b64 s[6:7], s[6:7]
	s_cbranch_execz .LBB3612_175
; %bb.174:
	s_waitcnt lgkmcnt(3)
	v_add_co_u32_e32 v8, vcc, v1, v22
	v_addc_co_u32_e32 v9, vcc, 0, v11, vcc
.LBB3612_175:
	s_or_b64 exec, exec, s[6:7]
	s_waitcnt lgkmcnt(3)
	v_lshlrev_b64 v[8:9], 2, v[8:9]
	s_waitcnt lgkmcnt(2)
	v_mov_b32_e32 v6, s5
	v_add_co_u32_e32 v8, vcc, s4, v8
	v_addc_co_u32_e32 v9, vcc, v6, v9, vcc
	global_store_dword v[8:9], v7, off
	s_or_b64 exec, exec, s[2:3]
	v_cmp_gt_u32_e32 vcc, s33, v21
	s_and_saveexec_b64 s[2:3], vcc
	s_cbranch_execnz .LBB3612_151
.LBB3612_176:
	s_or_b64 exec, exec, s[2:3]
	v_cmp_gt_u32_e32 vcc, s33, v20
	s_and_saveexec_b64 s[2:3], vcc
	s_cbranch_execz .LBB3612_156
.LBB3612_177:
	v_cmp_ge_u32_e32 vcc, v20, v10
                                        ; implicit-def: $vgpr6_vgpr7
	s_and_saveexec_b64 s[6:7], vcc
	s_xor_b64 s[6:7], exec, s[6:7]
	s_cbranch_execz .LBB3612_179
; %bb.178:
	s_waitcnt lgkmcnt(1)
	v_xor_b32_e32 v4, 0xfffff8ff, v0
	v_ashrrev_i32_e32 v7, 31, v4
	v_add_co_u32_e32 v6, vcc, v17, v4
	v_addc_co_u32_e32 v7, vcc, v18, v7, vcc
                                        ; implicit-def: $vgpr20
.LBB3612_179:
	s_andn2_saveexec_b64 s[6:7], s[6:7]
	s_cbranch_execz .LBB3612_181
; %bb.180:
	s_waitcnt lgkmcnt(2)
	v_add_co_u32_e32 v6, vcc, v1, v20
	v_addc_co_u32_e32 v7, vcc, 0, v11, vcc
.LBB3612_181:
	s_or_b64 exec, exec, s[6:7]
	s_waitcnt lgkmcnt(2)
	v_lshlrev_b64 v[6:7], 2, v[6:7]
	s_waitcnt lgkmcnt(1)
	v_mov_b32_e32 v4, s5
	v_add_co_u32_e32 v6, vcc, s4, v6
	v_addc_co_u32_e32 v7, vcc, v4, v7, vcc
	global_store_dword v[6:7], v5, off
	s_or_b64 exec, exec, s[2:3]
	v_cmp_gt_u32_e32 vcc, s33, v19
	s_and_saveexec_b64 s[2:3], vcc
	s_cbranch_execz .LBB3612_157
.LBB3612_182:
	v_cmp_ge_u32_e32 vcc, v19, v10
                                        ; implicit-def: $vgpr4_vgpr5
	s_and_saveexec_b64 s[6:7], vcc
	s_xor_b64 s[6:7], exec, s[6:7]
	s_cbranch_execz .LBB3612_184
; %bb.183:
	s_waitcnt lgkmcnt(1)
	v_xor_b32_e32 v4, 0xfffff7ff, v0
	v_ashrrev_i32_e32 v5, 31, v4
	v_add_co_u32_e32 v4, vcc, v17, v4
	v_addc_co_u32_e32 v5, vcc, v18, v5, vcc
                                        ; implicit-def: $vgpr19
.LBB3612_184:
	s_andn2_saveexec_b64 s[6:7], s[6:7]
	s_cbranch_execz .LBB3612_186
; %bb.185:
	s_waitcnt lgkmcnt(1)
	v_add_co_u32_e32 v4, vcc, v1, v19
	v_addc_co_u32_e32 v5, vcc, 0, v11, vcc
.LBB3612_186:
	s_or_b64 exec, exec, s[6:7]
	s_waitcnt lgkmcnt(1)
	v_lshlrev_b64 v[4:5], 2, v[4:5]
	v_mov_b32_e32 v6, s5
	v_add_co_u32_e32 v4, vcc, s4, v4
	v_addc_co_u32_e32 v5, vcc, v6, v5, vcc
	s_waitcnt lgkmcnt(0)
	global_store_dword v[4:5], v2, off
	s_or_b64 exec, exec, s[2:3]
	v_cmp_gt_u32_e32 vcc, s33, v16
                                        ; implicit-def: $vgpr14_vgpr15
	s_and_saveexec_b64 s[2:3], vcc
	s_cbranch_execz .LBB3612_192
.LBB3612_187:
	v_cmp_ge_u32_e32 vcc, v16, v10
                                        ; implicit-def: $vgpr14_vgpr15
	s_and_saveexec_b64 s[6:7], vcc
	s_xor_b64 s[6:7], exec, s[6:7]
	s_cbranch_execz .LBB3612_189
; %bb.188:
	s_waitcnt lgkmcnt(0)
	v_xor_b32_e32 v2, 0xfffff6ff, v0
	v_ashrrev_i32_e32 v4, 31, v2
	v_add_co_u32_e32 v14, vcc, v17, v2
	v_addc_co_u32_e32 v15, vcc, v18, v4, vcc
                                        ; implicit-def: $vgpr16
.LBB3612_189:
	s_andn2_saveexec_b64 s[6:7], s[6:7]
; %bb.190:
	v_add_co_u32_e32 v14, vcc, v1, v16
	v_addc_co_u32_e32 v15, vcc, 0, v11, vcc
; %bb.191:
	s_or_b64 exec, exec, s[6:7]
	s_or_b64 s[0:1], s[0:1], exec
.LBB3612_192:
	s_or_b64 exec, exec, s[2:3]
.LBB3612_193:
	s_and_saveexec_b64 s[2:3], s[0:1]
	s_cbranch_execz .LBB3612_195
; %bb.194:
	s_waitcnt lgkmcnt(1)
	v_lshlrev_b64 v[4:5], 2, v[14:15]
	s_waitcnt lgkmcnt(0)
	v_mov_b32_e32 v2, s5
	v_add_co_u32_e32 v4, vcc, s4, v4
	v_addc_co_u32_e32 v5, vcc, v2, v5, vcc
	global_store_dword v[4:5], v3, off
.LBB3612_195:
	s_or_b64 exec, exec, s[2:3]
	v_cmp_eq_u32_e32 vcc, 0, v0
	s_and_b64 s[0:1], vcc, s[22:23]
	s_and_saveexec_b64 s[2:3], s[0:1]
	s_cbranch_execz .LBB3612_197
; %bb.196:
	v_add_co_u32_e32 v0, vcc, v1, v10
	s_waitcnt lgkmcnt(0)
	v_mov_b32_e32 v2, 0
	v_addc_co_u32_e32 v1, vcc, 0, v11, vcc
	global_store_dwordx2 v2, v[0:1], s[20:21]
.LBB3612_197:
	s_endpgm
	.section	.rodata,"a",@progbits
	.p2align	6, 0x0
	.amdhsa_kernel _ZN7rocprim17ROCPRIM_400000_NS6detail17trampoline_kernelINS0_14default_configENS1_25partition_config_selectorILNS1_17partition_subalgoE2EiNS0_10empty_typeEbEEZZNS1_14partition_implILS5_2ELb0ES3_jN6thrust23THRUST_200600_302600_NS6detail15normal_iteratorINSA_7pointerIiNSA_11hip_rocprim3tagENSA_11use_defaultESG_EEEEPS6_NSA_18transform_iteratorI10is_orderedNSA_12zip_iteratorINSA_5tupleINSC_INSA_10device_ptrIiEEEESQ_NSA_9null_typeESR_SR_SR_SR_SR_SR_SR_EEEESG_SG_EENS0_5tupleIJPiSJ_EEENSV_IJSJ_SJ_EEES6_PlJS6_EEE10hipError_tPvRmT3_T4_T5_T6_T7_T9_mT8_P12ihipStream_tbDpT10_ENKUlT_T0_E_clISt17integral_constantIbLb1EES1I_IbLb0EEEEDaS1E_S1F_EUlS1E_E_NS1_11comp_targetILNS1_3genE4ELNS1_11target_archE910ELNS1_3gpuE8ELNS1_3repE0EEENS1_30default_config_static_selectorELNS0_4arch9wavefront6targetE1EEEvT1_
		.amdhsa_group_segment_fixed_size 10248
		.amdhsa_private_segment_fixed_size 0
		.amdhsa_kernarg_size 136
		.amdhsa_user_sgpr_count 6
		.amdhsa_user_sgpr_private_segment_buffer 1
		.amdhsa_user_sgpr_dispatch_ptr 0
		.amdhsa_user_sgpr_queue_ptr 0
		.amdhsa_user_sgpr_kernarg_segment_ptr 1
		.amdhsa_user_sgpr_dispatch_id 0
		.amdhsa_user_sgpr_flat_scratch_init 0
		.amdhsa_user_sgpr_kernarg_preload_length 0
		.amdhsa_user_sgpr_kernarg_preload_offset 0
		.amdhsa_user_sgpr_private_segment_size 0
		.amdhsa_uses_dynamic_stack 0
		.amdhsa_system_sgpr_private_segment_wavefront_offset 0
		.amdhsa_system_sgpr_workgroup_id_x 1
		.amdhsa_system_sgpr_workgroup_id_y 0
		.amdhsa_system_sgpr_workgroup_id_z 0
		.amdhsa_system_sgpr_workgroup_info 0
		.amdhsa_system_vgpr_workitem_id 0
		.amdhsa_next_free_vgpr 53
		.amdhsa_next_free_sgpr 46
		.amdhsa_accum_offset 56
		.amdhsa_reserve_vcc 1
		.amdhsa_reserve_flat_scratch 0
		.amdhsa_float_round_mode_32 0
		.amdhsa_float_round_mode_16_64 0
		.amdhsa_float_denorm_mode_32 3
		.amdhsa_float_denorm_mode_16_64 3
		.amdhsa_dx10_clamp 1
		.amdhsa_ieee_mode 1
		.amdhsa_fp16_overflow 0
		.amdhsa_tg_split 0
		.amdhsa_exception_fp_ieee_invalid_op 0
		.amdhsa_exception_fp_denorm_src 0
		.amdhsa_exception_fp_ieee_div_zero 0
		.amdhsa_exception_fp_ieee_overflow 0
		.amdhsa_exception_fp_ieee_underflow 0
		.amdhsa_exception_fp_ieee_inexact 0
		.amdhsa_exception_int_div_zero 0
	.end_amdhsa_kernel
	.section	.text._ZN7rocprim17ROCPRIM_400000_NS6detail17trampoline_kernelINS0_14default_configENS1_25partition_config_selectorILNS1_17partition_subalgoE2EiNS0_10empty_typeEbEEZZNS1_14partition_implILS5_2ELb0ES3_jN6thrust23THRUST_200600_302600_NS6detail15normal_iteratorINSA_7pointerIiNSA_11hip_rocprim3tagENSA_11use_defaultESG_EEEEPS6_NSA_18transform_iteratorI10is_orderedNSA_12zip_iteratorINSA_5tupleINSC_INSA_10device_ptrIiEEEESQ_NSA_9null_typeESR_SR_SR_SR_SR_SR_SR_EEEESG_SG_EENS0_5tupleIJPiSJ_EEENSV_IJSJ_SJ_EEES6_PlJS6_EEE10hipError_tPvRmT3_T4_T5_T6_T7_T9_mT8_P12ihipStream_tbDpT10_ENKUlT_T0_E_clISt17integral_constantIbLb1EES1I_IbLb0EEEEDaS1E_S1F_EUlS1E_E_NS1_11comp_targetILNS1_3genE4ELNS1_11target_archE910ELNS1_3gpuE8ELNS1_3repE0EEENS1_30default_config_static_selectorELNS0_4arch9wavefront6targetE1EEEvT1_,"axG",@progbits,_ZN7rocprim17ROCPRIM_400000_NS6detail17trampoline_kernelINS0_14default_configENS1_25partition_config_selectorILNS1_17partition_subalgoE2EiNS0_10empty_typeEbEEZZNS1_14partition_implILS5_2ELb0ES3_jN6thrust23THRUST_200600_302600_NS6detail15normal_iteratorINSA_7pointerIiNSA_11hip_rocprim3tagENSA_11use_defaultESG_EEEEPS6_NSA_18transform_iteratorI10is_orderedNSA_12zip_iteratorINSA_5tupleINSC_INSA_10device_ptrIiEEEESQ_NSA_9null_typeESR_SR_SR_SR_SR_SR_SR_EEEESG_SG_EENS0_5tupleIJPiSJ_EEENSV_IJSJ_SJ_EEES6_PlJS6_EEE10hipError_tPvRmT3_T4_T5_T6_T7_T9_mT8_P12ihipStream_tbDpT10_ENKUlT_T0_E_clISt17integral_constantIbLb1EES1I_IbLb0EEEEDaS1E_S1F_EUlS1E_E_NS1_11comp_targetILNS1_3genE4ELNS1_11target_archE910ELNS1_3gpuE8ELNS1_3repE0EEENS1_30default_config_static_selectorELNS0_4arch9wavefront6targetE1EEEvT1_,comdat
.Lfunc_end3612:
	.size	_ZN7rocprim17ROCPRIM_400000_NS6detail17trampoline_kernelINS0_14default_configENS1_25partition_config_selectorILNS1_17partition_subalgoE2EiNS0_10empty_typeEbEEZZNS1_14partition_implILS5_2ELb0ES3_jN6thrust23THRUST_200600_302600_NS6detail15normal_iteratorINSA_7pointerIiNSA_11hip_rocprim3tagENSA_11use_defaultESG_EEEEPS6_NSA_18transform_iteratorI10is_orderedNSA_12zip_iteratorINSA_5tupleINSC_INSA_10device_ptrIiEEEESQ_NSA_9null_typeESR_SR_SR_SR_SR_SR_SR_EEEESG_SG_EENS0_5tupleIJPiSJ_EEENSV_IJSJ_SJ_EEES6_PlJS6_EEE10hipError_tPvRmT3_T4_T5_T6_T7_T9_mT8_P12ihipStream_tbDpT10_ENKUlT_T0_E_clISt17integral_constantIbLb1EES1I_IbLb0EEEEDaS1E_S1F_EUlS1E_E_NS1_11comp_targetILNS1_3genE4ELNS1_11target_archE910ELNS1_3gpuE8ELNS1_3repE0EEENS1_30default_config_static_selectorELNS0_4arch9wavefront6targetE1EEEvT1_, .Lfunc_end3612-_ZN7rocprim17ROCPRIM_400000_NS6detail17trampoline_kernelINS0_14default_configENS1_25partition_config_selectorILNS1_17partition_subalgoE2EiNS0_10empty_typeEbEEZZNS1_14partition_implILS5_2ELb0ES3_jN6thrust23THRUST_200600_302600_NS6detail15normal_iteratorINSA_7pointerIiNSA_11hip_rocprim3tagENSA_11use_defaultESG_EEEEPS6_NSA_18transform_iteratorI10is_orderedNSA_12zip_iteratorINSA_5tupleINSC_INSA_10device_ptrIiEEEESQ_NSA_9null_typeESR_SR_SR_SR_SR_SR_SR_EEEESG_SG_EENS0_5tupleIJPiSJ_EEENSV_IJSJ_SJ_EEES6_PlJS6_EEE10hipError_tPvRmT3_T4_T5_T6_T7_T9_mT8_P12ihipStream_tbDpT10_ENKUlT_T0_E_clISt17integral_constantIbLb1EES1I_IbLb0EEEEDaS1E_S1F_EUlS1E_E_NS1_11comp_targetILNS1_3genE4ELNS1_11target_archE910ELNS1_3gpuE8ELNS1_3repE0EEENS1_30default_config_static_selectorELNS0_4arch9wavefront6targetE1EEEvT1_
                                        ; -- End function
	.section	.AMDGPU.csdata,"",@progbits
; Kernel info:
; codeLenInByte = 6996
; NumSgprs: 50
; NumVgprs: 53
; NumAgprs: 0
; TotalNumVgprs: 53
; ScratchSize: 0
; MemoryBound: 0
; FloatMode: 240
; IeeeMode: 1
; LDSByteSize: 10248 bytes/workgroup (compile time only)
; SGPRBlocks: 6
; VGPRBlocks: 6
; NumSGPRsForWavesPerEU: 50
; NumVGPRsForWavesPerEU: 53
; AccumOffset: 56
; Occupancy: 6
; WaveLimiterHint : 1
; COMPUTE_PGM_RSRC2:SCRATCH_EN: 0
; COMPUTE_PGM_RSRC2:USER_SGPR: 6
; COMPUTE_PGM_RSRC2:TRAP_HANDLER: 0
; COMPUTE_PGM_RSRC2:TGID_X_EN: 1
; COMPUTE_PGM_RSRC2:TGID_Y_EN: 0
; COMPUTE_PGM_RSRC2:TGID_Z_EN: 0
; COMPUTE_PGM_RSRC2:TIDIG_COMP_CNT: 0
; COMPUTE_PGM_RSRC3_GFX90A:ACCUM_OFFSET: 13
; COMPUTE_PGM_RSRC3_GFX90A:TG_SPLIT: 0
	.section	.text._ZN7rocprim17ROCPRIM_400000_NS6detail17trampoline_kernelINS0_14default_configENS1_25partition_config_selectorILNS1_17partition_subalgoE2EiNS0_10empty_typeEbEEZZNS1_14partition_implILS5_2ELb0ES3_jN6thrust23THRUST_200600_302600_NS6detail15normal_iteratorINSA_7pointerIiNSA_11hip_rocprim3tagENSA_11use_defaultESG_EEEEPS6_NSA_18transform_iteratorI10is_orderedNSA_12zip_iteratorINSA_5tupleINSC_INSA_10device_ptrIiEEEESQ_NSA_9null_typeESR_SR_SR_SR_SR_SR_SR_EEEESG_SG_EENS0_5tupleIJPiSJ_EEENSV_IJSJ_SJ_EEES6_PlJS6_EEE10hipError_tPvRmT3_T4_T5_T6_T7_T9_mT8_P12ihipStream_tbDpT10_ENKUlT_T0_E_clISt17integral_constantIbLb1EES1I_IbLb0EEEEDaS1E_S1F_EUlS1E_E_NS1_11comp_targetILNS1_3genE3ELNS1_11target_archE908ELNS1_3gpuE7ELNS1_3repE0EEENS1_30default_config_static_selectorELNS0_4arch9wavefront6targetE1EEEvT1_,"axG",@progbits,_ZN7rocprim17ROCPRIM_400000_NS6detail17trampoline_kernelINS0_14default_configENS1_25partition_config_selectorILNS1_17partition_subalgoE2EiNS0_10empty_typeEbEEZZNS1_14partition_implILS5_2ELb0ES3_jN6thrust23THRUST_200600_302600_NS6detail15normal_iteratorINSA_7pointerIiNSA_11hip_rocprim3tagENSA_11use_defaultESG_EEEEPS6_NSA_18transform_iteratorI10is_orderedNSA_12zip_iteratorINSA_5tupleINSC_INSA_10device_ptrIiEEEESQ_NSA_9null_typeESR_SR_SR_SR_SR_SR_SR_EEEESG_SG_EENS0_5tupleIJPiSJ_EEENSV_IJSJ_SJ_EEES6_PlJS6_EEE10hipError_tPvRmT3_T4_T5_T6_T7_T9_mT8_P12ihipStream_tbDpT10_ENKUlT_T0_E_clISt17integral_constantIbLb1EES1I_IbLb0EEEEDaS1E_S1F_EUlS1E_E_NS1_11comp_targetILNS1_3genE3ELNS1_11target_archE908ELNS1_3gpuE7ELNS1_3repE0EEENS1_30default_config_static_selectorELNS0_4arch9wavefront6targetE1EEEvT1_,comdat
	.protected	_ZN7rocprim17ROCPRIM_400000_NS6detail17trampoline_kernelINS0_14default_configENS1_25partition_config_selectorILNS1_17partition_subalgoE2EiNS0_10empty_typeEbEEZZNS1_14partition_implILS5_2ELb0ES3_jN6thrust23THRUST_200600_302600_NS6detail15normal_iteratorINSA_7pointerIiNSA_11hip_rocprim3tagENSA_11use_defaultESG_EEEEPS6_NSA_18transform_iteratorI10is_orderedNSA_12zip_iteratorINSA_5tupleINSC_INSA_10device_ptrIiEEEESQ_NSA_9null_typeESR_SR_SR_SR_SR_SR_SR_EEEESG_SG_EENS0_5tupleIJPiSJ_EEENSV_IJSJ_SJ_EEES6_PlJS6_EEE10hipError_tPvRmT3_T4_T5_T6_T7_T9_mT8_P12ihipStream_tbDpT10_ENKUlT_T0_E_clISt17integral_constantIbLb1EES1I_IbLb0EEEEDaS1E_S1F_EUlS1E_E_NS1_11comp_targetILNS1_3genE3ELNS1_11target_archE908ELNS1_3gpuE7ELNS1_3repE0EEENS1_30default_config_static_selectorELNS0_4arch9wavefront6targetE1EEEvT1_ ; -- Begin function _ZN7rocprim17ROCPRIM_400000_NS6detail17trampoline_kernelINS0_14default_configENS1_25partition_config_selectorILNS1_17partition_subalgoE2EiNS0_10empty_typeEbEEZZNS1_14partition_implILS5_2ELb0ES3_jN6thrust23THRUST_200600_302600_NS6detail15normal_iteratorINSA_7pointerIiNSA_11hip_rocprim3tagENSA_11use_defaultESG_EEEEPS6_NSA_18transform_iteratorI10is_orderedNSA_12zip_iteratorINSA_5tupleINSC_INSA_10device_ptrIiEEEESQ_NSA_9null_typeESR_SR_SR_SR_SR_SR_SR_EEEESG_SG_EENS0_5tupleIJPiSJ_EEENSV_IJSJ_SJ_EEES6_PlJS6_EEE10hipError_tPvRmT3_T4_T5_T6_T7_T9_mT8_P12ihipStream_tbDpT10_ENKUlT_T0_E_clISt17integral_constantIbLb1EES1I_IbLb0EEEEDaS1E_S1F_EUlS1E_E_NS1_11comp_targetILNS1_3genE3ELNS1_11target_archE908ELNS1_3gpuE7ELNS1_3repE0EEENS1_30default_config_static_selectorELNS0_4arch9wavefront6targetE1EEEvT1_
	.globl	_ZN7rocprim17ROCPRIM_400000_NS6detail17trampoline_kernelINS0_14default_configENS1_25partition_config_selectorILNS1_17partition_subalgoE2EiNS0_10empty_typeEbEEZZNS1_14partition_implILS5_2ELb0ES3_jN6thrust23THRUST_200600_302600_NS6detail15normal_iteratorINSA_7pointerIiNSA_11hip_rocprim3tagENSA_11use_defaultESG_EEEEPS6_NSA_18transform_iteratorI10is_orderedNSA_12zip_iteratorINSA_5tupleINSC_INSA_10device_ptrIiEEEESQ_NSA_9null_typeESR_SR_SR_SR_SR_SR_SR_EEEESG_SG_EENS0_5tupleIJPiSJ_EEENSV_IJSJ_SJ_EEES6_PlJS6_EEE10hipError_tPvRmT3_T4_T5_T6_T7_T9_mT8_P12ihipStream_tbDpT10_ENKUlT_T0_E_clISt17integral_constantIbLb1EES1I_IbLb0EEEEDaS1E_S1F_EUlS1E_E_NS1_11comp_targetILNS1_3genE3ELNS1_11target_archE908ELNS1_3gpuE7ELNS1_3repE0EEENS1_30default_config_static_selectorELNS0_4arch9wavefront6targetE1EEEvT1_
	.p2align	8
	.type	_ZN7rocprim17ROCPRIM_400000_NS6detail17trampoline_kernelINS0_14default_configENS1_25partition_config_selectorILNS1_17partition_subalgoE2EiNS0_10empty_typeEbEEZZNS1_14partition_implILS5_2ELb0ES3_jN6thrust23THRUST_200600_302600_NS6detail15normal_iteratorINSA_7pointerIiNSA_11hip_rocprim3tagENSA_11use_defaultESG_EEEEPS6_NSA_18transform_iteratorI10is_orderedNSA_12zip_iteratorINSA_5tupleINSC_INSA_10device_ptrIiEEEESQ_NSA_9null_typeESR_SR_SR_SR_SR_SR_SR_EEEESG_SG_EENS0_5tupleIJPiSJ_EEENSV_IJSJ_SJ_EEES6_PlJS6_EEE10hipError_tPvRmT3_T4_T5_T6_T7_T9_mT8_P12ihipStream_tbDpT10_ENKUlT_T0_E_clISt17integral_constantIbLb1EES1I_IbLb0EEEEDaS1E_S1F_EUlS1E_E_NS1_11comp_targetILNS1_3genE3ELNS1_11target_archE908ELNS1_3gpuE7ELNS1_3repE0EEENS1_30default_config_static_selectorELNS0_4arch9wavefront6targetE1EEEvT1_,@function
_ZN7rocprim17ROCPRIM_400000_NS6detail17trampoline_kernelINS0_14default_configENS1_25partition_config_selectorILNS1_17partition_subalgoE2EiNS0_10empty_typeEbEEZZNS1_14partition_implILS5_2ELb0ES3_jN6thrust23THRUST_200600_302600_NS6detail15normal_iteratorINSA_7pointerIiNSA_11hip_rocprim3tagENSA_11use_defaultESG_EEEEPS6_NSA_18transform_iteratorI10is_orderedNSA_12zip_iteratorINSA_5tupleINSC_INSA_10device_ptrIiEEEESQ_NSA_9null_typeESR_SR_SR_SR_SR_SR_SR_EEEESG_SG_EENS0_5tupleIJPiSJ_EEENSV_IJSJ_SJ_EEES6_PlJS6_EEE10hipError_tPvRmT3_T4_T5_T6_T7_T9_mT8_P12ihipStream_tbDpT10_ENKUlT_T0_E_clISt17integral_constantIbLb1EES1I_IbLb0EEEEDaS1E_S1F_EUlS1E_E_NS1_11comp_targetILNS1_3genE3ELNS1_11target_archE908ELNS1_3gpuE7ELNS1_3repE0EEENS1_30default_config_static_selectorELNS0_4arch9wavefront6targetE1EEEvT1_: ; @_ZN7rocprim17ROCPRIM_400000_NS6detail17trampoline_kernelINS0_14default_configENS1_25partition_config_selectorILNS1_17partition_subalgoE2EiNS0_10empty_typeEbEEZZNS1_14partition_implILS5_2ELb0ES3_jN6thrust23THRUST_200600_302600_NS6detail15normal_iteratorINSA_7pointerIiNSA_11hip_rocprim3tagENSA_11use_defaultESG_EEEEPS6_NSA_18transform_iteratorI10is_orderedNSA_12zip_iteratorINSA_5tupleINSC_INSA_10device_ptrIiEEEESQ_NSA_9null_typeESR_SR_SR_SR_SR_SR_SR_EEEESG_SG_EENS0_5tupleIJPiSJ_EEENSV_IJSJ_SJ_EEES6_PlJS6_EEE10hipError_tPvRmT3_T4_T5_T6_T7_T9_mT8_P12ihipStream_tbDpT10_ENKUlT_T0_E_clISt17integral_constantIbLb1EES1I_IbLb0EEEEDaS1E_S1F_EUlS1E_E_NS1_11comp_targetILNS1_3genE3ELNS1_11target_archE908ELNS1_3gpuE7ELNS1_3repE0EEENS1_30default_config_static_selectorELNS0_4arch9wavefront6targetE1EEEvT1_
; %bb.0:
	.section	.rodata,"a",@progbits
	.p2align	6, 0x0
	.amdhsa_kernel _ZN7rocprim17ROCPRIM_400000_NS6detail17trampoline_kernelINS0_14default_configENS1_25partition_config_selectorILNS1_17partition_subalgoE2EiNS0_10empty_typeEbEEZZNS1_14partition_implILS5_2ELb0ES3_jN6thrust23THRUST_200600_302600_NS6detail15normal_iteratorINSA_7pointerIiNSA_11hip_rocprim3tagENSA_11use_defaultESG_EEEEPS6_NSA_18transform_iteratorI10is_orderedNSA_12zip_iteratorINSA_5tupleINSC_INSA_10device_ptrIiEEEESQ_NSA_9null_typeESR_SR_SR_SR_SR_SR_SR_EEEESG_SG_EENS0_5tupleIJPiSJ_EEENSV_IJSJ_SJ_EEES6_PlJS6_EEE10hipError_tPvRmT3_T4_T5_T6_T7_T9_mT8_P12ihipStream_tbDpT10_ENKUlT_T0_E_clISt17integral_constantIbLb1EES1I_IbLb0EEEEDaS1E_S1F_EUlS1E_E_NS1_11comp_targetILNS1_3genE3ELNS1_11target_archE908ELNS1_3gpuE7ELNS1_3repE0EEENS1_30default_config_static_selectorELNS0_4arch9wavefront6targetE1EEEvT1_
		.amdhsa_group_segment_fixed_size 0
		.amdhsa_private_segment_fixed_size 0
		.amdhsa_kernarg_size 136
		.amdhsa_user_sgpr_count 6
		.amdhsa_user_sgpr_private_segment_buffer 1
		.amdhsa_user_sgpr_dispatch_ptr 0
		.amdhsa_user_sgpr_queue_ptr 0
		.amdhsa_user_sgpr_kernarg_segment_ptr 1
		.amdhsa_user_sgpr_dispatch_id 0
		.amdhsa_user_sgpr_flat_scratch_init 0
		.amdhsa_user_sgpr_kernarg_preload_length 0
		.amdhsa_user_sgpr_kernarg_preload_offset 0
		.amdhsa_user_sgpr_private_segment_size 0
		.amdhsa_uses_dynamic_stack 0
		.amdhsa_system_sgpr_private_segment_wavefront_offset 0
		.amdhsa_system_sgpr_workgroup_id_x 1
		.amdhsa_system_sgpr_workgroup_id_y 0
		.amdhsa_system_sgpr_workgroup_id_z 0
		.amdhsa_system_sgpr_workgroup_info 0
		.amdhsa_system_vgpr_workitem_id 0
		.amdhsa_next_free_vgpr 1
		.amdhsa_next_free_sgpr 0
		.amdhsa_accum_offset 4
		.amdhsa_reserve_vcc 0
		.amdhsa_reserve_flat_scratch 0
		.amdhsa_float_round_mode_32 0
		.amdhsa_float_round_mode_16_64 0
		.amdhsa_float_denorm_mode_32 3
		.amdhsa_float_denorm_mode_16_64 3
		.amdhsa_dx10_clamp 1
		.amdhsa_ieee_mode 1
		.amdhsa_fp16_overflow 0
		.amdhsa_tg_split 0
		.amdhsa_exception_fp_ieee_invalid_op 0
		.amdhsa_exception_fp_denorm_src 0
		.amdhsa_exception_fp_ieee_div_zero 0
		.amdhsa_exception_fp_ieee_overflow 0
		.amdhsa_exception_fp_ieee_underflow 0
		.amdhsa_exception_fp_ieee_inexact 0
		.amdhsa_exception_int_div_zero 0
	.end_amdhsa_kernel
	.section	.text._ZN7rocprim17ROCPRIM_400000_NS6detail17trampoline_kernelINS0_14default_configENS1_25partition_config_selectorILNS1_17partition_subalgoE2EiNS0_10empty_typeEbEEZZNS1_14partition_implILS5_2ELb0ES3_jN6thrust23THRUST_200600_302600_NS6detail15normal_iteratorINSA_7pointerIiNSA_11hip_rocprim3tagENSA_11use_defaultESG_EEEEPS6_NSA_18transform_iteratorI10is_orderedNSA_12zip_iteratorINSA_5tupleINSC_INSA_10device_ptrIiEEEESQ_NSA_9null_typeESR_SR_SR_SR_SR_SR_SR_EEEESG_SG_EENS0_5tupleIJPiSJ_EEENSV_IJSJ_SJ_EEES6_PlJS6_EEE10hipError_tPvRmT3_T4_T5_T6_T7_T9_mT8_P12ihipStream_tbDpT10_ENKUlT_T0_E_clISt17integral_constantIbLb1EES1I_IbLb0EEEEDaS1E_S1F_EUlS1E_E_NS1_11comp_targetILNS1_3genE3ELNS1_11target_archE908ELNS1_3gpuE7ELNS1_3repE0EEENS1_30default_config_static_selectorELNS0_4arch9wavefront6targetE1EEEvT1_,"axG",@progbits,_ZN7rocprim17ROCPRIM_400000_NS6detail17trampoline_kernelINS0_14default_configENS1_25partition_config_selectorILNS1_17partition_subalgoE2EiNS0_10empty_typeEbEEZZNS1_14partition_implILS5_2ELb0ES3_jN6thrust23THRUST_200600_302600_NS6detail15normal_iteratorINSA_7pointerIiNSA_11hip_rocprim3tagENSA_11use_defaultESG_EEEEPS6_NSA_18transform_iteratorI10is_orderedNSA_12zip_iteratorINSA_5tupleINSC_INSA_10device_ptrIiEEEESQ_NSA_9null_typeESR_SR_SR_SR_SR_SR_SR_EEEESG_SG_EENS0_5tupleIJPiSJ_EEENSV_IJSJ_SJ_EEES6_PlJS6_EEE10hipError_tPvRmT3_T4_T5_T6_T7_T9_mT8_P12ihipStream_tbDpT10_ENKUlT_T0_E_clISt17integral_constantIbLb1EES1I_IbLb0EEEEDaS1E_S1F_EUlS1E_E_NS1_11comp_targetILNS1_3genE3ELNS1_11target_archE908ELNS1_3gpuE7ELNS1_3repE0EEENS1_30default_config_static_selectorELNS0_4arch9wavefront6targetE1EEEvT1_,comdat
.Lfunc_end3613:
	.size	_ZN7rocprim17ROCPRIM_400000_NS6detail17trampoline_kernelINS0_14default_configENS1_25partition_config_selectorILNS1_17partition_subalgoE2EiNS0_10empty_typeEbEEZZNS1_14partition_implILS5_2ELb0ES3_jN6thrust23THRUST_200600_302600_NS6detail15normal_iteratorINSA_7pointerIiNSA_11hip_rocprim3tagENSA_11use_defaultESG_EEEEPS6_NSA_18transform_iteratorI10is_orderedNSA_12zip_iteratorINSA_5tupleINSC_INSA_10device_ptrIiEEEESQ_NSA_9null_typeESR_SR_SR_SR_SR_SR_SR_EEEESG_SG_EENS0_5tupleIJPiSJ_EEENSV_IJSJ_SJ_EEES6_PlJS6_EEE10hipError_tPvRmT3_T4_T5_T6_T7_T9_mT8_P12ihipStream_tbDpT10_ENKUlT_T0_E_clISt17integral_constantIbLb1EES1I_IbLb0EEEEDaS1E_S1F_EUlS1E_E_NS1_11comp_targetILNS1_3genE3ELNS1_11target_archE908ELNS1_3gpuE7ELNS1_3repE0EEENS1_30default_config_static_selectorELNS0_4arch9wavefront6targetE1EEEvT1_, .Lfunc_end3613-_ZN7rocprim17ROCPRIM_400000_NS6detail17trampoline_kernelINS0_14default_configENS1_25partition_config_selectorILNS1_17partition_subalgoE2EiNS0_10empty_typeEbEEZZNS1_14partition_implILS5_2ELb0ES3_jN6thrust23THRUST_200600_302600_NS6detail15normal_iteratorINSA_7pointerIiNSA_11hip_rocprim3tagENSA_11use_defaultESG_EEEEPS6_NSA_18transform_iteratorI10is_orderedNSA_12zip_iteratorINSA_5tupleINSC_INSA_10device_ptrIiEEEESQ_NSA_9null_typeESR_SR_SR_SR_SR_SR_SR_EEEESG_SG_EENS0_5tupleIJPiSJ_EEENSV_IJSJ_SJ_EEES6_PlJS6_EEE10hipError_tPvRmT3_T4_T5_T6_T7_T9_mT8_P12ihipStream_tbDpT10_ENKUlT_T0_E_clISt17integral_constantIbLb1EES1I_IbLb0EEEEDaS1E_S1F_EUlS1E_E_NS1_11comp_targetILNS1_3genE3ELNS1_11target_archE908ELNS1_3gpuE7ELNS1_3repE0EEENS1_30default_config_static_selectorELNS0_4arch9wavefront6targetE1EEEvT1_
                                        ; -- End function
	.section	.AMDGPU.csdata,"",@progbits
; Kernel info:
; codeLenInByte = 0
; NumSgprs: 4
; NumVgprs: 0
; NumAgprs: 0
; TotalNumVgprs: 0
; ScratchSize: 0
; MemoryBound: 0
; FloatMode: 240
; IeeeMode: 1
; LDSByteSize: 0 bytes/workgroup (compile time only)
; SGPRBlocks: 0
; VGPRBlocks: 0
; NumSGPRsForWavesPerEU: 4
; NumVGPRsForWavesPerEU: 1
; AccumOffset: 4
; Occupancy: 8
; WaveLimiterHint : 0
; COMPUTE_PGM_RSRC2:SCRATCH_EN: 0
; COMPUTE_PGM_RSRC2:USER_SGPR: 6
; COMPUTE_PGM_RSRC2:TRAP_HANDLER: 0
; COMPUTE_PGM_RSRC2:TGID_X_EN: 1
; COMPUTE_PGM_RSRC2:TGID_Y_EN: 0
; COMPUTE_PGM_RSRC2:TGID_Z_EN: 0
; COMPUTE_PGM_RSRC2:TIDIG_COMP_CNT: 0
; COMPUTE_PGM_RSRC3_GFX90A:ACCUM_OFFSET: 0
; COMPUTE_PGM_RSRC3_GFX90A:TG_SPLIT: 0
	.section	.text._ZN7rocprim17ROCPRIM_400000_NS6detail17trampoline_kernelINS0_14default_configENS1_25partition_config_selectorILNS1_17partition_subalgoE2EiNS0_10empty_typeEbEEZZNS1_14partition_implILS5_2ELb0ES3_jN6thrust23THRUST_200600_302600_NS6detail15normal_iteratorINSA_7pointerIiNSA_11hip_rocprim3tagENSA_11use_defaultESG_EEEEPS6_NSA_18transform_iteratorI10is_orderedNSA_12zip_iteratorINSA_5tupleINSC_INSA_10device_ptrIiEEEESQ_NSA_9null_typeESR_SR_SR_SR_SR_SR_SR_EEEESG_SG_EENS0_5tupleIJPiSJ_EEENSV_IJSJ_SJ_EEES6_PlJS6_EEE10hipError_tPvRmT3_T4_T5_T6_T7_T9_mT8_P12ihipStream_tbDpT10_ENKUlT_T0_E_clISt17integral_constantIbLb1EES1I_IbLb0EEEEDaS1E_S1F_EUlS1E_E_NS1_11comp_targetILNS1_3genE2ELNS1_11target_archE906ELNS1_3gpuE6ELNS1_3repE0EEENS1_30default_config_static_selectorELNS0_4arch9wavefront6targetE1EEEvT1_,"axG",@progbits,_ZN7rocprim17ROCPRIM_400000_NS6detail17trampoline_kernelINS0_14default_configENS1_25partition_config_selectorILNS1_17partition_subalgoE2EiNS0_10empty_typeEbEEZZNS1_14partition_implILS5_2ELb0ES3_jN6thrust23THRUST_200600_302600_NS6detail15normal_iteratorINSA_7pointerIiNSA_11hip_rocprim3tagENSA_11use_defaultESG_EEEEPS6_NSA_18transform_iteratorI10is_orderedNSA_12zip_iteratorINSA_5tupleINSC_INSA_10device_ptrIiEEEESQ_NSA_9null_typeESR_SR_SR_SR_SR_SR_SR_EEEESG_SG_EENS0_5tupleIJPiSJ_EEENSV_IJSJ_SJ_EEES6_PlJS6_EEE10hipError_tPvRmT3_T4_T5_T6_T7_T9_mT8_P12ihipStream_tbDpT10_ENKUlT_T0_E_clISt17integral_constantIbLb1EES1I_IbLb0EEEEDaS1E_S1F_EUlS1E_E_NS1_11comp_targetILNS1_3genE2ELNS1_11target_archE906ELNS1_3gpuE6ELNS1_3repE0EEENS1_30default_config_static_selectorELNS0_4arch9wavefront6targetE1EEEvT1_,comdat
	.protected	_ZN7rocprim17ROCPRIM_400000_NS6detail17trampoline_kernelINS0_14default_configENS1_25partition_config_selectorILNS1_17partition_subalgoE2EiNS0_10empty_typeEbEEZZNS1_14partition_implILS5_2ELb0ES3_jN6thrust23THRUST_200600_302600_NS6detail15normal_iteratorINSA_7pointerIiNSA_11hip_rocprim3tagENSA_11use_defaultESG_EEEEPS6_NSA_18transform_iteratorI10is_orderedNSA_12zip_iteratorINSA_5tupleINSC_INSA_10device_ptrIiEEEESQ_NSA_9null_typeESR_SR_SR_SR_SR_SR_SR_EEEESG_SG_EENS0_5tupleIJPiSJ_EEENSV_IJSJ_SJ_EEES6_PlJS6_EEE10hipError_tPvRmT3_T4_T5_T6_T7_T9_mT8_P12ihipStream_tbDpT10_ENKUlT_T0_E_clISt17integral_constantIbLb1EES1I_IbLb0EEEEDaS1E_S1F_EUlS1E_E_NS1_11comp_targetILNS1_3genE2ELNS1_11target_archE906ELNS1_3gpuE6ELNS1_3repE0EEENS1_30default_config_static_selectorELNS0_4arch9wavefront6targetE1EEEvT1_ ; -- Begin function _ZN7rocprim17ROCPRIM_400000_NS6detail17trampoline_kernelINS0_14default_configENS1_25partition_config_selectorILNS1_17partition_subalgoE2EiNS0_10empty_typeEbEEZZNS1_14partition_implILS5_2ELb0ES3_jN6thrust23THRUST_200600_302600_NS6detail15normal_iteratorINSA_7pointerIiNSA_11hip_rocprim3tagENSA_11use_defaultESG_EEEEPS6_NSA_18transform_iteratorI10is_orderedNSA_12zip_iteratorINSA_5tupleINSC_INSA_10device_ptrIiEEEESQ_NSA_9null_typeESR_SR_SR_SR_SR_SR_SR_EEEESG_SG_EENS0_5tupleIJPiSJ_EEENSV_IJSJ_SJ_EEES6_PlJS6_EEE10hipError_tPvRmT3_T4_T5_T6_T7_T9_mT8_P12ihipStream_tbDpT10_ENKUlT_T0_E_clISt17integral_constantIbLb1EES1I_IbLb0EEEEDaS1E_S1F_EUlS1E_E_NS1_11comp_targetILNS1_3genE2ELNS1_11target_archE906ELNS1_3gpuE6ELNS1_3repE0EEENS1_30default_config_static_selectorELNS0_4arch9wavefront6targetE1EEEvT1_
	.globl	_ZN7rocprim17ROCPRIM_400000_NS6detail17trampoline_kernelINS0_14default_configENS1_25partition_config_selectorILNS1_17partition_subalgoE2EiNS0_10empty_typeEbEEZZNS1_14partition_implILS5_2ELb0ES3_jN6thrust23THRUST_200600_302600_NS6detail15normal_iteratorINSA_7pointerIiNSA_11hip_rocprim3tagENSA_11use_defaultESG_EEEEPS6_NSA_18transform_iteratorI10is_orderedNSA_12zip_iteratorINSA_5tupleINSC_INSA_10device_ptrIiEEEESQ_NSA_9null_typeESR_SR_SR_SR_SR_SR_SR_EEEESG_SG_EENS0_5tupleIJPiSJ_EEENSV_IJSJ_SJ_EEES6_PlJS6_EEE10hipError_tPvRmT3_T4_T5_T6_T7_T9_mT8_P12ihipStream_tbDpT10_ENKUlT_T0_E_clISt17integral_constantIbLb1EES1I_IbLb0EEEEDaS1E_S1F_EUlS1E_E_NS1_11comp_targetILNS1_3genE2ELNS1_11target_archE906ELNS1_3gpuE6ELNS1_3repE0EEENS1_30default_config_static_selectorELNS0_4arch9wavefront6targetE1EEEvT1_
	.p2align	8
	.type	_ZN7rocprim17ROCPRIM_400000_NS6detail17trampoline_kernelINS0_14default_configENS1_25partition_config_selectorILNS1_17partition_subalgoE2EiNS0_10empty_typeEbEEZZNS1_14partition_implILS5_2ELb0ES3_jN6thrust23THRUST_200600_302600_NS6detail15normal_iteratorINSA_7pointerIiNSA_11hip_rocprim3tagENSA_11use_defaultESG_EEEEPS6_NSA_18transform_iteratorI10is_orderedNSA_12zip_iteratorINSA_5tupleINSC_INSA_10device_ptrIiEEEESQ_NSA_9null_typeESR_SR_SR_SR_SR_SR_SR_EEEESG_SG_EENS0_5tupleIJPiSJ_EEENSV_IJSJ_SJ_EEES6_PlJS6_EEE10hipError_tPvRmT3_T4_T5_T6_T7_T9_mT8_P12ihipStream_tbDpT10_ENKUlT_T0_E_clISt17integral_constantIbLb1EES1I_IbLb0EEEEDaS1E_S1F_EUlS1E_E_NS1_11comp_targetILNS1_3genE2ELNS1_11target_archE906ELNS1_3gpuE6ELNS1_3repE0EEENS1_30default_config_static_selectorELNS0_4arch9wavefront6targetE1EEEvT1_,@function
_ZN7rocprim17ROCPRIM_400000_NS6detail17trampoline_kernelINS0_14default_configENS1_25partition_config_selectorILNS1_17partition_subalgoE2EiNS0_10empty_typeEbEEZZNS1_14partition_implILS5_2ELb0ES3_jN6thrust23THRUST_200600_302600_NS6detail15normal_iteratorINSA_7pointerIiNSA_11hip_rocprim3tagENSA_11use_defaultESG_EEEEPS6_NSA_18transform_iteratorI10is_orderedNSA_12zip_iteratorINSA_5tupleINSC_INSA_10device_ptrIiEEEESQ_NSA_9null_typeESR_SR_SR_SR_SR_SR_SR_EEEESG_SG_EENS0_5tupleIJPiSJ_EEENSV_IJSJ_SJ_EEES6_PlJS6_EEE10hipError_tPvRmT3_T4_T5_T6_T7_T9_mT8_P12ihipStream_tbDpT10_ENKUlT_T0_E_clISt17integral_constantIbLb1EES1I_IbLb0EEEEDaS1E_S1F_EUlS1E_E_NS1_11comp_targetILNS1_3genE2ELNS1_11target_archE906ELNS1_3gpuE6ELNS1_3repE0EEENS1_30default_config_static_selectorELNS0_4arch9wavefront6targetE1EEEvT1_: ; @_ZN7rocprim17ROCPRIM_400000_NS6detail17trampoline_kernelINS0_14default_configENS1_25partition_config_selectorILNS1_17partition_subalgoE2EiNS0_10empty_typeEbEEZZNS1_14partition_implILS5_2ELb0ES3_jN6thrust23THRUST_200600_302600_NS6detail15normal_iteratorINSA_7pointerIiNSA_11hip_rocprim3tagENSA_11use_defaultESG_EEEEPS6_NSA_18transform_iteratorI10is_orderedNSA_12zip_iteratorINSA_5tupleINSC_INSA_10device_ptrIiEEEESQ_NSA_9null_typeESR_SR_SR_SR_SR_SR_SR_EEEESG_SG_EENS0_5tupleIJPiSJ_EEENSV_IJSJ_SJ_EEES6_PlJS6_EEE10hipError_tPvRmT3_T4_T5_T6_T7_T9_mT8_P12ihipStream_tbDpT10_ENKUlT_T0_E_clISt17integral_constantIbLb1EES1I_IbLb0EEEEDaS1E_S1F_EUlS1E_E_NS1_11comp_targetILNS1_3genE2ELNS1_11target_archE906ELNS1_3gpuE6ELNS1_3repE0EEENS1_30default_config_static_selectorELNS0_4arch9wavefront6targetE1EEEvT1_
; %bb.0:
	.section	.rodata,"a",@progbits
	.p2align	6, 0x0
	.amdhsa_kernel _ZN7rocprim17ROCPRIM_400000_NS6detail17trampoline_kernelINS0_14default_configENS1_25partition_config_selectorILNS1_17partition_subalgoE2EiNS0_10empty_typeEbEEZZNS1_14partition_implILS5_2ELb0ES3_jN6thrust23THRUST_200600_302600_NS6detail15normal_iteratorINSA_7pointerIiNSA_11hip_rocprim3tagENSA_11use_defaultESG_EEEEPS6_NSA_18transform_iteratorI10is_orderedNSA_12zip_iteratorINSA_5tupleINSC_INSA_10device_ptrIiEEEESQ_NSA_9null_typeESR_SR_SR_SR_SR_SR_SR_EEEESG_SG_EENS0_5tupleIJPiSJ_EEENSV_IJSJ_SJ_EEES6_PlJS6_EEE10hipError_tPvRmT3_T4_T5_T6_T7_T9_mT8_P12ihipStream_tbDpT10_ENKUlT_T0_E_clISt17integral_constantIbLb1EES1I_IbLb0EEEEDaS1E_S1F_EUlS1E_E_NS1_11comp_targetILNS1_3genE2ELNS1_11target_archE906ELNS1_3gpuE6ELNS1_3repE0EEENS1_30default_config_static_selectorELNS0_4arch9wavefront6targetE1EEEvT1_
		.amdhsa_group_segment_fixed_size 0
		.amdhsa_private_segment_fixed_size 0
		.amdhsa_kernarg_size 136
		.amdhsa_user_sgpr_count 6
		.amdhsa_user_sgpr_private_segment_buffer 1
		.amdhsa_user_sgpr_dispatch_ptr 0
		.amdhsa_user_sgpr_queue_ptr 0
		.amdhsa_user_sgpr_kernarg_segment_ptr 1
		.amdhsa_user_sgpr_dispatch_id 0
		.amdhsa_user_sgpr_flat_scratch_init 0
		.amdhsa_user_sgpr_kernarg_preload_length 0
		.amdhsa_user_sgpr_kernarg_preload_offset 0
		.amdhsa_user_sgpr_private_segment_size 0
		.amdhsa_uses_dynamic_stack 0
		.amdhsa_system_sgpr_private_segment_wavefront_offset 0
		.amdhsa_system_sgpr_workgroup_id_x 1
		.amdhsa_system_sgpr_workgroup_id_y 0
		.amdhsa_system_sgpr_workgroup_id_z 0
		.amdhsa_system_sgpr_workgroup_info 0
		.amdhsa_system_vgpr_workitem_id 0
		.amdhsa_next_free_vgpr 1
		.amdhsa_next_free_sgpr 0
		.amdhsa_accum_offset 4
		.amdhsa_reserve_vcc 0
		.amdhsa_reserve_flat_scratch 0
		.amdhsa_float_round_mode_32 0
		.amdhsa_float_round_mode_16_64 0
		.amdhsa_float_denorm_mode_32 3
		.amdhsa_float_denorm_mode_16_64 3
		.amdhsa_dx10_clamp 1
		.amdhsa_ieee_mode 1
		.amdhsa_fp16_overflow 0
		.amdhsa_tg_split 0
		.amdhsa_exception_fp_ieee_invalid_op 0
		.amdhsa_exception_fp_denorm_src 0
		.amdhsa_exception_fp_ieee_div_zero 0
		.amdhsa_exception_fp_ieee_overflow 0
		.amdhsa_exception_fp_ieee_underflow 0
		.amdhsa_exception_fp_ieee_inexact 0
		.amdhsa_exception_int_div_zero 0
	.end_amdhsa_kernel
	.section	.text._ZN7rocprim17ROCPRIM_400000_NS6detail17trampoline_kernelINS0_14default_configENS1_25partition_config_selectorILNS1_17partition_subalgoE2EiNS0_10empty_typeEbEEZZNS1_14partition_implILS5_2ELb0ES3_jN6thrust23THRUST_200600_302600_NS6detail15normal_iteratorINSA_7pointerIiNSA_11hip_rocprim3tagENSA_11use_defaultESG_EEEEPS6_NSA_18transform_iteratorI10is_orderedNSA_12zip_iteratorINSA_5tupleINSC_INSA_10device_ptrIiEEEESQ_NSA_9null_typeESR_SR_SR_SR_SR_SR_SR_EEEESG_SG_EENS0_5tupleIJPiSJ_EEENSV_IJSJ_SJ_EEES6_PlJS6_EEE10hipError_tPvRmT3_T4_T5_T6_T7_T9_mT8_P12ihipStream_tbDpT10_ENKUlT_T0_E_clISt17integral_constantIbLb1EES1I_IbLb0EEEEDaS1E_S1F_EUlS1E_E_NS1_11comp_targetILNS1_3genE2ELNS1_11target_archE906ELNS1_3gpuE6ELNS1_3repE0EEENS1_30default_config_static_selectorELNS0_4arch9wavefront6targetE1EEEvT1_,"axG",@progbits,_ZN7rocprim17ROCPRIM_400000_NS6detail17trampoline_kernelINS0_14default_configENS1_25partition_config_selectorILNS1_17partition_subalgoE2EiNS0_10empty_typeEbEEZZNS1_14partition_implILS5_2ELb0ES3_jN6thrust23THRUST_200600_302600_NS6detail15normal_iteratorINSA_7pointerIiNSA_11hip_rocprim3tagENSA_11use_defaultESG_EEEEPS6_NSA_18transform_iteratorI10is_orderedNSA_12zip_iteratorINSA_5tupleINSC_INSA_10device_ptrIiEEEESQ_NSA_9null_typeESR_SR_SR_SR_SR_SR_SR_EEEESG_SG_EENS0_5tupleIJPiSJ_EEENSV_IJSJ_SJ_EEES6_PlJS6_EEE10hipError_tPvRmT3_T4_T5_T6_T7_T9_mT8_P12ihipStream_tbDpT10_ENKUlT_T0_E_clISt17integral_constantIbLb1EES1I_IbLb0EEEEDaS1E_S1F_EUlS1E_E_NS1_11comp_targetILNS1_3genE2ELNS1_11target_archE906ELNS1_3gpuE6ELNS1_3repE0EEENS1_30default_config_static_selectorELNS0_4arch9wavefront6targetE1EEEvT1_,comdat
.Lfunc_end3614:
	.size	_ZN7rocprim17ROCPRIM_400000_NS6detail17trampoline_kernelINS0_14default_configENS1_25partition_config_selectorILNS1_17partition_subalgoE2EiNS0_10empty_typeEbEEZZNS1_14partition_implILS5_2ELb0ES3_jN6thrust23THRUST_200600_302600_NS6detail15normal_iteratorINSA_7pointerIiNSA_11hip_rocprim3tagENSA_11use_defaultESG_EEEEPS6_NSA_18transform_iteratorI10is_orderedNSA_12zip_iteratorINSA_5tupleINSC_INSA_10device_ptrIiEEEESQ_NSA_9null_typeESR_SR_SR_SR_SR_SR_SR_EEEESG_SG_EENS0_5tupleIJPiSJ_EEENSV_IJSJ_SJ_EEES6_PlJS6_EEE10hipError_tPvRmT3_T4_T5_T6_T7_T9_mT8_P12ihipStream_tbDpT10_ENKUlT_T0_E_clISt17integral_constantIbLb1EES1I_IbLb0EEEEDaS1E_S1F_EUlS1E_E_NS1_11comp_targetILNS1_3genE2ELNS1_11target_archE906ELNS1_3gpuE6ELNS1_3repE0EEENS1_30default_config_static_selectorELNS0_4arch9wavefront6targetE1EEEvT1_, .Lfunc_end3614-_ZN7rocprim17ROCPRIM_400000_NS6detail17trampoline_kernelINS0_14default_configENS1_25partition_config_selectorILNS1_17partition_subalgoE2EiNS0_10empty_typeEbEEZZNS1_14partition_implILS5_2ELb0ES3_jN6thrust23THRUST_200600_302600_NS6detail15normal_iteratorINSA_7pointerIiNSA_11hip_rocprim3tagENSA_11use_defaultESG_EEEEPS6_NSA_18transform_iteratorI10is_orderedNSA_12zip_iteratorINSA_5tupleINSC_INSA_10device_ptrIiEEEESQ_NSA_9null_typeESR_SR_SR_SR_SR_SR_SR_EEEESG_SG_EENS0_5tupleIJPiSJ_EEENSV_IJSJ_SJ_EEES6_PlJS6_EEE10hipError_tPvRmT3_T4_T5_T6_T7_T9_mT8_P12ihipStream_tbDpT10_ENKUlT_T0_E_clISt17integral_constantIbLb1EES1I_IbLb0EEEEDaS1E_S1F_EUlS1E_E_NS1_11comp_targetILNS1_3genE2ELNS1_11target_archE906ELNS1_3gpuE6ELNS1_3repE0EEENS1_30default_config_static_selectorELNS0_4arch9wavefront6targetE1EEEvT1_
                                        ; -- End function
	.section	.AMDGPU.csdata,"",@progbits
; Kernel info:
; codeLenInByte = 0
; NumSgprs: 4
; NumVgprs: 0
; NumAgprs: 0
; TotalNumVgprs: 0
; ScratchSize: 0
; MemoryBound: 0
; FloatMode: 240
; IeeeMode: 1
; LDSByteSize: 0 bytes/workgroup (compile time only)
; SGPRBlocks: 0
; VGPRBlocks: 0
; NumSGPRsForWavesPerEU: 4
; NumVGPRsForWavesPerEU: 1
; AccumOffset: 4
; Occupancy: 8
; WaveLimiterHint : 0
; COMPUTE_PGM_RSRC2:SCRATCH_EN: 0
; COMPUTE_PGM_RSRC2:USER_SGPR: 6
; COMPUTE_PGM_RSRC2:TRAP_HANDLER: 0
; COMPUTE_PGM_RSRC2:TGID_X_EN: 1
; COMPUTE_PGM_RSRC2:TGID_Y_EN: 0
; COMPUTE_PGM_RSRC2:TGID_Z_EN: 0
; COMPUTE_PGM_RSRC2:TIDIG_COMP_CNT: 0
; COMPUTE_PGM_RSRC3_GFX90A:ACCUM_OFFSET: 0
; COMPUTE_PGM_RSRC3_GFX90A:TG_SPLIT: 0
	.section	.text._ZN7rocprim17ROCPRIM_400000_NS6detail17trampoline_kernelINS0_14default_configENS1_25partition_config_selectorILNS1_17partition_subalgoE2EiNS0_10empty_typeEbEEZZNS1_14partition_implILS5_2ELb0ES3_jN6thrust23THRUST_200600_302600_NS6detail15normal_iteratorINSA_7pointerIiNSA_11hip_rocprim3tagENSA_11use_defaultESG_EEEEPS6_NSA_18transform_iteratorI10is_orderedNSA_12zip_iteratorINSA_5tupleINSC_INSA_10device_ptrIiEEEESQ_NSA_9null_typeESR_SR_SR_SR_SR_SR_SR_EEEESG_SG_EENS0_5tupleIJPiSJ_EEENSV_IJSJ_SJ_EEES6_PlJS6_EEE10hipError_tPvRmT3_T4_T5_T6_T7_T9_mT8_P12ihipStream_tbDpT10_ENKUlT_T0_E_clISt17integral_constantIbLb1EES1I_IbLb0EEEEDaS1E_S1F_EUlS1E_E_NS1_11comp_targetILNS1_3genE10ELNS1_11target_archE1200ELNS1_3gpuE4ELNS1_3repE0EEENS1_30default_config_static_selectorELNS0_4arch9wavefront6targetE1EEEvT1_,"axG",@progbits,_ZN7rocprim17ROCPRIM_400000_NS6detail17trampoline_kernelINS0_14default_configENS1_25partition_config_selectorILNS1_17partition_subalgoE2EiNS0_10empty_typeEbEEZZNS1_14partition_implILS5_2ELb0ES3_jN6thrust23THRUST_200600_302600_NS6detail15normal_iteratorINSA_7pointerIiNSA_11hip_rocprim3tagENSA_11use_defaultESG_EEEEPS6_NSA_18transform_iteratorI10is_orderedNSA_12zip_iteratorINSA_5tupleINSC_INSA_10device_ptrIiEEEESQ_NSA_9null_typeESR_SR_SR_SR_SR_SR_SR_EEEESG_SG_EENS0_5tupleIJPiSJ_EEENSV_IJSJ_SJ_EEES6_PlJS6_EEE10hipError_tPvRmT3_T4_T5_T6_T7_T9_mT8_P12ihipStream_tbDpT10_ENKUlT_T0_E_clISt17integral_constantIbLb1EES1I_IbLb0EEEEDaS1E_S1F_EUlS1E_E_NS1_11comp_targetILNS1_3genE10ELNS1_11target_archE1200ELNS1_3gpuE4ELNS1_3repE0EEENS1_30default_config_static_selectorELNS0_4arch9wavefront6targetE1EEEvT1_,comdat
	.protected	_ZN7rocprim17ROCPRIM_400000_NS6detail17trampoline_kernelINS0_14default_configENS1_25partition_config_selectorILNS1_17partition_subalgoE2EiNS0_10empty_typeEbEEZZNS1_14partition_implILS5_2ELb0ES3_jN6thrust23THRUST_200600_302600_NS6detail15normal_iteratorINSA_7pointerIiNSA_11hip_rocprim3tagENSA_11use_defaultESG_EEEEPS6_NSA_18transform_iteratorI10is_orderedNSA_12zip_iteratorINSA_5tupleINSC_INSA_10device_ptrIiEEEESQ_NSA_9null_typeESR_SR_SR_SR_SR_SR_SR_EEEESG_SG_EENS0_5tupleIJPiSJ_EEENSV_IJSJ_SJ_EEES6_PlJS6_EEE10hipError_tPvRmT3_T4_T5_T6_T7_T9_mT8_P12ihipStream_tbDpT10_ENKUlT_T0_E_clISt17integral_constantIbLb1EES1I_IbLb0EEEEDaS1E_S1F_EUlS1E_E_NS1_11comp_targetILNS1_3genE10ELNS1_11target_archE1200ELNS1_3gpuE4ELNS1_3repE0EEENS1_30default_config_static_selectorELNS0_4arch9wavefront6targetE1EEEvT1_ ; -- Begin function _ZN7rocprim17ROCPRIM_400000_NS6detail17trampoline_kernelINS0_14default_configENS1_25partition_config_selectorILNS1_17partition_subalgoE2EiNS0_10empty_typeEbEEZZNS1_14partition_implILS5_2ELb0ES3_jN6thrust23THRUST_200600_302600_NS6detail15normal_iteratorINSA_7pointerIiNSA_11hip_rocprim3tagENSA_11use_defaultESG_EEEEPS6_NSA_18transform_iteratorI10is_orderedNSA_12zip_iteratorINSA_5tupleINSC_INSA_10device_ptrIiEEEESQ_NSA_9null_typeESR_SR_SR_SR_SR_SR_SR_EEEESG_SG_EENS0_5tupleIJPiSJ_EEENSV_IJSJ_SJ_EEES6_PlJS6_EEE10hipError_tPvRmT3_T4_T5_T6_T7_T9_mT8_P12ihipStream_tbDpT10_ENKUlT_T0_E_clISt17integral_constantIbLb1EES1I_IbLb0EEEEDaS1E_S1F_EUlS1E_E_NS1_11comp_targetILNS1_3genE10ELNS1_11target_archE1200ELNS1_3gpuE4ELNS1_3repE0EEENS1_30default_config_static_selectorELNS0_4arch9wavefront6targetE1EEEvT1_
	.globl	_ZN7rocprim17ROCPRIM_400000_NS6detail17trampoline_kernelINS0_14default_configENS1_25partition_config_selectorILNS1_17partition_subalgoE2EiNS0_10empty_typeEbEEZZNS1_14partition_implILS5_2ELb0ES3_jN6thrust23THRUST_200600_302600_NS6detail15normal_iteratorINSA_7pointerIiNSA_11hip_rocprim3tagENSA_11use_defaultESG_EEEEPS6_NSA_18transform_iteratorI10is_orderedNSA_12zip_iteratorINSA_5tupleINSC_INSA_10device_ptrIiEEEESQ_NSA_9null_typeESR_SR_SR_SR_SR_SR_SR_EEEESG_SG_EENS0_5tupleIJPiSJ_EEENSV_IJSJ_SJ_EEES6_PlJS6_EEE10hipError_tPvRmT3_T4_T5_T6_T7_T9_mT8_P12ihipStream_tbDpT10_ENKUlT_T0_E_clISt17integral_constantIbLb1EES1I_IbLb0EEEEDaS1E_S1F_EUlS1E_E_NS1_11comp_targetILNS1_3genE10ELNS1_11target_archE1200ELNS1_3gpuE4ELNS1_3repE0EEENS1_30default_config_static_selectorELNS0_4arch9wavefront6targetE1EEEvT1_
	.p2align	8
	.type	_ZN7rocprim17ROCPRIM_400000_NS6detail17trampoline_kernelINS0_14default_configENS1_25partition_config_selectorILNS1_17partition_subalgoE2EiNS0_10empty_typeEbEEZZNS1_14partition_implILS5_2ELb0ES3_jN6thrust23THRUST_200600_302600_NS6detail15normal_iteratorINSA_7pointerIiNSA_11hip_rocprim3tagENSA_11use_defaultESG_EEEEPS6_NSA_18transform_iteratorI10is_orderedNSA_12zip_iteratorINSA_5tupleINSC_INSA_10device_ptrIiEEEESQ_NSA_9null_typeESR_SR_SR_SR_SR_SR_SR_EEEESG_SG_EENS0_5tupleIJPiSJ_EEENSV_IJSJ_SJ_EEES6_PlJS6_EEE10hipError_tPvRmT3_T4_T5_T6_T7_T9_mT8_P12ihipStream_tbDpT10_ENKUlT_T0_E_clISt17integral_constantIbLb1EES1I_IbLb0EEEEDaS1E_S1F_EUlS1E_E_NS1_11comp_targetILNS1_3genE10ELNS1_11target_archE1200ELNS1_3gpuE4ELNS1_3repE0EEENS1_30default_config_static_selectorELNS0_4arch9wavefront6targetE1EEEvT1_,@function
_ZN7rocprim17ROCPRIM_400000_NS6detail17trampoline_kernelINS0_14default_configENS1_25partition_config_selectorILNS1_17partition_subalgoE2EiNS0_10empty_typeEbEEZZNS1_14partition_implILS5_2ELb0ES3_jN6thrust23THRUST_200600_302600_NS6detail15normal_iteratorINSA_7pointerIiNSA_11hip_rocprim3tagENSA_11use_defaultESG_EEEEPS6_NSA_18transform_iteratorI10is_orderedNSA_12zip_iteratorINSA_5tupleINSC_INSA_10device_ptrIiEEEESQ_NSA_9null_typeESR_SR_SR_SR_SR_SR_SR_EEEESG_SG_EENS0_5tupleIJPiSJ_EEENSV_IJSJ_SJ_EEES6_PlJS6_EEE10hipError_tPvRmT3_T4_T5_T6_T7_T9_mT8_P12ihipStream_tbDpT10_ENKUlT_T0_E_clISt17integral_constantIbLb1EES1I_IbLb0EEEEDaS1E_S1F_EUlS1E_E_NS1_11comp_targetILNS1_3genE10ELNS1_11target_archE1200ELNS1_3gpuE4ELNS1_3repE0EEENS1_30default_config_static_selectorELNS0_4arch9wavefront6targetE1EEEvT1_: ; @_ZN7rocprim17ROCPRIM_400000_NS6detail17trampoline_kernelINS0_14default_configENS1_25partition_config_selectorILNS1_17partition_subalgoE2EiNS0_10empty_typeEbEEZZNS1_14partition_implILS5_2ELb0ES3_jN6thrust23THRUST_200600_302600_NS6detail15normal_iteratorINSA_7pointerIiNSA_11hip_rocprim3tagENSA_11use_defaultESG_EEEEPS6_NSA_18transform_iteratorI10is_orderedNSA_12zip_iteratorINSA_5tupleINSC_INSA_10device_ptrIiEEEESQ_NSA_9null_typeESR_SR_SR_SR_SR_SR_SR_EEEESG_SG_EENS0_5tupleIJPiSJ_EEENSV_IJSJ_SJ_EEES6_PlJS6_EEE10hipError_tPvRmT3_T4_T5_T6_T7_T9_mT8_P12ihipStream_tbDpT10_ENKUlT_T0_E_clISt17integral_constantIbLb1EES1I_IbLb0EEEEDaS1E_S1F_EUlS1E_E_NS1_11comp_targetILNS1_3genE10ELNS1_11target_archE1200ELNS1_3gpuE4ELNS1_3repE0EEENS1_30default_config_static_selectorELNS0_4arch9wavefront6targetE1EEEvT1_
; %bb.0:
	.section	.rodata,"a",@progbits
	.p2align	6, 0x0
	.amdhsa_kernel _ZN7rocprim17ROCPRIM_400000_NS6detail17trampoline_kernelINS0_14default_configENS1_25partition_config_selectorILNS1_17partition_subalgoE2EiNS0_10empty_typeEbEEZZNS1_14partition_implILS5_2ELb0ES3_jN6thrust23THRUST_200600_302600_NS6detail15normal_iteratorINSA_7pointerIiNSA_11hip_rocprim3tagENSA_11use_defaultESG_EEEEPS6_NSA_18transform_iteratorI10is_orderedNSA_12zip_iteratorINSA_5tupleINSC_INSA_10device_ptrIiEEEESQ_NSA_9null_typeESR_SR_SR_SR_SR_SR_SR_EEEESG_SG_EENS0_5tupleIJPiSJ_EEENSV_IJSJ_SJ_EEES6_PlJS6_EEE10hipError_tPvRmT3_T4_T5_T6_T7_T9_mT8_P12ihipStream_tbDpT10_ENKUlT_T0_E_clISt17integral_constantIbLb1EES1I_IbLb0EEEEDaS1E_S1F_EUlS1E_E_NS1_11comp_targetILNS1_3genE10ELNS1_11target_archE1200ELNS1_3gpuE4ELNS1_3repE0EEENS1_30default_config_static_selectorELNS0_4arch9wavefront6targetE1EEEvT1_
		.amdhsa_group_segment_fixed_size 0
		.amdhsa_private_segment_fixed_size 0
		.amdhsa_kernarg_size 136
		.amdhsa_user_sgpr_count 6
		.amdhsa_user_sgpr_private_segment_buffer 1
		.amdhsa_user_sgpr_dispatch_ptr 0
		.amdhsa_user_sgpr_queue_ptr 0
		.amdhsa_user_sgpr_kernarg_segment_ptr 1
		.amdhsa_user_sgpr_dispatch_id 0
		.amdhsa_user_sgpr_flat_scratch_init 0
		.amdhsa_user_sgpr_kernarg_preload_length 0
		.amdhsa_user_sgpr_kernarg_preload_offset 0
		.amdhsa_user_sgpr_private_segment_size 0
		.amdhsa_uses_dynamic_stack 0
		.amdhsa_system_sgpr_private_segment_wavefront_offset 0
		.amdhsa_system_sgpr_workgroup_id_x 1
		.amdhsa_system_sgpr_workgroup_id_y 0
		.amdhsa_system_sgpr_workgroup_id_z 0
		.amdhsa_system_sgpr_workgroup_info 0
		.amdhsa_system_vgpr_workitem_id 0
		.amdhsa_next_free_vgpr 1
		.amdhsa_next_free_sgpr 0
		.amdhsa_accum_offset 4
		.amdhsa_reserve_vcc 0
		.amdhsa_reserve_flat_scratch 0
		.amdhsa_float_round_mode_32 0
		.amdhsa_float_round_mode_16_64 0
		.amdhsa_float_denorm_mode_32 3
		.amdhsa_float_denorm_mode_16_64 3
		.amdhsa_dx10_clamp 1
		.amdhsa_ieee_mode 1
		.amdhsa_fp16_overflow 0
		.amdhsa_tg_split 0
		.amdhsa_exception_fp_ieee_invalid_op 0
		.amdhsa_exception_fp_denorm_src 0
		.amdhsa_exception_fp_ieee_div_zero 0
		.amdhsa_exception_fp_ieee_overflow 0
		.amdhsa_exception_fp_ieee_underflow 0
		.amdhsa_exception_fp_ieee_inexact 0
		.amdhsa_exception_int_div_zero 0
	.end_amdhsa_kernel
	.section	.text._ZN7rocprim17ROCPRIM_400000_NS6detail17trampoline_kernelINS0_14default_configENS1_25partition_config_selectorILNS1_17partition_subalgoE2EiNS0_10empty_typeEbEEZZNS1_14partition_implILS5_2ELb0ES3_jN6thrust23THRUST_200600_302600_NS6detail15normal_iteratorINSA_7pointerIiNSA_11hip_rocprim3tagENSA_11use_defaultESG_EEEEPS6_NSA_18transform_iteratorI10is_orderedNSA_12zip_iteratorINSA_5tupleINSC_INSA_10device_ptrIiEEEESQ_NSA_9null_typeESR_SR_SR_SR_SR_SR_SR_EEEESG_SG_EENS0_5tupleIJPiSJ_EEENSV_IJSJ_SJ_EEES6_PlJS6_EEE10hipError_tPvRmT3_T4_T5_T6_T7_T9_mT8_P12ihipStream_tbDpT10_ENKUlT_T0_E_clISt17integral_constantIbLb1EES1I_IbLb0EEEEDaS1E_S1F_EUlS1E_E_NS1_11comp_targetILNS1_3genE10ELNS1_11target_archE1200ELNS1_3gpuE4ELNS1_3repE0EEENS1_30default_config_static_selectorELNS0_4arch9wavefront6targetE1EEEvT1_,"axG",@progbits,_ZN7rocprim17ROCPRIM_400000_NS6detail17trampoline_kernelINS0_14default_configENS1_25partition_config_selectorILNS1_17partition_subalgoE2EiNS0_10empty_typeEbEEZZNS1_14partition_implILS5_2ELb0ES3_jN6thrust23THRUST_200600_302600_NS6detail15normal_iteratorINSA_7pointerIiNSA_11hip_rocprim3tagENSA_11use_defaultESG_EEEEPS6_NSA_18transform_iteratorI10is_orderedNSA_12zip_iteratorINSA_5tupleINSC_INSA_10device_ptrIiEEEESQ_NSA_9null_typeESR_SR_SR_SR_SR_SR_SR_EEEESG_SG_EENS0_5tupleIJPiSJ_EEENSV_IJSJ_SJ_EEES6_PlJS6_EEE10hipError_tPvRmT3_T4_T5_T6_T7_T9_mT8_P12ihipStream_tbDpT10_ENKUlT_T0_E_clISt17integral_constantIbLb1EES1I_IbLb0EEEEDaS1E_S1F_EUlS1E_E_NS1_11comp_targetILNS1_3genE10ELNS1_11target_archE1200ELNS1_3gpuE4ELNS1_3repE0EEENS1_30default_config_static_selectorELNS0_4arch9wavefront6targetE1EEEvT1_,comdat
.Lfunc_end3615:
	.size	_ZN7rocprim17ROCPRIM_400000_NS6detail17trampoline_kernelINS0_14default_configENS1_25partition_config_selectorILNS1_17partition_subalgoE2EiNS0_10empty_typeEbEEZZNS1_14partition_implILS5_2ELb0ES3_jN6thrust23THRUST_200600_302600_NS6detail15normal_iteratorINSA_7pointerIiNSA_11hip_rocprim3tagENSA_11use_defaultESG_EEEEPS6_NSA_18transform_iteratorI10is_orderedNSA_12zip_iteratorINSA_5tupleINSC_INSA_10device_ptrIiEEEESQ_NSA_9null_typeESR_SR_SR_SR_SR_SR_SR_EEEESG_SG_EENS0_5tupleIJPiSJ_EEENSV_IJSJ_SJ_EEES6_PlJS6_EEE10hipError_tPvRmT3_T4_T5_T6_T7_T9_mT8_P12ihipStream_tbDpT10_ENKUlT_T0_E_clISt17integral_constantIbLb1EES1I_IbLb0EEEEDaS1E_S1F_EUlS1E_E_NS1_11comp_targetILNS1_3genE10ELNS1_11target_archE1200ELNS1_3gpuE4ELNS1_3repE0EEENS1_30default_config_static_selectorELNS0_4arch9wavefront6targetE1EEEvT1_, .Lfunc_end3615-_ZN7rocprim17ROCPRIM_400000_NS6detail17trampoline_kernelINS0_14default_configENS1_25partition_config_selectorILNS1_17partition_subalgoE2EiNS0_10empty_typeEbEEZZNS1_14partition_implILS5_2ELb0ES3_jN6thrust23THRUST_200600_302600_NS6detail15normal_iteratorINSA_7pointerIiNSA_11hip_rocprim3tagENSA_11use_defaultESG_EEEEPS6_NSA_18transform_iteratorI10is_orderedNSA_12zip_iteratorINSA_5tupleINSC_INSA_10device_ptrIiEEEESQ_NSA_9null_typeESR_SR_SR_SR_SR_SR_SR_EEEESG_SG_EENS0_5tupleIJPiSJ_EEENSV_IJSJ_SJ_EEES6_PlJS6_EEE10hipError_tPvRmT3_T4_T5_T6_T7_T9_mT8_P12ihipStream_tbDpT10_ENKUlT_T0_E_clISt17integral_constantIbLb1EES1I_IbLb0EEEEDaS1E_S1F_EUlS1E_E_NS1_11comp_targetILNS1_3genE10ELNS1_11target_archE1200ELNS1_3gpuE4ELNS1_3repE0EEENS1_30default_config_static_selectorELNS0_4arch9wavefront6targetE1EEEvT1_
                                        ; -- End function
	.section	.AMDGPU.csdata,"",@progbits
; Kernel info:
; codeLenInByte = 0
; NumSgprs: 4
; NumVgprs: 0
; NumAgprs: 0
; TotalNumVgprs: 0
; ScratchSize: 0
; MemoryBound: 0
; FloatMode: 240
; IeeeMode: 1
; LDSByteSize: 0 bytes/workgroup (compile time only)
; SGPRBlocks: 0
; VGPRBlocks: 0
; NumSGPRsForWavesPerEU: 4
; NumVGPRsForWavesPerEU: 1
; AccumOffset: 4
; Occupancy: 8
; WaveLimiterHint : 0
; COMPUTE_PGM_RSRC2:SCRATCH_EN: 0
; COMPUTE_PGM_RSRC2:USER_SGPR: 6
; COMPUTE_PGM_RSRC2:TRAP_HANDLER: 0
; COMPUTE_PGM_RSRC2:TGID_X_EN: 1
; COMPUTE_PGM_RSRC2:TGID_Y_EN: 0
; COMPUTE_PGM_RSRC2:TGID_Z_EN: 0
; COMPUTE_PGM_RSRC2:TIDIG_COMP_CNT: 0
; COMPUTE_PGM_RSRC3_GFX90A:ACCUM_OFFSET: 0
; COMPUTE_PGM_RSRC3_GFX90A:TG_SPLIT: 0
	.section	.text._ZN7rocprim17ROCPRIM_400000_NS6detail17trampoline_kernelINS0_14default_configENS1_25partition_config_selectorILNS1_17partition_subalgoE2EiNS0_10empty_typeEbEEZZNS1_14partition_implILS5_2ELb0ES3_jN6thrust23THRUST_200600_302600_NS6detail15normal_iteratorINSA_7pointerIiNSA_11hip_rocprim3tagENSA_11use_defaultESG_EEEEPS6_NSA_18transform_iteratorI10is_orderedNSA_12zip_iteratorINSA_5tupleINSC_INSA_10device_ptrIiEEEESQ_NSA_9null_typeESR_SR_SR_SR_SR_SR_SR_EEEESG_SG_EENS0_5tupleIJPiSJ_EEENSV_IJSJ_SJ_EEES6_PlJS6_EEE10hipError_tPvRmT3_T4_T5_T6_T7_T9_mT8_P12ihipStream_tbDpT10_ENKUlT_T0_E_clISt17integral_constantIbLb1EES1I_IbLb0EEEEDaS1E_S1F_EUlS1E_E_NS1_11comp_targetILNS1_3genE9ELNS1_11target_archE1100ELNS1_3gpuE3ELNS1_3repE0EEENS1_30default_config_static_selectorELNS0_4arch9wavefront6targetE1EEEvT1_,"axG",@progbits,_ZN7rocprim17ROCPRIM_400000_NS6detail17trampoline_kernelINS0_14default_configENS1_25partition_config_selectorILNS1_17partition_subalgoE2EiNS0_10empty_typeEbEEZZNS1_14partition_implILS5_2ELb0ES3_jN6thrust23THRUST_200600_302600_NS6detail15normal_iteratorINSA_7pointerIiNSA_11hip_rocprim3tagENSA_11use_defaultESG_EEEEPS6_NSA_18transform_iteratorI10is_orderedNSA_12zip_iteratorINSA_5tupleINSC_INSA_10device_ptrIiEEEESQ_NSA_9null_typeESR_SR_SR_SR_SR_SR_SR_EEEESG_SG_EENS0_5tupleIJPiSJ_EEENSV_IJSJ_SJ_EEES6_PlJS6_EEE10hipError_tPvRmT3_T4_T5_T6_T7_T9_mT8_P12ihipStream_tbDpT10_ENKUlT_T0_E_clISt17integral_constantIbLb1EES1I_IbLb0EEEEDaS1E_S1F_EUlS1E_E_NS1_11comp_targetILNS1_3genE9ELNS1_11target_archE1100ELNS1_3gpuE3ELNS1_3repE0EEENS1_30default_config_static_selectorELNS0_4arch9wavefront6targetE1EEEvT1_,comdat
	.protected	_ZN7rocprim17ROCPRIM_400000_NS6detail17trampoline_kernelINS0_14default_configENS1_25partition_config_selectorILNS1_17partition_subalgoE2EiNS0_10empty_typeEbEEZZNS1_14partition_implILS5_2ELb0ES3_jN6thrust23THRUST_200600_302600_NS6detail15normal_iteratorINSA_7pointerIiNSA_11hip_rocprim3tagENSA_11use_defaultESG_EEEEPS6_NSA_18transform_iteratorI10is_orderedNSA_12zip_iteratorINSA_5tupleINSC_INSA_10device_ptrIiEEEESQ_NSA_9null_typeESR_SR_SR_SR_SR_SR_SR_EEEESG_SG_EENS0_5tupleIJPiSJ_EEENSV_IJSJ_SJ_EEES6_PlJS6_EEE10hipError_tPvRmT3_T4_T5_T6_T7_T9_mT8_P12ihipStream_tbDpT10_ENKUlT_T0_E_clISt17integral_constantIbLb1EES1I_IbLb0EEEEDaS1E_S1F_EUlS1E_E_NS1_11comp_targetILNS1_3genE9ELNS1_11target_archE1100ELNS1_3gpuE3ELNS1_3repE0EEENS1_30default_config_static_selectorELNS0_4arch9wavefront6targetE1EEEvT1_ ; -- Begin function _ZN7rocprim17ROCPRIM_400000_NS6detail17trampoline_kernelINS0_14default_configENS1_25partition_config_selectorILNS1_17partition_subalgoE2EiNS0_10empty_typeEbEEZZNS1_14partition_implILS5_2ELb0ES3_jN6thrust23THRUST_200600_302600_NS6detail15normal_iteratorINSA_7pointerIiNSA_11hip_rocprim3tagENSA_11use_defaultESG_EEEEPS6_NSA_18transform_iteratorI10is_orderedNSA_12zip_iteratorINSA_5tupleINSC_INSA_10device_ptrIiEEEESQ_NSA_9null_typeESR_SR_SR_SR_SR_SR_SR_EEEESG_SG_EENS0_5tupleIJPiSJ_EEENSV_IJSJ_SJ_EEES6_PlJS6_EEE10hipError_tPvRmT3_T4_T5_T6_T7_T9_mT8_P12ihipStream_tbDpT10_ENKUlT_T0_E_clISt17integral_constantIbLb1EES1I_IbLb0EEEEDaS1E_S1F_EUlS1E_E_NS1_11comp_targetILNS1_3genE9ELNS1_11target_archE1100ELNS1_3gpuE3ELNS1_3repE0EEENS1_30default_config_static_selectorELNS0_4arch9wavefront6targetE1EEEvT1_
	.globl	_ZN7rocprim17ROCPRIM_400000_NS6detail17trampoline_kernelINS0_14default_configENS1_25partition_config_selectorILNS1_17partition_subalgoE2EiNS0_10empty_typeEbEEZZNS1_14partition_implILS5_2ELb0ES3_jN6thrust23THRUST_200600_302600_NS6detail15normal_iteratorINSA_7pointerIiNSA_11hip_rocprim3tagENSA_11use_defaultESG_EEEEPS6_NSA_18transform_iteratorI10is_orderedNSA_12zip_iteratorINSA_5tupleINSC_INSA_10device_ptrIiEEEESQ_NSA_9null_typeESR_SR_SR_SR_SR_SR_SR_EEEESG_SG_EENS0_5tupleIJPiSJ_EEENSV_IJSJ_SJ_EEES6_PlJS6_EEE10hipError_tPvRmT3_T4_T5_T6_T7_T9_mT8_P12ihipStream_tbDpT10_ENKUlT_T0_E_clISt17integral_constantIbLb1EES1I_IbLb0EEEEDaS1E_S1F_EUlS1E_E_NS1_11comp_targetILNS1_3genE9ELNS1_11target_archE1100ELNS1_3gpuE3ELNS1_3repE0EEENS1_30default_config_static_selectorELNS0_4arch9wavefront6targetE1EEEvT1_
	.p2align	8
	.type	_ZN7rocprim17ROCPRIM_400000_NS6detail17trampoline_kernelINS0_14default_configENS1_25partition_config_selectorILNS1_17partition_subalgoE2EiNS0_10empty_typeEbEEZZNS1_14partition_implILS5_2ELb0ES3_jN6thrust23THRUST_200600_302600_NS6detail15normal_iteratorINSA_7pointerIiNSA_11hip_rocprim3tagENSA_11use_defaultESG_EEEEPS6_NSA_18transform_iteratorI10is_orderedNSA_12zip_iteratorINSA_5tupleINSC_INSA_10device_ptrIiEEEESQ_NSA_9null_typeESR_SR_SR_SR_SR_SR_SR_EEEESG_SG_EENS0_5tupleIJPiSJ_EEENSV_IJSJ_SJ_EEES6_PlJS6_EEE10hipError_tPvRmT3_T4_T5_T6_T7_T9_mT8_P12ihipStream_tbDpT10_ENKUlT_T0_E_clISt17integral_constantIbLb1EES1I_IbLb0EEEEDaS1E_S1F_EUlS1E_E_NS1_11comp_targetILNS1_3genE9ELNS1_11target_archE1100ELNS1_3gpuE3ELNS1_3repE0EEENS1_30default_config_static_selectorELNS0_4arch9wavefront6targetE1EEEvT1_,@function
_ZN7rocprim17ROCPRIM_400000_NS6detail17trampoline_kernelINS0_14default_configENS1_25partition_config_selectorILNS1_17partition_subalgoE2EiNS0_10empty_typeEbEEZZNS1_14partition_implILS5_2ELb0ES3_jN6thrust23THRUST_200600_302600_NS6detail15normal_iteratorINSA_7pointerIiNSA_11hip_rocprim3tagENSA_11use_defaultESG_EEEEPS6_NSA_18transform_iteratorI10is_orderedNSA_12zip_iteratorINSA_5tupleINSC_INSA_10device_ptrIiEEEESQ_NSA_9null_typeESR_SR_SR_SR_SR_SR_SR_EEEESG_SG_EENS0_5tupleIJPiSJ_EEENSV_IJSJ_SJ_EEES6_PlJS6_EEE10hipError_tPvRmT3_T4_T5_T6_T7_T9_mT8_P12ihipStream_tbDpT10_ENKUlT_T0_E_clISt17integral_constantIbLb1EES1I_IbLb0EEEEDaS1E_S1F_EUlS1E_E_NS1_11comp_targetILNS1_3genE9ELNS1_11target_archE1100ELNS1_3gpuE3ELNS1_3repE0EEENS1_30default_config_static_selectorELNS0_4arch9wavefront6targetE1EEEvT1_: ; @_ZN7rocprim17ROCPRIM_400000_NS6detail17trampoline_kernelINS0_14default_configENS1_25partition_config_selectorILNS1_17partition_subalgoE2EiNS0_10empty_typeEbEEZZNS1_14partition_implILS5_2ELb0ES3_jN6thrust23THRUST_200600_302600_NS6detail15normal_iteratorINSA_7pointerIiNSA_11hip_rocprim3tagENSA_11use_defaultESG_EEEEPS6_NSA_18transform_iteratorI10is_orderedNSA_12zip_iteratorINSA_5tupleINSC_INSA_10device_ptrIiEEEESQ_NSA_9null_typeESR_SR_SR_SR_SR_SR_SR_EEEESG_SG_EENS0_5tupleIJPiSJ_EEENSV_IJSJ_SJ_EEES6_PlJS6_EEE10hipError_tPvRmT3_T4_T5_T6_T7_T9_mT8_P12ihipStream_tbDpT10_ENKUlT_T0_E_clISt17integral_constantIbLb1EES1I_IbLb0EEEEDaS1E_S1F_EUlS1E_E_NS1_11comp_targetILNS1_3genE9ELNS1_11target_archE1100ELNS1_3gpuE3ELNS1_3repE0EEENS1_30default_config_static_selectorELNS0_4arch9wavefront6targetE1EEEvT1_
; %bb.0:
	.section	.rodata,"a",@progbits
	.p2align	6, 0x0
	.amdhsa_kernel _ZN7rocprim17ROCPRIM_400000_NS6detail17trampoline_kernelINS0_14default_configENS1_25partition_config_selectorILNS1_17partition_subalgoE2EiNS0_10empty_typeEbEEZZNS1_14partition_implILS5_2ELb0ES3_jN6thrust23THRUST_200600_302600_NS6detail15normal_iteratorINSA_7pointerIiNSA_11hip_rocprim3tagENSA_11use_defaultESG_EEEEPS6_NSA_18transform_iteratorI10is_orderedNSA_12zip_iteratorINSA_5tupleINSC_INSA_10device_ptrIiEEEESQ_NSA_9null_typeESR_SR_SR_SR_SR_SR_SR_EEEESG_SG_EENS0_5tupleIJPiSJ_EEENSV_IJSJ_SJ_EEES6_PlJS6_EEE10hipError_tPvRmT3_T4_T5_T6_T7_T9_mT8_P12ihipStream_tbDpT10_ENKUlT_T0_E_clISt17integral_constantIbLb1EES1I_IbLb0EEEEDaS1E_S1F_EUlS1E_E_NS1_11comp_targetILNS1_3genE9ELNS1_11target_archE1100ELNS1_3gpuE3ELNS1_3repE0EEENS1_30default_config_static_selectorELNS0_4arch9wavefront6targetE1EEEvT1_
		.amdhsa_group_segment_fixed_size 0
		.amdhsa_private_segment_fixed_size 0
		.amdhsa_kernarg_size 136
		.amdhsa_user_sgpr_count 6
		.amdhsa_user_sgpr_private_segment_buffer 1
		.amdhsa_user_sgpr_dispatch_ptr 0
		.amdhsa_user_sgpr_queue_ptr 0
		.amdhsa_user_sgpr_kernarg_segment_ptr 1
		.amdhsa_user_sgpr_dispatch_id 0
		.amdhsa_user_sgpr_flat_scratch_init 0
		.amdhsa_user_sgpr_kernarg_preload_length 0
		.amdhsa_user_sgpr_kernarg_preload_offset 0
		.amdhsa_user_sgpr_private_segment_size 0
		.amdhsa_uses_dynamic_stack 0
		.amdhsa_system_sgpr_private_segment_wavefront_offset 0
		.amdhsa_system_sgpr_workgroup_id_x 1
		.amdhsa_system_sgpr_workgroup_id_y 0
		.amdhsa_system_sgpr_workgroup_id_z 0
		.amdhsa_system_sgpr_workgroup_info 0
		.amdhsa_system_vgpr_workitem_id 0
		.amdhsa_next_free_vgpr 1
		.amdhsa_next_free_sgpr 0
		.amdhsa_accum_offset 4
		.amdhsa_reserve_vcc 0
		.amdhsa_reserve_flat_scratch 0
		.amdhsa_float_round_mode_32 0
		.amdhsa_float_round_mode_16_64 0
		.amdhsa_float_denorm_mode_32 3
		.amdhsa_float_denorm_mode_16_64 3
		.amdhsa_dx10_clamp 1
		.amdhsa_ieee_mode 1
		.amdhsa_fp16_overflow 0
		.amdhsa_tg_split 0
		.amdhsa_exception_fp_ieee_invalid_op 0
		.amdhsa_exception_fp_denorm_src 0
		.amdhsa_exception_fp_ieee_div_zero 0
		.amdhsa_exception_fp_ieee_overflow 0
		.amdhsa_exception_fp_ieee_underflow 0
		.amdhsa_exception_fp_ieee_inexact 0
		.amdhsa_exception_int_div_zero 0
	.end_amdhsa_kernel
	.section	.text._ZN7rocprim17ROCPRIM_400000_NS6detail17trampoline_kernelINS0_14default_configENS1_25partition_config_selectorILNS1_17partition_subalgoE2EiNS0_10empty_typeEbEEZZNS1_14partition_implILS5_2ELb0ES3_jN6thrust23THRUST_200600_302600_NS6detail15normal_iteratorINSA_7pointerIiNSA_11hip_rocprim3tagENSA_11use_defaultESG_EEEEPS6_NSA_18transform_iteratorI10is_orderedNSA_12zip_iteratorINSA_5tupleINSC_INSA_10device_ptrIiEEEESQ_NSA_9null_typeESR_SR_SR_SR_SR_SR_SR_EEEESG_SG_EENS0_5tupleIJPiSJ_EEENSV_IJSJ_SJ_EEES6_PlJS6_EEE10hipError_tPvRmT3_T4_T5_T6_T7_T9_mT8_P12ihipStream_tbDpT10_ENKUlT_T0_E_clISt17integral_constantIbLb1EES1I_IbLb0EEEEDaS1E_S1F_EUlS1E_E_NS1_11comp_targetILNS1_3genE9ELNS1_11target_archE1100ELNS1_3gpuE3ELNS1_3repE0EEENS1_30default_config_static_selectorELNS0_4arch9wavefront6targetE1EEEvT1_,"axG",@progbits,_ZN7rocprim17ROCPRIM_400000_NS6detail17trampoline_kernelINS0_14default_configENS1_25partition_config_selectorILNS1_17partition_subalgoE2EiNS0_10empty_typeEbEEZZNS1_14partition_implILS5_2ELb0ES3_jN6thrust23THRUST_200600_302600_NS6detail15normal_iteratorINSA_7pointerIiNSA_11hip_rocprim3tagENSA_11use_defaultESG_EEEEPS6_NSA_18transform_iteratorI10is_orderedNSA_12zip_iteratorINSA_5tupleINSC_INSA_10device_ptrIiEEEESQ_NSA_9null_typeESR_SR_SR_SR_SR_SR_SR_EEEESG_SG_EENS0_5tupleIJPiSJ_EEENSV_IJSJ_SJ_EEES6_PlJS6_EEE10hipError_tPvRmT3_T4_T5_T6_T7_T9_mT8_P12ihipStream_tbDpT10_ENKUlT_T0_E_clISt17integral_constantIbLb1EES1I_IbLb0EEEEDaS1E_S1F_EUlS1E_E_NS1_11comp_targetILNS1_3genE9ELNS1_11target_archE1100ELNS1_3gpuE3ELNS1_3repE0EEENS1_30default_config_static_selectorELNS0_4arch9wavefront6targetE1EEEvT1_,comdat
.Lfunc_end3616:
	.size	_ZN7rocprim17ROCPRIM_400000_NS6detail17trampoline_kernelINS0_14default_configENS1_25partition_config_selectorILNS1_17partition_subalgoE2EiNS0_10empty_typeEbEEZZNS1_14partition_implILS5_2ELb0ES3_jN6thrust23THRUST_200600_302600_NS6detail15normal_iteratorINSA_7pointerIiNSA_11hip_rocprim3tagENSA_11use_defaultESG_EEEEPS6_NSA_18transform_iteratorI10is_orderedNSA_12zip_iteratorINSA_5tupleINSC_INSA_10device_ptrIiEEEESQ_NSA_9null_typeESR_SR_SR_SR_SR_SR_SR_EEEESG_SG_EENS0_5tupleIJPiSJ_EEENSV_IJSJ_SJ_EEES6_PlJS6_EEE10hipError_tPvRmT3_T4_T5_T6_T7_T9_mT8_P12ihipStream_tbDpT10_ENKUlT_T0_E_clISt17integral_constantIbLb1EES1I_IbLb0EEEEDaS1E_S1F_EUlS1E_E_NS1_11comp_targetILNS1_3genE9ELNS1_11target_archE1100ELNS1_3gpuE3ELNS1_3repE0EEENS1_30default_config_static_selectorELNS0_4arch9wavefront6targetE1EEEvT1_, .Lfunc_end3616-_ZN7rocprim17ROCPRIM_400000_NS6detail17trampoline_kernelINS0_14default_configENS1_25partition_config_selectorILNS1_17partition_subalgoE2EiNS0_10empty_typeEbEEZZNS1_14partition_implILS5_2ELb0ES3_jN6thrust23THRUST_200600_302600_NS6detail15normal_iteratorINSA_7pointerIiNSA_11hip_rocprim3tagENSA_11use_defaultESG_EEEEPS6_NSA_18transform_iteratorI10is_orderedNSA_12zip_iteratorINSA_5tupleINSC_INSA_10device_ptrIiEEEESQ_NSA_9null_typeESR_SR_SR_SR_SR_SR_SR_EEEESG_SG_EENS0_5tupleIJPiSJ_EEENSV_IJSJ_SJ_EEES6_PlJS6_EEE10hipError_tPvRmT3_T4_T5_T6_T7_T9_mT8_P12ihipStream_tbDpT10_ENKUlT_T0_E_clISt17integral_constantIbLb1EES1I_IbLb0EEEEDaS1E_S1F_EUlS1E_E_NS1_11comp_targetILNS1_3genE9ELNS1_11target_archE1100ELNS1_3gpuE3ELNS1_3repE0EEENS1_30default_config_static_selectorELNS0_4arch9wavefront6targetE1EEEvT1_
                                        ; -- End function
	.section	.AMDGPU.csdata,"",@progbits
; Kernel info:
; codeLenInByte = 0
; NumSgprs: 4
; NumVgprs: 0
; NumAgprs: 0
; TotalNumVgprs: 0
; ScratchSize: 0
; MemoryBound: 0
; FloatMode: 240
; IeeeMode: 1
; LDSByteSize: 0 bytes/workgroup (compile time only)
; SGPRBlocks: 0
; VGPRBlocks: 0
; NumSGPRsForWavesPerEU: 4
; NumVGPRsForWavesPerEU: 1
; AccumOffset: 4
; Occupancy: 8
; WaveLimiterHint : 0
; COMPUTE_PGM_RSRC2:SCRATCH_EN: 0
; COMPUTE_PGM_RSRC2:USER_SGPR: 6
; COMPUTE_PGM_RSRC2:TRAP_HANDLER: 0
; COMPUTE_PGM_RSRC2:TGID_X_EN: 1
; COMPUTE_PGM_RSRC2:TGID_Y_EN: 0
; COMPUTE_PGM_RSRC2:TGID_Z_EN: 0
; COMPUTE_PGM_RSRC2:TIDIG_COMP_CNT: 0
; COMPUTE_PGM_RSRC3_GFX90A:ACCUM_OFFSET: 0
; COMPUTE_PGM_RSRC3_GFX90A:TG_SPLIT: 0
	.section	.text._ZN7rocprim17ROCPRIM_400000_NS6detail17trampoline_kernelINS0_14default_configENS1_25partition_config_selectorILNS1_17partition_subalgoE2EiNS0_10empty_typeEbEEZZNS1_14partition_implILS5_2ELb0ES3_jN6thrust23THRUST_200600_302600_NS6detail15normal_iteratorINSA_7pointerIiNSA_11hip_rocprim3tagENSA_11use_defaultESG_EEEEPS6_NSA_18transform_iteratorI10is_orderedNSA_12zip_iteratorINSA_5tupleINSC_INSA_10device_ptrIiEEEESQ_NSA_9null_typeESR_SR_SR_SR_SR_SR_SR_EEEESG_SG_EENS0_5tupleIJPiSJ_EEENSV_IJSJ_SJ_EEES6_PlJS6_EEE10hipError_tPvRmT3_T4_T5_T6_T7_T9_mT8_P12ihipStream_tbDpT10_ENKUlT_T0_E_clISt17integral_constantIbLb1EES1I_IbLb0EEEEDaS1E_S1F_EUlS1E_E_NS1_11comp_targetILNS1_3genE8ELNS1_11target_archE1030ELNS1_3gpuE2ELNS1_3repE0EEENS1_30default_config_static_selectorELNS0_4arch9wavefront6targetE1EEEvT1_,"axG",@progbits,_ZN7rocprim17ROCPRIM_400000_NS6detail17trampoline_kernelINS0_14default_configENS1_25partition_config_selectorILNS1_17partition_subalgoE2EiNS0_10empty_typeEbEEZZNS1_14partition_implILS5_2ELb0ES3_jN6thrust23THRUST_200600_302600_NS6detail15normal_iteratorINSA_7pointerIiNSA_11hip_rocprim3tagENSA_11use_defaultESG_EEEEPS6_NSA_18transform_iteratorI10is_orderedNSA_12zip_iteratorINSA_5tupleINSC_INSA_10device_ptrIiEEEESQ_NSA_9null_typeESR_SR_SR_SR_SR_SR_SR_EEEESG_SG_EENS0_5tupleIJPiSJ_EEENSV_IJSJ_SJ_EEES6_PlJS6_EEE10hipError_tPvRmT3_T4_T5_T6_T7_T9_mT8_P12ihipStream_tbDpT10_ENKUlT_T0_E_clISt17integral_constantIbLb1EES1I_IbLb0EEEEDaS1E_S1F_EUlS1E_E_NS1_11comp_targetILNS1_3genE8ELNS1_11target_archE1030ELNS1_3gpuE2ELNS1_3repE0EEENS1_30default_config_static_selectorELNS0_4arch9wavefront6targetE1EEEvT1_,comdat
	.protected	_ZN7rocprim17ROCPRIM_400000_NS6detail17trampoline_kernelINS0_14default_configENS1_25partition_config_selectorILNS1_17partition_subalgoE2EiNS0_10empty_typeEbEEZZNS1_14partition_implILS5_2ELb0ES3_jN6thrust23THRUST_200600_302600_NS6detail15normal_iteratorINSA_7pointerIiNSA_11hip_rocprim3tagENSA_11use_defaultESG_EEEEPS6_NSA_18transform_iteratorI10is_orderedNSA_12zip_iteratorINSA_5tupleINSC_INSA_10device_ptrIiEEEESQ_NSA_9null_typeESR_SR_SR_SR_SR_SR_SR_EEEESG_SG_EENS0_5tupleIJPiSJ_EEENSV_IJSJ_SJ_EEES6_PlJS6_EEE10hipError_tPvRmT3_T4_T5_T6_T7_T9_mT8_P12ihipStream_tbDpT10_ENKUlT_T0_E_clISt17integral_constantIbLb1EES1I_IbLb0EEEEDaS1E_S1F_EUlS1E_E_NS1_11comp_targetILNS1_3genE8ELNS1_11target_archE1030ELNS1_3gpuE2ELNS1_3repE0EEENS1_30default_config_static_selectorELNS0_4arch9wavefront6targetE1EEEvT1_ ; -- Begin function _ZN7rocprim17ROCPRIM_400000_NS6detail17trampoline_kernelINS0_14default_configENS1_25partition_config_selectorILNS1_17partition_subalgoE2EiNS0_10empty_typeEbEEZZNS1_14partition_implILS5_2ELb0ES3_jN6thrust23THRUST_200600_302600_NS6detail15normal_iteratorINSA_7pointerIiNSA_11hip_rocprim3tagENSA_11use_defaultESG_EEEEPS6_NSA_18transform_iteratorI10is_orderedNSA_12zip_iteratorINSA_5tupleINSC_INSA_10device_ptrIiEEEESQ_NSA_9null_typeESR_SR_SR_SR_SR_SR_SR_EEEESG_SG_EENS0_5tupleIJPiSJ_EEENSV_IJSJ_SJ_EEES6_PlJS6_EEE10hipError_tPvRmT3_T4_T5_T6_T7_T9_mT8_P12ihipStream_tbDpT10_ENKUlT_T0_E_clISt17integral_constantIbLb1EES1I_IbLb0EEEEDaS1E_S1F_EUlS1E_E_NS1_11comp_targetILNS1_3genE8ELNS1_11target_archE1030ELNS1_3gpuE2ELNS1_3repE0EEENS1_30default_config_static_selectorELNS0_4arch9wavefront6targetE1EEEvT1_
	.globl	_ZN7rocprim17ROCPRIM_400000_NS6detail17trampoline_kernelINS0_14default_configENS1_25partition_config_selectorILNS1_17partition_subalgoE2EiNS0_10empty_typeEbEEZZNS1_14partition_implILS5_2ELb0ES3_jN6thrust23THRUST_200600_302600_NS6detail15normal_iteratorINSA_7pointerIiNSA_11hip_rocprim3tagENSA_11use_defaultESG_EEEEPS6_NSA_18transform_iteratorI10is_orderedNSA_12zip_iteratorINSA_5tupleINSC_INSA_10device_ptrIiEEEESQ_NSA_9null_typeESR_SR_SR_SR_SR_SR_SR_EEEESG_SG_EENS0_5tupleIJPiSJ_EEENSV_IJSJ_SJ_EEES6_PlJS6_EEE10hipError_tPvRmT3_T4_T5_T6_T7_T9_mT8_P12ihipStream_tbDpT10_ENKUlT_T0_E_clISt17integral_constantIbLb1EES1I_IbLb0EEEEDaS1E_S1F_EUlS1E_E_NS1_11comp_targetILNS1_3genE8ELNS1_11target_archE1030ELNS1_3gpuE2ELNS1_3repE0EEENS1_30default_config_static_selectorELNS0_4arch9wavefront6targetE1EEEvT1_
	.p2align	8
	.type	_ZN7rocprim17ROCPRIM_400000_NS6detail17trampoline_kernelINS0_14default_configENS1_25partition_config_selectorILNS1_17partition_subalgoE2EiNS0_10empty_typeEbEEZZNS1_14partition_implILS5_2ELb0ES3_jN6thrust23THRUST_200600_302600_NS6detail15normal_iteratorINSA_7pointerIiNSA_11hip_rocprim3tagENSA_11use_defaultESG_EEEEPS6_NSA_18transform_iteratorI10is_orderedNSA_12zip_iteratorINSA_5tupleINSC_INSA_10device_ptrIiEEEESQ_NSA_9null_typeESR_SR_SR_SR_SR_SR_SR_EEEESG_SG_EENS0_5tupleIJPiSJ_EEENSV_IJSJ_SJ_EEES6_PlJS6_EEE10hipError_tPvRmT3_T4_T5_T6_T7_T9_mT8_P12ihipStream_tbDpT10_ENKUlT_T0_E_clISt17integral_constantIbLb1EES1I_IbLb0EEEEDaS1E_S1F_EUlS1E_E_NS1_11comp_targetILNS1_3genE8ELNS1_11target_archE1030ELNS1_3gpuE2ELNS1_3repE0EEENS1_30default_config_static_selectorELNS0_4arch9wavefront6targetE1EEEvT1_,@function
_ZN7rocprim17ROCPRIM_400000_NS6detail17trampoline_kernelINS0_14default_configENS1_25partition_config_selectorILNS1_17partition_subalgoE2EiNS0_10empty_typeEbEEZZNS1_14partition_implILS5_2ELb0ES3_jN6thrust23THRUST_200600_302600_NS6detail15normal_iteratorINSA_7pointerIiNSA_11hip_rocprim3tagENSA_11use_defaultESG_EEEEPS6_NSA_18transform_iteratorI10is_orderedNSA_12zip_iteratorINSA_5tupleINSC_INSA_10device_ptrIiEEEESQ_NSA_9null_typeESR_SR_SR_SR_SR_SR_SR_EEEESG_SG_EENS0_5tupleIJPiSJ_EEENSV_IJSJ_SJ_EEES6_PlJS6_EEE10hipError_tPvRmT3_T4_T5_T6_T7_T9_mT8_P12ihipStream_tbDpT10_ENKUlT_T0_E_clISt17integral_constantIbLb1EES1I_IbLb0EEEEDaS1E_S1F_EUlS1E_E_NS1_11comp_targetILNS1_3genE8ELNS1_11target_archE1030ELNS1_3gpuE2ELNS1_3repE0EEENS1_30default_config_static_selectorELNS0_4arch9wavefront6targetE1EEEvT1_: ; @_ZN7rocprim17ROCPRIM_400000_NS6detail17trampoline_kernelINS0_14default_configENS1_25partition_config_selectorILNS1_17partition_subalgoE2EiNS0_10empty_typeEbEEZZNS1_14partition_implILS5_2ELb0ES3_jN6thrust23THRUST_200600_302600_NS6detail15normal_iteratorINSA_7pointerIiNSA_11hip_rocprim3tagENSA_11use_defaultESG_EEEEPS6_NSA_18transform_iteratorI10is_orderedNSA_12zip_iteratorINSA_5tupleINSC_INSA_10device_ptrIiEEEESQ_NSA_9null_typeESR_SR_SR_SR_SR_SR_SR_EEEESG_SG_EENS0_5tupleIJPiSJ_EEENSV_IJSJ_SJ_EEES6_PlJS6_EEE10hipError_tPvRmT3_T4_T5_T6_T7_T9_mT8_P12ihipStream_tbDpT10_ENKUlT_T0_E_clISt17integral_constantIbLb1EES1I_IbLb0EEEEDaS1E_S1F_EUlS1E_E_NS1_11comp_targetILNS1_3genE8ELNS1_11target_archE1030ELNS1_3gpuE2ELNS1_3repE0EEENS1_30default_config_static_selectorELNS0_4arch9wavefront6targetE1EEEvT1_
; %bb.0:
	.section	.rodata,"a",@progbits
	.p2align	6, 0x0
	.amdhsa_kernel _ZN7rocprim17ROCPRIM_400000_NS6detail17trampoline_kernelINS0_14default_configENS1_25partition_config_selectorILNS1_17partition_subalgoE2EiNS0_10empty_typeEbEEZZNS1_14partition_implILS5_2ELb0ES3_jN6thrust23THRUST_200600_302600_NS6detail15normal_iteratorINSA_7pointerIiNSA_11hip_rocprim3tagENSA_11use_defaultESG_EEEEPS6_NSA_18transform_iteratorI10is_orderedNSA_12zip_iteratorINSA_5tupleINSC_INSA_10device_ptrIiEEEESQ_NSA_9null_typeESR_SR_SR_SR_SR_SR_SR_EEEESG_SG_EENS0_5tupleIJPiSJ_EEENSV_IJSJ_SJ_EEES6_PlJS6_EEE10hipError_tPvRmT3_T4_T5_T6_T7_T9_mT8_P12ihipStream_tbDpT10_ENKUlT_T0_E_clISt17integral_constantIbLb1EES1I_IbLb0EEEEDaS1E_S1F_EUlS1E_E_NS1_11comp_targetILNS1_3genE8ELNS1_11target_archE1030ELNS1_3gpuE2ELNS1_3repE0EEENS1_30default_config_static_selectorELNS0_4arch9wavefront6targetE1EEEvT1_
		.amdhsa_group_segment_fixed_size 0
		.amdhsa_private_segment_fixed_size 0
		.amdhsa_kernarg_size 136
		.amdhsa_user_sgpr_count 6
		.amdhsa_user_sgpr_private_segment_buffer 1
		.amdhsa_user_sgpr_dispatch_ptr 0
		.amdhsa_user_sgpr_queue_ptr 0
		.amdhsa_user_sgpr_kernarg_segment_ptr 1
		.amdhsa_user_sgpr_dispatch_id 0
		.amdhsa_user_sgpr_flat_scratch_init 0
		.amdhsa_user_sgpr_kernarg_preload_length 0
		.amdhsa_user_sgpr_kernarg_preload_offset 0
		.amdhsa_user_sgpr_private_segment_size 0
		.amdhsa_uses_dynamic_stack 0
		.amdhsa_system_sgpr_private_segment_wavefront_offset 0
		.amdhsa_system_sgpr_workgroup_id_x 1
		.amdhsa_system_sgpr_workgroup_id_y 0
		.amdhsa_system_sgpr_workgroup_id_z 0
		.amdhsa_system_sgpr_workgroup_info 0
		.amdhsa_system_vgpr_workitem_id 0
		.amdhsa_next_free_vgpr 1
		.amdhsa_next_free_sgpr 0
		.amdhsa_accum_offset 4
		.amdhsa_reserve_vcc 0
		.amdhsa_reserve_flat_scratch 0
		.amdhsa_float_round_mode_32 0
		.amdhsa_float_round_mode_16_64 0
		.amdhsa_float_denorm_mode_32 3
		.amdhsa_float_denorm_mode_16_64 3
		.amdhsa_dx10_clamp 1
		.amdhsa_ieee_mode 1
		.amdhsa_fp16_overflow 0
		.amdhsa_tg_split 0
		.amdhsa_exception_fp_ieee_invalid_op 0
		.amdhsa_exception_fp_denorm_src 0
		.amdhsa_exception_fp_ieee_div_zero 0
		.amdhsa_exception_fp_ieee_overflow 0
		.amdhsa_exception_fp_ieee_underflow 0
		.amdhsa_exception_fp_ieee_inexact 0
		.amdhsa_exception_int_div_zero 0
	.end_amdhsa_kernel
	.section	.text._ZN7rocprim17ROCPRIM_400000_NS6detail17trampoline_kernelINS0_14default_configENS1_25partition_config_selectorILNS1_17partition_subalgoE2EiNS0_10empty_typeEbEEZZNS1_14partition_implILS5_2ELb0ES3_jN6thrust23THRUST_200600_302600_NS6detail15normal_iteratorINSA_7pointerIiNSA_11hip_rocprim3tagENSA_11use_defaultESG_EEEEPS6_NSA_18transform_iteratorI10is_orderedNSA_12zip_iteratorINSA_5tupleINSC_INSA_10device_ptrIiEEEESQ_NSA_9null_typeESR_SR_SR_SR_SR_SR_SR_EEEESG_SG_EENS0_5tupleIJPiSJ_EEENSV_IJSJ_SJ_EEES6_PlJS6_EEE10hipError_tPvRmT3_T4_T5_T6_T7_T9_mT8_P12ihipStream_tbDpT10_ENKUlT_T0_E_clISt17integral_constantIbLb1EES1I_IbLb0EEEEDaS1E_S1F_EUlS1E_E_NS1_11comp_targetILNS1_3genE8ELNS1_11target_archE1030ELNS1_3gpuE2ELNS1_3repE0EEENS1_30default_config_static_selectorELNS0_4arch9wavefront6targetE1EEEvT1_,"axG",@progbits,_ZN7rocprim17ROCPRIM_400000_NS6detail17trampoline_kernelINS0_14default_configENS1_25partition_config_selectorILNS1_17partition_subalgoE2EiNS0_10empty_typeEbEEZZNS1_14partition_implILS5_2ELb0ES3_jN6thrust23THRUST_200600_302600_NS6detail15normal_iteratorINSA_7pointerIiNSA_11hip_rocprim3tagENSA_11use_defaultESG_EEEEPS6_NSA_18transform_iteratorI10is_orderedNSA_12zip_iteratorINSA_5tupleINSC_INSA_10device_ptrIiEEEESQ_NSA_9null_typeESR_SR_SR_SR_SR_SR_SR_EEEESG_SG_EENS0_5tupleIJPiSJ_EEENSV_IJSJ_SJ_EEES6_PlJS6_EEE10hipError_tPvRmT3_T4_T5_T6_T7_T9_mT8_P12ihipStream_tbDpT10_ENKUlT_T0_E_clISt17integral_constantIbLb1EES1I_IbLb0EEEEDaS1E_S1F_EUlS1E_E_NS1_11comp_targetILNS1_3genE8ELNS1_11target_archE1030ELNS1_3gpuE2ELNS1_3repE0EEENS1_30default_config_static_selectorELNS0_4arch9wavefront6targetE1EEEvT1_,comdat
.Lfunc_end3617:
	.size	_ZN7rocprim17ROCPRIM_400000_NS6detail17trampoline_kernelINS0_14default_configENS1_25partition_config_selectorILNS1_17partition_subalgoE2EiNS0_10empty_typeEbEEZZNS1_14partition_implILS5_2ELb0ES3_jN6thrust23THRUST_200600_302600_NS6detail15normal_iteratorINSA_7pointerIiNSA_11hip_rocprim3tagENSA_11use_defaultESG_EEEEPS6_NSA_18transform_iteratorI10is_orderedNSA_12zip_iteratorINSA_5tupleINSC_INSA_10device_ptrIiEEEESQ_NSA_9null_typeESR_SR_SR_SR_SR_SR_SR_EEEESG_SG_EENS0_5tupleIJPiSJ_EEENSV_IJSJ_SJ_EEES6_PlJS6_EEE10hipError_tPvRmT3_T4_T5_T6_T7_T9_mT8_P12ihipStream_tbDpT10_ENKUlT_T0_E_clISt17integral_constantIbLb1EES1I_IbLb0EEEEDaS1E_S1F_EUlS1E_E_NS1_11comp_targetILNS1_3genE8ELNS1_11target_archE1030ELNS1_3gpuE2ELNS1_3repE0EEENS1_30default_config_static_selectorELNS0_4arch9wavefront6targetE1EEEvT1_, .Lfunc_end3617-_ZN7rocprim17ROCPRIM_400000_NS6detail17trampoline_kernelINS0_14default_configENS1_25partition_config_selectorILNS1_17partition_subalgoE2EiNS0_10empty_typeEbEEZZNS1_14partition_implILS5_2ELb0ES3_jN6thrust23THRUST_200600_302600_NS6detail15normal_iteratorINSA_7pointerIiNSA_11hip_rocprim3tagENSA_11use_defaultESG_EEEEPS6_NSA_18transform_iteratorI10is_orderedNSA_12zip_iteratorINSA_5tupleINSC_INSA_10device_ptrIiEEEESQ_NSA_9null_typeESR_SR_SR_SR_SR_SR_SR_EEEESG_SG_EENS0_5tupleIJPiSJ_EEENSV_IJSJ_SJ_EEES6_PlJS6_EEE10hipError_tPvRmT3_T4_T5_T6_T7_T9_mT8_P12ihipStream_tbDpT10_ENKUlT_T0_E_clISt17integral_constantIbLb1EES1I_IbLb0EEEEDaS1E_S1F_EUlS1E_E_NS1_11comp_targetILNS1_3genE8ELNS1_11target_archE1030ELNS1_3gpuE2ELNS1_3repE0EEENS1_30default_config_static_selectorELNS0_4arch9wavefront6targetE1EEEvT1_
                                        ; -- End function
	.section	.AMDGPU.csdata,"",@progbits
; Kernel info:
; codeLenInByte = 0
; NumSgprs: 4
; NumVgprs: 0
; NumAgprs: 0
; TotalNumVgprs: 0
; ScratchSize: 0
; MemoryBound: 0
; FloatMode: 240
; IeeeMode: 1
; LDSByteSize: 0 bytes/workgroup (compile time only)
; SGPRBlocks: 0
; VGPRBlocks: 0
; NumSGPRsForWavesPerEU: 4
; NumVGPRsForWavesPerEU: 1
; AccumOffset: 4
; Occupancy: 8
; WaveLimiterHint : 0
; COMPUTE_PGM_RSRC2:SCRATCH_EN: 0
; COMPUTE_PGM_RSRC2:USER_SGPR: 6
; COMPUTE_PGM_RSRC2:TRAP_HANDLER: 0
; COMPUTE_PGM_RSRC2:TGID_X_EN: 1
; COMPUTE_PGM_RSRC2:TGID_Y_EN: 0
; COMPUTE_PGM_RSRC2:TGID_Z_EN: 0
; COMPUTE_PGM_RSRC2:TIDIG_COMP_CNT: 0
; COMPUTE_PGM_RSRC3_GFX90A:ACCUM_OFFSET: 0
; COMPUTE_PGM_RSRC3_GFX90A:TG_SPLIT: 0
	.section	.text._ZN7rocprim17ROCPRIM_400000_NS6detail17trampoline_kernelINS0_14default_configENS1_25partition_config_selectorILNS1_17partition_subalgoE2EiNS0_10empty_typeEbEEZZNS1_14partition_implILS5_2ELb0ES3_jN6thrust23THRUST_200600_302600_NS6detail15normal_iteratorINSA_7pointerIiNSA_11hip_rocprim3tagENSA_11use_defaultESG_EEEEPS6_NSA_18transform_iteratorI10is_orderedNSA_12zip_iteratorINSA_5tupleINSC_INSA_10device_ptrIiEEEESQ_NSA_9null_typeESR_SR_SR_SR_SR_SR_SR_EEEESG_SG_EENS0_5tupleIJPiSJ_EEENSV_IJSJ_SJ_EEES6_PlJS6_EEE10hipError_tPvRmT3_T4_T5_T6_T7_T9_mT8_P12ihipStream_tbDpT10_ENKUlT_T0_E_clISt17integral_constantIbLb0EES1I_IbLb1EEEEDaS1E_S1F_EUlS1E_E_NS1_11comp_targetILNS1_3genE0ELNS1_11target_archE4294967295ELNS1_3gpuE0ELNS1_3repE0EEENS1_30default_config_static_selectorELNS0_4arch9wavefront6targetE1EEEvT1_,"axG",@progbits,_ZN7rocprim17ROCPRIM_400000_NS6detail17trampoline_kernelINS0_14default_configENS1_25partition_config_selectorILNS1_17partition_subalgoE2EiNS0_10empty_typeEbEEZZNS1_14partition_implILS5_2ELb0ES3_jN6thrust23THRUST_200600_302600_NS6detail15normal_iteratorINSA_7pointerIiNSA_11hip_rocprim3tagENSA_11use_defaultESG_EEEEPS6_NSA_18transform_iteratorI10is_orderedNSA_12zip_iteratorINSA_5tupleINSC_INSA_10device_ptrIiEEEESQ_NSA_9null_typeESR_SR_SR_SR_SR_SR_SR_EEEESG_SG_EENS0_5tupleIJPiSJ_EEENSV_IJSJ_SJ_EEES6_PlJS6_EEE10hipError_tPvRmT3_T4_T5_T6_T7_T9_mT8_P12ihipStream_tbDpT10_ENKUlT_T0_E_clISt17integral_constantIbLb0EES1I_IbLb1EEEEDaS1E_S1F_EUlS1E_E_NS1_11comp_targetILNS1_3genE0ELNS1_11target_archE4294967295ELNS1_3gpuE0ELNS1_3repE0EEENS1_30default_config_static_selectorELNS0_4arch9wavefront6targetE1EEEvT1_,comdat
	.protected	_ZN7rocprim17ROCPRIM_400000_NS6detail17trampoline_kernelINS0_14default_configENS1_25partition_config_selectorILNS1_17partition_subalgoE2EiNS0_10empty_typeEbEEZZNS1_14partition_implILS5_2ELb0ES3_jN6thrust23THRUST_200600_302600_NS6detail15normal_iteratorINSA_7pointerIiNSA_11hip_rocprim3tagENSA_11use_defaultESG_EEEEPS6_NSA_18transform_iteratorI10is_orderedNSA_12zip_iteratorINSA_5tupleINSC_INSA_10device_ptrIiEEEESQ_NSA_9null_typeESR_SR_SR_SR_SR_SR_SR_EEEESG_SG_EENS0_5tupleIJPiSJ_EEENSV_IJSJ_SJ_EEES6_PlJS6_EEE10hipError_tPvRmT3_T4_T5_T6_T7_T9_mT8_P12ihipStream_tbDpT10_ENKUlT_T0_E_clISt17integral_constantIbLb0EES1I_IbLb1EEEEDaS1E_S1F_EUlS1E_E_NS1_11comp_targetILNS1_3genE0ELNS1_11target_archE4294967295ELNS1_3gpuE0ELNS1_3repE0EEENS1_30default_config_static_selectorELNS0_4arch9wavefront6targetE1EEEvT1_ ; -- Begin function _ZN7rocprim17ROCPRIM_400000_NS6detail17trampoline_kernelINS0_14default_configENS1_25partition_config_selectorILNS1_17partition_subalgoE2EiNS0_10empty_typeEbEEZZNS1_14partition_implILS5_2ELb0ES3_jN6thrust23THRUST_200600_302600_NS6detail15normal_iteratorINSA_7pointerIiNSA_11hip_rocprim3tagENSA_11use_defaultESG_EEEEPS6_NSA_18transform_iteratorI10is_orderedNSA_12zip_iteratorINSA_5tupleINSC_INSA_10device_ptrIiEEEESQ_NSA_9null_typeESR_SR_SR_SR_SR_SR_SR_EEEESG_SG_EENS0_5tupleIJPiSJ_EEENSV_IJSJ_SJ_EEES6_PlJS6_EEE10hipError_tPvRmT3_T4_T5_T6_T7_T9_mT8_P12ihipStream_tbDpT10_ENKUlT_T0_E_clISt17integral_constantIbLb0EES1I_IbLb1EEEEDaS1E_S1F_EUlS1E_E_NS1_11comp_targetILNS1_3genE0ELNS1_11target_archE4294967295ELNS1_3gpuE0ELNS1_3repE0EEENS1_30default_config_static_selectorELNS0_4arch9wavefront6targetE1EEEvT1_
	.globl	_ZN7rocprim17ROCPRIM_400000_NS6detail17trampoline_kernelINS0_14default_configENS1_25partition_config_selectorILNS1_17partition_subalgoE2EiNS0_10empty_typeEbEEZZNS1_14partition_implILS5_2ELb0ES3_jN6thrust23THRUST_200600_302600_NS6detail15normal_iteratorINSA_7pointerIiNSA_11hip_rocprim3tagENSA_11use_defaultESG_EEEEPS6_NSA_18transform_iteratorI10is_orderedNSA_12zip_iteratorINSA_5tupleINSC_INSA_10device_ptrIiEEEESQ_NSA_9null_typeESR_SR_SR_SR_SR_SR_SR_EEEESG_SG_EENS0_5tupleIJPiSJ_EEENSV_IJSJ_SJ_EEES6_PlJS6_EEE10hipError_tPvRmT3_T4_T5_T6_T7_T9_mT8_P12ihipStream_tbDpT10_ENKUlT_T0_E_clISt17integral_constantIbLb0EES1I_IbLb1EEEEDaS1E_S1F_EUlS1E_E_NS1_11comp_targetILNS1_3genE0ELNS1_11target_archE4294967295ELNS1_3gpuE0ELNS1_3repE0EEENS1_30default_config_static_selectorELNS0_4arch9wavefront6targetE1EEEvT1_
	.p2align	8
	.type	_ZN7rocprim17ROCPRIM_400000_NS6detail17trampoline_kernelINS0_14default_configENS1_25partition_config_selectorILNS1_17partition_subalgoE2EiNS0_10empty_typeEbEEZZNS1_14partition_implILS5_2ELb0ES3_jN6thrust23THRUST_200600_302600_NS6detail15normal_iteratorINSA_7pointerIiNSA_11hip_rocprim3tagENSA_11use_defaultESG_EEEEPS6_NSA_18transform_iteratorI10is_orderedNSA_12zip_iteratorINSA_5tupleINSC_INSA_10device_ptrIiEEEESQ_NSA_9null_typeESR_SR_SR_SR_SR_SR_SR_EEEESG_SG_EENS0_5tupleIJPiSJ_EEENSV_IJSJ_SJ_EEES6_PlJS6_EEE10hipError_tPvRmT3_T4_T5_T6_T7_T9_mT8_P12ihipStream_tbDpT10_ENKUlT_T0_E_clISt17integral_constantIbLb0EES1I_IbLb1EEEEDaS1E_S1F_EUlS1E_E_NS1_11comp_targetILNS1_3genE0ELNS1_11target_archE4294967295ELNS1_3gpuE0ELNS1_3repE0EEENS1_30default_config_static_selectorELNS0_4arch9wavefront6targetE1EEEvT1_,@function
_ZN7rocprim17ROCPRIM_400000_NS6detail17trampoline_kernelINS0_14default_configENS1_25partition_config_selectorILNS1_17partition_subalgoE2EiNS0_10empty_typeEbEEZZNS1_14partition_implILS5_2ELb0ES3_jN6thrust23THRUST_200600_302600_NS6detail15normal_iteratorINSA_7pointerIiNSA_11hip_rocprim3tagENSA_11use_defaultESG_EEEEPS6_NSA_18transform_iteratorI10is_orderedNSA_12zip_iteratorINSA_5tupleINSC_INSA_10device_ptrIiEEEESQ_NSA_9null_typeESR_SR_SR_SR_SR_SR_SR_EEEESG_SG_EENS0_5tupleIJPiSJ_EEENSV_IJSJ_SJ_EEES6_PlJS6_EEE10hipError_tPvRmT3_T4_T5_T6_T7_T9_mT8_P12ihipStream_tbDpT10_ENKUlT_T0_E_clISt17integral_constantIbLb0EES1I_IbLb1EEEEDaS1E_S1F_EUlS1E_E_NS1_11comp_targetILNS1_3genE0ELNS1_11target_archE4294967295ELNS1_3gpuE0ELNS1_3repE0EEENS1_30default_config_static_selectorELNS0_4arch9wavefront6targetE1EEEvT1_: ; @_ZN7rocprim17ROCPRIM_400000_NS6detail17trampoline_kernelINS0_14default_configENS1_25partition_config_selectorILNS1_17partition_subalgoE2EiNS0_10empty_typeEbEEZZNS1_14partition_implILS5_2ELb0ES3_jN6thrust23THRUST_200600_302600_NS6detail15normal_iteratorINSA_7pointerIiNSA_11hip_rocprim3tagENSA_11use_defaultESG_EEEEPS6_NSA_18transform_iteratorI10is_orderedNSA_12zip_iteratorINSA_5tupleINSC_INSA_10device_ptrIiEEEESQ_NSA_9null_typeESR_SR_SR_SR_SR_SR_SR_EEEESG_SG_EENS0_5tupleIJPiSJ_EEENSV_IJSJ_SJ_EEES6_PlJS6_EEE10hipError_tPvRmT3_T4_T5_T6_T7_T9_mT8_P12ihipStream_tbDpT10_ENKUlT_T0_E_clISt17integral_constantIbLb0EES1I_IbLb1EEEEDaS1E_S1F_EUlS1E_E_NS1_11comp_targetILNS1_3genE0ELNS1_11target_archE4294967295ELNS1_3gpuE0ELNS1_3repE0EEENS1_30default_config_static_selectorELNS0_4arch9wavefront6targetE1EEEvT1_
; %bb.0:
	.section	.rodata,"a",@progbits
	.p2align	6, 0x0
	.amdhsa_kernel _ZN7rocprim17ROCPRIM_400000_NS6detail17trampoline_kernelINS0_14default_configENS1_25partition_config_selectorILNS1_17partition_subalgoE2EiNS0_10empty_typeEbEEZZNS1_14partition_implILS5_2ELb0ES3_jN6thrust23THRUST_200600_302600_NS6detail15normal_iteratorINSA_7pointerIiNSA_11hip_rocprim3tagENSA_11use_defaultESG_EEEEPS6_NSA_18transform_iteratorI10is_orderedNSA_12zip_iteratorINSA_5tupleINSC_INSA_10device_ptrIiEEEESQ_NSA_9null_typeESR_SR_SR_SR_SR_SR_SR_EEEESG_SG_EENS0_5tupleIJPiSJ_EEENSV_IJSJ_SJ_EEES6_PlJS6_EEE10hipError_tPvRmT3_T4_T5_T6_T7_T9_mT8_P12ihipStream_tbDpT10_ENKUlT_T0_E_clISt17integral_constantIbLb0EES1I_IbLb1EEEEDaS1E_S1F_EUlS1E_E_NS1_11comp_targetILNS1_3genE0ELNS1_11target_archE4294967295ELNS1_3gpuE0ELNS1_3repE0EEENS1_30default_config_static_selectorELNS0_4arch9wavefront6targetE1EEEvT1_
		.amdhsa_group_segment_fixed_size 0
		.amdhsa_private_segment_fixed_size 0
		.amdhsa_kernarg_size 152
		.amdhsa_user_sgpr_count 6
		.amdhsa_user_sgpr_private_segment_buffer 1
		.amdhsa_user_sgpr_dispatch_ptr 0
		.amdhsa_user_sgpr_queue_ptr 0
		.amdhsa_user_sgpr_kernarg_segment_ptr 1
		.amdhsa_user_sgpr_dispatch_id 0
		.amdhsa_user_sgpr_flat_scratch_init 0
		.amdhsa_user_sgpr_kernarg_preload_length 0
		.amdhsa_user_sgpr_kernarg_preload_offset 0
		.amdhsa_user_sgpr_private_segment_size 0
		.amdhsa_uses_dynamic_stack 0
		.amdhsa_system_sgpr_private_segment_wavefront_offset 0
		.amdhsa_system_sgpr_workgroup_id_x 1
		.amdhsa_system_sgpr_workgroup_id_y 0
		.amdhsa_system_sgpr_workgroup_id_z 0
		.amdhsa_system_sgpr_workgroup_info 0
		.amdhsa_system_vgpr_workitem_id 0
		.amdhsa_next_free_vgpr 1
		.amdhsa_next_free_sgpr 0
		.amdhsa_accum_offset 4
		.amdhsa_reserve_vcc 0
		.amdhsa_reserve_flat_scratch 0
		.amdhsa_float_round_mode_32 0
		.amdhsa_float_round_mode_16_64 0
		.amdhsa_float_denorm_mode_32 3
		.amdhsa_float_denorm_mode_16_64 3
		.amdhsa_dx10_clamp 1
		.amdhsa_ieee_mode 1
		.amdhsa_fp16_overflow 0
		.amdhsa_tg_split 0
		.amdhsa_exception_fp_ieee_invalid_op 0
		.amdhsa_exception_fp_denorm_src 0
		.amdhsa_exception_fp_ieee_div_zero 0
		.amdhsa_exception_fp_ieee_overflow 0
		.amdhsa_exception_fp_ieee_underflow 0
		.amdhsa_exception_fp_ieee_inexact 0
		.amdhsa_exception_int_div_zero 0
	.end_amdhsa_kernel
	.section	.text._ZN7rocprim17ROCPRIM_400000_NS6detail17trampoline_kernelINS0_14default_configENS1_25partition_config_selectorILNS1_17partition_subalgoE2EiNS0_10empty_typeEbEEZZNS1_14partition_implILS5_2ELb0ES3_jN6thrust23THRUST_200600_302600_NS6detail15normal_iteratorINSA_7pointerIiNSA_11hip_rocprim3tagENSA_11use_defaultESG_EEEEPS6_NSA_18transform_iteratorI10is_orderedNSA_12zip_iteratorINSA_5tupleINSC_INSA_10device_ptrIiEEEESQ_NSA_9null_typeESR_SR_SR_SR_SR_SR_SR_EEEESG_SG_EENS0_5tupleIJPiSJ_EEENSV_IJSJ_SJ_EEES6_PlJS6_EEE10hipError_tPvRmT3_T4_T5_T6_T7_T9_mT8_P12ihipStream_tbDpT10_ENKUlT_T0_E_clISt17integral_constantIbLb0EES1I_IbLb1EEEEDaS1E_S1F_EUlS1E_E_NS1_11comp_targetILNS1_3genE0ELNS1_11target_archE4294967295ELNS1_3gpuE0ELNS1_3repE0EEENS1_30default_config_static_selectorELNS0_4arch9wavefront6targetE1EEEvT1_,"axG",@progbits,_ZN7rocprim17ROCPRIM_400000_NS6detail17trampoline_kernelINS0_14default_configENS1_25partition_config_selectorILNS1_17partition_subalgoE2EiNS0_10empty_typeEbEEZZNS1_14partition_implILS5_2ELb0ES3_jN6thrust23THRUST_200600_302600_NS6detail15normal_iteratorINSA_7pointerIiNSA_11hip_rocprim3tagENSA_11use_defaultESG_EEEEPS6_NSA_18transform_iteratorI10is_orderedNSA_12zip_iteratorINSA_5tupleINSC_INSA_10device_ptrIiEEEESQ_NSA_9null_typeESR_SR_SR_SR_SR_SR_SR_EEEESG_SG_EENS0_5tupleIJPiSJ_EEENSV_IJSJ_SJ_EEES6_PlJS6_EEE10hipError_tPvRmT3_T4_T5_T6_T7_T9_mT8_P12ihipStream_tbDpT10_ENKUlT_T0_E_clISt17integral_constantIbLb0EES1I_IbLb1EEEEDaS1E_S1F_EUlS1E_E_NS1_11comp_targetILNS1_3genE0ELNS1_11target_archE4294967295ELNS1_3gpuE0ELNS1_3repE0EEENS1_30default_config_static_selectorELNS0_4arch9wavefront6targetE1EEEvT1_,comdat
.Lfunc_end3618:
	.size	_ZN7rocprim17ROCPRIM_400000_NS6detail17trampoline_kernelINS0_14default_configENS1_25partition_config_selectorILNS1_17partition_subalgoE2EiNS0_10empty_typeEbEEZZNS1_14partition_implILS5_2ELb0ES3_jN6thrust23THRUST_200600_302600_NS6detail15normal_iteratorINSA_7pointerIiNSA_11hip_rocprim3tagENSA_11use_defaultESG_EEEEPS6_NSA_18transform_iteratorI10is_orderedNSA_12zip_iteratorINSA_5tupleINSC_INSA_10device_ptrIiEEEESQ_NSA_9null_typeESR_SR_SR_SR_SR_SR_SR_EEEESG_SG_EENS0_5tupleIJPiSJ_EEENSV_IJSJ_SJ_EEES6_PlJS6_EEE10hipError_tPvRmT3_T4_T5_T6_T7_T9_mT8_P12ihipStream_tbDpT10_ENKUlT_T0_E_clISt17integral_constantIbLb0EES1I_IbLb1EEEEDaS1E_S1F_EUlS1E_E_NS1_11comp_targetILNS1_3genE0ELNS1_11target_archE4294967295ELNS1_3gpuE0ELNS1_3repE0EEENS1_30default_config_static_selectorELNS0_4arch9wavefront6targetE1EEEvT1_, .Lfunc_end3618-_ZN7rocprim17ROCPRIM_400000_NS6detail17trampoline_kernelINS0_14default_configENS1_25partition_config_selectorILNS1_17partition_subalgoE2EiNS0_10empty_typeEbEEZZNS1_14partition_implILS5_2ELb0ES3_jN6thrust23THRUST_200600_302600_NS6detail15normal_iteratorINSA_7pointerIiNSA_11hip_rocprim3tagENSA_11use_defaultESG_EEEEPS6_NSA_18transform_iteratorI10is_orderedNSA_12zip_iteratorINSA_5tupleINSC_INSA_10device_ptrIiEEEESQ_NSA_9null_typeESR_SR_SR_SR_SR_SR_SR_EEEESG_SG_EENS0_5tupleIJPiSJ_EEENSV_IJSJ_SJ_EEES6_PlJS6_EEE10hipError_tPvRmT3_T4_T5_T6_T7_T9_mT8_P12ihipStream_tbDpT10_ENKUlT_T0_E_clISt17integral_constantIbLb0EES1I_IbLb1EEEEDaS1E_S1F_EUlS1E_E_NS1_11comp_targetILNS1_3genE0ELNS1_11target_archE4294967295ELNS1_3gpuE0ELNS1_3repE0EEENS1_30default_config_static_selectorELNS0_4arch9wavefront6targetE1EEEvT1_
                                        ; -- End function
	.section	.AMDGPU.csdata,"",@progbits
; Kernel info:
; codeLenInByte = 0
; NumSgprs: 4
; NumVgprs: 0
; NumAgprs: 0
; TotalNumVgprs: 0
; ScratchSize: 0
; MemoryBound: 0
; FloatMode: 240
; IeeeMode: 1
; LDSByteSize: 0 bytes/workgroup (compile time only)
; SGPRBlocks: 0
; VGPRBlocks: 0
; NumSGPRsForWavesPerEU: 4
; NumVGPRsForWavesPerEU: 1
; AccumOffset: 4
; Occupancy: 8
; WaveLimiterHint : 0
; COMPUTE_PGM_RSRC2:SCRATCH_EN: 0
; COMPUTE_PGM_RSRC2:USER_SGPR: 6
; COMPUTE_PGM_RSRC2:TRAP_HANDLER: 0
; COMPUTE_PGM_RSRC2:TGID_X_EN: 1
; COMPUTE_PGM_RSRC2:TGID_Y_EN: 0
; COMPUTE_PGM_RSRC2:TGID_Z_EN: 0
; COMPUTE_PGM_RSRC2:TIDIG_COMP_CNT: 0
; COMPUTE_PGM_RSRC3_GFX90A:ACCUM_OFFSET: 0
; COMPUTE_PGM_RSRC3_GFX90A:TG_SPLIT: 0
	.section	.text._ZN7rocprim17ROCPRIM_400000_NS6detail17trampoline_kernelINS0_14default_configENS1_25partition_config_selectorILNS1_17partition_subalgoE2EiNS0_10empty_typeEbEEZZNS1_14partition_implILS5_2ELb0ES3_jN6thrust23THRUST_200600_302600_NS6detail15normal_iteratorINSA_7pointerIiNSA_11hip_rocprim3tagENSA_11use_defaultESG_EEEEPS6_NSA_18transform_iteratorI10is_orderedNSA_12zip_iteratorINSA_5tupleINSC_INSA_10device_ptrIiEEEESQ_NSA_9null_typeESR_SR_SR_SR_SR_SR_SR_EEEESG_SG_EENS0_5tupleIJPiSJ_EEENSV_IJSJ_SJ_EEES6_PlJS6_EEE10hipError_tPvRmT3_T4_T5_T6_T7_T9_mT8_P12ihipStream_tbDpT10_ENKUlT_T0_E_clISt17integral_constantIbLb0EES1I_IbLb1EEEEDaS1E_S1F_EUlS1E_E_NS1_11comp_targetILNS1_3genE5ELNS1_11target_archE942ELNS1_3gpuE9ELNS1_3repE0EEENS1_30default_config_static_selectorELNS0_4arch9wavefront6targetE1EEEvT1_,"axG",@progbits,_ZN7rocprim17ROCPRIM_400000_NS6detail17trampoline_kernelINS0_14default_configENS1_25partition_config_selectorILNS1_17partition_subalgoE2EiNS0_10empty_typeEbEEZZNS1_14partition_implILS5_2ELb0ES3_jN6thrust23THRUST_200600_302600_NS6detail15normal_iteratorINSA_7pointerIiNSA_11hip_rocprim3tagENSA_11use_defaultESG_EEEEPS6_NSA_18transform_iteratorI10is_orderedNSA_12zip_iteratorINSA_5tupleINSC_INSA_10device_ptrIiEEEESQ_NSA_9null_typeESR_SR_SR_SR_SR_SR_SR_EEEESG_SG_EENS0_5tupleIJPiSJ_EEENSV_IJSJ_SJ_EEES6_PlJS6_EEE10hipError_tPvRmT3_T4_T5_T6_T7_T9_mT8_P12ihipStream_tbDpT10_ENKUlT_T0_E_clISt17integral_constantIbLb0EES1I_IbLb1EEEEDaS1E_S1F_EUlS1E_E_NS1_11comp_targetILNS1_3genE5ELNS1_11target_archE942ELNS1_3gpuE9ELNS1_3repE0EEENS1_30default_config_static_selectorELNS0_4arch9wavefront6targetE1EEEvT1_,comdat
	.protected	_ZN7rocprim17ROCPRIM_400000_NS6detail17trampoline_kernelINS0_14default_configENS1_25partition_config_selectorILNS1_17partition_subalgoE2EiNS0_10empty_typeEbEEZZNS1_14partition_implILS5_2ELb0ES3_jN6thrust23THRUST_200600_302600_NS6detail15normal_iteratorINSA_7pointerIiNSA_11hip_rocprim3tagENSA_11use_defaultESG_EEEEPS6_NSA_18transform_iteratorI10is_orderedNSA_12zip_iteratorINSA_5tupleINSC_INSA_10device_ptrIiEEEESQ_NSA_9null_typeESR_SR_SR_SR_SR_SR_SR_EEEESG_SG_EENS0_5tupleIJPiSJ_EEENSV_IJSJ_SJ_EEES6_PlJS6_EEE10hipError_tPvRmT3_T4_T5_T6_T7_T9_mT8_P12ihipStream_tbDpT10_ENKUlT_T0_E_clISt17integral_constantIbLb0EES1I_IbLb1EEEEDaS1E_S1F_EUlS1E_E_NS1_11comp_targetILNS1_3genE5ELNS1_11target_archE942ELNS1_3gpuE9ELNS1_3repE0EEENS1_30default_config_static_selectorELNS0_4arch9wavefront6targetE1EEEvT1_ ; -- Begin function _ZN7rocprim17ROCPRIM_400000_NS6detail17trampoline_kernelINS0_14default_configENS1_25partition_config_selectorILNS1_17partition_subalgoE2EiNS0_10empty_typeEbEEZZNS1_14partition_implILS5_2ELb0ES3_jN6thrust23THRUST_200600_302600_NS6detail15normal_iteratorINSA_7pointerIiNSA_11hip_rocprim3tagENSA_11use_defaultESG_EEEEPS6_NSA_18transform_iteratorI10is_orderedNSA_12zip_iteratorINSA_5tupleINSC_INSA_10device_ptrIiEEEESQ_NSA_9null_typeESR_SR_SR_SR_SR_SR_SR_EEEESG_SG_EENS0_5tupleIJPiSJ_EEENSV_IJSJ_SJ_EEES6_PlJS6_EEE10hipError_tPvRmT3_T4_T5_T6_T7_T9_mT8_P12ihipStream_tbDpT10_ENKUlT_T0_E_clISt17integral_constantIbLb0EES1I_IbLb1EEEEDaS1E_S1F_EUlS1E_E_NS1_11comp_targetILNS1_3genE5ELNS1_11target_archE942ELNS1_3gpuE9ELNS1_3repE0EEENS1_30default_config_static_selectorELNS0_4arch9wavefront6targetE1EEEvT1_
	.globl	_ZN7rocprim17ROCPRIM_400000_NS6detail17trampoline_kernelINS0_14default_configENS1_25partition_config_selectorILNS1_17partition_subalgoE2EiNS0_10empty_typeEbEEZZNS1_14partition_implILS5_2ELb0ES3_jN6thrust23THRUST_200600_302600_NS6detail15normal_iteratorINSA_7pointerIiNSA_11hip_rocprim3tagENSA_11use_defaultESG_EEEEPS6_NSA_18transform_iteratorI10is_orderedNSA_12zip_iteratorINSA_5tupleINSC_INSA_10device_ptrIiEEEESQ_NSA_9null_typeESR_SR_SR_SR_SR_SR_SR_EEEESG_SG_EENS0_5tupleIJPiSJ_EEENSV_IJSJ_SJ_EEES6_PlJS6_EEE10hipError_tPvRmT3_T4_T5_T6_T7_T9_mT8_P12ihipStream_tbDpT10_ENKUlT_T0_E_clISt17integral_constantIbLb0EES1I_IbLb1EEEEDaS1E_S1F_EUlS1E_E_NS1_11comp_targetILNS1_3genE5ELNS1_11target_archE942ELNS1_3gpuE9ELNS1_3repE0EEENS1_30default_config_static_selectorELNS0_4arch9wavefront6targetE1EEEvT1_
	.p2align	8
	.type	_ZN7rocprim17ROCPRIM_400000_NS6detail17trampoline_kernelINS0_14default_configENS1_25partition_config_selectorILNS1_17partition_subalgoE2EiNS0_10empty_typeEbEEZZNS1_14partition_implILS5_2ELb0ES3_jN6thrust23THRUST_200600_302600_NS6detail15normal_iteratorINSA_7pointerIiNSA_11hip_rocprim3tagENSA_11use_defaultESG_EEEEPS6_NSA_18transform_iteratorI10is_orderedNSA_12zip_iteratorINSA_5tupleINSC_INSA_10device_ptrIiEEEESQ_NSA_9null_typeESR_SR_SR_SR_SR_SR_SR_EEEESG_SG_EENS0_5tupleIJPiSJ_EEENSV_IJSJ_SJ_EEES6_PlJS6_EEE10hipError_tPvRmT3_T4_T5_T6_T7_T9_mT8_P12ihipStream_tbDpT10_ENKUlT_T0_E_clISt17integral_constantIbLb0EES1I_IbLb1EEEEDaS1E_S1F_EUlS1E_E_NS1_11comp_targetILNS1_3genE5ELNS1_11target_archE942ELNS1_3gpuE9ELNS1_3repE0EEENS1_30default_config_static_selectorELNS0_4arch9wavefront6targetE1EEEvT1_,@function
_ZN7rocprim17ROCPRIM_400000_NS6detail17trampoline_kernelINS0_14default_configENS1_25partition_config_selectorILNS1_17partition_subalgoE2EiNS0_10empty_typeEbEEZZNS1_14partition_implILS5_2ELb0ES3_jN6thrust23THRUST_200600_302600_NS6detail15normal_iteratorINSA_7pointerIiNSA_11hip_rocprim3tagENSA_11use_defaultESG_EEEEPS6_NSA_18transform_iteratorI10is_orderedNSA_12zip_iteratorINSA_5tupleINSC_INSA_10device_ptrIiEEEESQ_NSA_9null_typeESR_SR_SR_SR_SR_SR_SR_EEEESG_SG_EENS0_5tupleIJPiSJ_EEENSV_IJSJ_SJ_EEES6_PlJS6_EEE10hipError_tPvRmT3_T4_T5_T6_T7_T9_mT8_P12ihipStream_tbDpT10_ENKUlT_T0_E_clISt17integral_constantIbLb0EES1I_IbLb1EEEEDaS1E_S1F_EUlS1E_E_NS1_11comp_targetILNS1_3genE5ELNS1_11target_archE942ELNS1_3gpuE9ELNS1_3repE0EEENS1_30default_config_static_selectorELNS0_4arch9wavefront6targetE1EEEvT1_: ; @_ZN7rocprim17ROCPRIM_400000_NS6detail17trampoline_kernelINS0_14default_configENS1_25partition_config_selectorILNS1_17partition_subalgoE2EiNS0_10empty_typeEbEEZZNS1_14partition_implILS5_2ELb0ES3_jN6thrust23THRUST_200600_302600_NS6detail15normal_iteratorINSA_7pointerIiNSA_11hip_rocprim3tagENSA_11use_defaultESG_EEEEPS6_NSA_18transform_iteratorI10is_orderedNSA_12zip_iteratorINSA_5tupleINSC_INSA_10device_ptrIiEEEESQ_NSA_9null_typeESR_SR_SR_SR_SR_SR_SR_EEEESG_SG_EENS0_5tupleIJPiSJ_EEENSV_IJSJ_SJ_EEES6_PlJS6_EEE10hipError_tPvRmT3_T4_T5_T6_T7_T9_mT8_P12ihipStream_tbDpT10_ENKUlT_T0_E_clISt17integral_constantIbLb0EES1I_IbLb1EEEEDaS1E_S1F_EUlS1E_E_NS1_11comp_targetILNS1_3genE5ELNS1_11target_archE942ELNS1_3gpuE9ELNS1_3repE0EEENS1_30default_config_static_selectorELNS0_4arch9wavefront6targetE1EEEvT1_
; %bb.0:
	.section	.rodata,"a",@progbits
	.p2align	6, 0x0
	.amdhsa_kernel _ZN7rocprim17ROCPRIM_400000_NS6detail17trampoline_kernelINS0_14default_configENS1_25partition_config_selectorILNS1_17partition_subalgoE2EiNS0_10empty_typeEbEEZZNS1_14partition_implILS5_2ELb0ES3_jN6thrust23THRUST_200600_302600_NS6detail15normal_iteratorINSA_7pointerIiNSA_11hip_rocprim3tagENSA_11use_defaultESG_EEEEPS6_NSA_18transform_iteratorI10is_orderedNSA_12zip_iteratorINSA_5tupleINSC_INSA_10device_ptrIiEEEESQ_NSA_9null_typeESR_SR_SR_SR_SR_SR_SR_EEEESG_SG_EENS0_5tupleIJPiSJ_EEENSV_IJSJ_SJ_EEES6_PlJS6_EEE10hipError_tPvRmT3_T4_T5_T6_T7_T9_mT8_P12ihipStream_tbDpT10_ENKUlT_T0_E_clISt17integral_constantIbLb0EES1I_IbLb1EEEEDaS1E_S1F_EUlS1E_E_NS1_11comp_targetILNS1_3genE5ELNS1_11target_archE942ELNS1_3gpuE9ELNS1_3repE0EEENS1_30default_config_static_selectorELNS0_4arch9wavefront6targetE1EEEvT1_
		.amdhsa_group_segment_fixed_size 0
		.amdhsa_private_segment_fixed_size 0
		.amdhsa_kernarg_size 152
		.amdhsa_user_sgpr_count 6
		.amdhsa_user_sgpr_private_segment_buffer 1
		.amdhsa_user_sgpr_dispatch_ptr 0
		.amdhsa_user_sgpr_queue_ptr 0
		.amdhsa_user_sgpr_kernarg_segment_ptr 1
		.amdhsa_user_sgpr_dispatch_id 0
		.amdhsa_user_sgpr_flat_scratch_init 0
		.amdhsa_user_sgpr_kernarg_preload_length 0
		.amdhsa_user_sgpr_kernarg_preload_offset 0
		.amdhsa_user_sgpr_private_segment_size 0
		.amdhsa_uses_dynamic_stack 0
		.amdhsa_system_sgpr_private_segment_wavefront_offset 0
		.amdhsa_system_sgpr_workgroup_id_x 1
		.amdhsa_system_sgpr_workgroup_id_y 0
		.amdhsa_system_sgpr_workgroup_id_z 0
		.amdhsa_system_sgpr_workgroup_info 0
		.amdhsa_system_vgpr_workitem_id 0
		.amdhsa_next_free_vgpr 1
		.amdhsa_next_free_sgpr 0
		.amdhsa_accum_offset 4
		.amdhsa_reserve_vcc 0
		.amdhsa_reserve_flat_scratch 0
		.amdhsa_float_round_mode_32 0
		.amdhsa_float_round_mode_16_64 0
		.amdhsa_float_denorm_mode_32 3
		.amdhsa_float_denorm_mode_16_64 3
		.amdhsa_dx10_clamp 1
		.amdhsa_ieee_mode 1
		.amdhsa_fp16_overflow 0
		.amdhsa_tg_split 0
		.amdhsa_exception_fp_ieee_invalid_op 0
		.amdhsa_exception_fp_denorm_src 0
		.amdhsa_exception_fp_ieee_div_zero 0
		.amdhsa_exception_fp_ieee_overflow 0
		.amdhsa_exception_fp_ieee_underflow 0
		.amdhsa_exception_fp_ieee_inexact 0
		.amdhsa_exception_int_div_zero 0
	.end_amdhsa_kernel
	.section	.text._ZN7rocprim17ROCPRIM_400000_NS6detail17trampoline_kernelINS0_14default_configENS1_25partition_config_selectorILNS1_17partition_subalgoE2EiNS0_10empty_typeEbEEZZNS1_14partition_implILS5_2ELb0ES3_jN6thrust23THRUST_200600_302600_NS6detail15normal_iteratorINSA_7pointerIiNSA_11hip_rocprim3tagENSA_11use_defaultESG_EEEEPS6_NSA_18transform_iteratorI10is_orderedNSA_12zip_iteratorINSA_5tupleINSC_INSA_10device_ptrIiEEEESQ_NSA_9null_typeESR_SR_SR_SR_SR_SR_SR_EEEESG_SG_EENS0_5tupleIJPiSJ_EEENSV_IJSJ_SJ_EEES6_PlJS6_EEE10hipError_tPvRmT3_T4_T5_T6_T7_T9_mT8_P12ihipStream_tbDpT10_ENKUlT_T0_E_clISt17integral_constantIbLb0EES1I_IbLb1EEEEDaS1E_S1F_EUlS1E_E_NS1_11comp_targetILNS1_3genE5ELNS1_11target_archE942ELNS1_3gpuE9ELNS1_3repE0EEENS1_30default_config_static_selectorELNS0_4arch9wavefront6targetE1EEEvT1_,"axG",@progbits,_ZN7rocprim17ROCPRIM_400000_NS6detail17trampoline_kernelINS0_14default_configENS1_25partition_config_selectorILNS1_17partition_subalgoE2EiNS0_10empty_typeEbEEZZNS1_14partition_implILS5_2ELb0ES3_jN6thrust23THRUST_200600_302600_NS6detail15normal_iteratorINSA_7pointerIiNSA_11hip_rocprim3tagENSA_11use_defaultESG_EEEEPS6_NSA_18transform_iteratorI10is_orderedNSA_12zip_iteratorINSA_5tupleINSC_INSA_10device_ptrIiEEEESQ_NSA_9null_typeESR_SR_SR_SR_SR_SR_SR_EEEESG_SG_EENS0_5tupleIJPiSJ_EEENSV_IJSJ_SJ_EEES6_PlJS6_EEE10hipError_tPvRmT3_T4_T5_T6_T7_T9_mT8_P12ihipStream_tbDpT10_ENKUlT_T0_E_clISt17integral_constantIbLb0EES1I_IbLb1EEEEDaS1E_S1F_EUlS1E_E_NS1_11comp_targetILNS1_3genE5ELNS1_11target_archE942ELNS1_3gpuE9ELNS1_3repE0EEENS1_30default_config_static_selectorELNS0_4arch9wavefront6targetE1EEEvT1_,comdat
.Lfunc_end3619:
	.size	_ZN7rocprim17ROCPRIM_400000_NS6detail17trampoline_kernelINS0_14default_configENS1_25partition_config_selectorILNS1_17partition_subalgoE2EiNS0_10empty_typeEbEEZZNS1_14partition_implILS5_2ELb0ES3_jN6thrust23THRUST_200600_302600_NS6detail15normal_iteratorINSA_7pointerIiNSA_11hip_rocprim3tagENSA_11use_defaultESG_EEEEPS6_NSA_18transform_iteratorI10is_orderedNSA_12zip_iteratorINSA_5tupleINSC_INSA_10device_ptrIiEEEESQ_NSA_9null_typeESR_SR_SR_SR_SR_SR_SR_EEEESG_SG_EENS0_5tupleIJPiSJ_EEENSV_IJSJ_SJ_EEES6_PlJS6_EEE10hipError_tPvRmT3_T4_T5_T6_T7_T9_mT8_P12ihipStream_tbDpT10_ENKUlT_T0_E_clISt17integral_constantIbLb0EES1I_IbLb1EEEEDaS1E_S1F_EUlS1E_E_NS1_11comp_targetILNS1_3genE5ELNS1_11target_archE942ELNS1_3gpuE9ELNS1_3repE0EEENS1_30default_config_static_selectorELNS0_4arch9wavefront6targetE1EEEvT1_, .Lfunc_end3619-_ZN7rocprim17ROCPRIM_400000_NS6detail17trampoline_kernelINS0_14default_configENS1_25partition_config_selectorILNS1_17partition_subalgoE2EiNS0_10empty_typeEbEEZZNS1_14partition_implILS5_2ELb0ES3_jN6thrust23THRUST_200600_302600_NS6detail15normal_iteratorINSA_7pointerIiNSA_11hip_rocprim3tagENSA_11use_defaultESG_EEEEPS6_NSA_18transform_iteratorI10is_orderedNSA_12zip_iteratorINSA_5tupleINSC_INSA_10device_ptrIiEEEESQ_NSA_9null_typeESR_SR_SR_SR_SR_SR_SR_EEEESG_SG_EENS0_5tupleIJPiSJ_EEENSV_IJSJ_SJ_EEES6_PlJS6_EEE10hipError_tPvRmT3_T4_T5_T6_T7_T9_mT8_P12ihipStream_tbDpT10_ENKUlT_T0_E_clISt17integral_constantIbLb0EES1I_IbLb1EEEEDaS1E_S1F_EUlS1E_E_NS1_11comp_targetILNS1_3genE5ELNS1_11target_archE942ELNS1_3gpuE9ELNS1_3repE0EEENS1_30default_config_static_selectorELNS0_4arch9wavefront6targetE1EEEvT1_
                                        ; -- End function
	.section	.AMDGPU.csdata,"",@progbits
; Kernel info:
; codeLenInByte = 0
; NumSgprs: 4
; NumVgprs: 0
; NumAgprs: 0
; TotalNumVgprs: 0
; ScratchSize: 0
; MemoryBound: 0
; FloatMode: 240
; IeeeMode: 1
; LDSByteSize: 0 bytes/workgroup (compile time only)
; SGPRBlocks: 0
; VGPRBlocks: 0
; NumSGPRsForWavesPerEU: 4
; NumVGPRsForWavesPerEU: 1
; AccumOffset: 4
; Occupancy: 8
; WaveLimiterHint : 0
; COMPUTE_PGM_RSRC2:SCRATCH_EN: 0
; COMPUTE_PGM_RSRC2:USER_SGPR: 6
; COMPUTE_PGM_RSRC2:TRAP_HANDLER: 0
; COMPUTE_PGM_RSRC2:TGID_X_EN: 1
; COMPUTE_PGM_RSRC2:TGID_Y_EN: 0
; COMPUTE_PGM_RSRC2:TGID_Z_EN: 0
; COMPUTE_PGM_RSRC2:TIDIG_COMP_CNT: 0
; COMPUTE_PGM_RSRC3_GFX90A:ACCUM_OFFSET: 0
; COMPUTE_PGM_RSRC3_GFX90A:TG_SPLIT: 0
	.section	.text._ZN7rocprim17ROCPRIM_400000_NS6detail17trampoline_kernelINS0_14default_configENS1_25partition_config_selectorILNS1_17partition_subalgoE2EiNS0_10empty_typeEbEEZZNS1_14partition_implILS5_2ELb0ES3_jN6thrust23THRUST_200600_302600_NS6detail15normal_iteratorINSA_7pointerIiNSA_11hip_rocprim3tagENSA_11use_defaultESG_EEEEPS6_NSA_18transform_iteratorI10is_orderedNSA_12zip_iteratorINSA_5tupleINSC_INSA_10device_ptrIiEEEESQ_NSA_9null_typeESR_SR_SR_SR_SR_SR_SR_EEEESG_SG_EENS0_5tupleIJPiSJ_EEENSV_IJSJ_SJ_EEES6_PlJS6_EEE10hipError_tPvRmT3_T4_T5_T6_T7_T9_mT8_P12ihipStream_tbDpT10_ENKUlT_T0_E_clISt17integral_constantIbLb0EES1I_IbLb1EEEEDaS1E_S1F_EUlS1E_E_NS1_11comp_targetILNS1_3genE4ELNS1_11target_archE910ELNS1_3gpuE8ELNS1_3repE0EEENS1_30default_config_static_selectorELNS0_4arch9wavefront6targetE1EEEvT1_,"axG",@progbits,_ZN7rocprim17ROCPRIM_400000_NS6detail17trampoline_kernelINS0_14default_configENS1_25partition_config_selectorILNS1_17partition_subalgoE2EiNS0_10empty_typeEbEEZZNS1_14partition_implILS5_2ELb0ES3_jN6thrust23THRUST_200600_302600_NS6detail15normal_iteratorINSA_7pointerIiNSA_11hip_rocprim3tagENSA_11use_defaultESG_EEEEPS6_NSA_18transform_iteratorI10is_orderedNSA_12zip_iteratorINSA_5tupleINSC_INSA_10device_ptrIiEEEESQ_NSA_9null_typeESR_SR_SR_SR_SR_SR_SR_EEEESG_SG_EENS0_5tupleIJPiSJ_EEENSV_IJSJ_SJ_EEES6_PlJS6_EEE10hipError_tPvRmT3_T4_T5_T6_T7_T9_mT8_P12ihipStream_tbDpT10_ENKUlT_T0_E_clISt17integral_constantIbLb0EES1I_IbLb1EEEEDaS1E_S1F_EUlS1E_E_NS1_11comp_targetILNS1_3genE4ELNS1_11target_archE910ELNS1_3gpuE8ELNS1_3repE0EEENS1_30default_config_static_selectorELNS0_4arch9wavefront6targetE1EEEvT1_,comdat
	.protected	_ZN7rocprim17ROCPRIM_400000_NS6detail17trampoline_kernelINS0_14default_configENS1_25partition_config_selectorILNS1_17partition_subalgoE2EiNS0_10empty_typeEbEEZZNS1_14partition_implILS5_2ELb0ES3_jN6thrust23THRUST_200600_302600_NS6detail15normal_iteratorINSA_7pointerIiNSA_11hip_rocprim3tagENSA_11use_defaultESG_EEEEPS6_NSA_18transform_iteratorI10is_orderedNSA_12zip_iteratorINSA_5tupleINSC_INSA_10device_ptrIiEEEESQ_NSA_9null_typeESR_SR_SR_SR_SR_SR_SR_EEEESG_SG_EENS0_5tupleIJPiSJ_EEENSV_IJSJ_SJ_EEES6_PlJS6_EEE10hipError_tPvRmT3_T4_T5_T6_T7_T9_mT8_P12ihipStream_tbDpT10_ENKUlT_T0_E_clISt17integral_constantIbLb0EES1I_IbLb1EEEEDaS1E_S1F_EUlS1E_E_NS1_11comp_targetILNS1_3genE4ELNS1_11target_archE910ELNS1_3gpuE8ELNS1_3repE0EEENS1_30default_config_static_selectorELNS0_4arch9wavefront6targetE1EEEvT1_ ; -- Begin function _ZN7rocprim17ROCPRIM_400000_NS6detail17trampoline_kernelINS0_14default_configENS1_25partition_config_selectorILNS1_17partition_subalgoE2EiNS0_10empty_typeEbEEZZNS1_14partition_implILS5_2ELb0ES3_jN6thrust23THRUST_200600_302600_NS6detail15normal_iteratorINSA_7pointerIiNSA_11hip_rocprim3tagENSA_11use_defaultESG_EEEEPS6_NSA_18transform_iteratorI10is_orderedNSA_12zip_iteratorINSA_5tupleINSC_INSA_10device_ptrIiEEEESQ_NSA_9null_typeESR_SR_SR_SR_SR_SR_SR_EEEESG_SG_EENS0_5tupleIJPiSJ_EEENSV_IJSJ_SJ_EEES6_PlJS6_EEE10hipError_tPvRmT3_T4_T5_T6_T7_T9_mT8_P12ihipStream_tbDpT10_ENKUlT_T0_E_clISt17integral_constantIbLb0EES1I_IbLb1EEEEDaS1E_S1F_EUlS1E_E_NS1_11comp_targetILNS1_3genE4ELNS1_11target_archE910ELNS1_3gpuE8ELNS1_3repE0EEENS1_30default_config_static_selectorELNS0_4arch9wavefront6targetE1EEEvT1_
	.globl	_ZN7rocprim17ROCPRIM_400000_NS6detail17trampoline_kernelINS0_14default_configENS1_25partition_config_selectorILNS1_17partition_subalgoE2EiNS0_10empty_typeEbEEZZNS1_14partition_implILS5_2ELb0ES3_jN6thrust23THRUST_200600_302600_NS6detail15normal_iteratorINSA_7pointerIiNSA_11hip_rocprim3tagENSA_11use_defaultESG_EEEEPS6_NSA_18transform_iteratorI10is_orderedNSA_12zip_iteratorINSA_5tupleINSC_INSA_10device_ptrIiEEEESQ_NSA_9null_typeESR_SR_SR_SR_SR_SR_SR_EEEESG_SG_EENS0_5tupleIJPiSJ_EEENSV_IJSJ_SJ_EEES6_PlJS6_EEE10hipError_tPvRmT3_T4_T5_T6_T7_T9_mT8_P12ihipStream_tbDpT10_ENKUlT_T0_E_clISt17integral_constantIbLb0EES1I_IbLb1EEEEDaS1E_S1F_EUlS1E_E_NS1_11comp_targetILNS1_3genE4ELNS1_11target_archE910ELNS1_3gpuE8ELNS1_3repE0EEENS1_30default_config_static_selectorELNS0_4arch9wavefront6targetE1EEEvT1_
	.p2align	8
	.type	_ZN7rocprim17ROCPRIM_400000_NS6detail17trampoline_kernelINS0_14default_configENS1_25partition_config_selectorILNS1_17partition_subalgoE2EiNS0_10empty_typeEbEEZZNS1_14partition_implILS5_2ELb0ES3_jN6thrust23THRUST_200600_302600_NS6detail15normal_iteratorINSA_7pointerIiNSA_11hip_rocprim3tagENSA_11use_defaultESG_EEEEPS6_NSA_18transform_iteratorI10is_orderedNSA_12zip_iteratorINSA_5tupleINSC_INSA_10device_ptrIiEEEESQ_NSA_9null_typeESR_SR_SR_SR_SR_SR_SR_EEEESG_SG_EENS0_5tupleIJPiSJ_EEENSV_IJSJ_SJ_EEES6_PlJS6_EEE10hipError_tPvRmT3_T4_T5_T6_T7_T9_mT8_P12ihipStream_tbDpT10_ENKUlT_T0_E_clISt17integral_constantIbLb0EES1I_IbLb1EEEEDaS1E_S1F_EUlS1E_E_NS1_11comp_targetILNS1_3genE4ELNS1_11target_archE910ELNS1_3gpuE8ELNS1_3repE0EEENS1_30default_config_static_selectorELNS0_4arch9wavefront6targetE1EEEvT1_,@function
_ZN7rocprim17ROCPRIM_400000_NS6detail17trampoline_kernelINS0_14default_configENS1_25partition_config_selectorILNS1_17partition_subalgoE2EiNS0_10empty_typeEbEEZZNS1_14partition_implILS5_2ELb0ES3_jN6thrust23THRUST_200600_302600_NS6detail15normal_iteratorINSA_7pointerIiNSA_11hip_rocprim3tagENSA_11use_defaultESG_EEEEPS6_NSA_18transform_iteratorI10is_orderedNSA_12zip_iteratorINSA_5tupleINSC_INSA_10device_ptrIiEEEESQ_NSA_9null_typeESR_SR_SR_SR_SR_SR_SR_EEEESG_SG_EENS0_5tupleIJPiSJ_EEENSV_IJSJ_SJ_EEES6_PlJS6_EEE10hipError_tPvRmT3_T4_T5_T6_T7_T9_mT8_P12ihipStream_tbDpT10_ENKUlT_T0_E_clISt17integral_constantIbLb0EES1I_IbLb1EEEEDaS1E_S1F_EUlS1E_E_NS1_11comp_targetILNS1_3genE4ELNS1_11target_archE910ELNS1_3gpuE8ELNS1_3repE0EEENS1_30default_config_static_selectorELNS0_4arch9wavefront6targetE1EEEvT1_: ; @_ZN7rocprim17ROCPRIM_400000_NS6detail17trampoline_kernelINS0_14default_configENS1_25partition_config_selectorILNS1_17partition_subalgoE2EiNS0_10empty_typeEbEEZZNS1_14partition_implILS5_2ELb0ES3_jN6thrust23THRUST_200600_302600_NS6detail15normal_iteratorINSA_7pointerIiNSA_11hip_rocprim3tagENSA_11use_defaultESG_EEEEPS6_NSA_18transform_iteratorI10is_orderedNSA_12zip_iteratorINSA_5tupleINSC_INSA_10device_ptrIiEEEESQ_NSA_9null_typeESR_SR_SR_SR_SR_SR_SR_EEEESG_SG_EENS0_5tupleIJPiSJ_EEENSV_IJSJ_SJ_EEES6_PlJS6_EEE10hipError_tPvRmT3_T4_T5_T6_T7_T9_mT8_P12ihipStream_tbDpT10_ENKUlT_T0_E_clISt17integral_constantIbLb0EES1I_IbLb1EEEEDaS1E_S1F_EUlS1E_E_NS1_11comp_targetILNS1_3genE4ELNS1_11target_archE910ELNS1_3gpuE8ELNS1_3repE0EEENS1_30default_config_static_selectorELNS0_4arch9wavefront6targetE1EEEvT1_
; %bb.0:
	s_load_dwordx2 s[24:25], s[4:5], 0x38
	s_load_dwordx4 s[20:23], s[4:5], 0x58
	s_load_dwordx2 s[26:27], s[4:5], 0x68
	s_load_dwordx2 s[34:35], s[4:5], 0x78
	v_cmp_eq_u32_e64 s[0:1], 0, v0
	s_and_saveexec_b64 s[2:3], s[0:1]
	s_cbranch_execz .LBB3620_4
; %bb.1:
	s_mov_b64 s[8:9], exec
	v_mbcnt_lo_u32_b32 v1, s8, 0
	v_mbcnt_hi_u32_b32 v1, s9, v1
	v_cmp_eq_u32_e32 vcc, 0, v1
                                        ; implicit-def: $vgpr2
	s_and_saveexec_b64 s[6:7], vcc
	s_cbranch_execz .LBB3620_3
; %bb.2:
	s_load_dwordx2 s[10:11], s[4:5], 0x88
	s_bcnt1_i32_b64 s8, s[8:9]
	v_mov_b32_e32 v2, 0
	v_mov_b32_e32 v3, s8
	s_waitcnt lgkmcnt(0)
	global_atomic_add v2, v2, v3, s[10:11] glc
.LBB3620_3:
	s_or_b64 exec, exec, s[6:7]
	s_waitcnt vmcnt(0)
	v_readfirstlane_b32 s6, v2
	v_add_u32_e32 v1, s6, v1
	v_mov_b32_e32 v2, 0
	ds_write_b32 v2, v1
.LBB3620_4:
	s_or_b64 exec, exec, s[2:3]
	v_mov_b32_e32 v1, 0
	s_load_dwordx4 s[16:19], s[4:5], 0x8
	s_load_dwordx4 s[8:11], s[4:5], 0x20
	s_load_dword s2, s[4:5], 0x80
	s_waitcnt lgkmcnt(0)
	s_barrier
	ds_read_b32 v2, v1
	s_waitcnt lgkmcnt(0)
	s_barrier
	global_load_dwordx2 v[12:13], v1, s[22:23]
	s_lshl_b64 s[4:5], s[18:19], 2
	s_add_u32 s12, s16, s4
	s_addc_u32 s13, s17, s5
	s_add_i32 s6, s2, -1
	s_mulk_i32 s2, 0xa00
	s_add_i32 s3, s2, s18
	s_sub_i32 s33, s26, s3
	s_addk_i32 s33, 0xa00
	s_add_u32 s2, s18, s2
	v_readfirstlane_b32 s42, v2
	s_addc_u32 s3, s19, 0
	s_cmp_eq_u32 s42, s6
	v_pk_mov_b32 v[2:3], s[26:27], s[26:27] op_sel:[0,1]
	s_cselect_b64 s[22:23], -1, 0
	s_cmp_lg_u32 s42, s6
	s_mul_i32 s28, s42, 0xa00
	s_mov_b32 s29, 0
	v_cmp_lt_u64_e32 vcc, s[2:3], v[2:3]
	s_cselect_b64 s[2:3], -1, 0
	s_or_b64 s[30:31], vcc, s[2:3]
	s_lshl_b64 s[6:7], s[28:29], 2
	s_add_u32 s14, s12, s6
	s_addc_u32 s15, s13, s7
	s_mov_b64 s[2:3], -1
	s_and_b64 vcc, exec, s[30:31]
	v_lshlrev_b32_e32 v1, 2, v0
	s_cbranch_vccz .LBB3620_6
; %bb.5:
	v_mov_b32_e32 v3, s15
	v_add_co_u32_e32 v2, vcc, s14, v1
	v_addc_co_u32_e32 v3, vcc, 0, v3, vcc
	v_add_co_u32_e32 v4, vcc, 0x1000, v2
	v_addc_co_u32_e32 v5, vcc, 0, v3, vcc
	flat_load_dword v6, v[2:3]
	flat_load_dword v7, v[2:3] offset:1024
	flat_load_dword v8, v[2:3] offset:2048
	;; [unrolled: 1-line block ×3, first 2 shown]
	flat_load_dword v10, v[4:5]
	flat_load_dword v11, v[4:5] offset:1024
	flat_load_dword v14, v[4:5] offset:2048
	;; [unrolled: 1-line block ×3, first 2 shown]
	v_add_co_u32_e32 v2, vcc, 0x2000, v2
	v_addc_co_u32_e32 v3, vcc, 0, v3, vcc
	flat_load_dword v4, v[2:3]
	flat_load_dword v5, v[2:3] offset:1024
	s_mov_b64 s[2:3], 0
	s_waitcnt vmcnt(0) lgkmcnt(0)
	ds_write2st64_b32 v1, v6, v7 offset1:4
	ds_write2st64_b32 v1, v8, v9 offset0:8 offset1:12
	ds_write2st64_b32 v1, v10, v11 offset0:16 offset1:20
	;; [unrolled: 1-line block ×4, first 2 shown]
	s_waitcnt lgkmcnt(0)
	s_barrier
.LBB3620_6:
	s_andn2_b64 vcc, exec, s[2:3]
	v_cmp_gt_u32_e64 s[2:3], s33, v0
	s_cbranch_vccnz .LBB3620_28
; %bb.7:
                                        ; implicit-def: $vgpr2_vgpr3_vgpr4_vgpr5_vgpr6_vgpr7_vgpr8_vgpr9_vgpr10_vgpr11
	s_and_saveexec_b64 s[12:13], s[2:3]
	s_cbranch_execz .LBB3620_9
; %bb.8:
	v_mov_b32_e32 v3, s15
	v_add_co_u32_e32 v2, vcc, s14, v1
	v_addc_co_u32_e32 v3, vcc, 0, v3, vcc
	flat_load_dword v2, v[2:3]
.LBB3620_9:
	s_or_b64 exec, exec, s[12:13]
	v_or_b32_e32 v14, 0x100, v0
	v_cmp_gt_u32_e32 vcc, s33, v14
	s_and_saveexec_b64 s[2:3], vcc
	s_cbranch_execz .LBB3620_11
; %bb.10:
	v_mov_b32_e32 v3, s15
	v_add_co_u32_e32 v14, vcc, s14, v1
	v_addc_co_u32_e32 v15, vcc, 0, v3, vcc
	flat_load_dword v3, v[14:15] offset:1024
.LBB3620_11:
	s_or_b64 exec, exec, s[2:3]
	v_or_b32_e32 v14, 0x200, v0
	v_cmp_gt_u32_e32 vcc, s33, v14
	s_and_saveexec_b64 s[2:3], vcc
	s_cbranch_execz .LBB3620_13
; %bb.12:
	v_mov_b32_e32 v4, s15
	v_add_co_u32_e32 v14, vcc, s14, v1
	v_addc_co_u32_e32 v15, vcc, 0, v4, vcc
	flat_load_dword v4, v[14:15] offset:2048
.LBB3620_13:
	;; [unrolled: 11-line block ×3, first 2 shown]
	s_or_b64 exec, exec, s[2:3]
	v_or_b32_e32 v14, 0x400, v0
	v_cmp_gt_u32_e32 vcc, s33, v14
	s_and_saveexec_b64 s[2:3], vcc
	s_cbranch_execz .LBB3620_17
; %bb.16:
	v_lshlrev_b32_e32 v6, 2, v14
	v_mov_b32_e32 v15, s15
	v_add_co_u32_e32 v14, vcc, s14, v6
	v_addc_co_u32_e32 v15, vcc, 0, v15, vcc
	flat_load_dword v6, v[14:15]
.LBB3620_17:
	s_or_b64 exec, exec, s[2:3]
	v_or_b32_e32 v14, 0x500, v0
	v_cmp_gt_u32_e32 vcc, s33, v14
	s_and_saveexec_b64 s[2:3], vcc
	s_cbranch_execz .LBB3620_19
; %bb.18:
	v_lshlrev_b32_e32 v7, 2, v14
	v_mov_b32_e32 v15, s15
	v_add_co_u32_e32 v14, vcc, s14, v7
	v_addc_co_u32_e32 v15, vcc, 0, v15, vcc
	flat_load_dword v7, v[14:15]
.LBB3620_19:
	;; [unrolled: 12-line block ×6, first 2 shown]
	s_or_b64 exec, exec, s[2:3]
	s_waitcnt vmcnt(0) lgkmcnt(0)
	ds_write2st64_b32 v1, v2, v3 offset1:4
	ds_write2st64_b32 v1, v4, v5 offset0:8 offset1:12
	ds_write2st64_b32 v1, v6, v7 offset0:16 offset1:20
	;; [unrolled: 1-line block ×4, first 2 shown]
	s_waitcnt lgkmcnt(0)
	s_barrier
.LBB3620_28:
	s_add_u32 s2, s8, s4
	v_mul_u32_u24_e32 v26, 10, v0
	s_addc_u32 s3, s9, s5
	v_lshlrev_b32_e32 v10, 2, v26
	s_add_u32 s4, s10, s4
	ds_read2_b64 v[6:9], v10 offset1:1
	ds_read2_b64 v[2:5], v10 offset0:2 offset1:3
	ds_read_b64 v[14:15], v10 offset:32
	s_addc_u32 s5, s11, s5
	s_add_u32 s2, s2, s6
	s_addc_u32 s3, s3, s7
	s_add_u32 s4, s4, s6
	s_addc_u32 s5, s5, s7
	s_mov_b64 s[6:7], -1
	s_and_b64 vcc, exec, s[30:31]
	s_waitcnt lgkmcnt(0)
	s_barrier
	s_cbranch_vccz .LBB3620_30
; %bb.29:
	v_mov_b32_e32 v10, s3
	v_add_co_u32_e32 v16, vcc, s2, v1
	v_addc_co_u32_e32 v17, vcc, 0, v10, vcc
	v_mov_b32_e32 v10, s5
	v_add_co_u32_e32 v20, vcc, s4, v1
	v_addc_co_u32_e32 v21, vcc, 0, v10, vcc
	s_movk_i32 s6, 0x1000
	v_add_co_u32_e32 v10, vcc, s6, v16
	global_load_dword v22, v1, s[2:3]
	global_load_dword v23, v1, s[2:3] offset:1024
	global_load_dword v24, v1, s[2:3] offset:2048
	global_load_dword v25, v1, s[4:5] offset:1024
	global_load_dword v27, v1, s[4:5] offset:2048
	global_load_dword v28, v1, s[4:5] offset:3072
	global_load_dword v29, v1, s[4:5]
	global_load_dword v30, v1, s[2:3] offset:3072
	v_addc_co_u32_e32 v11, vcc, 0, v17, vcc
	s_movk_i32 s7, 0x2000
	v_add_co_u32_e32 v16, vcc, s7, v16
	v_addc_co_u32_e32 v17, vcc, 0, v17, vcc
	global_load_dword v31, v[16:17], off offset:-4096
	v_add_co_u32_e32 v18, vcc, s6, v20
	v_addc_co_u32_e32 v19, vcc, 0, v21, vcc
	v_add_co_u32_e32 v20, vcc, s7, v20
	v_addc_co_u32_e32 v21, vcc, 0, v21, vcc
	global_load_dword v32, v[20:21], off offset:-4096
	global_load_dword v33, v[10:11], off offset:1024
	global_load_dword v34, v[18:19], off offset:1024
	;; [unrolled: 1-line block ×6, first 2 shown]
	global_load_dword v39, v[20:21], off
	global_load_dword v40, v[16:17], off
	global_load_dword v41, v[16:17], off offset:1024
	global_load_dword v42, v[20:21], off offset:1024
	s_mov_b64 s[6:7], 0
	s_waitcnt vmcnt(13)
	v_cmp_le_i32_e32 vcc, v22, v29
	v_cndmask_b32_e64 v10, 0, 1, vcc
	v_cmp_le_i32_e32 vcc, v23, v25
	v_cndmask_b32_e64 v11, 0, 1, vcc
	;; [unrolled: 2-line block ×3, first 2 shown]
	s_waitcnt vmcnt(12)
	v_cmp_le_i32_e32 vcc, v30, v28
	v_cndmask_b32_e64 v17, 0, 1, vcc
	ds_write_b8 v0, v10
	ds_write_b8 v0, v11 offset:256
	ds_write_b8 v0, v16 offset:512
	;; [unrolled: 1-line block ×3, first 2 shown]
	s_waitcnt vmcnt(10)
	v_cmp_le_i32_e32 vcc, v31, v32
	v_cndmask_b32_e64 v10, 0, 1, vcc
	s_waitcnt vmcnt(8)
	v_cmp_le_i32_e32 vcc, v33, v34
	v_cndmask_b32_e64 v11, 0, 1, vcc
	;; [unrolled: 3-line block ×6, first 2 shown]
	ds_write_b8 v0, v10 offset:1024
	ds_write_b8 v0, v11 offset:1280
	;; [unrolled: 1-line block ×6, first 2 shown]
	s_waitcnt lgkmcnt(0)
	s_barrier
.LBB3620_30:
	s_andn2_b64 vcc, exec, s[6:7]
	s_cbranch_vccnz .LBB3620_52
; %bb.31:
	v_cmp_gt_u32_e32 vcc, s33, v0
	v_mov_b32_e32 v10, 0
	v_mov_b32_e32 v11, 0
	s_and_saveexec_b64 s[6:7], vcc
	s_cbranch_execz .LBB3620_33
; %bb.32:
	global_load_dword v11, v1, s[2:3]
	global_load_dword v16, v1, s[4:5]
	s_waitcnt vmcnt(0)
	v_cmp_le_i32_e32 vcc, v11, v16
	v_cndmask_b32_e64 v11, 0, 1, vcc
.LBB3620_33:
	s_or_b64 exec, exec, s[6:7]
	v_or_b32_e32 v16, 0x100, v0
	v_cmp_gt_u32_e32 vcc, s33, v16
	s_and_saveexec_b64 s[6:7], vcc
	s_cbranch_execz .LBB3620_35
; %bb.34:
	global_load_dword v10, v1, s[2:3] offset:1024
	global_load_dword v16, v1, s[4:5] offset:1024
	s_waitcnt vmcnt(0)
	v_cmp_le_i32_e32 vcc, v10, v16
	v_cndmask_b32_e64 v10, 0, 1, vcc
.LBB3620_35:
	s_or_b64 exec, exec, s[6:7]
	v_or_b32_e32 v16, 0x200, v0
	v_cmp_gt_u32_e32 vcc, s33, v16
	v_mov_b32_e32 v16, 0
	v_mov_b32_e32 v17, 0
	s_and_saveexec_b64 s[6:7], vcc
	s_cbranch_execz .LBB3620_37
; %bb.36:
	global_load_dword v17, v1, s[2:3] offset:2048
	global_load_dword v18, v1, s[4:5] offset:2048
	s_waitcnt vmcnt(0)
	v_cmp_le_i32_e32 vcc, v17, v18
	v_cndmask_b32_e64 v17, 0, 1, vcc
.LBB3620_37:
	s_or_b64 exec, exec, s[6:7]
	v_or_b32_e32 v18, 0x300, v0
	v_cmp_gt_u32_e32 vcc, s33, v18
	s_and_saveexec_b64 s[6:7], vcc
	s_cbranch_execz .LBB3620_39
; %bb.38:
	global_load_dword v16, v1, s[2:3] offset:3072
	global_load_dword v18, v1, s[4:5] offset:3072
	s_waitcnt vmcnt(0)
	v_cmp_le_i32_e32 vcc, v16, v18
	v_cndmask_b32_e64 v16, 0, 1, vcc
.LBB3620_39:
	s_or_b64 exec, exec, s[6:7]
	v_or_b32_e32 v20, 0x400, v0
	v_cmp_gt_u32_e32 vcc, s33, v20
	v_mov_b32_e32 v18, 0
	v_mov_b32_e32 v19, 0
	s_and_saveexec_b64 s[6:7], vcc
	s_cbranch_execz .LBB3620_41
; %bb.40:
	v_lshlrev_b32_e32 v19, 2, v20
	global_load_dword v20, v19, s[2:3]
	global_load_dword v21, v19, s[4:5]
	s_waitcnt vmcnt(0)
	v_cmp_le_i32_e32 vcc, v20, v21
	v_cndmask_b32_e64 v19, 0, 1, vcc
.LBB3620_41:
	s_or_b64 exec, exec, s[6:7]
	v_or_b32_e32 v20, 0x500, v0
	v_cmp_gt_u32_e32 vcc, s33, v20
	s_and_saveexec_b64 s[6:7], vcc
	s_cbranch_execz .LBB3620_43
; %bb.42:
	v_lshlrev_b32_e32 v18, 2, v20
	global_load_dword v20, v18, s[2:3]
	global_load_dword v21, v18, s[4:5]
	s_waitcnt vmcnt(0)
	v_cmp_le_i32_e32 vcc, v20, v21
	v_cndmask_b32_e64 v18, 0, 1, vcc
.LBB3620_43:
	s_or_b64 exec, exec, s[6:7]
	v_or_b32_e32 v22, 0x600, v0
	v_cmp_gt_u32_e32 vcc, s33, v22
	v_mov_b32_e32 v20, 0
	v_mov_b32_e32 v21, 0
	s_and_saveexec_b64 s[6:7], vcc
	s_cbranch_execz .LBB3620_45
; %bb.44:
	v_lshlrev_b32_e32 v21, 2, v22
	global_load_dword v22, v21, s[2:3]
	global_load_dword v23, v21, s[4:5]
	s_waitcnt vmcnt(0)
	v_cmp_le_i32_e32 vcc, v22, v23
	v_cndmask_b32_e64 v21, 0, 1, vcc
.LBB3620_45:
	s_or_b64 exec, exec, s[6:7]
	v_or_b32_e32 v22, 0x700, v0
	v_cmp_gt_u32_e32 vcc, s33, v22
	s_and_saveexec_b64 s[6:7], vcc
	s_cbranch_execz .LBB3620_47
; %bb.46:
	v_lshlrev_b32_e32 v20, 2, v22
	global_load_dword v22, v20, s[2:3]
	global_load_dword v23, v20, s[4:5]
	s_waitcnt vmcnt(0)
	v_cmp_le_i32_e32 vcc, v22, v23
	v_cndmask_b32_e64 v20, 0, 1, vcc
.LBB3620_47:
	;; [unrolled: 28-line block ×3, first 2 shown]
	s_or_b64 exec, exec, s[6:7]
	ds_write_b8 v0, v11
	ds_write_b8 v0, v10 offset:256
	ds_write_b8 v0, v17 offset:512
	;; [unrolled: 1-line block ×9, first 2 shown]
	s_waitcnt lgkmcnt(0)
	s_barrier
.LBB3620_52:
	ds_read_b64 v[16:17], v26
	ds_read_u16 v28, v26 offset:8
	s_cmp_lg_u32 s42, 0
	v_lshrrev_b32_e32 v37, 6, v0
	s_waitcnt lgkmcnt(0)
	v_lshrrev_b32_e32 v30, 24, v16
	v_bfe_u32 v35, v16, 16, 8
	v_add_u32_sdwa v10, v16, v16 dst_sel:DWORD dst_unused:UNUSED_PAD src0_sel:BYTE_1 src1_sel:BYTE_0
	v_and_b32_e32 v32, 0xff, v17
	v_bfe_u32 v33, v17, 8, 8
	v_add3_u32 v10, v10, v35, v30
	v_lshrrev_b32_e32 v29, 24, v17
	v_bfe_u32 v34, v17, 16, 8
	v_add3_u32 v10, v10, v32, v33
	v_lshrrev_b16_e32 v27, 8, v28
	v_and_b32_e32 v31, 0xff, v28
	v_add3_u32 v10, v10, v34, v29
	v_add3_u32 v38, v10, v31, v27
	v_mbcnt_lo_u32_b32 v10, -1, 0
	v_mbcnt_hi_u32_b32 v36, -1, v10
	v_and_b32_e32 v10, 15, v36
	v_cmp_eq_u32_e64 s[14:15], 0, v10
	v_cmp_lt_u32_e64 s[12:13], 1, v10
	v_cmp_lt_u32_e64 s[10:11], 3, v10
	;; [unrolled: 1-line block ×3, first 2 shown]
	v_and_b32_e32 v10, 16, v36
	v_cmp_eq_u32_e64 s[6:7], 0, v10
	v_or_b32_e32 v10, 63, v0
	v_cmp_lt_u32_e64 s[2:3], 31, v36
	v_cmp_eq_u32_e64 s[4:5], v10, v0
	s_barrier
	s_cbranch_scc0 .LBB3620_79
; %bb.53:
	v_mov_b32_dpp v10, v38 row_shr:1 row_mask:0xf bank_mask:0xf
	v_cndmask_b32_e64 v10, v10, 0, s[14:15]
	v_add_u32_e32 v10, v10, v38
	s_nop 1
	v_mov_b32_dpp v11, v10 row_shr:2 row_mask:0xf bank_mask:0xf
	v_cndmask_b32_e64 v11, 0, v11, s[12:13]
	v_add_u32_e32 v10, v10, v11
	s_nop 1
	;; [unrolled: 4-line block ×4, first 2 shown]
	v_mov_b32_dpp v11, v10 row_bcast:15 row_mask:0xf bank_mask:0xf
	v_cndmask_b32_e64 v11, v11, 0, s[6:7]
	v_add_u32_e32 v10, v10, v11
	s_nop 1
	v_mov_b32_dpp v11, v10 row_bcast:31 row_mask:0xf bank_mask:0xf
	v_cndmask_b32_e64 v11, 0, v11, s[2:3]
	v_add_u32_e32 v10, v10, v11
	s_and_saveexec_b64 s[16:17], s[4:5]
	s_cbranch_execz .LBB3620_55
; %bb.54:
	v_lshlrev_b32_e32 v11, 2, v37
	ds_write_b32 v11, v10
.LBB3620_55:
	s_or_b64 exec, exec, s[16:17]
	v_cmp_gt_u32_e32 vcc, 4, v0
	s_waitcnt lgkmcnt(0)
	s_barrier
	s_and_saveexec_b64 s[16:17], vcc
	s_cbranch_execz .LBB3620_57
; %bb.56:
	ds_read_b32 v11, v1
	v_and_b32_e32 v18, 3, v36
	v_cmp_ne_u32_e32 vcc, 0, v18
	s_waitcnt lgkmcnt(0)
	v_mov_b32_dpp v19, v11 row_shr:1 row_mask:0xf bank_mask:0xf
	v_cndmask_b32_e32 v19, 0, v19, vcc
	v_add_u32_e32 v11, v19, v11
	v_cmp_lt_u32_e32 vcc, 1, v18
	s_nop 0
	v_mov_b32_dpp v19, v11 row_shr:2 row_mask:0xf bank_mask:0xf
	v_cndmask_b32_e32 v18, 0, v19, vcc
	v_add_u32_e32 v11, v11, v18
	ds_write_b32 v1, v11
.LBB3620_57:
	s_or_b64 exec, exec, s[16:17]
	v_cmp_gt_u32_e32 vcc, 64, v0
	v_cmp_lt_u32_e64 s[16:17], 63, v0
	s_waitcnt lgkmcnt(0)
	s_barrier
	s_waitcnt lgkmcnt(0)
                                        ; implicit-def: $vgpr39
	s_and_saveexec_b64 s[36:37], s[16:17]
	s_cbranch_execz .LBB3620_59
; %bb.58:
	v_lshl_add_u32 v11, v37, 2, -4
	ds_read_b32 v39, v11
	s_waitcnt lgkmcnt(0)
	v_add_u32_e32 v10, v39, v10
.LBB3620_59:
	s_or_b64 exec, exec, s[36:37]
	v_add_u32_e32 v11, -1, v36
	v_and_b32_e32 v18, 64, v36
	v_cmp_lt_i32_e64 s[16:17], v11, v18
	v_cndmask_b32_e64 v11, v11, v36, s[16:17]
	v_lshlrev_b32_e32 v11, 2, v11
	ds_bpermute_b32 v40, v11, v10
	v_cmp_eq_u32_e64 s[16:17], 0, v36
	s_and_saveexec_b64 s[36:37], vcc
	s_cbranch_execz .LBB3620_78
; %bb.60:
	v_mov_b32_e32 v23, 0
	ds_read_b32 v10, v23 offset:12
	s_and_saveexec_b64 s[38:39], s[16:17]
	s_cbranch_execz .LBB3620_62
; %bb.61:
	s_add_i32 s40, s42, 64
	s_mov_b32 s41, 0
	s_lshl_b64 s[40:41], s[40:41], 3
	s_add_u32 s40, s34, s40
	v_mov_b32_e32 v11, 1
	s_addc_u32 s41, s35, s41
	s_waitcnt lgkmcnt(0)
	global_store_dwordx2 v23, v[10:11], s[40:41]
.LBB3620_62:
	s_or_b64 exec, exec, s[38:39]
	v_xad_u32 v18, v36, -1, s42
	v_add_u32_e32 v22, 64, v18
	v_lshlrev_b64 v[20:21], 3, v[22:23]
	v_mov_b32_e32 v11, s35
	v_add_co_u32_e32 v24, vcc, s34, v20
	v_addc_co_u32_e32 v25, vcc, v11, v21, vcc
	global_load_dwordx2 v[20:21], v[24:25], off glc
	s_waitcnt vmcnt(0)
	v_cmp_eq_u16_sdwa s[40:41], v21, v23 src0_sel:BYTE_0 src1_sel:DWORD
	s_and_saveexec_b64 s[38:39], s[40:41]
	s_cbranch_execz .LBB3620_66
; %bb.63:
	s_mov_b64 s[40:41], 0
	v_mov_b32_e32 v11, 0
.LBB3620_64:                            ; =>This Inner Loop Header: Depth=1
	global_load_dwordx2 v[20:21], v[24:25], off glc
	s_waitcnt vmcnt(0)
	v_cmp_ne_u16_sdwa s[44:45], v21, v11 src0_sel:BYTE_0 src1_sel:DWORD
	s_or_b64 s[40:41], s[44:45], s[40:41]
	s_andn2_b64 exec, exec, s[40:41]
	s_cbranch_execnz .LBB3620_64
; %bb.65:
	s_or_b64 exec, exec, s[40:41]
.LBB3620_66:
	s_or_b64 exec, exec, s[38:39]
	v_and_b32_e32 v42, 63, v36
	v_mov_b32_e32 v41, 2
	v_cmp_ne_u32_e32 vcc, 63, v42
	v_cmp_eq_u16_sdwa s[38:39], v21, v41 src0_sel:BYTE_0 src1_sel:DWORD
	v_lshlrev_b64 v[22:23], v36, -1
	v_addc_co_u32_e32 v24, vcc, 0, v36, vcc
	v_and_b32_e32 v11, s39, v23
	v_lshlrev_b32_e32 v43, 2, v24
	v_or_b32_e32 v11, 0x80000000, v11
	ds_bpermute_b32 v24, v43, v20
	v_and_b32_e32 v19, s38, v22
	v_ffbl_b32_e32 v11, v11
	v_add_u32_e32 v11, 32, v11
	v_ffbl_b32_e32 v19, v19
	v_min_u32_e32 v11, v19, v11
	v_cmp_lt_u32_e32 vcc, v42, v11
	s_waitcnt lgkmcnt(0)
	v_cndmask_b32_e32 v19, 0, v24, vcc
	v_cmp_gt_u32_e32 vcc, 62, v42
	v_add_u32_e32 v19, v19, v20
	v_cndmask_b32_e64 v20, 0, 1, vcc
	v_lshlrev_b32_e32 v20, 1, v20
	v_add_lshl_u32 v44, v20, v36, 2
	ds_bpermute_b32 v20, v44, v19
	v_add_u32_e32 v45, 2, v42
	v_cmp_le_u32_e32 vcc, v45, v11
	v_add_u32_e32 v47, 4, v42
	v_add_u32_e32 v49, 8, v42
	s_waitcnt lgkmcnt(0)
	v_cndmask_b32_e32 v20, 0, v20, vcc
	v_cmp_gt_u32_e32 vcc, 60, v42
	v_add_u32_e32 v19, v19, v20
	v_cndmask_b32_e64 v20, 0, 1, vcc
	v_lshlrev_b32_e32 v20, 2, v20
	v_add_lshl_u32 v46, v20, v36, 2
	ds_bpermute_b32 v20, v46, v19
	v_cmp_le_u32_e32 vcc, v47, v11
	v_add_u32_e32 v51, 16, v42
	v_add_u32_e32 v53, 32, v42
	s_waitcnt lgkmcnt(0)
	v_cndmask_b32_e32 v20, 0, v20, vcc
	v_cmp_gt_u32_e32 vcc, 56, v42
	v_add_u32_e32 v19, v19, v20
	v_cndmask_b32_e64 v20, 0, 1, vcc
	v_lshlrev_b32_e32 v20, 3, v20
	v_add_lshl_u32 v48, v20, v36, 2
	ds_bpermute_b32 v20, v48, v19
	v_cmp_le_u32_e32 vcc, v49, v11
	s_waitcnt lgkmcnt(0)
	v_cndmask_b32_e32 v20, 0, v20, vcc
	v_cmp_gt_u32_e32 vcc, 48, v42
	v_add_u32_e32 v19, v19, v20
	v_cndmask_b32_e64 v20, 0, 1, vcc
	v_lshlrev_b32_e32 v20, 4, v20
	v_add_lshl_u32 v50, v20, v36, 2
	ds_bpermute_b32 v20, v50, v19
	v_cmp_le_u32_e32 vcc, v51, v11
	;; [unrolled: 9-line block ×3, first 2 shown]
	s_waitcnt lgkmcnt(0)
	v_cndmask_b32_e32 v11, 0, v20, vcc
	v_add_u32_e32 v20, v19, v11
	v_mov_b32_e32 v19, 0
	s_branch .LBB3620_68
.LBB3620_67:                            ;   in Loop: Header=BB3620_68 Depth=1
	s_or_b64 exec, exec, s[38:39]
	v_cmp_eq_u16_sdwa s[38:39], v21, v41 src0_sel:BYTE_0 src1_sel:DWORD
	v_and_b32_e32 v24, s39, v23
	v_or_b32_e32 v24, 0x80000000, v24
	ds_bpermute_b32 v54, v43, v20
	v_and_b32_e32 v25, s38, v22
	v_ffbl_b32_e32 v24, v24
	v_add_u32_e32 v24, 32, v24
	v_ffbl_b32_e32 v25, v25
	v_min_u32_e32 v24, v25, v24
	v_cmp_lt_u32_e32 vcc, v42, v24
	s_waitcnt lgkmcnt(0)
	v_cndmask_b32_e32 v25, 0, v54, vcc
	v_add_u32_e32 v20, v25, v20
	ds_bpermute_b32 v25, v44, v20
	v_cmp_le_u32_e32 vcc, v45, v24
	v_subrev_u32_e32 v18, 64, v18
	s_waitcnt lgkmcnt(0)
	v_cndmask_b32_e32 v25, 0, v25, vcc
	v_add_u32_e32 v20, v20, v25
	ds_bpermute_b32 v25, v46, v20
	v_cmp_le_u32_e32 vcc, v47, v24
	s_waitcnt lgkmcnt(0)
	v_cndmask_b32_e32 v25, 0, v25, vcc
	v_add_u32_e32 v20, v20, v25
	ds_bpermute_b32 v25, v48, v20
	v_cmp_le_u32_e32 vcc, v49, v24
	;; [unrolled: 5-line block ×4, first 2 shown]
	s_waitcnt lgkmcnt(0)
	v_cndmask_b32_e32 v24, 0, v25, vcc
	v_add3_u32 v20, v24, v11, v20
.LBB3620_68:                            ; =>This Loop Header: Depth=1
                                        ;     Child Loop BB3620_71 Depth 2
	v_cmp_ne_u16_sdwa s[38:39], v21, v41 src0_sel:BYTE_0 src1_sel:DWORD
	v_cndmask_b32_e64 v11, 0, 1, s[38:39]
	;;#ASMSTART
	;;#ASMEND
	v_cmp_ne_u32_e32 vcc, 0, v11
	s_cmp_lg_u64 vcc, exec
	v_mov_b32_e32 v11, v20
	s_cbranch_scc1 .LBB3620_73
; %bb.69:                               ;   in Loop: Header=BB3620_68 Depth=1
	v_lshlrev_b64 v[20:21], 3, v[18:19]
	v_mov_b32_e32 v25, s35
	v_add_co_u32_e32 v24, vcc, s34, v20
	v_addc_co_u32_e32 v25, vcc, v25, v21, vcc
	global_load_dwordx2 v[20:21], v[24:25], off glc
	s_waitcnt vmcnt(0)
	v_cmp_eq_u16_sdwa s[40:41], v21, v19 src0_sel:BYTE_0 src1_sel:DWORD
	s_and_saveexec_b64 s[38:39], s[40:41]
	s_cbranch_execz .LBB3620_67
; %bb.70:                               ;   in Loop: Header=BB3620_68 Depth=1
	s_mov_b64 s[40:41], 0
.LBB3620_71:                            ;   Parent Loop BB3620_68 Depth=1
                                        ; =>  This Inner Loop Header: Depth=2
	global_load_dwordx2 v[20:21], v[24:25], off glc
	s_waitcnt vmcnt(0)
	v_cmp_ne_u16_sdwa s[44:45], v21, v19 src0_sel:BYTE_0 src1_sel:DWORD
	s_or_b64 s[40:41], s[44:45], s[40:41]
	s_andn2_b64 exec, exec, s[40:41]
	s_cbranch_execnz .LBB3620_71
; %bb.72:                               ;   in Loop: Header=BB3620_68 Depth=1
	s_or_b64 exec, exec, s[40:41]
	s_branch .LBB3620_67
.LBB3620_73:                            ;   in Loop: Header=BB3620_68 Depth=1
                                        ; implicit-def: $vgpr20
                                        ; implicit-def: $vgpr21
	s_cbranch_execz .LBB3620_68
; %bb.74:
	s_and_saveexec_b64 s[38:39], s[16:17]
	s_cbranch_execz .LBB3620_76
; %bb.75:
	s_add_i32 s40, s42, 64
	s_mov_b32 s41, 0
	s_lshl_b64 s[40:41], s[40:41], 3
	s_add_u32 s40, s34, s40
	v_add_u32_e32 v18, v11, v10
	v_mov_b32_e32 v19, 2
	s_addc_u32 s41, s35, s41
	v_mov_b32_e32 v20, 0
	global_store_dwordx2 v20, v[18:19], s[40:41]
	ds_write_b64 v20, v[10:11] offset:10240
.LBB3620_76:
	s_or_b64 exec, exec, s[38:39]
	s_and_b64 exec, exec, s[0:1]
	s_cbranch_execz .LBB3620_78
; %bb.77:
	v_mov_b32_e32 v10, 0
	ds_write_b32 v10, v11 offset:12
.LBB3620_78:
	s_or_b64 exec, exec, s[36:37]
	v_mov_b32_e32 v10, 0
	s_waitcnt lgkmcnt(0)
	s_barrier
	ds_read_b32 v11, v10 offset:12
	v_cndmask_b32_e64 v18, v40, v39, s[16:17]
	v_cndmask_b32_e64 v18, v18, 0, s[0:1]
	s_waitcnt lgkmcnt(0)
	s_barrier
	v_add_u32_e32 v40, v11, v18
	v_add_u32_sdwa v39, v40, v16 dst_sel:DWORD dst_unused:UNUSED_PAD src0_sel:DWORD src1_sel:BYTE_0
	v_add_u32_sdwa v25, v39, v16 dst_sel:DWORD dst_unused:UNUSED_PAD src0_sel:DWORD src1_sel:BYTE_1
	v_add_u32_e32 v24, v25, v35
	v_add_u32_e32 v23, v24, v30
	;; [unrolled: 1-line block ×3, first 2 shown]
	ds_read_b64 v[10:11], v10 offset:10240
	v_add_u32_e32 v21, v22, v33
	v_add_u32_e32 v20, v21, v34
	;; [unrolled: 1-line block ×4, first 2 shown]
	s_branch .LBB3620_89
.LBB3620_79:
                                        ; implicit-def: $vgpr11
                                        ; implicit-def: $vgpr18
                                        ; implicit-def: $vgpr19
                                        ; implicit-def: $vgpr20
                                        ; implicit-def: $vgpr21
                                        ; implicit-def: $vgpr22
                                        ; implicit-def: $vgpr23
                                        ; implicit-def: $vgpr24
                                        ; implicit-def: $vgpr25
                                        ; implicit-def: $vgpr39
                                        ; implicit-def: $vgpr40
	s_cbranch_execz .LBB3620_89
; %bb.80:
	s_waitcnt lgkmcnt(0)
	v_mov_b32_dpp v10, v38 row_shr:1 row_mask:0xf bank_mask:0xf
	v_cndmask_b32_e64 v10, v10, 0, s[14:15]
	v_add_u32_e32 v10, v10, v38
	s_nop 1
	v_mov_b32_dpp v11, v10 row_shr:2 row_mask:0xf bank_mask:0xf
	v_cndmask_b32_e64 v11, 0, v11, s[12:13]
	v_add_u32_e32 v10, v10, v11
	s_nop 1
	;; [unrolled: 4-line block ×4, first 2 shown]
	v_mov_b32_dpp v11, v10 row_bcast:15 row_mask:0xf bank_mask:0xf
	v_cndmask_b32_e64 v11, v11, 0, s[6:7]
	v_add_u32_e32 v10, v10, v11
	s_nop 1
	v_mov_b32_dpp v11, v10 row_bcast:31 row_mask:0xf bank_mask:0xf
	v_cndmask_b32_e64 v11, 0, v11, s[2:3]
	v_add_u32_e32 v10, v10, v11
	s_and_saveexec_b64 s[2:3], s[4:5]
	s_cbranch_execz .LBB3620_82
; %bb.81:
	v_lshlrev_b32_e32 v11, 2, v37
	ds_write_b32 v11, v10
.LBB3620_82:
	s_or_b64 exec, exec, s[2:3]
	v_cmp_gt_u32_e32 vcc, 4, v0
	s_waitcnt lgkmcnt(0)
	s_barrier
	s_and_saveexec_b64 s[2:3], vcc
	s_cbranch_execz .LBB3620_84
; %bb.83:
	v_mad_i32_i24 v11, v0, -6, v26
	ds_read_b32 v18, v11
	v_and_b32_e32 v19, 3, v36
	v_cmp_ne_u32_e32 vcc, 0, v19
	s_waitcnt lgkmcnt(0)
	v_mov_b32_dpp v20, v18 row_shr:1 row_mask:0xf bank_mask:0xf
	v_cndmask_b32_e32 v20, 0, v20, vcc
	v_add_u32_e32 v18, v20, v18
	v_cmp_lt_u32_e32 vcc, 1, v19
	s_nop 0
	v_mov_b32_dpp v20, v18 row_shr:2 row_mask:0xf bank_mask:0xf
	v_cndmask_b32_e32 v19, 0, v20, vcc
	v_add_u32_e32 v18, v18, v19
	ds_write_b32 v11, v18
.LBB3620_84:
	s_or_b64 exec, exec, s[2:3]
	v_cmp_lt_u32_e32 vcc, 63, v0
	v_mov_b32_e32 v11, 0
	v_mov_b32_e32 v18, 0
	s_waitcnt lgkmcnt(0)
	s_barrier
	s_and_saveexec_b64 s[2:3], vcc
	s_cbranch_execz .LBB3620_86
; %bb.85:
	v_lshl_add_u32 v18, v37, 2, -4
	ds_read_b32 v18, v18
.LBB3620_86:
	s_or_b64 exec, exec, s[2:3]
	v_add_u32_e32 v19, -1, v36
	v_and_b32_e32 v20, 64, v36
	v_cmp_lt_i32_e32 vcc, v19, v20
	v_cndmask_b32_e32 v19, v19, v36, vcc
	s_waitcnt lgkmcnt(0)
	v_add_u32_e32 v10, v18, v10
	v_lshlrev_b32_e32 v19, 2, v19
	ds_bpermute_b32 v19, v19, v10
	ds_read_b32 v10, v11 offset:12
	s_and_saveexec_b64 s[2:3], s[0:1]
	s_cbranch_execz .LBB3620_88
; %bb.87:
	v_mov_b32_e32 v20, 0
	v_mov_b32_e32 v11, 2
	s_waitcnt lgkmcnt(0)
	global_store_dwordx2 v20, v[10:11], s[34:35] offset:512
.LBB3620_88:
	s_or_b64 exec, exec, s[2:3]
	v_cmp_eq_u32_e32 vcc, 0, v36
	s_waitcnt lgkmcnt(1)
	v_cndmask_b32_e32 v18, v19, v18, vcc
	v_cndmask_b32_e64 v40, v18, 0, s[0:1]
	v_add_u32_sdwa v39, v40, v16 dst_sel:DWORD dst_unused:UNUSED_PAD src0_sel:DWORD src1_sel:BYTE_0
	v_add_u32_sdwa v25, v39, v16 dst_sel:DWORD dst_unused:UNUSED_PAD src0_sel:DWORD src1_sel:BYTE_1
	v_add_u32_e32 v24, v25, v35
	v_add_u32_e32 v23, v24, v30
	;; [unrolled: 1-line block ×6, first 2 shown]
	v_mov_b32_e32 v11, 0
	v_add_u32_e32 v18, v19, v31
	s_waitcnt lgkmcnt(0)
	s_barrier
.LBB3620_89:
	s_waitcnt lgkmcnt(0)
	v_add_u32_e32 v26, v10, v26
	v_sub_u32_e32 v33, v40, v11
	v_and_b32_e32 v35, 1, v16
	v_sub_u32_e32 v34, v26, v33
	v_cmp_eq_u32_e32 vcc, 1, v35
	v_cndmask_b32_e32 v33, v34, v33, vcc
	v_lshlrev_b32_e32 v33, 2, v33
	v_lshrrev_b32_e32 v32, 8, v16
	ds_write_b32 v33, v6
	v_sub_u32_e32 v6, v39, v11
	v_sub_u32_e32 v33, v26, v6
	v_and_b32_e32 v32, 1, v32
	v_add_u32_e32 v33, 1, v33
	v_cmp_eq_u32_e32 vcc, 1, v32
	v_cndmask_b32_e32 v6, v33, v6, vcc
	v_lshlrev_b32_e32 v6, 2, v6
	ds_write_b32 v6, v7
	v_sub_u32_e32 v6, v25, v11
	v_mov_b32_e32 v25, 1
	v_sub_u32_e32 v7, v26, v6
	v_and_b32_sdwa v16, v25, v16 dst_sel:DWORD dst_unused:UNUSED_PAD src0_sel:DWORD src1_sel:WORD_1
	v_add_u32_e32 v7, 2, v7
	v_cmp_eq_u32_e32 vcc, 1, v16
	v_cndmask_b32_e32 v6, v7, v6, vcc
	v_lshlrev_b32_e32 v6, 2, v6
	ds_write_b32 v6, v8
	v_sub_u32_e32 v6, v24, v11
	v_sub_u32_e32 v7, v26, v6
	v_and_b32_e32 v8, 1, v30
	v_add_u32_e32 v7, 3, v7
	v_cmp_eq_u32_e32 vcc, 1, v8
	v_cndmask_b32_e32 v6, v7, v6, vcc
	v_lshlrev_b32_e32 v6, 2, v6
	ds_write_b32 v6, v9
	v_sub_u32_e32 v6, v23, v11
	v_sub_u32_e32 v7, v26, v6
	v_and_b32_e32 v8, 1, v17
	v_add_u32_e32 v7, 4, v7
	v_cmp_eq_u32_e32 vcc, 1, v8
	v_cndmask_b32_e32 v6, v7, v6, vcc
	v_lshlrev_b32_e32 v6, 2, v6
	v_lshrrev_b32_e32 v31, 8, v17
	ds_write_b32 v6, v2
	v_sub_u32_e32 v2, v22, v11
	v_sub_u32_e32 v6, v26, v2
	v_and_b32_e32 v7, 1, v31
	v_add_u32_e32 v6, 5, v6
	v_cmp_eq_u32_e32 vcc, 1, v7
	v_cndmask_b32_e32 v2, v6, v2, vcc
	v_lshlrev_b32_e32 v2, 2, v2
	ds_write_b32 v2, v3
	v_sub_u32_e32 v2, v21, v11
	v_sub_u32_e32 v3, v26, v2
	v_and_b32_sdwa v6, v25, v17 dst_sel:DWORD dst_unused:UNUSED_PAD src0_sel:DWORD src1_sel:WORD_1
	v_add_u32_e32 v3, 6, v3
	v_cmp_eq_u32_e32 vcc, 1, v6
	v_cndmask_b32_e32 v2, v3, v2, vcc
	v_lshlrev_b32_e32 v2, 2, v2
	ds_write_b32 v2, v4
	v_sub_u32_e32 v2, v20, v11
	v_sub_u32_e32 v3, v26, v2
	v_and_b32_e32 v4, 1, v29
	v_add_u32_e32 v3, 7, v3
	v_cmp_eq_u32_e32 vcc, 1, v4
	v_cndmask_b32_e32 v2, v3, v2, vcc
	v_lshlrev_b32_e32 v2, 2, v2
	ds_write_b32 v2, v5
	v_sub_u32_e32 v2, v19, v11
	v_sub_u32_e32 v3, v26, v2
	v_and_b32_e32 v4, 1, v28
	;; [unrolled: 8-line block ×3, first 2 shown]
	v_add_u32_e32 v3, 9, v3
	v_cmp_eq_u32_e32 vcc, 1, v4
	v_cndmask_b32_e32 v2, v3, v2, vcc
	s_add_u32 s2, s18, s28
	v_lshlrev_b32_e32 v2, 2, v2
	s_addc_u32 s3, s19, 0
	ds_write_b32 v2, v15
	s_waitcnt lgkmcnt(0)
	s_barrier
	ds_read2st64_b32 v[14:15], v1 offset1:4
	ds_read2st64_b32 v[8:9], v1 offset0:8 offset1:12
	ds_read2st64_b32 v[6:7], v1 offset0:16 offset1:20
	;; [unrolled: 1-line block ×4, first 2 shown]
	s_waitcnt vmcnt(0)
	v_add_co_u32_e32 v1, vcc, v12, v11
	s_sub_u32 s2, s26, s2
	v_addc_co_u32_e32 v11, vcc, 0, v13, vcc
	s_subb_u32 s3, s27, s3
	v_mov_b32_e32 v12, s3
	v_add_co_u32_e32 v13, vcc, s2, v10
	v_addc_co_u32_e32 v12, vcc, 0, v12, vcc
	v_add_co_u32_e64 v17, s[2:3], v13, v1
	v_or_b32_e32 v26, 0x100, v0
	v_or_b32_e32 v25, 0x200, v0
	;; [unrolled: 1-line block ×9, first 2 shown]
	s_andn2_b64 vcc, exec, s[30:31]
	v_addc_co_u32_e64 v18, s[2:3], v12, v11, s[2:3]
	s_cbranch_vccnz .LBB3620_134
; %bb.90:
	v_cmp_ge_u32_e32 vcc, v0, v10
                                        ; implicit-def: $vgpr12_vgpr13
	s_and_saveexec_b64 s[2:3], vcc
	s_xor_b64 s[2:3], exec, s[2:3]
; %bb.91:
	v_not_b32_e32 v12, v0
	v_ashrrev_i32_e32 v13, 31, v12
	v_add_co_u32_e32 v12, vcc, v17, v12
	v_addc_co_u32_e32 v13, vcc, v18, v13, vcc
; %bb.92:
	s_andn2_saveexec_b64 s[2:3], s[2:3]
; %bb.93:
	v_add_co_u32_e32 v12, vcc, v1, v0
	v_addc_co_u32_e32 v13, vcc, 0, v11, vcc
; %bb.94:
	s_or_b64 exec, exec, s[2:3]
	v_lshlrev_b64 v[12:13], 2, v[12:13]
	v_mov_b32_e32 v27, s25
	v_add_co_u32_e32 v12, vcc, s24, v12
	v_addc_co_u32_e32 v13, vcc, v27, v13, vcc
	v_cmp_ge_u32_e32 vcc, v26, v10
	s_waitcnt lgkmcnt(4)
	global_store_dword v[12:13], v14, off
                                        ; implicit-def: $vgpr12_vgpr13
	s_and_saveexec_b64 s[2:3], vcc
	s_xor_b64 s[2:3], exec, s[2:3]
; %bb.95:
	v_xor_b32_e32 v12, 0xfffffeff, v0
	v_ashrrev_i32_e32 v13, 31, v12
	v_add_co_u32_e32 v12, vcc, v17, v12
	v_addc_co_u32_e32 v13, vcc, v18, v13, vcc
; %bb.96:
	s_andn2_saveexec_b64 s[2:3], s[2:3]
; %bb.97:
	v_add_co_u32_e32 v12, vcc, v1, v26
	v_addc_co_u32_e32 v13, vcc, 0, v11, vcc
; %bb.98:
	s_or_b64 exec, exec, s[2:3]
	v_lshlrev_b64 v[12:13], 2, v[12:13]
	v_mov_b32_e32 v27, s25
	v_add_co_u32_e32 v12, vcc, s24, v12
	v_addc_co_u32_e32 v13, vcc, v27, v13, vcc
	v_cmp_ge_u32_e32 vcc, v25, v10
	global_store_dword v[12:13], v15, off
                                        ; implicit-def: $vgpr12_vgpr13
	s_and_saveexec_b64 s[2:3], vcc
	s_xor_b64 s[2:3], exec, s[2:3]
; %bb.99:
	v_xor_b32_e32 v12, 0xfffffdff, v0
	v_ashrrev_i32_e32 v13, 31, v12
	v_add_co_u32_e32 v12, vcc, v17, v12
	v_addc_co_u32_e32 v13, vcc, v18, v13, vcc
; %bb.100:
	s_andn2_saveexec_b64 s[2:3], s[2:3]
; %bb.101:
	v_add_co_u32_e32 v12, vcc, v1, v25
	v_addc_co_u32_e32 v13, vcc, 0, v11, vcc
; %bb.102:
	s_or_b64 exec, exec, s[2:3]
	v_lshlrev_b64 v[12:13], 2, v[12:13]
	v_mov_b32_e32 v27, s25
	v_add_co_u32_e32 v12, vcc, s24, v12
	v_addc_co_u32_e32 v13, vcc, v27, v13, vcc
	v_cmp_ge_u32_e32 vcc, v24, v10
	s_waitcnt lgkmcnt(3)
	global_store_dword v[12:13], v8, off
                                        ; implicit-def: $vgpr12_vgpr13
	s_and_saveexec_b64 s[2:3], vcc
	s_xor_b64 s[2:3], exec, s[2:3]
; %bb.103:
	v_xor_b32_e32 v12, 0xfffffcff, v0
	v_ashrrev_i32_e32 v13, 31, v12
	v_add_co_u32_e32 v12, vcc, v17, v12
	v_addc_co_u32_e32 v13, vcc, v18, v13, vcc
; %bb.104:
	s_andn2_saveexec_b64 s[2:3], s[2:3]
; %bb.105:
	v_add_co_u32_e32 v12, vcc, v1, v24
	v_addc_co_u32_e32 v13, vcc, 0, v11, vcc
; %bb.106:
	s_or_b64 exec, exec, s[2:3]
	v_lshlrev_b64 v[12:13], 2, v[12:13]
	v_mov_b32_e32 v27, s25
	v_add_co_u32_e32 v12, vcc, s24, v12
	v_addc_co_u32_e32 v13, vcc, v27, v13, vcc
	v_cmp_ge_u32_e32 vcc, v23, v10
	global_store_dword v[12:13], v9, off
                                        ; implicit-def: $vgpr12_vgpr13
	s_and_saveexec_b64 s[2:3], vcc
	s_xor_b64 s[2:3], exec, s[2:3]
; %bb.107:
	v_xor_b32_e32 v12, 0xfffffbff, v0
	;; [unrolled: 43-line block ×4, first 2 shown]
	v_ashrrev_i32_e32 v13, 31, v12
	v_add_co_u32_e32 v12, vcc, v17, v12
	v_addc_co_u32_e32 v13, vcc, v18, v13, vcc
; %bb.124:
	s_andn2_saveexec_b64 s[2:3], s[2:3]
; %bb.125:
	v_add_co_u32_e32 v12, vcc, v1, v19
	v_addc_co_u32_e32 v13, vcc, 0, v11, vcc
; %bb.126:
	s_or_b64 exec, exec, s[2:3]
	v_lshlrev_b64 v[12:13], 2, v[12:13]
	v_mov_b32_e32 v27, s25
	v_add_co_u32_e32 v12, vcc, s24, v12
	v_addc_co_u32_e32 v13, vcc, v27, v13, vcc
	v_cmp_ge_u32_e32 vcc, v16, v10
	s_waitcnt lgkmcnt(0)
	global_store_dword v[12:13], v2, off
                                        ; implicit-def: $vgpr12_vgpr13
	s_and_saveexec_b64 s[2:3], vcc
	s_xor_b64 s[2:3], exec, s[2:3]
; %bb.127:
	v_xor_b32_e32 v12, 0xfffff6ff, v0
	v_ashrrev_i32_e32 v13, 31, v12
	v_add_co_u32_e32 v12, vcc, v17, v12
	v_addc_co_u32_e32 v13, vcc, v18, v13, vcc
; %bb.128:
	s_andn2_saveexec_b64 s[2:3], s[2:3]
; %bb.129:
	v_add_co_u32_e32 v12, vcc, v1, v16
	v_addc_co_u32_e32 v13, vcc, 0, v11, vcc
; %bb.130:
	s_or_b64 exec, exec, s[2:3]
	s_mov_b64 s[2:3], -1
.LBB3620_131:
	s_and_saveexec_b64 s[4:5], s[2:3]
	s_cbranch_execz .LBB3620_162
.LBB3620_132:
	s_waitcnt lgkmcnt(1)
	v_lshlrev_b64 v[4:5], 2, v[12:13]
	v_mov_b32_e32 v0, s25
	v_add_co_u32_e32 v4, vcc, s24, v4
	v_addc_co_u32_e32 v5, vcc, v0, v5, vcc
	s_waitcnt lgkmcnt(0)
	global_store_dword v[4:5], v3, off
	s_or_b64 exec, exec, s[4:5]
	s_and_b64 s[0:1], s[0:1], s[22:23]
	s_and_saveexec_b64 s[2:3], s[0:1]
	s_cbranch_execnz .LBB3620_163
.LBB3620_133:
	s_endpgm
.LBB3620_134:
	s_mov_b64 s[2:3], 0
                                        ; implicit-def: $vgpr12_vgpr13
	s_cbranch_execz .LBB3620_131
; %bb.135:
	v_cmp_gt_u32_e32 vcc, s33, v0
	s_and_saveexec_b64 s[4:5], vcc
	s_cbranch_execz .LBB3620_164
; %bb.136:
	v_cmp_ge_u32_e32 vcc, v0, v10
                                        ; implicit-def: $vgpr12_vgpr13
	s_and_saveexec_b64 s[6:7], vcc
	s_xor_b64 s[6:7], exec, s[6:7]
; %bb.137:
	v_not_b32_e32 v12, v0
	v_ashrrev_i32_e32 v13, 31, v12
	v_add_co_u32_e32 v12, vcc, v17, v12
	v_addc_co_u32_e32 v13, vcc, v18, v13, vcc
; %bb.138:
	s_andn2_saveexec_b64 s[6:7], s[6:7]
; %bb.139:
	v_add_co_u32_e32 v12, vcc, v1, v0
	v_addc_co_u32_e32 v13, vcc, 0, v11, vcc
; %bb.140:
	s_or_b64 exec, exec, s[6:7]
	v_lshlrev_b64 v[12:13], 2, v[12:13]
	v_mov_b32_e32 v27, s25
	v_add_co_u32_e32 v12, vcc, s24, v12
	v_addc_co_u32_e32 v13, vcc, v27, v13, vcc
	s_waitcnt lgkmcnt(4)
	global_store_dword v[12:13], v14, off
	s_or_b64 exec, exec, s[4:5]
	v_cmp_gt_u32_e32 vcc, s33, v26
	s_and_saveexec_b64 s[4:5], vcc
	s_cbranch_execnz .LBB3620_165
.LBB3620_141:
	s_or_b64 exec, exec, s[4:5]
	v_cmp_gt_u32_e32 vcc, s33, v25
	s_and_saveexec_b64 s[4:5], vcc
	s_cbranch_execz .LBB3620_170
.LBB3620_142:
	v_cmp_ge_u32_e32 vcc, v25, v10
                                        ; implicit-def: $vgpr12_vgpr13
	s_and_saveexec_b64 s[6:7], vcc
	s_xor_b64 s[6:7], exec, s[6:7]
; %bb.143:
	v_xor_b32_e32 v12, 0xfffffdff, v0
	v_ashrrev_i32_e32 v13, 31, v12
	v_add_co_u32_e32 v12, vcc, v17, v12
	v_addc_co_u32_e32 v13, vcc, v18, v13, vcc
                                        ; implicit-def: $vgpr25
; %bb.144:
	s_andn2_saveexec_b64 s[6:7], s[6:7]
; %bb.145:
	v_add_co_u32_e32 v12, vcc, v1, v25
	v_addc_co_u32_e32 v13, vcc, 0, v11, vcc
; %bb.146:
	s_or_b64 exec, exec, s[6:7]
	v_lshlrev_b64 v[12:13], 2, v[12:13]
	s_waitcnt lgkmcnt(4)
	v_mov_b32_e32 v14, s25
	v_add_co_u32_e32 v12, vcc, s24, v12
	v_addc_co_u32_e32 v13, vcc, v14, v13, vcc
	s_waitcnt lgkmcnt(3)
	global_store_dword v[12:13], v8, off
	s_or_b64 exec, exec, s[4:5]
	v_cmp_gt_u32_e32 vcc, s33, v24
	s_and_saveexec_b64 s[4:5], vcc
	s_cbranch_execnz .LBB3620_171
.LBB3620_147:
	s_or_b64 exec, exec, s[4:5]
	v_cmp_gt_u32_e32 vcc, s33, v23
	s_and_saveexec_b64 s[4:5], vcc
	s_cbranch_execz .LBB3620_176
.LBB3620_148:
	v_cmp_ge_u32_e32 vcc, v23, v10
                                        ; implicit-def: $vgpr8_vgpr9
	s_and_saveexec_b64 s[6:7], vcc
	s_xor_b64 s[6:7], exec, s[6:7]
	s_cbranch_execz .LBB3620_150
; %bb.149:
	s_waitcnt lgkmcnt(3)
	v_xor_b32_e32 v8, 0xfffffbff, v0
	v_ashrrev_i32_e32 v9, 31, v8
	v_add_co_u32_e32 v8, vcc, v17, v8
	v_addc_co_u32_e32 v9, vcc, v18, v9, vcc
                                        ; implicit-def: $vgpr23
.LBB3620_150:
	s_andn2_saveexec_b64 s[6:7], s[6:7]
	s_cbranch_execz .LBB3620_152
; %bb.151:
	s_waitcnt lgkmcnt(3)
	v_add_co_u32_e32 v8, vcc, v1, v23
	v_addc_co_u32_e32 v9, vcc, 0, v11, vcc
.LBB3620_152:
	s_or_b64 exec, exec, s[6:7]
	s_waitcnt lgkmcnt(3)
	v_lshlrev_b64 v[8:9], 2, v[8:9]
	v_mov_b32_e32 v12, s25
	v_add_co_u32_e32 v8, vcc, s24, v8
	v_addc_co_u32_e32 v9, vcc, v12, v9, vcc
	s_waitcnt lgkmcnt(2)
	global_store_dword v[8:9], v6, off
	s_or_b64 exec, exec, s[4:5]
	v_cmp_gt_u32_e32 vcc, s33, v22
	s_and_saveexec_b64 s[4:5], vcc
	s_cbranch_execnz .LBB3620_177
.LBB3620_153:
	s_or_b64 exec, exec, s[4:5]
	v_cmp_gt_u32_e32 vcc, s33, v21
	s_and_saveexec_b64 s[4:5], vcc
	s_cbranch_execz .LBB3620_182
.LBB3620_154:
	v_cmp_ge_u32_e32 vcc, v21, v10
                                        ; implicit-def: $vgpr6_vgpr7
	s_and_saveexec_b64 s[6:7], vcc
	s_xor_b64 s[6:7], exec, s[6:7]
	s_cbranch_execz .LBB3620_156
; %bb.155:
	s_waitcnt lgkmcnt(2)
	v_xor_b32_e32 v6, 0xfffff9ff, v0
	v_ashrrev_i32_e32 v7, 31, v6
	v_add_co_u32_e32 v6, vcc, v17, v6
	v_addc_co_u32_e32 v7, vcc, v18, v7, vcc
                                        ; implicit-def: $vgpr21
.LBB3620_156:
	s_andn2_saveexec_b64 s[6:7], s[6:7]
	s_cbranch_execz .LBB3620_158
; %bb.157:
	s_waitcnt lgkmcnt(2)
	v_add_co_u32_e32 v6, vcc, v1, v21
	v_addc_co_u32_e32 v7, vcc, 0, v11, vcc
.LBB3620_158:
	s_or_b64 exec, exec, s[6:7]
	s_waitcnt lgkmcnt(2)
	v_lshlrev_b64 v[6:7], 2, v[6:7]
	v_mov_b32_e32 v8, s25
	v_add_co_u32_e32 v6, vcc, s24, v6
	v_addc_co_u32_e32 v7, vcc, v8, v7, vcc
	s_waitcnt lgkmcnt(1)
	global_store_dword v[6:7], v4, off
	s_or_b64 exec, exec, s[4:5]
	v_cmp_gt_u32_e32 vcc, s33, v20
	s_and_saveexec_b64 s[4:5], vcc
	s_cbranch_execnz .LBB3620_183
.LBB3620_159:
	s_or_b64 exec, exec, s[4:5]
	v_cmp_gt_u32_e32 vcc, s33, v19
	s_and_saveexec_b64 s[4:5], vcc
	s_cbranch_execnz .LBB3620_188
.LBB3620_160:
	s_or_b64 exec, exec, s[4:5]
	v_cmp_gt_u32_e32 vcc, s33, v16
                                        ; implicit-def: $vgpr12_vgpr13
	s_and_saveexec_b64 s[4:5], vcc
	s_cbranch_execnz .LBB3620_193
.LBB3620_161:
	s_or_b64 exec, exec, s[4:5]
	s_and_saveexec_b64 s[4:5], s[2:3]
	s_cbranch_execnz .LBB3620_132
.LBB3620_162:
	s_or_b64 exec, exec, s[4:5]
	s_and_b64 s[0:1], s[0:1], s[22:23]
	s_and_saveexec_b64 s[2:3], s[0:1]
	s_cbranch_execz .LBB3620_133
.LBB3620_163:
	v_add_co_u32_e32 v0, vcc, v1, v10
	s_waitcnt lgkmcnt(0)
	v_mov_b32_e32 v2, 0
	v_addc_co_u32_e32 v1, vcc, 0, v11, vcc
	global_store_dwordx2 v2, v[0:1], s[20:21]
	s_endpgm
.LBB3620_164:
	s_or_b64 exec, exec, s[4:5]
	v_cmp_gt_u32_e32 vcc, s33, v26
	s_and_saveexec_b64 s[4:5], vcc
	s_cbranch_execz .LBB3620_141
.LBB3620_165:
	v_cmp_ge_u32_e32 vcc, v26, v10
                                        ; implicit-def: $vgpr12_vgpr13
	s_and_saveexec_b64 s[6:7], vcc
	s_xor_b64 s[6:7], exec, s[6:7]
; %bb.166:
	v_xor_b32_e32 v12, 0xfffffeff, v0
	v_ashrrev_i32_e32 v13, 31, v12
	v_add_co_u32_e32 v12, vcc, v17, v12
	v_addc_co_u32_e32 v13, vcc, v18, v13, vcc
                                        ; implicit-def: $vgpr26
; %bb.167:
	s_andn2_saveexec_b64 s[6:7], s[6:7]
; %bb.168:
	v_add_co_u32_e32 v12, vcc, v1, v26
	v_addc_co_u32_e32 v13, vcc, 0, v11, vcc
; %bb.169:
	s_or_b64 exec, exec, s[6:7]
	v_lshlrev_b64 v[12:13], 2, v[12:13]
	s_waitcnt lgkmcnt(4)
	v_mov_b32_e32 v14, s25
	v_add_co_u32_e32 v12, vcc, s24, v12
	v_addc_co_u32_e32 v13, vcc, v14, v13, vcc
	global_store_dword v[12:13], v15, off
	s_or_b64 exec, exec, s[4:5]
	v_cmp_gt_u32_e32 vcc, s33, v25
	s_and_saveexec_b64 s[4:5], vcc
	s_cbranch_execnz .LBB3620_142
.LBB3620_170:
	s_or_b64 exec, exec, s[4:5]
	v_cmp_gt_u32_e32 vcc, s33, v24
	s_and_saveexec_b64 s[4:5], vcc
	s_cbranch_execz .LBB3620_147
.LBB3620_171:
	v_cmp_ge_u32_e32 vcc, v24, v10
                                        ; implicit-def: $vgpr12_vgpr13
	s_and_saveexec_b64 s[6:7], vcc
	s_xor_b64 s[6:7], exec, s[6:7]
	s_cbranch_execz .LBB3620_173
; %bb.172:
	s_waitcnt lgkmcnt(3)
	v_xor_b32_e32 v8, 0xfffffcff, v0
	v_ashrrev_i32_e32 v13, 31, v8
	v_add_co_u32_e32 v12, vcc, v17, v8
	v_addc_co_u32_e32 v13, vcc, v18, v13, vcc
                                        ; implicit-def: $vgpr24
.LBB3620_173:
	s_andn2_saveexec_b64 s[6:7], s[6:7]
; %bb.174:
	v_add_co_u32_e32 v12, vcc, v1, v24
	v_addc_co_u32_e32 v13, vcc, 0, v11, vcc
; %bb.175:
	s_or_b64 exec, exec, s[6:7]
	v_lshlrev_b64 v[12:13], 2, v[12:13]
	s_waitcnt lgkmcnt(3)
	v_mov_b32_e32 v8, s25
	v_add_co_u32_e32 v12, vcc, s24, v12
	v_addc_co_u32_e32 v13, vcc, v8, v13, vcc
	global_store_dword v[12:13], v9, off
	s_or_b64 exec, exec, s[4:5]
	v_cmp_gt_u32_e32 vcc, s33, v23
	s_and_saveexec_b64 s[4:5], vcc
	s_cbranch_execnz .LBB3620_148
.LBB3620_176:
	s_or_b64 exec, exec, s[4:5]
	v_cmp_gt_u32_e32 vcc, s33, v22
	s_and_saveexec_b64 s[4:5], vcc
	s_cbranch_execz .LBB3620_153
.LBB3620_177:
	v_cmp_ge_u32_e32 vcc, v22, v10
                                        ; implicit-def: $vgpr8_vgpr9
	s_and_saveexec_b64 s[6:7], vcc
	s_xor_b64 s[6:7], exec, s[6:7]
	s_cbranch_execz .LBB3620_179
; %bb.178:
	s_waitcnt lgkmcnt(2)
	v_xor_b32_e32 v6, 0xfffffaff, v0
	v_ashrrev_i32_e32 v9, 31, v6
	v_add_co_u32_e32 v8, vcc, v17, v6
	v_addc_co_u32_e32 v9, vcc, v18, v9, vcc
                                        ; implicit-def: $vgpr22
.LBB3620_179:
	s_andn2_saveexec_b64 s[6:7], s[6:7]
	s_cbranch_execz .LBB3620_181
; %bb.180:
	s_waitcnt lgkmcnt(3)
	v_add_co_u32_e32 v8, vcc, v1, v22
	v_addc_co_u32_e32 v9, vcc, 0, v11, vcc
.LBB3620_181:
	s_or_b64 exec, exec, s[6:7]
	s_waitcnt lgkmcnt(3)
	v_lshlrev_b64 v[8:9], 2, v[8:9]
	s_waitcnt lgkmcnt(2)
	v_mov_b32_e32 v6, s25
	v_add_co_u32_e32 v8, vcc, s24, v8
	v_addc_co_u32_e32 v9, vcc, v6, v9, vcc
	global_store_dword v[8:9], v7, off
	s_or_b64 exec, exec, s[4:5]
	v_cmp_gt_u32_e32 vcc, s33, v21
	s_and_saveexec_b64 s[4:5], vcc
	s_cbranch_execnz .LBB3620_154
.LBB3620_182:
	s_or_b64 exec, exec, s[4:5]
	v_cmp_gt_u32_e32 vcc, s33, v20
	s_and_saveexec_b64 s[4:5], vcc
	s_cbranch_execz .LBB3620_159
.LBB3620_183:
	v_cmp_ge_u32_e32 vcc, v20, v10
                                        ; implicit-def: $vgpr6_vgpr7
	s_and_saveexec_b64 s[6:7], vcc
	s_xor_b64 s[6:7], exec, s[6:7]
	s_cbranch_execz .LBB3620_185
; %bb.184:
	s_waitcnt lgkmcnt(1)
	v_xor_b32_e32 v4, 0xfffff8ff, v0
	v_ashrrev_i32_e32 v7, 31, v4
	v_add_co_u32_e32 v6, vcc, v17, v4
	v_addc_co_u32_e32 v7, vcc, v18, v7, vcc
                                        ; implicit-def: $vgpr20
.LBB3620_185:
	s_andn2_saveexec_b64 s[6:7], s[6:7]
	s_cbranch_execz .LBB3620_187
; %bb.186:
	s_waitcnt lgkmcnt(2)
	v_add_co_u32_e32 v6, vcc, v1, v20
	v_addc_co_u32_e32 v7, vcc, 0, v11, vcc
.LBB3620_187:
	s_or_b64 exec, exec, s[6:7]
	s_waitcnt lgkmcnt(2)
	v_lshlrev_b64 v[6:7], 2, v[6:7]
	s_waitcnt lgkmcnt(1)
	v_mov_b32_e32 v4, s25
	v_add_co_u32_e32 v6, vcc, s24, v6
	v_addc_co_u32_e32 v7, vcc, v4, v7, vcc
	global_store_dword v[6:7], v5, off
	s_or_b64 exec, exec, s[4:5]
	v_cmp_gt_u32_e32 vcc, s33, v19
	s_and_saveexec_b64 s[4:5], vcc
	s_cbranch_execz .LBB3620_160
.LBB3620_188:
	v_cmp_ge_u32_e32 vcc, v19, v10
                                        ; implicit-def: $vgpr4_vgpr5
	s_and_saveexec_b64 s[6:7], vcc
	s_xor_b64 s[6:7], exec, s[6:7]
	s_cbranch_execz .LBB3620_190
; %bb.189:
	s_waitcnt lgkmcnt(1)
	v_xor_b32_e32 v4, 0xfffff7ff, v0
	v_ashrrev_i32_e32 v5, 31, v4
	v_add_co_u32_e32 v4, vcc, v17, v4
	v_addc_co_u32_e32 v5, vcc, v18, v5, vcc
                                        ; implicit-def: $vgpr19
.LBB3620_190:
	s_andn2_saveexec_b64 s[6:7], s[6:7]
	s_cbranch_execz .LBB3620_192
; %bb.191:
	s_waitcnt lgkmcnt(1)
	v_add_co_u32_e32 v4, vcc, v1, v19
	v_addc_co_u32_e32 v5, vcc, 0, v11, vcc
.LBB3620_192:
	s_or_b64 exec, exec, s[6:7]
	s_waitcnt lgkmcnt(1)
	v_lshlrev_b64 v[4:5], 2, v[4:5]
	v_mov_b32_e32 v6, s25
	v_add_co_u32_e32 v4, vcc, s24, v4
	v_addc_co_u32_e32 v5, vcc, v6, v5, vcc
	s_waitcnt lgkmcnt(0)
	global_store_dword v[4:5], v2, off
	s_or_b64 exec, exec, s[4:5]
	v_cmp_gt_u32_e32 vcc, s33, v16
                                        ; implicit-def: $vgpr12_vgpr13
	s_and_saveexec_b64 s[4:5], vcc
	s_cbranch_execz .LBB3620_161
.LBB3620_193:
	v_cmp_ge_u32_e32 vcc, v16, v10
                                        ; implicit-def: $vgpr12_vgpr13
	s_and_saveexec_b64 s[6:7], vcc
	s_xor_b64 s[6:7], exec, s[6:7]
	s_cbranch_execz .LBB3620_195
; %bb.194:
	v_xor_b32_e32 v0, 0xfffff6ff, v0
	s_waitcnt lgkmcnt(0)
	v_ashrrev_i32_e32 v2, 31, v0
	v_add_co_u32_e32 v12, vcc, v17, v0
	v_addc_co_u32_e32 v13, vcc, v18, v2, vcc
                                        ; implicit-def: $vgpr16
.LBB3620_195:
	s_andn2_saveexec_b64 s[6:7], s[6:7]
; %bb.196:
	v_add_co_u32_e32 v12, vcc, v1, v16
	v_addc_co_u32_e32 v13, vcc, 0, v11, vcc
; %bb.197:
	s_or_b64 exec, exec, s[6:7]
	s_or_b64 s[2:3], s[2:3], exec
	s_or_b64 exec, exec, s[4:5]
	s_and_saveexec_b64 s[4:5], s[2:3]
	s_cbranch_execnz .LBB3620_132
	s_branch .LBB3620_162
	.section	.rodata,"a",@progbits
	.p2align	6, 0x0
	.amdhsa_kernel _ZN7rocprim17ROCPRIM_400000_NS6detail17trampoline_kernelINS0_14default_configENS1_25partition_config_selectorILNS1_17partition_subalgoE2EiNS0_10empty_typeEbEEZZNS1_14partition_implILS5_2ELb0ES3_jN6thrust23THRUST_200600_302600_NS6detail15normal_iteratorINSA_7pointerIiNSA_11hip_rocprim3tagENSA_11use_defaultESG_EEEEPS6_NSA_18transform_iteratorI10is_orderedNSA_12zip_iteratorINSA_5tupleINSC_INSA_10device_ptrIiEEEESQ_NSA_9null_typeESR_SR_SR_SR_SR_SR_SR_EEEESG_SG_EENS0_5tupleIJPiSJ_EEENSV_IJSJ_SJ_EEES6_PlJS6_EEE10hipError_tPvRmT3_T4_T5_T6_T7_T9_mT8_P12ihipStream_tbDpT10_ENKUlT_T0_E_clISt17integral_constantIbLb0EES1I_IbLb1EEEEDaS1E_S1F_EUlS1E_E_NS1_11comp_targetILNS1_3genE4ELNS1_11target_archE910ELNS1_3gpuE8ELNS1_3repE0EEENS1_30default_config_static_selectorELNS0_4arch9wavefront6targetE1EEEvT1_
		.amdhsa_group_segment_fixed_size 10248
		.amdhsa_private_segment_fixed_size 0
		.amdhsa_kernarg_size 152
		.amdhsa_user_sgpr_count 6
		.amdhsa_user_sgpr_private_segment_buffer 1
		.amdhsa_user_sgpr_dispatch_ptr 0
		.amdhsa_user_sgpr_queue_ptr 0
		.amdhsa_user_sgpr_kernarg_segment_ptr 1
		.amdhsa_user_sgpr_dispatch_id 0
		.amdhsa_user_sgpr_flat_scratch_init 0
		.amdhsa_user_sgpr_kernarg_preload_length 0
		.amdhsa_user_sgpr_kernarg_preload_offset 0
		.amdhsa_user_sgpr_private_segment_size 0
		.amdhsa_uses_dynamic_stack 0
		.amdhsa_system_sgpr_private_segment_wavefront_offset 0
		.amdhsa_system_sgpr_workgroup_id_x 1
		.amdhsa_system_sgpr_workgroup_id_y 0
		.amdhsa_system_sgpr_workgroup_id_z 0
		.amdhsa_system_sgpr_workgroup_info 0
		.amdhsa_system_vgpr_workitem_id 0
		.amdhsa_next_free_vgpr 55
		.amdhsa_next_free_sgpr 46
		.amdhsa_accum_offset 56
		.amdhsa_reserve_vcc 1
		.amdhsa_reserve_flat_scratch 0
		.amdhsa_float_round_mode_32 0
		.amdhsa_float_round_mode_16_64 0
		.amdhsa_float_denorm_mode_32 3
		.amdhsa_float_denorm_mode_16_64 3
		.amdhsa_dx10_clamp 1
		.amdhsa_ieee_mode 1
		.amdhsa_fp16_overflow 0
		.amdhsa_tg_split 0
		.amdhsa_exception_fp_ieee_invalid_op 0
		.amdhsa_exception_fp_denorm_src 0
		.amdhsa_exception_fp_ieee_div_zero 0
		.amdhsa_exception_fp_ieee_overflow 0
		.amdhsa_exception_fp_ieee_underflow 0
		.amdhsa_exception_fp_ieee_inexact 0
		.amdhsa_exception_int_div_zero 0
	.end_amdhsa_kernel
	.section	.text._ZN7rocprim17ROCPRIM_400000_NS6detail17trampoline_kernelINS0_14default_configENS1_25partition_config_selectorILNS1_17partition_subalgoE2EiNS0_10empty_typeEbEEZZNS1_14partition_implILS5_2ELb0ES3_jN6thrust23THRUST_200600_302600_NS6detail15normal_iteratorINSA_7pointerIiNSA_11hip_rocprim3tagENSA_11use_defaultESG_EEEEPS6_NSA_18transform_iteratorI10is_orderedNSA_12zip_iteratorINSA_5tupleINSC_INSA_10device_ptrIiEEEESQ_NSA_9null_typeESR_SR_SR_SR_SR_SR_SR_EEEESG_SG_EENS0_5tupleIJPiSJ_EEENSV_IJSJ_SJ_EEES6_PlJS6_EEE10hipError_tPvRmT3_T4_T5_T6_T7_T9_mT8_P12ihipStream_tbDpT10_ENKUlT_T0_E_clISt17integral_constantIbLb0EES1I_IbLb1EEEEDaS1E_S1F_EUlS1E_E_NS1_11comp_targetILNS1_3genE4ELNS1_11target_archE910ELNS1_3gpuE8ELNS1_3repE0EEENS1_30default_config_static_selectorELNS0_4arch9wavefront6targetE1EEEvT1_,"axG",@progbits,_ZN7rocprim17ROCPRIM_400000_NS6detail17trampoline_kernelINS0_14default_configENS1_25partition_config_selectorILNS1_17partition_subalgoE2EiNS0_10empty_typeEbEEZZNS1_14partition_implILS5_2ELb0ES3_jN6thrust23THRUST_200600_302600_NS6detail15normal_iteratorINSA_7pointerIiNSA_11hip_rocprim3tagENSA_11use_defaultESG_EEEEPS6_NSA_18transform_iteratorI10is_orderedNSA_12zip_iteratorINSA_5tupleINSC_INSA_10device_ptrIiEEEESQ_NSA_9null_typeESR_SR_SR_SR_SR_SR_SR_EEEESG_SG_EENS0_5tupleIJPiSJ_EEENSV_IJSJ_SJ_EEES6_PlJS6_EEE10hipError_tPvRmT3_T4_T5_T6_T7_T9_mT8_P12ihipStream_tbDpT10_ENKUlT_T0_E_clISt17integral_constantIbLb0EES1I_IbLb1EEEEDaS1E_S1F_EUlS1E_E_NS1_11comp_targetILNS1_3genE4ELNS1_11target_archE910ELNS1_3gpuE8ELNS1_3repE0EEENS1_30default_config_static_selectorELNS0_4arch9wavefront6targetE1EEEvT1_,comdat
.Lfunc_end3620:
	.size	_ZN7rocprim17ROCPRIM_400000_NS6detail17trampoline_kernelINS0_14default_configENS1_25partition_config_selectorILNS1_17partition_subalgoE2EiNS0_10empty_typeEbEEZZNS1_14partition_implILS5_2ELb0ES3_jN6thrust23THRUST_200600_302600_NS6detail15normal_iteratorINSA_7pointerIiNSA_11hip_rocprim3tagENSA_11use_defaultESG_EEEEPS6_NSA_18transform_iteratorI10is_orderedNSA_12zip_iteratorINSA_5tupleINSC_INSA_10device_ptrIiEEEESQ_NSA_9null_typeESR_SR_SR_SR_SR_SR_SR_EEEESG_SG_EENS0_5tupleIJPiSJ_EEENSV_IJSJ_SJ_EEES6_PlJS6_EEE10hipError_tPvRmT3_T4_T5_T6_T7_T9_mT8_P12ihipStream_tbDpT10_ENKUlT_T0_E_clISt17integral_constantIbLb0EES1I_IbLb1EEEEDaS1E_S1F_EUlS1E_E_NS1_11comp_targetILNS1_3genE4ELNS1_11target_archE910ELNS1_3gpuE8ELNS1_3repE0EEENS1_30default_config_static_selectorELNS0_4arch9wavefront6targetE1EEEvT1_, .Lfunc_end3620-_ZN7rocprim17ROCPRIM_400000_NS6detail17trampoline_kernelINS0_14default_configENS1_25partition_config_selectorILNS1_17partition_subalgoE2EiNS0_10empty_typeEbEEZZNS1_14partition_implILS5_2ELb0ES3_jN6thrust23THRUST_200600_302600_NS6detail15normal_iteratorINSA_7pointerIiNSA_11hip_rocprim3tagENSA_11use_defaultESG_EEEEPS6_NSA_18transform_iteratorI10is_orderedNSA_12zip_iteratorINSA_5tupleINSC_INSA_10device_ptrIiEEEESQ_NSA_9null_typeESR_SR_SR_SR_SR_SR_SR_EEEESG_SG_EENS0_5tupleIJPiSJ_EEENSV_IJSJ_SJ_EEES6_PlJS6_EEE10hipError_tPvRmT3_T4_T5_T6_T7_T9_mT8_P12ihipStream_tbDpT10_ENKUlT_T0_E_clISt17integral_constantIbLb0EES1I_IbLb1EEEEDaS1E_S1F_EUlS1E_E_NS1_11comp_targetILNS1_3genE4ELNS1_11target_archE910ELNS1_3gpuE8ELNS1_3repE0EEENS1_30default_config_static_selectorELNS0_4arch9wavefront6targetE1EEEvT1_
                                        ; -- End function
	.section	.AMDGPU.csdata,"",@progbits
; Kernel info:
; codeLenInByte = 7020
; NumSgprs: 50
; NumVgprs: 55
; NumAgprs: 0
; TotalNumVgprs: 55
; ScratchSize: 0
; MemoryBound: 0
; FloatMode: 240
; IeeeMode: 1
; LDSByteSize: 10248 bytes/workgroup (compile time only)
; SGPRBlocks: 6
; VGPRBlocks: 6
; NumSGPRsForWavesPerEU: 50
; NumVGPRsForWavesPerEU: 55
; AccumOffset: 56
; Occupancy: 6
; WaveLimiterHint : 1
; COMPUTE_PGM_RSRC2:SCRATCH_EN: 0
; COMPUTE_PGM_RSRC2:USER_SGPR: 6
; COMPUTE_PGM_RSRC2:TRAP_HANDLER: 0
; COMPUTE_PGM_RSRC2:TGID_X_EN: 1
; COMPUTE_PGM_RSRC2:TGID_Y_EN: 0
; COMPUTE_PGM_RSRC2:TGID_Z_EN: 0
; COMPUTE_PGM_RSRC2:TIDIG_COMP_CNT: 0
; COMPUTE_PGM_RSRC3_GFX90A:ACCUM_OFFSET: 13
; COMPUTE_PGM_RSRC3_GFX90A:TG_SPLIT: 0
	.section	.text._ZN7rocprim17ROCPRIM_400000_NS6detail17trampoline_kernelINS0_14default_configENS1_25partition_config_selectorILNS1_17partition_subalgoE2EiNS0_10empty_typeEbEEZZNS1_14partition_implILS5_2ELb0ES3_jN6thrust23THRUST_200600_302600_NS6detail15normal_iteratorINSA_7pointerIiNSA_11hip_rocprim3tagENSA_11use_defaultESG_EEEEPS6_NSA_18transform_iteratorI10is_orderedNSA_12zip_iteratorINSA_5tupleINSC_INSA_10device_ptrIiEEEESQ_NSA_9null_typeESR_SR_SR_SR_SR_SR_SR_EEEESG_SG_EENS0_5tupleIJPiSJ_EEENSV_IJSJ_SJ_EEES6_PlJS6_EEE10hipError_tPvRmT3_T4_T5_T6_T7_T9_mT8_P12ihipStream_tbDpT10_ENKUlT_T0_E_clISt17integral_constantIbLb0EES1I_IbLb1EEEEDaS1E_S1F_EUlS1E_E_NS1_11comp_targetILNS1_3genE3ELNS1_11target_archE908ELNS1_3gpuE7ELNS1_3repE0EEENS1_30default_config_static_selectorELNS0_4arch9wavefront6targetE1EEEvT1_,"axG",@progbits,_ZN7rocprim17ROCPRIM_400000_NS6detail17trampoline_kernelINS0_14default_configENS1_25partition_config_selectorILNS1_17partition_subalgoE2EiNS0_10empty_typeEbEEZZNS1_14partition_implILS5_2ELb0ES3_jN6thrust23THRUST_200600_302600_NS6detail15normal_iteratorINSA_7pointerIiNSA_11hip_rocprim3tagENSA_11use_defaultESG_EEEEPS6_NSA_18transform_iteratorI10is_orderedNSA_12zip_iteratorINSA_5tupleINSC_INSA_10device_ptrIiEEEESQ_NSA_9null_typeESR_SR_SR_SR_SR_SR_SR_EEEESG_SG_EENS0_5tupleIJPiSJ_EEENSV_IJSJ_SJ_EEES6_PlJS6_EEE10hipError_tPvRmT3_T4_T5_T6_T7_T9_mT8_P12ihipStream_tbDpT10_ENKUlT_T0_E_clISt17integral_constantIbLb0EES1I_IbLb1EEEEDaS1E_S1F_EUlS1E_E_NS1_11comp_targetILNS1_3genE3ELNS1_11target_archE908ELNS1_3gpuE7ELNS1_3repE0EEENS1_30default_config_static_selectorELNS0_4arch9wavefront6targetE1EEEvT1_,comdat
	.protected	_ZN7rocprim17ROCPRIM_400000_NS6detail17trampoline_kernelINS0_14default_configENS1_25partition_config_selectorILNS1_17partition_subalgoE2EiNS0_10empty_typeEbEEZZNS1_14partition_implILS5_2ELb0ES3_jN6thrust23THRUST_200600_302600_NS6detail15normal_iteratorINSA_7pointerIiNSA_11hip_rocprim3tagENSA_11use_defaultESG_EEEEPS6_NSA_18transform_iteratorI10is_orderedNSA_12zip_iteratorINSA_5tupleINSC_INSA_10device_ptrIiEEEESQ_NSA_9null_typeESR_SR_SR_SR_SR_SR_SR_EEEESG_SG_EENS0_5tupleIJPiSJ_EEENSV_IJSJ_SJ_EEES6_PlJS6_EEE10hipError_tPvRmT3_T4_T5_T6_T7_T9_mT8_P12ihipStream_tbDpT10_ENKUlT_T0_E_clISt17integral_constantIbLb0EES1I_IbLb1EEEEDaS1E_S1F_EUlS1E_E_NS1_11comp_targetILNS1_3genE3ELNS1_11target_archE908ELNS1_3gpuE7ELNS1_3repE0EEENS1_30default_config_static_selectorELNS0_4arch9wavefront6targetE1EEEvT1_ ; -- Begin function _ZN7rocprim17ROCPRIM_400000_NS6detail17trampoline_kernelINS0_14default_configENS1_25partition_config_selectorILNS1_17partition_subalgoE2EiNS0_10empty_typeEbEEZZNS1_14partition_implILS5_2ELb0ES3_jN6thrust23THRUST_200600_302600_NS6detail15normal_iteratorINSA_7pointerIiNSA_11hip_rocprim3tagENSA_11use_defaultESG_EEEEPS6_NSA_18transform_iteratorI10is_orderedNSA_12zip_iteratorINSA_5tupleINSC_INSA_10device_ptrIiEEEESQ_NSA_9null_typeESR_SR_SR_SR_SR_SR_SR_EEEESG_SG_EENS0_5tupleIJPiSJ_EEENSV_IJSJ_SJ_EEES6_PlJS6_EEE10hipError_tPvRmT3_T4_T5_T6_T7_T9_mT8_P12ihipStream_tbDpT10_ENKUlT_T0_E_clISt17integral_constantIbLb0EES1I_IbLb1EEEEDaS1E_S1F_EUlS1E_E_NS1_11comp_targetILNS1_3genE3ELNS1_11target_archE908ELNS1_3gpuE7ELNS1_3repE0EEENS1_30default_config_static_selectorELNS0_4arch9wavefront6targetE1EEEvT1_
	.globl	_ZN7rocprim17ROCPRIM_400000_NS6detail17trampoline_kernelINS0_14default_configENS1_25partition_config_selectorILNS1_17partition_subalgoE2EiNS0_10empty_typeEbEEZZNS1_14partition_implILS5_2ELb0ES3_jN6thrust23THRUST_200600_302600_NS6detail15normal_iteratorINSA_7pointerIiNSA_11hip_rocprim3tagENSA_11use_defaultESG_EEEEPS6_NSA_18transform_iteratorI10is_orderedNSA_12zip_iteratorINSA_5tupleINSC_INSA_10device_ptrIiEEEESQ_NSA_9null_typeESR_SR_SR_SR_SR_SR_SR_EEEESG_SG_EENS0_5tupleIJPiSJ_EEENSV_IJSJ_SJ_EEES6_PlJS6_EEE10hipError_tPvRmT3_T4_T5_T6_T7_T9_mT8_P12ihipStream_tbDpT10_ENKUlT_T0_E_clISt17integral_constantIbLb0EES1I_IbLb1EEEEDaS1E_S1F_EUlS1E_E_NS1_11comp_targetILNS1_3genE3ELNS1_11target_archE908ELNS1_3gpuE7ELNS1_3repE0EEENS1_30default_config_static_selectorELNS0_4arch9wavefront6targetE1EEEvT1_
	.p2align	8
	.type	_ZN7rocprim17ROCPRIM_400000_NS6detail17trampoline_kernelINS0_14default_configENS1_25partition_config_selectorILNS1_17partition_subalgoE2EiNS0_10empty_typeEbEEZZNS1_14partition_implILS5_2ELb0ES3_jN6thrust23THRUST_200600_302600_NS6detail15normal_iteratorINSA_7pointerIiNSA_11hip_rocprim3tagENSA_11use_defaultESG_EEEEPS6_NSA_18transform_iteratorI10is_orderedNSA_12zip_iteratorINSA_5tupleINSC_INSA_10device_ptrIiEEEESQ_NSA_9null_typeESR_SR_SR_SR_SR_SR_SR_EEEESG_SG_EENS0_5tupleIJPiSJ_EEENSV_IJSJ_SJ_EEES6_PlJS6_EEE10hipError_tPvRmT3_T4_T5_T6_T7_T9_mT8_P12ihipStream_tbDpT10_ENKUlT_T0_E_clISt17integral_constantIbLb0EES1I_IbLb1EEEEDaS1E_S1F_EUlS1E_E_NS1_11comp_targetILNS1_3genE3ELNS1_11target_archE908ELNS1_3gpuE7ELNS1_3repE0EEENS1_30default_config_static_selectorELNS0_4arch9wavefront6targetE1EEEvT1_,@function
_ZN7rocprim17ROCPRIM_400000_NS6detail17trampoline_kernelINS0_14default_configENS1_25partition_config_selectorILNS1_17partition_subalgoE2EiNS0_10empty_typeEbEEZZNS1_14partition_implILS5_2ELb0ES3_jN6thrust23THRUST_200600_302600_NS6detail15normal_iteratorINSA_7pointerIiNSA_11hip_rocprim3tagENSA_11use_defaultESG_EEEEPS6_NSA_18transform_iteratorI10is_orderedNSA_12zip_iteratorINSA_5tupleINSC_INSA_10device_ptrIiEEEESQ_NSA_9null_typeESR_SR_SR_SR_SR_SR_SR_EEEESG_SG_EENS0_5tupleIJPiSJ_EEENSV_IJSJ_SJ_EEES6_PlJS6_EEE10hipError_tPvRmT3_T4_T5_T6_T7_T9_mT8_P12ihipStream_tbDpT10_ENKUlT_T0_E_clISt17integral_constantIbLb0EES1I_IbLb1EEEEDaS1E_S1F_EUlS1E_E_NS1_11comp_targetILNS1_3genE3ELNS1_11target_archE908ELNS1_3gpuE7ELNS1_3repE0EEENS1_30default_config_static_selectorELNS0_4arch9wavefront6targetE1EEEvT1_: ; @_ZN7rocprim17ROCPRIM_400000_NS6detail17trampoline_kernelINS0_14default_configENS1_25partition_config_selectorILNS1_17partition_subalgoE2EiNS0_10empty_typeEbEEZZNS1_14partition_implILS5_2ELb0ES3_jN6thrust23THRUST_200600_302600_NS6detail15normal_iteratorINSA_7pointerIiNSA_11hip_rocprim3tagENSA_11use_defaultESG_EEEEPS6_NSA_18transform_iteratorI10is_orderedNSA_12zip_iteratorINSA_5tupleINSC_INSA_10device_ptrIiEEEESQ_NSA_9null_typeESR_SR_SR_SR_SR_SR_SR_EEEESG_SG_EENS0_5tupleIJPiSJ_EEENSV_IJSJ_SJ_EEES6_PlJS6_EEE10hipError_tPvRmT3_T4_T5_T6_T7_T9_mT8_P12ihipStream_tbDpT10_ENKUlT_T0_E_clISt17integral_constantIbLb0EES1I_IbLb1EEEEDaS1E_S1F_EUlS1E_E_NS1_11comp_targetILNS1_3genE3ELNS1_11target_archE908ELNS1_3gpuE7ELNS1_3repE0EEENS1_30default_config_static_selectorELNS0_4arch9wavefront6targetE1EEEvT1_
; %bb.0:
	.section	.rodata,"a",@progbits
	.p2align	6, 0x0
	.amdhsa_kernel _ZN7rocprim17ROCPRIM_400000_NS6detail17trampoline_kernelINS0_14default_configENS1_25partition_config_selectorILNS1_17partition_subalgoE2EiNS0_10empty_typeEbEEZZNS1_14partition_implILS5_2ELb0ES3_jN6thrust23THRUST_200600_302600_NS6detail15normal_iteratorINSA_7pointerIiNSA_11hip_rocprim3tagENSA_11use_defaultESG_EEEEPS6_NSA_18transform_iteratorI10is_orderedNSA_12zip_iteratorINSA_5tupleINSC_INSA_10device_ptrIiEEEESQ_NSA_9null_typeESR_SR_SR_SR_SR_SR_SR_EEEESG_SG_EENS0_5tupleIJPiSJ_EEENSV_IJSJ_SJ_EEES6_PlJS6_EEE10hipError_tPvRmT3_T4_T5_T6_T7_T9_mT8_P12ihipStream_tbDpT10_ENKUlT_T0_E_clISt17integral_constantIbLb0EES1I_IbLb1EEEEDaS1E_S1F_EUlS1E_E_NS1_11comp_targetILNS1_3genE3ELNS1_11target_archE908ELNS1_3gpuE7ELNS1_3repE0EEENS1_30default_config_static_selectorELNS0_4arch9wavefront6targetE1EEEvT1_
		.amdhsa_group_segment_fixed_size 0
		.amdhsa_private_segment_fixed_size 0
		.amdhsa_kernarg_size 152
		.amdhsa_user_sgpr_count 6
		.amdhsa_user_sgpr_private_segment_buffer 1
		.amdhsa_user_sgpr_dispatch_ptr 0
		.amdhsa_user_sgpr_queue_ptr 0
		.amdhsa_user_sgpr_kernarg_segment_ptr 1
		.amdhsa_user_sgpr_dispatch_id 0
		.amdhsa_user_sgpr_flat_scratch_init 0
		.amdhsa_user_sgpr_kernarg_preload_length 0
		.amdhsa_user_sgpr_kernarg_preload_offset 0
		.amdhsa_user_sgpr_private_segment_size 0
		.amdhsa_uses_dynamic_stack 0
		.amdhsa_system_sgpr_private_segment_wavefront_offset 0
		.amdhsa_system_sgpr_workgroup_id_x 1
		.amdhsa_system_sgpr_workgroup_id_y 0
		.amdhsa_system_sgpr_workgroup_id_z 0
		.amdhsa_system_sgpr_workgroup_info 0
		.amdhsa_system_vgpr_workitem_id 0
		.amdhsa_next_free_vgpr 1
		.amdhsa_next_free_sgpr 0
		.amdhsa_accum_offset 4
		.amdhsa_reserve_vcc 0
		.amdhsa_reserve_flat_scratch 0
		.amdhsa_float_round_mode_32 0
		.amdhsa_float_round_mode_16_64 0
		.amdhsa_float_denorm_mode_32 3
		.amdhsa_float_denorm_mode_16_64 3
		.amdhsa_dx10_clamp 1
		.amdhsa_ieee_mode 1
		.amdhsa_fp16_overflow 0
		.amdhsa_tg_split 0
		.amdhsa_exception_fp_ieee_invalid_op 0
		.amdhsa_exception_fp_denorm_src 0
		.amdhsa_exception_fp_ieee_div_zero 0
		.amdhsa_exception_fp_ieee_overflow 0
		.amdhsa_exception_fp_ieee_underflow 0
		.amdhsa_exception_fp_ieee_inexact 0
		.amdhsa_exception_int_div_zero 0
	.end_amdhsa_kernel
	.section	.text._ZN7rocprim17ROCPRIM_400000_NS6detail17trampoline_kernelINS0_14default_configENS1_25partition_config_selectorILNS1_17partition_subalgoE2EiNS0_10empty_typeEbEEZZNS1_14partition_implILS5_2ELb0ES3_jN6thrust23THRUST_200600_302600_NS6detail15normal_iteratorINSA_7pointerIiNSA_11hip_rocprim3tagENSA_11use_defaultESG_EEEEPS6_NSA_18transform_iteratorI10is_orderedNSA_12zip_iteratorINSA_5tupleINSC_INSA_10device_ptrIiEEEESQ_NSA_9null_typeESR_SR_SR_SR_SR_SR_SR_EEEESG_SG_EENS0_5tupleIJPiSJ_EEENSV_IJSJ_SJ_EEES6_PlJS6_EEE10hipError_tPvRmT3_T4_T5_T6_T7_T9_mT8_P12ihipStream_tbDpT10_ENKUlT_T0_E_clISt17integral_constantIbLb0EES1I_IbLb1EEEEDaS1E_S1F_EUlS1E_E_NS1_11comp_targetILNS1_3genE3ELNS1_11target_archE908ELNS1_3gpuE7ELNS1_3repE0EEENS1_30default_config_static_selectorELNS0_4arch9wavefront6targetE1EEEvT1_,"axG",@progbits,_ZN7rocprim17ROCPRIM_400000_NS6detail17trampoline_kernelINS0_14default_configENS1_25partition_config_selectorILNS1_17partition_subalgoE2EiNS0_10empty_typeEbEEZZNS1_14partition_implILS5_2ELb0ES3_jN6thrust23THRUST_200600_302600_NS6detail15normal_iteratorINSA_7pointerIiNSA_11hip_rocprim3tagENSA_11use_defaultESG_EEEEPS6_NSA_18transform_iteratorI10is_orderedNSA_12zip_iteratorINSA_5tupleINSC_INSA_10device_ptrIiEEEESQ_NSA_9null_typeESR_SR_SR_SR_SR_SR_SR_EEEESG_SG_EENS0_5tupleIJPiSJ_EEENSV_IJSJ_SJ_EEES6_PlJS6_EEE10hipError_tPvRmT3_T4_T5_T6_T7_T9_mT8_P12ihipStream_tbDpT10_ENKUlT_T0_E_clISt17integral_constantIbLb0EES1I_IbLb1EEEEDaS1E_S1F_EUlS1E_E_NS1_11comp_targetILNS1_3genE3ELNS1_11target_archE908ELNS1_3gpuE7ELNS1_3repE0EEENS1_30default_config_static_selectorELNS0_4arch9wavefront6targetE1EEEvT1_,comdat
.Lfunc_end3621:
	.size	_ZN7rocprim17ROCPRIM_400000_NS6detail17trampoline_kernelINS0_14default_configENS1_25partition_config_selectorILNS1_17partition_subalgoE2EiNS0_10empty_typeEbEEZZNS1_14partition_implILS5_2ELb0ES3_jN6thrust23THRUST_200600_302600_NS6detail15normal_iteratorINSA_7pointerIiNSA_11hip_rocprim3tagENSA_11use_defaultESG_EEEEPS6_NSA_18transform_iteratorI10is_orderedNSA_12zip_iteratorINSA_5tupleINSC_INSA_10device_ptrIiEEEESQ_NSA_9null_typeESR_SR_SR_SR_SR_SR_SR_EEEESG_SG_EENS0_5tupleIJPiSJ_EEENSV_IJSJ_SJ_EEES6_PlJS6_EEE10hipError_tPvRmT3_T4_T5_T6_T7_T9_mT8_P12ihipStream_tbDpT10_ENKUlT_T0_E_clISt17integral_constantIbLb0EES1I_IbLb1EEEEDaS1E_S1F_EUlS1E_E_NS1_11comp_targetILNS1_3genE3ELNS1_11target_archE908ELNS1_3gpuE7ELNS1_3repE0EEENS1_30default_config_static_selectorELNS0_4arch9wavefront6targetE1EEEvT1_, .Lfunc_end3621-_ZN7rocprim17ROCPRIM_400000_NS6detail17trampoline_kernelINS0_14default_configENS1_25partition_config_selectorILNS1_17partition_subalgoE2EiNS0_10empty_typeEbEEZZNS1_14partition_implILS5_2ELb0ES3_jN6thrust23THRUST_200600_302600_NS6detail15normal_iteratorINSA_7pointerIiNSA_11hip_rocprim3tagENSA_11use_defaultESG_EEEEPS6_NSA_18transform_iteratorI10is_orderedNSA_12zip_iteratorINSA_5tupleINSC_INSA_10device_ptrIiEEEESQ_NSA_9null_typeESR_SR_SR_SR_SR_SR_SR_EEEESG_SG_EENS0_5tupleIJPiSJ_EEENSV_IJSJ_SJ_EEES6_PlJS6_EEE10hipError_tPvRmT3_T4_T5_T6_T7_T9_mT8_P12ihipStream_tbDpT10_ENKUlT_T0_E_clISt17integral_constantIbLb0EES1I_IbLb1EEEEDaS1E_S1F_EUlS1E_E_NS1_11comp_targetILNS1_3genE3ELNS1_11target_archE908ELNS1_3gpuE7ELNS1_3repE0EEENS1_30default_config_static_selectorELNS0_4arch9wavefront6targetE1EEEvT1_
                                        ; -- End function
	.section	.AMDGPU.csdata,"",@progbits
; Kernel info:
; codeLenInByte = 0
; NumSgprs: 4
; NumVgprs: 0
; NumAgprs: 0
; TotalNumVgprs: 0
; ScratchSize: 0
; MemoryBound: 0
; FloatMode: 240
; IeeeMode: 1
; LDSByteSize: 0 bytes/workgroup (compile time only)
; SGPRBlocks: 0
; VGPRBlocks: 0
; NumSGPRsForWavesPerEU: 4
; NumVGPRsForWavesPerEU: 1
; AccumOffset: 4
; Occupancy: 8
; WaveLimiterHint : 0
; COMPUTE_PGM_RSRC2:SCRATCH_EN: 0
; COMPUTE_PGM_RSRC2:USER_SGPR: 6
; COMPUTE_PGM_RSRC2:TRAP_HANDLER: 0
; COMPUTE_PGM_RSRC2:TGID_X_EN: 1
; COMPUTE_PGM_RSRC2:TGID_Y_EN: 0
; COMPUTE_PGM_RSRC2:TGID_Z_EN: 0
; COMPUTE_PGM_RSRC2:TIDIG_COMP_CNT: 0
; COMPUTE_PGM_RSRC3_GFX90A:ACCUM_OFFSET: 0
; COMPUTE_PGM_RSRC3_GFX90A:TG_SPLIT: 0
	.section	.text._ZN7rocprim17ROCPRIM_400000_NS6detail17trampoline_kernelINS0_14default_configENS1_25partition_config_selectorILNS1_17partition_subalgoE2EiNS0_10empty_typeEbEEZZNS1_14partition_implILS5_2ELb0ES3_jN6thrust23THRUST_200600_302600_NS6detail15normal_iteratorINSA_7pointerIiNSA_11hip_rocprim3tagENSA_11use_defaultESG_EEEEPS6_NSA_18transform_iteratorI10is_orderedNSA_12zip_iteratorINSA_5tupleINSC_INSA_10device_ptrIiEEEESQ_NSA_9null_typeESR_SR_SR_SR_SR_SR_SR_EEEESG_SG_EENS0_5tupleIJPiSJ_EEENSV_IJSJ_SJ_EEES6_PlJS6_EEE10hipError_tPvRmT3_T4_T5_T6_T7_T9_mT8_P12ihipStream_tbDpT10_ENKUlT_T0_E_clISt17integral_constantIbLb0EES1I_IbLb1EEEEDaS1E_S1F_EUlS1E_E_NS1_11comp_targetILNS1_3genE2ELNS1_11target_archE906ELNS1_3gpuE6ELNS1_3repE0EEENS1_30default_config_static_selectorELNS0_4arch9wavefront6targetE1EEEvT1_,"axG",@progbits,_ZN7rocprim17ROCPRIM_400000_NS6detail17trampoline_kernelINS0_14default_configENS1_25partition_config_selectorILNS1_17partition_subalgoE2EiNS0_10empty_typeEbEEZZNS1_14partition_implILS5_2ELb0ES3_jN6thrust23THRUST_200600_302600_NS6detail15normal_iteratorINSA_7pointerIiNSA_11hip_rocprim3tagENSA_11use_defaultESG_EEEEPS6_NSA_18transform_iteratorI10is_orderedNSA_12zip_iteratorINSA_5tupleINSC_INSA_10device_ptrIiEEEESQ_NSA_9null_typeESR_SR_SR_SR_SR_SR_SR_EEEESG_SG_EENS0_5tupleIJPiSJ_EEENSV_IJSJ_SJ_EEES6_PlJS6_EEE10hipError_tPvRmT3_T4_T5_T6_T7_T9_mT8_P12ihipStream_tbDpT10_ENKUlT_T0_E_clISt17integral_constantIbLb0EES1I_IbLb1EEEEDaS1E_S1F_EUlS1E_E_NS1_11comp_targetILNS1_3genE2ELNS1_11target_archE906ELNS1_3gpuE6ELNS1_3repE0EEENS1_30default_config_static_selectorELNS0_4arch9wavefront6targetE1EEEvT1_,comdat
	.protected	_ZN7rocprim17ROCPRIM_400000_NS6detail17trampoline_kernelINS0_14default_configENS1_25partition_config_selectorILNS1_17partition_subalgoE2EiNS0_10empty_typeEbEEZZNS1_14partition_implILS5_2ELb0ES3_jN6thrust23THRUST_200600_302600_NS6detail15normal_iteratorINSA_7pointerIiNSA_11hip_rocprim3tagENSA_11use_defaultESG_EEEEPS6_NSA_18transform_iteratorI10is_orderedNSA_12zip_iteratorINSA_5tupleINSC_INSA_10device_ptrIiEEEESQ_NSA_9null_typeESR_SR_SR_SR_SR_SR_SR_EEEESG_SG_EENS0_5tupleIJPiSJ_EEENSV_IJSJ_SJ_EEES6_PlJS6_EEE10hipError_tPvRmT3_T4_T5_T6_T7_T9_mT8_P12ihipStream_tbDpT10_ENKUlT_T0_E_clISt17integral_constantIbLb0EES1I_IbLb1EEEEDaS1E_S1F_EUlS1E_E_NS1_11comp_targetILNS1_3genE2ELNS1_11target_archE906ELNS1_3gpuE6ELNS1_3repE0EEENS1_30default_config_static_selectorELNS0_4arch9wavefront6targetE1EEEvT1_ ; -- Begin function _ZN7rocprim17ROCPRIM_400000_NS6detail17trampoline_kernelINS0_14default_configENS1_25partition_config_selectorILNS1_17partition_subalgoE2EiNS0_10empty_typeEbEEZZNS1_14partition_implILS5_2ELb0ES3_jN6thrust23THRUST_200600_302600_NS6detail15normal_iteratorINSA_7pointerIiNSA_11hip_rocprim3tagENSA_11use_defaultESG_EEEEPS6_NSA_18transform_iteratorI10is_orderedNSA_12zip_iteratorINSA_5tupleINSC_INSA_10device_ptrIiEEEESQ_NSA_9null_typeESR_SR_SR_SR_SR_SR_SR_EEEESG_SG_EENS0_5tupleIJPiSJ_EEENSV_IJSJ_SJ_EEES6_PlJS6_EEE10hipError_tPvRmT3_T4_T5_T6_T7_T9_mT8_P12ihipStream_tbDpT10_ENKUlT_T0_E_clISt17integral_constantIbLb0EES1I_IbLb1EEEEDaS1E_S1F_EUlS1E_E_NS1_11comp_targetILNS1_3genE2ELNS1_11target_archE906ELNS1_3gpuE6ELNS1_3repE0EEENS1_30default_config_static_selectorELNS0_4arch9wavefront6targetE1EEEvT1_
	.globl	_ZN7rocprim17ROCPRIM_400000_NS6detail17trampoline_kernelINS0_14default_configENS1_25partition_config_selectorILNS1_17partition_subalgoE2EiNS0_10empty_typeEbEEZZNS1_14partition_implILS5_2ELb0ES3_jN6thrust23THRUST_200600_302600_NS6detail15normal_iteratorINSA_7pointerIiNSA_11hip_rocprim3tagENSA_11use_defaultESG_EEEEPS6_NSA_18transform_iteratorI10is_orderedNSA_12zip_iteratorINSA_5tupleINSC_INSA_10device_ptrIiEEEESQ_NSA_9null_typeESR_SR_SR_SR_SR_SR_SR_EEEESG_SG_EENS0_5tupleIJPiSJ_EEENSV_IJSJ_SJ_EEES6_PlJS6_EEE10hipError_tPvRmT3_T4_T5_T6_T7_T9_mT8_P12ihipStream_tbDpT10_ENKUlT_T0_E_clISt17integral_constantIbLb0EES1I_IbLb1EEEEDaS1E_S1F_EUlS1E_E_NS1_11comp_targetILNS1_3genE2ELNS1_11target_archE906ELNS1_3gpuE6ELNS1_3repE0EEENS1_30default_config_static_selectorELNS0_4arch9wavefront6targetE1EEEvT1_
	.p2align	8
	.type	_ZN7rocprim17ROCPRIM_400000_NS6detail17trampoline_kernelINS0_14default_configENS1_25partition_config_selectorILNS1_17partition_subalgoE2EiNS0_10empty_typeEbEEZZNS1_14partition_implILS5_2ELb0ES3_jN6thrust23THRUST_200600_302600_NS6detail15normal_iteratorINSA_7pointerIiNSA_11hip_rocprim3tagENSA_11use_defaultESG_EEEEPS6_NSA_18transform_iteratorI10is_orderedNSA_12zip_iteratorINSA_5tupleINSC_INSA_10device_ptrIiEEEESQ_NSA_9null_typeESR_SR_SR_SR_SR_SR_SR_EEEESG_SG_EENS0_5tupleIJPiSJ_EEENSV_IJSJ_SJ_EEES6_PlJS6_EEE10hipError_tPvRmT3_T4_T5_T6_T7_T9_mT8_P12ihipStream_tbDpT10_ENKUlT_T0_E_clISt17integral_constantIbLb0EES1I_IbLb1EEEEDaS1E_S1F_EUlS1E_E_NS1_11comp_targetILNS1_3genE2ELNS1_11target_archE906ELNS1_3gpuE6ELNS1_3repE0EEENS1_30default_config_static_selectorELNS0_4arch9wavefront6targetE1EEEvT1_,@function
_ZN7rocprim17ROCPRIM_400000_NS6detail17trampoline_kernelINS0_14default_configENS1_25partition_config_selectorILNS1_17partition_subalgoE2EiNS0_10empty_typeEbEEZZNS1_14partition_implILS5_2ELb0ES3_jN6thrust23THRUST_200600_302600_NS6detail15normal_iteratorINSA_7pointerIiNSA_11hip_rocprim3tagENSA_11use_defaultESG_EEEEPS6_NSA_18transform_iteratorI10is_orderedNSA_12zip_iteratorINSA_5tupleINSC_INSA_10device_ptrIiEEEESQ_NSA_9null_typeESR_SR_SR_SR_SR_SR_SR_EEEESG_SG_EENS0_5tupleIJPiSJ_EEENSV_IJSJ_SJ_EEES6_PlJS6_EEE10hipError_tPvRmT3_T4_T5_T6_T7_T9_mT8_P12ihipStream_tbDpT10_ENKUlT_T0_E_clISt17integral_constantIbLb0EES1I_IbLb1EEEEDaS1E_S1F_EUlS1E_E_NS1_11comp_targetILNS1_3genE2ELNS1_11target_archE906ELNS1_3gpuE6ELNS1_3repE0EEENS1_30default_config_static_selectorELNS0_4arch9wavefront6targetE1EEEvT1_: ; @_ZN7rocprim17ROCPRIM_400000_NS6detail17trampoline_kernelINS0_14default_configENS1_25partition_config_selectorILNS1_17partition_subalgoE2EiNS0_10empty_typeEbEEZZNS1_14partition_implILS5_2ELb0ES3_jN6thrust23THRUST_200600_302600_NS6detail15normal_iteratorINSA_7pointerIiNSA_11hip_rocprim3tagENSA_11use_defaultESG_EEEEPS6_NSA_18transform_iteratorI10is_orderedNSA_12zip_iteratorINSA_5tupleINSC_INSA_10device_ptrIiEEEESQ_NSA_9null_typeESR_SR_SR_SR_SR_SR_SR_EEEESG_SG_EENS0_5tupleIJPiSJ_EEENSV_IJSJ_SJ_EEES6_PlJS6_EEE10hipError_tPvRmT3_T4_T5_T6_T7_T9_mT8_P12ihipStream_tbDpT10_ENKUlT_T0_E_clISt17integral_constantIbLb0EES1I_IbLb1EEEEDaS1E_S1F_EUlS1E_E_NS1_11comp_targetILNS1_3genE2ELNS1_11target_archE906ELNS1_3gpuE6ELNS1_3repE0EEENS1_30default_config_static_selectorELNS0_4arch9wavefront6targetE1EEEvT1_
; %bb.0:
	.section	.rodata,"a",@progbits
	.p2align	6, 0x0
	.amdhsa_kernel _ZN7rocprim17ROCPRIM_400000_NS6detail17trampoline_kernelINS0_14default_configENS1_25partition_config_selectorILNS1_17partition_subalgoE2EiNS0_10empty_typeEbEEZZNS1_14partition_implILS5_2ELb0ES3_jN6thrust23THRUST_200600_302600_NS6detail15normal_iteratorINSA_7pointerIiNSA_11hip_rocprim3tagENSA_11use_defaultESG_EEEEPS6_NSA_18transform_iteratorI10is_orderedNSA_12zip_iteratorINSA_5tupleINSC_INSA_10device_ptrIiEEEESQ_NSA_9null_typeESR_SR_SR_SR_SR_SR_SR_EEEESG_SG_EENS0_5tupleIJPiSJ_EEENSV_IJSJ_SJ_EEES6_PlJS6_EEE10hipError_tPvRmT3_T4_T5_T6_T7_T9_mT8_P12ihipStream_tbDpT10_ENKUlT_T0_E_clISt17integral_constantIbLb0EES1I_IbLb1EEEEDaS1E_S1F_EUlS1E_E_NS1_11comp_targetILNS1_3genE2ELNS1_11target_archE906ELNS1_3gpuE6ELNS1_3repE0EEENS1_30default_config_static_selectorELNS0_4arch9wavefront6targetE1EEEvT1_
		.amdhsa_group_segment_fixed_size 0
		.amdhsa_private_segment_fixed_size 0
		.amdhsa_kernarg_size 152
		.amdhsa_user_sgpr_count 6
		.amdhsa_user_sgpr_private_segment_buffer 1
		.amdhsa_user_sgpr_dispatch_ptr 0
		.amdhsa_user_sgpr_queue_ptr 0
		.amdhsa_user_sgpr_kernarg_segment_ptr 1
		.amdhsa_user_sgpr_dispatch_id 0
		.amdhsa_user_sgpr_flat_scratch_init 0
		.amdhsa_user_sgpr_kernarg_preload_length 0
		.amdhsa_user_sgpr_kernarg_preload_offset 0
		.amdhsa_user_sgpr_private_segment_size 0
		.amdhsa_uses_dynamic_stack 0
		.amdhsa_system_sgpr_private_segment_wavefront_offset 0
		.amdhsa_system_sgpr_workgroup_id_x 1
		.amdhsa_system_sgpr_workgroup_id_y 0
		.amdhsa_system_sgpr_workgroup_id_z 0
		.amdhsa_system_sgpr_workgroup_info 0
		.amdhsa_system_vgpr_workitem_id 0
		.amdhsa_next_free_vgpr 1
		.amdhsa_next_free_sgpr 0
		.amdhsa_accum_offset 4
		.amdhsa_reserve_vcc 0
		.amdhsa_reserve_flat_scratch 0
		.amdhsa_float_round_mode_32 0
		.amdhsa_float_round_mode_16_64 0
		.amdhsa_float_denorm_mode_32 3
		.amdhsa_float_denorm_mode_16_64 3
		.amdhsa_dx10_clamp 1
		.amdhsa_ieee_mode 1
		.amdhsa_fp16_overflow 0
		.amdhsa_tg_split 0
		.amdhsa_exception_fp_ieee_invalid_op 0
		.amdhsa_exception_fp_denorm_src 0
		.amdhsa_exception_fp_ieee_div_zero 0
		.amdhsa_exception_fp_ieee_overflow 0
		.amdhsa_exception_fp_ieee_underflow 0
		.amdhsa_exception_fp_ieee_inexact 0
		.amdhsa_exception_int_div_zero 0
	.end_amdhsa_kernel
	.section	.text._ZN7rocprim17ROCPRIM_400000_NS6detail17trampoline_kernelINS0_14default_configENS1_25partition_config_selectorILNS1_17partition_subalgoE2EiNS0_10empty_typeEbEEZZNS1_14partition_implILS5_2ELb0ES3_jN6thrust23THRUST_200600_302600_NS6detail15normal_iteratorINSA_7pointerIiNSA_11hip_rocprim3tagENSA_11use_defaultESG_EEEEPS6_NSA_18transform_iteratorI10is_orderedNSA_12zip_iteratorINSA_5tupleINSC_INSA_10device_ptrIiEEEESQ_NSA_9null_typeESR_SR_SR_SR_SR_SR_SR_EEEESG_SG_EENS0_5tupleIJPiSJ_EEENSV_IJSJ_SJ_EEES6_PlJS6_EEE10hipError_tPvRmT3_T4_T5_T6_T7_T9_mT8_P12ihipStream_tbDpT10_ENKUlT_T0_E_clISt17integral_constantIbLb0EES1I_IbLb1EEEEDaS1E_S1F_EUlS1E_E_NS1_11comp_targetILNS1_3genE2ELNS1_11target_archE906ELNS1_3gpuE6ELNS1_3repE0EEENS1_30default_config_static_selectorELNS0_4arch9wavefront6targetE1EEEvT1_,"axG",@progbits,_ZN7rocprim17ROCPRIM_400000_NS6detail17trampoline_kernelINS0_14default_configENS1_25partition_config_selectorILNS1_17partition_subalgoE2EiNS0_10empty_typeEbEEZZNS1_14partition_implILS5_2ELb0ES3_jN6thrust23THRUST_200600_302600_NS6detail15normal_iteratorINSA_7pointerIiNSA_11hip_rocprim3tagENSA_11use_defaultESG_EEEEPS6_NSA_18transform_iteratorI10is_orderedNSA_12zip_iteratorINSA_5tupleINSC_INSA_10device_ptrIiEEEESQ_NSA_9null_typeESR_SR_SR_SR_SR_SR_SR_EEEESG_SG_EENS0_5tupleIJPiSJ_EEENSV_IJSJ_SJ_EEES6_PlJS6_EEE10hipError_tPvRmT3_T4_T5_T6_T7_T9_mT8_P12ihipStream_tbDpT10_ENKUlT_T0_E_clISt17integral_constantIbLb0EES1I_IbLb1EEEEDaS1E_S1F_EUlS1E_E_NS1_11comp_targetILNS1_3genE2ELNS1_11target_archE906ELNS1_3gpuE6ELNS1_3repE0EEENS1_30default_config_static_selectorELNS0_4arch9wavefront6targetE1EEEvT1_,comdat
.Lfunc_end3622:
	.size	_ZN7rocprim17ROCPRIM_400000_NS6detail17trampoline_kernelINS0_14default_configENS1_25partition_config_selectorILNS1_17partition_subalgoE2EiNS0_10empty_typeEbEEZZNS1_14partition_implILS5_2ELb0ES3_jN6thrust23THRUST_200600_302600_NS6detail15normal_iteratorINSA_7pointerIiNSA_11hip_rocprim3tagENSA_11use_defaultESG_EEEEPS6_NSA_18transform_iteratorI10is_orderedNSA_12zip_iteratorINSA_5tupleINSC_INSA_10device_ptrIiEEEESQ_NSA_9null_typeESR_SR_SR_SR_SR_SR_SR_EEEESG_SG_EENS0_5tupleIJPiSJ_EEENSV_IJSJ_SJ_EEES6_PlJS6_EEE10hipError_tPvRmT3_T4_T5_T6_T7_T9_mT8_P12ihipStream_tbDpT10_ENKUlT_T0_E_clISt17integral_constantIbLb0EES1I_IbLb1EEEEDaS1E_S1F_EUlS1E_E_NS1_11comp_targetILNS1_3genE2ELNS1_11target_archE906ELNS1_3gpuE6ELNS1_3repE0EEENS1_30default_config_static_selectorELNS0_4arch9wavefront6targetE1EEEvT1_, .Lfunc_end3622-_ZN7rocprim17ROCPRIM_400000_NS6detail17trampoline_kernelINS0_14default_configENS1_25partition_config_selectorILNS1_17partition_subalgoE2EiNS0_10empty_typeEbEEZZNS1_14partition_implILS5_2ELb0ES3_jN6thrust23THRUST_200600_302600_NS6detail15normal_iteratorINSA_7pointerIiNSA_11hip_rocprim3tagENSA_11use_defaultESG_EEEEPS6_NSA_18transform_iteratorI10is_orderedNSA_12zip_iteratorINSA_5tupleINSC_INSA_10device_ptrIiEEEESQ_NSA_9null_typeESR_SR_SR_SR_SR_SR_SR_EEEESG_SG_EENS0_5tupleIJPiSJ_EEENSV_IJSJ_SJ_EEES6_PlJS6_EEE10hipError_tPvRmT3_T4_T5_T6_T7_T9_mT8_P12ihipStream_tbDpT10_ENKUlT_T0_E_clISt17integral_constantIbLb0EES1I_IbLb1EEEEDaS1E_S1F_EUlS1E_E_NS1_11comp_targetILNS1_3genE2ELNS1_11target_archE906ELNS1_3gpuE6ELNS1_3repE0EEENS1_30default_config_static_selectorELNS0_4arch9wavefront6targetE1EEEvT1_
                                        ; -- End function
	.section	.AMDGPU.csdata,"",@progbits
; Kernel info:
; codeLenInByte = 0
; NumSgprs: 4
; NumVgprs: 0
; NumAgprs: 0
; TotalNumVgprs: 0
; ScratchSize: 0
; MemoryBound: 0
; FloatMode: 240
; IeeeMode: 1
; LDSByteSize: 0 bytes/workgroup (compile time only)
; SGPRBlocks: 0
; VGPRBlocks: 0
; NumSGPRsForWavesPerEU: 4
; NumVGPRsForWavesPerEU: 1
; AccumOffset: 4
; Occupancy: 8
; WaveLimiterHint : 0
; COMPUTE_PGM_RSRC2:SCRATCH_EN: 0
; COMPUTE_PGM_RSRC2:USER_SGPR: 6
; COMPUTE_PGM_RSRC2:TRAP_HANDLER: 0
; COMPUTE_PGM_RSRC2:TGID_X_EN: 1
; COMPUTE_PGM_RSRC2:TGID_Y_EN: 0
; COMPUTE_PGM_RSRC2:TGID_Z_EN: 0
; COMPUTE_PGM_RSRC2:TIDIG_COMP_CNT: 0
; COMPUTE_PGM_RSRC3_GFX90A:ACCUM_OFFSET: 0
; COMPUTE_PGM_RSRC3_GFX90A:TG_SPLIT: 0
	.section	.text._ZN7rocprim17ROCPRIM_400000_NS6detail17trampoline_kernelINS0_14default_configENS1_25partition_config_selectorILNS1_17partition_subalgoE2EiNS0_10empty_typeEbEEZZNS1_14partition_implILS5_2ELb0ES3_jN6thrust23THRUST_200600_302600_NS6detail15normal_iteratorINSA_7pointerIiNSA_11hip_rocprim3tagENSA_11use_defaultESG_EEEEPS6_NSA_18transform_iteratorI10is_orderedNSA_12zip_iteratorINSA_5tupleINSC_INSA_10device_ptrIiEEEESQ_NSA_9null_typeESR_SR_SR_SR_SR_SR_SR_EEEESG_SG_EENS0_5tupleIJPiSJ_EEENSV_IJSJ_SJ_EEES6_PlJS6_EEE10hipError_tPvRmT3_T4_T5_T6_T7_T9_mT8_P12ihipStream_tbDpT10_ENKUlT_T0_E_clISt17integral_constantIbLb0EES1I_IbLb1EEEEDaS1E_S1F_EUlS1E_E_NS1_11comp_targetILNS1_3genE10ELNS1_11target_archE1200ELNS1_3gpuE4ELNS1_3repE0EEENS1_30default_config_static_selectorELNS0_4arch9wavefront6targetE1EEEvT1_,"axG",@progbits,_ZN7rocprim17ROCPRIM_400000_NS6detail17trampoline_kernelINS0_14default_configENS1_25partition_config_selectorILNS1_17partition_subalgoE2EiNS0_10empty_typeEbEEZZNS1_14partition_implILS5_2ELb0ES3_jN6thrust23THRUST_200600_302600_NS6detail15normal_iteratorINSA_7pointerIiNSA_11hip_rocprim3tagENSA_11use_defaultESG_EEEEPS6_NSA_18transform_iteratorI10is_orderedNSA_12zip_iteratorINSA_5tupleINSC_INSA_10device_ptrIiEEEESQ_NSA_9null_typeESR_SR_SR_SR_SR_SR_SR_EEEESG_SG_EENS0_5tupleIJPiSJ_EEENSV_IJSJ_SJ_EEES6_PlJS6_EEE10hipError_tPvRmT3_T4_T5_T6_T7_T9_mT8_P12ihipStream_tbDpT10_ENKUlT_T0_E_clISt17integral_constantIbLb0EES1I_IbLb1EEEEDaS1E_S1F_EUlS1E_E_NS1_11comp_targetILNS1_3genE10ELNS1_11target_archE1200ELNS1_3gpuE4ELNS1_3repE0EEENS1_30default_config_static_selectorELNS0_4arch9wavefront6targetE1EEEvT1_,comdat
	.protected	_ZN7rocprim17ROCPRIM_400000_NS6detail17trampoline_kernelINS0_14default_configENS1_25partition_config_selectorILNS1_17partition_subalgoE2EiNS0_10empty_typeEbEEZZNS1_14partition_implILS5_2ELb0ES3_jN6thrust23THRUST_200600_302600_NS6detail15normal_iteratorINSA_7pointerIiNSA_11hip_rocprim3tagENSA_11use_defaultESG_EEEEPS6_NSA_18transform_iteratorI10is_orderedNSA_12zip_iteratorINSA_5tupleINSC_INSA_10device_ptrIiEEEESQ_NSA_9null_typeESR_SR_SR_SR_SR_SR_SR_EEEESG_SG_EENS0_5tupleIJPiSJ_EEENSV_IJSJ_SJ_EEES6_PlJS6_EEE10hipError_tPvRmT3_T4_T5_T6_T7_T9_mT8_P12ihipStream_tbDpT10_ENKUlT_T0_E_clISt17integral_constantIbLb0EES1I_IbLb1EEEEDaS1E_S1F_EUlS1E_E_NS1_11comp_targetILNS1_3genE10ELNS1_11target_archE1200ELNS1_3gpuE4ELNS1_3repE0EEENS1_30default_config_static_selectorELNS0_4arch9wavefront6targetE1EEEvT1_ ; -- Begin function _ZN7rocprim17ROCPRIM_400000_NS6detail17trampoline_kernelINS0_14default_configENS1_25partition_config_selectorILNS1_17partition_subalgoE2EiNS0_10empty_typeEbEEZZNS1_14partition_implILS5_2ELb0ES3_jN6thrust23THRUST_200600_302600_NS6detail15normal_iteratorINSA_7pointerIiNSA_11hip_rocprim3tagENSA_11use_defaultESG_EEEEPS6_NSA_18transform_iteratorI10is_orderedNSA_12zip_iteratorINSA_5tupleINSC_INSA_10device_ptrIiEEEESQ_NSA_9null_typeESR_SR_SR_SR_SR_SR_SR_EEEESG_SG_EENS0_5tupleIJPiSJ_EEENSV_IJSJ_SJ_EEES6_PlJS6_EEE10hipError_tPvRmT3_T4_T5_T6_T7_T9_mT8_P12ihipStream_tbDpT10_ENKUlT_T0_E_clISt17integral_constantIbLb0EES1I_IbLb1EEEEDaS1E_S1F_EUlS1E_E_NS1_11comp_targetILNS1_3genE10ELNS1_11target_archE1200ELNS1_3gpuE4ELNS1_3repE0EEENS1_30default_config_static_selectorELNS0_4arch9wavefront6targetE1EEEvT1_
	.globl	_ZN7rocprim17ROCPRIM_400000_NS6detail17trampoline_kernelINS0_14default_configENS1_25partition_config_selectorILNS1_17partition_subalgoE2EiNS0_10empty_typeEbEEZZNS1_14partition_implILS5_2ELb0ES3_jN6thrust23THRUST_200600_302600_NS6detail15normal_iteratorINSA_7pointerIiNSA_11hip_rocprim3tagENSA_11use_defaultESG_EEEEPS6_NSA_18transform_iteratorI10is_orderedNSA_12zip_iteratorINSA_5tupleINSC_INSA_10device_ptrIiEEEESQ_NSA_9null_typeESR_SR_SR_SR_SR_SR_SR_EEEESG_SG_EENS0_5tupleIJPiSJ_EEENSV_IJSJ_SJ_EEES6_PlJS6_EEE10hipError_tPvRmT3_T4_T5_T6_T7_T9_mT8_P12ihipStream_tbDpT10_ENKUlT_T0_E_clISt17integral_constantIbLb0EES1I_IbLb1EEEEDaS1E_S1F_EUlS1E_E_NS1_11comp_targetILNS1_3genE10ELNS1_11target_archE1200ELNS1_3gpuE4ELNS1_3repE0EEENS1_30default_config_static_selectorELNS0_4arch9wavefront6targetE1EEEvT1_
	.p2align	8
	.type	_ZN7rocprim17ROCPRIM_400000_NS6detail17trampoline_kernelINS0_14default_configENS1_25partition_config_selectorILNS1_17partition_subalgoE2EiNS0_10empty_typeEbEEZZNS1_14partition_implILS5_2ELb0ES3_jN6thrust23THRUST_200600_302600_NS6detail15normal_iteratorINSA_7pointerIiNSA_11hip_rocprim3tagENSA_11use_defaultESG_EEEEPS6_NSA_18transform_iteratorI10is_orderedNSA_12zip_iteratorINSA_5tupleINSC_INSA_10device_ptrIiEEEESQ_NSA_9null_typeESR_SR_SR_SR_SR_SR_SR_EEEESG_SG_EENS0_5tupleIJPiSJ_EEENSV_IJSJ_SJ_EEES6_PlJS6_EEE10hipError_tPvRmT3_T4_T5_T6_T7_T9_mT8_P12ihipStream_tbDpT10_ENKUlT_T0_E_clISt17integral_constantIbLb0EES1I_IbLb1EEEEDaS1E_S1F_EUlS1E_E_NS1_11comp_targetILNS1_3genE10ELNS1_11target_archE1200ELNS1_3gpuE4ELNS1_3repE0EEENS1_30default_config_static_selectorELNS0_4arch9wavefront6targetE1EEEvT1_,@function
_ZN7rocprim17ROCPRIM_400000_NS6detail17trampoline_kernelINS0_14default_configENS1_25partition_config_selectorILNS1_17partition_subalgoE2EiNS0_10empty_typeEbEEZZNS1_14partition_implILS5_2ELb0ES3_jN6thrust23THRUST_200600_302600_NS6detail15normal_iteratorINSA_7pointerIiNSA_11hip_rocprim3tagENSA_11use_defaultESG_EEEEPS6_NSA_18transform_iteratorI10is_orderedNSA_12zip_iteratorINSA_5tupleINSC_INSA_10device_ptrIiEEEESQ_NSA_9null_typeESR_SR_SR_SR_SR_SR_SR_EEEESG_SG_EENS0_5tupleIJPiSJ_EEENSV_IJSJ_SJ_EEES6_PlJS6_EEE10hipError_tPvRmT3_T4_T5_T6_T7_T9_mT8_P12ihipStream_tbDpT10_ENKUlT_T0_E_clISt17integral_constantIbLb0EES1I_IbLb1EEEEDaS1E_S1F_EUlS1E_E_NS1_11comp_targetILNS1_3genE10ELNS1_11target_archE1200ELNS1_3gpuE4ELNS1_3repE0EEENS1_30default_config_static_selectorELNS0_4arch9wavefront6targetE1EEEvT1_: ; @_ZN7rocprim17ROCPRIM_400000_NS6detail17trampoline_kernelINS0_14default_configENS1_25partition_config_selectorILNS1_17partition_subalgoE2EiNS0_10empty_typeEbEEZZNS1_14partition_implILS5_2ELb0ES3_jN6thrust23THRUST_200600_302600_NS6detail15normal_iteratorINSA_7pointerIiNSA_11hip_rocprim3tagENSA_11use_defaultESG_EEEEPS6_NSA_18transform_iteratorI10is_orderedNSA_12zip_iteratorINSA_5tupleINSC_INSA_10device_ptrIiEEEESQ_NSA_9null_typeESR_SR_SR_SR_SR_SR_SR_EEEESG_SG_EENS0_5tupleIJPiSJ_EEENSV_IJSJ_SJ_EEES6_PlJS6_EEE10hipError_tPvRmT3_T4_T5_T6_T7_T9_mT8_P12ihipStream_tbDpT10_ENKUlT_T0_E_clISt17integral_constantIbLb0EES1I_IbLb1EEEEDaS1E_S1F_EUlS1E_E_NS1_11comp_targetILNS1_3genE10ELNS1_11target_archE1200ELNS1_3gpuE4ELNS1_3repE0EEENS1_30default_config_static_selectorELNS0_4arch9wavefront6targetE1EEEvT1_
; %bb.0:
	.section	.rodata,"a",@progbits
	.p2align	6, 0x0
	.amdhsa_kernel _ZN7rocprim17ROCPRIM_400000_NS6detail17trampoline_kernelINS0_14default_configENS1_25partition_config_selectorILNS1_17partition_subalgoE2EiNS0_10empty_typeEbEEZZNS1_14partition_implILS5_2ELb0ES3_jN6thrust23THRUST_200600_302600_NS6detail15normal_iteratorINSA_7pointerIiNSA_11hip_rocprim3tagENSA_11use_defaultESG_EEEEPS6_NSA_18transform_iteratorI10is_orderedNSA_12zip_iteratorINSA_5tupleINSC_INSA_10device_ptrIiEEEESQ_NSA_9null_typeESR_SR_SR_SR_SR_SR_SR_EEEESG_SG_EENS0_5tupleIJPiSJ_EEENSV_IJSJ_SJ_EEES6_PlJS6_EEE10hipError_tPvRmT3_T4_T5_T6_T7_T9_mT8_P12ihipStream_tbDpT10_ENKUlT_T0_E_clISt17integral_constantIbLb0EES1I_IbLb1EEEEDaS1E_S1F_EUlS1E_E_NS1_11comp_targetILNS1_3genE10ELNS1_11target_archE1200ELNS1_3gpuE4ELNS1_3repE0EEENS1_30default_config_static_selectorELNS0_4arch9wavefront6targetE1EEEvT1_
		.amdhsa_group_segment_fixed_size 0
		.amdhsa_private_segment_fixed_size 0
		.amdhsa_kernarg_size 152
		.amdhsa_user_sgpr_count 6
		.amdhsa_user_sgpr_private_segment_buffer 1
		.amdhsa_user_sgpr_dispatch_ptr 0
		.amdhsa_user_sgpr_queue_ptr 0
		.amdhsa_user_sgpr_kernarg_segment_ptr 1
		.amdhsa_user_sgpr_dispatch_id 0
		.amdhsa_user_sgpr_flat_scratch_init 0
		.amdhsa_user_sgpr_kernarg_preload_length 0
		.amdhsa_user_sgpr_kernarg_preload_offset 0
		.amdhsa_user_sgpr_private_segment_size 0
		.amdhsa_uses_dynamic_stack 0
		.amdhsa_system_sgpr_private_segment_wavefront_offset 0
		.amdhsa_system_sgpr_workgroup_id_x 1
		.amdhsa_system_sgpr_workgroup_id_y 0
		.amdhsa_system_sgpr_workgroup_id_z 0
		.amdhsa_system_sgpr_workgroup_info 0
		.amdhsa_system_vgpr_workitem_id 0
		.amdhsa_next_free_vgpr 1
		.amdhsa_next_free_sgpr 0
		.amdhsa_accum_offset 4
		.amdhsa_reserve_vcc 0
		.amdhsa_reserve_flat_scratch 0
		.amdhsa_float_round_mode_32 0
		.amdhsa_float_round_mode_16_64 0
		.amdhsa_float_denorm_mode_32 3
		.amdhsa_float_denorm_mode_16_64 3
		.amdhsa_dx10_clamp 1
		.amdhsa_ieee_mode 1
		.amdhsa_fp16_overflow 0
		.amdhsa_tg_split 0
		.amdhsa_exception_fp_ieee_invalid_op 0
		.amdhsa_exception_fp_denorm_src 0
		.amdhsa_exception_fp_ieee_div_zero 0
		.amdhsa_exception_fp_ieee_overflow 0
		.amdhsa_exception_fp_ieee_underflow 0
		.amdhsa_exception_fp_ieee_inexact 0
		.amdhsa_exception_int_div_zero 0
	.end_amdhsa_kernel
	.section	.text._ZN7rocprim17ROCPRIM_400000_NS6detail17trampoline_kernelINS0_14default_configENS1_25partition_config_selectorILNS1_17partition_subalgoE2EiNS0_10empty_typeEbEEZZNS1_14partition_implILS5_2ELb0ES3_jN6thrust23THRUST_200600_302600_NS6detail15normal_iteratorINSA_7pointerIiNSA_11hip_rocprim3tagENSA_11use_defaultESG_EEEEPS6_NSA_18transform_iteratorI10is_orderedNSA_12zip_iteratorINSA_5tupleINSC_INSA_10device_ptrIiEEEESQ_NSA_9null_typeESR_SR_SR_SR_SR_SR_SR_EEEESG_SG_EENS0_5tupleIJPiSJ_EEENSV_IJSJ_SJ_EEES6_PlJS6_EEE10hipError_tPvRmT3_T4_T5_T6_T7_T9_mT8_P12ihipStream_tbDpT10_ENKUlT_T0_E_clISt17integral_constantIbLb0EES1I_IbLb1EEEEDaS1E_S1F_EUlS1E_E_NS1_11comp_targetILNS1_3genE10ELNS1_11target_archE1200ELNS1_3gpuE4ELNS1_3repE0EEENS1_30default_config_static_selectorELNS0_4arch9wavefront6targetE1EEEvT1_,"axG",@progbits,_ZN7rocprim17ROCPRIM_400000_NS6detail17trampoline_kernelINS0_14default_configENS1_25partition_config_selectorILNS1_17partition_subalgoE2EiNS0_10empty_typeEbEEZZNS1_14partition_implILS5_2ELb0ES3_jN6thrust23THRUST_200600_302600_NS6detail15normal_iteratorINSA_7pointerIiNSA_11hip_rocprim3tagENSA_11use_defaultESG_EEEEPS6_NSA_18transform_iteratorI10is_orderedNSA_12zip_iteratorINSA_5tupleINSC_INSA_10device_ptrIiEEEESQ_NSA_9null_typeESR_SR_SR_SR_SR_SR_SR_EEEESG_SG_EENS0_5tupleIJPiSJ_EEENSV_IJSJ_SJ_EEES6_PlJS6_EEE10hipError_tPvRmT3_T4_T5_T6_T7_T9_mT8_P12ihipStream_tbDpT10_ENKUlT_T0_E_clISt17integral_constantIbLb0EES1I_IbLb1EEEEDaS1E_S1F_EUlS1E_E_NS1_11comp_targetILNS1_3genE10ELNS1_11target_archE1200ELNS1_3gpuE4ELNS1_3repE0EEENS1_30default_config_static_selectorELNS0_4arch9wavefront6targetE1EEEvT1_,comdat
.Lfunc_end3623:
	.size	_ZN7rocprim17ROCPRIM_400000_NS6detail17trampoline_kernelINS0_14default_configENS1_25partition_config_selectorILNS1_17partition_subalgoE2EiNS0_10empty_typeEbEEZZNS1_14partition_implILS5_2ELb0ES3_jN6thrust23THRUST_200600_302600_NS6detail15normal_iteratorINSA_7pointerIiNSA_11hip_rocprim3tagENSA_11use_defaultESG_EEEEPS6_NSA_18transform_iteratorI10is_orderedNSA_12zip_iteratorINSA_5tupleINSC_INSA_10device_ptrIiEEEESQ_NSA_9null_typeESR_SR_SR_SR_SR_SR_SR_EEEESG_SG_EENS0_5tupleIJPiSJ_EEENSV_IJSJ_SJ_EEES6_PlJS6_EEE10hipError_tPvRmT3_T4_T5_T6_T7_T9_mT8_P12ihipStream_tbDpT10_ENKUlT_T0_E_clISt17integral_constantIbLb0EES1I_IbLb1EEEEDaS1E_S1F_EUlS1E_E_NS1_11comp_targetILNS1_3genE10ELNS1_11target_archE1200ELNS1_3gpuE4ELNS1_3repE0EEENS1_30default_config_static_selectorELNS0_4arch9wavefront6targetE1EEEvT1_, .Lfunc_end3623-_ZN7rocprim17ROCPRIM_400000_NS6detail17trampoline_kernelINS0_14default_configENS1_25partition_config_selectorILNS1_17partition_subalgoE2EiNS0_10empty_typeEbEEZZNS1_14partition_implILS5_2ELb0ES3_jN6thrust23THRUST_200600_302600_NS6detail15normal_iteratorINSA_7pointerIiNSA_11hip_rocprim3tagENSA_11use_defaultESG_EEEEPS6_NSA_18transform_iteratorI10is_orderedNSA_12zip_iteratorINSA_5tupleINSC_INSA_10device_ptrIiEEEESQ_NSA_9null_typeESR_SR_SR_SR_SR_SR_SR_EEEESG_SG_EENS0_5tupleIJPiSJ_EEENSV_IJSJ_SJ_EEES6_PlJS6_EEE10hipError_tPvRmT3_T4_T5_T6_T7_T9_mT8_P12ihipStream_tbDpT10_ENKUlT_T0_E_clISt17integral_constantIbLb0EES1I_IbLb1EEEEDaS1E_S1F_EUlS1E_E_NS1_11comp_targetILNS1_3genE10ELNS1_11target_archE1200ELNS1_3gpuE4ELNS1_3repE0EEENS1_30default_config_static_selectorELNS0_4arch9wavefront6targetE1EEEvT1_
                                        ; -- End function
	.section	.AMDGPU.csdata,"",@progbits
; Kernel info:
; codeLenInByte = 0
; NumSgprs: 4
; NumVgprs: 0
; NumAgprs: 0
; TotalNumVgprs: 0
; ScratchSize: 0
; MemoryBound: 0
; FloatMode: 240
; IeeeMode: 1
; LDSByteSize: 0 bytes/workgroup (compile time only)
; SGPRBlocks: 0
; VGPRBlocks: 0
; NumSGPRsForWavesPerEU: 4
; NumVGPRsForWavesPerEU: 1
; AccumOffset: 4
; Occupancy: 8
; WaveLimiterHint : 0
; COMPUTE_PGM_RSRC2:SCRATCH_EN: 0
; COMPUTE_PGM_RSRC2:USER_SGPR: 6
; COMPUTE_PGM_RSRC2:TRAP_HANDLER: 0
; COMPUTE_PGM_RSRC2:TGID_X_EN: 1
; COMPUTE_PGM_RSRC2:TGID_Y_EN: 0
; COMPUTE_PGM_RSRC2:TGID_Z_EN: 0
; COMPUTE_PGM_RSRC2:TIDIG_COMP_CNT: 0
; COMPUTE_PGM_RSRC3_GFX90A:ACCUM_OFFSET: 0
; COMPUTE_PGM_RSRC3_GFX90A:TG_SPLIT: 0
	.section	.text._ZN7rocprim17ROCPRIM_400000_NS6detail17trampoline_kernelINS0_14default_configENS1_25partition_config_selectorILNS1_17partition_subalgoE2EiNS0_10empty_typeEbEEZZNS1_14partition_implILS5_2ELb0ES3_jN6thrust23THRUST_200600_302600_NS6detail15normal_iteratorINSA_7pointerIiNSA_11hip_rocprim3tagENSA_11use_defaultESG_EEEEPS6_NSA_18transform_iteratorI10is_orderedNSA_12zip_iteratorINSA_5tupleINSC_INSA_10device_ptrIiEEEESQ_NSA_9null_typeESR_SR_SR_SR_SR_SR_SR_EEEESG_SG_EENS0_5tupleIJPiSJ_EEENSV_IJSJ_SJ_EEES6_PlJS6_EEE10hipError_tPvRmT3_T4_T5_T6_T7_T9_mT8_P12ihipStream_tbDpT10_ENKUlT_T0_E_clISt17integral_constantIbLb0EES1I_IbLb1EEEEDaS1E_S1F_EUlS1E_E_NS1_11comp_targetILNS1_3genE9ELNS1_11target_archE1100ELNS1_3gpuE3ELNS1_3repE0EEENS1_30default_config_static_selectorELNS0_4arch9wavefront6targetE1EEEvT1_,"axG",@progbits,_ZN7rocprim17ROCPRIM_400000_NS6detail17trampoline_kernelINS0_14default_configENS1_25partition_config_selectorILNS1_17partition_subalgoE2EiNS0_10empty_typeEbEEZZNS1_14partition_implILS5_2ELb0ES3_jN6thrust23THRUST_200600_302600_NS6detail15normal_iteratorINSA_7pointerIiNSA_11hip_rocprim3tagENSA_11use_defaultESG_EEEEPS6_NSA_18transform_iteratorI10is_orderedNSA_12zip_iteratorINSA_5tupleINSC_INSA_10device_ptrIiEEEESQ_NSA_9null_typeESR_SR_SR_SR_SR_SR_SR_EEEESG_SG_EENS0_5tupleIJPiSJ_EEENSV_IJSJ_SJ_EEES6_PlJS6_EEE10hipError_tPvRmT3_T4_T5_T6_T7_T9_mT8_P12ihipStream_tbDpT10_ENKUlT_T0_E_clISt17integral_constantIbLb0EES1I_IbLb1EEEEDaS1E_S1F_EUlS1E_E_NS1_11comp_targetILNS1_3genE9ELNS1_11target_archE1100ELNS1_3gpuE3ELNS1_3repE0EEENS1_30default_config_static_selectorELNS0_4arch9wavefront6targetE1EEEvT1_,comdat
	.protected	_ZN7rocprim17ROCPRIM_400000_NS6detail17trampoline_kernelINS0_14default_configENS1_25partition_config_selectorILNS1_17partition_subalgoE2EiNS0_10empty_typeEbEEZZNS1_14partition_implILS5_2ELb0ES3_jN6thrust23THRUST_200600_302600_NS6detail15normal_iteratorINSA_7pointerIiNSA_11hip_rocprim3tagENSA_11use_defaultESG_EEEEPS6_NSA_18transform_iteratorI10is_orderedNSA_12zip_iteratorINSA_5tupleINSC_INSA_10device_ptrIiEEEESQ_NSA_9null_typeESR_SR_SR_SR_SR_SR_SR_EEEESG_SG_EENS0_5tupleIJPiSJ_EEENSV_IJSJ_SJ_EEES6_PlJS6_EEE10hipError_tPvRmT3_T4_T5_T6_T7_T9_mT8_P12ihipStream_tbDpT10_ENKUlT_T0_E_clISt17integral_constantIbLb0EES1I_IbLb1EEEEDaS1E_S1F_EUlS1E_E_NS1_11comp_targetILNS1_3genE9ELNS1_11target_archE1100ELNS1_3gpuE3ELNS1_3repE0EEENS1_30default_config_static_selectorELNS0_4arch9wavefront6targetE1EEEvT1_ ; -- Begin function _ZN7rocprim17ROCPRIM_400000_NS6detail17trampoline_kernelINS0_14default_configENS1_25partition_config_selectorILNS1_17partition_subalgoE2EiNS0_10empty_typeEbEEZZNS1_14partition_implILS5_2ELb0ES3_jN6thrust23THRUST_200600_302600_NS6detail15normal_iteratorINSA_7pointerIiNSA_11hip_rocprim3tagENSA_11use_defaultESG_EEEEPS6_NSA_18transform_iteratorI10is_orderedNSA_12zip_iteratorINSA_5tupleINSC_INSA_10device_ptrIiEEEESQ_NSA_9null_typeESR_SR_SR_SR_SR_SR_SR_EEEESG_SG_EENS0_5tupleIJPiSJ_EEENSV_IJSJ_SJ_EEES6_PlJS6_EEE10hipError_tPvRmT3_T4_T5_T6_T7_T9_mT8_P12ihipStream_tbDpT10_ENKUlT_T0_E_clISt17integral_constantIbLb0EES1I_IbLb1EEEEDaS1E_S1F_EUlS1E_E_NS1_11comp_targetILNS1_3genE9ELNS1_11target_archE1100ELNS1_3gpuE3ELNS1_3repE0EEENS1_30default_config_static_selectorELNS0_4arch9wavefront6targetE1EEEvT1_
	.globl	_ZN7rocprim17ROCPRIM_400000_NS6detail17trampoline_kernelINS0_14default_configENS1_25partition_config_selectorILNS1_17partition_subalgoE2EiNS0_10empty_typeEbEEZZNS1_14partition_implILS5_2ELb0ES3_jN6thrust23THRUST_200600_302600_NS6detail15normal_iteratorINSA_7pointerIiNSA_11hip_rocprim3tagENSA_11use_defaultESG_EEEEPS6_NSA_18transform_iteratorI10is_orderedNSA_12zip_iteratorINSA_5tupleINSC_INSA_10device_ptrIiEEEESQ_NSA_9null_typeESR_SR_SR_SR_SR_SR_SR_EEEESG_SG_EENS0_5tupleIJPiSJ_EEENSV_IJSJ_SJ_EEES6_PlJS6_EEE10hipError_tPvRmT3_T4_T5_T6_T7_T9_mT8_P12ihipStream_tbDpT10_ENKUlT_T0_E_clISt17integral_constantIbLb0EES1I_IbLb1EEEEDaS1E_S1F_EUlS1E_E_NS1_11comp_targetILNS1_3genE9ELNS1_11target_archE1100ELNS1_3gpuE3ELNS1_3repE0EEENS1_30default_config_static_selectorELNS0_4arch9wavefront6targetE1EEEvT1_
	.p2align	8
	.type	_ZN7rocprim17ROCPRIM_400000_NS6detail17trampoline_kernelINS0_14default_configENS1_25partition_config_selectorILNS1_17partition_subalgoE2EiNS0_10empty_typeEbEEZZNS1_14partition_implILS5_2ELb0ES3_jN6thrust23THRUST_200600_302600_NS6detail15normal_iteratorINSA_7pointerIiNSA_11hip_rocprim3tagENSA_11use_defaultESG_EEEEPS6_NSA_18transform_iteratorI10is_orderedNSA_12zip_iteratorINSA_5tupleINSC_INSA_10device_ptrIiEEEESQ_NSA_9null_typeESR_SR_SR_SR_SR_SR_SR_EEEESG_SG_EENS0_5tupleIJPiSJ_EEENSV_IJSJ_SJ_EEES6_PlJS6_EEE10hipError_tPvRmT3_T4_T5_T6_T7_T9_mT8_P12ihipStream_tbDpT10_ENKUlT_T0_E_clISt17integral_constantIbLb0EES1I_IbLb1EEEEDaS1E_S1F_EUlS1E_E_NS1_11comp_targetILNS1_3genE9ELNS1_11target_archE1100ELNS1_3gpuE3ELNS1_3repE0EEENS1_30default_config_static_selectorELNS0_4arch9wavefront6targetE1EEEvT1_,@function
_ZN7rocprim17ROCPRIM_400000_NS6detail17trampoline_kernelINS0_14default_configENS1_25partition_config_selectorILNS1_17partition_subalgoE2EiNS0_10empty_typeEbEEZZNS1_14partition_implILS5_2ELb0ES3_jN6thrust23THRUST_200600_302600_NS6detail15normal_iteratorINSA_7pointerIiNSA_11hip_rocprim3tagENSA_11use_defaultESG_EEEEPS6_NSA_18transform_iteratorI10is_orderedNSA_12zip_iteratorINSA_5tupleINSC_INSA_10device_ptrIiEEEESQ_NSA_9null_typeESR_SR_SR_SR_SR_SR_SR_EEEESG_SG_EENS0_5tupleIJPiSJ_EEENSV_IJSJ_SJ_EEES6_PlJS6_EEE10hipError_tPvRmT3_T4_T5_T6_T7_T9_mT8_P12ihipStream_tbDpT10_ENKUlT_T0_E_clISt17integral_constantIbLb0EES1I_IbLb1EEEEDaS1E_S1F_EUlS1E_E_NS1_11comp_targetILNS1_3genE9ELNS1_11target_archE1100ELNS1_3gpuE3ELNS1_3repE0EEENS1_30default_config_static_selectorELNS0_4arch9wavefront6targetE1EEEvT1_: ; @_ZN7rocprim17ROCPRIM_400000_NS6detail17trampoline_kernelINS0_14default_configENS1_25partition_config_selectorILNS1_17partition_subalgoE2EiNS0_10empty_typeEbEEZZNS1_14partition_implILS5_2ELb0ES3_jN6thrust23THRUST_200600_302600_NS6detail15normal_iteratorINSA_7pointerIiNSA_11hip_rocprim3tagENSA_11use_defaultESG_EEEEPS6_NSA_18transform_iteratorI10is_orderedNSA_12zip_iteratorINSA_5tupleINSC_INSA_10device_ptrIiEEEESQ_NSA_9null_typeESR_SR_SR_SR_SR_SR_SR_EEEESG_SG_EENS0_5tupleIJPiSJ_EEENSV_IJSJ_SJ_EEES6_PlJS6_EEE10hipError_tPvRmT3_T4_T5_T6_T7_T9_mT8_P12ihipStream_tbDpT10_ENKUlT_T0_E_clISt17integral_constantIbLb0EES1I_IbLb1EEEEDaS1E_S1F_EUlS1E_E_NS1_11comp_targetILNS1_3genE9ELNS1_11target_archE1100ELNS1_3gpuE3ELNS1_3repE0EEENS1_30default_config_static_selectorELNS0_4arch9wavefront6targetE1EEEvT1_
; %bb.0:
	.section	.rodata,"a",@progbits
	.p2align	6, 0x0
	.amdhsa_kernel _ZN7rocprim17ROCPRIM_400000_NS6detail17trampoline_kernelINS0_14default_configENS1_25partition_config_selectorILNS1_17partition_subalgoE2EiNS0_10empty_typeEbEEZZNS1_14partition_implILS5_2ELb0ES3_jN6thrust23THRUST_200600_302600_NS6detail15normal_iteratorINSA_7pointerIiNSA_11hip_rocprim3tagENSA_11use_defaultESG_EEEEPS6_NSA_18transform_iteratorI10is_orderedNSA_12zip_iteratorINSA_5tupleINSC_INSA_10device_ptrIiEEEESQ_NSA_9null_typeESR_SR_SR_SR_SR_SR_SR_EEEESG_SG_EENS0_5tupleIJPiSJ_EEENSV_IJSJ_SJ_EEES6_PlJS6_EEE10hipError_tPvRmT3_T4_T5_T6_T7_T9_mT8_P12ihipStream_tbDpT10_ENKUlT_T0_E_clISt17integral_constantIbLb0EES1I_IbLb1EEEEDaS1E_S1F_EUlS1E_E_NS1_11comp_targetILNS1_3genE9ELNS1_11target_archE1100ELNS1_3gpuE3ELNS1_3repE0EEENS1_30default_config_static_selectorELNS0_4arch9wavefront6targetE1EEEvT1_
		.amdhsa_group_segment_fixed_size 0
		.amdhsa_private_segment_fixed_size 0
		.amdhsa_kernarg_size 152
		.amdhsa_user_sgpr_count 6
		.amdhsa_user_sgpr_private_segment_buffer 1
		.amdhsa_user_sgpr_dispatch_ptr 0
		.amdhsa_user_sgpr_queue_ptr 0
		.amdhsa_user_sgpr_kernarg_segment_ptr 1
		.amdhsa_user_sgpr_dispatch_id 0
		.amdhsa_user_sgpr_flat_scratch_init 0
		.amdhsa_user_sgpr_kernarg_preload_length 0
		.amdhsa_user_sgpr_kernarg_preload_offset 0
		.amdhsa_user_sgpr_private_segment_size 0
		.amdhsa_uses_dynamic_stack 0
		.amdhsa_system_sgpr_private_segment_wavefront_offset 0
		.amdhsa_system_sgpr_workgroup_id_x 1
		.amdhsa_system_sgpr_workgroup_id_y 0
		.amdhsa_system_sgpr_workgroup_id_z 0
		.amdhsa_system_sgpr_workgroup_info 0
		.amdhsa_system_vgpr_workitem_id 0
		.amdhsa_next_free_vgpr 1
		.amdhsa_next_free_sgpr 0
		.amdhsa_accum_offset 4
		.amdhsa_reserve_vcc 0
		.amdhsa_reserve_flat_scratch 0
		.amdhsa_float_round_mode_32 0
		.amdhsa_float_round_mode_16_64 0
		.amdhsa_float_denorm_mode_32 3
		.amdhsa_float_denorm_mode_16_64 3
		.amdhsa_dx10_clamp 1
		.amdhsa_ieee_mode 1
		.amdhsa_fp16_overflow 0
		.amdhsa_tg_split 0
		.amdhsa_exception_fp_ieee_invalid_op 0
		.amdhsa_exception_fp_denorm_src 0
		.amdhsa_exception_fp_ieee_div_zero 0
		.amdhsa_exception_fp_ieee_overflow 0
		.amdhsa_exception_fp_ieee_underflow 0
		.amdhsa_exception_fp_ieee_inexact 0
		.amdhsa_exception_int_div_zero 0
	.end_amdhsa_kernel
	.section	.text._ZN7rocprim17ROCPRIM_400000_NS6detail17trampoline_kernelINS0_14default_configENS1_25partition_config_selectorILNS1_17partition_subalgoE2EiNS0_10empty_typeEbEEZZNS1_14partition_implILS5_2ELb0ES3_jN6thrust23THRUST_200600_302600_NS6detail15normal_iteratorINSA_7pointerIiNSA_11hip_rocprim3tagENSA_11use_defaultESG_EEEEPS6_NSA_18transform_iteratorI10is_orderedNSA_12zip_iteratorINSA_5tupleINSC_INSA_10device_ptrIiEEEESQ_NSA_9null_typeESR_SR_SR_SR_SR_SR_SR_EEEESG_SG_EENS0_5tupleIJPiSJ_EEENSV_IJSJ_SJ_EEES6_PlJS6_EEE10hipError_tPvRmT3_T4_T5_T6_T7_T9_mT8_P12ihipStream_tbDpT10_ENKUlT_T0_E_clISt17integral_constantIbLb0EES1I_IbLb1EEEEDaS1E_S1F_EUlS1E_E_NS1_11comp_targetILNS1_3genE9ELNS1_11target_archE1100ELNS1_3gpuE3ELNS1_3repE0EEENS1_30default_config_static_selectorELNS0_4arch9wavefront6targetE1EEEvT1_,"axG",@progbits,_ZN7rocprim17ROCPRIM_400000_NS6detail17trampoline_kernelINS0_14default_configENS1_25partition_config_selectorILNS1_17partition_subalgoE2EiNS0_10empty_typeEbEEZZNS1_14partition_implILS5_2ELb0ES3_jN6thrust23THRUST_200600_302600_NS6detail15normal_iteratorINSA_7pointerIiNSA_11hip_rocprim3tagENSA_11use_defaultESG_EEEEPS6_NSA_18transform_iteratorI10is_orderedNSA_12zip_iteratorINSA_5tupleINSC_INSA_10device_ptrIiEEEESQ_NSA_9null_typeESR_SR_SR_SR_SR_SR_SR_EEEESG_SG_EENS0_5tupleIJPiSJ_EEENSV_IJSJ_SJ_EEES6_PlJS6_EEE10hipError_tPvRmT3_T4_T5_T6_T7_T9_mT8_P12ihipStream_tbDpT10_ENKUlT_T0_E_clISt17integral_constantIbLb0EES1I_IbLb1EEEEDaS1E_S1F_EUlS1E_E_NS1_11comp_targetILNS1_3genE9ELNS1_11target_archE1100ELNS1_3gpuE3ELNS1_3repE0EEENS1_30default_config_static_selectorELNS0_4arch9wavefront6targetE1EEEvT1_,comdat
.Lfunc_end3624:
	.size	_ZN7rocprim17ROCPRIM_400000_NS6detail17trampoline_kernelINS0_14default_configENS1_25partition_config_selectorILNS1_17partition_subalgoE2EiNS0_10empty_typeEbEEZZNS1_14partition_implILS5_2ELb0ES3_jN6thrust23THRUST_200600_302600_NS6detail15normal_iteratorINSA_7pointerIiNSA_11hip_rocprim3tagENSA_11use_defaultESG_EEEEPS6_NSA_18transform_iteratorI10is_orderedNSA_12zip_iteratorINSA_5tupleINSC_INSA_10device_ptrIiEEEESQ_NSA_9null_typeESR_SR_SR_SR_SR_SR_SR_EEEESG_SG_EENS0_5tupleIJPiSJ_EEENSV_IJSJ_SJ_EEES6_PlJS6_EEE10hipError_tPvRmT3_T4_T5_T6_T7_T9_mT8_P12ihipStream_tbDpT10_ENKUlT_T0_E_clISt17integral_constantIbLb0EES1I_IbLb1EEEEDaS1E_S1F_EUlS1E_E_NS1_11comp_targetILNS1_3genE9ELNS1_11target_archE1100ELNS1_3gpuE3ELNS1_3repE0EEENS1_30default_config_static_selectorELNS0_4arch9wavefront6targetE1EEEvT1_, .Lfunc_end3624-_ZN7rocprim17ROCPRIM_400000_NS6detail17trampoline_kernelINS0_14default_configENS1_25partition_config_selectorILNS1_17partition_subalgoE2EiNS0_10empty_typeEbEEZZNS1_14partition_implILS5_2ELb0ES3_jN6thrust23THRUST_200600_302600_NS6detail15normal_iteratorINSA_7pointerIiNSA_11hip_rocprim3tagENSA_11use_defaultESG_EEEEPS6_NSA_18transform_iteratorI10is_orderedNSA_12zip_iteratorINSA_5tupleINSC_INSA_10device_ptrIiEEEESQ_NSA_9null_typeESR_SR_SR_SR_SR_SR_SR_EEEESG_SG_EENS0_5tupleIJPiSJ_EEENSV_IJSJ_SJ_EEES6_PlJS6_EEE10hipError_tPvRmT3_T4_T5_T6_T7_T9_mT8_P12ihipStream_tbDpT10_ENKUlT_T0_E_clISt17integral_constantIbLb0EES1I_IbLb1EEEEDaS1E_S1F_EUlS1E_E_NS1_11comp_targetILNS1_3genE9ELNS1_11target_archE1100ELNS1_3gpuE3ELNS1_3repE0EEENS1_30default_config_static_selectorELNS0_4arch9wavefront6targetE1EEEvT1_
                                        ; -- End function
	.section	.AMDGPU.csdata,"",@progbits
; Kernel info:
; codeLenInByte = 0
; NumSgprs: 4
; NumVgprs: 0
; NumAgprs: 0
; TotalNumVgprs: 0
; ScratchSize: 0
; MemoryBound: 0
; FloatMode: 240
; IeeeMode: 1
; LDSByteSize: 0 bytes/workgroup (compile time only)
; SGPRBlocks: 0
; VGPRBlocks: 0
; NumSGPRsForWavesPerEU: 4
; NumVGPRsForWavesPerEU: 1
; AccumOffset: 4
; Occupancy: 8
; WaveLimiterHint : 0
; COMPUTE_PGM_RSRC2:SCRATCH_EN: 0
; COMPUTE_PGM_RSRC2:USER_SGPR: 6
; COMPUTE_PGM_RSRC2:TRAP_HANDLER: 0
; COMPUTE_PGM_RSRC2:TGID_X_EN: 1
; COMPUTE_PGM_RSRC2:TGID_Y_EN: 0
; COMPUTE_PGM_RSRC2:TGID_Z_EN: 0
; COMPUTE_PGM_RSRC2:TIDIG_COMP_CNT: 0
; COMPUTE_PGM_RSRC3_GFX90A:ACCUM_OFFSET: 0
; COMPUTE_PGM_RSRC3_GFX90A:TG_SPLIT: 0
	.section	.text._ZN7rocprim17ROCPRIM_400000_NS6detail17trampoline_kernelINS0_14default_configENS1_25partition_config_selectorILNS1_17partition_subalgoE2EiNS0_10empty_typeEbEEZZNS1_14partition_implILS5_2ELb0ES3_jN6thrust23THRUST_200600_302600_NS6detail15normal_iteratorINSA_7pointerIiNSA_11hip_rocprim3tagENSA_11use_defaultESG_EEEEPS6_NSA_18transform_iteratorI10is_orderedNSA_12zip_iteratorINSA_5tupleINSC_INSA_10device_ptrIiEEEESQ_NSA_9null_typeESR_SR_SR_SR_SR_SR_SR_EEEESG_SG_EENS0_5tupleIJPiSJ_EEENSV_IJSJ_SJ_EEES6_PlJS6_EEE10hipError_tPvRmT3_T4_T5_T6_T7_T9_mT8_P12ihipStream_tbDpT10_ENKUlT_T0_E_clISt17integral_constantIbLb0EES1I_IbLb1EEEEDaS1E_S1F_EUlS1E_E_NS1_11comp_targetILNS1_3genE8ELNS1_11target_archE1030ELNS1_3gpuE2ELNS1_3repE0EEENS1_30default_config_static_selectorELNS0_4arch9wavefront6targetE1EEEvT1_,"axG",@progbits,_ZN7rocprim17ROCPRIM_400000_NS6detail17trampoline_kernelINS0_14default_configENS1_25partition_config_selectorILNS1_17partition_subalgoE2EiNS0_10empty_typeEbEEZZNS1_14partition_implILS5_2ELb0ES3_jN6thrust23THRUST_200600_302600_NS6detail15normal_iteratorINSA_7pointerIiNSA_11hip_rocprim3tagENSA_11use_defaultESG_EEEEPS6_NSA_18transform_iteratorI10is_orderedNSA_12zip_iteratorINSA_5tupleINSC_INSA_10device_ptrIiEEEESQ_NSA_9null_typeESR_SR_SR_SR_SR_SR_SR_EEEESG_SG_EENS0_5tupleIJPiSJ_EEENSV_IJSJ_SJ_EEES6_PlJS6_EEE10hipError_tPvRmT3_T4_T5_T6_T7_T9_mT8_P12ihipStream_tbDpT10_ENKUlT_T0_E_clISt17integral_constantIbLb0EES1I_IbLb1EEEEDaS1E_S1F_EUlS1E_E_NS1_11comp_targetILNS1_3genE8ELNS1_11target_archE1030ELNS1_3gpuE2ELNS1_3repE0EEENS1_30default_config_static_selectorELNS0_4arch9wavefront6targetE1EEEvT1_,comdat
	.protected	_ZN7rocprim17ROCPRIM_400000_NS6detail17trampoline_kernelINS0_14default_configENS1_25partition_config_selectorILNS1_17partition_subalgoE2EiNS0_10empty_typeEbEEZZNS1_14partition_implILS5_2ELb0ES3_jN6thrust23THRUST_200600_302600_NS6detail15normal_iteratorINSA_7pointerIiNSA_11hip_rocprim3tagENSA_11use_defaultESG_EEEEPS6_NSA_18transform_iteratorI10is_orderedNSA_12zip_iteratorINSA_5tupleINSC_INSA_10device_ptrIiEEEESQ_NSA_9null_typeESR_SR_SR_SR_SR_SR_SR_EEEESG_SG_EENS0_5tupleIJPiSJ_EEENSV_IJSJ_SJ_EEES6_PlJS6_EEE10hipError_tPvRmT3_T4_T5_T6_T7_T9_mT8_P12ihipStream_tbDpT10_ENKUlT_T0_E_clISt17integral_constantIbLb0EES1I_IbLb1EEEEDaS1E_S1F_EUlS1E_E_NS1_11comp_targetILNS1_3genE8ELNS1_11target_archE1030ELNS1_3gpuE2ELNS1_3repE0EEENS1_30default_config_static_selectorELNS0_4arch9wavefront6targetE1EEEvT1_ ; -- Begin function _ZN7rocprim17ROCPRIM_400000_NS6detail17trampoline_kernelINS0_14default_configENS1_25partition_config_selectorILNS1_17partition_subalgoE2EiNS0_10empty_typeEbEEZZNS1_14partition_implILS5_2ELb0ES3_jN6thrust23THRUST_200600_302600_NS6detail15normal_iteratorINSA_7pointerIiNSA_11hip_rocprim3tagENSA_11use_defaultESG_EEEEPS6_NSA_18transform_iteratorI10is_orderedNSA_12zip_iteratorINSA_5tupleINSC_INSA_10device_ptrIiEEEESQ_NSA_9null_typeESR_SR_SR_SR_SR_SR_SR_EEEESG_SG_EENS0_5tupleIJPiSJ_EEENSV_IJSJ_SJ_EEES6_PlJS6_EEE10hipError_tPvRmT3_T4_T5_T6_T7_T9_mT8_P12ihipStream_tbDpT10_ENKUlT_T0_E_clISt17integral_constantIbLb0EES1I_IbLb1EEEEDaS1E_S1F_EUlS1E_E_NS1_11comp_targetILNS1_3genE8ELNS1_11target_archE1030ELNS1_3gpuE2ELNS1_3repE0EEENS1_30default_config_static_selectorELNS0_4arch9wavefront6targetE1EEEvT1_
	.globl	_ZN7rocprim17ROCPRIM_400000_NS6detail17trampoline_kernelINS0_14default_configENS1_25partition_config_selectorILNS1_17partition_subalgoE2EiNS0_10empty_typeEbEEZZNS1_14partition_implILS5_2ELb0ES3_jN6thrust23THRUST_200600_302600_NS6detail15normal_iteratorINSA_7pointerIiNSA_11hip_rocprim3tagENSA_11use_defaultESG_EEEEPS6_NSA_18transform_iteratorI10is_orderedNSA_12zip_iteratorINSA_5tupleINSC_INSA_10device_ptrIiEEEESQ_NSA_9null_typeESR_SR_SR_SR_SR_SR_SR_EEEESG_SG_EENS0_5tupleIJPiSJ_EEENSV_IJSJ_SJ_EEES6_PlJS6_EEE10hipError_tPvRmT3_T4_T5_T6_T7_T9_mT8_P12ihipStream_tbDpT10_ENKUlT_T0_E_clISt17integral_constantIbLb0EES1I_IbLb1EEEEDaS1E_S1F_EUlS1E_E_NS1_11comp_targetILNS1_3genE8ELNS1_11target_archE1030ELNS1_3gpuE2ELNS1_3repE0EEENS1_30default_config_static_selectorELNS0_4arch9wavefront6targetE1EEEvT1_
	.p2align	8
	.type	_ZN7rocprim17ROCPRIM_400000_NS6detail17trampoline_kernelINS0_14default_configENS1_25partition_config_selectorILNS1_17partition_subalgoE2EiNS0_10empty_typeEbEEZZNS1_14partition_implILS5_2ELb0ES3_jN6thrust23THRUST_200600_302600_NS6detail15normal_iteratorINSA_7pointerIiNSA_11hip_rocprim3tagENSA_11use_defaultESG_EEEEPS6_NSA_18transform_iteratorI10is_orderedNSA_12zip_iteratorINSA_5tupleINSC_INSA_10device_ptrIiEEEESQ_NSA_9null_typeESR_SR_SR_SR_SR_SR_SR_EEEESG_SG_EENS0_5tupleIJPiSJ_EEENSV_IJSJ_SJ_EEES6_PlJS6_EEE10hipError_tPvRmT3_T4_T5_T6_T7_T9_mT8_P12ihipStream_tbDpT10_ENKUlT_T0_E_clISt17integral_constantIbLb0EES1I_IbLb1EEEEDaS1E_S1F_EUlS1E_E_NS1_11comp_targetILNS1_3genE8ELNS1_11target_archE1030ELNS1_3gpuE2ELNS1_3repE0EEENS1_30default_config_static_selectorELNS0_4arch9wavefront6targetE1EEEvT1_,@function
_ZN7rocprim17ROCPRIM_400000_NS6detail17trampoline_kernelINS0_14default_configENS1_25partition_config_selectorILNS1_17partition_subalgoE2EiNS0_10empty_typeEbEEZZNS1_14partition_implILS5_2ELb0ES3_jN6thrust23THRUST_200600_302600_NS6detail15normal_iteratorINSA_7pointerIiNSA_11hip_rocprim3tagENSA_11use_defaultESG_EEEEPS6_NSA_18transform_iteratorI10is_orderedNSA_12zip_iteratorINSA_5tupleINSC_INSA_10device_ptrIiEEEESQ_NSA_9null_typeESR_SR_SR_SR_SR_SR_SR_EEEESG_SG_EENS0_5tupleIJPiSJ_EEENSV_IJSJ_SJ_EEES6_PlJS6_EEE10hipError_tPvRmT3_T4_T5_T6_T7_T9_mT8_P12ihipStream_tbDpT10_ENKUlT_T0_E_clISt17integral_constantIbLb0EES1I_IbLb1EEEEDaS1E_S1F_EUlS1E_E_NS1_11comp_targetILNS1_3genE8ELNS1_11target_archE1030ELNS1_3gpuE2ELNS1_3repE0EEENS1_30default_config_static_selectorELNS0_4arch9wavefront6targetE1EEEvT1_: ; @_ZN7rocprim17ROCPRIM_400000_NS6detail17trampoline_kernelINS0_14default_configENS1_25partition_config_selectorILNS1_17partition_subalgoE2EiNS0_10empty_typeEbEEZZNS1_14partition_implILS5_2ELb0ES3_jN6thrust23THRUST_200600_302600_NS6detail15normal_iteratorINSA_7pointerIiNSA_11hip_rocprim3tagENSA_11use_defaultESG_EEEEPS6_NSA_18transform_iteratorI10is_orderedNSA_12zip_iteratorINSA_5tupleINSC_INSA_10device_ptrIiEEEESQ_NSA_9null_typeESR_SR_SR_SR_SR_SR_SR_EEEESG_SG_EENS0_5tupleIJPiSJ_EEENSV_IJSJ_SJ_EEES6_PlJS6_EEE10hipError_tPvRmT3_T4_T5_T6_T7_T9_mT8_P12ihipStream_tbDpT10_ENKUlT_T0_E_clISt17integral_constantIbLb0EES1I_IbLb1EEEEDaS1E_S1F_EUlS1E_E_NS1_11comp_targetILNS1_3genE8ELNS1_11target_archE1030ELNS1_3gpuE2ELNS1_3repE0EEENS1_30default_config_static_selectorELNS0_4arch9wavefront6targetE1EEEvT1_
; %bb.0:
	.section	.rodata,"a",@progbits
	.p2align	6, 0x0
	.amdhsa_kernel _ZN7rocprim17ROCPRIM_400000_NS6detail17trampoline_kernelINS0_14default_configENS1_25partition_config_selectorILNS1_17partition_subalgoE2EiNS0_10empty_typeEbEEZZNS1_14partition_implILS5_2ELb0ES3_jN6thrust23THRUST_200600_302600_NS6detail15normal_iteratorINSA_7pointerIiNSA_11hip_rocprim3tagENSA_11use_defaultESG_EEEEPS6_NSA_18transform_iteratorI10is_orderedNSA_12zip_iteratorINSA_5tupleINSC_INSA_10device_ptrIiEEEESQ_NSA_9null_typeESR_SR_SR_SR_SR_SR_SR_EEEESG_SG_EENS0_5tupleIJPiSJ_EEENSV_IJSJ_SJ_EEES6_PlJS6_EEE10hipError_tPvRmT3_T4_T5_T6_T7_T9_mT8_P12ihipStream_tbDpT10_ENKUlT_T0_E_clISt17integral_constantIbLb0EES1I_IbLb1EEEEDaS1E_S1F_EUlS1E_E_NS1_11comp_targetILNS1_3genE8ELNS1_11target_archE1030ELNS1_3gpuE2ELNS1_3repE0EEENS1_30default_config_static_selectorELNS0_4arch9wavefront6targetE1EEEvT1_
		.amdhsa_group_segment_fixed_size 0
		.amdhsa_private_segment_fixed_size 0
		.amdhsa_kernarg_size 152
		.amdhsa_user_sgpr_count 6
		.amdhsa_user_sgpr_private_segment_buffer 1
		.amdhsa_user_sgpr_dispatch_ptr 0
		.amdhsa_user_sgpr_queue_ptr 0
		.amdhsa_user_sgpr_kernarg_segment_ptr 1
		.amdhsa_user_sgpr_dispatch_id 0
		.amdhsa_user_sgpr_flat_scratch_init 0
		.amdhsa_user_sgpr_kernarg_preload_length 0
		.amdhsa_user_sgpr_kernarg_preload_offset 0
		.amdhsa_user_sgpr_private_segment_size 0
		.amdhsa_uses_dynamic_stack 0
		.amdhsa_system_sgpr_private_segment_wavefront_offset 0
		.amdhsa_system_sgpr_workgroup_id_x 1
		.amdhsa_system_sgpr_workgroup_id_y 0
		.amdhsa_system_sgpr_workgroup_id_z 0
		.amdhsa_system_sgpr_workgroup_info 0
		.amdhsa_system_vgpr_workitem_id 0
		.amdhsa_next_free_vgpr 1
		.amdhsa_next_free_sgpr 0
		.amdhsa_accum_offset 4
		.amdhsa_reserve_vcc 0
		.amdhsa_reserve_flat_scratch 0
		.amdhsa_float_round_mode_32 0
		.amdhsa_float_round_mode_16_64 0
		.amdhsa_float_denorm_mode_32 3
		.amdhsa_float_denorm_mode_16_64 3
		.amdhsa_dx10_clamp 1
		.amdhsa_ieee_mode 1
		.amdhsa_fp16_overflow 0
		.amdhsa_tg_split 0
		.amdhsa_exception_fp_ieee_invalid_op 0
		.amdhsa_exception_fp_denorm_src 0
		.amdhsa_exception_fp_ieee_div_zero 0
		.amdhsa_exception_fp_ieee_overflow 0
		.amdhsa_exception_fp_ieee_underflow 0
		.amdhsa_exception_fp_ieee_inexact 0
		.amdhsa_exception_int_div_zero 0
	.end_amdhsa_kernel
	.section	.text._ZN7rocprim17ROCPRIM_400000_NS6detail17trampoline_kernelINS0_14default_configENS1_25partition_config_selectorILNS1_17partition_subalgoE2EiNS0_10empty_typeEbEEZZNS1_14partition_implILS5_2ELb0ES3_jN6thrust23THRUST_200600_302600_NS6detail15normal_iteratorINSA_7pointerIiNSA_11hip_rocprim3tagENSA_11use_defaultESG_EEEEPS6_NSA_18transform_iteratorI10is_orderedNSA_12zip_iteratorINSA_5tupleINSC_INSA_10device_ptrIiEEEESQ_NSA_9null_typeESR_SR_SR_SR_SR_SR_SR_EEEESG_SG_EENS0_5tupleIJPiSJ_EEENSV_IJSJ_SJ_EEES6_PlJS6_EEE10hipError_tPvRmT3_T4_T5_T6_T7_T9_mT8_P12ihipStream_tbDpT10_ENKUlT_T0_E_clISt17integral_constantIbLb0EES1I_IbLb1EEEEDaS1E_S1F_EUlS1E_E_NS1_11comp_targetILNS1_3genE8ELNS1_11target_archE1030ELNS1_3gpuE2ELNS1_3repE0EEENS1_30default_config_static_selectorELNS0_4arch9wavefront6targetE1EEEvT1_,"axG",@progbits,_ZN7rocprim17ROCPRIM_400000_NS6detail17trampoline_kernelINS0_14default_configENS1_25partition_config_selectorILNS1_17partition_subalgoE2EiNS0_10empty_typeEbEEZZNS1_14partition_implILS5_2ELb0ES3_jN6thrust23THRUST_200600_302600_NS6detail15normal_iteratorINSA_7pointerIiNSA_11hip_rocprim3tagENSA_11use_defaultESG_EEEEPS6_NSA_18transform_iteratorI10is_orderedNSA_12zip_iteratorINSA_5tupleINSC_INSA_10device_ptrIiEEEESQ_NSA_9null_typeESR_SR_SR_SR_SR_SR_SR_EEEESG_SG_EENS0_5tupleIJPiSJ_EEENSV_IJSJ_SJ_EEES6_PlJS6_EEE10hipError_tPvRmT3_T4_T5_T6_T7_T9_mT8_P12ihipStream_tbDpT10_ENKUlT_T0_E_clISt17integral_constantIbLb0EES1I_IbLb1EEEEDaS1E_S1F_EUlS1E_E_NS1_11comp_targetILNS1_3genE8ELNS1_11target_archE1030ELNS1_3gpuE2ELNS1_3repE0EEENS1_30default_config_static_selectorELNS0_4arch9wavefront6targetE1EEEvT1_,comdat
.Lfunc_end3625:
	.size	_ZN7rocprim17ROCPRIM_400000_NS6detail17trampoline_kernelINS0_14default_configENS1_25partition_config_selectorILNS1_17partition_subalgoE2EiNS0_10empty_typeEbEEZZNS1_14partition_implILS5_2ELb0ES3_jN6thrust23THRUST_200600_302600_NS6detail15normal_iteratorINSA_7pointerIiNSA_11hip_rocprim3tagENSA_11use_defaultESG_EEEEPS6_NSA_18transform_iteratorI10is_orderedNSA_12zip_iteratorINSA_5tupleINSC_INSA_10device_ptrIiEEEESQ_NSA_9null_typeESR_SR_SR_SR_SR_SR_SR_EEEESG_SG_EENS0_5tupleIJPiSJ_EEENSV_IJSJ_SJ_EEES6_PlJS6_EEE10hipError_tPvRmT3_T4_T5_T6_T7_T9_mT8_P12ihipStream_tbDpT10_ENKUlT_T0_E_clISt17integral_constantIbLb0EES1I_IbLb1EEEEDaS1E_S1F_EUlS1E_E_NS1_11comp_targetILNS1_3genE8ELNS1_11target_archE1030ELNS1_3gpuE2ELNS1_3repE0EEENS1_30default_config_static_selectorELNS0_4arch9wavefront6targetE1EEEvT1_, .Lfunc_end3625-_ZN7rocprim17ROCPRIM_400000_NS6detail17trampoline_kernelINS0_14default_configENS1_25partition_config_selectorILNS1_17partition_subalgoE2EiNS0_10empty_typeEbEEZZNS1_14partition_implILS5_2ELb0ES3_jN6thrust23THRUST_200600_302600_NS6detail15normal_iteratorINSA_7pointerIiNSA_11hip_rocprim3tagENSA_11use_defaultESG_EEEEPS6_NSA_18transform_iteratorI10is_orderedNSA_12zip_iteratorINSA_5tupleINSC_INSA_10device_ptrIiEEEESQ_NSA_9null_typeESR_SR_SR_SR_SR_SR_SR_EEEESG_SG_EENS0_5tupleIJPiSJ_EEENSV_IJSJ_SJ_EEES6_PlJS6_EEE10hipError_tPvRmT3_T4_T5_T6_T7_T9_mT8_P12ihipStream_tbDpT10_ENKUlT_T0_E_clISt17integral_constantIbLb0EES1I_IbLb1EEEEDaS1E_S1F_EUlS1E_E_NS1_11comp_targetILNS1_3genE8ELNS1_11target_archE1030ELNS1_3gpuE2ELNS1_3repE0EEENS1_30default_config_static_selectorELNS0_4arch9wavefront6targetE1EEEvT1_
                                        ; -- End function
	.section	.AMDGPU.csdata,"",@progbits
; Kernel info:
; codeLenInByte = 0
; NumSgprs: 4
; NumVgprs: 0
; NumAgprs: 0
; TotalNumVgprs: 0
; ScratchSize: 0
; MemoryBound: 0
; FloatMode: 240
; IeeeMode: 1
; LDSByteSize: 0 bytes/workgroup (compile time only)
; SGPRBlocks: 0
; VGPRBlocks: 0
; NumSGPRsForWavesPerEU: 4
; NumVGPRsForWavesPerEU: 1
; AccumOffset: 4
; Occupancy: 8
; WaveLimiterHint : 0
; COMPUTE_PGM_RSRC2:SCRATCH_EN: 0
; COMPUTE_PGM_RSRC2:USER_SGPR: 6
; COMPUTE_PGM_RSRC2:TRAP_HANDLER: 0
; COMPUTE_PGM_RSRC2:TGID_X_EN: 1
; COMPUTE_PGM_RSRC2:TGID_Y_EN: 0
; COMPUTE_PGM_RSRC2:TGID_Z_EN: 0
; COMPUTE_PGM_RSRC2:TIDIG_COMP_CNT: 0
; COMPUTE_PGM_RSRC3_GFX90A:ACCUM_OFFSET: 0
; COMPUTE_PGM_RSRC3_GFX90A:TG_SPLIT: 0
	.section	.text._ZN7rocprim17ROCPRIM_400000_NS6detail17trampoline_kernelINS0_14default_configENS1_25partition_config_selectorILNS1_17partition_subalgoE2EsNS0_10empty_typeEbEEZZNS1_14partition_implILS5_2ELb0ES3_jN6thrust23THRUST_200600_302600_NS6detail15normal_iteratorINSA_7pointerIsNSA_11hip_rocprim3tagENSA_11use_defaultESG_EEEEPS6_NSA_18transform_iteratorI10is_orderedNSA_12zip_iteratorINSA_5tupleINSC_INSA_10device_ptrIsEEEESQ_NSA_9null_typeESR_SR_SR_SR_SR_SR_SR_EEEESG_SG_EENS0_5tupleIJPsSJ_EEENSV_IJSJ_SJ_EEES6_PlJS6_EEE10hipError_tPvRmT3_T4_T5_T6_T7_T9_mT8_P12ihipStream_tbDpT10_ENKUlT_T0_E_clISt17integral_constantIbLb0EES1J_EEDaS1E_S1F_EUlS1E_E_NS1_11comp_targetILNS1_3genE0ELNS1_11target_archE4294967295ELNS1_3gpuE0ELNS1_3repE0EEENS1_30default_config_static_selectorELNS0_4arch9wavefront6targetE1EEEvT1_,"axG",@progbits,_ZN7rocprim17ROCPRIM_400000_NS6detail17trampoline_kernelINS0_14default_configENS1_25partition_config_selectorILNS1_17partition_subalgoE2EsNS0_10empty_typeEbEEZZNS1_14partition_implILS5_2ELb0ES3_jN6thrust23THRUST_200600_302600_NS6detail15normal_iteratorINSA_7pointerIsNSA_11hip_rocprim3tagENSA_11use_defaultESG_EEEEPS6_NSA_18transform_iteratorI10is_orderedNSA_12zip_iteratorINSA_5tupleINSC_INSA_10device_ptrIsEEEESQ_NSA_9null_typeESR_SR_SR_SR_SR_SR_SR_EEEESG_SG_EENS0_5tupleIJPsSJ_EEENSV_IJSJ_SJ_EEES6_PlJS6_EEE10hipError_tPvRmT3_T4_T5_T6_T7_T9_mT8_P12ihipStream_tbDpT10_ENKUlT_T0_E_clISt17integral_constantIbLb0EES1J_EEDaS1E_S1F_EUlS1E_E_NS1_11comp_targetILNS1_3genE0ELNS1_11target_archE4294967295ELNS1_3gpuE0ELNS1_3repE0EEENS1_30default_config_static_selectorELNS0_4arch9wavefront6targetE1EEEvT1_,comdat
	.protected	_ZN7rocprim17ROCPRIM_400000_NS6detail17trampoline_kernelINS0_14default_configENS1_25partition_config_selectorILNS1_17partition_subalgoE2EsNS0_10empty_typeEbEEZZNS1_14partition_implILS5_2ELb0ES3_jN6thrust23THRUST_200600_302600_NS6detail15normal_iteratorINSA_7pointerIsNSA_11hip_rocprim3tagENSA_11use_defaultESG_EEEEPS6_NSA_18transform_iteratorI10is_orderedNSA_12zip_iteratorINSA_5tupleINSC_INSA_10device_ptrIsEEEESQ_NSA_9null_typeESR_SR_SR_SR_SR_SR_SR_EEEESG_SG_EENS0_5tupleIJPsSJ_EEENSV_IJSJ_SJ_EEES6_PlJS6_EEE10hipError_tPvRmT3_T4_T5_T6_T7_T9_mT8_P12ihipStream_tbDpT10_ENKUlT_T0_E_clISt17integral_constantIbLb0EES1J_EEDaS1E_S1F_EUlS1E_E_NS1_11comp_targetILNS1_3genE0ELNS1_11target_archE4294967295ELNS1_3gpuE0ELNS1_3repE0EEENS1_30default_config_static_selectorELNS0_4arch9wavefront6targetE1EEEvT1_ ; -- Begin function _ZN7rocprim17ROCPRIM_400000_NS6detail17trampoline_kernelINS0_14default_configENS1_25partition_config_selectorILNS1_17partition_subalgoE2EsNS0_10empty_typeEbEEZZNS1_14partition_implILS5_2ELb0ES3_jN6thrust23THRUST_200600_302600_NS6detail15normal_iteratorINSA_7pointerIsNSA_11hip_rocprim3tagENSA_11use_defaultESG_EEEEPS6_NSA_18transform_iteratorI10is_orderedNSA_12zip_iteratorINSA_5tupleINSC_INSA_10device_ptrIsEEEESQ_NSA_9null_typeESR_SR_SR_SR_SR_SR_SR_EEEESG_SG_EENS0_5tupleIJPsSJ_EEENSV_IJSJ_SJ_EEES6_PlJS6_EEE10hipError_tPvRmT3_T4_T5_T6_T7_T9_mT8_P12ihipStream_tbDpT10_ENKUlT_T0_E_clISt17integral_constantIbLb0EES1J_EEDaS1E_S1F_EUlS1E_E_NS1_11comp_targetILNS1_3genE0ELNS1_11target_archE4294967295ELNS1_3gpuE0ELNS1_3repE0EEENS1_30default_config_static_selectorELNS0_4arch9wavefront6targetE1EEEvT1_
	.globl	_ZN7rocprim17ROCPRIM_400000_NS6detail17trampoline_kernelINS0_14default_configENS1_25partition_config_selectorILNS1_17partition_subalgoE2EsNS0_10empty_typeEbEEZZNS1_14partition_implILS5_2ELb0ES3_jN6thrust23THRUST_200600_302600_NS6detail15normal_iteratorINSA_7pointerIsNSA_11hip_rocprim3tagENSA_11use_defaultESG_EEEEPS6_NSA_18transform_iteratorI10is_orderedNSA_12zip_iteratorINSA_5tupleINSC_INSA_10device_ptrIsEEEESQ_NSA_9null_typeESR_SR_SR_SR_SR_SR_SR_EEEESG_SG_EENS0_5tupleIJPsSJ_EEENSV_IJSJ_SJ_EEES6_PlJS6_EEE10hipError_tPvRmT3_T4_T5_T6_T7_T9_mT8_P12ihipStream_tbDpT10_ENKUlT_T0_E_clISt17integral_constantIbLb0EES1J_EEDaS1E_S1F_EUlS1E_E_NS1_11comp_targetILNS1_3genE0ELNS1_11target_archE4294967295ELNS1_3gpuE0ELNS1_3repE0EEENS1_30default_config_static_selectorELNS0_4arch9wavefront6targetE1EEEvT1_
	.p2align	8
	.type	_ZN7rocprim17ROCPRIM_400000_NS6detail17trampoline_kernelINS0_14default_configENS1_25partition_config_selectorILNS1_17partition_subalgoE2EsNS0_10empty_typeEbEEZZNS1_14partition_implILS5_2ELb0ES3_jN6thrust23THRUST_200600_302600_NS6detail15normal_iteratorINSA_7pointerIsNSA_11hip_rocprim3tagENSA_11use_defaultESG_EEEEPS6_NSA_18transform_iteratorI10is_orderedNSA_12zip_iteratorINSA_5tupleINSC_INSA_10device_ptrIsEEEESQ_NSA_9null_typeESR_SR_SR_SR_SR_SR_SR_EEEESG_SG_EENS0_5tupleIJPsSJ_EEENSV_IJSJ_SJ_EEES6_PlJS6_EEE10hipError_tPvRmT3_T4_T5_T6_T7_T9_mT8_P12ihipStream_tbDpT10_ENKUlT_T0_E_clISt17integral_constantIbLb0EES1J_EEDaS1E_S1F_EUlS1E_E_NS1_11comp_targetILNS1_3genE0ELNS1_11target_archE4294967295ELNS1_3gpuE0ELNS1_3repE0EEENS1_30default_config_static_selectorELNS0_4arch9wavefront6targetE1EEEvT1_,@function
_ZN7rocprim17ROCPRIM_400000_NS6detail17trampoline_kernelINS0_14default_configENS1_25partition_config_selectorILNS1_17partition_subalgoE2EsNS0_10empty_typeEbEEZZNS1_14partition_implILS5_2ELb0ES3_jN6thrust23THRUST_200600_302600_NS6detail15normal_iteratorINSA_7pointerIsNSA_11hip_rocprim3tagENSA_11use_defaultESG_EEEEPS6_NSA_18transform_iteratorI10is_orderedNSA_12zip_iteratorINSA_5tupleINSC_INSA_10device_ptrIsEEEESQ_NSA_9null_typeESR_SR_SR_SR_SR_SR_SR_EEEESG_SG_EENS0_5tupleIJPsSJ_EEENSV_IJSJ_SJ_EEES6_PlJS6_EEE10hipError_tPvRmT3_T4_T5_T6_T7_T9_mT8_P12ihipStream_tbDpT10_ENKUlT_T0_E_clISt17integral_constantIbLb0EES1J_EEDaS1E_S1F_EUlS1E_E_NS1_11comp_targetILNS1_3genE0ELNS1_11target_archE4294967295ELNS1_3gpuE0ELNS1_3repE0EEENS1_30default_config_static_selectorELNS0_4arch9wavefront6targetE1EEEvT1_: ; @_ZN7rocprim17ROCPRIM_400000_NS6detail17trampoline_kernelINS0_14default_configENS1_25partition_config_selectorILNS1_17partition_subalgoE2EsNS0_10empty_typeEbEEZZNS1_14partition_implILS5_2ELb0ES3_jN6thrust23THRUST_200600_302600_NS6detail15normal_iteratorINSA_7pointerIsNSA_11hip_rocprim3tagENSA_11use_defaultESG_EEEEPS6_NSA_18transform_iteratorI10is_orderedNSA_12zip_iteratorINSA_5tupleINSC_INSA_10device_ptrIsEEEESQ_NSA_9null_typeESR_SR_SR_SR_SR_SR_SR_EEEESG_SG_EENS0_5tupleIJPsSJ_EEENSV_IJSJ_SJ_EEES6_PlJS6_EEE10hipError_tPvRmT3_T4_T5_T6_T7_T9_mT8_P12ihipStream_tbDpT10_ENKUlT_T0_E_clISt17integral_constantIbLb0EES1J_EEDaS1E_S1F_EUlS1E_E_NS1_11comp_targetILNS1_3genE0ELNS1_11target_archE4294967295ELNS1_3gpuE0ELNS1_3repE0EEENS1_30default_config_static_selectorELNS0_4arch9wavefront6targetE1EEEvT1_
; %bb.0:
	.section	.rodata,"a",@progbits
	.p2align	6, 0x0
	.amdhsa_kernel _ZN7rocprim17ROCPRIM_400000_NS6detail17trampoline_kernelINS0_14default_configENS1_25partition_config_selectorILNS1_17partition_subalgoE2EsNS0_10empty_typeEbEEZZNS1_14partition_implILS5_2ELb0ES3_jN6thrust23THRUST_200600_302600_NS6detail15normal_iteratorINSA_7pointerIsNSA_11hip_rocprim3tagENSA_11use_defaultESG_EEEEPS6_NSA_18transform_iteratorI10is_orderedNSA_12zip_iteratorINSA_5tupleINSC_INSA_10device_ptrIsEEEESQ_NSA_9null_typeESR_SR_SR_SR_SR_SR_SR_EEEESG_SG_EENS0_5tupleIJPsSJ_EEENSV_IJSJ_SJ_EEES6_PlJS6_EEE10hipError_tPvRmT3_T4_T5_T6_T7_T9_mT8_P12ihipStream_tbDpT10_ENKUlT_T0_E_clISt17integral_constantIbLb0EES1J_EEDaS1E_S1F_EUlS1E_E_NS1_11comp_targetILNS1_3genE0ELNS1_11target_archE4294967295ELNS1_3gpuE0ELNS1_3repE0EEENS1_30default_config_static_selectorELNS0_4arch9wavefront6targetE1EEEvT1_
		.amdhsa_group_segment_fixed_size 0
		.amdhsa_private_segment_fixed_size 0
		.amdhsa_kernarg_size 136
		.amdhsa_user_sgpr_count 6
		.amdhsa_user_sgpr_private_segment_buffer 1
		.amdhsa_user_sgpr_dispatch_ptr 0
		.amdhsa_user_sgpr_queue_ptr 0
		.amdhsa_user_sgpr_kernarg_segment_ptr 1
		.amdhsa_user_sgpr_dispatch_id 0
		.amdhsa_user_sgpr_flat_scratch_init 0
		.amdhsa_user_sgpr_kernarg_preload_length 0
		.amdhsa_user_sgpr_kernarg_preload_offset 0
		.amdhsa_user_sgpr_private_segment_size 0
		.amdhsa_uses_dynamic_stack 0
		.amdhsa_system_sgpr_private_segment_wavefront_offset 0
		.amdhsa_system_sgpr_workgroup_id_x 1
		.amdhsa_system_sgpr_workgroup_id_y 0
		.amdhsa_system_sgpr_workgroup_id_z 0
		.amdhsa_system_sgpr_workgroup_info 0
		.amdhsa_system_vgpr_workitem_id 0
		.amdhsa_next_free_vgpr 1
		.amdhsa_next_free_sgpr 0
		.amdhsa_accum_offset 4
		.amdhsa_reserve_vcc 0
		.amdhsa_reserve_flat_scratch 0
		.amdhsa_float_round_mode_32 0
		.amdhsa_float_round_mode_16_64 0
		.amdhsa_float_denorm_mode_32 3
		.amdhsa_float_denorm_mode_16_64 3
		.amdhsa_dx10_clamp 1
		.amdhsa_ieee_mode 1
		.amdhsa_fp16_overflow 0
		.amdhsa_tg_split 0
		.amdhsa_exception_fp_ieee_invalid_op 0
		.amdhsa_exception_fp_denorm_src 0
		.amdhsa_exception_fp_ieee_div_zero 0
		.amdhsa_exception_fp_ieee_overflow 0
		.amdhsa_exception_fp_ieee_underflow 0
		.amdhsa_exception_fp_ieee_inexact 0
		.amdhsa_exception_int_div_zero 0
	.end_amdhsa_kernel
	.section	.text._ZN7rocprim17ROCPRIM_400000_NS6detail17trampoline_kernelINS0_14default_configENS1_25partition_config_selectorILNS1_17partition_subalgoE2EsNS0_10empty_typeEbEEZZNS1_14partition_implILS5_2ELb0ES3_jN6thrust23THRUST_200600_302600_NS6detail15normal_iteratorINSA_7pointerIsNSA_11hip_rocprim3tagENSA_11use_defaultESG_EEEEPS6_NSA_18transform_iteratorI10is_orderedNSA_12zip_iteratorINSA_5tupleINSC_INSA_10device_ptrIsEEEESQ_NSA_9null_typeESR_SR_SR_SR_SR_SR_SR_EEEESG_SG_EENS0_5tupleIJPsSJ_EEENSV_IJSJ_SJ_EEES6_PlJS6_EEE10hipError_tPvRmT3_T4_T5_T6_T7_T9_mT8_P12ihipStream_tbDpT10_ENKUlT_T0_E_clISt17integral_constantIbLb0EES1J_EEDaS1E_S1F_EUlS1E_E_NS1_11comp_targetILNS1_3genE0ELNS1_11target_archE4294967295ELNS1_3gpuE0ELNS1_3repE0EEENS1_30default_config_static_selectorELNS0_4arch9wavefront6targetE1EEEvT1_,"axG",@progbits,_ZN7rocprim17ROCPRIM_400000_NS6detail17trampoline_kernelINS0_14default_configENS1_25partition_config_selectorILNS1_17partition_subalgoE2EsNS0_10empty_typeEbEEZZNS1_14partition_implILS5_2ELb0ES3_jN6thrust23THRUST_200600_302600_NS6detail15normal_iteratorINSA_7pointerIsNSA_11hip_rocprim3tagENSA_11use_defaultESG_EEEEPS6_NSA_18transform_iteratorI10is_orderedNSA_12zip_iteratorINSA_5tupleINSC_INSA_10device_ptrIsEEEESQ_NSA_9null_typeESR_SR_SR_SR_SR_SR_SR_EEEESG_SG_EENS0_5tupleIJPsSJ_EEENSV_IJSJ_SJ_EEES6_PlJS6_EEE10hipError_tPvRmT3_T4_T5_T6_T7_T9_mT8_P12ihipStream_tbDpT10_ENKUlT_T0_E_clISt17integral_constantIbLb0EES1J_EEDaS1E_S1F_EUlS1E_E_NS1_11comp_targetILNS1_3genE0ELNS1_11target_archE4294967295ELNS1_3gpuE0ELNS1_3repE0EEENS1_30default_config_static_selectorELNS0_4arch9wavefront6targetE1EEEvT1_,comdat
.Lfunc_end3626:
	.size	_ZN7rocprim17ROCPRIM_400000_NS6detail17trampoline_kernelINS0_14default_configENS1_25partition_config_selectorILNS1_17partition_subalgoE2EsNS0_10empty_typeEbEEZZNS1_14partition_implILS5_2ELb0ES3_jN6thrust23THRUST_200600_302600_NS6detail15normal_iteratorINSA_7pointerIsNSA_11hip_rocprim3tagENSA_11use_defaultESG_EEEEPS6_NSA_18transform_iteratorI10is_orderedNSA_12zip_iteratorINSA_5tupleINSC_INSA_10device_ptrIsEEEESQ_NSA_9null_typeESR_SR_SR_SR_SR_SR_SR_EEEESG_SG_EENS0_5tupleIJPsSJ_EEENSV_IJSJ_SJ_EEES6_PlJS6_EEE10hipError_tPvRmT3_T4_T5_T6_T7_T9_mT8_P12ihipStream_tbDpT10_ENKUlT_T0_E_clISt17integral_constantIbLb0EES1J_EEDaS1E_S1F_EUlS1E_E_NS1_11comp_targetILNS1_3genE0ELNS1_11target_archE4294967295ELNS1_3gpuE0ELNS1_3repE0EEENS1_30default_config_static_selectorELNS0_4arch9wavefront6targetE1EEEvT1_, .Lfunc_end3626-_ZN7rocprim17ROCPRIM_400000_NS6detail17trampoline_kernelINS0_14default_configENS1_25partition_config_selectorILNS1_17partition_subalgoE2EsNS0_10empty_typeEbEEZZNS1_14partition_implILS5_2ELb0ES3_jN6thrust23THRUST_200600_302600_NS6detail15normal_iteratorINSA_7pointerIsNSA_11hip_rocprim3tagENSA_11use_defaultESG_EEEEPS6_NSA_18transform_iteratorI10is_orderedNSA_12zip_iteratorINSA_5tupleINSC_INSA_10device_ptrIsEEEESQ_NSA_9null_typeESR_SR_SR_SR_SR_SR_SR_EEEESG_SG_EENS0_5tupleIJPsSJ_EEENSV_IJSJ_SJ_EEES6_PlJS6_EEE10hipError_tPvRmT3_T4_T5_T6_T7_T9_mT8_P12ihipStream_tbDpT10_ENKUlT_T0_E_clISt17integral_constantIbLb0EES1J_EEDaS1E_S1F_EUlS1E_E_NS1_11comp_targetILNS1_3genE0ELNS1_11target_archE4294967295ELNS1_3gpuE0ELNS1_3repE0EEENS1_30default_config_static_selectorELNS0_4arch9wavefront6targetE1EEEvT1_
                                        ; -- End function
	.section	.AMDGPU.csdata,"",@progbits
; Kernel info:
; codeLenInByte = 0
; NumSgprs: 4
; NumVgprs: 0
; NumAgprs: 0
; TotalNumVgprs: 0
; ScratchSize: 0
; MemoryBound: 0
; FloatMode: 240
; IeeeMode: 1
; LDSByteSize: 0 bytes/workgroup (compile time only)
; SGPRBlocks: 0
; VGPRBlocks: 0
; NumSGPRsForWavesPerEU: 4
; NumVGPRsForWavesPerEU: 1
; AccumOffset: 4
; Occupancy: 8
; WaveLimiterHint : 0
; COMPUTE_PGM_RSRC2:SCRATCH_EN: 0
; COMPUTE_PGM_RSRC2:USER_SGPR: 6
; COMPUTE_PGM_RSRC2:TRAP_HANDLER: 0
; COMPUTE_PGM_RSRC2:TGID_X_EN: 1
; COMPUTE_PGM_RSRC2:TGID_Y_EN: 0
; COMPUTE_PGM_RSRC2:TGID_Z_EN: 0
; COMPUTE_PGM_RSRC2:TIDIG_COMP_CNT: 0
; COMPUTE_PGM_RSRC3_GFX90A:ACCUM_OFFSET: 0
; COMPUTE_PGM_RSRC3_GFX90A:TG_SPLIT: 0
	.section	.text._ZN7rocprim17ROCPRIM_400000_NS6detail17trampoline_kernelINS0_14default_configENS1_25partition_config_selectorILNS1_17partition_subalgoE2EsNS0_10empty_typeEbEEZZNS1_14partition_implILS5_2ELb0ES3_jN6thrust23THRUST_200600_302600_NS6detail15normal_iteratorINSA_7pointerIsNSA_11hip_rocprim3tagENSA_11use_defaultESG_EEEEPS6_NSA_18transform_iteratorI10is_orderedNSA_12zip_iteratorINSA_5tupleINSC_INSA_10device_ptrIsEEEESQ_NSA_9null_typeESR_SR_SR_SR_SR_SR_SR_EEEESG_SG_EENS0_5tupleIJPsSJ_EEENSV_IJSJ_SJ_EEES6_PlJS6_EEE10hipError_tPvRmT3_T4_T5_T6_T7_T9_mT8_P12ihipStream_tbDpT10_ENKUlT_T0_E_clISt17integral_constantIbLb0EES1J_EEDaS1E_S1F_EUlS1E_E_NS1_11comp_targetILNS1_3genE5ELNS1_11target_archE942ELNS1_3gpuE9ELNS1_3repE0EEENS1_30default_config_static_selectorELNS0_4arch9wavefront6targetE1EEEvT1_,"axG",@progbits,_ZN7rocprim17ROCPRIM_400000_NS6detail17trampoline_kernelINS0_14default_configENS1_25partition_config_selectorILNS1_17partition_subalgoE2EsNS0_10empty_typeEbEEZZNS1_14partition_implILS5_2ELb0ES3_jN6thrust23THRUST_200600_302600_NS6detail15normal_iteratorINSA_7pointerIsNSA_11hip_rocprim3tagENSA_11use_defaultESG_EEEEPS6_NSA_18transform_iteratorI10is_orderedNSA_12zip_iteratorINSA_5tupleINSC_INSA_10device_ptrIsEEEESQ_NSA_9null_typeESR_SR_SR_SR_SR_SR_SR_EEEESG_SG_EENS0_5tupleIJPsSJ_EEENSV_IJSJ_SJ_EEES6_PlJS6_EEE10hipError_tPvRmT3_T4_T5_T6_T7_T9_mT8_P12ihipStream_tbDpT10_ENKUlT_T0_E_clISt17integral_constantIbLb0EES1J_EEDaS1E_S1F_EUlS1E_E_NS1_11comp_targetILNS1_3genE5ELNS1_11target_archE942ELNS1_3gpuE9ELNS1_3repE0EEENS1_30default_config_static_selectorELNS0_4arch9wavefront6targetE1EEEvT1_,comdat
	.protected	_ZN7rocprim17ROCPRIM_400000_NS6detail17trampoline_kernelINS0_14default_configENS1_25partition_config_selectorILNS1_17partition_subalgoE2EsNS0_10empty_typeEbEEZZNS1_14partition_implILS5_2ELb0ES3_jN6thrust23THRUST_200600_302600_NS6detail15normal_iteratorINSA_7pointerIsNSA_11hip_rocprim3tagENSA_11use_defaultESG_EEEEPS6_NSA_18transform_iteratorI10is_orderedNSA_12zip_iteratorINSA_5tupleINSC_INSA_10device_ptrIsEEEESQ_NSA_9null_typeESR_SR_SR_SR_SR_SR_SR_EEEESG_SG_EENS0_5tupleIJPsSJ_EEENSV_IJSJ_SJ_EEES6_PlJS6_EEE10hipError_tPvRmT3_T4_T5_T6_T7_T9_mT8_P12ihipStream_tbDpT10_ENKUlT_T0_E_clISt17integral_constantIbLb0EES1J_EEDaS1E_S1F_EUlS1E_E_NS1_11comp_targetILNS1_3genE5ELNS1_11target_archE942ELNS1_3gpuE9ELNS1_3repE0EEENS1_30default_config_static_selectorELNS0_4arch9wavefront6targetE1EEEvT1_ ; -- Begin function _ZN7rocprim17ROCPRIM_400000_NS6detail17trampoline_kernelINS0_14default_configENS1_25partition_config_selectorILNS1_17partition_subalgoE2EsNS0_10empty_typeEbEEZZNS1_14partition_implILS5_2ELb0ES3_jN6thrust23THRUST_200600_302600_NS6detail15normal_iteratorINSA_7pointerIsNSA_11hip_rocprim3tagENSA_11use_defaultESG_EEEEPS6_NSA_18transform_iteratorI10is_orderedNSA_12zip_iteratorINSA_5tupleINSC_INSA_10device_ptrIsEEEESQ_NSA_9null_typeESR_SR_SR_SR_SR_SR_SR_EEEESG_SG_EENS0_5tupleIJPsSJ_EEENSV_IJSJ_SJ_EEES6_PlJS6_EEE10hipError_tPvRmT3_T4_T5_T6_T7_T9_mT8_P12ihipStream_tbDpT10_ENKUlT_T0_E_clISt17integral_constantIbLb0EES1J_EEDaS1E_S1F_EUlS1E_E_NS1_11comp_targetILNS1_3genE5ELNS1_11target_archE942ELNS1_3gpuE9ELNS1_3repE0EEENS1_30default_config_static_selectorELNS0_4arch9wavefront6targetE1EEEvT1_
	.globl	_ZN7rocprim17ROCPRIM_400000_NS6detail17trampoline_kernelINS0_14default_configENS1_25partition_config_selectorILNS1_17partition_subalgoE2EsNS0_10empty_typeEbEEZZNS1_14partition_implILS5_2ELb0ES3_jN6thrust23THRUST_200600_302600_NS6detail15normal_iteratorINSA_7pointerIsNSA_11hip_rocprim3tagENSA_11use_defaultESG_EEEEPS6_NSA_18transform_iteratorI10is_orderedNSA_12zip_iteratorINSA_5tupleINSC_INSA_10device_ptrIsEEEESQ_NSA_9null_typeESR_SR_SR_SR_SR_SR_SR_EEEESG_SG_EENS0_5tupleIJPsSJ_EEENSV_IJSJ_SJ_EEES6_PlJS6_EEE10hipError_tPvRmT3_T4_T5_T6_T7_T9_mT8_P12ihipStream_tbDpT10_ENKUlT_T0_E_clISt17integral_constantIbLb0EES1J_EEDaS1E_S1F_EUlS1E_E_NS1_11comp_targetILNS1_3genE5ELNS1_11target_archE942ELNS1_3gpuE9ELNS1_3repE0EEENS1_30default_config_static_selectorELNS0_4arch9wavefront6targetE1EEEvT1_
	.p2align	8
	.type	_ZN7rocprim17ROCPRIM_400000_NS6detail17trampoline_kernelINS0_14default_configENS1_25partition_config_selectorILNS1_17partition_subalgoE2EsNS0_10empty_typeEbEEZZNS1_14partition_implILS5_2ELb0ES3_jN6thrust23THRUST_200600_302600_NS6detail15normal_iteratorINSA_7pointerIsNSA_11hip_rocprim3tagENSA_11use_defaultESG_EEEEPS6_NSA_18transform_iteratorI10is_orderedNSA_12zip_iteratorINSA_5tupleINSC_INSA_10device_ptrIsEEEESQ_NSA_9null_typeESR_SR_SR_SR_SR_SR_SR_EEEESG_SG_EENS0_5tupleIJPsSJ_EEENSV_IJSJ_SJ_EEES6_PlJS6_EEE10hipError_tPvRmT3_T4_T5_T6_T7_T9_mT8_P12ihipStream_tbDpT10_ENKUlT_T0_E_clISt17integral_constantIbLb0EES1J_EEDaS1E_S1F_EUlS1E_E_NS1_11comp_targetILNS1_3genE5ELNS1_11target_archE942ELNS1_3gpuE9ELNS1_3repE0EEENS1_30default_config_static_selectorELNS0_4arch9wavefront6targetE1EEEvT1_,@function
_ZN7rocprim17ROCPRIM_400000_NS6detail17trampoline_kernelINS0_14default_configENS1_25partition_config_selectorILNS1_17partition_subalgoE2EsNS0_10empty_typeEbEEZZNS1_14partition_implILS5_2ELb0ES3_jN6thrust23THRUST_200600_302600_NS6detail15normal_iteratorINSA_7pointerIsNSA_11hip_rocprim3tagENSA_11use_defaultESG_EEEEPS6_NSA_18transform_iteratorI10is_orderedNSA_12zip_iteratorINSA_5tupleINSC_INSA_10device_ptrIsEEEESQ_NSA_9null_typeESR_SR_SR_SR_SR_SR_SR_EEEESG_SG_EENS0_5tupleIJPsSJ_EEENSV_IJSJ_SJ_EEES6_PlJS6_EEE10hipError_tPvRmT3_T4_T5_T6_T7_T9_mT8_P12ihipStream_tbDpT10_ENKUlT_T0_E_clISt17integral_constantIbLb0EES1J_EEDaS1E_S1F_EUlS1E_E_NS1_11comp_targetILNS1_3genE5ELNS1_11target_archE942ELNS1_3gpuE9ELNS1_3repE0EEENS1_30default_config_static_selectorELNS0_4arch9wavefront6targetE1EEEvT1_: ; @_ZN7rocprim17ROCPRIM_400000_NS6detail17trampoline_kernelINS0_14default_configENS1_25partition_config_selectorILNS1_17partition_subalgoE2EsNS0_10empty_typeEbEEZZNS1_14partition_implILS5_2ELb0ES3_jN6thrust23THRUST_200600_302600_NS6detail15normal_iteratorINSA_7pointerIsNSA_11hip_rocprim3tagENSA_11use_defaultESG_EEEEPS6_NSA_18transform_iteratorI10is_orderedNSA_12zip_iteratorINSA_5tupleINSC_INSA_10device_ptrIsEEEESQ_NSA_9null_typeESR_SR_SR_SR_SR_SR_SR_EEEESG_SG_EENS0_5tupleIJPsSJ_EEENSV_IJSJ_SJ_EEES6_PlJS6_EEE10hipError_tPvRmT3_T4_T5_T6_T7_T9_mT8_P12ihipStream_tbDpT10_ENKUlT_T0_E_clISt17integral_constantIbLb0EES1J_EEDaS1E_S1F_EUlS1E_E_NS1_11comp_targetILNS1_3genE5ELNS1_11target_archE942ELNS1_3gpuE9ELNS1_3repE0EEENS1_30default_config_static_selectorELNS0_4arch9wavefront6targetE1EEEvT1_
; %bb.0:
	.section	.rodata,"a",@progbits
	.p2align	6, 0x0
	.amdhsa_kernel _ZN7rocprim17ROCPRIM_400000_NS6detail17trampoline_kernelINS0_14default_configENS1_25partition_config_selectorILNS1_17partition_subalgoE2EsNS0_10empty_typeEbEEZZNS1_14partition_implILS5_2ELb0ES3_jN6thrust23THRUST_200600_302600_NS6detail15normal_iteratorINSA_7pointerIsNSA_11hip_rocprim3tagENSA_11use_defaultESG_EEEEPS6_NSA_18transform_iteratorI10is_orderedNSA_12zip_iteratorINSA_5tupleINSC_INSA_10device_ptrIsEEEESQ_NSA_9null_typeESR_SR_SR_SR_SR_SR_SR_EEEESG_SG_EENS0_5tupleIJPsSJ_EEENSV_IJSJ_SJ_EEES6_PlJS6_EEE10hipError_tPvRmT3_T4_T5_T6_T7_T9_mT8_P12ihipStream_tbDpT10_ENKUlT_T0_E_clISt17integral_constantIbLb0EES1J_EEDaS1E_S1F_EUlS1E_E_NS1_11comp_targetILNS1_3genE5ELNS1_11target_archE942ELNS1_3gpuE9ELNS1_3repE0EEENS1_30default_config_static_selectorELNS0_4arch9wavefront6targetE1EEEvT1_
		.amdhsa_group_segment_fixed_size 0
		.amdhsa_private_segment_fixed_size 0
		.amdhsa_kernarg_size 136
		.amdhsa_user_sgpr_count 6
		.amdhsa_user_sgpr_private_segment_buffer 1
		.amdhsa_user_sgpr_dispatch_ptr 0
		.amdhsa_user_sgpr_queue_ptr 0
		.amdhsa_user_sgpr_kernarg_segment_ptr 1
		.amdhsa_user_sgpr_dispatch_id 0
		.amdhsa_user_sgpr_flat_scratch_init 0
		.amdhsa_user_sgpr_kernarg_preload_length 0
		.amdhsa_user_sgpr_kernarg_preload_offset 0
		.amdhsa_user_sgpr_private_segment_size 0
		.amdhsa_uses_dynamic_stack 0
		.amdhsa_system_sgpr_private_segment_wavefront_offset 0
		.amdhsa_system_sgpr_workgroup_id_x 1
		.amdhsa_system_sgpr_workgroup_id_y 0
		.amdhsa_system_sgpr_workgroup_id_z 0
		.amdhsa_system_sgpr_workgroup_info 0
		.amdhsa_system_vgpr_workitem_id 0
		.amdhsa_next_free_vgpr 1
		.amdhsa_next_free_sgpr 0
		.amdhsa_accum_offset 4
		.amdhsa_reserve_vcc 0
		.amdhsa_reserve_flat_scratch 0
		.amdhsa_float_round_mode_32 0
		.amdhsa_float_round_mode_16_64 0
		.amdhsa_float_denorm_mode_32 3
		.amdhsa_float_denorm_mode_16_64 3
		.amdhsa_dx10_clamp 1
		.amdhsa_ieee_mode 1
		.amdhsa_fp16_overflow 0
		.amdhsa_tg_split 0
		.amdhsa_exception_fp_ieee_invalid_op 0
		.amdhsa_exception_fp_denorm_src 0
		.amdhsa_exception_fp_ieee_div_zero 0
		.amdhsa_exception_fp_ieee_overflow 0
		.amdhsa_exception_fp_ieee_underflow 0
		.amdhsa_exception_fp_ieee_inexact 0
		.amdhsa_exception_int_div_zero 0
	.end_amdhsa_kernel
	.section	.text._ZN7rocprim17ROCPRIM_400000_NS6detail17trampoline_kernelINS0_14default_configENS1_25partition_config_selectorILNS1_17partition_subalgoE2EsNS0_10empty_typeEbEEZZNS1_14partition_implILS5_2ELb0ES3_jN6thrust23THRUST_200600_302600_NS6detail15normal_iteratorINSA_7pointerIsNSA_11hip_rocprim3tagENSA_11use_defaultESG_EEEEPS6_NSA_18transform_iteratorI10is_orderedNSA_12zip_iteratorINSA_5tupleINSC_INSA_10device_ptrIsEEEESQ_NSA_9null_typeESR_SR_SR_SR_SR_SR_SR_EEEESG_SG_EENS0_5tupleIJPsSJ_EEENSV_IJSJ_SJ_EEES6_PlJS6_EEE10hipError_tPvRmT3_T4_T5_T6_T7_T9_mT8_P12ihipStream_tbDpT10_ENKUlT_T0_E_clISt17integral_constantIbLb0EES1J_EEDaS1E_S1F_EUlS1E_E_NS1_11comp_targetILNS1_3genE5ELNS1_11target_archE942ELNS1_3gpuE9ELNS1_3repE0EEENS1_30default_config_static_selectorELNS0_4arch9wavefront6targetE1EEEvT1_,"axG",@progbits,_ZN7rocprim17ROCPRIM_400000_NS6detail17trampoline_kernelINS0_14default_configENS1_25partition_config_selectorILNS1_17partition_subalgoE2EsNS0_10empty_typeEbEEZZNS1_14partition_implILS5_2ELb0ES3_jN6thrust23THRUST_200600_302600_NS6detail15normal_iteratorINSA_7pointerIsNSA_11hip_rocprim3tagENSA_11use_defaultESG_EEEEPS6_NSA_18transform_iteratorI10is_orderedNSA_12zip_iteratorINSA_5tupleINSC_INSA_10device_ptrIsEEEESQ_NSA_9null_typeESR_SR_SR_SR_SR_SR_SR_EEEESG_SG_EENS0_5tupleIJPsSJ_EEENSV_IJSJ_SJ_EEES6_PlJS6_EEE10hipError_tPvRmT3_T4_T5_T6_T7_T9_mT8_P12ihipStream_tbDpT10_ENKUlT_T0_E_clISt17integral_constantIbLb0EES1J_EEDaS1E_S1F_EUlS1E_E_NS1_11comp_targetILNS1_3genE5ELNS1_11target_archE942ELNS1_3gpuE9ELNS1_3repE0EEENS1_30default_config_static_selectorELNS0_4arch9wavefront6targetE1EEEvT1_,comdat
.Lfunc_end3627:
	.size	_ZN7rocprim17ROCPRIM_400000_NS6detail17trampoline_kernelINS0_14default_configENS1_25partition_config_selectorILNS1_17partition_subalgoE2EsNS0_10empty_typeEbEEZZNS1_14partition_implILS5_2ELb0ES3_jN6thrust23THRUST_200600_302600_NS6detail15normal_iteratorINSA_7pointerIsNSA_11hip_rocprim3tagENSA_11use_defaultESG_EEEEPS6_NSA_18transform_iteratorI10is_orderedNSA_12zip_iteratorINSA_5tupleINSC_INSA_10device_ptrIsEEEESQ_NSA_9null_typeESR_SR_SR_SR_SR_SR_SR_EEEESG_SG_EENS0_5tupleIJPsSJ_EEENSV_IJSJ_SJ_EEES6_PlJS6_EEE10hipError_tPvRmT3_T4_T5_T6_T7_T9_mT8_P12ihipStream_tbDpT10_ENKUlT_T0_E_clISt17integral_constantIbLb0EES1J_EEDaS1E_S1F_EUlS1E_E_NS1_11comp_targetILNS1_3genE5ELNS1_11target_archE942ELNS1_3gpuE9ELNS1_3repE0EEENS1_30default_config_static_selectorELNS0_4arch9wavefront6targetE1EEEvT1_, .Lfunc_end3627-_ZN7rocprim17ROCPRIM_400000_NS6detail17trampoline_kernelINS0_14default_configENS1_25partition_config_selectorILNS1_17partition_subalgoE2EsNS0_10empty_typeEbEEZZNS1_14partition_implILS5_2ELb0ES3_jN6thrust23THRUST_200600_302600_NS6detail15normal_iteratorINSA_7pointerIsNSA_11hip_rocprim3tagENSA_11use_defaultESG_EEEEPS6_NSA_18transform_iteratorI10is_orderedNSA_12zip_iteratorINSA_5tupleINSC_INSA_10device_ptrIsEEEESQ_NSA_9null_typeESR_SR_SR_SR_SR_SR_SR_EEEESG_SG_EENS0_5tupleIJPsSJ_EEENSV_IJSJ_SJ_EEES6_PlJS6_EEE10hipError_tPvRmT3_T4_T5_T6_T7_T9_mT8_P12ihipStream_tbDpT10_ENKUlT_T0_E_clISt17integral_constantIbLb0EES1J_EEDaS1E_S1F_EUlS1E_E_NS1_11comp_targetILNS1_3genE5ELNS1_11target_archE942ELNS1_3gpuE9ELNS1_3repE0EEENS1_30default_config_static_selectorELNS0_4arch9wavefront6targetE1EEEvT1_
                                        ; -- End function
	.section	.AMDGPU.csdata,"",@progbits
; Kernel info:
; codeLenInByte = 0
; NumSgprs: 4
; NumVgprs: 0
; NumAgprs: 0
; TotalNumVgprs: 0
; ScratchSize: 0
; MemoryBound: 0
; FloatMode: 240
; IeeeMode: 1
; LDSByteSize: 0 bytes/workgroup (compile time only)
; SGPRBlocks: 0
; VGPRBlocks: 0
; NumSGPRsForWavesPerEU: 4
; NumVGPRsForWavesPerEU: 1
; AccumOffset: 4
; Occupancy: 8
; WaveLimiterHint : 0
; COMPUTE_PGM_RSRC2:SCRATCH_EN: 0
; COMPUTE_PGM_RSRC2:USER_SGPR: 6
; COMPUTE_PGM_RSRC2:TRAP_HANDLER: 0
; COMPUTE_PGM_RSRC2:TGID_X_EN: 1
; COMPUTE_PGM_RSRC2:TGID_Y_EN: 0
; COMPUTE_PGM_RSRC2:TGID_Z_EN: 0
; COMPUTE_PGM_RSRC2:TIDIG_COMP_CNT: 0
; COMPUTE_PGM_RSRC3_GFX90A:ACCUM_OFFSET: 0
; COMPUTE_PGM_RSRC3_GFX90A:TG_SPLIT: 0
	.section	.text._ZN7rocprim17ROCPRIM_400000_NS6detail17trampoline_kernelINS0_14default_configENS1_25partition_config_selectorILNS1_17partition_subalgoE2EsNS0_10empty_typeEbEEZZNS1_14partition_implILS5_2ELb0ES3_jN6thrust23THRUST_200600_302600_NS6detail15normal_iteratorINSA_7pointerIsNSA_11hip_rocprim3tagENSA_11use_defaultESG_EEEEPS6_NSA_18transform_iteratorI10is_orderedNSA_12zip_iteratorINSA_5tupleINSC_INSA_10device_ptrIsEEEESQ_NSA_9null_typeESR_SR_SR_SR_SR_SR_SR_EEEESG_SG_EENS0_5tupleIJPsSJ_EEENSV_IJSJ_SJ_EEES6_PlJS6_EEE10hipError_tPvRmT3_T4_T5_T6_T7_T9_mT8_P12ihipStream_tbDpT10_ENKUlT_T0_E_clISt17integral_constantIbLb0EES1J_EEDaS1E_S1F_EUlS1E_E_NS1_11comp_targetILNS1_3genE4ELNS1_11target_archE910ELNS1_3gpuE8ELNS1_3repE0EEENS1_30default_config_static_selectorELNS0_4arch9wavefront6targetE1EEEvT1_,"axG",@progbits,_ZN7rocprim17ROCPRIM_400000_NS6detail17trampoline_kernelINS0_14default_configENS1_25partition_config_selectorILNS1_17partition_subalgoE2EsNS0_10empty_typeEbEEZZNS1_14partition_implILS5_2ELb0ES3_jN6thrust23THRUST_200600_302600_NS6detail15normal_iteratorINSA_7pointerIsNSA_11hip_rocprim3tagENSA_11use_defaultESG_EEEEPS6_NSA_18transform_iteratorI10is_orderedNSA_12zip_iteratorINSA_5tupleINSC_INSA_10device_ptrIsEEEESQ_NSA_9null_typeESR_SR_SR_SR_SR_SR_SR_EEEESG_SG_EENS0_5tupleIJPsSJ_EEENSV_IJSJ_SJ_EEES6_PlJS6_EEE10hipError_tPvRmT3_T4_T5_T6_T7_T9_mT8_P12ihipStream_tbDpT10_ENKUlT_T0_E_clISt17integral_constantIbLb0EES1J_EEDaS1E_S1F_EUlS1E_E_NS1_11comp_targetILNS1_3genE4ELNS1_11target_archE910ELNS1_3gpuE8ELNS1_3repE0EEENS1_30default_config_static_selectorELNS0_4arch9wavefront6targetE1EEEvT1_,comdat
	.protected	_ZN7rocprim17ROCPRIM_400000_NS6detail17trampoline_kernelINS0_14default_configENS1_25partition_config_selectorILNS1_17partition_subalgoE2EsNS0_10empty_typeEbEEZZNS1_14partition_implILS5_2ELb0ES3_jN6thrust23THRUST_200600_302600_NS6detail15normal_iteratorINSA_7pointerIsNSA_11hip_rocprim3tagENSA_11use_defaultESG_EEEEPS6_NSA_18transform_iteratorI10is_orderedNSA_12zip_iteratorINSA_5tupleINSC_INSA_10device_ptrIsEEEESQ_NSA_9null_typeESR_SR_SR_SR_SR_SR_SR_EEEESG_SG_EENS0_5tupleIJPsSJ_EEENSV_IJSJ_SJ_EEES6_PlJS6_EEE10hipError_tPvRmT3_T4_T5_T6_T7_T9_mT8_P12ihipStream_tbDpT10_ENKUlT_T0_E_clISt17integral_constantIbLb0EES1J_EEDaS1E_S1F_EUlS1E_E_NS1_11comp_targetILNS1_3genE4ELNS1_11target_archE910ELNS1_3gpuE8ELNS1_3repE0EEENS1_30default_config_static_selectorELNS0_4arch9wavefront6targetE1EEEvT1_ ; -- Begin function _ZN7rocprim17ROCPRIM_400000_NS6detail17trampoline_kernelINS0_14default_configENS1_25partition_config_selectorILNS1_17partition_subalgoE2EsNS0_10empty_typeEbEEZZNS1_14partition_implILS5_2ELb0ES3_jN6thrust23THRUST_200600_302600_NS6detail15normal_iteratorINSA_7pointerIsNSA_11hip_rocprim3tagENSA_11use_defaultESG_EEEEPS6_NSA_18transform_iteratorI10is_orderedNSA_12zip_iteratorINSA_5tupleINSC_INSA_10device_ptrIsEEEESQ_NSA_9null_typeESR_SR_SR_SR_SR_SR_SR_EEEESG_SG_EENS0_5tupleIJPsSJ_EEENSV_IJSJ_SJ_EEES6_PlJS6_EEE10hipError_tPvRmT3_T4_T5_T6_T7_T9_mT8_P12ihipStream_tbDpT10_ENKUlT_T0_E_clISt17integral_constantIbLb0EES1J_EEDaS1E_S1F_EUlS1E_E_NS1_11comp_targetILNS1_3genE4ELNS1_11target_archE910ELNS1_3gpuE8ELNS1_3repE0EEENS1_30default_config_static_selectorELNS0_4arch9wavefront6targetE1EEEvT1_
	.globl	_ZN7rocprim17ROCPRIM_400000_NS6detail17trampoline_kernelINS0_14default_configENS1_25partition_config_selectorILNS1_17partition_subalgoE2EsNS0_10empty_typeEbEEZZNS1_14partition_implILS5_2ELb0ES3_jN6thrust23THRUST_200600_302600_NS6detail15normal_iteratorINSA_7pointerIsNSA_11hip_rocprim3tagENSA_11use_defaultESG_EEEEPS6_NSA_18transform_iteratorI10is_orderedNSA_12zip_iteratorINSA_5tupleINSC_INSA_10device_ptrIsEEEESQ_NSA_9null_typeESR_SR_SR_SR_SR_SR_SR_EEEESG_SG_EENS0_5tupleIJPsSJ_EEENSV_IJSJ_SJ_EEES6_PlJS6_EEE10hipError_tPvRmT3_T4_T5_T6_T7_T9_mT8_P12ihipStream_tbDpT10_ENKUlT_T0_E_clISt17integral_constantIbLb0EES1J_EEDaS1E_S1F_EUlS1E_E_NS1_11comp_targetILNS1_3genE4ELNS1_11target_archE910ELNS1_3gpuE8ELNS1_3repE0EEENS1_30default_config_static_selectorELNS0_4arch9wavefront6targetE1EEEvT1_
	.p2align	8
	.type	_ZN7rocprim17ROCPRIM_400000_NS6detail17trampoline_kernelINS0_14default_configENS1_25partition_config_selectorILNS1_17partition_subalgoE2EsNS0_10empty_typeEbEEZZNS1_14partition_implILS5_2ELb0ES3_jN6thrust23THRUST_200600_302600_NS6detail15normal_iteratorINSA_7pointerIsNSA_11hip_rocprim3tagENSA_11use_defaultESG_EEEEPS6_NSA_18transform_iteratorI10is_orderedNSA_12zip_iteratorINSA_5tupleINSC_INSA_10device_ptrIsEEEESQ_NSA_9null_typeESR_SR_SR_SR_SR_SR_SR_EEEESG_SG_EENS0_5tupleIJPsSJ_EEENSV_IJSJ_SJ_EEES6_PlJS6_EEE10hipError_tPvRmT3_T4_T5_T6_T7_T9_mT8_P12ihipStream_tbDpT10_ENKUlT_T0_E_clISt17integral_constantIbLb0EES1J_EEDaS1E_S1F_EUlS1E_E_NS1_11comp_targetILNS1_3genE4ELNS1_11target_archE910ELNS1_3gpuE8ELNS1_3repE0EEENS1_30default_config_static_selectorELNS0_4arch9wavefront6targetE1EEEvT1_,@function
_ZN7rocprim17ROCPRIM_400000_NS6detail17trampoline_kernelINS0_14default_configENS1_25partition_config_selectorILNS1_17partition_subalgoE2EsNS0_10empty_typeEbEEZZNS1_14partition_implILS5_2ELb0ES3_jN6thrust23THRUST_200600_302600_NS6detail15normal_iteratorINSA_7pointerIsNSA_11hip_rocprim3tagENSA_11use_defaultESG_EEEEPS6_NSA_18transform_iteratorI10is_orderedNSA_12zip_iteratorINSA_5tupleINSC_INSA_10device_ptrIsEEEESQ_NSA_9null_typeESR_SR_SR_SR_SR_SR_SR_EEEESG_SG_EENS0_5tupleIJPsSJ_EEENSV_IJSJ_SJ_EEES6_PlJS6_EEE10hipError_tPvRmT3_T4_T5_T6_T7_T9_mT8_P12ihipStream_tbDpT10_ENKUlT_T0_E_clISt17integral_constantIbLb0EES1J_EEDaS1E_S1F_EUlS1E_E_NS1_11comp_targetILNS1_3genE4ELNS1_11target_archE910ELNS1_3gpuE8ELNS1_3repE0EEENS1_30default_config_static_selectorELNS0_4arch9wavefront6targetE1EEEvT1_: ; @_ZN7rocprim17ROCPRIM_400000_NS6detail17trampoline_kernelINS0_14default_configENS1_25partition_config_selectorILNS1_17partition_subalgoE2EsNS0_10empty_typeEbEEZZNS1_14partition_implILS5_2ELb0ES3_jN6thrust23THRUST_200600_302600_NS6detail15normal_iteratorINSA_7pointerIsNSA_11hip_rocprim3tagENSA_11use_defaultESG_EEEEPS6_NSA_18transform_iteratorI10is_orderedNSA_12zip_iteratorINSA_5tupleINSC_INSA_10device_ptrIsEEEESQ_NSA_9null_typeESR_SR_SR_SR_SR_SR_SR_EEEESG_SG_EENS0_5tupleIJPsSJ_EEENSV_IJSJ_SJ_EEES6_PlJS6_EEE10hipError_tPvRmT3_T4_T5_T6_T7_T9_mT8_P12ihipStream_tbDpT10_ENKUlT_T0_E_clISt17integral_constantIbLb0EES1J_EEDaS1E_S1F_EUlS1E_E_NS1_11comp_targetILNS1_3genE4ELNS1_11target_archE910ELNS1_3gpuE8ELNS1_3repE0EEENS1_30default_config_static_selectorELNS0_4arch9wavefront6targetE1EEEvT1_
; %bb.0:
	s_load_dwordx4 s[24:27], s[4:5], 0x8
	s_load_dwordx4 s[20:23], s[4:5], 0x58
	s_load_dwordx2 s[28:29], s[4:5], 0x68
	s_load_dword s0, s[4:5], 0x80
	v_lshlrev_b32_e32 v1, 1, v0
	s_waitcnt lgkmcnt(0)
	s_lshl_b64 s[2:3], s[26:27], 1
	s_add_u32 s7, s24, s2
	s_addc_u32 s8, s25, s3
	s_add_i32 s9, s0, -1
	s_mulk_i32 s0, 0x1400
	s_add_i32 s1, s0, s26
	s_sub_i32 s33, s28, s1
	s_addk_i32 s33, 0x1400
	s_add_u32 s0, s26, s0
	s_addc_u32 s1, s27, 0
	s_cmp_eq_u32 s6, s9
	s_load_dwordx2 s[30:31], s[22:23], 0x0
	v_pk_mov_b32 v[2:3], s[28:29], s[28:29] op_sel:[0,1]
	s_cselect_b64 s[22:23], -1, 0
	s_cmp_lg_u32 s6, s9
	s_mul_i32 s24, s6, 0x1400
	s_mov_b32 s25, 0
	v_cmp_lt_u64_e32 vcc, s[0:1], v[2:3]
	s_cselect_b64 s[0:1], -1, 0
	s_or_b64 s[34:35], s[0:1], vcc
	s_lshl_b64 s[12:13], s[24:25], 1
	s_add_u32 s7, s7, s12
	s_addc_u32 s16, s8, s13
	s_mov_b64 s[0:1], -1
	s_and_b64 vcc, exec, s[34:35]
	s_cbranch_vccz .LBB3628_2
; %bb.1:
	v_mov_b32_e32 v3, s16
	v_add_co_u32_e32 v2, vcc, s7, v1
	v_addc_co_u32_e32 v3, vcc, 0, v3, vcc
	v_add_co_u32_e32 v4, vcc, 0x1000, v2
	v_addc_co_u32_e32 v5, vcc, 0, v3, vcc
	flat_load_ushort v6, v[2:3]
	flat_load_ushort v7, v[2:3] offset:512
	flat_load_ushort v8, v[2:3] offset:1024
	;; [unrolled: 1-line block ×7, first 2 shown]
	v_add_co_u32_e32 v2, vcc, 0x2000, v2
	v_addc_co_u32_e32 v3, vcc, 0, v3, vcc
	flat_load_ushort v14, v[4:5]
	flat_load_ushort v15, v[4:5] offset:512
	flat_load_ushort v16, v[4:5] offset:1024
	;; [unrolled: 1-line block ×7, first 2 shown]
	s_nop 0
	flat_load_ushort v4, v[2:3]
	flat_load_ushort v5, v[2:3] offset:512
	flat_load_ushort v22, v[2:3] offset:1024
	;; [unrolled: 1-line block ×3, first 2 shown]
	s_mov_b64 s[0:1], 0
	s_waitcnt vmcnt(0) lgkmcnt(0)
	ds_write_b16 v1, v6
	ds_write_b16 v1, v7 offset:512
	ds_write_b16 v1, v8 offset:1024
	;; [unrolled: 1-line block ×19, first 2 shown]
	s_waitcnt lgkmcnt(0)
	s_barrier
.LBB3628_2:
	s_load_dwordx4 s[8:11], s[4:5], 0x20
	s_andn2_b64 vcc, exec, s[0:1]
	v_cmp_gt_u32_e64 s[0:1], s33, v0
	s_cbranch_vccnz .LBB3628_44
; %bb.3:
                                        ; implicit-def: $vgpr2
	s_and_saveexec_b64 s[14:15], s[0:1]
	s_cbranch_execz .LBB3628_5
; %bb.4:
	v_mov_b32_e32 v3, s16
	v_add_co_u32_e32 v2, vcc, s7, v1
	v_addc_co_u32_e32 v3, vcc, 0, v3, vcc
	flat_load_ushort v2, v[2:3]
.LBB3628_5:
	s_or_b64 exec, exec, s[14:15]
	v_or_b32_e32 v3, 0x100, v0
	v_cmp_gt_u32_e32 vcc, s33, v3
                                        ; implicit-def: $vgpr3
	s_and_saveexec_b64 s[0:1], vcc
	s_cbranch_execz .LBB3628_7
; %bb.6:
	v_mov_b32_e32 v3, s16
	v_add_co_u32_e32 v4, vcc, s7, v1
	v_addc_co_u32_e32 v5, vcc, 0, v3, vcc
	flat_load_ushort v3, v[4:5] offset:512
.LBB3628_7:
	s_or_b64 exec, exec, s[0:1]
	v_or_b32_e32 v4, 0x200, v0
	v_cmp_gt_u32_e32 vcc, s33, v4
                                        ; implicit-def: $vgpr4
	s_and_saveexec_b64 s[0:1], vcc
	s_cbranch_execz .LBB3628_9
; %bb.8:
	v_mov_b32_e32 v5, s16
	v_add_co_u32_e32 v4, vcc, s7, v1
	v_addc_co_u32_e32 v5, vcc, 0, v5, vcc
	flat_load_ushort v4, v[4:5] offset:1024
.LBB3628_9:
	s_or_b64 exec, exec, s[0:1]
	v_or_b32_e32 v5, 0x300, v0
	v_cmp_gt_u32_e32 vcc, s33, v5
                                        ; implicit-def: $vgpr5
	s_and_saveexec_b64 s[0:1], vcc
	s_cbranch_execz .LBB3628_11
; %bb.10:
	v_mov_b32_e32 v5, s16
	v_add_co_u32_e32 v6, vcc, s7, v1
	v_addc_co_u32_e32 v7, vcc, 0, v5, vcc
	flat_load_ushort v5, v[6:7] offset:1536
.LBB3628_11:
	s_or_b64 exec, exec, s[0:1]
	v_or_b32_e32 v6, 0x400, v0
	v_cmp_gt_u32_e32 vcc, s33, v6
                                        ; implicit-def: $vgpr6
	s_and_saveexec_b64 s[0:1], vcc
	s_cbranch_execz .LBB3628_13
; %bb.12:
	v_mov_b32_e32 v7, s16
	v_add_co_u32_e32 v6, vcc, s7, v1
	v_addc_co_u32_e32 v7, vcc, 0, v7, vcc
	flat_load_ushort v6, v[6:7] offset:2048
.LBB3628_13:
	s_or_b64 exec, exec, s[0:1]
	v_or_b32_e32 v7, 0x500, v0
	v_cmp_gt_u32_e32 vcc, s33, v7
                                        ; implicit-def: $vgpr7
	s_and_saveexec_b64 s[0:1], vcc
	s_cbranch_execz .LBB3628_15
; %bb.14:
	v_mov_b32_e32 v7, s16
	v_add_co_u32_e32 v8, vcc, s7, v1
	v_addc_co_u32_e32 v9, vcc, 0, v7, vcc
	flat_load_ushort v7, v[8:9] offset:2560
.LBB3628_15:
	s_or_b64 exec, exec, s[0:1]
	v_or_b32_e32 v8, 0x600, v0
	v_cmp_gt_u32_e32 vcc, s33, v8
                                        ; implicit-def: $vgpr8
	s_and_saveexec_b64 s[0:1], vcc
	s_cbranch_execz .LBB3628_17
; %bb.16:
	v_mov_b32_e32 v9, s16
	v_add_co_u32_e32 v8, vcc, s7, v1
	v_addc_co_u32_e32 v9, vcc, 0, v9, vcc
	flat_load_ushort v8, v[8:9] offset:3072
.LBB3628_17:
	s_or_b64 exec, exec, s[0:1]
	v_or_b32_e32 v9, 0x700, v0
	v_cmp_gt_u32_e32 vcc, s33, v9
                                        ; implicit-def: $vgpr9
	s_and_saveexec_b64 s[0:1], vcc
	s_cbranch_execz .LBB3628_19
; %bb.18:
	v_mov_b32_e32 v9, s16
	v_add_co_u32_e32 v10, vcc, s7, v1
	v_addc_co_u32_e32 v11, vcc, 0, v9, vcc
	flat_load_ushort v9, v[10:11] offset:3584
.LBB3628_19:
	s_or_b64 exec, exec, s[0:1]
	v_or_b32_e32 v11, 0x800, v0
	v_cmp_gt_u32_e32 vcc, s33, v11
                                        ; implicit-def: $vgpr10
	s_and_saveexec_b64 s[0:1], vcc
	s_cbranch_execz .LBB3628_21
; %bb.20:
	v_lshlrev_b32_e32 v10, 1, v11
	v_mov_b32_e32 v11, s16
	v_add_co_u32_e32 v10, vcc, s7, v10
	v_addc_co_u32_e32 v11, vcc, 0, v11, vcc
	flat_load_ushort v10, v[10:11]
.LBB3628_21:
	s_or_b64 exec, exec, s[0:1]
	v_or_b32_e32 v12, 0x900, v0
	v_cmp_gt_u32_e32 vcc, s33, v12
                                        ; implicit-def: $vgpr11
	s_and_saveexec_b64 s[0:1], vcc
	s_cbranch_execz .LBB3628_23
; %bb.22:
	v_lshlrev_b32_e32 v11, 1, v12
	v_mov_b32_e32 v13, s16
	v_add_co_u32_e32 v12, vcc, s7, v11
	v_addc_co_u32_e32 v13, vcc, 0, v13, vcc
	flat_load_ushort v11, v[12:13]
.LBB3628_23:
	s_or_b64 exec, exec, s[0:1]
	v_or_b32_e32 v13, 0xa00, v0
	v_cmp_gt_u32_e32 vcc, s33, v13
                                        ; implicit-def: $vgpr12
	s_and_saveexec_b64 s[0:1], vcc
	s_cbranch_execz .LBB3628_25
; %bb.24:
	v_lshlrev_b32_e32 v12, 1, v13
	v_mov_b32_e32 v13, s16
	v_add_co_u32_e32 v12, vcc, s7, v12
	v_addc_co_u32_e32 v13, vcc, 0, v13, vcc
	flat_load_ushort v12, v[12:13]
.LBB3628_25:
	s_or_b64 exec, exec, s[0:1]
	v_or_b32_e32 v14, 0xb00, v0
	v_cmp_gt_u32_e32 vcc, s33, v14
                                        ; implicit-def: $vgpr13
	s_and_saveexec_b64 s[0:1], vcc
	s_cbranch_execz .LBB3628_27
; %bb.26:
	v_lshlrev_b32_e32 v13, 1, v14
	v_mov_b32_e32 v15, s16
	v_add_co_u32_e32 v14, vcc, s7, v13
	v_addc_co_u32_e32 v15, vcc, 0, v15, vcc
	flat_load_ushort v13, v[14:15]
.LBB3628_27:
	s_or_b64 exec, exec, s[0:1]
	v_or_b32_e32 v15, 0xc00, v0
	v_cmp_gt_u32_e32 vcc, s33, v15
                                        ; implicit-def: $vgpr14
	s_and_saveexec_b64 s[0:1], vcc
	s_cbranch_execz .LBB3628_29
; %bb.28:
	v_lshlrev_b32_e32 v14, 1, v15
	v_mov_b32_e32 v15, s16
	v_add_co_u32_e32 v14, vcc, s7, v14
	v_addc_co_u32_e32 v15, vcc, 0, v15, vcc
	flat_load_ushort v14, v[14:15]
.LBB3628_29:
	s_or_b64 exec, exec, s[0:1]
	v_or_b32_e32 v16, 0xd00, v0
	v_cmp_gt_u32_e32 vcc, s33, v16
                                        ; implicit-def: $vgpr15
	s_and_saveexec_b64 s[0:1], vcc
	s_cbranch_execz .LBB3628_31
; %bb.30:
	v_lshlrev_b32_e32 v15, 1, v16
	v_mov_b32_e32 v17, s16
	v_add_co_u32_e32 v16, vcc, s7, v15
	v_addc_co_u32_e32 v17, vcc, 0, v17, vcc
	flat_load_ushort v15, v[16:17]
.LBB3628_31:
	s_or_b64 exec, exec, s[0:1]
	v_or_b32_e32 v17, 0xe00, v0
	v_cmp_gt_u32_e32 vcc, s33, v17
                                        ; implicit-def: $vgpr16
	s_and_saveexec_b64 s[0:1], vcc
	s_cbranch_execz .LBB3628_33
; %bb.32:
	v_lshlrev_b32_e32 v16, 1, v17
	v_mov_b32_e32 v17, s16
	v_add_co_u32_e32 v16, vcc, s7, v16
	v_addc_co_u32_e32 v17, vcc, 0, v17, vcc
	flat_load_ushort v16, v[16:17]
.LBB3628_33:
	s_or_b64 exec, exec, s[0:1]
	v_or_b32_e32 v18, 0xf00, v0
	v_cmp_gt_u32_e32 vcc, s33, v18
                                        ; implicit-def: $vgpr17
	s_and_saveexec_b64 s[0:1], vcc
	s_cbranch_execz .LBB3628_35
; %bb.34:
	v_lshlrev_b32_e32 v17, 1, v18
	v_mov_b32_e32 v19, s16
	v_add_co_u32_e32 v18, vcc, s7, v17
	v_addc_co_u32_e32 v19, vcc, 0, v19, vcc
	flat_load_ushort v17, v[18:19]
.LBB3628_35:
	s_or_b64 exec, exec, s[0:1]
	v_or_b32_e32 v19, 0x1000, v0
	v_cmp_gt_u32_e32 vcc, s33, v19
                                        ; implicit-def: $vgpr18
	s_and_saveexec_b64 s[0:1], vcc
	s_cbranch_execz .LBB3628_37
; %bb.36:
	v_lshlrev_b32_e32 v18, 1, v19
	v_mov_b32_e32 v19, s16
	v_add_co_u32_e32 v18, vcc, s7, v18
	v_addc_co_u32_e32 v19, vcc, 0, v19, vcc
	flat_load_ushort v18, v[18:19]
.LBB3628_37:
	s_or_b64 exec, exec, s[0:1]
	v_or_b32_e32 v20, 0x1100, v0
	v_cmp_gt_u32_e32 vcc, s33, v20
                                        ; implicit-def: $vgpr19
	s_and_saveexec_b64 s[0:1], vcc
	s_cbranch_execz .LBB3628_39
; %bb.38:
	v_lshlrev_b32_e32 v19, 1, v20
	v_mov_b32_e32 v21, s16
	v_add_co_u32_e32 v20, vcc, s7, v19
	v_addc_co_u32_e32 v21, vcc, 0, v21, vcc
	flat_load_ushort v19, v[20:21]
.LBB3628_39:
	s_or_b64 exec, exec, s[0:1]
	v_or_b32_e32 v21, 0x1200, v0
	v_cmp_gt_u32_e32 vcc, s33, v21
                                        ; implicit-def: $vgpr20
	s_and_saveexec_b64 s[0:1], vcc
	s_cbranch_execz .LBB3628_41
; %bb.40:
	v_lshlrev_b32_e32 v20, 1, v21
	v_mov_b32_e32 v21, s16
	v_add_co_u32_e32 v20, vcc, s7, v20
	v_addc_co_u32_e32 v21, vcc, 0, v21, vcc
	flat_load_ushort v20, v[20:21]
.LBB3628_41:
	s_or_b64 exec, exec, s[0:1]
	v_or_b32_e32 v22, 0x1300, v0
	v_cmp_gt_u32_e32 vcc, s33, v22
                                        ; implicit-def: $vgpr21
	s_and_saveexec_b64 s[0:1], vcc
	s_cbranch_execz .LBB3628_43
; %bb.42:
	v_lshlrev_b32_e32 v21, 1, v22
	v_mov_b32_e32 v23, s16
	v_add_co_u32_e32 v22, vcc, s7, v21
	v_addc_co_u32_e32 v23, vcc, 0, v23, vcc
	flat_load_ushort v21, v[22:23]
.LBB3628_43:
	s_or_b64 exec, exec, s[0:1]
	s_waitcnt vmcnt(0) lgkmcnt(0)
	ds_write_b16 v1, v2
	ds_write_b16 v1, v3 offset:512
	ds_write_b16 v1, v4 offset:1024
	;; [unrolled: 1-line block ×19, first 2 shown]
	s_waitcnt lgkmcnt(0)
	s_barrier
.LBB3628_44:
	s_waitcnt lgkmcnt(0)
	s_add_u32 s0, s8, s2
	v_mul_u32_u24_e32 v26, 20, v0
	s_addc_u32 s1, s9, s3
	v_lshlrev_b32_e32 v6, 1, v26
	s_add_u32 s2, s10, s2
	ds_read_b64 v[12:13], v6 offset:32
	ds_read2_b64 v[2:5], v6 offset0:2 offset1:3
	ds_read2_b64 v[6:9], v6 offset1:1
	s_addc_u32 s3, s11, s3
	s_add_u32 s0, s0, s12
	s_addc_u32 s1, s1, s13
	s_add_u32 s2, s2, s12
	s_addc_u32 s3, s3, s13
	s_mov_b64 s[8:9], -1
	s_and_b64 vcc, exec, s[34:35]
	s_waitcnt lgkmcnt(0)
	s_barrier
	s_cbranch_vccz .LBB3628_46
; %bb.45:
	v_mov_b32_e32 v10, s1
	v_add_co_u32_e32 v14, vcc, s0, v1
	v_addc_co_u32_e32 v15, vcc, 0, v10, vcc
	v_mov_b32_e32 v10, s3
	v_add_co_u32_e32 v18, vcc, s2, v1
	v_addc_co_u32_e32 v19, vcc, 0, v10, vcc
	s_movk_i32 s7, 0x1000
	v_add_co_u32_e32 v10, vcc, s7, v14
	v_addc_co_u32_e32 v11, vcc, 0, v15, vcc
	s_movk_i32 s8, 0x2000
	v_add_co_u32_e32 v14, vcc, s8, v14
	global_load_ushort v20, v1, s[0:1]
	global_load_ushort v21, v1, s[0:1] offset:512
	global_load_ushort v22, v1, s[0:1] offset:1024
	;; [unrolled: 1-line block ×7, first 2 shown]
	global_load_ushort v29, v1, s[2:3]
	global_load_ushort v30, v1, s[2:3] offset:512
	global_load_ushort v31, v1, s[2:3] offset:1024
	;; [unrolled: 1-line block ×7, first 2 shown]
	v_addc_co_u32_e32 v15, vcc, 0, v15, vcc
	global_load_ushort v37, v[14:15], off offset:-4096
	v_add_co_u32_e32 v16, vcc, s7, v18
	v_addc_co_u32_e32 v17, vcc, 0, v19, vcc
	v_add_co_u32_e32 v18, vcc, s8, v18
	v_addc_co_u32_e32 v19, vcc, 0, v19, vcc
	global_load_ushort v38, v[18:19], off offset:-4096
	global_load_ushort v39, v[10:11], off offset:512
	global_load_ushort v40, v[16:17], off offset:512
	global_load_ushort v41, v[16:17], off offset:1024
	global_load_ushort v42, v[10:11], off offset:1024
	global_load_ushort v43, v[10:11], off offset:1536
	global_load_ushort v44, v[16:17], off offset:1536
	global_load_ushort v45, v[16:17], off offset:2048
	global_load_ushort v46, v[10:11], off offset:2048
	global_load_ushort v47, v[10:11], off offset:2560
	global_load_ushort v48, v[16:17], off offset:2560
	global_load_ushort v49, v[16:17], off offset:3072
	global_load_ushort v50, v[10:11], off offset:3072
	global_load_ushort v51, v[10:11], off offset:3584
	global_load_ushort v52, v[16:17], off offset:3584
                                        ; kill: killed $vgpr16 killed $vgpr17
                                        ; kill: killed $vgpr10 killed $vgpr11
	s_nop 0
	global_load_ushort v10, v[18:19], off
	global_load_ushort v11, v[14:15], off
	global_load_ushort v16, v[14:15], off offset:512
	global_load_ushort v17, v[18:19], off offset:512
	;; [unrolled: 1-line block ×6, first 2 shown]
	s_mov_b64 s[8:9], 0
	s_waitcnt vmcnt(31)
	v_cmp_le_i16_e32 vcc, v20, v29
	v_cndmask_b32_e64 v14, 0, 1, vcc
	s_waitcnt vmcnt(30)
	v_cmp_le_i16_e32 vcc, v21, v30
	v_cndmask_b32_e64 v15, 0, 1, vcc
	;; [unrolled: 3-line block ×20, first 2 shown]
	ds_write_b8 v0, v14
	ds_write_b8 v0, v15 offset:256
	ds_write_b8 v0, v18 offset:512
	;; [unrolled: 1-line block ×19, first 2 shown]
	s_waitcnt lgkmcnt(0)
	s_barrier
.LBB3628_46:
	s_load_dwordx2 s[36:37], s[4:5], 0x78
	s_andn2_b64 vcc, exec, s[8:9]
	s_cbranch_vccnz .LBB3628_88
; %bb.47:
	v_cmp_gt_u32_e32 vcc, s33, v0
	v_mov_b32_e32 v10, 0
	v_mov_b32_e32 v11, 0
	s_and_saveexec_b64 s[8:9], vcc
	s_cbranch_execz .LBB3628_49
; %bb.48:
	global_load_ushort v11, v1, s[0:1]
	global_load_ushort v14, v1, s[2:3]
	s_waitcnt vmcnt(0)
	v_cmp_le_i16_e32 vcc, v11, v14
	v_cndmask_b32_e64 v11, 0, 1, vcc
.LBB3628_49:
	s_or_b64 exec, exec, s[8:9]
	v_or_b32_e32 v14, 0x100, v0
	v_cmp_gt_u32_e32 vcc, s33, v14
	s_and_saveexec_b64 s[8:9], vcc
	s_cbranch_execz .LBB3628_51
; %bb.50:
	global_load_ushort v10, v1, s[0:1] offset:512
	global_load_ushort v14, v1, s[2:3] offset:512
	s_waitcnt vmcnt(0)
	v_cmp_le_i16_e32 vcc, v10, v14
	v_cndmask_b32_e64 v10, 0, 1, vcc
.LBB3628_51:
	s_or_b64 exec, exec, s[8:9]
	v_or_b32_e32 v14, 0x200, v0
	v_cmp_gt_u32_e32 vcc, s33, v14
	v_mov_b32_e32 v14, 0
	v_mov_b32_e32 v15, 0
	s_and_saveexec_b64 s[8:9], vcc
	s_cbranch_execz .LBB3628_53
; %bb.52:
	global_load_ushort v15, v1, s[0:1] offset:1024
	global_load_ushort v16, v1, s[2:3] offset:1024
	s_waitcnt vmcnt(0)
	v_cmp_le_i16_e32 vcc, v15, v16
	v_cndmask_b32_e64 v15, 0, 1, vcc
.LBB3628_53:
	s_or_b64 exec, exec, s[8:9]
	v_or_b32_e32 v16, 0x300, v0
	v_cmp_gt_u32_e32 vcc, s33, v16
	s_and_saveexec_b64 s[8:9], vcc
	s_cbranch_execz .LBB3628_55
; %bb.54:
	global_load_ushort v14, v1, s[0:1] offset:1536
	global_load_ushort v16, v1, s[2:3] offset:1536
	s_waitcnt vmcnt(0)
	v_cmp_le_i16_e32 vcc, v14, v16
	v_cndmask_b32_e64 v14, 0, 1, vcc
.LBB3628_55:
	s_or_b64 exec, exec, s[8:9]
	v_or_b32_e32 v16, 0x400, v0
	v_cmp_gt_u32_e32 vcc, s33, v16
	v_mov_b32_e32 v16, 0
	v_mov_b32_e32 v17, 0
	s_and_saveexec_b64 s[8:9], vcc
	s_cbranch_execz .LBB3628_57
; %bb.56:
	global_load_ushort v17, v1, s[0:1] offset:2048
	global_load_ushort v18, v1, s[2:3] offset:2048
	s_waitcnt vmcnt(0)
	v_cmp_le_i16_e32 vcc, v17, v18
	v_cndmask_b32_e64 v17, 0, 1, vcc
.LBB3628_57:
	;; [unrolled: 26-line block ×3, first 2 shown]
	s_or_b64 exec, exec, s[8:9]
	v_or_b32_e32 v20, 0x700, v0
	v_cmp_gt_u32_e32 vcc, s33, v20
	s_and_saveexec_b64 s[8:9], vcc
	s_cbranch_execz .LBB3628_63
; %bb.62:
	global_load_ushort v18, v1, s[0:1] offset:3584
	global_load_ushort v20, v1, s[2:3] offset:3584
	s_waitcnt vmcnt(0)
	v_cmp_le_i16_e32 vcc, v18, v20
	v_cndmask_b32_e64 v18, 0, 1, vcc
.LBB3628_63:
	s_or_b64 exec, exec, s[8:9]
	v_or_b32_e32 v22, 0x800, v0
	v_cmp_gt_u32_e32 vcc, s33, v22
	v_mov_b32_e32 v20, 0
	v_mov_b32_e32 v21, 0
	s_and_saveexec_b64 s[8:9], vcc
	s_cbranch_execz .LBB3628_65
; %bb.64:
	v_lshlrev_b32_e32 v21, 1, v22
	global_load_ushort v22, v21, s[0:1]
	global_load_ushort v23, v21, s[2:3]
	s_waitcnt vmcnt(0)
	v_cmp_le_i16_e32 vcc, v22, v23
	v_cndmask_b32_e64 v21, 0, 1, vcc
.LBB3628_65:
	s_or_b64 exec, exec, s[8:9]
	v_or_b32_e32 v22, 0x900, v0
	v_cmp_gt_u32_e32 vcc, s33, v22
	s_and_saveexec_b64 s[8:9], vcc
	s_cbranch_execz .LBB3628_67
; %bb.66:
	v_lshlrev_b32_e32 v20, 1, v22
	global_load_ushort v22, v20, s[0:1]
	global_load_ushort v23, v20, s[2:3]
	s_waitcnt vmcnt(0)
	v_cmp_le_i16_e32 vcc, v22, v23
	v_cndmask_b32_e64 v20, 0, 1, vcc
.LBB3628_67:
	s_or_b64 exec, exec, s[8:9]
	v_or_b32_e32 v24, 0xa00, v0
	v_cmp_gt_u32_e32 vcc, s33, v24
	v_mov_b32_e32 v22, 0
	v_mov_b32_e32 v23, 0
	s_and_saveexec_b64 s[8:9], vcc
	s_cbranch_execz .LBB3628_69
; %bb.68:
	v_lshlrev_b32_e32 v23, 1, v24
	global_load_ushort v24, v23, s[0:1]
	global_load_ushort v25, v23, s[2:3]
	s_waitcnt vmcnt(0)
	v_cmp_le_i16_e32 vcc, v24, v25
	v_cndmask_b32_e64 v23, 0, 1, vcc
.LBB3628_69:
	s_or_b64 exec, exec, s[8:9]
	v_or_b32_e32 v24, 0xb00, v0
	v_cmp_gt_u32_e32 vcc, s33, v24
	s_and_saveexec_b64 s[8:9], vcc
	s_cbranch_execz .LBB3628_71
; %bb.70:
	v_lshlrev_b32_e32 v22, 1, v24
	global_load_ushort v24, v22, s[0:1]
	global_load_ushort v25, v22, s[2:3]
	s_waitcnt vmcnt(0)
	v_cmp_le_i16_e32 vcc, v24, v25
	v_cndmask_b32_e64 v22, 0, 1, vcc
.LBB3628_71:
	;; [unrolled: 28-line block ×6, first 2 shown]
	s_or_b64 exec, exec, s[8:9]
	ds_write_b8 v0, v11
	ds_write_b8 v0, v10 offset:256
	ds_write_b8 v0, v15 offset:512
	;; [unrolled: 1-line block ×19, first 2 shown]
	s_waitcnt lgkmcnt(0)
	s_barrier
.LBB3628_88:
	s_waitcnt lgkmcnt(0)
	ds_read2_b32 v[16:17], v26 offset1:1
	ds_read2_b32 v[14:15], v26 offset0:2 offset1:3
	ds_read_b32 v28, v26 offset:16
	s_cmp_lg_u32 s6, 0
	v_lshrrev_b32_e32 v47, 6, v0
	s_waitcnt lgkmcnt(2)
	v_lshrrev_b32_e32 v33, 24, v16
	v_bfe_u32 v45, v16, 16, 8
	v_add_u32_sdwa v10, v16, v16 dst_sel:DWORD dst_unused:UNUSED_PAD src0_sel:BYTE_1 src1_sel:BYTE_0
	v_and_b32_e32 v42, 0xff, v17
	v_bfe_u32 v43, v17, 8, 8
	v_add3_u32 v10, v10, v45, v33
	v_lshrrev_b32_e32 v32, 24, v17
	v_bfe_u32 v44, v17, 16, 8
	v_add3_u32 v10, v10, v42, v43
	s_waitcnt lgkmcnt(1)
	v_and_b32_e32 v39, 0xff, v14
	v_bfe_u32 v40, v14, 8, 8
	v_add3_u32 v10, v10, v44, v32
	v_lshrrev_b32_e32 v31, 24, v14
	v_bfe_u32 v41, v14, 16, 8
	v_add3_u32 v10, v10, v39, v40
	v_and_b32_e32 v36, 0xff, v15
	v_bfe_u32 v37, v15, 8, 8
	v_add3_u32 v10, v10, v41, v31
	v_lshrrev_b32_e32 v30, 24, v15
	v_bfe_u32 v38, v15, 16, 8
	v_add3_u32 v10, v10, v36, v37
	s_waitcnt lgkmcnt(0)
	v_and_b32_e32 v34, 0xff, v28
	v_bfe_u32 v35, v28, 8, 8
	v_add3_u32 v10, v10, v38, v30
	v_lshrrev_b32_e32 v27, 24, v28
	v_bfe_u32 v29, v28, 16, 8
	v_add3_u32 v10, v10, v34, v35
	v_add3_u32 v48, v10, v29, v27
	v_mbcnt_lo_u32_b32 v10, -1, 0
	v_mbcnt_hi_u32_b32 v46, -1, v10
	v_and_b32_e32 v10, 15, v46
	v_cmp_eq_u32_e64 s[14:15], 0, v10
	v_cmp_lt_u32_e64 s[12:13], 1, v10
	v_cmp_lt_u32_e64 s[10:11], 3, v10
	;; [unrolled: 1-line block ×3, first 2 shown]
	v_and_b32_e32 v10, 16, v46
	v_cmp_eq_u32_e64 s[18:19], 0, v10
	v_or_b32_e32 v10, 63, v0
	v_cmp_lt_u32_e64 s[0:1], 31, v46
	v_cmp_eq_u32_e64 s[2:3], v10, v0
	s_barrier
	s_cbranch_scc0 .LBB3628_115
; %bb.89:
	v_mov_b32_dpp v10, v48 row_shr:1 row_mask:0xf bank_mask:0xf
	v_cndmask_b32_e64 v10, v10, 0, s[14:15]
	v_add_u32_e32 v10, v10, v48
	s_nop 1
	v_mov_b32_dpp v11, v10 row_shr:2 row_mask:0xf bank_mask:0xf
	v_cndmask_b32_e64 v11, 0, v11, s[12:13]
	v_add_u32_e32 v10, v10, v11
	s_nop 1
	;; [unrolled: 4-line block ×4, first 2 shown]
	v_mov_b32_dpp v11, v10 row_bcast:15 row_mask:0xf bank_mask:0xf
	v_cndmask_b32_e64 v11, v11, 0, s[18:19]
	v_add_u32_e32 v10, v10, v11
	s_nop 1
	v_mov_b32_dpp v11, v10 row_bcast:31 row_mask:0xf bank_mask:0xf
	v_cndmask_b32_e64 v11, 0, v11, s[0:1]
	v_add_u32_e32 v10, v10, v11
	s_and_saveexec_b64 s[16:17], s[2:3]
	s_cbranch_execz .LBB3628_91
; %bb.90:
	v_lshlrev_b32_e32 v11, 2, v47
	ds_write_b32 v11, v10
.LBB3628_91:
	s_or_b64 exec, exec, s[16:17]
	v_cmp_gt_u32_e32 vcc, 4, v0
	s_waitcnt lgkmcnt(0)
	s_barrier
	s_and_saveexec_b64 s[16:17], vcc
	s_cbranch_execz .LBB3628_93
; %bb.92:
	v_lshlrev_b32_e32 v11, 2, v0
	ds_read_b32 v18, v11
	v_and_b32_e32 v19, 3, v46
	v_cmp_ne_u32_e32 vcc, 0, v19
	s_waitcnt lgkmcnt(0)
	v_mov_b32_dpp v20, v18 row_shr:1 row_mask:0xf bank_mask:0xf
	v_cndmask_b32_e32 v20, 0, v20, vcc
	v_add_u32_e32 v18, v20, v18
	v_cmp_lt_u32_e32 vcc, 1, v19
	s_nop 0
	v_mov_b32_dpp v20, v18 row_shr:2 row_mask:0xf bank_mask:0xf
	v_cndmask_b32_e32 v19, 0, v20, vcc
	v_add_u32_e32 v18, v18, v19
	ds_write_b32 v11, v18
.LBB3628_93:
	s_or_b64 exec, exec, s[16:17]
	v_cmp_gt_u32_e32 vcc, 64, v0
	v_cmp_lt_u32_e64 s[16:17], 63, v0
	s_waitcnt lgkmcnt(0)
	s_barrier
	s_waitcnt lgkmcnt(0)
                                        ; implicit-def: $vgpr49
	s_and_saveexec_b64 s[38:39], s[16:17]
	s_cbranch_execz .LBB3628_95
; %bb.94:
	v_lshl_add_u32 v11, v47, 2, -4
	ds_read_b32 v49, v11
	s_waitcnt lgkmcnt(0)
	v_add_u32_e32 v10, v49, v10
.LBB3628_95:
	s_or_b64 exec, exec, s[38:39]
	v_add_u32_e32 v11, -1, v46
	v_and_b32_e32 v18, 64, v46
	v_cmp_lt_i32_e64 s[16:17], v11, v18
	v_cndmask_b32_e64 v11, v11, v46, s[16:17]
	v_lshlrev_b32_e32 v11, 2, v11
	ds_bpermute_b32 v50, v11, v10
	v_cmp_eq_u32_e64 s[16:17], 0, v46
	s_and_saveexec_b64 s[38:39], vcc
	s_cbranch_execz .LBB3628_114
; %bb.96:
	v_mov_b32_e32 v23, 0
	ds_read_b32 v10, v23 offset:12
	s_and_saveexec_b64 s[40:41], s[16:17]
	s_cbranch_execz .LBB3628_98
; %bb.97:
	s_add_i32 s42, s6, 64
	s_mov_b32 s43, 0
	s_lshl_b64 s[42:43], s[42:43], 3
	s_add_u32 s42, s36, s42
	v_mov_b32_e32 v11, 1
	s_addc_u32 s43, s37, s43
	s_waitcnt lgkmcnt(0)
	global_store_dwordx2 v23, v[10:11], s[42:43]
.LBB3628_98:
	s_or_b64 exec, exec, s[40:41]
	v_xad_u32 v18, v46, -1, s6
	v_add_u32_e32 v22, 64, v18
	v_lshlrev_b64 v[20:21], 3, v[22:23]
	v_mov_b32_e32 v11, s37
	v_add_co_u32_e32 v24, vcc, s36, v20
	v_addc_co_u32_e32 v25, vcc, v11, v21, vcc
	global_load_dwordx2 v[20:21], v[24:25], off glc
	s_waitcnt vmcnt(0)
	v_cmp_eq_u16_sdwa s[42:43], v21, v23 src0_sel:BYTE_0 src1_sel:DWORD
	s_and_saveexec_b64 s[40:41], s[42:43]
	s_cbranch_execz .LBB3628_102
; %bb.99:
	s_mov_b64 s[42:43], 0
	v_mov_b32_e32 v11, 0
.LBB3628_100:                           ; =>This Inner Loop Header: Depth=1
	global_load_dwordx2 v[20:21], v[24:25], off glc
	s_waitcnt vmcnt(0)
	v_cmp_ne_u16_sdwa s[44:45], v21, v11 src0_sel:BYTE_0 src1_sel:DWORD
	s_or_b64 s[42:43], s[44:45], s[42:43]
	s_andn2_b64 exec, exec, s[42:43]
	s_cbranch_execnz .LBB3628_100
; %bb.101:
	s_or_b64 exec, exec, s[42:43]
.LBB3628_102:
	s_or_b64 exec, exec, s[40:41]
	v_and_b32_e32 v52, 63, v46
	v_mov_b32_e32 v51, 2
	v_cmp_ne_u32_e32 vcc, 63, v52
	v_cmp_eq_u16_sdwa s[40:41], v21, v51 src0_sel:BYTE_0 src1_sel:DWORD
	v_lshlrev_b64 v[22:23], v46, -1
	v_addc_co_u32_e32 v24, vcc, 0, v46, vcc
	v_and_b32_e32 v11, s41, v23
	v_lshlrev_b32_e32 v53, 2, v24
	v_or_b32_e32 v11, 0x80000000, v11
	ds_bpermute_b32 v24, v53, v20
	v_and_b32_e32 v19, s40, v22
	v_ffbl_b32_e32 v11, v11
	v_add_u32_e32 v11, 32, v11
	v_ffbl_b32_e32 v19, v19
	v_min_u32_e32 v11, v19, v11
	v_cmp_lt_u32_e32 vcc, v52, v11
	s_waitcnt lgkmcnt(0)
	v_cndmask_b32_e32 v19, 0, v24, vcc
	v_cmp_gt_u32_e32 vcc, 62, v52
	v_add_u32_e32 v19, v19, v20
	v_cndmask_b32_e64 v20, 0, 1, vcc
	v_lshlrev_b32_e32 v20, 1, v20
	v_add_lshl_u32 v54, v20, v46, 2
	ds_bpermute_b32 v20, v54, v19
	v_add_u32_e32 v55, 2, v52
	v_cmp_le_u32_e32 vcc, v55, v11
	v_add_u32_e32 v57, 4, v52
	v_add_u32_e32 v59, 8, v52
	s_waitcnt lgkmcnt(0)
	v_cndmask_b32_e32 v20, 0, v20, vcc
	v_cmp_gt_u32_e32 vcc, 60, v52
	v_add_u32_e32 v19, v19, v20
	v_cndmask_b32_e64 v20, 0, 1, vcc
	v_lshlrev_b32_e32 v20, 2, v20
	v_add_lshl_u32 v56, v20, v46, 2
	ds_bpermute_b32 v20, v56, v19
	v_cmp_le_u32_e32 vcc, v57, v11
	v_add_u32_e32 v61, 16, v52
	v_add_u32_e32 v63, 32, v52
	s_waitcnt lgkmcnt(0)
	v_cndmask_b32_e32 v20, 0, v20, vcc
	v_cmp_gt_u32_e32 vcc, 56, v52
	v_add_u32_e32 v19, v19, v20
	v_cndmask_b32_e64 v20, 0, 1, vcc
	v_lshlrev_b32_e32 v20, 3, v20
	v_add_lshl_u32 v58, v20, v46, 2
	ds_bpermute_b32 v20, v58, v19
	v_cmp_le_u32_e32 vcc, v59, v11
	s_waitcnt lgkmcnt(0)
	v_cndmask_b32_e32 v20, 0, v20, vcc
	v_cmp_gt_u32_e32 vcc, 48, v52
	v_add_u32_e32 v19, v19, v20
	v_cndmask_b32_e64 v20, 0, 1, vcc
	v_lshlrev_b32_e32 v20, 4, v20
	v_add_lshl_u32 v60, v20, v46, 2
	ds_bpermute_b32 v20, v60, v19
	v_cmp_le_u32_e32 vcc, v61, v11
	;; [unrolled: 9-line block ×3, first 2 shown]
	s_waitcnt lgkmcnt(0)
	v_cndmask_b32_e32 v11, 0, v20, vcc
	v_add_u32_e32 v20, v19, v11
	v_mov_b32_e32 v19, 0
	s_branch .LBB3628_104
.LBB3628_103:                           ;   in Loop: Header=BB3628_104 Depth=1
	s_or_b64 exec, exec, s[40:41]
	v_cmp_eq_u16_sdwa s[40:41], v21, v51 src0_sel:BYTE_0 src1_sel:DWORD
	v_and_b32_e32 v24, s41, v23
	v_or_b32_e32 v24, 0x80000000, v24
	ds_bpermute_b32 v64, v53, v20
	v_and_b32_e32 v25, s40, v22
	v_ffbl_b32_e32 v24, v24
	v_add_u32_e32 v24, 32, v24
	v_ffbl_b32_e32 v25, v25
	v_min_u32_e32 v24, v25, v24
	v_cmp_lt_u32_e32 vcc, v52, v24
	s_waitcnt lgkmcnt(0)
	v_cndmask_b32_e32 v25, 0, v64, vcc
	v_add_u32_e32 v20, v25, v20
	ds_bpermute_b32 v25, v54, v20
	v_cmp_le_u32_e32 vcc, v55, v24
	v_subrev_u32_e32 v18, 64, v18
	s_waitcnt lgkmcnt(0)
	v_cndmask_b32_e32 v25, 0, v25, vcc
	v_add_u32_e32 v20, v20, v25
	ds_bpermute_b32 v25, v56, v20
	v_cmp_le_u32_e32 vcc, v57, v24
	s_waitcnt lgkmcnt(0)
	v_cndmask_b32_e32 v25, 0, v25, vcc
	v_add_u32_e32 v20, v20, v25
	ds_bpermute_b32 v25, v58, v20
	v_cmp_le_u32_e32 vcc, v59, v24
	;; [unrolled: 5-line block ×4, first 2 shown]
	s_waitcnt lgkmcnt(0)
	v_cndmask_b32_e32 v24, 0, v25, vcc
	v_add3_u32 v20, v24, v11, v20
.LBB3628_104:                           ; =>This Loop Header: Depth=1
                                        ;     Child Loop BB3628_107 Depth 2
	v_cmp_ne_u16_sdwa s[40:41], v21, v51 src0_sel:BYTE_0 src1_sel:DWORD
	v_cndmask_b32_e64 v11, 0, 1, s[40:41]
	;;#ASMSTART
	;;#ASMEND
	v_cmp_ne_u32_e32 vcc, 0, v11
	s_cmp_lg_u64 vcc, exec
	v_mov_b32_e32 v11, v20
	s_cbranch_scc1 .LBB3628_109
; %bb.105:                              ;   in Loop: Header=BB3628_104 Depth=1
	v_lshlrev_b64 v[20:21], 3, v[18:19]
	v_mov_b32_e32 v25, s37
	v_add_co_u32_e32 v24, vcc, s36, v20
	v_addc_co_u32_e32 v25, vcc, v25, v21, vcc
	global_load_dwordx2 v[20:21], v[24:25], off glc
	s_waitcnt vmcnt(0)
	v_cmp_eq_u16_sdwa s[42:43], v21, v19 src0_sel:BYTE_0 src1_sel:DWORD
	s_and_saveexec_b64 s[40:41], s[42:43]
	s_cbranch_execz .LBB3628_103
; %bb.106:                              ;   in Loop: Header=BB3628_104 Depth=1
	s_mov_b64 s[42:43], 0
.LBB3628_107:                           ;   Parent Loop BB3628_104 Depth=1
                                        ; =>  This Inner Loop Header: Depth=2
	global_load_dwordx2 v[20:21], v[24:25], off glc
	s_waitcnt vmcnt(0)
	v_cmp_ne_u16_sdwa s[44:45], v21, v19 src0_sel:BYTE_0 src1_sel:DWORD
	s_or_b64 s[42:43], s[44:45], s[42:43]
	s_andn2_b64 exec, exec, s[42:43]
	s_cbranch_execnz .LBB3628_107
; %bb.108:                              ;   in Loop: Header=BB3628_104 Depth=1
	s_or_b64 exec, exec, s[42:43]
	s_branch .LBB3628_103
.LBB3628_109:                           ;   in Loop: Header=BB3628_104 Depth=1
                                        ; implicit-def: $vgpr20
                                        ; implicit-def: $vgpr21
	s_cbranch_execz .LBB3628_104
; %bb.110:
	s_and_saveexec_b64 s[40:41], s[16:17]
	s_cbranch_execz .LBB3628_112
; %bb.111:
	s_add_i32 s6, s6, 64
	s_mov_b32 s7, 0
	s_lshl_b64 s[6:7], s[6:7], 3
	s_add_u32 s6, s36, s6
	v_add_u32_e32 v18, v11, v10
	v_mov_b32_e32 v19, 2
	s_addc_u32 s7, s37, s7
	v_mov_b32_e32 v20, 0
	global_store_dwordx2 v20, v[18:19], s[6:7]
	ds_write_b64 v20, v[10:11] offset:10240
.LBB3628_112:
	s_or_b64 exec, exec, s[40:41]
	v_cmp_eq_u32_e32 vcc, 0, v0
	s_and_b64 exec, exec, vcc
	s_cbranch_execz .LBB3628_114
; %bb.113:
	v_mov_b32_e32 v10, 0
	ds_write_b32 v10, v11 offset:12
.LBB3628_114:
	s_or_b64 exec, exec, s[38:39]
	v_mov_b32_e32 v10, 0
	s_waitcnt lgkmcnt(0)
	s_barrier
	ds_read_b32 v19, v10 offset:12
	s_waitcnt lgkmcnt(0)
	s_barrier
	ds_read_b64 v[10:11], v10 offset:10240
	v_cndmask_b32_e64 v18, v50, v49, s[16:17]
	v_cmp_ne_u32_e32 vcc, 0, v0
	v_cndmask_b32_e32 v18, 0, v18, vcc
	v_add_u32_e32 v22, v19, v18
	s_load_dwordx2 s[4:5], s[4:5], 0x38
	s_branch .LBB3628_125
.LBB3628_115:
                                        ; implicit-def: $vgpr11
                                        ; implicit-def: $vgpr22
	s_load_dwordx2 s[4:5], s[4:5], 0x38
	s_cbranch_execz .LBB3628_125
; %bb.116:
	s_waitcnt lgkmcnt(0)
	v_mov_b32_dpp v10, v48 row_shr:1 row_mask:0xf bank_mask:0xf
	v_cndmask_b32_e64 v10, v10, 0, s[14:15]
	v_add_u32_e32 v10, v10, v48
	s_nop 1
	v_mov_b32_dpp v11, v10 row_shr:2 row_mask:0xf bank_mask:0xf
	v_cndmask_b32_e64 v11, 0, v11, s[12:13]
	v_add_u32_e32 v10, v10, v11
	s_nop 1
	;; [unrolled: 4-line block ×4, first 2 shown]
	v_mov_b32_dpp v11, v10 row_bcast:15 row_mask:0xf bank_mask:0xf
	v_cndmask_b32_e64 v11, v11, 0, s[18:19]
	v_add_u32_e32 v10, v10, v11
	s_nop 1
	v_mov_b32_dpp v11, v10 row_bcast:31 row_mask:0xf bank_mask:0xf
	v_cndmask_b32_e64 v11, 0, v11, s[0:1]
	v_add_u32_e32 v10, v10, v11
	s_and_saveexec_b64 s[0:1], s[2:3]
	s_cbranch_execz .LBB3628_118
; %bb.117:
	v_lshlrev_b32_e32 v11, 2, v47
	ds_write_b32 v11, v10
.LBB3628_118:
	s_or_b64 exec, exec, s[0:1]
	v_cmp_gt_u32_e32 vcc, 4, v0
	s_waitcnt lgkmcnt(0)
	s_barrier
	s_and_saveexec_b64 s[0:1], vcc
	s_cbranch_execz .LBB3628_120
; %bb.119:
	v_lshlrev_b32_e32 v11, 2, v0
	ds_read_b32 v18, v11
	v_and_b32_e32 v19, 3, v46
	v_cmp_ne_u32_e32 vcc, 0, v19
	s_waitcnt lgkmcnt(0)
	v_mov_b32_dpp v20, v18 row_shr:1 row_mask:0xf bank_mask:0xf
	v_cndmask_b32_e32 v20, 0, v20, vcc
	v_add_u32_e32 v18, v20, v18
	v_cmp_lt_u32_e32 vcc, 1, v19
	s_nop 0
	v_mov_b32_dpp v20, v18 row_shr:2 row_mask:0xf bank_mask:0xf
	v_cndmask_b32_e32 v19, 0, v20, vcc
	v_add_u32_e32 v18, v18, v19
	ds_write_b32 v11, v18
.LBB3628_120:
	s_or_b64 exec, exec, s[0:1]
	v_cmp_lt_u32_e32 vcc, 63, v0
	v_mov_b32_e32 v11, 0
	v_mov_b32_e32 v18, 0
	s_waitcnt lgkmcnt(0)
	s_barrier
	s_and_saveexec_b64 s[0:1], vcc
	s_cbranch_execz .LBB3628_122
; %bb.121:
	v_lshl_add_u32 v18, v47, 2, -4
	ds_read_b32 v18, v18
.LBB3628_122:
	s_or_b64 exec, exec, s[0:1]
	v_add_u32_e32 v19, -1, v46
	v_and_b32_e32 v20, 64, v46
	v_cmp_lt_i32_e32 vcc, v19, v20
	v_cndmask_b32_e32 v19, v19, v46, vcc
	s_waitcnt lgkmcnt(0)
	v_add_u32_e32 v10, v18, v10
	v_lshlrev_b32_e32 v19, 2, v19
	ds_bpermute_b32 v19, v19, v10
	ds_read_b32 v10, v11 offset:12
	v_cmp_eq_u32_e32 vcc, 0, v0
	s_and_saveexec_b64 s[0:1], vcc
	s_cbranch_execz .LBB3628_124
; %bb.123:
	v_mov_b32_e32 v20, 0
	v_mov_b32_e32 v11, 2
	s_waitcnt lgkmcnt(0)
	global_store_dwordx2 v20, v[10:11], s[36:37] offset:512
.LBB3628_124:
	s_or_b64 exec, exec, s[0:1]
	v_cmp_eq_u32_e64 s[0:1], 0, v46
	s_waitcnt lgkmcnt(1)
	v_cndmask_b32_e64 v18, v19, v18, s[0:1]
	v_mov_b32_e32 v11, 0
	v_cndmask_b32_e64 v22, v18, 0, vcc
	s_waitcnt lgkmcnt(0)
	s_barrier
.LBB3628_125:
	v_add_u32_sdwa v24, v22, v16 dst_sel:DWORD dst_unused:UNUSED_PAD src0_sel:DWORD src1_sel:BYTE_0
	s_waitcnt lgkmcnt(0)
	v_add_u32_e32 v26, v10, v26
	v_sub_u32_e32 v22, v22, v11
	v_and_b32_e32 v51, 1, v16
	v_sub_u32_e32 v50, v26, v22
	v_cmp_eq_u32_e32 vcc, 1, v51
	v_cndmask_b32_e32 v22, v50, v22, vcc
	v_lshlrev_b32_e32 v22, 1, v22
	v_lshrrev_b32_e32 v23, 8, v16
	ds_write_b16 v22, v6
	v_sub_u32_e32 v22, v24, v11
	v_add_u32_sdwa v25, v24, v16 dst_sel:DWORD dst_unused:UNUSED_PAD src0_sel:DWORD src1_sel:BYTE_1
	v_sub_u32_e32 v24, v26, v22
	v_and_b32_e32 v23, 1, v23
	v_add_u32_e32 v24, 1, v24
	v_cmp_eq_u32_e32 vcc, 1, v23
	v_cndmask_b32_e32 v22, v24, v22, vcc
	v_lshlrev_b32_e32 v22, 1, v22
	ds_write_b16_d16_hi v22, v6
	v_sub_u32_e32 v6, v25, v11
	v_mov_b32_e32 v23, 1
	v_sub_u32_e32 v22, v26, v6
	v_and_b32_sdwa v16, v23, v16 dst_sel:DWORD dst_unused:UNUSED_PAD src0_sel:DWORD src1_sel:WORD_1
	v_add_u32_e32 v22, 2, v22
	v_cmp_eq_u32_e32 vcc, 1, v16
	v_cndmask_b32_e32 v6, v22, v6, vcc
	v_add_u32_e32 v45, v25, v45
	v_lshlrev_b32_e32 v6, 1, v6
	ds_write_b16 v6, v7
	v_sub_u32_e32 v6, v45, v11
	v_sub_u32_e32 v16, v26, v6
	v_and_b32_e32 v22, 1, v33
	v_add_u32_e32 v16, 3, v16
	v_cmp_eq_u32_e32 vcc, 1, v22
	v_cndmask_b32_e32 v6, v16, v6, vcc
	v_add_u32_e32 v46, v45, v33
	v_lshlrev_b32_e32 v6, 1, v6
	ds_write_b16_d16_hi v6, v7
	v_sub_u32_e32 v6, v46, v11
	v_sub_u32_e32 v7, v26, v6
	v_and_b32_e32 v16, 1, v17
	v_add_u32_e32 v7, 4, v7
	v_cmp_eq_u32_e32 vcc, 1, v16
	v_cndmask_b32_e32 v6, v7, v6, vcc
	v_add_u32_e32 v42, v46, v42
	v_lshlrev_b32_e32 v6, 1, v6
	v_lshrrev_b32_e32 v21, 8, v17
	ds_write_b16 v6, v8
	v_sub_u32_e32 v6, v42, v11
	v_sub_u32_e32 v7, v26, v6
	v_and_b32_e32 v16, 1, v21
	v_add_u32_e32 v7, 5, v7
	v_cmp_eq_u32_e32 vcc, 1, v16
	v_cndmask_b32_e32 v6, v7, v6, vcc
	v_add_u32_e32 v43, v42, v43
	v_lshlrev_b32_e32 v6, 1, v6
	ds_write_b16_d16_hi v6, v8
	v_sub_u32_e32 v6, v43, v11
	v_sub_u32_e32 v7, v26, v6
	v_and_b32_sdwa v8, v23, v17 dst_sel:DWORD dst_unused:UNUSED_PAD src0_sel:DWORD src1_sel:WORD_1
	v_add_u32_e32 v7, 6, v7
	v_cmp_eq_u32_e32 vcc, 1, v8
	v_cndmask_b32_e32 v6, v7, v6, vcc
	v_add_u32_e32 v44, v43, v44
	v_lshlrev_b32_e32 v6, 1, v6
	ds_write_b16 v6, v9
	v_sub_u32_e32 v6, v44, v11
	v_sub_u32_e32 v7, v26, v6
	v_and_b32_e32 v8, 1, v32
	v_add_u32_e32 v7, 7, v7
	v_cmp_eq_u32_e32 vcc, 1, v8
	v_cndmask_b32_e32 v6, v7, v6, vcc
	v_add_u32_e32 v47, v44, v32
	v_lshlrev_b32_e32 v6, 1, v6
	ds_write_b16_d16_hi v6, v9
	v_sub_u32_e32 v6, v47, v11
	v_sub_u32_e32 v7, v26, v6
	v_and_b32_e32 v8, 1, v14
	v_add_u32_e32 v7, 8, v7
	v_cmp_eq_u32_e32 vcc, 1, v8
	v_cndmask_b32_e32 v6, v7, v6, vcc
	v_add_u32_e32 v39, v47, v39
	v_lshlrev_b32_e32 v6, 1, v6
	v_lshrrev_b32_e32 v20, 8, v14
	ds_write_b16 v6, v2
	v_sub_u32_e32 v6, v39, v11
	v_sub_u32_e32 v7, v26, v6
	v_and_b32_e32 v8, 1, v20
	v_add_u32_e32 v7, 9, v7
	v_cmp_eq_u32_e32 vcc, 1, v8
	v_cndmask_b32_e32 v6, v7, v6, vcc
	v_add_u32_e32 v40, v39, v40
	v_lshlrev_b32_e32 v6, 1, v6
	ds_write_b16_d16_hi v6, v2
	v_sub_u32_e32 v2, v40, v11
	;; [unrolled: 37-line block ×4, first 2 shown]
	v_sub_u32_e32 v3, v26, v2
	v_and_b32_sdwa v4, v23, v28 dst_sel:DWORD dst_unused:UNUSED_PAD src0_sel:DWORD src1_sel:WORD_1
	v_add_u32_e32 v3, 18, v3
	v_cmp_eq_u32_e32 vcc, 1, v4
	v_cndmask_b32_e32 v2, v3, v2, vcc
	v_lshlrev_b32_e32 v2, 1, v2
	ds_write_b16 v2, v13
	v_sub_u32_e32 v2, v29, v11
	v_add_u32_e32 v2, v35, v2
	v_sub_u32_e32 v3, v26, v2
	v_and_b32_e32 v4, 1, v27
	v_add_u32_e32 v3, 19, v3
	v_cmp_eq_u32_e32 vcc, 1, v4
	v_cndmask_b32_e32 v2, v3, v2, vcc
	v_lshlrev_b32_e32 v2, 1, v2
	ds_write_b16_d16_hi v2, v13
	s_waitcnt lgkmcnt(0)
	s_barrier
	ds_read_u16 v47, v1
	ds_read_u16 v45, v1 offset:512
	ds_read_u16 v43, v1 offset:1024
	;; [unrolled: 1-line block ×19, first 2 shown]
	s_add_u32 s0, s26, s24
	s_addc_u32 s1, s27, 0
	v_mov_b32_e32 v2, s31
	v_add_co_u32_e32 v1, vcc, s30, v11
	s_sub_u32 s0, s28, s0
	v_addc_co_u32_e32 v4, vcc, 0, v2, vcc
	s_subb_u32 s1, s29, s1
	v_mov_b32_e32 v2, s1
	v_add_co_u32_e32 v3, vcc, s0, v10
	v_addc_co_u32_e32 v2, vcc, 0, v2, vcc
	v_add_co_u32_e64 v7, s[0:1], v3, v1
	v_or_b32_e32 v46, 0x100, v0
	v_or_b32_e32 v44, 0x200, v0
	;; [unrolled: 1-line block ×19, first 2 shown]
	s_andn2_b64 vcc, exec, s[34:35]
	v_addc_co_u32_e64 v8, s[0:1], v2, v4, s[0:1]
	s_cbranch_vccnz .LBB3628_207
; %bb.126:
	v_cmp_ge_u32_e32 vcc, v0, v10
                                        ; implicit-def: $vgpr2_vgpr3
	s_and_saveexec_b64 s[0:1], vcc
	s_xor_b64 s[0:1], exec, s[0:1]
; %bb.127:
	v_not_b32_e32 v2, v0
	v_ashrrev_i32_e32 v3, 31, v2
	v_add_co_u32_e32 v2, vcc, v7, v2
	v_addc_co_u32_e32 v3, vcc, v8, v3, vcc
; %bb.128:
	s_andn2_saveexec_b64 s[0:1], s[0:1]
; %bb.129:
	v_add_co_u32_e32 v2, vcc, v1, v0
	v_addc_co_u32_e32 v3, vcc, 0, v4, vcc
; %bb.130:
	s_or_b64 exec, exec, s[0:1]
	v_lshlrev_b64 v[2:3], 1, v[2:3]
	v_mov_b32_e32 v11, s5
	v_add_co_u32_e32 v2, vcc, s4, v2
	v_addc_co_u32_e32 v3, vcc, v11, v3, vcc
	v_cmp_ge_u32_e32 vcc, v46, v10
	s_waitcnt lgkmcnt(14)
	global_store_short v[2:3], v47, off
                                        ; implicit-def: $vgpr2_vgpr3
	s_and_saveexec_b64 s[0:1], vcc
	s_xor_b64 s[0:1], exec, s[0:1]
; %bb.131:
	v_xor_b32_e32 v2, 0xfffffeff, v0
	v_ashrrev_i32_e32 v3, 31, v2
	v_add_co_u32_e32 v2, vcc, v7, v2
	v_addc_co_u32_e32 v3, vcc, v8, v3, vcc
; %bb.132:
	s_andn2_saveexec_b64 s[0:1], s[0:1]
; %bb.133:
	v_add_co_u32_e32 v2, vcc, v1, v46
	v_addc_co_u32_e32 v3, vcc, 0, v4, vcc
; %bb.134:
	s_or_b64 exec, exec, s[0:1]
	v_lshlrev_b64 v[2:3], 1, v[2:3]
	v_mov_b32_e32 v11, s5
	v_add_co_u32_e32 v2, vcc, s4, v2
	v_addc_co_u32_e32 v3, vcc, v11, v3, vcc
	v_cmp_ge_u32_e32 vcc, v44, v10
	global_store_short v[2:3], v45, off
                                        ; implicit-def: $vgpr2_vgpr3
	s_and_saveexec_b64 s[0:1], vcc
	s_xor_b64 s[0:1], exec, s[0:1]
; %bb.135:
	v_xor_b32_e32 v2, 0xfffffdff, v0
	v_ashrrev_i32_e32 v3, 31, v2
	v_add_co_u32_e32 v2, vcc, v7, v2
	v_addc_co_u32_e32 v3, vcc, v8, v3, vcc
; %bb.136:
	s_andn2_saveexec_b64 s[0:1], s[0:1]
; %bb.137:
	v_add_co_u32_e32 v2, vcc, v1, v44
	v_addc_co_u32_e32 v3, vcc, 0, v4, vcc
; %bb.138:
	s_or_b64 exec, exec, s[0:1]
	v_lshlrev_b64 v[2:3], 1, v[2:3]
	v_mov_b32_e32 v11, s5
	v_add_co_u32_e32 v2, vcc, s4, v2
	v_addc_co_u32_e32 v3, vcc, v11, v3, vcc
	v_cmp_ge_u32_e32 vcc, v42, v10
	;; [unrolled: 21-line block ×6, first 2 shown]
	s_waitcnt lgkmcnt(13)
	global_store_short v[2:3], v35, off
                                        ; implicit-def: $vgpr2_vgpr3
	s_and_saveexec_b64 s[0:1], vcc
	s_xor_b64 s[0:1], exec, s[0:1]
; %bb.155:
	v_xor_b32_e32 v2, 0xfffff8ff, v0
	v_ashrrev_i32_e32 v3, 31, v2
	v_add_co_u32_e32 v2, vcc, v7, v2
	v_addc_co_u32_e32 v3, vcc, v8, v3, vcc
; %bb.156:
	s_andn2_saveexec_b64 s[0:1], s[0:1]
; %bb.157:
	v_add_co_u32_e32 v2, vcc, v1, v34
	v_addc_co_u32_e32 v3, vcc, 0, v4, vcc
; %bb.158:
	s_or_b64 exec, exec, s[0:1]
	v_lshlrev_b64 v[2:3], 1, v[2:3]
	v_mov_b32_e32 v11, s5
	v_add_co_u32_e32 v2, vcc, s4, v2
	v_addc_co_u32_e32 v3, vcc, v11, v3, vcc
	v_cmp_ge_u32_e32 vcc, v32, v10
	s_waitcnt lgkmcnt(12)
	global_store_short v[2:3], v33, off
                                        ; implicit-def: $vgpr2_vgpr3
	s_and_saveexec_b64 s[0:1], vcc
	s_xor_b64 s[0:1], exec, s[0:1]
; %bb.159:
	v_xor_b32_e32 v2, 0xfffff7ff, v0
	v_ashrrev_i32_e32 v3, 31, v2
	v_add_co_u32_e32 v2, vcc, v7, v2
	v_addc_co_u32_e32 v3, vcc, v8, v3, vcc
; %bb.160:
	s_andn2_saveexec_b64 s[0:1], s[0:1]
; %bb.161:
	v_add_co_u32_e32 v2, vcc, v1, v32
	v_addc_co_u32_e32 v3, vcc, 0, v4, vcc
; %bb.162:
	s_or_b64 exec, exec, s[0:1]
	v_lshlrev_b64 v[2:3], 1, v[2:3]
	v_mov_b32_e32 v11, s5
	v_add_co_u32_e32 v2, vcc, s4, v2
	v_addc_co_u32_e32 v3, vcc, v11, v3, vcc
	v_cmp_ge_u32_e32 vcc, v30, v10
	;; [unrolled: 22-line block ×12, first 2 shown]
	s_waitcnt lgkmcnt(1)
	global_store_short v[2:3], v9, off
                                        ; implicit-def: $vgpr2_vgpr3
	s_and_saveexec_b64 s[0:1], vcc
	s_xor_b64 s[0:1], exec, s[0:1]
; %bb.203:
	v_xor_b32_e32 v2, 0xffffecff, v0
	v_ashrrev_i32_e32 v3, 31, v2
	v_add_co_u32_e32 v2, vcc, v7, v2
	v_addc_co_u32_e32 v3, vcc, v8, v3, vcc
; %bb.204:
	s_andn2_saveexec_b64 s[0:1], s[0:1]
; %bb.205:
	v_add_co_u32_e32 v2, vcc, v1, v6
	v_addc_co_u32_e32 v3, vcc, 0, v4, vcc
; %bb.206:
	s_or_b64 exec, exec, s[0:1]
	s_mov_b64 s[0:1], -1
	s_branch .LBB3628_329
.LBB3628_207:
	s_mov_b64 s[0:1], 0
                                        ; implicit-def: $vgpr2_vgpr3
	s_cbranch_execz .LBB3628_329
; %bb.208:
	v_cmp_gt_u32_e32 vcc, s33, v0
	s_and_saveexec_b64 s[2:3], vcc
	s_cbranch_execz .LBB3628_264
; %bb.209:
	v_cmp_ge_u32_e32 vcc, v0, v10
                                        ; implicit-def: $vgpr2_vgpr3
	s_and_saveexec_b64 s[6:7], vcc
	s_xor_b64 s[6:7], exec, s[6:7]
; %bb.210:
	v_not_b32_e32 v2, v0
	v_ashrrev_i32_e32 v3, 31, v2
	v_add_co_u32_e32 v2, vcc, v7, v2
	v_addc_co_u32_e32 v3, vcc, v8, v3, vcc
; %bb.211:
	s_andn2_saveexec_b64 s[6:7], s[6:7]
; %bb.212:
	v_add_co_u32_e32 v2, vcc, v1, v0
	v_addc_co_u32_e32 v3, vcc, 0, v4, vcc
; %bb.213:
	s_or_b64 exec, exec, s[6:7]
	v_lshlrev_b64 v[2:3], 1, v[2:3]
	v_mov_b32_e32 v11, s5
	v_add_co_u32_e32 v2, vcc, s4, v2
	v_addc_co_u32_e32 v3, vcc, v11, v3, vcc
	s_waitcnt lgkmcnt(14)
	global_store_short v[2:3], v47, off
	s_or_b64 exec, exec, s[2:3]
	v_cmp_gt_u32_e32 vcc, s33, v46
	s_and_saveexec_b64 s[2:3], vcc
	s_cbranch_execnz .LBB3628_265
.LBB3628_214:
	s_or_b64 exec, exec, s[2:3]
	v_cmp_gt_u32_e32 vcc, s33, v44
	s_and_saveexec_b64 s[2:3], vcc
	s_cbranch_execz .LBB3628_270
.LBB3628_215:
	v_cmp_ge_u32_e32 vcc, v44, v10
                                        ; implicit-def: $vgpr2_vgpr3
	s_and_saveexec_b64 s[6:7], vcc
	s_xor_b64 s[6:7], exec, s[6:7]
; %bb.216:
	v_xor_b32_e32 v2, 0xfffffdff, v0
	v_ashrrev_i32_e32 v3, 31, v2
	v_add_co_u32_e32 v2, vcc, v7, v2
	v_addc_co_u32_e32 v3, vcc, v8, v3, vcc
                                        ; implicit-def: $vgpr44
; %bb.217:
	s_andn2_saveexec_b64 s[6:7], s[6:7]
; %bb.218:
	v_add_co_u32_e32 v2, vcc, v1, v44
	v_addc_co_u32_e32 v3, vcc, 0, v4, vcc
; %bb.219:
	s_or_b64 exec, exec, s[6:7]
	v_lshlrev_b64 v[2:3], 1, v[2:3]
	v_mov_b32_e32 v11, s5
	v_add_co_u32_e32 v2, vcc, s4, v2
	v_addc_co_u32_e32 v3, vcc, v11, v3, vcc
	s_waitcnt lgkmcnt(14)
	global_store_short v[2:3], v43, off
	s_or_b64 exec, exec, s[2:3]
	v_cmp_gt_u32_e32 vcc, s33, v42
	s_and_saveexec_b64 s[2:3], vcc
	s_cbranch_execnz .LBB3628_271
.LBB3628_220:
	s_or_b64 exec, exec, s[2:3]
	v_cmp_gt_u32_e32 vcc, s33, v40
	s_and_saveexec_b64 s[2:3], vcc
	s_cbranch_execz .LBB3628_276
.LBB3628_221:
	v_cmp_ge_u32_e32 vcc, v40, v10
                                        ; implicit-def: $vgpr2_vgpr3
	s_and_saveexec_b64 s[6:7], vcc
	s_xor_b64 s[6:7], exec, s[6:7]
; %bb.222:
	v_xor_b32_e32 v2, 0xfffffbff, v0
	v_ashrrev_i32_e32 v3, 31, v2
	v_add_co_u32_e32 v2, vcc, v7, v2
	v_addc_co_u32_e32 v3, vcc, v8, v3, vcc
                                        ; implicit-def: $vgpr40
; %bb.223:
	s_andn2_saveexec_b64 s[6:7], s[6:7]
; %bb.224:
	v_add_co_u32_e32 v2, vcc, v1, v40
	v_addc_co_u32_e32 v3, vcc, 0, v4, vcc
; %bb.225:
	s_or_b64 exec, exec, s[6:7]
	v_lshlrev_b64 v[2:3], 1, v[2:3]
	v_mov_b32_e32 v11, s5
	v_add_co_u32_e32 v2, vcc, s4, v2
	v_addc_co_u32_e32 v3, vcc, v11, v3, vcc
	s_waitcnt lgkmcnt(14)
	global_store_short v[2:3], v39, off
	s_or_b64 exec, exec, s[2:3]
	v_cmp_gt_u32_e32 vcc, s33, v38
	s_and_saveexec_b64 s[2:3], vcc
	s_cbranch_execnz .LBB3628_277
.LBB3628_226:
	s_or_b64 exec, exec, s[2:3]
	v_cmp_gt_u32_e32 vcc, s33, v36
	s_and_saveexec_b64 s[2:3], vcc
	s_cbranch_execz .LBB3628_282
.LBB3628_227:
	v_cmp_ge_u32_e32 vcc, v36, v10
                                        ; implicit-def: $vgpr2_vgpr3
	s_and_saveexec_b64 s[6:7], vcc
	s_xor_b64 s[6:7], exec, s[6:7]
; %bb.228:
	v_xor_b32_e32 v2, 0xfffff9ff, v0
	v_ashrrev_i32_e32 v3, 31, v2
	v_add_co_u32_e32 v2, vcc, v7, v2
	v_addc_co_u32_e32 v3, vcc, v8, v3, vcc
                                        ; implicit-def: $vgpr36
; %bb.229:
	s_andn2_saveexec_b64 s[6:7], s[6:7]
; %bb.230:
	v_add_co_u32_e32 v2, vcc, v1, v36
	v_addc_co_u32_e32 v3, vcc, 0, v4, vcc
; %bb.231:
	s_or_b64 exec, exec, s[6:7]
	v_lshlrev_b64 v[2:3], 1, v[2:3]
	v_mov_b32_e32 v11, s5
	v_add_co_u32_e32 v2, vcc, s4, v2
	v_addc_co_u32_e32 v3, vcc, v11, v3, vcc
	s_waitcnt lgkmcnt(13)
	global_store_short v[2:3], v35, off
	s_or_b64 exec, exec, s[2:3]
	v_cmp_gt_u32_e32 vcc, s33, v34
	s_and_saveexec_b64 s[2:3], vcc
	s_cbranch_execnz .LBB3628_283
.LBB3628_232:
	s_or_b64 exec, exec, s[2:3]
	v_cmp_gt_u32_e32 vcc, s33, v32
	s_and_saveexec_b64 s[2:3], vcc
	s_cbranch_execz .LBB3628_288
.LBB3628_233:
	v_cmp_ge_u32_e32 vcc, v32, v10
                                        ; implicit-def: $vgpr2_vgpr3
	s_and_saveexec_b64 s[6:7], vcc
	s_xor_b64 s[6:7], exec, s[6:7]
; %bb.234:
	v_xor_b32_e32 v2, 0xfffff7ff, v0
	v_ashrrev_i32_e32 v3, 31, v2
	v_add_co_u32_e32 v2, vcc, v7, v2
	v_addc_co_u32_e32 v3, vcc, v8, v3, vcc
                                        ; implicit-def: $vgpr32
; %bb.235:
	s_andn2_saveexec_b64 s[6:7], s[6:7]
; %bb.236:
	v_add_co_u32_e32 v2, vcc, v1, v32
	v_addc_co_u32_e32 v3, vcc, 0, v4, vcc
; %bb.237:
	s_or_b64 exec, exec, s[6:7]
	v_lshlrev_b64 v[2:3], 1, v[2:3]
	v_mov_b32_e32 v11, s5
	v_add_co_u32_e32 v2, vcc, s4, v2
	v_addc_co_u32_e32 v3, vcc, v11, v3, vcc
	s_waitcnt lgkmcnt(11)
	global_store_short v[2:3], v31, off
	s_or_b64 exec, exec, s[2:3]
	v_cmp_gt_u32_e32 vcc, s33, v30
	s_and_saveexec_b64 s[2:3], vcc
	s_cbranch_execnz .LBB3628_289
.LBB3628_238:
	s_or_b64 exec, exec, s[2:3]
	v_cmp_gt_u32_e32 vcc, s33, v28
	s_and_saveexec_b64 s[2:3], vcc
	s_cbranch_execz .LBB3628_294
.LBB3628_239:
	v_cmp_ge_u32_e32 vcc, v28, v10
                                        ; implicit-def: $vgpr2_vgpr3
	s_and_saveexec_b64 s[6:7], vcc
	s_xor_b64 s[6:7], exec, s[6:7]
; %bb.240:
	v_xor_b32_e32 v2, 0xfffff5ff, v0
	v_ashrrev_i32_e32 v3, 31, v2
	v_add_co_u32_e32 v2, vcc, v7, v2
	v_addc_co_u32_e32 v3, vcc, v8, v3, vcc
                                        ; implicit-def: $vgpr28
; %bb.241:
	s_andn2_saveexec_b64 s[6:7], s[6:7]
; %bb.242:
	v_add_co_u32_e32 v2, vcc, v1, v28
	v_addc_co_u32_e32 v3, vcc, 0, v4, vcc
; %bb.243:
	s_or_b64 exec, exec, s[6:7]
	v_lshlrev_b64 v[2:3], 1, v[2:3]
	v_mov_b32_e32 v11, s5
	v_add_co_u32_e32 v2, vcc, s4, v2
	v_addc_co_u32_e32 v3, vcc, v11, v3, vcc
	s_waitcnt lgkmcnt(9)
	global_store_short v[2:3], v27, off
	s_or_b64 exec, exec, s[2:3]
	v_cmp_gt_u32_e32 vcc, s33, v26
	s_and_saveexec_b64 s[2:3], vcc
	s_cbranch_execnz .LBB3628_295
.LBB3628_244:
	s_or_b64 exec, exec, s[2:3]
	v_cmp_gt_u32_e32 vcc, s33, v24
	s_and_saveexec_b64 s[2:3], vcc
	s_cbranch_execz .LBB3628_300
.LBB3628_245:
	v_cmp_ge_u32_e32 vcc, v24, v10
                                        ; implicit-def: $vgpr2_vgpr3
	s_and_saveexec_b64 s[6:7], vcc
	s_xor_b64 s[6:7], exec, s[6:7]
; %bb.246:
	v_xor_b32_e32 v2, 0xfffff3ff, v0
	v_ashrrev_i32_e32 v3, 31, v2
	v_add_co_u32_e32 v2, vcc, v7, v2
	v_addc_co_u32_e32 v3, vcc, v8, v3, vcc
                                        ; implicit-def: $vgpr24
; %bb.247:
	s_andn2_saveexec_b64 s[6:7], s[6:7]
; %bb.248:
	v_add_co_u32_e32 v2, vcc, v1, v24
	v_addc_co_u32_e32 v3, vcc, 0, v4, vcc
; %bb.249:
	s_or_b64 exec, exec, s[6:7]
	v_lshlrev_b64 v[2:3], 1, v[2:3]
	v_mov_b32_e32 v11, s5
	v_add_co_u32_e32 v2, vcc, s4, v2
	v_addc_co_u32_e32 v3, vcc, v11, v3, vcc
	s_waitcnt lgkmcnt(7)
	global_store_short v[2:3], v23, off
	s_or_b64 exec, exec, s[2:3]
	v_cmp_gt_u32_e32 vcc, s33, v22
	s_and_saveexec_b64 s[2:3], vcc
	s_cbranch_execnz .LBB3628_301
.LBB3628_250:
	s_or_b64 exec, exec, s[2:3]
	v_cmp_gt_u32_e32 vcc, s33, v20
	s_and_saveexec_b64 s[2:3], vcc
	s_cbranch_execz .LBB3628_306
.LBB3628_251:
	v_cmp_ge_u32_e32 vcc, v20, v10
                                        ; implicit-def: $vgpr2_vgpr3
	s_and_saveexec_b64 s[6:7], vcc
	s_xor_b64 s[6:7], exec, s[6:7]
; %bb.252:
	v_xor_b32_e32 v2, 0xfffff1ff, v0
	v_ashrrev_i32_e32 v3, 31, v2
	v_add_co_u32_e32 v2, vcc, v7, v2
	v_addc_co_u32_e32 v3, vcc, v8, v3, vcc
                                        ; implicit-def: $vgpr20
; %bb.253:
	s_andn2_saveexec_b64 s[6:7], s[6:7]
; %bb.254:
	v_add_co_u32_e32 v2, vcc, v1, v20
	v_addc_co_u32_e32 v3, vcc, 0, v4, vcc
; %bb.255:
	s_or_b64 exec, exec, s[6:7]
	v_lshlrev_b64 v[2:3], 1, v[2:3]
	v_mov_b32_e32 v11, s5
	v_add_co_u32_e32 v2, vcc, s4, v2
	v_addc_co_u32_e32 v3, vcc, v11, v3, vcc
	s_waitcnt lgkmcnt(5)
	global_store_short v[2:3], v19, off
	s_or_b64 exec, exec, s[2:3]
	v_cmp_gt_u32_e32 vcc, s33, v18
	s_and_saveexec_b64 s[2:3], vcc
	s_cbranch_execnz .LBB3628_307
.LBB3628_256:
	s_or_b64 exec, exec, s[2:3]
	v_cmp_gt_u32_e32 vcc, s33, v16
	s_and_saveexec_b64 s[2:3], vcc
	s_cbranch_execz .LBB3628_312
.LBB3628_257:
	v_cmp_ge_u32_e32 vcc, v16, v10
                                        ; implicit-def: $vgpr2_vgpr3
	s_and_saveexec_b64 s[6:7], vcc
	s_xor_b64 s[6:7], exec, s[6:7]
; %bb.258:
	v_xor_b32_e32 v2, 0xffffefff, v0
	v_ashrrev_i32_e32 v3, 31, v2
	v_add_co_u32_e32 v2, vcc, v7, v2
	v_addc_co_u32_e32 v3, vcc, v8, v3, vcc
                                        ; implicit-def: $vgpr16
; %bb.259:
	s_andn2_saveexec_b64 s[6:7], s[6:7]
; %bb.260:
	v_add_co_u32_e32 v2, vcc, v1, v16
	v_addc_co_u32_e32 v3, vcc, 0, v4, vcc
; %bb.261:
	s_or_b64 exec, exec, s[6:7]
	v_lshlrev_b64 v[2:3], 1, v[2:3]
	v_mov_b32_e32 v11, s5
	v_add_co_u32_e32 v2, vcc, s4, v2
	v_addc_co_u32_e32 v3, vcc, v11, v3, vcc
	s_waitcnt lgkmcnt(3)
	global_store_short v[2:3], v15, off
	s_or_b64 exec, exec, s[2:3]
	v_cmp_gt_u32_e32 vcc, s33, v14
	s_and_saveexec_b64 s[2:3], vcc
	s_cbranch_execnz .LBB3628_313
.LBB3628_262:
	s_or_b64 exec, exec, s[2:3]
	v_cmp_gt_u32_e32 vcc, s33, v12
	s_and_saveexec_b64 s[2:3], vcc
	s_cbranch_execnz .LBB3628_318
.LBB3628_263:
	s_or_b64 exec, exec, s[2:3]
	v_cmp_gt_u32_e32 vcc, s33, v6
                                        ; implicit-def: $vgpr2_vgpr3
	s_and_saveexec_b64 s[2:3], vcc
	s_cbranch_execz .LBB3628_328
	s_branch .LBB3628_323
.LBB3628_264:
	s_or_b64 exec, exec, s[2:3]
	v_cmp_gt_u32_e32 vcc, s33, v46
	s_and_saveexec_b64 s[2:3], vcc
	s_cbranch_execz .LBB3628_214
.LBB3628_265:
	v_cmp_ge_u32_e32 vcc, v46, v10
                                        ; implicit-def: $vgpr2_vgpr3
	s_and_saveexec_b64 s[6:7], vcc
	s_xor_b64 s[6:7], exec, s[6:7]
; %bb.266:
	v_xor_b32_e32 v2, 0xfffffeff, v0
	v_ashrrev_i32_e32 v3, 31, v2
	v_add_co_u32_e32 v2, vcc, v7, v2
	v_addc_co_u32_e32 v3, vcc, v8, v3, vcc
                                        ; implicit-def: $vgpr46
; %bb.267:
	s_andn2_saveexec_b64 s[6:7], s[6:7]
; %bb.268:
	v_add_co_u32_e32 v2, vcc, v1, v46
	v_addc_co_u32_e32 v3, vcc, 0, v4, vcc
; %bb.269:
	s_or_b64 exec, exec, s[6:7]
	v_lshlrev_b64 v[2:3], 1, v[2:3]
	v_mov_b32_e32 v11, s5
	v_add_co_u32_e32 v2, vcc, s4, v2
	v_addc_co_u32_e32 v3, vcc, v11, v3, vcc
	s_waitcnt lgkmcnt(14)
	global_store_short v[2:3], v45, off
	s_or_b64 exec, exec, s[2:3]
	v_cmp_gt_u32_e32 vcc, s33, v44
	s_and_saveexec_b64 s[2:3], vcc
	s_cbranch_execnz .LBB3628_215
.LBB3628_270:
	s_or_b64 exec, exec, s[2:3]
	v_cmp_gt_u32_e32 vcc, s33, v42
	s_and_saveexec_b64 s[2:3], vcc
	s_cbranch_execz .LBB3628_220
.LBB3628_271:
	v_cmp_ge_u32_e32 vcc, v42, v10
                                        ; implicit-def: $vgpr2_vgpr3
	s_and_saveexec_b64 s[6:7], vcc
	s_xor_b64 s[6:7], exec, s[6:7]
; %bb.272:
	v_xor_b32_e32 v2, 0xfffffcff, v0
	v_ashrrev_i32_e32 v3, 31, v2
	v_add_co_u32_e32 v2, vcc, v7, v2
	v_addc_co_u32_e32 v3, vcc, v8, v3, vcc
                                        ; implicit-def: $vgpr42
; %bb.273:
	s_andn2_saveexec_b64 s[6:7], s[6:7]
; %bb.274:
	v_add_co_u32_e32 v2, vcc, v1, v42
	v_addc_co_u32_e32 v3, vcc, 0, v4, vcc
; %bb.275:
	s_or_b64 exec, exec, s[6:7]
	v_lshlrev_b64 v[2:3], 1, v[2:3]
	v_mov_b32_e32 v11, s5
	v_add_co_u32_e32 v2, vcc, s4, v2
	v_addc_co_u32_e32 v3, vcc, v11, v3, vcc
	s_waitcnt lgkmcnt(14)
	global_store_short v[2:3], v41, off
	s_or_b64 exec, exec, s[2:3]
	v_cmp_gt_u32_e32 vcc, s33, v40
	s_and_saveexec_b64 s[2:3], vcc
	s_cbranch_execnz .LBB3628_221
.LBB3628_276:
	s_or_b64 exec, exec, s[2:3]
	v_cmp_gt_u32_e32 vcc, s33, v38
	s_and_saveexec_b64 s[2:3], vcc
	s_cbranch_execz .LBB3628_226
.LBB3628_277:
	v_cmp_ge_u32_e32 vcc, v38, v10
                                        ; implicit-def: $vgpr2_vgpr3
	s_and_saveexec_b64 s[6:7], vcc
	s_xor_b64 s[6:7], exec, s[6:7]
; %bb.278:
	v_xor_b32_e32 v2, 0xfffffaff, v0
	v_ashrrev_i32_e32 v3, 31, v2
	v_add_co_u32_e32 v2, vcc, v7, v2
	v_addc_co_u32_e32 v3, vcc, v8, v3, vcc
                                        ; implicit-def: $vgpr38
; %bb.279:
	s_andn2_saveexec_b64 s[6:7], s[6:7]
; %bb.280:
	v_add_co_u32_e32 v2, vcc, v1, v38
	v_addc_co_u32_e32 v3, vcc, 0, v4, vcc
; %bb.281:
	s_or_b64 exec, exec, s[6:7]
	v_lshlrev_b64 v[2:3], 1, v[2:3]
	v_mov_b32_e32 v11, s5
	v_add_co_u32_e32 v2, vcc, s4, v2
	v_addc_co_u32_e32 v3, vcc, v11, v3, vcc
	s_waitcnt lgkmcnt(14)
	global_store_short v[2:3], v37, off
	s_or_b64 exec, exec, s[2:3]
	v_cmp_gt_u32_e32 vcc, s33, v36
	s_and_saveexec_b64 s[2:3], vcc
	s_cbranch_execnz .LBB3628_227
.LBB3628_282:
	s_or_b64 exec, exec, s[2:3]
	v_cmp_gt_u32_e32 vcc, s33, v34
	s_and_saveexec_b64 s[2:3], vcc
	s_cbranch_execz .LBB3628_232
.LBB3628_283:
	v_cmp_ge_u32_e32 vcc, v34, v10
                                        ; implicit-def: $vgpr2_vgpr3
	s_and_saveexec_b64 s[6:7], vcc
	s_xor_b64 s[6:7], exec, s[6:7]
; %bb.284:
	v_xor_b32_e32 v2, 0xfffff8ff, v0
	v_ashrrev_i32_e32 v3, 31, v2
	v_add_co_u32_e32 v2, vcc, v7, v2
	v_addc_co_u32_e32 v3, vcc, v8, v3, vcc
                                        ; implicit-def: $vgpr34
; %bb.285:
	s_andn2_saveexec_b64 s[6:7], s[6:7]
; %bb.286:
	v_add_co_u32_e32 v2, vcc, v1, v34
	v_addc_co_u32_e32 v3, vcc, 0, v4, vcc
; %bb.287:
	s_or_b64 exec, exec, s[6:7]
	v_lshlrev_b64 v[2:3], 1, v[2:3]
	v_mov_b32_e32 v11, s5
	v_add_co_u32_e32 v2, vcc, s4, v2
	v_addc_co_u32_e32 v3, vcc, v11, v3, vcc
	s_waitcnt lgkmcnt(12)
	global_store_short v[2:3], v33, off
	s_or_b64 exec, exec, s[2:3]
	v_cmp_gt_u32_e32 vcc, s33, v32
	s_and_saveexec_b64 s[2:3], vcc
	s_cbranch_execnz .LBB3628_233
.LBB3628_288:
	s_or_b64 exec, exec, s[2:3]
	v_cmp_gt_u32_e32 vcc, s33, v30
	s_and_saveexec_b64 s[2:3], vcc
	s_cbranch_execz .LBB3628_238
.LBB3628_289:
	v_cmp_ge_u32_e32 vcc, v30, v10
                                        ; implicit-def: $vgpr2_vgpr3
	s_and_saveexec_b64 s[6:7], vcc
	s_xor_b64 s[6:7], exec, s[6:7]
; %bb.290:
	v_xor_b32_e32 v2, 0xfffff6ff, v0
	v_ashrrev_i32_e32 v3, 31, v2
	v_add_co_u32_e32 v2, vcc, v7, v2
	v_addc_co_u32_e32 v3, vcc, v8, v3, vcc
                                        ; implicit-def: $vgpr30
; %bb.291:
	s_andn2_saveexec_b64 s[6:7], s[6:7]
; %bb.292:
	v_add_co_u32_e32 v2, vcc, v1, v30
	v_addc_co_u32_e32 v3, vcc, 0, v4, vcc
; %bb.293:
	s_or_b64 exec, exec, s[6:7]
	v_lshlrev_b64 v[2:3], 1, v[2:3]
	v_mov_b32_e32 v11, s5
	v_add_co_u32_e32 v2, vcc, s4, v2
	v_addc_co_u32_e32 v3, vcc, v11, v3, vcc
	s_waitcnt lgkmcnt(10)
	global_store_short v[2:3], v29, off
	s_or_b64 exec, exec, s[2:3]
	v_cmp_gt_u32_e32 vcc, s33, v28
	s_and_saveexec_b64 s[2:3], vcc
	s_cbranch_execnz .LBB3628_239
.LBB3628_294:
	s_or_b64 exec, exec, s[2:3]
	v_cmp_gt_u32_e32 vcc, s33, v26
	s_and_saveexec_b64 s[2:3], vcc
	s_cbranch_execz .LBB3628_244
.LBB3628_295:
	v_cmp_ge_u32_e32 vcc, v26, v10
                                        ; implicit-def: $vgpr2_vgpr3
	s_and_saveexec_b64 s[6:7], vcc
	s_xor_b64 s[6:7], exec, s[6:7]
; %bb.296:
	v_xor_b32_e32 v2, 0xfffff4ff, v0
	v_ashrrev_i32_e32 v3, 31, v2
	v_add_co_u32_e32 v2, vcc, v7, v2
	v_addc_co_u32_e32 v3, vcc, v8, v3, vcc
                                        ; implicit-def: $vgpr26
; %bb.297:
	s_andn2_saveexec_b64 s[6:7], s[6:7]
; %bb.298:
	v_add_co_u32_e32 v2, vcc, v1, v26
	v_addc_co_u32_e32 v3, vcc, 0, v4, vcc
; %bb.299:
	s_or_b64 exec, exec, s[6:7]
	v_lshlrev_b64 v[2:3], 1, v[2:3]
	v_mov_b32_e32 v11, s5
	v_add_co_u32_e32 v2, vcc, s4, v2
	v_addc_co_u32_e32 v3, vcc, v11, v3, vcc
	s_waitcnt lgkmcnt(8)
	global_store_short v[2:3], v25, off
	s_or_b64 exec, exec, s[2:3]
	v_cmp_gt_u32_e32 vcc, s33, v24
	s_and_saveexec_b64 s[2:3], vcc
	s_cbranch_execnz .LBB3628_245
.LBB3628_300:
	s_or_b64 exec, exec, s[2:3]
	v_cmp_gt_u32_e32 vcc, s33, v22
	s_and_saveexec_b64 s[2:3], vcc
	s_cbranch_execz .LBB3628_250
.LBB3628_301:
	v_cmp_ge_u32_e32 vcc, v22, v10
                                        ; implicit-def: $vgpr2_vgpr3
	s_and_saveexec_b64 s[6:7], vcc
	s_xor_b64 s[6:7], exec, s[6:7]
; %bb.302:
	v_xor_b32_e32 v2, 0xfffff2ff, v0
	v_ashrrev_i32_e32 v3, 31, v2
	v_add_co_u32_e32 v2, vcc, v7, v2
	v_addc_co_u32_e32 v3, vcc, v8, v3, vcc
                                        ; implicit-def: $vgpr22
; %bb.303:
	s_andn2_saveexec_b64 s[6:7], s[6:7]
; %bb.304:
	v_add_co_u32_e32 v2, vcc, v1, v22
	v_addc_co_u32_e32 v3, vcc, 0, v4, vcc
; %bb.305:
	s_or_b64 exec, exec, s[6:7]
	v_lshlrev_b64 v[2:3], 1, v[2:3]
	v_mov_b32_e32 v11, s5
	v_add_co_u32_e32 v2, vcc, s4, v2
	v_addc_co_u32_e32 v3, vcc, v11, v3, vcc
	s_waitcnt lgkmcnt(6)
	global_store_short v[2:3], v21, off
	s_or_b64 exec, exec, s[2:3]
	v_cmp_gt_u32_e32 vcc, s33, v20
	s_and_saveexec_b64 s[2:3], vcc
	s_cbranch_execnz .LBB3628_251
.LBB3628_306:
	s_or_b64 exec, exec, s[2:3]
	v_cmp_gt_u32_e32 vcc, s33, v18
	s_and_saveexec_b64 s[2:3], vcc
	s_cbranch_execz .LBB3628_256
.LBB3628_307:
	v_cmp_ge_u32_e32 vcc, v18, v10
                                        ; implicit-def: $vgpr2_vgpr3
	s_and_saveexec_b64 s[6:7], vcc
	s_xor_b64 s[6:7], exec, s[6:7]
; %bb.308:
	v_xor_b32_e32 v2, 0xfffff0ff, v0
	v_ashrrev_i32_e32 v3, 31, v2
	v_add_co_u32_e32 v2, vcc, v7, v2
	v_addc_co_u32_e32 v3, vcc, v8, v3, vcc
                                        ; implicit-def: $vgpr18
; %bb.309:
	s_andn2_saveexec_b64 s[6:7], s[6:7]
; %bb.310:
	v_add_co_u32_e32 v2, vcc, v1, v18
	v_addc_co_u32_e32 v3, vcc, 0, v4, vcc
; %bb.311:
	s_or_b64 exec, exec, s[6:7]
	v_lshlrev_b64 v[2:3], 1, v[2:3]
	v_mov_b32_e32 v11, s5
	v_add_co_u32_e32 v2, vcc, s4, v2
	v_addc_co_u32_e32 v3, vcc, v11, v3, vcc
	s_waitcnt lgkmcnt(4)
	global_store_short v[2:3], v17, off
	s_or_b64 exec, exec, s[2:3]
	v_cmp_gt_u32_e32 vcc, s33, v16
	s_and_saveexec_b64 s[2:3], vcc
	s_cbranch_execnz .LBB3628_257
.LBB3628_312:
	s_or_b64 exec, exec, s[2:3]
	v_cmp_gt_u32_e32 vcc, s33, v14
	s_and_saveexec_b64 s[2:3], vcc
	s_cbranch_execz .LBB3628_262
.LBB3628_313:
	v_cmp_ge_u32_e32 vcc, v14, v10
                                        ; implicit-def: $vgpr2_vgpr3
	s_and_saveexec_b64 s[6:7], vcc
	s_xor_b64 s[6:7], exec, s[6:7]
; %bb.314:
	v_xor_b32_e32 v2, 0xffffeeff, v0
	v_ashrrev_i32_e32 v3, 31, v2
	v_add_co_u32_e32 v2, vcc, v7, v2
	v_addc_co_u32_e32 v3, vcc, v8, v3, vcc
                                        ; implicit-def: $vgpr14
; %bb.315:
	s_andn2_saveexec_b64 s[6:7], s[6:7]
; %bb.316:
	v_add_co_u32_e32 v2, vcc, v1, v14
	v_addc_co_u32_e32 v3, vcc, 0, v4, vcc
; %bb.317:
	s_or_b64 exec, exec, s[6:7]
	v_lshlrev_b64 v[2:3], 1, v[2:3]
	v_mov_b32_e32 v11, s5
	v_add_co_u32_e32 v2, vcc, s4, v2
	v_addc_co_u32_e32 v3, vcc, v11, v3, vcc
	s_waitcnt lgkmcnt(2)
	global_store_short v[2:3], v13, off
	s_or_b64 exec, exec, s[2:3]
	v_cmp_gt_u32_e32 vcc, s33, v12
	s_and_saveexec_b64 s[2:3], vcc
	s_cbranch_execz .LBB3628_263
.LBB3628_318:
	v_cmp_ge_u32_e32 vcc, v12, v10
                                        ; implicit-def: $vgpr2_vgpr3
	s_and_saveexec_b64 s[6:7], vcc
	s_xor_b64 s[6:7], exec, s[6:7]
; %bb.319:
	v_xor_b32_e32 v2, 0xffffedff, v0
	v_ashrrev_i32_e32 v3, 31, v2
	v_add_co_u32_e32 v2, vcc, v7, v2
	v_addc_co_u32_e32 v3, vcc, v8, v3, vcc
                                        ; implicit-def: $vgpr12
; %bb.320:
	s_andn2_saveexec_b64 s[6:7], s[6:7]
; %bb.321:
	v_add_co_u32_e32 v2, vcc, v1, v12
	v_addc_co_u32_e32 v3, vcc, 0, v4, vcc
; %bb.322:
	s_or_b64 exec, exec, s[6:7]
	v_lshlrev_b64 v[2:3], 1, v[2:3]
	v_mov_b32_e32 v11, s5
	v_add_co_u32_e32 v2, vcc, s4, v2
	v_addc_co_u32_e32 v3, vcc, v11, v3, vcc
	s_waitcnt lgkmcnt(1)
	global_store_short v[2:3], v9, off
	s_or_b64 exec, exec, s[2:3]
	v_cmp_gt_u32_e32 vcc, s33, v6
                                        ; implicit-def: $vgpr2_vgpr3
	s_and_saveexec_b64 s[2:3], vcc
	s_cbranch_execz .LBB3628_328
.LBB3628_323:
	v_cmp_ge_u32_e32 vcc, v6, v10
                                        ; implicit-def: $vgpr2_vgpr3
	s_and_saveexec_b64 s[6:7], vcc
	s_xor_b64 s[6:7], exec, s[6:7]
; %bb.324:
	v_xor_b32_e32 v2, 0xffffecff, v0
	v_ashrrev_i32_e32 v3, 31, v2
	v_add_co_u32_e32 v2, vcc, v7, v2
	v_addc_co_u32_e32 v3, vcc, v8, v3, vcc
                                        ; implicit-def: $vgpr6
; %bb.325:
	s_andn2_saveexec_b64 s[6:7], s[6:7]
; %bb.326:
	v_add_co_u32_e32 v2, vcc, v1, v6
	v_addc_co_u32_e32 v3, vcc, 0, v4, vcc
; %bb.327:
	s_or_b64 exec, exec, s[6:7]
	s_or_b64 s[0:1], s[0:1], exec
.LBB3628_328:
	s_or_b64 exec, exec, s[2:3]
.LBB3628_329:
	s_and_saveexec_b64 s[2:3], s[0:1]
	s_cbranch_execz .LBB3628_331
; %bb.330:
	v_lshlrev_b64 v[2:3], 1, v[2:3]
	v_mov_b32_e32 v6, s5
	v_add_co_u32_e32 v2, vcc, s4, v2
	v_addc_co_u32_e32 v3, vcc, v6, v3, vcc
	s_waitcnt lgkmcnt(0)
	global_store_short v[2:3], v5, off
.LBB3628_331:
	s_or_b64 exec, exec, s[2:3]
	v_cmp_eq_u32_e32 vcc, 0, v0
	s_and_b64 s[0:1], vcc, s[22:23]
	s_and_saveexec_b64 s[2:3], s[0:1]
	s_cbranch_execz .LBB3628_333
; %bb.332:
	v_add_co_u32_e32 v0, vcc, v1, v10
	v_mov_b32_e32 v2, 0
	v_addc_co_u32_e32 v1, vcc, 0, v4, vcc
	global_store_dwordx2 v2, v[0:1], s[20:21]
.LBB3628_333:
	s_endpgm
	.section	.rodata,"a",@progbits
	.p2align	6, 0x0
	.amdhsa_kernel _ZN7rocprim17ROCPRIM_400000_NS6detail17trampoline_kernelINS0_14default_configENS1_25partition_config_selectorILNS1_17partition_subalgoE2EsNS0_10empty_typeEbEEZZNS1_14partition_implILS5_2ELb0ES3_jN6thrust23THRUST_200600_302600_NS6detail15normal_iteratorINSA_7pointerIsNSA_11hip_rocprim3tagENSA_11use_defaultESG_EEEEPS6_NSA_18transform_iteratorI10is_orderedNSA_12zip_iteratorINSA_5tupleINSC_INSA_10device_ptrIsEEEESQ_NSA_9null_typeESR_SR_SR_SR_SR_SR_SR_EEEESG_SG_EENS0_5tupleIJPsSJ_EEENSV_IJSJ_SJ_EEES6_PlJS6_EEE10hipError_tPvRmT3_T4_T5_T6_T7_T9_mT8_P12ihipStream_tbDpT10_ENKUlT_T0_E_clISt17integral_constantIbLb0EES1J_EEDaS1E_S1F_EUlS1E_E_NS1_11comp_targetILNS1_3genE4ELNS1_11target_archE910ELNS1_3gpuE8ELNS1_3repE0EEENS1_30default_config_static_selectorELNS0_4arch9wavefront6targetE1EEEvT1_
		.amdhsa_group_segment_fixed_size 10248
		.amdhsa_private_segment_fixed_size 0
		.amdhsa_kernarg_size 136
		.amdhsa_user_sgpr_count 6
		.amdhsa_user_sgpr_private_segment_buffer 1
		.amdhsa_user_sgpr_dispatch_ptr 0
		.amdhsa_user_sgpr_queue_ptr 0
		.amdhsa_user_sgpr_kernarg_segment_ptr 1
		.amdhsa_user_sgpr_dispatch_id 0
		.amdhsa_user_sgpr_flat_scratch_init 0
		.amdhsa_user_sgpr_kernarg_preload_length 0
		.amdhsa_user_sgpr_kernarg_preload_offset 0
		.amdhsa_user_sgpr_private_segment_size 0
		.amdhsa_uses_dynamic_stack 0
		.amdhsa_system_sgpr_private_segment_wavefront_offset 0
		.amdhsa_system_sgpr_workgroup_id_x 1
		.amdhsa_system_sgpr_workgroup_id_y 0
		.amdhsa_system_sgpr_workgroup_id_z 0
		.amdhsa_system_sgpr_workgroup_info 0
		.amdhsa_system_vgpr_workitem_id 0
		.amdhsa_next_free_vgpr 65
		.amdhsa_next_free_sgpr 46
		.amdhsa_accum_offset 68
		.amdhsa_reserve_vcc 1
		.amdhsa_reserve_flat_scratch 0
		.amdhsa_float_round_mode_32 0
		.amdhsa_float_round_mode_16_64 0
		.amdhsa_float_denorm_mode_32 3
		.amdhsa_float_denorm_mode_16_64 3
		.amdhsa_dx10_clamp 1
		.amdhsa_ieee_mode 1
		.amdhsa_fp16_overflow 0
		.amdhsa_tg_split 0
		.amdhsa_exception_fp_ieee_invalid_op 0
		.amdhsa_exception_fp_denorm_src 0
		.amdhsa_exception_fp_ieee_div_zero 0
		.amdhsa_exception_fp_ieee_overflow 0
		.amdhsa_exception_fp_ieee_underflow 0
		.amdhsa_exception_fp_ieee_inexact 0
		.amdhsa_exception_int_div_zero 0
	.end_amdhsa_kernel
	.section	.text._ZN7rocprim17ROCPRIM_400000_NS6detail17trampoline_kernelINS0_14default_configENS1_25partition_config_selectorILNS1_17partition_subalgoE2EsNS0_10empty_typeEbEEZZNS1_14partition_implILS5_2ELb0ES3_jN6thrust23THRUST_200600_302600_NS6detail15normal_iteratorINSA_7pointerIsNSA_11hip_rocprim3tagENSA_11use_defaultESG_EEEEPS6_NSA_18transform_iteratorI10is_orderedNSA_12zip_iteratorINSA_5tupleINSC_INSA_10device_ptrIsEEEESQ_NSA_9null_typeESR_SR_SR_SR_SR_SR_SR_EEEESG_SG_EENS0_5tupleIJPsSJ_EEENSV_IJSJ_SJ_EEES6_PlJS6_EEE10hipError_tPvRmT3_T4_T5_T6_T7_T9_mT8_P12ihipStream_tbDpT10_ENKUlT_T0_E_clISt17integral_constantIbLb0EES1J_EEDaS1E_S1F_EUlS1E_E_NS1_11comp_targetILNS1_3genE4ELNS1_11target_archE910ELNS1_3gpuE8ELNS1_3repE0EEENS1_30default_config_static_selectorELNS0_4arch9wavefront6targetE1EEEvT1_,"axG",@progbits,_ZN7rocprim17ROCPRIM_400000_NS6detail17trampoline_kernelINS0_14default_configENS1_25partition_config_selectorILNS1_17partition_subalgoE2EsNS0_10empty_typeEbEEZZNS1_14partition_implILS5_2ELb0ES3_jN6thrust23THRUST_200600_302600_NS6detail15normal_iteratorINSA_7pointerIsNSA_11hip_rocprim3tagENSA_11use_defaultESG_EEEEPS6_NSA_18transform_iteratorI10is_orderedNSA_12zip_iteratorINSA_5tupleINSC_INSA_10device_ptrIsEEEESQ_NSA_9null_typeESR_SR_SR_SR_SR_SR_SR_EEEESG_SG_EENS0_5tupleIJPsSJ_EEENSV_IJSJ_SJ_EEES6_PlJS6_EEE10hipError_tPvRmT3_T4_T5_T6_T7_T9_mT8_P12ihipStream_tbDpT10_ENKUlT_T0_E_clISt17integral_constantIbLb0EES1J_EEDaS1E_S1F_EUlS1E_E_NS1_11comp_targetILNS1_3genE4ELNS1_11target_archE910ELNS1_3gpuE8ELNS1_3repE0EEENS1_30default_config_static_selectorELNS0_4arch9wavefront6targetE1EEEvT1_,comdat
.Lfunc_end3628:
	.size	_ZN7rocprim17ROCPRIM_400000_NS6detail17trampoline_kernelINS0_14default_configENS1_25partition_config_selectorILNS1_17partition_subalgoE2EsNS0_10empty_typeEbEEZZNS1_14partition_implILS5_2ELb0ES3_jN6thrust23THRUST_200600_302600_NS6detail15normal_iteratorINSA_7pointerIsNSA_11hip_rocprim3tagENSA_11use_defaultESG_EEEEPS6_NSA_18transform_iteratorI10is_orderedNSA_12zip_iteratorINSA_5tupleINSC_INSA_10device_ptrIsEEEESQ_NSA_9null_typeESR_SR_SR_SR_SR_SR_SR_EEEESG_SG_EENS0_5tupleIJPsSJ_EEENSV_IJSJ_SJ_EEES6_PlJS6_EEE10hipError_tPvRmT3_T4_T5_T6_T7_T9_mT8_P12ihipStream_tbDpT10_ENKUlT_T0_E_clISt17integral_constantIbLb0EES1J_EEDaS1E_S1F_EUlS1E_E_NS1_11comp_targetILNS1_3genE4ELNS1_11target_archE910ELNS1_3gpuE8ELNS1_3repE0EEENS1_30default_config_static_selectorELNS0_4arch9wavefront6targetE1EEEvT1_, .Lfunc_end3628-_ZN7rocprim17ROCPRIM_400000_NS6detail17trampoline_kernelINS0_14default_configENS1_25partition_config_selectorILNS1_17partition_subalgoE2EsNS0_10empty_typeEbEEZZNS1_14partition_implILS5_2ELb0ES3_jN6thrust23THRUST_200600_302600_NS6detail15normal_iteratorINSA_7pointerIsNSA_11hip_rocprim3tagENSA_11use_defaultESG_EEEEPS6_NSA_18transform_iteratorI10is_orderedNSA_12zip_iteratorINSA_5tupleINSC_INSA_10device_ptrIsEEEESQ_NSA_9null_typeESR_SR_SR_SR_SR_SR_SR_EEEESG_SG_EENS0_5tupleIJPsSJ_EEENSV_IJSJ_SJ_EEES6_PlJS6_EEE10hipError_tPvRmT3_T4_T5_T6_T7_T9_mT8_P12ihipStream_tbDpT10_ENKUlT_T0_E_clISt17integral_constantIbLb0EES1J_EEDaS1E_S1F_EUlS1E_E_NS1_11comp_targetILNS1_3genE4ELNS1_11target_archE910ELNS1_3gpuE8ELNS1_3repE0EEENS1_30default_config_static_selectorELNS0_4arch9wavefront6targetE1EEEvT1_
                                        ; -- End function
	.section	.AMDGPU.csdata,"",@progbits
; Kernel info:
; codeLenInByte = 11280
; NumSgprs: 50
; NumVgprs: 65
; NumAgprs: 0
; TotalNumVgprs: 65
; ScratchSize: 0
; MemoryBound: 0
; FloatMode: 240
; IeeeMode: 1
; LDSByteSize: 10248 bytes/workgroup (compile time only)
; SGPRBlocks: 6
; VGPRBlocks: 8
; NumSGPRsForWavesPerEU: 50
; NumVGPRsForWavesPerEU: 65
; AccumOffset: 68
; Occupancy: 6
; WaveLimiterHint : 1
; COMPUTE_PGM_RSRC2:SCRATCH_EN: 0
; COMPUTE_PGM_RSRC2:USER_SGPR: 6
; COMPUTE_PGM_RSRC2:TRAP_HANDLER: 0
; COMPUTE_PGM_RSRC2:TGID_X_EN: 1
; COMPUTE_PGM_RSRC2:TGID_Y_EN: 0
; COMPUTE_PGM_RSRC2:TGID_Z_EN: 0
; COMPUTE_PGM_RSRC2:TIDIG_COMP_CNT: 0
; COMPUTE_PGM_RSRC3_GFX90A:ACCUM_OFFSET: 16
; COMPUTE_PGM_RSRC3_GFX90A:TG_SPLIT: 0
	.section	.text._ZN7rocprim17ROCPRIM_400000_NS6detail17trampoline_kernelINS0_14default_configENS1_25partition_config_selectorILNS1_17partition_subalgoE2EsNS0_10empty_typeEbEEZZNS1_14partition_implILS5_2ELb0ES3_jN6thrust23THRUST_200600_302600_NS6detail15normal_iteratorINSA_7pointerIsNSA_11hip_rocprim3tagENSA_11use_defaultESG_EEEEPS6_NSA_18transform_iteratorI10is_orderedNSA_12zip_iteratorINSA_5tupleINSC_INSA_10device_ptrIsEEEESQ_NSA_9null_typeESR_SR_SR_SR_SR_SR_SR_EEEESG_SG_EENS0_5tupleIJPsSJ_EEENSV_IJSJ_SJ_EEES6_PlJS6_EEE10hipError_tPvRmT3_T4_T5_T6_T7_T9_mT8_P12ihipStream_tbDpT10_ENKUlT_T0_E_clISt17integral_constantIbLb0EES1J_EEDaS1E_S1F_EUlS1E_E_NS1_11comp_targetILNS1_3genE3ELNS1_11target_archE908ELNS1_3gpuE7ELNS1_3repE0EEENS1_30default_config_static_selectorELNS0_4arch9wavefront6targetE1EEEvT1_,"axG",@progbits,_ZN7rocprim17ROCPRIM_400000_NS6detail17trampoline_kernelINS0_14default_configENS1_25partition_config_selectorILNS1_17partition_subalgoE2EsNS0_10empty_typeEbEEZZNS1_14partition_implILS5_2ELb0ES3_jN6thrust23THRUST_200600_302600_NS6detail15normal_iteratorINSA_7pointerIsNSA_11hip_rocprim3tagENSA_11use_defaultESG_EEEEPS6_NSA_18transform_iteratorI10is_orderedNSA_12zip_iteratorINSA_5tupleINSC_INSA_10device_ptrIsEEEESQ_NSA_9null_typeESR_SR_SR_SR_SR_SR_SR_EEEESG_SG_EENS0_5tupleIJPsSJ_EEENSV_IJSJ_SJ_EEES6_PlJS6_EEE10hipError_tPvRmT3_T4_T5_T6_T7_T9_mT8_P12ihipStream_tbDpT10_ENKUlT_T0_E_clISt17integral_constantIbLb0EES1J_EEDaS1E_S1F_EUlS1E_E_NS1_11comp_targetILNS1_3genE3ELNS1_11target_archE908ELNS1_3gpuE7ELNS1_3repE0EEENS1_30default_config_static_selectorELNS0_4arch9wavefront6targetE1EEEvT1_,comdat
	.protected	_ZN7rocprim17ROCPRIM_400000_NS6detail17trampoline_kernelINS0_14default_configENS1_25partition_config_selectorILNS1_17partition_subalgoE2EsNS0_10empty_typeEbEEZZNS1_14partition_implILS5_2ELb0ES3_jN6thrust23THRUST_200600_302600_NS6detail15normal_iteratorINSA_7pointerIsNSA_11hip_rocprim3tagENSA_11use_defaultESG_EEEEPS6_NSA_18transform_iteratorI10is_orderedNSA_12zip_iteratorINSA_5tupleINSC_INSA_10device_ptrIsEEEESQ_NSA_9null_typeESR_SR_SR_SR_SR_SR_SR_EEEESG_SG_EENS0_5tupleIJPsSJ_EEENSV_IJSJ_SJ_EEES6_PlJS6_EEE10hipError_tPvRmT3_T4_T5_T6_T7_T9_mT8_P12ihipStream_tbDpT10_ENKUlT_T0_E_clISt17integral_constantIbLb0EES1J_EEDaS1E_S1F_EUlS1E_E_NS1_11comp_targetILNS1_3genE3ELNS1_11target_archE908ELNS1_3gpuE7ELNS1_3repE0EEENS1_30default_config_static_selectorELNS0_4arch9wavefront6targetE1EEEvT1_ ; -- Begin function _ZN7rocprim17ROCPRIM_400000_NS6detail17trampoline_kernelINS0_14default_configENS1_25partition_config_selectorILNS1_17partition_subalgoE2EsNS0_10empty_typeEbEEZZNS1_14partition_implILS5_2ELb0ES3_jN6thrust23THRUST_200600_302600_NS6detail15normal_iteratorINSA_7pointerIsNSA_11hip_rocprim3tagENSA_11use_defaultESG_EEEEPS6_NSA_18transform_iteratorI10is_orderedNSA_12zip_iteratorINSA_5tupleINSC_INSA_10device_ptrIsEEEESQ_NSA_9null_typeESR_SR_SR_SR_SR_SR_SR_EEEESG_SG_EENS0_5tupleIJPsSJ_EEENSV_IJSJ_SJ_EEES6_PlJS6_EEE10hipError_tPvRmT3_T4_T5_T6_T7_T9_mT8_P12ihipStream_tbDpT10_ENKUlT_T0_E_clISt17integral_constantIbLb0EES1J_EEDaS1E_S1F_EUlS1E_E_NS1_11comp_targetILNS1_3genE3ELNS1_11target_archE908ELNS1_3gpuE7ELNS1_3repE0EEENS1_30default_config_static_selectorELNS0_4arch9wavefront6targetE1EEEvT1_
	.globl	_ZN7rocprim17ROCPRIM_400000_NS6detail17trampoline_kernelINS0_14default_configENS1_25partition_config_selectorILNS1_17partition_subalgoE2EsNS0_10empty_typeEbEEZZNS1_14partition_implILS5_2ELb0ES3_jN6thrust23THRUST_200600_302600_NS6detail15normal_iteratorINSA_7pointerIsNSA_11hip_rocprim3tagENSA_11use_defaultESG_EEEEPS6_NSA_18transform_iteratorI10is_orderedNSA_12zip_iteratorINSA_5tupleINSC_INSA_10device_ptrIsEEEESQ_NSA_9null_typeESR_SR_SR_SR_SR_SR_SR_EEEESG_SG_EENS0_5tupleIJPsSJ_EEENSV_IJSJ_SJ_EEES6_PlJS6_EEE10hipError_tPvRmT3_T4_T5_T6_T7_T9_mT8_P12ihipStream_tbDpT10_ENKUlT_T0_E_clISt17integral_constantIbLb0EES1J_EEDaS1E_S1F_EUlS1E_E_NS1_11comp_targetILNS1_3genE3ELNS1_11target_archE908ELNS1_3gpuE7ELNS1_3repE0EEENS1_30default_config_static_selectorELNS0_4arch9wavefront6targetE1EEEvT1_
	.p2align	8
	.type	_ZN7rocprim17ROCPRIM_400000_NS6detail17trampoline_kernelINS0_14default_configENS1_25partition_config_selectorILNS1_17partition_subalgoE2EsNS0_10empty_typeEbEEZZNS1_14partition_implILS5_2ELb0ES3_jN6thrust23THRUST_200600_302600_NS6detail15normal_iteratorINSA_7pointerIsNSA_11hip_rocprim3tagENSA_11use_defaultESG_EEEEPS6_NSA_18transform_iteratorI10is_orderedNSA_12zip_iteratorINSA_5tupleINSC_INSA_10device_ptrIsEEEESQ_NSA_9null_typeESR_SR_SR_SR_SR_SR_SR_EEEESG_SG_EENS0_5tupleIJPsSJ_EEENSV_IJSJ_SJ_EEES6_PlJS6_EEE10hipError_tPvRmT3_T4_T5_T6_T7_T9_mT8_P12ihipStream_tbDpT10_ENKUlT_T0_E_clISt17integral_constantIbLb0EES1J_EEDaS1E_S1F_EUlS1E_E_NS1_11comp_targetILNS1_3genE3ELNS1_11target_archE908ELNS1_3gpuE7ELNS1_3repE0EEENS1_30default_config_static_selectorELNS0_4arch9wavefront6targetE1EEEvT1_,@function
_ZN7rocprim17ROCPRIM_400000_NS6detail17trampoline_kernelINS0_14default_configENS1_25partition_config_selectorILNS1_17partition_subalgoE2EsNS0_10empty_typeEbEEZZNS1_14partition_implILS5_2ELb0ES3_jN6thrust23THRUST_200600_302600_NS6detail15normal_iteratorINSA_7pointerIsNSA_11hip_rocprim3tagENSA_11use_defaultESG_EEEEPS6_NSA_18transform_iteratorI10is_orderedNSA_12zip_iteratorINSA_5tupleINSC_INSA_10device_ptrIsEEEESQ_NSA_9null_typeESR_SR_SR_SR_SR_SR_SR_EEEESG_SG_EENS0_5tupleIJPsSJ_EEENSV_IJSJ_SJ_EEES6_PlJS6_EEE10hipError_tPvRmT3_T4_T5_T6_T7_T9_mT8_P12ihipStream_tbDpT10_ENKUlT_T0_E_clISt17integral_constantIbLb0EES1J_EEDaS1E_S1F_EUlS1E_E_NS1_11comp_targetILNS1_3genE3ELNS1_11target_archE908ELNS1_3gpuE7ELNS1_3repE0EEENS1_30default_config_static_selectorELNS0_4arch9wavefront6targetE1EEEvT1_: ; @_ZN7rocprim17ROCPRIM_400000_NS6detail17trampoline_kernelINS0_14default_configENS1_25partition_config_selectorILNS1_17partition_subalgoE2EsNS0_10empty_typeEbEEZZNS1_14partition_implILS5_2ELb0ES3_jN6thrust23THRUST_200600_302600_NS6detail15normal_iteratorINSA_7pointerIsNSA_11hip_rocprim3tagENSA_11use_defaultESG_EEEEPS6_NSA_18transform_iteratorI10is_orderedNSA_12zip_iteratorINSA_5tupleINSC_INSA_10device_ptrIsEEEESQ_NSA_9null_typeESR_SR_SR_SR_SR_SR_SR_EEEESG_SG_EENS0_5tupleIJPsSJ_EEENSV_IJSJ_SJ_EEES6_PlJS6_EEE10hipError_tPvRmT3_T4_T5_T6_T7_T9_mT8_P12ihipStream_tbDpT10_ENKUlT_T0_E_clISt17integral_constantIbLb0EES1J_EEDaS1E_S1F_EUlS1E_E_NS1_11comp_targetILNS1_3genE3ELNS1_11target_archE908ELNS1_3gpuE7ELNS1_3repE0EEENS1_30default_config_static_selectorELNS0_4arch9wavefront6targetE1EEEvT1_
; %bb.0:
	.section	.rodata,"a",@progbits
	.p2align	6, 0x0
	.amdhsa_kernel _ZN7rocprim17ROCPRIM_400000_NS6detail17trampoline_kernelINS0_14default_configENS1_25partition_config_selectorILNS1_17partition_subalgoE2EsNS0_10empty_typeEbEEZZNS1_14partition_implILS5_2ELb0ES3_jN6thrust23THRUST_200600_302600_NS6detail15normal_iteratorINSA_7pointerIsNSA_11hip_rocprim3tagENSA_11use_defaultESG_EEEEPS6_NSA_18transform_iteratorI10is_orderedNSA_12zip_iteratorINSA_5tupleINSC_INSA_10device_ptrIsEEEESQ_NSA_9null_typeESR_SR_SR_SR_SR_SR_SR_EEEESG_SG_EENS0_5tupleIJPsSJ_EEENSV_IJSJ_SJ_EEES6_PlJS6_EEE10hipError_tPvRmT3_T4_T5_T6_T7_T9_mT8_P12ihipStream_tbDpT10_ENKUlT_T0_E_clISt17integral_constantIbLb0EES1J_EEDaS1E_S1F_EUlS1E_E_NS1_11comp_targetILNS1_3genE3ELNS1_11target_archE908ELNS1_3gpuE7ELNS1_3repE0EEENS1_30default_config_static_selectorELNS0_4arch9wavefront6targetE1EEEvT1_
		.amdhsa_group_segment_fixed_size 0
		.amdhsa_private_segment_fixed_size 0
		.amdhsa_kernarg_size 136
		.amdhsa_user_sgpr_count 6
		.amdhsa_user_sgpr_private_segment_buffer 1
		.amdhsa_user_sgpr_dispatch_ptr 0
		.amdhsa_user_sgpr_queue_ptr 0
		.amdhsa_user_sgpr_kernarg_segment_ptr 1
		.amdhsa_user_sgpr_dispatch_id 0
		.amdhsa_user_sgpr_flat_scratch_init 0
		.amdhsa_user_sgpr_kernarg_preload_length 0
		.amdhsa_user_sgpr_kernarg_preload_offset 0
		.amdhsa_user_sgpr_private_segment_size 0
		.amdhsa_uses_dynamic_stack 0
		.amdhsa_system_sgpr_private_segment_wavefront_offset 0
		.amdhsa_system_sgpr_workgroup_id_x 1
		.amdhsa_system_sgpr_workgroup_id_y 0
		.amdhsa_system_sgpr_workgroup_id_z 0
		.amdhsa_system_sgpr_workgroup_info 0
		.amdhsa_system_vgpr_workitem_id 0
		.amdhsa_next_free_vgpr 1
		.amdhsa_next_free_sgpr 0
		.amdhsa_accum_offset 4
		.amdhsa_reserve_vcc 0
		.amdhsa_reserve_flat_scratch 0
		.amdhsa_float_round_mode_32 0
		.amdhsa_float_round_mode_16_64 0
		.amdhsa_float_denorm_mode_32 3
		.amdhsa_float_denorm_mode_16_64 3
		.amdhsa_dx10_clamp 1
		.amdhsa_ieee_mode 1
		.amdhsa_fp16_overflow 0
		.amdhsa_tg_split 0
		.amdhsa_exception_fp_ieee_invalid_op 0
		.amdhsa_exception_fp_denorm_src 0
		.amdhsa_exception_fp_ieee_div_zero 0
		.amdhsa_exception_fp_ieee_overflow 0
		.amdhsa_exception_fp_ieee_underflow 0
		.amdhsa_exception_fp_ieee_inexact 0
		.amdhsa_exception_int_div_zero 0
	.end_amdhsa_kernel
	.section	.text._ZN7rocprim17ROCPRIM_400000_NS6detail17trampoline_kernelINS0_14default_configENS1_25partition_config_selectorILNS1_17partition_subalgoE2EsNS0_10empty_typeEbEEZZNS1_14partition_implILS5_2ELb0ES3_jN6thrust23THRUST_200600_302600_NS6detail15normal_iteratorINSA_7pointerIsNSA_11hip_rocprim3tagENSA_11use_defaultESG_EEEEPS6_NSA_18transform_iteratorI10is_orderedNSA_12zip_iteratorINSA_5tupleINSC_INSA_10device_ptrIsEEEESQ_NSA_9null_typeESR_SR_SR_SR_SR_SR_SR_EEEESG_SG_EENS0_5tupleIJPsSJ_EEENSV_IJSJ_SJ_EEES6_PlJS6_EEE10hipError_tPvRmT3_T4_T5_T6_T7_T9_mT8_P12ihipStream_tbDpT10_ENKUlT_T0_E_clISt17integral_constantIbLb0EES1J_EEDaS1E_S1F_EUlS1E_E_NS1_11comp_targetILNS1_3genE3ELNS1_11target_archE908ELNS1_3gpuE7ELNS1_3repE0EEENS1_30default_config_static_selectorELNS0_4arch9wavefront6targetE1EEEvT1_,"axG",@progbits,_ZN7rocprim17ROCPRIM_400000_NS6detail17trampoline_kernelINS0_14default_configENS1_25partition_config_selectorILNS1_17partition_subalgoE2EsNS0_10empty_typeEbEEZZNS1_14partition_implILS5_2ELb0ES3_jN6thrust23THRUST_200600_302600_NS6detail15normal_iteratorINSA_7pointerIsNSA_11hip_rocprim3tagENSA_11use_defaultESG_EEEEPS6_NSA_18transform_iteratorI10is_orderedNSA_12zip_iteratorINSA_5tupleINSC_INSA_10device_ptrIsEEEESQ_NSA_9null_typeESR_SR_SR_SR_SR_SR_SR_EEEESG_SG_EENS0_5tupleIJPsSJ_EEENSV_IJSJ_SJ_EEES6_PlJS6_EEE10hipError_tPvRmT3_T4_T5_T6_T7_T9_mT8_P12ihipStream_tbDpT10_ENKUlT_T0_E_clISt17integral_constantIbLb0EES1J_EEDaS1E_S1F_EUlS1E_E_NS1_11comp_targetILNS1_3genE3ELNS1_11target_archE908ELNS1_3gpuE7ELNS1_3repE0EEENS1_30default_config_static_selectorELNS0_4arch9wavefront6targetE1EEEvT1_,comdat
.Lfunc_end3629:
	.size	_ZN7rocprim17ROCPRIM_400000_NS6detail17trampoline_kernelINS0_14default_configENS1_25partition_config_selectorILNS1_17partition_subalgoE2EsNS0_10empty_typeEbEEZZNS1_14partition_implILS5_2ELb0ES3_jN6thrust23THRUST_200600_302600_NS6detail15normal_iteratorINSA_7pointerIsNSA_11hip_rocprim3tagENSA_11use_defaultESG_EEEEPS6_NSA_18transform_iteratorI10is_orderedNSA_12zip_iteratorINSA_5tupleINSC_INSA_10device_ptrIsEEEESQ_NSA_9null_typeESR_SR_SR_SR_SR_SR_SR_EEEESG_SG_EENS0_5tupleIJPsSJ_EEENSV_IJSJ_SJ_EEES6_PlJS6_EEE10hipError_tPvRmT3_T4_T5_T6_T7_T9_mT8_P12ihipStream_tbDpT10_ENKUlT_T0_E_clISt17integral_constantIbLb0EES1J_EEDaS1E_S1F_EUlS1E_E_NS1_11comp_targetILNS1_3genE3ELNS1_11target_archE908ELNS1_3gpuE7ELNS1_3repE0EEENS1_30default_config_static_selectorELNS0_4arch9wavefront6targetE1EEEvT1_, .Lfunc_end3629-_ZN7rocprim17ROCPRIM_400000_NS6detail17trampoline_kernelINS0_14default_configENS1_25partition_config_selectorILNS1_17partition_subalgoE2EsNS0_10empty_typeEbEEZZNS1_14partition_implILS5_2ELb0ES3_jN6thrust23THRUST_200600_302600_NS6detail15normal_iteratorINSA_7pointerIsNSA_11hip_rocprim3tagENSA_11use_defaultESG_EEEEPS6_NSA_18transform_iteratorI10is_orderedNSA_12zip_iteratorINSA_5tupleINSC_INSA_10device_ptrIsEEEESQ_NSA_9null_typeESR_SR_SR_SR_SR_SR_SR_EEEESG_SG_EENS0_5tupleIJPsSJ_EEENSV_IJSJ_SJ_EEES6_PlJS6_EEE10hipError_tPvRmT3_T4_T5_T6_T7_T9_mT8_P12ihipStream_tbDpT10_ENKUlT_T0_E_clISt17integral_constantIbLb0EES1J_EEDaS1E_S1F_EUlS1E_E_NS1_11comp_targetILNS1_3genE3ELNS1_11target_archE908ELNS1_3gpuE7ELNS1_3repE0EEENS1_30default_config_static_selectorELNS0_4arch9wavefront6targetE1EEEvT1_
                                        ; -- End function
	.section	.AMDGPU.csdata,"",@progbits
; Kernel info:
; codeLenInByte = 0
; NumSgprs: 4
; NumVgprs: 0
; NumAgprs: 0
; TotalNumVgprs: 0
; ScratchSize: 0
; MemoryBound: 0
; FloatMode: 240
; IeeeMode: 1
; LDSByteSize: 0 bytes/workgroup (compile time only)
; SGPRBlocks: 0
; VGPRBlocks: 0
; NumSGPRsForWavesPerEU: 4
; NumVGPRsForWavesPerEU: 1
; AccumOffset: 4
; Occupancy: 8
; WaveLimiterHint : 0
; COMPUTE_PGM_RSRC2:SCRATCH_EN: 0
; COMPUTE_PGM_RSRC2:USER_SGPR: 6
; COMPUTE_PGM_RSRC2:TRAP_HANDLER: 0
; COMPUTE_PGM_RSRC2:TGID_X_EN: 1
; COMPUTE_PGM_RSRC2:TGID_Y_EN: 0
; COMPUTE_PGM_RSRC2:TGID_Z_EN: 0
; COMPUTE_PGM_RSRC2:TIDIG_COMP_CNT: 0
; COMPUTE_PGM_RSRC3_GFX90A:ACCUM_OFFSET: 0
; COMPUTE_PGM_RSRC3_GFX90A:TG_SPLIT: 0
	.section	.text._ZN7rocprim17ROCPRIM_400000_NS6detail17trampoline_kernelINS0_14default_configENS1_25partition_config_selectorILNS1_17partition_subalgoE2EsNS0_10empty_typeEbEEZZNS1_14partition_implILS5_2ELb0ES3_jN6thrust23THRUST_200600_302600_NS6detail15normal_iteratorINSA_7pointerIsNSA_11hip_rocprim3tagENSA_11use_defaultESG_EEEEPS6_NSA_18transform_iteratorI10is_orderedNSA_12zip_iteratorINSA_5tupleINSC_INSA_10device_ptrIsEEEESQ_NSA_9null_typeESR_SR_SR_SR_SR_SR_SR_EEEESG_SG_EENS0_5tupleIJPsSJ_EEENSV_IJSJ_SJ_EEES6_PlJS6_EEE10hipError_tPvRmT3_T4_T5_T6_T7_T9_mT8_P12ihipStream_tbDpT10_ENKUlT_T0_E_clISt17integral_constantIbLb0EES1J_EEDaS1E_S1F_EUlS1E_E_NS1_11comp_targetILNS1_3genE2ELNS1_11target_archE906ELNS1_3gpuE6ELNS1_3repE0EEENS1_30default_config_static_selectorELNS0_4arch9wavefront6targetE1EEEvT1_,"axG",@progbits,_ZN7rocprim17ROCPRIM_400000_NS6detail17trampoline_kernelINS0_14default_configENS1_25partition_config_selectorILNS1_17partition_subalgoE2EsNS0_10empty_typeEbEEZZNS1_14partition_implILS5_2ELb0ES3_jN6thrust23THRUST_200600_302600_NS6detail15normal_iteratorINSA_7pointerIsNSA_11hip_rocprim3tagENSA_11use_defaultESG_EEEEPS6_NSA_18transform_iteratorI10is_orderedNSA_12zip_iteratorINSA_5tupleINSC_INSA_10device_ptrIsEEEESQ_NSA_9null_typeESR_SR_SR_SR_SR_SR_SR_EEEESG_SG_EENS0_5tupleIJPsSJ_EEENSV_IJSJ_SJ_EEES6_PlJS6_EEE10hipError_tPvRmT3_T4_T5_T6_T7_T9_mT8_P12ihipStream_tbDpT10_ENKUlT_T0_E_clISt17integral_constantIbLb0EES1J_EEDaS1E_S1F_EUlS1E_E_NS1_11comp_targetILNS1_3genE2ELNS1_11target_archE906ELNS1_3gpuE6ELNS1_3repE0EEENS1_30default_config_static_selectorELNS0_4arch9wavefront6targetE1EEEvT1_,comdat
	.protected	_ZN7rocprim17ROCPRIM_400000_NS6detail17trampoline_kernelINS0_14default_configENS1_25partition_config_selectorILNS1_17partition_subalgoE2EsNS0_10empty_typeEbEEZZNS1_14partition_implILS5_2ELb0ES3_jN6thrust23THRUST_200600_302600_NS6detail15normal_iteratorINSA_7pointerIsNSA_11hip_rocprim3tagENSA_11use_defaultESG_EEEEPS6_NSA_18transform_iteratorI10is_orderedNSA_12zip_iteratorINSA_5tupleINSC_INSA_10device_ptrIsEEEESQ_NSA_9null_typeESR_SR_SR_SR_SR_SR_SR_EEEESG_SG_EENS0_5tupleIJPsSJ_EEENSV_IJSJ_SJ_EEES6_PlJS6_EEE10hipError_tPvRmT3_T4_T5_T6_T7_T9_mT8_P12ihipStream_tbDpT10_ENKUlT_T0_E_clISt17integral_constantIbLb0EES1J_EEDaS1E_S1F_EUlS1E_E_NS1_11comp_targetILNS1_3genE2ELNS1_11target_archE906ELNS1_3gpuE6ELNS1_3repE0EEENS1_30default_config_static_selectorELNS0_4arch9wavefront6targetE1EEEvT1_ ; -- Begin function _ZN7rocprim17ROCPRIM_400000_NS6detail17trampoline_kernelINS0_14default_configENS1_25partition_config_selectorILNS1_17partition_subalgoE2EsNS0_10empty_typeEbEEZZNS1_14partition_implILS5_2ELb0ES3_jN6thrust23THRUST_200600_302600_NS6detail15normal_iteratorINSA_7pointerIsNSA_11hip_rocprim3tagENSA_11use_defaultESG_EEEEPS6_NSA_18transform_iteratorI10is_orderedNSA_12zip_iteratorINSA_5tupleINSC_INSA_10device_ptrIsEEEESQ_NSA_9null_typeESR_SR_SR_SR_SR_SR_SR_EEEESG_SG_EENS0_5tupleIJPsSJ_EEENSV_IJSJ_SJ_EEES6_PlJS6_EEE10hipError_tPvRmT3_T4_T5_T6_T7_T9_mT8_P12ihipStream_tbDpT10_ENKUlT_T0_E_clISt17integral_constantIbLb0EES1J_EEDaS1E_S1F_EUlS1E_E_NS1_11comp_targetILNS1_3genE2ELNS1_11target_archE906ELNS1_3gpuE6ELNS1_3repE0EEENS1_30default_config_static_selectorELNS0_4arch9wavefront6targetE1EEEvT1_
	.globl	_ZN7rocprim17ROCPRIM_400000_NS6detail17trampoline_kernelINS0_14default_configENS1_25partition_config_selectorILNS1_17partition_subalgoE2EsNS0_10empty_typeEbEEZZNS1_14partition_implILS5_2ELb0ES3_jN6thrust23THRUST_200600_302600_NS6detail15normal_iteratorINSA_7pointerIsNSA_11hip_rocprim3tagENSA_11use_defaultESG_EEEEPS6_NSA_18transform_iteratorI10is_orderedNSA_12zip_iteratorINSA_5tupleINSC_INSA_10device_ptrIsEEEESQ_NSA_9null_typeESR_SR_SR_SR_SR_SR_SR_EEEESG_SG_EENS0_5tupleIJPsSJ_EEENSV_IJSJ_SJ_EEES6_PlJS6_EEE10hipError_tPvRmT3_T4_T5_T6_T7_T9_mT8_P12ihipStream_tbDpT10_ENKUlT_T0_E_clISt17integral_constantIbLb0EES1J_EEDaS1E_S1F_EUlS1E_E_NS1_11comp_targetILNS1_3genE2ELNS1_11target_archE906ELNS1_3gpuE6ELNS1_3repE0EEENS1_30default_config_static_selectorELNS0_4arch9wavefront6targetE1EEEvT1_
	.p2align	8
	.type	_ZN7rocprim17ROCPRIM_400000_NS6detail17trampoline_kernelINS0_14default_configENS1_25partition_config_selectorILNS1_17partition_subalgoE2EsNS0_10empty_typeEbEEZZNS1_14partition_implILS5_2ELb0ES3_jN6thrust23THRUST_200600_302600_NS6detail15normal_iteratorINSA_7pointerIsNSA_11hip_rocprim3tagENSA_11use_defaultESG_EEEEPS6_NSA_18transform_iteratorI10is_orderedNSA_12zip_iteratorINSA_5tupleINSC_INSA_10device_ptrIsEEEESQ_NSA_9null_typeESR_SR_SR_SR_SR_SR_SR_EEEESG_SG_EENS0_5tupleIJPsSJ_EEENSV_IJSJ_SJ_EEES6_PlJS6_EEE10hipError_tPvRmT3_T4_T5_T6_T7_T9_mT8_P12ihipStream_tbDpT10_ENKUlT_T0_E_clISt17integral_constantIbLb0EES1J_EEDaS1E_S1F_EUlS1E_E_NS1_11comp_targetILNS1_3genE2ELNS1_11target_archE906ELNS1_3gpuE6ELNS1_3repE0EEENS1_30default_config_static_selectorELNS0_4arch9wavefront6targetE1EEEvT1_,@function
_ZN7rocprim17ROCPRIM_400000_NS6detail17trampoline_kernelINS0_14default_configENS1_25partition_config_selectorILNS1_17partition_subalgoE2EsNS0_10empty_typeEbEEZZNS1_14partition_implILS5_2ELb0ES3_jN6thrust23THRUST_200600_302600_NS6detail15normal_iteratorINSA_7pointerIsNSA_11hip_rocprim3tagENSA_11use_defaultESG_EEEEPS6_NSA_18transform_iteratorI10is_orderedNSA_12zip_iteratorINSA_5tupleINSC_INSA_10device_ptrIsEEEESQ_NSA_9null_typeESR_SR_SR_SR_SR_SR_SR_EEEESG_SG_EENS0_5tupleIJPsSJ_EEENSV_IJSJ_SJ_EEES6_PlJS6_EEE10hipError_tPvRmT3_T4_T5_T6_T7_T9_mT8_P12ihipStream_tbDpT10_ENKUlT_T0_E_clISt17integral_constantIbLb0EES1J_EEDaS1E_S1F_EUlS1E_E_NS1_11comp_targetILNS1_3genE2ELNS1_11target_archE906ELNS1_3gpuE6ELNS1_3repE0EEENS1_30default_config_static_selectorELNS0_4arch9wavefront6targetE1EEEvT1_: ; @_ZN7rocprim17ROCPRIM_400000_NS6detail17trampoline_kernelINS0_14default_configENS1_25partition_config_selectorILNS1_17partition_subalgoE2EsNS0_10empty_typeEbEEZZNS1_14partition_implILS5_2ELb0ES3_jN6thrust23THRUST_200600_302600_NS6detail15normal_iteratorINSA_7pointerIsNSA_11hip_rocprim3tagENSA_11use_defaultESG_EEEEPS6_NSA_18transform_iteratorI10is_orderedNSA_12zip_iteratorINSA_5tupleINSC_INSA_10device_ptrIsEEEESQ_NSA_9null_typeESR_SR_SR_SR_SR_SR_SR_EEEESG_SG_EENS0_5tupleIJPsSJ_EEENSV_IJSJ_SJ_EEES6_PlJS6_EEE10hipError_tPvRmT3_T4_T5_T6_T7_T9_mT8_P12ihipStream_tbDpT10_ENKUlT_T0_E_clISt17integral_constantIbLb0EES1J_EEDaS1E_S1F_EUlS1E_E_NS1_11comp_targetILNS1_3genE2ELNS1_11target_archE906ELNS1_3gpuE6ELNS1_3repE0EEENS1_30default_config_static_selectorELNS0_4arch9wavefront6targetE1EEEvT1_
; %bb.0:
	.section	.rodata,"a",@progbits
	.p2align	6, 0x0
	.amdhsa_kernel _ZN7rocprim17ROCPRIM_400000_NS6detail17trampoline_kernelINS0_14default_configENS1_25partition_config_selectorILNS1_17partition_subalgoE2EsNS0_10empty_typeEbEEZZNS1_14partition_implILS5_2ELb0ES3_jN6thrust23THRUST_200600_302600_NS6detail15normal_iteratorINSA_7pointerIsNSA_11hip_rocprim3tagENSA_11use_defaultESG_EEEEPS6_NSA_18transform_iteratorI10is_orderedNSA_12zip_iteratorINSA_5tupleINSC_INSA_10device_ptrIsEEEESQ_NSA_9null_typeESR_SR_SR_SR_SR_SR_SR_EEEESG_SG_EENS0_5tupleIJPsSJ_EEENSV_IJSJ_SJ_EEES6_PlJS6_EEE10hipError_tPvRmT3_T4_T5_T6_T7_T9_mT8_P12ihipStream_tbDpT10_ENKUlT_T0_E_clISt17integral_constantIbLb0EES1J_EEDaS1E_S1F_EUlS1E_E_NS1_11comp_targetILNS1_3genE2ELNS1_11target_archE906ELNS1_3gpuE6ELNS1_3repE0EEENS1_30default_config_static_selectorELNS0_4arch9wavefront6targetE1EEEvT1_
		.amdhsa_group_segment_fixed_size 0
		.amdhsa_private_segment_fixed_size 0
		.amdhsa_kernarg_size 136
		.amdhsa_user_sgpr_count 6
		.amdhsa_user_sgpr_private_segment_buffer 1
		.amdhsa_user_sgpr_dispatch_ptr 0
		.amdhsa_user_sgpr_queue_ptr 0
		.amdhsa_user_sgpr_kernarg_segment_ptr 1
		.amdhsa_user_sgpr_dispatch_id 0
		.amdhsa_user_sgpr_flat_scratch_init 0
		.amdhsa_user_sgpr_kernarg_preload_length 0
		.amdhsa_user_sgpr_kernarg_preload_offset 0
		.amdhsa_user_sgpr_private_segment_size 0
		.amdhsa_uses_dynamic_stack 0
		.amdhsa_system_sgpr_private_segment_wavefront_offset 0
		.amdhsa_system_sgpr_workgroup_id_x 1
		.amdhsa_system_sgpr_workgroup_id_y 0
		.amdhsa_system_sgpr_workgroup_id_z 0
		.amdhsa_system_sgpr_workgroup_info 0
		.amdhsa_system_vgpr_workitem_id 0
		.amdhsa_next_free_vgpr 1
		.amdhsa_next_free_sgpr 0
		.amdhsa_accum_offset 4
		.amdhsa_reserve_vcc 0
		.amdhsa_reserve_flat_scratch 0
		.amdhsa_float_round_mode_32 0
		.amdhsa_float_round_mode_16_64 0
		.amdhsa_float_denorm_mode_32 3
		.amdhsa_float_denorm_mode_16_64 3
		.amdhsa_dx10_clamp 1
		.amdhsa_ieee_mode 1
		.amdhsa_fp16_overflow 0
		.amdhsa_tg_split 0
		.amdhsa_exception_fp_ieee_invalid_op 0
		.amdhsa_exception_fp_denorm_src 0
		.amdhsa_exception_fp_ieee_div_zero 0
		.amdhsa_exception_fp_ieee_overflow 0
		.amdhsa_exception_fp_ieee_underflow 0
		.amdhsa_exception_fp_ieee_inexact 0
		.amdhsa_exception_int_div_zero 0
	.end_amdhsa_kernel
	.section	.text._ZN7rocprim17ROCPRIM_400000_NS6detail17trampoline_kernelINS0_14default_configENS1_25partition_config_selectorILNS1_17partition_subalgoE2EsNS0_10empty_typeEbEEZZNS1_14partition_implILS5_2ELb0ES3_jN6thrust23THRUST_200600_302600_NS6detail15normal_iteratorINSA_7pointerIsNSA_11hip_rocprim3tagENSA_11use_defaultESG_EEEEPS6_NSA_18transform_iteratorI10is_orderedNSA_12zip_iteratorINSA_5tupleINSC_INSA_10device_ptrIsEEEESQ_NSA_9null_typeESR_SR_SR_SR_SR_SR_SR_EEEESG_SG_EENS0_5tupleIJPsSJ_EEENSV_IJSJ_SJ_EEES6_PlJS6_EEE10hipError_tPvRmT3_T4_T5_T6_T7_T9_mT8_P12ihipStream_tbDpT10_ENKUlT_T0_E_clISt17integral_constantIbLb0EES1J_EEDaS1E_S1F_EUlS1E_E_NS1_11comp_targetILNS1_3genE2ELNS1_11target_archE906ELNS1_3gpuE6ELNS1_3repE0EEENS1_30default_config_static_selectorELNS0_4arch9wavefront6targetE1EEEvT1_,"axG",@progbits,_ZN7rocprim17ROCPRIM_400000_NS6detail17trampoline_kernelINS0_14default_configENS1_25partition_config_selectorILNS1_17partition_subalgoE2EsNS0_10empty_typeEbEEZZNS1_14partition_implILS5_2ELb0ES3_jN6thrust23THRUST_200600_302600_NS6detail15normal_iteratorINSA_7pointerIsNSA_11hip_rocprim3tagENSA_11use_defaultESG_EEEEPS6_NSA_18transform_iteratorI10is_orderedNSA_12zip_iteratorINSA_5tupleINSC_INSA_10device_ptrIsEEEESQ_NSA_9null_typeESR_SR_SR_SR_SR_SR_SR_EEEESG_SG_EENS0_5tupleIJPsSJ_EEENSV_IJSJ_SJ_EEES6_PlJS6_EEE10hipError_tPvRmT3_T4_T5_T6_T7_T9_mT8_P12ihipStream_tbDpT10_ENKUlT_T0_E_clISt17integral_constantIbLb0EES1J_EEDaS1E_S1F_EUlS1E_E_NS1_11comp_targetILNS1_3genE2ELNS1_11target_archE906ELNS1_3gpuE6ELNS1_3repE0EEENS1_30default_config_static_selectorELNS0_4arch9wavefront6targetE1EEEvT1_,comdat
.Lfunc_end3630:
	.size	_ZN7rocprim17ROCPRIM_400000_NS6detail17trampoline_kernelINS0_14default_configENS1_25partition_config_selectorILNS1_17partition_subalgoE2EsNS0_10empty_typeEbEEZZNS1_14partition_implILS5_2ELb0ES3_jN6thrust23THRUST_200600_302600_NS6detail15normal_iteratorINSA_7pointerIsNSA_11hip_rocprim3tagENSA_11use_defaultESG_EEEEPS6_NSA_18transform_iteratorI10is_orderedNSA_12zip_iteratorINSA_5tupleINSC_INSA_10device_ptrIsEEEESQ_NSA_9null_typeESR_SR_SR_SR_SR_SR_SR_EEEESG_SG_EENS0_5tupleIJPsSJ_EEENSV_IJSJ_SJ_EEES6_PlJS6_EEE10hipError_tPvRmT3_T4_T5_T6_T7_T9_mT8_P12ihipStream_tbDpT10_ENKUlT_T0_E_clISt17integral_constantIbLb0EES1J_EEDaS1E_S1F_EUlS1E_E_NS1_11comp_targetILNS1_3genE2ELNS1_11target_archE906ELNS1_3gpuE6ELNS1_3repE0EEENS1_30default_config_static_selectorELNS0_4arch9wavefront6targetE1EEEvT1_, .Lfunc_end3630-_ZN7rocprim17ROCPRIM_400000_NS6detail17trampoline_kernelINS0_14default_configENS1_25partition_config_selectorILNS1_17partition_subalgoE2EsNS0_10empty_typeEbEEZZNS1_14partition_implILS5_2ELb0ES3_jN6thrust23THRUST_200600_302600_NS6detail15normal_iteratorINSA_7pointerIsNSA_11hip_rocprim3tagENSA_11use_defaultESG_EEEEPS6_NSA_18transform_iteratorI10is_orderedNSA_12zip_iteratorINSA_5tupleINSC_INSA_10device_ptrIsEEEESQ_NSA_9null_typeESR_SR_SR_SR_SR_SR_SR_EEEESG_SG_EENS0_5tupleIJPsSJ_EEENSV_IJSJ_SJ_EEES6_PlJS6_EEE10hipError_tPvRmT3_T4_T5_T6_T7_T9_mT8_P12ihipStream_tbDpT10_ENKUlT_T0_E_clISt17integral_constantIbLb0EES1J_EEDaS1E_S1F_EUlS1E_E_NS1_11comp_targetILNS1_3genE2ELNS1_11target_archE906ELNS1_3gpuE6ELNS1_3repE0EEENS1_30default_config_static_selectorELNS0_4arch9wavefront6targetE1EEEvT1_
                                        ; -- End function
	.section	.AMDGPU.csdata,"",@progbits
; Kernel info:
; codeLenInByte = 0
; NumSgprs: 4
; NumVgprs: 0
; NumAgprs: 0
; TotalNumVgprs: 0
; ScratchSize: 0
; MemoryBound: 0
; FloatMode: 240
; IeeeMode: 1
; LDSByteSize: 0 bytes/workgroup (compile time only)
; SGPRBlocks: 0
; VGPRBlocks: 0
; NumSGPRsForWavesPerEU: 4
; NumVGPRsForWavesPerEU: 1
; AccumOffset: 4
; Occupancy: 8
; WaveLimiterHint : 0
; COMPUTE_PGM_RSRC2:SCRATCH_EN: 0
; COMPUTE_PGM_RSRC2:USER_SGPR: 6
; COMPUTE_PGM_RSRC2:TRAP_HANDLER: 0
; COMPUTE_PGM_RSRC2:TGID_X_EN: 1
; COMPUTE_PGM_RSRC2:TGID_Y_EN: 0
; COMPUTE_PGM_RSRC2:TGID_Z_EN: 0
; COMPUTE_PGM_RSRC2:TIDIG_COMP_CNT: 0
; COMPUTE_PGM_RSRC3_GFX90A:ACCUM_OFFSET: 0
; COMPUTE_PGM_RSRC3_GFX90A:TG_SPLIT: 0
	.section	.text._ZN7rocprim17ROCPRIM_400000_NS6detail17trampoline_kernelINS0_14default_configENS1_25partition_config_selectorILNS1_17partition_subalgoE2EsNS0_10empty_typeEbEEZZNS1_14partition_implILS5_2ELb0ES3_jN6thrust23THRUST_200600_302600_NS6detail15normal_iteratorINSA_7pointerIsNSA_11hip_rocprim3tagENSA_11use_defaultESG_EEEEPS6_NSA_18transform_iteratorI10is_orderedNSA_12zip_iteratorINSA_5tupleINSC_INSA_10device_ptrIsEEEESQ_NSA_9null_typeESR_SR_SR_SR_SR_SR_SR_EEEESG_SG_EENS0_5tupleIJPsSJ_EEENSV_IJSJ_SJ_EEES6_PlJS6_EEE10hipError_tPvRmT3_T4_T5_T6_T7_T9_mT8_P12ihipStream_tbDpT10_ENKUlT_T0_E_clISt17integral_constantIbLb0EES1J_EEDaS1E_S1F_EUlS1E_E_NS1_11comp_targetILNS1_3genE10ELNS1_11target_archE1200ELNS1_3gpuE4ELNS1_3repE0EEENS1_30default_config_static_selectorELNS0_4arch9wavefront6targetE1EEEvT1_,"axG",@progbits,_ZN7rocprim17ROCPRIM_400000_NS6detail17trampoline_kernelINS0_14default_configENS1_25partition_config_selectorILNS1_17partition_subalgoE2EsNS0_10empty_typeEbEEZZNS1_14partition_implILS5_2ELb0ES3_jN6thrust23THRUST_200600_302600_NS6detail15normal_iteratorINSA_7pointerIsNSA_11hip_rocprim3tagENSA_11use_defaultESG_EEEEPS6_NSA_18transform_iteratorI10is_orderedNSA_12zip_iteratorINSA_5tupleINSC_INSA_10device_ptrIsEEEESQ_NSA_9null_typeESR_SR_SR_SR_SR_SR_SR_EEEESG_SG_EENS0_5tupleIJPsSJ_EEENSV_IJSJ_SJ_EEES6_PlJS6_EEE10hipError_tPvRmT3_T4_T5_T6_T7_T9_mT8_P12ihipStream_tbDpT10_ENKUlT_T0_E_clISt17integral_constantIbLb0EES1J_EEDaS1E_S1F_EUlS1E_E_NS1_11comp_targetILNS1_3genE10ELNS1_11target_archE1200ELNS1_3gpuE4ELNS1_3repE0EEENS1_30default_config_static_selectorELNS0_4arch9wavefront6targetE1EEEvT1_,comdat
	.protected	_ZN7rocprim17ROCPRIM_400000_NS6detail17trampoline_kernelINS0_14default_configENS1_25partition_config_selectorILNS1_17partition_subalgoE2EsNS0_10empty_typeEbEEZZNS1_14partition_implILS5_2ELb0ES3_jN6thrust23THRUST_200600_302600_NS6detail15normal_iteratorINSA_7pointerIsNSA_11hip_rocprim3tagENSA_11use_defaultESG_EEEEPS6_NSA_18transform_iteratorI10is_orderedNSA_12zip_iteratorINSA_5tupleINSC_INSA_10device_ptrIsEEEESQ_NSA_9null_typeESR_SR_SR_SR_SR_SR_SR_EEEESG_SG_EENS0_5tupleIJPsSJ_EEENSV_IJSJ_SJ_EEES6_PlJS6_EEE10hipError_tPvRmT3_T4_T5_T6_T7_T9_mT8_P12ihipStream_tbDpT10_ENKUlT_T0_E_clISt17integral_constantIbLb0EES1J_EEDaS1E_S1F_EUlS1E_E_NS1_11comp_targetILNS1_3genE10ELNS1_11target_archE1200ELNS1_3gpuE4ELNS1_3repE0EEENS1_30default_config_static_selectorELNS0_4arch9wavefront6targetE1EEEvT1_ ; -- Begin function _ZN7rocprim17ROCPRIM_400000_NS6detail17trampoline_kernelINS0_14default_configENS1_25partition_config_selectorILNS1_17partition_subalgoE2EsNS0_10empty_typeEbEEZZNS1_14partition_implILS5_2ELb0ES3_jN6thrust23THRUST_200600_302600_NS6detail15normal_iteratorINSA_7pointerIsNSA_11hip_rocprim3tagENSA_11use_defaultESG_EEEEPS6_NSA_18transform_iteratorI10is_orderedNSA_12zip_iteratorINSA_5tupleINSC_INSA_10device_ptrIsEEEESQ_NSA_9null_typeESR_SR_SR_SR_SR_SR_SR_EEEESG_SG_EENS0_5tupleIJPsSJ_EEENSV_IJSJ_SJ_EEES6_PlJS6_EEE10hipError_tPvRmT3_T4_T5_T6_T7_T9_mT8_P12ihipStream_tbDpT10_ENKUlT_T0_E_clISt17integral_constantIbLb0EES1J_EEDaS1E_S1F_EUlS1E_E_NS1_11comp_targetILNS1_3genE10ELNS1_11target_archE1200ELNS1_3gpuE4ELNS1_3repE0EEENS1_30default_config_static_selectorELNS0_4arch9wavefront6targetE1EEEvT1_
	.globl	_ZN7rocprim17ROCPRIM_400000_NS6detail17trampoline_kernelINS0_14default_configENS1_25partition_config_selectorILNS1_17partition_subalgoE2EsNS0_10empty_typeEbEEZZNS1_14partition_implILS5_2ELb0ES3_jN6thrust23THRUST_200600_302600_NS6detail15normal_iteratorINSA_7pointerIsNSA_11hip_rocprim3tagENSA_11use_defaultESG_EEEEPS6_NSA_18transform_iteratorI10is_orderedNSA_12zip_iteratorINSA_5tupleINSC_INSA_10device_ptrIsEEEESQ_NSA_9null_typeESR_SR_SR_SR_SR_SR_SR_EEEESG_SG_EENS0_5tupleIJPsSJ_EEENSV_IJSJ_SJ_EEES6_PlJS6_EEE10hipError_tPvRmT3_T4_T5_T6_T7_T9_mT8_P12ihipStream_tbDpT10_ENKUlT_T0_E_clISt17integral_constantIbLb0EES1J_EEDaS1E_S1F_EUlS1E_E_NS1_11comp_targetILNS1_3genE10ELNS1_11target_archE1200ELNS1_3gpuE4ELNS1_3repE0EEENS1_30default_config_static_selectorELNS0_4arch9wavefront6targetE1EEEvT1_
	.p2align	8
	.type	_ZN7rocprim17ROCPRIM_400000_NS6detail17trampoline_kernelINS0_14default_configENS1_25partition_config_selectorILNS1_17partition_subalgoE2EsNS0_10empty_typeEbEEZZNS1_14partition_implILS5_2ELb0ES3_jN6thrust23THRUST_200600_302600_NS6detail15normal_iteratorINSA_7pointerIsNSA_11hip_rocprim3tagENSA_11use_defaultESG_EEEEPS6_NSA_18transform_iteratorI10is_orderedNSA_12zip_iteratorINSA_5tupleINSC_INSA_10device_ptrIsEEEESQ_NSA_9null_typeESR_SR_SR_SR_SR_SR_SR_EEEESG_SG_EENS0_5tupleIJPsSJ_EEENSV_IJSJ_SJ_EEES6_PlJS6_EEE10hipError_tPvRmT3_T4_T5_T6_T7_T9_mT8_P12ihipStream_tbDpT10_ENKUlT_T0_E_clISt17integral_constantIbLb0EES1J_EEDaS1E_S1F_EUlS1E_E_NS1_11comp_targetILNS1_3genE10ELNS1_11target_archE1200ELNS1_3gpuE4ELNS1_3repE0EEENS1_30default_config_static_selectorELNS0_4arch9wavefront6targetE1EEEvT1_,@function
_ZN7rocprim17ROCPRIM_400000_NS6detail17trampoline_kernelINS0_14default_configENS1_25partition_config_selectorILNS1_17partition_subalgoE2EsNS0_10empty_typeEbEEZZNS1_14partition_implILS5_2ELb0ES3_jN6thrust23THRUST_200600_302600_NS6detail15normal_iteratorINSA_7pointerIsNSA_11hip_rocprim3tagENSA_11use_defaultESG_EEEEPS6_NSA_18transform_iteratorI10is_orderedNSA_12zip_iteratorINSA_5tupleINSC_INSA_10device_ptrIsEEEESQ_NSA_9null_typeESR_SR_SR_SR_SR_SR_SR_EEEESG_SG_EENS0_5tupleIJPsSJ_EEENSV_IJSJ_SJ_EEES6_PlJS6_EEE10hipError_tPvRmT3_T4_T5_T6_T7_T9_mT8_P12ihipStream_tbDpT10_ENKUlT_T0_E_clISt17integral_constantIbLb0EES1J_EEDaS1E_S1F_EUlS1E_E_NS1_11comp_targetILNS1_3genE10ELNS1_11target_archE1200ELNS1_3gpuE4ELNS1_3repE0EEENS1_30default_config_static_selectorELNS0_4arch9wavefront6targetE1EEEvT1_: ; @_ZN7rocprim17ROCPRIM_400000_NS6detail17trampoline_kernelINS0_14default_configENS1_25partition_config_selectorILNS1_17partition_subalgoE2EsNS0_10empty_typeEbEEZZNS1_14partition_implILS5_2ELb0ES3_jN6thrust23THRUST_200600_302600_NS6detail15normal_iteratorINSA_7pointerIsNSA_11hip_rocprim3tagENSA_11use_defaultESG_EEEEPS6_NSA_18transform_iteratorI10is_orderedNSA_12zip_iteratorINSA_5tupleINSC_INSA_10device_ptrIsEEEESQ_NSA_9null_typeESR_SR_SR_SR_SR_SR_SR_EEEESG_SG_EENS0_5tupleIJPsSJ_EEENSV_IJSJ_SJ_EEES6_PlJS6_EEE10hipError_tPvRmT3_T4_T5_T6_T7_T9_mT8_P12ihipStream_tbDpT10_ENKUlT_T0_E_clISt17integral_constantIbLb0EES1J_EEDaS1E_S1F_EUlS1E_E_NS1_11comp_targetILNS1_3genE10ELNS1_11target_archE1200ELNS1_3gpuE4ELNS1_3repE0EEENS1_30default_config_static_selectorELNS0_4arch9wavefront6targetE1EEEvT1_
; %bb.0:
	.section	.rodata,"a",@progbits
	.p2align	6, 0x0
	.amdhsa_kernel _ZN7rocprim17ROCPRIM_400000_NS6detail17trampoline_kernelINS0_14default_configENS1_25partition_config_selectorILNS1_17partition_subalgoE2EsNS0_10empty_typeEbEEZZNS1_14partition_implILS5_2ELb0ES3_jN6thrust23THRUST_200600_302600_NS6detail15normal_iteratorINSA_7pointerIsNSA_11hip_rocprim3tagENSA_11use_defaultESG_EEEEPS6_NSA_18transform_iteratorI10is_orderedNSA_12zip_iteratorINSA_5tupleINSC_INSA_10device_ptrIsEEEESQ_NSA_9null_typeESR_SR_SR_SR_SR_SR_SR_EEEESG_SG_EENS0_5tupleIJPsSJ_EEENSV_IJSJ_SJ_EEES6_PlJS6_EEE10hipError_tPvRmT3_T4_T5_T6_T7_T9_mT8_P12ihipStream_tbDpT10_ENKUlT_T0_E_clISt17integral_constantIbLb0EES1J_EEDaS1E_S1F_EUlS1E_E_NS1_11comp_targetILNS1_3genE10ELNS1_11target_archE1200ELNS1_3gpuE4ELNS1_3repE0EEENS1_30default_config_static_selectorELNS0_4arch9wavefront6targetE1EEEvT1_
		.amdhsa_group_segment_fixed_size 0
		.amdhsa_private_segment_fixed_size 0
		.amdhsa_kernarg_size 136
		.amdhsa_user_sgpr_count 6
		.amdhsa_user_sgpr_private_segment_buffer 1
		.amdhsa_user_sgpr_dispatch_ptr 0
		.amdhsa_user_sgpr_queue_ptr 0
		.amdhsa_user_sgpr_kernarg_segment_ptr 1
		.amdhsa_user_sgpr_dispatch_id 0
		.amdhsa_user_sgpr_flat_scratch_init 0
		.amdhsa_user_sgpr_kernarg_preload_length 0
		.amdhsa_user_sgpr_kernarg_preload_offset 0
		.amdhsa_user_sgpr_private_segment_size 0
		.amdhsa_uses_dynamic_stack 0
		.amdhsa_system_sgpr_private_segment_wavefront_offset 0
		.amdhsa_system_sgpr_workgroup_id_x 1
		.amdhsa_system_sgpr_workgroup_id_y 0
		.amdhsa_system_sgpr_workgroup_id_z 0
		.amdhsa_system_sgpr_workgroup_info 0
		.amdhsa_system_vgpr_workitem_id 0
		.amdhsa_next_free_vgpr 1
		.amdhsa_next_free_sgpr 0
		.amdhsa_accum_offset 4
		.amdhsa_reserve_vcc 0
		.amdhsa_reserve_flat_scratch 0
		.amdhsa_float_round_mode_32 0
		.amdhsa_float_round_mode_16_64 0
		.amdhsa_float_denorm_mode_32 3
		.amdhsa_float_denorm_mode_16_64 3
		.amdhsa_dx10_clamp 1
		.amdhsa_ieee_mode 1
		.amdhsa_fp16_overflow 0
		.amdhsa_tg_split 0
		.amdhsa_exception_fp_ieee_invalid_op 0
		.amdhsa_exception_fp_denorm_src 0
		.amdhsa_exception_fp_ieee_div_zero 0
		.amdhsa_exception_fp_ieee_overflow 0
		.amdhsa_exception_fp_ieee_underflow 0
		.amdhsa_exception_fp_ieee_inexact 0
		.amdhsa_exception_int_div_zero 0
	.end_amdhsa_kernel
	.section	.text._ZN7rocprim17ROCPRIM_400000_NS6detail17trampoline_kernelINS0_14default_configENS1_25partition_config_selectorILNS1_17partition_subalgoE2EsNS0_10empty_typeEbEEZZNS1_14partition_implILS5_2ELb0ES3_jN6thrust23THRUST_200600_302600_NS6detail15normal_iteratorINSA_7pointerIsNSA_11hip_rocprim3tagENSA_11use_defaultESG_EEEEPS6_NSA_18transform_iteratorI10is_orderedNSA_12zip_iteratorINSA_5tupleINSC_INSA_10device_ptrIsEEEESQ_NSA_9null_typeESR_SR_SR_SR_SR_SR_SR_EEEESG_SG_EENS0_5tupleIJPsSJ_EEENSV_IJSJ_SJ_EEES6_PlJS6_EEE10hipError_tPvRmT3_T4_T5_T6_T7_T9_mT8_P12ihipStream_tbDpT10_ENKUlT_T0_E_clISt17integral_constantIbLb0EES1J_EEDaS1E_S1F_EUlS1E_E_NS1_11comp_targetILNS1_3genE10ELNS1_11target_archE1200ELNS1_3gpuE4ELNS1_3repE0EEENS1_30default_config_static_selectorELNS0_4arch9wavefront6targetE1EEEvT1_,"axG",@progbits,_ZN7rocprim17ROCPRIM_400000_NS6detail17trampoline_kernelINS0_14default_configENS1_25partition_config_selectorILNS1_17partition_subalgoE2EsNS0_10empty_typeEbEEZZNS1_14partition_implILS5_2ELb0ES3_jN6thrust23THRUST_200600_302600_NS6detail15normal_iteratorINSA_7pointerIsNSA_11hip_rocprim3tagENSA_11use_defaultESG_EEEEPS6_NSA_18transform_iteratorI10is_orderedNSA_12zip_iteratorINSA_5tupleINSC_INSA_10device_ptrIsEEEESQ_NSA_9null_typeESR_SR_SR_SR_SR_SR_SR_EEEESG_SG_EENS0_5tupleIJPsSJ_EEENSV_IJSJ_SJ_EEES6_PlJS6_EEE10hipError_tPvRmT3_T4_T5_T6_T7_T9_mT8_P12ihipStream_tbDpT10_ENKUlT_T0_E_clISt17integral_constantIbLb0EES1J_EEDaS1E_S1F_EUlS1E_E_NS1_11comp_targetILNS1_3genE10ELNS1_11target_archE1200ELNS1_3gpuE4ELNS1_3repE0EEENS1_30default_config_static_selectorELNS0_4arch9wavefront6targetE1EEEvT1_,comdat
.Lfunc_end3631:
	.size	_ZN7rocprim17ROCPRIM_400000_NS6detail17trampoline_kernelINS0_14default_configENS1_25partition_config_selectorILNS1_17partition_subalgoE2EsNS0_10empty_typeEbEEZZNS1_14partition_implILS5_2ELb0ES3_jN6thrust23THRUST_200600_302600_NS6detail15normal_iteratorINSA_7pointerIsNSA_11hip_rocprim3tagENSA_11use_defaultESG_EEEEPS6_NSA_18transform_iteratorI10is_orderedNSA_12zip_iteratorINSA_5tupleINSC_INSA_10device_ptrIsEEEESQ_NSA_9null_typeESR_SR_SR_SR_SR_SR_SR_EEEESG_SG_EENS0_5tupleIJPsSJ_EEENSV_IJSJ_SJ_EEES6_PlJS6_EEE10hipError_tPvRmT3_T4_T5_T6_T7_T9_mT8_P12ihipStream_tbDpT10_ENKUlT_T0_E_clISt17integral_constantIbLb0EES1J_EEDaS1E_S1F_EUlS1E_E_NS1_11comp_targetILNS1_3genE10ELNS1_11target_archE1200ELNS1_3gpuE4ELNS1_3repE0EEENS1_30default_config_static_selectorELNS0_4arch9wavefront6targetE1EEEvT1_, .Lfunc_end3631-_ZN7rocprim17ROCPRIM_400000_NS6detail17trampoline_kernelINS0_14default_configENS1_25partition_config_selectorILNS1_17partition_subalgoE2EsNS0_10empty_typeEbEEZZNS1_14partition_implILS5_2ELb0ES3_jN6thrust23THRUST_200600_302600_NS6detail15normal_iteratorINSA_7pointerIsNSA_11hip_rocprim3tagENSA_11use_defaultESG_EEEEPS6_NSA_18transform_iteratorI10is_orderedNSA_12zip_iteratorINSA_5tupleINSC_INSA_10device_ptrIsEEEESQ_NSA_9null_typeESR_SR_SR_SR_SR_SR_SR_EEEESG_SG_EENS0_5tupleIJPsSJ_EEENSV_IJSJ_SJ_EEES6_PlJS6_EEE10hipError_tPvRmT3_T4_T5_T6_T7_T9_mT8_P12ihipStream_tbDpT10_ENKUlT_T0_E_clISt17integral_constantIbLb0EES1J_EEDaS1E_S1F_EUlS1E_E_NS1_11comp_targetILNS1_3genE10ELNS1_11target_archE1200ELNS1_3gpuE4ELNS1_3repE0EEENS1_30default_config_static_selectorELNS0_4arch9wavefront6targetE1EEEvT1_
                                        ; -- End function
	.section	.AMDGPU.csdata,"",@progbits
; Kernel info:
; codeLenInByte = 0
; NumSgprs: 4
; NumVgprs: 0
; NumAgprs: 0
; TotalNumVgprs: 0
; ScratchSize: 0
; MemoryBound: 0
; FloatMode: 240
; IeeeMode: 1
; LDSByteSize: 0 bytes/workgroup (compile time only)
; SGPRBlocks: 0
; VGPRBlocks: 0
; NumSGPRsForWavesPerEU: 4
; NumVGPRsForWavesPerEU: 1
; AccumOffset: 4
; Occupancy: 8
; WaveLimiterHint : 0
; COMPUTE_PGM_RSRC2:SCRATCH_EN: 0
; COMPUTE_PGM_RSRC2:USER_SGPR: 6
; COMPUTE_PGM_RSRC2:TRAP_HANDLER: 0
; COMPUTE_PGM_RSRC2:TGID_X_EN: 1
; COMPUTE_PGM_RSRC2:TGID_Y_EN: 0
; COMPUTE_PGM_RSRC2:TGID_Z_EN: 0
; COMPUTE_PGM_RSRC2:TIDIG_COMP_CNT: 0
; COMPUTE_PGM_RSRC3_GFX90A:ACCUM_OFFSET: 0
; COMPUTE_PGM_RSRC3_GFX90A:TG_SPLIT: 0
	.section	.text._ZN7rocprim17ROCPRIM_400000_NS6detail17trampoline_kernelINS0_14default_configENS1_25partition_config_selectorILNS1_17partition_subalgoE2EsNS0_10empty_typeEbEEZZNS1_14partition_implILS5_2ELb0ES3_jN6thrust23THRUST_200600_302600_NS6detail15normal_iteratorINSA_7pointerIsNSA_11hip_rocprim3tagENSA_11use_defaultESG_EEEEPS6_NSA_18transform_iteratorI10is_orderedNSA_12zip_iteratorINSA_5tupleINSC_INSA_10device_ptrIsEEEESQ_NSA_9null_typeESR_SR_SR_SR_SR_SR_SR_EEEESG_SG_EENS0_5tupleIJPsSJ_EEENSV_IJSJ_SJ_EEES6_PlJS6_EEE10hipError_tPvRmT3_T4_T5_T6_T7_T9_mT8_P12ihipStream_tbDpT10_ENKUlT_T0_E_clISt17integral_constantIbLb0EES1J_EEDaS1E_S1F_EUlS1E_E_NS1_11comp_targetILNS1_3genE9ELNS1_11target_archE1100ELNS1_3gpuE3ELNS1_3repE0EEENS1_30default_config_static_selectorELNS0_4arch9wavefront6targetE1EEEvT1_,"axG",@progbits,_ZN7rocprim17ROCPRIM_400000_NS6detail17trampoline_kernelINS0_14default_configENS1_25partition_config_selectorILNS1_17partition_subalgoE2EsNS0_10empty_typeEbEEZZNS1_14partition_implILS5_2ELb0ES3_jN6thrust23THRUST_200600_302600_NS6detail15normal_iteratorINSA_7pointerIsNSA_11hip_rocprim3tagENSA_11use_defaultESG_EEEEPS6_NSA_18transform_iteratorI10is_orderedNSA_12zip_iteratorINSA_5tupleINSC_INSA_10device_ptrIsEEEESQ_NSA_9null_typeESR_SR_SR_SR_SR_SR_SR_EEEESG_SG_EENS0_5tupleIJPsSJ_EEENSV_IJSJ_SJ_EEES6_PlJS6_EEE10hipError_tPvRmT3_T4_T5_T6_T7_T9_mT8_P12ihipStream_tbDpT10_ENKUlT_T0_E_clISt17integral_constantIbLb0EES1J_EEDaS1E_S1F_EUlS1E_E_NS1_11comp_targetILNS1_3genE9ELNS1_11target_archE1100ELNS1_3gpuE3ELNS1_3repE0EEENS1_30default_config_static_selectorELNS0_4arch9wavefront6targetE1EEEvT1_,comdat
	.protected	_ZN7rocprim17ROCPRIM_400000_NS6detail17trampoline_kernelINS0_14default_configENS1_25partition_config_selectorILNS1_17partition_subalgoE2EsNS0_10empty_typeEbEEZZNS1_14partition_implILS5_2ELb0ES3_jN6thrust23THRUST_200600_302600_NS6detail15normal_iteratorINSA_7pointerIsNSA_11hip_rocprim3tagENSA_11use_defaultESG_EEEEPS6_NSA_18transform_iteratorI10is_orderedNSA_12zip_iteratorINSA_5tupleINSC_INSA_10device_ptrIsEEEESQ_NSA_9null_typeESR_SR_SR_SR_SR_SR_SR_EEEESG_SG_EENS0_5tupleIJPsSJ_EEENSV_IJSJ_SJ_EEES6_PlJS6_EEE10hipError_tPvRmT3_T4_T5_T6_T7_T9_mT8_P12ihipStream_tbDpT10_ENKUlT_T0_E_clISt17integral_constantIbLb0EES1J_EEDaS1E_S1F_EUlS1E_E_NS1_11comp_targetILNS1_3genE9ELNS1_11target_archE1100ELNS1_3gpuE3ELNS1_3repE0EEENS1_30default_config_static_selectorELNS0_4arch9wavefront6targetE1EEEvT1_ ; -- Begin function _ZN7rocprim17ROCPRIM_400000_NS6detail17trampoline_kernelINS0_14default_configENS1_25partition_config_selectorILNS1_17partition_subalgoE2EsNS0_10empty_typeEbEEZZNS1_14partition_implILS5_2ELb0ES3_jN6thrust23THRUST_200600_302600_NS6detail15normal_iteratorINSA_7pointerIsNSA_11hip_rocprim3tagENSA_11use_defaultESG_EEEEPS6_NSA_18transform_iteratorI10is_orderedNSA_12zip_iteratorINSA_5tupleINSC_INSA_10device_ptrIsEEEESQ_NSA_9null_typeESR_SR_SR_SR_SR_SR_SR_EEEESG_SG_EENS0_5tupleIJPsSJ_EEENSV_IJSJ_SJ_EEES6_PlJS6_EEE10hipError_tPvRmT3_T4_T5_T6_T7_T9_mT8_P12ihipStream_tbDpT10_ENKUlT_T0_E_clISt17integral_constantIbLb0EES1J_EEDaS1E_S1F_EUlS1E_E_NS1_11comp_targetILNS1_3genE9ELNS1_11target_archE1100ELNS1_3gpuE3ELNS1_3repE0EEENS1_30default_config_static_selectorELNS0_4arch9wavefront6targetE1EEEvT1_
	.globl	_ZN7rocprim17ROCPRIM_400000_NS6detail17trampoline_kernelINS0_14default_configENS1_25partition_config_selectorILNS1_17partition_subalgoE2EsNS0_10empty_typeEbEEZZNS1_14partition_implILS5_2ELb0ES3_jN6thrust23THRUST_200600_302600_NS6detail15normal_iteratorINSA_7pointerIsNSA_11hip_rocprim3tagENSA_11use_defaultESG_EEEEPS6_NSA_18transform_iteratorI10is_orderedNSA_12zip_iteratorINSA_5tupleINSC_INSA_10device_ptrIsEEEESQ_NSA_9null_typeESR_SR_SR_SR_SR_SR_SR_EEEESG_SG_EENS0_5tupleIJPsSJ_EEENSV_IJSJ_SJ_EEES6_PlJS6_EEE10hipError_tPvRmT3_T4_T5_T6_T7_T9_mT8_P12ihipStream_tbDpT10_ENKUlT_T0_E_clISt17integral_constantIbLb0EES1J_EEDaS1E_S1F_EUlS1E_E_NS1_11comp_targetILNS1_3genE9ELNS1_11target_archE1100ELNS1_3gpuE3ELNS1_3repE0EEENS1_30default_config_static_selectorELNS0_4arch9wavefront6targetE1EEEvT1_
	.p2align	8
	.type	_ZN7rocprim17ROCPRIM_400000_NS6detail17trampoline_kernelINS0_14default_configENS1_25partition_config_selectorILNS1_17partition_subalgoE2EsNS0_10empty_typeEbEEZZNS1_14partition_implILS5_2ELb0ES3_jN6thrust23THRUST_200600_302600_NS6detail15normal_iteratorINSA_7pointerIsNSA_11hip_rocprim3tagENSA_11use_defaultESG_EEEEPS6_NSA_18transform_iteratorI10is_orderedNSA_12zip_iteratorINSA_5tupleINSC_INSA_10device_ptrIsEEEESQ_NSA_9null_typeESR_SR_SR_SR_SR_SR_SR_EEEESG_SG_EENS0_5tupleIJPsSJ_EEENSV_IJSJ_SJ_EEES6_PlJS6_EEE10hipError_tPvRmT3_T4_T5_T6_T7_T9_mT8_P12ihipStream_tbDpT10_ENKUlT_T0_E_clISt17integral_constantIbLb0EES1J_EEDaS1E_S1F_EUlS1E_E_NS1_11comp_targetILNS1_3genE9ELNS1_11target_archE1100ELNS1_3gpuE3ELNS1_3repE0EEENS1_30default_config_static_selectorELNS0_4arch9wavefront6targetE1EEEvT1_,@function
_ZN7rocprim17ROCPRIM_400000_NS6detail17trampoline_kernelINS0_14default_configENS1_25partition_config_selectorILNS1_17partition_subalgoE2EsNS0_10empty_typeEbEEZZNS1_14partition_implILS5_2ELb0ES3_jN6thrust23THRUST_200600_302600_NS6detail15normal_iteratorINSA_7pointerIsNSA_11hip_rocprim3tagENSA_11use_defaultESG_EEEEPS6_NSA_18transform_iteratorI10is_orderedNSA_12zip_iteratorINSA_5tupleINSC_INSA_10device_ptrIsEEEESQ_NSA_9null_typeESR_SR_SR_SR_SR_SR_SR_EEEESG_SG_EENS0_5tupleIJPsSJ_EEENSV_IJSJ_SJ_EEES6_PlJS6_EEE10hipError_tPvRmT3_T4_T5_T6_T7_T9_mT8_P12ihipStream_tbDpT10_ENKUlT_T0_E_clISt17integral_constantIbLb0EES1J_EEDaS1E_S1F_EUlS1E_E_NS1_11comp_targetILNS1_3genE9ELNS1_11target_archE1100ELNS1_3gpuE3ELNS1_3repE0EEENS1_30default_config_static_selectorELNS0_4arch9wavefront6targetE1EEEvT1_: ; @_ZN7rocprim17ROCPRIM_400000_NS6detail17trampoline_kernelINS0_14default_configENS1_25partition_config_selectorILNS1_17partition_subalgoE2EsNS0_10empty_typeEbEEZZNS1_14partition_implILS5_2ELb0ES3_jN6thrust23THRUST_200600_302600_NS6detail15normal_iteratorINSA_7pointerIsNSA_11hip_rocprim3tagENSA_11use_defaultESG_EEEEPS6_NSA_18transform_iteratorI10is_orderedNSA_12zip_iteratorINSA_5tupleINSC_INSA_10device_ptrIsEEEESQ_NSA_9null_typeESR_SR_SR_SR_SR_SR_SR_EEEESG_SG_EENS0_5tupleIJPsSJ_EEENSV_IJSJ_SJ_EEES6_PlJS6_EEE10hipError_tPvRmT3_T4_T5_T6_T7_T9_mT8_P12ihipStream_tbDpT10_ENKUlT_T0_E_clISt17integral_constantIbLb0EES1J_EEDaS1E_S1F_EUlS1E_E_NS1_11comp_targetILNS1_3genE9ELNS1_11target_archE1100ELNS1_3gpuE3ELNS1_3repE0EEENS1_30default_config_static_selectorELNS0_4arch9wavefront6targetE1EEEvT1_
; %bb.0:
	.section	.rodata,"a",@progbits
	.p2align	6, 0x0
	.amdhsa_kernel _ZN7rocprim17ROCPRIM_400000_NS6detail17trampoline_kernelINS0_14default_configENS1_25partition_config_selectorILNS1_17partition_subalgoE2EsNS0_10empty_typeEbEEZZNS1_14partition_implILS5_2ELb0ES3_jN6thrust23THRUST_200600_302600_NS6detail15normal_iteratorINSA_7pointerIsNSA_11hip_rocprim3tagENSA_11use_defaultESG_EEEEPS6_NSA_18transform_iteratorI10is_orderedNSA_12zip_iteratorINSA_5tupleINSC_INSA_10device_ptrIsEEEESQ_NSA_9null_typeESR_SR_SR_SR_SR_SR_SR_EEEESG_SG_EENS0_5tupleIJPsSJ_EEENSV_IJSJ_SJ_EEES6_PlJS6_EEE10hipError_tPvRmT3_T4_T5_T6_T7_T9_mT8_P12ihipStream_tbDpT10_ENKUlT_T0_E_clISt17integral_constantIbLb0EES1J_EEDaS1E_S1F_EUlS1E_E_NS1_11comp_targetILNS1_3genE9ELNS1_11target_archE1100ELNS1_3gpuE3ELNS1_3repE0EEENS1_30default_config_static_selectorELNS0_4arch9wavefront6targetE1EEEvT1_
		.amdhsa_group_segment_fixed_size 0
		.amdhsa_private_segment_fixed_size 0
		.amdhsa_kernarg_size 136
		.amdhsa_user_sgpr_count 6
		.amdhsa_user_sgpr_private_segment_buffer 1
		.amdhsa_user_sgpr_dispatch_ptr 0
		.amdhsa_user_sgpr_queue_ptr 0
		.amdhsa_user_sgpr_kernarg_segment_ptr 1
		.amdhsa_user_sgpr_dispatch_id 0
		.amdhsa_user_sgpr_flat_scratch_init 0
		.amdhsa_user_sgpr_kernarg_preload_length 0
		.amdhsa_user_sgpr_kernarg_preload_offset 0
		.amdhsa_user_sgpr_private_segment_size 0
		.amdhsa_uses_dynamic_stack 0
		.amdhsa_system_sgpr_private_segment_wavefront_offset 0
		.amdhsa_system_sgpr_workgroup_id_x 1
		.amdhsa_system_sgpr_workgroup_id_y 0
		.amdhsa_system_sgpr_workgroup_id_z 0
		.amdhsa_system_sgpr_workgroup_info 0
		.amdhsa_system_vgpr_workitem_id 0
		.amdhsa_next_free_vgpr 1
		.amdhsa_next_free_sgpr 0
		.amdhsa_accum_offset 4
		.amdhsa_reserve_vcc 0
		.amdhsa_reserve_flat_scratch 0
		.amdhsa_float_round_mode_32 0
		.amdhsa_float_round_mode_16_64 0
		.amdhsa_float_denorm_mode_32 3
		.amdhsa_float_denorm_mode_16_64 3
		.amdhsa_dx10_clamp 1
		.amdhsa_ieee_mode 1
		.amdhsa_fp16_overflow 0
		.amdhsa_tg_split 0
		.amdhsa_exception_fp_ieee_invalid_op 0
		.amdhsa_exception_fp_denorm_src 0
		.amdhsa_exception_fp_ieee_div_zero 0
		.amdhsa_exception_fp_ieee_overflow 0
		.amdhsa_exception_fp_ieee_underflow 0
		.amdhsa_exception_fp_ieee_inexact 0
		.amdhsa_exception_int_div_zero 0
	.end_amdhsa_kernel
	.section	.text._ZN7rocprim17ROCPRIM_400000_NS6detail17trampoline_kernelINS0_14default_configENS1_25partition_config_selectorILNS1_17partition_subalgoE2EsNS0_10empty_typeEbEEZZNS1_14partition_implILS5_2ELb0ES3_jN6thrust23THRUST_200600_302600_NS6detail15normal_iteratorINSA_7pointerIsNSA_11hip_rocprim3tagENSA_11use_defaultESG_EEEEPS6_NSA_18transform_iteratorI10is_orderedNSA_12zip_iteratorINSA_5tupleINSC_INSA_10device_ptrIsEEEESQ_NSA_9null_typeESR_SR_SR_SR_SR_SR_SR_EEEESG_SG_EENS0_5tupleIJPsSJ_EEENSV_IJSJ_SJ_EEES6_PlJS6_EEE10hipError_tPvRmT3_T4_T5_T6_T7_T9_mT8_P12ihipStream_tbDpT10_ENKUlT_T0_E_clISt17integral_constantIbLb0EES1J_EEDaS1E_S1F_EUlS1E_E_NS1_11comp_targetILNS1_3genE9ELNS1_11target_archE1100ELNS1_3gpuE3ELNS1_3repE0EEENS1_30default_config_static_selectorELNS0_4arch9wavefront6targetE1EEEvT1_,"axG",@progbits,_ZN7rocprim17ROCPRIM_400000_NS6detail17trampoline_kernelINS0_14default_configENS1_25partition_config_selectorILNS1_17partition_subalgoE2EsNS0_10empty_typeEbEEZZNS1_14partition_implILS5_2ELb0ES3_jN6thrust23THRUST_200600_302600_NS6detail15normal_iteratorINSA_7pointerIsNSA_11hip_rocprim3tagENSA_11use_defaultESG_EEEEPS6_NSA_18transform_iteratorI10is_orderedNSA_12zip_iteratorINSA_5tupleINSC_INSA_10device_ptrIsEEEESQ_NSA_9null_typeESR_SR_SR_SR_SR_SR_SR_EEEESG_SG_EENS0_5tupleIJPsSJ_EEENSV_IJSJ_SJ_EEES6_PlJS6_EEE10hipError_tPvRmT3_T4_T5_T6_T7_T9_mT8_P12ihipStream_tbDpT10_ENKUlT_T0_E_clISt17integral_constantIbLb0EES1J_EEDaS1E_S1F_EUlS1E_E_NS1_11comp_targetILNS1_3genE9ELNS1_11target_archE1100ELNS1_3gpuE3ELNS1_3repE0EEENS1_30default_config_static_selectorELNS0_4arch9wavefront6targetE1EEEvT1_,comdat
.Lfunc_end3632:
	.size	_ZN7rocprim17ROCPRIM_400000_NS6detail17trampoline_kernelINS0_14default_configENS1_25partition_config_selectorILNS1_17partition_subalgoE2EsNS0_10empty_typeEbEEZZNS1_14partition_implILS5_2ELb0ES3_jN6thrust23THRUST_200600_302600_NS6detail15normal_iteratorINSA_7pointerIsNSA_11hip_rocprim3tagENSA_11use_defaultESG_EEEEPS6_NSA_18transform_iteratorI10is_orderedNSA_12zip_iteratorINSA_5tupleINSC_INSA_10device_ptrIsEEEESQ_NSA_9null_typeESR_SR_SR_SR_SR_SR_SR_EEEESG_SG_EENS0_5tupleIJPsSJ_EEENSV_IJSJ_SJ_EEES6_PlJS6_EEE10hipError_tPvRmT3_T4_T5_T6_T7_T9_mT8_P12ihipStream_tbDpT10_ENKUlT_T0_E_clISt17integral_constantIbLb0EES1J_EEDaS1E_S1F_EUlS1E_E_NS1_11comp_targetILNS1_3genE9ELNS1_11target_archE1100ELNS1_3gpuE3ELNS1_3repE0EEENS1_30default_config_static_selectorELNS0_4arch9wavefront6targetE1EEEvT1_, .Lfunc_end3632-_ZN7rocprim17ROCPRIM_400000_NS6detail17trampoline_kernelINS0_14default_configENS1_25partition_config_selectorILNS1_17partition_subalgoE2EsNS0_10empty_typeEbEEZZNS1_14partition_implILS5_2ELb0ES3_jN6thrust23THRUST_200600_302600_NS6detail15normal_iteratorINSA_7pointerIsNSA_11hip_rocprim3tagENSA_11use_defaultESG_EEEEPS6_NSA_18transform_iteratorI10is_orderedNSA_12zip_iteratorINSA_5tupleINSC_INSA_10device_ptrIsEEEESQ_NSA_9null_typeESR_SR_SR_SR_SR_SR_SR_EEEESG_SG_EENS0_5tupleIJPsSJ_EEENSV_IJSJ_SJ_EEES6_PlJS6_EEE10hipError_tPvRmT3_T4_T5_T6_T7_T9_mT8_P12ihipStream_tbDpT10_ENKUlT_T0_E_clISt17integral_constantIbLb0EES1J_EEDaS1E_S1F_EUlS1E_E_NS1_11comp_targetILNS1_3genE9ELNS1_11target_archE1100ELNS1_3gpuE3ELNS1_3repE0EEENS1_30default_config_static_selectorELNS0_4arch9wavefront6targetE1EEEvT1_
                                        ; -- End function
	.section	.AMDGPU.csdata,"",@progbits
; Kernel info:
; codeLenInByte = 0
; NumSgprs: 4
; NumVgprs: 0
; NumAgprs: 0
; TotalNumVgprs: 0
; ScratchSize: 0
; MemoryBound: 0
; FloatMode: 240
; IeeeMode: 1
; LDSByteSize: 0 bytes/workgroup (compile time only)
; SGPRBlocks: 0
; VGPRBlocks: 0
; NumSGPRsForWavesPerEU: 4
; NumVGPRsForWavesPerEU: 1
; AccumOffset: 4
; Occupancy: 8
; WaveLimiterHint : 0
; COMPUTE_PGM_RSRC2:SCRATCH_EN: 0
; COMPUTE_PGM_RSRC2:USER_SGPR: 6
; COMPUTE_PGM_RSRC2:TRAP_HANDLER: 0
; COMPUTE_PGM_RSRC2:TGID_X_EN: 1
; COMPUTE_PGM_RSRC2:TGID_Y_EN: 0
; COMPUTE_PGM_RSRC2:TGID_Z_EN: 0
; COMPUTE_PGM_RSRC2:TIDIG_COMP_CNT: 0
; COMPUTE_PGM_RSRC3_GFX90A:ACCUM_OFFSET: 0
; COMPUTE_PGM_RSRC3_GFX90A:TG_SPLIT: 0
	.section	.text._ZN7rocprim17ROCPRIM_400000_NS6detail17trampoline_kernelINS0_14default_configENS1_25partition_config_selectorILNS1_17partition_subalgoE2EsNS0_10empty_typeEbEEZZNS1_14partition_implILS5_2ELb0ES3_jN6thrust23THRUST_200600_302600_NS6detail15normal_iteratorINSA_7pointerIsNSA_11hip_rocprim3tagENSA_11use_defaultESG_EEEEPS6_NSA_18transform_iteratorI10is_orderedNSA_12zip_iteratorINSA_5tupleINSC_INSA_10device_ptrIsEEEESQ_NSA_9null_typeESR_SR_SR_SR_SR_SR_SR_EEEESG_SG_EENS0_5tupleIJPsSJ_EEENSV_IJSJ_SJ_EEES6_PlJS6_EEE10hipError_tPvRmT3_T4_T5_T6_T7_T9_mT8_P12ihipStream_tbDpT10_ENKUlT_T0_E_clISt17integral_constantIbLb0EES1J_EEDaS1E_S1F_EUlS1E_E_NS1_11comp_targetILNS1_3genE8ELNS1_11target_archE1030ELNS1_3gpuE2ELNS1_3repE0EEENS1_30default_config_static_selectorELNS0_4arch9wavefront6targetE1EEEvT1_,"axG",@progbits,_ZN7rocprim17ROCPRIM_400000_NS6detail17trampoline_kernelINS0_14default_configENS1_25partition_config_selectorILNS1_17partition_subalgoE2EsNS0_10empty_typeEbEEZZNS1_14partition_implILS5_2ELb0ES3_jN6thrust23THRUST_200600_302600_NS6detail15normal_iteratorINSA_7pointerIsNSA_11hip_rocprim3tagENSA_11use_defaultESG_EEEEPS6_NSA_18transform_iteratorI10is_orderedNSA_12zip_iteratorINSA_5tupleINSC_INSA_10device_ptrIsEEEESQ_NSA_9null_typeESR_SR_SR_SR_SR_SR_SR_EEEESG_SG_EENS0_5tupleIJPsSJ_EEENSV_IJSJ_SJ_EEES6_PlJS6_EEE10hipError_tPvRmT3_T4_T5_T6_T7_T9_mT8_P12ihipStream_tbDpT10_ENKUlT_T0_E_clISt17integral_constantIbLb0EES1J_EEDaS1E_S1F_EUlS1E_E_NS1_11comp_targetILNS1_3genE8ELNS1_11target_archE1030ELNS1_3gpuE2ELNS1_3repE0EEENS1_30default_config_static_selectorELNS0_4arch9wavefront6targetE1EEEvT1_,comdat
	.protected	_ZN7rocprim17ROCPRIM_400000_NS6detail17trampoline_kernelINS0_14default_configENS1_25partition_config_selectorILNS1_17partition_subalgoE2EsNS0_10empty_typeEbEEZZNS1_14partition_implILS5_2ELb0ES3_jN6thrust23THRUST_200600_302600_NS6detail15normal_iteratorINSA_7pointerIsNSA_11hip_rocprim3tagENSA_11use_defaultESG_EEEEPS6_NSA_18transform_iteratorI10is_orderedNSA_12zip_iteratorINSA_5tupleINSC_INSA_10device_ptrIsEEEESQ_NSA_9null_typeESR_SR_SR_SR_SR_SR_SR_EEEESG_SG_EENS0_5tupleIJPsSJ_EEENSV_IJSJ_SJ_EEES6_PlJS6_EEE10hipError_tPvRmT3_T4_T5_T6_T7_T9_mT8_P12ihipStream_tbDpT10_ENKUlT_T0_E_clISt17integral_constantIbLb0EES1J_EEDaS1E_S1F_EUlS1E_E_NS1_11comp_targetILNS1_3genE8ELNS1_11target_archE1030ELNS1_3gpuE2ELNS1_3repE0EEENS1_30default_config_static_selectorELNS0_4arch9wavefront6targetE1EEEvT1_ ; -- Begin function _ZN7rocprim17ROCPRIM_400000_NS6detail17trampoline_kernelINS0_14default_configENS1_25partition_config_selectorILNS1_17partition_subalgoE2EsNS0_10empty_typeEbEEZZNS1_14partition_implILS5_2ELb0ES3_jN6thrust23THRUST_200600_302600_NS6detail15normal_iteratorINSA_7pointerIsNSA_11hip_rocprim3tagENSA_11use_defaultESG_EEEEPS6_NSA_18transform_iteratorI10is_orderedNSA_12zip_iteratorINSA_5tupleINSC_INSA_10device_ptrIsEEEESQ_NSA_9null_typeESR_SR_SR_SR_SR_SR_SR_EEEESG_SG_EENS0_5tupleIJPsSJ_EEENSV_IJSJ_SJ_EEES6_PlJS6_EEE10hipError_tPvRmT3_T4_T5_T6_T7_T9_mT8_P12ihipStream_tbDpT10_ENKUlT_T0_E_clISt17integral_constantIbLb0EES1J_EEDaS1E_S1F_EUlS1E_E_NS1_11comp_targetILNS1_3genE8ELNS1_11target_archE1030ELNS1_3gpuE2ELNS1_3repE0EEENS1_30default_config_static_selectorELNS0_4arch9wavefront6targetE1EEEvT1_
	.globl	_ZN7rocprim17ROCPRIM_400000_NS6detail17trampoline_kernelINS0_14default_configENS1_25partition_config_selectorILNS1_17partition_subalgoE2EsNS0_10empty_typeEbEEZZNS1_14partition_implILS5_2ELb0ES3_jN6thrust23THRUST_200600_302600_NS6detail15normal_iteratorINSA_7pointerIsNSA_11hip_rocprim3tagENSA_11use_defaultESG_EEEEPS6_NSA_18transform_iteratorI10is_orderedNSA_12zip_iteratorINSA_5tupleINSC_INSA_10device_ptrIsEEEESQ_NSA_9null_typeESR_SR_SR_SR_SR_SR_SR_EEEESG_SG_EENS0_5tupleIJPsSJ_EEENSV_IJSJ_SJ_EEES6_PlJS6_EEE10hipError_tPvRmT3_T4_T5_T6_T7_T9_mT8_P12ihipStream_tbDpT10_ENKUlT_T0_E_clISt17integral_constantIbLb0EES1J_EEDaS1E_S1F_EUlS1E_E_NS1_11comp_targetILNS1_3genE8ELNS1_11target_archE1030ELNS1_3gpuE2ELNS1_3repE0EEENS1_30default_config_static_selectorELNS0_4arch9wavefront6targetE1EEEvT1_
	.p2align	8
	.type	_ZN7rocprim17ROCPRIM_400000_NS6detail17trampoline_kernelINS0_14default_configENS1_25partition_config_selectorILNS1_17partition_subalgoE2EsNS0_10empty_typeEbEEZZNS1_14partition_implILS5_2ELb0ES3_jN6thrust23THRUST_200600_302600_NS6detail15normal_iteratorINSA_7pointerIsNSA_11hip_rocprim3tagENSA_11use_defaultESG_EEEEPS6_NSA_18transform_iteratorI10is_orderedNSA_12zip_iteratorINSA_5tupleINSC_INSA_10device_ptrIsEEEESQ_NSA_9null_typeESR_SR_SR_SR_SR_SR_SR_EEEESG_SG_EENS0_5tupleIJPsSJ_EEENSV_IJSJ_SJ_EEES6_PlJS6_EEE10hipError_tPvRmT3_T4_T5_T6_T7_T9_mT8_P12ihipStream_tbDpT10_ENKUlT_T0_E_clISt17integral_constantIbLb0EES1J_EEDaS1E_S1F_EUlS1E_E_NS1_11comp_targetILNS1_3genE8ELNS1_11target_archE1030ELNS1_3gpuE2ELNS1_3repE0EEENS1_30default_config_static_selectorELNS0_4arch9wavefront6targetE1EEEvT1_,@function
_ZN7rocprim17ROCPRIM_400000_NS6detail17trampoline_kernelINS0_14default_configENS1_25partition_config_selectorILNS1_17partition_subalgoE2EsNS0_10empty_typeEbEEZZNS1_14partition_implILS5_2ELb0ES3_jN6thrust23THRUST_200600_302600_NS6detail15normal_iteratorINSA_7pointerIsNSA_11hip_rocprim3tagENSA_11use_defaultESG_EEEEPS6_NSA_18transform_iteratorI10is_orderedNSA_12zip_iteratorINSA_5tupleINSC_INSA_10device_ptrIsEEEESQ_NSA_9null_typeESR_SR_SR_SR_SR_SR_SR_EEEESG_SG_EENS0_5tupleIJPsSJ_EEENSV_IJSJ_SJ_EEES6_PlJS6_EEE10hipError_tPvRmT3_T4_T5_T6_T7_T9_mT8_P12ihipStream_tbDpT10_ENKUlT_T0_E_clISt17integral_constantIbLb0EES1J_EEDaS1E_S1F_EUlS1E_E_NS1_11comp_targetILNS1_3genE8ELNS1_11target_archE1030ELNS1_3gpuE2ELNS1_3repE0EEENS1_30default_config_static_selectorELNS0_4arch9wavefront6targetE1EEEvT1_: ; @_ZN7rocprim17ROCPRIM_400000_NS6detail17trampoline_kernelINS0_14default_configENS1_25partition_config_selectorILNS1_17partition_subalgoE2EsNS0_10empty_typeEbEEZZNS1_14partition_implILS5_2ELb0ES3_jN6thrust23THRUST_200600_302600_NS6detail15normal_iteratorINSA_7pointerIsNSA_11hip_rocprim3tagENSA_11use_defaultESG_EEEEPS6_NSA_18transform_iteratorI10is_orderedNSA_12zip_iteratorINSA_5tupleINSC_INSA_10device_ptrIsEEEESQ_NSA_9null_typeESR_SR_SR_SR_SR_SR_SR_EEEESG_SG_EENS0_5tupleIJPsSJ_EEENSV_IJSJ_SJ_EEES6_PlJS6_EEE10hipError_tPvRmT3_T4_T5_T6_T7_T9_mT8_P12ihipStream_tbDpT10_ENKUlT_T0_E_clISt17integral_constantIbLb0EES1J_EEDaS1E_S1F_EUlS1E_E_NS1_11comp_targetILNS1_3genE8ELNS1_11target_archE1030ELNS1_3gpuE2ELNS1_3repE0EEENS1_30default_config_static_selectorELNS0_4arch9wavefront6targetE1EEEvT1_
; %bb.0:
	.section	.rodata,"a",@progbits
	.p2align	6, 0x0
	.amdhsa_kernel _ZN7rocprim17ROCPRIM_400000_NS6detail17trampoline_kernelINS0_14default_configENS1_25partition_config_selectorILNS1_17partition_subalgoE2EsNS0_10empty_typeEbEEZZNS1_14partition_implILS5_2ELb0ES3_jN6thrust23THRUST_200600_302600_NS6detail15normal_iteratorINSA_7pointerIsNSA_11hip_rocprim3tagENSA_11use_defaultESG_EEEEPS6_NSA_18transform_iteratorI10is_orderedNSA_12zip_iteratorINSA_5tupleINSC_INSA_10device_ptrIsEEEESQ_NSA_9null_typeESR_SR_SR_SR_SR_SR_SR_EEEESG_SG_EENS0_5tupleIJPsSJ_EEENSV_IJSJ_SJ_EEES6_PlJS6_EEE10hipError_tPvRmT3_T4_T5_T6_T7_T9_mT8_P12ihipStream_tbDpT10_ENKUlT_T0_E_clISt17integral_constantIbLb0EES1J_EEDaS1E_S1F_EUlS1E_E_NS1_11comp_targetILNS1_3genE8ELNS1_11target_archE1030ELNS1_3gpuE2ELNS1_3repE0EEENS1_30default_config_static_selectorELNS0_4arch9wavefront6targetE1EEEvT1_
		.amdhsa_group_segment_fixed_size 0
		.amdhsa_private_segment_fixed_size 0
		.amdhsa_kernarg_size 136
		.amdhsa_user_sgpr_count 6
		.amdhsa_user_sgpr_private_segment_buffer 1
		.amdhsa_user_sgpr_dispatch_ptr 0
		.amdhsa_user_sgpr_queue_ptr 0
		.amdhsa_user_sgpr_kernarg_segment_ptr 1
		.amdhsa_user_sgpr_dispatch_id 0
		.amdhsa_user_sgpr_flat_scratch_init 0
		.amdhsa_user_sgpr_kernarg_preload_length 0
		.amdhsa_user_sgpr_kernarg_preload_offset 0
		.amdhsa_user_sgpr_private_segment_size 0
		.amdhsa_uses_dynamic_stack 0
		.amdhsa_system_sgpr_private_segment_wavefront_offset 0
		.amdhsa_system_sgpr_workgroup_id_x 1
		.amdhsa_system_sgpr_workgroup_id_y 0
		.amdhsa_system_sgpr_workgroup_id_z 0
		.amdhsa_system_sgpr_workgroup_info 0
		.amdhsa_system_vgpr_workitem_id 0
		.amdhsa_next_free_vgpr 1
		.amdhsa_next_free_sgpr 0
		.amdhsa_accum_offset 4
		.amdhsa_reserve_vcc 0
		.amdhsa_reserve_flat_scratch 0
		.amdhsa_float_round_mode_32 0
		.amdhsa_float_round_mode_16_64 0
		.amdhsa_float_denorm_mode_32 3
		.amdhsa_float_denorm_mode_16_64 3
		.amdhsa_dx10_clamp 1
		.amdhsa_ieee_mode 1
		.amdhsa_fp16_overflow 0
		.amdhsa_tg_split 0
		.amdhsa_exception_fp_ieee_invalid_op 0
		.amdhsa_exception_fp_denorm_src 0
		.amdhsa_exception_fp_ieee_div_zero 0
		.amdhsa_exception_fp_ieee_overflow 0
		.amdhsa_exception_fp_ieee_underflow 0
		.amdhsa_exception_fp_ieee_inexact 0
		.amdhsa_exception_int_div_zero 0
	.end_amdhsa_kernel
	.section	.text._ZN7rocprim17ROCPRIM_400000_NS6detail17trampoline_kernelINS0_14default_configENS1_25partition_config_selectorILNS1_17partition_subalgoE2EsNS0_10empty_typeEbEEZZNS1_14partition_implILS5_2ELb0ES3_jN6thrust23THRUST_200600_302600_NS6detail15normal_iteratorINSA_7pointerIsNSA_11hip_rocprim3tagENSA_11use_defaultESG_EEEEPS6_NSA_18transform_iteratorI10is_orderedNSA_12zip_iteratorINSA_5tupleINSC_INSA_10device_ptrIsEEEESQ_NSA_9null_typeESR_SR_SR_SR_SR_SR_SR_EEEESG_SG_EENS0_5tupleIJPsSJ_EEENSV_IJSJ_SJ_EEES6_PlJS6_EEE10hipError_tPvRmT3_T4_T5_T6_T7_T9_mT8_P12ihipStream_tbDpT10_ENKUlT_T0_E_clISt17integral_constantIbLb0EES1J_EEDaS1E_S1F_EUlS1E_E_NS1_11comp_targetILNS1_3genE8ELNS1_11target_archE1030ELNS1_3gpuE2ELNS1_3repE0EEENS1_30default_config_static_selectorELNS0_4arch9wavefront6targetE1EEEvT1_,"axG",@progbits,_ZN7rocprim17ROCPRIM_400000_NS6detail17trampoline_kernelINS0_14default_configENS1_25partition_config_selectorILNS1_17partition_subalgoE2EsNS0_10empty_typeEbEEZZNS1_14partition_implILS5_2ELb0ES3_jN6thrust23THRUST_200600_302600_NS6detail15normal_iteratorINSA_7pointerIsNSA_11hip_rocprim3tagENSA_11use_defaultESG_EEEEPS6_NSA_18transform_iteratorI10is_orderedNSA_12zip_iteratorINSA_5tupleINSC_INSA_10device_ptrIsEEEESQ_NSA_9null_typeESR_SR_SR_SR_SR_SR_SR_EEEESG_SG_EENS0_5tupleIJPsSJ_EEENSV_IJSJ_SJ_EEES6_PlJS6_EEE10hipError_tPvRmT3_T4_T5_T6_T7_T9_mT8_P12ihipStream_tbDpT10_ENKUlT_T0_E_clISt17integral_constantIbLb0EES1J_EEDaS1E_S1F_EUlS1E_E_NS1_11comp_targetILNS1_3genE8ELNS1_11target_archE1030ELNS1_3gpuE2ELNS1_3repE0EEENS1_30default_config_static_selectorELNS0_4arch9wavefront6targetE1EEEvT1_,comdat
.Lfunc_end3633:
	.size	_ZN7rocprim17ROCPRIM_400000_NS6detail17trampoline_kernelINS0_14default_configENS1_25partition_config_selectorILNS1_17partition_subalgoE2EsNS0_10empty_typeEbEEZZNS1_14partition_implILS5_2ELb0ES3_jN6thrust23THRUST_200600_302600_NS6detail15normal_iteratorINSA_7pointerIsNSA_11hip_rocprim3tagENSA_11use_defaultESG_EEEEPS6_NSA_18transform_iteratorI10is_orderedNSA_12zip_iteratorINSA_5tupleINSC_INSA_10device_ptrIsEEEESQ_NSA_9null_typeESR_SR_SR_SR_SR_SR_SR_EEEESG_SG_EENS0_5tupleIJPsSJ_EEENSV_IJSJ_SJ_EEES6_PlJS6_EEE10hipError_tPvRmT3_T4_T5_T6_T7_T9_mT8_P12ihipStream_tbDpT10_ENKUlT_T0_E_clISt17integral_constantIbLb0EES1J_EEDaS1E_S1F_EUlS1E_E_NS1_11comp_targetILNS1_3genE8ELNS1_11target_archE1030ELNS1_3gpuE2ELNS1_3repE0EEENS1_30default_config_static_selectorELNS0_4arch9wavefront6targetE1EEEvT1_, .Lfunc_end3633-_ZN7rocprim17ROCPRIM_400000_NS6detail17trampoline_kernelINS0_14default_configENS1_25partition_config_selectorILNS1_17partition_subalgoE2EsNS0_10empty_typeEbEEZZNS1_14partition_implILS5_2ELb0ES3_jN6thrust23THRUST_200600_302600_NS6detail15normal_iteratorINSA_7pointerIsNSA_11hip_rocprim3tagENSA_11use_defaultESG_EEEEPS6_NSA_18transform_iteratorI10is_orderedNSA_12zip_iteratorINSA_5tupleINSC_INSA_10device_ptrIsEEEESQ_NSA_9null_typeESR_SR_SR_SR_SR_SR_SR_EEEESG_SG_EENS0_5tupleIJPsSJ_EEENSV_IJSJ_SJ_EEES6_PlJS6_EEE10hipError_tPvRmT3_T4_T5_T6_T7_T9_mT8_P12ihipStream_tbDpT10_ENKUlT_T0_E_clISt17integral_constantIbLb0EES1J_EEDaS1E_S1F_EUlS1E_E_NS1_11comp_targetILNS1_3genE8ELNS1_11target_archE1030ELNS1_3gpuE2ELNS1_3repE0EEENS1_30default_config_static_selectorELNS0_4arch9wavefront6targetE1EEEvT1_
                                        ; -- End function
	.section	.AMDGPU.csdata,"",@progbits
; Kernel info:
; codeLenInByte = 0
; NumSgprs: 4
; NumVgprs: 0
; NumAgprs: 0
; TotalNumVgprs: 0
; ScratchSize: 0
; MemoryBound: 0
; FloatMode: 240
; IeeeMode: 1
; LDSByteSize: 0 bytes/workgroup (compile time only)
; SGPRBlocks: 0
; VGPRBlocks: 0
; NumSGPRsForWavesPerEU: 4
; NumVGPRsForWavesPerEU: 1
; AccumOffset: 4
; Occupancy: 8
; WaveLimiterHint : 0
; COMPUTE_PGM_RSRC2:SCRATCH_EN: 0
; COMPUTE_PGM_RSRC2:USER_SGPR: 6
; COMPUTE_PGM_RSRC2:TRAP_HANDLER: 0
; COMPUTE_PGM_RSRC2:TGID_X_EN: 1
; COMPUTE_PGM_RSRC2:TGID_Y_EN: 0
; COMPUTE_PGM_RSRC2:TGID_Z_EN: 0
; COMPUTE_PGM_RSRC2:TIDIG_COMP_CNT: 0
; COMPUTE_PGM_RSRC3_GFX90A:ACCUM_OFFSET: 0
; COMPUTE_PGM_RSRC3_GFX90A:TG_SPLIT: 0
	.section	.text._ZN7rocprim17ROCPRIM_400000_NS6detail17trampoline_kernelINS0_14default_configENS1_25partition_config_selectorILNS1_17partition_subalgoE2EsNS0_10empty_typeEbEEZZNS1_14partition_implILS5_2ELb0ES3_jN6thrust23THRUST_200600_302600_NS6detail15normal_iteratorINSA_7pointerIsNSA_11hip_rocprim3tagENSA_11use_defaultESG_EEEEPS6_NSA_18transform_iteratorI10is_orderedNSA_12zip_iteratorINSA_5tupleINSC_INSA_10device_ptrIsEEEESQ_NSA_9null_typeESR_SR_SR_SR_SR_SR_SR_EEEESG_SG_EENS0_5tupleIJPsSJ_EEENSV_IJSJ_SJ_EEES6_PlJS6_EEE10hipError_tPvRmT3_T4_T5_T6_T7_T9_mT8_P12ihipStream_tbDpT10_ENKUlT_T0_E_clISt17integral_constantIbLb1EES1J_EEDaS1E_S1F_EUlS1E_E_NS1_11comp_targetILNS1_3genE0ELNS1_11target_archE4294967295ELNS1_3gpuE0ELNS1_3repE0EEENS1_30default_config_static_selectorELNS0_4arch9wavefront6targetE1EEEvT1_,"axG",@progbits,_ZN7rocprim17ROCPRIM_400000_NS6detail17trampoline_kernelINS0_14default_configENS1_25partition_config_selectorILNS1_17partition_subalgoE2EsNS0_10empty_typeEbEEZZNS1_14partition_implILS5_2ELb0ES3_jN6thrust23THRUST_200600_302600_NS6detail15normal_iteratorINSA_7pointerIsNSA_11hip_rocprim3tagENSA_11use_defaultESG_EEEEPS6_NSA_18transform_iteratorI10is_orderedNSA_12zip_iteratorINSA_5tupleINSC_INSA_10device_ptrIsEEEESQ_NSA_9null_typeESR_SR_SR_SR_SR_SR_SR_EEEESG_SG_EENS0_5tupleIJPsSJ_EEENSV_IJSJ_SJ_EEES6_PlJS6_EEE10hipError_tPvRmT3_T4_T5_T6_T7_T9_mT8_P12ihipStream_tbDpT10_ENKUlT_T0_E_clISt17integral_constantIbLb1EES1J_EEDaS1E_S1F_EUlS1E_E_NS1_11comp_targetILNS1_3genE0ELNS1_11target_archE4294967295ELNS1_3gpuE0ELNS1_3repE0EEENS1_30default_config_static_selectorELNS0_4arch9wavefront6targetE1EEEvT1_,comdat
	.protected	_ZN7rocprim17ROCPRIM_400000_NS6detail17trampoline_kernelINS0_14default_configENS1_25partition_config_selectorILNS1_17partition_subalgoE2EsNS0_10empty_typeEbEEZZNS1_14partition_implILS5_2ELb0ES3_jN6thrust23THRUST_200600_302600_NS6detail15normal_iteratorINSA_7pointerIsNSA_11hip_rocprim3tagENSA_11use_defaultESG_EEEEPS6_NSA_18transform_iteratorI10is_orderedNSA_12zip_iteratorINSA_5tupleINSC_INSA_10device_ptrIsEEEESQ_NSA_9null_typeESR_SR_SR_SR_SR_SR_SR_EEEESG_SG_EENS0_5tupleIJPsSJ_EEENSV_IJSJ_SJ_EEES6_PlJS6_EEE10hipError_tPvRmT3_T4_T5_T6_T7_T9_mT8_P12ihipStream_tbDpT10_ENKUlT_T0_E_clISt17integral_constantIbLb1EES1J_EEDaS1E_S1F_EUlS1E_E_NS1_11comp_targetILNS1_3genE0ELNS1_11target_archE4294967295ELNS1_3gpuE0ELNS1_3repE0EEENS1_30default_config_static_selectorELNS0_4arch9wavefront6targetE1EEEvT1_ ; -- Begin function _ZN7rocprim17ROCPRIM_400000_NS6detail17trampoline_kernelINS0_14default_configENS1_25partition_config_selectorILNS1_17partition_subalgoE2EsNS0_10empty_typeEbEEZZNS1_14partition_implILS5_2ELb0ES3_jN6thrust23THRUST_200600_302600_NS6detail15normal_iteratorINSA_7pointerIsNSA_11hip_rocprim3tagENSA_11use_defaultESG_EEEEPS6_NSA_18transform_iteratorI10is_orderedNSA_12zip_iteratorINSA_5tupleINSC_INSA_10device_ptrIsEEEESQ_NSA_9null_typeESR_SR_SR_SR_SR_SR_SR_EEEESG_SG_EENS0_5tupleIJPsSJ_EEENSV_IJSJ_SJ_EEES6_PlJS6_EEE10hipError_tPvRmT3_T4_T5_T6_T7_T9_mT8_P12ihipStream_tbDpT10_ENKUlT_T0_E_clISt17integral_constantIbLb1EES1J_EEDaS1E_S1F_EUlS1E_E_NS1_11comp_targetILNS1_3genE0ELNS1_11target_archE4294967295ELNS1_3gpuE0ELNS1_3repE0EEENS1_30default_config_static_selectorELNS0_4arch9wavefront6targetE1EEEvT1_
	.globl	_ZN7rocprim17ROCPRIM_400000_NS6detail17trampoline_kernelINS0_14default_configENS1_25partition_config_selectorILNS1_17partition_subalgoE2EsNS0_10empty_typeEbEEZZNS1_14partition_implILS5_2ELb0ES3_jN6thrust23THRUST_200600_302600_NS6detail15normal_iteratorINSA_7pointerIsNSA_11hip_rocprim3tagENSA_11use_defaultESG_EEEEPS6_NSA_18transform_iteratorI10is_orderedNSA_12zip_iteratorINSA_5tupleINSC_INSA_10device_ptrIsEEEESQ_NSA_9null_typeESR_SR_SR_SR_SR_SR_SR_EEEESG_SG_EENS0_5tupleIJPsSJ_EEENSV_IJSJ_SJ_EEES6_PlJS6_EEE10hipError_tPvRmT3_T4_T5_T6_T7_T9_mT8_P12ihipStream_tbDpT10_ENKUlT_T0_E_clISt17integral_constantIbLb1EES1J_EEDaS1E_S1F_EUlS1E_E_NS1_11comp_targetILNS1_3genE0ELNS1_11target_archE4294967295ELNS1_3gpuE0ELNS1_3repE0EEENS1_30default_config_static_selectorELNS0_4arch9wavefront6targetE1EEEvT1_
	.p2align	8
	.type	_ZN7rocprim17ROCPRIM_400000_NS6detail17trampoline_kernelINS0_14default_configENS1_25partition_config_selectorILNS1_17partition_subalgoE2EsNS0_10empty_typeEbEEZZNS1_14partition_implILS5_2ELb0ES3_jN6thrust23THRUST_200600_302600_NS6detail15normal_iteratorINSA_7pointerIsNSA_11hip_rocprim3tagENSA_11use_defaultESG_EEEEPS6_NSA_18transform_iteratorI10is_orderedNSA_12zip_iteratorINSA_5tupleINSC_INSA_10device_ptrIsEEEESQ_NSA_9null_typeESR_SR_SR_SR_SR_SR_SR_EEEESG_SG_EENS0_5tupleIJPsSJ_EEENSV_IJSJ_SJ_EEES6_PlJS6_EEE10hipError_tPvRmT3_T4_T5_T6_T7_T9_mT8_P12ihipStream_tbDpT10_ENKUlT_T0_E_clISt17integral_constantIbLb1EES1J_EEDaS1E_S1F_EUlS1E_E_NS1_11comp_targetILNS1_3genE0ELNS1_11target_archE4294967295ELNS1_3gpuE0ELNS1_3repE0EEENS1_30default_config_static_selectorELNS0_4arch9wavefront6targetE1EEEvT1_,@function
_ZN7rocprim17ROCPRIM_400000_NS6detail17trampoline_kernelINS0_14default_configENS1_25partition_config_selectorILNS1_17partition_subalgoE2EsNS0_10empty_typeEbEEZZNS1_14partition_implILS5_2ELb0ES3_jN6thrust23THRUST_200600_302600_NS6detail15normal_iteratorINSA_7pointerIsNSA_11hip_rocprim3tagENSA_11use_defaultESG_EEEEPS6_NSA_18transform_iteratorI10is_orderedNSA_12zip_iteratorINSA_5tupleINSC_INSA_10device_ptrIsEEEESQ_NSA_9null_typeESR_SR_SR_SR_SR_SR_SR_EEEESG_SG_EENS0_5tupleIJPsSJ_EEENSV_IJSJ_SJ_EEES6_PlJS6_EEE10hipError_tPvRmT3_T4_T5_T6_T7_T9_mT8_P12ihipStream_tbDpT10_ENKUlT_T0_E_clISt17integral_constantIbLb1EES1J_EEDaS1E_S1F_EUlS1E_E_NS1_11comp_targetILNS1_3genE0ELNS1_11target_archE4294967295ELNS1_3gpuE0ELNS1_3repE0EEENS1_30default_config_static_selectorELNS0_4arch9wavefront6targetE1EEEvT1_: ; @_ZN7rocprim17ROCPRIM_400000_NS6detail17trampoline_kernelINS0_14default_configENS1_25partition_config_selectorILNS1_17partition_subalgoE2EsNS0_10empty_typeEbEEZZNS1_14partition_implILS5_2ELb0ES3_jN6thrust23THRUST_200600_302600_NS6detail15normal_iteratorINSA_7pointerIsNSA_11hip_rocprim3tagENSA_11use_defaultESG_EEEEPS6_NSA_18transform_iteratorI10is_orderedNSA_12zip_iteratorINSA_5tupleINSC_INSA_10device_ptrIsEEEESQ_NSA_9null_typeESR_SR_SR_SR_SR_SR_SR_EEEESG_SG_EENS0_5tupleIJPsSJ_EEENSV_IJSJ_SJ_EEES6_PlJS6_EEE10hipError_tPvRmT3_T4_T5_T6_T7_T9_mT8_P12ihipStream_tbDpT10_ENKUlT_T0_E_clISt17integral_constantIbLb1EES1J_EEDaS1E_S1F_EUlS1E_E_NS1_11comp_targetILNS1_3genE0ELNS1_11target_archE4294967295ELNS1_3gpuE0ELNS1_3repE0EEENS1_30default_config_static_selectorELNS0_4arch9wavefront6targetE1EEEvT1_
; %bb.0:
	.section	.rodata,"a",@progbits
	.p2align	6, 0x0
	.amdhsa_kernel _ZN7rocprim17ROCPRIM_400000_NS6detail17trampoline_kernelINS0_14default_configENS1_25partition_config_selectorILNS1_17partition_subalgoE2EsNS0_10empty_typeEbEEZZNS1_14partition_implILS5_2ELb0ES3_jN6thrust23THRUST_200600_302600_NS6detail15normal_iteratorINSA_7pointerIsNSA_11hip_rocprim3tagENSA_11use_defaultESG_EEEEPS6_NSA_18transform_iteratorI10is_orderedNSA_12zip_iteratorINSA_5tupleINSC_INSA_10device_ptrIsEEEESQ_NSA_9null_typeESR_SR_SR_SR_SR_SR_SR_EEEESG_SG_EENS0_5tupleIJPsSJ_EEENSV_IJSJ_SJ_EEES6_PlJS6_EEE10hipError_tPvRmT3_T4_T5_T6_T7_T9_mT8_P12ihipStream_tbDpT10_ENKUlT_T0_E_clISt17integral_constantIbLb1EES1J_EEDaS1E_S1F_EUlS1E_E_NS1_11comp_targetILNS1_3genE0ELNS1_11target_archE4294967295ELNS1_3gpuE0ELNS1_3repE0EEENS1_30default_config_static_selectorELNS0_4arch9wavefront6targetE1EEEvT1_
		.amdhsa_group_segment_fixed_size 0
		.amdhsa_private_segment_fixed_size 0
		.amdhsa_kernarg_size 152
		.amdhsa_user_sgpr_count 6
		.amdhsa_user_sgpr_private_segment_buffer 1
		.amdhsa_user_sgpr_dispatch_ptr 0
		.amdhsa_user_sgpr_queue_ptr 0
		.amdhsa_user_sgpr_kernarg_segment_ptr 1
		.amdhsa_user_sgpr_dispatch_id 0
		.amdhsa_user_sgpr_flat_scratch_init 0
		.amdhsa_user_sgpr_kernarg_preload_length 0
		.amdhsa_user_sgpr_kernarg_preload_offset 0
		.amdhsa_user_sgpr_private_segment_size 0
		.amdhsa_uses_dynamic_stack 0
		.amdhsa_system_sgpr_private_segment_wavefront_offset 0
		.amdhsa_system_sgpr_workgroup_id_x 1
		.amdhsa_system_sgpr_workgroup_id_y 0
		.amdhsa_system_sgpr_workgroup_id_z 0
		.amdhsa_system_sgpr_workgroup_info 0
		.amdhsa_system_vgpr_workitem_id 0
		.amdhsa_next_free_vgpr 1
		.amdhsa_next_free_sgpr 0
		.amdhsa_accum_offset 4
		.amdhsa_reserve_vcc 0
		.amdhsa_reserve_flat_scratch 0
		.amdhsa_float_round_mode_32 0
		.amdhsa_float_round_mode_16_64 0
		.amdhsa_float_denorm_mode_32 3
		.amdhsa_float_denorm_mode_16_64 3
		.amdhsa_dx10_clamp 1
		.amdhsa_ieee_mode 1
		.amdhsa_fp16_overflow 0
		.amdhsa_tg_split 0
		.amdhsa_exception_fp_ieee_invalid_op 0
		.amdhsa_exception_fp_denorm_src 0
		.amdhsa_exception_fp_ieee_div_zero 0
		.amdhsa_exception_fp_ieee_overflow 0
		.amdhsa_exception_fp_ieee_underflow 0
		.amdhsa_exception_fp_ieee_inexact 0
		.amdhsa_exception_int_div_zero 0
	.end_amdhsa_kernel
	.section	.text._ZN7rocprim17ROCPRIM_400000_NS6detail17trampoline_kernelINS0_14default_configENS1_25partition_config_selectorILNS1_17partition_subalgoE2EsNS0_10empty_typeEbEEZZNS1_14partition_implILS5_2ELb0ES3_jN6thrust23THRUST_200600_302600_NS6detail15normal_iteratorINSA_7pointerIsNSA_11hip_rocprim3tagENSA_11use_defaultESG_EEEEPS6_NSA_18transform_iteratorI10is_orderedNSA_12zip_iteratorINSA_5tupleINSC_INSA_10device_ptrIsEEEESQ_NSA_9null_typeESR_SR_SR_SR_SR_SR_SR_EEEESG_SG_EENS0_5tupleIJPsSJ_EEENSV_IJSJ_SJ_EEES6_PlJS6_EEE10hipError_tPvRmT3_T4_T5_T6_T7_T9_mT8_P12ihipStream_tbDpT10_ENKUlT_T0_E_clISt17integral_constantIbLb1EES1J_EEDaS1E_S1F_EUlS1E_E_NS1_11comp_targetILNS1_3genE0ELNS1_11target_archE4294967295ELNS1_3gpuE0ELNS1_3repE0EEENS1_30default_config_static_selectorELNS0_4arch9wavefront6targetE1EEEvT1_,"axG",@progbits,_ZN7rocprim17ROCPRIM_400000_NS6detail17trampoline_kernelINS0_14default_configENS1_25partition_config_selectorILNS1_17partition_subalgoE2EsNS0_10empty_typeEbEEZZNS1_14partition_implILS5_2ELb0ES3_jN6thrust23THRUST_200600_302600_NS6detail15normal_iteratorINSA_7pointerIsNSA_11hip_rocprim3tagENSA_11use_defaultESG_EEEEPS6_NSA_18transform_iteratorI10is_orderedNSA_12zip_iteratorINSA_5tupleINSC_INSA_10device_ptrIsEEEESQ_NSA_9null_typeESR_SR_SR_SR_SR_SR_SR_EEEESG_SG_EENS0_5tupleIJPsSJ_EEENSV_IJSJ_SJ_EEES6_PlJS6_EEE10hipError_tPvRmT3_T4_T5_T6_T7_T9_mT8_P12ihipStream_tbDpT10_ENKUlT_T0_E_clISt17integral_constantIbLb1EES1J_EEDaS1E_S1F_EUlS1E_E_NS1_11comp_targetILNS1_3genE0ELNS1_11target_archE4294967295ELNS1_3gpuE0ELNS1_3repE0EEENS1_30default_config_static_selectorELNS0_4arch9wavefront6targetE1EEEvT1_,comdat
.Lfunc_end3634:
	.size	_ZN7rocprim17ROCPRIM_400000_NS6detail17trampoline_kernelINS0_14default_configENS1_25partition_config_selectorILNS1_17partition_subalgoE2EsNS0_10empty_typeEbEEZZNS1_14partition_implILS5_2ELb0ES3_jN6thrust23THRUST_200600_302600_NS6detail15normal_iteratorINSA_7pointerIsNSA_11hip_rocprim3tagENSA_11use_defaultESG_EEEEPS6_NSA_18transform_iteratorI10is_orderedNSA_12zip_iteratorINSA_5tupleINSC_INSA_10device_ptrIsEEEESQ_NSA_9null_typeESR_SR_SR_SR_SR_SR_SR_EEEESG_SG_EENS0_5tupleIJPsSJ_EEENSV_IJSJ_SJ_EEES6_PlJS6_EEE10hipError_tPvRmT3_T4_T5_T6_T7_T9_mT8_P12ihipStream_tbDpT10_ENKUlT_T0_E_clISt17integral_constantIbLb1EES1J_EEDaS1E_S1F_EUlS1E_E_NS1_11comp_targetILNS1_3genE0ELNS1_11target_archE4294967295ELNS1_3gpuE0ELNS1_3repE0EEENS1_30default_config_static_selectorELNS0_4arch9wavefront6targetE1EEEvT1_, .Lfunc_end3634-_ZN7rocprim17ROCPRIM_400000_NS6detail17trampoline_kernelINS0_14default_configENS1_25partition_config_selectorILNS1_17partition_subalgoE2EsNS0_10empty_typeEbEEZZNS1_14partition_implILS5_2ELb0ES3_jN6thrust23THRUST_200600_302600_NS6detail15normal_iteratorINSA_7pointerIsNSA_11hip_rocprim3tagENSA_11use_defaultESG_EEEEPS6_NSA_18transform_iteratorI10is_orderedNSA_12zip_iteratorINSA_5tupleINSC_INSA_10device_ptrIsEEEESQ_NSA_9null_typeESR_SR_SR_SR_SR_SR_SR_EEEESG_SG_EENS0_5tupleIJPsSJ_EEENSV_IJSJ_SJ_EEES6_PlJS6_EEE10hipError_tPvRmT3_T4_T5_T6_T7_T9_mT8_P12ihipStream_tbDpT10_ENKUlT_T0_E_clISt17integral_constantIbLb1EES1J_EEDaS1E_S1F_EUlS1E_E_NS1_11comp_targetILNS1_3genE0ELNS1_11target_archE4294967295ELNS1_3gpuE0ELNS1_3repE0EEENS1_30default_config_static_selectorELNS0_4arch9wavefront6targetE1EEEvT1_
                                        ; -- End function
	.section	.AMDGPU.csdata,"",@progbits
; Kernel info:
; codeLenInByte = 0
; NumSgprs: 4
; NumVgprs: 0
; NumAgprs: 0
; TotalNumVgprs: 0
; ScratchSize: 0
; MemoryBound: 0
; FloatMode: 240
; IeeeMode: 1
; LDSByteSize: 0 bytes/workgroup (compile time only)
; SGPRBlocks: 0
; VGPRBlocks: 0
; NumSGPRsForWavesPerEU: 4
; NumVGPRsForWavesPerEU: 1
; AccumOffset: 4
; Occupancy: 8
; WaveLimiterHint : 0
; COMPUTE_PGM_RSRC2:SCRATCH_EN: 0
; COMPUTE_PGM_RSRC2:USER_SGPR: 6
; COMPUTE_PGM_RSRC2:TRAP_HANDLER: 0
; COMPUTE_PGM_RSRC2:TGID_X_EN: 1
; COMPUTE_PGM_RSRC2:TGID_Y_EN: 0
; COMPUTE_PGM_RSRC2:TGID_Z_EN: 0
; COMPUTE_PGM_RSRC2:TIDIG_COMP_CNT: 0
; COMPUTE_PGM_RSRC3_GFX90A:ACCUM_OFFSET: 0
; COMPUTE_PGM_RSRC3_GFX90A:TG_SPLIT: 0
	.section	.text._ZN7rocprim17ROCPRIM_400000_NS6detail17trampoline_kernelINS0_14default_configENS1_25partition_config_selectorILNS1_17partition_subalgoE2EsNS0_10empty_typeEbEEZZNS1_14partition_implILS5_2ELb0ES3_jN6thrust23THRUST_200600_302600_NS6detail15normal_iteratorINSA_7pointerIsNSA_11hip_rocprim3tagENSA_11use_defaultESG_EEEEPS6_NSA_18transform_iteratorI10is_orderedNSA_12zip_iteratorINSA_5tupleINSC_INSA_10device_ptrIsEEEESQ_NSA_9null_typeESR_SR_SR_SR_SR_SR_SR_EEEESG_SG_EENS0_5tupleIJPsSJ_EEENSV_IJSJ_SJ_EEES6_PlJS6_EEE10hipError_tPvRmT3_T4_T5_T6_T7_T9_mT8_P12ihipStream_tbDpT10_ENKUlT_T0_E_clISt17integral_constantIbLb1EES1J_EEDaS1E_S1F_EUlS1E_E_NS1_11comp_targetILNS1_3genE5ELNS1_11target_archE942ELNS1_3gpuE9ELNS1_3repE0EEENS1_30default_config_static_selectorELNS0_4arch9wavefront6targetE1EEEvT1_,"axG",@progbits,_ZN7rocprim17ROCPRIM_400000_NS6detail17trampoline_kernelINS0_14default_configENS1_25partition_config_selectorILNS1_17partition_subalgoE2EsNS0_10empty_typeEbEEZZNS1_14partition_implILS5_2ELb0ES3_jN6thrust23THRUST_200600_302600_NS6detail15normal_iteratorINSA_7pointerIsNSA_11hip_rocprim3tagENSA_11use_defaultESG_EEEEPS6_NSA_18transform_iteratorI10is_orderedNSA_12zip_iteratorINSA_5tupleINSC_INSA_10device_ptrIsEEEESQ_NSA_9null_typeESR_SR_SR_SR_SR_SR_SR_EEEESG_SG_EENS0_5tupleIJPsSJ_EEENSV_IJSJ_SJ_EEES6_PlJS6_EEE10hipError_tPvRmT3_T4_T5_T6_T7_T9_mT8_P12ihipStream_tbDpT10_ENKUlT_T0_E_clISt17integral_constantIbLb1EES1J_EEDaS1E_S1F_EUlS1E_E_NS1_11comp_targetILNS1_3genE5ELNS1_11target_archE942ELNS1_3gpuE9ELNS1_3repE0EEENS1_30default_config_static_selectorELNS0_4arch9wavefront6targetE1EEEvT1_,comdat
	.protected	_ZN7rocprim17ROCPRIM_400000_NS6detail17trampoline_kernelINS0_14default_configENS1_25partition_config_selectorILNS1_17partition_subalgoE2EsNS0_10empty_typeEbEEZZNS1_14partition_implILS5_2ELb0ES3_jN6thrust23THRUST_200600_302600_NS6detail15normal_iteratorINSA_7pointerIsNSA_11hip_rocprim3tagENSA_11use_defaultESG_EEEEPS6_NSA_18transform_iteratorI10is_orderedNSA_12zip_iteratorINSA_5tupleINSC_INSA_10device_ptrIsEEEESQ_NSA_9null_typeESR_SR_SR_SR_SR_SR_SR_EEEESG_SG_EENS0_5tupleIJPsSJ_EEENSV_IJSJ_SJ_EEES6_PlJS6_EEE10hipError_tPvRmT3_T4_T5_T6_T7_T9_mT8_P12ihipStream_tbDpT10_ENKUlT_T0_E_clISt17integral_constantIbLb1EES1J_EEDaS1E_S1F_EUlS1E_E_NS1_11comp_targetILNS1_3genE5ELNS1_11target_archE942ELNS1_3gpuE9ELNS1_3repE0EEENS1_30default_config_static_selectorELNS0_4arch9wavefront6targetE1EEEvT1_ ; -- Begin function _ZN7rocprim17ROCPRIM_400000_NS6detail17trampoline_kernelINS0_14default_configENS1_25partition_config_selectorILNS1_17partition_subalgoE2EsNS0_10empty_typeEbEEZZNS1_14partition_implILS5_2ELb0ES3_jN6thrust23THRUST_200600_302600_NS6detail15normal_iteratorINSA_7pointerIsNSA_11hip_rocprim3tagENSA_11use_defaultESG_EEEEPS6_NSA_18transform_iteratorI10is_orderedNSA_12zip_iteratorINSA_5tupleINSC_INSA_10device_ptrIsEEEESQ_NSA_9null_typeESR_SR_SR_SR_SR_SR_SR_EEEESG_SG_EENS0_5tupleIJPsSJ_EEENSV_IJSJ_SJ_EEES6_PlJS6_EEE10hipError_tPvRmT3_T4_T5_T6_T7_T9_mT8_P12ihipStream_tbDpT10_ENKUlT_T0_E_clISt17integral_constantIbLb1EES1J_EEDaS1E_S1F_EUlS1E_E_NS1_11comp_targetILNS1_3genE5ELNS1_11target_archE942ELNS1_3gpuE9ELNS1_3repE0EEENS1_30default_config_static_selectorELNS0_4arch9wavefront6targetE1EEEvT1_
	.globl	_ZN7rocprim17ROCPRIM_400000_NS6detail17trampoline_kernelINS0_14default_configENS1_25partition_config_selectorILNS1_17partition_subalgoE2EsNS0_10empty_typeEbEEZZNS1_14partition_implILS5_2ELb0ES3_jN6thrust23THRUST_200600_302600_NS6detail15normal_iteratorINSA_7pointerIsNSA_11hip_rocprim3tagENSA_11use_defaultESG_EEEEPS6_NSA_18transform_iteratorI10is_orderedNSA_12zip_iteratorINSA_5tupleINSC_INSA_10device_ptrIsEEEESQ_NSA_9null_typeESR_SR_SR_SR_SR_SR_SR_EEEESG_SG_EENS0_5tupleIJPsSJ_EEENSV_IJSJ_SJ_EEES6_PlJS6_EEE10hipError_tPvRmT3_T4_T5_T6_T7_T9_mT8_P12ihipStream_tbDpT10_ENKUlT_T0_E_clISt17integral_constantIbLb1EES1J_EEDaS1E_S1F_EUlS1E_E_NS1_11comp_targetILNS1_3genE5ELNS1_11target_archE942ELNS1_3gpuE9ELNS1_3repE0EEENS1_30default_config_static_selectorELNS0_4arch9wavefront6targetE1EEEvT1_
	.p2align	8
	.type	_ZN7rocprim17ROCPRIM_400000_NS6detail17trampoline_kernelINS0_14default_configENS1_25partition_config_selectorILNS1_17partition_subalgoE2EsNS0_10empty_typeEbEEZZNS1_14partition_implILS5_2ELb0ES3_jN6thrust23THRUST_200600_302600_NS6detail15normal_iteratorINSA_7pointerIsNSA_11hip_rocprim3tagENSA_11use_defaultESG_EEEEPS6_NSA_18transform_iteratorI10is_orderedNSA_12zip_iteratorINSA_5tupleINSC_INSA_10device_ptrIsEEEESQ_NSA_9null_typeESR_SR_SR_SR_SR_SR_SR_EEEESG_SG_EENS0_5tupleIJPsSJ_EEENSV_IJSJ_SJ_EEES6_PlJS6_EEE10hipError_tPvRmT3_T4_T5_T6_T7_T9_mT8_P12ihipStream_tbDpT10_ENKUlT_T0_E_clISt17integral_constantIbLb1EES1J_EEDaS1E_S1F_EUlS1E_E_NS1_11comp_targetILNS1_3genE5ELNS1_11target_archE942ELNS1_3gpuE9ELNS1_3repE0EEENS1_30default_config_static_selectorELNS0_4arch9wavefront6targetE1EEEvT1_,@function
_ZN7rocprim17ROCPRIM_400000_NS6detail17trampoline_kernelINS0_14default_configENS1_25partition_config_selectorILNS1_17partition_subalgoE2EsNS0_10empty_typeEbEEZZNS1_14partition_implILS5_2ELb0ES3_jN6thrust23THRUST_200600_302600_NS6detail15normal_iteratorINSA_7pointerIsNSA_11hip_rocprim3tagENSA_11use_defaultESG_EEEEPS6_NSA_18transform_iteratorI10is_orderedNSA_12zip_iteratorINSA_5tupleINSC_INSA_10device_ptrIsEEEESQ_NSA_9null_typeESR_SR_SR_SR_SR_SR_SR_EEEESG_SG_EENS0_5tupleIJPsSJ_EEENSV_IJSJ_SJ_EEES6_PlJS6_EEE10hipError_tPvRmT3_T4_T5_T6_T7_T9_mT8_P12ihipStream_tbDpT10_ENKUlT_T0_E_clISt17integral_constantIbLb1EES1J_EEDaS1E_S1F_EUlS1E_E_NS1_11comp_targetILNS1_3genE5ELNS1_11target_archE942ELNS1_3gpuE9ELNS1_3repE0EEENS1_30default_config_static_selectorELNS0_4arch9wavefront6targetE1EEEvT1_: ; @_ZN7rocprim17ROCPRIM_400000_NS6detail17trampoline_kernelINS0_14default_configENS1_25partition_config_selectorILNS1_17partition_subalgoE2EsNS0_10empty_typeEbEEZZNS1_14partition_implILS5_2ELb0ES3_jN6thrust23THRUST_200600_302600_NS6detail15normal_iteratorINSA_7pointerIsNSA_11hip_rocprim3tagENSA_11use_defaultESG_EEEEPS6_NSA_18transform_iteratorI10is_orderedNSA_12zip_iteratorINSA_5tupleINSC_INSA_10device_ptrIsEEEESQ_NSA_9null_typeESR_SR_SR_SR_SR_SR_SR_EEEESG_SG_EENS0_5tupleIJPsSJ_EEENSV_IJSJ_SJ_EEES6_PlJS6_EEE10hipError_tPvRmT3_T4_T5_T6_T7_T9_mT8_P12ihipStream_tbDpT10_ENKUlT_T0_E_clISt17integral_constantIbLb1EES1J_EEDaS1E_S1F_EUlS1E_E_NS1_11comp_targetILNS1_3genE5ELNS1_11target_archE942ELNS1_3gpuE9ELNS1_3repE0EEENS1_30default_config_static_selectorELNS0_4arch9wavefront6targetE1EEEvT1_
; %bb.0:
	.section	.rodata,"a",@progbits
	.p2align	6, 0x0
	.amdhsa_kernel _ZN7rocprim17ROCPRIM_400000_NS6detail17trampoline_kernelINS0_14default_configENS1_25partition_config_selectorILNS1_17partition_subalgoE2EsNS0_10empty_typeEbEEZZNS1_14partition_implILS5_2ELb0ES3_jN6thrust23THRUST_200600_302600_NS6detail15normal_iteratorINSA_7pointerIsNSA_11hip_rocprim3tagENSA_11use_defaultESG_EEEEPS6_NSA_18transform_iteratorI10is_orderedNSA_12zip_iteratorINSA_5tupleINSC_INSA_10device_ptrIsEEEESQ_NSA_9null_typeESR_SR_SR_SR_SR_SR_SR_EEEESG_SG_EENS0_5tupleIJPsSJ_EEENSV_IJSJ_SJ_EEES6_PlJS6_EEE10hipError_tPvRmT3_T4_T5_T6_T7_T9_mT8_P12ihipStream_tbDpT10_ENKUlT_T0_E_clISt17integral_constantIbLb1EES1J_EEDaS1E_S1F_EUlS1E_E_NS1_11comp_targetILNS1_3genE5ELNS1_11target_archE942ELNS1_3gpuE9ELNS1_3repE0EEENS1_30default_config_static_selectorELNS0_4arch9wavefront6targetE1EEEvT1_
		.amdhsa_group_segment_fixed_size 0
		.amdhsa_private_segment_fixed_size 0
		.amdhsa_kernarg_size 152
		.amdhsa_user_sgpr_count 6
		.amdhsa_user_sgpr_private_segment_buffer 1
		.amdhsa_user_sgpr_dispatch_ptr 0
		.amdhsa_user_sgpr_queue_ptr 0
		.amdhsa_user_sgpr_kernarg_segment_ptr 1
		.amdhsa_user_sgpr_dispatch_id 0
		.amdhsa_user_sgpr_flat_scratch_init 0
		.amdhsa_user_sgpr_kernarg_preload_length 0
		.amdhsa_user_sgpr_kernarg_preload_offset 0
		.amdhsa_user_sgpr_private_segment_size 0
		.amdhsa_uses_dynamic_stack 0
		.amdhsa_system_sgpr_private_segment_wavefront_offset 0
		.amdhsa_system_sgpr_workgroup_id_x 1
		.amdhsa_system_sgpr_workgroup_id_y 0
		.amdhsa_system_sgpr_workgroup_id_z 0
		.amdhsa_system_sgpr_workgroup_info 0
		.amdhsa_system_vgpr_workitem_id 0
		.amdhsa_next_free_vgpr 1
		.amdhsa_next_free_sgpr 0
		.amdhsa_accum_offset 4
		.amdhsa_reserve_vcc 0
		.amdhsa_reserve_flat_scratch 0
		.amdhsa_float_round_mode_32 0
		.amdhsa_float_round_mode_16_64 0
		.amdhsa_float_denorm_mode_32 3
		.amdhsa_float_denorm_mode_16_64 3
		.amdhsa_dx10_clamp 1
		.amdhsa_ieee_mode 1
		.amdhsa_fp16_overflow 0
		.amdhsa_tg_split 0
		.amdhsa_exception_fp_ieee_invalid_op 0
		.amdhsa_exception_fp_denorm_src 0
		.amdhsa_exception_fp_ieee_div_zero 0
		.amdhsa_exception_fp_ieee_overflow 0
		.amdhsa_exception_fp_ieee_underflow 0
		.amdhsa_exception_fp_ieee_inexact 0
		.amdhsa_exception_int_div_zero 0
	.end_amdhsa_kernel
	.section	.text._ZN7rocprim17ROCPRIM_400000_NS6detail17trampoline_kernelINS0_14default_configENS1_25partition_config_selectorILNS1_17partition_subalgoE2EsNS0_10empty_typeEbEEZZNS1_14partition_implILS5_2ELb0ES3_jN6thrust23THRUST_200600_302600_NS6detail15normal_iteratorINSA_7pointerIsNSA_11hip_rocprim3tagENSA_11use_defaultESG_EEEEPS6_NSA_18transform_iteratorI10is_orderedNSA_12zip_iteratorINSA_5tupleINSC_INSA_10device_ptrIsEEEESQ_NSA_9null_typeESR_SR_SR_SR_SR_SR_SR_EEEESG_SG_EENS0_5tupleIJPsSJ_EEENSV_IJSJ_SJ_EEES6_PlJS6_EEE10hipError_tPvRmT3_T4_T5_T6_T7_T9_mT8_P12ihipStream_tbDpT10_ENKUlT_T0_E_clISt17integral_constantIbLb1EES1J_EEDaS1E_S1F_EUlS1E_E_NS1_11comp_targetILNS1_3genE5ELNS1_11target_archE942ELNS1_3gpuE9ELNS1_3repE0EEENS1_30default_config_static_selectorELNS0_4arch9wavefront6targetE1EEEvT1_,"axG",@progbits,_ZN7rocprim17ROCPRIM_400000_NS6detail17trampoline_kernelINS0_14default_configENS1_25partition_config_selectorILNS1_17partition_subalgoE2EsNS0_10empty_typeEbEEZZNS1_14partition_implILS5_2ELb0ES3_jN6thrust23THRUST_200600_302600_NS6detail15normal_iteratorINSA_7pointerIsNSA_11hip_rocprim3tagENSA_11use_defaultESG_EEEEPS6_NSA_18transform_iteratorI10is_orderedNSA_12zip_iteratorINSA_5tupleINSC_INSA_10device_ptrIsEEEESQ_NSA_9null_typeESR_SR_SR_SR_SR_SR_SR_EEEESG_SG_EENS0_5tupleIJPsSJ_EEENSV_IJSJ_SJ_EEES6_PlJS6_EEE10hipError_tPvRmT3_T4_T5_T6_T7_T9_mT8_P12ihipStream_tbDpT10_ENKUlT_T0_E_clISt17integral_constantIbLb1EES1J_EEDaS1E_S1F_EUlS1E_E_NS1_11comp_targetILNS1_3genE5ELNS1_11target_archE942ELNS1_3gpuE9ELNS1_3repE0EEENS1_30default_config_static_selectorELNS0_4arch9wavefront6targetE1EEEvT1_,comdat
.Lfunc_end3635:
	.size	_ZN7rocprim17ROCPRIM_400000_NS6detail17trampoline_kernelINS0_14default_configENS1_25partition_config_selectorILNS1_17partition_subalgoE2EsNS0_10empty_typeEbEEZZNS1_14partition_implILS5_2ELb0ES3_jN6thrust23THRUST_200600_302600_NS6detail15normal_iteratorINSA_7pointerIsNSA_11hip_rocprim3tagENSA_11use_defaultESG_EEEEPS6_NSA_18transform_iteratorI10is_orderedNSA_12zip_iteratorINSA_5tupleINSC_INSA_10device_ptrIsEEEESQ_NSA_9null_typeESR_SR_SR_SR_SR_SR_SR_EEEESG_SG_EENS0_5tupleIJPsSJ_EEENSV_IJSJ_SJ_EEES6_PlJS6_EEE10hipError_tPvRmT3_T4_T5_T6_T7_T9_mT8_P12ihipStream_tbDpT10_ENKUlT_T0_E_clISt17integral_constantIbLb1EES1J_EEDaS1E_S1F_EUlS1E_E_NS1_11comp_targetILNS1_3genE5ELNS1_11target_archE942ELNS1_3gpuE9ELNS1_3repE0EEENS1_30default_config_static_selectorELNS0_4arch9wavefront6targetE1EEEvT1_, .Lfunc_end3635-_ZN7rocprim17ROCPRIM_400000_NS6detail17trampoline_kernelINS0_14default_configENS1_25partition_config_selectorILNS1_17partition_subalgoE2EsNS0_10empty_typeEbEEZZNS1_14partition_implILS5_2ELb0ES3_jN6thrust23THRUST_200600_302600_NS6detail15normal_iteratorINSA_7pointerIsNSA_11hip_rocprim3tagENSA_11use_defaultESG_EEEEPS6_NSA_18transform_iteratorI10is_orderedNSA_12zip_iteratorINSA_5tupleINSC_INSA_10device_ptrIsEEEESQ_NSA_9null_typeESR_SR_SR_SR_SR_SR_SR_EEEESG_SG_EENS0_5tupleIJPsSJ_EEENSV_IJSJ_SJ_EEES6_PlJS6_EEE10hipError_tPvRmT3_T4_T5_T6_T7_T9_mT8_P12ihipStream_tbDpT10_ENKUlT_T0_E_clISt17integral_constantIbLb1EES1J_EEDaS1E_S1F_EUlS1E_E_NS1_11comp_targetILNS1_3genE5ELNS1_11target_archE942ELNS1_3gpuE9ELNS1_3repE0EEENS1_30default_config_static_selectorELNS0_4arch9wavefront6targetE1EEEvT1_
                                        ; -- End function
	.section	.AMDGPU.csdata,"",@progbits
; Kernel info:
; codeLenInByte = 0
; NumSgprs: 4
; NumVgprs: 0
; NumAgprs: 0
; TotalNumVgprs: 0
; ScratchSize: 0
; MemoryBound: 0
; FloatMode: 240
; IeeeMode: 1
; LDSByteSize: 0 bytes/workgroup (compile time only)
; SGPRBlocks: 0
; VGPRBlocks: 0
; NumSGPRsForWavesPerEU: 4
; NumVGPRsForWavesPerEU: 1
; AccumOffset: 4
; Occupancy: 8
; WaveLimiterHint : 0
; COMPUTE_PGM_RSRC2:SCRATCH_EN: 0
; COMPUTE_PGM_RSRC2:USER_SGPR: 6
; COMPUTE_PGM_RSRC2:TRAP_HANDLER: 0
; COMPUTE_PGM_RSRC2:TGID_X_EN: 1
; COMPUTE_PGM_RSRC2:TGID_Y_EN: 0
; COMPUTE_PGM_RSRC2:TGID_Z_EN: 0
; COMPUTE_PGM_RSRC2:TIDIG_COMP_CNT: 0
; COMPUTE_PGM_RSRC3_GFX90A:ACCUM_OFFSET: 0
; COMPUTE_PGM_RSRC3_GFX90A:TG_SPLIT: 0
	.section	.text._ZN7rocprim17ROCPRIM_400000_NS6detail17trampoline_kernelINS0_14default_configENS1_25partition_config_selectorILNS1_17partition_subalgoE2EsNS0_10empty_typeEbEEZZNS1_14partition_implILS5_2ELb0ES3_jN6thrust23THRUST_200600_302600_NS6detail15normal_iteratorINSA_7pointerIsNSA_11hip_rocprim3tagENSA_11use_defaultESG_EEEEPS6_NSA_18transform_iteratorI10is_orderedNSA_12zip_iteratorINSA_5tupleINSC_INSA_10device_ptrIsEEEESQ_NSA_9null_typeESR_SR_SR_SR_SR_SR_SR_EEEESG_SG_EENS0_5tupleIJPsSJ_EEENSV_IJSJ_SJ_EEES6_PlJS6_EEE10hipError_tPvRmT3_T4_T5_T6_T7_T9_mT8_P12ihipStream_tbDpT10_ENKUlT_T0_E_clISt17integral_constantIbLb1EES1J_EEDaS1E_S1F_EUlS1E_E_NS1_11comp_targetILNS1_3genE4ELNS1_11target_archE910ELNS1_3gpuE8ELNS1_3repE0EEENS1_30default_config_static_selectorELNS0_4arch9wavefront6targetE1EEEvT1_,"axG",@progbits,_ZN7rocprim17ROCPRIM_400000_NS6detail17trampoline_kernelINS0_14default_configENS1_25partition_config_selectorILNS1_17partition_subalgoE2EsNS0_10empty_typeEbEEZZNS1_14partition_implILS5_2ELb0ES3_jN6thrust23THRUST_200600_302600_NS6detail15normal_iteratorINSA_7pointerIsNSA_11hip_rocprim3tagENSA_11use_defaultESG_EEEEPS6_NSA_18transform_iteratorI10is_orderedNSA_12zip_iteratorINSA_5tupleINSC_INSA_10device_ptrIsEEEESQ_NSA_9null_typeESR_SR_SR_SR_SR_SR_SR_EEEESG_SG_EENS0_5tupleIJPsSJ_EEENSV_IJSJ_SJ_EEES6_PlJS6_EEE10hipError_tPvRmT3_T4_T5_T6_T7_T9_mT8_P12ihipStream_tbDpT10_ENKUlT_T0_E_clISt17integral_constantIbLb1EES1J_EEDaS1E_S1F_EUlS1E_E_NS1_11comp_targetILNS1_3genE4ELNS1_11target_archE910ELNS1_3gpuE8ELNS1_3repE0EEENS1_30default_config_static_selectorELNS0_4arch9wavefront6targetE1EEEvT1_,comdat
	.protected	_ZN7rocprim17ROCPRIM_400000_NS6detail17trampoline_kernelINS0_14default_configENS1_25partition_config_selectorILNS1_17partition_subalgoE2EsNS0_10empty_typeEbEEZZNS1_14partition_implILS5_2ELb0ES3_jN6thrust23THRUST_200600_302600_NS6detail15normal_iteratorINSA_7pointerIsNSA_11hip_rocprim3tagENSA_11use_defaultESG_EEEEPS6_NSA_18transform_iteratorI10is_orderedNSA_12zip_iteratorINSA_5tupleINSC_INSA_10device_ptrIsEEEESQ_NSA_9null_typeESR_SR_SR_SR_SR_SR_SR_EEEESG_SG_EENS0_5tupleIJPsSJ_EEENSV_IJSJ_SJ_EEES6_PlJS6_EEE10hipError_tPvRmT3_T4_T5_T6_T7_T9_mT8_P12ihipStream_tbDpT10_ENKUlT_T0_E_clISt17integral_constantIbLb1EES1J_EEDaS1E_S1F_EUlS1E_E_NS1_11comp_targetILNS1_3genE4ELNS1_11target_archE910ELNS1_3gpuE8ELNS1_3repE0EEENS1_30default_config_static_selectorELNS0_4arch9wavefront6targetE1EEEvT1_ ; -- Begin function _ZN7rocprim17ROCPRIM_400000_NS6detail17trampoline_kernelINS0_14default_configENS1_25partition_config_selectorILNS1_17partition_subalgoE2EsNS0_10empty_typeEbEEZZNS1_14partition_implILS5_2ELb0ES3_jN6thrust23THRUST_200600_302600_NS6detail15normal_iteratorINSA_7pointerIsNSA_11hip_rocprim3tagENSA_11use_defaultESG_EEEEPS6_NSA_18transform_iteratorI10is_orderedNSA_12zip_iteratorINSA_5tupleINSC_INSA_10device_ptrIsEEEESQ_NSA_9null_typeESR_SR_SR_SR_SR_SR_SR_EEEESG_SG_EENS0_5tupleIJPsSJ_EEENSV_IJSJ_SJ_EEES6_PlJS6_EEE10hipError_tPvRmT3_T4_T5_T6_T7_T9_mT8_P12ihipStream_tbDpT10_ENKUlT_T0_E_clISt17integral_constantIbLb1EES1J_EEDaS1E_S1F_EUlS1E_E_NS1_11comp_targetILNS1_3genE4ELNS1_11target_archE910ELNS1_3gpuE8ELNS1_3repE0EEENS1_30default_config_static_selectorELNS0_4arch9wavefront6targetE1EEEvT1_
	.globl	_ZN7rocprim17ROCPRIM_400000_NS6detail17trampoline_kernelINS0_14default_configENS1_25partition_config_selectorILNS1_17partition_subalgoE2EsNS0_10empty_typeEbEEZZNS1_14partition_implILS5_2ELb0ES3_jN6thrust23THRUST_200600_302600_NS6detail15normal_iteratorINSA_7pointerIsNSA_11hip_rocprim3tagENSA_11use_defaultESG_EEEEPS6_NSA_18transform_iteratorI10is_orderedNSA_12zip_iteratorINSA_5tupleINSC_INSA_10device_ptrIsEEEESQ_NSA_9null_typeESR_SR_SR_SR_SR_SR_SR_EEEESG_SG_EENS0_5tupleIJPsSJ_EEENSV_IJSJ_SJ_EEES6_PlJS6_EEE10hipError_tPvRmT3_T4_T5_T6_T7_T9_mT8_P12ihipStream_tbDpT10_ENKUlT_T0_E_clISt17integral_constantIbLb1EES1J_EEDaS1E_S1F_EUlS1E_E_NS1_11comp_targetILNS1_3genE4ELNS1_11target_archE910ELNS1_3gpuE8ELNS1_3repE0EEENS1_30default_config_static_selectorELNS0_4arch9wavefront6targetE1EEEvT1_
	.p2align	8
	.type	_ZN7rocprim17ROCPRIM_400000_NS6detail17trampoline_kernelINS0_14default_configENS1_25partition_config_selectorILNS1_17partition_subalgoE2EsNS0_10empty_typeEbEEZZNS1_14partition_implILS5_2ELb0ES3_jN6thrust23THRUST_200600_302600_NS6detail15normal_iteratorINSA_7pointerIsNSA_11hip_rocprim3tagENSA_11use_defaultESG_EEEEPS6_NSA_18transform_iteratorI10is_orderedNSA_12zip_iteratorINSA_5tupleINSC_INSA_10device_ptrIsEEEESQ_NSA_9null_typeESR_SR_SR_SR_SR_SR_SR_EEEESG_SG_EENS0_5tupleIJPsSJ_EEENSV_IJSJ_SJ_EEES6_PlJS6_EEE10hipError_tPvRmT3_T4_T5_T6_T7_T9_mT8_P12ihipStream_tbDpT10_ENKUlT_T0_E_clISt17integral_constantIbLb1EES1J_EEDaS1E_S1F_EUlS1E_E_NS1_11comp_targetILNS1_3genE4ELNS1_11target_archE910ELNS1_3gpuE8ELNS1_3repE0EEENS1_30default_config_static_selectorELNS0_4arch9wavefront6targetE1EEEvT1_,@function
_ZN7rocprim17ROCPRIM_400000_NS6detail17trampoline_kernelINS0_14default_configENS1_25partition_config_selectorILNS1_17partition_subalgoE2EsNS0_10empty_typeEbEEZZNS1_14partition_implILS5_2ELb0ES3_jN6thrust23THRUST_200600_302600_NS6detail15normal_iteratorINSA_7pointerIsNSA_11hip_rocprim3tagENSA_11use_defaultESG_EEEEPS6_NSA_18transform_iteratorI10is_orderedNSA_12zip_iteratorINSA_5tupleINSC_INSA_10device_ptrIsEEEESQ_NSA_9null_typeESR_SR_SR_SR_SR_SR_SR_EEEESG_SG_EENS0_5tupleIJPsSJ_EEENSV_IJSJ_SJ_EEES6_PlJS6_EEE10hipError_tPvRmT3_T4_T5_T6_T7_T9_mT8_P12ihipStream_tbDpT10_ENKUlT_T0_E_clISt17integral_constantIbLb1EES1J_EEDaS1E_S1F_EUlS1E_E_NS1_11comp_targetILNS1_3genE4ELNS1_11target_archE910ELNS1_3gpuE8ELNS1_3repE0EEENS1_30default_config_static_selectorELNS0_4arch9wavefront6targetE1EEEvT1_: ; @_ZN7rocprim17ROCPRIM_400000_NS6detail17trampoline_kernelINS0_14default_configENS1_25partition_config_selectorILNS1_17partition_subalgoE2EsNS0_10empty_typeEbEEZZNS1_14partition_implILS5_2ELb0ES3_jN6thrust23THRUST_200600_302600_NS6detail15normal_iteratorINSA_7pointerIsNSA_11hip_rocprim3tagENSA_11use_defaultESG_EEEEPS6_NSA_18transform_iteratorI10is_orderedNSA_12zip_iteratorINSA_5tupleINSC_INSA_10device_ptrIsEEEESQ_NSA_9null_typeESR_SR_SR_SR_SR_SR_SR_EEEESG_SG_EENS0_5tupleIJPsSJ_EEENSV_IJSJ_SJ_EEES6_PlJS6_EEE10hipError_tPvRmT3_T4_T5_T6_T7_T9_mT8_P12ihipStream_tbDpT10_ENKUlT_T0_E_clISt17integral_constantIbLb1EES1J_EEDaS1E_S1F_EUlS1E_E_NS1_11comp_targetILNS1_3genE4ELNS1_11target_archE910ELNS1_3gpuE8ELNS1_3repE0EEENS1_30default_config_static_selectorELNS0_4arch9wavefront6targetE1EEEvT1_
; %bb.0:
	s_load_dwordx2 s[24:25], s[4:5], 0x38
	s_load_dwordx4 s[20:23], s[4:5], 0x58
	s_load_dwordx2 s[26:27], s[4:5], 0x68
	s_load_dwordx2 s[34:35], s[4:5], 0x78
	v_cmp_eq_u32_e64 s[0:1], 0, v0
	s_and_saveexec_b64 s[2:3], s[0:1]
	s_cbranch_execz .LBB3636_4
; %bb.1:
	s_mov_b64 s[8:9], exec
	v_mbcnt_lo_u32_b32 v1, s8, 0
	v_mbcnt_hi_u32_b32 v1, s9, v1
	v_cmp_eq_u32_e32 vcc, 0, v1
                                        ; implicit-def: $vgpr2
	s_and_saveexec_b64 s[6:7], vcc
	s_cbranch_execz .LBB3636_3
; %bb.2:
	s_load_dwordx2 s[10:11], s[4:5], 0x88
	s_bcnt1_i32_b64 s8, s[8:9]
	v_mov_b32_e32 v2, 0
	v_mov_b32_e32 v3, s8
	s_waitcnt lgkmcnt(0)
	global_atomic_add v2, v2, v3, s[10:11] glc
.LBB3636_3:
	s_or_b64 exec, exec, s[6:7]
	s_waitcnt vmcnt(0)
	v_readfirstlane_b32 s6, v2
	v_add_u32_e32 v1, s6, v1
	v_mov_b32_e32 v2, 0
	ds_write_b32 v2, v1
.LBB3636_4:
	s_or_b64 exec, exec, s[2:3]
	v_mov_b32_e32 v1, 0
	s_load_dwordx4 s[16:19], s[4:5], 0x8
	s_load_dwordx4 s[8:11], s[4:5], 0x20
	s_load_dword s2, s[4:5], 0x80
	s_waitcnt lgkmcnt(0)
	s_barrier
	ds_read_b32 v2, v1
	s_waitcnt lgkmcnt(0)
	s_barrier
	global_load_dwordx2 v[12:13], v1, s[22:23]
	s_lshl_b64 s[4:5], s[18:19], 1
	s_add_u32 s12, s16, s4
	s_addc_u32 s13, s17, s5
	s_add_i32 s6, s2, -1
	s_mulk_i32 s2, 0x1400
	s_add_i32 s3, s2, s18
	s_sub_i32 s33, s26, s3
	s_addk_i32 s33, 0x1400
	s_add_u32 s2, s18, s2
	v_readfirstlane_b32 s42, v2
	s_addc_u32 s3, s19, 0
	s_cmp_eq_u32 s42, s6
	v_pk_mov_b32 v[2:3], s[26:27], s[26:27] op_sel:[0,1]
	s_cselect_b64 s[22:23], -1, 0
	s_cmp_lg_u32 s42, s6
	s_mul_i32 s28, s42, 0x1400
	s_mov_b32 s29, 0
	v_cmp_lt_u64_e32 vcc, s[2:3], v[2:3]
	s_cselect_b64 s[2:3], -1, 0
	s_or_b64 s[30:31], vcc, s[2:3]
	s_lshl_b64 s[6:7], s[28:29], 1
	s_add_u32 s14, s12, s6
	s_addc_u32 s15, s13, s7
	s_mov_b64 s[2:3], -1
	s_and_b64 vcc, exec, s[30:31]
	v_lshlrev_b32_e32 v1, 1, v0
	s_cbranch_vccz .LBB3636_6
; %bb.5:
	v_mov_b32_e32 v3, s15
	v_add_co_u32_e32 v2, vcc, s14, v1
	v_addc_co_u32_e32 v3, vcc, 0, v3, vcc
	v_add_co_u32_e32 v4, vcc, 0x1000, v2
	v_addc_co_u32_e32 v5, vcc, 0, v3, vcc
	flat_load_ushort v6, v[2:3]
	flat_load_ushort v7, v[2:3] offset:512
	flat_load_ushort v8, v[2:3] offset:1024
	;; [unrolled: 1-line block ×7, first 2 shown]
	v_add_co_u32_e32 v2, vcc, 0x2000, v2
	v_addc_co_u32_e32 v3, vcc, 0, v3, vcc
	flat_load_ushort v16, v[4:5]
	flat_load_ushort v17, v[4:5] offset:512
	flat_load_ushort v18, v[4:5] offset:1024
	;; [unrolled: 1-line block ×7, first 2 shown]
	s_nop 0
	flat_load_ushort v4, v[2:3]
	flat_load_ushort v5, v[2:3] offset:512
	flat_load_ushort v24, v[2:3] offset:1024
	;; [unrolled: 1-line block ×3, first 2 shown]
	s_mov_b64 s[2:3], 0
	s_waitcnt vmcnt(0) lgkmcnt(0)
	ds_write_b16 v1, v6
	ds_write_b16 v1, v7 offset:512
	ds_write_b16 v1, v8 offset:1024
	;; [unrolled: 1-line block ×19, first 2 shown]
	s_waitcnt lgkmcnt(0)
	s_barrier
.LBB3636_6:
	s_andn2_b64 vcc, exec, s[2:3]
	v_cmp_gt_u32_e64 s[2:3], s33, v0
	s_cbranch_vccnz .LBB3636_48
; %bb.7:
                                        ; implicit-def: $vgpr2
	s_and_saveexec_b64 s[12:13], s[2:3]
	s_cbranch_execz .LBB3636_9
; %bb.8:
	v_mov_b32_e32 v3, s15
	v_add_co_u32_e32 v2, vcc, s14, v1
	v_addc_co_u32_e32 v3, vcc, 0, v3, vcc
	flat_load_ushort v2, v[2:3]
.LBB3636_9:
	s_or_b64 exec, exec, s[12:13]
	v_or_b32_e32 v3, 0x100, v0
	v_cmp_gt_u32_e32 vcc, s33, v3
                                        ; implicit-def: $vgpr3
	s_and_saveexec_b64 s[2:3], vcc
	s_cbranch_execz .LBB3636_11
; %bb.10:
	v_mov_b32_e32 v3, s15
	v_add_co_u32_e32 v4, vcc, s14, v1
	v_addc_co_u32_e32 v5, vcc, 0, v3, vcc
	flat_load_ushort v3, v[4:5] offset:512
.LBB3636_11:
	s_or_b64 exec, exec, s[2:3]
	v_or_b32_e32 v4, 0x200, v0
	v_cmp_gt_u32_e32 vcc, s33, v4
                                        ; implicit-def: $vgpr4
	s_and_saveexec_b64 s[2:3], vcc
	s_cbranch_execz .LBB3636_13
; %bb.12:
	v_mov_b32_e32 v5, s15
	v_add_co_u32_e32 v4, vcc, s14, v1
	v_addc_co_u32_e32 v5, vcc, 0, v5, vcc
	flat_load_ushort v4, v[4:5] offset:1024
.LBB3636_13:
	s_or_b64 exec, exec, s[2:3]
	v_or_b32_e32 v5, 0x300, v0
	v_cmp_gt_u32_e32 vcc, s33, v5
                                        ; implicit-def: $vgpr5
	s_and_saveexec_b64 s[2:3], vcc
	s_cbranch_execz .LBB3636_15
; %bb.14:
	v_mov_b32_e32 v5, s15
	v_add_co_u32_e32 v6, vcc, s14, v1
	v_addc_co_u32_e32 v7, vcc, 0, v5, vcc
	flat_load_ushort v5, v[6:7] offset:1536
.LBB3636_15:
	s_or_b64 exec, exec, s[2:3]
	v_or_b32_e32 v6, 0x400, v0
	v_cmp_gt_u32_e32 vcc, s33, v6
                                        ; implicit-def: $vgpr6
	s_and_saveexec_b64 s[2:3], vcc
	s_cbranch_execz .LBB3636_17
; %bb.16:
	v_mov_b32_e32 v7, s15
	v_add_co_u32_e32 v6, vcc, s14, v1
	v_addc_co_u32_e32 v7, vcc, 0, v7, vcc
	flat_load_ushort v6, v[6:7] offset:2048
.LBB3636_17:
	s_or_b64 exec, exec, s[2:3]
	v_or_b32_e32 v7, 0x500, v0
	v_cmp_gt_u32_e32 vcc, s33, v7
                                        ; implicit-def: $vgpr7
	s_and_saveexec_b64 s[2:3], vcc
	s_cbranch_execz .LBB3636_19
; %bb.18:
	v_mov_b32_e32 v7, s15
	v_add_co_u32_e32 v8, vcc, s14, v1
	v_addc_co_u32_e32 v9, vcc, 0, v7, vcc
	flat_load_ushort v7, v[8:9] offset:2560
.LBB3636_19:
	s_or_b64 exec, exec, s[2:3]
	v_or_b32_e32 v8, 0x600, v0
	v_cmp_gt_u32_e32 vcc, s33, v8
                                        ; implicit-def: $vgpr8
	s_and_saveexec_b64 s[2:3], vcc
	s_cbranch_execz .LBB3636_21
; %bb.20:
	v_mov_b32_e32 v9, s15
	v_add_co_u32_e32 v8, vcc, s14, v1
	v_addc_co_u32_e32 v9, vcc, 0, v9, vcc
	flat_load_ushort v8, v[8:9] offset:3072
.LBB3636_21:
	s_or_b64 exec, exec, s[2:3]
	v_or_b32_e32 v9, 0x700, v0
	v_cmp_gt_u32_e32 vcc, s33, v9
                                        ; implicit-def: $vgpr9
	s_and_saveexec_b64 s[2:3], vcc
	s_cbranch_execz .LBB3636_23
; %bb.22:
	v_mov_b32_e32 v9, s15
	v_add_co_u32_e32 v10, vcc, s14, v1
	v_addc_co_u32_e32 v11, vcc, 0, v9, vcc
	flat_load_ushort v9, v[10:11] offset:3584
.LBB3636_23:
	s_or_b64 exec, exec, s[2:3]
	v_or_b32_e32 v11, 0x800, v0
	v_cmp_gt_u32_e32 vcc, s33, v11
                                        ; implicit-def: $vgpr10
	s_and_saveexec_b64 s[2:3], vcc
	s_cbranch_execz .LBB3636_25
; %bb.24:
	v_lshlrev_b32_e32 v10, 1, v11
	v_mov_b32_e32 v11, s15
	v_add_co_u32_e32 v10, vcc, s14, v10
	v_addc_co_u32_e32 v11, vcc, 0, v11, vcc
	flat_load_ushort v10, v[10:11]
.LBB3636_25:
	s_or_b64 exec, exec, s[2:3]
	v_or_b32_e32 v14, 0x900, v0
	v_cmp_gt_u32_e32 vcc, s33, v14
                                        ; implicit-def: $vgpr11
	s_and_saveexec_b64 s[2:3], vcc
	s_cbranch_execz .LBB3636_27
; %bb.26:
	v_lshlrev_b32_e32 v11, 1, v14
	v_mov_b32_e32 v15, s15
	v_add_co_u32_e32 v14, vcc, s14, v11
	v_addc_co_u32_e32 v15, vcc, 0, v15, vcc
	flat_load_ushort v11, v[14:15]
.LBB3636_27:
	s_or_b64 exec, exec, s[2:3]
	v_or_b32_e32 v15, 0xa00, v0
	v_cmp_gt_u32_e32 vcc, s33, v15
                                        ; implicit-def: $vgpr14
	s_and_saveexec_b64 s[2:3], vcc
	s_cbranch_execz .LBB3636_29
; %bb.28:
	v_lshlrev_b32_e32 v14, 1, v15
	v_mov_b32_e32 v15, s15
	v_add_co_u32_e32 v14, vcc, s14, v14
	v_addc_co_u32_e32 v15, vcc, 0, v15, vcc
	flat_load_ushort v14, v[14:15]
.LBB3636_29:
	s_or_b64 exec, exec, s[2:3]
	v_or_b32_e32 v16, 0xb00, v0
	v_cmp_gt_u32_e32 vcc, s33, v16
                                        ; implicit-def: $vgpr15
	s_and_saveexec_b64 s[2:3], vcc
	s_cbranch_execz .LBB3636_31
; %bb.30:
	v_lshlrev_b32_e32 v15, 1, v16
	v_mov_b32_e32 v17, s15
	v_add_co_u32_e32 v16, vcc, s14, v15
	v_addc_co_u32_e32 v17, vcc, 0, v17, vcc
	flat_load_ushort v15, v[16:17]
.LBB3636_31:
	s_or_b64 exec, exec, s[2:3]
	v_or_b32_e32 v17, 0xc00, v0
	v_cmp_gt_u32_e32 vcc, s33, v17
                                        ; implicit-def: $vgpr16
	s_and_saveexec_b64 s[2:3], vcc
	s_cbranch_execz .LBB3636_33
; %bb.32:
	v_lshlrev_b32_e32 v16, 1, v17
	v_mov_b32_e32 v17, s15
	v_add_co_u32_e32 v16, vcc, s14, v16
	v_addc_co_u32_e32 v17, vcc, 0, v17, vcc
	flat_load_ushort v16, v[16:17]
.LBB3636_33:
	s_or_b64 exec, exec, s[2:3]
	v_or_b32_e32 v18, 0xd00, v0
	v_cmp_gt_u32_e32 vcc, s33, v18
                                        ; implicit-def: $vgpr17
	s_and_saveexec_b64 s[2:3], vcc
	s_cbranch_execz .LBB3636_35
; %bb.34:
	v_lshlrev_b32_e32 v17, 1, v18
	v_mov_b32_e32 v19, s15
	v_add_co_u32_e32 v18, vcc, s14, v17
	v_addc_co_u32_e32 v19, vcc, 0, v19, vcc
	flat_load_ushort v17, v[18:19]
.LBB3636_35:
	s_or_b64 exec, exec, s[2:3]
	v_or_b32_e32 v19, 0xe00, v0
	v_cmp_gt_u32_e32 vcc, s33, v19
                                        ; implicit-def: $vgpr18
	s_and_saveexec_b64 s[2:3], vcc
	s_cbranch_execz .LBB3636_37
; %bb.36:
	v_lshlrev_b32_e32 v18, 1, v19
	v_mov_b32_e32 v19, s15
	v_add_co_u32_e32 v18, vcc, s14, v18
	v_addc_co_u32_e32 v19, vcc, 0, v19, vcc
	flat_load_ushort v18, v[18:19]
.LBB3636_37:
	s_or_b64 exec, exec, s[2:3]
	v_or_b32_e32 v20, 0xf00, v0
	v_cmp_gt_u32_e32 vcc, s33, v20
                                        ; implicit-def: $vgpr19
	s_and_saveexec_b64 s[2:3], vcc
	s_cbranch_execz .LBB3636_39
; %bb.38:
	v_lshlrev_b32_e32 v19, 1, v20
	v_mov_b32_e32 v21, s15
	v_add_co_u32_e32 v20, vcc, s14, v19
	v_addc_co_u32_e32 v21, vcc, 0, v21, vcc
	flat_load_ushort v19, v[20:21]
.LBB3636_39:
	s_or_b64 exec, exec, s[2:3]
	v_or_b32_e32 v21, 0x1000, v0
	v_cmp_gt_u32_e32 vcc, s33, v21
                                        ; implicit-def: $vgpr20
	s_and_saveexec_b64 s[2:3], vcc
	s_cbranch_execz .LBB3636_41
; %bb.40:
	v_lshlrev_b32_e32 v20, 1, v21
	v_mov_b32_e32 v21, s15
	v_add_co_u32_e32 v20, vcc, s14, v20
	v_addc_co_u32_e32 v21, vcc, 0, v21, vcc
	flat_load_ushort v20, v[20:21]
.LBB3636_41:
	s_or_b64 exec, exec, s[2:3]
	v_or_b32_e32 v22, 0x1100, v0
	v_cmp_gt_u32_e32 vcc, s33, v22
                                        ; implicit-def: $vgpr21
	s_and_saveexec_b64 s[2:3], vcc
	s_cbranch_execz .LBB3636_43
; %bb.42:
	v_lshlrev_b32_e32 v21, 1, v22
	v_mov_b32_e32 v23, s15
	v_add_co_u32_e32 v22, vcc, s14, v21
	v_addc_co_u32_e32 v23, vcc, 0, v23, vcc
	flat_load_ushort v21, v[22:23]
.LBB3636_43:
	s_or_b64 exec, exec, s[2:3]
	v_or_b32_e32 v23, 0x1200, v0
	v_cmp_gt_u32_e32 vcc, s33, v23
                                        ; implicit-def: $vgpr22
	s_and_saveexec_b64 s[2:3], vcc
	s_cbranch_execz .LBB3636_45
; %bb.44:
	v_lshlrev_b32_e32 v22, 1, v23
	v_mov_b32_e32 v23, s15
	v_add_co_u32_e32 v22, vcc, s14, v22
	v_addc_co_u32_e32 v23, vcc, 0, v23, vcc
	flat_load_ushort v22, v[22:23]
.LBB3636_45:
	s_or_b64 exec, exec, s[2:3]
	v_or_b32_e32 v24, 0x1300, v0
	v_cmp_gt_u32_e32 vcc, s33, v24
                                        ; implicit-def: $vgpr23
	s_and_saveexec_b64 s[2:3], vcc
	s_cbranch_execz .LBB3636_47
; %bb.46:
	v_lshlrev_b32_e32 v23, 1, v24
	v_mov_b32_e32 v25, s15
	v_add_co_u32_e32 v24, vcc, s14, v23
	v_addc_co_u32_e32 v25, vcc, 0, v25, vcc
	flat_load_ushort v23, v[24:25]
.LBB3636_47:
	s_or_b64 exec, exec, s[2:3]
	s_waitcnt vmcnt(0) lgkmcnt(0)
	ds_write_b16 v1, v2
	ds_write_b16 v1, v3 offset:512
	ds_write_b16 v1, v4 offset:1024
	;; [unrolled: 1-line block ×19, first 2 shown]
	s_waitcnt lgkmcnt(0)
	s_barrier
.LBB3636_48:
	s_add_u32 s2, s8, s4
	v_mul_u32_u24_e32 v28, 20, v0
	s_addc_u32 s3, s9, s5
	v_lshlrev_b32_e32 v6, 1, v28
	s_add_u32 s4, s10, s4
	ds_read_b64 v[14:15], v6 offset:32
	ds_read2_b64 v[2:5], v6 offset0:2 offset1:3
	ds_read2_b64 v[6:9], v6 offset1:1
	s_addc_u32 s5, s11, s5
	s_add_u32 s2, s2, s6
	s_addc_u32 s3, s3, s7
	s_add_u32 s4, s4, s6
	s_addc_u32 s5, s5, s7
	s_mov_b64 s[6:7], -1
	s_and_b64 vcc, exec, s[30:31]
	s_waitcnt lgkmcnt(0)
	s_barrier
	s_cbranch_vccz .LBB3636_50
; %bb.49:
	v_mov_b32_e32 v10, s3
	v_add_co_u32_e32 v16, vcc, s2, v1
	v_addc_co_u32_e32 v17, vcc, 0, v10, vcc
	v_mov_b32_e32 v10, s5
	v_add_co_u32_e32 v20, vcc, s4, v1
	v_addc_co_u32_e32 v21, vcc, 0, v10, vcc
	s_movk_i32 s6, 0x1000
	v_add_co_u32_e32 v10, vcc, s6, v16
	v_addc_co_u32_e32 v11, vcc, 0, v17, vcc
	s_movk_i32 s7, 0x2000
	v_add_co_u32_e32 v16, vcc, s7, v16
	global_load_ushort v22, v1, s[2:3]
	global_load_ushort v23, v1, s[2:3] offset:512
	global_load_ushort v24, v1, s[2:3] offset:1024
	global_load_ushort v25, v1, s[2:3] offset:1536
	global_load_ushort v26, v1, s[2:3] offset:2048
	global_load_ushort v27, v1, s[2:3] offset:2560
	global_load_ushort v29, v1, s[2:3] offset:3072
	global_load_ushort v30, v1, s[2:3] offset:3584
	global_load_ushort v31, v1, s[4:5]
	global_load_ushort v32, v1, s[4:5] offset:512
	global_load_ushort v33, v1, s[4:5] offset:1024
	;; [unrolled: 1-line block ×7, first 2 shown]
	v_addc_co_u32_e32 v17, vcc, 0, v17, vcc
	global_load_ushort v39, v[16:17], off offset:-4096
	v_add_co_u32_e32 v18, vcc, s6, v20
	v_addc_co_u32_e32 v19, vcc, 0, v21, vcc
	v_add_co_u32_e32 v20, vcc, s7, v20
	v_addc_co_u32_e32 v21, vcc, 0, v21, vcc
	global_load_ushort v40, v[20:21], off offset:-4096
	global_load_ushort v41, v[10:11], off offset:512
	global_load_ushort v42, v[18:19], off offset:512
	;; [unrolled: 1-line block ×14, first 2 shown]
                                        ; kill: killed $vgpr18 killed $vgpr19
                                        ; kill: killed $vgpr10 killed $vgpr11
	s_nop 0
	global_load_ushort v10, v[20:21], off
	global_load_ushort v11, v[16:17], off
	global_load_ushort v18, v[16:17], off offset:512
	global_load_ushort v19, v[20:21], off offset:512
	;; [unrolled: 1-line block ×6, first 2 shown]
	s_mov_b64 s[6:7], 0
	s_waitcnt vmcnt(31)
	v_cmp_le_i16_e32 vcc, v22, v31
	v_cndmask_b32_e64 v16, 0, 1, vcc
	s_waitcnt vmcnt(30)
	v_cmp_le_i16_e32 vcc, v23, v32
	v_cndmask_b32_e64 v17, 0, 1, vcc
	;; [unrolled: 3-line block ×20, first 2 shown]
	ds_write_b8 v0, v16
	ds_write_b8 v0, v17 offset:256
	ds_write_b8 v0, v20 offset:512
	ds_write_b8 v0, v21 offset:768
	ds_write_b8 v0, v22 offset:1024
	ds_write_b8 v0, v23 offset:1280
	ds_write_b8 v0, v24 offset:1536
	ds_write_b8 v0, v25 offset:1792
	ds_write_b8 v0, v26 offset:2048
	ds_write_b8 v0, v27 offset:2304
	ds_write_b8 v0, v29 offset:2560
	ds_write_b8 v0, v30 offset:2816
	ds_write_b8 v0, v31 offset:3072
	ds_write_b8 v0, v32 offset:3328
	ds_write_b8 v0, v33 offset:3584
	ds_write_b8 v0, v34 offset:3840
	ds_write_b8 v0, v10 offset:4096
	ds_write_b8 v0, v11 offset:4352
	ds_write_b8 v0, v18 offset:4608
	ds_write_b8 v0, v19 offset:4864
	s_waitcnt lgkmcnt(0)
	s_barrier
.LBB3636_50:
	s_andn2_b64 vcc, exec, s[6:7]
	s_cbranch_vccnz .LBB3636_92
; %bb.51:
	v_cmp_gt_u32_e32 vcc, s33, v0
	v_mov_b32_e32 v10, 0
	v_mov_b32_e32 v11, 0
	s_and_saveexec_b64 s[6:7], vcc
	s_cbranch_execz .LBB3636_53
; %bb.52:
	global_load_ushort v11, v1, s[2:3]
	global_load_ushort v16, v1, s[4:5]
	s_waitcnt vmcnt(0)
	v_cmp_le_i16_e32 vcc, v11, v16
	v_cndmask_b32_e64 v11, 0, 1, vcc
.LBB3636_53:
	s_or_b64 exec, exec, s[6:7]
	v_or_b32_e32 v16, 0x100, v0
	v_cmp_gt_u32_e32 vcc, s33, v16
	s_and_saveexec_b64 s[6:7], vcc
	s_cbranch_execz .LBB3636_55
; %bb.54:
	global_load_ushort v10, v1, s[2:3] offset:512
	global_load_ushort v16, v1, s[4:5] offset:512
	s_waitcnt vmcnt(0)
	v_cmp_le_i16_e32 vcc, v10, v16
	v_cndmask_b32_e64 v10, 0, 1, vcc
.LBB3636_55:
	s_or_b64 exec, exec, s[6:7]
	v_or_b32_e32 v16, 0x200, v0
	v_cmp_gt_u32_e32 vcc, s33, v16
	v_mov_b32_e32 v16, 0
	v_mov_b32_e32 v17, 0
	s_and_saveexec_b64 s[6:7], vcc
	s_cbranch_execz .LBB3636_57
; %bb.56:
	global_load_ushort v17, v1, s[2:3] offset:1024
	global_load_ushort v18, v1, s[4:5] offset:1024
	s_waitcnt vmcnt(0)
	v_cmp_le_i16_e32 vcc, v17, v18
	v_cndmask_b32_e64 v17, 0, 1, vcc
.LBB3636_57:
	s_or_b64 exec, exec, s[6:7]
	v_or_b32_e32 v18, 0x300, v0
	v_cmp_gt_u32_e32 vcc, s33, v18
	s_and_saveexec_b64 s[6:7], vcc
	s_cbranch_execz .LBB3636_59
; %bb.58:
	global_load_ushort v16, v1, s[2:3] offset:1536
	global_load_ushort v18, v1, s[4:5] offset:1536
	s_waitcnt vmcnt(0)
	v_cmp_le_i16_e32 vcc, v16, v18
	v_cndmask_b32_e64 v16, 0, 1, vcc
.LBB3636_59:
	s_or_b64 exec, exec, s[6:7]
	v_or_b32_e32 v18, 0x400, v0
	v_cmp_gt_u32_e32 vcc, s33, v18
	v_mov_b32_e32 v18, 0
	v_mov_b32_e32 v19, 0
	s_and_saveexec_b64 s[6:7], vcc
	s_cbranch_execz .LBB3636_61
; %bb.60:
	global_load_ushort v19, v1, s[2:3] offset:2048
	global_load_ushort v20, v1, s[4:5] offset:2048
	s_waitcnt vmcnt(0)
	v_cmp_le_i16_e32 vcc, v19, v20
	v_cndmask_b32_e64 v19, 0, 1, vcc
.LBB3636_61:
	s_or_b64 exec, exec, s[6:7]
	v_or_b32_e32 v20, 0x500, v0
	v_cmp_gt_u32_e32 vcc, s33, v20
	s_and_saveexec_b64 s[6:7], vcc
	s_cbranch_execz .LBB3636_63
; %bb.62:
	global_load_ushort v18, v1, s[2:3] offset:2560
	global_load_ushort v20, v1, s[4:5] offset:2560
	s_waitcnt vmcnt(0)
	v_cmp_le_i16_e32 vcc, v18, v20
	v_cndmask_b32_e64 v18, 0, 1, vcc
.LBB3636_63:
	s_or_b64 exec, exec, s[6:7]
	v_or_b32_e32 v20, 0x600, v0
	v_cmp_gt_u32_e32 vcc, s33, v20
	v_mov_b32_e32 v20, 0
	v_mov_b32_e32 v21, 0
	s_and_saveexec_b64 s[6:7], vcc
	s_cbranch_execz .LBB3636_65
; %bb.64:
	global_load_ushort v21, v1, s[2:3] offset:3072
	global_load_ushort v22, v1, s[4:5] offset:3072
	s_waitcnt vmcnt(0)
	v_cmp_le_i16_e32 vcc, v21, v22
	v_cndmask_b32_e64 v21, 0, 1, vcc
.LBB3636_65:
	s_or_b64 exec, exec, s[6:7]
	v_or_b32_e32 v22, 0x700, v0
	v_cmp_gt_u32_e32 vcc, s33, v22
	s_and_saveexec_b64 s[6:7], vcc
	s_cbranch_execz .LBB3636_67
; %bb.66:
	global_load_ushort v20, v1, s[2:3] offset:3584
	global_load_ushort v22, v1, s[4:5] offset:3584
	s_waitcnt vmcnt(0)
	v_cmp_le_i16_e32 vcc, v20, v22
	v_cndmask_b32_e64 v20, 0, 1, vcc
.LBB3636_67:
	s_or_b64 exec, exec, s[6:7]
	v_or_b32_e32 v24, 0x800, v0
	v_cmp_gt_u32_e32 vcc, s33, v24
	v_mov_b32_e32 v22, 0
	v_mov_b32_e32 v23, 0
	s_and_saveexec_b64 s[6:7], vcc
	s_cbranch_execz .LBB3636_69
; %bb.68:
	v_lshlrev_b32_e32 v23, 1, v24
	global_load_ushort v24, v23, s[2:3]
	global_load_ushort v25, v23, s[4:5]
	s_waitcnt vmcnt(0)
	v_cmp_le_i16_e32 vcc, v24, v25
	v_cndmask_b32_e64 v23, 0, 1, vcc
.LBB3636_69:
	s_or_b64 exec, exec, s[6:7]
	v_or_b32_e32 v24, 0x900, v0
	v_cmp_gt_u32_e32 vcc, s33, v24
	s_and_saveexec_b64 s[6:7], vcc
	s_cbranch_execz .LBB3636_71
; %bb.70:
	v_lshlrev_b32_e32 v22, 1, v24
	global_load_ushort v24, v22, s[2:3]
	global_load_ushort v25, v22, s[4:5]
	s_waitcnt vmcnt(0)
	v_cmp_le_i16_e32 vcc, v24, v25
	v_cndmask_b32_e64 v22, 0, 1, vcc
.LBB3636_71:
	s_or_b64 exec, exec, s[6:7]
	v_or_b32_e32 v26, 0xa00, v0
	v_cmp_gt_u32_e32 vcc, s33, v26
	v_mov_b32_e32 v24, 0
	v_mov_b32_e32 v25, 0
	s_and_saveexec_b64 s[6:7], vcc
	s_cbranch_execz .LBB3636_73
; %bb.72:
	v_lshlrev_b32_e32 v25, 1, v26
	global_load_ushort v26, v25, s[2:3]
	global_load_ushort v27, v25, s[4:5]
	s_waitcnt vmcnt(0)
	v_cmp_le_i16_e32 vcc, v26, v27
	v_cndmask_b32_e64 v25, 0, 1, vcc
.LBB3636_73:
	s_or_b64 exec, exec, s[6:7]
	v_or_b32_e32 v26, 0xb00, v0
	v_cmp_gt_u32_e32 vcc, s33, v26
	s_and_saveexec_b64 s[6:7], vcc
	s_cbranch_execz .LBB3636_75
; %bb.74:
	v_lshlrev_b32_e32 v24, 1, v26
	global_load_ushort v26, v24, s[2:3]
	global_load_ushort v27, v24, s[4:5]
	s_waitcnt vmcnt(0)
	v_cmp_le_i16_e32 vcc, v26, v27
	v_cndmask_b32_e64 v24, 0, 1, vcc
.LBB3636_75:
	;; [unrolled: 28-line block ×6, first 2 shown]
	s_or_b64 exec, exec, s[6:7]
	ds_write_b8 v0, v11
	ds_write_b8 v0, v10 offset:256
	ds_write_b8 v0, v17 offset:512
	ds_write_b8 v0, v16 offset:768
	ds_write_b8 v0, v19 offset:1024
	ds_write_b8 v0, v18 offset:1280
	ds_write_b8 v0, v21 offset:1536
	ds_write_b8 v0, v20 offset:1792
	ds_write_b8 v0, v23 offset:2048
	ds_write_b8 v0, v22 offset:2304
	ds_write_b8 v0, v25 offset:2560
	ds_write_b8 v0, v24 offset:2816
	ds_write_b8 v0, v27 offset:3072
	ds_write_b8 v0, v26 offset:3328
	ds_write_b8 v0, v30 offset:3584
	ds_write_b8 v0, v29 offset:3840
	ds_write_b8 v0, v32 offset:4096
	ds_write_b8 v0, v31 offset:4352
	ds_write_b8 v0, v33 offset:4608
	ds_write_b8 v0, v34 offset:4864
	s_waitcnt lgkmcnt(0)
	s_barrier
.LBB3636_92:
	ds_read2_b32 v[18:19], v28 offset1:1
	ds_read2_b32 v[16:17], v28 offset0:2 offset1:3
	ds_read_b32 v30, v28 offset:16
	s_cmp_lg_u32 s42, 0
	v_lshrrev_b32_e32 v49, 6, v0
	s_waitcnt lgkmcnt(2)
	v_lshrrev_b32_e32 v35, 24, v18
	v_bfe_u32 v47, v18, 16, 8
	v_add_u32_sdwa v10, v18, v18 dst_sel:DWORD dst_unused:UNUSED_PAD src0_sel:BYTE_1 src1_sel:BYTE_0
	v_and_b32_e32 v44, 0xff, v19
	v_bfe_u32 v45, v19, 8, 8
	v_add3_u32 v10, v10, v47, v35
	v_lshrrev_b32_e32 v34, 24, v19
	v_bfe_u32 v46, v19, 16, 8
	v_add3_u32 v10, v10, v44, v45
	s_waitcnt lgkmcnt(1)
	v_and_b32_e32 v41, 0xff, v16
	v_bfe_u32 v42, v16, 8, 8
	v_add3_u32 v10, v10, v46, v34
	v_lshrrev_b32_e32 v33, 24, v16
	v_bfe_u32 v43, v16, 16, 8
	v_add3_u32 v10, v10, v41, v42
	v_and_b32_e32 v38, 0xff, v17
	v_bfe_u32 v39, v17, 8, 8
	v_add3_u32 v10, v10, v43, v33
	v_lshrrev_b32_e32 v32, 24, v17
	v_bfe_u32 v40, v17, 16, 8
	v_add3_u32 v10, v10, v38, v39
	s_waitcnt lgkmcnt(0)
	v_and_b32_e32 v36, 0xff, v30
	v_bfe_u32 v37, v30, 8, 8
	v_add3_u32 v10, v10, v40, v32
	v_lshrrev_b32_e32 v29, 24, v30
	v_bfe_u32 v31, v30, 16, 8
	v_add3_u32 v10, v10, v36, v37
	v_add3_u32 v50, v10, v31, v29
	v_mbcnt_lo_u32_b32 v10, -1, 0
	v_mbcnt_hi_u32_b32 v48, -1, v10
	v_and_b32_e32 v10, 15, v48
	v_cmp_eq_u32_e64 s[14:15], 0, v10
	v_cmp_lt_u32_e64 s[12:13], 1, v10
	v_cmp_lt_u32_e64 s[10:11], 3, v10
	;; [unrolled: 1-line block ×3, first 2 shown]
	v_and_b32_e32 v10, 16, v48
	v_cmp_eq_u32_e64 s[6:7], 0, v10
	v_or_b32_e32 v10, 63, v0
	v_cmp_lt_u32_e64 s[2:3], 31, v48
	v_cmp_eq_u32_e64 s[4:5], v10, v0
	s_barrier
	s_cbranch_scc0 .LBB3636_123
; %bb.93:
	v_mov_b32_dpp v10, v50 row_shr:1 row_mask:0xf bank_mask:0xf
	v_cndmask_b32_e64 v10, v10, 0, s[14:15]
	v_add_u32_e32 v10, v10, v50
	s_nop 1
	v_mov_b32_dpp v11, v10 row_shr:2 row_mask:0xf bank_mask:0xf
	v_cndmask_b32_e64 v11, 0, v11, s[12:13]
	v_add_u32_e32 v10, v10, v11
	s_nop 1
	;; [unrolled: 4-line block ×4, first 2 shown]
	v_mov_b32_dpp v11, v10 row_bcast:15 row_mask:0xf bank_mask:0xf
	v_cndmask_b32_e64 v11, v11, 0, s[6:7]
	v_add_u32_e32 v10, v10, v11
	s_nop 1
	v_mov_b32_dpp v11, v10 row_bcast:31 row_mask:0xf bank_mask:0xf
	v_cndmask_b32_e64 v11, 0, v11, s[2:3]
	v_add_u32_e32 v10, v10, v11
	s_and_saveexec_b64 s[16:17], s[4:5]
	s_cbranch_execz .LBB3636_95
; %bb.94:
	v_lshlrev_b32_e32 v11, 2, v49
	ds_write_b32 v11, v10
.LBB3636_95:
	s_or_b64 exec, exec, s[16:17]
	v_cmp_gt_u32_e32 vcc, 4, v0
	s_waitcnt lgkmcnt(0)
	s_barrier
	s_and_saveexec_b64 s[16:17], vcc
	s_cbranch_execz .LBB3636_97
; %bb.96:
	v_lshlrev_b32_e32 v11, 2, v0
	ds_read_b32 v20, v11
	v_and_b32_e32 v21, 3, v48
	v_cmp_ne_u32_e32 vcc, 0, v21
	s_waitcnt lgkmcnt(0)
	v_mov_b32_dpp v22, v20 row_shr:1 row_mask:0xf bank_mask:0xf
	v_cndmask_b32_e32 v22, 0, v22, vcc
	v_add_u32_e32 v20, v22, v20
	v_cmp_lt_u32_e32 vcc, 1, v21
	s_nop 0
	v_mov_b32_dpp v22, v20 row_shr:2 row_mask:0xf bank_mask:0xf
	v_cndmask_b32_e32 v21, 0, v22, vcc
	v_add_u32_e32 v20, v20, v21
	ds_write_b32 v11, v20
.LBB3636_97:
	s_or_b64 exec, exec, s[16:17]
	v_cmp_gt_u32_e32 vcc, 64, v0
	v_cmp_lt_u32_e64 s[16:17], 63, v0
	s_waitcnt lgkmcnt(0)
	s_barrier
	s_waitcnt lgkmcnt(0)
                                        ; implicit-def: $vgpr51
	s_and_saveexec_b64 s[36:37], s[16:17]
	s_cbranch_execz .LBB3636_99
; %bb.98:
	v_lshl_add_u32 v11, v49, 2, -4
	ds_read_b32 v51, v11
	s_waitcnt lgkmcnt(0)
	v_add_u32_e32 v10, v51, v10
.LBB3636_99:
	s_or_b64 exec, exec, s[36:37]
	v_add_u32_e32 v11, -1, v48
	v_and_b32_e32 v20, 64, v48
	v_cmp_lt_i32_e64 s[16:17], v11, v20
	v_cndmask_b32_e64 v11, v11, v48, s[16:17]
	v_lshlrev_b32_e32 v11, 2, v11
	ds_bpermute_b32 v52, v11, v10
	v_cmp_eq_u32_e64 s[16:17], 0, v48
	s_and_saveexec_b64 s[36:37], vcc
	s_cbranch_execz .LBB3636_122
; %bb.100:
	v_mov_b32_e32 v27, 0
	ds_read_b32 v10, v27 offset:12
	s_and_saveexec_b64 s[38:39], s[16:17]
	s_cbranch_execz .LBB3636_102
; %bb.101:
	s_add_i32 s40, s42, 64
	s_mov_b32 s41, 0
	s_lshl_b64 s[40:41], s[40:41], 3
	s_add_u32 s40, s34, s40
	v_mov_b32_e32 v11, 1
	s_addc_u32 s41, s35, s41
	s_waitcnt lgkmcnt(0)
	global_store_dwordx2 v27, v[10:11], s[40:41]
.LBB3636_102:
	s_or_b64 exec, exec, s[38:39]
	v_xad_u32 v20, v48, -1, s42
	v_add_u32_e32 v26, 64, v20
	v_lshlrev_b64 v[22:23], 3, v[26:27]
	v_mov_b32_e32 v11, s35
	v_add_co_u32_e32 v22, vcc, s34, v22
	v_addc_co_u32_e32 v23, vcc, v11, v23, vcc
	global_load_dwordx2 v[24:25], v[22:23], off glc
	s_waitcnt vmcnt(0)
	v_cmp_eq_u16_sdwa s[40:41], v25, v27 src0_sel:BYTE_0 src1_sel:DWORD
	s_and_saveexec_b64 s[38:39], s[40:41]
	s_cbranch_execz .LBB3636_108
; %bb.103:
	s_mov_b32 s29, 1
	s_mov_b64 s[40:41], 0
	v_mov_b32_e32 v11, 0
.LBB3636_104:                           ; =>This Loop Header: Depth=1
                                        ;     Child Loop BB3636_105 Depth 2
	s_max_u32 s43, s29, 1
.LBB3636_105:                           ;   Parent Loop BB3636_104 Depth=1
                                        ; =>  This Inner Loop Header: Depth=2
	s_add_i32 s43, s43, -1
	s_cmp_eq_u32 s43, 0
	s_sleep 1
	s_cbranch_scc0 .LBB3636_105
; %bb.106:                              ;   in Loop: Header=BB3636_104 Depth=1
	global_load_dwordx2 v[24:25], v[22:23], off glc
	s_cmp_lt_u32 s29, 32
	s_cselect_b64 s[44:45], -1, 0
	s_cmp_lg_u64 s[44:45], 0
	s_addc_u32 s29, s29, 0
	s_waitcnt vmcnt(0)
	v_cmp_ne_u16_sdwa s[44:45], v25, v11 src0_sel:BYTE_0 src1_sel:DWORD
	s_or_b64 s[40:41], s[44:45], s[40:41]
	s_andn2_b64 exec, exec, s[40:41]
	s_cbranch_execnz .LBB3636_104
; %bb.107:
	s_or_b64 exec, exec, s[40:41]
.LBB3636_108:
	s_or_b64 exec, exec, s[38:39]
	v_and_b32_e32 v54, 63, v48
	v_mov_b32_e32 v53, 2
	v_cmp_ne_u32_e32 vcc, 63, v54
	v_cmp_eq_u16_sdwa s[38:39], v25, v53 src0_sel:BYTE_0 src1_sel:DWORD
	v_lshlrev_b64 v[22:23], v48, -1
	v_addc_co_u32_e32 v26, vcc, 0, v48, vcc
	v_and_b32_e32 v11, s39, v23
	v_lshlrev_b32_e32 v55, 2, v26
	v_or_b32_e32 v11, 0x80000000, v11
	ds_bpermute_b32 v26, v55, v24
	v_and_b32_e32 v21, s38, v22
	v_ffbl_b32_e32 v11, v11
	v_add_u32_e32 v11, 32, v11
	v_ffbl_b32_e32 v21, v21
	v_min_u32_e32 v11, v21, v11
	v_cmp_lt_u32_e32 vcc, v54, v11
	s_waitcnt lgkmcnt(0)
	v_cndmask_b32_e32 v21, 0, v26, vcc
	v_cmp_gt_u32_e32 vcc, 62, v54
	v_add_u32_e32 v21, v21, v24
	v_cndmask_b32_e64 v24, 0, 1, vcc
	v_lshlrev_b32_e32 v24, 1, v24
	v_add_lshl_u32 v56, v24, v48, 2
	ds_bpermute_b32 v24, v56, v21
	v_add_u32_e32 v57, 2, v54
	v_cmp_le_u32_e32 vcc, v57, v11
	v_add_u32_e32 v59, 4, v54
	v_add_u32_e32 v61, 8, v54
	s_waitcnt lgkmcnt(0)
	v_cndmask_b32_e32 v24, 0, v24, vcc
	v_cmp_gt_u32_e32 vcc, 60, v54
	v_add_u32_e32 v21, v21, v24
	v_cndmask_b32_e64 v24, 0, 1, vcc
	v_lshlrev_b32_e32 v24, 2, v24
	v_add_lshl_u32 v58, v24, v48, 2
	ds_bpermute_b32 v24, v58, v21
	v_cmp_le_u32_e32 vcc, v59, v11
	v_add_u32_e32 v63, 16, v54
	v_add_u32_e32 v65, 32, v54
	s_waitcnt lgkmcnt(0)
	v_cndmask_b32_e32 v24, 0, v24, vcc
	v_cmp_gt_u32_e32 vcc, 56, v54
	v_add_u32_e32 v21, v21, v24
	v_cndmask_b32_e64 v24, 0, 1, vcc
	v_lshlrev_b32_e32 v24, 3, v24
	v_add_lshl_u32 v60, v24, v48, 2
	ds_bpermute_b32 v24, v60, v21
	v_cmp_le_u32_e32 vcc, v61, v11
	s_waitcnt lgkmcnt(0)
	v_cndmask_b32_e32 v24, 0, v24, vcc
	v_cmp_gt_u32_e32 vcc, 48, v54
	v_add_u32_e32 v21, v21, v24
	v_cndmask_b32_e64 v24, 0, 1, vcc
	v_lshlrev_b32_e32 v24, 4, v24
	v_add_lshl_u32 v62, v24, v48, 2
	ds_bpermute_b32 v24, v62, v21
	v_cmp_le_u32_e32 vcc, v63, v11
	;; [unrolled: 9-line block ×3, first 2 shown]
	s_waitcnt lgkmcnt(0)
	v_cndmask_b32_e32 v11, 0, v24, vcc
	v_add_u32_e32 v24, v21, v11
	v_mov_b32_e32 v21, 0
	s_branch .LBB3636_110
.LBB3636_109:                           ;   in Loop: Header=BB3636_110 Depth=1
	s_or_b64 exec, exec, s[38:39]
	v_cmp_eq_u16_sdwa s[38:39], v25, v53 src0_sel:BYTE_0 src1_sel:DWORD
	v_and_b32_e32 v26, s39, v23
	v_or_b32_e32 v26, 0x80000000, v26
	ds_bpermute_b32 v66, v55, v24
	v_and_b32_e32 v27, s38, v22
	v_ffbl_b32_e32 v26, v26
	v_add_u32_e32 v26, 32, v26
	v_ffbl_b32_e32 v27, v27
	v_min_u32_e32 v26, v27, v26
	v_cmp_lt_u32_e32 vcc, v54, v26
	s_waitcnt lgkmcnt(0)
	v_cndmask_b32_e32 v27, 0, v66, vcc
	v_add_u32_e32 v24, v27, v24
	ds_bpermute_b32 v27, v56, v24
	v_cmp_le_u32_e32 vcc, v57, v26
	v_subrev_u32_e32 v20, 64, v20
	s_waitcnt lgkmcnt(0)
	v_cndmask_b32_e32 v27, 0, v27, vcc
	v_add_u32_e32 v24, v24, v27
	ds_bpermute_b32 v27, v58, v24
	v_cmp_le_u32_e32 vcc, v59, v26
	s_waitcnt lgkmcnt(0)
	v_cndmask_b32_e32 v27, 0, v27, vcc
	v_add_u32_e32 v24, v24, v27
	ds_bpermute_b32 v27, v60, v24
	v_cmp_le_u32_e32 vcc, v61, v26
	;; [unrolled: 5-line block ×4, first 2 shown]
	s_waitcnt lgkmcnt(0)
	v_cndmask_b32_e32 v26, 0, v27, vcc
	v_add3_u32 v24, v26, v11, v24
.LBB3636_110:                           ; =>This Loop Header: Depth=1
                                        ;     Child Loop BB3636_113 Depth 2
                                        ;       Child Loop BB3636_114 Depth 3
	v_cmp_ne_u16_sdwa s[38:39], v25, v53 src0_sel:BYTE_0 src1_sel:DWORD
	v_cndmask_b32_e64 v11, 0, 1, s[38:39]
	;;#ASMSTART
	;;#ASMEND
	v_cmp_ne_u32_e32 vcc, 0, v11
	s_cmp_lg_u64 vcc, exec
	v_mov_b32_e32 v11, v24
	s_cbranch_scc1 .LBB3636_117
; %bb.111:                              ;   in Loop: Header=BB3636_110 Depth=1
	v_lshlrev_b64 v[24:25], 3, v[20:21]
	v_mov_b32_e32 v27, s35
	v_add_co_u32_e32 v26, vcc, s34, v24
	v_addc_co_u32_e32 v27, vcc, v27, v25, vcc
	global_load_dwordx2 v[24:25], v[26:27], off glc
	s_waitcnt vmcnt(0)
	v_cmp_eq_u16_sdwa s[40:41], v25, v21 src0_sel:BYTE_0 src1_sel:DWORD
	s_and_saveexec_b64 s[38:39], s[40:41]
	s_cbranch_execz .LBB3636_109
; %bb.112:                              ;   in Loop: Header=BB3636_110 Depth=1
	s_mov_b32 s29, 1
	s_mov_b64 s[40:41], 0
.LBB3636_113:                           ;   Parent Loop BB3636_110 Depth=1
                                        ; =>  This Loop Header: Depth=2
                                        ;       Child Loop BB3636_114 Depth 3
	s_max_u32 s43, s29, 1
.LBB3636_114:                           ;   Parent Loop BB3636_110 Depth=1
                                        ;     Parent Loop BB3636_113 Depth=2
                                        ; =>    This Inner Loop Header: Depth=3
	s_add_i32 s43, s43, -1
	s_cmp_eq_u32 s43, 0
	s_sleep 1
	s_cbranch_scc0 .LBB3636_114
; %bb.115:                              ;   in Loop: Header=BB3636_113 Depth=2
	global_load_dwordx2 v[24:25], v[26:27], off glc
	s_cmp_lt_u32 s29, 32
	s_cselect_b64 s[44:45], -1, 0
	s_cmp_lg_u64 s[44:45], 0
	s_addc_u32 s29, s29, 0
	s_waitcnt vmcnt(0)
	v_cmp_ne_u16_sdwa s[44:45], v25, v21 src0_sel:BYTE_0 src1_sel:DWORD
	s_or_b64 s[40:41], s[44:45], s[40:41]
	s_andn2_b64 exec, exec, s[40:41]
	s_cbranch_execnz .LBB3636_113
; %bb.116:                              ;   in Loop: Header=BB3636_110 Depth=1
	s_or_b64 exec, exec, s[40:41]
	s_branch .LBB3636_109
.LBB3636_117:                           ;   in Loop: Header=BB3636_110 Depth=1
                                        ; implicit-def: $vgpr24
                                        ; implicit-def: $vgpr25
	s_cbranch_execz .LBB3636_110
; %bb.118:
	s_and_saveexec_b64 s[38:39], s[16:17]
	s_cbranch_execz .LBB3636_120
; %bb.119:
	s_add_i32 s40, s42, 64
	s_mov_b32 s41, 0
	s_lshl_b64 s[40:41], s[40:41], 3
	s_add_u32 s40, s34, s40
	v_add_u32_e32 v20, v11, v10
	v_mov_b32_e32 v21, 2
	s_addc_u32 s41, s35, s41
	v_mov_b32_e32 v22, 0
	global_store_dwordx2 v22, v[20:21], s[40:41]
	ds_write_b64 v22, v[10:11] offset:10240
.LBB3636_120:
	s_or_b64 exec, exec, s[38:39]
	s_and_b64 exec, exec, s[0:1]
	s_cbranch_execz .LBB3636_122
; %bb.121:
	v_mov_b32_e32 v10, 0
	ds_write_b32 v10, v11 offset:12
.LBB3636_122:
	s_or_b64 exec, exec, s[36:37]
	v_mov_b32_e32 v10, 0
	s_waitcnt lgkmcnt(0)
	s_barrier
	ds_read_b32 v20, v10 offset:12
	s_waitcnt lgkmcnt(0)
	s_barrier
	ds_read_b64 v[10:11], v10 offset:10240
	v_cndmask_b32_e64 v21, v52, v51, s[16:17]
	v_cndmask_b32_e64 v21, v21, 0, s[0:1]
	v_add_u32_e32 v24, v20, v21
	s_branch .LBB3636_133
.LBB3636_123:
                                        ; implicit-def: $vgpr11
                                        ; implicit-def: $vgpr24
	s_cbranch_execz .LBB3636_133
; %bb.124:
	s_waitcnt lgkmcnt(0)
	v_mov_b32_dpp v10, v50 row_shr:1 row_mask:0xf bank_mask:0xf
	v_cndmask_b32_e64 v10, v10, 0, s[14:15]
	v_add_u32_e32 v10, v10, v50
	s_nop 1
	v_mov_b32_dpp v11, v10 row_shr:2 row_mask:0xf bank_mask:0xf
	v_cndmask_b32_e64 v11, 0, v11, s[12:13]
	v_add_u32_e32 v10, v10, v11
	s_nop 1
	;; [unrolled: 4-line block ×4, first 2 shown]
	v_mov_b32_dpp v11, v10 row_bcast:15 row_mask:0xf bank_mask:0xf
	v_cndmask_b32_e64 v11, v11, 0, s[6:7]
	v_add_u32_e32 v10, v10, v11
	s_nop 1
	v_mov_b32_dpp v11, v10 row_bcast:31 row_mask:0xf bank_mask:0xf
	v_cndmask_b32_e64 v11, 0, v11, s[2:3]
	v_add_u32_e32 v10, v10, v11
	s_and_saveexec_b64 s[2:3], s[4:5]
	s_cbranch_execz .LBB3636_126
; %bb.125:
	v_lshlrev_b32_e32 v11, 2, v49
	ds_write_b32 v11, v10
.LBB3636_126:
	s_or_b64 exec, exec, s[2:3]
	v_cmp_gt_u32_e32 vcc, 4, v0
	s_waitcnt lgkmcnt(0)
	s_barrier
	s_and_saveexec_b64 s[2:3], vcc
	s_cbranch_execz .LBB3636_128
; %bb.127:
	v_lshlrev_b32_e32 v11, 2, v0
	ds_read_b32 v20, v11
	v_and_b32_e32 v21, 3, v48
	v_cmp_ne_u32_e32 vcc, 0, v21
	s_waitcnt lgkmcnt(0)
	v_mov_b32_dpp v22, v20 row_shr:1 row_mask:0xf bank_mask:0xf
	v_cndmask_b32_e32 v22, 0, v22, vcc
	v_add_u32_e32 v20, v22, v20
	v_cmp_lt_u32_e32 vcc, 1, v21
	s_nop 0
	v_mov_b32_dpp v22, v20 row_shr:2 row_mask:0xf bank_mask:0xf
	v_cndmask_b32_e32 v21, 0, v22, vcc
	v_add_u32_e32 v20, v20, v21
	ds_write_b32 v11, v20
.LBB3636_128:
	s_or_b64 exec, exec, s[2:3]
	v_cmp_lt_u32_e32 vcc, 63, v0
	v_mov_b32_e32 v11, 0
	v_mov_b32_e32 v20, 0
	s_waitcnt lgkmcnt(0)
	s_barrier
	s_and_saveexec_b64 s[2:3], vcc
	s_cbranch_execz .LBB3636_130
; %bb.129:
	v_lshl_add_u32 v20, v49, 2, -4
	ds_read_b32 v20, v20
.LBB3636_130:
	s_or_b64 exec, exec, s[2:3]
	v_add_u32_e32 v21, -1, v48
	v_and_b32_e32 v22, 64, v48
	v_cmp_lt_i32_e32 vcc, v21, v22
	v_cndmask_b32_e32 v21, v21, v48, vcc
	s_waitcnt lgkmcnt(0)
	v_add_u32_e32 v10, v20, v10
	v_lshlrev_b32_e32 v21, 2, v21
	ds_bpermute_b32 v21, v21, v10
	ds_read_b32 v10, v11 offset:12
	s_and_saveexec_b64 s[2:3], s[0:1]
	s_cbranch_execz .LBB3636_132
; %bb.131:
	v_mov_b32_e32 v22, 0
	v_mov_b32_e32 v11, 2
	s_waitcnt lgkmcnt(0)
	global_store_dwordx2 v22, v[10:11], s[34:35] offset:512
.LBB3636_132:
	s_or_b64 exec, exec, s[2:3]
	v_cmp_eq_u32_e32 vcc, 0, v48
	s_waitcnt lgkmcnt(1)
	v_cndmask_b32_e32 v20, v21, v20, vcc
	v_mov_b32_e32 v11, 0
	v_cndmask_b32_e64 v24, v20, 0, s[0:1]
	s_waitcnt lgkmcnt(0)
	s_barrier
.LBB3636_133:
	v_add_u32_sdwa v26, v24, v18 dst_sel:DWORD dst_unused:UNUSED_PAD src0_sel:DWORD src1_sel:BYTE_0
	s_waitcnt lgkmcnt(0)
	v_add_u32_e32 v28, v10, v28
	v_sub_u32_e32 v24, v24, v11
	v_and_b32_e32 v53, 1, v18
	v_sub_u32_e32 v52, v28, v24
	v_cmp_eq_u32_e32 vcc, 1, v53
	v_cndmask_b32_e32 v24, v52, v24, vcc
	v_lshlrev_b32_e32 v24, 1, v24
	v_lshrrev_b32_e32 v25, 8, v18
	ds_write_b16 v24, v6
	v_sub_u32_e32 v24, v26, v11
	v_add_u32_sdwa v27, v26, v18 dst_sel:DWORD dst_unused:UNUSED_PAD src0_sel:DWORD src1_sel:BYTE_1
	v_sub_u32_e32 v26, v28, v24
	v_and_b32_e32 v25, 1, v25
	v_add_u32_e32 v26, 1, v26
	v_cmp_eq_u32_e32 vcc, 1, v25
	v_cndmask_b32_e32 v24, v26, v24, vcc
	v_lshlrev_b32_e32 v24, 1, v24
	ds_write_b16_d16_hi v24, v6
	v_sub_u32_e32 v6, v27, v11
	v_mov_b32_e32 v25, 1
	v_sub_u32_e32 v24, v28, v6
	v_and_b32_sdwa v18, v25, v18 dst_sel:DWORD dst_unused:UNUSED_PAD src0_sel:DWORD src1_sel:WORD_1
	v_add_u32_e32 v24, 2, v24
	v_cmp_eq_u32_e32 vcc, 1, v18
	v_cndmask_b32_e32 v6, v24, v6, vcc
	v_add_u32_e32 v47, v27, v47
	v_lshlrev_b32_e32 v6, 1, v6
	ds_write_b16 v6, v7
	v_sub_u32_e32 v6, v47, v11
	v_sub_u32_e32 v18, v28, v6
	v_and_b32_e32 v24, 1, v35
	v_add_u32_e32 v18, 3, v18
	v_cmp_eq_u32_e32 vcc, 1, v24
	v_cndmask_b32_e32 v6, v18, v6, vcc
	v_add_u32_e32 v48, v47, v35
	v_lshlrev_b32_e32 v6, 1, v6
	ds_write_b16_d16_hi v6, v7
	v_sub_u32_e32 v6, v48, v11
	v_sub_u32_e32 v7, v28, v6
	v_and_b32_e32 v18, 1, v19
	v_add_u32_e32 v7, 4, v7
	v_cmp_eq_u32_e32 vcc, 1, v18
	v_cndmask_b32_e32 v6, v7, v6, vcc
	v_add_u32_e32 v44, v48, v44
	v_lshlrev_b32_e32 v6, 1, v6
	v_lshrrev_b32_e32 v23, 8, v19
	ds_write_b16 v6, v8
	v_sub_u32_e32 v6, v44, v11
	v_sub_u32_e32 v7, v28, v6
	v_and_b32_e32 v18, 1, v23
	v_add_u32_e32 v7, 5, v7
	v_cmp_eq_u32_e32 vcc, 1, v18
	v_cndmask_b32_e32 v6, v7, v6, vcc
	v_add_u32_e32 v45, v44, v45
	v_lshlrev_b32_e32 v6, 1, v6
	ds_write_b16_d16_hi v6, v8
	v_sub_u32_e32 v6, v45, v11
	v_sub_u32_e32 v7, v28, v6
	v_and_b32_sdwa v8, v25, v19 dst_sel:DWORD dst_unused:UNUSED_PAD src0_sel:DWORD src1_sel:WORD_1
	v_add_u32_e32 v7, 6, v7
	v_cmp_eq_u32_e32 vcc, 1, v8
	v_cndmask_b32_e32 v6, v7, v6, vcc
	v_add_u32_e32 v46, v45, v46
	v_lshlrev_b32_e32 v6, 1, v6
	ds_write_b16 v6, v9
	v_sub_u32_e32 v6, v46, v11
	v_sub_u32_e32 v7, v28, v6
	v_and_b32_e32 v8, 1, v34
	v_add_u32_e32 v7, 7, v7
	v_cmp_eq_u32_e32 vcc, 1, v8
	v_cndmask_b32_e32 v6, v7, v6, vcc
	v_add_u32_e32 v49, v46, v34
	v_lshlrev_b32_e32 v6, 1, v6
	ds_write_b16_d16_hi v6, v9
	v_sub_u32_e32 v6, v49, v11
	v_sub_u32_e32 v7, v28, v6
	v_and_b32_e32 v8, 1, v16
	v_add_u32_e32 v7, 8, v7
	v_cmp_eq_u32_e32 vcc, 1, v8
	v_cndmask_b32_e32 v6, v7, v6, vcc
	v_add_u32_e32 v41, v49, v41
	v_lshlrev_b32_e32 v6, 1, v6
	v_lshrrev_b32_e32 v22, 8, v16
	ds_write_b16 v6, v2
	v_sub_u32_e32 v6, v41, v11
	v_sub_u32_e32 v7, v28, v6
	v_and_b32_e32 v8, 1, v22
	v_add_u32_e32 v7, 9, v7
	v_cmp_eq_u32_e32 vcc, 1, v8
	v_cndmask_b32_e32 v6, v7, v6, vcc
	v_add_u32_e32 v42, v41, v42
	v_lshlrev_b32_e32 v6, 1, v6
	ds_write_b16_d16_hi v6, v2
	v_sub_u32_e32 v2, v42, v11
	;; [unrolled: 37-line block ×4, first 2 shown]
	v_sub_u32_e32 v3, v28, v2
	v_and_b32_sdwa v4, v25, v30 dst_sel:DWORD dst_unused:UNUSED_PAD src0_sel:DWORD src1_sel:WORD_1
	v_add_u32_e32 v3, 18, v3
	v_cmp_eq_u32_e32 vcc, 1, v4
	v_cndmask_b32_e32 v2, v3, v2, vcc
	v_lshlrev_b32_e32 v2, 1, v2
	ds_write_b16 v2, v15
	v_sub_u32_e32 v2, v31, v11
	v_add_u32_e32 v2, v37, v2
	v_sub_u32_e32 v3, v28, v2
	v_and_b32_e32 v4, 1, v29
	v_add_u32_e32 v3, 19, v3
	v_cmp_eq_u32_e32 vcc, 1, v4
	v_cndmask_b32_e32 v2, v3, v2, vcc
	v_lshlrev_b32_e32 v2, 1, v2
	ds_write_b16_d16_hi v2, v15
	s_waitcnt lgkmcnt(0)
	s_barrier
	ds_read_u16 v49, v1
	ds_read_u16 v47, v1 offset:512
	ds_read_u16 v45, v1 offset:1024
	ds_read_u16 v43, v1 offset:1536
	ds_read_u16 v41, v1 offset:2048
	ds_read_u16 v39, v1 offset:2560
	ds_read_u16 v37, v1 offset:3072
	ds_read_u16 v35, v1 offset:3584
	ds_read_u16 v33, v1 offset:4096
	ds_read_u16 v31, v1 offset:4608
	ds_read_u16 v29, v1 offset:5120
	ds_read_u16 v27, v1 offset:5632
	ds_read_u16 v25, v1 offset:6144
	ds_read_u16 v23, v1 offset:6656
	ds_read_u16 v21, v1 offset:7168
	ds_read_u16 v19, v1 offset:7680
	ds_read_u16 v17, v1 offset:8192
	ds_read_u16 v15, v1 offset:8704
	ds_read_u16 v9, v1 offset:9216
	ds_read_u16 v5, v1 offset:9728
	s_add_u32 s2, s18, s28
	s_addc_u32 s3, s19, 0
	s_waitcnt vmcnt(0)
	v_add_co_u32_e32 v1, vcc, v12, v11
	s_sub_u32 s2, s26, s2
	v_addc_co_u32_e32 v4, vcc, 0, v13, vcc
	s_subb_u32 s3, s27, s3
	v_mov_b32_e32 v2, s3
	v_add_co_u32_e32 v3, vcc, s2, v10
	v_addc_co_u32_e32 v2, vcc, 0, v2, vcc
	v_add_co_u32_e64 v7, s[2:3], v3, v1
	v_or_b32_e32 v48, 0x100, v0
	v_or_b32_e32 v46, 0x200, v0
	;; [unrolled: 1-line block ×19, first 2 shown]
	s_andn2_b64 vcc, exec, s[30:31]
	v_addc_co_u32_e64 v8, s[2:3], v2, v4, s[2:3]
	s_cbranch_vccnz .LBB3636_218
; %bb.134:
	v_cmp_ge_u32_e32 vcc, v0, v10
                                        ; implicit-def: $vgpr2_vgpr3
	s_and_saveexec_b64 s[2:3], vcc
	s_xor_b64 s[2:3], exec, s[2:3]
; %bb.135:
	v_not_b32_e32 v2, v0
	v_ashrrev_i32_e32 v3, 31, v2
	v_add_co_u32_e32 v2, vcc, v7, v2
	v_addc_co_u32_e32 v3, vcc, v8, v3, vcc
; %bb.136:
	s_andn2_saveexec_b64 s[2:3], s[2:3]
; %bb.137:
	v_add_co_u32_e32 v2, vcc, v1, v0
	v_addc_co_u32_e32 v3, vcc, 0, v4, vcc
; %bb.138:
	s_or_b64 exec, exec, s[2:3]
	v_lshlrev_b64 v[2:3], 1, v[2:3]
	v_mov_b32_e32 v11, s25
	v_add_co_u32_e32 v2, vcc, s24, v2
	v_addc_co_u32_e32 v3, vcc, v11, v3, vcc
	v_cmp_ge_u32_e32 vcc, v48, v10
	s_waitcnt lgkmcnt(14)
	global_store_short v[2:3], v49, off
                                        ; implicit-def: $vgpr2_vgpr3
	s_and_saveexec_b64 s[2:3], vcc
	s_xor_b64 s[2:3], exec, s[2:3]
; %bb.139:
	v_xor_b32_e32 v2, 0xfffffeff, v0
	v_ashrrev_i32_e32 v3, 31, v2
	v_add_co_u32_e32 v2, vcc, v7, v2
	v_addc_co_u32_e32 v3, vcc, v8, v3, vcc
; %bb.140:
	s_andn2_saveexec_b64 s[2:3], s[2:3]
; %bb.141:
	v_add_co_u32_e32 v2, vcc, v1, v48
	v_addc_co_u32_e32 v3, vcc, 0, v4, vcc
; %bb.142:
	s_or_b64 exec, exec, s[2:3]
	v_lshlrev_b64 v[2:3], 1, v[2:3]
	v_mov_b32_e32 v11, s25
	v_add_co_u32_e32 v2, vcc, s24, v2
	v_addc_co_u32_e32 v3, vcc, v11, v3, vcc
	v_cmp_ge_u32_e32 vcc, v46, v10
	global_store_short v[2:3], v47, off
                                        ; implicit-def: $vgpr2_vgpr3
	s_and_saveexec_b64 s[2:3], vcc
	s_xor_b64 s[2:3], exec, s[2:3]
; %bb.143:
	v_xor_b32_e32 v2, 0xfffffdff, v0
	v_ashrrev_i32_e32 v3, 31, v2
	v_add_co_u32_e32 v2, vcc, v7, v2
	v_addc_co_u32_e32 v3, vcc, v8, v3, vcc
; %bb.144:
	s_andn2_saveexec_b64 s[2:3], s[2:3]
; %bb.145:
	v_add_co_u32_e32 v2, vcc, v1, v46
	v_addc_co_u32_e32 v3, vcc, 0, v4, vcc
; %bb.146:
	s_or_b64 exec, exec, s[2:3]
	v_lshlrev_b64 v[2:3], 1, v[2:3]
	v_mov_b32_e32 v11, s25
	v_add_co_u32_e32 v2, vcc, s24, v2
	v_addc_co_u32_e32 v3, vcc, v11, v3, vcc
	v_cmp_ge_u32_e32 vcc, v44, v10
	global_store_short v[2:3], v45, off
                                        ; implicit-def: $vgpr2_vgpr3
	s_and_saveexec_b64 s[2:3], vcc
	s_xor_b64 s[2:3], exec, s[2:3]
; %bb.147:
	v_xor_b32_e32 v2, 0xfffffcff, v0
	v_ashrrev_i32_e32 v3, 31, v2
	v_add_co_u32_e32 v2, vcc, v7, v2
	v_addc_co_u32_e32 v3, vcc, v8, v3, vcc
; %bb.148:
	s_andn2_saveexec_b64 s[2:3], s[2:3]
; %bb.149:
	v_add_co_u32_e32 v2, vcc, v1, v44
	v_addc_co_u32_e32 v3, vcc, 0, v4, vcc
; %bb.150:
	s_or_b64 exec, exec, s[2:3]
	v_lshlrev_b64 v[2:3], 1, v[2:3]
	v_mov_b32_e32 v11, s25
	v_add_co_u32_e32 v2, vcc, s24, v2
	v_addc_co_u32_e32 v3, vcc, v11, v3, vcc
	v_cmp_ge_u32_e32 vcc, v42, v10
	global_store_short v[2:3], v43, off
                                        ; implicit-def: $vgpr2_vgpr3
	s_and_saveexec_b64 s[2:3], vcc
	s_xor_b64 s[2:3], exec, s[2:3]
; %bb.151:
	v_xor_b32_e32 v2, 0xfffffbff, v0
	v_ashrrev_i32_e32 v3, 31, v2
	v_add_co_u32_e32 v2, vcc, v7, v2
	v_addc_co_u32_e32 v3, vcc, v8, v3, vcc
; %bb.152:
	s_andn2_saveexec_b64 s[2:3], s[2:3]
; %bb.153:
	v_add_co_u32_e32 v2, vcc, v1, v42
	v_addc_co_u32_e32 v3, vcc, 0, v4, vcc
; %bb.154:
	s_or_b64 exec, exec, s[2:3]
	v_lshlrev_b64 v[2:3], 1, v[2:3]
	v_mov_b32_e32 v11, s25
	v_add_co_u32_e32 v2, vcc, s24, v2
	v_addc_co_u32_e32 v3, vcc, v11, v3, vcc
	v_cmp_ge_u32_e32 vcc, v40, v10
	global_store_short v[2:3], v41, off
                                        ; implicit-def: $vgpr2_vgpr3
	s_and_saveexec_b64 s[2:3], vcc
	s_xor_b64 s[2:3], exec, s[2:3]
; %bb.155:
	v_xor_b32_e32 v2, 0xfffffaff, v0
	v_ashrrev_i32_e32 v3, 31, v2
	v_add_co_u32_e32 v2, vcc, v7, v2
	v_addc_co_u32_e32 v3, vcc, v8, v3, vcc
; %bb.156:
	s_andn2_saveexec_b64 s[2:3], s[2:3]
; %bb.157:
	v_add_co_u32_e32 v2, vcc, v1, v40
	v_addc_co_u32_e32 v3, vcc, 0, v4, vcc
; %bb.158:
	s_or_b64 exec, exec, s[2:3]
	v_lshlrev_b64 v[2:3], 1, v[2:3]
	v_mov_b32_e32 v11, s25
	v_add_co_u32_e32 v2, vcc, s24, v2
	v_addc_co_u32_e32 v3, vcc, v11, v3, vcc
	v_cmp_ge_u32_e32 vcc, v38, v10
	global_store_short v[2:3], v39, off
                                        ; implicit-def: $vgpr2_vgpr3
	s_and_saveexec_b64 s[2:3], vcc
	s_xor_b64 s[2:3], exec, s[2:3]
; %bb.159:
	v_xor_b32_e32 v2, 0xfffff9ff, v0
	v_ashrrev_i32_e32 v3, 31, v2
	v_add_co_u32_e32 v2, vcc, v7, v2
	v_addc_co_u32_e32 v3, vcc, v8, v3, vcc
; %bb.160:
	s_andn2_saveexec_b64 s[2:3], s[2:3]
; %bb.161:
	v_add_co_u32_e32 v2, vcc, v1, v38
	v_addc_co_u32_e32 v3, vcc, 0, v4, vcc
; %bb.162:
	s_or_b64 exec, exec, s[2:3]
	v_lshlrev_b64 v[2:3], 1, v[2:3]
	v_mov_b32_e32 v11, s25
	v_add_co_u32_e32 v2, vcc, s24, v2
	v_addc_co_u32_e32 v3, vcc, v11, v3, vcc
	v_cmp_ge_u32_e32 vcc, v36, v10
	s_waitcnt lgkmcnt(13)
	global_store_short v[2:3], v37, off
                                        ; implicit-def: $vgpr2_vgpr3
	s_and_saveexec_b64 s[2:3], vcc
	s_xor_b64 s[2:3], exec, s[2:3]
; %bb.163:
	v_xor_b32_e32 v2, 0xfffff8ff, v0
	v_ashrrev_i32_e32 v3, 31, v2
	v_add_co_u32_e32 v2, vcc, v7, v2
	v_addc_co_u32_e32 v3, vcc, v8, v3, vcc
; %bb.164:
	s_andn2_saveexec_b64 s[2:3], s[2:3]
; %bb.165:
	v_add_co_u32_e32 v2, vcc, v1, v36
	v_addc_co_u32_e32 v3, vcc, 0, v4, vcc
; %bb.166:
	s_or_b64 exec, exec, s[2:3]
	v_lshlrev_b64 v[2:3], 1, v[2:3]
	v_mov_b32_e32 v11, s25
	v_add_co_u32_e32 v2, vcc, s24, v2
	v_addc_co_u32_e32 v3, vcc, v11, v3, vcc
	v_cmp_ge_u32_e32 vcc, v34, v10
	s_waitcnt lgkmcnt(12)
	global_store_short v[2:3], v35, off
                                        ; implicit-def: $vgpr2_vgpr3
	s_and_saveexec_b64 s[2:3], vcc
	s_xor_b64 s[2:3], exec, s[2:3]
; %bb.167:
	v_xor_b32_e32 v2, 0xfffff7ff, v0
	v_ashrrev_i32_e32 v3, 31, v2
	v_add_co_u32_e32 v2, vcc, v7, v2
	v_addc_co_u32_e32 v3, vcc, v8, v3, vcc
; %bb.168:
	s_andn2_saveexec_b64 s[2:3], s[2:3]
; %bb.169:
	v_add_co_u32_e32 v2, vcc, v1, v34
	v_addc_co_u32_e32 v3, vcc, 0, v4, vcc
; %bb.170:
	s_or_b64 exec, exec, s[2:3]
	v_lshlrev_b64 v[2:3], 1, v[2:3]
	v_mov_b32_e32 v11, s25
	v_add_co_u32_e32 v2, vcc, s24, v2
	v_addc_co_u32_e32 v3, vcc, v11, v3, vcc
	v_cmp_ge_u32_e32 vcc, v32, v10
	;; [unrolled: 22-line block ×12, first 2 shown]
	s_waitcnt lgkmcnt(1)
	global_store_short v[2:3], v9, off
                                        ; implicit-def: $vgpr2_vgpr3
	s_and_saveexec_b64 s[2:3], vcc
	s_xor_b64 s[2:3], exec, s[2:3]
; %bb.211:
	v_xor_b32_e32 v2, 0xffffecff, v0
	v_ashrrev_i32_e32 v3, 31, v2
	v_add_co_u32_e32 v2, vcc, v7, v2
	v_addc_co_u32_e32 v3, vcc, v8, v3, vcc
; %bb.212:
	s_andn2_saveexec_b64 s[2:3], s[2:3]
; %bb.213:
	v_add_co_u32_e32 v2, vcc, v1, v6
	v_addc_co_u32_e32 v3, vcc, 0, v4, vcc
; %bb.214:
	s_or_b64 exec, exec, s[2:3]
	s_mov_b64 s[2:3], -1
.LBB3636_215:
	s_and_saveexec_b64 s[4:5], s[2:3]
	s_cbranch_execz .LBB3636_276
.LBB3636_216:
	v_lshlrev_b64 v[2:3], 1, v[2:3]
	v_mov_b32_e32 v0, s25
	v_add_co_u32_e32 v2, vcc, s24, v2
	v_addc_co_u32_e32 v3, vcc, v0, v3, vcc
	s_waitcnt lgkmcnt(0)
	global_store_short v[2:3], v5, off
	s_or_b64 exec, exec, s[4:5]
	s_and_b64 s[0:1], s[0:1], s[22:23]
	s_and_saveexec_b64 s[2:3], s[0:1]
	s_cbranch_execnz .LBB3636_277
.LBB3636_217:
	s_endpgm
.LBB3636_218:
	s_mov_b64 s[2:3], 0
                                        ; implicit-def: $vgpr2_vgpr3
	s_cbranch_execz .LBB3636_215
; %bb.219:
	v_cmp_gt_u32_e32 vcc, s33, v0
	s_and_saveexec_b64 s[4:5], vcc
	s_cbranch_execz .LBB3636_278
; %bb.220:
	v_cmp_ge_u32_e32 vcc, v0, v10
                                        ; implicit-def: $vgpr2_vgpr3
	s_and_saveexec_b64 s[6:7], vcc
	s_xor_b64 s[6:7], exec, s[6:7]
; %bb.221:
	v_not_b32_e32 v2, v0
	v_ashrrev_i32_e32 v3, 31, v2
	v_add_co_u32_e32 v2, vcc, v7, v2
	v_addc_co_u32_e32 v3, vcc, v8, v3, vcc
; %bb.222:
	s_andn2_saveexec_b64 s[6:7], s[6:7]
; %bb.223:
	v_add_co_u32_e32 v2, vcc, v1, v0
	v_addc_co_u32_e32 v3, vcc, 0, v4, vcc
; %bb.224:
	s_or_b64 exec, exec, s[6:7]
	v_lshlrev_b64 v[2:3], 1, v[2:3]
	v_mov_b32_e32 v11, s25
	v_add_co_u32_e32 v2, vcc, s24, v2
	v_addc_co_u32_e32 v3, vcc, v11, v3, vcc
	s_waitcnt lgkmcnt(14)
	global_store_short v[2:3], v49, off
	s_or_b64 exec, exec, s[4:5]
	v_cmp_gt_u32_e32 vcc, s33, v48
	s_and_saveexec_b64 s[4:5], vcc
	s_cbranch_execnz .LBB3636_279
.LBB3636_225:
	s_or_b64 exec, exec, s[4:5]
	v_cmp_gt_u32_e32 vcc, s33, v46
	s_and_saveexec_b64 s[4:5], vcc
	s_cbranch_execz .LBB3636_284
.LBB3636_226:
	v_cmp_ge_u32_e32 vcc, v46, v10
                                        ; implicit-def: $vgpr2_vgpr3
	s_and_saveexec_b64 s[6:7], vcc
	s_xor_b64 s[6:7], exec, s[6:7]
; %bb.227:
	v_xor_b32_e32 v2, 0xfffffdff, v0
	v_ashrrev_i32_e32 v3, 31, v2
	v_add_co_u32_e32 v2, vcc, v7, v2
	v_addc_co_u32_e32 v3, vcc, v8, v3, vcc
                                        ; implicit-def: $vgpr46
; %bb.228:
	s_andn2_saveexec_b64 s[6:7], s[6:7]
; %bb.229:
	v_add_co_u32_e32 v2, vcc, v1, v46
	v_addc_co_u32_e32 v3, vcc, 0, v4, vcc
; %bb.230:
	s_or_b64 exec, exec, s[6:7]
	v_lshlrev_b64 v[2:3], 1, v[2:3]
	v_mov_b32_e32 v11, s25
	v_add_co_u32_e32 v2, vcc, s24, v2
	v_addc_co_u32_e32 v3, vcc, v11, v3, vcc
	s_waitcnt lgkmcnt(14)
	global_store_short v[2:3], v45, off
	s_or_b64 exec, exec, s[4:5]
	v_cmp_gt_u32_e32 vcc, s33, v44
	s_and_saveexec_b64 s[4:5], vcc
	s_cbranch_execnz .LBB3636_285
.LBB3636_231:
	s_or_b64 exec, exec, s[4:5]
	v_cmp_gt_u32_e32 vcc, s33, v42
	s_and_saveexec_b64 s[4:5], vcc
	s_cbranch_execz .LBB3636_290
.LBB3636_232:
	v_cmp_ge_u32_e32 vcc, v42, v10
                                        ; implicit-def: $vgpr2_vgpr3
	s_and_saveexec_b64 s[6:7], vcc
	s_xor_b64 s[6:7], exec, s[6:7]
; %bb.233:
	v_xor_b32_e32 v2, 0xfffffbff, v0
	v_ashrrev_i32_e32 v3, 31, v2
	v_add_co_u32_e32 v2, vcc, v7, v2
	v_addc_co_u32_e32 v3, vcc, v8, v3, vcc
                                        ; implicit-def: $vgpr42
; %bb.234:
	s_andn2_saveexec_b64 s[6:7], s[6:7]
; %bb.235:
	v_add_co_u32_e32 v2, vcc, v1, v42
	v_addc_co_u32_e32 v3, vcc, 0, v4, vcc
; %bb.236:
	s_or_b64 exec, exec, s[6:7]
	v_lshlrev_b64 v[2:3], 1, v[2:3]
	v_mov_b32_e32 v11, s25
	v_add_co_u32_e32 v2, vcc, s24, v2
	v_addc_co_u32_e32 v3, vcc, v11, v3, vcc
	s_waitcnt lgkmcnt(14)
	global_store_short v[2:3], v41, off
	s_or_b64 exec, exec, s[4:5]
	v_cmp_gt_u32_e32 vcc, s33, v40
	s_and_saveexec_b64 s[4:5], vcc
	s_cbranch_execnz .LBB3636_291
.LBB3636_237:
	s_or_b64 exec, exec, s[4:5]
	v_cmp_gt_u32_e32 vcc, s33, v38
	s_and_saveexec_b64 s[4:5], vcc
	s_cbranch_execz .LBB3636_296
.LBB3636_238:
	v_cmp_ge_u32_e32 vcc, v38, v10
                                        ; implicit-def: $vgpr2_vgpr3
	s_and_saveexec_b64 s[6:7], vcc
	s_xor_b64 s[6:7], exec, s[6:7]
; %bb.239:
	v_xor_b32_e32 v2, 0xfffff9ff, v0
	v_ashrrev_i32_e32 v3, 31, v2
	v_add_co_u32_e32 v2, vcc, v7, v2
	v_addc_co_u32_e32 v3, vcc, v8, v3, vcc
                                        ; implicit-def: $vgpr38
; %bb.240:
	s_andn2_saveexec_b64 s[6:7], s[6:7]
; %bb.241:
	v_add_co_u32_e32 v2, vcc, v1, v38
	v_addc_co_u32_e32 v3, vcc, 0, v4, vcc
; %bb.242:
	s_or_b64 exec, exec, s[6:7]
	v_lshlrev_b64 v[2:3], 1, v[2:3]
	v_mov_b32_e32 v11, s25
	v_add_co_u32_e32 v2, vcc, s24, v2
	v_addc_co_u32_e32 v3, vcc, v11, v3, vcc
	s_waitcnt lgkmcnt(13)
	global_store_short v[2:3], v37, off
	s_or_b64 exec, exec, s[4:5]
	v_cmp_gt_u32_e32 vcc, s33, v36
	s_and_saveexec_b64 s[4:5], vcc
	s_cbranch_execnz .LBB3636_297
.LBB3636_243:
	s_or_b64 exec, exec, s[4:5]
	v_cmp_gt_u32_e32 vcc, s33, v34
	s_and_saveexec_b64 s[4:5], vcc
	s_cbranch_execz .LBB3636_302
.LBB3636_244:
	v_cmp_ge_u32_e32 vcc, v34, v10
                                        ; implicit-def: $vgpr2_vgpr3
	s_and_saveexec_b64 s[6:7], vcc
	s_xor_b64 s[6:7], exec, s[6:7]
; %bb.245:
	v_xor_b32_e32 v2, 0xfffff7ff, v0
	v_ashrrev_i32_e32 v3, 31, v2
	v_add_co_u32_e32 v2, vcc, v7, v2
	v_addc_co_u32_e32 v3, vcc, v8, v3, vcc
                                        ; implicit-def: $vgpr34
; %bb.246:
	s_andn2_saveexec_b64 s[6:7], s[6:7]
; %bb.247:
	v_add_co_u32_e32 v2, vcc, v1, v34
	v_addc_co_u32_e32 v3, vcc, 0, v4, vcc
; %bb.248:
	s_or_b64 exec, exec, s[6:7]
	v_lshlrev_b64 v[2:3], 1, v[2:3]
	v_mov_b32_e32 v11, s25
	v_add_co_u32_e32 v2, vcc, s24, v2
	v_addc_co_u32_e32 v3, vcc, v11, v3, vcc
	s_waitcnt lgkmcnt(11)
	global_store_short v[2:3], v33, off
	s_or_b64 exec, exec, s[4:5]
	v_cmp_gt_u32_e32 vcc, s33, v32
	s_and_saveexec_b64 s[4:5], vcc
	s_cbranch_execnz .LBB3636_303
.LBB3636_249:
	s_or_b64 exec, exec, s[4:5]
	v_cmp_gt_u32_e32 vcc, s33, v30
	s_and_saveexec_b64 s[4:5], vcc
	s_cbranch_execz .LBB3636_308
.LBB3636_250:
	v_cmp_ge_u32_e32 vcc, v30, v10
                                        ; implicit-def: $vgpr2_vgpr3
	s_and_saveexec_b64 s[6:7], vcc
	s_xor_b64 s[6:7], exec, s[6:7]
; %bb.251:
	v_xor_b32_e32 v2, 0xfffff5ff, v0
	v_ashrrev_i32_e32 v3, 31, v2
	v_add_co_u32_e32 v2, vcc, v7, v2
	v_addc_co_u32_e32 v3, vcc, v8, v3, vcc
                                        ; implicit-def: $vgpr30
; %bb.252:
	s_andn2_saveexec_b64 s[6:7], s[6:7]
; %bb.253:
	v_add_co_u32_e32 v2, vcc, v1, v30
	v_addc_co_u32_e32 v3, vcc, 0, v4, vcc
; %bb.254:
	s_or_b64 exec, exec, s[6:7]
	v_lshlrev_b64 v[2:3], 1, v[2:3]
	v_mov_b32_e32 v11, s25
	v_add_co_u32_e32 v2, vcc, s24, v2
	v_addc_co_u32_e32 v3, vcc, v11, v3, vcc
	s_waitcnt lgkmcnt(9)
	global_store_short v[2:3], v29, off
	s_or_b64 exec, exec, s[4:5]
	v_cmp_gt_u32_e32 vcc, s33, v28
	s_and_saveexec_b64 s[4:5], vcc
	s_cbranch_execnz .LBB3636_309
.LBB3636_255:
	s_or_b64 exec, exec, s[4:5]
	v_cmp_gt_u32_e32 vcc, s33, v26
	s_and_saveexec_b64 s[4:5], vcc
	s_cbranch_execz .LBB3636_314
.LBB3636_256:
	v_cmp_ge_u32_e32 vcc, v26, v10
                                        ; implicit-def: $vgpr2_vgpr3
	s_and_saveexec_b64 s[6:7], vcc
	s_xor_b64 s[6:7], exec, s[6:7]
; %bb.257:
	v_xor_b32_e32 v2, 0xfffff3ff, v0
	v_ashrrev_i32_e32 v3, 31, v2
	v_add_co_u32_e32 v2, vcc, v7, v2
	v_addc_co_u32_e32 v3, vcc, v8, v3, vcc
                                        ; implicit-def: $vgpr26
; %bb.258:
	s_andn2_saveexec_b64 s[6:7], s[6:7]
; %bb.259:
	v_add_co_u32_e32 v2, vcc, v1, v26
	v_addc_co_u32_e32 v3, vcc, 0, v4, vcc
; %bb.260:
	s_or_b64 exec, exec, s[6:7]
	v_lshlrev_b64 v[2:3], 1, v[2:3]
	v_mov_b32_e32 v11, s25
	v_add_co_u32_e32 v2, vcc, s24, v2
	v_addc_co_u32_e32 v3, vcc, v11, v3, vcc
	s_waitcnt lgkmcnt(7)
	global_store_short v[2:3], v25, off
	s_or_b64 exec, exec, s[4:5]
	v_cmp_gt_u32_e32 vcc, s33, v24
	s_and_saveexec_b64 s[4:5], vcc
	s_cbranch_execnz .LBB3636_315
.LBB3636_261:
	s_or_b64 exec, exec, s[4:5]
	v_cmp_gt_u32_e32 vcc, s33, v22
	s_and_saveexec_b64 s[4:5], vcc
	s_cbranch_execz .LBB3636_320
.LBB3636_262:
	v_cmp_ge_u32_e32 vcc, v22, v10
                                        ; implicit-def: $vgpr2_vgpr3
	s_and_saveexec_b64 s[6:7], vcc
	s_xor_b64 s[6:7], exec, s[6:7]
; %bb.263:
	v_xor_b32_e32 v2, 0xfffff1ff, v0
	v_ashrrev_i32_e32 v3, 31, v2
	v_add_co_u32_e32 v2, vcc, v7, v2
	v_addc_co_u32_e32 v3, vcc, v8, v3, vcc
                                        ; implicit-def: $vgpr22
; %bb.264:
	s_andn2_saveexec_b64 s[6:7], s[6:7]
; %bb.265:
	v_add_co_u32_e32 v2, vcc, v1, v22
	v_addc_co_u32_e32 v3, vcc, 0, v4, vcc
; %bb.266:
	s_or_b64 exec, exec, s[6:7]
	v_lshlrev_b64 v[2:3], 1, v[2:3]
	v_mov_b32_e32 v11, s25
	v_add_co_u32_e32 v2, vcc, s24, v2
	v_addc_co_u32_e32 v3, vcc, v11, v3, vcc
	s_waitcnt lgkmcnt(5)
	global_store_short v[2:3], v21, off
	s_or_b64 exec, exec, s[4:5]
	v_cmp_gt_u32_e32 vcc, s33, v20
	s_and_saveexec_b64 s[4:5], vcc
	s_cbranch_execnz .LBB3636_321
.LBB3636_267:
	s_or_b64 exec, exec, s[4:5]
	v_cmp_gt_u32_e32 vcc, s33, v18
	s_and_saveexec_b64 s[4:5], vcc
	s_cbranch_execz .LBB3636_326
.LBB3636_268:
	v_cmp_ge_u32_e32 vcc, v18, v10
                                        ; implicit-def: $vgpr2_vgpr3
	s_and_saveexec_b64 s[6:7], vcc
	s_xor_b64 s[6:7], exec, s[6:7]
; %bb.269:
	v_xor_b32_e32 v2, 0xffffefff, v0
	v_ashrrev_i32_e32 v3, 31, v2
	v_add_co_u32_e32 v2, vcc, v7, v2
	v_addc_co_u32_e32 v3, vcc, v8, v3, vcc
                                        ; implicit-def: $vgpr18
; %bb.270:
	s_andn2_saveexec_b64 s[6:7], s[6:7]
; %bb.271:
	v_add_co_u32_e32 v2, vcc, v1, v18
	v_addc_co_u32_e32 v3, vcc, 0, v4, vcc
; %bb.272:
	s_or_b64 exec, exec, s[6:7]
	v_lshlrev_b64 v[2:3], 1, v[2:3]
	v_mov_b32_e32 v11, s25
	v_add_co_u32_e32 v2, vcc, s24, v2
	v_addc_co_u32_e32 v3, vcc, v11, v3, vcc
	s_waitcnt lgkmcnt(3)
	global_store_short v[2:3], v17, off
	s_or_b64 exec, exec, s[4:5]
	v_cmp_gt_u32_e32 vcc, s33, v16
	s_and_saveexec_b64 s[4:5], vcc
	s_cbranch_execnz .LBB3636_327
.LBB3636_273:
	s_or_b64 exec, exec, s[4:5]
	v_cmp_gt_u32_e32 vcc, s33, v14
	s_and_saveexec_b64 s[4:5], vcc
	s_cbranch_execnz .LBB3636_332
.LBB3636_274:
	s_or_b64 exec, exec, s[4:5]
	v_cmp_gt_u32_e32 vcc, s33, v6
                                        ; implicit-def: $vgpr2_vgpr3
	s_and_saveexec_b64 s[4:5], vcc
	s_cbranch_execnz .LBB3636_337
.LBB3636_275:
	s_or_b64 exec, exec, s[4:5]
	s_and_saveexec_b64 s[4:5], s[2:3]
	s_cbranch_execnz .LBB3636_216
.LBB3636_276:
	s_or_b64 exec, exec, s[4:5]
	s_and_b64 s[0:1], s[0:1], s[22:23]
	s_and_saveexec_b64 s[2:3], s[0:1]
	s_cbranch_execz .LBB3636_217
.LBB3636_277:
	v_add_co_u32_e32 v0, vcc, v1, v10
	v_mov_b32_e32 v2, 0
	v_addc_co_u32_e32 v1, vcc, 0, v4, vcc
	global_store_dwordx2 v2, v[0:1], s[20:21]
	s_endpgm
.LBB3636_278:
	s_or_b64 exec, exec, s[4:5]
	v_cmp_gt_u32_e32 vcc, s33, v48
	s_and_saveexec_b64 s[4:5], vcc
	s_cbranch_execz .LBB3636_225
.LBB3636_279:
	v_cmp_ge_u32_e32 vcc, v48, v10
                                        ; implicit-def: $vgpr2_vgpr3
	s_and_saveexec_b64 s[6:7], vcc
	s_xor_b64 s[6:7], exec, s[6:7]
; %bb.280:
	v_xor_b32_e32 v2, 0xfffffeff, v0
	v_ashrrev_i32_e32 v3, 31, v2
	v_add_co_u32_e32 v2, vcc, v7, v2
	v_addc_co_u32_e32 v3, vcc, v8, v3, vcc
                                        ; implicit-def: $vgpr48
; %bb.281:
	s_andn2_saveexec_b64 s[6:7], s[6:7]
; %bb.282:
	v_add_co_u32_e32 v2, vcc, v1, v48
	v_addc_co_u32_e32 v3, vcc, 0, v4, vcc
; %bb.283:
	s_or_b64 exec, exec, s[6:7]
	v_lshlrev_b64 v[2:3], 1, v[2:3]
	v_mov_b32_e32 v11, s25
	v_add_co_u32_e32 v2, vcc, s24, v2
	v_addc_co_u32_e32 v3, vcc, v11, v3, vcc
	s_waitcnt lgkmcnt(14)
	global_store_short v[2:3], v47, off
	s_or_b64 exec, exec, s[4:5]
	v_cmp_gt_u32_e32 vcc, s33, v46
	s_and_saveexec_b64 s[4:5], vcc
	s_cbranch_execnz .LBB3636_226
.LBB3636_284:
	s_or_b64 exec, exec, s[4:5]
	v_cmp_gt_u32_e32 vcc, s33, v44
	s_and_saveexec_b64 s[4:5], vcc
	s_cbranch_execz .LBB3636_231
.LBB3636_285:
	v_cmp_ge_u32_e32 vcc, v44, v10
                                        ; implicit-def: $vgpr2_vgpr3
	s_and_saveexec_b64 s[6:7], vcc
	s_xor_b64 s[6:7], exec, s[6:7]
; %bb.286:
	v_xor_b32_e32 v2, 0xfffffcff, v0
	v_ashrrev_i32_e32 v3, 31, v2
	v_add_co_u32_e32 v2, vcc, v7, v2
	v_addc_co_u32_e32 v3, vcc, v8, v3, vcc
                                        ; implicit-def: $vgpr44
; %bb.287:
	s_andn2_saveexec_b64 s[6:7], s[6:7]
; %bb.288:
	v_add_co_u32_e32 v2, vcc, v1, v44
	v_addc_co_u32_e32 v3, vcc, 0, v4, vcc
; %bb.289:
	s_or_b64 exec, exec, s[6:7]
	v_lshlrev_b64 v[2:3], 1, v[2:3]
	v_mov_b32_e32 v11, s25
	v_add_co_u32_e32 v2, vcc, s24, v2
	v_addc_co_u32_e32 v3, vcc, v11, v3, vcc
	s_waitcnt lgkmcnt(14)
	global_store_short v[2:3], v43, off
	s_or_b64 exec, exec, s[4:5]
	v_cmp_gt_u32_e32 vcc, s33, v42
	s_and_saveexec_b64 s[4:5], vcc
	s_cbranch_execnz .LBB3636_232
.LBB3636_290:
	s_or_b64 exec, exec, s[4:5]
	v_cmp_gt_u32_e32 vcc, s33, v40
	s_and_saveexec_b64 s[4:5], vcc
	s_cbranch_execz .LBB3636_237
.LBB3636_291:
	v_cmp_ge_u32_e32 vcc, v40, v10
                                        ; implicit-def: $vgpr2_vgpr3
	s_and_saveexec_b64 s[6:7], vcc
	s_xor_b64 s[6:7], exec, s[6:7]
; %bb.292:
	v_xor_b32_e32 v2, 0xfffffaff, v0
	v_ashrrev_i32_e32 v3, 31, v2
	v_add_co_u32_e32 v2, vcc, v7, v2
	v_addc_co_u32_e32 v3, vcc, v8, v3, vcc
                                        ; implicit-def: $vgpr40
; %bb.293:
	s_andn2_saveexec_b64 s[6:7], s[6:7]
; %bb.294:
	v_add_co_u32_e32 v2, vcc, v1, v40
	v_addc_co_u32_e32 v3, vcc, 0, v4, vcc
; %bb.295:
	s_or_b64 exec, exec, s[6:7]
	v_lshlrev_b64 v[2:3], 1, v[2:3]
	v_mov_b32_e32 v11, s25
	v_add_co_u32_e32 v2, vcc, s24, v2
	v_addc_co_u32_e32 v3, vcc, v11, v3, vcc
	s_waitcnt lgkmcnt(14)
	global_store_short v[2:3], v39, off
	s_or_b64 exec, exec, s[4:5]
	v_cmp_gt_u32_e32 vcc, s33, v38
	s_and_saveexec_b64 s[4:5], vcc
	s_cbranch_execnz .LBB3636_238
.LBB3636_296:
	s_or_b64 exec, exec, s[4:5]
	v_cmp_gt_u32_e32 vcc, s33, v36
	s_and_saveexec_b64 s[4:5], vcc
	s_cbranch_execz .LBB3636_243
.LBB3636_297:
	v_cmp_ge_u32_e32 vcc, v36, v10
                                        ; implicit-def: $vgpr2_vgpr3
	s_and_saveexec_b64 s[6:7], vcc
	s_xor_b64 s[6:7], exec, s[6:7]
; %bb.298:
	v_xor_b32_e32 v2, 0xfffff8ff, v0
	v_ashrrev_i32_e32 v3, 31, v2
	v_add_co_u32_e32 v2, vcc, v7, v2
	v_addc_co_u32_e32 v3, vcc, v8, v3, vcc
                                        ; implicit-def: $vgpr36
; %bb.299:
	s_andn2_saveexec_b64 s[6:7], s[6:7]
; %bb.300:
	v_add_co_u32_e32 v2, vcc, v1, v36
	v_addc_co_u32_e32 v3, vcc, 0, v4, vcc
; %bb.301:
	s_or_b64 exec, exec, s[6:7]
	v_lshlrev_b64 v[2:3], 1, v[2:3]
	v_mov_b32_e32 v11, s25
	v_add_co_u32_e32 v2, vcc, s24, v2
	v_addc_co_u32_e32 v3, vcc, v11, v3, vcc
	s_waitcnt lgkmcnt(12)
	global_store_short v[2:3], v35, off
	s_or_b64 exec, exec, s[4:5]
	v_cmp_gt_u32_e32 vcc, s33, v34
	s_and_saveexec_b64 s[4:5], vcc
	s_cbranch_execnz .LBB3636_244
.LBB3636_302:
	s_or_b64 exec, exec, s[4:5]
	v_cmp_gt_u32_e32 vcc, s33, v32
	s_and_saveexec_b64 s[4:5], vcc
	s_cbranch_execz .LBB3636_249
.LBB3636_303:
	v_cmp_ge_u32_e32 vcc, v32, v10
                                        ; implicit-def: $vgpr2_vgpr3
	s_and_saveexec_b64 s[6:7], vcc
	s_xor_b64 s[6:7], exec, s[6:7]
; %bb.304:
	v_xor_b32_e32 v2, 0xfffff6ff, v0
	v_ashrrev_i32_e32 v3, 31, v2
	v_add_co_u32_e32 v2, vcc, v7, v2
	v_addc_co_u32_e32 v3, vcc, v8, v3, vcc
                                        ; implicit-def: $vgpr32
; %bb.305:
	s_andn2_saveexec_b64 s[6:7], s[6:7]
; %bb.306:
	v_add_co_u32_e32 v2, vcc, v1, v32
	v_addc_co_u32_e32 v3, vcc, 0, v4, vcc
; %bb.307:
	s_or_b64 exec, exec, s[6:7]
	v_lshlrev_b64 v[2:3], 1, v[2:3]
	v_mov_b32_e32 v11, s25
	v_add_co_u32_e32 v2, vcc, s24, v2
	v_addc_co_u32_e32 v3, vcc, v11, v3, vcc
	s_waitcnt lgkmcnt(10)
	global_store_short v[2:3], v31, off
	s_or_b64 exec, exec, s[4:5]
	v_cmp_gt_u32_e32 vcc, s33, v30
	s_and_saveexec_b64 s[4:5], vcc
	s_cbranch_execnz .LBB3636_250
.LBB3636_308:
	s_or_b64 exec, exec, s[4:5]
	v_cmp_gt_u32_e32 vcc, s33, v28
	s_and_saveexec_b64 s[4:5], vcc
	s_cbranch_execz .LBB3636_255
.LBB3636_309:
	v_cmp_ge_u32_e32 vcc, v28, v10
                                        ; implicit-def: $vgpr2_vgpr3
	s_and_saveexec_b64 s[6:7], vcc
	s_xor_b64 s[6:7], exec, s[6:7]
; %bb.310:
	v_xor_b32_e32 v2, 0xfffff4ff, v0
	v_ashrrev_i32_e32 v3, 31, v2
	v_add_co_u32_e32 v2, vcc, v7, v2
	v_addc_co_u32_e32 v3, vcc, v8, v3, vcc
                                        ; implicit-def: $vgpr28
; %bb.311:
	s_andn2_saveexec_b64 s[6:7], s[6:7]
; %bb.312:
	v_add_co_u32_e32 v2, vcc, v1, v28
	v_addc_co_u32_e32 v3, vcc, 0, v4, vcc
; %bb.313:
	s_or_b64 exec, exec, s[6:7]
	v_lshlrev_b64 v[2:3], 1, v[2:3]
	v_mov_b32_e32 v11, s25
	v_add_co_u32_e32 v2, vcc, s24, v2
	v_addc_co_u32_e32 v3, vcc, v11, v3, vcc
	s_waitcnt lgkmcnt(8)
	global_store_short v[2:3], v27, off
	s_or_b64 exec, exec, s[4:5]
	v_cmp_gt_u32_e32 vcc, s33, v26
	s_and_saveexec_b64 s[4:5], vcc
	s_cbranch_execnz .LBB3636_256
.LBB3636_314:
	s_or_b64 exec, exec, s[4:5]
	v_cmp_gt_u32_e32 vcc, s33, v24
	s_and_saveexec_b64 s[4:5], vcc
	s_cbranch_execz .LBB3636_261
.LBB3636_315:
	v_cmp_ge_u32_e32 vcc, v24, v10
                                        ; implicit-def: $vgpr2_vgpr3
	s_and_saveexec_b64 s[6:7], vcc
	s_xor_b64 s[6:7], exec, s[6:7]
; %bb.316:
	v_xor_b32_e32 v2, 0xfffff2ff, v0
	v_ashrrev_i32_e32 v3, 31, v2
	v_add_co_u32_e32 v2, vcc, v7, v2
	v_addc_co_u32_e32 v3, vcc, v8, v3, vcc
                                        ; implicit-def: $vgpr24
; %bb.317:
	s_andn2_saveexec_b64 s[6:7], s[6:7]
; %bb.318:
	v_add_co_u32_e32 v2, vcc, v1, v24
	v_addc_co_u32_e32 v3, vcc, 0, v4, vcc
; %bb.319:
	s_or_b64 exec, exec, s[6:7]
	v_lshlrev_b64 v[2:3], 1, v[2:3]
	v_mov_b32_e32 v11, s25
	v_add_co_u32_e32 v2, vcc, s24, v2
	v_addc_co_u32_e32 v3, vcc, v11, v3, vcc
	s_waitcnt lgkmcnt(6)
	global_store_short v[2:3], v23, off
	s_or_b64 exec, exec, s[4:5]
	v_cmp_gt_u32_e32 vcc, s33, v22
	s_and_saveexec_b64 s[4:5], vcc
	s_cbranch_execnz .LBB3636_262
.LBB3636_320:
	s_or_b64 exec, exec, s[4:5]
	v_cmp_gt_u32_e32 vcc, s33, v20
	s_and_saveexec_b64 s[4:5], vcc
	s_cbranch_execz .LBB3636_267
.LBB3636_321:
	v_cmp_ge_u32_e32 vcc, v20, v10
                                        ; implicit-def: $vgpr2_vgpr3
	s_and_saveexec_b64 s[6:7], vcc
	s_xor_b64 s[6:7], exec, s[6:7]
; %bb.322:
	v_xor_b32_e32 v2, 0xfffff0ff, v0
	v_ashrrev_i32_e32 v3, 31, v2
	v_add_co_u32_e32 v2, vcc, v7, v2
	v_addc_co_u32_e32 v3, vcc, v8, v3, vcc
                                        ; implicit-def: $vgpr20
; %bb.323:
	s_andn2_saveexec_b64 s[6:7], s[6:7]
; %bb.324:
	v_add_co_u32_e32 v2, vcc, v1, v20
	v_addc_co_u32_e32 v3, vcc, 0, v4, vcc
; %bb.325:
	s_or_b64 exec, exec, s[6:7]
	v_lshlrev_b64 v[2:3], 1, v[2:3]
	v_mov_b32_e32 v11, s25
	v_add_co_u32_e32 v2, vcc, s24, v2
	v_addc_co_u32_e32 v3, vcc, v11, v3, vcc
	s_waitcnt lgkmcnt(4)
	global_store_short v[2:3], v19, off
	s_or_b64 exec, exec, s[4:5]
	v_cmp_gt_u32_e32 vcc, s33, v18
	s_and_saveexec_b64 s[4:5], vcc
	s_cbranch_execnz .LBB3636_268
.LBB3636_326:
	s_or_b64 exec, exec, s[4:5]
	v_cmp_gt_u32_e32 vcc, s33, v16
	s_and_saveexec_b64 s[4:5], vcc
	s_cbranch_execz .LBB3636_273
.LBB3636_327:
	v_cmp_ge_u32_e32 vcc, v16, v10
                                        ; implicit-def: $vgpr2_vgpr3
	s_and_saveexec_b64 s[6:7], vcc
	s_xor_b64 s[6:7], exec, s[6:7]
; %bb.328:
	v_xor_b32_e32 v2, 0xffffeeff, v0
	v_ashrrev_i32_e32 v3, 31, v2
	v_add_co_u32_e32 v2, vcc, v7, v2
	v_addc_co_u32_e32 v3, vcc, v8, v3, vcc
                                        ; implicit-def: $vgpr16
; %bb.329:
	s_andn2_saveexec_b64 s[6:7], s[6:7]
; %bb.330:
	v_add_co_u32_e32 v2, vcc, v1, v16
	v_addc_co_u32_e32 v3, vcc, 0, v4, vcc
; %bb.331:
	s_or_b64 exec, exec, s[6:7]
	v_lshlrev_b64 v[2:3], 1, v[2:3]
	v_mov_b32_e32 v11, s25
	v_add_co_u32_e32 v2, vcc, s24, v2
	v_addc_co_u32_e32 v3, vcc, v11, v3, vcc
	s_waitcnt lgkmcnt(2)
	global_store_short v[2:3], v15, off
	s_or_b64 exec, exec, s[4:5]
	v_cmp_gt_u32_e32 vcc, s33, v14
	s_and_saveexec_b64 s[4:5], vcc
	s_cbranch_execz .LBB3636_274
.LBB3636_332:
	v_cmp_ge_u32_e32 vcc, v14, v10
                                        ; implicit-def: $vgpr2_vgpr3
	s_and_saveexec_b64 s[6:7], vcc
	s_xor_b64 s[6:7], exec, s[6:7]
; %bb.333:
	v_xor_b32_e32 v2, 0xffffedff, v0
	v_ashrrev_i32_e32 v3, 31, v2
	v_add_co_u32_e32 v2, vcc, v7, v2
	v_addc_co_u32_e32 v3, vcc, v8, v3, vcc
                                        ; implicit-def: $vgpr14
; %bb.334:
	s_andn2_saveexec_b64 s[6:7], s[6:7]
; %bb.335:
	v_add_co_u32_e32 v2, vcc, v1, v14
	v_addc_co_u32_e32 v3, vcc, 0, v4, vcc
; %bb.336:
	s_or_b64 exec, exec, s[6:7]
	v_lshlrev_b64 v[2:3], 1, v[2:3]
	v_mov_b32_e32 v11, s25
	v_add_co_u32_e32 v2, vcc, s24, v2
	v_addc_co_u32_e32 v3, vcc, v11, v3, vcc
	s_waitcnt lgkmcnt(1)
	global_store_short v[2:3], v9, off
	s_or_b64 exec, exec, s[4:5]
	v_cmp_gt_u32_e32 vcc, s33, v6
                                        ; implicit-def: $vgpr2_vgpr3
	s_and_saveexec_b64 s[4:5], vcc
	s_cbranch_execz .LBB3636_275
.LBB3636_337:
	v_cmp_ge_u32_e32 vcc, v6, v10
                                        ; implicit-def: $vgpr2_vgpr3
	s_and_saveexec_b64 s[6:7], vcc
	s_xor_b64 s[6:7], exec, s[6:7]
; %bb.338:
	v_xor_b32_e32 v0, 0xffffecff, v0
	v_ashrrev_i32_e32 v3, 31, v0
	v_add_co_u32_e32 v2, vcc, v7, v0
	v_addc_co_u32_e32 v3, vcc, v8, v3, vcc
                                        ; implicit-def: $vgpr6
; %bb.339:
	s_andn2_saveexec_b64 s[6:7], s[6:7]
; %bb.340:
	v_add_co_u32_e32 v2, vcc, v1, v6
	v_addc_co_u32_e32 v3, vcc, 0, v4, vcc
; %bb.341:
	s_or_b64 exec, exec, s[6:7]
	s_or_b64 s[2:3], s[2:3], exec
	s_or_b64 exec, exec, s[4:5]
	s_and_saveexec_b64 s[4:5], s[2:3]
	s_cbranch_execnz .LBB3636_216
	s_branch .LBB3636_276
	.section	.rodata,"a",@progbits
	.p2align	6, 0x0
	.amdhsa_kernel _ZN7rocprim17ROCPRIM_400000_NS6detail17trampoline_kernelINS0_14default_configENS1_25partition_config_selectorILNS1_17partition_subalgoE2EsNS0_10empty_typeEbEEZZNS1_14partition_implILS5_2ELb0ES3_jN6thrust23THRUST_200600_302600_NS6detail15normal_iteratorINSA_7pointerIsNSA_11hip_rocprim3tagENSA_11use_defaultESG_EEEEPS6_NSA_18transform_iteratorI10is_orderedNSA_12zip_iteratorINSA_5tupleINSC_INSA_10device_ptrIsEEEESQ_NSA_9null_typeESR_SR_SR_SR_SR_SR_SR_EEEESG_SG_EENS0_5tupleIJPsSJ_EEENSV_IJSJ_SJ_EEES6_PlJS6_EEE10hipError_tPvRmT3_T4_T5_T6_T7_T9_mT8_P12ihipStream_tbDpT10_ENKUlT_T0_E_clISt17integral_constantIbLb1EES1J_EEDaS1E_S1F_EUlS1E_E_NS1_11comp_targetILNS1_3genE4ELNS1_11target_archE910ELNS1_3gpuE8ELNS1_3repE0EEENS1_30default_config_static_selectorELNS0_4arch9wavefront6targetE1EEEvT1_
		.amdhsa_group_segment_fixed_size 10248
		.amdhsa_private_segment_fixed_size 0
		.amdhsa_kernarg_size 152
		.amdhsa_user_sgpr_count 6
		.amdhsa_user_sgpr_private_segment_buffer 1
		.amdhsa_user_sgpr_dispatch_ptr 0
		.amdhsa_user_sgpr_queue_ptr 0
		.amdhsa_user_sgpr_kernarg_segment_ptr 1
		.amdhsa_user_sgpr_dispatch_id 0
		.amdhsa_user_sgpr_flat_scratch_init 0
		.amdhsa_user_sgpr_kernarg_preload_length 0
		.amdhsa_user_sgpr_kernarg_preload_offset 0
		.amdhsa_user_sgpr_private_segment_size 0
		.amdhsa_uses_dynamic_stack 0
		.amdhsa_system_sgpr_private_segment_wavefront_offset 0
		.amdhsa_system_sgpr_workgroup_id_x 1
		.amdhsa_system_sgpr_workgroup_id_y 0
		.amdhsa_system_sgpr_workgroup_id_z 0
		.amdhsa_system_sgpr_workgroup_info 0
		.amdhsa_system_vgpr_workitem_id 0
		.amdhsa_next_free_vgpr 67
		.amdhsa_next_free_sgpr 46
		.amdhsa_accum_offset 68
		.amdhsa_reserve_vcc 1
		.amdhsa_reserve_flat_scratch 0
		.amdhsa_float_round_mode_32 0
		.amdhsa_float_round_mode_16_64 0
		.amdhsa_float_denorm_mode_32 3
		.amdhsa_float_denorm_mode_16_64 3
		.amdhsa_dx10_clamp 1
		.amdhsa_ieee_mode 1
		.amdhsa_fp16_overflow 0
		.amdhsa_tg_split 0
		.amdhsa_exception_fp_ieee_invalid_op 0
		.amdhsa_exception_fp_denorm_src 0
		.amdhsa_exception_fp_ieee_div_zero 0
		.amdhsa_exception_fp_ieee_overflow 0
		.amdhsa_exception_fp_ieee_underflow 0
		.amdhsa_exception_fp_ieee_inexact 0
		.amdhsa_exception_int_div_zero 0
	.end_amdhsa_kernel
	.section	.text._ZN7rocprim17ROCPRIM_400000_NS6detail17trampoline_kernelINS0_14default_configENS1_25partition_config_selectorILNS1_17partition_subalgoE2EsNS0_10empty_typeEbEEZZNS1_14partition_implILS5_2ELb0ES3_jN6thrust23THRUST_200600_302600_NS6detail15normal_iteratorINSA_7pointerIsNSA_11hip_rocprim3tagENSA_11use_defaultESG_EEEEPS6_NSA_18transform_iteratorI10is_orderedNSA_12zip_iteratorINSA_5tupleINSC_INSA_10device_ptrIsEEEESQ_NSA_9null_typeESR_SR_SR_SR_SR_SR_SR_EEEESG_SG_EENS0_5tupleIJPsSJ_EEENSV_IJSJ_SJ_EEES6_PlJS6_EEE10hipError_tPvRmT3_T4_T5_T6_T7_T9_mT8_P12ihipStream_tbDpT10_ENKUlT_T0_E_clISt17integral_constantIbLb1EES1J_EEDaS1E_S1F_EUlS1E_E_NS1_11comp_targetILNS1_3genE4ELNS1_11target_archE910ELNS1_3gpuE8ELNS1_3repE0EEENS1_30default_config_static_selectorELNS0_4arch9wavefront6targetE1EEEvT1_,"axG",@progbits,_ZN7rocprim17ROCPRIM_400000_NS6detail17trampoline_kernelINS0_14default_configENS1_25partition_config_selectorILNS1_17partition_subalgoE2EsNS0_10empty_typeEbEEZZNS1_14partition_implILS5_2ELb0ES3_jN6thrust23THRUST_200600_302600_NS6detail15normal_iteratorINSA_7pointerIsNSA_11hip_rocprim3tagENSA_11use_defaultESG_EEEEPS6_NSA_18transform_iteratorI10is_orderedNSA_12zip_iteratorINSA_5tupleINSC_INSA_10device_ptrIsEEEESQ_NSA_9null_typeESR_SR_SR_SR_SR_SR_SR_EEEESG_SG_EENS0_5tupleIJPsSJ_EEENSV_IJSJ_SJ_EEES6_PlJS6_EEE10hipError_tPvRmT3_T4_T5_T6_T7_T9_mT8_P12ihipStream_tbDpT10_ENKUlT_T0_E_clISt17integral_constantIbLb1EES1J_EEDaS1E_S1F_EUlS1E_E_NS1_11comp_targetILNS1_3genE4ELNS1_11target_archE910ELNS1_3gpuE8ELNS1_3repE0EEENS1_30default_config_static_selectorELNS0_4arch9wavefront6targetE1EEEvT1_,comdat
.Lfunc_end3636:
	.size	_ZN7rocprim17ROCPRIM_400000_NS6detail17trampoline_kernelINS0_14default_configENS1_25partition_config_selectorILNS1_17partition_subalgoE2EsNS0_10empty_typeEbEEZZNS1_14partition_implILS5_2ELb0ES3_jN6thrust23THRUST_200600_302600_NS6detail15normal_iteratorINSA_7pointerIsNSA_11hip_rocprim3tagENSA_11use_defaultESG_EEEEPS6_NSA_18transform_iteratorI10is_orderedNSA_12zip_iteratorINSA_5tupleINSC_INSA_10device_ptrIsEEEESQ_NSA_9null_typeESR_SR_SR_SR_SR_SR_SR_EEEESG_SG_EENS0_5tupleIJPsSJ_EEENSV_IJSJ_SJ_EEES6_PlJS6_EEE10hipError_tPvRmT3_T4_T5_T6_T7_T9_mT8_P12ihipStream_tbDpT10_ENKUlT_T0_E_clISt17integral_constantIbLb1EES1J_EEDaS1E_S1F_EUlS1E_E_NS1_11comp_targetILNS1_3genE4ELNS1_11target_archE910ELNS1_3gpuE8ELNS1_3repE0EEENS1_30default_config_static_selectorELNS0_4arch9wavefront6targetE1EEEvT1_, .Lfunc_end3636-_ZN7rocprim17ROCPRIM_400000_NS6detail17trampoline_kernelINS0_14default_configENS1_25partition_config_selectorILNS1_17partition_subalgoE2EsNS0_10empty_typeEbEEZZNS1_14partition_implILS5_2ELb0ES3_jN6thrust23THRUST_200600_302600_NS6detail15normal_iteratorINSA_7pointerIsNSA_11hip_rocprim3tagENSA_11use_defaultESG_EEEEPS6_NSA_18transform_iteratorI10is_orderedNSA_12zip_iteratorINSA_5tupleINSC_INSA_10device_ptrIsEEEESQ_NSA_9null_typeESR_SR_SR_SR_SR_SR_SR_EEEESG_SG_EENS0_5tupleIJPsSJ_EEENSV_IJSJ_SJ_EEES6_PlJS6_EEE10hipError_tPvRmT3_T4_T5_T6_T7_T9_mT8_P12ihipStream_tbDpT10_ENKUlT_T0_E_clISt17integral_constantIbLb1EES1J_EEDaS1E_S1F_EUlS1E_E_NS1_11comp_targetILNS1_3genE4ELNS1_11target_archE910ELNS1_3gpuE8ELNS1_3repE0EEENS1_30default_config_static_selectorELNS0_4arch9wavefront6targetE1EEEvT1_
                                        ; -- End function
	.section	.AMDGPU.csdata,"",@progbits
; Kernel info:
; codeLenInByte = 11500
; NumSgprs: 50
; NumVgprs: 67
; NumAgprs: 0
; TotalNumVgprs: 67
; ScratchSize: 0
; MemoryBound: 0
; FloatMode: 240
; IeeeMode: 1
; LDSByteSize: 10248 bytes/workgroup (compile time only)
; SGPRBlocks: 6
; VGPRBlocks: 8
; NumSGPRsForWavesPerEU: 50
; NumVGPRsForWavesPerEU: 67
; AccumOffset: 68
; Occupancy: 6
; WaveLimiterHint : 1
; COMPUTE_PGM_RSRC2:SCRATCH_EN: 0
; COMPUTE_PGM_RSRC2:USER_SGPR: 6
; COMPUTE_PGM_RSRC2:TRAP_HANDLER: 0
; COMPUTE_PGM_RSRC2:TGID_X_EN: 1
; COMPUTE_PGM_RSRC2:TGID_Y_EN: 0
; COMPUTE_PGM_RSRC2:TGID_Z_EN: 0
; COMPUTE_PGM_RSRC2:TIDIG_COMP_CNT: 0
; COMPUTE_PGM_RSRC3_GFX90A:ACCUM_OFFSET: 16
; COMPUTE_PGM_RSRC3_GFX90A:TG_SPLIT: 0
	.section	.text._ZN7rocprim17ROCPRIM_400000_NS6detail17trampoline_kernelINS0_14default_configENS1_25partition_config_selectorILNS1_17partition_subalgoE2EsNS0_10empty_typeEbEEZZNS1_14partition_implILS5_2ELb0ES3_jN6thrust23THRUST_200600_302600_NS6detail15normal_iteratorINSA_7pointerIsNSA_11hip_rocprim3tagENSA_11use_defaultESG_EEEEPS6_NSA_18transform_iteratorI10is_orderedNSA_12zip_iteratorINSA_5tupleINSC_INSA_10device_ptrIsEEEESQ_NSA_9null_typeESR_SR_SR_SR_SR_SR_SR_EEEESG_SG_EENS0_5tupleIJPsSJ_EEENSV_IJSJ_SJ_EEES6_PlJS6_EEE10hipError_tPvRmT3_T4_T5_T6_T7_T9_mT8_P12ihipStream_tbDpT10_ENKUlT_T0_E_clISt17integral_constantIbLb1EES1J_EEDaS1E_S1F_EUlS1E_E_NS1_11comp_targetILNS1_3genE3ELNS1_11target_archE908ELNS1_3gpuE7ELNS1_3repE0EEENS1_30default_config_static_selectorELNS0_4arch9wavefront6targetE1EEEvT1_,"axG",@progbits,_ZN7rocprim17ROCPRIM_400000_NS6detail17trampoline_kernelINS0_14default_configENS1_25partition_config_selectorILNS1_17partition_subalgoE2EsNS0_10empty_typeEbEEZZNS1_14partition_implILS5_2ELb0ES3_jN6thrust23THRUST_200600_302600_NS6detail15normal_iteratorINSA_7pointerIsNSA_11hip_rocprim3tagENSA_11use_defaultESG_EEEEPS6_NSA_18transform_iteratorI10is_orderedNSA_12zip_iteratorINSA_5tupleINSC_INSA_10device_ptrIsEEEESQ_NSA_9null_typeESR_SR_SR_SR_SR_SR_SR_EEEESG_SG_EENS0_5tupleIJPsSJ_EEENSV_IJSJ_SJ_EEES6_PlJS6_EEE10hipError_tPvRmT3_T4_T5_T6_T7_T9_mT8_P12ihipStream_tbDpT10_ENKUlT_T0_E_clISt17integral_constantIbLb1EES1J_EEDaS1E_S1F_EUlS1E_E_NS1_11comp_targetILNS1_3genE3ELNS1_11target_archE908ELNS1_3gpuE7ELNS1_3repE0EEENS1_30default_config_static_selectorELNS0_4arch9wavefront6targetE1EEEvT1_,comdat
	.protected	_ZN7rocprim17ROCPRIM_400000_NS6detail17trampoline_kernelINS0_14default_configENS1_25partition_config_selectorILNS1_17partition_subalgoE2EsNS0_10empty_typeEbEEZZNS1_14partition_implILS5_2ELb0ES3_jN6thrust23THRUST_200600_302600_NS6detail15normal_iteratorINSA_7pointerIsNSA_11hip_rocprim3tagENSA_11use_defaultESG_EEEEPS6_NSA_18transform_iteratorI10is_orderedNSA_12zip_iteratorINSA_5tupleINSC_INSA_10device_ptrIsEEEESQ_NSA_9null_typeESR_SR_SR_SR_SR_SR_SR_EEEESG_SG_EENS0_5tupleIJPsSJ_EEENSV_IJSJ_SJ_EEES6_PlJS6_EEE10hipError_tPvRmT3_T4_T5_T6_T7_T9_mT8_P12ihipStream_tbDpT10_ENKUlT_T0_E_clISt17integral_constantIbLb1EES1J_EEDaS1E_S1F_EUlS1E_E_NS1_11comp_targetILNS1_3genE3ELNS1_11target_archE908ELNS1_3gpuE7ELNS1_3repE0EEENS1_30default_config_static_selectorELNS0_4arch9wavefront6targetE1EEEvT1_ ; -- Begin function _ZN7rocprim17ROCPRIM_400000_NS6detail17trampoline_kernelINS0_14default_configENS1_25partition_config_selectorILNS1_17partition_subalgoE2EsNS0_10empty_typeEbEEZZNS1_14partition_implILS5_2ELb0ES3_jN6thrust23THRUST_200600_302600_NS6detail15normal_iteratorINSA_7pointerIsNSA_11hip_rocprim3tagENSA_11use_defaultESG_EEEEPS6_NSA_18transform_iteratorI10is_orderedNSA_12zip_iteratorINSA_5tupleINSC_INSA_10device_ptrIsEEEESQ_NSA_9null_typeESR_SR_SR_SR_SR_SR_SR_EEEESG_SG_EENS0_5tupleIJPsSJ_EEENSV_IJSJ_SJ_EEES6_PlJS6_EEE10hipError_tPvRmT3_T4_T5_T6_T7_T9_mT8_P12ihipStream_tbDpT10_ENKUlT_T0_E_clISt17integral_constantIbLb1EES1J_EEDaS1E_S1F_EUlS1E_E_NS1_11comp_targetILNS1_3genE3ELNS1_11target_archE908ELNS1_3gpuE7ELNS1_3repE0EEENS1_30default_config_static_selectorELNS0_4arch9wavefront6targetE1EEEvT1_
	.globl	_ZN7rocprim17ROCPRIM_400000_NS6detail17trampoline_kernelINS0_14default_configENS1_25partition_config_selectorILNS1_17partition_subalgoE2EsNS0_10empty_typeEbEEZZNS1_14partition_implILS5_2ELb0ES3_jN6thrust23THRUST_200600_302600_NS6detail15normal_iteratorINSA_7pointerIsNSA_11hip_rocprim3tagENSA_11use_defaultESG_EEEEPS6_NSA_18transform_iteratorI10is_orderedNSA_12zip_iteratorINSA_5tupleINSC_INSA_10device_ptrIsEEEESQ_NSA_9null_typeESR_SR_SR_SR_SR_SR_SR_EEEESG_SG_EENS0_5tupleIJPsSJ_EEENSV_IJSJ_SJ_EEES6_PlJS6_EEE10hipError_tPvRmT3_T4_T5_T6_T7_T9_mT8_P12ihipStream_tbDpT10_ENKUlT_T0_E_clISt17integral_constantIbLb1EES1J_EEDaS1E_S1F_EUlS1E_E_NS1_11comp_targetILNS1_3genE3ELNS1_11target_archE908ELNS1_3gpuE7ELNS1_3repE0EEENS1_30default_config_static_selectorELNS0_4arch9wavefront6targetE1EEEvT1_
	.p2align	8
	.type	_ZN7rocprim17ROCPRIM_400000_NS6detail17trampoline_kernelINS0_14default_configENS1_25partition_config_selectorILNS1_17partition_subalgoE2EsNS0_10empty_typeEbEEZZNS1_14partition_implILS5_2ELb0ES3_jN6thrust23THRUST_200600_302600_NS6detail15normal_iteratorINSA_7pointerIsNSA_11hip_rocprim3tagENSA_11use_defaultESG_EEEEPS6_NSA_18transform_iteratorI10is_orderedNSA_12zip_iteratorINSA_5tupleINSC_INSA_10device_ptrIsEEEESQ_NSA_9null_typeESR_SR_SR_SR_SR_SR_SR_EEEESG_SG_EENS0_5tupleIJPsSJ_EEENSV_IJSJ_SJ_EEES6_PlJS6_EEE10hipError_tPvRmT3_T4_T5_T6_T7_T9_mT8_P12ihipStream_tbDpT10_ENKUlT_T0_E_clISt17integral_constantIbLb1EES1J_EEDaS1E_S1F_EUlS1E_E_NS1_11comp_targetILNS1_3genE3ELNS1_11target_archE908ELNS1_3gpuE7ELNS1_3repE0EEENS1_30default_config_static_selectorELNS0_4arch9wavefront6targetE1EEEvT1_,@function
_ZN7rocprim17ROCPRIM_400000_NS6detail17trampoline_kernelINS0_14default_configENS1_25partition_config_selectorILNS1_17partition_subalgoE2EsNS0_10empty_typeEbEEZZNS1_14partition_implILS5_2ELb0ES3_jN6thrust23THRUST_200600_302600_NS6detail15normal_iteratorINSA_7pointerIsNSA_11hip_rocprim3tagENSA_11use_defaultESG_EEEEPS6_NSA_18transform_iteratorI10is_orderedNSA_12zip_iteratorINSA_5tupleINSC_INSA_10device_ptrIsEEEESQ_NSA_9null_typeESR_SR_SR_SR_SR_SR_SR_EEEESG_SG_EENS0_5tupleIJPsSJ_EEENSV_IJSJ_SJ_EEES6_PlJS6_EEE10hipError_tPvRmT3_T4_T5_T6_T7_T9_mT8_P12ihipStream_tbDpT10_ENKUlT_T0_E_clISt17integral_constantIbLb1EES1J_EEDaS1E_S1F_EUlS1E_E_NS1_11comp_targetILNS1_3genE3ELNS1_11target_archE908ELNS1_3gpuE7ELNS1_3repE0EEENS1_30default_config_static_selectorELNS0_4arch9wavefront6targetE1EEEvT1_: ; @_ZN7rocprim17ROCPRIM_400000_NS6detail17trampoline_kernelINS0_14default_configENS1_25partition_config_selectorILNS1_17partition_subalgoE2EsNS0_10empty_typeEbEEZZNS1_14partition_implILS5_2ELb0ES3_jN6thrust23THRUST_200600_302600_NS6detail15normal_iteratorINSA_7pointerIsNSA_11hip_rocprim3tagENSA_11use_defaultESG_EEEEPS6_NSA_18transform_iteratorI10is_orderedNSA_12zip_iteratorINSA_5tupleINSC_INSA_10device_ptrIsEEEESQ_NSA_9null_typeESR_SR_SR_SR_SR_SR_SR_EEEESG_SG_EENS0_5tupleIJPsSJ_EEENSV_IJSJ_SJ_EEES6_PlJS6_EEE10hipError_tPvRmT3_T4_T5_T6_T7_T9_mT8_P12ihipStream_tbDpT10_ENKUlT_T0_E_clISt17integral_constantIbLb1EES1J_EEDaS1E_S1F_EUlS1E_E_NS1_11comp_targetILNS1_3genE3ELNS1_11target_archE908ELNS1_3gpuE7ELNS1_3repE0EEENS1_30default_config_static_selectorELNS0_4arch9wavefront6targetE1EEEvT1_
; %bb.0:
	.section	.rodata,"a",@progbits
	.p2align	6, 0x0
	.amdhsa_kernel _ZN7rocprim17ROCPRIM_400000_NS6detail17trampoline_kernelINS0_14default_configENS1_25partition_config_selectorILNS1_17partition_subalgoE2EsNS0_10empty_typeEbEEZZNS1_14partition_implILS5_2ELb0ES3_jN6thrust23THRUST_200600_302600_NS6detail15normal_iteratorINSA_7pointerIsNSA_11hip_rocprim3tagENSA_11use_defaultESG_EEEEPS6_NSA_18transform_iteratorI10is_orderedNSA_12zip_iteratorINSA_5tupleINSC_INSA_10device_ptrIsEEEESQ_NSA_9null_typeESR_SR_SR_SR_SR_SR_SR_EEEESG_SG_EENS0_5tupleIJPsSJ_EEENSV_IJSJ_SJ_EEES6_PlJS6_EEE10hipError_tPvRmT3_T4_T5_T6_T7_T9_mT8_P12ihipStream_tbDpT10_ENKUlT_T0_E_clISt17integral_constantIbLb1EES1J_EEDaS1E_S1F_EUlS1E_E_NS1_11comp_targetILNS1_3genE3ELNS1_11target_archE908ELNS1_3gpuE7ELNS1_3repE0EEENS1_30default_config_static_selectorELNS0_4arch9wavefront6targetE1EEEvT1_
		.amdhsa_group_segment_fixed_size 0
		.amdhsa_private_segment_fixed_size 0
		.amdhsa_kernarg_size 152
		.amdhsa_user_sgpr_count 6
		.amdhsa_user_sgpr_private_segment_buffer 1
		.amdhsa_user_sgpr_dispatch_ptr 0
		.amdhsa_user_sgpr_queue_ptr 0
		.amdhsa_user_sgpr_kernarg_segment_ptr 1
		.amdhsa_user_sgpr_dispatch_id 0
		.amdhsa_user_sgpr_flat_scratch_init 0
		.amdhsa_user_sgpr_kernarg_preload_length 0
		.amdhsa_user_sgpr_kernarg_preload_offset 0
		.amdhsa_user_sgpr_private_segment_size 0
		.amdhsa_uses_dynamic_stack 0
		.amdhsa_system_sgpr_private_segment_wavefront_offset 0
		.amdhsa_system_sgpr_workgroup_id_x 1
		.amdhsa_system_sgpr_workgroup_id_y 0
		.amdhsa_system_sgpr_workgroup_id_z 0
		.amdhsa_system_sgpr_workgroup_info 0
		.amdhsa_system_vgpr_workitem_id 0
		.amdhsa_next_free_vgpr 1
		.amdhsa_next_free_sgpr 0
		.amdhsa_accum_offset 4
		.amdhsa_reserve_vcc 0
		.amdhsa_reserve_flat_scratch 0
		.amdhsa_float_round_mode_32 0
		.amdhsa_float_round_mode_16_64 0
		.amdhsa_float_denorm_mode_32 3
		.amdhsa_float_denorm_mode_16_64 3
		.amdhsa_dx10_clamp 1
		.amdhsa_ieee_mode 1
		.amdhsa_fp16_overflow 0
		.amdhsa_tg_split 0
		.amdhsa_exception_fp_ieee_invalid_op 0
		.amdhsa_exception_fp_denorm_src 0
		.amdhsa_exception_fp_ieee_div_zero 0
		.amdhsa_exception_fp_ieee_overflow 0
		.amdhsa_exception_fp_ieee_underflow 0
		.amdhsa_exception_fp_ieee_inexact 0
		.amdhsa_exception_int_div_zero 0
	.end_amdhsa_kernel
	.section	.text._ZN7rocprim17ROCPRIM_400000_NS6detail17trampoline_kernelINS0_14default_configENS1_25partition_config_selectorILNS1_17partition_subalgoE2EsNS0_10empty_typeEbEEZZNS1_14partition_implILS5_2ELb0ES3_jN6thrust23THRUST_200600_302600_NS6detail15normal_iteratorINSA_7pointerIsNSA_11hip_rocprim3tagENSA_11use_defaultESG_EEEEPS6_NSA_18transform_iteratorI10is_orderedNSA_12zip_iteratorINSA_5tupleINSC_INSA_10device_ptrIsEEEESQ_NSA_9null_typeESR_SR_SR_SR_SR_SR_SR_EEEESG_SG_EENS0_5tupleIJPsSJ_EEENSV_IJSJ_SJ_EEES6_PlJS6_EEE10hipError_tPvRmT3_T4_T5_T6_T7_T9_mT8_P12ihipStream_tbDpT10_ENKUlT_T0_E_clISt17integral_constantIbLb1EES1J_EEDaS1E_S1F_EUlS1E_E_NS1_11comp_targetILNS1_3genE3ELNS1_11target_archE908ELNS1_3gpuE7ELNS1_3repE0EEENS1_30default_config_static_selectorELNS0_4arch9wavefront6targetE1EEEvT1_,"axG",@progbits,_ZN7rocprim17ROCPRIM_400000_NS6detail17trampoline_kernelINS0_14default_configENS1_25partition_config_selectorILNS1_17partition_subalgoE2EsNS0_10empty_typeEbEEZZNS1_14partition_implILS5_2ELb0ES3_jN6thrust23THRUST_200600_302600_NS6detail15normal_iteratorINSA_7pointerIsNSA_11hip_rocprim3tagENSA_11use_defaultESG_EEEEPS6_NSA_18transform_iteratorI10is_orderedNSA_12zip_iteratorINSA_5tupleINSC_INSA_10device_ptrIsEEEESQ_NSA_9null_typeESR_SR_SR_SR_SR_SR_SR_EEEESG_SG_EENS0_5tupleIJPsSJ_EEENSV_IJSJ_SJ_EEES6_PlJS6_EEE10hipError_tPvRmT3_T4_T5_T6_T7_T9_mT8_P12ihipStream_tbDpT10_ENKUlT_T0_E_clISt17integral_constantIbLb1EES1J_EEDaS1E_S1F_EUlS1E_E_NS1_11comp_targetILNS1_3genE3ELNS1_11target_archE908ELNS1_3gpuE7ELNS1_3repE0EEENS1_30default_config_static_selectorELNS0_4arch9wavefront6targetE1EEEvT1_,comdat
.Lfunc_end3637:
	.size	_ZN7rocprim17ROCPRIM_400000_NS6detail17trampoline_kernelINS0_14default_configENS1_25partition_config_selectorILNS1_17partition_subalgoE2EsNS0_10empty_typeEbEEZZNS1_14partition_implILS5_2ELb0ES3_jN6thrust23THRUST_200600_302600_NS6detail15normal_iteratorINSA_7pointerIsNSA_11hip_rocprim3tagENSA_11use_defaultESG_EEEEPS6_NSA_18transform_iteratorI10is_orderedNSA_12zip_iteratorINSA_5tupleINSC_INSA_10device_ptrIsEEEESQ_NSA_9null_typeESR_SR_SR_SR_SR_SR_SR_EEEESG_SG_EENS0_5tupleIJPsSJ_EEENSV_IJSJ_SJ_EEES6_PlJS6_EEE10hipError_tPvRmT3_T4_T5_T6_T7_T9_mT8_P12ihipStream_tbDpT10_ENKUlT_T0_E_clISt17integral_constantIbLb1EES1J_EEDaS1E_S1F_EUlS1E_E_NS1_11comp_targetILNS1_3genE3ELNS1_11target_archE908ELNS1_3gpuE7ELNS1_3repE0EEENS1_30default_config_static_selectorELNS0_4arch9wavefront6targetE1EEEvT1_, .Lfunc_end3637-_ZN7rocprim17ROCPRIM_400000_NS6detail17trampoline_kernelINS0_14default_configENS1_25partition_config_selectorILNS1_17partition_subalgoE2EsNS0_10empty_typeEbEEZZNS1_14partition_implILS5_2ELb0ES3_jN6thrust23THRUST_200600_302600_NS6detail15normal_iteratorINSA_7pointerIsNSA_11hip_rocprim3tagENSA_11use_defaultESG_EEEEPS6_NSA_18transform_iteratorI10is_orderedNSA_12zip_iteratorINSA_5tupleINSC_INSA_10device_ptrIsEEEESQ_NSA_9null_typeESR_SR_SR_SR_SR_SR_SR_EEEESG_SG_EENS0_5tupleIJPsSJ_EEENSV_IJSJ_SJ_EEES6_PlJS6_EEE10hipError_tPvRmT3_T4_T5_T6_T7_T9_mT8_P12ihipStream_tbDpT10_ENKUlT_T0_E_clISt17integral_constantIbLb1EES1J_EEDaS1E_S1F_EUlS1E_E_NS1_11comp_targetILNS1_3genE3ELNS1_11target_archE908ELNS1_3gpuE7ELNS1_3repE0EEENS1_30default_config_static_selectorELNS0_4arch9wavefront6targetE1EEEvT1_
                                        ; -- End function
	.section	.AMDGPU.csdata,"",@progbits
; Kernel info:
; codeLenInByte = 0
; NumSgprs: 4
; NumVgprs: 0
; NumAgprs: 0
; TotalNumVgprs: 0
; ScratchSize: 0
; MemoryBound: 0
; FloatMode: 240
; IeeeMode: 1
; LDSByteSize: 0 bytes/workgroup (compile time only)
; SGPRBlocks: 0
; VGPRBlocks: 0
; NumSGPRsForWavesPerEU: 4
; NumVGPRsForWavesPerEU: 1
; AccumOffset: 4
; Occupancy: 8
; WaveLimiterHint : 0
; COMPUTE_PGM_RSRC2:SCRATCH_EN: 0
; COMPUTE_PGM_RSRC2:USER_SGPR: 6
; COMPUTE_PGM_RSRC2:TRAP_HANDLER: 0
; COMPUTE_PGM_RSRC2:TGID_X_EN: 1
; COMPUTE_PGM_RSRC2:TGID_Y_EN: 0
; COMPUTE_PGM_RSRC2:TGID_Z_EN: 0
; COMPUTE_PGM_RSRC2:TIDIG_COMP_CNT: 0
; COMPUTE_PGM_RSRC3_GFX90A:ACCUM_OFFSET: 0
; COMPUTE_PGM_RSRC3_GFX90A:TG_SPLIT: 0
	.section	.text._ZN7rocprim17ROCPRIM_400000_NS6detail17trampoline_kernelINS0_14default_configENS1_25partition_config_selectorILNS1_17partition_subalgoE2EsNS0_10empty_typeEbEEZZNS1_14partition_implILS5_2ELb0ES3_jN6thrust23THRUST_200600_302600_NS6detail15normal_iteratorINSA_7pointerIsNSA_11hip_rocprim3tagENSA_11use_defaultESG_EEEEPS6_NSA_18transform_iteratorI10is_orderedNSA_12zip_iteratorINSA_5tupleINSC_INSA_10device_ptrIsEEEESQ_NSA_9null_typeESR_SR_SR_SR_SR_SR_SR_EEEESG_SG_EENS0_5tupleIJPsSJ_EEENSV_IJSJ_SJ_EEES6_PlJS6_EEE10hipError_tPvRmT3_T4_T5_T6_T7_T9_mT8_P12ihipStream_tbDpT10_ENKUlT_T0_E_clISt17integral_constantIbLb1EES1J_EEDaS1E_S1F_EUlS1E_E_NS1_11comp_targetILNS1_3genE2ELNS1_11target_archE906ELNS1_3gpuE6ELNS1_3repE0EEENS1_30default_config_static_selectorELNS0_4arch9wavefront6targetE1EEEvT1_,"axG",@progbits,_ZN7rocprim17ROCPRIM_400000_NS6detail17trampoline_kernelINS0_14default_configENS1_25partition_config_selectorILNS1_17partition_subalgoE2EsNS0_10empty_typeEbEEZZNS1_14partition_implILS5_2ELb0ES3_jN6thrust23THRUST_200600_302600_NS6detail15normal_iteratorINSA_7pointerIsNSA_11hip_rocprim3tagENSA_11use_defaultESG_EEEEPS6_NSA_18transform_iteratorI10is_orderedNSA_12zip_iteratorINSA_5tupleINSC_INSA_10device_ptrIsEEEESQ_NSA_9null_typeESR_SR_SR_SR_SR_SR_SR_EEEESG_SG_EENS0_5tupleIJPsSJ_EEENSV_IJSJ_SJ_EEES6_PlJS6_EEE10hipError_tPvRmT3_T4_T5_T6_T7_T9_mT8_P12ihipStream_tbDpT10_ENKUlT_T0_E_clISt17integral_constantIbLb1EES1J_EEDaS1E_S1F_EUlS1E_E_NS1_11comp_targetILNS1_3genE2ELNS1_11target_archE906ELNS1_3gpuE6ELNS1_3repE0EEENS1_30default_config_static_selectorELNS0_4arch9wavefront6targetE1EEEvT1_,comdat
	.protected	_ZN7rocprim17ROCPRIM_400000_NS6detail17trampoline_kernelINS0_14default_configENS1_25partition_config_selectorILNS1_17partition_subalgoE2EsNS0_10empty_typeEbEEZZNS1_14partition_implILS5_2ELb0ES3_jN6thrust23THRUST_200600_302600_NS6detail15normal_iteratorINSA_7pointerIsNSA_11hip_rocprim3tagENSA_11use_defaultESG_EEEEPS6_NSA_18transform_iteratorI10is_orderedNSA_12zip_iteratorINSA_5tupleINSC_INSA_10device_ptrIsEEEESQ_NSA_9null_typeESR_SR_SR_SR_SR_SR_SR_EEEESG_SG_EENS0_5tupleIJPsSJ_EEENSV_IJSJ_SJ_EEES6_PlJS6_EEE10hipError_tPvRmT3_T4_T5_T6_T7_T9_mT8_P12ihipStream_tbDpT10_ENKUlT_T0_E_clISt17integral_constantIbLb1EES1J_EEDaS1E_S1F_EUlS1E_E_NS1_11comp_targetILNS1_3genE2ELNS1_11target_archE906ELNS1_3gpuE6ELNS1_3repE0EEENS1_30default_config_static_selectorELNS0_4arch9wavefront6targetE1EEEvT1_ ; -- Begin function _ZN7rocprim17ROCPRIM_400000_NS6detail17trampoline_kernelINS0_14default_configENS1_25partition_config_selectorILNS1_17partition_subalgoE2EsNS0_10empty_typeEbEEZZNS1_14partition_implILS5_2ELb0ES3_jN6thrust23THRUST_200600_302600_NS6detail15normal_iteratorINSA_7pointerIsNSA_11hip_rocprim3tagENSA_11use_defaultESG_EEEEPS6_NSA_18transform_iteratorI10is_orderedNSA_12zip_iteratorINSA_5tupleINSC_INSA_10device_ptrIsEEEESQ_NSA_9null_typeESR_SR_SR_SR_SR_SR_SR_EEEESG_SG_EENS0_5tupleIJPsSJ_EEENSV_IJSJ_SJ_EEES6_PlJS6_EEE10hipError_tPvRmT3_T4_T5_T6_T7_T9_mT8_P12ihipStream_tbDpT10_ENKUlT_T0_E_clISt17integral_constantIbLb1EES1J_EEDaS1E_S1F_EUlS1E_E_NS1_11comp_targetILNS1_3genE2ELNS1_11target_archE906ELNS1_3gpuE6ELNS1_3repE0EEENS1_30default_config_static_selectorELNS0_4arch9wavefront6targetE1EEEvT1_
	.globl	_ZN7rocprim17ROCPRIM_400000_NS6detail17trampoline_kernelINS0_14default_configENS1_25partition_config_selectorILNS1_17partition_subalgoE2EsNS0_10empty_typeEbEEZZNS1_14partition_implILS5_2ELb0ES3_jN6thrust23THRUST_200600_302600_NS6detail15normal_iteratorINSA_7pointerIsNSA_11hip_rocprim3tagENSA_11use_defaultESG_EEEEPS6_NSA_18transform_iteratorI10is_orderedNSA_12zip_iteratorINSA_5tupleINSC_INSA_10device_ptrIsEEEESQ_NSA_9null_typeESR_SR_SR_SR_SR_SR_SR_EEEESG_SG_EENS0_5tupleIJPsSJ_EEENSV_IJSJ_SJ_EEES6_PlJS6_EEE10hipError_tPvRmT3_T4_T5_T6_T7_T9_mT8_P12ihipStream_tbDpT10_ENKUlT_T0_E_clISt17integral_constantIbLb1EES1J_EEDaS1E_S1F_EUlS1E_E_NS1_11comp_targetILNS1_3genE2ELNS1_11target_archE906ELNS1_3gpuE6ELNS1_3repE0EEENS1_30default_config_static_selectorELNS0_4arch9wavefront6targetE1EEEvT1_
	.p2align	8
	.type	_ZN7rocprim17ROCPRIM_400000_NS6detail17trampoline_kernelINS0_14default_configENS1_25partition_config_selectorILNS1_17partition_subalgoE2EsNS0_10empty_typeEbEEZZNS1_14partition_implILS5_2ELb0ES3_jN6thrust23THRUST_200600_302600_NS6detail15normal_iteratorINSA_7pointerIsNSA_11hip_rocprim3tagENSA_11use_defaultESG_EEEEPS6_NSA_18transform_iteratorI10is_orderedNSA_12zip_iteratorINSA_5tupleINSC_INSA_10device_ptrIsEEEESQ_NSA_9null_typeESR_SR_SR_SR_SR_SR_SR_EEEESG_SG_EENS0_5tupleIJPsSJ_EEENSV_IJSJ_SJ_EEES6_PlJS6_EEE10hipError_tPvRmT3_T4_T5_T6_T7_T9_mT8_P12ihipStream_tbDpT10_ENKUlT_T0_E_clISt17integral_constantIbLb1EES1J_EEDaS1E_S1F_EUlS1E_E_NS1_11comp_targetILNS1_3genE2ELNS1_11target_archE906ELNS1_3gpuE6ELNS1_3repE0EEENS1_30default_config_static_selectorELNS0_4arch9wavefront6targetE1EEEvT1_,@function
_ZN7rocprim17ROCPRIM_400000_NS6detail17trampoline_kernelINS0_14default_configENS1_25partition_config_selectorILNS1_17partition_subalgoE2EsNS0_10empty_typeEbEEZZNS1_14partition_implILS5_2ELb0ES3_jN6thrust23THRUST_200600_302600_NS6detail15normal_iteratorINSA_7pointerIsNSA_11hip_rocprim3tagENSA_11use_defaultESG_EEEEPS6_NSA_18transform_iteratorI10is_orderedNSA_12zip_iteratorINSA_5tupleINSC_INSA_10device_ptrIsEEEESQ_NSA_9null_typeESR_SR_SR_SR_SR_SR_SR_EEEESG_SG_EENS0_5tupleIJPsSJ_EEENSV_IJSJ_SJ_EEES6_PlJS6_EEE10hipError_tPvRmT3_T4_T5_T6_T7_T9_mT8_P12ihipStream_tbDpT10_ENKUlT_T0_E_clISt17integral_constantIbLb1EES1J_EEDaS1E_S1F_EUlS1E_E_NS1_11comp_targetILNS1_3genE2ELNS1_11target_archE906ELNS1_3gpuE6ELNS1_3repE0EEENS1_30default_config_static_selectorELNS0_4arch9wavefront6targetE1EEEvT1_: ; @_ZN7rocprim17ROCPRIM_400000_NS6detail17trampoline_kernelINS0_14default_configENS1_25partition_config_selectorILNS1_17partition_subalgoE2EsNS0_10empty_typeEbEEZZNS1_14partition_implILS5_2ELb0ES3_jN6thrust23THRUST_200600_302600_NS6detail15normal_iteratorINSA_7pointerIsNSA_11hip_rocprim3tagENSA_11use_defaultESG_EEEEPS6_NSA_18transform_iteratorI10is_orderedNSA_12zip_iteratorINSA_5tupleINSC_INSA_10device_ptrIsEEEESQ_NSA_9null_typeESR_SR_SR_SR_SR_SR_SR_EEEESG_SG_EENS0_5tupleIJPsSJ_EEENSV_IJSJ_SJ_EEES6_PlJS6_EEE10hipError_tPvRmT3_T4_T5_T6_T7_T9_mT8_P12ihipStream_tbDpT10_ENKUlT_T0_E_clISt17integral_constantIbLb1EES1J_EEDaS1E_S1F_EUlS1E_E_NS1_11comp_targetILNS1_3genE2ELNS1_11target_archE906ELNS1_3gpuE6ELNS1_3repE0EEENS1_30default_config_static_selectorELNS0_4arch9wavefront6targetE1EEEvT1_
; %bb.0:
	.section	.rodata,"a",@progbits
	.p2align	6, 0x0
	.amdhsa_kernel _ZN7rocprim17ROCPRIM_400000_NS6detail17trampoline_kernelINS0_14default_configENS1_25partition_config_selectorILNS1_17partition_subalgoE2EsNS0_10empty_typeEbEEZZNS1_14partition_implILS5_2ELb0ES3_jN6thrust23THRUST_200600_302600_NS6detail15normal_iteratorINSA_7pointerIsNSA_11hip_rocprim3tagENSA_11use_defaultESG_EEEEPS6_NSA_18transform_iteratorI10is_orderedNSA_12zip_iteratorINSA_5tupleINSC_INSA_10device_ptrIsEEEESQ_NSA_9null_typeESR_SR_SR_SR_SR_SR_SR_EEEESG_SG_EENS0_5tupleIJPsSJ_EEENSV_IJSJ_SJ_EEES6_PlJS6_EEE10hipError_tPvRmT3_T4_T5_T6_T7_T9_mT8_P12ihipStream_tbDpT10_ENKUlT_T0_E_clISt17integral_constantIbLb1EES1J_EEDaS1E_S1F_EUlS1E_E_NS1_11comp_targetILNS1_3genE2ELNS1_11target_archE906ELNS1_3gpuE6ELNS1_3repE0EEENS1_30default_config_static_selectorELNS0_4arch9wavefront6targetE1EEEvT1_
		.amdhsa_group_segment_fixed_size 0
		.amdhsa_private_segment_fixed_size 0
		.amdhsa_kernarg_size 152
		.amdhsa_user_sgpr_count 6
		.amdhsa_user_sgpr_private_segment_buffer 1
		.amdhsa_user_sgpr_dispatch_ptr 0
		.amdhsa_user_sgpr_queue_ptr 0
		.amdhsa_user_sgpr_kernarg_segment_ptr 1
		.amdhsa_user_sgpr_dispatch_id 0
		.amdhsa_user_sgpr_flat_scratch_init 0
		.amdhsa_user_sgpr_kernarg_preload_length 0
		.amdhsa_user_sgpr_kernarg_preload_offset 0
		.amdhsa_user_sgpr_private_segment_size 0
		.amdhsa_uses_dynamic_stack 0
		.amdhsa_system_sgpr_private_segment_wavefront_offset 0
		.amdhsa_system_sgpr_workgroup_id_x 1
		.amdhsa_system_sgpr_workgroup_id_y 0
		.amdhsa_system_sgpr_workgroup_id_z 0
		.amdhsa_system_sgpr_workgroup_info 0
		.amdhsa_system_vgpr_workitem_id 0
		.amdhsa_next_free_vgpr 1
		.amdhsa_next_free_sgpr 0
		.amdhsa_accum_offset 4
		.amdhsa_reserve_vcc 0
		.amdhsa_reserve_flat_scratch 0
		.amdhsa_float_round_mode_32 0
		.amdhsa_float_round_mode_16_64 0
		.amdhsa_float_denorm_mode_32 3
		.amdhsa_float_denorm_mode_16_64 3
		.amdhsa_dx10_clamp 1
		.amdhsa_ieee_mode 1
		.amdhsa_fp16_overflow 0
		.amdhsa_tg_split 0
		.amdhsa_exception_fp_ieee_invalid_op 0
		.amdhsa_exception_fp_denorm_src 0
		.amdhsa_exception_fp_ieee_div_zero 0
		.amdhsa_exception_fp_ieee_overflow 0
		.amdhsa_exception_fp_ieee_underflow 0
		.amdhsa_exception_fp_ieee_inexact 0
		.amdhsa_exception_int_div_zero 0
	.end_amdhsa_kernel
	.section	.text._ZN7rocprim17ROCPRIM_400000_NS6detail17trampoline_kernelINS0_14default_configENS1_25partition_config_selectorILNS1_17partition_subalgoE2EsNS0_10empty_typeEbEEZZNS1_14partition_implILS5_2ELb0ES3_jN6thrust23THRUST_200600_302600_NS6detail15normal_iteratorINSA_7pointerIsNSA_11hip_rocprim3tagENSA_11use_defaultESG_EEEEPS6_NSA_18transform_iteratorI10is_orderedNSA_12zip_iteratorINSA_5tupleINSC_INSA_10device_ptrIsEEEESQ_NSA_9null_typeESR_SR_SR_SR_SR_SR_SR_EEEESG_SG_EENS0_5tupleIJPsSJ_EEENSV_IJSJ_SJ_EEES6_PlJS6_EEE10hipError_tPvRmT3_T4_T5_T6_T7_T9_mT8_P12ihipStream_tbDpT10_ENKUlT_T0_E_clISt17integral_constantIbLb1EES1J_EEDaS1E_S1F_EUlS1E_E_NS1_11comp_targetILNS1_3genE2ELNS1_11target_archE906ELNS1_3gpuE6ELNS1_3repE0EEENS1_30default_config_static_selectorELNS0_4arch9wavefront6targetE1EEEvT1_,"axG",@progbits,_ZN7rocprim17ROCPRIM_400000_NS6detail17trampoline_kernelINS0_14default_configENS1_25partition_config_selectorILNS1_17partition_subalgoE2EsNS0_10empty_typeEbEEZZNS1_14partition_implILS5_2ELb0ES3_jN6thrust23THRUST_200600_302600_NS6detail15normal_iteratorINSA_7pointerIsNSA_11hip_rocprim3tagENSA_11use_defaultESG_EEEEPS6_NSA_18transform_iteratorI10is_orderedNSA_12zip_iteratorINSA_5tupleINSC_INSA_10device_ptrIsEEEESQ_NSA_9null_typeESR_SR_SR_SR_SR_SR_SR_EEEESG_SG_EENS0_5tupleIJPsSJ_EEENSV_IJSJ_SJ_EEES6_PlJS6_EEE10hipError_tPvRmT3_T4_T5_T6_T7_T9_mT8_P12ihipStream_tbDpT10_ENKUlT_T0_E_clISt17integral_constantIbLb1EES1J_EEDaS1E_S1F_EUlS1E_E_NS1_11comp_targetILNS1_3genE2ELNS1_11target_archE906ELNS1_3gpuE6ELNS1_3repE0EEENS1_30default_config_static_selectorELNS0_4arch9wavefront6targetE1EEEvT1_,comdat
.Lfunc_end3638:
	.size	_ZN7rocprim17ROCPRIM_400000_NS6detail17trampoline_kernelINS0_14default_configENS1_25partition_config_selectorILNS1_17partition_subalgoE2EsNS0_10empty_typeEbEEZZNS1_14partition_implILS5_2ELb0ES3_jN6thrust23THRUST_200600_302600_NS6detail15normal_iteratorINSA_7pointerIsNSA_11hip_rocprim3tagENSA_11use_defaultESG_EEEEPS6_NSA_18transform_iteratorI10is_orderedNSA_12zip_iteratorINSA_5tupleINSC_INSA_10device_ptrIsEEEESQ_NSA_9null_typeESR_SR_SR_SR_SR_SR_SR_EEEESG_SG_EENS0_5tupleIJPsSJ_EEENSV_IJSJ_SJ_EEES6_PlJS6_EEE10hipError_tPvRmT3_T4_T5_T6_T7_T9_mT8_P12ihipStream_tbDpT10_ENKUlT_T0_E_clISt17integral_constantIbLb1EES1J_EEDaS1E_S1F_EUlS1E_E_NS1_11comp_targetILNS1_3genE2ELNS1_11target_archE906ELNS1_3gpuE6ELNS1_3repE0EEENS1_30default_config_static_selectorELNS0_4arch9wavefront6targetE1EEEvT1_, .Lfunc_end3638-_ZN7rocprim17ROCPRIM_400000_NS6detail17trampoline_kernelINS0_14default_configENS1_25partition_config_selectorILNS1_17partition_subalgoE2EsNS0_10empty_typeEbEEZZNS1_14partition_implILS5_2ELb0ES3_jN6thrust23THRUST_200600_302600_NS6detail15normal_iteratorINSA_7pointerIsNSA_11hip_rocprim3tagENSA_11use_defaultESG_EEEEPS6_NSA_18transform_iteratorI10is_orderedNSA_12zip_iteratorINSA_5tupleINSC_INSA_10device_ptrIsEEEESQ_NSA_9null_typeESR_SR_SR_SR_SR_SR_SR_EEEESG_SG_EENS0_5tupleIJPsSJ_EEENSV_IJSJ_SJ_EEES6_PlJS6_EEE10hipError_tPvRmT3_T4_T5_T6_T7_T9_mT8_P12ihipStream_tbDpT10_ENKUlT_T0_E_clISt17integral_constantIbLb1EES1J_EEDaS1E_S1F_EUlS1E_E_NS1_11comp_targetILNS1_3genE2ELNS1_11target_archE906ELNS1_3gpuE6ELNS1_3repE0EEENS1_30default_config_static_selectorELNS0_4arch9wavefront6targetE1EEEvT1_
                                        ; -- End function
	.section	.AMDGPU.csdata,"",@progbits
; Kernel info:
; codeLenInByte = 0
; NumSgprs: 4
; NumVgprs: 0
; NumAgprs: 0
; TotalNumVgprs: 0
; ScratchSize: 0
; MemoryBound: 0
; FloatMode: 240
; IeeeMode: 1
; LDSByteSize: 0 bytes/workgroup (compile time only)
; SGPRBlocks: 0
; VGPRBlocks: 0
; NumSGPRsForWavesPerEU: 4
; NumVGPRsForWavesPerEU: 1
; AccumOffset: 4
; Occupancy: 8
; WaveLimiterHint : 0
; COMPUTE_PGM_RSRC2:SCRATCH_EN: 0
; COMPUTE_PGM_RSRC2:USER_SGPR: 6
; COMPUTE_PGM_RSRC2:TRAP_HANDLER: 0
; COMPUTE_PGM_RSRC2:TGID_X_EN: 1
; COMPUTE_PGM_RSRC2:TGID_Y_EN: 0
; COMPUTE_PGM_RSRC2:TGID_Z_EN: 0
; COMPUTE_PGM_RSRC2:TIDIG_COMP_CNT: 0
; COMPUTE_PGM_RSRC3_GFX90A:ACCUM_OFFSET: 0
; COMPUTE_PGM_RSRC3_GFX90A:TG_SPLIT: 0
	.section	.text._ZN7rocprim17ROCPRIM_400000_NS6detail17trampoline_kernelINS0_14default_configENS1_25partition_config_selectorILNS1_17partition_subalgoE2EsNS0_10empty_typeEbEEZZNS1_14partition_implILS5_2ELb0ES3_jN6thrust23THRUST_200600_302600_NS6detail15normal_iteratorINSA_7pointerIsNSA_11hip_rocprim3tagENSA_11use_defaultESG_EEEEPS6_NSA_18transform_iteratorI10is_orderedNSA_12zip_iteratorINSA_5tupleINSC_INSA_10device_ptrIsEEEESQ_NSA_9null_typeESR_SR_SR_SR_SR_SR_SR_EEEESG_SG_EENS0_5tupleIJPsSJ_EEENSV_IJSJ_SJ_EEES6_PlJS6_EEE10hipError_tPvRmT3_T4_T5_T6_T7_T9_mT8_P12ihipStream_tbDpT10_ENKUlT_T0_E_clISt17integral_constantIbLb1EES1J_EEDaS1E_S1F_EUlS1E_E_NS1_11comp_targetILNS1_3genE10ELNS1_11target_archE1200ELNS1_3gpuE4ELNS1_3repE0EEENS1_30default_config_static_selectorELNS0_4arch9wavefront6targetE1EEEvT1_,"axG",@progbits,_ZN7rocprim17ROCPRIM_400000_NS6detail17trampoline_kernelINS0_14default_configENS1_25partition_config_selectorILNS1_17partition_subalgoE2EsNS0_10empty_typeEbEEZZNS1_14partition_implILS5_2ELb0ES3_jN6thrust23THRUST_200600_302600_NS6detail15normal_iteratorINSA_7pointerIsNSA_11hip_rocprim3tagENSA_11use_defaultESG_EEEEPS6_NSA_18transform_iteratorI10is_orderedNSA_12zip_iteratorINSA_5tupleINSC_INSA_10device_ptrIsEEEESQ_NSA_9null_typeESR_SR_SR_SR_SR_SR_SR_EEEESG_SG_EENS0_5tupleIJPsSJ_EEENSV_IJSJ_SJ_EEES6_PlJS6_EEE10hipError_tPvRmT3_T4_T5_T6_T7_T9_mT8_P12ihipStream_tbDpT10_ENKUlT_T0_E_clISt17integral_constantIbLb1EES1J_EEDaS1E_S1F_EUlS1E_E_NS1_11comp_targetILNS1_3genE10ELNS1_11target_archE1200ELNS1_3gpuE4ELNS1_3repE0EEENS1_30default_config_static_selectorELNS0_4arch9wavefront6targetE1EEEvT1_,comdat
	.protected	_ZN7rocprim17ROCPRIM_400000_NS6detail17trampoline_kernelINS0_14default_configENS1_25partition_config_selectorILNS1_17partition_subalgoE2EsNS0_10empty_typeEbEEZZNS1_14partition_implILS5_2ELb0ES3_jN6thrust23THRUST_200600_302600_NS6detail15normal_iteratorINSA_7pointerIsNSA_11hip_rocprim3tagENSA_11use_defaultESG_EEEEPS6_NSA_18transform_iteratorI10is_orderedNSA_12zip_iteratorINSA_5tupleINSC_INSA_10device_ptrIsEEEESQ_NSA_9null_typeESR_SR_SR_SR_SR_SR_SR_EEEESG_SG_EENS0_5tupleIJPsSJ_EEENSV_IJSJ_SJ_EEES6_PlJS6_EEE10hipError_tPvRmT3_T4_T5_T6_T7_T9_mT8_P12ihipStream_tbDpT10_ENKUlT_T0_E_clISt17integral_constantIbLb1EES1J_EEDaS1E_S1F_EUlS1E_E_NS1_11comp_targetILNS1_3genE10ELNS1_11target_archE1200ELNS1_3gpuE4ELNS1_3repE0EEENS1_30default_config_static_selectorELNS0_4arch9wavefront6targetE1EEEvT1_ ; -- Begin function _ZN7rocprim17ROCPRIM_400000_NS6detail17trampoline_kernelINS0_14default_configENS1_25partition_config_selectorILNS1_17partition_subalgoE2EsNS0_10empty_typeEbEEZZNS1_14partition_implILS5_2ELb0ES3_jN6thrust23THRUST_200600_302600_NS6detail15normal_iteratorINSA_7pointerIsNSA_11hip_rocprim3tagENSA_11use_defaultESG_EEEEPS6_NSA_18transform_iteratorI10is_orderedNSA_12zip_iteratorINSA_5tupleINSC_INSA_10device_ptrIsEEEESQ_NSA_9null_typeESR_SR_SR_SR_SR_SR_SR_EEEESG_SG_EENS0_5tupleIJPsSJ_EEENSV_IJSJ_SJ_EEES6_PlJS6_EEE10hipError_tPvRmT3_T4_T5_T6_T7_T9_mT8_P12ihipStream_tbDpT10_ENKUlT_T0_E_clISt17integral_constantIbLb1EES1J_EEDaS1E_S1F_EUlS1E_E_NS1_11comp_targetILNS1_3genE10ELNS1_11target_archE1200ELNS1_3gpuE4ELNS1_3repE0EEENS1_30default_config_static_selectorELNS0_4arch9wavefront6targetE1EEEvT1_
	.globl	_ZN7rocprim17ROCPRIM_400000_NS6detail17trampoline_kernelINS0_14default_configENS1_25partition_config_selectorILNS1_17partition_subalgoE2EsNS0_10empty_typeEbEEZZNS1_14partition_implILS5_2ELb0ES3_jN6thrust23THRUST_200600_302600_NS6detail15normal_iteratorINSA_7pointerIsNSA_11hip_rocprim3tagENSA_11use_defaultESG_EEEEPS6_NSA_18transform_iteratorI10is_orderedNSA_12zip_iteratorINSA_5tupleINSC_INSA_10device_ptrIsEEEESQ_NSA_9null_typeESR_SR_SR_SR_SR_SR_SR_EEEESG_SG_EENS0_5tupleIJPsSJ_EEENSV_IJSJ_SJ_EEES6_PlJS6_EEE10hipError_tPvRmT3_T4_T5_T6_T7_T9_mT8_P12ihipStream_tbDpT10_ENKUlT_T0_E_clISt17integral_constantIbLb1EES1J_EEDaS1E_S1F_EUlS1E_E_NS1_11comp_targetILNS1_3genE10ELNS1_11target_archE1200ELNS1_3gpuE4ELNS1_3repE0EEENS1_30default_config_static_selectorELNS0_4arch9wavefront6targetE1EEEvT1_
	.p2align	8
	.type	_ZN7rocprim17ROCPRIM_400000_NS6detail17trampoline_kernelINS0_14default_configENS1_25partition_config_selectorILNS1_17partition_subalgoE2EsNS0_10empty_typeEbEEZZNS1_14partition_implILS5_2ELb0ES3_jN6thrust23THRUST_200600_302600_NS6detail15normal_iteratorINSA_7pointerIsNSA_11hip_rocprim3tagENSA_11use_defaultESG_EEEEPS6_NSA_18transform_iteratorI10is_orderedNSA_12zip_iteratorINSA_5tupleINSC_INSA_10device_ptrIsEEEESQ_NSA_9null_typeESR_SR_SR_SR_SR_SR_SR_EEEESG_SG_EENS0_5tupleIJPsSJ_EEENSV_IJSJ_SJ_EEES6_PlJS6_EEE10hipError_tPvRmT3_T4_T5_T6_T7_T9_mT8_P12ihipStream_tbDpT10_ENKUlT_T0_E_clISt17integral_constantIbLb1EES1J_EEDaS1E_S1F_EUlS1E_E_NS1_11comp_targetILNS1_3genE10ELNS1_11target_archE1200ELNS1_3gpuE4ELNS1_3repE0EEENS1_30default_config_static_selectorELNS0_4arch9wavefront6targetE1EEEvT1_,@function
_ZN7rocprim17ROCPRIM_400000_NS6detail17trampoline_kernelINS0_14default_configENS1_25partition_config_selectorILNS1_17partition_subalgoE2EsNS0_10empty_typeEbEEZZNS1_14partition_implILS5_2ELb0ES3_jN6thrust23THRUST_200600_302600_NS6detail15normal_iteratorINSA_7pointerIsNSA_11hip_rocprim3tagENSA_11use_defaultESG_EEEEPS6_NSA_18transform_iteratorI10is_orderedNSA_12zip_iteratorINSA_5tupleINSC_INSA_10device_ptrIsEEEESQ_NSA_9null_typeESR_SR_SR_SR_SR_SR_SR_EEEESG_SG_EENS0_5tupleIJPsSJ_EEENSV_IJSJ_SJ_EEES6_PlJS6_EEE10hipError_tPvRmT3_T4_T5_T6_T7_T9_mT8_P12ihipStream_tbDpT10_ENKUlT_T0_E_clISt17integral_constantIbLb1EES1J_EEDaS1E_S1F_EUlS1E_E_NS1_11comp_targetILNS1_3genE10ELNS1_11target_archE1200ELNS1_3gpuE4ELNS1_3repE0EEENS1_30default_config_static_selectorELNS0_4arch9wavefront6targetE1EEEvT1_: ; @_ZN7rocprim17ROCPRIM_400000_NS6detail17trampoline_kernelINS0_14default_configENS1_25partition_config_selectorILNS1_17partition_subalgoE2EsNS0_10empty_typeEbEEZZNS1_14partition_implILS5_2ELb0ES3_jN6thrust23THRUST_200600_302600_NS6detail15normal_iteratorINSA_7pointerIsNSA_11hip_rocprim3tagENSA_11use_defaultESG_EEEEPS6_NSA_18transform_iteratorI10is_orderedNSA_12zip_iteratorINSA_5tupleINSC_INSA_10device_ptrIsEEEESQ_NSA_9null_typeESR_SR_SR_SR_SR_SR_SR_EEEESG_SG_EENS0_5tupleIJPsSJ_EEENSV_IJSJ_SJ_EEES6_PlJS6_EEE10hipError_tPvRmT3_T4_T5_T6_T7_T9_mT8_P12ihipStream_tbDpT10_ENKUlT_T0_E_clISt17integral_constantIbLb1EES1J_EEDaS1E_S1F_EUlS1E_E_NS1_11comp_targetILNS1_3genE10ELNS1_11target_archE1200ELNS1_3gpuE4ELNS1_3repE0EEENS1_30default_config_static_selectorELNS0_4arch9wavefront6targetE1EEEvT1_
; %bb.0:
	.section	.rodata,"a",@progbits
	.p2align	6, 0x0
	.amdhsa_kernel _ZN7rocprim17ROCPRIM_400000_NS6detail17trampoline_kernelINS0_14default_configENS1_25partition_config_selectorILNS1_17partition_subalgoE2EsNS0_10empty_typeEbEEZZNS1_14partition_implILS5_2ELb0ES3_jN6thrust23THRUST_200600_302600_NS6detail15normal_iteratorINSA_7pointerIsNSA_11hip_rocprim3tagENSA_11use_defaultESG_EEEEPS6_NSA_18transform_iteratorI10is_orderedNSA_12zip_iteratorINSA_5tupleINSC_INSA_10device_ptrIsEEEESQ_NSA_9null_typeESR_SR_SR_SR_SR_SR_SR_EEEESG_SG_EENS0_5tupleIJPsSJ_EEENSV_IJSJ_SJ_EEES6_PlJS6_EEE10hipError_tPvRmT3_T4_T5_T6_T7_T9_mT8_P12ihipStream_tbDpT10_ENKUlT_T0_E_clISt17integral_constantIbLb1EES1J_EEDaS1E_S1F_EUlS1E_E_NS1_11comp_targetILNS1_3genE10ELNS1_11target_archE1200ELNS1_3gpuE4ELNS1_3repE0EEENS1_30default_config_static_selectorELNS0_4arch9wavefront6targetE1EEEvT1_
		.amdhsa_group_segment_fixed_size 0
		.amdhsa_private_segment_fixed_size 0
		.amdhsa_kernarg_size 152
		.amdhsa_user_sgpr_count 6
		.amdhsa_user_sgpr_private_segment_buffer 1
		.amdhsa_user_sgpr_dispatch_ptr 0
		.amdhsa_user_sgpr_queue_ptr 0
		.amdhsa_user_sgpr_kernarg_segment_ptr 1
		.amdhsa_user_sgpr_dispatch_id 0
		.amdhsa_user_sgpr_flat_scratch_init 0
		.amdhsa_user_sgpr_kernarg_preload_length 0
		.amdhsa_user_sgpr_kernarg_preload_offset 0
		.amdhsa_user_sgpr_private_segment_size 0
		.amdhsa_uses_dynamic_stack 0
		.amdhsa_system_sgpr_private_segment_wavefront_offset 0
		.amdhsa_system_sgpr_workgroup_id_x 1
		.amdhsa_system_sgpr_workgroup_id_y 0
		.amdhsa_system_sgpr_workgroup_id_z 0
		.amdhsa_system_sgpr_workgroup_info 0
		.amdhsa_system_vgpr_workitem_id 0
		.amdhsa_next_free_vgpr 1
		.amdhsa_next_free_sgpr 0
		.amdhsa_accum_offset 4
		.amdhsa_reserve_vcc 0
		.amdhsa_reserve_flat_scratch 0
		.amdhsa_float_round_mode_32 0
		.amdhsa_float_round_mode_16_64 0
		.amdhsa_float_denorm_mode_32 3
		.amdhsa_float_denorm_mode_16_64 3
		.amdhsa_dx10_clamp 1
		.amdhsa_ieee_mode 1
		.amdhsa_fp16_overflow 0
		.amdhsa_tg_split 0
		.amdhsa_exception_fp_ieee_invalid_op 0
		.amdhsa_exception_fp_denorm_src 0
		.amdhsa_exception_fp_ieee_div_zero 0
		.amdhsa_exception_fp_ieee_overflow 0
		.amdhsa_exception_fp_ieee_underflow 0
		.amdhsa_exception_fp_ieee_inexact 0
		.amdhsa_exception_int_div_zero 0
	.end_amdhsa_kernel
	.section	.text._ZN7rocprim17ROCPRIM_400000_NS6detail17trampoline_kernelINS0_14default_configENS1_25partition_config_selectorILNS1_17partition_subalgoE2EsNS0_10empty_typeEbEEZZNS1_14partition_implILS5_2ELb0ES3_jN6thrust23THRUST_200600_302600_NS6detail15normal_iteratorINSA_7pointerIsNSA_11hip_rocprim3tagENSA_11use_defaultESG_EEEEPS6_NSA_18transform_iteratorI10is_orderedNSA_12zip_iteratorINSA_5tupleINSC_INSA_10device_ptrIsEEEESQ_NSA_9null_typeESR_SR_SR_SR_SR_SR_SR_EEEESG_SG_EENS0_5tupleIJPsSJ_EEENSV_IJSJ_SJ_EEES6_PlJS6_EEE10hipError_tPvRmT3_T4_T5_T6_T7_T9_mT8_P12ihipStream_tbDpT10_ENKUlT_T0_E_clISt17integral_constantIbLb1EES1J_EEDaS1E_S1F_EUlS1E_E_NS1_11comp_targetILNS1_3genE10ELNS1_11target_archE1200ELNS1_3gpuE4ELNS1_3repE0EEENS1_30default_config_static_selectorELNS0_4arch9wavefront6targetE1EEEvT1_,"axG",@progbits,_ZN7rocprim17ROCPRIM_400000_NS6detail17trampoline_kernelINS0_14default_configENS1_25partition_config_selectorILNS1_17partition_subalgoE2EsNS0_10empty_typeEbEEZZNS1_14partition_implILS5_2ELb0ES3_jN6thrust23THRUST_200600_302600_NS6detail15normal_iteratorINSA_7pointerIsNSA_11hip_rocprim3tagENSA_11use_defaultESG_EEEEPS6_NSA_18transform_iteratorI10is_orderedNSA_12zip_iteratorINSA_5tupleINSC_INSA_10device_ptrIsEEEESQ_NSA_9null_typeESR_SR_SR_SR_SR_SR_SR_EEEESG_SG_EENS0_5tupleIJPsSJ_EEENSV_IJSJ_SJ_EEES6_PlJS6_EEE10hipError_tPvRmT3_T4_T5_T6_T7_T9_mT8_P12ihipStream_tbDpT10_ENKUlT_T0_E_clISt17integral_constantIbLb1EES1J_EEDaS1E_S1F_EUlS1E_E_NS1_11comp_targetILNS1_3genE10ELNS1_11target_archE1200ELNS1_3gpuE4ELNS1_3repE0EEENS1_30default_config_static_selectorELNS0_4arch9wavefront6targetE1EEEvT1_,comdat
.Lfunc_end3639:
	.size	_ZN7rocprim17ROCPRIM_400000_NS6detail17trampoline_kernelINS0_14default_configENS1_25partition_config_selectorILNS1_17partition_subalgoE2EsNS0_10empty_typeEbEEZZNS1_14partition_implILS5_2ELb0ES3_jN6thrust23THRUST_200600_302600_NS6detail15normal_iteratorINSA_7pointerIsNSA_11hip_rocprim3tagENSA_11use_defaultESG_EEEEPS6_NSA_18transform_iteratorI10is_orderedNSA_12zip_iteratorINSA_5tupleINSC_INSA_10device_ptrIsEEEESQ_NSA_9null_typeESR_SR_SR_SR_SR_SR_SR_EEEESG_SG_EENS0_5tupleIJPsSJ_EEENSV_IJSJ_SJ_EEES6_PlJS6_EEE10hipError_tPvRmT3_T4_T5_T6_T7_T9_mT8_P12ihipStream_tbDpT10_ENKUlT_T0_E_clISt17integral_constantIbLb1EES1J_EEDaS1E_S1F_EUlS1E_E_NS1_11comp_targetILNS1_3genE10ELNS1_11target_archE1200ELNS1_3gpuE4ELNS1_3repE0EEENS1_30default_config_static_selectorELNS0_4arch9wavefront6targetE1EEEvT1_, .Lfunc_end3639-_ZN7rocprim17ROCPRIM_400000_NS6detail17trampoline_kernelINS0_14default_configENS1_25partition_config_selectorILNS1_17partition_subalgoE2EsNS0_10empty_typeEbEEZZNS1_14partition_implILS5_2ELb0ES3_jN6thrust23THRUST_200600_302600_NS6detail15normal_iteratorINSA_7pointerIsNSA_11hip_rocprim3tagENSA_11use_defaultESG_EEEEPS6_NSA_18transform_iteratorI10is_orderedNSA_12zip_iteratorINSA_5tupleINSC_INSA_10device_ptrIsEEEESQ_NSA_9null_typeESR_SR_SR_SR_SR_SR_SR_EEEESG_SG_EENS0_5tupleIJPsSJ_EEENSV_IJSJ_SJ_EEES6_PlJS6_EEE10hipError_tPvRmT3_T4_T5_T6_T7_T9_mT8_P12ihipStream_tbDpT10_ENKUlT_T0_E_clISt17integral_constantIbLb1EES1J_EEDaS1E_S1F_EUlS1E_E_NS1_11comp_targetILNS1_3genE10ELNS1_11target_archE1200ELNS1_3gpuE4ELNS1_3repE0EEENS1_30default_config_static_selectorELNS0_4arch9wavefront6targetE1EEEvT1_
                                        ; -- End function
	.section	.AMDGPU.csdata,"",@progbits
; Kernel info:
; codeLenInByte = 0
; NumSgprs: 4
; NumVgprs: 0
; NumAgprs: 0
; TotalNumVgprs: 0
; ScratchSize: 0
; MemoryBound: 0
; FloatMode: 240
; IeeeMode: 1
; LDSByteSize: 0 bytes/workgroup (compile time only)
; SGPRBlocks: 0
; VGPRBlocks: 0
; NumSGPRsForWavesPerEU: 4
; NumVGPRsForWavesPerEU: 1
; AccumOffset: 4
; Occupancy: 8
; WaveLimiterHint : 0
; COMPUTE_PGM_RSRC2:SCRATCH_EN: 0
; COMPUTE_PGM_RSRC2:USER_SGPR: 6
; COMPUTE_PGM_RSRC2:TRAP_HANDLER: 0
; COMPUTE_PGM_RSRC2:TGID_X_EN: 1
; COMPUTE_PGM_RSRC2:TGID_Y_EN: 0
; COMPUTE_PGM_RSRC2:TGID_Z_EN: 0
; COMPUTE_PGM_RSRC2:TIDIG_COMP_CNT: 0
; COMPUTE_PGM_RSRC3_GFX90A:ACCUM_OFFSET: 0
; COMPUTE_PGM_RSRC3_GFX90A:TG_SPLIT: 0
	.section	.text._ZN7rocprim17ROCPRIM_400000_NS6detail17trampoline_kernelINS0_14default_configENS1_25partition_config_selectorILNS1_17partition_subalgoE2EsNS0_10empty_typeEbEEZZNS1_14partition_implILS5_2ELb0ES3_jN6thrust23THRUST_200600_302600_NS6detail15normal_iteratorINSA_7pointerIsNSA_11hip_rocprim3tagENSA_11use_defaultESG_EEEEPS6_NSA_18transform_iteratorI10is_orderedNSA_12zip_iteratorINSA_5tupleINSC_INSA_10device_ptrIsEEEESQ_NSA_9null_typeESR_SR_SR_SR_SR_SR_SR_EEEESG_SG_EENS0_5tupleIJPsSJ_EEENSV_IJSJ_SJ_EEES6_PlJS6_EEE10hipError_tPvRmT3_T4_T5_T6_T7_T9_mT8_P12ihipStream_tbDpT10_ENKUlT_T0_E_clISt17integral_constantIbLb1EES1J_EEDaS1E_S1F_EUlS1E_E_NS1_11comp_targetILNS1_3genE9ELNS1_11target_archE1100ELNS1_3gpuE3ELNS1_3repE0EEENS1_30default_config_static_selectorELNS0_4arch9wavefront6targetE1EEEvT1_,"axG",@progbits,_ZN7rocprim17ROCPRIM_400000_NS6detail17trampoline_kernelINS0_14default_configENS1_25partition_config_selectorILNS1_17partition_subalgoE2EsNS0_10empty_typeEbEEZZNS1_14partition_implILS5_2ELb0ES3_jN6thrust23THRUST_200600_302600_NS6detail15normal_iteratorINSA_7pointerIsNSA_11hip_rocprim3tagENSA_11use_defaultESG_EEEEPS6_NSA_18transform_iteratorI10is_orderedNSA_12zip_iteratorINSA_5tupleINSC_INSA_10device_ptrIsEEEESQ_NSA_9null_typeESR_SR_SR_SR_SR_SR_SR_EEEESG_SG_EENS0_5tupleIJPsSJ_EEENSV_IJSJ_SJ_EEES6_PlJS6_EEE10hipError_tPvRmT3_T4_T5_T6_T7_T9_mT8_P12ihipStream_tbDpT10_ENKUlT_T0_E_clISt17integral_constantIbLb1EES1J_EEDaS1E_S1F_EUlS1E_E_NS1_11comp_targetILNS1_3genE9ELNS1_11target_archE1100ELNS1_3gpuE3ELNS1_3repE0EEENS1_30default_config_static_selectorELNS0_4arch9wavefront6targetE1EEEvT1_,comdat
	.protected	_ZN7rocprim17ROCPRIM_400000_NS6detail17trampoline_kernelINS0_14default_configENS1_25partition_config_selectorILNS1_17partition_subalgoE2EsNS0_10empty_typeEbEEZZNS1_14partition_implILS5_2ELb0ES3_jN6thrust23THRUST_200600_302600_NS6detail15normal_iteratorINSA_7pointerIsNSA_11hip_rocprim3tagENSA_11use_defaultESG_EEEEPS6_NSA_18transform_iteratorI10is_orderedNSA_12zip_iteratorINSA_5tupleINSC_INSA_10device_ptrIsEEEESQ_NSA_9null_typeESR_SR_SR_SR_SR_SR_SR_EEEESG_SG_EENS0_5tupleIJPsSJ_EEENSV_IJSJ_SJ_EEES6_PlJS6_EEE10hipError_tPvRmT3_T4_T5_T6_T7_T9_mT8_P12ihipStream_tbDpT10_ENKUlT_T0_E_clISt17integral_constantIbLb1EES1J_EEDaS1E_S1F_EUlS1E_E_NS1_11comp_targetILNS1_3genE9ELNS1_11target_archE1100ELNS1_3gpuE3ELNS1_3repE0EEENS1_30default_config_static_selectorELNS0_4arch9wavefront6targetE1EEEvT1_ ; -- Begin function _ZN7rocprim17ROCPRIM_400000_NS6detail17trampoline_kernelINS0_14default_configENS1_25partition_config_selectorILNS1_17partition_subalgoE2EsNS0_10empty_typeEbEEZZNS1_14partition_implILS5_2ELb0ES3_jN6thrust23THRUST_200600_302600_NS6detail15normal_iteratorINSA_7pointerIsNSA_11hip_rocprim3tagENSA_11use_defaultESG_EEEEPS6_NSA_18transform_iteratorI10is_orderedNSA_12zip_iteratorINSA_5tupleINSC_INSA_10device_ptrIsEEEESQ_NSA_9null_typeESR_SR_SR_SR_SR_SR_SR_EEEESG_SG_EENS0_5tupleIJPsSJ_EEENSV_IJSJ_SJ_EEES6_PlJS6_EEE10hipError_tPvRmT3_T4_T5_T6_T7_T9_mT8_P12ihipStream_tbDpT10_ENKUlT_T0_E_clISt17integral_constantIbLb1EES1J_EEDaS1E_S1F_EUlS1E_E_NS1_11comp_targetILNS1_3genE9ELNS1_11target_archE1100ELNS1_3gpuE3ELNS1_3repE0EEENS1_30default_config_static_selectorELNS0_4arch9wavefront6targetE1EEEvT1_
	.globl	_ZN7rocprim17ROCPRIM_400000_NS6detail17trampoline_kernelINS0_14default_configENS1_25partition_config_selectorILNS1_17partition_subalgoE2EsNS0_10empty_typeEbEEZZNS1_14partition_implILS5_2ELb0ES3_jN6thrust23THRUST_200600_302600_NS6detail15normal_iteratorINSA_7pointerIsNSA_11hip_rocprim3tagENSA_11use_defaultESG_EEEEPS6_NSA_18transform_iteratorI10is_orderedNSA_12zip_iteratorINSA_5tupleINSC_INSA_10device_ptrIsEEEESQ_NSA_9null_typeESR_SR_SR_SR_SR_SR_SR_EEEESG_SG_EENS0_5tupleIJPsSJ_EEENSV_IJSJ_SJ_EEES6_PlJS6_EEE10hipError_tPvRmT3_T4_T5_T6_T7_T9_mT8_P12ihipStream_tbDpT10_ENKUlT_T0_E_clISt17integral_constantIbLb1EES1J_EEDaS1E_S1F_EUlS1E_E_NS1_11comp_targetILNS1_3genE9ELNS1_11target_archE1100ELNS1_3gpuE3ELNS1_3repE0EEENS1_30default_config_static_selectorELNS0_4arch9wavefront6targetE1EEEvT1_
	.p2align	8
	.type	_ZN7rocprim17ROCPRIM_400000_NS6detail17trampoline_kernelINS0_14default_configENS1_25partition_config_selectorILNS1_17partition_subalgoE2EsNS0_10empty_typeEbEEZZNS1_14partition_implILS5_2ELb0ES3_jN6thrust23THRUST_200600_302600_NS6detail15normal_iteratorINSA_7pointerIsNSA_11hip_rocprim3tagENSA_11use_defaultESG_EEEEPS6_NSA_18transform_iteratorI10is_orderedNSA_12zip_iteratorINSA_5tupleINSC_INSA_10device_ptrIsEEEESQ_NSA_9null_typeESR_SR_SR_SR_SR_SR_SR_EEEESG_SG_EENS0_5tupleIJPsSJ_EEENSV_IJSJ_SJ_EEES6_PlJS6_EEE10hipError_tPvRmT3_T4_T5_T6_T7_T9_mT8_P12ihipStream_tbDpT10_ENKUlT_T0_E_clISt17integral_constantIbLb1EES1J_EEDaS1E_S1F_EUlS1E_E_NS1_11comp_targetILNS1_3genE9ELNS1_11target_archE1100ELNS1_3gpuE3ELNS1_3repE0EEENS1_30default_config_static_selectorELNS0_4arch9wavefront6targetE1EEEvT1_,@function
_ZN7rocprim17ROCPRIM_400000_NS6detail17trampoline_kernelINS0_14default_configENS1_25partition_config_selectorILNS1_17partition_subalgoE2EsNS0_10empty_typeEbEEZZNS1_14partition_implILS5_2ELb0ES3_jN6thrust23THRUST_200600_302600_NS6detail15normal_iteratorINSA_7pointerIsNSA_11hip_rocprim3tagENSA_11use_defaultESG_EEEEPS6_NSA_18transform_iteratorI10is_orderedNSA_12zip_iteratorINSA_5tupleINSC_INSA_10device_ptrIsEEEESQ_NSA_9null_typeESR_SR_SR_SR_SR_SR_SR_EEEESG_SG_EENS0_5tupleIJPsSJ_EEENSV_IJSJ_SJ_EEES6_PlJS6_EEE10hipError_tPvRmT3_T4_T5_T6_T7_T9_mT8_P12ihipStream_tbDpT10_ENKUlT_T0_E_clISt17integral_constantIbLb1EES1J_EEDaS1E_S1F_EUlS1E_E_NS1_11comp_targetILNS1_3genE9ELNS1_11target_archE1100ELNS1_3gpuE3ELNS1_3repE0EEENS1_30default_config_static_selectorELNS0_4arch9wavefront6targetE1EEEvT1_: ; @_ZN7rocprim17ROCPRIM_400000_NS6detail17trampoline_kernelINS0_14default_configENS1_25partition_config_selectorILNS1_17partition_subalgoE2EsNS0_10empty_typeEbEEZZNS1_14partition_implILS5_2ELb0ES3_jN6thrust23THRUST_200600_302600_NS6detail15normal_iteratorINSA_7pointerIsNSA_11hip_rocprim3tagENSA_11use_defaultESG_EEEEPS6_NSA_18transform_iteratorI10is_orderedNSA_12zip_iteratorINSA_5tupleINSC_INSA_10device_ptrIsEEEESQ_NSA_9null_typeESR_SR_SR_SR_SR_SR_SR_EEEESG_SG_EENS0_5tupleIJPsSJ_EEENSV_IJSJ_SJ_EEES6_PlJS6_EEE10hipError_tPvRmT3_T4_T5_T6_T7_T9_mT8_P12ihipStream_tbDpT10_ENKUlT_T0_E_clISt17integral_constantIbLb1EES1J_EEDaS1E_S1F_EUlS1E_E_NS1_11comp_targetILNS1_3genE9ELNS1_11target_archE1100ELNS1_3gpuE3ELNS1_3repE0EEENS1_30default_config_static_selectorELNS0_4arch9wavefront6targetE1EEEvT1_
; %bb.0:
	.section	.rodata,"a",@progbits
	.p2align	6, 0x0
	.amdhsa_kernel _ZN7rocprim17ROCPRIM_400000_NS6detail17trampoline_kernelINS0_14default_configENS1_25partition_config_selectorILNS1_17partition_subalgoE2EsNS0_10empty_typeEbEEZZNS1_14partition_implILS5_2ELb0ES3_jN6thrust23THRUST_200600_302600_NS6detail15normal_iteratorINSA_7pointerIsNSA_11hip_rocprim3tagENSA_11use_defaultESG_EEEEPS6_NSA_18transform_iteratorI10is_orderedNSA_12zip_iteratorINSA_5tupleINSC_INSA_10device_ptrIsEEEESQ_NSA_9null_typeESR_SR_SR_SR_SR_SR_SR_EEEESG_SG_EENS0_5tupleIJPsSJ_EEENSV_IJSJ_SJ_EEES6_PlJS6_EEE10hipError_tPvRmT3_T4_T5_T6_T7_T9_mT8_P12ihipStream_tbDpT10_ENKUlT_T0_E_clISt17integral_constantIbLb1EES1J_EEDaS1E_S1F_EUlS1E_E_NS1_11comp_targetILNS1_3genE9ELNS1_11target_archE1100ELNS1_3gpuE3ELNS1_3repE0EEENS1_30default_config_static_selectorELNS0_4arch9wavefront6targetE1EEEvT1_
		.amdhsa_group_segment_fixed_size 0
		.amdhsa_private_segment_fixed_size 0
		.amdhsa_kernarg_size 152
		.amdhsa_user_sgpr_count 6
		.amdhsa_user_sgpr_private_segment_buffer 1
		.amdhsa_user_sgpr_dispatch_ptr 0
		.amdhsa_user_sgpr_queue_ptr 0
		.amdhsa_user_sgpr_kernarg_segment_ptr 1
		.amdhsa_user_sgpr_dispatch_id 0
		.amdhsa_user_sgpr_flat_scratch_init 0
		.amdhsa_user_sgpr_kernarg_preload_length 0
		.amdhsa_user_sgpr_kernarg_preload_offset 0
		.amdhsa_user_sgpr_private_segment_size 0
		.amdhsa_uses_dynamic_stack 0
		.amdhsa_system_sgpr_private_segment_wavefront_offset 0
		.amdhsa_system_sgpr_workgroup_id_x 1
		.amdhsa_system_sgpr_workgroup_id_y 0
		.amdhsa_system_sgpr_workgroup_id_z 0
		.amdhsa_system_sgpr_workgroup_info 0
		.amdhsa_system_vgpr_workitem_id 0
		.amdhsa_next_free_vgpr 1
		.amdhsa_next_free_sgpr 0
		.amdhsa_accum_offset 4
		.amdhsa_reserve_vcc 0
		.amdhsa_reserve_flat_scratch 0
		.amdhsa_float_round_mode_32 0
		.amdhsa_float_round_mode_16_64 0
		.amdhsa_float_denorm_mode_32 3
		.amdhsa_float_denorm_mode_16_64 3
		.amdhsa_dx10_clamp 1
		.amdhsa_ieee_mode 1
		.amdhsa_fp16_overflow 0
		.amdhsa_tg_split 0
		.amdhsa_exception_fp_ieee_invalid_op 0
		.amdhsa_exception_fp_denorm_src 0
		.amdhsa_exception_fp_ieee_div_zero 0
		.amdhsa_exception_fp_ieee_overflow 0
		.amdhsa_exception_fp_ieee_underflow 0
		.amdhsa_exception_fp_ieee_inexact 0
		.amdhsa_exception_int_div_zero 0
	.end_amdhsa_kernel
	.section	.text._ZN7rocprim17ROCPRIM_400000_NS6detail17trampoline_kernelINS0_14default_configENS1_25partition_config_selectorILNS1_17partition_subalgoE2EsNS0_10empty_typeEbEEZZNS1_14partition_implILS5_2ELb0ES3_jN6thrust23THRUST_200600_302600_NS6detail15normal_iteratorINSA_7pointerIsNSA_11hip_rocprim3tagENSA_11use_defaultESG_EEEEPS6_NSA_18transform_iteratorI10is_orderedNSA_12zip_iteratorINSA_5tupleINSC_INSA_10device_ptrIsEEEESQ_NSA_9null_typeESR_SR_SR_SR_SR_SR_SR_EEEESG_SG_EENS0_5tupleIJPsSJ_EEENSV_IJSJ_SJ_EEES6_PlJS6_EEE10hipError_tPvRmT3_T4_T5_T6_T7_T9_mT8_P12ihipStream_tbDpT10_ENKUlT_T0_E_clISt17integral_constantIbLb1EES1J_EEDaS1E_S1F_EUlS1E_E_NS1_11comp_targetILNS1_3genE9ELNS1_11target_archE1100ELNS1_3gpuE3ELNS1_3repE0EEENS1_30default_config_static_selectorELNS0_4arch9wavefront6targetE1EEEvT1_,"axG",@progbits,_ZN7rocprim17ROCPRIM_400000_NS6detail17trampoline_kernelINS0_14default_configENS1_25partition_config_selectorILNS1_17partition_subalgoE2EsNS0_10empty_typeEbEEZZNS1_14partition_implILS5_2ELb0ES3_jN6thrust23THRUST_200600_302600_NS6detail15normal_iteratorINSA_7pointerIsNSA_11hip_rocprim3tagENSA_11use_defaultESG_EEEEPS6_NSA_18transform_iteratorI10is_orderedNSA_12zip_iteratorINSA_5tupleINSC_INSA_10device_ptrIsEEEESQ_NSA_9null_typeESR_SR_SR_SR_SR_SR_SR_EEEESG_SG_EENS0_5tupleIJPsSJ_EEENSV_IJSJ_SJ_EEES6_PlJS6_EEE10hipError_tPvRmT3_T4_T5_T6_T7_T9_mT8_P12ihipStream_tbDpT10_ENKUlT_T0_E_clISt17integral_constantIbLb1EES1J_EEDaS1E_S1F_EUlS1E_E_NS1_11comp_targetILNS1_3genE9ELNS1_11target_archE1100ELNS1_3gpuE3ELNS1_3repE0EEENS1_30default_config_static_selectorELNS0_4arch9wavefront6targetE1EEEvT1_,comdat
.Lfunc_end3640:
	.size	_ZN7rocprim17ROCPRIM_400000_NS6detail17trampoline_kernelINS0_14default_configENS1_25partition_config_selectorILNS1_17partition_subalgoE2EsNS0_10empty_typeEbEEZZNS1_14partition_implILS5_2ELb0ES3_jN6thrust23THRUST_200600_302600_NS6detail15normal_iteratorINSA_7pointerIsNSA_11hip_rocprim3tagENSA_11use_defaultESG_EEEEPS6_NSA_18transform_iteratorI10is_orderedNSA_12zip_iteratorINSA_5tupleINSC_INSA_10device_ptrIsEEEESQ_NSA_9null_typeESR_SR_SR_SR_SR_SR_SR_EEEESG_SG_EENS0_5tupleIJPsSJ_EEENSV_IJSJ_SJ_EEES6_PlJS6_EEE10hipError_tPvRmT3_T4_T5_T6_T7_T9_mT8_P12ihipStream_tbDpT10_ENKUlT_T0_E_clISt17integral_constantIbLb1EES1J_EEDaS1E_S1F_EUlS1E_E_NS1_11comp_targetILNS1_3genE9ELNS1_11target_archE1100ELNS1_3gpuE3ELNS1_3repE0EEENS1_30default_config_static_selectorELNS0_4arch9wavefront6targetE1EEEvT1_, .Lfunc_end3640-_ZN7rocprim17ROCPRIM_400000_NS6detail17trampoline_kernelINS0_14default_configENS1_25partition_config_selectorILNS1_17partition_subalgoE2EsNS0_10empty_typeEbEEZZNS1_14partition_implILS5_2ELb0ES3_jN6thrust23THRUST_200600_302600_NS6detail15normal_iteratorINSA_7pointerIsNSA_11hip_rocprim3tagENSA_11use_defaultESG_EEEEPS6_NSA_18transform_iteratorI10is_orderedNSA_12zip_iteratorINSA_5tupleINSC_INSA_10device_ptrIsEEEESQ_NSA_9null_typeESR_SR_SR_SR_SR_SR_SR_EEEESG_SG_EENS0_5tupleIJPsSJ_EEENSV_IJSJ_SJ_EEES6_PlJS6_EEE10hipError_tPvRmT3_T4_T5_T6_T7_T9_mT8_P12ihipStream_tbDpT10_ENKUlT_T0_E_clISt17integral_constantIbLb1EES1J_EEDaS1E_S1F_EUlS1E_E_NS1_11comp_targetILNS1_3genE9ELNS1_11target_archE1100ELNS1_3gpuE3ELNS1_3repE0EEENS1_30default_config_static_selectorELNS0_4arch9wavefront6targetE1EEEvT1_
                                        ; -- End function
	.section	.AMDGPU.csdata,"",@progbits
; Kernel info:
; codeLenInByte = 0
; NumSgprs: 4
; NumVgprs: 0
; NumAgprs: 0
; TotalNumVgprs: 0
; ScratchSize: 0
; MemoryBound: 0
; FloatMode: 240
; IeeeMode: 1
; LDSByteSize: 0 bytes/workgroup (compile time only)
; SGPRBlocks: 0
; VGPRBlocks: 0
; NumSGPRsForWavesPerEU: 4
; NumVGPRsForWavesPerEU: 1
; AccumOffset: 4
; Occupancy: 8
; WaveLimiterHint : 0
; COMPUTE_PGM_RSRC2:SCRATCH_EN: 0
; COMPUTE_PGM_RSRC2:USER_SGPR: 6
; COMPUTE_PGM_RSRC2:TRAP_HANDLER: 0
; COMPUTE_PGM_RSRC2:TGID_X_EN: 1
; COMPUTE_PGM_RSRC2:TGID_Y_EN: 0
; COMPUTE_PGM_RSRC2:TGID_Z_EN: 0
; COMPUTE_PGM_RSRC2:TIDIG_COMP_CNT: 0
; COMPUTE_PGM_RSRC3_GFX90A:ACCUM_OFFSET: 0
; COMPUTE_PGM_RSRC3_GFX90A:TG_SPLIT: 0
	.section	.text._ZN7rocprim17ROCPRIM_400000_NS6detail17trampoline_kernelINS0_14default_configENS1_25partition_config_selectorILNS1_17partition_subalgoE2EsNS0_10empty_typeEbEEZZNS1_14partition_implILS5_2ELb0ES3_jN6thrust23THRUST_200600_302600_NS6detail15normal_iteratorINSA_7pointerIsNSA_11hip_rocprim3tagENSA_11use_defaultESG_EEEEPS6_NSA_18transform_iteratorI10is_orderedNSA_12zip_iteratorINSA_5tupleINSC_INSA_10device_ptrIsEEEESQ_NSA_9null_typeESR_SR_SR_SR_SR_SR_SR_EEEESG_SG_EENS0_5tupleIJPsSJ_EEENSV_IJSJ_SJ_EEES6_PlJS6_EEE10hipError_tPvRmT3_T4_T5_T6_T7_T9_mT8_P12ihipStream_tbDpT10_ENKUlT_T0_E_clISt17integral_constantIbLb1EES1J_EEDaS1E_S1F_EUlS1E_E_NS1_11comp_targetILNS1_3genE8ELNS1_11target_archE1030ELNS1_3gpuE2ELNS1_3repE0EEENS1_30default_config_static_selectorELNS0_4arch9wavefront6targetE1EEEvT1_,"axG",@progbits,_ZN7rocprim17ROCPRIM_400000_NS6detail17trampoline_kernelINS0_14default_configENS1_25partition_config_selectorILNS1_17partition_subalgoE2EsNS0_10empty_typeEbEEZZNS1_14partition_implILS5_2ELb0ES3_jN6thrust23THRUST_200600_302600_NS6detail15normal_iteratorINSA_7pointerIsNSA_11hip_rocprim3tagENSA_11use_defaultESG_EEEEPS6_NSA_18transform_iteratorI10is_orderedNSA_12zip_iteratorINSA_5tupleINSC_INSA_10device_ptrIsEEEESQ_NSA_9null_typeESR_SR_SR_SR_SR_SR_SR_EEEESG_SG_EENS0_5tupleIJPsSJ_EEENSV_IJSJ_SJ_EEES6_PlJS6_EEE10hipError_tPvRmT3_T4_T5_T6_T7_T9_mT8_P12ihipStream_tbDpT10_ENKUlT_T0_E_clISt17integral_constantIbLb1EES1J_EEDaS1E_S1F_EUlS1E_E_NS1_11comp_targetILNS1_3genE8ELNS1_11target_archE1030ELNS1_3gpuE2ELNS1_3repE0EEENS1_30default_config_static_selectorELNS0_4arch9wavefront6targetE1EEEvT1_,comdat
	.protected	_ZN7rocprim17ROCPRIM_400000_NS6detail17trampoline_kernelINS0_14default_configENS1_25partition_config_selectorILNS1_17partition_subalgoE2EsNS0_10empty_typeEbEEZZNS1_14partition_implILS5_2ELb0ES3_jN6thrust23THRUST_200600_302600_NS6detail15normal_iteratorINSA_7pointerIsNSA_11hip_rocprim3tagENSA_11use_defaultESG_EEEEPS6_NSA_18transform_iteratorI10is_orderedNSA_12zip_iteratorINSA_5tupleINSC_INSA_10device_ptrIsEEEESQ_NSA_9null_typeESR_SR_SR_SR_SR_SR_SR_EEEESG_SG_EENS0_5tupleIJPsSJ_EEENSV_IJSJ_SJ_EEES6_PlJS6_EEE10hipError_tPvRmT3_T4_T5_T6_T7_T9_mT8_P12ihipStream_tbDpT10_ENKUlT_T0_E_clISt17integral_constantIbLb1EES1J_EEDaS1E_S1F_EUlS1E_E_NS1_11comp_targetILNS1_3genE8ELNS1_11target_archE1030ELNS1_3gpuE2ELNS1_3repE0EEENS1_30default_config_static_selectorELNS0_4arch9wavefront6targetE1EEEvT1_ ; -- Begin function _ZN7rocprim17ROCPRIM_400000_NS6detail17trampoline_kernelINS0_14default_configENS1_25partition_config_selectorILNS1_17partition_subalgoE2EsNS0_10empty_typeEbEEZZNS1_14partition_implILS5_2ELb0ES3_jN6thrust23THRUST_200600_302600_NS6detail15normal_iteratorINSA_7pointerIsNSA_11hip_rocprim3tagENSA_11use_defaultESG_EEEEPS6_NSA_18transform_iteratorI10is_orderedNSA_12zip_iteratorINSA_5tupleINSC_INSA_10device_ptrIsEEEESQ_NSA_9null_typeESR_SR_SR_SR_SR_SR_SR_EEEESG_SG_EENS0_5tupleIJPsSJ_EEENSV_IJSJ_SJ_EEES6_PlJS6_EEE10hipError_tPvRmT3_T4_T5_T6_T7_T9_mT8_P12ihipStream_tbDpT10_ENKUlT_T0_E_clISt17integral_constantIbLb1EES1J_EEDaS1E_S1F_EUlS1E_E_NS1_11comp_targetILNS1_3genE8ELNS1_11target_archE1030ELNS1_3gpuE2ELNS1_3repE0EEENS1_30default_config_static_selectorELNS0_4arch9wavefront6targetE1EEEvT1_
	.globl	_ZN7rocprim17ROCPRIM_400000_NS6detail17trampoline_kernelINS0_14default_configENS1_25partition_config_selectorILNS1_17partition_subalgoE2EsNS0_10empty_typeEbEEZZNS1_14partition_implILS5_2ELb0ES3_jN6thrust23THRUST_200600_302600_NS6detail15normal_iteratorINSA_7pointerIsNSA_11hip_rocprim3tagENSA_11use_defaultESG_EEEEPS6_NSA_18transform_iteratorI10is_orderedNSA_12zip_iteratorINSA_5tupleINSC_INSA_10device_ptrIsEEEESQ_NSA_9null_typeESR_SR_SR_SR_SR_SR_SR_EEEESG_SG_EENS0_5tupleIJPsSJ_EEENSV_IJSJ_SJ_EEES6_PlJS6_EEE10hipError_tPvRmT3_T4_T5_T6_T7_T9_mT8_P12ihipStream_tbDpT10_ENKUlT_T0_E_clISt17integral_constantIbLb1EES1J_EEDaS1E_S1F_EUlS1E_E_NS1_11comp_targetILNS1_3genE8ELNS1_11target_archE1030ELNS1_3gpuE2ELNS1_3repE0EEENS1_30default_config_static_selectorELNS0_4arch9wavefront6targetE1EEEvT1_
	.p2align	8
	.type	_ZN7rocprim17ROCPRIM_400000_NS6detail17trampoline_kernelINS0_14default_configENS1_25partition_config_selectorILNS1_17partition_subalgoE2EsNS0_10empty_typeEbEEZZNS1_14partition_implILS5_2ELb0ES3_jN6thrust23THRUST_200600_302600_NS6detail15normal_iteratorINSA_7pointerIsNSA_11hip_rocprim3tagENSA_11use_defaultESG_EEEEPS6_NSA_18transform_iteratorI10is_orderedNSA_12zip_iteratorINSA_5tupleINSC_INSA_10device_ptrIsEEEESQ_NSA_9null_typeESR_SR_SR_SR_SR_SR_SR_EEEESG_SG_EENS0_5tupleIJPsSJ_EEENSV_IJSJ_SJ_EEES6_PlJS6_EEE10hipError_tPvRmT3_T4_T5_T6_T7_T9_mT8_P12ihipStream_tbDpT10_ENKUlT_T0_E_clISt17integral_constantIbLb1EES1J_EEDaS1E_S1F_EUlS1E_E_NS1_11comp_targetILNS1_3genE8ELNS1_11target_archE1030ELNS1_3gpuE2ELNS1_3repE0EEENS1_30default_config_static_selectorELNS0_4arch9wavefront6targetE1EEEvT1_,@function
_ZN7rocprim17ROCPRIM_400000_NS6detail17trampoline_kernelINS0_14default_configENS1_25partition_config_selectorILNS1_17partition_subalgoE2EsNS0_10empty_typeEbEEZZNS1_14partition_implILS5_2ELb0ES3_jN6thrust23THRUST_200600_302600_NS6detail15normal_iteratorINSA_7pointerIsNSA_11hip_rocprim3tagENSA_11use_defaultESG_EEEEPS6_NSA_18transform_iteratorI10is_orderedNSA_12zip_iteratorINSA_5tupleINSC_INSA_10device_ptrIsEEEESQ_NSA_9null_typeESR_SR_SR_SR_SR_SR_SR_EEEESG_SG_EENS0_5tupleIJPsSJ_EEENSV_IJSJ_SJ_EEES6_PlJS6_EEE10hipError_tPvRmT3_T4_T5_T6_T7_T9_mT8_P12ihipStream_tbDpT10_ENKUlT_T0_E_clISt17integral_constantIbLb1EES1J_EEDaS1E_S1F_EUlS1E_E_NS1_11comp_targetILNS1_3genE8ELNS1_11target_archE1030ELNS1_3gpuE2ELNS1_3repE0EEENS1_30default_config_static_selectorELNS0_4arch9wavefront6targetE1EEEvT1_: ; @_ZN7rocprim17ROCPRIM_400000_NS6detail17trampoline_kernelINS0_14default_configENS1_25partition_config_selectorILNS1_17partition_subalgoE2EsNS0_10empty_typeEbEEZZNS1_14partition_implILS5_2ELb0ES3_jN6thrust23THRUST_200600_302600_NS6detail15normal_iteratorINSA_7pointerIsNSA_11hip_rocprim3tagENSA_11use_defaultESG_EEEEPS6_NSA_18transform_iteratorI10is_orderedNSA_12zip_iteratorINSA_5tupleINSC_INSA_10device_ptrIsEEEESQ_NSA_9null_typeESR_SR_SR_SR_SR_SR_SR_EEEESG_SG_EENS0_5tupleIJPsSJ_EEENSV_IJSJ_SJ_EEES6_PlJS6_EEE10hipError_tPvRmT3_T4_T5_T6_T7_T9_mT8_P12ihipStream_tbDpT10_ENKUlT_T0_E_clISt17integral_constantIbLb1EES1J_EEDaS1E_S1F_EUlS1E_E_NS1_11comp_targetILNS1_3genE8ELNS1_11target_archE1030ELNS1_3gpuE2ELNS1_3repE0EEENS1_30default_config_static_selectorELNS0_4arch9wavefront6targetE1EEEvT1_
; %bb.0:
	.section	.rodata,"a",@progbits
	.p2align	6, 0x0
	.amdhsa_kernel _ZN7rocprim17ROCPRIM_400000_NS6detail17trampoline_kernelINS0_14default_configENS1_25partition_config_selectorILNS1_17partition_subalgoE2EsNS0_10empty_typeEbEEZZNS1_14partition_implILS5_2ELb0ES3_jN6thrust23THRUST_200600_302600_NS6detail15normal_iteratorINSA_7pointerIsNSA_11hip_rocprim3tagENSA_11use_defaultESG_EEEEPS6_NSA_18transform_iteratorI10is_orderedNSA_12zip_iteratorINSA_5tupleINSC_INSA_10device_ptrIsEEEESQ_NSA_9null_typeESR_SR_SR_SR_SR_SR_SR_EEEESG_SG_EENS0_5tupleIJPsSJ_EEENSV_IJSJ_SJ_EEES6_PlJS6_EEE10hipError_tPvRmT3_T4_T5_T6_T7_T9_mT8_P12ihipStream_tbDpT10_ENKUlT_T0_E_clISt17integral_constantIbLb1EES1J_EEDaS1E_S1F_EUlS1E_E_NS1_11comp_targetILNS1_3genE8ELNS1_11target_archE1030ELNS1_3gpuE2ELNS1_3repE0EEENS1_30default_config_static_selectorELNS0_4arch9wavefront6targetE1EEEvT1_
		.amdhsa_group_segment_fixed_size 0
		.amdhsa_private_segment_fixed_size 0
		.amdhsa_kernarg_size 152
		.amdhsa_user_sgpr_count 6
		.amdhsa_user_sgpr_private_segment_buffer 1
		.amdhsa_user_sgpr_dispatch_ptr 0
		.amdhsa_user_sgpr_queue_ptr 0
		.amdhsa_user_sgpr_kernarg_segment_ptr 1
		.amdhsa_user_sgpr_dispatch_id 0
		.amdhsa_user_sgpr_flat_scratch_init 0
		.amdhsa_user_sgpr_kernarg_preload_length 0
		.amdhsa_user_sgpr_kernarg_preload_offset 0
		.amdhsa_user_sgpr_private_segment_size 0
		.amdhsa_uses_dynamic_stack 0
		.amdhsa_system_sgpr_private_segment_wavefront_offset 0
		.amdhsa_system_sgpr_workgroup_id_x 1
		.amdhsa_system_sgpr_workgroup_id_y 0
		.amdhsa_system_sgpr_workgroup_id_z 0
		.amdhsa_system_sgpr_workgroup_info 0
		.amdhsa_system_vgpr_workitem_id 0
		.amdhsa_next_free_vgpr 1
		.amdhsa_next_free_sgpr 0
		.amdhsa_accum_offset 4
		.amdhsa_reserve_vcc 0
		.amdhsa_reserve_flat_scratch 0
		.amdhsa_float_round_mode_32 0
		.amdhsa_float_round_mode_16_64 0
		.amdhsa_float_denorm_mode_32 3
		.amdhsa_float_denorm_mode_16_64 3
		.amdhsa_dx10_clamp 1
		.amdhsa_ieee_mode 1
		.amdhsa_fp16_overflow 0
		.amdhsa_tg_split 0
		.amdhsa_exception_fp_ieee_invalid_op 0
		.amdhsa_exception_fp_denorm_src 0
		.amdhsa_exception_fp_ieee_div_zero 0
		.amdhsa_exception_fp_ieee_overflow 0
		.amdhsa_exception_fp_ieee_underflow 0
		.amdhsa_exception_fp_ieee_inexact 0
		.amdhsa_exception_int_div_zero 0
	.end_amdhsa_kernel
	.section	.text._ZN7rocprim17ROCPRIM_400000_NS6detail17trampoline_kernelINS0_14default_configENS1_25partition_config_selectorILNS1_17partition_subalgoE2EsNS0_10empty_typeEbEEZZNS1_14partition_implILS5_2ELb0ES3_jN6thrust23THRUST_200600_302600_NS6detail15normal_iteratorINSA_7pointerIsNSA_11hip_rocprim3tagENSA_11use_defaultESG_EEEEPS6_NSA_18transform_iteratorI10is_orderedNSA_12zip_iteratorINSA_5tupleINSC_INSA_10device_ptrIsEEEESQ_NSA_9null_typeESR_SR_SR_SR_SR_SR_SR_EEEESG_SG_EENS0_5tupleIJPsSJ_EEENSV_IJSJ_SJ_EEES6_PlJS6_EEE10hipError_tPvRmT3_T4_T5_T6_T7_T9_mT8_P12ihipStream_tbDpT10_ENKUlT_T0_E_clISt17integral_constantIbLb1EES1J_EEDaS1E_S1F_EUlS1E_E_NS1_11comp_targetILNS1_3genE8ELNS1_11target_archE1030ELNS1_3gpuE2ELNS1_3repE0EEENS1_30default_config_static_selectorELNS0_4arch9wavefront6targetE1EEEvT1_,"axG",@progbits,_ZN7rocprim17ROCPRIM_400000_NS6detail17trampoline_kernelINS0_14default_configENS1_25partition_config_selectorILNS1_17partition_subalgoE2EsNS0_10empty_typeEbEEZZNS1_14partition_implILS5_2ELb0ES3_jN6thrust23THRUST_200600_302600_NS6detail15normal_iteratorINSA_7pointerIsNSA_11hip_rocprim3tagENSA_11use_defaultESG_EEEEPS6_NSA_18transform_iteratorI10is_orderedNSA_12zip_iteratorINSA_5tupleINSC_INSA_10device_ptrIsEEEESQ_NSA_9null_typeESR_SR_SR_SR_SR_SR_SR_EEEESG_SG_EENS0_5tupleIJPsSJ_EEENSV_IJSJ_SJ_EEES6_PlJS6_EEE10hipError_tPvRmT3_T4_T5_T6_T7_T9_mT8_P12ihipStream_tbDpT10_ENKUlT_T0_E_clISt17integral_constantIbLb1EES1J_EEDaS1E_S1F_EUlS1E_E_NS1_11comp_targetILNS1_3genE8ELNS1_11target_archE1030ELNS1_3gpuE2ELNS1_3repE0EEENS1_30default_config_static_selectorELNS0_4arch9wavefront6targetE1EEEvT1_,comdat
.Lfunc_end3641:
	.size	_ZN7rocprim17ROCPRIM_400000_NS6detail17trampoline_kernelINS0_14default_configENS1_25partition_config_selectorILNS1_17partition_subalgoE2EsNS0_10empty_typeEbEEZZNS1_14partition_implILS5_2ELb0ES3_jN6thrust23THRUST_200600_302600_NS6detail15normal_iteratorINSA_7pointerIsNSA_11hip_rocprim3tagENSA_11use_defaultESG_EEEEPS6_NSA_18transform_iteratorI10is_orderedNSA_12zip_iteratorINSA_5tupleINSC_INSA_10device_ptrIsEEEESQ_NSA_9null_typeESR_SR_SR_SR_SR_SR_SR_EEEESG_SG_EENS0_5tupleIJPsSJ_EEENSV_IJSJ_SJ_EEES6_PlJS6_EEE10hipError_tPvRmT3_T4_T5_T6_T7_T9_mT8_P12ihipStream_tbDpT10_ENKUlT_T0_E_clISt17integral_constantIbLb1EES1J_EEDaS1E_S1F_EUlS1E_E_NS1_11comp_targetILNS1_3genE8ELNS1_11target_archE1030ELNS1_3gpuE2ELNS1_3repE0EEENS1_30default_config_static_selectorELNS0_4arch9wavefront6targetE1EEEvT1_, .Lfunc_end3641-_ZN7rocprim17ROCPRIM_400000_NS6detail17trampoline_kernelINS0_14default_configENS1_25partition_config_selectorILNS1_17partition_subalgoE2EsNS0_10empty_typeEbEEZZNS1_14partition_implILS5_2ELb0ES3_jN6thrust23THRUST_200600_302600_NS6detail15normal_iteratorINSA_7pointerIsNSA_11hip_rocprim3tagENSA_11use_defaultESG_EEEEPS6_NSA_18transform_iteratorI10is_orderedNSA_12zip_iteratorINSA_5tupleINSC_INSA_10device_ptrIsEEEESQ_NSA_9null_typeESR_SR_SR_SR_SR_SR_SR_EEEESG_SG_EENS0_5tupleIJPsSJ_EEENSV_IJSJ_SJ_EEES6_PlJS6_EEE10hipError_tPvRmT3_T4_T5_T6_T7_T9_mT8_P12ihipStream_tbDpT10_ENKUlT_T0_E_clISt17integral_constantIbLb1EES1J_EEDaS1E_S1F_EUlS1E_E_NS1_11comp_targetILNS1_3genE8ELNS1_11target_archE1030ELNS1_3gpuE2ELNS1_3repE0EEENS1_30default_config_static_selectorELNS0_4arch9wavefront6targetE1EEEvT1_
                                        ; -- End function
	.section	.AMDGPU.csdata,"",@progbits
; Kernel info:
; codeLenInByte = 0
; NumSgprs: 4
; NumVgprs: 0
; NumAgprs: 0
; TotalNumVgprs: 0
; ScratchSize: 0
; MemoryBound: 0
; FloatMode: 240
; IeeeMode: 1
; LDSByteSize: 0 bytes/workgroup (compile time only)
; SGPRBlocks: 0
; VGPRBlocks: 0
; NumSGPRsForWavesPerEU: 4
; NumVGPRsForWavesPerEU: 1
; AccumOffset: 4
; Occupancy: 8
; WaveLimiterHint : 0
; COMPUTE_PGM_RSRC2:SCRATCH_EN: 0
; COMPUTE_PGM_RSRC2:USER_SGPR: 6
; COMPUTE_PGM_RSRC2:TRAP_HANDLER: 0
; COMPUTE_PGM_RSRC2:TGID_X_EN: 1
; COMPUTE_PGM_RSRC2:TGID_Y_EN: 0
; COMPUTE_PGM_RSRC2:TGID_Z_EN: 0
; COMPUTE_PGM_RSRC2:TIDIG_COMP_CNT: 0
; COMPUTE_PGM_RSRC3_GFX90A:ACCUM_OFFSET: 0
; COMPUTE_PGM_RSRC3_GFX90A:TG_SPLIT: 0
	.section	.text._ZN7rocprim17ROCPRIM_400000_NS6detail17trampoline_kernelINS0_14default_configENS1_25partition_config_selectorILNS1_17partition_subalgoE2EsNS0_10empty_typeEbEEZZNS1_14partition_implILS5_2ELb0ES3_jN6thrust23THRUST_200600_302600_NS6detail15normal_iteratorINSA_7pointerIsNSA_11hip_rocprim3tagENSA_11use_defaultESG_EEEEPS6_NSA_18transform_iteratorI10is_orderedNSA_12zip_iteratorINSA_5tupleINSC_INSA_10device_ptrIsEEEESQ_NSA_9null_typeESR_SR_SR_SR_SR_SR_SR_EEEESG_SG_EENS0_5tupleIJPsSJ_EEENSV_IJSJ_SJ_EEES6_PlJS6_EEE10hipError_tPvRmT3_T4_T5_T6_T7_T9_mT8_P12ihipStream_tbDpT10_ENKUlT_T0_E_clISt17integral_constantIbLb1EES1I_IbLb0EEEEDaS1E_S1F_EUlS1E_E_NS1_11comp_targetILNS1_3genE0ELNS1_11target_archE4294967295ELNS1_3gpuE0ELNS1_3repE0EEENS1_30default_config_static_selectorELNS0_4arch9wavefront6targetE1EEEvT1_,"axG",@progbits,_ZN7rocprim17ROCPRIM_400000_NS6detail17trampoline_kernelINS0_14default_configENS1_25partition_config_selectorILNS1_17partition_subalgoE2EsNS0_10empty_typeEbEEZZNS1_14partition_implILS5_2ELb0ES3_jN6thrust23THRUST_200600_302600_NS6detail15normal_iteratorINSA_7pointerIsNSA_11hip_rocprim3tagENSA_11use_defaultESG_EEEEPS6_NSA_18transform_iteratorI10is_orderedNSA_12zip_iteratorINSA_5tupleINSC_INSA_10device_ptrIsEEEESQ_NSA_9null_typeESR_SR_SR_SR_SR_SR_SR_EEEESG_SG_EENS0_5tupleIJPsSJ_EEENSV_IJSJ_SJ_EEES6_PlJS6_EEE10hipError_tPvRmT3_T4_T5_T6_T7_T9_mT8_P12ihipStream_tbDpT10_ENKUlT_T0_E_clISt17integral_constantIbLb1EES1I_IbLb0EEEEDaS1E_S1F_EUlS1E_E_NS1_11comp_targetILNS1_3genE0ELNS1_11target_archE4294967295ELNS1_3gpuE0ELNS1_3repE0EEENS1_30default_config_static_selectorELNS0_4arch9wavefront6targetE1EEEvT1_,comdat
	.protected	_ZN7rocprim17ROCPRIM_400000_NS6detail17trampoline_kernelINS0_14default_configENS1_25partition_config_selectorILNS1_17partition_subalgoE2EsNS0_10empty_typeEbEEZZNS1_14partition_implILS5_2ELb0ES3_jN6thrust23THRUST_200600_302600_NS6detail15normal_iteratorINSA_7pointerIsNSA_11hip_rocprim3tagENSA_11use_defaultESG_EEEEPS6_NSA_18transform_iteratorI10is_orderedNSA_12zip_iteratorINSA_5tupleINSC_INSA_10device_ptrIsEEEESQ_NSA_9null_typeESR_SR_SR_SR_SR_SR_SR_EEEESG_SG_EENS0_5tupleIJPsSJ_EEENSV_IJSJ_SJ_EEES6_PlJS6_EEE10hipError_tPvRmT3_T4_T5_T6_T7_T9_mT8_P12ihipStream_tbDpT10_ENKUlT_T0_E_clISt17integral_constantIbLb1EES1I_IbLb0EEEEDaS1E_S1F_EUlS1E_E_NS1_11comp_targetILNS1_3genE0ELNS1_11target_archE4294967295ELNS1_3gpuE0ELNS1_3repE0EEENS1_30default_config_static_selectorELNS0_4arch9wavefront6targetE1EEEvT1_ ; -- Begin function _ZN7rocprim17ROCPRIM_400000_NS6detail17trampoline_kernelINS0_14default_configENS1_25partition_config_selectorILNS1_17partition_subalgoE2EsNS0_10empty_typeEbEEZZNS1_14partition_implILS5_2ELb0ES3_jN6thrust23THRUST_200600_302600_NS6detail15normal_iteratorINSA_7pointerIsNSA_11hip_rocprim3tagENSA_11use_defaultESG_EEEEPS6_NSA_18transform_iteratorI10is_orderedNSA_12zip_iteratorINSA_5tupleINSC_INSA_10device_ptrIsEEEESQ_NSA_9null_typeESR_SR_SR_SR_SR_SR_SR_EEEESG_SG_EENS0_5tupleIJPsSJ_EEENSV_IJSJ_SJ_EEES6_PlJS6_EEE10hipError_tPvRmT3_T4_T5_T6_T7_T9_mT8_P12ihipStream_tbDpT10_ENKUlT_T0_E_clISt17integral_constantIbLb1EES1I_IbLb0EEEEDaS1E_S1F_EUlS1E_E_NS1_11comp_targetILNS1_3genE0ELNS1_11target_archE4294967295ELNS1_3gpuE0ELNS1_3repE0EEENS1_30default_config_static_selectorELNS0_4arch9wavefront6targetE1EEEvT1_
	.globl	_ZN7rocprim17ROCPRIM_400000_NS6detail17trampoline_kernelINS0_14default_configENS1_25partition_config_selectorILNS1_17partition_subalgoE2EsNS0_10empty_typeEbEEZZNS1_14partition_implILS5_2ELb0ES3_jN6thrust23THRUST_200600_302600_NS6detail15normal_iteratorINSA_7pointerIsNSA_11hip_rocprim3tagENSA_11use_defaultESG_EEEEPS6_NSA_18transform_iteratorI10is_orderedNSA_12zip_iteratorINSA_5tupleINSC_INSA_10device_ptrIsEEEESQ_NSA_9null_typeESR_SR_SR_SR_SR_SR_SR_EEEESG_SG_EENS0_5tupleIJPsSJ_EEENSV_IJSJ_SJ_EEES6_PlJS6_EEE10hipError_tPvRmT3_T4_T5_T6_T7_T9_mT8_P12ihipStream_tbDpT10_ENKUlT_T0_E_clISt17integral_constantIbLb1EES1I_IbLb0EEEEDaS1E_S1F_EUlS1E_E_NS1_11comp_targetILNS1_3genE0ELNS1_11target_archE4294967295ELNS1_3gpuE0ELNS1_3repE0EEENS1_30default_config_static_selectorELNS0_4arch9wavefront6targetE1EEEvT1_
	.p2align	8
	.type	_ZN7rocprim17ROCPRIM_400000_NS6detail17trampoline_kernelINS0_14default_configENS1_25partition_config_selectorILNS1_17partition_subalgoE2EsNS0_10empty_typeEbEEZZNS1_14partition_implILS5_2ELb0ES3_jN6thrust23THRUST_200600_302600_NS6detail15normal_iteratorINSA_7pointerIsNSA_11hip_rocprim3tagENSA_11use_defaultESG_EEEEPS6_NSA_18transform_iteratorI10is_orderedNSA_12zip_iteratorINSA_5tupleINSC_INSA_10device_ptrIsEEEESQ_NSA_9null_typeESR_SR_SR_SR_SR_SR_SR_EEEESG_SG_EENS0_5tupleIJPsSJ_EEENSV_IJSJ_SJ_EEES6_PlJS6_EEE10hipError_tPvRmT3_T4_T5_T6_T7_T9_mT8_P12ihipStream_tbDpT10_ENKUlT_T0_E_clISt17integral_constantIbLb1EES1I_IbLb0EEEEDaS1E_S1F_EUlS1E_E_NS1_11comp_targetILNS1_3genE0ELNS1_11target_archE4294967295ELNS1_3gpuE0ELNS1_3repE0EEENS1_30default_config_static_selectorELNS0_4arch9wavefront6targetE1EEEvT1_,@function
_ZN7rocprim17ROCPRIM_400000_NS6detail17trampoline_kernelINS0_14default_configENS1_25partition_config_selectorILNS1_17partition_subalgoE2EsNS0_10empty_typeEbEEZZNS1_14partition_implILS5_2ELb0ES3_jN6thrust23THRUST_200600_302600_NS6detail15normal_iteratorINSA_7pointerIsNSA_11hip_rocprim3tagENSA_11use_defaultESG_EEEEPS6_NSA_18transform_iteratorI10is_orderedNSA_12zip_iteratorINSA_5tupleINSC_INSA_10device_ptrIsEEEESQ_NSA_9null_typeESR_SR_SR_SR_SR_SR_SR_EEEESG_SG_EENS0_5tupleIJPsSJ_EEENSV_IJSJ_SJ_EEES6_PlJS6_EEE10hipError_tPvRmT3_T4_T5_T6_T7_T9_mT8_P12ihipStream_tbDpT10_ENKUlT_T0_E_clISt17integral_constantIbLb1EES1I_IbLb0EEEEDaS1E_S1F_EUlS1E_E_NS1_11comp_targetILNS1_3genE0ELNS1_11target_archE4294967295ELNS1_3gpuE0ELNS1_3repE0EEENS1_30default_config_static_selectorELNS0_4arch9wavefront6targetE1EEEvT1_: ; @_ZN7rocprim17ROCPRIM_400000_NS6detail17trampoline_kernelINS0_14default_configENS1_25partition_config_selectorILNS1_17partition_subalgoE2EsNS0_10empty_typeEbEEZZNS1_14partition_implILS5_2ELb0ES3_jN6thrust23THRUST_200600_302600_NS6detail15normal_iteratorINSA_7pointerIsNSA_11hip_rocprim3tagENSA_11use_defaultESG_EEEEPS6_NSA_18transform_iteratorI10is_orderedNSA_12zip_iteratorINSA_5tupleINSC_INSA_10device_ptrIsEEEESQ_NSA_9null_typeESR_SR_SR_SR_SR_SR_SR_EEEESG_SG_EENS0_5tupleIJPsSJ_EEENSV_IJSJ_SJ_EEES6_PlJS6_EEE10hipError_tPvRmT3_T4_T5_T6_T7_T9_mT8_P12ihipStream_tbDpT10_ENKUlT_T0_E_clISt17integral_constantIbLb1EES1I_IbLb0EEEEDaS1E_S1F_EUlS1E_E_NS1_11comp_targetILNS1_3genE0ELNS1_11target_archE4294967295ELNS1_3gpuE0ELNS1_3repE0EEENS1_30default_config_static_selectorELNS0_4arch9wavefront6targetE1EEEvT1_
; %bb.0:
	.section	.rodata,"a",@progbits
	.p2align	6, 0x0
	.amdhsa_kernel _ZN7rocprim17ROCPRIM_400000_NS6detail17trampoline_kernelINS0_14default_configENS1_25partition_config_selectorILNS1_17partition_subalgoE2EsNS0_10empty_typeEbEEZZNS1_14partition_implILS5_2ELb0ES3_jN6thrust23THRUST_200600_302600_NS6detail15normal_iteratorINSA_7pointerIsNSA_11hip_rocprim3tagENSA_11use_defaultESG_EEEEPS6_NSA_18transform_iteratorI10is_orderedNSA_12zip_iteratorINSA_5tupleINSC_INSA_10device_ptrIsEEEESQ_NSA_9null_typeESR_SR_SR_SR_SR_SR_SR_EEEESG_SG_EENS0_5tupleIJPsSJ_EEENSV_IJSJ_SJ_EEES6_PlJS6_EEE10hipError_tPvRmT3_T4_T5_T6_T7_T9_mT8_P12ihipStream_tbDpT10_ENKUlT_T0_E_clISt17integral_constantIbLb1EES1I_IbLb0EEEEDaS1E_S1F_EUlS1E_E_NS1_11comp_targetILNS1_3genE0ELNS1_11target_archE4294967295ELNS1_3gpuE0ELNS1_3repE0EEENS1_30default_config_static_selectorELNS0_4arch9wavefront6targetE1EEEvT1_
		.amdhsa_group_segment_fixed_size 0
		.amdhsa_private_segment_fixed_size 0
		.amdhsa_kernarg_size 136
		.amdhsa_user_sgpr_count 6
		.amdhsa_user_sgpr_private_segment_buffer 1
		.amdhsa_user_sgpr_dispatch_ptr 0
		.amdhsa_user_sgpr_queue_ptr 0
		.amdhsa_user_sgpr_kernarg_segment_ptr 1
		.amdhsa_user_sgpr_dispatch_id 0
		.amdhsa_user_sgpr_flat_scratch_init 0
		.amdhsa_user_sgpr_kernarg_preload_length 0
		.amdhsa_user_sgpr_kernarg_preload_offset 0
		.amdhsa_user_sgpr_private_segment_size 0
		.amdhsa_uses_dynamic_stack 0
		.amdhsa_system_sgpr_private_segment_wavefront_offset 0
		.amdhsa_system_sgpr_workgroup_id_x 1
		.amdhsa_system_sgpr_workgroup_id_y 0
		.amdhsa_system_sgpr_workgroup_id_z 0
		.amdhsa_system_sgpr_workgroup_info 0
		.amdhsa_system_vgpr_workitem_id 0
		.amdhsa_next_free_vgpr 1
		.amdhsa_next_free_sgpr 0
		.amdhsa_accum_offset 4
		.amdhsa_reserve_vcc 0
		.amdhsa_reserve_flat_scratch 0
		.amdhsa_float_round_mode_32 0
		.amdhsa_float_round_mode_16_64 0
		.amdhsa_float_denorm_mode_32 3
		.amdhsa_float_denorm_mode_16_64 3
		.amdhsa_dx10_clamp 1
		.amdhsa_ieee_mode 1
		.amdhsa_fp16_overflow 0
		.amdhsa_tg_split 0
		.amdhsa_exception_fp_ieee_invalid_op 0
		.amdhsa_exception_fp_denorm_src 0
		.amdhsa_exception_fp_ieee_div_zero 0
		.amdhsa_exception_fp_ieee_overflow 0
		.amdhsa_exception_fp_ieee_underflow 0
		.amdhsa_exception_fp_ieee_inexact 0
		.amdhsa_exception_int_div_zero 0
	.end_amdhsa_kernel
	.section	.text._ZN7rocprim17ROCPRIM_400000_NS6detail17trampoline_kernelINS0_14default_configENS1_25partition_config_selectorILNS1_17partition_subalgoE2EsNS0_10empty_typeEbEEZZNS1_14partition_implILS5_2ELb0ES3_jN6thrust23THRUST_200600_302600_NS6detail15normal_iteratorINSA_7pointerIsNSA_11hip_rocprim3tagENSA_11use_defaultESG_EEEEPS6_NSA_18transform_iteratorI10is_orderedNSA_12zip_iteratorINSA_5tupleINSC_INSA_10device_ptrIsEEEESQ_NSA_9null_typeESR_SR_SR_SR_SR_SR_SR_EEEESG_SG_EENS0_5tupleIJPsSJ_EEENSV_IJSJ_SJ_EEES6_PlJS6_EEE10hipError_tPvRmT3_T4_T5_T6_T7_T9_mT8_P12ihipStream_tbDpT10_ENKUlT_T0_E_clISt17integral_constantIbLb1EES1I_IbLb0EEEEDaS1E_S1F_EUlS1E_E_NS1_11comp_targetILNS1_3genE0ELNS1_11target_archE4294967295ELNS1_3gpuE0ELNS1_3repE0EEENS1_30default_config_static_selectorELNS0_4arch9wavefront6targetE1EEEvT1_,"axG",@progbits,_ZN7rocprim17ROCPRIM_400000_NS6detail17trampoline_kernelINS0_14default_configENS1_25partition_config_selectorILNS1_17partition_subalgoE2EsNS0_10empty_typeEbEEZZNS1_14partition_implILS5_2ELb0ES3_jN6thrust23THRUST_200600_302600_NS6detail15normal_iteratorINSA_7pointerIsNSA_11hip_rocprim3tagENSA_11use_defaultESG_EEEEPS6_NSA_18transform_iteratorI10is_orderedNSA_12zip_iteratorINSA_5tupleINSC_INSA_10device_ptrIsEEEESQ_NSA_9null_typeESR_SR_SR_SR_SR_SR_SR_EEEESG_SG_EENS0_5tupleIJPsSJ_EEENSV_IJSJ_SJ_EEES6_PlJS6_EEE10hipError_tPvRmT3_T4_T5_T6_T7_T9_mT8_P12ihipStream_tbDpT10_ENKUlT_T0_E_clISt17integral_constantIbLb1EES1I_IbLb0EEEEDaS1E_S1F_EUlS1E_E_NS1_11comp_targetILNS1_3genE0ELNS1_11target_archE4294967295ELNS1_3gpuE0ELNS1_3repE0EEENS1_30default_config_static_selectorELNS0_4arch9wavefront6targetE1EEEvT1_,comdat
.Lfunc_end3642:
	.size	_ZN7rocprim17ROCPRIM_400000_NS6detail17trampoline_kernelINS0_14default_configENS1_25partition_config_selectorILNS1_17partition_subalgoE2EsNS0_10empty_typeEbEEZZNS1_14partition_implILS5_2ELb0ES3_jN6thrust23THRUST_200600_302600_NS6detail15normal_iteratorINSA_7pointerIsNSA_11hip_rocprim3tagENSA_11use_defaultESG_EEEEPS6_NSA_18transform_iteratorI10is_orderedNSA_12zip_iteratorINSA_5tupleINSC_INSA_10device_ptrIsEEEESQ_NSA_9null_typeESR_SR_SR_SR_SR_SR_SR_EEEESG_SG_EENS0_5tupleIJPsSJ_EEENSV_IJSJ_SJ_EEES6_PlJS6_EEE10hipError_tPvRmT3_T4_T5_T6_T7_T9_mT8_P12ihipStream_tbDpT10_ENKUlT_T0_E_clISt17integral_constantIbLb1EES1I_IbLb0EEEEDaS1E_S1F_EUlS1E_E_NS1_11comp_targetILNS1_3genE0ELNS1_11target_archE4294967295ELNS1_3gpuE0ELNS1_3repE0EEENS1_30default_config_static_selectorELNS0_4arch9wavefront6targetE1EEEvT1_, .Lfunc_end3642-_ZN7rocprim17ROCPRIM_400000_NS6detail17trampoline_kernelINS0_14default_configENS1_25partition_config_selectorILNS1_17partition_subalgoE2EsNS0_10empty_typeEbEEZZNS1_14partition_implILS5_2ELb0ES3_jN6thrust23THRUST_200600_302600_NS6detail15normal_iteratorINSA_7pointerIsNSA_11hip_rocprim3tagENSA_11use_defaultESG_EEEEPS6_NSA_18transform_iteratorI10is_orderedNSA_12zip_iteratorINSA_5tupleINSC_INSA_10device_ptrIsEEEESQ_NSA_9null_typeESR_SR_SR_SR_SR_SR_SR_EEEESG_SG_EENS0_5tupleIJPsSJ_EEENSV_IJSJ_SJ_EEES6_PlJS6_EEE10hipError_tPvRmT3_T4_T5_T6_T7_T9_mT8_P12ihipStream_tbDpT10_ENKUlT_T0_E_clISt17integral_constantIbLb1EES1I_IbLb0EEEEDaS1E_S1F_EUlS1E_E_NS1_11comp_targetILNS1_3genE0ELNS1_11target_archE4294967295ELNS1_3gpuE0ELNS1_3repE0EEENS1_30default_config_static_selectorELNS0_4arch9wavefront6targetE1EEEvT1_
                                        ; -- End function
	.section	.AMDGPU.csdata,"",@progbits
; Kernel info:
; codeLenInByte = 0
; NumSgprs: 4
; NumVgprs: 0
; NumAgprs: 0
; TotalNumVgprs: 0
; ScratchSize: 0
; MemoryBound: 0
; FloatMode: 240
; IeeeMode: 1
; LDSByteSize: 0 bytes/workgroup (compile time only)
; SGPRBlocks: 0
; VGPRBlocks: 0
; NumSGPRsForWavesPerEU: 4
; NumVGPRsForWavesPerEU: 1
; AccumOffset: 4
; Occupancy: 8
; WaveLimiterHint : 0
; COMPUTE_PGM_RSRC2:SCRATCH_EN: 0
; COMPUTE_PGM_RSRC2:USER_SGPR: 6
; COMPUTE_PGM_RSRC2:TRAP_HANDLER: 0
; COMPUTE_PGM_RSRC2:TGID_X_EN: 1
; COMPUTE_PGM_RSRC2:TGID_Y_EN: 0
; COMPUTE_PGM_RSRC2:TGID_Z_EN: 0
; COMPUTE_PGM_RSRC2:TIDIG_COMP_CNT: 0
; COMPUTE_PGM_RSRC3_GFX90A:ACCUM_OFFSET: 0
; COMPUTE_PGM_RSRC3_GFX90A:TG_SPLIT: 0
	.section	.text._ZN7rocprim17ROCPRIM_400000_NS6detail17trampoline_kernelINS0_14default_configENS1_25partition_config_selectorILNS1_17partition_subalgoE2EsNS0_10empty_typeEbEEZZNS1_14partition_implILS5_2ELb0ES3_jN6thrust23THRUST_200600_302600_NS6detail15normal_iteratorINSA_7pointerIsNSA_11hip_rocprim3tagENSA_11use_defaultESG_EEEEPS6_NSA_18transform_iteratorI10is_orderedNSA_12zip_iteratorINSA_5tupleINSC_INSA_10device_ptrIsEEEESQ_NSA_9null_typeESR_SR_SR_SR_SR_SR_SR_EEEESG_SG_EENS0_5tupleIJPsSJ_EEENSV_IJSJ_SJ_EEES6_PlJS6_EEE10hipError_tPvRmT3_T4_T5_T6_T7_T9_mT8_P12ihipStream_tbDpT10_ENKUlT_T0_E_clISt17integral_constantIbLb1EES1I_IbLb0EEEEDaS1E_S1F_EUlS1E_E_NS1_11comp_targetILNS1_3genE5ELNS1_11target_archE942ELNS1_3gpuE9ELNS1_3repE0EEENS1_30default_config_static_selectorELNS0_4arch9wavefront6targetE1EEEvT1_,"axG",@progbits,_ZN7rocprim17ROCPRIM_400000_NS6detail17trampoline_kernelINS0_14default_configENS1_25partition_config_selectorILNS1_17partition_subalgoE2EsNS0_10empty_typeEbEEZZNS1_14partition_implILS5_2ELb0ES3_jN6thrust23THRUST_200600_302600_NS6detail15normal_iteratorINSA_7pointerIsNSA_11hip_rocprim3tagENSA_11use_defaultESG_EEEEPS6_NSA_18transform_iteratorI10is_orderedNSA_12zip_iteratorINSA_5tupleINSC_INSA_10device_ptrIsEEEESQ_NSA_9null_typeESR_SR_SR_SR_SR_SR_SR_EEEESG_SG_EENS0_5tupleIJPsSJ_EEENSV_IJSJ_SJ_EEES6_PlJS6_EEE10hipError_tPvRmT3_T4_T5_T6_T7_T9_mT8_P12ihipStream_tbDpT10_ENKUlT_T0_E_clISt17integral_constantIbLb1EES1I_IbLb0EEEEDaS1E_S1F_EUlS1E_E_NS1_11comp_targetILNS1_3genE5ELNS1_11target_archE942ELNS1_3gpuE9ELNS1_3repE0EEENS1_30default_config_static_selectorELNS0_4arch9wavefront6targetE1EEEvT1_,comdat
	.protected	_ZN7rocprim17ROCPRIM_400000_NS6detail17trampoline_kernelINS0_14default_configENS1_25partition_config_selectorILNS1_17partition_subalgoE2EsNS0_10empty_typeEbEEZZNS1_14partition_implILS5_2ELb0ES3_jN6thrust23THRUST_200600_302600_NS6detail15normal_iteratorINSA_7pointerIsNSA_11hip_rocprim3tagENSA_11use_defaultESG_EEEEPS6_NSA_18transform_iteratorI10is_orderedNSA_12zip_iteratorINSA_5tupleINSC_INSA_10device_ptrIsEEEESQ_NSA_9null_typeESR_SR_SR_SR_SR_SR_SR_EEEESG_SG_EENS0_5tupleIJPsSJ_EEENSV_IJSJ_SJ_EEES6_PlJS6_EEE10hipError_tPvRmT3_T4_T5_T6_T7_T9_mT8_P12ihipStream_tbDpT10_ENKUlT_T0_E_clISt17integral_constantIbLb1EES1I_IbLb0EEEEDaS1E_S1F_EUlS1E_E_NS1_11comp_targetILNS1_3genE5ELNS1_11target_archE942ELNS1_3gpuE9ELNS1_3repE0EEENS1_30default_config_static_selectorELNS0_4arch9wavefront6targetE1EEEvT1_ ; -- Begin function _ZN7rocprim17ROCPRIM_400000_NS6detail17trampoline_kernelINS0_14default_configENS1_25partition_config_selectorILNS1_17partition_subalgoE2EsNS0_10empty_typeEbEEZZNS1_14partition_implILS5_2ELb0ES3_jN6thrust23THRUST_200600_302600_NS6detail15normal_iteratorINSA_7pointerIsNSA_11hip_rocprim3tagENSA_11use_defaultESG_EEEEPS6_NSA_18transform_iteratorI10is_orderedNSA_12zip_iteratorINSA_5tupleINSC_INSA_10device_ptrIsEEEESQ_NSA_9null_typeESR_SR_SR_SR_SR_SR_SR_EEEESG_SG_EENS0_5tupleIJPsSJ_EEENSV_IJSJ_SJ_EEES6_PlJS6_EEE10hipError_tPvRmT3_T4_T5_T6_T7_T9_mT8_P12ihipStream_tbDpT10_ENKUlT_T0_E_clISt17integral_constantIbLb1EES1I_IbLb0EEEEDaS1E_S1F_EUlS1E_E_NS1_11comp_targetILNS1_3genE5ELNS1_11target_archE942ELNS1_3gpuE9ELNS1_3repE0EEENS1_30default_config_static_selectorELNS0_4arch9wavefront6targetE1EEEvT1_
	.globl	_ZN7rocprim17ROCPRIM_400000_NS6detail17trampoline_kernelINS0_14default_configENS1_25partition_config_selectorILNS1_17partition_subalgoE2EsNS0_10empty_typeEbEEZZNS1_14partition_implILS5_2ELb0ES3_jN6thrust23THRUST_200600_302600_NS6detail15normal_iteratorINSA_7pointerIsNSA_11hip_rocprim3tagENSA_11use_defaultESG_EEEEPS6_NSA_18transform_iteratorI10is_orderedNSA_12zip_iteratorINSA_5tupleINSC_INSA_10device_ptrIsEEEESQ_NSA_9null_typeESR_SR_SR_SR_SR_SR_SR_EEEESG_SG_EENS0_5tupleIJPsSJ_EEENSV_IJSJ_SJ_EEES6_PlJS6_EEE10hipError_tPvRmT3_T4_T5_T6_T7_T9_mT8_P12ihipStream_tbDpT10_ENKUlT_T0_E_clISt17integral_constantIbLb1EES1I_IbLb0EEEEDaS1E_S1F_EUlS1E_E_NS1_11comp_targetILNS1_3genE5ELNS1_11target_archE942ELNS1_3gpuE9ELNS1_3repE0EEENS1_30default_config_static_selectorELNS0_4arch9wavefront6targetE1EEEvT1_
	.p2align	8
	.type	_ZN7rocprim17ROCPRIM_400000_NS6detail17trampoline_kernelINS0_14default_configENS1_25partition_config_selectorILNS1_17partition_subalgoE2EsNS0_10empty_typeEbEEZZNS1_14partition_implILS5_2ELb0ES3_jN6thrust23THRUST_200600_302600_NS6detail15normal_iteratorINSA_7pointerIsNSA_11hip_rocprim3tagENSA_11use_defaultESG_EEEEPS6_NSA_18transform_iteratorI10is_orderedNSA_12zip_iteratorINSA_5tupleINSC_INSA_10device_ptrIsEEEESQ_NSA_9null_typeESR_SR_SR_SR_SR_SR_SR_EEEESG_SG_EENS0_5tupleIJPsSJ_EEENSV_IJSJ_SJ_EEES6_PlJS6_EEE10hipError_tPvRmT3_T4_T5_T6_T7_T9_mT8_P12ihipStream_tbDpT10_ENKUlT_T0_E_clISt17integral_constantIbLb1EES1I_IbLb0EEEEDaS1E_S1F_EUlS1E_E_NS1_11comp_targetILNS1_3genE5ELNS1_11target_archE942ELNS1_3gpuE9ELNS1_3repE0EEENS1_30default_config_static_selectorELNS0_4arch9wavefront6targetE1EEEvT1_,@function
_ZN7rocprim17ROCPRIM_400000_NS6detail17trampoline_kernelINS0_14default_configENS1_25partition_config_selectorILNS1_17partition_subalgoE2EsNS0_10empty_typeEbEEZZNS1_14partition_implILS5_2ELb0ES3_jN6thrust23THRUST_200600_302600_NS6detail15normal_iteratorINSA_7pointerIsNSA_11hip_rocprim3tagENSA_11use_defaultESG_EEEEPS6_NSA_18transform_iteratorI10is_orderedNSA_12zip_iteratorINSA_5tupleINSC_INSA_10device_ptrIsEEEESQ_NSA_9null_typeESR_SR_SR_SR_SR_SR_SR_EEEESG_SG_EENS0_5tupleIJPsSJ_EEENSV_IJSJ_SJ_EEES6_PlJS6_EEE10hipError_tPvRmT3_T4_T5_T6_T7_T9_mT8_P12ihipStream_tbDpT10_ENKUlT_T0_E_clISt17integral_constantIbLb1EES1I_IbLb0EEEEDaS1E_S1F_EUlS1E_E_NS1_11comp_targetILNS1_3genE5ELNS1_11target_archE942ELNS1_3gpuE9ELNS1_3repE0EEENS1_30default_config_static_selectorELNS0_4arch9wavefront6targetE1EEEvT1_: ; @_ZN7rocprim17ROCPRIM_400000_NS6detail17trampoline_kernelINS0_14default_configENS1_25partition_config_selectorILNS1_17partition_subalgoE2EsNS0_10empty_typeEbEEZZNS1_14partition_implILS5_2ELb0ES3_jN6thrust23THRUST_200600_302600_NS6detail15normal_iteratorINSA_7pointerIsNSA_11hip_rocprim3tagENSA_11use_defaultESG_EEEEPS6_NSA_18transform_iteratorI10is_orderedNSA_12zip_iteratorINSA_5tupleINSC_INSA_10device_ptrIsEEEESQ_NSA_9null_typeESR_SR_SR_SR_SR_SR_SR_EEEESG_SG_EENS0_5tupleIJPsSJ_EEENSV_IJSJ_SJ_EEES6_PlJS6_EEE10hipError_tPvRmT3_T4_T5_T6_T7_T9_mT8_P12ihipStream_tbDpT10_ENKUlT_T0_E_clISt17integral_constantIbLb1EES1I_IbLb0EEEEDaS1E_S1F_EUlS1E_E_NS1_11comp_targetILNS1_3genE5ELNS1_11target_archE942ELNS1_3gpuE9ELNS1_3repE0EEENS1_30default_config_static_selectorELNS0_4arch9wavefront6targetE1EEEvT1_
; %bb.0:
	.section	.rodata,"a",@progbits
	.p2align	6, 0x0
	.amdhsa_kernel _ZN7rocprim17ROCPRIM_400000_NS6detail17trampoline_kernelINS0_14default_configENS1_25partition_config_selectorILNS1_17partition_subalgoE2EsNS0_10empty_typeEbEEZZNS1_14partition_implILS5_2ELb0ES3_jN6thrust23THRUST_200600_302600_NS6detail15normal_iteratorINSA_7pointerIsNSA_11hip_rocprim3tagENSA_11use_defaultESG_EEEEPS6_NSA_18transform_iteratorI10is_orderedNSA_12zip_iteratorINSA_5tupleINSC_INSA_10device_ptrIsEEEESQ_NSA_9null_typeESR_SR_SR_SR_SR_SR_SR_EEEESG_SG_EENS0_5tupleIJPsSJ_EEENSV_IJSJ_SJ_EEES6_PlJS6_EEE10hipError_tPvRmT3_T4_T5_T6_T7_T9_mT8_P12ihipStream_tbDpT10_ENKUlT_T0_E_clISt17integral_constantIbLb1EES1I_IbLb0EEEEDaS1E_S1F_EUlS1E_E_NS1_11comp_targetILNS1_3genE5ELNS1_11target_archE942ELNS1_3gpuE9ELNS1_3repE0EEENS1_30default_config_static_selectorELNS0_4arch9wavefront6targetE1EEEvT1_
		.amdhsa_group_segment_fixed_size 0
		.amdhsa_private_segment_fixed_size 0
		.amdhsa_kernarg_size 136
		.amdhsa_user_sgpr_count 6
		.amdhsa_user_sgpr_private_segment_buffer 1
		.amdhsa_user_sgpr_dispatch_ptr 0
		.amdhsa_user_sgpr_queue_ptr 0
		.amdhsa_user_sgpr_kernarg_segment_ptr 1
		.amdhsa_user_sgpr_dispatch_id 0
		.amdhsa_user_sgpr_flat_scratch_init 0
		.amdhsa_user_sgpr_kernarg_preload_length 0
		.amdhsa_user_sgpr_kernarg_preload_offset 0
		.amdhsa_user_sgpr_private_segment_size 0
		.amdhsa_uses_dynamic_stack 0
		.amdhsa_system_sgpr_private_segment_wavefront_offset 0
		.amdhsa_system_sgpr_workgroup_id_x 1
		.amdhsa_system_sgpr_workgroup_id_y 0
		.amdhsa_system_sgpr_workgroup_id_z 0
		.amdhsa_system_sgpr_workgroup_info 0
		.amdhsa_system_vgpr_workitem_id 0
		.amdhsa_next_free_vgpr 1
		.amdhsa_next_free_sgpr 0
		.amdhsa_accum_offset 4
		.amdhsa_reserve_vcc 0
		.amdhsa_reserve_flat_scratch 0
		.amdhsa_float_round_mode_32 0
		.amdhsa_float_round_mode_16_64 0
		.amdhsa_float_denorm_mode_32 3
		.amdhsa_float_denorm_mode_16_64 3
		.amdhsa_dx10_clamp 1
		.amdhsa_ieee_mode 1
		.amdhsa_fp16_overflow 0
		.amdhsa_tg_split 0
		.amdhsa_exception_fp_ieee_invalid_op 0
		.amdhsa_exception_fp_denorm_src 0
		.amdhsa_exception_fp_ieee_div_zero 0
		.amdhsa_exception_fp_ieee_overflow 0
		.amdhsa_exception_fp_ieee_underflow 0
		.amdhsa_exception_fp_ieee_inexact 0
		.amdhsa_exception_int_div_zero 0
	.end_amdhsa_kernel
	.section	.text._ZN7rocprim17ROCPRIM_400000_NS6detail17trampoline_kernelINS0_14default_configENS1_25partition_config_selectorILNS1_17partition_subalgoE2EsNS0_10empty_typeEbEEZZNS1_14partition_implILS5_2ELb0ES3_jN6thrust23THRUST_200600_302600_NS6detail15normal_iteratorINSA_7pointerIsNSA_11hip_rocprim3tagENSA_11use_defaultESG_EEEEPS6_NSA_18transform_iteratorI10is_orderedNSA_12zip_iteratorINSA_5tupleINSC_INSA_10device_ptrIsEEEESQ_NSA_9null_typeESR_SR_SR_SR_SR_SR_SR_EEEESG_SG_EENS0_5tupleIJPsSJ_EEENSV_IJSJ_SJ_EEES6_PlJS6_EEE10hipError_tPvRmT3_T4_T5_T6_T7_T9_mT8_P12ihipStream_tbDpT10_ENKUlT_T0_E_clISt17integral_constantIbLb1EES1I_IbLb0EEEEDaS1E_S1F_EUlS1E_E_NS1_11comp_targetILNS1_3genE5ELNS1_11target_archE942ELNS1_3gpuE9ELNS1_3repE0EEENS1_30default_config_static_selectorELNS0_4arch9wavefront6targetE1EEEvT1_,"axG",@progbits,_ZN7rocprim17ROCPRIM_400000_NS6detail17trampoline_kernelINS0_14default_configENS1_25partition_config_selectorILNS1_17partition_subalgoE2EsNS0_10empty_typeEbEEZZNS1_14partition_implILS5_2ELb0ES3_jN6thrust23THRUST_200600_302600_NS6detail15normal_iteratorINSA_7pointerIsNSA_11hip_rocprim3tagENSA_11use_defaultESG_EEEEPS6_NSA_18transform_iteratorI10is_orderedNSA_12zip_iteratorINSA_5tupleINSC_INSA_10device_ptrIsEEEESQ_NSA_9null_typeESR_SR_SR_SR_SR_SR_SR_EEEESG_SG_EENS0_5tupleIJPsSJ_EEENSV_IJSJ_SJ_EEES6_PlJS6_EEE10hipError_tPvRmT3_T4_T5_T6_T7_T9_mT8_P12ihipStream_tbDpT10_ENKUlT_T0_E_clISt17integral_constantIbLb1EES1I_IbLb0EEEEDaS1E_S1F_EUlS1E_E_NS1_11comp_targetILNS1_3genE5ELNS1_11target_archE942ELNS1_3gpuE9ELNS1_3repE0EEENS1_30default_config_static_selectorELNS0_4arch9wavefront6targetE1EEEvT1_,comdat
.Lfunc_end3643:
	.size	_ZN7rocprim17ROCPRIM_400000_NS6detail17trampoline_kernelINS0_14default_configENS1_25partition_config_selectorILNS1_17partition_subalgoE2EsNS0_10empty_typeEbEEZZNS1_14partition_implILS5_2ELb0ES3_jN6thrust23THRUST_200600_302600_NS6detail15normal_iteratorINSA_7pointerIsNSA_11hip_rocprim3tagENSA_11use_defaultESG_EEEEPS6_NSA_18transform_iteratorI10is_orderedNSA_12zip_iteratorINSA_5tupleINSC_INSA_10device_ptrIsEEEESQ_NSA_9null_typeESR_SR_SR_SR_SR_SR_SR_EEEESG_SG_EENS0_5tupleIJPsSJ_EEENSV_IJSJ_SJ_EEES6_PlJS6_EEE10hipError_tPvRmT3_T4_T5_T6_T7_T9_mT8_P12ihipStream_tbDpT10_ENKUlT_T0_E_clISt17integral_constantIbLb1EES1I_IbLb0EEEEDaS1E_S1F_EUlS1E_E_NS1_11comp_targetILNS1_3genE5ELNS1_11target_archE942ELNS1_3gpuE9ELNS1_3repE0EEENS1_30default_config_static_selectorELNS0_4arch9wavefront6targetE1EEEvT1_, .Lfunc_end3643-_ZN7rocprim17ROCPRIM_400000_NS6detail17trampoline_kernelINS0_14default_configENS1_25partition_config_selectorILNS1_17partition_subalgoE2EsNS0_10empty_typeEbEEZZNS1_14partition_implILS5_2ELb0ES3_jN6thrust23THRUST_200600_302600_NS6detail15normal_iteratorINSA_7pointerIsNSA_11hip_rocprim3tagENSA_11use_defaultESG_EEEEPS6_NSA_18transform_iteratorI10is_orderedNSA_12zip_iteratorINSA_5tupleINSC_INSA_10device_ptrIsEEEESQ_NSA_9null_typeESR_SR_SR_SR_SR_SR_SR_EEEESG_SG_EENS0_5tupleIJPsSJ_EEENSV_IJSJ_SJ_EEES6_PlJS6_EEE10hipError_tPvRmT3_T4_T5_T6_T7_T9_mT8_P12ihipStream_tbDpT10_ENKUlT_T0_E_clISt17integral_constantIbLb1EES1I_IbLb0EEEEDaS1E_S1F_EUlS1E_E_NS1_11comp_targetILNS1_3genE5ELNS1_11target_archE942ELNS1_3gpuE9ELNS1_3repE0EEENS1_30default_config_static_selectorELNS0_4arch9wavefront6targetE1EEEvT1_
                                        ; -- End function
	.section	.AMDGPU.csdata,"",@progbits
; Kernel info:
; codeLenInByte = 0
; NumSgprs: 4
; NumVgprs: 0
; NumAgprs: 0
; TotalNumVgprs: 0
; ScratchSize: 0
; MemoryBound: 0
; FloatMode: 240
; IeeeMode: 1
; LDSByteSize: 0 bytes/workgroup (compile time only)
; SGPRBlocks: 0
; VGPRBlocks: 0
; NumSGPRsForWavesPerEU: 4
; NumVGPRsForWavesPerEU: 1
; AccumOffset: 4
; Occupancy: 8
; WaveLimiterHint : 0
; COMPUTE_PGM_RSRC2:SCRATCH_EN: 0
; COMPUTE_PGM_RSRC2:USER_SGPR: 6
; COMPUTE_PGM_RSRC2:TRAP_HANDLER: 0
; COMPUTE_PGM_RSRC2:TGID_X_EN: 1
; COMPUTE_PGM_RSRC2:TGID_Y_EN: 0
; COMPUTE_PGM_RSRC2:TGID_Z_EN: 0
; COMPUTE_PGM_RSRC2:TIDIG_COMP_CNT: 0
; COMPUTE_PGM_RSRC3_GFX90A:ACCUM_OFFSET: 0
; COMPUTE_PGM_RSRC3_GFX90A:TG_SPLIT: 0
	.section	.text._ZN7rocprim17ROCPRIM_400000_NS6detail17trampoline_kernelINS0_14default_configENS1_25partition_config_selectorILNS1_17partition_subalgoE2EsNS0_10empty_typeEbEEZZNS1_14partition_implILS5_2ELb0ES3_jN6thrust23THRUST_200600_302600_NS6detail15normal_iteratorINSA_7pointerIsNSA_11hip_rocprim3tagENSA_11use_defaultESG_EEEEPS6_NSA_18transform_iteratorI10is_orderedNSA_12zip_iteratorINSA_5tupleINSC_INSA_10device_ptrIsEEEESQ_NSA_9null_typeESR_SR_SR_SR_SR_SR_SR_EEEESG_SG_EENS0_5tupleIJPsSJ_EEENSV_IJSJ_SJ_EEES6_PlJS6_EEE10hipError_tPvRmT3_T4_T5_T6_T7_T9_mT8_P12ihipStream_tbDpT10_ENKUlT_T0_E_clISt17integral_constantIbLb1EES1I_IbLb0EEEEDaS1E_S1F_EUlS1E_E_NS1_11comp_targetILNS1_3genE4ELNS1_11target_archE910ELNS1_3gpuE8ELNS1_3repE0EEENS1_30default_config_static_selectorELNS0_4arch9wavefront6targetE1EEEvT1_,"axG",@progbits,_ZN7rocprim17ROCPRIM_400000_NS6detail17trampoline_kernelINS0_14default_configENS1_25partition_config_selectorILNS1_17partition_subalgoE2EsNS0_10empty_typeEbEEZZNS1_14partition_implILS5_2ELb0ES3_jN6thrust23THRUST_200600_302600_NS6detail15normal_iteratorINSA_7pointerIsNSA_11hip_rocprim3tagENSA_11use_defaultESG_EEEEPS6_NSA_18transform_iteratorI10is_orderedNSA_12zip_iteratorINSA_5tupleINSC_INSA_10device_ptrIsEEEESQ_NSA_9null_typeESR_SR_SR_SR_SR_SR_SR_EEEESG_SG_EENS0_5tupleIJPsSJ_EEENSV_IJSJ_SJ_EEES6_PlJS6_EEE10hipError_tPvRmT3_T4_T5_T6_T7_T9_mT8_P12ihipStream_tbDpT10_ENKUlT_T0_E_clISt17integral_constantIbLb1EES1I_IbLb0EEEEDaS1E_S1F_EUlS1E_E_NS1_11comp_targetILNS1_3genE4ELNS1_11target_archE910ELNS1_3gpuE8ELNS1_3repE0EEENS1_30default_config_static_selectorELNS0_4arch9wavefront6targetE1EEEvT1_,comdat
	.protected	_ZN7rocprim17ROCPRIM_400000_NS6detail17trampoline_kernelINS0_14default_configENS1_25partition_config_selectorILNS1_17partition_subalgoE2EsNS0_10empty_typeEbEEZZNS1_14partition_implILS5_2ELb0ES3_jN6thrust23THRUST_200600_302600_NS6detail15normal_iteratorINSA_7pointerIsNSA_11hip_rocprim3tagENSA_11use_defaultESG_EEEEPS6_NSA_18transform_iteratorI10is_orderedNSA_12zip_iteratorINSA_5tupleINSC_INSA_10device_ptrIsEEEESQ_NSA_9null_typeESR_SR_SR_SR_SR_SR_SR_EEEESG_SG_EENS0_5tupleIJPsSJ_EEENSV_IJSJ_SJ_EEES6_PlJS6_EEE10hipError_tPvRmT3_T4_T5_T6_T7_T9_mT8_P12ihipStream_tbDpT10_ENKUlT_T0_E_clISt17integral_constantIbLb1EES1I_IbLb0EEEEDaS1E_S1F_EUlS1E_E_NS1_11comp_targetILNS1_3genE4ELNS1_11target_archE910ELNS1_3gpuE8ELNS1_3repE0EEENS1_30default_config_static_selectorELNS0_4arch9wavefront6targetE1EEEvT1_ ; -- Begin function _ZN7rocprim17ROCPRIM_400000_NS6detail17trampoline_kernelINS0_14default_configENS1_25partition_config_selectorILNS1_17partition_subalgoE2EsNS0_10empty_typeEbEEZZNS1_14partition_implILS5_2ELb0ES3_jN6thrust23THRUST_200600_302600_NS6detail15normal_iteratorINSA_7pointerIsNSA_11hip_rocprim3tagENSA_11use_defaultESG_EEEEPS6_NSA_18transform_iteratorI10is_orderedNSA_12zip_iteratorINSA_5tupleINSC_INSA_10device_ptrIsEEEESQ_NSA_9null_typeESR_SR_SR_SR_SR_SR_SR_EEEESG_SG_EENS0_5tupleIJPsSJ_EEENSV_IJSJ_SJ_EEES6_PlJS6_EEE10hipError_tPvRmT3_T4_T5_T6_T7_T9_mT8_P12ihipStream_tbDpT10_ENKUlT_T0_E_clISt17integral_constantIbLb1EES1I_IbLb0EEEEDaS1E_S1F_EUlS1E_E_NS1_11comp_targetILNS1_3genE4ELNS1_11target_archE910ELNS1_3gpuE8ELNS1_3repE0EEENS1_30default_config_static_selectorELNS0_4arch9wavefront6targetE1EEEvT1_
	.globl	_ZN7rocprim17ROCPRIM_400000_NS6detail17trampoline_kernelINS0_14default_configENS1_25partition_config_selectorILNS1_17partition_subalgoE2EsNS0_10empty_typeEbEEZZNS1_14partition_implILS5_2ELb0ES3_jN6thrust23THRUST_200600_302600_NS6detail15normal_iteratorINSA_7pointerIsNSA_11hip_rocprim3tagENSA_11use_defaultESG_EEEEPS6_NSA_18transform_iteratorI10is_orderedNSA_12zip_iteratorINSA_5tupleINSC_INSA_10device_ptrIsEEEESQ_NSA_9null_typeESR_SR_SR_SR_SR_SR_SR_EEEESG_SG_EENS0_5tupleIJPsSJ_EEENSV_IJSJ_SJ_EEES6_PlJS6_EEE10hipError_tPvRmT3_T4_T5_T6_T7_T9_mT8_P12ihipStream_tbDpT10_ENKUlT_T0_E_clISt17integral_constantIbLb1EES1I_IbLb0EEEEDaS1E_S1F_EUlS1E_E_NS1_11comp_targetILNS1_3genE4ELNS1_11target_archE910ELNS1_3gpuE8ELNS1_3repE0EEENS1_30default_config_static_selectorELNS0_4arch9wavefront6targetE1EEEvT1_
	.p2align	8
	.type	_ZN7rocprim17ROCPRIM_400000_NS6detail17trampoline_kernelINS0_14default_configENS1_25partition_config_selectorILNS1_17partition_subalgoE2EsNS0_10empty_typeEbEEZZNS1_14partition_implILS5_2ELb0ES3_jN6thrust23THRUST_200600_302600_NS6detail15normal_iteratorINSA_7pointerIsNSA_11hip_rocprim3tagENSA_11use_defaultESG_EEEEPS6_NSA_18transform_iteratorI10is_orderedNSA_12zip_iteratorINSA_5tupleINSC_INSA_10device_ptrIsEEEESQ_NSA_9null_typeESR_SR_SR_SR_SR_SR_SR_EEEESG_SG_EENS0_5tupleIJPsSJ_EEENSV_IJSJ_SJ_EEES6_PlJS6_EEE10hipError_tPvRmT3_T4_T5_T6_T7_T9_mT8_P12ihipStream_tbDpT10_ENKUlT_T0_E_clISt17integral_constantIbLb1EES1I_IbLb0EEEEDaS1E_S1F_EUlS1E_E_NS1_11comp_targetILNS1_3genE4ELNS1_11target_archE910ELNS1_3gpuE8ELNS1_3repE0EEENS1_30default_config_static_selectorELNS0_4arch9wavefront6targetE1EEEvT1_,@function
_ZN7rocprim17ROCPRIM_400000_NS6detail17trampoline_kernelINS0_14default_configENS1_25partition_config_selectorILNS1_17partition_subalgoE2EsNS0_10empty_typeEbEEZZNS1_14partition_implILS5_2ELb0ES3_jN6thrust23THRUST_200600_302600_NS6detail15normal_iteratorINSA_7pointerIsNSA_11hip_rocprim3tagENSA_11use_defaultESG_EEEEPS6_NSA_18transform_iteratorI10is_orderedNSA_12zip_iteratorINSA_5tupleINSC_INSA_10device_ptrIsEEEESQ_NSA_9null_typeESR_SR_SR_SR_SR_SR_SR_EEEESG_SG_EENS0_5tupleIJPsSJ_EEENSV_IJSJ_SJ_EEES6_PlJS6_EEE10hipError_tPvRmT3_T4_T5_T6_T7_T9_mT8_P12ihipStream_tbDpT10_ENKUlT_T0_E_clISt17integral_constantIbLb1EES1I_IbLb0EEEEDaS1E_S1F_EUlS1E_E_NS1_11comp_targetILNS1_3genE4ELNS1_11target_archE910ELNS1_3gpuE8ELNS1_3repE0EEENS1_30default_config_static_selectorELNS0_4arch9wavefront6targetE1EEEvT1_: ; @_ZN7rocprim17ROCPRIM_400000_NS6detail17trampoline_kernelINS0_14default_configENS1_25partition_config_selectorILNS1_17partition_subalgoE2EsNS0_10empty_typeEbEEZZNS1_14partition_implILS5_2ELb0ES3_jN6thrust23THRUST_200600_302600_NS6detail15normal_iteratorINSA_7pointerIsNSA_11hip_rocprim3tagENSA_11use_defaultESG_EEEEPS6_NSA_18transform_iteratorI10is_orderedNSA_12zip_iteratorINSA_5tupleINSC_INSA_10device_ptrIsEEEESQ_NSA_9null_typeESR_SR_SR_SR_SR_SR_SR_EEEESG_SG_EENS0_5tupleIJPsSJ_EEENSV_IJSJ_SJ_EEES6_PlJS6_EEE10hipError_tPvRmT3_T4_T5_T6_T7_T9_mT8_P12ihipStream_tbDpT10_ENKUlT_T0_E_clISt17integral_constantIbLb1EES1I_IbLb0EEEEDaS1E_S1F_EUlS1E_E_NS1_11comp_targetILNS1_3genE4ELNS1_11target_archE910ELNS1_3gpuE8ELNS1_3repE0EEENS1_30default_config_static_selectorELNS0_4arch9wavefront6targetE1EEEvT1_
; %bb.0:
	s_load_dwordx4 s[24:27], s[4:5], 0x8
	s_load_dwordx4 s[20:23], s[4:5], 0x58
	s_load_dwordx2 s[28:29], s[4:5], 0x68
	s_load_dword s0, s[4:5], 0x80
	v_lshlrev_b32_e32 v1, 1, v0
	s_waitcnt lgkmcnt(0)
	s_lshl_b64 s[2:3], s[26:27], 1
	s_add_u32 s7, s24, s2
	s_addc_u32 s8, s25, s3
	s_add_i32 s9, s0, -1
	s_mulk_i32 s0, 0x1400
	s_add_i32 s1, s0, s26
	s_sub_i32 s33, s28, s1
	s_addk_i32 s33, 0x1400
	s_add_u32 s0, s26, s0
	s_addc_u32 s1, s27, 0
	s_cmp_eq_u32 s6, s9
	s_load_dwordx2 s[30:31], s[22:23], 0x0
	v_pk_mov_b32 v[2:3], s[28:29], s[28:29] op_sel:[0,1]
	s_cselect_b64 s[22:23], -1, 0
	s_cmp_lg_u32 s6, s9
	s_mul_i32 s24, s6, 0x1400
	s_mov_b32 s25, 0
	v_cmp_lt_u64_e32 vcc, s[0:1], v[2:3]
	s_cselect_b64 s[0:1], -1, 0
	s_or_b64 s[34:35], s[0:1], vcc
	s_lshl_b64 s[12:13], s[24:25], 1
	s_add_u32 s7, s7, s12
	s_addc_u32 s16, s8, s13
	s_mov_b64 s[0:1], -1
	s_and_b64 vcc, exec, s[34:35]
	s_cbranch_vccz .LBB3644_2
; %bb.1:
	v_mov_b32_e32 v3, s16
	v_add_co_u32_e32 v2, vcc, s7, v1
	v_addc_co_u32_e32 v3, vcc, 0, v3, vcc
	v_add_co_u32_e32 v4, vcc, 0x1000, v2
	v_addc_co_u32_e32 v5, vcc, 0, v3, vcc
	flat_load_ushort v6, v[2:3]
	flat_load_ushort v7, v[2:3] offset:512
	flat_load_ushort v8, v[2:3] offset:1024
	;; [unrolled: 1-line block ×7, first 2 shown]
	v_add_co_u32_e32 v2, vcc, 0x2000, v2
	v_addc_co_u32_e32 v3, vcc, 0, v3, vcc
	flat_load_ushort v14, v[4:5]
	flat_load_ushort v15, v[4:5] offset:512
	flat_load_ushort v16, v[4:5] offset:1024
	;; [unrolled: 1-line block ×7, first 2 shown]
	s_nop 0
	flat_load_ushort v4, v[2:3]
	flat_load_ushort v5, v[2:3] offset:512
	flat_load_ushort v22, v[2:3] offset:1024
	;; [unrolled: 1-line block ×3, first 2 shown]
	s_mov_b64 s[0:1], 0
	s_waitcnt vmcnt(0) lgkmcnt(0)
	ds_write_b16 v1, v6
	ds_write_b16 v1, v7 offset:512
	ds_write_b16 v1, v8 offset:1024
	;; [unrolled: 1-line block ×19, first 2 shown]
	s_waitcnt lgkmcnt(0)
	s_barrier
.LBB3644_2:
	s_load_dwordx4 s[8:11], s[4:5], 0x20
	s_andn2_b64 vcc, exec, s[0:1]
	v_cmp_gt_u32_e64 s[0:1], s33, v0
	s_cbranch_vccnz .LBB3644_44
; %bb.3:
                                        ; implicit-def: $vgpr2
	s_and_saveexec_b64 s[14:15], s[0:1]
	s_cbranch_execz .LBB3644_5
; %bb.4:
	v_mov_b32_e32 v3, s16
	v_add_co_u32_e32 v2, vcc, s7, v1
	v_addc_co_u32_e32 v3, vcc, 0, v3, vcc
	flat_load_ushort v2, v[2:3]
.LBB3644_5:
	s_or_b64 exec, exec, s[14:15]
	v_or_b32_e32 v3, 0x100, v0
	v_cmp_gt_u32_e32 vcc, s33, v3
                                        ; implicit-def: $vgpr3
	s_and_saveexec_b64 s[0:1], vcc
	s_cbranch_execz .LBB3644_7
; %bb.6:
	v_mov_b32_e32 v3, s16
	v_add_co_u32_e32 v4, vcc, s7, v1
	v_addc_co_u32_e32 v5, vcc, 0, v3, vcc
	flat_load_ushort v3, v[4:5] offset:512
.LBB3644_7:
	s_or_b64 exec, exec, s[0:1]
	v_or_b32_e32 v4, 0x200, v0
	v_cmp_gt_u32_e32 vcc, s33, v4
                                        ; implicit-def: $vgpr4
	s_and_saveexec_b64 s[0:1], vcc
	s_cbranch_execz .LBB3644_9
; %bb.8:
	v_mov_b32_e32 v5, s16
	v_add_co_u32_e32 v4, vcc, s7, v1
	v_addc_co_u32_e32 v5, vcc, 0, v5, vcc
	flat_load_ushort v4, v[4:5] offset:1024
.LBB3644_9:
	s_or_b64 exec, exec, s[0:1]
	v_or_b32_e32 v5, 0x300, v0
	v_cmp_gt_u32_e32 vcc, s33, v5
                                        ; implicit-def: $vgpr5
	s_and_saveexec_b64 s[0:1], vcc
	s_cbranch_execz .LBB3644_11
; %bb.10:
	v_mov_b32_e32 v5, s16
	v_add_co_u32_e32 v6, vcc, s7, v1
	v_addc_co_u32_e32 v7, vcc, 0, v5, vcc
	flat_load_ushort v5, v[6:7] offset:1536
.LBB3644_11:
	s_or_b64 exec, exec, s[0:1]
	v_or_b32_e32 v6, 0x400, v0
	v_cmp_gt_u32_e32 vcc, s33, v6
                                        ; implicit-def: $vgpr6
	s_and_saveexec_b64 s[0:1], vcc
	s_cbranch_execz .LBB3644_13
; %bb.12:
	v_mov_b32_e32 v7, s16
	v_add_co_u32_e32 v6, vcc, s7, v1
	v_addc_co_u32_e32 v7, vcc, 0, v7, vcc
	flat_load_ushort v6, v[6:7] offset:2048
.LBB3644_13:
	s_or_b64 exec, exec, s[0:1]
	v_or_b32_e32 v7, 0x500, v0
	v_cmp_gt_u32_e32 vcc, s33, v7
                                        ; implicit-def: $vgpr7
	s_and_saveexec_b64 s[0:1], vcc
	s_cbranch_execz .LBB3644_15
; %bb.14:
	v_mov_b32_e32 v7, s16
	v_add_co_u32_e32 v8, vcc, s7, v1
	v_addc_co_u32_e32 v9, vcc, 0, v7, vcc
	flat_load_ushort v7, v[8:9] offset:2560
.LBB3644_15:
	s_or_b64 exec, exec, s[0:1]
	v_or_b32_e32 v8, 0x600, v0
	v_cmp_gt_u32_e32 vcc, s33, v8
                                        ; implicit-def: $vgpr8
	s_and_saveexec_b64 s[0:1], vcc
	s_cbranch_execz .LBB3644_17
; %bb.16:
	v_mov_b32_e32 v9, s16
	v_add_co_u32_e32 v8, vcc, s7, v1
	v_addc_co_u32_e32 v9, vcc, 0, v9, vcc
	flat_load_ushort v8, v[8:9] offset:3072
.LBB3644_17:
	s_or_b64 exec, exec, s[0:1]
	v_or_b32_e32 v9, 0x700, v0
	v_cmp_gt_u32_e32 vcc, s33, v9
                                        ; implicit-def: $vgpr9
	s_and_saveexec_b64 s[0:1], vcc
	s_cbranch_execz .LBB3644_19
; %bb.18:
	v_mov_b32_e32 v9, s16
	v_add_co_u32_e32 v10, vcc, s7, v1
	v_addc_co_u32_e32 v11, vcc, 0, v9, vcc
	flat_load_ushort v9, v[10:11] offset:3584
.LBB3644_19:
	s_or_b64 exec, exec, s[0:1]
	v_or_b32_e32 v11, 0x800, v0
	v_cmp_gt_u32_e32 vcc, s33, v11
                                        ; implicit-def: $vgpr10
	s_and_saveexec_b64 s[0:1], vcc
	s_cbranch_execz .LBB3644_21
; %bb.20:
	v_lshlrev_b32_e32 v10, 1, v11
	v_mov_b32_e32 v11, s16
	v_add_co_u32_e32 v10, vcc, s7, v10
	v_addc_co_u32_e32 v11, vcc, 0, v11, vcc
	flat_load_ushort v10, v[10:11]
.LBB3644_21:
	s_or_b64 exec, exec, s[0:1]
	v_or_b32_e32 v12, 0x900, v0
	v_cmp_gt_u32_e32 vcc, s33, v12
                                        ; implicit-def: $vgpr11
	s_and_saveexec_b64 s[0:1], vcc
	s_cbranch_execz .LBB3644_23
; %bb.22:
	v_lshlrev_b32_e32 v11, 1, v12
	v_mov_b32_e32 v13, s16
	v_add_co_u32_e32 v12, vcc, s7, v11
	v_addc_co_u32_e32 v13, vcc, 0, v13, vcc
	flat_load_ushort v11, v[12:13]
.LBB3644_23:
	s_or_b64 exec, exec, s[0:1]
	v_or_b32_e32 v13, 0xa00, v0
	v_cmp_gt_u32_e32 vcc, s33, v13
                                        ; implicit-def: $vgpr12
	s_and_saveexec_b64 s[0:1], vcc
	s_cbranch_execz .LBB3644_25
; %bb.24:
	v_lshlrev_b32_e32 v12, 1, v13
	v_mov_b32_e32 v13, s16
	v_add_co_u32_e32 v12, vcc, s7, v12
	v_addc_co_u32_e32 v13, vcc, 0, v13, vcc
	flat_load_ushort v12, v[12:13]
.LBB3644_25:
	s_or_b64 exec, exec, s[0:1]
	v_or_b32_e32 v14, 0xb00, v0
	v_cmp_gt_u32_e32 vcc, s33, v14
                                        ; implicit-def: $vgpr13
	s_and_saveexec_b64 s[0:1], vcc
	s_cbranch_execz .LBB3644_27
; %bb.26:
	v_lshlrev_b32_e32 v13, 1, v14
	v_mov_b32_e32 v15, s16
	v_add_co_u32_e32 v14, vcc, s7, v13
	v_addc_co_u32_e32 v15, vcc, 0, v15, vcc
	flat_load_ushort v13, v[14:15]
.LBB3644_27:
	s_or_b64 exec, exec, s[0:1]
	v_or_b32_e32 v15, 0xc00, v0
	v_cmp_gt_u32_e32 vcc, s33, v15
                                        ; implicit-def: $vgpr14
	s_and_saveexec_b64 s[0:1], vcc
	s_cbranch_execz .LBB3644_29
; %bb.28:
	v_lshlrev_b32_e32 v14, 1, v15
	v_mov_b32_e32 v15, s16
	v_add_co_u32_e32 v14, vcc, s7, v14
	v_addc_co_u32_e32 v15, vcc, 0, v15, vcc
	flat_load_ushort v14, v[14:15]
.LBB3644_29:
	s_or_b64 exec, exec, s[0:1]
	v_or_b32_e32 v16, 0xd00, v0
	v_cmp_gt_u32_e32 vcc, s33, v16
                                        ; implicit-def: $vgpr15
	s_and_saveexec_b64 s[0:1], vcc
	s_cbranch_execz .LBB3644_31
; %bb.30:
	v_lshlrev_b32_e32 v15, 1, v16
	v_mov_b32_e32 v17, s16
	v_add_co_u32_e32 v16, vcc, s7, v15
	v_addc_co_u32_e32 v17, vcc, 0, v17, vcc
	flat_load_ushort v15, v[16:17]
.LBB3644_31:
	s_or_b64 exec, exec, s[0:1]
	v_or_b32_e32 v17, 0xe00, v0
	v_cmp_gt_u32_e32 vcc, s33, v17
                                        ; implicit-def: $vgpr16
	s_and_saveexec_b64 s[0:1], vcc
	s_cbranch_execz .LBB3644_33
; %bb.32:
	v_lshlrev_b32_e32 v16, 1, v17
	v_mov_b32_e32 v17, s16
	v_add_co_u32_e32 v16, vcc, s7, v16
	v_addc_co_u32_e32 v17, vcc, 0, v17, vcc
	flat_load_ushort v16, v[16:17]
.LBB3644_33:
	s_or_b64 exec, exec, s[0:1]
	v_or_b32_e32 v18, 0xf00, v0
	v_cmp_gt_u32_e32 vcc, s33, v18
                                        ; implicit-def: $vgpr17
	s_and_saveexec_b64 s[0:1], vcc
	s_cbranch_execz .LBB3644_35
; %bb.34:
	v_lshlrev_b32_e32 v17, 1, v18
	v_mov_b32_e32 v19, s16
	v_add_co_u32_e32 v18, vcc, s7, v17
	v_addc_co_u32_e32 v19, vcc, 0, v19, vcc
	flat_load_ushort v17, v[18:19]
.LBB3644_35:
	s_or_b64 exec, exec, s[0:1]
	v_or_b32_e32 v19, 0x1000, v0
	v_cmp_gt_u32_e32 vcc, s33, v19
                                        ; implicit-def: $vgpr18
	s_and_saveexec_b64 s[0:1], vcc
	s_cbranch_execz .LBB3644_37
; %bb.36:
	v_lshlrev_b32_e32 v18, 1, v19
	v_mov_b32_e32 v19, s16
	v_add_co_u32_e32 v18, vcc, s7, v18
	v_addc_co_u32_e32 v19, vcc, 0, v19, vcc
	flat_load_ushort v18, v[18:19]
.LBB3644_37:
	s_or_b64 exec, exec, s[0:1]
	v_or_b32_e32 v20, 0x1100, v0
	v_cmp_gt_u32_e32 vcc, s33, v20
                                        ; implicit-def: $vgpr19
	s_and_saveexec_b64 s[0:1], vcc
	s_cbranch_execz .LBB3644_39
; %bb.38:
	v_lshlrev_b32_e32 v19, 1, v20
	v_mov_b32_e32 v21, s16
	v_add_co_u32_e32 v20, vcc, s7, v19
	v_addc_co_u32_e32 v21, vcc, 0, v21, vcc
	flat_load_ushort v19, v[20:21]
.LBB3644_39:
	s_or_b64 exec, exec, s[0:1]
	v_or_b32_e32 v21, 0x1200, v0
	v_cmp_gt_u32_e32 vcc, s33, v21
                                        ; implicit-def: $vgpr20
	s_and_saveexec_b64 s[0:1], vcc
	s_cbranch_execz .LBB3644_41
; %bb.40:
	v_lshlrev_b32_e32 v20, 1, v21
	v_mov_b32_e32 v21, s16
	v_add_co_u32_e32 v20, vcc, s7, v20
	v_addc_co_u32_e32 v21, vcc, 0, v21, vcc
	flat_load_ushort v20, v[20:21]
.LBB3644_41:
	s_or_b64 exec, exec, s[0:1]
	v_or_b32_e32 v22, 0x1300, v0
	v_cmp_gt_u32_e32 vcc, s33, v22
                                        ; implicit-def: $vgpr21
	s_and_saveexec_b64 s[0:1], vcc
	s_cbranch_execz .LBB3644_43
; %bb.42:
	v_lshlrev_b32_e32 v21, 1, v22
	v_mov_b32_e32 v23, s16
	v_add_co_u32_e32 v22, vcc, s7, v21
	v_addc_co_u32_e32 v23, vcc, 0, v23, vcc
	flat_load_ushort v21, v[22:23]
.LBB3644_43:
	s_or_b64 exec, exec, s[0:1]
	s_waitcnt vmcnt(0) lgkmcnt(0)
	ds_write_b16 v1, v2
	ds_write_b16 v1, v3 offset:512
	ds_write_b16 v1, v4 offset:1024
	;; [unrolled: 1-line block ×19, first 2 shown]
	s_waitcnt lgkmcnt(0)
	s_barrier
.LBB3644_44:
	s_waitcnt lgkmcnt(0)
	s_add_u32 s0, s8, s2
	v_mul_u32_u24_e32 v26, 20, v0
	s_addc_u32 s1, s9, s3
	v_lshlrev_b32_e32 v6, 1, v26
	s_add_u32 s2, s10, s2
	ds_read_b64 v[12:13], v6 offset:32
	ds_read2_b64 v[2:5], v6 offset0:2 offset1:3
	ds_read2_b64 v[6:9], v6 offset1:1
	s_addc_u32 s3, s11, s3
	s_add_u32 s0, s0, s12
	s_addc_u32 s1, s1, s13
	s_add_u32 s2, s2, s12
	s_addc_u32 s3, s3, s13
	s_mov_b64 s[8:9], -1
	s_and_b64 vcc, exec, s[34:35]
	s_waitcnt lgkmcnt(0)
	s_barrier
	s_cbranch_vccz .LBB3644_46
; %bb.45:
	v_mov_b32_e32 v10, s1
	v_add_co_u32_e32 v14, vcc, s0, v1
	v_addc_co_u32_e32 v15, vcc, 0, v10, vcc
	v_mov_b32_e32 v10, s3
	v_add_co_u32_e32 v18, vcc, s2, v1
	v_addc_co_u32_e32 v19, vcc, 0, v10, vcc
	s_movk_i32 s7, 0x1000
	v_add_co_u32_e32 v10, vcc, s7, v14
	v_addc_co_u32_e32 v11, vcc, 0, v15, vcc
	s_movk_i32 s8, 0x2000
	v_add_co_u32_e32 v14, vcc, s8, v14
	global_load_ushort v20, v1, s[0:1]
	global_load_ushort v21, v1, s[0:1] offset:512
	global_load_ushort v22, v1, s[0:1] offset:1024
	global_load_ushort v23, v1, s[0:1] offset:1536
	global_load_ushort v24, v1, s[0:1] offset:2048
	global_load_ushort v25, v1, s[0:1] offset:2560
	global_load_ushort v27, v1, s[0:1] offset:3072
	global_load_ushort v28, v1, s[0:1] offset:3584
	global_load_ushort v29, v1, s[2:3]
	global_load_ushort v30, v1, s[2:3] offset:512
	global_load_ushort v31, v1, s[2:3] offset:1024
	;; [unrolled: 1-line block ×7, first 2 shown]
	v_addc_co_u32_e32 v15, vcc, 0, v15, vcc
	global_load_ushort v37, v[14:15], off offset:-4096
	v_add_co_u32_e32 v16, vcc, s7, v18
	v_addc_co_u32_e32 v17, vcc, 0, v19, vcc
	v_add_co_u32_e32 v18, vcc, s8, v18
	v_addc_co_u32_e32 v19, vcc, 0, v19, vcc
	global_load_ushort v38, v[18:19], off offset:-4096
	global_load_ushort v39, v[10:11], off offset:512
	global_load_ushort v40, v[16:17], off offset:512
	;; [unrolled: 1-line block ×14, first 2 shown]
                                        ; kill: killed $vgpr16 killed $vgpr17
                                        ; kill: killed $vgpr10 killed $vgpr11
	s_nop 0
	global_load_ushort v10, v[18:19], off
	global_load_ushort v11, v[14:15], off
	global_load_ushort v16, v[14:15], off offset:512
	global_load_ushort v17, v[18:19], off offset:512
	;; [unrolled: 1-line block ×6, first 2 shown]
	s_mov_b64 s[8:9], 0
	s_waitcnt vmcnt(31)
	v_cmp_le_i16_e32 vcc, v20, v29
	v_cndmask_b32_e64 v14, 0, 1, vcc
	s_waitcnt vmcnt(30)
	v_cmp_le_i16_e32 vcc, v21, v30
	v_cndmask_b32_e64 v15, 0, 1, vcc
	;; [unrolled: 3-line block ×20, first 2 shown]
	ds_write_b8 v0, v14
	ds_write_b8 v0, v15 offset:256
	ds_write_b8 v0, v18 offset:512
	;; [unrolled: 1-line block ×19, first 2 shown]
	s_waitcnt lgkmcnt(0)
	s_barrier
.LBB3644_46:
	s_load_dwordx2 s[36:37], s[4:5], 0x78
	s_andn2_b64 vcc, exec, s[8:9]
	s_cbranch_vccnz .LBB3644_88
; %bb.47:
	v_cmp_gt_u32_e32 vcc, s33, v0
	v_mov_b32_e32 v10, 0
	v_mov_b32_e32 v11, 0
	s_and_saveexec_b64 s[8:9], vcc
	s_cbranch_execz .LBB3644_49
; %bb.48:
	global_load_ushort v11, v1, s[0:1]
	global_load_ushort v14, v1, s[2:3]
	s_waitcnt vmcnt(0)
	v_cmp_le_i16_e32 vcc, v11, v14
	v_cndmask_b32_e64 v11, 0, 1, vcc
.LBB3644_49:
	s_or_b64 exec, exec, s[8:9]
	v_or_b32_e32 v14, 0x100, v0
	v_cmp_gt_u32_e32 vcc, s33, v14
	s_and_saveexec_b64 s[8:9], vcc
	s_cbranch_execz .LBB3644_51
; %bb.50:
	global_load_ushort v10, v1, s[0:1] offset:512
	global_load_ushort v14, v1, s[2:3] offset:512
	s_waitcnt vmcnt(0)
	v_cmp_le_i16_e32 vcc, v10, v14
	v_cndmask_b32_e64 v10, 0, 1, vcc
.LBB3644_51:
	s_or_b64 exec, exec, s[8:9]
	v_or_b32_e32 v14, 0x200, v0
	v_cmp_gt_u32_e32 vcc, s33, v14
	v_mov_b32_e32 v14, 0
	v_mov_b32_e32 v15, 0
	s_and_saveexec_b64 s[8:9], vcc
	s_cbranch_execz .LBB3644_53
; %bb.52:
	global_load_ushort v15, v1, s[0:1] offset:1024
	global_load_ushort v16, v1, s[2:3] offset:1024
	s_waitcnt vmcnt(0)
	v_cmp_le_i16_e32 vcc, v15, v16
	v_cndmask_b32_e64 v15, 0, 1, vcc
.LBB3644_53:
	s_or_b64 exec, exec, s[8:9]
	v_or_b32_e32 v16, 0x300, v0
	v_cmp_gt_u32_e32 vcc, s33, v16
	s_and_saveexec_b64 s[8:9], vcc
	s_cbranch_execz .LBB3644_55
; %bb.54:
	global_load_ushort v14, v1, s[0:1] offset:1536
	global_load_ushort v16, v1, s[2:3] offset:1536
	s_waitcnt vmcnt(0)
	v_cmp_le_i16_e32 vcc, v14, v16
	v_cndmask_b32_e64 v14, 0, 1, vcc
.LBB3644_55:
	s_or_b64 exec, exec, s[8:9]
	v_or_b32_e32 v16, 0x400, v0
	v_cmp_gt_u32_e32 vcc, s33, v16
	v_mov_b32_e32 v16, 0
	v_mov_b32_e32 v17, 0
	s_and_saveexec_b64 s[8:9], vcc
	s_cbranch_execz .LBB3644_57
; %bb.56:
	global_load_ushort v17, v1, s[0:1] offset:2048
	global_load_ushort v18, v1, s[2:3] offset:2048
	s_waitcnt vmcnt(0)
	v_cmp_le_i16_e32 vcc, v17, v18
	v_cndmask_b32_e64 v17, 0, 1, vcc
.LBB3644_57:
	;; [unrolled: 26-line block ×3, first 2 shown]
	s_or_b64 exec, exec, s[8:9]
	v_or_b32_e32 v20, 0x700, v0
	v_cmp_gt_u32_e32 vcc, s33, v20
	s_and_saveexec_b64 s[8:9], vcc
	s_cbranch_execz .LBB3644_63
; %bb.62:
	global_load_ushort v18, v1, s[0:1] offset:3584
	global_load_ushort v20, v1, s[2:3] offset:3584
	s_waitcnt vmcnt(0)
	v_cmp_le_i16_e32 vcc, v18, v20
	v_cndmask_b32_e64 v18, 0, 1, vcc
.LBB3644_63:
	s_or_b64 exec, exec, s[8:9]
	v_or_b32_e32 v22, 0x800, v0
	v_cmp_gt_u32_e32 vcc, s33, v22
	v_mov_b32_e32 v20, 0
	v_mov_b32_e32 v21, 0
	s_and_saveexec_b64 s[8:9], vcc
	s_cbranch_execz .LBB3644_65
; %bb.64:
	v_lshlrev_b32_e32 v21, 1, v22
	global_load_ushort v22, v21, s[0:1]
	global_load_ushort v23, v21, s[2:3]
	s_waitcnt vmcnt(0)
	v_cmp_le_i16_e32 vcc, v22, v23
	v_cndmask_b32_e64 v21, 0, 1, vcc
.LBB3644_65:
	s_or_b64 exec, exec, s[8:9]
	v_or_b32_e32 v22, 0x900, v0
	v_cmp_gt_u32_e32 vcc, s33, v22
	s_and_saveexec_b64 s[8:9], vcc
	s_cbranch_execz .LBB3644_67
; %bb.66:
	v_lshlrev_b32_e32 v20, 1, v22
	global_load_ushort v22, v20, s[0:1]
	global_load_ushort v23, v20, s[2:3]
	s_waitcnt vmcnt(0)
	v_cmp_le_i16_e32 vcc, v22, v23
	v_cndmask_b32_e64 v20, 0, 1, vcc
.LBB3644_67:
	s_or_b64 exec, exec, s[8:9]
	v_or_b32_e32 v24, 0xa00, v0
	v_cmp_gt_u32_e32 vcc, s33, v24
	v_mov_b32_e32 v22, 0
	v_mov_b32_e32 v23, 0
	s_and_saveexec_b64 s[8:9], vcc
	s_cbranch_execz .LBB3644_69
; %bb.68:
	v_lshlrev_b32_e32 v23, 1, v24
	global_load_ushort v24, v23, s[0:1]
	global_load_ushort v25, v23, s[2:3]
	s_waitcnt vmcnt(0)
	v_cmp_le_i16_e32 vcc, v24, v25
	v_cndmask_b32_e64 v23, 0, 1, vcc
.LBB3644_69:
	s_or_b64 exec, exec, s[8:9]
	v_or_b32_e32 v24, 0xb00, v0
	v_cmp_gt_u32_e32 vcc, s33, v24
	s_and_saveexec_b64 s[8:9], vcc
	s_cbranch_execz .LBB3644_71
; %bb.70:
	v_lshlrev_b32_e32 v22, 1, v24
	global_load_ushort v24, v22, s[0:1]
	global_load_ushort v25, v22, s[2:3]
	s_waitcnt vmcnt(0)
	v_cmp_le_i16_e32 vcc, v24, v25
	v_cndmask_b32_e64 v22, 0, 1, vcc
.LBB3644_71:
	;; [unrolled: 28-line block ×6, first 2 shown]
	s_or_b64 exec, exec, s[8:9]
	ds_write_b8 v0, v11
	ds_write_b8 v0, v10 offset:256
	ds_write_b8 v0, v15 offset:512
	;; [unrolled: 1-line block ×19, first 2 shown]
	s_waitcnt lgkmcnt(0)
	s_barrier
.LBB3644_88:
	s_waitcnt lgkmcnt(0)
	ds_read2_b32 v[16:17], v26 offset1:1
	ds_read2_b32 v[14:15], v26 offset0:2 offset1:3
	ds_read_b32 v28, v26 offset:16
	s_cmp_lg_u32 s6, 0
	v_lshrrev_b32_e32 v47, 6, v0
	s_waitcnt lgkmcnt(2)
	v_lshrrev_b32_e32 v33, 24, v16
	v_bfe_u32 v45, v16, 16, 8
	v_add_u32_sdwa v10, v16, v16 dst_sel:DWORD dst_unused:UNUSED_PAD src0_sel:BYTE_1 src1_sel:BYTE_0
	v_and_b32_e32 v42, 0xff, v17
	v_bfe_u32 v43, v17, 8, 8
	v_add3_u32 v10, v10, v45, v33
	v_lshrrev_b32_e32 v32, 24, v17
	v_bfe_u32 v44, v17, 16, 8
	v_add3_u32 v10, v10, v42, v43
	s_waitcnt lgkmcnt(1)
	v_and_b32_e32 v39, 0xff, v14
	v_bfe_u32 v40, v14, 8, 8
	v_add3_u32 v10, v10, v44, v32
	v_lshrrev_b32_e32 v31, 24, v14
	v_bfe_u32 v41, v14, 16, 8
	v_add3_u32 v10, v10, v39, v40
	v_and_b32_e32 v36, 0xff, v15
	v_bfe_u32 v37, v15, 8, 8
	v_add3_u32 v10, v10, v41, v31
	v_lshrrev_b32_e32 v30, 24, v15
	v_bfe_u32 v38, v15, 16, 8
	v_add3_u32 v10, v10, v36, v37
	s_waitcnt lgkmcnt(0)
	v_and_b32_e32 v34, 0xff, v28
	v_bfe_u32 v35, v28, 8, 8
	v_add3_u32 v10, v10, v38, v30
	v_lshrrev_b32_e32 v27, 24, v28
	v_bfe_u32 v29, v28, 16, 8
	v_add3_u32 v10, v10, v34, v35
	v_add3_u32 v48, v10, v29, v27
	v_mbcnt_lo_u32_b32 v10, -1, 0
	v_mbcnt_hi_u32_b32 v46, -1, v10
	v_and_b32_e32 v10, 15, v46
	v_cmp_eq_u32_e64 s[14:15], 0, v10
	v_cmp_lt_u32_e64 s[12:13], 1, v10
	v_cmp_lt_u32_e64 s[10:11], 3, v10
	;; [unrolled: 1-line block ×3, first 2 shown]
	v_and_b32_e32 v10, 16, v46
	v_cmp_eq_u32_e64 s[18:19], 0, v10
	v_or_b32_e32 v10, 63, v0
	v_cmp_lt_u32_e64 s[0:1], 31, v46
	v_cmp_eq_u32_e64 s[2:3], v10, v0
	s_barrier
	s_cbranch_scc0 .LBB3644_119
; %bb.89:
	v_mov_b32_dpp v10, v48 row_shr:1 row_mask:0xf bank_mask:0xf
	v_cndmask_b32_e64 v10, v10, 0, s[14:15]
	v_add_u32_e32 v10, v10, v48
	s_nop 1
	v_mov_b32_dpp v11, v10 row_shr:2 row_mask:0xf bank_mask:0xf
	v_cndmask_b32_e64 v11, 0, v11, s[12:13]
	v_add_u32_e32 v10, v10, v11
	s_nop 1
	;; [unrolled: 4-line block ×4, first 2 shown]
	v_mov_b32_dpp v11, v10 row_bcast:15 row_mask:0xf bank_mask:0xf
	v_cndmask_b32_e64 v11, v11, 0, s[18:19]
	v_add_u32_e32 v10, v10, v11
	s_nop 1
	v_mov_b32_dpp v11, v10 row_bcast:31 row_mask:0xf bank_mask:0xf
	v_cndmask_b32_e64 v11, 0, v11, s[0:1]
	v_add_u32_e32 v10, v10, v11
	s_and_saveexec_b64 s[16:17], s[2:3]
	s_cbranch_execz .LBB3644_91
; %bb.90:
	v_lshlrev_b32_e32 v11, 2, v47
	ds_write_b32 v11, v10
.LBB3644_91:
	s_or_b64 exec, exec, s[16:17]
	v_cmp_gt_u32_e32 vcc, 4, v0
	s_waitcnt lgkmcnt(0)
	s_barrier
	s_and_saveexec_b64 s[16:17], vcc
	s_cbranch_execz .LBB3644_93
; %bb.92:
	v_lshlrev_b32_e32 v11, 2, v0
	ds_read_b32 v18, v11
	v_and_b32_e32 v19, 3, v46
	v_cmp_ne_u32_e32 vcc, 0, v19
	s_waitcnt lgkmcnt(0)
	v_mov_b32_dpp v20, v18 row_shr:1 row_mask:0xf bank_mask:0xf
	v_cndmask_b32_e32 v20, 0, v20, vcc
	v_add_u32_e32 v18, v20, v18
	v_cmp_lt_u32_e32 vcc, 1, v19
	s_nop 0
	v_mov_b32_dpp v20, v18 row_shr:2 row_mask:0xf bank_mask:0xf
	v_cndmask_b32_e32 v19, 0, v20, vcc
	v_add_u32_e32 v18, v18, v19
	ds_write_b32 v11, v18
.LBB3644_93:
	s_or_b64 exec, exec, s[16:17]
	v_cmp_gt_u32_e32 vcc, 64, v0
	v_cmp_lt_u32_e64 s[16:17], 63, v0
	s_waitcnt lgkmcnt(0)
	s_barrier
	s_waitcnt lgkmcnt(0)
                                        ; implicit-def: $vgpr49
	s_and_saveexec_b64 s[38:39], s[16:17]
	s_cbranch_execz .LBB3644_95
; %bb.94:
	v_lshl_add_u32 v11, v47, 2, -4
	ds_read_b32 v49, v11
	s_waitcnt lgkmcnt(0)
	v_add_u32_e32 v10, v49, v10
.LBB3644_95:
	s_or_b64 exec, exec, s[38:39]
	v_add_u32_e32 v11, -1, v46
	v_and_b32_e32 v18, 64, v46
	v_cmp_lt_i32_e64 s[16:17], v11, v18
	v_cndmask_b32_e64 v11, v11, v46, s[16:17]
	v_lshlrev_b32_e32 v11, 2, v11
	ds_bpermute_b32 v50, v11, v10
	v_cmp_eq_u32_e64 s[16:17], 0, v46
	s_and_saveexec_b64 s[38:39], vcc
	s_cbranch_execz .LBB3644_118
; %bb.96:
	v_mov_b32_e32 v25, 0
	ds_read_b32 v10, v25 offset:12
	s_and_saveexec_b64 s[40:41], s[16:17]
	s_cbranch_execz .LBB3644_98
; %bb.97:
	s_add_i32 s42, s6, 64
	s_mov_b32 s43, 0
	s_lshl_b64 s[42:43], s[42:43], 3
	s_add_u32 s42, s36, s42
	v_mov_b32_e32 v11, 1
	s_addc_u32 s43, s37, s43
	s_waitcnt lgkmcnt(0)
	global_store_dwordx2 v25, v[10:11], s[42:43]
.LBB3644_98:
	s_or_b64 exec, exec, s[40:41]
	v_xad_u32 v18, v46, -1, s6
	v_add_u32_e32 v24, 64, v18
	v_lshlrev_b64 v[20:21], 3, v[24:25]
	v_mov_b32_e32 v11, s37
	v_add_co_u32_e32 v20, vcc, s36, v20
	v_addc_co_u32_e32 v21, vcc, v11, v21, vcc
	global_load_dwordx2 v[22:23], v[20:21], off glc
	s_waitcnt vmcnt(0)
	v_cmp_eq_u16_sdwa s[42:43], v23, v25 src0_sel:BYTE_0 src1_sel:DWORD
	s_and_saveexec_b64 s[40:41], s[42:43]
	s_cbranch_execz .LBB3644_104
; %bb.99:
	s_mov_b32 s7, 1
	s_mov_b64 s[42:43], 0
	v_mov_b32_e32 v11, 0
.LBB3644_100:                           ; =>This Loop Header: Depth=1
                                        ;     Child Loop BB3644_101 Depth 2
	s_max_u32 s25, s7, 1
.LBB3644_101:                           ;   Parent Loop BB3644_100 Depth=1
                                        ; =>  This Inner Loop Header: Depth=2
	s_add_i32 s25, s25, -1
	s_cmp_eq_u32 s25, 0
	s_sleep 1
	s_cbranch_scc0 .LBB3644_101
; %bb.102:                              ;   in Loop: Header=BB3644_100 Depth=1
	global_load_dwordx2 v[22:23], v[20:21], off glc
	s_cmp_lt_u32 s7, 32
	s_cselect_b64 s[44:45], -1, 0
	s_cmp_lg_u64 s[44:45], 0
	s_addc_u32 s7, s7, 0
	s_waitcnt vmcnt(0)
	v_cmp_ne_u16_sdwa s[44:45], v23, v11 src0_sel:BYTE_0 src1_sel:DWORD
	s_or_b64 s[42:43], s[44:45], s[42:43]
	s_andn2_b64 exec, exec, s[42:43]
	s_cbranch_execnz .LBB3644_100
; %bb.103:
	s_or_b64 exec, exec, s[42:43]
.LBB3644_104:
	s_or_b64 exec, exec, s[40:41]
	v_and_b32_e32 v52, 63, v46
	v_mov_b32_e32 v51, 2
	v_cmp_ne_u32_e32 vcc, 63, v52
	v_cmp_eq_u16_sdwa s[40:41], v23, v51 src0_sel:BYTE_0 src1_sel:DWORD
	v_lshlrev_b64 v[20:21], v46, -1
	v_addc_co_u32_e32 v24, vcc, 0, v46, vcc
	v_and_b32_e32 v11, s41, v21
	v_lshlrev_b32_e32 v53, 2, v24
	v_or_b32_e32 v11, 0x80000000, v11
	ds_bpermute_b32 v24, v53, v22
	v_and_b32_e32 v19, s40, v20
	v_ffbl_b32_e32 v11, v11
	v_add_u32_e32 v11, 32, v11
	v_ffbl_b32_e32 v19, v19
	v_min_u32_e32 v11, v19, v11
	v_cmp_lt_u32_e32 vcc, v52, v11
	s_waitcnt lgkmcnt(0)
	v_cndmask_b32_e32 v19, 0, v24, vcc
	v_cmp_gt_u32_e32 vcc, 62, v52
	v_add_u32_e32 v19, v19, v22
	v_cndmask_b32_e64 v22, 0, 1, vcc
	v_lshlrev_b32_e32 v22, 1, v22
	v_add_lshl_u32 v54, v22, v46, 2
	ds_bpermute_b32 v22, v54, v19
	v_add_u32_e32 v55, 2, v52
	v_cmp_le_u32_e32 vcc, v55, v11
	v_add_u32_e32 v57, 4, v52
	v_add_u32_e32 v59, 8, v52
	s_waitcnt lgkmcnt(0)
	v_cndmask_b32_e32 v22, 0, v22, vcc
	v_cmp_gt_u32_e32 vcc, 60, v52
	v_add_u32_e32 v19, v19, v22
	v_cndmask_b32_e64 v22, 0, 1, vcc
	v_lshlrev_b32_e32 v22, 2, v22
	v_add_lshl_u32 v56, v22, v46, 2
	ds_bpermute_b32 v22, v56, v19
	v_cmp_le_u32_e32 vcc, v57, v11
	v_add_u32_e32 v61, 16, v52
	v_add_u32_e32 v63, 32, v52
	s_waitcnt lgkmcnt(0)
	v_cndmask_b32_e32 v22, 0, v22, vcc
	v_cmp_gt_u32_e32 vcc, 56, v52
	v_add_u32_e32 v19, v19, v22
	v_cndmask_b32_e64 v22, 0, 1, vcc
	v_lshlrev_b32_e32 v22, 3, v22
	v_add_lshl_u32 v58, v22, v46, 2
	ds_bpermute_b32 v22, v58, v19
	v_cmp_le_u32_e32 vcc, v59, v11
	s_waitcnt lgkmcnt(0)
	v_cndmask_b32_e32 v22, 0, v22, vcc
	v_cmp_gt_u32_e32 vcc, 48, v52
	v_add_u32_e32 v19, v19, v22
	v_cndmask_b32_e64 v22, 0, 1, vcc
	v_lshlrev_b32_e32 v22, 4, v22
	v_add_lshl_u32 v60, v22, v46, 2
	ds_bpermute_b32 v22, v60, v19
	v_cmp_le_u32_e32 vcc, v61, v11
	;; [unrolled: 9-line block ×3, first 2 shown]
	s_waitcnt lgkmcnt(0)
	v_cndmask_b32_e32 v11, 0, v22, vcc
	v_add_u32_e32 v22, v19, v11
	v_mov_b32_e32 v19, 0
	s_branch .LBB3644_106
.LBB3644_105:                           ;   in Loop: Header=BB3644_106 Depth=1
	s_or_b64 exec, exec, s[40:41]
	v_cmp_eq_u16_sdwa s[40:41], v23, v51 src0_sel:BYTE_0 src1_sel:DWORD
	v_and_b32_e32 v24, s41, v21
	v_or_b32_e32 v24, 0x80000000, v24
	ds_bpermute_b32 v64, v53, v22
	v_and_b32_e32 v25, s40, v20
	v_ffbl_b32_e32 v24, v24
	v_add_u32_e32 v24, 32, v24
	v_ffbl_b32_e32 v25, v25
	v_min_u32_e32 v24, v25, v24
	v_cmp_lt_u32_e32 vcc, v52, v24
	s_waitcnt lgkmcnt(0)
	v_cndmask_b32_e32 v25, 0, v64, vcc
	v_add_u32_e32 v22, v25, v22
	ds_bpermute_b32 v25, v54, v22
	v_cmp_le_u32_e32 vcc, v55, v24
	v_subrev_u32_e32 v18, 64, v18
	s_waitcnt lgkmcnt(0)
	v_cndmask_b32_e32 v25, 0, v25, vcc
	v_add_u32_e32 v22, v22, v25
	ds_bpermute_b32 v25, v56, v22
	v_cmp_le_u32_e32 vcc, v57, v24
	s_waitcnt lgkmcnt(0)
	v_cndmask_b32_e32 v25, 0, v25, vcc
	v_add_u32_e32 v22, v22, v25
	ds_bpermute_b32 v25, v58, v22
	v_cmp_le_u32_e32 vcc, v59, v24
	;; [unrolled: 5-line block ×4, first 2 shown]
	s_waitcnt lgkmcnt(0)
	v_cndmask_b32_e32 v24, 0, v25, vcc
	v_add3_u32 v22, v24, v11, v22
.LBB3644_106:                           ; =>This Loop Header: Depth=1
                                        ;     Child Loop BB3644_109 Depth 2
                                        ;       Child Loop BB3644_110 Depth 3
	v_cmp_ne_u16_sdwa s[40:41], v23, v51 src0_sel:BYTE_0 src1_sel:DWORD
	v_cndmask_b32_e64 v11, 0, 1, s[40:41]
	;;#ASMSTART
	;;#ASMEND
	v_cmp_ne_u32_e32 vcc, 0, v11
	s_cmp_lg_u64 vcc, exec
	v_mov_b32_e32 v11, v22
	s_cbranch_scc1 .LBB3644_113
; %bb.107:                              ;   in Loop: Header=BB3644_106 Depth=1
	v_lshlrev_b64 v[22:23], 3, v[18:19]
	v_mov_b32_e32 v25, s37
	v_add_co_u32_e32 v24, vcc, s36, v22
	v_addc_co_u32_e32 v25, vcc, v25, v23, vcc
	global_load_dwordx2 v[22:23], v[24:25], off glc
	s_waitcnt vmcnt(0)
	v_cmp_eq_u16_sdwa s[42:43], v23, v19 src0_sel:BYTE_0 src1_sel:DWORD
	s_and_saveexec_b64 s[40:41], s[42:43]
	s_cbranch_execz .LBB3644_105
; %bb.108:                              ;   in Loop: Header=BB3644_106 Depth=1
	s_mov_b32 s7, 1
	s_mov_b64 s[42:43], 0
.LBB3644_109:                           ;   Parent Loop BB3644_106 Depth=1
                                        ; =>  This Loop Header: Depth=2
                                        ;       Child Loop BB3644_110 Depth 3
	s_max_u32 s25, s7, 1
.LBB3644_110:                           ;   Parent Loop BB3644_106 Depth=1
                                        ;     Parent Loop BB3644_109 Depth=2
                                        ; =>    This Inner Loop Header: Depth=3
	s_add_i32 s25, s25, -1
	s_cmp_eq_u32 s25, 0
	s_sleep 1
	s_cbranch_scc0 .LBB3644_110
; %bb.111:                              ;   in Loop: Header=BB3644_109 Depth=2
	global_load_dwordx2 v[22:23], v[24:25], off glc
	s_cmp_lt_u32 s7, 32
	s_cselect_b64 s[44:45], -1, 0
	s_cmp_lg_u64 s[44:45], 0
	s_addc_u32 s7, s7, 0
	s_waitcnt vmcnt(0)
	v_cmp_ne_u16_sdwa s[44:45], v23, v19 src0_sel:BYTE_0 src1_sel:DWORD
	s_or_b64 s[42:43], s[44:45], s[42:43]
	s_andn2_b64 exec, exec, s[42:43]
	s_cbranch_execnz .LBB3644_109
; %bb.112:                              ;   in Loop: Header=BB3644_106 Depth=1
	s_or_b64 exec, exec, s[42:43]
	s_branch .LBB3644_105
.LBB3644_113:                           ;   in Loop: Header=BB3644_106 Depth=1
                                        ; implicit-def: $vgpr22
                                        ; implicit-def: $vgpr23
	s_cbranch_execz .LBB3644_106
; %bb.114:
	s_and_saveexec_b64 s[40:41], s[16:17]
	s_cbranch_execz .LBB3644_116
; %bb.115:
	s_add_i32 s6, s6, 64
	s_mov_b32 s7, 0
	s_lshl_b64 s[6:7], s[6:7], 3
	s_add_u32 s6, s36, s6
	v_add_u32_e32 v18, v11, v10
	v_mov_b32_e32 v19, 2
	s_addc_u32 s7, s37, s7
	v_mov_b32_e32 v20, 0
	global_store_dwordx2 v20, v[18:19], s[6:7]
	ds_write_b64 v20, v[10:11] offset:10240
.LBB3644_116:
	s_or_b64 exec, exec, s[40:41]
	v_cmp_eq_u32_e32 vcc, 0, v0
	s_and_b64 exec, exec, vcc
	s_cbranch_execz .LBB3644_118
; %bb.117:
	v_mov_b32_e32 v10, 0
	ds_write_b32 v10, v11 offset:12
.LBB3644_118:
	s_or_b64 exec, exec, s[38:39]
	v_mov_b32_e32 v10, 0
	s_waitcnt lgkmcnt(0)
	s_barrier
	ds_read_b32 v19, v10 offset:12
	s_waitcnt lgkmcnt(0)
	s_barrier
	ds_read_b64 v[10:11], v10 offset:10240
	v_cndmask_b32_e64 v18, v50, v49, s[16:17]
	v_cmp_ne_u32_e32 vcc, 0, v0
	v_cndmask_b32_e32 v18, 0, v18, vcc
	v_add_u32_e32 v22, v19, v18
	s_load_dwordx2 s[4:5], s[4:5], 0x38
	s_branch .LBB3644_129
.LBB3644_119:
                                        ; implicit-def: $vgpr11
                                        ; implicit-def: $vgpr22
	s_load_dwordx2 s[4:5], s[4:5], 0x38
	s_cbranch_execz .LBB3644_129
; %bb.120:
	s_waitcnt lgkmcnt(0)
	v_mov_b32_dpp v10, v48 row_shr:1 row_mask:0xf bank_mask:0xf
	v_cndmask_b32_e64 v10, v10, 0, s[14:15]
	v_add_u32_e32 v10, v10, v48
	s_nop 1
	v_mov_b32_dpp v11, v10 row_shr:2 row_mask:0xf bank_mask:0xf
	v_cndmask_b32_e64 v11, 0, v11, s[12:13]
	v_add_u32_e32 v10, v10, v11
	s_nop 1
	;; [unrolled: 4-line block ×4, first 2 shown]
	v_mov_b32_dpp v11, v10 row_bcast:15 row_mask:0xf bank_mask:0xf
	v_cndmask_b32_e64 v11, v11, 0, s[18:19]
	v_add_u32_e32 v10, v10, v11
	s_nop 1
	v_mov_b32_dpp v11, v10 row_bcast:31 row_mask:0xf bank_mask:0xf
	v_cndmask_b32_e64 v11, 0, v11, s[0:1]
	v_add_u32_e32 v10, v10, v11
	s_and_saveexec_b64 s[0:1], s[2:3]
	s_cbranch_execz .LBB3644_122
; %bb.121:
	v_lshlrev_b32_e32 v11, 2, v47
	ds_write_b32 v11, v10
.LBB3644_122:
	s_or_b64 exec, exec, s[0:1]
	v_cmp_gt_u32_e32 vcc, 4, v0
	s_waitcnt lgkmcnt(0)
	s_barrier
	s_and_saveexec_b64 s[0:1], vcc
	s_cbranch_execz .LBB3644_124
; %bb.123:
	v_lshlrev_b32_e32 v11, 2, v0
	ds_read_b32 v18, v11
	v_and_b32_e32 v19, 3, v46
	v_cmp_ne_u32_e32 vcc, 0, v19
	s_waitcnt lgkmcnt(0)
	v_mov_b32_dpp v20, v18 row_shr:1 row_mask:0xf bank_mask:0xf
	v_cndmask_b32_e32 v20, 0, v20, vcc
	v_add_u32_e32 v18, v20, v18
	v_cmp_lt_u32_e32 vcc, 1, v19
	s_nop 0
	v_mov_b32_dpp v20, v18 row_shr:2 row_mask:0xf bank_mask:0xf
	v_cndmask_b32_e32 v19, 0, v20, vcc
	v_add_u32_e32 v18, v18, v19
	ds_write_b32 v11, v18
.LBB3644_124:
	s_or_b64 exec, exec, s[0:1]
	v_cmp_lt_u32_e32 vcc, 63, v0
	v_mov_b32_e32 v11, 0
	v_mov_b32_e32 v18, 0
	s_waitcnt lgkmcnt(0)
	s_barrier
	s_and_saveexec_b64 s[0:1], vcc
	s_cbranch_execz .LBB3644_126
; %bb.125:
	v_lshl_add_u32 v18, v47, 2, -4
	ds_read_b32 v18, v18
.LBB3644_126:
	s_or_b64 exec, exec, s[0:1]
	v_add_u32_e32 v19, -1, v46
	v_and_b32_e32 v20, 64, v46
	v_cmp_lt_i32_e32 vcc, v19, v20
	v_cndmask_b32_e32 v19, v19, v46, vcc
	s_waitcnt lgkmcnt(0)
	v_add_u32_e32 v10, v18, v10
	v_lshlrev_b32_e32 v19, 2, v19
	ds_bpermute_b32 v19, v19, v10
	ds_read_b32 v10, v11 offset:12
	v_cmp_eq_u32_e32 vcc, 0, v0
	s_and_saveexec_b64 s[0:1], vcc
	s_cbranch_execz .LBB3644_128
; %bb.127:
	v_mov_b32_e32 v20, 0
	v_mov_b32_e32 v11, 2
	s_waitcnt lgkmcnt(0)
	global_store_dwordx2 v20, v[10:11], s[36:37] offset:512
.LBB3644_128:
	s_or_b64 exec, exec, s[0:1]
	v_cmp_eq_u32_e64 s[0:1], 0, v46
	s_waitcnt lgkmcnt(1)
	v_cndmask_b32_e64 v18, v19, v18, s[0:1]
	v_mov_b32_e32 v11, 0
	v_cndmask_b32_e64 v22, v18, 0, vcc
	s_waitcnt lgkmcnt(0)
	s_barrier
.LBB3644_129:
	v_add_u32_sdwa v24, v22, v16 dst_sel:DWORD dst_unused:UNUSED_PAD src0_sel:DWORD src1_sel:BYTE_0
	s_waitcnt lgkmcnt(0)
	v_add_u32_e32 v26, v10, v26
	v_sub_u32_e32 v22, v22, v11
	v_and_b32_e32 v51, 1, v16
	v_sub_u32_e32 v50, v26, v22
	v_cmp_eq_u32_e32 vcc, 1, v51
	v_cndmask_b32_e32 v22, v50, v22, vcc
	v_lshlrev_b32_e32 v22, 1, v22
	v_lshrrev_b32_e32 v23, 8, v16
	ds_write_b16 v22, v6
	v_sub_u32_e32 v22, v24, v11
	v_add_u32_sdwa v25, v24, v16 dst_sel:DWORD dst_unused:UNUSED_PAD src0_sel:DWORD src1_sel:BYTE_1
	v_sub_u32_e32 v24, v26, v22
	v_and_b32_e32 v23, 1, v23
	v_add_u32_e32 v24, 1, v24
	v_cmp_eq_u32_e32 vcc, 1, v23
	v_cndmask_b32_e32 v22, v24, v22, vcc
	v_lshlrev_b32_e32 v22, 1, v22
	ds_write_b16_d16_hi v22, v6
	v_sub_u32_e32 v6, v25, v11
	v_mov_b32_e32 v23, 1
	v_sub_u32_e32 v22, v26, v6
	v_and_b32_sdwa v16, v23, v16 dst_sel:DWORD dst_unused:UNUSED_PAD src0_sel:DWORD src1_sel:WORD_1
	v_add_u32_e32 v22, 2, v22
	v_cmp_eq_u32_e32 vcc, 1, v16
	v_cndmask_b32_e32 v6, v22, v6, vcc
	v_add_u32_e32 v45, v25, v45
	v_lshlrev_b32_e32 v6, 1, v6
	ds_write_b16 v6, v7
	v_sub_u32_e32 v6, v45, v11
	v_sub_u32_e32 v16, v26, v6
	v_and_b32_e32 v22, 1, v33
	v_add_u32_e32 v16, 3, v16
	v_cmp_eq_u32_e32 vcc, 1, v22
	v_cndmask_b32_e32 v6, v16, v6, vcc
	v_add_u32_e32 v46, v45, v33
	v_lshlrev_b32_e32 v6, 1, v6
	ds_write_b16_d16_hi v6, v7
	v_sub_u32_e32 v6, v46, v11
	v_sub_u32_e32 v7, v26, v6
	v_and_b32_e32 v16, 1, v17
	v_add_u32_e32 v7, 4, v7
	v_cmp_eq_u32_e32 vcc, 1, v16
	v_cndmask_b32_e32 v6, v7, v6, vcc
	v_add_u32_e32 v42, v46, v42
	v_lshlrev_b32_e32 v6, 1, v6
	v_lshrrev_b32_e32 v21, 8, v17
	ds_write_b16 v6, v8
	v_sub_u32_e32 v6, v42, v11
	v_sub_u32_e32 v7, v26, v6
	v_and_b32_e32 v16, 1, v21
	v_add_u32_e32 v7, 5, v7
	v_cmp_eq_u32_e32 vcc, 1, v16
	v_cndmask_b32_e32 v6, v7, v6, vcc
	v_add_u32_e32 v43, v42, v43
	v_lshlrev_b32_e32 v6, 1, v6
	ds_write_b16_d16_hi v6, v8
	v_sub_u32_e32 v6, v43, v11
	v_sub_u32_e32 v7, v26, v6
	v_and_b32_sdwa v8, v23, v17 dst_sel:DWORD dst_unused:UNUSED_PAD src0_sel:DWORD src1_sel:WORD_1
	v_add_u32_e32 v7, 6, v7
	v_cmp_eq_u32_e32 vcc, 1, v8
	v_cndmask_b32_e32 v6, v7, v6, vcc
	v_add_u32_e32 v44, v43, v44
	v_lshlrev_b32_e32 v6, 1, v6
	ds_write_b16 v6, v9
	v_sub_u32_e32 v6, v44, v11
	v_sub_u32_e32 v7, v26, v6
	v_and_b32_e32 v8, 1, v32
	v_add_u32_e32 v7, 7, v7
	v_cmp_eq_u32_e32 vcc, 1, v8
	v_cndmask_b32_e32 v6, v7, v6, vcc
	v_add_u32_e32 v47, v44, v32
	v_lshlrev_b32_e32 v6, 1, v6
	ds_write_b16_d16_hi v6, v9
	v_sub_u32_e32 v6, v47, v11
	v_sub_u32_e32 v7, v26, v6
	v_and_b32_e32 v8, 1, v14
	v_add_u32_e32 v7, 8, v7
	v_cmp_eq_u32_e32 vcc, 1, v8
	v_cndmask_b32_e32 v6, v7, v6, vcc
	v_add_u32_e32 v39, v47, v39
	v_lshlrev_b32_e32 v6, 1, v6
	v_lshrrev_b32_e32 v20, 8, v14
	ds_write_b16 v6, v2
	v_sub_u32_e32 v6, v39, v11
	v_sub_u32_e32 v7, v26, v6
	v_and_b32_e32 v8, 1, v20
	v_add_u32_e32 v7, 9, v7
	v_cmp_eq_u32_e32 vcc, 1, v8
	v_cndmask_b32_e32 v6, v7, v6, vcc
	v_add_u32_e32 v40, v39, v40
	v_lshlrev_b32_e32 v6, 1, v6
	ds_write_b16_d16_hi v6, v2
	v_sub_u32_e32 v2, v40, v11
	;; [unrolled: 37-line block ×4, first 2 shown]
	v_sub_u32_e32 v3, v26, v2
	v_and_b32_sdwa v4, v23, v28 dst_sel:DWORD dst_unused:UNUSED_PAD src0_sel:DWORD src1_sel:WORD_1
	v_add_u32_e32 v3, 18, v3
	v_cmp_eq_u32_e32 vcc, 1, v4
	v_cndmask_b32_e32 v2, v3, v2, vcc
	v_lshlrev_b32_e32 v2, 1, v2
	ds_write_b16 v2, v13
	v_sub_u32_e32 v2, v29, v11
	v_add_u32_e32 v2, v35, v2
	v_sub_u32_e32 v3, v26, v2
	v_and_b32_e32 v4, 1, v27
	v_add_u32_e32 v3, 19, v3
	v_cmp_eq_u32_e32 vcc, 1, v4
	v_cndmask_b32_e32 v2, v3, v2, vcc
	v_lshlrev_b32_e32 v2, 1, v2
	ds_write_b16_d16_hi v2, v13
	s_waitcnt lgkmcnt(0)
	s_barrier
	ds_read_u16 v47, v1
	ds_read_u16 v45, v1 offset:512
	ds_read_u16 v43, v1 offset:1024
	;; [unrolled: 1-line block ×19, first 2 shown]
	s_add_u32 s0, s26, s24
	s_addc_u32 s1, s27, 0
	v_mov_b32_e32 v2, s31
	v_add_co_u32_e32 v1, vcc, s30, v11
	s_sub_u32 s0, s28, s0
	v_addc_co_u32_e32 v4, vcc, 0, v2, vcc
	s_subb_u32 s1, s29, s1
	v_mov_b32_e32 v2, s1
	v_add_co_u32_e32 v3, vcc, s0, v10
	v_addc_co_u32_e32 v2, vcc, 0, v2, vcc
	v_add_co_u32_e64 v7, s[0:1], v3, v1
	v_or_b32_e32 v46, 0x100, v0
	v_or_b32_e32 v44, 0x200, v0
	;; [unrolled: 1-line block ×19, first 2 shown]
	s_andn2_b64 vcc, exec, s[34:35]
	v_addc_co_u32_e64 v8, s[0:1], v2, v4, s[0:1]
	s_cbranch_vccnz .LBB3644_211
; %bb.130:
	v_cmp_ge_u32_e32 vcc, v0, v10
                                        ; implicit-def: $vgpr2_vgpr3
	s_and_saveexec_b64 s[0:1], vcc
	s_xor_b64 s[0:1], exec, s[0:1]
; %bb.131:
	v_not_b32_e32 v2, v0
	v_ashrrev_i32_e32 v3, 31, v2
	v_add_co_u32_e32 v2, vcc, v7, v2
	v_addc_co_u32_e32 v3, vcc, v8, v3, vcc
; %bb.132:
	s_andn2_saveexec_b64 s[0:1], s[0:1]
; %bb.133:
	v_add_co_u32_e32 v2, vcc, v1, v0
	v_addc_co_u32_e32 v3, vcc, 0, v4, vcc
; %bb.134:
	s_or_b64 exec, exec, s[0:1]
	v_lshlrev_b64 v[2:3], 1, v[2:3]
	v_mov_b32_e32 v11, s5
	v_add_co_u32_e32 v2, vcc, s4, v2
	v_addc_co_u32_e32 v3, vcc, v11, v3, vcc
	v_cmp_ge_u32_e32 vcc, v46, v10
	s_waitcnt lgkmcnt(14)
	global_store_short v[2:3], v47, off
                                        ; implicit-def: $vgpr2_vgpr3
	s_and_saveexec_b64 s[0:1], vcc
	s_xor_b64 s[0:1], exec, s[0:1]
; %bb.135:
	v_xor_b32_e32 v2, 0xfffffeff, v0
	v_ashrrev_i32_e32 v3, 31, v2
	v_add_co_u32_e32 v2, vcc, v7, v2
	v_addc_co_u32_e32 v3, vcc, v8, v3, vcc
; %bb.136:
	s_andn2_saveexec_b64 s[0:1], s[0:1]
; %bb.137:
	v_add_co_u32_e32 v2, vcc, v1, v46
	v_addc_co_u32_e32 v3, vcc, 0, v4, vcc
; %bb.138:
	s_or_b64 exec, exec, s[0:1]
	v_lshlrev_b64 v[2:3], 1, v[2:3]
	v_mov_b32_e32 v11, s5
	v_add_co_u32_e32 v2, vcc, s4, v2
	v_addc_co_u32_e32 v3, vcc, v11, v3, vcc
	v_cmp_ge_u32_e32 vcc, v44, v10
	global_store_short v[2:3], v45, off
                                        ; implicit-def: $vgpr2_vgpr3
	s_and_saveexec_b64 s[0:1], vcc
	s_xor_b64 s[0:1], exec, s[0:1]
; %bb.139:
	v_xor_b32_e32 v2, 0xfffffdff, v0
	v_ashrrev_i32_e32 v3, 31, v2
	v_add_co_u32_e32 v2, vcc, v7, v2
	v_addc_co_u32_e32 v3, vcc, v8, v3, vcc
; %bb.140:
	s_andn2_saveexec_b64 s[0:1], s[0:1]
; %bb.141:
	v_add_co_u32_e32 v2, vcc, v1, v44
	v_addc_co_u32_e32 v3, vcc, 0, v4, vcc
; %bb.142:
	s_or_b64 exec, exec, s[0:1]
	v_lshlrev_b64 v[2:3], 1, v[2:3]
	v_mov_b32_e32 v11, s5
	v_add_co_u32_e32 v2, vcc, s4, v2
	v_addc_co_u32_e32 v3, vcc, v11, v3, vcc
	v_cmp_ge_u32_e32 vcc, v42, v10
	;; [unrolled: 21-line block ×6, first 2 shown]
	s_waitcnt lgkmcnt(13)
	global_store_short v[2:3], v35, off
                                        ; implicit-def: $vgpr2_vgpr3
	s_and_saveexec_b64 s[0:1], vcc
	s_xor_b64 s[0:1], exec, s[0:1]
; %bb.159:
	v_xor_b32_e32 v2, 0xfffff8ff, v0
	v_ashrrev_i32_e32 v3, 31, v2
	v_add_co_u32_e32 v2, vcc, v7, v2
	v_addc_co_u32_e32 v3, vcc, v8, v3, vcc
; %bb.160:
	s_andn2_saveexec_b64 s[0:1], s[0:1]
; %bb.161:
	v_add_co_u32_e32 v2, vcc, v1, v34
	v_addc_co_u32_e32 v3, vcc, 0, v4, vcc
; %bb.162:
	s_or_b64 exec, exec, s[0:1]
	v_lshlrev_b64 v[2:3], 1, v[2:3]
	v_mov_b32_e32 v11, s5
	v_add_co_u32_e32 v2, vcc, s4, v2
	v_addc_co_u32_e32 v3, vcc, v11, v3, vcc
	v_cmp_ge_u32_e32 vcc, v32, v10
	s_waitcnt lgkmcnt(12)
	global_store_short v[2:3], v33, off
                                        ; implicit-def: $vgpr2_vgpr3
	s_and_saveexec_b64 s[0:1], vcc
	s_xor_b64 s[0:1], exec, s[0:1]
; %bb.163:
	v_xor_b32_e32 v2, 0xfffff7ff, v0
	v_ashrrev_i32_e32 v3, 31, v2
	v_add_co_u32_e32 v2, vcc, v7, v2
	v_addc_co_u32_e32 v3, vcc, v8, v3, vcc
; %bb.164:
	s_andn2_saveexec_b64 s[0:1], s[0:1]
; %bb.165:
	v_add_co_u32_e32 v2, vcc, v1, v32
	v_addc_co_u32_e32 v3, vcc, 0, v4, vcc
; %bb.166:
	s_or_b64 exec, exec, s[0:1]
	v_lshlrev_b64 v[2:3], 1, v[2:3]
	v_mov_b32_e32 v11, s5
	v_add_co_u32_e32 v2, vcc, s4, v2
	v_addc_co_u32_e32 v3, vcc, v11, v3, vcc
	v_cmp_ge_u32_e32 vcc, v30, v10
	;; [unrolled: 22-line block ×12, first 2 shown]
	s_waitcnt lgkmcnt(1)
	global_store_short v[2:3], v9, off
                                        ; implicit-def: $vgpr2_vgpr3
	s_and_saveexec_b64 s[0:1], vcc
	s_xor_b64 s[0:1], exec, s[0:1]
; %bb.207:
	v_xor_b32_e32 v2, 0xffffecff, v0
	v_ashrrev_i32_e32 v3, 31, v2
	v_add_co_u32_e32 v2, vcc, v7, v2
	v_addc_co_u32_e32 v3, vcc, v8, v3, vcc
; %bb.208:
	s_andn2_saveexec_b64 s[0:1], s[0:1]
; %bb.209:
	v_add_co_u32_e32 v2, vcc, v1, v6
	v_addc_co_u32_e32 v3, vcc, 0, v4, vcc
; %bb.210:
	s_or_b64 exec, exec, s[0:1]
	s_mov_b64 s[0:1], -1
	s_branch .LBB3644_333
.LBB3644_211:
	s_mov_b64 s[0:1], 0
                                        ; implicit-def: $vgpr2_vgpr3
	s_cbranch_execz .LBB3644_333
; %bb.212:
	v_cmp_gt_u32_e32 vcc, s33, v0
	s_and_saveexec_b64 s[2:3], vcc
	s_cbranch_execz .LBB3644_268
; %bb.213:
	v_cmp_ge_u32_e32 vcc, v0, v10
                                        ; implicit-def: $vgpr2_vgpr3
	s_and_saveexec_b64 s[6:7], vcc
	s_xor_b64 s[6:7], exec, s[6:7]
; %bb.214:
	v_not_b32_e32 v2, v0
	v_ashrrev_i32_e32 v3, 31, v2
	v_add_co_u32_e32 v2, vcc, v7, v2
	v_addc_co_u32_e32 v3, vcc, v8, v3, vcc
; %bb.215:
	s_andn2_saveexec_b64 s[6:7], s[6:7]
; %bb.216:
	v_add_co_u32_e32 v2, vcc, v1, v0
	v_addc_co_u32_e32 v3, vcc, 0, v4, vcc
; %bb.217:
	s_or_b64 exec, exec, s[6:7]
	v_lshlrev_b64 v[2:3], 1, v[2:3]
	v_mov_b32_e32 v11, s5
	v_add_co_u32_e32 v2, vcc, s4, v2
	v_addc_co_u32_e32 v3, vcc, v11, v3, vcc
	s_waitcnt lgkmcnt(14)
	global_store_short v[2:3], v47, off
	s_or_b64 exec, exec, s[2:3]
	v_cmp_gt_u32_e32 vcc, s33, v46
	s_and_saveexec_b64 s[2:3], vcc
	s_cbranch_execnz .LBB3644_269
.LBB3644_218:
	s_or_b64 exec, exec, s[2:3]
	v_cmp_gt_u32_e32 vcc, s33, v44
	s_and_saveexec_b64 s[2:3], vcc
	s_cbranch_execz .LBB3644_274
.LBB3644_219:
	v_cmp_ge_u32_e32 vcc, v44, v10
                                        ; implicit-def: $vgpr2_vgpr3
	s_and_saveexec_b64 s[6:7], vcc
	s_xor_b64 s[6:7], exec, s[6:7]
; %bb.220:
	v_xor_b32_e32 v2, 0xfffffdff, v0
	v_ashrrev_i32_e32 v3, 31, v2
	v_add_co_u32_e32 v2, vcc, v7, v2
	v_addc_co_u32_e32 v3, vcc, v8, v3, vcc
                                        ; implicit-def: $vgpr44
; %bb.221:
	s_andn2_saveexec_b64 s[6:7], s[6:7]
; %bb.222:
	v_add_co_u32_e32 v2, vcc, v1, v44
	v_addc_co_u32_e32 v3, vcc, 0, v4, vcc
; %bb.223:
	s_or_b64 exec, exec, s[6:7]
	v_lshlrev_b64 v[2:3], 1, v[2:3]
	v_mov_b32_e32 v11, s5
	v_add_co_u32_e32 v2, vcc, s4, v2
	v_addc_co_u32_e32 v3, vcc, v11, v3, vcc
	s_waitcnt lgkmcnt(14)
	global_store_short v[2:3], v43, off
	s_or_b64 exec, exec, s[2:3]
	v_cmp_gt_u32_e32 vcc, s33, v42
	s_and_saveexec_b64 s[2:3], vcc
	s_cbranch_execnz .LBB3644_275
.LBB3644_224:
	s_or_b64 exec, exec, s[2:3]
	v_cmp_gt_u32_e32 vcc, s33, v40
	s_and_saveexec_b64 s[2:3], vcc
	s_cbranch_execz .LBB3644_280
.LBB3644_225:
	v_cmp_ge_u32_e32 vcc, v40, v10
                                        ; implicit-def: $vgpr2_vgpr3
	s_and_saveexec_b64 s[6:7], vcc
	s_xor_b64 s[6:7], exec, s[6:7]
; %bb.226:
	v_xor_b32_e32 v2, 0xfffffbff, v0
	v_ashrrev_i32_e32 v3, 31, v2
	v_add_co_u32_e32 v2, vcc, v7, v2
	v_addc_co_u32_e32 v3, vcc, v8, v3, vcc
                                        ; implicit-def: $vgpr40
; %bb.227:
	s_andn2_saveexec_b64 s[6:7], s[6:7]
; %bb.228:
	v_add_co_u32_e32 v2, vcc, v1, v40
	v_addc_co_u32_e32 v3, vcc, 0, v4, vcc
; %bb.229:
	s_or_b64 exec, exec, s[6:7]
	v_lshlrev_b64 v[2:3], 1, v[2:3]
	v_mov_b32_e32 v11, s5
	v_add_co_u32_e32 v2, vcc, s4, v2
	v_addc_co_u32_e32 v3, vcc, v11, v3, vcc
	s_waitcnt lgkmcnt(14)
	global_store_short v[2:3], v39, off
	s_or_b64 exec, exec, s[2:3]
	v_cmp_gt_u32_e32 vcc, s33, v38
	s_and_saveexec_b64 s[2:3], vcc
	s_cbranch_execnz .LBB3644_281
.LBB3644_230:
	s_or_b64 exec, exec, s[2:3]
	v_cmp_gt_u32_e32 vcc, s33, v36
	s_and_saveexec_b64 s[2:3], vcc
	s_cbranch_execz .LBB3644_286
.LBB3644_231:
	v_cmp_ge_u32_e32 vcc, v36, v10
                                        ; implicit-def: $vgpr2_vgpr3
	s_and_saveexec_b64 s[6:7], vcc
	s_xor_b64 s[6:7], exec, s[6:7]
; %bb.232:
	v_xor_b32_e32 v2, 0xfffff9ff, v0
	v_ashrrev_i32_e32 v3, 31, v2
	v_add_co_u32_e32 v2, vcc, v7, v2
	v_addc_co_u32_e32 v3, vcc, v8, v3, vcc
                                        ; implicit-def: $vgpr36
; %bb.233:
	s_andn2_saveexec_b64 s[6:7], s[6:7]
; %bb.234:
	v_add_co_u32_e32 v2, vcc, v1, v36
	v_addc_co_u32_e32 v3, vcc, 0, v4, vcc
; %bb.235:
	s_or_b64 exec, exec, s[6:7]
	v_lshlrev_b64 v[2:3], 1, v[2:3]
	v_mov_b32_e32 v11, s5
	v_add_co_u32_e32 v2, vcc, s4, v2
	v_addc_co_u32_e32 v3, vcc, v11, v3, vcc
	s_waitcnt lgkmcnt(13)
	global_store_short v[2:3], v35, off
	s_or_b64 exec, exec, s[2:3]
	v_cmp_gt_u32_e32 vcc, s33, v34
	s_and_saveexec_b64 s[2:3], vcc
	s_cbranch_execnz .LBB3644_287
.LBB3644_236:
	s_or_b64 exec, exec, s[2:3]
	v_cmp_gt_u32_e32 vcc, s33, v32
	s_and_saveexec_b64 s[2:3], vcc
	s_cbranch_execz .LBB3644_292
.LBB3644_237:
	v_cmp_ge_u32_e32 vcc, v32, v10
                                        ; implicit-def: $vgpr2_vgpr3
	s_and_saveexec_b64 s[6:7], vcc
	s_xor_b64 s[6:7], exec, s[6:7]
; %bb.238:
	v_xor_b32_e32 v2, 0xfffff7ff, v0
	v_ashrrev_i32_e32 v3, 31, v2
	v_add_co_u32_e32 v2, vcc, v7, v2
	v_addc_co_u32_e32 v3, vcc, v8, v3, vcc
                                        ; implicit-def: $vgpr32
; %bb.239:
	s_andn2_saveexec_b64 s[6:7], s[6:7]
; %bb.240:
	v_add_co_u32_e32 v2, vcc, v1, v32
	v_addc_co_u32_e32 v3, vcc, 0, v4, vcc
; %bb.241:
	s_or_b64 exec, exec, s[6:7]
	v_lshlrev_b64 v[2:3], 1, v[2:3]
	v_mov_b32_e32 v11, s5
	v_add_co_u32_e32 v2, vcc, s4, v2
	v_addc_co_u32_e32 v3, vcc, v11, v3, vcc
	s_waitcnt lgkmcnt(11)
	global_store_short v[2:3], v31, off
	s_or_b64 exec, exec, s[2:3]
	v_cmp_gt_u32_e32 vcc, s33, v30
	s_and_saveexec_b64 s[2:3], vcc
	s_cbranch_execnz .LBB3644_293
.LBB3644_242:
	s_or_b64 exec, exec, s[2:3]
	v_cmp_gt_u32_e32 vcc, s33, v28
	s_and_saveexec_b64 s[2:3], vcc
	s_cbranch_execz .LBB3644_298
.LBB3644_243:
	v_cmp_ge_u32_e32 vcc, v28, v10
                                        ; implicit-def: $vgpr2_vgpr3
	s_and_saveexec_b64 s[6:7], vcc
	s_xor_b64 s[6:7], exec, s[6:7]
; %bb.244:
	v_xor_b32_e32 v2, 0xfffff5ff, v0
	v_ashrrev_i32_e32 v3, 31, v2
	v_add_co_u32_e32 v2, vcc, v7, v2
	v_addc_co_u32_e32 v3, vcc, v8, v3, vcc
                                        ; implicit-def: $vgpr28
; %bb.245:
	s_andn2_saveexec_b64 s[6:7], s[6:7]
; %bb.246:
	v_add_co_u32_e32 v2, vcc, v1, v28
	v_addc_co_u32_e32 v3, vcc, 0, v4, vcc
; %bb.247:
	s_or_b64 exec, exec, s[6:7]
	v_lshlrev_b64 v[2:3], 1, v[2:3]
	v_mov_b32_e32 v11, s5
	v_add_co_u32_e32 v2, vcc, s4, v2
	v_addc_co_u32_e32 v3, vcc, v11, v3, vcc
	s_waitcnt lgkmcnt(9)
	global_store_short v[2:3], v27, off
	s_or_b64 exec, exec, s[2:3]
	v_cmp_gt_u32_e32 vcc, s33, v26
	s_and_saveexec_b64 s[2:3], vcc
	s_cbranch_execnz .LBB3644_299
.LBB3644_248:
	s_or_b64 exec, exec, s[2:3]
	v_cmp_gt_u32_e32 vcc, s33, v24
	s_and_saveexec_b64 s[2:3], vcc
	s_cbranch_execz .LBB3644_304
.LBB3644_249:
	v_cmp_ge_u32_e32 vcc, v24, v10
                                        ; implicit-def: $vgpr2_vgpr3
	s_and_saveexec_b64 s[6:7], vcc
	s_xor_b64 s[6:7], exec, s[6:7]
; %bb.250:
	v_xor_b32_e32 v2, 0xfffff3ff, v0
	v_ashrrev_i32_e32 v3, 31, v2
	v_add_co_u32_e32 v2, vcc, v7, v2
	v_addc_co_u32_e32 v3, vcc, v8, v3, vcc
                                        ; implicit-def: $vgpr24
; %bb.251:
	s_andn2_saveexec_b64 s[6:7], s[6:7]
; %bb.252:
	v_add_co_u32_e32 v2, vcc, v1, v24
	v_addc_co_u32_e32 v3, vcc, 0, v4, vcc
; %bb.253:
	s_or_b64 exec, exec, s[6:7]
	v_lshlrev_b64 v[2:3], 1, v[2:3]
	v_mov_b32_e32 v11, s5
	v_add_co_u32_e32 v2, vcc, s4, v2
	v_addc_co_u32_e32 v3, vcc, v11, v3, vcc
	s_waitcnt lgkmcnt(7)
	global_store_short v[2:3], v23, off
	s_or_b64 exec, exec, s[2:3]
	v_cmp_gt_u32_e32 vcc, s33, v22
	s_and_saveexec_b64 s[2:3], vcc
	s_cbranch_execnz .LBB3644_305
.LBB3644_254:
	s_or_b64 exec, exec, s[2:3]
	v_cmp_gt_u32_e32 vcc, s33, v20
	s_and_saveexec_b64 s[2:3], vcc
	s_cbranch_execz .LBB3644_310
.LBB3644_255:
	v_cmp_ge_u32_e32 vcc, v20, v10
                                        ; implicit-def: $vgpr2_vgpr3
	s_and_saveexec_b64 s[6:7], vcc
	s_xor_b64 s[6:7], exec, s[6:7]
; %bb.256:
	v_xor_b32_e32 v2, 0xfffff1ff, v0
	v_ashrrev_i32_e32 v3, 31, v2
	v_add_co_u32_e32 v2, vcc, v7, v2
	v_addc_co_u32_e32 v3, vcc, v8, v3, vcc
                                        ; implicit-def: $vgpr20
; %bb.257:
	s_andn2_saveexec_b64 s[6:7], s[6:7]
; %bb.258:
	v_add_co_u32_e32 v2, vcc, v1, v20
	v_addc_co_u32_e32 v3, vcc, 0, v4, vcc
; %bb.259:
	s_or_b64 exec, exec, s[6:7]
	v_lshlrev_b64 v[2:3], 1, v[2:3]
	v_mov_b32_e32 v11, s5
	v_add_co_u32_e32 v2, vcc, s4, v2
	v_addc_co_u32_e32 v3, vcc, v11, v3, vcc
	s_waitcnt lgkmcnt(5)
	global_store_short v[2:3], v19, off
	s_or_b64 exec, exec, s[2:3]
	v_cmp_gt_u32_e32 vcc, s33, v18
	s_and_saveexec_b64 s[2:3], vcc
	s_cbranch_execnz .LBB3644_311
.LBB3644_260:
	s_or_b64 exec, exec, s[2:3]
	v_cmp_gt_u32_e32 vcc, s33, v16
	s_and_saveexec_b64 s[2:3], vcc
	s_cbranch_execz .LBB3644_316
.LBB3644_261:
	v_cmp_ge_u32_e32 vcc, v16, v10
                                        ; implicit-def: $vgpr2_vgpr3
	s_and_saveexec_b64 s[6:7], vcc
	s_xor_b64 s[6:7], exec, s[6:7]
; %bb.262:
	v_xor_b32_e32 v2, 0xffffefff, v0
	v_ashrrev_i32_e32 v3, 31, v2
	v_add_co_u32_e32 v2, vcc, v7, v2
	v_addc_co_u32_e32 v3, vcc, v8, v3, vcc
                                        ; implicit-def: $vgpr16
; %bb.263:
	s_andn2_saveexec_b64 s[6:7], s[6:7]
; %bb.264:
	v_add_co_u32_e32 v2, vcc, v1, v16
	v_addc_co_u32_e32 v3, vcc, 0, v4, vcc
; %bb.265:
	s_or_b64 exec, exec, s[6:7]
	v_lshlrev_b64 v[2:3], 1, v[2:3]
	v_mov_b32_e32 v11, s5
	v_add_co_u32_e32 v2, vcc, s4, v2
	v_addc_co_u32_e32 v3, vcc, v11, v3, vcc
	s_waitcnt lgkmcnt(3)
	global_store_short v[2:3], v15, off
	s_or_b64 exec, exec, s[2:3]
	v_cmp_gt_u32_e32 vcc, s33, v14
	s_and_saveexec_b64 s[2:3], vcc
	s_cbranch_execnz .LBB3644_317
.LBB3644_266:
	s_or_b64 exec, exec, s[2:3]
	v_cmp_gt_u32_e32 vcc, s33, v12
	s_and_saveexec_b64 s[2:3], vcc
	s_cbranch_execnz .LBB3644_322
.LBB3644_267:
	s_or_b64 exec, exec, s[2:3]
	v_cmp_gt_u32_e32 vcc, s33, v6
                                        ; implicit-def: $vgpr2_vgpr3
	s_and_saveexec_b64 s[2:3], vcc
	s_cbranch_execz .LBB3644_332
	s_branch .LBB3644_327
.LBB3644_268:
	s_or_b64 exec, exec, s[2:3]
	v_cmp_gt_u32_e32 vcc, s33, v46
	s_and_saveexec_b64 s[2:3], vcc
	s_cbranch_execz .LBB3644_218
.LBB3644_269:
	v_cmp_ge_u32_e32 vcc, v46, v10
                                        ; implicit-def: $vgpr2_vgpr3
	s_and_saveexec_b64 s[6:7], vcc
	s_xor_b64 s[6:7], exec, s[6:7]
; %bb.270:
	v_xor_b32_e32 v2, 0xfffffeff, v0
	v_ashrrev_i32_e32 v3, 31, v2
	v_add_co_u32_e32 v2, vcc, v7, v2
	v_addc_co_u32_e32 v3, vcc, v8, v3, vcc
                                        ; implicit-def: $vgpr46
; %bb.271:
	s_andn2_saveexec_b64 s[6:7], s[6:7]
; %bb.272:
	v_add_co_u32_e32 v2, vcc, v1, v46
	v_addc_co_u32_e32 v3, vcc, 0, v4, vcc
; %bb.273:
	s_or_b64 exec, exec, s[6:7]
	v_lshlrev_b64 v[2:3], 1, v[2:3]
	v_mov_b32_e32 v11, s5
	v_add_co_u32_e32 v2, vcc, s4, v2
	v_addc_co_u32_e32 v3, vcc, v11, v3, vcc
	s_waitcnt lgkmcnt(14)
	global_store_short v[2:3], v45, off
	s_or_b64 exec, exec, s[2:3]
	v_cmp_gt_u32_e32 vcc, s33, v44
	s_and_saveexec_b64 s[2:3], vcc
	s_cbranch_execnz .LBB3644_219
.LBB3644_274:
	s_or_b64 exec, exec, s[2:3]
	v_cmp_gt_u32_e32 vcc, s33, v42
	s_and_saveexec_b64 s[2:3], vcc
	s_cbranch_execz .LBB3644_224
.LBB3644_275:
	v_cmp_ge_u32_e32 vcc, v42, v10
                                        ; implicit-def: $vgpr2_vgpr3
	s_and_saveexec_b64 s[6:7], vcc
	s_xor_b64 s[6:7], exec, s[6:7]
; %bb.276:
	v_xor_b32_e32 v2, 0xfffffcff, v0
	v_ashrrev_i32_e32 v3, 31, v2
	v_add_co_u32_e32 v2, vcc, v7, v2
	v_addc_co_u32_e32 v3, vcc, v8, v3, vcc
                                        ; implicit-def: $vgpr42
; %bb.277:
	s_andn2_saveexec_b64 s[6:7], s[6:7]
; %bb.278:
	v_add_co_u32_e32 v2, vcc, v1, v42
	v_addc_co_u32_e32 v3, vcc, 0, v4, vcc
; %bb.279:
	s_or_b64 exec, exec, s[6:7]
	v_lshlrev_b64 v[2:3], 1, v[2:3]
	v_mov_b32_e32 v11, s5
	v_add_co_u32_e32 v2, vcc, s4, v2
	v_addc_co_u32_e32 v3, vcc, v11, v3, vcc
	s_waitcnt lgkmcnt(14)
	global_store_short v[2:3], v41, off
	s_or_b64 exec, exec, s[2:3]
	v_cmp_gt_u32_e32 vcc, s33, v40
	s_and_saveexec_b64 s[2:3], vcc
	s_cbranch_execnz .LBB3644_225
.LBB3644_280:
	s_or_b64 exec, exec, s[2:3]
	v_cmp_gt_u32_e32 vcc, s33, v38
	s_and_saveexec_b64 s[2:3], vcc
	s_cbranch_execz .LBB3644_230
.LBB3644_281:
	v_cmp_ge_u32_e32 vcc, v38, v10
                                        ; implicit-def: $vgpr2_vgpr3
	s_and_saveexec_b64 s[6:7], vcc
	s_xor_b64 s[6:7], exec, s[6:7]
; %bb.282:
	v_xor_b32_e32 v2, 0xfffffaff, v0
	v_ashrrev_i32_e32 v3, 31, v2
	v_add_co_u32_e32 v2, vcc, v7, v2
	v_addc_co_u32_e32 v3, vcc, v8, v3, vcc
                                        ; implicit-def: $vgpr38
; %bb.283:
	s_andn2_saveexec_b64 s[6:7], s[6:7]
; %bb.284:
	v_add_co_u32_e32 v2, vcc, v1, v38
	v_addc_co_u32_e32 v3, vcc, 0, v4, vcc
; %bb.285:
	s_or_b64 exec, exec, s[6:7]
	v_lshlrev_b64 v[2:3], 1, v[2:3]
	v_mov_b32_e32 v11, s5
	v_add_co_u32_e32 v2, vcc, s4, v2
	v_addc_co_u32_e32 v3, vcc, v11, v3, vcc
	s_waitcnt lgkmcnt(14)
	global_store_short v[2:3], v37, off
	s_or_b64 exec, exec, s[2:3]
	v_cmp_gt_u32_e32 vcc, s33, v36
	s_and_saveexec_b64 s[2:3], vcc
	s_cbranch_execnz .LBB3644_231
.LBB3644_286:
	s_or_b64 exec, exec, s[2:3]
	v_cmp_gt_u32_e32 vcc, s33, v34
	s_and_saveexec_b64 s[2:3], vcc
	s_cbranch_execz .LBB3644_236
.LBB3644_287:
	v_cmp_ge_u32_e32 vcc, v34, v10
                                        ; implicit-def: $vgpr2_vgpr3
	s_and_saveexec_b64 s[6:7], vcc
	s_xor_b64 s[6:7], exec, s[6:7]
; %bb.288:
	v_xor_b32_e32 v2, 0xfffff8ff, v0
	v_ashrrev_i32_e32 v3, 31, v2
	v_add_co_u32_e32 v2, vcc, v7, v2
	v_addc_co_u32_e32 v3, vcc, v8, v3, vcc
                                        ; implicit-def: $vgpr34
; %bb.289:
	s_andn2_saveexec_b64 s[6:7], s[6:7]
; %bb.290:
	v_add_co_u32_e32 v2, vcc, v1, v34
	v_addc_co_u32_e32 v3, vcc, 0, v4, vcc
; %bb.291:
	s_or_b64 exec, exec, s[6:7]
	v_lshlrev_b64 v[2:3], 1, v[2:3]
	v_mov_b32_e32 v11, s5
	v_add_co_u32_e32 v2, vcc, s4, v2
	v_addc_co_u32_e32 v3, vcc, v11, v3, vcc
	s_waitcnt lgkmcnt(12)
	global_store_short v[2:3], v33, off
	s_or_b64 exec, exec, s[2:3]
	v_cmp_gt_u32_e32 vcc, s33, v32
	s_and_saveexec_b64 s[2:3], vcc
	s_cbranch_execnz .LBB3644_237
.LBB3644_292:
	s_or_b64 exec, exec, s[2:3]
	v_cmp_gt_u32_e32 vcc, s33, v30
	s_and_saveexec_b64 s[2:3], vcc
	s_cbranch_execz .LBB3644_242
.LBB3644_293:
	v_cmp_ge_u32_e32 vcc, v30, v10
                                        ; implicit-def: $vgpr2_vgpr3
	s_and_saveexec_b64 s[6:7], vcc
	s_xor_b64 s[6:7], exec, s[6:7]
; %bb.294:
	v_xor_b32_e32 v2, 0xfffff6ff, v0
	v_ashrrev_i32_e32 v3, 31, v2
	v_add_co_u32_e32 v2, vcc, v7, v2
	v_addc_co_u32_e32 v3, vcc, v8, v3, vcc
                                        ; implicit-def: $vgpr30
; %bb.295:
	s_andn2_saveexec_b64 s[6:7], s[6:7]
; %bb.296:
	v_add_co_u32_e32 v2, vcc, v1, v30
	v_addc_co_u32_e32 v3, vcc, 0, v4, vcc
; %bb.297:
	s_or_b64 exec, exec, s[6:7]
	v_lshlrev_b64 v[2:3], 1, v[2:3]
	v_mov_b32_e32 v11, s5
	v_add_co_u32_e32 v2, vcc, s4, v2
	v_addc_co_u32_e32 v3, vcc, v11, v3, vcc
	s_waitcnt lgkmcnt(10)
	global_store_short v[2:3], v29, off
	s_or_b64 exec, exec, s[2:3]
	v_cmp_gt_u32_e32 vcc, s33, v28
	s_and_saveexec_b64 s[2:3], vcc
	s_cbranch_execnz .LBB3644_243
.LBB3644_298:
	s_or_b64 exec, exec, s[2:3]
	v_cmp_gt_u32_e32 vcc, s33, v26
	s_and_saveexec_b64 s[2:3], vcc
	s_cbranch_execz .LBB3644_248
.LBB3644_299:
	v_cmp_ge_u32_e32 vcc, v26, v10
                                        ; implicit-def: $vgpr2_vgpr3
	s_and_saveexec_b64 s[6:7], vcc
	s_xor_b64 s[6:7], exec, s[6:7]
; %bb.300:
	v_xor_b32_e32 v2, 0xfffff4ff, v0
	v_ashrrev_i32_e32 v3, 31, v2
	v_add_co_u32_e32 v2, vcc, v7, v2
	v_addc_co_u32_e32 v3, vcc, v8, v3, vcc
                                        ; implicit-def: $vgpr26
; %bb.301:
	s_andn2_saveexec_b64 s[6:7], s[6:7]
; %bb.302:
	v_add_co_u32_e32 v2, vcc, v1, v26
	v_addc_co_u32_e32 v3, vcc, 0, v4, vcc
; %bb.303:
	s_or_b64 exec, exec, s[6:7]
	v_lshlrev_b64 v[2:3], 1, v[2:3]
	v_mov_b32_e32 v11, s5
	v_add_co_u32_e32 v2, vcc, s4, v2
	v_addc_co_u32_e32 v3, vcc, v11, v3, vcc
	s_waitcnt lgkmcnt(8)
	global_store_short v[2:3], v25, off
	s_or_b64 exec, exec, s[2:3]
	v_cmp_gt_u32_e32 vcc, s33, v24
	s_and_saveexec_b64 s[2:3], vcc
	s_cbranch_execnz .LBB3644_249
.LBB3644_304:
	s_or_b64 exec, exec, s[2:3]
	v_cmp_gt_u32_e32 vcc, s33, v22
	s_and_saveexec_b64 s[2:3], vcc
	s_cbranch_execz .LBB3644_254
.LBB3644_305:
	v_cmp_ge_u32_e32 vcc, v22, v10
                                        ; implicit-def: $vgpr2_vgpr3
	s_and_saveexec_b64 s[6:7], vcc
	s_xor_b64 s[6:7], exec, s[6:7]
; %bb.306:
	v_xor_b32_e32 v2, 0xfffff2ff, v0
	v_ashrrev_i32_e32 v3, 31, v2
	v_add_co_u32_e32 v2, vcc, v7, v2
	v_addc_co_u32_e32 v3, vcc, v8, v3, vcc
                                        ; implicit-def: $vgpr22
; %bb.307:
	s_andn2_saveexec_b64 s[6:7], s[6:7]
; %bb.308:
	v_add_co_u32_e32 v2, vcc, v1, v22
	v_addc_co_u32_e32 v3, vcc, 0, v4, vcc
; %bb.309:
	s_or_b64 exec, exec, s[6:7]
	v_lshlrev_b64 v[2:3], 1, v[2:3]
	v_mov_b32_e32 v11, s5
	v_add_co_u32_e32 v2, vcc, s4, v2
	v_addc_co_u32_e32 v3, vcc, v11, v3, vcc
	s_waitcnt lgkmcnt(6)
	global_store_short v[2:3], v21, off
	s_or_b64 exec, exec, s[2:3]
	v_cmp_gt_u32_e32 vcc, s33, v20
	s_and_saveexec_b64 s[2:3], vcc
	s_cbranch_execnz .LBB3644_255
.LBB3644_310:
	s_or_b64 exec, exec, s[2:3]
	v_cmp_gt_u32_e32 vcc, s33, v18
	s_and_saveexec_b64 s[2:3], vcc
	s_cbranch_execz .LBB3644_260
.LBB3644_311:
	v_cmp_ge_u32_e32 vcc, v18, v10
                                        ; implicit-def: $vgpr2_vgpr3
	s_and_saveexec_b64 s[6:7], vcc
	s_xor_b64 s[6:7], exec, s[6:7]
; %bb.312:
	v_xor_b32_e32 v2, 0xfffff0ff, v0
	v_ashrrev_i32_e32 v3, 31, v2
	v_add_co_u32_e32 v2, vcc, v7, v2
	v_addc_co_u32_e32 v3, vcc, v8, v3, vcc
                                        ; implicit-def: $vgpr18
; %bb.313:
	s_andn2_saveexec_b64 s[6:7], s[6:7]
; %bb.314:
	v_add_co_u32_e32 v2, vcc, v1, v18
	v_addc_co_u32_e32 v3, vcc, 0, v4, vcc
; %bb.315:
	s_or_b64 exec, exec, s[6:7]
	v_lshlrev_b64 v[2:3], 1, v[2:3]
	v_mov_b32_e32 v11, s5
	v_add_co_u32_e32 v2, vcc, s4, v2
	v_addc_co_u32_e32 v3, vcc, v11, v3, vcc
	s_waitcnt lgkmcnt(4)
	global_store_short v[2:3], v17, off
	s_or_b64 exec, exec, s[2:3]
	v_cmp_gt_u32_e32 vcc, s33, v16
	s_and_saveexec_b64 s[2:3], vcc
	s_cbranch_execnz .LBB3644_261
.LBB3644_316:
	s_or_b64 exec, exec, s[2:3]
	v_cmp_gt_u32_e32 vcc, s33, v14
	s_and_saveexec_b64 s[2:3], vcc
	s_cbranch_execz .LBB3644_266
.LBB3644_317:
	v_cmp_ge_u32_e32 vcc, v14, v10
                                        ; implicit-def: $vgpr2_vgpr3
	s_and_saveexec_b64 s[6:7], vcc
	s_xor_b64 s[6:7], exec, s[6:7]
; %bb.318:
	v_xor_b32_e32 v2, 0xffffeeff, v0
	v_ashrrev_i32_e32 v3, 31, v2
	v_add_co_u32_e32 v2, vcc, v7, v2
	v_addc_co_u32_e32 v3, vcc, v8, v3, vcc
                                        ; implicit-def: $vgpr14
; %bb.319:
	s_andn2_saveexec_b64 s[6:7], s[6:7]
; %bb.320:
	v_add_co_u32_e32 v2, vcc, v1, v14
	v_addc_co_u32_e32 v3, vcc, 0, v4, vcc
; %bb.321:
	s_or_b64 exec, exec, s[6:7]
	v_lshlrev_b64 v[2:3], 1, v[2:3]
	v_mov_b32_e32 v11, s5
	v_add_co_u32_e32 v2, vcc, s4, v2
	v_addc_co_u32_e32 v3, vcc, v11, v3, vcc
	s_waitcnt lgkmcnt(2)
	global_store_short v[2:3], v13, off
	s_or_b64 exec, exec, s[2:3]
	v_cmp_gt_u32_e32 vcc, s33, v12
	s_and_saveexec_b64 s[2:3], vcc
	s_cbranch_execz .LBB3644_267
.LBB3644_322:
	v_cmp_ge_u32_e32 vcc, v12, v10
                                        ; implicit-def: $vgpr2_vgpr3
	s_and_saveexec_b64 s[6:7], vcc
	s_xor_b64 s[6:7], exec, s[6:7]
; %bb.323:
	v_xor_b32_e32 v2, 0xffffedff, v0
	v_ashrrev_i32_e32 v3, 31, v2
	v_add_co_u32_e32 v2, vcc, v7, v2
	v_addc_co_u32_e32 v3, vcc, v8, v3, vcc
                                        ; implicit-def: $vgpr12
; %bb.324:
	s_andn2_saveexec_b64 s[6:7], s[6:7]
; %bb.325:
	v_add_co_u32_e32 v2, vcc, v1, v12
	v_addc_co_u32_e32 v3, vcc, 0, v4, vcc
; %bb.326:
	s_or_b64 exec, exec, s[6:7]
	v_lshlrev_b64 v[2:3], 1, v[2:3]
	v_mov_b32_e32 v11, s5
	v_add_co_u32_e32 v2, vcc, s4, v2
	v_addc_co_u32_e32 v3, vcc, v11, v3, vcc
	s_waitcnt lgkmcnt(1)
	global_store_short v[2:3], v9, off
	s_or_b64 exec, exec, s[2:3]
	v_cmp_gt_u32_e32 vcc, s33, v6
                                        ; implicit-def: $vgpr2_vgpr3
	s_and_saveexec_b64 s[2:3], vcc
	s_cbranch_execz .LBB3644_332
.LBB3644_327:
	v_cmp_ge_u32_e32 vcc, v6, v10
                                        ; implicit-def: $vgpr2_vgpr3
	s_and_saveexec_b64 s[6:7], vcc
	s_xor_b64 s[6:7], exec, s[6:7]
; %bb.328:
	v_xor_b32_e32 v2, 0xffffecff, v0
	v_ashrrev_i32_e32 v3, 31, v2
	v_add_co_u32_e32 v2, vcc, v7, v2
	v_addc_co_u32_e32 v3, vcc, v8, v3, vcc
                                        ; implicit-def: $vgpr6
; %bb.329:
	s_andn2_saveexec_b64 s[6:7], s[6:7]
; %bb.330:
	v_add_co_u32_e32 v2, vcc, v1, v6
	v_addc_co_u32_e32 v3, vcc, 0, v4, vcc
; %bb.331:
	s_or_b64 exec, exec, s[6:7]
	s_or_b64 s[0:1], s[0:1], exec
.LBB3644_332:
	s_or_b64 exec, exec, s[2:3]
.LBB3644_333:
	s_and_saveexec_b64 s[2:3], s[0:1]
	s_cbranch_execz .LBB3644_335
; %bb.334:
	v_lshlrev_b64 v[2:3], 1, v[2:3]
	v_mov_b32_e32 v6, s5
	v_add_co_u32_e32 v2, vcc, s4, v2
	v_addc_co_u32_e32 v3, vcc, v6, v3, vcc
	s_waitcnt lgkmcnt(0)
	global_store_short v[2:3], v5, off
.LBB3644_335:
	s_or_b64 exec, exec, s[2:3]
	v_cmp_eq_u32_e32 vcc, 0, v0
	s_and_b64 s[0:1], vcc, s[22:23]
	s_and_saveexec_b64 s[2:3], s[0:1]
	s_cbranch_execz .LBB3644_337
; %bb.336:
	v_add_co_u32_e32 v0, vcc, v1, v10
	v_mov_b32_e32 v2, 0
	v_addc_co_u32_e32 v1, vcc, 0, v4, vcc
	global_store_dwordx2 v2, v[0:1], s[20:21]
.LBB3644_337:
	s_endpgm
	.section	.rodata,"a",@progbits
	.p2align	6, 0x0
	.amdhsa_kernel _ZN7rocprim17ROCPRIM_400000_NS6detail17trampoline_kernelINS0_14default_configENS1_25partition_config_selectorILNS1_17partition_subalgoE2EsNS0_10empty_typeEbEEZZNS1_14partition_implILS5_2ELb0ES3_jN6thrust23THRUST_200600_302600_NS6detail15normal_iteratorINSA_7pointerIsNSA_11hip_rocprim3tagENSA_11use_defaultESG_EEEEPS6_NSA_18transform_iteratorI10is_orderedNSA_12zip_iteratorINSA_5tupleINSC_INSA_10device_ptrIsEEEESQ_NSA_9null_typeESR_SR_SR_SR_SR_SR_SR_EEEESG_SG_EENS0_5tupleIJPsSJ_EEENSV_IJSJ_SJ_EEES6_PlJS6_EEE10hipError_tPvRmT3_T4_T5_T6_T7_T9_mT8_P12ihipStream_tbDpT10_ENKUlT_T0_E_clISt17integral_constantIbLb1EES1I_IbLb0EEEEDaS1E_S1F_EUlS1E_E_NS1_11comp_targetILNS1_3genE4ELNS1_11target_archE910ELNS1_3gpuE8ELNS1_3repE0EEENS1_30default_config_static_selectorELNS0_4arch9wavefront6targetE1EEEvT1_
		.amdhsa_group_segment_fixed_size 10248
		.amdhsa_private_segment_fixed_size 0
		.amdhsa_kernarg_size 136
		.amdhsa_user_sgpr_count 6
		.amdhsa_user_sgpr_private_segment_buffer 1
		.amdhsa_user_sgpr_dispatch_ptr 0
		.amdhsa_user_sgpr_queue_ptr 0
		.amdhsa_user_sgpr_kernarg_segment_ptr 1
		.amdhsa_user_sgpr_dispatch_id 0
		.amdhsa_user_sgpr_flat_scratch_init 0
		.amdhsa_user_sgpr_kernarg_preload_length 0
		.amdhsa_user_sgpr_kernarg_preload_offset 0
		.amdhsa_user_sgpr_private_segment_size 0
		.amdhsa_uses_dynamic_stack 0
		.amdhsa_system_sgpr_private_segment_wavefront_offset 0
		.amdhsa_system_sgpr_workgroup_id_x 1
		.amdhsa_system_sgpr_workgroup_id_y 0
		.amdhsa_system_sgpr_workgroup_id_z 0
		.amdhsa_system_sgpr_workgroup_info 0
		.amdhsa_system_vgpr_workitem_id 0
		.amdhsa_next_free_vgpr 65
		.amdhsa_next_free_sgpr 46
		.amdhsa_accum_offset 68
		.amdhsa_reserve_vcc 1
		.amdhsa_reserve_flat_scratch 0
		.amdhsa_float_round_mode_32 0
		.amdhsa_float_round_mode_16_64 0
		.amdhsa_float_denorm_mode_32 3
		.amdhsa_float_denorm_mode_16_64 3
		.amdhsa_dx10_clamp 1
		.amdhsa_ieee_mode 1
		.amdhsa_fp16_overflow 0
		.amdhsa_tg_split 0
		.amdhsa_exception_fp_ieee_invalid_op 0
		.amdhsa_exception_fp_denorm_src 0
		.amdhsa_exception_fp_ieee_div_zero 0
		.amdhsa_exception_fp_ieee_overflow 0
		.amdhsa_exception_fp_ieee_underflow 0
		.amdhsa_exception_fp_ieee_inexact 0
		.amdhsa_exception_int_div_zero 0
	.end_amdhsa_kernel
	.section	.text._ZN7rocprim17ROCPRIM_400000_NS6detail17trampoline_kernelINS0_14default_configENS1_25partition_config_selectorILNS1_17partition_subalgoE2EsNS0_10empty_typeEbEEZZNS1_14partition_implILS5_2ELb0ES3_jN6thrust23THRUST_200600_302600_NS6detail15normal_iteratorINSA_7pointerIsNSA_11hip_rocprim3tagENSA_11use_defaultESG_EEEEPS6_NSA_18transform_iteratorI10is_orderedNSA_12zip_iteratorINSA_5tupleINSC_INSA_10device_ptrIsEEEESQ_NSA_9null_typeESR_SR_SR_SR_SR_SR_SR_EEEESG_SG_EENS0_5tupleIJPsSJ_EEENSV_IJSJ_SJ_EEES6_PlJS6_EEE10hipError_tPvRmT3_T4_T5_T6_T7_T9_mT8_P12ihipStream_tbDpT10_ENKUlT_T0_E_clISt17integral_constantIbLb1EES1I_IbLb0EEEEDaS1E_S1F_EUlS1E_E_NS1_11comp_targetILNS1_3genE4ELNS1_11target_archE910ELNS1_3gpuE8ELNS1_3repE0EEENS1_30default_config_static_selectorELNS0_4arch9wavefront6targetE1EEEvT1_,"axG",@progbits,_ZN7rocprim17ROCPRIM_400000_NS6detail17trampoline_kernelINS0_14default_configENS1_25partition_config_selectorILNS1_17partition_subalgoE2EsNS0_10empty_typeEbEEZZNS1_14partition_implILS5_2ELb0ES3_jN6thrust23THRUST_200600_302600_NS6detail15normal_iteratorINSA_7pointerIsNSA_11hip_rocprim3tagENSA_11use_defaultESG_EEEEPS6_NSA_18transform_iteratorI10is_orderedNSA_12zip_iteratorINSA_5tupleINSC_INSA_10device_ptrIsEEEESQ_NSA_9null_typeESR_SR_SR_SR_SR_SR_SR_EEEESG_SG_EENS0_5tupleIJPsSJ_EEENSV_IJSJ_SJ_EEES6_PlJS6_EEE10hipError_tPvRmT3_T4_T5_T6_T7_T9_mT8_P12ihipStream_tbDpT10_ENKUlT_T0_E_clISt17integral_constantIbLb1EES1I_IbLb0EEEEDaS1E_S1F_EUlS1E_E_NS1_11comp_targetILNS1_3genE4ELNS1_11target_archE910ELNS1_3gpuE8ELNS1_3repE0EEENS1_30default_config_static_selectorELNS0_4arch9wavefront6targetE1EEEvT1_,comdat
.Lfunc_end3644:
	.size	_ZN7rocprim17ROCPRIM_400000_NS6detail17trampoline_kernelINS0_14default_configENS1_25partition_config_selectorILNS1_17partition_subalgoE2EsNS0_10empty_typeEbEEZZNS1_14partition_implILS5_2ELb0ES3_jN6thrust23THRUST_200600_302600_NS6detail15normal_iteratorINSA_7pointerIsNSA_11hip_rocprim3tagENSA_11use_defaultESG_EEEEPS6_NSA_18transform_iteratorI10is_orderedNSA_12zip_iteratorINSA_5tupleINSC_INSA_10device_ptrIsEEEESQ_NSA_9null_typeESR_SR_SR_SR_SR_SR_SR_EEEESG_SG_EENS0_5tupleIJPsSJ_EEENSV_IJSJ_SJ_EEES6_PlJS6_EEE10hipError_tPvRmT3_T4_T5_T6_T7_T9_mT8_P12ihipStream_tbDpT10_ENKUlT_T0_E_clISt17integral_constantIbLb1EES1I_IbLb0EEEEDaS1E_S1F_EUlS1E_E_NS1_11comp_targetILNS1_3genE4ELNS1_11target_archE910ELNS1_3gpuE8ELNS1_3repE0EEENS1_30default_config_static_selectorELNS0_4arch9wavefront6targetE1EEEvT1_, .Lfunc_end3644-_ZN7rocprim17ROCPRIM_400000_NS6detail17trampoline_kernelINS0_14default_configENS1_25partition_config_selectorILNS1_17partition_subalgoE2EsNS0_10empty_typeEbEEZZNS1_14partition_implILS5_2ELb0ES3_jN6thrust23THRUST_200600_302600_NS6detail15normal_iteratorINSA_7pointerIsNSA_11hip_rocprim3tagENSA_11use_defaultESG_EEEEPS6_NSA_18transform_iteratorI10is_orderedNSA_12zip_iteratorINSA_5tupleINSC_INSA_10device_ptrIsEEEESQ_NSA_9null_typeESR_SR_SR_SR_SR_SR_SR_EEEESG_SG_EENS0_5tupleIJPsSJ_EEENSV_IJSJ_SJ_EEES6_PlJS6_EEE10hipError_tPvRmT3_T4_T5_T6_T7_T9_mT8_P12ihipStream_tbDpT10_ENKUlT_T0_E_clISt17integral_constantIbLb1EES1I_IbLb0EEEEDaS1E_S1F_EUlS1E_E_NS1_11comp_targetILNS1_3genE4ELNS1_11target_archE910ELNS1_3gpuE8ELNS1_3repE0EEENS1_30default_config_static_selectorELNS0_4arch9wavefront6targetE1EEEvT1_
                                        ; -- End function
	.section	.AMDGPU.csdata,"",@progbits
; Kernel info:
; codeLenInByte = 11360
; NumSgprs: 50
; NumVgprs: 65
; NumAgprs: 0
; TotalNumVgprs: 65
; ScratchSize: 0
; MemoryBound: 0
; FloatMode: 240
; IeeeMode: 1
; LDSByteSize: 10248 bytes/workgroup (compile time only)
; SGPRBlocks: 6
; VGPRBlocks: 8
; NumSGPRsForWavesPerEU: 50
; NumVGPRsForWavesPerEU: 65
; AccumOffset: 68
; Occupancy: 6
; WaveLimiterHint : 1
; COMPUTE_PGM_RSRC2:SCRATCH_EN: 0
; COMPUTE_PGM_RSRC2:USER_SGPR: 6
; COMPUTE_PGM_RSRC2:TRAP_HANDLER: 0
; COMPUTE_PGM_RSRC2:TGID_X_EN: 1
; COMPUTE_PGM_RSRC2:TGID_Y_EN: 0
; COMPUTE_PGM_RSRC2:TGID_Z_EN: 0
; COMPUTE_PGM_RSRC2:TIDIG_COMP_CNT: 0
; COMPUTE_PGM_RSRC3_GFX90A:ACCUM_OFFSET: 16
; COMPUTE_PGM_RSRC3_GFX90A:TG_SPLIT: 0
	.section	.text._ZN7rocprim17ROCPRIM_400000_NS6detail17trampoline_kernelINS0_14default_configENS1_25partition_config_selectorILNS1_17partition_subalgoE2EsNS0_10empty_typeEbEEZZNS1_14partition_implILS5_2ELb0ES3_jN6thrust23THRUST_200600_302600_NS6detail15normal_iteratorINSA_7pointerIsNSA_11hip_rocprim3tagENSA_11use_defaultESG_EEEEPS6_NSA_18transform_iteratorI10is_orderedNSA_12zip_iteratorINSA_5tupleINSC_INSA_10device_ptrIsEEEESQ_NSA_9null_typeESR_SR_SR_SR_SR_SR_SR_EEEESG_SG_EENS0_5tupleIJPsSJ_EEENSV_IJSJ_SJ_EEES6_PlJS6_EEE10hipError_tPvRmT3_T4_T5_T6_T7_T9_mT8_P12ihipStream_tbDpT10_ENKUlT_T0_E_clISt17integral_constantIbLb1EES1I_IbLb0EEEEDaS1E_S1F_EUlS1E_E_NS1_11comp_targetILNS1_3genE3ELNS1_11target_archE908ELNS1_3gpuE7ELNS1_3repE0EEENS1_30default_config_static_selectorELNS0_4arch9wavefront6targetE1EEEvT1_,"axG",@progbits,_ZN7rocprim17ROCPRIM_400000_NS6detail17trampoline_kernelINS0_14default_configENS1_25partition_config_selectorILNS1_17partition_subalgoE2EsNS0_10empty_typeEbEEZZNS1_14partition_implILS5_2ELb0ES3_jN6thrust23THRUST_200600_302600_NS6detail15normal_iteratorINSA_7pointerIsNSA_11hip_rocprim3tagENSA_11use_defaultESG_EEEEPS6_NSA_18transform_iteratorI10is_orderedNSA_12zip_iteratorINSA_5tupleINSC_INSA_10device_ptrIsEEEESQ_NSA_9null_typeESR_SR_SR_SR_SR_SR_SR_EEEESG_SG_EENS0_5tupleIJPsSJ_EEENSV_IJSJ_SJ_EEES6_PlJS6_EEE10hipError_tPvRmT3_T4_T5_T6_T7_T9_mT8_P12ihipStream_tbDpT10_ENKUlT_T0_E_clISt17integral_constantIbLb1EES1I_IbLb0EEEEDaS1E_S1F_EUlS1E_E_NS1_11comp_targetILNS1_3genE3ELNS1_11target_archE908ELNS1_3gpuE7ELNS1_3repE0EEENS1_30default_config_static_selectorELNS0_4arch9wavefront6targetE1EEEvT1_,comdat
	.protected	_ZN7rocprim17ROCPRIM_400000_NS6detail17trampoline_kernelINS0_14default_configENS1_25partition_config_selectorILNS1_17partition_subalgoE2EsNS0_10empty_typeEbEEZZNS1_14partition_implILS5_2ELb0ES3_jN6thrust23THRUST_200600_302600_NS6detail15normal_iteratorINSA_7pointerIsNSA_11hip_rocprim3tagENSA_11use_defaultESG_EEEEPS6_NSA_18transform_iteratorI10is_orderedNSA_12zip_iteratorINSA_5tupleINSC_INSA_10device_ptrIsEEEESQ_NSA_9null_typeESR_SR_SR_SR_SR_SR_SR_EEEESG_SG_EENS0_5tupleIJPsSJ_EEENSV_IJSJ_SJ_EEES6_PlJS6_EEE10hipError_tPvRmT3_T4_T5_T6_T7_T9_mT8_P12ihipStream_tbDpT10_ENKUlT_T0_E_clISt17integral_constantIbLb1EES1I_IbLb0EEEEDaS1E_S1F_EUlS1E_E_NS1_11comp_targetILNS1_3genE3ELNS1_11target_archE908ELNS1_3gpuE7ELNS1_3repE0EEENS1_30default_config_static_selectorELNS0_4arch9wavefront6targetE1EEEvT1_ ; -- Begin function _ZN7rocprim17ROCPRIM_400000_NS6detail17trampoline_kernelINS0_14default_configENS1_25partition_config_selectorILNS1_17partition_subalgoE2EsNS0_10empty_typeEbEEZZNS1_14partition_implILS5_2ELb0ES3_jN6thrust23THRUST_200600_302600_NS6detail15normal_iteratorINSA_7pointerIsNSA_11hip_rocprim3tagENSA_11use_defaultESG_EEEEPS6_NSA_18transform_iteratorI10is_orderedNSA_12zip_iteratorINSA_5tupleINSC_INSA_10device_ptrIsEEEESQ_NSA_9null_typeESR_SR_SR_SR_SR_SR_SR_EEEESG_SG_EENS0_5tupleIJPsSJ_EEENSV_IJSJ_SJ_EEES6_PlJS6_EEE10hipError_tPvRmT3_T4_T5_T6_T7_T9_mT8_P12ihipStream_tbDpT10_ENKUlT_T0_E_clISt17integral_constantIbLb1EES1I_IbLb0EEEEDaS1E_S1F_EUlS1E_E_NS1_11comp_targetILNS1_3genE3ELNS1_11target_archE908ELNS1_3gpuE7ELNS1_3repE0EEENS1_30default_config_static_selectorELNS0_4arch9wavefront6targetE1EEEvT1_
	.globl	_ZN7rocprim17ROCPRIM_400000_NS6detail17trampoline_kernelINS0_14default_configENS1_25partition_config_selectorILNS1_17partition_subalgoE2EsNS0_10empty_typeEbEEZZNS1_14partition_implILS5_2ELb0ES3_jN6thrust23THRUST_200600_302600_NS6detail15normal_iteratorINSA_7pointerIsNSA_11hip_rocprim3tagENSA_11use_defaultESG_EEEEPS6_NSA_18transform_iteratorI10is_orderedNSA_12zip_iteratorINSA_5tupleINSC_INSA_10device_ptrIsEEEESQ_NSA_9null_typeESR_SR_SR_SR_SR_SR_SR_EEEESG_SG_EENS0_5tupleIJPsSJ_EEENSV_IJSJ_SJ_EEES6_PlJS6_EEE10hipError_tPvRmT3_T4_T5_T6_T7_T9_mT8_P12ihipStream_tbDpT10_ENKUlT_T0_E_clISt17integral_constantIbLb1EES1I_IbLb0EEEEDaS1E_S1F_EUlS1E_E_NS1_11comp_targetILNS1_3genE3ELNS1_11target_archE908ELNS1_3gpuE7ELNS1_3repE0EEENS1_30default_config_static_selectorELNS0_4arch9wavefront6targetE1EEEvT1_
	.p2align	8
	.type	_ZN7rocprim17ROCPRIM_400000_NS6detail17trampoline_kernelINS0_14default_configENS1_25partition_config_selectorILNS1_17partition_subalgoE2EsNS0_10empty_typeEbEEZZNS1_14partition_implILS5_2ELb0ES3_jN6thrust23THRUST_200600_302600_NS6detail15normal_iteratorINSA_7pointerIsNSA_11hip_rocprim3tagENSA_11use_defaultESG_EEEEPS6_NSA_18transform_iteratorI10is_orderedNSA_12zip_iteratorINSA_5tupleINSC_INSA_10device_ptrIsEEEESQ_NSA_9null_typeESR_SR_SR_SR_SR_SR_SR_EEEESG_SG_EENS0_5tupleIJPsSJ_EEENSV_IJSJ_SJ_EEES6_PlJS6_EEE10hipError_tPvRmT3_T4_T5_T6_T7_T9_mT8_P12ihipStream_tbDpT10_ENKUlT_T0_E_clISt17integral_constantIbLb1EES1I_IbLb0EEEEDaS1E_S1F_EUlS1E_E_NS1_11comp_targetILNS1_3genE3ELNS1_11target_archE908ELNS1_3gpuE7ELNS1_3repE0EEENS1_30default_config_static_selectorELNS0_4arch9wavefront6targetE1EEEvT1_,@function
_ZN7rocprim17ROCPRIM_400000_NS6detail17trampoline_kernelINS0_14default_configENS1_25partition_config_selectorILNS1_17partition_subalgoE2EsNS0_10empty_typeEbEEZZNS1_14partition_implILS5_2ELb0ES3_jN6thrust23THRUST_200600_302600_NS6detail15normal_iteratorINSA_7pointerIsNSA_11hip_rocprim3tagENSA_11use_defaultESG_EEEEPS6_NSA_18transform_iteratorI10is_orderedNSA_12zip_iteratorINSA_5tupleINSC_INSA_10device_ptrIsEEEESQ_NSA_9null_typeESR_SR_SR_SR_SR_SR_SR_EEEESG_SG_EENS0_5tupleIJPsSJ_EEENSV_IJSJ_SJ_EEES6_PlJS6_EEE10hipError_tPvRmT3_T4_T5_T6_T7_T9_mT8_P12ihipStream_tbDpT10_ENKUlT_T0_E_clISt17integral_constantIbLb1EES1I_IbLb0EEEEDaS1E_S1F_EUlS1E_E_NS1_11comp_targetILNS1_3genE3ELNS1_11target_archE908ELNS1_3gpuE7ELNS1_3repE0EEENS1_30default_config_static_selectorELNS0_4arch9wavefront6targetE1EEEvT1_: ; @_ZN7rocprim17ROCPRIM_400000_NS6detail17trampoline_kernelINS0_14default_configENS1_25partition_config_selectorILNS1_17partition_subalgoE2EsNS0_10empty_typeEbEEZZNS1_14partition_implILS5_2ELb0ES3_jN6thrust23THRUST_200600_302600_NS6detail15normal_iteratorINSA_7pointerIsNSA_11hip_rocprim3tagENSA_11use_defaultESG_EEEEPS6_NSA_18transform_iteratorI10is_orderedNSA_12zip_iteratorINSA_5tupleINSC_INSA_10device_ptrIsEEEESQ_NSA_9null_typeESR_SR_SR_SR_SR_SR_SR_EEEESG_SG_EENS0_5tupleIJPsSJ_EEENSV_IJSJ_SJ_EEES6_PlJS6_EEE10hipError_tPvRmT3_T4_T5_T6_T7_T9_mT8_P12ihipStream_tbDpT10_ENKUlT_T0_E_clISt17integral_constantIbLb1EES1I_IbLb0EEEEDaS1E_S1F_EUlS1E_E_NS1_11comp_targetILNS1_3genE3ELNS1_11target_archE908ELNS1_3gpuE7ELNS1_3repE0EEENS1_30default_config_static_selectorELNS0_4arch9wavefront6targetE1EEEvT1_
; %bb.0:
	.section	.rodata,"a",@progbits
	.p2align	6, 0x0
	.amdhsa_kernel _ZN7rocprim17ROCPRIM_400000_NS6detail17trampoline_kernelINS0_14default_configENS1_25partition_config_selectorILNS1_17partition_subalgoE2EsNS0_10empty_typeEbEEZZNS1_14partition_implILS5_2ELb0ES3_jN6thrust23THRUST_200600_302600_NS6detail15normal_iteratorINSA_7pointerIsNSA_11hip_rocprim3tagENSA_11use_defaultESG_EEEEPS6_NSA_18transform_iteratorI10is_orderedNSA_12zip_iteratorINSA_5tupleINSC_INSA_10device_ptrIsEEEESQ_NSA_9null_typeESR_SR_SR_SR_SR_SR_SR_EEEESG_SG_EENS0_5tupleIJPsSJ_EEENSV_IJSJ_SJ_EEES6_PlJS6_EEE10hipError_tPvRmT3_T4_T5_T6_T7_T9_mT8_P12ihipStream_tbDpT10_ENKUlT_T0_E_clISt17integral_constantIbLb1EES1I_IbLb0EEEEDaS1E_S1F_EUlS1E_E_NS1_11comp_targetILNS1_3genE3ELNS1_11target_archE908ELNS1_3gpuE7ELNS1_3repE0EEENS1_30default_config_static_selectorELNS0_4arch9wavefront6targetE1EEEvT1_
		.amdhsa_group_segment_fixed_size 0
		.amdhsa_private_segment_fixed_size 0
		.amdhsa_kernarg_size 136
		.amdhsa_user_sgpr_count 6
		.amdhsa_user_sgpr_private_segment_buffer 1
		.amdhsa_user_sgpr_dispatch_ptr 0
		.amdhsa_user_sgpr_queue_ptr 0
		.amdhsa_user_sgpr_kernarg_segment_ptr 1
		.amdhsa_user_sgpr_dispatch_id 0
		.amdhsa_user_sgpr_flat_scratch_init 0
		.amdhsa_user_sgpr_kernarg_preload_length 0
		.amdhsa_user_sgpr_kernarg_preload_offset 0
		.amdhsa_user_sgpr_private_segment_size 0
		.amdhsa_uses_dynamic_stack 0
		.amdhsa_system_sgpr_private_segment_wavefront_offset 0
		.amdhsa_system_sgpr_workgroup_id_x 1
		.amdhsa_system_sgpr_workgroup_id_y 0
		.amdhsa_system_sgpr_workgroup_id_z 0
		.amdhsa_system_sgpr_workgroup_info 0
		.amdhsa_system_vgpr_workitem_id 0
		.amdhsa_next_free_vgpr 1
		.amdhsa_next_free_sgpr 0
		.amdhsa_accum_offset 4
		.amdhsa_reserve_vcc 0
		.amdhsa_reserve_flat_scratch 0
		.amdhsa_float_round_mode_32 0
		.amdhsa_float_round_mode_16_64 0
		.amdhsa_float_denorm_mode_32 3
		.amdhsa_float_denorm_mode_16_64 3
		.amdhsa_dx10_clamp 1
		.amdhsa_ieee_mode 1
		.amdhsa_fp16_overflow 0
		.amdhsa_tg_split 0
		.amdhsa_exception_fp_ieee_invalid_op 0
		.amdhsa_exception_fp_denorm_src 0
		.amdhsa_exception_fp_ieee_div_zero 0
		.amdhsa_exception_fp_ieee_overflow 0
		.amdhsa_exception_fp_ieee_underflow 0
		.amdhsa_exception_fp_ieee_inexact 0
		.amdhsa_exception_int_div_zero 0
	.end_amdhsa_kernel
	.section	.text._ZN7rocprim17ROCPRIM_400000_NS6detail17trampoline_kernelINS0_14default_configENS1_25partition_config_selectorILNS1_17partition_subalgoE2EsNS0_10empty_typeEbEEZZNS1_14partition_implILS5_2ELb0ES3_jN6thrust23THRUST_200600_302600_NS6detail15normal_iteratorINSA_7pointerIsNSA_11hip_rocprim3tagENSA_11use_defaultESG_EEEEPS6_NSA_18transform_iteratorI10is_orderedNSA_12zip_iteratorINSA_5tupleINSC_INSA_10device_ptrIsEEEESQ_NSA_9null_typeESR_SR_SR_SR_SR_SR_SR_EEEESG_SG_EENS0_5tupleIJPsSJ_EEENSV_IJSJ_SJ_EEES6_PlJS6_EEE10hipError_tPvRmT3_T4_T5_T6_T7_T9_mT8_P12ihipStream_tbDpT10_ENKUlT_T0_E_clISt17integral_constantIbLb1EES1I_IbLb0EEEEDaS1E_S1F_EUlS1E_E_NS1_11comp_targetILNS1_3genE3ELNS1_11target_archE908ELNS1_3gpuE7ELNS1_3repE0EEENS1_30default_config_static_selectorELNS0_4arch9wavefront6targetE1EEEvT1_,"axG",@progbits,_ZN7rocprim17ROCPRIM_400000_NS6detail17trampoline_kernelINS0_14default_configENS1_25partition_config_selectorILNS1_17partition_subalgoE2EsNS0_10empty_typeEbEEZZNS1_14partition_implILS5_2ELb0ES3_jN6thrust23THRUST_200600_302600_NS6detail15normal_iteratorINSA_7pointerIsNSA_11hip_rocprim3tagENSA_11use_defaultESG_EEEEPS6_NSA_18transform_iteratorI10is_orderedNSA_12zip_iteratorINSA_5tupleINSC_INSA_10device_ptrIsEEEESQ_NSA_9null_typeESR_SR_SR_SR_SR_SR_SR_EEEESG_SG_EENS0_5tupleIJPsSJ_EEENSV_IJSJ_SJ_EEES6_PlJS6_EEE10hipError_tPvRmT3_T4_T5_T6_T7_T9_mT8_P12ihipStream_tbDpT10_ENKUlT_T0_E_clISt17integral_constantIbLb1EES1I_IbLb0EEEEDaS1E_S1F_EUlS1E_E_NS1_11comp_targetILNS1_3genE3ELNS1_11target_archE908ELNS1_3gpuE7ELNS1_3repE0EEENS1_30default_config_static_selectorELNS0_4arch9wavefront6targetE1EEEvT1_,comdat
.Lfunc_end3645:
	.size	_ZN7rocprim17ROCPRIM_400000_NS6detail17trampoline_kernelINS0_14default_configENS1_25partition_config_selectorILNS1_17partition_subalgoE2EsNS0_10empty_typeEbEEZZNS1_14partition_implILS5_2ELb0ES3_jN6thrust23THRUST_200600_302600_NS6detail15normal_iteratorINSA_7pointerIsNSA_11hip_rocprim3tagENSA_11use_defaultESG_EEEEPS6_NSA_18transform_iteratorI10is_orderedNSA_12zip_iteratorINSA_5tupleINSC_INSA_10device_ptrIsEEEESQ_NSA_9null_typeESR_SR_SR_SR_SR_SR_SR_EEEESG_SG_EENS0_5tupleIJPsSJ_EEENSV_IJSJ_SJ_EEES6_PlJS6_EEE10hipError_tPvRmT3_T4_T5_T6_T7_T9_mT8_P12ihipStream_tbDpT10_ENKUlT_T0_E_clISt17integral_constantIbLb1EES1I_IbLb0EEEEDaS1E_S1F_EUlS1E_E_NS1_11comp_targetILNS1_3genE3ELNS1_11target_archE908ELNS1_3gpuE7ELNS1_3repE0EEENS1_30default_config_static_selectorELNS0_4arch9wavefront6targetE1EEEvT1_, .Lfunc_end3645-_ZN7rocprim17ROCPRIM_400000_NS6detail17trampoline_kernelINS0_14default_configENS1_25partition_config_selectorILNS1_17partition_subalgoE2EsNS0_10empty_typeEbEEZZNS1_14partition_implILS5_2ELb0ES3_jN6thrust23THRUST_200600_302600_NS6detail15normal_iteratorINSA_7pointerIsNSA_11hip_rocprim3tagENSA_11use_defaultESG_EEEEPS6_NSA_18transform_iteratorI10is_orderedNSA_12zip_iteratorINSA_5tupleINSC_INSA_10device_ptrIsEEEESQ_NSA_9null_typeESR_SR_SR_SR_SR_SR_SR_EEEESG_SG_EENS0_5tupleIJPsSJ_EEENSV_IJSJ_SJ_EEES6_PlJS6_EEE10hipError_tPvRmT3_T4_T5_T6_T7_T9_mT8_P12ihipStream_tbDpT10_ENKUlT_T0_E_clISt17integral_constantIbLb1EES1I_IbLb0EEEEDaS1E_S1F_EUlS1E_E_NS1_11comp_targetILNS1_3genE3ELNS1_11target_archE908ELNS1_3gpuE7ELNS1_3repE0EEENS1_30default_config_static_selectorELNS0_4arch9wavefront6targetE1EEEvT1_
                                        ; -- End function
	.section	.AMDGPU.csdata,"",@progbits
; Kernel info:
; codeLenInByte = 0
; NumSgprs: 4
; NumVgprs: 0
; NumAgprs: 0
; TotalNumVgprs: 0
; ScratchSize: 0
; MemoryBound: 0
; FloatMode: 240
; IeeeMode: 1
; LDSByteSize: 0 bytes/workgroup (compile time only)
; SGPRBlocks: 0
; VGPRBlocks: 0
; NumSGPRsForWavesPerEU: 4
; NumVGPRsForWavesPerEU: 1
; AccumOffset: 4
; Occupancy: 8
; WaveLimiterHint : 0
; COMPUTE_PGM_RSRC2:SCRATCH_EN: 0
; COMPUTE_PGM_RSRC2:USER_SGPR: 6
; COMPUTE_PGM_RSRC2:TRAP_HANDLER: 0
; COMPUTE_PGM_RSRC2:TGID_X_EN: 1
; COMPUTE_PGM_RSRC2:TGID_Y_EN: 0
; COMPUTE_PGM_RSRC2:TGID_Z_EN: 0
; COMPUTE_PGM_RSRC2:TIDIG_COMP_CNT: 0
; COMPUTE_PGM_RSRC3_GFX90A:ACCUM_OFFSET: 0
; COMPUTE_PGM_RSRC3_GFX90A:TG_SPLIT: 0
	.section	.text._ZN7rocprim17ROCPRIM_400000_NS6detail17trampoline_kernelINS0_14default_configENS1_25partition_config_selectorILNS1_17partition_subalgoE2EsNS0_10empty_typeEbEEZZNS1_14partition_implILS5_2ELb0ES3_jN6thrust23THRUST_200600_302600_NS6detail15normal_iteratorINSA_7pointerIsNSA_11hip_rocprim3tagENSA_11use_defaultESG_EEEEPS6_NSA_18transform_iteratorI10is_orderedNSA_12zip_iteratorINSA_5tupleINSC_INSA_10device_ptrIsEEEESQ_NSA_9null_typeESR_SR_SR_SR_SR_SR_SR_EEEESG_SG_EENS0_5tupleIJPsSJ_EEENSV_IJSJ_SJ_EEES6_PlJS6_EEE10hipError_tPvRmT3_T4_T5_T6_T7_T9_mT8_P12ihipStream_tbDpT10_ENKUlT_T0_E_clISt17integral_constantIbLb1EES1I_IbLb0EEEEDaS1E_S1F_EUlS1E_E_NS1_11comp_targetILNS1_3genE2ELNS1_11target_archE906ELNS1_3gpuE6ELNS1_3repE0EEENS1_30default_config_static_selectorELNS0_4arch9wavefront6targetE1EEEvT1_,"axG",@progbits,_ZN7rocprim17ROCPRIM_400000_NS6detail17trampoline_kernelINS0_14default_configENS1_25partition_config_selectorILNS1_17partition_subalgoE2EsNS0_10empty_typeEbEEZZNS1_14partition_implILS5_2ELb0ES3_jN6thrust23THRUST_200600_302600_NS6detail15normal_iteratorINSA_7pointerIsNSA_11hip_rocprim3tagENSA_11use_defaultESG_EEEEPS6_NSA_18transform_iteratorI10is_orderedNSA_12zip_iteratorINSA_5tupleINSC_INSA_10device_ptrIsEEEESQ_NSA_9null_typeESR_SR_SR_SR_SR_SR_SR_EEEESG_SG_EENS0_5tupleIJPsSJ_EEENSV_IJSJ_SJ_EEES6_PlJS6_EEE10hipError_tPvRmT3_T4_T5_T6_T7_T9_mT8_P12ihipStream_tbDpT10_ENKUlT_T0_E_clISt17integral_constantIbLb1EES1I_IbLb0EEEEDaS1E_S1F_EUlS1E_E_NS1_11comp_targetILNS1_3genE2ELNS1_11target_archE906ELNS1_3gpuE6ELNS1_3repE0EEENS1_30default_config_static_selectorELNS0_4arch9wavefront6targetE1EEEvT1_,comdat
	.protected	_ZN7rocprim17ROCPRIM_400000_NS6detail17trampoline_kernelINS0_14default_configENS1_25partition_config_selectorILNS1_17partition_subalgoE2EsNS0_10empty_typeEbEEZZNS1_14partition_implILS5_2ELb0ES3_jN6thrust23THRUST_200600_302600_NS6detail15normal_iteratorINSA_7pointerIsNSA_11hip_rocprim3tagENSA_11use_defaultESG_EEEEPS6_NSA_18transform_iteratorI10is_orderedNSA_12zip_iteratorINSA_5tupleINSC_INSA_10device_ptrIsEEEESQ_NSA_9null_typeESR_SR_SR_SR_SR_SR_SR_EEEESG_SG_EENS0_5tupleIJPsSJ_EEENSV_IJSJ_SJ_EEES6_PlJS6_EEE10hipError_tPvRmT3_T4_T5_T6_T7_T9_mT8_P12ihipStream_tbDpT10_ENKUlT_T0_E_clISt17integral_constantIbLb1EES1I_IbLb0EEEEDaS1E_S1F_EUlS1E_E_NS1_11comp_targetILNS1_3genE2ELNS1_11target_archE906ELNS1_3gpuE6ELNS1_3repE0EEENS1_30default_config_static_selectorELNS0_4arch9wavefront6targetE1EEEvT1_ ; -- Begin function _ZN7rocprim17ROCPRIM_400000_NS6detail17trampoline_kernelINS0_14default_configENS1_25partition_config_selectorILNS1_17partition_subalgoE2EsNS0_10empty_typeEbEEZZNS1_14partition_implILS5_2ELb0ES3_jN6thrust23THRUST_200600_302600_NS6detail15normal_iteratorINSA_7pointerIsNSA_11hip_rocprim3tagENSA_11use_defaultESG_EEEEPS6_NSA_18transform_iteratorI10is_orderedNSA_12zip_iteratorINSA_5tupleINSC_INSA_10device_ptrIsEEEESQ_NSA_9null_typeESR_SR_SR_SR_SR_SR_SR_EEEESG_SG_EENS0_5tupleIJPsSJ_EEENSV_IJSJ_SJ_EEES6_PlJS6_EEE10hipError_tPvRmT3_T4_T5_T6_T7_T9_mT8_P12ihipStream_tbDpT10_ENKUlT_T0_E_clISt17integral_constantIbLb1EES1I_IbLb0EEEEDaS1E_S1F_EUlS1E_E_NS1_11comp_targetILNS1_3genE2ELNS1_11target_archE906ELNS1_3gpuE6ELNS1_3repE0EEENS1_30default_config_static_selectorELNS0_4arch9wavefront6targetE1EEEvT1_
	.globl	_ZN7rocprim17ROCPRIM_400000_NS6detail17trampoline_kernelINS0_14default_configENS1_25partition_config_selectorILNS1_17partition_subalgoE2EsNS0_10empty_typeEbEEZZNS1_14partition_implILS5_2ELb0ES3_jN6thrust23THRUST_200600_302600_NS6detail15normal_iteratorINSA_7pointerIsNSA_11hip_rocprim3tagENSA_11use_defaultESG_EEEEPS6_NSA_18transform_iteratorI10is_orderedNSA_12zip_iteratorINSA_5tupleINSC_INSA_10device_ptrIsEEEESQ_NSA_9null_typeESR_SR_SR_SR_SR_SR_SR_EEEESG_SG_EENS0_5tupleIJPsSJ_EEENSV_IJSJ_SJ_EEES6_PlJS6_EEE10hipError_tPvRmT3_T4_T5_T6_T7_T9_mT8_P12ihipStream_tbDpT10_ENKUlT_T0_E_clISt17integral_constantIbLb1EES1I_IbLb0EEEEDaS1E_S1F_EUlS1E_E_NS1_11comp_targetILNS1_3genE2ELNS1_11target_archE906ELNS1_3gpuE6ELNS1_3repE0EEENS1_30default_config_static_selectorELNS0_4arch9wavefront6targetE1EEEvT1_
	.p2align	8
	.type	_ZN7rocprim17ROCPRIM_400000_NS6detail17trampoline_kernelINS0_14default_configENS1_25partition_config_selectorILNS1_17partition_subalgoE2EsNS0_10empty_typeEbEEZZNS1_14partition_implILS5_2ELb0ES3_jN6thrust23THRUST_200600_302600_NS6detail15normal_iteratorINSA_7pointerIsNSA_11hip_rocprim3tagENSA_11use_defaultESG_EEEEPS6_NSA_18transform_iteratorI10is_orderedNSA_12zip_iteratorINSA_5tupleINSC_INSA_10device_ptrIsEEEESQ_NSA_9null_typeESR_SR_SR_SR_SR_SR_SR_EEEESG_SG_EENS0_5tupleIJPsSJ_EEENSV_IJSJ_SJ_EEES6_PlJS6_EEE10hipError_tPvRmT3_T4_T5_T6_T7_T9_mT8_P12ihipStream_tbDpT10_ENKUlT_T0_E_clISt17integral_constantIbLb1EES1I_IbLb0EEEEDaS1E_S1F_EUlS1E_E_NS1_11comp_targetILNS1_3genE2ELNS1_11target_archE906ELNS1_3gpuE6ELNS1_3repE0EEENS1_30default_config_static_selectorELNS0_4arch9wavefront6targetE1EEEvT1_,@function
_ZN7rocprim17ROCPRIM_400000_NS6detail17trampoline_kernelINS0_14default_configENS1_25partition_config_selectorILNS1_17partition_subalgoE2EsNS0_10empty_typeEbEEZZNS1_14partition_implILS5_2ELb0ES3_jN6thrust23THRUST_200600_302600_NS6detail15normal_iteratorINSA_7pointerIsNSA_11hip_rocprim3tagENSA_11use_defaultESG_EEEEPS6_NSA_18transform_iteratorI10is_orderedNSA_12zip_iteratorINSA_5tupleINSC_INSA_10device_ptrIsEEEESQ_NSA_9null_typeESR_SR_SR_SR_SR_SR_SR_EEEESG_SG_EENS0_5tupleIJPsSJ_EEENSV_IJSJ_SJ_EEES6_PlJS6_EEE10hipError_tPvRmT3_T4_T5_T6_T7_T9_mT8_P12ihipStream_tbDpT10_ENKUlT_T0_E_clISt17integral_constantIbLb1EES1I_IbLb0EEEEDaS1E_S1F_EUlS1E_E_NS1_11comp_targetILNS1_3genE2ELNS1_11target_archE906ELNS1_3gpuE6ELNS1_3repE0EEENS1_30default_config_static_selectorELNS0_4arch9wavefront6targetE1EEEvT1_: ; @_ZN7rocprim17ROCPRIM_400000_NS6detail17trampoline_kernelINS0_14default_configENS1_25partition_config_selectorILNS1_17partition_subalgoE2EsNS0_10empty_typeEbEEZZNS1_14partition_implILS5_2ELb0ES3_jN6thrust23THRUST_200600_302600_NS6detail15normal_iteratorINSA_7pointerIsNSA_11hip_rocprim3tagENSA_11use_defaultESG_EEEEPS6_NSA_18transform_iteratorI10is_orderedNSA_12zip_iteratorINSA_5tupleINSC_INSA_10device_ptrIsEEEESQ_NSA_9null_typeESR_SR_SR_SR_SR_SR_SR_EEEESG_SG_EENS0_5tupleIJPsSJ_EEENSV_IJSJ_SJ_EEES6_PlJS6_EEE10hipError_tPvRmT3_T4_T5_T6_T7_T9_mT8_P12ihipStream_tbDpT10_ENKUlT_T0_E_clISt17integral_constantIbLb1EES1I_IbLb0EEEEDaS1E_S1F_EUlS1E_E_NS1_11comp_targetILNS1_3genE2ELNS1_11target_archE906ELNS1_3gpuE6ELNS1_3repE0EEENS1_30default_config_static_selectorELNS0_4arch9wavefront6targetE1EEEvT1_
; %bb.0:
	.section	.rodata,"a",@progbits
	.p2align	6, 0x0
	.amdhsa_kernel _ZN7rocprim17ROCPRIM_400000_NS6detail17trampoline_kernelINS0_14default_configENS1_25partition_config_selectorILNS1_17partition_subalgoE2EsNS0_10empty_typeEbEEZZNS1_14partition_implILS5_2ELb0ES3_jN6thrust23THRUST_200600_302600_NS6detail15normal_iteratorINSA_7pointerIsNSA_11hip_rocprim3tagENSA_11use_defaultESG_EEEEPS6_NSA_18transform_iteratorI10is_orderedNSA_12zip_iteratorINSA_5tupleINSC_INSA_10device_ptrIsEEEESQ_NSA_9null_typeESR_SR_SR_SR_SR_SR_SR_EEEESG_SG_EENS0_5tupleIJPsSJ_EEENSV_IJSJ_SJ_EEES6_PlJS6_EEE10hipError_tPvRmT3_T4_T5_T6_T7_T9_mT8_P12ihipStream_tbDpT10_ENKUlT_T0_E_clISt17integral_constantIbLb1EES1I_IbLb0EEEEDaS1E_S1F_EUlS1E_E_NS1_11comp_targetILNS1_3genE2ELNS1_11target_archE906ELNS1_3gpuE6ELNS1_3repE0EEENS1_30default_config_static_selectorELNS0_4arch9wavefront6targetE1EEEvT1_
		.amdhsa_group_segment_fixed_size 0
		.amdhsa_private_segment_fixed_size 0
		.amdhsa_kernarg_size 136
		.amdhsa_user_sgpr_count 6
		.amdhsa_user_sgpr_private_segment_buffer 1
		.amdhsa_user_sgpr_dispatch_ptr 0
		.amdhsa_user_sgpr_queue_ptr 0
		.amdhsa_user_sgpr_kernarg_segment_ptr 1
		.amdhsa_user_sgpr_dispatch_id 0
		.amdhsa_user_sgpr_flat_scratch_init 0
		.amdhsa_user_sgpr_kernarg_preload_length 0
		.amdhsa_user_sgpr_kernarg_preload_offset 0
		.amdhsa_user_sgpr_private_segment_size 0
		.amdhsa_uses_dynamic_stack 0
		.amdhsa_system_sgpr_private_segment_wavefront_offset 0
		.amdhsa_system_sgpr_workgroup_id_x 1
		.amdhsa_system_sgpr_workgroup_id_y 0
		.amdhsa_system_sgpr_workgroup_id_z 0
		.amdhsa_system_sgpr_workgroup_info 0
		.amdhsa_system_vgpr_workitem_id 0
		.amdhsa_next_free_vgpr 1
		.amdhsa_next_free_sgpr 0
		.amdhsa_accum_offset 4
		.amdhsa_reserve_vcc 0
		.amdhsa_reserve_flat_scratch 0
		.amdhsa_float_round_mode_32 0
		.amdhsa_float_round_mode_16_64 0
		.amdhsa_float_denorm_mode_32 3
		.amdhsa_float_denorm_mode_16_64 3
		.amdhsa_dx10_clamp 1
		.amdhsa_ieee_mode 1
		.amdhsa_fp16_overflow 0
		.amdhsa_tg_split 0
		.amdhsa_exception_fp_ieee_invalid_op 0
		.amdhsa_exception_fp_denorm_src 0
		.amdhsa_exception_fp_ieee_div_zero 0
		.amdhsa_exception_fp_ieee_overflow 0
		.amdhsa_exception_fp_ieee_underflow 0
		.amdhsa_exception_fp_ieee_inexact 0
		.amdhsa_exception_int_div_zero 0
	.end_amdhsa_kernel
	.section	.text._ZN7rocprim17ROCPRIM_400000_NS6detail17trampoline_kernelINS0_14default_configENS1_25partition_config_selectorILNS1_17partition_subalgoE2EsNS0_10empty_typeEbEEZZNS1_14partition_implILS5_2ELb0ES3_jN6thrust23THRUST_200600_302600_NS6detail15normal_iteratorINSA_7pointerIsNSA_11hip_rocprim3tagENSA_11use_defaultESG_EEEEPS6_NSA_18transform_iteratorI10is_orderedNSA_12zip_iteratorINSA_5tupleINSC_INSA_10device_ptrIsEEEESQ_NSA_9null_typeESR_SR_SR_SR_SR_SR_SR_EEEESG_SG_EENS0_5tupleIJPsSJ_EEENSV_IJSJ_SJ_EEES6_PlJS6_EEE10hipError_tPvRmT3_T4_T5_T6_T7_T9_mT8_P12ihipStream_tbDpT10_ENKUlT_T0_E_clISt17integral_constantIbLb1EES1I_IbLb0EEEEDaS1E_S1F_EUlS1E_E_NS1_11comp_targetILNS1_3genE2ELNS1_11target_archE906ELNS1_3gpuE6ELNS1_3repE0EEENS1_30default_config_static_selectorELNS0_4arch9wavefront6targetE1EEEvT1_,"axG",@progbits,_ZN7rocprim17ROCPRIM_400000_NS6detail17trampoline_kernelINS0_14default_configENS1_25partition_config_selectorILNS1_17partition_subalgoE2EsNS0_10empty_typeEbEEZZNS1_14partition_implILS5_2ELb0ES3_jN6thrust23THRUST_200600_302600_NS6detail15normal_iteratorINSA_7pointerIsNSA_11hip_rocprim3tagENSA_11use_defaultESG_EEEEPS6_NSA_18transform_iteratorI10is_orderedNSA_12zip_iteratorINSA_5tupleINSC_INSA_10device_ptrIsEEEESQ_NSA_9null_typeESR_SR_SR_SR_SR_SR_SR_EEEESG_SG_EENS0_5tupleIJPsSJ_EEENSV_IJSJ_SJ_EEES6_PlJS6_EEE10hipError_tPvRmT3_T4_T5_T6_T7_T9_mT8_P12ihipStream_tbDpT10_ENKUlT_T0_E_clISt17integral_constantIbLb1EES1I_IbLb0EEEEDaS1E_S1F_EUlS1E_E_NS1_11comp_targetILNS1_3genE2ELNS1_11target_archE906ELNS1_3gpuE6ELNS1_3repE0EEENS1_30default_config_static_selectorELNS0_4arch9wavefront6targetE1EEEvT1_,comdat
.Lfunc_end3646:
	.size	_ZN7rocprim17ROCPRIM_400000_NS6detail17trampoline_kernelINS0_14default_configENS1_25partition_config_selectorILNS1_17partition_subalgoE2EsNS0_10empty_typeEbEEZZNS1_14partition_implILS5_2ELb0ES3_jN6thrust23THRUST_200600_302600_NS6detail15normal_iteratorINSA_7pointerIsNSA_11hip_rocprim3tagENSA_11use_defaultESG_EEEEPS6_NSA_18transform_iteratorI10is_orderedNSA_12zip_iteratorINSA_5tupleINSC_INSA_10device_ptrIsEEEESQ_NSA_9null_typeESR_SR_SR_SR_SR_SR_SR_EEEESG_SG_EENS0_5tupleIJPsSJ_EEENSV_IJSJ_SJ_EEES6_PlJS6_EEE10hipError_tPvRmT3_T4_T5_T6_T7_T9_mT8_P12ihipStream_tbDpT10_ENKUlT_T0_E_clISt17integral_constantIbLb1EES1I_IbLb0EEEEDaS1E_S1F_EUlS1E_E_NS1_11comp_targetILNS1_3genE2ELNS1_11target_archE906ELNS1_3gpuE6ELNS1_3repE0EEENS1_30default_config_static_selectorELNS0_4arch9wavefront6targetE1EEEvT1_, .Lfunc_end3646-_ZN7rocprim17ROCPRIM_400000_NS6detail17trampoline_kernelINS0_14default_configENS1_25partition_config_selectorILNS1_17partition_subalgoE2EsNS0_10empty_typeEbEEZZNS1_14partition_implILS5_2ELb0ES3_jN6thrust23THRUST_200600_302600_NS6detail15normal_iteratorINSA_7pointerIsNSA_11hip_rocprim3tagENSA_11use_defaultESG_EEEEPS6_NSA_18transform_iteratorI10is_orderedNSA_12zip_iteratorINSA_5tupleINSC_INSA_10device_ptrIsEEEESQ_NSA_9null_typeESR_SR_SR_SR_SR_SR_SR_EEEESG_SG_EENS0_5tupleIJPsSJ_EEENSV_IJSJ_SJ_EEES6_PlJS6_EEE10hipError_tPvRmT3_T4_T5_T6_T7_T9_mT8_P12ihipStream_tbDpT10_ENKUlT_T0_E_clISt17integral_constantIbLb1EES1I_IbLb0EEEEDaS1E_S1F_EUlS1E_E_NS1_11comp_targetILNS1_3genE2ELNS1_11target_archE906ELNS1_3gpuE6ELNS1_3repE0EEENS1_30default_config_static_selectorELNS0_4arch9wavefront6targetE1EEEvT1_
                                        ; -- End function
	.section	.AMDGPU.csdata,"",@progbits
; Kernel info:
; codeLenInByte = 0
; NumSgprs: 4
; NumVgprs: 0
; NumAgprs: 0
; TotalNumVgprs: 0
; ScratchSize: 0
; MemoryBound: 0
; FloatMode: 240
; IeeeMode: 1
; LDSByteSize: 0 bytes/workgroup (compile time only)
; SGPRBlocks: 0
; VGPRBlocks: 0
; NumSGPRsForWavesPerEU: 4
; NumVGPRsForWavesPerEU: 1
; AccumOffset: 4
; Occupancy: 8
; WaveLimiterHint : 0
; COMPUTE_PGM_RSRC2:SCRATCH_EN: 0
; COMPUTE_PGM_RSRC2:USER_SGPR: 6
; COMPUTE_PGM_RSRC2:TRAP_HANDLER: 0
; COMPUTE_PGM_RSRC2:TGID_X_EN: 1
; COMPUTE_PGM_RSRC2:TGID_Y_EN: 0
; COMPUTE_PGM_RSRC2:TGID_Z_EN: 0
; COMPUTE_PGM_RSRC2:TIDIG_COMP_CNT: 0
; COMPUTE_PGM_RSRC3_GFX90A:ACCUM_OFFSET: 0
; COMPUTE_PGM_RSRC3_GFX90A:TG_SPLIT: 0
	.section	.text._ZN7rocprim17ROCPRIM_400000_NS6detail17trampoline_kernelINS0_14default_configENS1_25partition_config_selectorILNS1_17partition_subalgoE2EsNS0_10empty_typeEbEEZZNS1_14partition_implILS5_2ELb0ES3_jN6thrust23THRUST_200600_302600_NS6detail15normal_iteratorINSA_7pointerIsNSA_11hip_rocprim3tagENSA_11use_defaultESG_EEEEPS6_NSA_18transform_iteratorI10is_orderedNSA_12zip_iteratorINSA_5tupleINSC_INSA_10device_ptrIsEEEESQ_NSA_9null_typeESR_SR_SR_SR_SR_SR_SR_EEEESG_SG_EENS0_5tupleIJPsSJ_EEENSV_IJSJ_SJ_EEES6_PlJS6_EEE10hipError_tPvRmT3_T4_T5_T6_T7_T9_mT8_P12ihipStream_tbDpT10_ENKUlT_T0_E_clISt17integral_constantIbLb1EES1I_IbLb0EEEEDaS1E_S1F_EUlS1E_E_NS1_11comp_targetILNS1_3genE10ELNS1_11target_archE1200ELNS1_3gpuE4ELNS1_3repE0EEENS1_30default_config_static_selectorELNS0_4arch9wavefront6targetE1EEEvT1_,"axG",@progbits,_ZN7rocprim17ROCPRIM_400000_NS6detail17trampoline_kernelINS0_14default_configENS1_25partition_config_selectorILNS1_17partition_subalgoE2EsNS0_10empty_typeEbEEZZNS1_14partition_implILS5_2ELb0ES3_jN6thrust23THRUST_200600_302600_NS6detail15normal_iteratorINSA_7pointerIsNSA_11hip_rocprim3tagENSA_11use_defaultESG_EEEEPS6_NSA_18transform_iteratorI10is_orderedNSA_12zip_iteratorINSA_5tupleINSC_INSA_10device_ptrIsEEEESQ_NSA_9null_typeESR_SR_SR_SR_SR_SR_SR_EEEESG_SG_EENS0_5tupleIJPsSJ_EEENSV_IJSJ_SJ_EEES6_PlJS6_EEE10hipError_tPvRmT3_T4_T5_T6_T7_T9_mT8_P12ihipStream_tbDpT10_ENKUlT_T0_E_clISt17integral_constantIbLb1EES1I_IbLb0EEEEDaS1E_S1F_EUlS1E_E_NS1_11comp_targetILNS1_3genE10ELNS1_11target_archE1200ELNS1_3gpuE4ELNS1_3repE0EEENS1_30default_config_static_selectorELNS0_4arch9wavefront6targetE1EEEvT1_,comdat
	.protected	_ZN7rocprim17ROCPRIM_400000_NS6detail17trampoline_kernelINS0_14default_configENS1_25partition_config_selectorILNS1_17partition_subalgoE2EsNS0_10empty_typeEbEEZZNS1_14partition_implILS5_2ELb0ES3_jN6thrust23THRUST_200600_302600_NS6detail15normal_iteratorINSA_7pointerIsNSA_11hip_rocprim3tagENSA_11use_defaultESG_EEEEPS6_NSA_18transform_iteratorI10is_orderedNSA_12zip_iteratorINSA_5tupleINSC_INSA_10device_ptrIsEEEESQ_NSA_9null_typeESR_SR_SR_SR_SR_SR_SR_EEEESG_SG_EENS0_5tupleIJPsSJ_EEENSV_IJSJ_SJ_EEES6_PlJS6_EEE10hipError_tPvRmT3_T4_T5_T6_T7_T9_mT8_P12ihipStream_tbDpT10_ENKUlT_T0_E_clISt17integral_constantIbLb1EES1I_IbLb0EEEEDaS1E_S1F_EUlS1E_E_NS1_11comp_targetILNS1_3genE10ELNS1_11target_archE1200ELNS1_3gpuE4ELNS1_3repE0EEENS1_30default_config_static_selectorELNS0_4arch9wavefront6targetE1EEEvT1_ ; -- Begin function _ZN7rocprim17ROCPRIM_400000_NS6detail17trampoline_kernelINS0_14default_configENS1_25partition_config_selectorILNS1_17partition_subalgoE2EsNS0_10empty_typeEbEEZZNS1_14partition_implILS5_2ELb0ES3_jN6thrust23THRUST_200600_302600_NS6detail15normal_iteratorINSA_7pointerIsNSA_11hip_rocprim3tagENSA_11use_defaultESG_EEEEPS6_NSA_18transform_iteratorI10is_orderedNSA_12zip_iteratorINSA_5tupleINSC_INSA_10device_ptrIsEEEESQ_NSA_9null_typeESR_SR_SR_SR_SR_SR_SR_EEEESG_SG_EENS0_5tupleIJPsSJ_EEENSV_IJSJ_SJ_EEES6_PlJS6_EEE10hipError_tPvRmT3_T4_T5_T6_T7_T9_mT8_P12ihipStream_tbDpT10_ENKUlT_T0_E_clISt17integral_constantIbLb1EES1I_IbLb0EEEEDaS1E_S1F_EUlS1E_E_NS1_11comp_targetILNS1_3genE10ELNS1_11target_archE1200ELNS1_3gpuE4ELNS1_3repE0EEENS1_30default_config_static_selectorELNS0_4arch9wavefront6targetE1EEEvT1_
	.globl	_ZN7rocprim17ROCPRIM_400000_NS6detail17trampoline_kernelINS0_14default_configENS1_25partition_config_selectorILNS1_17partition_subalgoE2EsNS0_10empty_typeEbEEZZNS1_14partition_implILS5_2ELb0ES3_jN6thrust23THRUST_200600_302600_NS6detail15normal_iteratorINSA_7pointerIsNSA_11hip_rocprim3tagENSA_11use_defaultESG_EEEEPS6_NSA_18transform_iteratorI10is_orderedNSA_12zip_iteratorINSA_5tupleINSC_INSA_10device_ptrIsEEEESQ_NSA_9null_typeESR_SR_SR_SR_SR_SR_SR_EEEESG_SG_EENS0_5tupleIJPsSJ_EEENSV_IJSJ_SJ_EEES6_PlJS6_EEE10hipError_tPvRmT3_T4_T5_T6_T7_T9_mT8_P12ihipStream_tbDpT10_ENKUlT_T0_E_clISt17integral_constantIbLb1EES1I_IbLb0EEEEDaS1E_S1F_EUlS1E_E_NS1_11comp_targetILNS1_3genE10ELNS1_11target_archE1200ELNS1_3gpuE4ELNS1_3repE0EEENS1_30default_config_static_selectorELNS0_4arch9wavefront6targetE1EEEvT1_
	.p2align	8
	.type	_ZN7rocprim17ROCPRIM_400000_NS6detail17trampoline_kernelINS0_14default_configENS1_25partition_config_selectorILNS1_17partition_subalgoE2EsNS0_10empty_typeEbEEZZNS1_14partition_implILS5_2ELb0ES3_jN6thrust23THRUST_200600_302600_NS6detail15normal_iteratorINSA_7pointerIsNSA_11hip_rocprim3tagENSA_11use_defaultESG_EEEEPS6_NSA_18transform_iteratorI10is_orderedNSA_12zip_iteratorINSA_5tupleINSC_INSA_10device_ptrIsEEEESQ_NSA_9null_typeESR_SR_SR_SR_SR_SR_SR_EEEESG_SG_EENS0_5tupleIJPsSJ_EEENSV_IJSJ_SJ_EEES6_PlJS6_EEE10hipError_tPvRmT3_T4_T5_T6_T7_T9_mT8_P12ihipStream_tbDpT10_ENKUlT_T0_E_clISt17integral_constantIbLb1EES1I_IbLb0EEEEDaS1E_S1F_EUlS1E_E_NS1_11comp_targetILNS1_3genE10ELNS1_11target_archE1200ELNS1_3gpuE4ELNS1_3repE0EEENS1_30default_config_static_selectorELNS0_4arch9wavefront6targetE1EEEvT1_,@function
_ZN7rocprim17ROCPRIM_400000_NS6detail17trampoline_kernelINS0_14default_configENS1_25partition_config_selectorILNS1_17partition_subalgoE2EsNS0_10empty_typeEbEEZZNS1_14partition_implILS5_2ELb0ES3_jN6thrust23THRUST_200600_302600_NS6detail15normal_iteratorINSA_7pointerIsNSA_11hip_rocprim3tagENSA_11use_defaultESG_EEEEPS6_NSA_18transform_iteratorI10is_orderedNSA_12zip_iteratorINSA_5tupleINSC_INSA_10device_ptrIsEEEESQ_NSA_9null_typeESR_SR_SR_SR_SR_SR_SR_EEEESG_SG_EENS0_5tupleIJPsSJ_EEENSV_IJSJ_SJ_EEES6_PlJS6_EEE10hipError_tPvRmT3_T4_T5_T6_T7_T9_mT8_P12ihipStream_tbDpT10_ENKUlT_T0_E_clISt17integral_constantIbLb1EES1I_IbLb0EEEEDaS1E_S1F_EUlS1E_E_NS1_11comp_targetILNS1_3genE10ELNS1_11target_archE1200ELNS1_3gpuE4ELNS1_3repE0EEENS1_30default_config_static_selectorELNS0_4arch9wavefront6targetE1EEEvT1_: ; @_ZN7rocprim17ROCPRIM_400000_NS6detail17trampoline_kernelINS0_14default_configENS1_25partition_config_selectorILNS1_17partition_subalgoE2EsNS0_10empty_typeEbEEZZNS1_14partition_implILS5_2ELb0ES3_jN6thrust23THRUST_200600_302600_NS6detail15normal_iteratorINSA_7pointerIsNSA_11hip_rocprim3tagENSA_11use_defaultESG_EEEEPS6_NSA_18transform_iteratorI10is_orderedNSA_12zip_iteratorINSA_5tupleINSC_INSA_10device_ptrIsEEEESQ_NSA_9null_typeESR_SR_SR_SR_SR_SR_SR_EEEESG_SG_EENS0_5tupleIJPsSJ_EEENSV_IJSJ_SJ_EEES6_PlJS6_EEE10hipError_tPvRmT3_T4_T5_T6_T7_T9_mT8_P12ihipStream_tbDpT10_ENKUlT_T0_E_clISt17integral_constantIbLb1EES1I_IbLb0EEEEDaS1E_S1F_EUlS1E_E_NS1_11comp_targetILNS1_3genE10ELNS1_11target_archE1200ELNS1_3gpuE4ELNS1_3repE0EEENS1_30default_config_static_selectorELNS0_4arch9wavefront6targetE1EEEvT1_
; %bb.0:
	.section	.rodata,"a",@progbits
	.p2align	6, 0x0
	.amdhsa_kernel _ZN7rocprim17ROCPRIM_400000_NS6detail17trampoline_kernelINS0_14default_configENS1_25partition_config_selectorILNS1_17partition_subalgoE2EsNS0_10empty_typeEbEEZZNS1_14partition_implILS5_2ELb0ES3_jN6thrust23THRUST_200600_302600_NS6detail15normal_iteratorINSA_7pointerIsNSA_11hip_rocprim3tagENSA_11use_defaultESG_EEEEPS6_NSA_18transform_iteratorI10is_orderedNSA_12zip_iteratorINSA_5tupleINSC_INSA_10device_ptrIsEEEESQ_NSA_9null_typeESR_SR_SR_SR_SR_SR_SR_EEEESG_SG_EENS0_5tupleIJPsSJ_EEENSV_IJSJ_SJ_EEES6_PlJS6_EEE10hipError_tPvRmT3_T4_T5_T6_T7_T9_mT8_P12ihipStream_tbDpT10_ENKUlT_T0_E_clISt17integral_constantIbLb1EES1I_IbLb0EEEEDaS1E_S1F_EUlS1E_E_NS1_11comp_targetILNS1_3genE10ELNS1_11target_archE1200ELNS1_3gpuE4ELNS1_3repE0EEENS1_30default_config_static_selectorELNS0_4arch9wavefront6targetE1EEEvT1_
		.amdhsa_group_segment_fixed_size 0
		.amdhsa_private_segment_fixed_size 0
		.amdhsa_kernarg_size 136
		.amdhsa_user_sgpr_count 6
		.amdhsa_user_sgpr_private_segment_buffer 1
		.amdhsa_user_sgpr_dispatch_ptr 0
		.amdhsa_user_sgpr_queue_ptr 0
		.amdhsa_user_sgpr_kernarg_segment_ptr 1
		.amdhsa_user_sgpr_dispatch_id 0
		.amdhsa_user_sgpr_flat_scratch_init 0
		.amdhsa_user_sgpr_kernarg_preload_length 0
		.amdhsa_user_sgpr_kernarg_preload_offset 0
		.amdhsa_user_sgpr_private_segment_size 0
		.amdhsa_uses_dynamic_stack 0
		.amdhsa_system_sgpr_private_segment_wavefront_offset 0
		.amdhsa_system_sgpr_workgroup_id_x 1
		.amdhsa_system_sgpr_workgroup_id_y 0
		.amdhsa_system_sgpr_workgroup_id_z 0
		.amdhsa_system_sgpr_workgroup_info 0
		.amdhsa_system_vgpr_workitem_id 0
		.amdhsa_next_free_vgpr 1
		.amdhsa_next_free_sgpr 0
		.amdhsa_accum_offset 4
		.amdhsa_reserve_vcc 0
		.amdhsa_reserve_flat_scratch 0
		.amdhsa_float_round_mode_32 0
		.amdhsa_float_round_mode_16_64 0
		.amdhsa_float_denorm_mode_32 3
		.amdhsa_float_denorm_mode_16_64 3
		.amdhsa_dx10_clamp 1
		.amdhsa_ieee_mode 1
		.amdhsa_fp16_overflow 0
		.amdhsa_tg_split 0
		.amdhsa_exception_fp_ieee_invalid_op 0
		.amdhsa_exception_fp_denorm_src 0
		.amdhsa_exception_fp_ieee_div_zero 0
		.amdhsa_exception_fp_ieee_overflow 0
		.amdhsa_exception_fp_ieee_underflow 0
		.amdhsa_exception_fp_ieee_inexact 0
		.amdhsa_exception_int_div_zero 0
	.end_amdhsa_kernel
	.section	.text._ZN7rocprim17ROCPRIM_400000_NS6detail17trampoline_kernelINS0_14default_configENS1_25partition_config_selectorILNS1_17partition_subalgoE2EsNS0_10empty_typeEbEEZZNS1_14partition_implILS5_2ELb0ES3_jN6thrust23THRUST_200600_302600_NS6detail15normal_iteratorINSA_7pointerIsNSA_11hip_rocprim3tagENSA_11use_defaultESG_EEEEPS6_NSA_18transform_iteratorI10is_orderedNSA_12zip_iteratorINSA_5tupleINSC_INSA_10device_ptrIsEEEESQ_NSA_9null_typeESR_SR_SR_SR_SR_SR_SR_EEEESG_SG_EENS0_5tupleIJPsSJ_EEENSV_IJSJ_SJ_EEES6_PlJS6_EEE10hipError_tPvRmT3_T4_T5_T6_T7_T9_mT8_P12ihipStream_tbDpT10_ENKUlT_T0_E_clISt17integral_constantIbLb1EES1I_IbLb0EEEEDaS1E_S1F_EUlS1E_E_NS1_11comp_targetILNS1_3genE10ELNS1_11target_archE1200ELNS1_3gpuE4ELNS1_3repE0EEENS1_30default_config_static_selectorELNS0_4arch9wavefront6targetE1EEEvT1_,"axG",@progbits,_ZN7rocprim17ROCPRIM_400000_NS6detail17trampoline_kernelINS0_14default_configENS1_25partition_config_selectorILNS1_17partition_subalgoE2EsNS0_10empty_typeEbEEZZNS1_14partition_implILS5_2ELb0ES3_jN6thrust23THRUST_200600_302600_NS6detail15normal_iteratorINSA_7pointerIsNSA_11hip_rocprim3tagENSA_11use_defaultESG_EEEEPS6_NSA_18transform_iteratorI10is_orderedNSA_12zip_iteratorINSA_5tupleINSC_INSA_10device_ptrIsEEEESQ_NSA_9null_typeESR_SR_SR_SR_SR_SR_SR_EEEESG_SG_EENS0_5tupleIJPsSJ_EEENSV_IJSJ_SJ_EEES6_PlJS6_EEE10hipError_tPvRmT3_T4_T5_T6_T7_T9_mT8_P12ihipStream_tbDpT10_ENKUlT_T0_E_clISt17integral_constantIbLb1EES1I_IbLb0EEEEDaS1E_S1F_EUlS1E_E_NS1_11comp_targetILNS1_3genE10ELNS1_11target_archE1200ELNS1_3gpuE4ELNS1_3repE0EEENS1_30default_config_static_selectorELNS0_4arch9wavefront6targetE1EEEvT1_,comdat
.Lfunc_end3647:
	.size	_ZN7rocprim17ROCPRIM_400000_NS6detail17trampoline_kernelINS0_14default_configENS1_25partition_config_selectorILNS1_17partition_subalgoE2EsNS0_10empty_typeEbEEZZNS1_14partition_implILS5_2ELb0ES3_jN6thrust23THRUST_200600_302600_NS6detail15normal_iteratorINSA_7pointerIsNSA_11hip_rocprim3tagENSA_11use_defaultESG_EEEEPS6_NSA_18transform_iteratorI10is_orderedNSA_12zip_iteratorINSA_5tupleINSC_INSA_10device_ptrIsEEEESQ_NSA_9null_typeESR_SR_SR_SR_SR_SR_SR_EEEESG_SG_EENS0_5tupleIJPsSJ_EEENSV_IJSJ_SJ_EEES6_PlJS6_EEE10hipError_tPvRmT3_T4_T5_T6_T7_T9_mT8_P12ihipStream_tbDpT10_ENKUlT_T0_E_clISt17integral_constantIbLb1EES1I_IbLb0EEEEDaS1E_S1F_EUlS1E_E_NS1_11comp_targetILNS1_3genE10ELNS1_11target_archE1200ELNS1_3gpuE4ELNS1_3repE0EEENS1_30default_config_static_selectorELNS0_4arch9wavefront6targetE1EEEvT1_, .Lfunc_end3647-_ZN7rocprim17ROCPRIM_400000_NS6detail17trampoline_kernelINS0_14default_configENS1_25partition_config_selectorILNS1_17partition_subalgoE2EsNS0_10empty_typeEbEEZZNS1_14partition_implILS5_2ELb0ES3_jN6thrust23THRUST_200600_302600_NS6detail15normal_iteratorINSA_7pointerIsNSA_11hip_rocprim3tagENSA_11use_defaultESG_EEEEPS6_NSA_18transform_iteratorI10is_orderedNSA_12zip_iteratorINSA_5tupleINSC_INSA_10device_ptrIsEEEESQ_NSA_9null_typeESR_SR_SR_SR_SR_SR_SR_EEEESG_SG_EENS0_5tupleIJPsSJ_EEENSV_IJSJ_SJ_EEES6_PlJS6_EEE10hipError_tPvRmT3_T4_T5_T6_T7_T9_mT8_P12ihipStream_tbDpT10_ENKUlT_T0_E_clISt17integral_constantIbLb1EES1I_IbLb0EEEEDaS1E_S1F_EUlS1E_E_NS1_11comp_targetILNS1_3genE10ELNS1_11target_archE1200ELNS1_3gpuE4ELNS1_3repE0EEENS1_30default_config_static_selectorELNS0_4arch9wavefront6targetE1EEEvT1_
                                        ; -- End function
	.section	.AMDGPU.csdata,"",@progbits
; Kernel info:
; codeLenInByte = 0
; NumSgprs: 4
; NumVgprs: 0
; NumAgprs: 0
; TotalNumVgprs: 0
; ScratchSize: 0
; MemoryBound: 0
; FloatMode: 240
; IeeeMode: 1
; LDSByteSize: 0 bytes/workgroup (compile time only)
; SGPRBlocks: 0
; VGPRBlocks: 0
; NumSGPRsForWavesPerEU: 4
; NumVGPRsForWavesPerEU: 1
; AccumOffset: 4
; Occupancy: 8
; WaveLimiterHint : 0
; COMPUTE_PGM_RSRC2:SCRATCH_EN: 0
; COMPUTE_PGM_RSRC2:USER_SGPR: 6
; COMPUTE_PGM_RSRC2:TRAP_HANDLER: 0
; COMPUTE_PGM_RSRC2:TGID_X_EN: 1
; COMPUTE_PGM_RSRC2:TGID_Y_EN: 0
; COMPUTE_PGM_RSRC2:TGID_Z_EN: 0
; COMPUTE_PGM_RSRC2:TIDIG_COMP_CNT: 0
; COMPUTE_PGM_RSRC3_GFX90A:ACCUM_OFFSET: 0
; COMPUTE_PGM_RSRC3_GFX90A:TG_SPLIT: 0
	.section	.text._ZN7rocprim17ROCPRIM_400000_NS6detail17trampoline_kernelINS0_14default_configENS1_25partition_config_selectorILNS1_17partition_subalgoE2EsNS0_10empty_typeEbEEZZNS1_14partition_implILS5_2ELb0ES3_jN6thrust23THRUST_200600_302600_NS6detail15normal_iteratorINSA_7pointerIsNSA_11hip_rocprim3tagENSA_11use_defaultESG_EEEEPS6_NSA_18transform_iteratorI10is_orderedNSA_12zip_iteratorINSA_5tupleINSC_INSA_10device_ptrIsEEEESQ_NSA_9null_typeESR_SR_SR_SR_SR_SR_SR_EEEESG_SG_EENS0_5tupleIJPsSJ_EEENSV_IJSJ_SJ_EEES6_PlJS6_EEE10hipError_tPvRmT3_T4_T5_T6_T7_T9_mT8_P12ihipStream_tbDpT10_ENKUlT_T0_E_clISt17integral_constantIbLb1EES1I_IbLb0EEEEDaS1E_S1F_EUlS1E_E_NS1_11comp_targetILNS1_3genE9ELNS1_11target_archE1100ELNS1_3gpuE3ELNS1_3repE0EEENS1_30default_config_static_selectorELNS0_4arch9wavefront6targetE1EEEvT1_,"axG",@progbits,_ZN7rocprim17ROCPRIM_400000_NS6detail17trampoline_kernelINS0_14default_configENS1_25partition_config_selectorILNS1_17partition_subalgoE2EsNS0_10empty_typeEbEEZZNS1_14partition_implILS5_2ELb0ES3_jN6thrust23THRUST_200600_302600_NS6detail15normal_iteratorINSA_7pointerIsNSA_11hip_rocprim3tagENSA_11use_defaultESG_EEEEPS6_NSA_18transform_iteratorI10is_orderedNSA_12zip_iteratorINSA_5tupleINSC_INSA_10device_ptrIsEEEESQ_NSA_9null_typeESR_SR_SR_SR_SR_SR_SR_EEEESG_SG_EENS0_5tupleIJPsSJ_EEENSV_IJSJ_SJ_EEES6_PlJS6_EEE10hipError_tPvRmT3_T4_T5_T6_T7_T9_mT8_P12ihipStream_tbDpT10_ENKUlT_T0_E_clISt17integral_constantIbLb1EES1I_IbLb0EEEEDaS1E_S1F_EUlS1E_E_NS1_11comp_targetILNS1_3genE9ELNS1_11target_archE1100ELNS1_3gpuE3ELNS1_3repE0EEENS1_30default_config_static_selectorELNS0_4arch9wavefront6targetE1EEEvT1_,comdat
	.protected	_ZN7rocprim17ROCPRIM_400000_NS6detail17trampoline_kernelINS0_14default_configENS1_25partition_config_selectorILNS1_17partition_subalgoE2EsNS0_10empty_typeEbEEZZNS1_14partition_implILS5_2ELb0ES3_jN6thrust23THRUST_200600_302600_NS6detail15normal_iteratorINSA_7pointerIsNSA_11hip_rocprim3tagENSA_11use_defaultESG_EEEEPS6_NSA_18transform_iteratorI10is_orderedNSA_12zip_iteratorINSA_5tupleINSC_INSA_10device_ptrIsEEEESQ_NSA_9null_typeESR_SR_SR_SR_SR_SR_SR_EEEESG_SG_EENS0_5tupleIJPsSJ_EEENSV_IJSJ_SJ_EEES6_PlJS6_EEE10hipError_tPvRmT3_T4_T5_T6_T7_T9_mT8_P12ihipStream_tbDpT10_ENKUlT_T0_E_clISt17integral_constantIbLb1EES1I_IbLb0EEEEDaS1E_S1F_EUlS1E_E_NS1_11comp_targetILNS1_3genE9ELNS1_11target_archE1100ELNS1_3gpuE3ELNS1_3repE0EEENS1_30default_config_static_selectorELNS0_4arch9wavefront6targetE1EEEvT1_ ; -- Begin function _ZN7rocprim17ROCPRIM_400000_NS6detail17trampoline_kernelINS0_14default_configENS1_25partition_config_selectorILNS1_17partition_subalgoE2EsNS0_10empty_typeEbEEZZNS1_14partition_implILS5_2ELb0ES3_jN6thrust23THRUST_200600_302600_NS6detail15normal_iteratorINSA_7pointerIsNSA_11hip_rocprim3tagENSA_11use_defaultESG_EEEEPS6_NSA_18transform_iteratorI10is_orderedNSA_12zip_iteratorINSA_5tupleINSC_INSA_10device_ptrIsEEEESQ_NSA_9null_typeESR_SR_SR_SR_SR_SR_SR_EEEESG_SG_EENS0_5tupleIJPsSJ_EEENSV_IJSJ_SJ_EEES6_PlJS6_EEE10hipError_tPvRmT3_T4_T5_T6_T7_T9_mT8_P12ihipStream_tbDpT10_ENKUlT_T0_E_clISt17integral_constantIbLb1EES1I_IbLb0EEEEDaS1E_S1F_EUlS1E_E_NS1_11comp_targetILNS1_3genE9ELNS1_11target_archE1100ELNS1_3gpuE3ELNS1_3repE0EEENS1_30default_config_static_selectorELNS0_4arch9wavefront6targetE1EEEvT1_
	.globl	_ZN7rocprim17ROCPRIM_400000_NS6detail17trampoline_kernelINS0_14default_configENS1_25partition_config_selectorILNS1_17partition_subalgoE2EsNS0_10empty_typeEbEEZZNS1_14partition_implILS5_2ELb0ES3_jN6thrust23THRUST_200600_302600_NS6detail15normal_iteratorINSA_7pointerIsNSA_11hip_rocprim3tagENSA_11use_defaultESG_EEEEPS6_NSA_18transform_iteratorI10is_orderedNSA_12zip_iteratorINSA_5tupleINSC_INSA_10device_ptrIsEEEESQ_NSA_9null_typeESR_SR_SR_SR_SR_SR_SR_EEEESG_SG_EENS0_5tupleIJPsSJ_EEENSV_IJSJ_SJ_EEES6_PlJS6_EEE10hipError_tPvRmT3_T4_T5_T6_T7_T9_mT8_P12ihipStream_tbDpT10_ENKUlT_T0_E_clISt17integral_constantIbLb1EES1I_IbLb0EEEEDaS1E_S1F_EUlS1E_E_NS1_11comp_targetILNS1_3genE9ELNS1_11target_archE1100ELNS1_3gpuE3ELNS1_3repE0EEENS1_30default_config_static_selectorELNS0_4arch9wavefront6targetE1EEEvT1_
	.p2align	8
	.type	_ZN7rocprim17ROCPRIM_400000_NS6detail17trampoline_kernelINS0_14default_configENS1_25partition_config_selectorILNS1_17partition_subalgoE2EsNS0_10empty_typeEbEEZZNS1_14partition_implILS5_2ELb0ES3_jN6thrust23THRUST_200600_302600_NS6detail15normal_iteratorINSA_7pointerIsNSA_11hip_rocprim3tagENSA_11use_defaultESG_EEEEPS6_NSA_18transform_iteratorI10is_orderedNSA_12zip_iteratorINSA_5tupleINSC_INSA_10device_ptrIsEEEESQ_NSA_9null_typeESR_SR_SR_SR_SR_SR_SR_EEEESG_SG_EENS0_5tupleIJPsSJ_EEENSV_IJSJ_SJ_EEES6_PlJS6_EEE10hipError_tPvRmT3_T4_T5_T6_T7_T9_mT8_P12ihipStream_tbDpT10_ENKUlT_T0_E_clISt17integral_constantIbLb1EES1I_IbLb0EEEEDaS1E_S1F_EUlS1E_E_NS1_11comp_targetILNS1_3genE9ELNS1_11target_archE1100ELNS1_3gpuE3ELNS1_3repE0EEENS1_30default_config_static_selectorELNS0_4arch9wavefront6targetE1EEEvT1_,@function
_ZN7rocprim17ROCPRIM_400000_NS6detail17trampoline_kernelINS0_14default_configENS1_25partition_config_selectorILNS1_17partition_subalgoE2EsNS0_10empty_typeEbEEZZNS1_14partition_implILS5_2ELb0ES3_jN6thrust23THRUST_200600_302600_NS6detail15normal_iteratorINSA_7pointerIsNSA_11hip_rocprim3tagENSA_11use_defaultESG_EEEEPS6_NSA_18transform_iteratorI10is_orderedNSA_12zip_iteratorINSA_5tupleINSC_INSA_10device_ptrIsEEEESQ_NSA_9null_typeESR_SR_SR_SR_SR_SR_SR_EEEESG_SG_EENS0_5tupleIJPsSJ_EEENSV_IJSJ_SJ_EEES6_PlJS6_EEE10hipError_tPvRmT3_T4_T5_T6_T7_T9_mT8_P12ihipStream_tbDpT10_ENKUlT_T0_E_clISt17integral_constantIbLb1EES1I_IbLb0EEEEDaS1E_S1F_EUlS1E_E_NS1_11comp_targetILNS1_3genE9ELNS1_11target_archE1100ELNS1_3gpuE3ELNS1_3repE0EEENS1_30default_config_static_selectorELNS0_4arch9wavefront6targetE1EEEvT1_: ; @_ZN7rocprim17ROCPRIM_400000_NS6detail17trampoline_kernelINS0_14default_configENS1_25partition_config_selectorILNS1_17partition_subalgoE2EsNS0_10empty_typeEbEEZZNS1_14partition_implILS5_2ELb0ES3_jN6thrust23THRUST_200600_302600_NS6detail15normal_iteratorINSA_7pointerIsNSA_11hip_rocprim3tagENSA_11use_defaultESG_EEEEPS6_NSA_18transform_iteratorI10is_orderedNSA_12zip_iteratorINSA_5tupleINSC_INSA_10device_ptrIsEEEESQ_NSA_9null_typeESR_SR_SR_SR_SR_SR_SR_EEEESG_SG_EENS0_5tupleIJPsSJ_EEENSV_IJSJ_SJ_EEES6_PlJS6_EEE10hipError_tPvRmT3_T4_T5_T6_T7_T9_mT8_P12ihipStream_tbDpT10_ENKUlT_T0_E_clISt17integral_constantIbLb1EES1I_IbLb0EEEEDaS1E_S1F_EUlS1E_E_NS1_11comp_targetILNS1_3genE9ELNS1_11target_archE1100ELNS1_3gpuE3ELNS1_3repE0EEENS1_30default_config_static_selectorELNS0_4arch9wavefront6targetE1EEEvT1_
; %bb.0:
	.section	.rodata,"a",@progbits
	.p2align	6, 0x0
	.amdhsa_kernel _ZN7rocprim17ROCPRIM_400000_NS6detail17trampoline_kernelINS0_14default_configENS1_25partition_config_selectorILNS1_17partition_subalgoE2EsNS0_10empty_typeEbEEZZNS1_14partition_implILS5_2ELb0ES3_jN6thrust23THRUST_200600_302600_NS6detail15normal_iteratorINSA_7pointerIsNSA_11hip_rocprim3tagENSA_11use_defaultESG_EEEEPS6_NSA_18transform_iteratorI10is_orderedNSA_12zip_iteratorINSA_5tupleINSC_INSA_10device_ptrIsEEEESQ_NSA_9null_typeESR_SR_SR_SR_SR_SR_SR_EEEESG_SG_EENS0_5tupleIJPsSJ_EEENSV_IJSJ_SJ_EEES6_PlJS6_EEE10hipError_tPvRmT3_T4_T5_T6_T7_T9_mT8_P12ihipStream_tbDpT10_ENKUlT_T0_E_clISt17integral_constantIbLb1EES1I_IbLb0EEEEDaS1E_S1F_EUlS1E_E_NS1_11comp_targetILNS1_3genE9ELNS1_11target_archE1100ELNS1_3gpuE3ELNS1_3repE0EEENS1_30default_config_static_selectorELNS0_4arch9wavefront6targetE1EEEvT1_
		.amdhsa_group_segment_fixed_size 0
		.amdhsa_private_segment_fixed_size 0
		.amdhsa_kernarg_size 136
		.amdhsa_user_sgpr_count 6
		.amdhsa_user_sgpr_private_segment_buffer 1
		.amdhsa_user_sgpr_dispatch_ptr 0
		.amdhsa_user_sgpr_queue_ptr 0
		.amdhsa_user_sgpr_kernarg_segment_ptr 1
		.amdhsa_user_sgpr_dispatch_id 0
		.amdhsa_user_sgpr_flat_scratch_init 0
		.amdhsa_user_sgpr_kernarg_preload_length 0
		.amdhsa_user_sgpr_kernarg_preload_offset 0
		.amdhsa_user_sgpr_private_segment_size 0
		.amdhsa_uses_dynamic_stack 0
		.amdhsa_system_sgpr_private_segment_wavefront_offset 0
		.amdhsa_system_sgpr_workgroup_id_x 1
		.amdhsa_system_sgpr_workgroup_id_y 0
		.amdhsa_system_sgpr_workgroup_id_z 0
		.amdhsa_system_sgpr_workgroup_info 0
		.amdhsa_system_vgpr_workitem_id 0
		.amdhsa_next_free_vgpr 1
		.amdhsa_next_free_sgpr 0
		.amdhsa_accum_offset 4
		.amdhsa_reserve_vcc 0
		.amdhsa_reserve_flat_scratch 0
		.amdhsa_float_round_mode_32 0
		.amdhsa_float_round_mode_16_64 0
		.amdhsa_float_denorm_mode_32 3
		.amdhsa_float_denorm_mode_16_64 3
		.amdhsa_dx10_clamp 1
		.amdhsa_ieee_mode 1
		.amdhsa_fp16_overflow 0
		.amdhsa_tg_split 0
		.amdhsa_exception_fp_ieee_invalid_op 0
		.amdhsa_exception_fp_denorm_src 0
		.amdhsa_exception_fp_ieee_div_zero 0
		.amdhsa_exception_fp_ieee_overflow 0
		.amdhsa_exception_fp_ieee_underflow 0
		.amdhsa_exception_fp_ieee_inexact 0
		.amdhsa_exception_int_div_zero 0
	.end_amdhsa_kernel
	.section	.text._ZN7rocprim17ROCPRIM_400000_NS6detail17trampoline_kernelINS0_14default_configENS1_25partition_config_selectorILNS1_17partition_subalgoE2EsNS0_10empty_typeEbEEZZNS1_14partition_implILS5_2ELb0ES3_jN6thrust23THRUST_200600_302600_NS6detail15normal_iteratorINSA_7pointerIsNSA_11hip_rocprim3tagENSA_11use_defaultESG_EEEEPS6_NSA_18transform_iteratorI10is_orderedNSA_12zip_iteratorINSA_5tupleINSC_INSA_10device_ptrIsEEEESQ_NSA_9null_typeESR_SR_SR_SR_SR_SR_SR_EEEESG_SG_EENS0_5tupleIJPsSJ_EEENSV_IJSJ_SJ_EEES6_PlJS6_EEE10hipError_tPvRmT3_T4_T5_T6_T7_T9_mT8_P12ihipStream_tbDpT10_ENKUlT_T0_E_clISt17integral_constantIbLb1EES1I_IbLb0EEEEDaS1E_S1F_EUlS1E_E_NS1_11comp_targetILNS1_3genE9ELNS1_11target_archE1100ELNS1_3gpuE3ELNS1_3repE0EEENS1_30default_config_static_selectorELNS0_4arch9wavefront6targetE1EEEvT1_,"axG",@progbits,_ZN7rocprim17ROCPRIM_400000_NS6detail17trampoline_kernelINS0_14default_configENS1_25partition_config_selectorILNS1_17partition_subalgoE2EsNS0_10empty_typeEbEEZZNS1_14partition_implILS5_2ELb0ES3_jN6thrust23THRUST_200600_302600_NS6detail15normal_iteratorINSA_7pointerIsNSA_11hip_rocprim3tagENSA_11use_defaultESG_EEEEPS6_NSA_18transform_iteratorI10is_orderedNSA_12zip_iteratorINSA_5tupleINSC_INSA_10device_ptrIsEEEESQ_NSA_9null_typeESR_SR_SR_SR_SR_SR_SR_EEEESG_SG_EENS0_5tupleIJPsSJ_EEENSV_IJSJ_SJ_EEES6_PlJS6_EEE10hipError_tPvRmT3_T4_T5_T6_T7_T9_mT8_P12ihipStream_tbDpT10_ENKUlT_T0_E_clISt17integral_constantIbLb1EES1I_IbLb0EEEEDaS1E_S1F_EUlS1E_E_NS1_11comp_targetILNS1_3genE9ELNS1_11target_archE1100ELNS1_3gpuE3ELNS1_3repE0EEENS1_30default_config_static_selectorELNS0_4arch9wavefront6targetE1EEEvT1_,comdat
.Lfunc_end3648:
	.size	_ZN7rocprim17ROCPRIM_400000_NS6detail17trampoline_kernelINS0_14default_configENS1_25partition_config_selectorILNS1_17partition_subalgoE2EsNS0_10empty_typeEbEEZZNS1_14partition_implILS5_2ELb0ES3_jN6thrust23THRUST_200600_302600_NS6detail15normal_iteratorINSA_7pointerIsNSA_11hip_rocprim3tagENSA_11use_defaultESG_EEEEPS6_NSA_18transform_iteratorI10is_orderedNSA_12zip_iteratorINSA_5tupleINSC_INSA_10device_ptrIsEEEESQ_NSA_9null_typeESR_SR_SR_SR_SR_SR_SR_EEEESG_SG_EENS0_5tupleIJPsSJ_EEENSV_IJSJ_SJ_EEES6_PlJS6_EEE10hipError_tPvRmT3_T4_T5_T6_T7_T9_mT8_P12ihipStream_tbDpT10_ENKUlT_T0_E_clISt17integral_constantIbLb1EES1I_IbLb0EEEEDaS1E_S1F_EUlS1E_E_NS1_11comp_targetILNS1_3genE9ELNS1_11target_archE1100ELNS1_3gpuE3ELNS1_3repE0EEENS1_30default_config_static_selectorELNS0_4arch9wavefront6targetE1EEEvT1_, .Lfunc_end3648-_ZN7rocprim17ROCPRIM_400000_NS6detail17trampoline_kernelINS0_14default_configENS1_25partition_config_selectorILNS1_17partition_subalgoE2EsNS0_10empty_typeEbEEZZNS1_14partition_implILS5_2ELb0ES3_jN6thrust23THRUST_200600_302600_NS6detail15normal_iteratorINSA_7pointerIsNSA_11hip_rocprim3tagENSA_11use_defaultESG_EEEEPS6_NSA_18transform_iteratorI10is_orderedNSA_12zip_iteratorINSA_5tupleINSC_INSA_10device_ptrIsEEEESQ_NSA_9null_typeESR_SR_SR_SR_SR_SR_SR_EEEESG_SG_EENS0_5tupleIJPsSJ_EEENSV_IJSJ_SJ_EEES6_PlJS6_EEE10hipError_tPvRmT3_T4_T5_T6_T7_T9_mT8_P12ihipStream_tbDpT10_ENKUlT_T0_E_clISt17integral_constantIbLb1EES1I_IbLb0EEEEDaS1E_S1F_EUlS1E_E_NS1_11comp_targetILNS1_3genE9ELNS1_11target_archE1100ELNS1_3gpuE3ELNS1_3repE0EEENS1_30default_config_static_selectorELNS0_4arch9wavefront6targetE1EEEvT1_
                                        ; -- End function
	.section	.AMDGPU.csdata,"",@progbits
; Kernel info:
; codeLenInByte = 0
; NumSgprs: 4
; NumVgprs: 0
; NumAgprs: 0
; TotalNumVgprs: 0
; ScratchSize: 0
; MemoryBound: 0
; FloatMode: 240
; IeeeMode: 1
; LDSByteSize: 0 bytes/workgroup (compile time only)
; SGPRBlocks: 0
; VGPRBlocks: 0
; NumSGPRsForWavesPerEU: 4
; NumVGPRsForWavesPerEU: 1
; AccumOffset: 4
; Occupancy: 8
; WaveLimiterHint : 0
; COMPUTE_PGM_RSRC2:SCRATCH_EN: 0
; COMPUTE_PGM_RSRC2:USER_SGPR: 6
; COMPUTE_PGM_RSRC2:TRAP_HANDLER: 0
; COMPUTE_PGM_RSRC2:TGID_X_EN: 1
; COMPUTE_PGM_RSRC2:TGID_Y_EN: 0
; COMPUTE_PGM_RSRC2:TGID_Z_EN: 0
; COMPUTE_PGM_RSRC2:TIDIG_COMP_CNT: 0
; COMPUTE_PGM_RSRC3_GFX90A:ACCUM_OFFSET: 0
; COMPUTE_PGM_RSRC3_GFX90A:TG_SPLIT: 0
	.section	.text._ZN7rocprim17ROCPRIM_400000_NS6detail17trampoline_kernelINS0_14default_configENS1_25partition_config_selectorILNS1_17partition_subalgoE2EsNS0_10empty_typeEbEEZZNS1_14partition_implILS5_2ELb0ES3_jN6thrust23THRUST_200600_302600_NS6detail15normal_iteratorINSA_7pointerIsNSA_11hip_rocprim3tagENSA_11use_defaultESG_EEEEPS6_NSA_18transform_iteratorI10is_orderedNSA_12zip_iteratorINSA_5tupleINSC_INSA_10device_ptrIsEEEESQ_NSA_9null_typeESR_SR_SR_SR_SR_SR_SR_EEEESG_SG_EENS0_5tupleIJPsSJ_EEENSV_IJSJ_SJ_EEES6_PlJS6_EEE10hipError_tPvRmT3_T4_T5_T6_T7_T9_mT8_P12ihipStream_tbDpT10_ENKUlT_T0_E_clISt17integral_constantIbLb1EES1I_IbLb0EEEEDaS1E_S1F_EUlS1E_E_NS1_11comp_targetILNS1_3genE8ELNS1_11target_archE1030ELNS1_3gpuE2ELNS1_3repE0EEENS1_30default_config_static_selectorELNS0_4arch9wavefront6targetE1EEEvT1_,"axG",@progbits,_ZN7rocprim17ROCPRIM_400000_NS6detail17trampoline_kernelINS0_14default_configENS1_25partition_config_selectorILNS1_17partition_subalgoE2EsNS0_10empty_typeEbEEZZNS1_14partition_implILS5_2ELb0ES3_jN6thrust23THRUST_200600_302600_NS6detail15normal_iteratorINSA_7pointerIsNSA_11hip_rocprim3tagENSA_11use_defaultESG_EEEEPS6_NSA_18transform_iteratorI10is_orderedNSA_12zip_iteratorINSA_5tupleINSC_INSA_10device_ptrIsEEEESQ_NSA_9null_typeESR_SR_SR_SR_SR_SR_SR_EEEESG_SG_EENS0_5tupleIJPsSJ_EEENSV_IJSJ_SJ_EEES6_PlJS6_EEE10hipError_tPvRmT3_T4_T5_T6_T7_T9_mT8_P12ihipStream_tbDpT10_ENKUlT_T0_E_clISt17integral_constantIbLb1EES1I_IbLb0EEEEDaS1E_S1F_EUlS1E_E_NS1_11comp_targetILNS1_3genE8ELNS1_11target_archE1030ELNS1_3gpuE2ELNS1_3repE0EEENS1_30default_config_static_selectorELNS0_4arch9wavefront6targetE1EEEvT1_,comdat
	.protected	_ZN7rocprim17ROCPRIM_400000_NS6detail17trampoline_kernelINS0_14default_configENS1_25partition_config_selectorILNS1_17partition_subalgoE2EsNS0_10empty_typeEbEEZZNS1_14partition_implILS5_2ELb0ES3_jN6thrust23THRUST_200600_302600_NS6detail15normal_iteratorINSA_7pointerIsNSA_11hip_rocprim3tagENSA_11use_defaultESG_EEEEPS6_NSA_18transform_iteratorI10is_orderedNSA_12zip_iteratorINSA_5tupleINSC_INSA_10device_ptrIsEEEESQ_NSA_9null_typeESR_SR_SR_SR_SR_SR_SR_EEEESG_SG_EENS0_5tupleIJPsSJ_EEENSV_IJSJ_SJ_EEES6_PlJS6_EEE10hipError_tPvRmT3_T4_T5_T6_T7_T9_mT8_P12ihipStream_tbDpT10_ENKUlT_T0_E_clISt17integral_constantIbLb1EES1I_IbLb0EEEEDaS1E_S1F_EUlS1E_E_NS1_11comp_targetILNS1_3genE8ELNS1_11target_archE1030ELNS1_3gpuE2ELNS1_3repE0EEENS1_30default_config_static_selectorELNS0_4arch9wavefront6targetE1EEEvT1_ ; -- Begin function _ZN7rocprim17ROCPRIM_400000_NS6detail17trampoline_kernelINS0_14default_configENS1_25partition_config_selectorILNS1_17partition_subalgoE2EsNS0_10empty_typeEbEEZZNS1_14partition_implILS5_2ELb0ES3_jN6thrust23THRUST_200600_302600_NS6detail15normal_iteratorINSA_7pointerIsNSA_11hip_rocprim3tagENSA_11use_defaultESG_EEEEPS6_NSA_18transform_iteratorI10is_orderedNSA_12zip_iteratorINSA_5tupleINSC_INSA_10device_ptrIsEEEESQ_NSA_9null_typeESR_SR_SR_SR_SR_SR_SR_EEEESG_SG_EENS0_5tupleIJPsSJ_EEENSV_IJSJ_SJ_EEES6_PlJS6_EEE10hipError_tPvRmT3_T4_T5_T6_T7_T9_mT8_P12ihipStream_tbDpT10_ENKUlT_T0_E_clISt17integral_constantIbLb1EES1I_IbLb0EEEEDaS1E_S1F_EUlS1E_E_NS1_11comp_targetILNS1_3genE8ELNS1_11target_archE1030ELNS1_3gpuE2ELNS1_3repE0EEENS1_30default_config_static_selectorELNS0_4arch9wavefront6targetE1EEEvT1_
	.globl	_ZN7rocprim17ROCPRIM_400000_NS6detail17trampoline_kernelINS0_14default_configENS1_25partition_config_selectorILNS1_17partition_subalgoE2EsNS0_10empty_typeEbEEZZNS1_14partition_implILS5_2ELb0ES3_jN6thrust23THRUST_200600_302600_NS6detail15normal_iteratorINSA_7pointerIsNSA_11hip_rocprim3tagENSA_11use_defaultESG_EEEEPS6_NSA_18transform_iteratorI10is_orderedNSA_12zip_iteratorINSA_5tupleINSC_INSA_10device_ptrIsEEEESQ_NSA_9null_typeESR_SR_SR_SR_SR_SR_SR_EEEESG_SG_EENS0_5tupleIJPsSJ_EEENSV_IJSJ_SJ_EEES6_PlJS6_EEE10hipError_tPvRmT3_T4_T5_T6_T7_T9_mT8_P12ihipStream_tbDpT10_ENKUlT_T0_E_clISt17integral_constantIbLb1EES1I_IbLb0EEEEDaS1E_S1F_EUlS1E_E_NS1_11comp_targetILNS1_3genE8ELNS1_11target_archE1030ELNS1_3gpuE2ELNS1_3repE0EEENS1_30default_config_static_selectorELNS0_4arch9wavefront6targetE1EEEvT1_
	.p2align	8
	.type	_ZN7rocprim17ROCPRIM_400000_NS6detail17trampoline_kernelINS0_14default_configENS1_25partition_config_selectorILNS1_17partition_subalgoE2EsNS0_10empty_typeEbEEZZNS1_14partition_implILS5_2ELb0ES3_jN6thrust23THRUST_200600_302600_NS6detail15normal_iteratorINSA_7pointerIsNSA_11hip_rocprim3tagENSA_11use_defaultESG_EEEEPS6_NSA_18transform_iteratorI10is_orderedNSA_12zip_iteratorINSA_5tupleINSC_INSA_10device_ptrIsEEEESQ_NSA_9null_typeESR_SR_SR_SR_SR_SR_SR_EEEESG_SG_EENS0_5tupleIJPsSJ_EEENSV_IJSJ_SJ_EEES6_PlJS6_EEE10hipError_tPvRmT3_T4_T5_T6_T7_T9_mT8_P12ihipStream_tbDpT10_ENKUlT_T0_E_clISt17integral_constantIbLb1EES1I_IbLb0EEEEDaS1E_S1F_EUlS1E_E_NS1_11comp_targetILNS1_3genE8ELNS1_11target_archE1030ELNS1_3gpuE2ELNS1_3repE0EEENS1_30default_config_static_selectorELNS0_4arch9wavefront6targetE1EEEvT1_,@function
_ZN7rocprim17ROCPRIM_400000_NS6detail17trampoline_kernelINS0_14default_configENS1_25partition_config_selectorILNS1_17partition_subalgoE2EsNS0_10empty_typeEbEEZZNS1_14partition_implILS5_2ELb0ES3_jN6thrust23THRUST_200600_302600_NS6detail15normal_iteratorINSA_7pointerIsNSA_11hip_rocprim3tagENSA_11use_defaultESG_EEEEPS6_NSA_18transform_iteratorI10is_orderedNSA_12zip_iteratorINSA_5tupleINSC_INSA_10device_ptrIsEEEESQ_NSA_9null_typeESR_SR_SR_SR_SR_SR_SR_EEEESG_SG_EENS0_5tupleIJPsSJ_EEENSV_IJSJ_SJ_EEES6_PlJS6_EEE10hipError_tPvRmT3_T4_T5_T6_T7_T9_mT8_P12ihipStream_tbDpT10_ENKUlT_T0_E_clISt17integral_constantIbLb1EES1I_IbLb0EEEEDaS1E_S1F_EUlS1E_E_NS1_11comp_targetILNS1_3genE8ELNS1_11target_archE1030ELNS1_3gpuE2ELNS1_3repE0EEENS1_30default_config_static_selectorELNS0_4arch9wavefront6targetE1EEEvT1_: ; @_ZN7rocprim17ROCPRIM_400000_NS6detail17trampoline_kernelINS0_14default_configENS1_25partition_config_selectorILNS1_17partition_subalgoE2EsNS0_10empty_typeEbEEZZNS1_14partition_implILS5_2ELb0ES3_jN6thrust23THRUST_200600_302600_NS6detail15normal_iteratorINSA_7pointerIsNSA_11hip_rocprim3tagENSA_11use_defaultESG_EEEEPS6_NSA_18transform_iteratorI10is_orderedNSA_12zip_iteratorINSA_5tupleINSC_INSA_10device_ptrIsEEEESQ_NSA_9null_typeESR_SR_SR_SR_SR_SR_SR_EEEESG_SG_EENS0_5tupleIJPsSJ_EEENSV_IJSJ_SJ_EEES6_PlJS6_EEE10hipError_tPvRmT3_T4_T5_T6_T7_T9_mT8_P12ihipStream_tbDpT10_ENKUlT_T0_E_clISt17integral_constantIbLb1EES1I_IbLb0EEEEDaS1E_S1F_EUlS1E_E_NS1_11comp_targetILNS1_3genE8ELNS1_11target_archE1030ELNS1_3gpuE2ELNS1_3repE0EEENS1_30default_config_static_selectorELNS0_4arch9wavefront6targetE1EEEvT1_
; %bb.0:
	.section	.rodata,"a",@progbits
	.p2align	6, 0x0
	.amdhsa_kernel _ZN7rocprim17ROCPRIM_400000_NS6detail17trampoline_kernelINS0_14default_configENS1_25partition_config_selectorILNS1_17partition_subalgoE2EsNS0_10empty_typeEbEEZZNS1_14partition_implILS5_2ELb0ES3_jN6thrust23THRUST_200600_302600_NS6detail15normal_iteratorINSA_7pointerIsNSA_11hip_rocprim3tagENSA_11use_defaultESG_EEEEPS6_NSA_18transform_iteratorI10is_orderedNSA_12zip_iteratorINSA_5tupleINSC_INSA_10device_ptrIsEEEESQ_NSA_9null_typeESR_SR_SR_SR_SR_SR_SR_EEEESG_SG_EENS0_5tupleIJPsSJ_EEENSV_IJSJ_SJ_EEES6_PlJS6_EEE10hipError_tPvRmT3_T4_T5_T6_T7_T9_mT8_P12ihipStream_tbDpT10_ENKUlT_T0_E_clISt17integral_constantIbLb1EES1I_IbLb0EEEEDaS1E_S1F_EUlS1E_E_NS1_11comp_targetILNS1_3genE8ELNS1_11target_archE1030ELNS1_3gpuE2ELNS1_3repE0EEENS1_30default_config_static_selectorELNS0_4arch9wavefront6targetE1EEEvT1_
		.amdhsa_group_segment_fixed_size 0
		.amdhsa_private_segment_fixed_size 0
		.amdhsa_kernarg_size 136
		.amdhsa_user_sgpr_count 6
		.amdhsa_user_sgpr_private_segment_buffer 1
		.amdhsa_user_sgpr_dispatch_ptr 0
		.amdhsa_user_sgpr_queue_ptr 0
		.amdhsa_user_sgpr_kernarg_segment_ptr 1
		.amdhsa_user_sgpr_dispatch_id 0
		.amdhsa_user_sgpr_flat_scratch_init 0
		.amdhsa_user_sgpr_kernarg_preload_length 0
		.amdhsa_user_sgpr_kernarg_preload_offset 0
		.amdhsa_user_sgpr_private_segment_size 0
		.amdhsa_uses_dynamic_stack 0
		.amdhsa_system_sgpr_private_segment_wavefront_offset 0
		.amdhsa_system_sgpr_workgroup_id_x 1
		.amdhsa_system_sgpr_workgroup_id_y 0
		.amdhsa_system_sgpr_workgroup_id_z 0
		.amdhsa_system_sgpr_workgroup_info 0
		.amdhsa_system_vgpr_workitem_id 0
		.amdhsa_next_free_vgpr 1
		.amdhsa_next_free_sgpr 0
		.amdhsa_accum_offset 4
		.amdhsa_reserve_vcc 0
		.amdhsa_reserve_flat_scratch 0
		.amdhsa_float_round_mode_32 0
		.amdhsa_float_round_mode_16_64 0
		.amdhsa_float_denorm_mode_32 3
		.amdhsa_float_denorm_mode_16_64 3
		.amdhsa_dx10_clamp 1
		.amdhsa_ieee_mode 1
		.amdhsa_fp16_overflow 0
		.amdhsa_tg_split 0
		.amdhsa_exception_fp_ieee_invalid_op 0
		.amdhsa_exception_fp_denorm_src 0
		.amdhsa_exception_fp_ieee_div_zero 0
		.amdhsa_exception_fp_ieee_overflow 0
		.amdhsa_exception_fp_ieee_underflow 0
		.amdhsa_exception_fp_ieee_inexact 0
		.amdhsa_exception_int_div_zero 0
	.end_amdhsa_kernel
	.section	.text._ZN7rocprim17ROCPRIM_400000_NS6detail17trampoline_kernelINS0_14default_configENS1_25partition_config_selectorILNS1_17partition_subalgoE2EsNS0_10empty_typeEbEEZZNS1_14partition_implILS5_2ELb0ES3_jN6thrust23THRUST_200600_302600_NS6detail15normal_iteratorINSA_7pointerIsNSA_11hip_rocprim3tagENSA_11use_defaultESG_EEEEPS6_NSA_18transform_iteratorI10is_orderedNSA_12zip_iteratorINSA_5tupleINSC_INSA_10device_ptrIsEEEESQ_NSA_9null_typeESR_SR_SR_SR_SR_SR_SR_EEEESG_SG_EENS0_5tupleIJPsSJ_EEENSV_IJSJ_SJ_EEES6_PlJS6_EEE10hipError_tPvRmT3_T4_T5_T6_T7_T9_mT8_P12ihipStream_tbDpT10_ENKUlT_T0_E_clISt17integral_constantIbLb1EES1I_IbLb0EEEEDaS1E_S1F_EUlS1E_E_NS1_11comp_targetILNS1_3genE8ELNS1_11target_archE1030ELNS1_3gpuE2ELNS1_3repE0EEENS1_30default_config_static_selectorELNS0_4arch9wavefront6targetE1EEEvT1_,"axG",@progbits,_ZN7rocprim17ROCPRIM_400000_NS6detail17trampoline_kernelINS0_14default_configENS1_25partition_config_selectorILNS1_17partition_subalgoE2EsNS0_10empty_typeEbEEZZNS1_14partition_implILS5_2ELb0ES3_jN6thrust23THRUST_200600_302600_NS6detail15normal_iteratorINSA_7pointerIsNSA_11hip_rocprim3tagENSA_11use_defaultESG_EEEEPS6_NSA_18transform_iteratorI10is_orderedNSA_12zip_iteratorINSA_5tupleINSC_INSA_10device_ptrIsEEEESQ_NSA_9null_typeESR_SR_SR_SR_SR_SR_SR_EEEESG_SG_EENS0_5tupleIJPsSJ_EEENSV_IJSJ_SJ_EEES6_PlJS6_EEE10hipError_tPvRmT3_T4_T5_T6_T7_T9_mT8_P12ihipStream_tbDpT10_ENKUlT_T0_E_clISt17integral_constantIbLb1EES1I_IbLb0EEEEDaS1E_S1F_EUlS1E_E_NS1_11comp_targetILNS1_3genE8ELNS1_11target_archE1030ELNS1_3gpuE2ELNS1_3repE0EEENS1_30default_config_static_selectorELNS0_4arch9wavefront6targetE1EEEvT1_,comdat
.Lfunc_end3649:
	.size	_ZN7rocprim17ROCPRIM_400000_NS6detail17trampoline_kernelINS0_14default_configENS1_25partition_config_selectorILNS1_17partition_subalgoE2EsNS0_10empty_typeEbEEZZNS1_14partition_implILS5_2ELb0ES3_jN6thrust23THRUST_200600_302600_NS6detail15normal_iteratorINSA_7pointerIsNSA_11hip_rocprim3tagENSA_11use_defaultESG_EEEEPS6_NSA_18transform_iteratorI10is_orderedNSA_12zip_iteratorINSA_5tupleINSC_INSA_10device_ptrIsEEEESQ_NSA_9null_typeESR_SR_SR_SR_SR_SR_SR_EEEESG_SG_EENS0_5tupleIJPsSJ_EEENSV_IJSJ_SJ_EEES6_PlJS6_EEE10hipError_tPvRmT3_T4_T5_T6_T7_T9_mT8_P12ihipStream_tbDpT10_ENKUlT_T0_E_clISt17integral_constantIbLb1EES1I_IbLb0EEEEDaS1E_S1F_EUlS1E_E_NS1_11comp_targetILNS1_3genE8ELNS1_11target_archE1030ELNS1_3gpuE2ELNS1_3repE0EEENS1_30default_config_static_selectorELNS0_4arch9wavefront6targetE1EEEvT1_, .Lfunc_end3649-_ZN7rocprim17ROCPRIM_400000_NS6detail17trampoline_kernelINS0_14default_configENS1_25partition_config_selectorILNS1_17partition_subalgoE2EsNS0_10empty_typeEbEEZZNS1_14partition_implILS5_2ELb0ES3_jN6thrust23THRUST_200600_302600_NS6detail15normal_iteratorINSA_7pointerIsNSA_11hip_rocprim3tagENSA_11use_defaultESG_EEEEPS6_NSA_18transform_iteratorI10is_orderedNSA_12zip_iteratorINSA_5tupleINSC_INSA_10device_ptrIsEEEESQ_NSA_9null_typeESR_SR_SR_SR_SR_SR_SR_EEEESG_SG_EENS0_5tupleIJPsSJ_EEENSV_IJSJ_SJ_EEES6_PlJS6_EEE10hipError_tPvRmT3_T4_T5_T6_T7_T9_mT8_P12ihipStream_tbDpT10_ENKUlT_T0_E_clISt17integral_constantIbLb1EES1I_IbLb0EEEEDaS1E_S1F_EUlS1E_E_NS1_11comp_targetILNS1_3genE8ELNS1_11target_archE1030ELNS1_3gpuE2ELNS1_3repE0EEENS1_30default_config_static_selectorELNS0_4arch9wavefront6targetE1EEEvT1_
                                        ; -- End function
	.section	.AMDGPU.csdata,"",@progbits
; Kernel info:
; codeLenInByte = 0
; NumSgprs: 4
; NumVgprs: 0
; NumAgprs: 0
; TotalNumVgprs: 0
; ScratchSize: 0
; MemoryBound: 0
; FloatMode: 240
; IeeeMode: 1
; LDSByteSize: 0 bytes/workgroup (compile time only)
; SGPRBlocks: 0
; VGPRBlocks: 0
; NumSGPRsForWavesPerEU: 4
; NumVGPRsForWavesPerEU: 1
; AccumOffset: 4
; Occupancy: 8
; WaveLimiterHint : 0
; COMPUTE_PGM_RSRC2:SCRATCH_EN: 0
; COMPUTE_PGM_RSRC2:USER_SGPR: 6
; COMPUTE_PGM_RSRC2:TRAP_HANDLER: 0
; COMPUTE_PGM_RSRC2:TGID_X_EN: 1
; COMPUTE_PGM_RSRC2:TGID_Y_EN: 0
; COMPUTE_PGM_RSRC2:TGID_Z_EN: 0
; COMPUTE_PGM_RSRC2:TIDIG_COMP_CNT: 0
; COMPUTE_PGM_RSRC3_GFX90A:ACCUM_OFFSET: 0
; COMPUTE_PGM_RSRC3_GFX90A:TG_SPLIT: 0
	.section	.text._ZN7rocprim17ROCPRIM_400000_NS6detail17trampoline_kernelINS0_14default_configENS1_25partition_config_selectorILNS1_17partition_subalgoE2EsNS0_10empty_typeEbEEZZNS1_14partition_implILS5_2ELb0ES3_jN6thrust23THRUST_200600_302600_NS6detail15normal_iteratorINSA_7pointerIsNSA_11hip_rocprim3tagENSA_11use_defaultESG_EEEEPS6_NSA_18transform_iteratorI10is_orderedNSA_12zip_iteratorINSA_5tupleINSC_INSA_10device_ptrIsEEEESQ_NSA_9null_typeESR_SR_SR_SR_SR_SR_SR_EEEESG_SG_EENS0_5tupleIJPsSJ_EEENSV_IJSJ_SJ_EEES6_PlJS6_EEE10hipError_tPvRmT3_T4_T5_T6_T7_T9_mT8_P12ihipStream_tbDpT10_ENKUlT_T0_E_clISt17integral_constantIbLb0EES1I_IbLb1EEEEDaS1E_S1F_EUlS1E_E_NS1_11comp_targetILNS1_3genE0ELNS1_11target_archE4294967295ELNS1_3gpuE0ELNS1_3repE0EEENS1_30default_config_static_selectorELNS0_4arch9wavefront6targetE1EEEvT1_,"axG",@progbits,_ZN7rocprim17ROCPRIM_400000_NS6detail17trampoline_kernelINS0_14default_configENS1_25partition_config_selectorILNS1_17partition_subalgoE2EsNS0_10empty_typeEbEEZZNS1_14partition_implILS5_2ELb0ES3_jN6thrust23THRUST_200600_302600_NS6detail15normal_iteratorINSA_7pointerIsNSA_11hip_rocprim3tagENSA_11use_defaultESG_EEEEPS6_NSA_18transform_iteratorI10is_orderedNSA_12zip_iteratorINSA_5tupleINSC_INSA_10device_ptrIsEEEESQ_NSA_9null_typeESR_SR_SR_SR_SR_SR_SR_EEEESG_SG_EENS0_5tupleIJPsSJ_EEENSV_IJSJ_SJ_EEES6_PlJS6_EEE10hipError_tPvRmT3_T4_T5_T6_T7_T9_mT8_P12ihipStream_tbDpT10_ENKUlT_T0_E_clISt17integral_constantIbLb0EES1I_IbLb1EEEEDaS1E_S1F_EUlS1E_E_NS1_11comp_targetILNS1_3genE0ELNS1_11target_archE4294967295ELNS1_3gpuE0ELNS1_3repE0EEENS1_30default_config_static_selectorELNS0_4arch9wavefront6targetE1EEEvT1_,comdat
	.protected	_ZN7rocprim17ROCPRIM_400000_NS6detail17trampoline_kernelINS0_14default_configENS1_25partition_config_selectorILNS1_17partition_subalgoE2EsNS0_10empty_typeEbEEZZNS1_14partition_implILS5_2ELb0ES3_jN6thrust23THRUST_200600_302600_NS6detail15normal_iteratorINSA_7pointerIsNSA_11hip_rocprim3tagENSA_11use_defaultESG_EEEEPS6_NSA_18transform_iteratorI10is_orderedNSA_12zip_iteratorINSA_5tupleINSC_INSA_10device_ptrIsEEEESQ_NSA_9null_typeESR_SR_SR_SR_SR_SR_SR_EEEESG_SG_EENS0_5tupleIJPsSJ_EEENSV_IJSJ_SJ_EEES6_PlJS6_EEE10hipError_tPvRmT3_T4_T5_T6_T7_T9_mT8_P12ihipStream_tbDpT10_ENKUlT_T0_E_clISt17integral_constantIbLb0EES1I_IbLb1EEEEDaS1E_S1F_EUlS1E_E_NS1_11comp_targetILNS1_3genE0ELNS1_11target_archE4294967295ELNS1_3gpuE0ELNS1_3repE0EEENS1_30default_config_static_selectorELNS0_4arch9wavefront6targetE1EEEvT1_ ; -- Begin function _ZN7rocprim17ROCPRIM_400000_NS6detail17trampoline_kernelINS0_14default_configENS1_25partition_config_selectorILNS1_17partition_subalgoE2EsNS0_10empty_typeEbEEZZNS1_14partition_implILS5_2ELb0ES3_jN6thrust23THRUST_200600_302600_NS6detail15normal_iteratorINSA_7pointerIsNSA_11hip_rocprim3tagENSA_11use_defaultESG_EEEEPS6_NSA_18transform_iteratorI10is_orderedNSA_12zip_iteratorINSA_5tupleINSC_INSA_10device_ptrIsEEEESQ_NSA_9null_typeESR_SR_SR_SR_SR_SR_SR_EEEESG_SG_EENS0_5tupleIJPsSJ_EEENSV_IJSJ_SJ_EEES6_PlJS6_EEE10hipError_tPvRmT3_T4_T5_T6_T7_T9_mT8_P12ihipStream_tbDpT10_ENKUlT_T0_E_clISt17integral_constantIbLb0EES1I_IbLb1EEEEDaS1E_S1F_EUlS1E_E_NS1_11comp_targetILNS1_3genE0ELNS1_11target_archE4294967295ELNS1_3gpuE0ELNS1_3repE0EEENS1_30default_config_static_selectorELNS0_4arch9wavefront6targetE1EEEvT1_
	.globl	_ZN7rocprim17ROCPRIM_400000_NS6detail17trampoline_kernelINS0_14default_configENS1_25partition_config_selectorILNS1_17partition_subalgoE2EsNS0_10empty_typeEbEEZZNS1_14partition_implILS5_2ELb0ES3_jN6thrust23THRUST_200600_302600_NS6detail15normal_iteratorINSA_7pointerIsNSA_11hip_rocprim3tagENSA_11use_defaultESG_EEEEPS6_NSA_18transform_iteratorI10is_orderedNSA_12zip_iteratorINSA_5tupleINSC_INSA_10device_ptrIsEEEESQ_NSA_9null_typeESR_SR_SR_SR_SR_SR_SR_EEEESG_SG_EENS0_5tupleIJPsSJ_EEENSV_IJSJ_SJ_EEES6_PlJS6_EEE10hipError_tPvRmT3_T4_T5_T6_T7_T9_mT8_P12ihipStream_tbDpT10_ENKUlT_T0_E_clISt17integral_constantIbLb0EES1I_IbLb1EEEEDaS1E_S1F_EUlS1E_E_NS1_11comp_targetILNS1_3genE0ELNS1_11target_archE4294967295ELNS1_3gpuE0ELNS1_3repE0EEENS1_30default_config_static_selectorELNS0_4arch9wavefront6targetE1EEEvT1_
	.p2align	8
	.type	_ZN7rocprim17ROCPRIM_400000_NS6detail17trampoline_kernelINS0_14default_configENS1_25partition_config_selectorILNS1_17partition_subalgoE2EsNS0_10empty_typeEbEEZZNS1_14partition_implILS5_2ELb0ES3_jN6thrust23THRUST_200600_302600_NS6detail15normal_iteratorINSA_7pointerIsNSA_11hip_rocprim3tagENSA_11use_defaultESG_EEEEPS6_NSA_18transform_iteratorI10is_orderedNSA_12zip_iteratorINSA_5tupleINSC_INSA_10device_ptrIsEEEESQ_NSA_9null_typeESR_SR_SR_SR_SR_SR_SR_EEEESG_SG_EENS0_5tupleIJPsSJ_EEENSV_IJSJ_SJ_EEES6_PlJS6_EEE10hipError_tPvRmT3_T4_T5_T6_T7_T9_mT8_P12ihipStream_tbDpT10_ENKUlT_T0_E_clISt17integral_constantIbLb0EES1I_IbLb1EEEEDaS1E_S1F_EUlS1E_E_NS1_11comp_targetILNS1_3genE0ELNS1_11target_archE4294967295ELNS1_3gpuE0ELNS1_3repE0EEENS1_30default_config_static_selectorELNS0_4arch9wavefront6targetE1EEEvT1_,@function
_ZN7rocprim17ROCPRIM_400000_NS6detail17trampoline_kernelINS0_14default_configENS1_25partition_config_selectorILNS1_17partition_subalgoE2EsNS0_10empty_typeEbEEZZNS1_14partition_implILS5_2ELb0ES3_jN6thrust23THRUST_200600_302600_NS6detail15normal_iteratorINSA_7pointerIsNSA_11hip_rocprim3tagENSA_11use_defaultESG_EEEEPS6_NSA_18transform_iteratorI10is_orderedNSA_12zip_iteratorINSA_5tupleINSC_INSA_10device_ptrIsEEEESQ_NSA_9null_typeESR_SR_SR_SR_SR_SR_SR_EEEESG_SG_EENS0_5tupleIJPsSJ_EEENSV_IJSJ_SJ_EEES6_PlJS6_EEE10hipError_tPvRmT3_T4_T5_T6_T7_T9_mT8_P12ihipStream_tbDpT10_ENKUlT_T0_E_clISt17integral_constantIbLb0EES1I_IbLb1EEEEDaS1E_S1F_EUlS1E_E_NS1_11comp_targetILNS1_3genE0ELNS1_11target_archE4294967295ELNS1_3gpuE0ELNS1_3repE0EEENS1_30default_config_static_selectorELNS0_4arch9wavefront6targetE1EEEvT1_: ; @_ZN7rocprim17ROCPRIM_400000_NS6detail17trampoline_kernelINS0_14default_configENS1_25partition_config_selectorILNS1_17partition_subalgoE2EsNS0_10empty_typeEbEEZZNS1_14partition_implILS5_2ELb0ES3_jN6thrust23THRUST_200600_302600_NS6detail15normal_iteratorINSA_7pointerIsNSA_11hip_rocprim3tagENSA_11use_defaultESG_EEEEPS6_NSA_18transform_iteratorI10is_orderedNSA_12zip_iteratorINSA_5tupleINSC_INSA_10device_ptrIsEEEESQ_NSA_9null_typeESR_SR_SR_SR_SR_SR_SR_EEEESG_SG_EENS0_5tupleIJPsSJ_EEENSV_IJSJ_SJ_EEES6_PlJS6_EEE10hipError_tPvRmT3_T4_T5_T6_T7_T9_mT8_P12ihipStream_tbDpT10_ENKUlT_T0_E_clISt17integral_constantIbLb0EES1I_IbLb1EEEEDaS1E_S1F_EUlS1E_E_NS1_11comp_targetILNS1_3genE0ELNS1_11target_archE4294967295ELNS1_3gpuE0ELNS1_3repE0EEENS1_30default_config_static_selectorELNS0_4arch9wavefront6targetE1EEEvT1_
; %bb.0:
	.section	.rodata,"a",@progbits
	.p2align	6, 0x0
	.amdhsa_kernel _ZN7rocprim17ROCPRIM_400000_NS6detail17trampoline_kernelINS0_14default_configENS1_25partition_config_selectorILNS1_17partition_subalgoE2EsNS0_10empty_typeEbEEZZNS1_14partition_implILS5_2ELb0ES3_jN6thrust23THRUST_200600_302600_NS6detail15normal_iteratorINSA_7pointerIsNSA_11hip_rocprim3tagENSA_11use_defaultESG_EEEEPS6_NSA_18transform_iteratorI10is_orderedNSA_12zip_iteratorINSA_5tupleINSC_INSA_10device_ptrIsEEEESQ_NSA_9null_typeESR_SR_SR_SR_SR_SR_SR_EEEESG_SG_EENS0_5tupleIJPsSJ_EEENSV_IJSJ_SJ_EEES6_PlJS6_EEE10hipError_tPvRmT3_T4_T5_T6_T7_T9_mT8_P12ihipStream_tbDpT10_ENKUlT_T0_E_clISt17integral_constantIbLb0EES1I_IbLb1EEEEDaS1E_S1F_EUlS1E_E_NS1_11comp_targetILNS1_3genE0ELNS1_11target_archE4294967295ELNS1_3gpuE0ELNS1_3repE0EEENS1_30default_config_static_selectorELNS0_4arch9wavefront6targetE1EEEvT1_
		.amdhsa_group_segment_fixed_size 0
		.amdhsa_private_segment_fixed_size 0
		.amdhsa_kernarg_size 152
		.amdhsa_user_sgpr_count 6
		.amdhsa_user_sgpr_private_segment_buffer 1
		.amdhsa_user_sgpr_dispatch_ptr 0
		.amdhsa_user_sgpr_queue_ptr 0
		.amdhsa_user_sgpr_kernarg_segment_ptr 1
		.amdhsa_user_sgpr_dispatch_id 0
		.amdhsa_user_sgpr_flat_scratch_init 0
		.amdhsa_user_sgpr_kernarg_preload_length 0
		.amdhsa_user_sgpr_kernarg_preload_offset 0
		.amdhsa_user_sgpr_private_segment_size 0
		.amdhsa_uses_dynamic_stack 0
		.amdhsa_system_sgpr_private_segment_wavefront_offset 0
		.amdhsa_system_sgpr_workgroup_id_x 1
		.amdhsa_system_sgpr_workgroup_id_y 0
		.amdhsa_system_sgpr_workgroup_id_z 0
		.amdhsa_system_sgpr_workgroup_info 0
		.amdhsa_system_vgpr_workitem_id 0
		.amdhsa_next_free_vgpr 1
		.amdhsa_next_free_sgpr 0
		.amdhsa_accum_offset 4
		.amdhsa_reserve_vcc 0
		.amdhsa_reserve_flat_scratch 0
		.amdhsa_float_round_mode_32 0
		.amdhsa_float_round_mode_16_64 0
		.amdhsa_float_denorm_mode_32 3
		.amdhsa_float_denorm_mode_16_64 3
		.amdhsa_dx10_clamp 1
		.amdhsa_ieee_mode 1
		.amdhsa_fp16_overflow 0
		.amdhsa_tg_split 0
		.amdhsa_exception_fp_ieee_invalid_op 0
		.amdhsa_exception_fp_denorm_src 0
		.amdhsa_exception_fp_ieee_div_zero 0
		.amdhsa_exception_fp_ieee_overflow 0
		.amdhsa_exception_fp_ieee_underflow 0
		.amdhsa_exception_fp_ieee_inexact 0
		.amdhsa_exception_int_div_zero 0
	.end_amdhsa_kernel
	.section	.text._ZN7rocprim17ROCPRIM_400000_NS6detail17trampoline_kernelINS0_14default_configENS1_25partition_config_selectorILNS1_17partition_subalgoE2EsNS0_10empty_typeEbEEZZNS1_14partition_implILS5_2ELb0ES3_jN6thrust23THRUST_200600_302600_NS6detail15normal_iteratorINSA_7pointerIsNSA_11hip_rocprim3tagENSA_11use_defaultESG_EEEEPS6_NSA_18transform_iteratorI10is_orderedNSA_12zip_iteratorINSA_5tupleINSC_INSA_10device_ptrIsEEEESQ_NSA_9null_typeESR_SR_SR_SR_SR_SR_SR_EEEESG_SG_EENS0_5tupleIJPsSJ_EEENSV_IJSJ_SJ_EEES6_PlJS6_EEE10hipError_tPvRmT3_T4_T5_T6_T7_T9_mT8_P12ihipStream_tbDpT10_ENKUlT_T0_E_clISt17integral_constantIbLb0EES1I_IbLb1EEEEDaS1E_S1F_EUlS1E_E_NS1_11comp_targetILNS1_3genE0ELNS1_11target_archE4294967295ELNS1_3gpuE0ELNS1_3repE0EEENS1_30default_config_static_selectorELNS0_4arch9wavefront6targetE1EEEvT1_,"axG",@progbits,_ZN7rocprim17ROCPRIM_400000_NS6detail17trampoline_kernelINS0_14default_configENS1_25partition_config_selectorILNS1_17partition_subalgoE2EsNS0_10empty_typeEbEEZZNS1_14partition_implILS5_2ELb0ES3_jN6thrust23THRUST_200600_302600_NS6detail15normal_iteratorINSA_7pointerIsNSA_11hip_rocprim3tagENSA_11use_defaultESG_EEEEPS6_NSA_18transform_iteratorI10is_orderedNSA_12zip_iteratorINSA_5tupleINSC_INSA_10device_ptrIsEEEESQ_NSA_9null_typeESR_SR_SR_SR_SR_SR_SR_EEEESG_SG_EENS0_5tupleIJPsSJ_EEENSV_IJSJ_SJ_EEES6_PlJS6_EEE10hipError_tPvRmT3_T4_T5_T6_T7_T9_mT8_P12ihipStream_tbDpT10_ENKUlT_T0_E_clISt17integral_constantIbLb0EES1I_IbLb1EEEEDaS1E_S1F_EUlS1E_E_NS1_11comp_targetILNS1_3genE0ELNS1_11target_archE4294967295ELNS1_3gpuE0ELNS1_3repE0EEENS1_30default_config_static_selectorELNS0_4arch9wavefront6targetE1EEEvT1_,comdat
.Lfunc_end3650:
	.size	_ZN7rocprim17ROCPRIM_400000_NS6detail17trampoline_kernelINS0_14default_configENS1_25partition_config_selectorILNS1_17partition_subalgoE2EsNS0_10empty_typeEbEEZZNS1_14partition_implILS5_2ELb0ES3_jN6thrust23THRUST_200600_302600_NS6detail15normal_iteratorINSA_7pointerIsNSA_11hip_rocprim3tagENSA_11use_defaultESG_EEEEPS6_NSA_18transform_iteratorI10is_orderedNSA_12zip_iteratorINSA_5tupleINSC_INSA_10device_ptrIsEEEESQ_NSA_9null_typeESR_SR_SR_SR_SR_SR_SR_EEEESG_SG_EENS0_5tupleIJPsSJ_EEENSV_IJSJ_SJ_EEES6_PlJS6_EEE10hipError_tPvRmT3_T4_T5_T6_T7_T9_mT8_P12ihipStream_tbDpT10_ENKUlT_T0_E_clISt17integral_constantIbLb0EES1I_IbLb1EEEEDaS1E_S1F_EUlS1E_E_NS1_11comp_targetILNS1_3genE0ELNS1_11target_archE4294967295ELNS1_3gpuE0ELNS1_3repE0EEENS1_30default_config_static_selectorELNS0_4arch9wavefront6targetE1EEEvT1_, .Lfunc_end3650-_ZN7rocprim17ROCPRIM_400000_NS6detail17trampoline_kernelINS0_14default_configENS1_25partition_config_selectorILNS1_17partition_subalgoE2EsNS0_10empty_typeEbEEZZNS1_14partition_implILS5_2ELb0ES3_jN6thrust23THRUST_200600_302600_NS6detail15normal_iteratorINSA_7pointerIsNSA_11hip_rocprim3tagENSA_11use_defaultESG_EEEEPS6_NSA_18transform_iteratorI10is_orderedNSA_12zip_iteratorINSA_5tupleINSC_INSA_10device_ptrIsEEEESQ_NSA_9null_typeESR_SR_SR_SR_SR_SR_SR_EEEESG_SG_EENS0_5tupleIJPsSJ_EEENSV_IJSJ_SJ_EEES6_PlJS6_EEE10hipError_tPvRmT3_T4_T5_T6_T7_T9_mT8_P12ihipStream_tbDpT10_ENKUlT_T0_E_clISt17integral_constantIbLb0EES1I_IbLb1EEEEDaS1E_S1F_EUlS1E_E_NS1_11comp_targetILNS1_3genE0ELNS1_11target_archE4294967295ELNS1_3gpuE0ELNS1_3repE0EEENS1_30default_config_static_selectorELNS0_4arch9wavefront6targetE1EEEvT1_
                                        ; -- End function
	.section	.AMDGPU.csdata,"",@progbits
; Kernel info:
; codeLenInByte = 0
; NumSgprs: 4
; NumVgprs: 0
; NumAgprs: 0
; TotalNumVgprs: 0
; ScratchSize: 0
; MemoryBound: 0
; FloatMode: 240
; IeeeMode: 1
; LDSByteSize: 0 bytes/workgroup (compile time only)
; SGPRBlocks: 0
; VGPRBlocks: 0
; NumSGPRsForWavesPerEU: 4
; NumVGPRsForWavesPerEU: 1
; AccumOffset: 4
; Occupancy: 8
; WaveLimiterHint : 0
; COMPUTE_PGM_RSRC2:SCRATCH_EN: 0
; COMPUTE_PGM_RSRC2:USER_SGPR: 6
; COMPUTE_PGM_RSRC2:TRAP_HANDLER: 0
; COMPUTE_PGM_RSRC2:TGID_X_EN: 1
; COMPUTE_PGM_RSRC2:TGID_Y_EN: 0
; COMPUTE_PGM_RSRC2:TGID_Z_EN: 0
; COMPUTE_PGM_RSRC2:TIDIG_COMP_CNT: 0
; COMPUTE_PGM_RSRC3_GFX90A:ACCUM_OFFSET: 0
; COMPUTE_PGM_RSRC3_GFX90A:TG_SPLIT: 0
	.section	.text._ZN7rocprim17ROCPRIM_400000_NS6detail17trampoline_kernelINS0_14default_configENS1_25partition_config_selectorILNS1_17partition_subalgoE2EsNS0_10empty_typeEbEEZZNS1_14partition_implILS5_2ELb0ES3_jN6thrust23THRUST_200600_302600_NS6detail15normal_iteratorINSA_7pointerIsNSA_11hip_rocprim3tagENSA_11use_defaultESG_EEEEPS6_NSA_18transform_iteratorI10is_orderedNSA_12zip_iteratorINSA_5tupleINSC_INSA_10device_ptrIsEEEESQ_NSA_9null_typeESR_SR_SR_SR_SR_SR_SR_EEEESG_SG_EENS0_5tupleIJPsSJ_EEENSV_IJSJ_SJ_EEES6_PlJS6_EEE10hipError_tPvRmT3_T4_T5_T6_T7_T9_mT8_P12ihipStream_tbDpT10_ENKUlT_T0_E_clISt17integral_constantIbLb0EES1I_IbLb1EEEEDaS1E_S1F_EUlS1E_E_NS1_11comp_targetILNS1_3genE5ELNS1_11target_archE942ELNS1_3gpuE9ELNS1_3repE0EEENS1_30default_config_static_selectorELNS0_4arch9wavefront6targetE1EEEvT1_,"axG",@progbits,_ZN7rocprim17ROCPRIM_400000_NS6detail17trampoline_kernelINS0_14default_configENS1_25partition_config_selectorILNS1_17partition_subalgoE2EsNS0_10empty_typeEbEEZZNS1_14partition_implILS5_2ELb0ES3_jN6thrust23THRUST_200600_302600_NS6detail15normal_iteratorINSA_7pointerIsNSA_11hip_rocprim3tagENSA_11use_defaultESG_EEEEPS6_NSA_18transform_iteratorI10is_orderedNSA_12zip_iteratorINSA_5tupleINSC_INSA_10device_ptrIsEEEESQ_NSA_9null_typeESR_SR_SR_SR_SR_SR_SR_EEEESG_SG_EENS0_5tupleIJPsSJ_EEENSV_IJSJ_SJ_EEES6_PlJS6_EEE10hipError_tPvRmT3_T4_T5_T6_T7_T9_mT8_P12ihipStream_tbDpT10_ENKUlT_T0_E_clISt17integral_constantIbLb0EES1I_IbLb1EEEEDaS1E_S1F_EUlS1E_E_NS1_11comp_targetILNS1_3genE5ELNS1_11target_archE942ELNS1_3gpuE9ELNS1_3repE0EEENS1_30default_config_static_selectorELNS0_4arch9wavefront6targetE1EEEvT1_,comdat
	.protected	_ZN7rocprim17ROCPRIM_400000_NS6detail17trampoline_kernelINS0_14default_configENS1_25partition_config_selectorILNS1_17partition_subalgoE2EsNS0_10empty_typeEbEEZZNS1_14partition_implILS5_2ELb0ES3_jN6thrust23THRUST_200600_302600_NS6detail15normal_iteratorINSA_7pointerIsNSA_11hip_rocprim3tagENSA_11use_defaultESG_EEEEPS6_NSA_18transform_iteratorI10is_orderedNSA_12zip_iteratorINSA_5tupleINSC_INSA_10device_ptrIsEEEESQ_NSA_9null_typeESR_SR_SR_SR_SR_SR_SR_EEEESG_SG_EENS0_5tupleIJPsSJ_EEENSV_IJSJ_SJ_EEES6_PlJS6_EEE10hipError_tPvRmT3_T4_T5_T6_T7_T9_mT8_P12ihipStream_tbDpT10_ENKUlT_T0_E_clISt17integral_constantIbLb0EES1I_IbLb1EEEEDaS1E_S1F_EUlS1E_E_NS1_11comp_targetILNS1_3genE5ELNS1_11target_archE942ELNS1_3gpuE9ELNS1_3repE0EEENS1_30default_config_static_selectorELNS0_4arch9wavefront6targetE1EEEvT1_ ; -- Begin function _ZN7rocprim17ROCPRIM_400000_NS6detail17trampoline_kernelINS0_14default_configENS1_25partition_config_selectorILNS1_17partition_subalgoE2EsNS0_10empty_typeEbEEZZNS1_14partition_implILS5_2ELb0ES3_jN6thrust23THRUST_200600_302600_NS6detail15normal_iteratorINSA_7pointerIsNSA_11hip_rocprim3tagENSA_11use_defaultESG_EEEEPS6_NSA_18transform_iteratorI10is_orderedNSA_12zip_iteratorINSA_5tupleINSC_INSA_10device_ptrIsEEEESQ_NSA_9null_typeESR_SR_SR_SR_SR_SR_SR_EEEESG_SG_EENS0_5tupleIJPsSJ_EEENSV_IJSJ_SJ_EEES6_PlJS6_EEE10hipError_tPvRmT3_T4_T5_T6_T7_T9_mT8_P12ihipStream_tbDpT10_ENKUlT_T0_E_clISt17integral_constantIbLb0EES1I_IbLb1EEEEDaS1E_S1F_EUlS1E_E_NS1_11comp_targetILNS1_3genE5ELNS1_11target_archE942ELNS1_3gpuE9ELNS1_3repE0EEENS1_30default_config_static_selectorELNS0_4arch9wavefront6targetE1EEEvT1_
	.globl	_ZN7rocprim17ROCPRIM_400000_NS6detail17trampoline_kernelINS0_14default_configENS1_25partition_config_selectorILNS1_17partition_subalgoE2EsNS0_10empty_typeEbEEZZNS1_14partition_implILS5_2ELb0ES3_jN6thrust23THRUST_200600_302600_NS6detail15normal_iteratorINSA_7pointerIsNSA_11hip_rocprim3tagENSA_11use_defaultESG_EEEEPS6_NSA_18transform_iteratorI10is_orderedNSA_12zip_iteratorINSA_5tupleINSC_INSA_10device_ptrIsEEEESQ_NSA_9null_typeESR_SR_SR_SR_SR_SR_SR_EEEESG_SG_EENS0_5tupleIJPsSJ_EEENSV_IJSJ_SJ_EEES6_PlJS6_EEE10hipError_tPvRmT3_T4_T5_T6_T7_T9_mT8_P12ihipStream_tbDpT10_ENKUlT_T0_E_clISt17integral_constantIbLb0EES1I_IbLb1EEEEDaS1E_S1F_EUlS1E_E_NS1_11comp_targetILNS1_3genE5ELNS1_11target_archE942ELNS1_3gpuE9ELNS1_3repE0EEENS1_30default_config_static_selectorELNS0_4arch9wavefront6targetE1EEEvT1_
	.p2align	8
	.type	_ZN7rocprim17ROCPRIM_400000_NS6detail17trampoline_kernelINS0_14default_configENS1_25partition_config_selectorILNS1_17partition_subalgoE2EsNS0_10empty_typeEbEEZZNS1_14partition_implILS5_2ELb0ES3_jN6thrust23THRUST_200600_302600_NS6detail15normal_iteratorINSA_7pointerIsNSA_11hip_rocprim3tagENSA_11use_defaultESG_EEEEPS6_NSA_18transform_iteratorI10is_orderedNSA_12zip_iteratorINSA_5tupleINSC_INSA_10device_ptrIsEEEESQ_NSA_9null_typeESR_SR_SR_SR_SR_SR_SR_EEEESG_SG_EENS0_5tupleIJPsSJ_EEENSV_IJSJ_SJ_EEES6_PlJS6_EEE10hipError_tPvRmT3_T4_T5_T6_T7_T9_mT8_P12ihipStream_tbDpT10_ENKUlT_T0_E_clISt17integral_constantIbLb0EES1I_IbLb1EEEEDaS1E_S1F_EUlS1E_E_NS1_11comp_targetILNS1_3genE5ELNS1_11target_archE942ELNS1_3gpuE9ELNS1_3repE0EEENS1_30default_config_static_selectorELNS0_4arch9wavefront6targetE1EEEvT1_,@function
_ZN7rocprim17ROCPRIM_400000_NS6detail17trampoline_kernelINS0_14default_configENS1_25partition_config_selectorILNS1_17partition_subalgoE2EsNS0_10empty_typeEbEEZZNS1_14partition_implILS5_2ELb0ES3_jN6thrust23THRUST_200600_302600_NS6detail15normal_iteratorINSA_7pointerIsNSA_11hip_rocprim3tagENSA_11use_defaultESG_EEEEPS6_NSA_18transform_iteratorI10is_orderedNSA_12zip_iteratorINSA_5tupleINSC_INSA_10device_ptrIsEEEESQ_NSA_9null_typeESR_SR_SR_SR_SR_SR_SR_EEEESG_SG_EENS0_5tupleIJPsSJ_EEENSV_IJSJ_SJ_EEES6_PlJS6_EEE10hipError_tPvRmT3_T4_T5_T6_T7_T9_mT8_P12ihipStream_tbDpT10_ENKUlT_T0_E_clISt17integral_constantIbLb0EES1I_IbLb1EEEEDaS1E_S1F_EUlS1E_E_NS1_11comp_targetILNS1_3genE5ELNS1_11target_archE942ELNS1_3gpuE9ELNS1_3repE0EEENS1_30default_config_static_selectorELNS0_4arch9wavefront6targetE1EEEvT1_: ; @_ZN7rocprim17ROCPRIM_400000_NS6detail17trampoline_kernelINS0_14default_configENS1_25partition_config_selectorILNS1_17partition_subalgoE2EsNS0_10empty_typeEbEEZZNS1_14partition_implILS5_2ELb0ES3_jN6thrust23THRUST_200600_302600_NS6detail15normal_iteratorINSA_7pointerIsNSA_11hip_rocprim3tagENSA_11use_defaultESG_EEEEPS6_NSA_18transform_iteratorI10is_orderedNSA_12zip_iteratorINSA_5tupleINSC_INSA_10device_ptrIsEEEESQ_NSA_9null_typeESR_SR_SR_SR_SR_SR_SR_EEEESG_SG_EENS0_5tupleIJPsSJ_EEENSV_IJSJ_SJ_EEES6_PlJS6_EEE10hipError_tPvRmT3_T4_T5_T6_T7_T9_mT8_P12ihipStream_tbDpT10_ENKUlT_T0_E_clISt17integral_constantIbLb0EES1I_IbLb1EEEEDaS1E_S1F_EUlS1E_E_NS1_11comp_targetILNS1_3genE5ELNS1_11target_archE942ELNS1_3gpuE9ELNS1_3repE0EEENS1_30default_config_static_selectorELNS0_4arch9wavefront6targetE1EEEvT1_
; %bb.0:
	.section	.rodata,"a",@progbits
	.p2align	6, 0x0
	.amdhsa_kernel _ZN7rocprim17ROCPRIM_400000_NS6detail17trampoline_kernelINS0_14default_configENS1_25partition_config_selectorILNS1_17partition_subalgoE2EsNS0_10empty_typeEbEEZZNS1_14partition_implILS5_2ELb0ES3_jN6thrust23THRUST_200600_302600_NS6detail15normal_iteratorINSA_7pointerIsNSA_11hip_rocprim3tagENSA_11use_defaultESG_EEEEPS6_NSA_18transform_iteratorI10is_orderedNSA_12zip_iteratorINSA_5tupleINSC_INSA_10device_ptrIsEEEESQ_NSA_9null_typeESR_SR_SR_SR_SR_SR_SR_EEEESG_SG_EENS0_5tupleIJPsSJ_EEENSV_IJSJ_SJ_EEES6_PlJS6_EEE10hipError_tPvRmT3_T4_T5_T6_T7_T9_mT8_P12ihipStream_tbDpT10_ENKUlT_T0_E_clISt17integral_constantIbLb0EES1I_IbLb1EEEEDaS1E_S1F_EUlS1E_E_NS1_11comp_targetILNS1_3genE5ELNS1_11target_archE942ELNS1_3gpuE9ELNS1_3repE0EEENS1_30default_config_static_selectorELNS0_4arch9wavefront6targetE1EEEvT1_
		.amdhsa_group_segment_fixed_size 0
		.amdhsa_private_segment_fixed_size 0
		.amdhsa_kernarg_size 152
		.amdhsa_user_sgpr_count 6
		.amdhsa_user_sgpr_private_segment_buffer 1
		.amdhsa_user_sgpr_dispatch_ptr 0
		.amdhsa_user_sgpr_queue_ptr 0
		.amdhsa_user_sgpr_kernarg_segment_ptr 1
		.amdhsa_user_sgpr_dispatch_id 0
		.amdhsa_user_sgpr_flat_scratch_init 0
		.amdhsa_user_sgpr_kernarg_preload_length 0
		.amdhsa_user_sgpr_kernarg_preload_offset 0
		.amdhsa_user_sgpr_private_segment_size 0
		.amdhsa_uses_dynamic_stack 0
		.amdhsa_system_sgpr_private_segment_wavefront_offset 0
		.amdhsa_system_sgpr_workgroup_id_x 1
		.amdhsa_system_sgpr_workgroup_id_y 0
		.amdhsa_system_sgpr_workgroup_id_z 0
		.amdhsa_system_sgpr_workgroup_info 0
		.amdhsa_system_vgpr_workitem_id 0
		.amdhsa_next_free_vgpr 1
		.amdhsa_next_free_sgpr 0
		.amdhsa_accum_offset 4
		.amdhsa_reserve_vcc 0
		.amdhsa_reserve_flat_scratch 0
		.amdhsa_float_round_mode_32 0
		.amdhsa_float_round_mode_16_64 0
		.amdhsa_float_denorm_mode_32 3
		.amdhsa_float_denorm_mode_16_64 3
		.amdhsa_dx10_clamp 1
		.amdhsa_ieee_mode 1
		.amdhsa_fp16_overflow 0
		.amdhsa_tg_split 0
		.amdhsa_exception_fp_ieee_invalid_op 0
		.amdhsa_exception_fp_denorm_src 0
		.amdhsa_exception_fp_ieee_div_zero 0
		.amdhsa_exception_fp_ieee_overflow 0
		.amdhsa_exception_fp_ieee_underflow 0
		.amdhsa_exception_fp_ieee_inexact 0
		.amdhsa_exception_int_div_zero 0
	.end_amdhsa_kernel
	.section	.text._ZN7rocprim17ROCPRIM_400000_NS6detail17trampoline_kernelINS0_14default_configENS1_25partition_config_selectorILNS1_17partition_subalgoE2EsNS0_10empty_typeEbEEZZNS1_14partition_implILS5_2ELb0ES3_jN6thrust23THRUST_200600_302600_NS6detail15normal_iteratorINSA_7pointerIsNSA_11hip_rocprim3tagENSA_11use_defaultESG_EEEEPS6_NSA_18transform_iteratorI10is_orderedNSA_12zip_iteratorINSA_5tupleINSC_INSA_10device_ptrIsEEEESQ_NSA_9null_typeESR_SR_SR_SR_SR_SR_SR_EEEESG_SG_EENS0_5tupleIJPsSJ_EEENSV_IJSJ_SJ_EEES6_PlJS6_EEE10hipError_tPvRmT3_T4_T5_T6_T7_T9_mT8_P12ihipStream_tbDpT10_ENKUlT_T0_E_clISt17integral_constantIbLb0EES1I_IbLb1EEEEDaS1E_S1F_EUlS1E_E_NS1_11comp_targetILNS1_3genE5ELNS1_11target_archE942ELNS1_3gpuE9ELNS1_3repE0EEENS1_30default_config_static_selectorELNS0_4arch9wavefront6targetE1EEEvT1_,"axG",@progbits,_ZN7rocprim17ROCPRIM_400000_NS6detail17trampoline_kernelINS0_14default_configENS1_25partition_config_selectorILNS1_17partition_subalgoE2EsNS0_10empty_typeEbEEZZNS1_14partition_implILS5_2ELb0ES3_jN6thrust23THRUST_200600_302600_NS6detail15normal_iteratorINSA_7pointerIsNSA_11hip_rocprim3tagENSA_11use_defaultESG_EEEEPS6_NSA_18transform_iteratorI10is_orderedNSA_12zip_iteratorINSA_5tupleINSC_INSA_10device_ptrIsEEEESQ_NSA_9null_typeESR_SR_SR_SR_SR_SR_SR_EEEESG_SG_EENS0_5tupleIJPsSJ_EEENSV_IJSJ_SJ_EEES6_PlJS6_EEE10hipError_tPvRmT3_T4_T5_T6_T7_T9_mT8_P12ihipStream_tbDpT10_ENKUlT_T0_E_clISt17integral_constantIbLb0EES1I_IbLb1EEEEDaS1E_S1F_EUlS1E_E_NS1_11comp_targetILNS1_3genE5ELNS1_11target_archE942ELNS1_3gpuE9ELNS1_3repE0EEENS1_30default_config_static_selectorELNS0_4arch9wavefront6targetE1EEEvT1_,comdat
.Lfunc_end3651:
	.size	_ZN7rocprim17ROCPRIM_400000_NS6detail17trampoline_kernelINS0_14default_configENS1_25partition_config_selectorILNS1_17partition_subalgoE2EsNS0_10empty_typeEbEEZZNS1_14partition_implILS5_2ELb0ES3_jN6thrust23THRUST_200600_302600_NS6detail15normal_iteratorINSA_7pointerIsNSA_11hip_rocprim3tagENSA_11use_defaultESG_EEEEPS6_NSA_18transform_iteratorI10is_orderedNSA_12zip_iteratorINSA_5tupleINSC_INSA_10device_ptrIsEEEESQ_NSA_9null_typeESR_SR_SR_SR_SR_SR_SR_EEEESG_SG_EENS0_5tupleIJPsSJ_EEENSV_IJSJ_SJ_EEES6_PlJS6_EEE10hipError_tPvRmT3_T4_T5_T6_T7_T9_mT8_P12ihipStream_tbDpT10_ENKUlT_T0_E_clISt17integral_constantIbLb0EES1I_IbLb1EEEEDaS1E_S1F_EUlS1E_E_NS1_11comp_targetILNS1_3genE5ELNS1_11target_archE942ELNS1_3gpuE9ELNS1_3repE0EEENS1_30default_config_static_selectorELNS0_4arch9wavefront6targetE1EEEvT1_, .Lfunc_end3651-_ZN7rocprim17ROCPRIM_400000_NS6detail17trampoline_kernelINS0_14default_configENS1_25partition_config_selectorILNS1_17partition_subalgoE2EsNS0_10empty_typeEbEEZZNS1_14partition_implILS5_2ELb0ES3_jN6thrust23THRUST_200600_302600_NS6detail15normal_iteratorINSA_7pointerIsNSA_11hip_rocprim3tagENSA_11use_defaultESG_EEEEPS6_NSA_18transform_iteratorI10is_orderedNSA_12zip_iteratorINSA_5tupleINSC_INSA_10device_ptrIsEEEESQ_NSA_9null_typeESR_SR_SR_SR_SR_SR_SR_EEEESG_SG_EENS0_5tupleIJPsSJ_EEENSV_IJSJ_SJ_EEES6_PlJS6_EEE10hipError_tPvRmT3_T4_T5_T6_T7_T9_mT8_P12ihipStream_tbDpT10_ENKUlT_T0_E_clISt17integral_constantIbLb0EES1I_IbLb1EEEEDaS1E_S1F_EUlS1E_E_NS1_11comp_targetILNS1_3genE5ELNS1_11target_archE942ELNS1_3gpuE9ELNS1_3repE0EEENS1_30default_config_static_selectorELNS0_4arch9wavefront6targetE1EEEvT1_
                                        ; -- End function
	.section	.AMDGPU.csdata,"",@progbits
; Kernel info:
; codeLenInByte = 0
; NumSgprs: 4
; NumVgprs: 0
; NumAgprs: 0
; TotalNumVgprs: 0
; ScratchSize: 0
; MemoryBound: 0
; FloatMode: 240
; IeeeMode: 1
; LDSByteSize: 0 bytes/workgroup (compile time only)
; SGPRBlocks: 0
; VGPRBlocks: 0
; NumSGPRsForWavesPerEU: 4
; NumVGPRsForWavesPerEU: 1
; AccumOffset: 4
; Occupancy: 8
; WaveLimiterHint : 0
; COMPUTE_PGM_RSRC2:SCRATCH_EN: 0
; COMPUTE_PGM_RSRC2:USER_SGPR: 6
; COMPUTE_PGM_RSRC2:TRAP_HANDLER: 0
; COMPUTE_PGM_RSRC2:TGID_X_EN: 1
; COMPUTE_PGM_RSRC2:TGID_Y_EN: 0
; COMPUTE_PGM_RSRC2:TGID_Z_EN: 0
; COMPUTE_PGM_RSRC2:TIDIG_COMP_CNT: 0
; COMPUTE_PGM_RSRC3_GFX90A:ACCUM_OFFSET: 0
; COMPUTE_PGM_RSRC3_GFX90A:TG_SPLIT: 0
	.section	.text._ZN7rocprim17ROCPRIM_400000_NS6detail17trampoline_kernelINS0_14default_configENS1_25partition_config_selectorILNS1_17partition_subalgoE2EsNS0_10empty_typeEbEEZZNS1_14partition_implILS5_2ELb0ES3_jN6thrust23THRUST_200600_302600_NS6detail15normal_iteratorINSA_7pointerIsNSA_11hip_rocprim3tagENSA_11use_defaultESG_EEEEPS6_NSA_18transform_iteratorI10is_orderedNSA_12zip_iteratorINSA_5tupleINSC_INSA_10device_ptrIsEEEESQ_NSA_9null_typeESR_SR_SR_SR_SR_SR_SR_EEEESG_SG_EENS0_5tupleIJPsSJ_EEENSV_IJSJ_SJ_EEES6_PlJS6_EEE10hipError_tPvRmT3_T4_T5_T6_T7_T9_mT8_P12ihipStream_tbDpT10_ENKUlT_T0_E_clISt17integral_constantIbLb0EES1I_IbLb1EEEEDaS1E_S1F_EUlS1E_E_NS1_11comp_targetILNS1_3genE4ELNS1_11target_archE910ELNS1_3gpuE8ELNS1_3repE0EEENS1_30default_config_static_selectorELNS0_4arch9wavefront6targetE1EEEvT1_,"axG",@progbits,_ZN7rocprim17ROCPRIM_400000_NS6detail17trampoline_kernelINS0_14default_configENS1_25partition_config_selectorILNS1_17partition_subalgoE2EsNS0_10empty_typeEbEEZZNS1_14partition_implILS5_2ELb0ES3_jN6thrust23THRUST_200600_302600_NS6detail15normal_iteratorINSA_7pointerIsNSA_11hip_rocprim3tagENSA_11use_defaultESG_EEEEPS6_NSA_18transform_iteratorI10is_orderedNSA_12zip_iteratorINSA_5tupleINSC_INSA_10device_ptrIsEEEESQ_NSA_9null_typeESR_SR_SR_SR_SR_SR_SR_EEEESG_SG_EENS0_5tupleIJPsSJ_EEENSV_IJSJ_SJ_EEES6_PlJS6_EEE10hipError_tPvRmT3_T4_T5_T6_T7_T9_mT8_P12ihipStream_tbDpT10_ENKUlT_T0_E_clISt17integral_constantIbLb0EES1I_IbLb1EEEEDaS1E_S1F_EUlS1E_E_NS1_11comp_targetILNS1_3genE4ELNS1_11target_archE910ELNS1_3gpuE8ELNS1_3repE0EEENS1_30default_config_static_selectorELNS0_4arch9wavefront6targetE1EEEvT1_,comdat
	.protected	_ZN7rocprim17ROCPRIM_400000_NS6detail17trampoline_kernelINS0_14default_configENS1_25partition_config_selectorILNS1_17partition_subalgoE2EsNS0_10empty_typeEbEEZZNS1_14partition_implILS5_2ELb0ES3_jN6thrust23THRUST_200600_302600_NS6detail15normal_iteratorINSA_7pointerIsNSA_11hip_rocprim3tagENSA_11use_defaultESG_EEEEPS6_NSA_18transform_iteratorI10is_orderedNSA_12zip_iteratorINSA_5tupleINSC_INSA_10device_ptrIsEEEESQ_NSA_9null_typeESR_SR_SR_SR_SR_SR_SR_EEEESG_SG_EENS0_5tupleIJPsSJ_EEENSV_IJSJ_SJ_EEES6_PlJS6_EEE10hipError_tPvRmT3_T4_T5_T6_T7_T9_mT8_P12ihipStream_tbDpT10_ENKUlT_T0_E_clISt17integral_constantIbLb0EES1I_IbLb1EEEEDaS1E_S1F_EUlS1E_E_NS1_11comp_targetILNS1_3genE4ELNS1_11target_archE910ELNS1_3gpuE8ELNS1_3repE0EEENS1_30default_config_static_selectorELNS0_4arch9wavefront6targetE1EEEvT1_ ; -- Begin function _ZN7rocprim17ROCPRIM_400000_NS6detail17trampoline_kernelINS0_14default_configENS1_25partition_config_selectorILNS1_17partition_subalgoE2EsNS0_10empty_typeEbEEZZNS1_14partition_implILS5_2ELb0ES3_jN6thrust23THRUST_200600_302600_NS6detail15normal_iteratorINSA_7pointerIsNSA_11hip_rocprim3tagENSA_11use_defaultESG_EEEEPS6_NSA_18transform_iteratorI10is_orderedNSA_12zip_iteratorINSA_5tupleINSC_INSA_10device_ptrIsEEEESQ_NSA_9null_typeESR_SR_SR_SR_SR_SR_SR_EEEESG_SG_EENS0_5tupleIJPsSJ_EEENSV_IJSJ_SJ_EEES6_PlJS6_EEE10hipError_tPvRmT3_T4_T5_T6_T7_T9_mT8_P12ihipStream_tbDpT10_ENKUlT_T0_E_clISt17integral_constantIbLb0EES1I_IbLb1EEEEDaS1E_S1F_EUlS1E_E_NS1_11comp_targetILNS1_3genE4ELNS1_11target_archE910ELNS1_3gpuE8ELNS1_3repE0EEENS1_30default_config_static_selectorELNS0_4arch9wavefront6targetE1EEEvT1_
	.globl	_ZN7rocprim17ROCPRIM_400000_NS6detail17trampoline_kernelINS0_14default_configENS1_25partition_config_selectorILNS1_17partition_subalgoE2EsNS0_10empty_typeEbEEZZNS1_14partition_implILS5_2ELb0ES3_jN6thrust23THRUST_200600_302600_NS6detail15normal_iteratorINSA_7pointerIsNSA_11hip_rocprim3tagENSA_11use_defaultESG_EEEEPS6_NSA_18transform_iteratorI10is_orderedNSA_12zip_iteratorINSA_5tupleINSC_INSA_10device_ptrIsEEEESQ_NSA_9null_typeESR_SR_SR_SR_SR_SR_SR_EEEESG_SG_EENS0_5tupleIJPsSJ_EEENSV_IJSJ_SJ_EEES6_PlJS6_EEE10hipError_tPvRmT3_T4_T5_T6_T7_T9_mT8_P12ihipStream_tbDpT10_ENKUlT_T0_E_clISt17integral_constantIbLb0EES1I_IbLb1EEEEDaS1E_S1F_EUlS1E_E_NS1_11comp_targetILNS1_3genE4ELNS1_11target_archE910ELNS1_3gpuE8ELNS1_3repE0EEENS1_30default_config_static_selectorELNS0_4arch9wavefront6targetE1EEEvT1_
	.p2align	8
	.type	_ZN7rocprim17ROCPRIM_400000_NS6detail17trampoline_kernelINS0_14default_configENS1_25partition_config_selectorILNS1_17partition_subalgoE2EsNS0_10empty_typeEbEEZZNS1_14partition_implILS5_2ELb0ES3_jN6thrust23THRUST_200600_302600_NS6detail15normal_iteratorINSA_7pointerIsNSA_11hip_rocprim3tagENSA_11use_defaultESG_EEEEPS6_NSA_18transform_iteratorI10is_orderedNSA_12zip_iteratorINSA_5tupleINSC_INSA_10device_ptrIsEEEESQ_NSA_9null_typeESR_SR_SR_SR_SR_SR_SR_EEEESG_SG_EENS0_5tupleIJPsSJ_EEENSV_IJSJ_SJ_EEES6_PlJS6_EEE10hipError_tPvRmT3_T4_T5_T6_T7_T9_mT8_P12ihipStream_tbDpT10_ENKUlT_T0_E_clISt17integral_constantIbLb0EES1I_IbLb1EEEEDaS1E_S1F_EUlS1E_E_NS1_11comp_targetILNS1_3genE4ELNS1_11target_archE910ELNS1_3gpuE8ELNS1_3repE0EEENS1_30default_config_static_selectorELNS0_4arch9wavefront6targetE1EEEvT1_,@function
_ZN7rocprim17ROCPRIM_400000_NS6detail17trampoline_kernelINS0_14default_configENS1_25partition_config_selectorILNS1_17partition_subalgoE2EsNS0_10empty_typeEbEEZZNS1_14partition_implILS5_2ELb0ES3_jN6thrust23THRUST_200600_302600_NS6detail15normal_iteratorINSA_7pointerIsNSA_11hip_rocprim3tagENSA_11use_defaultESG_EEEEPS6_NSA_18transform_iteratorI10is_orderedNSA_12zip_iteratorINSA_5tupleINSC_INSA_10device_ptrIsEEEESQ_NSA_9null_typeESR_SR_SR_SR_SR_SR_SR_EEEESG_SG_EENS0_5tupleIJPsSJ_EEENSV_IJSJ_SJ_EEES6_PlJS6_EEE10hipError_tPvRmT3_T4_T5_T6_T7_T9_mT8_P12ihipStream_tbDpT10_ENKUlT_T0_E_clISt17integral_constantIbLb0EES1I_IbLb1EEEEDaS1E_S1F_EUlS1E_E_NS1_11comp_targetILNS1_3genE4ELNS1_11target_archE910ELNS1_3gpuE8ELNS1_3repE0EEENS1_30default_config_static_selectorELNS0_4arch9wavefront6targetE1EEEvT1_: ; @_ZN7rocprim17ROCPRIM_400000_NS6detail17trampoline_kernelINS0_14default_configENS1_25partition_config_selectorILNS1_17partition_subalgoE2EsNS0_10empty_typeEbEEZZNS1_14partition_implILS5_2ELb0ES3_jN6thrust23THRUST_200600_302600_NS6detail15normal_iteratorINSA_7pointerIsNSA_11hip_rocprim3tagENSA_11use_defaultESG_EEEEPS6_NSA_18transform_iteratorI10is_orderedNSA_12zip_iteratorINSA_5tupleINSC_INSA_10device_ptrIsEEEESQ_NSA_9null_typeESR_SR_SR_SR_SR_SR_SR_EEEESG_SG_EENS0_5tupleIJPsSJ_EEENSV_IJSJ_SJ_EEES6_PlJS6_EEE10hipError_tPvRmT3_T4_T5_T6_T7_T9_mT8_P12ihipStream_tbDpT10_ENKUlT_T0_E_clISt17integral_constantIbLb0EES1I_IbLb1EEEEDaS1E_S1F_EUlS1E_E_NS1_11comp_targetILNS1_3genE4ELNS1_11target_archE910ELNS1_3gpuE8ELNS1_3repE0EEENS1_30default_config_static_selectorELNS0_4arch9wavefront6targetE1EEEvT1_
; %bb.0:
	s_load_dwordx2 s[24:25], s[4:5], 0x38
	s_load_dwordx4 s[20:23], s[4:5], 0x58
	s_load_dwordx2 s[26:27], s[4:5], 0x68
	s_load_dwordx2 s[34:35], s[4:5], 0x78
	v_cmp_eq_u32_e64 s[0:1], 0, v0
	s_and_saveexec_b64 s[2:3], s[0:1]
	s_cbranch_execz .LBB3652_4
; %bb.1:
	s_mov_b64 s[8:9], exec
	v_mbcnt_lo_u32_b32 v1, s8, 0
	v_mbcnt_hi_u32_b32 v1, s9, v1
	v_cmp_eq_u32_e32 vcc, 0, v1
                                        ; implicit-def: $vgpr2
	s_and_saveexec_b64 s[6:7], vcc
	s_cbranch_execz .LBB3652_3
; %bb.2:
	s_load_dwordx2 s[10:11], s[4:5], 0x88
	s_bcnt1_i32_b64 s8, s[8:9]
	v_mov_b32_e32 v2, 0
	v_mov_b32_e32 v3, s8
	s_waitcnt lgkmcnt(0)
	global_atomic_add v2, v2, v3, s[10:11] glc
.LBB3652_3:
	s_or_b64 exec, exec, s[6:7]
	s_waitcnt vmcnt(0)
	v_readfirstlane_b32 s6, v2
	v_add_u32_e32 v1, s6, v1
	v_mov_b32_e32 v2, 0
	ds_write_b32 v2, v1
.LBB3652_4:
	s_or_b64 exec, exec, s[2:3]
	v_mov_b32_e32 v1, 0
	s_load_dwordx4 s[16:19], s[4:5], 0x8
	s_load_dwordx4 s[8:11], s[4:5], 0x20
	s_load_dword s2, s[4:5], 0x80
	s_waitcnt lgkmcnt(0)
	s_barrier
	ds_read_b32 v2, v1
	s_waitcnt lgkmcnt(0)
	s_barrier
	global_load_dwordx2 v[12:13], v1, s[22:23]
	s_lshl_b64 s[4:5], s[18:19], 1
	s_add_u32 s12, s16, s4
	s_addc_u32 s13, s17, s5
	s_add_i32 s6, s2, -1
	s_mulk_i32 s2, 0x1400
	s_add_i32 s3, s2, s18
	s_sub_i32 s33, s26, s3
	s_addk_i32 s33, 0x1400
	s_add_u32 s2, s18, s2
	v_readfirstlane_b32 s42, v2
	s_addc_u32 s3, s19, 0
	s_cmp_eq_u32 s42, s6
	v_pk_mov_b32 v[2:3], s[26:27], s[26:27] op_sel:[0,1]
	s_cselect_b64 s[22:23], -1, 0
	s_cmp_lg_u32 s42, s6
	s_mul_i32 s28, s42, 0x1400
	s_mov_b32 s29, 0
	v_cmp_lt_u64_e32 vcc, s[2:3], v[2:3]
	s_cselect_b64 s[2:3], -1, 0
	s_or_b64 s[30:31], vcc, s[2:3]
	s_lshl_b64 s[6:7], s[28:29], 1
	s_add_u32 s14, s12, s6
	s_addc_u32 s15, s13, s7
	s_mov_b64 s[2:3], -1
	s_and_b64 vcc, exec, s[30:31]
	v_lshlrev_b32_e32 v1, 1, v0
	s_cbranch_vccz .LBB3652_6
; %bb.5:
	v_mov_b32_e32 v3, s15
	v_add_co_u32_e32 v2, vcc, s14, v1
	v_addc_co_u32_e32 v3, vcc, 0, v3, vcc
	v_add_co_u32_e32 v4, vcc, 0x1000, v2
	v_addc_co_u32_e32 v5, vcc, 0, v3, vcc
	flat_load_ushort v6, v[2:3]
	flat_load_ushort v7, v[2:3] offset:512
	flat_load_ushort v8, v[2:3] offset:1024
	;; [unrolled: 1-line block ×7, first 2 shown]
	v_add_co_u32_e32 v2, vcc, 0x2000, v2
	v_addc_co_u32_e32 v3, vcc, 0, v3, vcc
	flat_load_ushort v16, v[4:5]
	flat_load_ushort v17, v[4:5] offset:512
	flat_load_ushort v18, v[4:5] offset:1024
	;; [unrolled: 1-line block ×7, first 2 shown]
	s_nop 0
	flat_load_ushort v4, v[2:3]
	flat_load_ushort v5, v[2:3] offset:512
	flat_load_ushort v24, v[2:3] offset:1024
	flat_load_ushort v25, v[2:3] offset:1536
	s_mov_b64 s[2:3], 0
	s_waitcnt vmcnt(0) lgkmcnt(0)
	ds_write_b16 v1, v6
	ds_write_b16 v1, v7 offset:512
	ds_write_b16 v1, v8 offset:1024
	;; [unrolled: 1-line block ×19, first 2 shown]
	s_waitcnt lgkmcnt(0)
	s_barrier
.LBB3652_6:
	s_andn2_b64 vcc, exec, s[2:3]
	v_cmp_gt_u32_e64 s[2:3], s33, v0
	s_cbranch_vccnz .LBB3652_48
; %bb.7:
                                        ; implicit-def: $vgpr2
	s_and_saveexec_b64 s[12:13], s[2:3]
	s_cbranch_execz .LBB3652_9
; %bb.8:
	v_mov_b32_e32 v3, s15
	v_add_co_u32_e32 v2, vcc, s14, v1
	v_addc_co_u32_e32 v3, vcc, 0, v3, vcc
	flat_load_ushort v2, v[2:3]
.LBB3652_9:
	s_or_b64 exec, exec, s[12:13]
	v_or_b32_e32 v3, 0x100, v0
	v_cmp_gt_u32_e32 vcc, s33, v3
                                        ; implicit-def: $vgpr3
	s_and_saveexec_b64 s[2:3], vcc
	s_cbranch_execz .LBB3652_11
; %bb.10:
	v_mov_b32_e32 v3, s15
	v_add_co_u32_e32 v4, vcc, s14, v1
	v_addc_co_u32_e32 v5, vcc, 0, v3, vcc
	flat_load_ushort v3, v[4:5] offset:512
.LBB3652_11:
	s_or_b64 exec, exec, s[2:3]
	v_or_b32_e32 v4, 0x200, v0
	v_cmp_gt_u32_e32 vcc, s33, v4
                                        ; implicit-def: $vgpr4
	s_and_saveexec_b64 s[2:3], vcc
	s_cbranch_execz .LBB3652_13
; %bb.12:
	v_mov_b32_e32 v5, s15
	v_add_co_u32_e32 v4, vcc, s14, v1
	v_addc_co_u32_e32 v5, vcc, 0, v5, vcc
	flat_load_ushort v4, v[4:5] offset:1024
.LBB3652_13:
	s_or_b64 exec, exec, s[2:3]
	v_or_b32_e32 v5, 0x300, v0
	v_cmp_gt_u32_e32 vcc, s33, v5
                                        ; implicit-def: $vgpr5
	s_and_saveexec_b64 s[2:3], vcc
	s_cbranch_execz .LBB3652_15
; %bb.14:
	v_mov_b32_e32 v5, s15
	v_add_co_u32_e32 v6, vcc, s14, v1
	v_addc_co_u32_e32 v7, vcc, 0, v5, vcc
	flat_load_ushort v5, v[6:7] offset:1536
.LBB3652_15:
	s_or_b64 exec, exec, s[2:3]
	v_or_b32_e32 v6, 0x400, v0
	v_cmp_gt_u32_e32 vcc, s33, v6
                                        ; implicit-def: $vgpr6
	s_and_saveexec_b64 s[2:3], vcc
	s_cbranch_execz .LBB3652_17
; %bb.16:
	v_mov_b32_e32 v7, s15
	v_add_co_u32_e32 v6, vcc, s14, v1
	v_addc_co_u32_e32 v7, vcc, 0, v7, vcc
	flat_load_ushort v6, v[6:7] offset:2048
.LBB3652_17:
	s_or_b64 exec, exec, s[2:3]
	v_or_b32_e32 v7, 0x500, v0
	v_cmp_gt_u32_e32 vcc, s33, v7
                                        ; implicit-def: $vgpr7
	s_and_saveexec_b64 s[2:3], vcc
	s_cbranch_execz .LBB3652_19
; %bb.18:
	v_mov_b32_e32 v7, s15
	v_add_co_u32_e32 v8, vcc, s14, v1
	v_addc_co_u32_e32 v9, vcc, 0, v7, vcc
	flat_load_ushort v7, v[8:9] offset:2560
.LBB3652_19:
	s_or_b64 exec, exec, s[2:3]
	v_or_b32_e32 v8, 0x600, v0
	v_cmp_gt_u32_e32 vcc, s33, v8
                                        ; implicit-def: $vgpr8
	s_and_saveexec_b64 s[2:3], vcc
	s_cbranch_execz .LBB3652_21
; %bb.20:
	v_mov_b32_e32 v9, s15
	v_add_co_u32_e32 v8, vcc, s14, v1
	v_addc_co_u32_e32 v9, vcc, 0, v9, vcc
	flat_load_ushort v8, v[8:9] offset:3072
.LBB3652_21:
	s_or_b64 exec, exec, s[2:3]
	v_or_b32_e32 v9, 0x700, v0
	v_cmp_gt_u32_e32 vcc, s33, v9
                                        ; implicit-def: $vgpr9
	s_and_saveexec_b64 s[2:3], vcc
	s_cbranch_execz .LBB3652_23
; %bb.22:
	v_mov_b32_e32 v9, s15
	v_add_co_u32_e32 v10, vcc, s14, v1
	v_addc_co_u32_e32 v11, vcc, 0, v9, vcc
	flat_load_ushort v9, v[10:11] offset:3584
.LBB3652_23:
	s_or_b64 exec, exec, s[2:3]
	v_or_b32_e32 v11, 0x800, v0
	v_cmp_gt_u32_e32 vcc, s33, v11
                                        ; implicit-def: $vgpr10
	s_and_saveexec_b64 s[2:3], vcc
	s_cbranch_execz .LBB3652_25
; %bb.24:
	v_lshlrev_b32_e32 v10, 1, v11
	v_mov_b32_e32 v11, s15
	v_add_co_u32_e32 v10, vcc, s14, v10
	v_addc_co_u32_e32 v11, vcc, 0, v11, vcc
	flat_load_ushort v10, v[10:11]
.LBB3652_25:
	s_or_b64 exec, exec, s[2:3]
	v_or_b32_e32 v14, 0x900, v0
	v_cmp_gt_u32_e32 vcc, s33, v14
                                        ; implicit-def: $vgpr11
	s_and_saveexec_b64 s[2:3], vcc
	s_cbranch_execz .LBB3652_27
; %bb.26:
	v_lshlrev_b32_e32 v11, 1, v14
	v_mov_b32_e32 v15, s15
	v_add_co_u32_e32 v14, vcc, s14, v11
	v_addc_co_u32_e32 v15, vcc, 0, v15, vcc
	flat_load_ushort v11, v[14:15]
.LBB3652_27:
	s_or_b64 exec, exec, s[2:3]
	v_or_b32_e32 v15, 0xa00, v0
	v_cmp_gt_u32_e32 vcc, s33, v15
                                        ; implicit-def: $vgpr14
	s_and_saveexec_b64 s[2:3], vcc
	s_cbranch_execz .LBB3652_29
; %bb.28:
	v_lshlrev_b32_e32 v14, 1, v15
	v_mov_b32_e32 v15, s15
	v_add_co_u32_e32 v14, vcc, s14, v14
	v_addc_co_u32_e32 v15, vcc, 0, v15, vcc
	flat_load_ushort v14, v[14:15]
.LBB3652_29:
	s_or_b64 exec, exec, s[2:3]
	v_or_b32_e32 v16, 0xb00, v0
	v_cmp_gt_u32_e32 vcc, s33, v16
                                        ; implicit-def: $vgpr15
	s_and_saveexec_b64 s[2:3], vcc
	s_cbranch_execz .LBB3652_31
; %bb.30:
	v_lshlrev_b32_e32 v15, 1, v16
	v_mov_b32_e32 v17, s15
	v_add_co_u32_e32 v16, vcc, s14, v15
	v_addc_co_u32_e32 v17, vcc, 0, v17, vcc
	flat_load_ushort v15, v[16:17]
.LBB3652_31:
	s_or_b64 exec, exec, s[2:3]
	v_or_b32_e32 v17, 0xc00, v0
	v_cmp_gt_u32_e32 vcc, s33, v17
                                        ; implicit-def: $vgpr16
	s_and_saveexec_b64 s[2:3], vcc
	s_cbranch_execz .LBB3652_33
; %bb.32:
	v_lshlrev_b32_e32 v16, 1, v17
	v_mov_b32_e32 v17, s15
	v_add_co_u32_e32 v16, vcc, s14, v16
	v_addc_co_u32_e32 v17, vcc, 0, v17, vcc
	flat_load_ushort v16, v[16:17]
.LBB3652_33:
	s_or_b64 exec, exec, s[2:3]
	v_or_b32_e32 v18, 0xd00, v0
	v_cmp_gt_u32_e32 vcc, s33, v18
                                        ; implicit-def: $vgpr17
	s_and_saveexec_b64 s[2:3], vcc
	s_cbranch_execz .LBB3652_35
; %bb.34:
	v_lshlrev_b32_e32 v17, 1, v18
	v_mov_b32_e32 v19, s15
	v_add_co_u32_e32 v18, vcc, s14, v17
	v_addc_co_u32_e32 v19, vcc, 0, v19, vcc
	flat_load_ushort v17, v[18:19]
.LBB3652_35:
	s_or_b64 exec, exec, s[2:3]
	v_or_b32_e32 v19, 0xe00, v0
	v_cmp_gt_u32_e32 vcc, s33, v19
                                        ; implicit-def: $vgpr18
	s_and_saveexec_b64 s[2:3], vcc
	s_cbranch_execz .LBB3652_37
; %bb.36:
	v_lshlrev_b32_e32 v18, 1, v19
	v_mov_b32_e32 v19, s15
	v_add_co_u32_e32 v18, vcc, s14, v18
	v_addc_co_u32_e32 v19, vcc, 0, v19, vcc
	flat_load_ushort v18, v[18:19]
.LBB3652_37:
	s_or_b64 exec, exec, s[2:3]
	v_or_b32_e32 v20, 0xf00, v0
	v_cmp_gt_u32_e32 vcc, s33, v20
                                        ; implicit-def: $vgpr19
	s_and_saveexec_b64 s[2:3], vcc
	s_cbranch_execz .LBB3652_39
; %bb.38:
	v_lshlrev_b32_e32 v19, 1, v20
	v_mov_b32_e32 v21, s15
	v_add_co_u32_e32 v20, vcc, s14, v19
	v_addc_co_u32_e32 v21, vcc, 0, v21, vcc
	flat_load_ushort v19, v[20:21]
.LBB3652_39:
	s_or_b64 exec, exec, s[2:3]
	v_or_b32_e32 v21, 0x1000, v0
	v_cmp_gt_u32_e32 vcc, s33, v21
                                        ; implicit-def: $vgpr20
	s_and_saveexec_b64 s[2:3], vcc
	s_cbranch_execz .LBB3652_41
; %bb.40:
	v_lshlrev_b32_e32 v20, 1, v21
	v_mov_b32_e32 v21, s15
	v_add_co_u32_e32 v20, vcc, s14, v20
	v_addc_co_u32_e32 v21, vcc, 0, v21, vcc
	flat_load_ushort v20, v[20:21]
.LBB3652_41:
	s_or_b64 exec, exec, s[2:3]
	v_or_b32_e32 v22, 0x1100, v0
	v_cmp_gt_u32_e32 vcc, s33, v22
                                        ; implicit-def: $vgpr21
	s_and_saveexec_b64 s[2:3], vcc
	s_cbranch_execz .LBB3652_43
; %bb.42:
	v_lshlrev_b32_e32 v21, 1, v22
	v_mov_b32_e32 v23, s15
	v_add_co_u32_e32 v22, vcc, s14, v21
	v_addc_co_u32_e32 v23, vcc, 0, v23, vcc
	flat_load_ushort v21, v[22:23]
.LBB3652_43:
	s_or_b64 exec, exec, s[2:3]
	v_or_b32_e32 v23, 0x1200, v0
	v_cmp_gt_u32_e32 vcc, s33, v23
                                        ; implicit-def: $vgpr22
	s_and_saveexec_b64 s[2:3], vcc
	s_cbranch_execz .LBB3652_45
; %bb.44:
	v_lshlrev_b32_e32 v22, 1, v23
	v_mov_b32_e32 v23, s15
	v_add_co_u32_e32 v22, vcc, s14, v22
	v_addc_co_u32_e32 v23, vcc, 0, v23, vcc
	flat_load_ushort v22, v[22:23]
.LBB3652_45:
	s_or_b64 exec, exec, s[2:3]
	v_or_b32_e32 v24, 0x1300, v0
	v_cmp_gt_u32_e32 vcc, s33, v24
                                        ; implicit-def: $vgpr23
	s_and_saveexec_b64 s[2:3], vcc
	s_cbranch_execz .LBB3652_47
; %bb.46:
	v_lshlrev_b32_e32 v23, 1, v24
	v_mov_b32_e32 v25, s15
	v_add_co_u32_e32 v24, vcc, s14, v23
	v_addc_co_u32_e32 v25, vcc, 0, v25, vcc
	flat_load_ushort v23, v[24:25]
.LBB3652_47:
	s_or_b64 exec, exec, s[2:3]
	s_waitcnt vmcnt(0) lgkmcnt(0)
	ds_write_b16 v1, v2
	ds_write_b16 v1, v3 offset:512
	ds_write_b16 v1, v4 offset:1024
	;; [unrolled: 1-line block ×19, first 2 shown]
	s_waitcnt lgkmcnt(0)
	s_barrier
.LBB3652_48:
	s_add_u32 s2, s8, s4
	v_mul_u32_u24_e32 v28, 20, v0
	s_addc_u32 s3, s9, s5
	v_lshlrev_b32_e32 v6, 1, v28
	s_add_u32 s4, s10, s4
	ds_read_b64 v[14:15], v6 offset:32
	ds_read2_b64 v[2:5], v6 offset0:2 offset1:3
	ds_read2_b64 v[6:9], v6 offset1:1
	s_addc_u32 s5, s11, s5
	s_add_u32 s2, s2, s6
	s_addc_u32 s3, s3, s7
	s_add_u32 s4, s4, s6
	s_addc_u32 s5, s5, s7
	s_mov_b64 s[6:7], -1
	s_and_b64 vcc, exec, s[30:31]
	s_waitcnt lgkmcnt(0)
	s_barrier
	s_cbranch_vccz .LBB3652_50
; %bb.49:
	v_mov_b32_e32 v10, s3
	v_add_co_u32_e32 v16, vcc, s2, v1
	v_addc_co_u32_e32 v17, vcc, 0, v10, vcc
	v_mov_b32_e32 v10, s5
	v_add_co_u32_e32 v20, vcc, s4, v1
	v_addc_co_u32_e32 v21, vcc, 0, v10, vcc
	s_movk_i32 s6, 0x1000
	v_add_co_u32_e32 v10, vcc, s6, v16
	v_addc_co_u32_e32 v11, vcc, 0, v17, vcc
	s_movk_i32 s7, 0x2000
	v_add_co_u32_e32 v16, vcc, s7, v16
	global_load_ushort v22, v1, s[2:3]
	global_load_ushort v23, v1, s[2:3] offset:512
	global_load_ushort v24, v1, s[2:3] offset:1024
	;; [unrolled: 1-line block ×7, first 2 shown]
	global_load_ushort v31, v1, s[4:5]
	global_load_ushort v32, v1, s[4:5] offset:512
	global_load_ushort v33, v1, s[4:5] offset:1024
	;; [unrolled: 1-line block ×7, first 2 shown]
	v_addc_co_u32_e32 v17, vcc, 0, v17, vcc
	global_load_ushort v39, v[16:17], off offset:-4096
	v_add_co_u32_e32 v18, vcc, s6, v20
	v_addc_co_u32_e32 v19, vcc, 0, v21, vcc
	v_add_co_u32_e32 v20, vcc, s7, v20
	v_addc_co_u32_e32 v21, vcc, 0, v21, vcc
	global_load_ushort v40, v[20:21], off offset:-4096
	global_load_ushort v41, v[10:11], off offset:512
	global_load_ushort v42, v[18:19], off offset:512
	;; [unrolled: 1-line block ×14, first 2 shown]
                                        ; kill: killed $vgpr18 killed $vgpr19
                                        ; kill: killed $vgpr10 killed $vgpr11
	s_nop 0
	global_load_ushort v10, v[20:21], off
	global_load_ushort v11, v[16:17], off
	global_load_ushort v18, v[16:17], off offset:512
	global_load_ushort v19, v[20:21], off offset:512
	;; [unrolled: 1-line block ×6, first 2 shown]
	s_mov_b64 s[6:7], 0
	s_waitcnt vmcnt(31)
	v_cmp_le_i16_e32 vcc, v22, v31
	v_cndmask_b32_e64 v16, 0, 1, vcc
	s_waitcnt vmcnt(30)
	v_cmp_le_i16_e32 vcc, v23, v32
	v_cndmask_b32_e64 v17, 0, 1, vcc
	;; [unrolled: 3-line block ×20, first 2 shown]
	ds_write_b8 v0, v16
	ds_write_b8 v0, v17 offset:256
	ds_write_b8 v0, v20 offset:512
	;; [unrolled: 1-line block ×19, first 2 shown]
	s_waitcnt lgkmcnt(0)
	s_barrier
.LBB3652_50:
	s_andn2_b64 vcc, exec, s[6:7]
	s_cbranch_vccnz .LBB3652_92
; %bb.51:
	v_cmp_gt_u32_e32 vcc, s33, v0
	v_mov_b32_e32 v10, 0
	v_mov_b32_e32 v11, 0
	s_and_saveexec_b64 s[6:7], vcc
	s_cbranch_execz .LBB3652_53
; %bb.52:
	global_load_ushort v11, v1, s[2:3]
	global_load_ushort v16, v1, s[4:5]
	s_waitcnt vmcnt(0)
	v_cmp_le_i16_e32 vcc, v11, v16
	v_cndmask_b32_e64 v11, 0, 1, vcc
.LBB3652_53:
	s_or_b64 exec, exec, s[6:7]
	v_or_b32_e32 v16, 0x100, v0
	v_cmp_gt_u32_e32 vcc, s33, v16
	s_and_saveexec_b64 s[6:7], vcc
	s_cbranch_execz .LBB3652_55
; %bb.54:
	global_load_ushort v10, v1, s[2:3] offset:512
	global_load_ushort v16, v1, s[4:5] offset:512
	s_waitcnt vmcnt(0)
	v_cmp_le_i16_e32 vcc, v10, v16
	v_cndmask_b32_e64 v10, 0, 1, vcc
.LBB3652_55:
	s_or_b64 exec, exec, s[6:7]
	v_or_b32_e32 v16, 0x200, v0
	v_cmp_gt_u32_e32 vcc, s33, v16
	v_mov_b32_e32 v16, 0
	v_mov_b32_e32 v17, 0
	s_and_saveexec_b64 s[6:7], vcc
	s_cbranch_execz .LBB3652_57
; %bb.56:
	global_load_ushort v17, v1, s[2:3] offset:1024
	global_load_ushort v18, v1, s[4:5] offset:1024
	s_waitcnt vmcnt(0)
	v_cmp_le_i16_e32 vcc, v17, v18
	v_cndmask_b32_e64 v17, 0, 1, vcc
.LBB3652_57:
	s_or_b64 exec, exec, s[6:7]
	v_or_b32_e32 v18, 0x300, v0
	v_cmp_gt_u32_e32 vcc, s33, v18
	s_and_saveexec_b64 s[6:7], vcc
	s_cbranch_execz .LBB3652_59
; %bb.58:
	global_load_ushort v16, v1, s[2:3] offset:1536
	global_load_ushort v18, v1, s[4:5] offset:1536
	s_waitcnt vmcnt(0)
	v_cmp_le_i16_e32 vcc, v16, v18
	v_cndmask_b32_e64 v16, 0, 1, vcc
.LBB3652_59:
	s_or_b64 exec, exec, s[6:7]
	v_or_b32_e32 v18, 0x400, v0
	v_cmp_gt_u32_e32 vcc, s33, v18
	v_mov_b32_e32 v18, 0
	v_mov_b32_e32 v19, 0
	s_and_saveexec_b64 s[6:7], vcc
	s_cbranch_execz .LBB3652_61
; %bb.60:
	global_load_ushort v19, v1, s[2:3] offset:2048
	global_load_ushort v20, v1, s[4:5] offset:2048
	s_waitcnt vmcnt(0)
	v_cmp_le_i16_e32 vcc, v19, v20
	v_cndmask_b32_e64 v19, 0, 1, vcc
.LBB3652_61:
	;; [unrolled: 26-line block ×3, first 2 shown]
	s_or_b64 exec, exec, s[6:7]
	v_or_b32_e32 v22, 0x700, v0
	v_cmp_gt_u32_e32 vcc, s33, v22
	s_and_saveexec_b64 s[6:7], vcc
	s_cbranch_execz .LBB3652_67
; %bb.66:
	global_load_ushort v20, v1, s[2:3] offset:3584
	global_load_ushort v22, v1, s[4:5] offset:3584
	s_waitcnt vmcnt(0)
	v_cmp_le_i16_e32 vcc, v20, v22
	v_cndmask_b32_e64 v20, 0, 1, vcc
.LBB3652_67:
	s_or_b64 exec, exec, s[6:7]
	v_or_b32_e32 v24, 0x800, v0
	v_cmp_gt_u32_e32 vcc, s33, v24
	v_mov_b32_e32 v22, 0
	v_mov_b32_e32 v23, 0
	s_and_saveexec_b64 s[6:7], vcc
	s_cbranch_execz .LBB3652_69
; %bb.68:
	v_lshlrev_b32_e32 v23, 1, v24
	global_load_ushort v24, v23, s[2:3]
	global_load_ushort v25, v23, s[4:5]
	s_waitcnt vmcnt(0)
	v_cmp_le_i16_e32 vcc, v24, v25
	v_cndmask_b32_e64 v23, 0, 1, vcc
.LBB3652_69:
	s_or_b64 exec, exec, s[6:7]
	v_or_b32_e32 v24, 0x900, v0
	v_cmp_gt_u32_e32 vcc, s33, v24
	s_and_saveexec_b64 s[6:7], vcc
	s_cbranch_execz .LBB3652_71
; %bb.70:
	v_lshlrev_b32_e32 v22, 1, v24
	global_load_ushort v24, v22, s[2:3]
	global_load_ushort v25, v22, s[4:5]
	s_waitcnt vmcnt(0)
	v_cmp_le_i16_e32 vcc, v24, v25
	v_cndmask_b32_e64 v22, 0, 1, vcc
.LBB3652_71:
	s_or_b64 exec, exec, s[6:7]
	v_or_b32_e32 v26, 0xa00, v0
	v_cmp_gt_u32_e32 vcc, s33, v26
	v_mov_b32_e32 v24, 0
	v_mov_b32_e32 v25, 0
	s_and_saveexec_b64 s[6:7], vcc
	s_cbranch_execz .LBB3652_73
; %bb.72:
	v_lshlrev_b32_e32 v25, 1, v26
	global_load_ushort v26, v25, s[2:3]
	global_load_ushort v27, v25, s[4:5]
	s_waitcnt vmcnt(0)
	v_cmp_le_i16_e32 vcc, v26, v27
	v_cndmask_b32_e64 v25, 0, 1, vcc
.LBB3652_73:
	s_or_b64 exec, exec, s[6:7]
	v_or_b32_e32 v26, 0xb00, v0
	v_cmp_gt_u32_e32 vcc, s33, v26
	s_and_saveexec_b64 s[6:7], vcc
	s_cbranch_execz .LBB3652_75
; %bb.74:
	v_lshlrev_b32_e32 v24, 1, v26
	global_load_ushort v26, v24, s[2:3]
	global_load_ushort v27, v24, s[4:5]
	s_waitcnt vmcnt(0)
	v_cmp_le_i16_e32 vcc, v26, v27
	v_cndmask_b32_e64 v24, 0, 1, vcc
.LBB3652_75:
	;; [unrolled: 28-line block ×6, first 2 shown]
	s_or_b64 exec, exec, s[6:7]
	ds_write_b8 v0, v11
	ds_write_b8 v0, v10 offset:256
	ds_write_b8 v0, v17 offset:512
	;; [unrolled: 1-line block ×19, first 2 shown]
	s_waitcnt lgkmcnt(0)
	s_barrier
.LBB3652_92:
	ds_read2_b32 v[18:19], v28 offset1:1
	ds_read2_b32 v[16:17], v28 offset0:2 offset1:3
	ds_read_b32 v30, v28 offset:16
	s_cmp_lg_u32 s42, 0
	v_lshrrev_b32_e32 v49, 6, v0
	s_waitcnt lgkmcnt(2)
	v_lshrrev_b32_e32 v35, 24, v18
	v_bfe_u32 v47, v18, 16, 8
	v_add_u32_sdwa v10, v18, v18 dst_sel:DWORD dst_unused:UNUSED_PAD src0_sel:BYTE_1 src1_sel:BYTE_0
	v_and_b32_e32 v44, 0xff, v19
	v_bfe_u32 v45, v19, 8, 8
	v_add3_u32 v10, v10, v47, v35
	v_lshrrev_b32_e32 v34, 24, v19
	v_bfe_u32 v46, v19, 16, 8
	v_add3_u32 v10, v10, v44, v45
	s_waitcnt lgkmcnt(1)
	v_and_b32_e32 v41, 0xff, v16
	v_bfe_u32 v42, v16, 8, 8
	v_add3_u32 v10, v10, v46, v34
	v_lshrrev_b32_e32 v33, 24, v16
	v_bfe_u32 v43, v16, 16, 8
	v_add3_u32 v10, v10, v41, v42
	v_and_b32_e32 v38, 0xff, v17
	v_bfe_u32 v39, v17, 8, 8
	v_add3_u32 v10, v10, v43, v33
	v_lshrrev_b32_e32 v32, 24, v17
	v_bfe_u32 v40, v17, 16, 8
	v_add3_u32 v10, v10, v38, v39
	s_waitcnt lgkmcnt(0)
	v_and_b32_e32 v36, 0xff, v30
	v_bfe_u32 v37, v30, 8, 8
	v_add3_u32 v10, v10, v40, v32
	v_lshrrev_b32_e32 v29, 24, v30
	v_bfe_u32 v31, v30, 16, 8
	v_add3_u32 v10, v10, v36, v37
	v_add3_u32 v50, v10, v31, v29
	v_mbcnt_lo_u32_b32 v10, -1, 0
	v_mbcnt_hi_u32_b32 v48, -1, v10
	v_and_b32_e32 v10, 15, v48
	v_cmp_eq_u32_e64 s[14:15], 0, v10
	v_cmp_lt_u32_e64 s[12:13], 1, v10
	v_cmp_lt_u32_e64 s[10:11], 3, v10
	;; [unrolled: 1-line block ×3, first 2 shown]
	v_and_b32_e32 v10, 16, v48
	v_cmp_eq_u32_e64 s[6:7], 0, v10
	v_or_b32_e32 v10, 63, v0
	v_cmp_lt_u32_e64 s[2:3], 31, v48
	v_cmp_eq_u32_e64 s[4:5], v10, v0
	s_barrier
	s_cbranch_scc0 .LBB3652_119
; %bb.93:
	v_mov_b32_dpp v10, v50 row_shr:1 row_mask:0xf bank_mask:0xf
	v_cndmask_b32_e64 v10, v10, 0, s[14:15]
	v_add_u32_e32 v10, v10, v50
	s_nop 1
	v_mov_b32_dpp v11, v10 row_shr:2 row_mask:0xf bank_mask:0xf
	v_cndmask_b32_e64 v11, 0, v11, s[12:13]
	v_add_u32_e32 v10, v10, v11
	s_nop 1
	;; [unrolled: 4-line block ×4, first 2 shown]
	v_mov_b32_dpp v11, v10 row_bcast:15 row_mask:0xf bank_mask:0xf
	v_cndmask_b32_e64 v11, v11, 0, s[6:7]
	v_add_u32_e32 v10, v10, v11
	s_nop 1
	v_mov_b32_dpp v11, v10 row_bcast:31 row_mask:0xf bank_mask:0xf
	v_cndmask_b32_e64 v11, 0, v11, s[2:3]
	v_add_u32_e32 v10, v10, v11
	s_and_saveexec_b64 s[16:17], s[4:5]
	s_cbranch_execz .LBB3652_95
; %bb.94:
	v_lshlrev_b32_e32 v11, 2, v49
	ds_write_b32 v11, v10
.LBB3652_95:
	s_or_b64 exec, exec, s[16:17]
	v_cmp_gt_u32_e32 vcc, 4, v0
	s_waitcnt lgkmcnt(0)
	s_barrier
	s_and_saveexec_b64 s[16:17], vcc
	s_cbranch_execz .LBB3652_97
; %bb.96:
	v_lshlrev_b32_e32 v11, 2, v0
	ds_read_b32 v20, v11
	v_and_b32_e32 v21, 3, v48
	v_cmp_ne_u32_e32 vcc, 0, v21
	s_waitcnt lgkmcnt(0)
	v_mov_b32_dpp v22, v20 row_shr:1 row_mask:0xf bank_mask:0xf
	v_cndmask_b32_e32 v22, 0, v22, vcc
	v_add_u32_e32 v20, v22, v20
	v_cmp_lt_u32_e32 vcc, 1, v21
	s_nop 0
	v_mov_b32_dpp v22, v20 row_shr:2 row_mask:0xf bank_mask:0xf
	v_cndmask_b32_e32 v21, 0, v22, vcc
	v_add_u32_e32 v20, v20, v21
	ds_write_b32 v11, v20
.LBB3652_97:
	s_or_b64 exec, exec, s[16:17]
	v_cmp_gt_u32_e32 vcc, 64, v0
	v_cmp_lt_u32_e64 s[16:17], 63, v0
	s_waitcnt lgkmcnt(0)
	s_barrier
	s_waitcnt lgkmcnt(0)
                                        ; implicit-def: $vgpr51
	s_and_saveexec_b64 s[36:37], s[16:17]
	s_cbranch_execz .LBB3652_99
; %bb.98:
	v_lshl_add_u32 v11, v49, 2, -4
	ds_read_b32 v51, v11
	s_waitcnt lgkmcnt(0)
	v_add_u32_e32 v10, v51, v10
.LBB3652_99:
	s_or_b64 exec, exec, s[36:37]
	v_add_u32_e32 v11, -1, v48
	v_and_b32_e32 v20, 64, v48
	v_cmp_lt_i32_e64 s[16:17], v11, v20
	v_cndmask_b32_e64 v11, v11, v48, s[16:17]
	v_lshlrev_b32_e32 v11, 2, v11
	ds_bpermute_b32 v52, v11, v10
	v_cmp_eq_u32_e64 s[16:17], 0, v48
	s_and_saveexec_b64 s[36:37], vcc
	s_cbranch_execz .LBB3652_118
; %bb.100:
	v_mov_b32_e32 v25, 0
	ds_read_b32 v10, v25 offset:12
	s_and_saveexec_b64 s[38:39], s[16:17]
	s_cbranch_execz .LBB3652_102
; %bb.101:
	s_add_i32 s40, s42, 64
	s_mov_b32 s41, 0
	s_lshl_b64 s[40:41], s[40:41], 3
	s_add_u32 s40, s34, s40
	v_mov_b32_e32 v11, 1
	s_addc_u32 s41, s35, s41
	s_waitcnt lgkmcnt(0)
	global_store_dwordx2 v25, v[10:11], s[40:41]
.LBB3652_102:
	s_or_b64 exec, exec, s[38:39]
	v_xad_u32 v20, v48, -1, s42
	v_add_u32_e32 v24, 64, v20
	v_lshlrev_b64 v[22:23], 3, v[24:25]
	v_mov_b32_e32 v11, s35
	v_add_co_u32_e32 v26, vcc, s34, v22
	v_addc_co_u32_e32 v27, vcc, v11, v23, vcc
	global_load_dwordx2 v[22:23], v[26:27], off glc
	s_waitcnt vmcnt(0)
	v_cmp_eq_u16_sdwa s[40:41], v23, v25 src0_sel:BYTE_0 src1_sel:DWORD
	s_and_saveexec_b64 s[38:39], s[40:41]
	s_cbranch_execz .LBB3652_106
; %bb.103:
	s_mov_b64 s[40:41], 0
	v_mov_b32_e32 v11, 0
.LBB3652_104:                           ; =>This Inner Loop Header: Depth=1
	global_load_dwordx2 v[22:23], v[26:27], off glc
	s_waitcnt vmcnt(0)
	v_cmp_ne_u16_sdwa s[44:45], v23, v11 src0_sel:BYTE_0 src1_sel:DWORD
	s_or_b64 s[40:41], s[44:45], s[40:41]
	s_andn2_b64 exec, exec, s[40:41]
	s_cbranch_execnz .LBB3652_104
; %bb.105:
	s_or_b64 exec, exec, s[40:41]
.LBB3652_106:
	s_or_b64 exec, exec, s[38:39]
	v_and_b32_e32 v54, 63, v48
	v_mov_b32_e32 v53, 2
	v_cmp_ne_u32_e32 vcc, 63, v54
	v_cmp_eq_u16_sdwa s[38:39], v23, v53 src0_sel:BYTE_0 src1_sel:DWORD
	v_lshlrev_b64 v[24:25], v48, -1
	v_addc_co_u32_e32 v26, vcc, 0, v48, vcc
	v_and_b32_e32 v11, s39, v25
	v_lshlrev_b32_e32 v55, 2, v26
	v_or_b32_e32 v11, 0x80000000, v11
	ds_bpermute_b32 v26, v55, v22
	v_and_b32_e32 v21, s38, v24
	v_ffbl_b32_e32 v11, v11
	v_add_u32_e32 v11, 32, v11
	v_ffbl_b32_e32 v21, v21
	v_min_u32_e32 v11, v21, v11
	v_cmp_lt_u32_e32 vcc, v54, v11
	s_waitcnt lgkmcnt(0)
	v_cndmask_b32_e32 v21, 0, v26, vcc
	v_cmp_gt_u32_e32 vcc, 62, v54
	v_add_u32_e32 v21, v21, v22
	v_cndmask_b32_e64 v22, 0, 1, vcc
	v_lshlrev_b32_e32 v22, 1, v22
	v_add_lshl_u32 v56, v22, v48, 2
	ds_bpermute_b32 v22, v56, v21
	v_add_u32_e32 v57, 2, v54
	v_cmp_le_u32_e32 vcc, v57, v11
	v_add_u32_e32 v59, 4, v54
	v_add_u32_e32 v61, 8, v54
	s_waitcnt lgkmcnt(0)
	v_cndmask_b32_e32 v22, 0, v22, vcc
	v_cmp_gt_u32_e32 vcc, 60, v54
	v_add_u32_e32 v21, v21, v22
	v_cndmask_b32_e64 v22, 0, 1, vcc
	v_lshlrev_b32_e32 v22, 2, v22
	v_add_lshl_u32 v58, v22, v48, 2
	ds_bpermute_b32 v22, v58, v21
	v_cmp_le_u32_e32 vcc, v59, v11
	v_add_u32_e32 v63, 16, v54
	v_add_u32_e32 v65, 32, v54
	s_waitcnt lgkmcnt(0)
	v_cndmask_b32_e32 v22, 0, v22, vcc
	v_cmp_gt_u32_e32 vcc, 56, v54
	v_add_u32_e32 v21, v21, v22
	v_cndmask_b32_e64 v22, 0, 1, vcc
	v_lshlrev_b32_e32 v22, 3, v22
	v_add_lshl_u32 v60, v22, v48, 2
	ds_bpermute_b32 v22, v60, v21
	v_cmp_le_u32_e32 vcc, v61, v11
	s_waitcnt lgkmcnt(0)
	v_cndmask_b32_e32 v22, 0, v22, vcc
	v_cmp_gt_u32_e32 vcc, 48, v54
	v_add_u32_e32 v21, v21, v22
	v_cndmask_b32_e64 v22, 0, 1, vcc
	v_lshlrev_b32_e32 v22, 4, v22
	v_add_lshl_u32 v62, v22, v48, 2
	ds_bpermute_b32 v22, v62, v21
	v_cmp_le_u32_e32 vcc, v63, v11
	s_waitcnt lgkmcnt(0)
	v_cndmask_b32_e32 v22, 0, v22, vcc
	v_cmp_gt_u32_e32 vcc, 32, v54
	v_add_u32_e32 v21, v21, v22
	v_cndmask_b32_e64 v22, 0, 1, vcc
	v_lshlrev_b32_e32 v22, 5, v22
	v_add_lshl_u32 v64, v22, v48, 2
	ds_bpermute_b32 v22, v64, v21
	v_cmp_le_u32_e32 vcc, v65, v11
	s_waitcnt lgkmcnt(0)
	v_cndmask_b32_e32 v11, 0, v22, vcc
	v_add_u32_e32 v22, v21, v11
	v_mov_b32_e32 v21, 0
	s_branch .LBB3652_108
.LBB3652_107:                           ;   in Loop: Header=BB3652_108 Depth=1
	s_or_b64 exec, exec, s[38:39]
	v_cmp_eq_u16_sdwa s[38:39], v23, v53 src0_sel:BYTE_0 src1_sel:DWORD
	v_and_b32_e32 v26, s39, v25
	v_or_b32_e32 v26, 0x80000000, v26
	ds_bpermute_b32 v66, v55, v22
	v_and_b32_e32 v27, s38, v24
	v_ffbl_b32_e32 v26, v26
	v_add_u32_e32 v26, 32, v26
	v_ffbl_b32_e32 v27, v27
	v_min_u32_e32 v26, v27, v26
	v_cmp_lt_u32_e32 vcc, v54, v26
	s_waitcnt lgkmcnt(0)
	v_cndmask_b32_e32 v27, 0, v66, vcc
	v_add_u32_e32 v22, v27, v22
	ds_bpermute_b32 v27, v56, v22
	v_cmp_le_u32_e32 vcc, v57, v26
	v_subrev_u32_e32 v20, 64, v20
	s_waitcnt lgkmcnt(0)
	v_cndmask_b32_e32 v27, 0, v27, vcc
	v_add_u32_e32 v22, v22, v27
	ds_bpermute_b32 v27, v58, v22
	v_cmp_le_u32_e32 vcc, v59, v26
	s_waitcnt lgkmcnt(0)
	v_cndmask_b32_e32 v27, 0, v27, vcc
	v_add_u32_e32 v22, v22, v27
	ds_bpermute_b32 v27, v60, v22
	v_cmp_le_u32_e32 vcc, v61, v26
	;; [unrolled: 5-line block ×4, first 2 shown]
	s_waitcnt lgkmcnt(0)
	v_cndmask_b32_e32 v26, 0, v27, vcc
	v_add3_u32 v22, v26, v11, v22
.LBB3652_108:                           ; =>This Loop Header: Depth=1
                                        ;     Child Loop BB3652_111 Depth 2
	v_cmp_ne_u16_sdwa s[38:39], v23, v53 src0_sel:BYTE_0 src1_sel:DWORD
	v_cndmask_b32_e64 v11, 0, 1, s[38:39]
	;;#ASMSTART
	;;#ASMEND
	v_cmp_ne_u32_e32 vcc, 0, v11
	s_cmp_lg_u64 vcc, exec
	v_mov_b32_e32 v11, v22
	s_cbranch_scc1 .LBB3652_113
; %bb.109:                              ;   in Loop: Header=BB3652_108 Depth=1
	v_lshlrev_b64 v[22:23], 3, v[20:21]
	v_mov_b32_e32 v27, s35
	v_add_co_u32_e32 v26, vcc, s34, v22
	v_addc_co_u32_e32 v27, vcc, v27, v23, vcc
	global_load_dwordx2 v[22:23], v[26:27], off glc
	s_waitcnt vmcnt(0)
	v_cmp_eq_u16_sdwa s[40:41], v23, v21 src0_sel:BYTE_0 src1_sel:DWORD
	s_and_saveexec_b64 s[38:39], s[40:41]
	s_cbranch_execz .LBB3652_107
; %bb.110:                              ;   in Loop: Header=BB3652_108 Depth=1
	s_mov_b64 s[40:41], 0
.LBB3652_111:                           ;   Parent Loop BB3652_108 Depth=1
                                        ; =>  This Inner Loop Header: Depth=2
	global_load_dwordx2 v[22:23], v[26:27], off glc
	s_waitcnt vmcnt(0)
	v_cmp_ne_u16_sdwa s[44:45], v23, v21 src0_sel:BYTE_0 src1_sel:DWORD
	s_or_b64 s[40:41], s[44:45], s[40:41]
	s_andn2_b64 exec, exec, s[40:41]
	s_cbranch_execnz .LBB3652_111
; %bb.112:                              ;   in Loop: Header=BB3652_108 Depth=1
	s_or_b64 exec, exec, s[40:41]
	s_branch .LBB3652_107
.LBB3652_113:                           ;   in Loop: Header=BB3652_108 Depth=1
                                        ; implicit-def: $vgpr22
                                        ; implicit-def: $vgpr23
	s_cbranch_execz .LBB3652_108
; %bb.114:
	s_and_saveexec_b64 s[38:39], s[16:17]
	s_cbranch_execz .LBB3652_116
; %bb.115:
	s_add_i32 s40, s42, 64
	s_mov_b32 s41, 0
	s_lshl_b64 s[40:41], s[40:41], 3
	s_add_u32 s40, s34, s40
	v_add_u32_e32 v20, v11, v10
	v_mov_b32_e32 v21, 2
	s_addc_u32 s41, s35, s41
	v_mov_b32_e32 v22, 0
	global_store_dwordx2 v22, v[20:21], s[40:41]
	ds_write_b64 v22, v[10:11] offset:10240
.LBB3652_116:
	s_or_b64 exec, exec, s[38:39]
	s_and_b64 exec, exec, s[0:1]
	s_cbranch_execz .LBB3652_118
; %bb.117:
	v_mov_b32_e32 v10, 0
	ds_write_b32 v10, v11 offset:12
.LBB3652_118:
	s_or_b64 exec, exec, s[36:37]
	v_mov_b32_e32 v10, 0
	s_waitcnt lgkmcnt(0)
	s_barrier
	ds_read_b32 v20, v10 offset:12
	s_waitcnt lgkmcnt(0)
	s_barrier
	ds_read_b64 v[10:11], v10 offset:10240
	v_cndmask_b32_e64 v21, v52, v51, s[16:17]
	v_cndmask_b32_e64 v21, v21, 0, s[0:1]
	v_add_u32_e32 v24, v20, v21
	s_branch .LBB3652_129
.LBB3652_119:
                                        ; implicit-def: $vgpr11
                                        ; implicit-def: $vgpr24
	s_cbranch_execz .LBB3652_129
; %bb.120:
	s_waitcnt lgkmcnt(0)
	v_mov_b32_dpp v10, v50 row_shr:1 row_mask:0xf bank_mask:0xf
	v_cndmask_b32_e64 v10, v10, 0, s[14:15]
	v_add_u32_e32 v10, v10, v50
	s_nop 1
	v_mov_b32_dpp v11, v10 row_shr:2 row_mask:0xf bank_mask:0xf
	v_cndmask_b32_e64 v11, 0, v11, s[12:13]
	v_add_u32_e32 v10, v10, v11
	s_nop 1
	v_mov_b32_dpp v11, v10 row_shr:4 row_mask:0xf bank_mask:0xf
	v_cndmask_b32_e64 v11, 0, v11, s[10:11]
	v_add_u32_e32 v10, v10, v11
	s_nop 1
	v_mov_b32_dpp v11, v10 row_shr:8 row_mask:0xf bank_mask:0xf
	v_cndmask_b32_e64 v11, 0, v11, s[8:9]
	v_add_u32_e32 v10, v10, v11
	s_nop 1
	v_mov_b32_dpp v11, v10 row_bcast:15 row_mask:0xf bank_mask:0xf
	v_cndmask_b32_e64 v11, v11, 0, s[6:7]
	v_add_u32_e32 v10, v10, v11
	s_nop 1
	v_mov_b32_dpp v11, v10 row_bcast:31 row_mask:0xf bank_mask:0xf
	v_cndmask_b32_e64 v11, 0, v11, s[2:3]
	v_add_u32_e32 v10, v10, v11
	s_and_saveexec_b64 s[2:3], s[4:5]
	s_cbranch_execz .LBB3652_122
; %bb.121:
	v_lshlrev_b32_e32 v11, 2, v49
	ds_write_b32 v11, v10
.LBB3652_122:
	s_or_b64 exec, exec, s[2:3]
	v_cmp_gt_u32_e32 vcc, 4, v0
	s_waitcnt lgkmcnt(0)
	s_barrier
	s_and_saveexec_b64 s[2:3], vcc
	s_cbranch_execz .LBB3652_124
; %bb.123:
	v_lshlrev_b32_e32 v11, 2, v0
	ds_read_b32 v20, v11
	v_and_b32_e32 v21, 3, v48
	v_cmp_ne_u32_e32 vcc, 0, v21
	s_waitcnt lgkmcnt(0)
	v_mov_b32_dpp v22, v20 row_shr:1 row_mask:0xf bank_mask:0xf
	v_cndmask_b32_e32 v22, 0, v22, vcc
	v_add_u32_e32 v20, v22, v20
	v_cmp_lt_u32_e32 vcc, 1, v21
	s_nop 0
	v_mov_b32_dpp v22, v20 row_shr:2 row_mask:0xf bank_mask:0xf
	v_cndmask_b32_e32 v21, 0, v22, vcc
	v_add_u32_e32 v20, v20, v21
	ds_write_b32 v11, v20
.LBB3652_124:
	s_or_b64 exec, exec, s[2:3]
	v_cmp_lt_u32_e32 vcc, 63, v0
	v_mov_b32_e32 v11, 0
	v_mov_b32_e32 v20, 0
	s_waitcnt lgkmcnt(0)
	s_barrier
	s_and_saveexec_b64 s[2:3], vcc
	s_cbranch_execz .LBB3652_126
; %bb.125:
	v_lshl_add_u32 v20, v49, 2, -4
	ds_read_b32 v20, v20
.LBB3652_126:
	s_or_b64 exec, exec, s[2:3]
	v_add_u32_e32 v21, -1, v48
	v_and_b32_e32 v22, 64, v48
	v_cmp_lt_i32_e32 vcc, v21, v22
	v_cndmask_b32_e32 v21, v21, v48, vcc
	s_waitcnt lgkmcnt(0)
	v_add_u32_e32 v10, v20, v10
	v_lshlrev_b32_e32 v21, 2, v21
	ds_bpermute_b32 v21, v21, v10
	ds_read_b32 v10, v11 offset:12
	s_and_saveexec_b64 s[2:3], s[0:1]
	s_cbranch_execz .LBB3652_128
; %bb.127:
	v_mov_b32_e32 v22, 0
	v_mov_b32_e32 v11, 2
	s_waitcnt lgkmcnt(0)
	global_store_dwordx2 v22, v[10:11], s[34:35] offset:512
.LBB3652_128:
	s_or_b64 exec, exec, s[2:3]
	v_cmp_eq_u32_e32 vcc, 0, v48
	s_waitcnt lgkmcnt(1)
	v_cndmask_b32_e32 v20, v21, v20, vcc
	v_mov_b32_e32 v11, 0
	v_cndmask_b32_e64 v24, v20, 0, s[0:1]
	s_waitcnt lgkmcnt(0)
	s_barrier
.LBB3652_129:
	v_add_u32_sdwa v26, v24, v18 dst_sel:DWORD dst_unused:UNUSED_PAD src0_sel:DWORD src1_sel:BYTE_0
	s_waitcnt lgkmcnt(0)
	v_add_u32_e32 v28, v10, v28
	v_sub_u32_e32 v24, v24, v11
	v_and_b32_e32 v53, 1, v18
	v_sub_u32_e32 v52, v28, v24
	v_cmp_eq_u32_e32 vcc, 1, v53
	v_cndmask_b32_e32 v24, v52, v24, vcc
	v_lshlrev_b32_e32 v24, 1, v24
	v_lshrrev_b32_e32 v25, 8, v18
	ds_write_b16 v24, v6
	v_sub_u32_e32 v24, v26, v11
	v_add_u32_sdwa v27, v26, v18 dst_sel:DWORD dst_unused:UNUSED_PAD src0_sel:DWORD src1_sel:BYTE_1
	v_sub_u32_e32 v26, v28, v24
	v_and_b32_e32 v25, 1, v25
	v_add_u32_e32 v26, 1, v26
	v_cmp_eq_u32_e32 vcc, 1, v25
	v_cndmask_b32_e32 v24, v26, v24, vcc
	v_lshlrev_b32_e32 v24, 1, v24
	ds_write_b16_d16_hi v24, v6
	v_sub_u32_e32 v6, v27, v11
	v_mov_b32_e32 v25, 1
	v_sub_u32_e32 v24, v28, v6
	v_and_b32_sdwa v18, v25, v18 dst_sel:DWORD dst_unused:UNUSED_PAD src0_sel:DWORD src1_sel:WORD_1
	v_add_u32_e32 v24, 2, v24
	v_cmp_eq_u32_e32 vcc, 1, v18
	v_cndmask_b32_e32 v6, v24, v6, vcc
	v_add_u32_e32 v47, v27, v47
	v_lshlrev_b32_e32 v6, 1, v6
	ds_write_b16 v6, v7
	v_sub_u32_e32 v6, v47, v11
	v_sub_u32_e32 v18, v28, v6
	v_and_b32_e32 v24, 1, v35
	v_add_u32_e32 v18, 3, v18
	v_cmp_eq_u32_e32 vcc, 1, v24
	v_cndmask_b32_e32 v6, v18, v6, vcc
	v_add_u32_e32 v48, v47, v35
	v_lshlrev_b32_e32 v6, 1, v6
	ds_write_b16_d16_hi v6, v7
	v_sub_u32_e32 v6, v48, v11
	v_sub_u32_e32 v7, v28, v6
	v_and_b32_e32 v18, 1, v19
	v_add_u32_e32 v7, 4, v7
	v_cmp_eq_u32_e32 vcc, 1, v18
	v_cndmask_b32_e32 v6, v7, v6, vcc
	v_add_u32_e32 v44, v48, v44
	v_lshlrev_b32_e32 v6, 1, v6
	v_lshrrev_b32_e32 v23, 8, v19
	ds_write_b16 v6, v8
	v_sub_u32_e32 v6, v44, v11
	v_sub_u32_e32 v7, v28, v6
	v_and_b32_e32 v18, 1, v23
	v_add_u32_e32 v7, 5, v7
	v_cmp_eq_u32_e32 vcc, 1, v18
	v_cndmask_b32_e32 v6, v7, v6, vcc
	v_add_u32_e32 v45, v44, v45
	v_lshlrev_b32_e32 v6, 1, v6
	ds_write_b16_d16_hi v6, v8
	v_sub_u32_e32 v6, v45, v11
	v_sub_u32_e32 v7, v28, v6
	v_and_b32_sdwa v8, v25, v19 dst_sel:DWORD dst_unused:UNUSED_PAD src0_sel:DWORD src1_sel:WORD_1
	v_add_u32_e32 v7, 6, v7
	v_cmp_eq_u32_e32 vcc, 1, v8
	v_cndmask_b32_e32 v6, v7, v6, vcc
	v_add_u32_e32 v46, v45, v46
	v_lshlrev_b32_e32 v6, 1, v6
	ds_write_b16 v6, v9
	v_sub_u32_e32 v6, v46, v11
	v_sub_u32_e32 v7, v28, v6
	v_and_b32_e32 v8, 1, v34
	v_add_u32_e32 v7, 7, v7
	v_cmp_eq_u32_e32 vcc, 1, v8
	v_cndmask_b32_e32 v6, v7, v6, vcc
	v_add_u32_e32 v49, v46, v34
	v_lshlrev_b32_e32 v6, 1, v6
	ds_write_b16_d16_hi v6, v9
	v_sub_u32_e32 v6, v49, v11
	v_sub_u32_e32 v7, v28, v6
	v_and_b32_e32 v8, 1, v16
	v_add_u32_e32 v7, 8, v7
	v_cmp_eq_u32_e32 vcc, 1, v8
	v_cndmask_b32_e32 v6, v7, v6, vcc
	v_add_u32_e32 v41, v49, v41
	v_lshlrev_b32_e32 v6, 1, v6
	v_lshrrev_b32_e32 v22, 8, v16
	ds_write_b16 v6, v2
	v_sub_u32_e32 v6, v41, v11
	v_sub_u32_e32 v7, v28, v6
	v_and_b32_e32 v8, 1, v22
	v_add_u32_e32 v7, 9, v7
	v_cmp_eq_u32_e32 vcc, 1, v8
	v_cndmask_b32_e32 v6, v7, v6, vcc
	v_add_u32_e32 v42, v41, v42
	v_lshlrev_b32_e32 v6, 1, v6
	ds_write_b16_d16_hi v6, v2
	v_sub_u32_e32 v2, v42, v11
	;; [unrolled: 37-line block ×4, first 2 shown]
	v_sub_u32_e32 v3, v28, v2
	v_and_b32_sdwa v4, v25, v30 dst_sel:DWORD dst_unused:UNUSED_PAD src0_sel:DWORD src1_sel:WORD_1
	v_add_u32_e32 v3, 18, v3
	v_cmp_eq_u32_e32 vcc, 1, v4
	v_cndmask_b32_e32 v2, v3, v2, vcc
	v_lshlrev_b32_e32 v2, 1, v2
	ds_write_b16 v2, v15
	v_sub_u32_e32 v2, v31, v11
	v_add_u32_e32 v2, v37, v2
	v_sub_u32_e32 v3, v28, v2
	v_and_b32_e32 v4, 1, v29
	v_add_u32_e32 v3, 19, v3
	v_cmp_eq_u32_e32 vcc, 1, v4
	v_cndmask_b32_e32 v2, v3, v2, vcc
	v_lshlrev_b32_e32 v2, 1, v2
	ds_write_b16_d16_hi v2, v15
	s_waitcnt lgkmcnt(0)
	s_barrier
	ds_read_u16 v49, v1
	ds_read_u16 v47, v1 offset:512
	ds_read_u16 v45, v1 offset:1024
	;; [unrolled: 1-line block ×19, first 2 shown]
	s_add_u32 s2, s18, s28
	s_addc_u32 s3, s19, 0
	s_waitcnt vmcnt(0)
	v_add_co_u32_e32 v1, vcc, v12, v11
	s_sub_u32 s2, s26, s2
	v_addc_co_u32_e32 v4, vcc, 0, v13, vcc
	s_subb_u32 s3, s27, s3
	v_mov_b32_e32 v2, s3
	v_add_co_u32_e32 v3, vcc, s2, v10
	v_addc_co_u32_e32 v2, vcc, 0, v2, vcc
	v_add_co_u32_e64 v7, s[2:3], v3, v1
	v_or_b32_e32 v48, 0x100, v0
	v_or_b32_e32 v46, 0x200, v0
	;; [unrolled: 1-line block ×19, first 2 shown]
	s_andn2_b64 vcc, exec, s[30:31]
	v_addc_co_u32_e64 v8, s[2:3], v2, v4, s[2:3]
	s_cbranch_vccnz .LBB3652_214
; %bb.130:
	v_cmp_ge_u32_e32 vcc, v0, v10
                                        ; implicit-def: $vgpr2_vgpr3
	s_and_saveexec_b64 s[2:3], vcc
	s_xor_b64 s[2:3], exec, s[2:3]
; %bb.131:
	v_not_b32_e32 v2, v0
	v_ashrrev_i32_e32 v3, 31, v2
	v_add_co_u32_e32 v2, vcc, v7, v2
	v_addc_co_u32_e32 v3, vcc, v8, v3, vcc
; %bb.132:
	s_andn2_saveexec_b64 s[2:3], s[2:3]
; %bb.133:
	v_add_co_u32_e32 v2, vcc, v1, v0
	v_addc_co_u32_e32 v3, vcc, 0, v4, vcc
; %bb.134:
	s_or_b64 exec, exec, s[2:3]
	v_lshlrev_b64 v[2:3], 1, v[2:3]
	v_mov_b32_e32 v11, s25
	v_add_co_u32_e32 v2, vcc, s24, v2
	v_addc_co_u32_e32 v3, vcc, v11, v3, vcc
	v_cmp_ge_u32_e32 vcc, v48, v10
	s_waitcnt lgkmcnt(14)
	global_store_short v[2:3], v49, off
                                        ; implicit-def: $vgpr2_vgpr3
	s_and_saveexec_b64 s[2:3], vcc
	s_xor_b64 s[2:3], exec, s[2:3]
; %bb.135:
	v_xor_b32_e32 v2, 0xfffffeff, v0
	v_ashrrev_i32_e32 v3, 31, v2
	v_add_co_u32_e32 v2, vcc, v7, v2
	v_addc_co_u32_e32 v3, vcc, v8, v3, vcc
; %bb.136:
	s_andn2_saveexec_b64 s[2:3], s[2:3]
; %bb.137:
	v_add_co_u32_e32 v2, vcc, v1, v48
	v_addc_co_u32_e32 v3, vcc, 0, v4, vcc
; %bb.138:
	s_or_b64 exec, exec, s[2:3]
	v_lshlrev_b64 v[2:3], 1, v[2:3]
	v_mov_b32_e32 v11, s25
	v_add_co_u32_e32 v2, vcc, s24, v2
	v_addc_co_u32_e32 v3, vcc, v11, v3, vcc
	v_cmp_ge_u32_e32 vcc, v46, v10
	global_store_short v[2:3], v47, off
                                        ; implicit-def: $vgpr2_vgpr3
	s_and_saveexec_b64 s[2:3], vcc
	s_xor_b64 s[2:3], exec, s[2:3]
; %bb.139:
	v_xor_b32_e32 v2, 0xfffffdff, v0
	v_ashrrev_i32_e32 v3, 31, v2
	v_add_co_u32_e32 v2, vcc, v7, v2
	v_addc_co_u32_e32 v3, vcc, v8, v3, vcc
; %bb.140:
	s_andn2_saveexec_b64 s[2:3], s[2:3]
; %bb.141:
	v_add_co_u32_e32 v2, vcc, v1, v46
	v_addc_co_u32_e32 v3, vcc, 0, v4, vcc
; %bb.142:
	s_or_b64 exec, exec, s[2:3]
	v_lshlrev_b64 v[2:3], 1, v[2:3]
	v_mov_b32_e32 v11, s25
	v_add_co_u32_e32 v2, vcc, s24, v2
	v_addc_co_u32_e32 v3, vcc, v11, v3, vcc
	v_cmp_ge_u32_e32 vcc, v44, v10
	;; [unrolled: 21-line block ×6, first 2 shown]
	s_waitcnt lgkmcnt(13)
	global_store_short v[2:3], v37, off
                                        ; implicit-def: $vgpr2_vgpr3
	s_and_saveexec_b64 s[2:3], vcc
	s_xor_b64 s[2:3], exec, s[2:3]
; %bb.159:
	v_xor_b32_e32 v2, 0xfffff8ff, v0
	v_ashrrev_i32_e32 v3, 31, v2
	v_add_co_u32_e32 v2, vcc, v7, v2
	v_addc_co_u32_e32 v3, vcc, v8, v3, vcc
; %bb.160:
	s_andn2_saveexec_b64 s[2:3], s[2:3]
; %bb.161:
	v_add_co_u32_e32 v2, vcc, v1, v36
	v_addc_co_u32_e32 v3, vcc, 0, v4, vcc
; %bb.162:
	s_or_b64 exec, exec, s[2:3]
	v_lshlrev_b64 v[2:3], 1, v[2:3]
	v_mov_b32_e32 v11, s25
	v_add_co_u32_e32 v2, vcc, s24, v2
	v_addc_co_u32_e32 v3, vcc, v11, v3, vcc
	v_cmp_ge_u32_e32 vcc, v34, v10
	s_waitcnt lgkmcnt(12)
	global_store_short v[2:3], v35, off
                                        ; implicit-def: $vgpr2_vgpr3
	s_and_saveexec_b64 s[2:3], vcc
	s_xor_b64 s[2:3], exec, s[2:3]
; %bb.163:
	v_xor_b32_e32 v2, 0xfffff7ff, v0
	v_ashrrev_i32_e32 v3, 31, v2
	v_add_co_u32_e32 v2, vcc, v7, v2
	v_addc_co_u32_e32 v3, vcc, v8, v3, vcc
; %bb.164:
	s_andn2_saveexec_b64 s[2:3], s[2:3]
; %bb.165:
	v_add_co_u32_e32 v2, vcc, v1, v34
	v_addc_co_u32_e32 v3, vcc, 0, v4, vcc
; %bb.166:
	s_or_b64 exec, exec, s[2:3]
	v_lshlrev_b64 v[2:3], 1, v[2:3]
	v_mov_b32_e32 v11, s25
	v_add_co_u32_e32 v2, vcc, s24, v2
	v_addc_co_u32_e32 v3, vcc, v11, v3, vcc
	v_cmp_ge_u32_e32 vcc, v32, v10
	;; [unrolled: 22-line block ×12, first 2 shown]
	s_waitcnt lgkmcnt(1)
	global_store_short v[2:3], v9, off
                                        ; implicit-def: $vgpr2_vgpr3
	s_and_saveexec_b64 s[2:3], vcc
	s_xor_b64 s[2:3], exec, s[2:3]
; %bb.207:
	v_xor_b32_e32 v2, 0xffffecff, v0
	v_ashrrev_i32_e32 v3, 31, v2
	v_add_co_u32_e32 v2, vcc, v7, v2
	v_addc_co_u32_e32 v3, vcc, v8, v3, vcc
; %bb.208:
	s_andn2_saveexec_b64 s[2:3], s[2:3]
; %bb.209:
	v_add_co_u32_e32 v2, vcc, v1, v6
	v_addc_co_u32_e32 v3, vcc, 0, v4, vcc
; %bb.210:
	s_or_b64 exec, exec, s[2:3]
	s_mov_b64 s[2:3], -1
.LBB3652_211:
	s_and_saveexec_b64 s[4:5], s[2:3]
	s_cbranch_execz .LBB3652_272
.LBB3652_212:
	v_lshlrev_b64 v[2:3], 1, v[2:3]
	v_mov_b32_e32 v0, s25
	v_add_co_u32_e32 v2, vcc, s24, v2
	v_addc_co_u32_e32 v3, vcc, v0, v3, vcc
	s_waitcnt lgkmcnt(0)
	global_store_short v[2:3], v5, off
	s_or_b64 exec, exec, s[4:5]
	s_and_b64 s[0:1], s[0:1], s[22:23]
	s_and_saveexec_b64 s[2:3], s[0:1]
	s_cbranch_execnz .LBB3652_273
.LBB3652_213:
	s_endpgm
.LBB3652_214:
	s_mov_b64 s[2:3], 0
                                        ; implicit-def: $vgpr2_vgpr3
	s_cbranch_execz .LBB3652_211
; %bb.215:
	v_cmp_gt_u32_e32 vcc, s33, v0
	s_and_saveexec_b64 s[4:5], vcc
	s_cbranch_execz .LBB3652_274
; %bb.216:
	v_cmp_ge_u32_e32 vcc, v0, v10
                                        ; implicit-def: $vgpr2_vgpr3
	s_and_saveexec_b64 s[6:7], vcc
	s_xor_b64 s[6:7], exec, s[6:7]
; %bb.217:
	v_not_b32_e32 v2, v0
	v_ashrrev_i32_e32 v3, 31, v2
	v_add_co_u32_e32 v2, vcc, v7, v2
	v_addc_co_u32_e32 v3, vcc, v8, v3, vcc
; %bb.218:
	s_andn2_saveexec_b64 s[6:7], s[6:7]
; %bb.219:
	v_add_co_u32_e32 v2, vcc, v1, v0
	v_addc_co_u32_e32 v3, vcc, 0, v4, vcc
; %bb.220:
	s_or_b64 exec, exec, s[6:7]
	v_lshlrev_b64 v[2:3], 1, v[2:3]
	v_mov_b32_e32 v11, s25
	v_add_co_u32_e32 v2, vcc, s24, v2
	v_addc_co_u32_e32 v3, vcc, v11, v3, vcc
	s_waitcnt lgkmcnt(14)
	global_store_short v[2:3], v49, off
	s_or_b64 exec, exec, s[4:5]
	v_cmp_gt_u32_e32 vcc, s33, v48
	s_and_saveexec_b64 s[4:5], vcc
	s_cbranch_execnz .LBB3652_275
.LBB3652_221:
	s_or_b64 exec, exec, s[4:5]
	v_cmp_gt_u32_e32 vcc, s33, v46
	s_and_saveexec_b64 s[4:5], vcc
	s_cbranch_execz .LBB3652_280
.LBB3652_222:
	v_cmp_ge_u32_e32 vcc, v46, v10
                                        ; implicit-def: $vgpr2_vgpr3
	s_and_saveexec_b64 s[6:7], vcc
	s_xor_b64 s[6:7], exec, s[6:7]
; %bb.223:
	v_xor_b32_e32 v2, 0xfffffdff, v0
	v_ashrrev_i32_e32 v3, 31, v2
	v_add_co_u32_e32 v2, vcc, v7, v2
	v_addc_co_u32_e32 v3, vcc, v8, v3, vcc
                                        ; implicit-def: $vgpr46
; %bb.224:
	s_andn2_saveexec_b64 s[6:7], s[6:7]
; %bb.225:
	v_add_co_u32_e32 v2, vcc, v1, v46
	v_addc_co_u32_e32 v3, vcc, 0, v4, vcc
; %bb.226:
	s_or_b64 exec, exec, s[6:7]
	v_lshlrev_b64 v[2:3], 1, v[2:3]
	v_mov_b32_e32 v11, s25
	v_add_co_u32_e32 v2, vcc, s24, v2
	v_addc_co_u32_e32 v3, vcc, v11, v3, vcc
	s_waitcnt lgkmcnt(14)
	global_store_short v[2:3], v45, off
	s_or_b64 exec, exec, s[4:5]
	v_cmp_gt_u32_e32 vcc, s33, v44
	s_and_saveexec_b64 s[4:5], vcc
	s_cbranch_execnz .LBB3652_281
.LBB3652_227:
	s_or_b64 exec, exec, s[4:5]
	v_cmp_gt_u32_e32 vcc, s33, v42
	s_and_saveexec_b64 s[4:5], vcc
	s_cbranch_execz .LBB3652_286
.LBB3652_228:
	v_cmp_ge_u32_e32 vcc, v42, v10
                                        ; implicit-def: $vgpr2_vgpr3
	s_and_saveexec_b64 s[6:7], vcc
	s_xor_b64 s[6:7], exec, s[6:7]
; %bb.229:
	v_xor_b32_e32 v2, 0xfffffbff, v0
	v_ashrrev_i32_e32 v3, 31, v2
	v_add_co_u32_e32 v2, vcc, v7, v2
	v_addc_co_u32_e32 v3, vcc, v8, v3, vcc
                                        ; implicit-def: $vgpr42
; %bb.230:
	s_andn2_saveexec_b64 s[6:7], s[6:7]
; %bb.231:
	v_add_co_u32_e32 v2, vcc, v1, v42
	v_addc_co_u32_e32 v3, vcc, 0, v4, vcc
; %bb.232:
	s_or_b64 exec, exec, s[6:7]
	v_lshlrev_b64 v[2:3], 1, v[2:3]
	v_mov_b32_e32 v11, s25
	v_add_co_u32_e32 v2, vcc, s24, v2
	v_addc_co_u32_e32 v3, vcc, v11, v3, vcc
	s_waitcnt lgkmcnt(14)
	global_store_short v[2:3], v41, off
	s_or_b64 exec, exec, s[4:5]
	v_cmp_gt_u32_e32 vcc, s33, v40
	s_and_saveexec_b64 s[4:5], vcc
	s_cbranch_execnz .LBB3652_287
.LBB3652_233:
	s_or_b64 exec, exec, s[4:5]
	v_cmp_gt_u32_e32 vcc, s33, v38
	s_and_saveexec_b64 s[4:5], vcc
	s_cbranch_execz .LBB3652_292
.LBB3652_234:
	v_cmp_ge_u32_e32 vcc, v38, v10
                                        ; implicit-def: $vgpr2_vgpr3
	s_and_saveexec_b64 s[6:7], vcc
	s_xor_b64 s[6:7], exec, s[6:7]
; %bb.235:
	v_xor_b32_e32 v2, 0xfffff9ff, v0
	v_ashrrev_i32_e32 v3, 31, v2
	v_add_co_u32_e32 v2, vcc, v7, v2
	v_addc_co_u32_e32 v3, vcc, v8, v3, vcc
                                        ; implicit-def: $vgpr38
; %bb.236:
	s_andn2_saveexec_b64 s[6:7], s[6:7]
; %bb.237:
	v_add_co_u32_e32 v2, vcc, v1, v38
	v_addc_co_u32_e32 v3, vcc, 0, v4, vcc
; %bb.238:
	s_or_b64 exec, exec, s[6:7]
	v_lshlrev_b64 v[2:3], 1, v[2:3]
	v_mov_b32_e32 v11, s25
	v_add_co_u32_e32 v2, vcc, s24, v2
	v_addc_co_u32_e32 v3, vcc, v11, v3, vcc
	s_waitcnt lgkmcnt(13)
	global_store_short v[2:3], v37, off
	s_or_b64 exec, exec, s[4:5]
	v_cmp_gt_u32_e32 vcc, s33, v36
	s_and_saveexec_b64 s[4:5], vcc
	s_cbranch_execnz .LBB3652_293
.LBB3652_239:
	s_or_b64 exec, exec, s[4:5]
	v_cmp_gt_u32_e32 vcc, s33, v34
	s_and_saveexec_b64 s[4:5], vcc
	s_cbranch_execz .LBB3652_298
.LBB3652_240:
	v_cmp_ge_u32_e32 vcc, v34, v10
                                        ; implicit-def: $vgpr2_vgpr3
	s_and_saveexec_b64 s[6:7], vcc
	s_xor_b64 s[6:7], exec, s[6:7]
; %bb.241:
	v_xor_b32_e32 v2, 0xfffff7ff, v0
	v_ashrrev_i32_e32 v3, 31, v2
	v_add_co_u32_e32 v2, vcc, v7, v2
	v_addc_co_u32_e32 v3, vcc, v8, v3, vcc
                                        ; implicit-def: $vgpr34
; %bb.242:
	s_andn2_saveexec_b64 s[6:7], s[6:7]
; %bb.243:
	v_add_co_u32_e32 v2, vcc, v1, v34
	v_addc_co_u32_e32 v3, vcc, 0, v4, vcc
; %bb.244:
	s_or_b64 exec, exec, s[6:7]
	v_lshlrev_b64 v[2:3], 1, v[2:3]
	v_mov_b32_e32 v11, s25
	v_add_co_u32_e32 v2, vcc, s24, v2
	v_addc_co_u32_e32 v3, vcc, v11, v3, vcc
	s_waitcnt lgkmcnt(11)
	global_store_short v[2:3], v33, off
	s_or_b64 exec, exec, s[4:5]
	v_cmp_gt_u32_e32 vcc, s33, v32
	s_and_saveexec_b64 s[4:5], vcc
	s_cbranch_execnz .LBB3652_299
.LBB3652_245:
	s_or_b64 exec, exec, s[4:5]
	v_cmp_gt_u32_e32 vcc, s33, v30
	s_and_saveexec_b64 s[4:5], vcc
	s_cbranch_execz .LBB3652_304
.LBB3652_246:
	v_cmp_ge_u32_e32 vcc, v30, v10
                                        ; implicit-def: $vgpr2_vgpr3
	s_and_saveexec_b64 s[6:7], vcc
	s_xor_b64 s[6:7], exec, s[6:7]
; %bb.247:
	v_xor_b32_e32 v2, 0xfffff5ff, v0
	v_ashrrev_i32_e32 v3, 31, v2
	v_add_co_u32_e32 v2, vcc, v7, v2
	v_addc_co_u32_e32 v3, vcc, v8, v3, vcc
                                        ; implicit-def: $vgpr30
; %bb.248:
	s_andn2_saveexec_b64 s[6:7], s[6:7]
; %bb.249:
	v_add_co_u32_e32 v2, vcc, v1, v30
	v_addc_co_u32_e32 v3, vcc, 0, v4, vcc
; %bb.250:
	s_or_b64 exec, exec, s[6:7]
	v_lshlrev_b64 v[2:3], 1, v[2:3]
	v_mov_b32_e32 v11, s25
	v_add_co_u32_e32 v2, vcc, s24, v2
	v_addc_co_u32_e32 v3, vcc, v11, v3, vcc
	s_waitcnt lgkmcnt(9)
	global_store_short v[2:3], v29, off
	s_or_b64 exec, exec, s[4:5]
	v_cmp_gt_u32_e32 vcc, s33, v28
	s_and_saveexec_b64 s[4:5], vcc
	s_cbranch_execnz .LBB3652_305
.LBB3652_251:
	s_or_b64 exec, exec, s[4:5]
	v_cmp_gt_u32_e32 vcc, s33, v26
	s_and_saveexec_b64 s[4:5], vcc
	s_cbranch_execz .LBB3652_310
.LBB3652_252:
	v_cmp_ge_u32_e32 vcc, v26, v10
                                        ; implicit-def: $vgpr2_vgpr3
	s_and_saveexec_b64 s[6:7], vcc
	s_xor_b64 s[6:7], exec, s[6:7]
; %bb.253:
	v_xor_b32_e32 v2, 0xfffff3ff, v0
	v_ashrrev_i32_e32 v3, 31, v2
	v_add_co_u32_e32 v2, vcc, v7, v2
	v_addc_co_u32_e32 v3, vcc, v8, v3, vcc
                                        ; implicit-def: $vgpr26
; %bb.254:
	s_andn2_saveexec_b64 s[6:7], s[6:7]
; %bb.255:
	v_add_co_u32_e32 v2, vcc, v1, v26
	v_addc_co_u32_e32 v3, vcc, 0, v4, vcc
; %bb.256:
	s_or_b64 exec, exec, s[6:7]
	v_lshlrev_b64 v[2:3], 1, v[2:3]
	v_mov_b32_e32 v11, s25
	v_add_co_u32_e32 v2, vcc, s24, v2
	v_addc_co_u32_e32 v3, vcc, v11, v3, vcc
	s_waitcnt lgkmcnt(7)
	global_store_short v[2:3], v25, off
	s_or_b64 exec, exec, s[4:5]
	v_cmp_gt_u32_e32 vcc, s33, v24
	s_and_saveexec_b64 s[4:5], vcc
	s_cbranch_execnz .LBB3652_311
.LBB3652_257:
	s_or_b64 exec, exec, s[4:5]
	v_cmp_gt_u32_e32 vcc, s33, v22
	s_and_saveexec_b64 s[4:5], vcc
	s_cbranch_execz .LBB3652_316
.LBB3652_258:
	v_cmp_ge_u32_e32 vcc, v22, v10
                                        ; implicit-def: $vgpr2_vgpr3
	s_and_saveexec_b64 s[6:7], vcc
	s_xor_b64 s[6:7], exec, s[6:7]
; %bb.259:
	v_xor_b32_e32 v2, 0xfffff1ff, v0
	v_ashrrev_i32_e32 v3, 31, v2
	v_add_co_u32_e32 v2, vcc, v7, v2
	v_addc_co_u32_e32 v3, vcc, v8, v3, vcc
                                        ; implicit-def: $vgpr22
; %bb.260:
	s_andn2_saveexec_b64 s[6:7], s[6:7]
; %bb.261:
	v_add_co_u32_e32 v2, vcc, v1, v22
	v_addc_co_u32_e32 v3, vcc, 0, v4, vcc
; %bb.262:
	s_or_b64 exec, exec, s[6:7]
	v_lshlrev_b64 v[2:3], 1, v[2:3]
	v_mov_b32_e32 v11, s25
	v_add_co_u32_e32 v2, vcc, s24, v2
	v_addc_co_u32_e32 v3, vcc, v11, v3, vcc
	s_waitcnt lgkmcnt(5)
	global_store_short v[2:3], v21, off
	s_or_b64 exec, exec, s[4:5]
	v_cmp_gt_u32_e32 vcc, s33, v20
	s_and_saveexec_b64 s[4:5], vcc
	s_cbranch_execnz .LBB3652_317
.LBB3652_263:
	s_or_b64 exec, exec, s[4:5]
	v_cmp_gt_u32_e32 vcc, s33, v18
	s_and_saveexec_b64 s[4:5], vcc
	s_cbranch_execz .LBB3652_322
.LBB3652_264:
	v_cmp_ge_u32_e32 vcc, v18, v10
                                        ; implicit-def: $vgpr2_vgpr3
	s_and_saveexec_b64 s[6:7], vcc
	s_xor_b64 s[6:7], exec, s[6:7]
; %bb.265:
	v_xor_b32_e32 v2, 0xffffefff, v0
	v_ashrrev_i32_e32 v3, 31, v2
	v_add_co_u32_e32 v2, vcc, v7, v2
	v_addc_co_u32_e32 v3, vcc, v8, v3, vcc
                                        ; implicit-def: $vgpr18
; %bb.266:
	s_andn2_saveexec_b64 s[6:7], s[6:7]
; %bb.267:
	v_add_co_u32_e32 v2, vcc, v1, v18
	v_addc_co_u32_e32 v3, vcc, 0, v4, vcc
; %bb.268:
	s_or_b64 exec, exec, s[6:7]
	v_lshlrev_b64 v[2:3], 1, v[2:3]
	v_mov_b32_e32 v11, s25
	v_add_co_u32_e32 v2, vcc, s24, v2
	v_addc_co_u32_e32 v3, vcc, v11, v3, vcc
	s_waitcnt lgkmcnt(3)
	global_store_short v[2:3], v17, off
	s_or_b64 exec, exec, s[4:5]
	v_cmp_gt_u32_e32 vcc, s33, v16
	s_and_saveexec_b64 s[4:5], vcc
	s_cbranch_execnz .LBB3652_323
.LBB3652_269:
	s_or_b64 exec, exec, s[4:5]
	v_cmp_gt_u32_e32 vcc, s33, v14
	s_and_saveexec_b64 s[4:5], vcc
	s_cbranch_execnz .LBB3652_328
.LBB3652_270:
	s_or_b64 exec, exec, s[4:5]
	v_cmp_gt_u32_e32 vcc, s33, v6
                                        ; implicit-def: $vgpr2_vgpr3
	s_and_saveexec_b64 s[4:5], vcc
	s_cbranch_execnz .LBB3652_333
.LBB3652_271:
	s_or_b64 exec, exec, s[4:5]
	s_and_saveexec_b64 s[4:5], s[2:3]
	s_cbranch_execnz .LBB3652_212
.LBB3652_272:
	s_or_b64 exec, exec, s[4:5]
	s_and_b64 s[0:1], s[0:1], s[22:23]
	s_and_saveexec_b64 s[2:3], s[0:1]
	s_cbranch_execz .LBB3652_213
.LBB3652_273:
	v_add_co_u32_e32 v0, vcc, v1, v10
	v_mov_b32_e32 v2, 0
	v_addc_co_u32_e32 v1, vcc, 0, v4, vcc
	global_store_dwordx2 v2, v[0:1], s[20:21]
	s_endpgm
.LBB3652_274:
	s_or_b64 exec, exec, s[4:5]
	v_cmp_gt_u32_e32 vcc, s33, v48
	s_and_saveexec_b64 s[4:5], vcc
	s_cbranch_execz .LBB3652_221
.LBB3652_275:
	v_cmp_ge_u32_e32 vcc, v48, v10
                                        ; implicit-def: $vgpr2_vgpr3
	s_and_saveexec_b64 s[6:7], vcc
	s_xor_b64 s[6:7], exec, s[6:7]
; %bb.276:
	v_xor_b32_e32 v2, 0xfffffeff, v0
	v_ashrrev_i32_e32 v3, 31, v2
	v_add_co_u32_e32 v2, vcc, v7, v2
	v_addc_co_u32_e32 v3, vcc, v8, v3, vcc
                                        ; implicit-def: $vgpr48
; %bb.277:
	s_andn2_saveexec_b64 s[6:7], s[6:7]
; %bb.278:
	v_add_co_u32_e32 v2, vcc, v1, v48
	v_addc_co_u32_e32 v3, vcc, 0, v4, vcc
; %bb.279:
	s_or_b64 exec, exec, s[6:7]
	v_lshlrev_b64 v[2:3], 1, v[2:3]
	v_mov_b32_e32 v11, s25
	v_add_co_u32_e32 v2, vcc, s24, v2
	v_addc_co_u32_e32 v3, vcc, v11, v3, vcc
	s_waitcnt lgkmcnt(14)
	global_store_short v[2:3], v47, off
	s_or_b64 exec, exec, s[4:5]
	v_cmp_gt_u32_e32 vcc, s33, v46
	s_and_saveexec_b64 s[4:5], vcc
	s_cbranch_execnz .LBB3652_222
.LBB3652_280:
	s_or_b64 exec, exec, s[4:5]
	v_cmp_gt_u32_e32 vcc, s33, v44
	s_and_saveexec_b64 s[4:5], vcc
	s_cbranch_execz .LBB3652_227
.LBB3652_281:
	v_cmp_ge_u32_e32 vcc, v44, v10
                                        ; implicit-def: $vgpr2_vgpr3
	s_and_saveexec_b64 s[6:7], vcc
	s_xor_b64 s[6:7], exec, s[6:7]
; %bb.282:
	v_xor_b32_e32 v2, 0xfffffcff, v0
	v_ashrrev_i32_e32 v3, 31, v2
	v_add_co_u32_e32 v2, vcc, v7, v2
	v_addc_co_u32_e32 v3, vcc, v8, v3, vcc
                                        ; implicit-def: $vgpr44
; %bb.283:
	s_andn2_saveexec_b64 s[6:7], s[6:7]
; %bb.284:
	v_add_co_u32_e32 v2, vcc, v1, v44
	v_addc_co_u32_e32 v3, vcc, 0, v4, vcc
; %bb.285:
	s_or_b64 exec, exec, s[6:7]
	v_lshlrev_b64 v[2:3], 1, v[2:3]
	v_mov_b32_e32 v11, s25
	v_add_co_u32_e32 v2, vcc, s24, v2
	v_addc_co_u32_e32 v3, vcc, v11, v3, vcc
	s_waitcnt lgkmcnt(14)
	global_store_short v[2:3], v43, off
	s_or_b64 exec, exec, s[4:5]
	v_cmp_gt_u32_e32 vcc, s33, v42
	s_and_saveexec_b64 s[4:5], vcc
	s_cbranch_execnz .LBB3652_228
.LBB3652_286:
	s_or_b64 exec, exec, s[4:5]
	v_cmp_gt_u32_e32 vcc, s33, v40
	s_and_saveexec_b64 s[4:5], vcc
	s_cbranch_execz .LBB3652_233
.LBB3652_287:
	v_cmp_ge_u32_e32 vcc, v40, v10
                                        ; implicit-def: $vgpr2_vgpr3
	s_and_saveexec_b64 s[6:7], vcc
	s_xor_b64 s[6:7], exec, s[6:7]
; %bb.288:
	v_xor_b32_e32 v2, 0xfffffaff, v0
	v_ashrrev_i32_e32 v3, 31, v2
	v_add_co_u32_e32 v2, vcc, v7, v2
	v_addc_co_u32_e32 v3, vcc, v8, v3, vcc
                                        ; implicit-def: $vgpr40
; %bb.289:
	s_andn2_saveexec_b64 s[6:7], s[6:7]
; %bb.290:
	v_add_co_u32_e32 v2, vcc, v1, v40
	v_addc_co_u32_e32 v3, vcc, 0, v4, vcc
; %bb.291:
	s_or_b64 exec, exec, s[6:7]
	v_lshlrev_b64 v[2:3], 1, v[2:3]
	v_mov_b32_e32 v11, s25
	v_add_co_u32_e32 v2, vcc, s24, v2
	v_addc_co_u32_e32 v3, vcc, v11, v3, vcc
	s_waitcnt lgkmcnt(14)
	global_store_short v[2:3], v39, off
	s_or_b64 exec, exec, s[4:5]
	v_cmp_gt_u32_e32 vcc, s33, v38
	s_and_saveexec_b64 s[4:5], vcc
	s_cbranch_execnz .LBB3652_234
.LBB3652_292:
	s_or_b64 exec, exec, s[4:5]
	v_cmp_gt_u32_e32 vcc, s33, v36
	s_and_saveexec_b64 s[4:5], vcc
	s_cbranch_execz .LBB3652_239
.LBB3652_293:
	v_cmp_ge_u32_e32 vcc, v36, v10
                                        ; implicit-def: $vgpr2_vgpr3
	s_and_saveexec_b64 s[6:7], vcc
	s_xor_b64 s[6:7], exec, s[6:7]
; %bb.294:
	v_xor_b32_e32 v2, 0xfffff8ff, v0
	v_ashrrev_i32_e32 v3, 31, v2
	v_add_co_u32_e32 v2, vcc, v7, v2
	v_addc_co_u32_e32 v3, vcc, v8, v3, vcc
                                        ; implicit-def: $vgpr36
; %bb.295:
	s_andn2_saveexec_b64 s[6:7], s[6:7]
; %bb.296:
	v_add_co_u32_e32 v2, vcc, v1, v36
	v_addc_co_u32_e32 v3, vcc, 0, v4, vcc
; %bb.297:
	s_or_b64 exec, exec, s[6:7]
	v_lshlrev_b64 v[2:3], 1, v[2:3]
	v_mov_b32_e32 v11, s25
	v_add_co_u32_e32 v2, vcc, s24, v2
	v_addc_co_u32_e32 v3, vcc, v11, v3, vcc
	s_waitcnt lgkmcnt(12)
	global_store_short v[2:3], v35, off
	s_or_b64 exec, exec, s[4:5]
	v_cmp_gt_u32_e32 vcc, s33, v34
	s_and_saveexec_b64 s[4:5], vcc
	s_cbranch_execnz .LBB3652_240
.LBB3652_298:
	s_or_b64 exec, exec, s[4:5]
	v_cmp_gt_u32_e32 vcc, s33, v32
	s_and_saveexec_b64 s[4:5], vcc
	s_cbranch_execz .LBB3652_245
.LBB3652_299:
	v_cmp_ge_u32_e32 vcc, v32, v10
                                        ; implicit-def: $vgpr2_vgpr3
	s_and_saveexec_b64 s[6:7], vcc
	s_xor_b64 s[6:7], exec, s[6:7]
; %bb.300:
	v_xor_b32_e32 v2, 0xfffff6ff, v0
	v_ashrrev_i32_e32 v3, 31, v2
	v_add_co_u32_e32 v2, vcc, v7, v2
	v_addc_co_u32_e32 v3, vcc, v8, v3, vcc
                                        ; implicit-def: $vgpr32
; %bb.301:
	s_andn2_saveexec_b64 s[6:7], s[6:7]
; %bb.302:
	v_add_co_u32_e32 v2, vcc, v1, v32
	v_addc_co_u32_e32 v3, vcc, 0, v4, vcc
; %bb.303:
	s_or_b64 exec, exec, s[6:7]
	v_lshlrev_b64 v[2:3], 1, v[2:3]
	v_mov_b32_e32 v11, s25
	v_add_co_u32_e32 v2, vcc, s24, v2
	v_addc_co_u32_e32 v3, vcc, v11, v3, vcc
	s_waitcnt lgkmcnt(10)
	global_store_short v[2:3], v31, off
	s_or_b64 exec, exec, s[4:5]
	v_cmp_gt_u32_e32 vcc, s33, v30
	s_and_saveexec_b64 s[4:5], vcc
	s_cbranch_execnz .LBB3652_246
.LBB3652_304:
	s_or_b64 exec, exec, s[4:5]
	v_cmp_gt_u32_e32 vcc, s33, v28
	s_and_saveexec_b64 s[4:5], vcc
	s_cbranch_execz .LBB3652_251
.LBB3652_305:
	v_cmp_ge_u32_e32 vcc, v28, v10
                                        ; implicit-def: $vgpr2_vgpr3
	s_and_saveexec_b64 s[6:7], vcc
	s_xor_b64 s[6:7], exec, s[6:7]
; %bb.306:
	v_xor_b32_e32 v2, 0xfffff4ff, v0
	v_ashrrev_i32_e32 v3, 31, v2
	v_add_co_u32_e32 v2, vcc, v7, v2
	v_addc_co_u32_e32 v3, vcc, v8, v3, vcc
                                        ; implicit-def: $vgpr28
; %bb.307:
	s_andn2_saveexec_b64 s[6:7], s[6:7]
; %bb.308:
	v_add_co_u32_e32 v2, vcc, v1, v28
	v_addc_co_u32_e32 v3, vcc, 0, v4, vcc
; %bb.309:
	s_or_b64 exec, exec, s[6:7]
	v_lshlrev_b64 v[2:3], 1, v[2:3]
	v_mov_b32_e32 v11, s25
	v_add_co_u32_e32 v2, vcc, s24, v2
	v_addc_co_u32_e32 v3, vcc, v11, v3, vcc
	s_waitcnt lgkmcnt(8)
	global_store_short v[2:3], v27, off
	s_or_b64 exec, exec, s[4:5]
	v_cmp_gt_u32_e32 vcc, s33, v26
	s_and_saveexec_b64 s[4:5], vcc
	s_cbranch_execnz .LBB3652_252
.LBB3652_310:
	s_or_b64 exec, exec, s[4:5]
	v_cmp_gt_u32_e32 vcc, s33, v24
	s_and_saveexec_b64 s[4:5], vcc
	s_cbranch_execz .LBB3652_257
.LBB3652_311:
	v_cmp_ge_u32_e32 vcc, v24, v10
                                        ; implicit-def: $vgpr2_vgpr3
	s_and_saveexec_b64 s[6:7], vcc
	s_xor_b64 s[6:7], exec, s[6:7]
; %bb.312:
	v_xor_b32_e32 v2, 0xfffff2ff, v0
	v_ashrrev_i32_e32 v3, 31, v2
	v_add_co_u32_e32 v2, vcc, v7, v2
	v_addc_co_u32_e32 v3, vcc, v8, v3, vcc
                                        ; implicit-def: $vgpr24
; %bb.313:
	s_andn2_saveexec_b64 s[6:7], s[6:7]
; %bb.314:
	v_add_co_u32_e32 v2, vcc, v1, v24
	v_addc_co_u32_e32 v3, vcc, 0, v4, vcc
; %bb.315:
	s_or_b64 exec, exec, s[6:7]
	v_lshlrev_b64 v[2:3], 1, v[2:3]
	v_mov_b32_e32 v11, s25
	v_add_co_u32_e32 v2, vcc, s24, v2
	v_addc_co_u32_e32 v3, vcc, v11, v3, vcc
	s_waitcnt lgkmcnt(6)
	global_store_short v[2:3], v23, off
	s_or_b64 exec, exec, s[4:5]
	v_cmp_gt_u32_e32 vcc, s33, v22
	s_and_saveexec_b64 s[4:5], vcc
	s_cbranch_execnz .LBB3652_258
.LBB3652_316:
	s_or_b64 exec, exec, s[4:5]
	v_cmp_gt_u32_e32 vcc, s33, v20
	s_and_saveexec_b64 s[4:5], vcc
	s_cbranch_execz .LBB3652_263
.LBB3652_317:
	v_cmp_ge_u32_e32 vcc, v20, v10
                                        ; implicit-def: $vgpr2_vgpr3
	s_and_saveexec_b64 s[6:7], vcc
	s_xor_b64 s[6:7], exec, s[6:7]
; %bb.318:
	v_xor_b32_e32 v2, 0xfffff0ff, v0
	v_ashrrev_i32_e32 v3, 31, v2
	v_add_co_u32_e32 v2, vcc, v7, v2
	v_addc_co_u32_e32 v3, vcc, v8, v3, vcc
                                        ; implicit-def: $vgpr20
; %bb.319:
	s_andn2_saveexec_b64 s[6:7], s[6:7]
; %bb.320:
	v_add_co_u32_e32 v2, vcc, v1, v20
	v_addc_co_u32_e32 v3, vcc, 0, v4, vcc
; %bb.321:
	s_or_b64 exec, exec, s[6:7]
	v_lshlrev_b64 v[2:3], 1, v[2:3]
	v_mov_b32_e32 v11, s25
	v_add_co_u32_e32 v2, vcc, s24, v2
	v_addc_co_u32_e32 v3, vcc, v11, v3, vcc
	s_waitcnt lgkmcnt(4)
	global_store_short v[2:3], v19, off
	s_or_b64 exec, exec, s[4:5]
	v_cmp_gt_u32_e32 vcc, s33, v18
	s_and_saveexec_b64 s[4:5], vcc
	s_cbranch_execnz .LBB3652_264
.LBB3652_322:
	s_or_b64 exec, exec, s[4:5]
	v_cmp_gt_u32_e32 vcc, s33, v16
	s_and_saveexec_b64 s[4:5], vcc
	s_cbranch_execz .LBB3652_269
.LBB3652_323:
	v_cmp_ge_u32_e32 vcc, v16, v10
                                        ; implicit-def: $vgpr2_vgpr3
	s_and_saveexec_b64 s[6:7], vcc
	s_xor_b64 s[6:7], exec, s[6:7]
; %bb.324:
	v_xor_b32_e32 v2, 0xffffeeff, v0
	v_ashrrev_i32_e32 v3, 31, v2
	v_add_co_u32_e32 v2, vcc, v7, v2
	v_addc_co_u32_e32 v3, vcc, v8, v3, vcc
                                        ; implicit-def: $vgpr16
; %bb.325:
	s_andn2_saveexec_b64 s[6:7], s[6:7]
; %bb.326:
	v_add_co_u32_e32 v2, vcc, v1, v16
	v_addc_co_u32_e32 v3, vcc, 0, v4, vcc
; %bb.327:
	s_or_b64 exec, exec, s[6:7]
	v_lshlrev_b64 v[2:3], 1, v[2:3]
	v_mov_b32_e32 v11, s25
	v_add_co_u32_e32 v2, vcc, s24, v2
	v_addc_co_u32_e32 v3, vcc, v11, v3, vcc
	s_waitcnt lgkmcnt(2)
	global_store_short v[2:3], v15, off
	s_or_b64 exec, exec, s[4:5]
	v_cmp_gt_u32_e32 vcc, s33, v14
	s_and_saveexec_b64 s[4:5], vcc
	s_cbranch_execz .LBB3652_270
.LBB3652_328:
	v_cmp_ge_u32_e32 vcc, v14, v10
                                        ; implicit-def: $vgpr2_vgpr3
	s_and_saveexec_b64 s[6:7], vcc
	s_xor_b64 s[6:7], exec, s[6:7]
; %bb.329:
	v_xor_b32_e32 v2, 0xffffedff, v0
	v_ashrrev_i32_e32 v3, 31, v2
	v_add_co_u32_e32 v2, vcc, v7, v2
	v_addc_co_u32_e32 v3, vcc, v8, v3, vcc
                                        ; implicit-def: $vgpr14
; %bb.330:
	s_andn2_saveexec_b64 s[6:7], s[6:7]
; %bb.331:
	v_add_co_u32_e32 v2, vcc, v1, v14
	v_addc_co_u32_e32 v3, vcc, 0, v4, vcc
; %bb.332:
	s_or_b64 exec, exec, s[6:7]
	v_lshlrev_b64 v[2:3], 1, v[2:3]
	v_mov_b32_e32 v11, s25
	v_add_co_u32_e32 v2, vcc, s24, v2
	v_addc_co_u32_e32 v3, vcc, v11, v3, vcc
	s_waitcnt lgkmcnt(1)
	global_store_short v[2:3], v9, off
	s_or_b64 exec, exec, s[4:5]
	v_cmp_gt_u32_e32 vcc, s33, v6
                                        ; implicit-def: $vgpr2_vgpr3
	s_and_saveexec_b64 s[4:5], vcc
	s_cbranch_execz .LBB3652_271
.LBB3652_333:
	v_cmp_ge_u32_e32 vcc, v6, v10
                                        ; implicit-def: $vgpr2_vgpr3
	s_and_saveexec_b64 s[6:7], vcc
	s_xor_b64 s[6:7], exec, s[6:7]
; %bb.334:
	v_xor_b32_e32 v0, 0xffffecff, v0
	v_ashrrev_i32_e32 v3, 31, v0
	v_add_co_u32_e32 v2, vcc, v7, v0
	v_addc_co_u32_e32 v3, vcc, v8, v3, vcc
                                        ; implicit-def: $vgpr6
; %bb.335:
	s_andn2_saveexec_b64 s[6:7], s[6:7]
; %bb.336:
	v_add_co_u32_e32 v2, vcc, v1, v6
	v_addc_co_u32_e32 v3, vcc, 0, v4, vcc
; %bb.337:
	s_or_b64 exec, exec, s[6:7]
	s_or_b64 s[2:3], s[2:3], exec
	s_or_b64 exec, exec, s[4:5]
	s_and_saveexec_b64 s[4:5], s[2:3]
	s_cbranch_execnz .LBB3652_212
	s_branch .LBB3652_272
	.section	.rodata,"a",@progbits
	.p2align	6, 0x0
	.amdhsa_kernel _ZN7rocprim17ROCPRIM_400000_NS6detail17trampoline_kernelINS0_14default_configENS1_25partition_config_selectorILNS1_17partition_subalgoE2EsNS0_10empty_typeEbEEZZNS1_14partition_implILS5_2ELb0ES3_jN6thrust23THRUST_200600_302600_NS6detail15normal_iteratorINSA_7pointerIsNSA_11hip_rocprim3tagENSA_11use_defaultESG_EEEEPS6_NSA_18transform_iteratorI10is_orderedNSA_12zip_iteratorINSA_5tupleINSC_INSA_10device_ptrIsEEEESQ_NSA_9null_typeESR_SR_SR_SR_SR_SR_SR_EEEESG_SG_EENS0_5tupleIJPsSJ_EEENSV_IJSJ_SJ_EEES6_PlJS6_EEE10hipError_tPvRmT3_T4_T5_T6_T7_T9_mT8_P12ihipStream_tbDpT10_ENKUlT_T0_E_clISt17integral_constantIbLb0EES1I_IbLb1EEEEDaS1E_S1F_EUlS1E_E_NS1_11comp_targetILNS1_3genE4ELNS1_11target_archE910ELNS1_3gpuE8ELNS1_3repE0EEENS1_30default_config_static_selectorELNS0_4arch9wavefront6targetE1EEEvT1_
		.amdhsa_group_segment_fixed_size 10248
		.amdhsa_private_segment_fixed_size 0
		.amdhsa_kernarg_size 152
		.amdhsa_user_sgpr_count 6
		.amdhsa_user_sgpr_private_segment_buffer 1
		.amdhsa_user_sgpr_dispatch_ptr 0
		.amdhsa_user_sgpr_queue_ptr 0
		.amdhsa_user_sgpr_kernarg_segment_ptr 1
		.amdhsa_user_sgpr_dispatch_id 0
		.amdhsa_user_sgpr_flat_scratch_init 0
		.amdhsa_user_sgpr_kernarg_preload_length 0
		.amdhsa_user_sgpr_kernarg_preload_offset 0
		.amdhsa_user_sgpr_private_segment_size 0
		.amdhsa_uses_dynamic_stack 0
		.amdhsa_system_sgpr_private_segment_wavefront_offset 0
		.amdhsa_system_sgpr_workgroup_id_x 1
		.amdhsa_system_sgpr_workgroup_id_y 0
		.amdhsa_system_sgpr_workgroup_id_z 0
		.amdhsa_system_sgpr_workgroup_info 0
		.amdhsa_system_vgpr_workitem_id 0
		.amdhsa_next_free_vgpr 67
		.amdhsa_next_free_sgpr 46
		.amdhsa_accum_offset 68
		.amdhsa_reserve_vcc 1
		.amdhsa_reserve_flat_scratch 0
		.amdhsa_float_round_mode_32 0
		.amdhsa_float_round_mode_16_64 0
		.amdhsa_float_denorm_mode_32 3
		.amdhsa_float_denorm_mode_16_64 3
		.amdhsa_dx10_clamp 1
		.amdhsa_ieee_mode 1
		.amdhsa_fp16_overflow 0
		.amdhsa_tg_split 0
		.amdhsa_exception_fp_ieee_invalid_op 0
		.amdhsa_exception_fp_denorm_src 0
		.amdhsa_exception_fp_ieee_div_zero 0
		.amdhsa_exception_fp_ieee_overflow 0
		.amdhsa_exception_fp_ieee_underflow 0
		.amdhsa_exception_fp_ieee_inexact 0
		.amdhsa_exception_int_div_zero 0
	.end_amdhsa_kernel
	.section	.text._ZN7rocprim17ROCPRIM_400000_NS6detail17trampoline_kernelINS0_14default_configENS1_25partition_config_selectorILNS1_17partition_subalgoE2EsNS0_10empty_typeEbEEZZNS1_14partition_implILS5_2ELb0ES3_jN6thrust23THRUST_200600_302600_NS6detail15normal_iteratorINSA_7pointerIsNSA_11hip_rocprim3tagENSA_11use_defaultESG_EEEEPS6_NSA_18transform_iteratorI10is_orderedNSA_12zip_iteratorINSA_5tupleINSC_INSA_10device_ptrIsEEEESQ_NSA_9null_typeESR_SR_SR_SR_SR_SR_SR_EEEESG_SG_EENS0_5tupleIJPsSJ_EEENSV_IJSJ_SJ_EEES6_PlJS6_EEE10hipError_tPvRmT3_T4_T5_T6_T7_T9_mT8_P12ihipStream_tbDpT10_ENKUlT_T0_E_clISt17integral_constantIbLb0EES1I_IbLb1EEEEDaS1E_S1F_EUlS1E_E_NS1_11comp_targetILNS1_3genE4ELNS1_11target_archE910ELNS1_3gpuE8ELNS1_3repE0EEENS1_30default_config_static_selectorELNS0_4arch9wavefront6targetE1EEEvT1_,"axG",@progbits,_ZN7rocprim17ROCPRIM_400000_NS6detail17trampoline_kernelINS0_14default_configENS1_25partition_config_selectorILNS1_17partition_subalgoE2EsNS0_10empty_typeEbEEZZNS1_14partition_implILS5_2ELb0ES3_jN6thrust23THRUST_200600_302600_NS6detail15normal_iteratorINSA_7pointerIsNSA_11hip_rocprim3tagENSA_11use_defaultESG_EEEEPS6_NSA_18transform_iteratorI10is_orderedNSA_12zip_iteratorINSA_5tupleINSC_INSA_10device_ptrIsEEEESQ_NSA_9null_typeESR_SR_SR_SR_SR_SR_SR_EEEESG_SG_EENS0_5tupleIJPsSJ_EEENSV_IJSJ_SJ_EEES6_PlJS6_EEE10hipError_tPvRmT3_T4_T5_T6_T7_T9_mT8_P12ihipStream_tbDpT10_ENKUlT_T0_E_clISt17integral_constantIbLb0EES1I_IbLb1EEEEDaS1E_S1F_EUlS1E_E_NS1_11comp_targetILNS1_3genE4ELNS1_11target_archE910ELNS1_3gpuE8ELNS1_3repE0EEENS1_30default_config_static_selectorELNS0_4arch9wavefront6targetE1EEEvT1_,comdat
.Lfunc_end3652:
	.size	_ZN7rocprim17ROCPRIM_400000_NS6detail17trampoline_kernelINS0_14default_configENS1_25partition_config_selectorILNS1_17partition_subalgoE2EsNS0_10empty_typeEbEEZZNS1_14partition_implILS5_2ELb0ES3_jN6thrust23THRUST_200600_302600_NS6detail15normal_iteratorINSA_7pointerIsNSA_11hip_rocprim3tagENSA_11use_defaultESG_EEEEPS6_NSA_18transform_iteratorI10is_orderedNSA_12zip_iteratorINSA_5tupleINSC_INSA_10device_ptrIsEEEESQ_NSA_9null_typeESR_SR_SR_SR_SR_SR_SR_EEEESG_SG_EENS0_5tupleIJPsSJ_EEENSV_IJSJ_SJ_EEES6_PlJS6_EEE10hipError_tPvRmT3_T4_T5_T6_T7_T9_mT8_P12ihipStream_tbDpT10_ENKUlT_T0_E_clISt17integral_constantIbLb0EES1I_IbLb1EEEEDaS1E_S1F_EUlS1E_E_NS1_11comp_targetILNS1_3genE4ELNS1_11target_archE910ELNS1_3gpuE8ELNS1_3repE0EEENS1_30default_config_static_selectorELNS0_4arch9wavefront6targetE1EEEvT1_, .Lfunc_end3652-_ZN7rocprim17ROCPRIM_400000_NS6detail17trampoline_kernelINS0_14default_configENS1_25partition_config_selectorILNS1_17partition_subalgoE2EsNS0_10empty_typeEbEEZZNS1_14partition_implILS5_2ELb0ES3_jN6thrust23THRUST_200600_302600_NS6detail15normal_iteratorINSA_7pointerIsNSA_11hip_rocprim3tagENSA_11use_defaultESG_EEEEPS6_NSA_18transform_iteratorI10is_orderedNSA_12zip_iteratorINSA_5tupleINSC_INSA_10device_ptrIsEEEESQ_NSA_9null_typeESR_SR_SR_SR_SR_SR_SR_EEEESG_SG_EENS0_5tupleIJPsSJ_EEENSV_IJSJ_SJ_EEES6_PlJS6_EEE10hipError_tPvRmT3_T4_T5_T6_T7_T9_mT8_P12ihipStream_tbDpT10_ENKUlT_T0_E_clISt17integral_constantIbLb0EES1I_IbLb1EEEEDaS1E_S1F_EUlS1E_E_NS1_11comp_targetILNS1_3genE4ELNS1_11target_archE910ELNS1_3gpuE8ELNS1_3repE0EEENS1_30default_config_static_selectorELNS0_4arch9wavefront6targetE1EEEvT1_
                                        ; -- End function
	.section	.AMDGPU.csdata,"",@progbits
; Kernel info:
; codeLenInByte = 11420
; NumSgprs: 50
; NumVgprs: 67
; NumAgprs: 0
; TotalNumVgprs: 67
; ScratchSize: 0
; MemoryBound: 0
; FloatMode: 240
; IeeeMode: 1
; LDSByteSize: 10248 bytes/workgroup (compile time only)
; SGPRBlocks: 6
; VGPRBlocks: 8
; NumSGPRsForWavesPerEU: 50
; NumVGPRsForWavesPerEU: 67
; AccumOffset: 68
; Occupancy: 6
; WaveLimiterHint : 1
; COMPUTE_PGM_RSRC2:SCRATCH_EN: 0
; COMPUTE_PGM_RSRC2:USER_SGPR: 6
; COMPUTE_PGM_RSRC2:TRAP_HANDLER: 0
; COMPUTE_PGM_RSRC2:TGID_X_EN: 1
; COMPUTE_PGM_RSRC2:TGID_Y_EN: 0
; COMPUTE_PGM_RSRC2:TGID_Z_EN: 0
; COMPUTE_PGM_RSRC2:TIDIG_COMP_CNT: 0
; COMPUTE_PGM_RSRC3_GFX90A:ACCUM_OFFSET: 16
; COMPUTE_PGM_RSRC3_GFX90A:TG_SPLIT: 0
	.section	.text._ZN7rocprim17ROCPRIM_400000_NS6detail17trampoline_kernelINS0_14default_configENS1_25partition_config_selectorILNS1_17partition_subalgoE2EsNS0_10empty_typeEbEEZZNS1_14partition_implILS5_2ELb0ES3_jN6thrust23THRUST_200600_302600_NS6detail15normal_iteratorINSA_7pointerIsNSA_11hip_rocprim3tagENSA_11use_defaultESG_EEEEPS6_NSA_18transform_iteratorI10is_orderedNSA_12zip_iteratorINSA_5tupleINSC_INSA_10device_ptrIsEEEESQ_NSA_9null_typeESR_SR_SR_SR_SR_SR_SR_EEEESG_SG_EENS0_5tupleIJPsSJ_EEENSV_IJSJ_SJ_EEES6_PlJS6_EEE10hipError_tPvRmT3_T4_T5_T6_T7_T9_mT8_P12ihipStream_tbDpT10_ENKUlT_T0_E_clISt17integral_constantIbLb0EES1I_IbLb1EEEEDaS1E_S1F_EUlS1E_E_NS1_11comp_targetILNS1_3genE3ELNS1_11target_archE908ELNS1_3gpuE7ELNS1_3repE0EEENS1_30default_config_static_selectorELNS0_4arch9wavefront6targetE1EEEvT1_,"axG",@progbits,_ZN7rocprim17ROCPRIM_400000_NS6detail17trampoline_kernelINS0_14default_configENS1_25partition_config_selectorILNS1_17partition_subalgoE2EsNS0_10empty_typeEbEEZZNS1_14partition_implILS5_2ELb0ES3_jN6thrust23THRUST_200600_302600_NS6detail15normal_iteratorINSA_7pointerIsNSA_11hip_rocprim3tagENSA_11use_defaultESG_EEEEPS6_NSA_18transform_iteratorI10is_orderedNSA_12zip_iteratorINSA_5tupleINSC_INSA_10device_ptrIsEEEESQ_NSA_9null_typeESR_SR_SR_SR_SR_SR_SR_EEEESG_SG_EENS0_5tupleIJPsSJ_EEENSV_IJSJ_SJ_EEES6_PlJS6_EEE10hipError_tPvRmT3_T4_T5_T6_T7_T9_mT8_P12ihipStream_tbDpT10_ENKUlT_T0_E_clISt17integral_constantIbLb0EES1I_IbLb1EEEEDaS1E_S1F_EUlS1E_E_NS1_11comp_targetILNS1_3genE3ELNS1_11target_archE908ELNS1_3gpuE7ELNS1_3repE0EEENS1_30default_config_static_selectorELNS0_4arch9wavefront6targetE1EEEvT1_,comdat
	.protected	_ZN7rocprim17ROCPRIM_400000_NS6detail17trampoline_kernelINS0_14default_configENS1_25partition_config_selectorILNS1_17partition_subalgoE2EsNS0_10empty_typeEbEEZZNS1_14partition_implILS5_2ELb0ES3_jN6thrust23THRUST_200600_302600_NS6detail15normal_iteratorINSA_7pointerIsNSA_11hip_rocprim3tagENSA_11use_defaultESG_EEEEPS6_NSA_18transform_iteratorI10is_orderedNSA_12zip_iteratorINSA_5tupleINSC_INSA_10device_ptrIsEEEESQ_NSA_9null_typeESR_SR_SR_SR_SR_SR_SR_EEEESG_SG_EENS0_5tupleIJPsSJ_EEENSV_IJSJ_SJ_EEES6_PlJS6_EEE10hipError_tPvRmT3_T4_T5_T6_T7_T9_mT8_P12ihipStream_tbDpT10_ENKUlT_T0_E_clISt17integral_constantIbLb0EES1I_IbLb1EEEEDaS1E_S1F_EUlS1E_E_NS1_11comp_targetILNS1_3genE3ELNS1_11target_archE908ELNS1_3gpuE7ELNS1_3repE0EEENS1_30default_config_static_selectorELNS0_4arch9wavefront6targetE1EEEvT1_ ; -- Begin function _ZN7rocprim17ROCPRIM_400000_NS6detail17trampoline_kernelINS0_14default_configENS1_25partition_config_selectorILNS1_17partition_subalgoE2EsNS0_10empty_typeEbEEZZNS1_14partition_implILS5_2ELb0ES3_jN6thrust23THRUST_200600_302600_NS6detail15normal_iteratorINSA_7pointerIsNSA_11hip_rocprim3tagENSA_11use_defaultESG_EEEEPS6_NSA_18transform_iteratorI10is_orderedNSA_12zip_iteratorINSA_5tupleINSC_INSA_10device_ptrIsEEEESQ_NSA_9null_typeESR_SR_SR_SR_SR_SR_SR_EEEESG_SG_EENS0_5tupleIJPsSJ_EEENSV_IJSJ_SJ_EEES6_PlJS6_EEE10hipError_tPvRmT3_T4_T5_T6_T7_T9_mT8_P12ihipStream_tbDpT10_ENKUlT_T0_E_clISt17integral_constantIbLb0EES1I_IbLb1EEEEDaS1E_S1F_EUlS1E_E_NS1_11comp_targetILNS1_3genE3ELNS1_11target_archE908ELNS1_3gpuE7ELNS1_3repE0EEENS1_30default_config_static_selectorELNS0_4arch9wavefront6targetE1EEEvT1_
	.globl	_ZN7rocprim17ROCPRIM_400000_NS6detail17trampoline_kernelINS0_14default_configENS1_25partition_config_selectorILNS1_17partition_subalgoE2EsNS0_10empty_typeEbEEZZNS1_14partition_implILS5_2ELb0ES3_jN6thrust23THRUST_200600_302600_NS6detail15normal_iteratorINSA_7pointerIsNSA_11hip_rocprim3tagENSA_11use_defaultESG_EEEEPS6_NSA_18transform_iteratorI10is_orderedNSA_12zip_iteratorINSA_5tupleINSC_INSA_10device_ptrIsEEEESQ_NSA_9null_typeESR_SR_SR_SR_SR_SR_SR_EEEESG_SG_EENS0_5tupleIJPsSJ_EEENSV_IJSJ_SJ_EEES6_PlJS6_EEE10hipError_tPvRmT3_T4_T5_T6_T7_T9_mT8_P12ihipStream_tbDpT10_ENKUlT_T0_E_clISt17integral_constantIbLb0EES1I_IbLb1EEEEDaS1E_S1F_EUlS1E_E_NS1_11comp_targetILNS1_3genE3ELNS1_11target_archE908ELNS1_3gpuE7ELNS1_3repE0EEENS1_30default_config_static_selectorELNS0_4arch9wavefront6targetE1EEEvT1_
	.p2align	8
	.type	_ZN7rocprim17ROCPRIM_400000_NS6detail17trampoline_kernelINS0_14default_configENS1_25partition_config_selectorILNS1_17partition_subalgoE2EsNS0_10empty_typeEbEEZZNS1_14partition_implILS5_2ELb0ES3_jN6thrust23THRUST_200600_302600_NS6detail15normal_iteratorINSA_7pointerIsNSA_11hip_rocprim3tagENSA_11use_defaultESG_EEEEPS6_NSA_18transform_iteratorI10is_orderedNSA_12zip_iteratorINSA_5tupleINSC_INSA_10device_ptrIsEEEESQ_NSA_9null_typeESR_SR_SR_SR_SR_SR_SR_EEEESG_SG_EENS0_5tupleIJPsSJ_EEENSV_IJSJ_SJ_EEES6_PlJS6_EEE10hipError_tPvRmT3_T4_T5_T6_T7_T9_mT8_P12ihipStream_tbDpT10_ENKUlT_T0_E_clISt17integral_constantIbLb0EES1I_IbLb1EEEEDaS1E_S1F_EUlS1E_E_NS1_11comp_targetILNS1_3genE3ELNS1_11target_archE908ELNS1_3gpuE7ELNS1_3repE0EEENS1_30default_config_static_selectorELNS0_4arch9wavefront6targetE1EEEvT1_,@function
_ZN7rocprim17ROCPRIM_400000_NS6detail17trampoline_kernelINS0_14default_configENS1_25partition_config_selectorILNS1_17partition_subalgoE2EsNS0_10empty_typeEbEEZZNS1_14partition_implILS5_2ELb0ES3_jN6thrust23THRUST_200600_302600_NS6detail15normal_iteratorINSA_7pointerIsNSA_11hip_rocprim3tagENSA_11use_defaultESG_EEEEPS6_NSA_18transform_iteratorI10is_orderedNSA_12zip_iteratorINSA_5tupleINSC_INSA_10device_ptrIsEEEESQ_NSA_9null_typeESR_SR_SR_SR_SR_SR_SR_EEEESG_SG_EENS0_5tupleIJPsSJ_EEENSV_IJSJ_SJ_EEES6_PlJS6_EEE10hipError_tPvRmT3_T4_T5_T6_T7_T9_mT8_P12ihipStream_tbDpT10_ENKUlT_T0_E_clISt17integral_constantIbLb0EES1I_IbLb1EEEEDaS1E_S1F_EUlS1E_E_NS1_11comp_targetILNS1_3genE3ELNS1_11target_archE908ELNS1_3gpuE7ELNS1_3repE0EEENS1_30default_config_static_selectorELNS0_4arch9wavefront6targetE1EEEvT1_: ; @_ZN7rocprim17ROCPRIM_400000_NS6detail17trampoline_kernelINS0_14default_configENS1_25partition_config_selectorILNS1_17partition_subalgoE2EsNS0_10empty_typeEbEEZZNS1_14partition_implILS5_2ELb0ES3_jN6thrust23THRUST_200600_302600_NS6detail15normal_iteratorINSA_7pointerIsNSA_11hip_rocprim3tagENSA_11use_defaultESG_EEEEPS6_NSA_18transform_iteratorI10is_orderedNSA_12zip_iteratorINSA_5tupleINSC_INSA_10device_ptrIsEEEESQ_NSA_9null_typeESR_SR_SR_SR_SR_SR_SR_EEEESG_SG_EENS0_5tupleIJPsSJ_EEENSV_IJSJ_SJ_EEES6_PlJS6_EEE10hipError_tPvRmT3_T4_T5_T6_T7_T9_mT8_P12ihipStream_tbDpT10_ENKUlT_T0_E_clISt17integral_constantIbLb0EES1I_IbLb1EEEEDaS1E_S1F_EUlS1E_E_NS1_11comp_targetILNS1_3genE3ELNS1_11target_archE908ELNS1_3gpuE7ELNS1_3repE0EEENS1_30default_config_static_selectorELNS0_4arch9wavefront6targetE1EEEvT1_
; %bb.0:
	.section	.rodata,"a",@progbits
	.p2align	6, 0x0
	.amdhsa_kernel _ZN7rocprim17ROCPRIM_400000_NS6detail17trampoline_kernelINS0_14default_configENS1_25partition_config_selectorILNS1_17partition_subalgoE2EsNS0_10empty_typeEbEEZZNS1_14partition_implILS5_2ELb0ES3_jN6thrust23THRUST_200600_302600_NS6detail15normal_iteratorINSA_7pointerIsNSA_11hip_rocprim3tagENSA_11use_defaultESG_EEEEPS6_NSA_18transform_iteratorI10is_orderedNSA_12zip_iteratorINSA_5tupleINSC_INSA_10device_ptrIsEEEESQ_NSA_9null_typeESR_SR_SR_SR_SR_SR_SR_EEEESG_SG_EENS0_5tupleIJPsSJ_EEENSV_IJSJ_SJ_EEES6_PlJS6_EEE10hipError_tPvRmT3_T4_T5_T6_T7_T9_mT8_P12ihipStream_tbDpT10_ENKUlT_T0_E_clISt17integral_constantIbLb0EES1I_IbLb1EEEEDaS1E_S1F_EUlS1E_E_NS1_11comp_targetILNS1_3genE3ELNS1_11target_archE908ELNS1_3gpuE7ELNS1_3repE0EEENS1_30default_config_static_selectorELNS0_4arch9wavefront6targetE1EEEvT1_
		.amdhsa_group_segment_fixed_size 0
		.amdhsa_private_segment_fixed_size 0
		.amdhsa_kernarg_size 152
		.amdhsa_user_sgpr_count 6
		.amdhsa_user_sgpr_private_segment_buffer 1
		.amdhsa_user_sgpr_dispatch_ptr 0
		.amdhsa_user_sgpr_queue_ptr 0
		.amdhsa_user_sgpr_kernarg_segment_ptr 1
		.amdhsa_user_sgpr_dispatch_id 0
		.amdhsa_user_sgpr_flat_scratch_init 0
		.amdhsa_user_sgpr_kernarg_preload_length 0
		.amdhsa_user_sgpr_kernarg_preload_offset 0
		.amdhsa_user_sgpr_private_segment_size 0
		.amdhsa_uses_dynamic_stack 0
		.amdhsa_system_sgpr_private_segment_wavefront_offset 0
		.amdhsa_system_sgpr_workgroup_id_x 1
		.amdhsa_system_sgpr_workgroup_id_y 0
		.amdhsa_system_sgpr_workgroup_id_z 0
		.amdhsa_system_sgpr_workgroup_info 0
		.amdhsa_system_vgpr_workitem_id 0
		.amdhsa_next_free_vgpr 1
		.amdhsa_next_free_sgpr 0
		.amdhsa_accum_offset 4
		.amdhsa_reserve_vcc 0
		.amdhsa_reserve_flat_scratch 0
		.amdhsa_float_round_mode_32 0
		.amdhsa_float_round_mode_16_64 0
		.amdhsa_float_denorm_mode_32 3
		.amdhsa_float_denorm_mode_16_64 3
		.amdhsa_dx10_clamp 1
		.amdhsa_ieee_mode 1
		.amdhsa_fp16_overflow 0
		.amdhsa_tg_split 0
		.amdhsa_exception_fp_ieee_invalid_op 0
		.amdhsa_exception_fp_denorm_src 0
		.amdhsa_exception_fp_ieee_div_zero 0
		.amdhsa_exception_fp_ieee_overflow 0
		.amdhsa_exception_fp_ieee_underflow 0
		.amdhsa_exception_fp_ieee_inexact 0
		.amdhsa_exception_int_div_zero 0
	.end_amdhsa_kernel
	.section	.text._ZN7rocprim17ROCPRIM_400000_NS6detail17trampoline_kernelINS0_14default_configENS1_25partition_config_selectorILNS1_17partition_subalgoE2EsNS0_10empty_typeEbEEZZNS1_14partition_implILS5_2ELb0ES3_jN6thrust23THRUST_200600_302600_NS6detail15normal_iteratorINSA_7pointerIsNSA_11hip_rocprim3tagENSA_11use_defaultESG_EEEEPS6_NSA_18transform_iteratorI10is_orderedNSA_12zip_iteratorINSA_5tupleINSC_INSA_10device_ptrIsEEEESQ_NSA_9null_typeESR_SR_SR_SR_SR_SR_SR_EEEESG_SG_EENS0_5tupleIJPsSJ_EEENSV_IJSJ_SJ_EEES6_PlJS6_EEE10hipError_tPvRmT3_T4_T5_T6_T7_T9_mT8_P12ihipStream_tbDpT10_ENKUlT_T0_E_clISt17integral_constantIbLb0EES1I_IbLb1EEEEDaS1E_S1F_EUlS1E_E_NS1_11comp_targetILNS1_3genE3ELNS1_11target_archE908ELNS1_3gpuE7ELNS1_3repE0EEENS1_30default_config_static_selectorELNS0_4arch9wavefront6targetE1EEEvT1_,"axG",@progbits,_ZN7rocprim17ROCPRIM_400000_NS6detail17trampoline_kernelINS0_14default_configENS1_25partition_config_selectorILNS1_17partition_subalgoE2EsNS0_10empty_typeEbEEZZNS1_14partition_implILS5_2ELb0ES3_jN6thrust23THRUST_200600_302600_NS6detail15normal_iteratorINSA_7pointerIsNSA_11hip_rocprim3tagENSA_11use_defaultESG_EEEEPS6_NSA_18transform_iteratorI10is_orderedNSA_12zip_iteratorINSA_5tupleINSC_INSA_10device_ptrIsEEEESQ_NSA_9null_typeESR_SR_SR_SR_SR_SR_SR_EEEESG_SG_EENS0_5tupleIJPsSJ_EEENSV_IJSJ_SJ_EEES6_PlJS6_EEE10hipError_tPvRmT3_T4_T5_T6_T7_T9_mT8_P12ihipStream_tbDpT10_ENKUlT_T0_E_clISt17integral_constantIbLb0EES1I_IbLb1EEEEDaS1E_S1F_EUlS1E_E_NS1_11comp_targetILNS1_3genE3ELNS1_11target_archE908ELNS1_3gpuE7ELNS1_3repE0EEENS1_30default_config_static_selectorELNS0_4arch9wavefront6targetE1EEEvT1_,comdat
.Lfunc_end3653:
	.size	_ZN7rocprim17ROCPRIM_400000_NS6detail17trampoline_kernelINS0_14default_configENS1_25partition_config_selectorILNS1_17partition_subalgoE2EsNS0_10empty_typeEbEEZZNS1_14partition_implILS5_2ELb0ES3_jN6thrust23THRUST_200600_302600_NS6detail15normal_iteratorINSA_7pointerIsNSA_11hip_rocprim3tagENSA_11use_defaultESG_EEEEPS6_NSA_18transform_iteratorI10is_orderedNSA_12zip_iteratorINSA_5tupleINSC_INSA_10device_ptrIsEEEESQ_NSA_9null_typeESR_SR_SR_SR_SR_SR_SR_EEEESG_SG_EENS0_5tupleIJPsSJ_EEENSV_IJSJ_SJ_EEES6_PlJS6_EEE10hipError_tPvRmT3_T4_T5_T6_T7_T9_mT8_P12ihipStream_tbDpT10_ENKUlT_T0_E_clISt17integral_constantIbLb0EES1I_IbLb1EEEEDaS1E_S1F_EUlS1E_E_NS1_11comp_targetILNS1_3genE3ELNS1_11target_archE908ELNS1_3gpuE7ELNS1_3repE0EEENS1_30default_config_static_selectorELNS0_4arch9wavefront6targetE1EEEvT1_, .Lfunc_end3653-_ZN7rocprim17ROCPRIM_400000_NS6detail17trampoline_kernelINS0_14default_configENS1_25partition_config_selectorILNS1_17partition_subalgoE2EsNS0_10empty_typeEbEEZZNS1_14partition_implILS5_2ELb0ES3_jN6thrust23THRUST_200600_302600_NS6detail15normal_iteratorINSA_7pointerIsNSA_11hip_rocprim3tagENSA_11use_defaultESG_EEEEPS6_NSA_18transform_iteratorI10is_orderedNSA_12zip_iteratorINSA_5tupleINSC_INSA_10device_ptrIsEEEESQ_NSA_9null_typeESR_SR_SR_SR_SR_SR_SR_EEEESG_SG_EENS0_5tupleIJPsSJ_EEENSV_IJSJ_SJ_EEES6_PlJS6_EEE10hipError_tPvRmT3_T4_T5_T6_T7_T9_mT8_P12ihipStream_tbDpT10_ENKUlT_T0_E_clISt17integral_constantIbLb0EES1I_IbLb1EEEEDaS1E_S1F_EUlS1E_E_NS1_11comp_targetILNS1_3genE3ELNS1_11target_archE908ELNS1_3gpuE7ELNS1_3repE0EEENS1_30default_config_static_selectorELNS0_4arch9wavefront6targetE1EEEvT1_
                                        ; -- End function
	.section	.AMDGPU.csdata,"",@progbits
; Kernel info:
; codeLenInByte = 0
; NumSgprs: 4
; NumVgprs: 0
; NumAgprs: 0
; TotalNumVgprs: 0
; ScratchSize: 0
; MemoryBound: 0
; FloatMode: 240
; IeeeMode: 1
; LDSByteSize: 0 bytes/workgroup (compile time only)
; SGPRBlocks: 0
; VGPRBlocks: 0
; NumSGPRsForWavesPerEU: 4
; NumVGPRsForWavesPerEU: 1
; AccumOffset: 4
; Occupancy: 8
; WaveLimiterHint : 0
; COMPUTE_PGM_RSRC2:SCRATCH_EN: 0
; COMPUTE_PGM_RSRC2:USER_SGPR: 6
; COMPUTE_PGM_RSRC2:TRAP_HANDLER: 0
; COMPUTE_PGM_RSRC2:TGID_X_EN: 1
; COMPUTE_PGM_RSRC2:TGID_Y_EN: 0
; COMPUTE_PGM_RSRC2:TGID_Z_EN: 0
; COMPUTE_PGM_RSRC2:TIDIG_COMP_CNT: 0
; COMPUTE_PGM_RSRC3_GFX90A:ACCUM_OFFSET: 0
; COMPUTE_PGM_RSRC3_GFX90A:TG_SPLIT: 0
	.section	.text._ZN7rocprim17ROCPRIM_400000_NS6detail17trampoline_kernelINS0_14default_configENS1_25partition_config_selectorILNS1_17partition_subalgoE2EsNS0_10empty_typeEbEEZZNS1_14partition_implILS5_2ELb0ES3_jN6thrust23THRUST_200600_302600_NS6detail15normal_iteratorINSA_7pointerIsNSA_11hip_rocprim3tagENSA_11use_defaultESG_EEEEPS6_NSA_18transform_iteratorI10is_orderedNSA_12zip_iteratorINSA_5tupleINSC_INSA_10device_ptrIsEEEESQ_NSA_9null_typeESR_SR_SR_SR_SR_SR_SR_EEEESG_SG_EENS0_5tupleIJPsSJ_EEENSV_IJSJ_SJ_EEES6_PlJS6_EEE10hipError_tPvRmT3_T4_T5_T6_T7_T9_mT8_P12ihipStream_tbDpT10_ENKUlT_T0_E_clISt17integral_constantIbLb0EES1I_IbLb1EEEEDaS1E_S1F_EUlS1E_E_NS1_11comp_targetILNS1_3genE2ELNS1_11target_archE906ELNS1_3gpuE6ELNS1_3repE0EEENS1_30default_config_static_selectorELNS0_4arch9wavefront6targetE1EEEvT1_,"axG",@progbits,_ZN7rocprim17ROCPRIM_400000_NS6detail17trampoline_kernelINS0_14default_configENS1_25partition_config_selectorILNS1_17partition_subalgoE2EsNS0_10empty_typeEbEEZZNS1_14partition_implILS5_2ELb0ES3_jN6thrust23THRUST_200600_302600_NS6detail15normal_iteratorINSA_7pointerIsNSA_11hip_rocprim3tagENSA_11use_defaultESG_EEEEPS6_NSA_18transform_iteratorI10is_orderedNSA_12zip_iteratorINSA_5tupleINSC_INSA_10device_ptrIsEEEESQ_NSA_9null_typeESR_SR_SR_SR_SR_SR_SR_EEEESG_SG_EENS0_5tupleIJPsSJ_EEENSV_IJSJ_SJ_EEES6_PlJS6_EEE10hipError_tPvRmT3_T4_T5_T6_T7_T9_mT8_P12ihipStream_tbDpT10_ENKUlT_T0_E_clISt17integral_constantIbLb0EES1I_IbLb1EEEEDaS1E_S1F_EUlS1E_E_NS1_11comp_targetILNS1_3genE2ELNS1_11target_archE906ELNS1_3gpuE6ELNS1_3repE0EEENS1_30default_config_static_selectorELNS0_4arch9wavefront6targetE1EEEvT1_,comdat
	.protected	_ZN7rocprim17ROCPRIM_400000_NS6detail17trampoline_kernelINS0_14default_configENS1_25partition_config_selectorILNS1_17partition_subalgoE2EsNS0_10empty_typeEbEEZZNS1_14partition_implILS5_2ELb0ES3_jN6thrust23THRUST_200600_302600_NS6detail15normal_iteratorINSA_7pointerIsNSA_11hip_rocprim3tagENSA_11use_defaultESG_EEEEPS6_NSA_18transform_iteratorI10is_orderedNSA_12zip_iteratorINSA_5tupleINSC_INSA_10device_ptrIsEEEESQ_NSA_9null_typeESR_SR_SR_SR_SR_SR_SR_EEEESG_SG_EENS0_5tupleIJPsSJ_EEENSV_IJSJ_SJ_EEES6_PlJS6_EEE10hipError_tPvRmT3_T4_T5_T6_T7_T9_mT8_P12ihipStream_tbDpT10_ENKUlT_T0_E_clISt17integral_constantIbLb0EES1I_IbLb1EEEEDaS1E_S1F_EUlS1E_E_NS1_11comp_targetILNS1_3genE2ELNS1_11target_archE906ELNS1_3gpuE6ELNS1_3repE0EEENS1_30default_config_static_selectorELNS0_4arch9wavefront6targetE1EEEvT1_ ; -- Begin function _ZN7rocprim17ROCPRIM_400000_NS6detail17trampoline_kernelINS0_14default_configENS1_25partition_config_selectorILNS1_17partition_subalgoE2EsNS0_10empty_typeEbEEZZNS1_14partition_implILS5_2ELb0ES3_jN6thrust23THRUST_200600_302600_NS6detail15normal_iteratorINSA_7pointerIsNSA_11hip_rocprim3tagENSA_11use_defaultESG_EEEEPS6_NSA_18transform_iteratorI10is_orderedNSA_12zip_iteratorINSA_5tupleINSC_INSA_10device_ptrIsEEEESQ_NSA_9null_typeESR_SR_SR_SR_SR_SR_SR_EEEESG_SG_EENS0_5tupleIJPsSJ_EEENSV_IJSJ_SJ_EEES6_PlJS6_EEE10hipError_tPvRmT3_T4_T5_T6_T7_T9_mT8_P12ihipStream_tbDpT10_ENKUlT_T0_E_clISt17integral_constantIbLb0EES1I_IbLb1EEEEDaS1E_S1F_EUlS1E_E_NS1_11comp_targetILNS1_3genE2ELNS1_11target_archE906ELNS1_3gpuE6ELNS1_3repE0EEENS1_30default_config_static_selectorELNS0_4arch9wavefront6targetE1EEEvT1_
	.globl	_ZN7rocprim17ROCPRIM_400000_NS6detail17trampoline_kernelINS0_14default_configENS1_25partition_config_selectorILNS1_17partition_subalgoE2EsNS0_10empty_typeEbEEZZNS1_14partition_implILS5_2ELb0ES3_jN6thrust23THRUST_200600_302600_NS6detail15normal_iteratorINSA_7pointerIsNSA_11hip_rocprim3tagENSA_11use_defaultESG_EEEEPS6_NSA_18transform_iteratorI10is_orderedNSA_12zip_iteratorINSA_5tupleINSC_INSA_10device_ptrIsEEEESQ_NSA_9null_typeESR_SR_SR_SR_SR_SR_SR_EEEESG_SG_EENS0_5tupleIJPsSJ_EEENSV_IJSJ_SJ_EEES6_PlJS6_EEE10hipError_tPvRmT3_T4_T5_T6_T7_T9_mT8_P12ihipStream_tbDpT10_ENKUlT_T0_E_clISt17integral_constantIbLb0EES1I_IbLb1EEEEDaS1E_S1F_EUlS1E_E_NS1_11comp_targetILNS1_3genE2ELNS1_11target_archE906ELNS1_3gpuE6ELNS1_3repE0EEENS1_30default_config_static_selectorELNS0_4arch9wavefront6targetE1EEEvT1_
	.p2align	8
	.type	_ZN7rocprim17ROCPRIM_400000_NS6detail17trampoline_kernelINS0_14default_configENS1_25partition_config_selectorILNS1_17partition_subalgoE2EsNS0_10empty_typeEbEEZZNS1_14partition_implILS5_2ELb0ES3_jN6thrust23THRUST_200600_302600_NS6detail15normal_iteratorINSA_7pointerIsNSA_11hip_rocprim3tagENSA_11use_defaultESG_EEEEPS6_NSA_18transform_iteratorI10is_orderedNSA_12zip_iteratorINSA_5tupleINSC_INSA_10device_ptrIsEEEESQ_NSA_9null_typeESR_SR_SR_SR_SR_SR_SR_EEEESG_SG_EENS0_5tupleIJPsSJ_EEENSV_IJSJ_SJ_EEES6_PlJS6_EEE10hipError_tPvRmT3_T4_T5_T6_T7_T9_mT8_P12ihipStream_tbDpT10_ENKUlT_T0_E_clISt17integral_constantIbLb0EES1I_IbLb1EEEEDaS1E_S1F_EUlS1E_E_NS1_11comp_targetILNS1_3genE2ELNS1_11target_archE906ELNS1_3gpuE6ELNS1_3repE0EEENS1_30default_config_static_selectorELNS0_4arch9wavefront6targetE1EEEvT1_,@function
_ZN7rocprim17ROCPRIM_400000_NS6detail17trampoline_kernelINS0_14default_configENS1_25partition_config_selectorILNS1_17partition_subalgoE2EsNS0_10empty_typeEbEEZZNS1_14partition_implILS5_2ELb0ES3_jN6thrust23THRUST_200600_302600_NS6detail15normal_iteratorINSA_7pointerIsNSA_11hip_rocprim3tagENSA_11use_defaultESG_EEEEPS6_NSA_18transform_iteratorI10is_orderedNSA_12zip_iteratorINSA_5tupleINSC_INSA_10device_ptrIsEEEESQ_NSA_9null_typeESR_SR_SR_SR_SR_SR_SR_EEEESG_SG_EENS0_5tupleIJPsSJ_EEENSV_IJSJ_SJ_EEES6_PlJS6_EEE10hipError_tPvRmT3_T4_T5_T6_T7_T9_mT8_P12ihipStream_tbDpT10_ENKUlT_T0_E_clISt17integral_constantIbLb0EES1I_IbLb1EEEEDaS1E_S1F_EUlS1E_E_NS1_11comp_targetILNS1_3genE2ELNS1_11target_archE906ELNS1_3gpuE6ELNS1_3repE0EEENS1_30default_config_static_selectorELNS0_4arch9wavefront6targetE1EEEvT1_: ; @_ZN7rocprim17ROCPRIM_400000_NS6detail17trampoline_kernelINS0_14default_configENS1_25partition_config_selectorILNS1_17partition_subalgoE2EsNS0_10empty_typeEbEEZZNS1_14partition_implILS5_2ELb0ES3_jN6thrust23THRUST_200600_302600_NS6detail15normal_iteratorINSA_7pointerIsNSA_11hip_rocprim3tagENSA_11use_defaultESG_EEEEPS6_NSA_18transform_iteratorI10is_orderedNSA_12zip_iteratorINSA_5tupleINSC_INSA_10device_ptrIsEEEESQ_NSA_9null_typeESR_SR_SR_SR_SR_SR_SR_EEEESG_SG_EENS0_5tupleIJPsSJ_EEENSV_IJSJ_SJ_EEES6_PlJS6_EEE10hipError_tPvRmT3_T4_T5_T6_T7_T9_mT8_P12ihipStream_tbDpT10_ENKUlT_T0_E_clISt17integral_constantIbLb0EES1I_IbLb1EEEEDaS1E_S1F_EUlS1E_E_NS1_11comp_targetILNS1_3genE2ELNS1_11target_archE906ELNS1_3gpuE6ELNS1_3repE0EEENS1_30default_config_static_selectorELNS0_4arch9wavefront6targetE1EEEvT1_
; %bb.0:
	.section	.rodata,"a",@progbits
	.p2align	6, 0x0
	.amdhsa_kernel _ZN7rocprim17ROCPRIM_400000_NS6detail17trampoline_kernelINS0_14default_configENS1_25partition_config_selectorILNS1_17partition_subalgoE2EsNS0_10empty_typeEbEEZZNS1_14partition_implILS5_2ELb0ES3_jN6thrust23THRUST_200600_302600_NS6detail15normal_iteratorINSA_7pointerIsNSA_11hip_rocprim3tagENSA_11use_defaultESG_EEEEPS6_NSA_18transform_iteratorI10is_orderedNSA_12zip_iteratorINSA_5tupleINSC_INSA_10device_ptrIsEEEESQ_NSA_9null_typeESR_SR_SR_SR_SR_SR_SR_EEEESG_SG_EENS0_5tupleIJPsSJ_EEENSV_IJSJ_SJ_EEES6_PlJS6_EEE10hipError_tPvRmT3_T4_T5_T6_T7_T9_mT8_P12ihipStream_tbDpT10_ENKUlT_T0_E_clISt17integral_constantIbLb0EES1I_IbLb1EEEEDaS1E_S1F_EUlS1E_E_NS1_11comp_targetILNS1_3genE2ELNS1_11target_archE906ELNS1_3gpuE6ELNS1_3repE0EEENS1_30default_config_static_selectorELNS0_4arch9wavefront6targetE1EEEvT1_
		.amdhsa_group_segment_fixed_size 0
		.amdhsa_private_segment_fixed_size 0
		.amdhsa_kernarg_size 152
		.amdhsa_user_sgpr_count 6
		.amdhsa_user_sgpr_private_segment_buffer 1
		.amdhsa_user_sgpr_dispatch_ptr 0
		.amdhsa_user_sgpr_queue_ptr 0
		.amdhsa_user_sgpr_kernarg_segment_ptr 1
		.amdhsa_user_sgpr_dispatch_id 0
		.amdhsa_user_sgpr_flat_scratch_init 0
		.amdhsa_user_sgpr_kernarg_preload_length 0
		.amdhsa_user_sgpr_kernarg_preload_offset 0
		.amdhsa_user_sgpr_private_segment_size 0
		.amdhsa_uses_dynamic_stack 0
		.amdhsa_system_sgpr_private_segment_wavefront_offset 0
		.amdhsa_system_sgpr_workgroup_id_x 1
		.amdhsa_system_sgpr_workgroup_id_y 0
		.amdhsa_system_sgpr_workgroup_id_z 0
		.amdhsa_system_sgpr_workgroup_info 0
		.amdhsa_system_vgpr_workitem_id 0
		.amdhsa_next_free_vgpr 1
		.amdhsa_next_free_sgpr 0
		.amdhsa_accum_offset 4
		.amdhsa_reserve_vcc 0
		.amdhsa_reserve_flat_scratch 0
		.amdhsa_float_round_mode_32 0
		.amdhsa_float_round_mode_16_64 0
		.amdhsa_float_denorm_mode_32 3
		.amdhsa_float_denorm_mode_16_64 3
		.amdhsa_dx10_clamp 1
		.amdhsa_ieee_mode 1
		.amdhsa_fp16_overflow 0
		.amdhsa_tg_split 0
		.amdhsa_exception_fp_ieee_invalid_op 0
		.amdhsa_exception_fp_denorm_src 0
		.amdhsa_exception_fp_ieee_div_zero 0
		.amdhsa_exception_fp_ieee_overflow 0
		.amdhsa_exception_fp_ieee_underflow 0
		.amdhsa_exception_fp_ieee_inexact 0
		.amdhsa_exception_int_div_zero 0
	.end_amdhsa_kernel
	.section	.text._ZN7rocprim17ROCPRIM_400000_NS6detail17trampoline_kernelINS0_14default_configENS1_25partition_config_selectorILNS1_17partition_subalgoE2EsNS0_10empty_typeEbEEZZNS1_14partition_implILS5_2ELb0ES3_jN6thrust23THRUST_200600_302600_NS6detail15normal_iteratorINSA_7pointerIsNSA_11hip_rocprim3tagENSA_11use_defaultESG_EEEEPS6_NSA_18transform_iteratorI10is_orderedNSA_12zip_iteratorINSA_5tupleINSC_INSA_10device_ptrIsEEEESQ_NSA_9null_typeESR_SR_SR_SR_SR_SR_SR_EEEESG_SG_EENS0_5tupleIJPsSJ_EEENSV_IJSJ_SJ_EEES6_PlJS6_EEE10hipError_tPvRmT3_T4_T5_T6_T7_T9_mT8_P12ihipStream_tbDpT10_ENKUlT_T0_E_clISt17integral_constantIbLb0EES1I_IbLb1EEEEDaS1E_S1F_EUlS1E_E_NS1_11comp_targetILNS1_3genE2ELNS1_11target_archE906ELNS1_3gpuE6ELNS1_3repE0EEENS1_30default_config_static_selectorELNS0_4arch9wavefront6targetE1EEEvT1_,"axG",@progbits,_ZN7rocprim17ROCPRIM_400000_NS6detail17trampoline_kernelINS0_14default_configENS1_25partition_config_selectorILNS1_17partition_subalgoE2EsNS0_10empty_typeEbEEZZNS1_14partition_implILS5_2ELb0ES3_jN6thrust23THRUST_200600_302600_NS6detail15normal_iteratorINSA_7pointerIsNSA_11hip_rocprim3tagENSA_11use_defaultESG_EEEEPS6_NSA_18transform_iteratorI10is_orderedNSA_12zip_iteratorINSA_5tupleINSC_INSA_10device_ptrIsEEEESQ_NSA_9null_typeESR_SR_SR_SR_SR_SR_SR_EEEESG_SG_EENS0_5tupleIJPsSJ_EEENSV_IJSJ_SJ_EEES6_PlJS6_EEE10hipError_tPvRmT3_T4_T5_T6_T7_T9_mT8_P12ihipStream_tbDpT10_ENKUlT_T0_E_clISt17integral_constantIbLb0EES1I_IbLb1EEEEDaS1E_S1F_EUlS1E_E_NS1_11comp_targetILNS1_3genE2ELNS1_11target_archE906ELNS1_3gpuE6ELNS1_3repE0EEENS1_30default_config_static_selectorELNS0_4arch9wavefront6targetE1EEEvT1_,comdat
.Lfunc_end3654:
	.size	_ZN7rocprim17ROCPRIM_400000_NS6detail17trampoline_kernelINS0_14default_configENS1_25partition_config_selectorILNS1_17partition_subalgoE2EsNS0_10empty_typeEbEEZZNS1_14partition_implILS5_2ELb0ES3_jN6thrust23THRUST_200600_302600_NS6detail15normal_iteratorINSA_7pointerIsNSA_11hip_rocprim3tagENSA_11use_defaultESG_EEEEPS6_NSA_18transform_iteratorI10is_orderedNSA_12zip_iteratorINSA_5tupleINSC_INSA_10device_ptrIsEEEESQ_NSA_9null_typeESR_SR_SR_SR_SR_SR_SR_EEEESG_SG_EENS0_5tupleIJPsSJ_EEENSV_IJSJ_SJ_EEES6_PlJS6_EEE10hipError_tPvRmT3_T4_T5_T6_T7_T9_mT8_P12ihipStream_tbDpT10_ENKUlT_T0_E_clISt17integral_constantIbLb0EES1I_IbLb1EEEEDaS1E_S1F_EUlS1E_E_NS1_11comp_targetILNS1_3genE2ELNS1_11target_archE906ELNS1_3gpuE6ELNS1_3repE0EEENS1_30default_config_static_selectorELNS0_4arch9wavefront6targetE1EEEvT1_, .Lfunc_end3654-_ZN7rocprim17ROCPRIM_400000_NS6detail17trampoline_kernelINS0_14default_configENS1_25partition_config_selectorILNS1_17partition_subalgoE2EsNS0_10empty_typeEbEEZZNS1_14partition_implILS5_2ELb0ES3_jN6thrust23THRUST_200600_302600_NS6detail15normal_iteratorINSA_7pointerIsNSA_11hip_rocprim3tagENSA_11use_defaultESG_EEEEPS6_NSA_18transform_iteratorI10is_orderedNSA_12zip_iteratorINSA_5tupleINSC_INSA_10device_ptrIsEEEESQ_NSA_9null_typeESR_SR_SR_SR_SR_SR_SR_EEEESG_SG_EENS0_5tupleIJPsSJ_EEENSV_IJSJ_SJ_EEES6_PlJS6_EEE10hipError_tPvRmT3_T4_T5_T6_T7_T9_mT8_P12ihipStream_tbDpT10_ENKUlT_T0_E_clISt17integral_constantIbLb0EES1I_IbLb1EEEEDaS1E_S1F_EUlS1E_E_NS1_11comp_targetILNS1_3genE2ELNS1_11target_archE906ELNS1_3gpuE6ELNS1_3repE0EEENS1_30default_config_static_selectorELNS0_4arch9wavefront6targetE1EEEvT1_
                                        ; -- End function
	.section	.AMDGPU.csdata,"",@progbits
; Kernel info:
; codeLenInByte = 0
; NumSgprs: 4
; NumVgprs: 0
; NumAgprs: 0
; TotalNumVgprs: 0
; ScratchSize: 0
; MemoryBound: 0
; FloatMode: 240
; IeeeMode: 1
; LDSByteSize: 0 bytes/workgroup (compile time only)
; SGPRBlocks: 0
; VGPRBlocks: 0
; NumSGPRsForWavesPerEU: 4
; NumVGPRsForWavesPerEU: 1
; AccumOffset: 4
; Occupancy: 8
; WaveLimiterHint : 0
; COMPUTE_PGM_RSRC2:SCRATCH_EN: 0
; COMPUTE_PGM_RSRC2:USER_SGPR: 6
; COMPUTE_PGM_RSRC2:TRAP_HANDLER: 0
; COMPUTE_PGM_RSRC2:TGID_X_EN: 1
; COMPUTE_PGM_RSRC2:TGID_Y_EN: 0
; COMPUTE_PGM_RSRC2:TGID_Z_EN: 0
; COMPUTE_PGM_RSRC2:TIDIG_COMP_CNT: 0
; COMPUTE_PGM_RSRC3_GFX90A:ACCUM_OFFSET: 0
; COMPUTE_PGM_RSRC3_GFX90A:TG_SPLIT: 0
	.section	.text._ZN7rocprim17ROCPRIM_400000_NS6detail17trampoline_kernelINS0_14default_configENS1_25partition_config_selectorILNS1_17partition_subalgoE2EsNS0_10empty_typeEbEEZZNS1_14partition_implILS5_2ELb0ES3_jN6thrust23THRUST_200600_302600_NS6detail15normal_iteratorINSA_7pointerIsNSA_11hip_rocprim3tagENSA_11use_defaultESG_EEEEPS6_NSA_18transform_iteratorI10is_orderedNSA_12zip_iteratorINSA_5tupleINSC_INSA_10device_ptrIsEEEESQ_NSA_9null_typeESR_SR_SR_SR_SR_SR_SR_EEEESG_SG_EENS0_5tupleIJPsSJ_EEENSV_IJSJ_SJ_EEES6_PlJS6_EEE10hipError_tPvRmT3_T4_T5_T6_T7_T9_mT8_P12ihipStream_tbDpT10_ENKUlT_T0_E_clISt17integral_constantIbLb0EES1I_IbLb1EEEEDaS1E_S1F_EUlS1E_E_NS1_11comp_targetILNS1_3genE10ELNS1_11target_archE1200ELNS1_3gpuE4ELNS1_3repE0EEENS1_30default_config_static_selectorELNS0_4arch9wavefront6targetE1EEEvT1_,"axG",@progbits,_ZN7rocprim17ROCPRIM_400000_NS6detail17trampoline_kernelINS0_14default_configENS1_25partition_config_selectorILNS1_17partition_subalgoE2EsNS0_10empty_typeEbEEZZNS1_14partition_implILS5_2ELb0ES3_jN6thrust23THRUST_200600_302600_NS6detail15normal_iteratorINSA_7pointerIsNSA_11hip_rocprim3tagENSA_11use_defaultESG_EEEEPS6_NSA_18transform_iteratorI10is_orderedNSA_12zip_iteratorINSA_5tupleINSC_INSA_10device_ptrIsEEEESQ_NSA_9null_typeESR_SR_SR_SR_SR_SR_SR_EEEESG_SG_EENS0_5tupleIJPsSJ_EEENSV_IJSJ_SJ_EEES6_PlJS6_EEE10hipError_tPvRmT3_T4_T5_T6_T7_T9_mT8_P12ihipStream_tbDpT10_ENKUlT_T0_E_clISt17integral_constantIbLb0EES1I_IbLb1EEEEDaS1E_S1F_EUlS1E_E_NS1_11comp_targetILNS1_3genE10ELNS1_11target_archE1200ELNS1_3gpuE4ELNS1_3repE0EEENS1_30default_config_static_selectorELNS0_4arch9wavefront6targetE1EEEvT1_,comdat
	.protected	_ZN7rocprim17ROCPRIM_400000_NS6detail17trampoline_kernelINS0_14default_configENS1_25partition_config_selectorILNS1_17partition_subalgoE2EsNS0_10empty_typeEbEEZZNS1_14partition_implILS5_2ELb0ES3_jN6thrust23THRUST_200600_302600_NS6detail15normal_iteratorINSA_7pointerIsNSA_11hip_rocprim3tagENSA_11use_defaultESG_EEEEPS6_NSA_18transform_iteratorI10is_orderedNSA_12zip_iteratorINSA_5tupleINSC_INSA_10device_ptrIsEEEESQ_NSA_9null_typeESR_SR_SR_SR_SR_SR_SR_EEEESG_SG_EENS0_5tupleIJPsSJ_EEENSV_IJSJ_SJ_EEES6_PlJS6_EEE10hipError_tPvRmT3_T4_T5_T6_T7_T9_mT8_P12ihipStream_tbDpT10_ENKUlT_T0_E_clISt17integral_constantIbLb0EES1I_IbLb1EEEEDaS1E_S1F_EUlS1E_E_NS1_11comp_targetILNS1_3genE10ELNS1_11target_archE1200ELNS1_3gpuE4ELNS1_3repE0EEENS1_30default_config_static_selectorELNS0_4arch9wavefront6targetE1EEEvT1_ ; -- Begin function _ZN7rocprim17ROCPRIM_400000_NS6detail17trampoline_kernelINS0_14default_configENS1_25partition_config_selectorILNS1_17partition_subalgoE2EsNS0_10empty_typeEbEEZZNS1_14partition_implILS5_2ELb0ES3_jN6thrust23THRUST_200600_302600_NS6detail15normal_iteratorINSA_7pointerIsNSA_11hip_rocprim3tagENSA_11use_defaultESG_EEEEPS6_NSA_18transform_iteratorI10is_orderedNSA_12zip_iteratorINSA_5tupleINSC_INSA_10device_ptrIsEEEESQ_NSA_9null_typeESR_SR_SR_SR_SR_SR_SR_EEEESG_SG_EENS0_5tupleIJPsSJ_EEENSV_IJSJ_SJ_EEES6_PlJS6_EEE10hipError_tPvRmT3_T4_T5_T6_T7_T9_mT8_P12ihipStream_tbDpT10_ENKUlT_T0_E_clISt17integral_constantIbLb0EES1I_IbLb1EEEEDaS1E_S1F_EUlS1E_E_NS1_11comp_targetILNS1_3genE10ELNS1_11target_archE1200ELNS1_3gpuE4ELNS1_3repE0EEENS1_30default_config_static_selectorELNS0_4arch9wavefront6targetE1EEEvT1_
	.globl	_ZN7rocprim17ROCPRIM_400000_NS6detail17trampoline_kernelINS0_14default_configENS1_25partition_config_selectorILNS1_17partition_subalgoE2EsNS0_10empty_typeEbEEZZNS1_14partition_implILS5_2ELb0ES3_jN6thrust23THRUST_200600_302600_NS6detail15normal_iteratorINSA_7pointerIsNSA_11hip_rocprim3tagENSA_11use_defaultESG_EEEEPS6_NSA_18transform_iteratorI10is_orderedNSA_12zip_iteratorINSA_5tupleINSC_INSA_10device_ptrIsEEEESQ_NSA_9null_typeESR_SR_SR_SR_SR_SR_SR_EEEESG_SG_EENS0_5tupleIJPsSJ_EEENSV_IJSJ_SJ_EEES6_PlJS6_EEE10hipError_tPvRmT3_T4_T5_T6_T7_T9_mT8_P12ihipStream_tbDpT10_ENKUlT_T0_E_clISt17integral_constantIbLb0EES1I_IbLb1EEEEDaS1E_S1F_EUlS1E_E_NS1_11comp_targetILNS1_3genE10ELNS1_11target_archE1200ELNS1_3gpuE4ELNS1_3repE0EEENS1_30default_config_static_selectorELNS0_4arch9wavefront6targetE1EEEvT1_
	.p2align	8
	.type	_ZN7rocprim17ROCPRIM_400000_NS6detail17trampoline_kernelINS0_14default_configENS1_25partition_config_selectorILNS1_17partition_subalgoE2EsNS0_10empty_typeEbEEZZNS1_14partition_implILS5_2ELb0ES3_jN6thrust23THRUST_200600_302600_NS6detail15normal_iteratorINSA_7pointerIsNSA_11hip_rocprim3tagENSA_11use_defaultESG_EEEEPS6_NSA_18transform_iteratorI10is_orderedNSA_12zip_iteratorINSA_5tupleINSC_INSA_10device_ptrIsEEEESQ_NSA_9null_typeESR_SR_SR_SR_SR_SR_SR_EEEESG_SG_EENS0_5tupleIJPsSJ_EEENSV_IJSJ_SJ_EEES6_PlJS6_EEE10hipError_tPvRmT3_T4_T5_T6_T7_T9_mT8_P12ihipStream_tbDpT10_ENKUlT_T0_E_clISt17integral_constantIbLb0EES1I_IbLb1EEEEDaS1E_S1F_EUlS1E_E_NS1_11comp_targetILNS1_3genE10ELNS1_11target_archE1200ELNS1_3gpuE4ELNS1_3repE0EEENS1_30default_config_static_selectorELNS0_4arch9wavefront6targetE1EEEvT1_,@function
_ZN7rocprim17ROCPRIM_400000_NS6detail17trampoline_kernelINS0_14default_configENS1_25partition_config_selectorILNS1_17partition_subalgoE2EsNS0_10empty_typeEbEEZZNS1_14partition_implILS5_2ELb0ES3_jN6thrust23THRUST_200600_302600_NS6detail15normal_iteratorINSA_7pointerIsNSA_11hip_rocprim3tagENSA_11use_defaultESG_EEEEPS6_NSA_18transform_iteratorI10is_orderedNSA_12zip_iteratorINSA_5tupleINSC_INSA_10device_ptrIsEEEESQ_NSA_9null_typeESR_SR_SR_SR_SR_SR_SR_EEEESG_SG_EENS0_5tupleIJPsSJ_EEENSV_IJSJ_SJ_EEES6_PlJS6_EEE10hipError_tPvRmT3_T4_T5_T6_T7_T9_mT8_P12ihipStream_tbDpT10_ENKUlT_T0_E_clISt17integral_constantIbLb0EES1I_IbLb1EEEEDaS1E_S1F_EUlS1E_E_NS1_11comp_targetILNS1_3genE10ELNS1_11target_archE1200ELNS1_3gpuE4ELNS1_3repE0EEENS1_30default_config_static_selectorELNS0_4arch9wavefront6targetE1EEEvT1_: ; @_ZN7rocprim17ROCPRIM_400000_NS6detail17trampoline_kernelINS0_14default_configENS1_25partition_config_selectorILNS1_17partition_subalgoE2EsNS0_10empty_typeEbEEZZNS1_14partition_implILS5_2ELb0ES3_jN6thrust23THRUST_200600_302600_NS6detail15normal_iteratorINSA_7pointerIsNSA_11hip_rocprim3tagENSA_11use_defaultESG_EEEEPS6_NSA_18transform_iteratorI10is_orderedNSA_12zip_iteratorINSA_5tupleINSC_INSA_10device_ptrIsEEEESQ_NSA_9null_typeESR_SR_SR_SR_SR_SR_SR_EEEESG_SG_EENS0_5tupleIJPsSJ_EEENSV_IJSJ_SJ_EEES6_PlJS6_EEE10hipError_tPvRmT3_T4_T5_T6_T7_T9_mT8_P12ihipStream_tbDpT10_ENKUlT_T0_E_clISt17integral_constantIbLb0EES1I_IbLb1EEEEDaS1E_S1F_EUlS1E_E_NS1_11comp_targetILNS1_3genE10ELNS1_11target_archE1200ELNS1_3gpuE4ELNS1_3repE0EEENS1_30default_config_static_selectorELNS0_4arch9wavefront6targetE1EEEvT1_
; %bb.0:
	.section	.rodata,"a",@progbits
	.p2align	6, 0x0
	.amdhsa_kernel _ZN7rocprim17ROCPRIM_400000_NS6detail17trampoline_kernelINS0_14default_configENS1_25partition_config_selectorILNS1_17partition_subalgoE2EsNS0_10empty_typeEbEEZZNS1_14partition_implILS5_2ELb0ES3_jN6thrust23THRUST_200600_302600_NS6detail15normal_iteratorINSA_7pointerIsNSA_11hip_rocprim3tagENSA_11use_defaultESG_EEEEPS6_NSA_18transform_iteratorI10is_orderedNSA_12zip_iteratorINSA_5tupleINSC_INSA_10device_ptrIsEEEESQ_NSA_9null_typeESR_SR_SR_SR_SR_SR_SR_EEEESG_SG_EENS0_5tupleIJPsSJ_EEENSV_IJSJ_SJ_EEES6_PlJS6_EEE10hipError_tPvRmT3_T4_T5_T6_T7_T9_mT8_P12ihipStream_tbDpT10_ENKUlT_T0_E_clISt17integral_constantIbLb0EES1I_IbLb1EEEEDaS1E_S1F_EUlS1E_E_NS1_11comp_targetILNS1_3genE10ELNS1_11target_archE1200ELNS1_3gpuE4ELNS1_3repE0EEENS1_30default_config_static_selectorELNS0_4arch9wavefront6targetE1EEEvT1_
		.amdhsa_group_segment_fixed_size 0
		.amdhsa_private_segment_fixed_size 0
		.amdhsa_kernarg_size 152
		.amdhsa_user_sgpr_count 6
		.amdhsa_user_sgpr_private_segment_buffer 1
		.amdhsa_user_sgpr_dispatch_ptr 0
		.amdhsa_user_sgpr_queue_ptr 0
		.amdhsa_user_sgpr_kernarg_segment_ptr 1
		.amdhsa_user_sgpr_dispatch_id 0
		.amdhsa_user_sgpr_flat_scratch_init 0
		.amdhsa_user_sgpr_kernarg_preload_length 0
		.amdhsa_user_sgpr_kernarg_preload_offset 0
		.amdhsa_user_sgpr_private_segment_size 0
		.amdhsa_uses_dynamic_stack 0
		.amdhsa_system_sgpr_private_segment_wavefront_offset 0
		.amdhsa_system_sgpr_workgroup_id_x 1
		.amdhsa_system_sgpr_workgroup_id_y 0
		.amdhsa_system_sgpr_workgroup_id_z 0
		.amdhsa_system_sgpr_workgroup_info 0
		.amdhsa_system_vgpr_workitem_id 0
		.amdhsa_next_free_vgpr 1
		.amdhsa_next_free_sgpr 0
		.amdhsa_accum_offset 4
		.amdhsa_reserve_vcc 0
		.amdhsa_reserve_flat_scratch 0
		.amdhsa_float_round_mode_32 0
		.amdhsa_float_round_mode_16_64 0
		.amdhsa_float_denorm_mode_32 3
		.amdhsa_float_denorm_mode_16_64 3
		.amdhsa_dx10_clamp 1
		.amdhsa_ieee_mode 1
		.amdhsa_fp16_overflow 0
		.amdhsa_tg_split 0
		.amdhsa_exception_fp_ieee_invalid_op 0
		.amdhsa_exception_fp_denorm_src 0
		.amdhsa_exception_fp_ieee_div_zero 0
		.amdhsa_exception_fp_ieee_overflow 0
		.amdhsa_exception_fp_ieee_underflow 0
		.amdhsa_exception_fp_ieee_inexact 0
		.amdhsa_exception_int_div_zero 0
	.end_amdhsa_kernel
	.section	.text._ZN7rocprim17ROCPRIM_400000_NS6detail17trampoline_kernelINS0_14default_configENS1_25partition_config_selectorILNS1_17partition_subalgoE2EsNS0_10empty_typeEbEEZZNS1_14partition_implILS5_2ELb0ES3_jN6thrust23THRUST_200600_302600_NS6detail15normal_iteratorINSA_7pointerIsNSA_11hip_rocprim3tagENSA_11use_defaultESG_EEEEPS6_NSA_18transform_iteratorI10is_orderedNSA_12zip_iteratorINSA_5tupleINSC_INSA_10device_ptrIsEEEESQ_NSA_9null_typeESR_SR_SR_SR_SR_SR_SR_EEEESG_SG_EENS0_5tupleIJPsSJ_EEENSV_IJSJ_SJ_EEES6_PlJS6_EEE10hipError_tPvRmT3_T4_T5_T6_T7_T9_mT8_P12ihipStream_tbDpT10_ENKUlT_T0_E_clISt17integral_constantIbLb0EES1I_IbLb1EEEEDaS1E_S1F_EUlS1E_E_NS1_11comp_targetILNS1_3genE10ELNS1_11target_archE1200ELNS1_3gpuE4ELNS1_3repE0EEENS1_30default_config_static_selectorELNS0_4arch9wavefront6targetE1EEEvT1_,"axG",@progbits,_ZN7rocprim17ROCPRIM_400000_NS6detail17trampoline_kernelINS0_14default_configENS1_25partition_config_selectorILNS1_17partition_subalgoE2EsNS0_10empty_typeEbEEZZNS1_14partition_implILS5_2ELb0ES3_jN6thrust23THRUST_200600_302600_NS6detail15normal_iteratorINSA_7pointerIsNSA_11hip_rocprim3tagENSA_11use_defaultESG_EEEEPS6_NSA_18transform_iteratorI10is_orderedNSA_12zip_iteratorINSA_5tupleINSC_INSA_10device_ptrIsEEEESQ_NSA_9null_typeESR_SR_SR_SR_SR_SR_SR_EEEESG_SG_EENS0_5tupleIJPsSJ_EEENSV_IJSJ_SJ_EEES6_PlJS6_EEE10hipError_tPvRmT3_T4_T5_T6_T7_T9_mT8_P12ihipStream_tbDpT10_ENKUlT_T0_E_clISt17integral_constantIbLb0EES1I_IbLb1EEEEDaS1E_S1F_EUlS1E_E_NS1_11comp_targetILNS1_3genE10ELNS1_11target_archE1200ELNS1_3gpuE4ELNS1_3repE0EEENS1_30default_config_static_selectorELNS0_4arch9wavefront6targetE1EEEvT1_,comdat
.Lfunc_end3655:
	.size	_ZN7rocprim17ROCPRIM_400000_NS6detail17trampoline_kernelINS0_14default_configENS1_25partition_config_selectorILNS1_17partition_subalgoE2EsNS0_10empty_typeEbEEZZNS1_14partition_implILS5_2ELb0ES3_jN6thrust23THRUST_200600_302600_NS6detail15normal_iteratorINSA_7pointerIsNSA_11hip_rocprim3tagENSA_11use_defaultESG_EEEEPS6_NSA_18transform_iteratorI10is_orderedNSA_12zip_iteratorINSA_5tupleINSC_INSA_10device_ptrIsEEEESQ_NSA_9null_typeESR_SR_SR_SR_SR_SR_SR_EEEESG_SG_EENS0_5tupleIJPsSJ_EEENSV_IJSJ_SJ_EEES6_PlJS6_EEE10hipError_tPvRmT3_T4_T5_T6_T7_T9_mT8_P12ihipStream_tbDpT10_ENKUlT_T0_E_clISt17integral_constantIbLb0EES1I_IbLb1EEEEDaS1E_S1F_EUlS1E_E_NS1_11comp_targetILNS1_3genE10ELNS1_11target_archE1200ELNS1_3gpuE4ELNS1_3repE0EEENS1_30default_config_static_selectorELNS0_4arch9wavefront6targetE1EEEvT1_, .Lfunc_end3655-_ZN7rocprim17ROCPRIM_400000_NS6detail17trampoline_kernelINS0_14default_configENS1_25partition_config_selectorILNS1_17partition_subalgoE2EsNS0_10empty_typeEbEEZZNS1_14partition_implILS5_2ELb0ES3_jN6thrust23THRUST_200600_302600_NS6detail15normal_iteratorINSA_7pointerIsNSA_11hip_rocprim3tagENSA_11use_defaultESG_EEEEPS6_NSA_18transform_iteratorI10is_orderedNSA_12zip_iteratorINSA_5tupleINSC_INSA_10device_ptrIsEEEESQ_NSA_9null_typeESR_SR_SR_SR_SR_SR_SR_EEEESG_SG_EENS0_5tupleIJPsSJ_EEENSV_IJSJ_SJ_EEES6_PlJS6_EEE10hipError_tPvRmT3_T4_T5_T6_T7_T9_mT8_P12ihipStream_tbDpT10_ENKUlT_T0_E_clISt17integral_constantIbLb0EES1I_IbLb1EEEEDaS1E_S1F_EUlS1E_E_NS1_11comp_targetILNS1_3genE10ELNS1_11target_archE1200ELNS1_3gpuE4ELNS1_3repE0EEENS1_30default_config_static_selectorELNS0_4arch9wavefront6targetE1EEEvT1_
                                        ; -- End function
	.section	.AMDGPU.csdata,"",@progbits
; Kernel info:
; codeLenInByte = 0
; NumSgprs: 4
; NumVgprs: 0
; NumAgprs: 0
; TotalNumVgprs: 0
; ScratchSize: 0
; MemoryBound: 0
; FloatMode: 240
; IeeeMode: 1
; LDSByteSize: 0 bytes/workgroup (compile time only)
; SGPRBlocks: 0
; VGPRBlocks: 0
; NumSGPRsForWavesPerEU: 4
; NumVGPRsForWavesPerEU: 1
; AccumOffset: 4
; Occupancy: 8
; WaveLimiterHint : 0
; COMPUTE_PGM_RSRC2:SCRATCH_EN: 0
; COMPUTE_PGM_RSRC2:USER_SGPR: 6
; COMPUTE_PGM_RSRC2:TRAP_HANDLER: 0
; COMPUTE_PGM_RSRC2:TGID_X_EN: 1
; COMPUTE_PGM_RSRC2:TGID_Y_EN: 0
; COMPUTE_PGM_RSRC2:TGID_Z_EN: 0
; COMPUTE_PGM_RSRC2:TIDIG_COMP_CNT: 0
; COMPUTE_PGM_RSRC3_GFX90A:ACCUM_OFFSET: 0
; COMPUTE_PGM_RSRC3_GFX90A:TG_SPLIT: 0
	.section	.text._ZN7rocprim17ROCPRIM_400000_NS6detail17trampoline_kernelINS0_14default_configENS1_25partition_config_selectorILNS1_17partition_subalgoE2EsNS0_10empty_typeEbEEZZNS1_14partition_implILS5_2ELb0ES3_jN6thrust23THRUST_200600_302600_NS6detail15normal_iteratorINSA_7pointerIsNSA_11hip_rocprim3tagENSA_11use_defaultESG_EEEEPS6_NSA_18transform_iteratorI10is_orderedNSA_12zip_iteratorINSA_5tupleINSC_INSA_10device_ptrIsEEEESQ_NSA_9null_typeESR_SR_SR_SR_SR_SR_SR_EEEESG_SG_EENS0_5tupleIJPsSJ_EEENSV_IJSJ_SJ_EEES6_PlJS6_EEE10hipError_tPvRmT3_T4_T5_T6_T7_T9_mT8_P12ihipStream_tbDpT10_ENKUlT_T0_E_clISt17integral_constantIbLb0EES1I_IbLb1EEEEDaS1E_S1F_EUlS1E_E_NS1_11comp_targetILNS1_3genE9ELNS1_11target_archE1100ELNS1_3gpuE3ELNS1_3repE0EEENS1_30default_config_static_selectorELNS0_4arch9wavefront6targetE1EEEvT1_,"axG",@progbits,_ZN7rocprim17ROCPRIM_400000_NS6detail17trampoline_kernelINS0_14default_configENS1_25partition_config_selectorILNS1_17partition_subalgoE2EsNS0_10empty_typeEbEEZZNS1_14partition_implILS5_2ELb0ES3_jN6thrust23THRUST_200600_302600_NS6detail15normal_iteratorINSA_7pointerIsNSA_11hip_rocprim3tagENSA_11use_defaultESG_EEEEPS6_NSA_18transform_iteratorI10is_orderedNSA_12zip_iteratorINSA_5tupleINSC_INSA_10device_ptrIsEEEESQ_NSA_9null_typeESR_SR_SR_SR_SR_SR_SR_EEEESG_SG_EENS0_5tupleIJPsSJ_EEENSV_IJSJ_SJ_EEES6_PlJS6_EEE10hipError_tPvRmT3_T4_T5_T6_T7_T9_mT8_P12ihipStream_tbDpT10_ENKUlT_T0_E_clISt17integral_constantIbLb0EES1I_IbLb1EEEEDaS1E_S1F_EUlS1E_E_NS1_11comp_targetILNS1_3genE9ELNS1_11target_archE1100ELNS1_3gpuE3ELNS1_3repE0EEENS1_30default_config_static_selectorELNS0_4arch9wavefront6targetE1EEEvT1_,comdat
	.protected	_ZN7rocprim17ROCPRIM_400000_NS6detail17trampoline_kernelINS0_14default_configENS1_25partition_config_selectorILNS1_17partition_subalgoE2EsNS0_10empty_typeEbEEZZNS1_14partition_implILS5_2ELb0ES3_jN6thrust23THRUST_200600_302600_NS6detail15normal_iteratorINSA_7pointerIsNSA_11hip_rocprim3tagENSA_11use_defaultESG_EEEEPS6_NSA_18transform_iteratorI10is_orderedNSA_12zip_iteratorINSA_5tupleINSC_INSA_10device_ptrIsEEEESQ_NSA_9null_typeESR_SR_SR_SR_SR_SR_SR_EEEESG_SG_EENS0_5tupleIJPsSJ_EEENSV_IJSJ_SJ_EEES6_PlJS6_EEE10hipError_tPvRmT3_T4_T5_T6_T7_T9_mT8_P12ihipStream_tbDpT10_ENKUlT_T0_E_clISt17integral_constantIbLb0EES1I_IbLb1EEEEDaS1E_S1F_EUlS1E_E_NS1_11comp_targetILNS1_3genE9ELNS1_11target_archE1100ELNS1_3gpuE3ELNS1_3repE0EEENS1_30default_config_static_selectorELNS0_4arch9wavefront6targetE1EEEvT1_ ; -- Begin function _ZN7rocprim17ROCPRIM_400000_NS6detail17trampoline_kernelINS0_14default_configENS1_25partition_config_selectorILNS1_17partition_subalgoE2EsNS0_10empty_typeEbEEZZNS1_14partition_implILS5_2ELb0ES3_jN6thrust23THRUST_200600_302600_NS6detail15normal_iteratorINSA_7pointerIsNSA_11hip_rocprim3tagENSA_11use_defaultESG_EEEEPS6_NSA_18transform_iteratorI10is_orderedNSA_12zip_iteratorINSA_5tupleINSC_INSA_10device_ptrIsEEEESQ_NSA_9null_typeESR_SR_SR_SR_SR_SR_SR_EEEESG_SG_EENS0_5tupleIJPsSJ_EEENSV_IJSJ_SJ_EEES6_PlJS6_EEE10hipError_tPvRmT3_T4_T5_T6_T7_T9_mT8_P12ihipStream_tbDpT10_ENKUlT_T0_E_clISt17integral_constantIbLb0EES1I_IbLb1EEEEDaS1E_S1F_EUlS1E_E_NS1_11comp_targetILNS1_3genE9ELNS1_11target_archE1100ELNS1_3gpuE3ELNS1_3repE0EEENS1_30default_config_static_selectorELNS0_4arch9wavefront6targetE1EEEvT1_
	.globl	_ZN7rocprim17ROCPRIM_400000_NS6detail17trampoline_kernelINS0_14default_configENS1_25partition_config_selectorILNS1_17partition_subalgoE2EsNS0_10empty_typeEbEEZZNS1_14partition_implILS5_2ELb0ES3_jN6thrust23THRUST_200600_302600_NS6detail15normal_iteratorINSA_7pointerIsNSA_11hip_rocprim3tagENSA_11use_defaultESG_EEEEPS6_NSA_18transform_iteratorI10is_orderedNSA_12zip_iteratorINSA_5tupleINSC_INSA_10device_ptrIsEEEESQ_NSA_9null_typeESR_SR_SR_SR_SR_SR_SR_EEEESG_SG_EENS0_5tupleIJPsSJ_EEENSV_IJSJ_SJ_EEES6_PlJS6_EEE10hipError_tPvRmT3_T4_T5_T6_T7_T9_mT8_P12ihipStream_tbDpT10_ENKUlT_T0_E_clISt17integral_constantIbLb0EES1I_IbLb1EEEEDaS1E_S1F_EUlS1E_E_NS1_11comp_targetILNS1_3genE9ELNS1_11target_archE1100ELNS1_3gpuE3ELNS1_3repE0EEENS1_30default_config_static_selectorELNS0_4arch9wavefront6targetE1EEEvT1_
	.p2align	8
	.type	_ZN7rocprim17ROCPRIM_400000_NS6detail17trampoline_kernelINS0_14default_configENS1_25partition_config_selectorILNS1_17partition_subalgoE2EsNS0_10empty_typeEbEEZZNS1_14partition_implILS5_2ELb0ES3_jN6thrust23THRUST_200600_302600_NS6detail15normal_iteratorINSA_7pointerIsNSA_11hip_rocprim3tagENSA_11use_defaultESG_EEEEPS6_NSA_18transform_iteratorI10is_orderedNSA_12zip_iteratorINSA_5tupleINSC_INSA_10device_ptrIsEEEESQ_NSA_9null_typeESR_SR_SR_SR_SR_SR_SR_EEEESG_SG_EENS0_5tupleIJPsSJ_EEENSV_IJSJ_SJ_EEES6_PlJS6_EEE10hipError_tPvRmT3_T4_T5_T6_T7_T9_mT8_P12ihipStream_tbDpT10_ENKUlT_T0_E_clISt17integral_constantIbLb0EES1I_IbLb1EEEEDaS1E_S1F_EUlS1E_E_NS1_11comp_targetILNS1_3genE9ELNS1_11target_archE1100ELNS1_3gpuE3ELNS1_3repE0EEENS1_30default_config_static_selectorELNS0_4arch9wavefront6targetE1EEEvT1_,@function
_ZN7rocprim17ROCPRIM_400000_NS6detail17trampoline_kernelINS0_14default_configENS1_25partition_config_selectorILNS1_17partition_subalgoE2EsNS0_10empty_typeEbEEZZNS1_14partition_implILS5_2ELb0ES3_jN6thrust23THRUST_200600_302600_NS6detail15normal_iteratorINSA_7pointerIsNSA_11hip_rocprim3tagENSA_11use_defaultESG_EEEEPS6_NSA_18transform_iteratorI10is_orderedNSA_12zip_iteratorINSA_5tupleINSC_INSA_10device_ptrIsEEEESQ_NSA_9null_typeESR_SR_SR_SR_SR_SR_SR_EEEESG_SG_EENS0_5tupleIJPsSJ_EEENSV_IJSJ_SJ_EEES6_PlJS6_EEE10hipError_tPvRmT3_T4_T5_T6_T7_T9_mT8_P12ihipStream_tbDpT10_ENKUlT_T0_E_clISt17integral_constantIbLb0EES1I_IbLb1EEEEDaS1E_S1F_EUlS1E_E_NS1_11comp_targetILNS1_3genE9ELNS1_11target_archE1100ELNS1_3gpuE3ELNS1_3repE0EEENS1_30default_config_static_selectorELNS0_4arch9wavefront6targetE1EEEvT1_: ; @_ZN7rocprim17ROCPRIM_400000_NS6detail17trampoline_kernelINS0_14default_configENS1_25partition_config_selectorILNS1_17partition_subalgoE2EsNS0_10empty_typeEbEEZZNS1_14partition_implILS5_2ELb0ES3_jN6thrust23THRUST_200600_302600_NS6detail15normal_iteratorINSA_7pointerIsNSA_11hip_rocprim3tagENSA_11use_defaultESG_EEEEPS6_NSA_18transform_iteratorI10is_orderedNSA_12zip_iteratorINSA_5tupleINSC_INSA_10device_ptrIsEEEESQ_NSA_9null_typeESR_SR_SR_SR_SR_SR_SR_EEEESG_SG_EENS0_5tupleIJPsSJ_EEENSV_IJSJ_SJ_EEES6_PlJS6_EEE10hipError_tPvRmT3_T4_T5_T6_T7_T9_mT8_P12ihipStream_tbDpT10_ENKUlT_T0_E_clISt17integral_constantIbLb0EES1I_IbLb1EEEEDaS1E_S1F_EUlS1E_E_NS1_11comp_targetILNS1_3genE9ELNS1_11target_archE1100ELNS1_3gpuE3ELNS1_3repE0EEENS1_30default_config_static_selectorELNS0_4arch9wavefront6targetE1EEEvT1_
; %bb.0:
	.section	.rodata,"a",@progbits
	.p2align	6, 0x0
	.amdhsa_kernel _ZN7rocprim17ROCPRIM_400000_NS6detail17trampoline_kernelINS0_14default_configENS1_25partition_config_selectorILNS1_17partition_subalgoE2EsNS0_10empty_typeEbEEZZNS1_14partition_implILS5_2ELb0ES3_jN6thrust23THRUST_200600_302600_NS6detail15normal_iteratorINSA_7pointerIsNSA_11hip_rocprim3tagENSA_11use_defaultESG_EEEEPS6_NSA_18transform_iteratorI10is_orderedNSA_12zip_iteratorINSA_5tupleINSC_INSA_10device_ptrIsEEEESQ_NSA_9null_typeESR_SR_SR_SR_SR_SR_SR_EEEESG_SG_EENS0_5tupleIJPsSJ_EEENSV_IJSJ_SJ_EEES6_PlJS6_EEE10hipError_tPvRmT3_T4_T5_T6_T7_T9_mT8_P12ihipStream_tbDpT10_ENKUlT_T0_E_clISt17integral_constantIbLb0EES1I_IbLb1EEEEDaS1E_S1F_EUlS1E_E_NS1_11comp_targetILNS1_3genE9ELNS1_11target_archE1100ELNS1_3gpuE3ELNS1_3repE0EEENS1_30default_config_static_selectorELNS0_4arch9wavefront6targetE1EEEvT1_
		.amdhsa_group_segment_fixed_size 0
		.amdhsa_private_segment_fixed_size 0
		.amdhsa_kernarg_size 152
		.amdhsa_user_sgpr_count 6
		.amdhsa_user_sgpr_private_segment_buffer 1
		.amdhsa_user_sgpr_dispatch_ptr 0
		.amdhsa_user_sgpr_queue_ptr 0
		.amdhsa_user_sgpr_kernarg_segment_ptr 1
		.amdhsa_user_sgpr_dispatch_id 0
		.amdhsa_user_sgpr_flat_scratch_init 0
		.amdhsa_user_sgpr_kernarg_preload_length 0
		.amdhsa_user_sgpr_kernarg_preload_offset 0
		.amdhsa_user_sgpr_private_segment_size 0
		.amdhsa_uses_dynamic_stack 0
		.amdhsa_system_sgpr_private_segment_wavefront_offset 0
		.amdhsa_system_sgpr_workgroup_id_x 1
		.amdhsa_system_sgpr_workgroup_id_y 0
		.amdhsa_system_sgpr_workgroup_id_z 0
		.amdhsa_system_sgpr_workgroup_info 0
		.amdhsa_system_vgpr_workitem_id 0
		.amdhsa_next_free_vgpr 1
		.amdhsa_next_free_sgpr 0
		.amdhsa_accum_offset 4
		.amdhsa_reserve_vcc 0
		.amdhsa_reserve_flat_scratch 0
		.amdhsa_float_round_mode_32 0
		.amdhsa_float_round_mode_16_64 0
		.amdhsa_float_denorm_mode_32 3
		.amdhsa_float_denorm_mode_16_64 3
		.amdhsa_dx10_clamp 1
		.amdhsa_ieee_mode 1
		.amdhsa_fp16_overflow 0
		.amdhsa_tg_split 0
		.amdhsa_exception_fp_ieee_invalid_op 0
		.amdhsa_exception_fp_denorm_src 0
		.amdhsa_exception_fp_ieee_div_zero 0
		.amdhsa_exception_fp_ieee_overflow 0
		.amdhsa_exception_fp_ieee_underflow 0
		.amdhsa_exception_fp_ieee_inexact 0
		.amdhsa_exception_int_div_zero 0
	.end_amdhsa_kernel
	.section	.text._ZN7rocprim17ROCPRIM_400000_NS6detail17trampoline_kernelINS0_14default_configENS1_25partition_config_selectorILNS1_17partition_subalgoE2EsNS0_10empty_typeEbEEZZNS1_14partition_implILS5_2ELb0ES3_jN6thrust23THRUST_200600_302600_NS6detail15normal_iteratorINSA_7pointerIsNSA_11hip_rocprim3tagENSA_11use_defaultESG_EEEEPS6_NSA_18transform_iteratorI10is_orderedNSA_12zip_iteratorINSA_5tupleINSC_INSA_10device_ptrIsEEEESQ_NSA_9null_typeESR_SR_SR_SR_SR_SR_SR_EEEESG_SG_EENS0_5tupleIJPsSJ_EEENSV_IJSJ_SJ_EEES6_PlJS6_EEE10hipError_tPvRmT3_T4_T5_T6_T7_T9_mT8_P12ihipStream_tbDpT10_ENKUlT_T0_E_clISt17integral_constantIbLb0EES1I_IbLb1EEEEDaS1E_S1F_EUlS1E_E_NS1_11comp_targetILNS1_3genE9ELNS1_11target_archE1100ELNS1_3gpuE3ELNS1_3repE0EEENS1_30default_config_static_selectorELNS0_4arch9wavefront6targetE1EEEvT1_,"axG",@progbits,_ZN7rocprim17ROCPRIM_400000_NS6detail17trampoline_kernelINS0_14default_configENS1_25partition_config_selectorILNS1_17partition_subalgoE2EsNS0_10empty_typeEbEEZZNS1_14partition_implILS5_2ELb0ES3_jN6thrust23THRUST_200600_302600_NS6detail15normal_iteratorINSA_7pointerIsNSA_11hip_rocprim3tagENSA_11use_defaultESG_EEEEPS6_NSA_18transform_iteratorI10is_orderedNSA_12zip_iteratorINSA_5tupleINSC_INSA_10device_ptrIsEEEESQ_NSA_9null_typeESR_SR_SR_SR_SR_SR_SR_EEEESG_SG_EENS0_5tupleIJPsSJ_EEENSV_IJSJ_SJ_EEES6_PlJS6_EEE10hipError_tPvRmT3_T4_T5_T6_T7_T9_mT8_P12ihipStream_tbDpT10_ENKUlT_T0_E_clISt17integral_constantIbLb0EES1I_IbLb1EEEEDaS1E_S1F_EUlS1E_E_NS1_11comp_targetILNS1_3genE9ELNS1_11target_archE1100ELNS1_3gpuE3ELNS1_3repE0EEENS1_30default_config_static_selectorELNS0_4arch9wavefront6targetE1EEEvT1_,comdat
.Lfunc_end3656:
	.size	_ZN7rocprim17ROCPRIM_400000_NS6detail17trampoline_kernelINS0_14default_configENS1_25partition_config_selectorILNS1_17partition_subalgoE2EsNS0_10empty_typeEbEEZZNS1_14partition_implILS5_2ELb0ES3_jN6thrust23THRUST_200600_302600_NS6detail15normal_iteratorINSA_7pointerIsNSA_11hip_rocprim3tagENSA_11use_defaultESG_EEEEPS6_NSA_18transform_iteratorI10is_orderedNSA_12zip_iteratorINSA_5tupleINSC_INSA_10device_ptrIsEEEESQ_NSA_9null_typeESR_SR_SR_SR_SR_SR_SR_EEEESG_SG_EENS0_5tupleIJPsSJ_EEENSV_IJSJ_SJ_EEES6_PlJS6_EEE10hipError_tPvRmT3_T4_T5_T6_T7_T9_mT8_P12ihipStream_tbDpT10_ENKUlT_T0_E_clISt17integral_constantIbLb0EES1I_IbLb1EEEEDaS1E_S1F_EUlS1E_E_NS1_11comp_targetILNS1_3genE9ELNS1_11target_archE1100ELNS1_3gpuE3ELNS1_3repE0EEENS1_30default_config_static_selectorELNS0_4arch9wavefront6targetE1EEEvT1_, .Lfunc_end3656-_ZN7rocprim17ROCPRIM_400000_NS6detail17trampoline_kernelINS0_14default_configENS1_25partition_config_selectorILNS1_17partition_subalgoE2EsNS0_10empty_typeEbEEZZNS1_14partition_implILS5_2ELb0ES3_jN6thrust23THRUST_200600_302600_NS6detail15normal_iteratorINSA_7pointerIsNSA_11hip_rocprim3tagENSA_11use_defaultESG_EEEEPS6_NSA_18transform_iteratorI10is_orderedNSA_12zip_iteratorINSA_5tupleINSC_INSA_10device_ptrIsEEEESQ_NSA_9null_typeESR_SR_SR_SR_SR_SR_SR_EEEESG_SG_EENS0_5tupleIJPsSJ_EEENSV_IJSJ_SJ_EEES6_PlJS6_EEE10hipError_tPvRmT3_T4_T5_T6_T7_T9_mT8_P12ihipStream_tbDpT10_ENKUlT_T0_E_clISt17integral_constantIbLb0EES1I_IbLb1EEEEDaS1E_S1F_EUlS1E_E_NS1_11comp_targetILNS1_3genE9ELNS1_11target_archE1100ELNS1_3gpuE3ELNS1_3repE0EEENS1_30default_config_static_selectorELNS0_4arch9wavefront6targetE1EEEvT1_
                                        ; -- End function
	.section	.AMDGPU.csdata,"",@progbits
; Kernel info:
; codeLenInByte = 0
; NumSgprs: 4
; NumVgprs: 0
; NumAgprs: 0
; TotalNumVgprs: 0
; ScratchSize: 0
; MemoryBound: 0
; FloatMode: 240
; IeeeMode: 1
; LDSByteSize: 0 bytes/workgroup (compile time only)
; SGPRBlocks: 0
; VGPRBlocks: 0
; NumSGPRsForWavesPerEU: 4
; NumVGPRsForWavesPerEU: 1
; AccumOffset: 4
; Occupancy: 8
; WaveLimiterHint : 0
; COMPUTE_PGM_RSRC2:SCRATCH_EN: 0
; COMPUTE_PGM_RSRC2:USER_SGPR: 6
; COMPUTE_PGM_RSRC2:TRAP_HANDLER: 0
; COMPUTE_PGM_RSRC2:TGID_X_EN: 1
; COMPUTE_PGM_RSRC2:TGID_Y_EN: 0
; COMPUTE_PGM_RSRC2:TGID_Z_EN: 0
; COMPUTE_PGM_RSRC2:TIDIG_COMP_CNT: 0
; COMPUTE_PGM_RSRC3_GFX90A:ACCUM_OFFSET: 0
; COMPUTE_PGM_RSRC3_GFX90A:TG_SPLIT: 0
	.section	.text._ZN7rocprim17ROCPRIM_400000_NS6detail17trampoline_kernelINS0_14default_configENS1_25partition_config_selectorILNS1_17partition_subalgoE2EsNS0_10empty_typeEbEEZZNS1_14partition_implILS5_2ELb0ES3_jN6thrust23THRUST_200600_302600_NS6detail15normal_iteratorINSA_7pointerIsNSA_11hip_rocprim3tagENSA_11use_defaultESG_EEEEPS6_NSA_18transform_iteratorI10is_orderedNSA_12zip_iteratorINSA_5tupleINSC_INSA_10device_ptrIsEEEESQ_NSA_9null_typeESR_SR_SR_SR_SR_SR_SR_EEEESG_SG_EENS0_5tupleIJPsSJ_EEENSV_IJSJ_SJ_EEES6_PlJS6_EEE10hipError_tPvRmT3_T4_T5_T6_T7_T9_mT8_P12ihipStream_tbDpT10_ENKUlT_T0_E_clISt17integral_constantIbLb0EES1I_IbLb1EEEEDaS1E_S1F_EUlS1E_E_NS1_11comp_targetILNS1_3genE8ELNS1_11target_archE1030ELNS1_3gpuE2ELNS1_3repE0EEENS1_30default_config_static_selectorELNS0_4arch9wavefront6targetE1EEEvT1_,"axG",@progbits,_ZN7rocprim17ROCPRIM_400000_NS6detail17trampoline_kernelINS0_14default_configENS1_25partition_config_selectorILNS1_17partition_subalgoE2EsNS0_10empty_typeEbEEZZNS1_14partition_implILS5_2ELb0ES3_jN6thrust23THRUST_200600_302600_NS6detail15normal_iteratorINSA_7pointerIsNSA_11hip_rocprim3tagENSA_11use_defaultESG_EEEEPS6_NSA_18transform_iteratorI10is_orderedNSA_12zip_iteratorINSA_5tupleINSC_INSA_10device_ptrIsEEEESQ_NSA_9null_typeESR_SR_SR_SR_SR_SR_SR_EEEESG_SG_EENS0_5tupleIJPsSJ_EEENSV_IJSJ_SJ_EEES6_PlJS6_EEE10hipError_tPvRmT3_T4_T5_T6_T7_T9_mT8_P12ihipStream_tbDpT10_ENKUlT_T0_E_clISt17integral_constantIbLb0EES1I_IbLb1EEEEDaS1E_S1F_EUlS1E_E_NS1_11comp_targetILNS1_3genE8ELNS1_11target_archE1030ELNS1_3gpuE2ELNS1_3repE0EEENS1_30default_config_static_selectorELNS0_4arch9wavefront6targetE1EEEvT1_,comdat
	.protected	_ZN7rocprim17ROCPRIM_400000_NS6detail17trampoline_kernelINS0_14default_configENS1_25partition_config_selectorILNS1_17partition_subalgoE2EsNS0_10empty_typeEbEEZZNS1_14partition_implILS5_2ELb0ES3_jN6thrust23THRUST_200600_302600_NS6detail15normal_iteratorINSA_7pointerIsNSA_11hip_rocprim3tagENSA_11use_defaultESG_EEEEPS6_NSA_18transform_iteratorI10is_orderedNSA_12zip_iteratorINSA_5tupleINSC_INSA_10device_ptrIsEEEESQ_NSA_9null_typeESR_SR_SR_SR_SR_SR_SR_EEEESG_SG_EENS0_5tupleIJPsSJ_EEENSV_IJSJ_SJ_EEES6_PlJS6_EEE10hipError_tPvRmT3_T4_T5_T6_T7_T9_mT8_P12ihipStream_tbDpT10_ENKUlT_T0_E_clISt17integral_constantIbLb0EES1I_IbLb1EEEEDaS1E_S1F_EUlS1E_E_NS1_11comp_targetILNS1_3genE8ELNS1_11target_archE1030ELNS1_3gpuE2ELNS1_3repE0EEENS1_30default_config_static_selectorELNS0_4arch9wavefront6targetE1EEEvT1_ ; -- Begin function _ZN7rocprim17ROCPRIM_400000_NS6detail17trampoline_kernelINS0_14default_configENS1_25partition_config_selectorILNS1_17partition_subalgoE2EsNS0_10empty_typeEbEEZZNS1_14partition_implILS5_2ELb0ES3_jN6thrust23THRUST_200600_302600_NS6detail15normal_iteratorINSA_7pointerIsNSA_11hip_rocprim3tagENSA_11use_defaultESG_EEEEPS6_NSA_18transform_iteratorI10is_orderedNSA_12zip_iteratorINSA_5tupleINSC_INSA_10device_ptrIsEEEESQ_NSA_9null_typeESR_SR_SR_SR_SR_SR_SR_EEEESG_SG_EENS0_5tupleIJPsSJ_EEENSV_IJSJ_SJ_EEES6_PlJS6_EEE10hipError_tPvRmT3_T4_T5_T6_T7_T9_mT8_P12ihipStream_tbDpT10_ENKUlT_T0_E_clISt17integral_constantIbLb0EES1I_IbLb1EEEEDaS1E_S1F_EUlS1E_E_NS1_11comp_targetILNS1_3genE8ELNS1_11target_archE1030ELNS1_3gpuE2ELNS1_3repE0EEENS1_30default_config_static_selectorELNS0_4arch9wavefront6targetE1EEEvT1_
	.globl	_ZN7rocprim17ROCPRIM_400000_NS6detail17trampoline_kernelINS0_14default_configENS1_25partition_config_selectorILNS1_17partition_subalgoE2EsNS0_10empty_typeEbEEZZNS1_14partition_implILS5_2ELb0ES3_jN6thrust23THRUST_200600_302600_NS6detail15normal_iteratorINSA_7pointerIsNSA_11hip_rocprim3tagENSA_11use_defaultESG_EEEEPS6_NSA_18transform_iteratorI10is_orderedNSA_12zip_iteratorINSA_5tupleINSC_INSA_10device_ptrIsEEEESQ_NSA_9null_typeESR_SR_SR_SR_SR_SR_SR_EEEESG_SG_EENS0_5tupleIJPsSJ_EEENSV_IJSJ_SJ_EEES6_PlJS6_EEE10hipError_tPvRmT3_T4_T5_T6_T7_T9_mT8_P12ihipStream_tbDpT10_ENKUlT_T0_E_clISt17integral_constantIbLb0EES1I_IbLb1EEEEDaS1E_S1F_EUlS1E_E_NS1_11comp_targetILNS1_3genE8ELNS1_11target_archE1030ELNS1_3gpuE2ELNS1_3repE0EEENS1_30default_config_static_selectorELNS0_4arch9wavefront6targetE1EEEvT1_
	.p2align	8
	.type	_ZN7rocprim17ROCPRIM_400000_NS6detail17trampoline_kernelINS0_14default_configENS1_25partition_config_selectorILNS1_17partition_subalgoE2EsNS0_10empty_typeEbEEZZNS1_14partition_implILS5_2ELb0ES3_jN6thrust23THRUST_200600_302600_NS6detail15normal_iteratorINSA_7pointerIsNSA_11hip_rocprim3tagENSA_11use_defaultESG_EEEEPS6_NSA_18transform_iteratorI10is_orderedNSA_12zip_iteratorINSA_5tupleINSC_INSA_10device_ptrIsEEEESQ_NSA_9null_typeESR_SR_SR_SR_SR_SR_SR_EEEESG_SG_EENS0_5tupleIJPsSJ_EEENSV_IJSJ_SJ_EEES6_PlJS6_EEE10hipError_tPvRmT3_T4_T5_T6_T7_T9_mT8_P12ihipStream_tbDpT10_ENKUlT_T0_E_clISt17integral_constantIbLb0EES1I_IbLb1EEEEDaS1E_S1F_EUlS1E_E_NS1_11comp_targetILNS1_3genE8ELNS1_11target_archE1030ELNS1_3gpuE2ELNS1_3repE0EEENS1_30default_config_static_selectorELNS0_4arch9wavefront6targetE1EEEvT1_,@function
_ZN7rocprim17ROCPRIM_400000_NS6detail17trampoline_kernelINS0_14default_configENS1_25partition_config_selectorILNS1_17partition_subalgoE2EsNS0_10empty_typeEbEEZZNS1_14partition_implILS5_2ELb0ES3_jN6thrust23THRUST_200600_302600_NS6detail15normal_iteratorINSA_7pointerIsNSA_11hip_rocprim3tagENSA_11use_defaultESG_EEEEPS6_NSA_18transform_iteratorI10is_orderedNSA_12zip_iteratorINSA_5tupleINSC_INSA_10device_ptrIsEEEESQ_NSA_9null_typeESR_SR_SR_SR_SR_SR_SR_EEEESG_SG_EENS0_5tupleIJPsSJ_EEENSV_IJSJ_SJ_EEES6_PlJS6_EEE10hipError_tPvRmT3_T4_T5_T6_T7_T9_mT8_P12ihipStream_tbDpT10_ENKUlT_T0_E_clISt17integral_constantIbLb0EES1I_IbLb1EEEEDaS1E_S1F_EUlS1E_E_NS1_11comp_targetILNS1_3genE8ELNS1_11target_archE1030ELNS1_3gpuE2ELNS1_3repE0EEENS1_30default_config_static_selectorELNS0_4arch9wavefront6targetE1EEEvT1_: ; @_ZN7rocprim17ROCPRIM_400000_NS6detail17trampoline_kernelINS0_14default_configENS1_25partition_config_selectorILNS1_17partition_subalgoE2EsNS0_10empty_typeEbEEZZNS1_14partition_implILS5_2ELb0ES3_jN6thrust23THRUST_200600_302600_NS6detail15normal_iteratorINSA_7pointerIsNSA_11hip_rocprim3tagENSA_11use_defaultESG_EEEEPS6_NSA_18transform_iteratorI10is_orderedNSA_12zip_iteratorINSA_5tupleINSC_INSA_10device_ptrIsEEEESQ_NSA_9null_typeESR_SR_SR_SR_SR_SR_SR_EEEESG_SG_EENS0_5tupleIJPsSJ_EEENSV_IJSJ_SJ_EEES6_PlJS6_EEE10hipError_tPvRmT3_T4_T5_T6_T7_T9_mT8_P12ihipStream_tbDpT10_ENKUlT_T0_E_clISt17integral_constantIbLb0EES1I_IbLb1EEEEDaS1E_S1F_EUlS1E_E_NS1_11comp_targetILNS1_3genE8ELNS1_11target_archE1030ELNS1_3gpuE2ELNS1_3repE0EEENS1_30default_config_static_selectorELNS0_4arch9wavefront6targetE1EEEvT1_
; %bb.0:
	.section	.rodata,"a",@progbits
	.p2align	6, 0x0
	.amdhsa_kernel _ZN7rocprim17ROCPRIM_400000_NS6detail17trampoline_kernelINS0_14default_configENS1_25partition_config_selectorILNS1_17partition_subalgoE2EsNS0_10empty_typeEbEEZZNS1_14partition_implILS5_2ELb0ES3_jN6thrust23THRUST_200600_302600_NS6detail15normal_iteratorINSA_7pointerIsNSA_11hip_rocprim3tagENSA_11use_defaultESG_EEEEPS6_NSA_18transform_iteratorI10is_orderedNSA_12zip_iteratorINSA_5tupleINSC_INSA_10device_ptrIsEEEESQ_NSA_9null_typeESR_SR_SR_SR_SR_SR_SR_EEEESG_SG_EENS0_5tupleIJPsSJ_EEENSV_IJSJ_SJ_EEES6_PlJS6_EEE10hipError_tPvRmT3_T4_T5_T6_T7_T9_mT8_P12ihipStream_tbDpT10_ENKUlT_T0_E_clISt17integral_constantIbLb0EES1I_IbLb1EEEEDaS1E_S1F_EUlS1E_E_NS1_11comp_targetILNS1_3genE8ELNS1_11target_archE1030ELNS1_3gpuE2ELNS1_3repE0EEENS1_30default_config_static_selectorELNS0_4arch9wavefront6targetE1EEEvT1_
		.amdhsa_group_segment_fixed_size 0
		.amdhsa_private_segment_fixed_size 0
		.amdhsa_kernarg_size 152
		.amdhsa_user_sgpr_count 6
		.amdhsa_user_sgpr_private_segment_buffer 1
		.amdhsa_user_sgpr_dispatch_ptr 0
		.amdhsa_user_sgpr_queue_ptr 0
		.amdhsa_user_sgpr_kernarg_segment_ptr 1
		.amdhsa_user_sgpr_dispatch_id 0
		.amdhsa_user_sgpr_flat_scratch_init 0
		.amdhsa_user_sgpr_kernarg_preload_length 0
		.amdhsa_user_sgpr_kernarg_preload_offset 0
		.amdhsa_user_sgpr_private_segment_size 0
		.amdhsa_uses_dynamic_stack 0
		.amdhsa_system_sgpr_private_segment_wavefront_offset 0
		.amdhsa_system_sgpr_workgroup_id_x 1
		.amdhsa_system_sgpr_workgroup_id_y 0
		.amdhsa_system_sgpr_workgroup_id_z 0
		.amdhsa_system_sgpr_workgroup_info 0
		.amdhsa_system_vgpr_workitem_id 0
		.amdhsa_next_free_vgpr 1
		.amdhsa_next_free_sgpr 0
		.amdhsa_accum_offset 4
		.amdhsa_reserve_vcc 0
		.amdhsa_reserve_flat_scratch 0
		.amdhsa_float_round_mode_32 0
		.amdhsa_float_round_mode_16_64 0
		.amdhsa_float_denorm_mode_32 3
		.amdhsa_float_denorm_mode_16_64 3
		.amdhsa_dx10_clamp 1
		.amdhsa_ieee_mode 1
		.amdhsa_fp16_overflow 0
		.amdhsa_tg_split 0
		.amdhsa_exception_fp_ieee_invalid_op 0
		.amdhsa_exception_fp_denorm_src 0
		.amdhsa_exception_fp_ieee_div_zero 0
		.amdhsa_exception_fp_ieee_overflow 0
		.amdhsa_exception_fp_ieee_underflow 0
		.amdhsa_exception_fp_ieee_inexact 0
		.amdhsa_exception_int_div_zero 0
	.end_amdhsa_kernel
	.section	.text._ZN7rocprim17ROCPRIM_400000_NS6detail17trampoline_kernelINS0_14default_configENS1_25partition_config_selectorILNS1_17partition_subalgoE2EsNS0_10empty_typeEbEEZZNS1_14partition_implILS5_2ELb0ES3_jN6thrust23THRUST_200600_302600_NS6detail15normal_iteratorINSA_7pointerIsNSA_11hip_rocprim3tagENSA_11use_defaultESG_EEEEPS6_NSA_18transform_iteratorI10is_orderedNSA_12zip_iteratorINSA_5tupleINSC_INSA_10device_ptrIsEEEESQ_NSA_9null_typeESR_SR_SR_SR_SR_SR_SR_EEEESG_SG_EENS0_5tupleIJPsSJ_EEENSV_IJSJ_SJ_EEES6_PlJS6_EEE10hipError_tPvRmT3_T4_T5_T6_T7_T9_mT8_P12ihipStream_tbDpT10_ENKUlT_T0_E_clISt17integral_constantIbLb0EES1I_IbLb1EEEEDaS1E_S1F_EUlS1E_E_NS1_11comp_targetILNS1_3genE8ELNS1_11target_archE1030ELNS1_3gpuE2ELNS1_3repE0EEENS1_30default_config_static_selectorELNS0_4arch9wavefront6targetE1EEEvT1_,"axG",@progbits,_ZN7rocprim17ROCPRIM_400000_NS6detail17trampoline_kernelINS0_14default_configENS1_25partition_config_selectorILNS1_17partition_subalgoE2EsNS0_10empty_typeEbEEZZNS1_14partition_implILS5_2ELb0ES3_jN6thrust23THRUST_200600_302600_NS6detail15normal_iteratorINSA_7pointerIsNSA_11hip_rocprim3tagENSA_11use_defaultESG_EEEEPS6_NSA_18transform_iteratorI10is_orderedNSA_12zip_iteratorINSA_5tupleINSC_INSA_10device_ptrIsEEEESQ_NSA_9null_typeESR_SR_SR_SR_SR_SR_SR_EEEESG_SG_EENS0_5tupleIJPsSJ_EEENSV_IJSJ_SJ_EEES6_PlJS6_EEE10hipError_tPvRmT3_T4_T5_T6_T7_T9_mT8_P12ihipStream_tbDpT10_ENKUlT_T0_E_clISt17integral_constantIbLb0EES1I_IbLb1EEEEDaS1E_S1F_EUlS1E_E_NS1_11comp_targetILNS1_3genE8ELNS1_11target_archE1030ELNS1_3gpuE2ELNS1_3repE0EEENS1_30default_config_static_selectorELNS0_4arch9wavefront6targetE1EEEvT1_,comdat
.Lfunc_end3657:
	.size	_ZN7rocprim17ROCPRIM_400000_NS6detail17trampoline_kernelINS0_14default_configENS1_25partition_config_selectorILNS1_17partition_subalgoE2EsNS0_10empty_typeEbEEZZNS1_14partition_implILS5_2ELb0ES3_jN6thrust23THRUST_200600_302600_NS6detail15normal_iteratorINSA_7pointerIsNSA_11hip_rocprim3tagENSA_11use_defaultESG_EEEEPS6_NSA_18transform_iteratorI10is_orderedNSA_12zip_iteratorINSA_5tupleINSC_INSA_10device_ptrIsEEEESQ_NSA_9null_typeESR_SR_SR_SR_SR_SR_SR_EEEESG_SG_EENS0_5tupleIJPsSJ_EEENSV_IJSJ_SJ_EEES6_PlJS6_EEE10hipError_tPvRmT3_T4_T5_T6_T7_T9_mT8_P12ihipStream_tbDpT10_ENKUlT_T0_E_clISt17integral_constantIbLb0EES1I_IbLb1EEEEDaS1E_S1F_EUlS1E_E_NS1_11comp_targetILNS1_3genE8ELNS1_11target_archE1030ELNS1_3gpuE2ELNS1_3repE0EEENS1_30default_config_static_selectorELNS0_4arch9wavefront6targetE1EEEvT1_, .Lfunc_end3657-_ZN7rocprim17ROCPRIM_400000_NS6detail17trampoline_kernelINS0_14default_configENS1_25partition_config_selectorILNS1_17partition_subalgoE2EsNS0_10empty_typeEbEEZZNS1_14partition_implILS5_2ELb0ES3_jN6thrust23THRUST_200600_302600_NS6detail15normal_iteratorINSA_7pointerIsNSA_11hip_rocprim3tagENSA_11use_defaultESG_EEEEPS6_NSA_18transform_iteratorI10is_orderedNSA_12zip_iteratorINSA_5tupleINSC_INSA_10device_ptrIsEEEESQ_NSA_9null_typeESR_SR_SR_SR_SR_SR_SR_EEEESG_SG_EENS0_5tupleIJPsSJ_EEENSV_IJSJ_SJ_EEES6_PlJS6_EEE10hipError_tPvRmT3_T4_T5_T6_T7_T9_mT8_P12ihipStream_tbDpT10_ENKUlT_T0_E_clISt17integral_constantIbLb0EES1I_IbLb1EEEEDaS1E_S1F_EUlS1E_E_NS1_11comp_targetILNS1_3genE8ELNS1_11target_archE1030ELNS1_3gpuE2ELNS1_3repE0EEENS1_30default_config_static_selectorELNS0_4arch9wavefront6targetE1EEEvT1_
                                        ; -- End function
	.section	.AMDGPU.csdata,"",@progbits
; Kernel info:
; codeLenInByte = 0
; NumSgprs: 4
; NumVgprs: 0
; NumAgprs: 0
; TotalNumVgprs: 0
; ScratchSize: 0
; MemoryBound: 0
; FloatMode: 240
; IeeeMode: 1
; LDSByteSize: 0 bytes/workgroup (compile time only)
; SGPRBlocks: 0
; VGPRBlocks: 0
; NumSGPRsForWavesPerEU: 4
; NumVGPRsForWavesPerEU: 1
; AccumOffset: 4
; Occupancy: 8
; WaveLimiterHint : 0
; COMPUTE_PGM_RSRC2:SCRATCH_EN: 0
; COMPUTE_PGM_RSRC2:USER_SGPR: 6
; COMPUTE_PGM_RSRC2:TRAP_HANDLER: 0
; COMPUTE_PGM_RSRC2:TGID_X_EN: 1
; COMPUTE_PGM_RSRC2:TGID_Y_EN: 0
; COMPUTE_PGM_RSRC2:TGID_Z_EN: 0
; COMPUTE_PGM_RSRC2:TIDIG_COMP_CNT: 0
; COMPUTE_PGM_RSRC3_GFX90A:ACCUM_OFFSET: 0
; COMPUTE_PGM_RSRC3_GFX90A:TG_SPLIT: 0
	.section	.text._ZN6thrust23THRUST_200600_302600_NS11hip_rocprim14__parallel_for6kernelILj256ENS1_13__swap_ranges6swap_fINS0_12zip_iteratorINS0_5tupleINS0_6detail15normal_iteratorINS0_10device_ptrIxEEEESC_NS0_9null_typeESD_SD_SD_SD_SD_SD_SD_EEEENS0_16reverse_iteratorISF_EEEElLj1EEEvT0_T1_SK_,"axG",@progbits,_ZN6thrust23THRUST_200600_302600_NS11hip_rocprim14__parallel_for6kernelILj256ENS1_13__swap_ranges6swap_fINS0_12zip_iteratorINS0_5tupleINS0_6detail15normal_iteratorINS0_10device_ptrIxEEEESC_NS0_9null_typeESD_SD_SD_SD_SD_SD_SD_EEEENS0_16reverse_iteratorISF_EEEElLj1EEEvT0_T1_SK_,comdat
	.protected	_ZN6thrust23THRUST_200600_302600_NS11hip_rocprim14__parallel_for6kernelILj256ENS1_13__swap_ranges6swap_fINS0_12zip_iteratorINS0_5tupleINS0_6detail15normal_iteratorINS0_10device_ptrIxEEEESC_NS0_9null_typeESD_SD_SD_SD_SD_SD_SD_EEEENS0_16reverse_iteratorISF_EEEElLj1EEEvT0_T1_SK_ ; -- Begin function _ZN6thrust23THRUST_200600_302600_NS11hip_rocprim14__parallel_for6kernelILj256ENS1_13__swap_ranges6swap_fINS0_12zip_iteratorINS0_5tupleINS0_6detail15normal_iteratorINS0_10device_ptrIxEEEESC_NS0_9null_typeESD_SD_SD_SD_SD_SD_SD_EEEENS0_16reverse_iteratorISF_EEEElLj1EEEvT0_T1_SK_
	.globl	_ZN6thrust23THRUST_200600_302600_NS11hip_rocprim14__parallel_for6kernelILj256ENS1_13__swap_ranges6swap_fINS0_12zip_iteratorINS0_5tupleINS0_6detail15normal_iteratorINS0_10device_ptrIxEEEESC_NS0_9null_typeESD_SD_SD_SD_SD_SD_SD_EEEENS0_16reverse_iteratorISF_EEEElLj1EEEvT0_T1_SK_
	.p2align	8
	.type	_ZN6thrust23THRUST_200600_302600_NS11hip_rocprim14__parallel_for6kernelILj256ENS1_13__swap_ranges6swap_fINS0_12zip_iteratorINS0_5tupleINS0_6detail15normal_iteratorINS0_10device_ptrIxEEEESC_NS0_9null_typeESD_SD_SD_SD_SD_SD_SD_EEEENS0_16reverse_iteratorISF_EEEElLj1EEEvT0_T1_SK_,@function
_ZN6thrust23THRUST_200600_302600_NS11hip_rocprim14__parallel_for6kernelILj256ENS1_13__swap_ranges6swap_fINS0_12zip_iteratorINS0_5tupleINS0_6detail15normal_iteratorINS0_10device_ptrIxEEEESC_NS0_9null_typeESD_SD_SD_SD_SD_SD_SD_EEEENS0_16reverse_iteratorISF_EEEElLj1EEEvT0_T1_SK_: ; @_ZN6thrust23THRUST_200600_302600_NS11hip_rocprim14__parallel_for6kernelILj256ENS1_13__swap_ranges6swap_fINS0_12zip_iteratorINS0_5tupleINS0_6detail15normal_iteratorINS0_10device_ptrIxEEEESC_NS0_9null_typeESD_SD_SD_SD_SD_SD_SD_EEEENS0_16reverse_iteratorISF_EEEElLj1EEEvT0_T1_SK_
; %bb.0:
	s_load_dwordx4 s[8:11], s[4:5], 0x20
	s_lshl_b32 s0, s6, 8
	v_mov_b32_e32 v2, 0x100
	v_mov_b32_e32 v3, 0
	s_waitcnt lgkmcnt(0)
	s_add_u32 s0, s0, s10
	s_addc_u32 s1, 0, s11
	s_sub_u32 s2, s8, s0
	s_subb_u32 s3, s9, s1
	v_cmp_lt_i64_e32 vcc, s[2:3], v[2:3]
	s_and_b64 s[6:7], vcc, exec
	s_cselect_b32 s6, s2, 0x100
	s_cmpk_eq_i32 s6, 0x100
	s_cselect_b64 s[2:3], -1, 0
	v_cmp_gt_u32_e32 vcc, s6, v0
	s_or_b64 s[2:3], s[2:3], vcc
	s_and_saveexec_b64 s[6:7], s[2:3]
	s_cbranch_execz .LBB3658_2
; %bb.1:
	s_load_dwordx8 s[4:11], s[4:5], 0x0
	v_mov_b32_e32 v1, s1
	v_add_co_u32_e32 v0, vcc, s0, v0
	v_addc_co_u32_e32 v1, vcc, 0, v1, vcc
	v_lshlrev_b64 v[0:1], 3, v[0:1]
	s_waitcnt lgkmcnt(0)
	v_mov_b32_e32 v3, s5
	v_add_co_u32_e32 v2, vcc, s4, v0
	v_addc_co_u32_e32 v3, vcc, v3, v1, vcc
	v_mov_b32_e32 v5, s7
	v_add_co_u32_e32 v4, vcc, s6, v0
	v_addc_co_u32_e32 v5, vcc, v5, v1, vcc
	v_mov_b32_e32 v7, s9
	v_sub_co_u32_e32 v6, vcc, s8, v0
	v_subb_co_u32_e32 v7, vcc, v7, v1, vcc
	v_mov_b32_e32 v8, s11
	v_sub_co_u32_e32 v0, vcc, s10, v0
	v_subb_co_u32_e32 v1, vcc, v8, v1, vcc
	global_load_dwordx2 v[8:9], v[6:7], off offset:-8
	global_load_dwordx2 v[10:11], v[0:1], off offset:-8
	global_load_dwordx2 v[12:13], v[2:3], off
	global_load_dwordx2 v[14:15], v[4:5], off
	s_waitcnt vmcnt(3)
	global_store_dwordx2 v[2:3], v[8:9], off
	s_waitcnt vmcnt(3)
	global_store_dwordx2 v[4:5], v[10:11], off
	s_waitcnt vmcnt(3)
	global_store_dwordx2 v[6:7], v[12:13], off offset:-8
	s_waitcnt vmcnt(3)
	global_store_dwordx2 v[0:1], v[14:15], off offset:-8
.LBB3658_2:
	s_endpgm
	.section	.rodata,"a",@progbits
	.p2align	6, 0x0
	.amdhsa_kernel _ZN6thrust23THRUST_200600_302600_NS11hip_rocprim14__parallel_for6kernelILj256ENS1_13__swap_ranges6swap_fINS0_12zip_iteratorINS0_5tupleINS0_6detail15normal_iteratorINS0_10device_ptrIxEEEESC_NS0_9null_typeESD_SD_SD_SD_SD_SD_SD_EEEENS0_16reverse_iteratorISF_EEEElLj1EEEvT0_T1_SK_
		.amdhsa_group_segment_fixed_size 0
		.amdhsa_private_segment_fixed_size 0
		.amdhsa_kernarg_size 48
		.amdhsa_user_sgpr_count 6
		.amdhsa_user_sgpr_private_segment_buffer 1
		.amdhsa_user_sgpr_dispatch_ptr 0
		.amdhsa_user_sgpr_queue_ptr 0
		.amdhsa_user_sgpr_kernarg_segment_ptr 1
		.amdhsa_user_sgpr_dispatch_id 0
		.amdhsa_user_sgpr_flat_scratch_init 0
		.amdhsa_user_sgpr_kernarg_preload_length 0
		.amdhsa_user_sgpr_kernarg_preload_offset 0
		.amdhsa_user_sgpr_private_segment_size 0
		.amdhsa_uses_dynamic_stack 0
		.amdhsa_system_sgpr_private_segment_wavefront_offset 0
		.amdhsa_system_sgpr_workgroup_id_x 1
		.amdhsa_system_sgpr_workgroup_id_y 0
		.amdhsa_system_sgpr_workgroup_id_z 0
		.amdhsa_system_sgpr_workgroup_info 0
		.amdhsa_system_vgpr_workitem_id 0
		.amdhsa_next_free_vgpr 16
		.amdhsa_next_free_sgpr 12
		.amdhsa_accum_offset 16
		.amdhsa_reserve_vcc 1
		.amdhsa_reserve_flat_scratch 0
		.amdhsa_float_round_mode_32 0
		.amdhsa_float_round_mode_16_64 0
		.amdhsa_float_denorm_mode_32 3
		.amdhsa_float_denorm_mode_16_64 3
		.amdhsa_dx10_clamp 1
		.amdhsa_ieee_mode 1
		.amdhsa_fp16_overflow 0
		.amdhsa_tg_split 0
		.amdhsa_exception_fp_ieee_invalid_op 0
		.amdhsa_exception_fp_denorm_src 0
		.amdhsa_exception_fp_ieee_div_zero 0
		.amdhsa_exception_fp_ieee_overflow 0
		.amdhsa_exception_fp_ieee_underflow 0
		.amdhsa_exception_fp_ieee_inexact 0
		.amdhsa_exception_int_div_zero 0
	.end_amdhsa_kernel
	.section	.text._ZN6thrust23THRUST_200600_302600_NS11hip_rocprim14__parallel_for6kernelILj256ENS1_13__swap_ranges6swap_fINS0_12zip_iteratorINS0_5tupleINS0_6detail15normal_iteratorINS0_10device_ptrIxEEEESC_NS0_9null_typeESD_SD_SD_SD_SD_SD_SD_EEEENS0_16reverse_iteratorISF_EEEElLj1EEEvT0_T1_SK_,"axG",@progbits,_ZN6thrust23THRUST_200600_302600_NS11hip_rocprim14__parallel_for6kernelILj256ENS1_13__swap_ranges6swap_fINS0_12zip_iteratorINS0_5tupleINS0_6detail15normal_iteratorINS0_10device_ptrIxEEEESC_NS0_9null_typeESD_SD_SD_SD_SD_SD_SD_EEEENS0_16reverse_iteratorISF_EEEElLj1EEEvT0_T1_SK_,comdat
.Lfunc_end3658:
	.size	_ZN6thrust23THRUST_200600_302600_NS11hip_rocprim14__parallel_for6kernelILj256ENS1_13__swap_ranges6swap_fINS0_12zip_iteratorINS0_5tupleINS0_6detail15normal_iteratorINS0_10device_ptrIxEEEESC_NS0_9null_typeESD_SD_SD_SD_SD_SD_SD_EEEENS0_16reverse_iteratorISF_EEEElLj1EEEvT0_T1_SK_, .Lfunc_end3658-_ZN6thrust23THRUST_200600_302600_NS11hip_rocprim14__parallel_for6kernelILj256ENS1_13__swap_ranges6swap_fINS0_12zip_iteratorINS0_5tupleINS0_6detail15normal_iteratorINS0_10device_ptrIxEEEESC_NS0_9null_typeESD_SD_SD_SD_SD_SD_SD_EEEENS0_16reverse_iteratorISF_EEEElLj1EEEvT0_T1_SK_
                                        ; -- End function
	.section	.AMDGPU.csdata,"",@progbits
; Kernel info:
; codeLenInByte = 248
; NumSgprs: 16
; NumVgprs: 16
; NumAgprs: 0
; TotalNumVgprs: 16
; ScratchSize: 0
; MemoryBound: 0
; FloatMode: 240
; IeeeMode: 1
; LDSByteSize: 0 bytes/workgroup (compile time only)
; SGPRBlocks: 1
; VGPRBlocks: 1
; NumSGPRsForWavesPerEU: 16
; NumVGPRsForWavesPerEU: 16
; AccumOffset: 16
; Occupancy: 8
; WaveLimiterHint : 0
; COMPUTE_PGM_RSRC2:SCRATCH_EN: 0
; COMPUTE_PGM_RSRC2:USER_SGPR: 6
; COMPUTE_PGM_RSRC2:TRAP_HANDLER: 0
; COMPUTE_PGM_RSRC2:TGID_X_EN: 1
; COMPUTE_PGM_RSRC2:TGID_Y_EN: 0
; COMPUTE_PGM_RSRC2:TGID_Z_EN: 0
; COMPUTE_PGM_RSRC2:TIDIG_COMP_CNT: 0
; COMPUTE_PGM_RSRC3_GFX90A:ACCUM_OFFSET: 3
; COMPUTE_PGM_RSRC3_GFX90A:TG_SPLIT: 0
	.section	.text._ZN6thrust23THRUST_200600_302600_NS11hip_rocprim14__parallel_for6kernelILj256ENS1_13__swap_ranges6swap_fINS0_12zip_iteratorINS0_5tupleINS0_6detail15normal_iteratorINS0_10device_ptrIiEEEESC_NS0_9null_typeESD_SD_SD_SD_SD_SD_SD_EEEENS0_16reverse_iteratorISF_EEEElLj1EEEvT0_T1_SK_,"axG",@progbits,_ZN6thrust23THRUST_200600_302600_NS11hip_rocprim14__parallel_for6kernelILj256ENS1_13__swap_ranges6swap_fINS0_12zip_iteratorINS0_5tupleINS0_6detail15normal_iteratorINS0_10device_ptrIiEEEESC_NS0_9null_typeESD_SD_SD_SD_SD_SD_SD_EEEENS0_16reverse_iteratorISF_EEEElLj1EEEvT0_T1_SK_,comdat
	.protected	_ZN6thrust23THRUST_200600_302600_NS11hip_rocprim14__parallel_for6kernelILj256ENS1_13__swap_ranges6swap_fINS0_12zip_iteratorINS0_5tupleINS0_6detail15normal_iteratorINS0_10device_ptrIiEEEESC_NS0_9null_typeESD_SD_SD_SD_SD_SD_SD_EEEENS0_16reverse_iteratorISF_EEEElLj1EEEvT0_T1_SK_ ; -- Begin function _ZN6thrust23THRUST_200600_302600_NS11hip_rocprim14__parallel_for6kernelILj256ENS1_13__swap_ranges6swap_fINS0_12zip_iteratorINS0_5tupleINS0_6detail15normal_iteratorINS0_10device_ptrIiEEEESC_NS0_9null_typeESD_SD_SD_SD_SD_SD_SD_EEEENS0_16reverse_iteratorISF_EEEElLj1EEEvT0_T1_SK_
	.globl	_ZN6thrust23THRUST_200600_302600_NS11hip_rocprim14__parallel_for6kernelILj256ENS1_13__swap_ranges6swap_fINS0_12zip_iteratorINS0_5tupleINS0_6detail15normal_iteratorINS0_10device_ptrIiEEEESC_NS0_9null_typeESD_SD_SD_SD_SD_SD_SD_EEEENS0_16reverse_iteratorISF_EEEElLj1EEEvT0_T1_SK_
	.p2align	8
	.type	_ZN6thrust23THRUST_200600_302600_NS11hip_rocprim14__parallel_for6kernelILj256ENS1_13__swap_ranges6swap_fINS0_12zip_iteratorINS0_5tupleINS0_6detail15normal_iteratorINS0_10device_ptrIiEEEESC_NS0_9null_typeESD_SD_SD_SD_SD_SD_SD_EEEENS0_16reverse_iteratorISF_EEEElLj1EEEvT0_T1_SK_,@function
_ZN6thrust23THRUST_200600_302600_NS11hip_rocprim14__parallel_for6kernelILj256ENS1_13__swap_ranges6swap_fINS0_12zip_iteratorINS0_5tupleINS0_6detail15normal_iteratorINS0_10device_ptrIiEEEESC_NS0_9null_typeESD_SD_SD_SD_SD_SD_SD_EEEENS0_16reverse_iteratorISF_EEEElLj1EEEvT0_T1_SK_: ; @_ZN6thrust23THRUST_200600_302600_NS11hip_rocprim14__parallel_for6kernelILj256ENS1_13__swap_ranges6swap_fINS0_12zip_iteratorINS0_5tupleINS0_6detail15normal_iteratorINS0_10device_ptrIiEEEESC_NS0_9null_typeESD_SD_SD_SD_SD_SD_SD_EEEENS0_16reverse_iteratorISF_EEEElLj1EEEvT0_T1_SK_
; %bb.0:
	s_load_dwordx4 s[8:11], s[4:5], 0x20
	s_lshl_b32 s0, s6, 8
	v_mov_b32_e32 v2, 0x100
	v_mov_b32_e32 v3, 0
	s_waitcnt lgkmcnt(0)
	s_add_u32 s0, s0, s10
	s_addc_u32 s1, 0, s11
	s_sub_u32 s2, s8, s0
	s_subb_u32 s3, s9, s1
	v_cmp_lt_i64_e32 vcc, s[2:3], v[2:3]
	s_and_b64 s[6:7], vcc, exec
	s_cselect_b32 s6, s2, 0x100
	s_cmpk_eq_i32 s6, 0x100
	s_cselect_b64 s[2:3], -1, 0
	v_cmp_gt_u32_e32 vcc, s6, v0
	s_or_b64 s[2:3], s[2:3], vcc
	s_and_saveexec_b64 s[6:7], s[2:3]
	s_cbranch_execz .LBB3659_2
; %bb.1:
	s_load_dwordx8 s[4:11], s[4:5], 0x0
	v_mov_b32_e32 v1, s1
	v_add_co_u32_e32 v0, vcc, s0, v0
	v_addc_co_u32_e32 v1, vcc, 0, v1, vcc
	v_lshlrev_b64 v[0:1], 2, v[0:1]
	s_waitcnt lgkmcnt(0)
	v_mov_b32_e32 v3, s5
	v_add_co_u32_e32 v2, vcc, s4, v0
	v_addc_co_u32_e32 v3, vcc, v3, v1, vcc
	v_mov_b32_e32 v5, s7
	v_add_co_u32_e32 v4, vcc, s6, v0
	v_addc_co_u32_e32 v5, vcc, v5, v1, vcc
	v_mov_b32_e32 v7, s9
	v_sub_co_u32_e32 v6, vcc, s8, v0
	v_subb_co_u32_e32 v7, vcc, v7, v1, vcc
	v_mov_b32_e32 v8, s11
	v_sub_co_u32_e32 v0, vcc, s10, v0
	v_subb_co_u32_e32 v1, vcc, v8, v1, vcc
	global_load_dword v8, v[6:7], off offset:-4
	global_load_dword v9, v[0:1], off offset:-4
	global_load_dword v10, v[2:3], off
	global_load_dword v11, v[4:5], off
	s_waitcnt vmcnt(3)
	global_store_dword v[2:3], v8, off
	s_waitcnt vmcnt(3)
	global_store_dword v[4:5], v9, off
	s_waitcnt vmcnt(3)
	global_store_dword v[6:7], v10, off offset:-4
	s_waitcnt vmcnt(3)
	global_store_dword v[0:1], v11, off offset:-4
.LBB3659_2:
	s_endpgm
	.section	.rodata,"a",@progbits
	.p2align	6, 0x0
	.amdhsa_kernel _ZN6thrust23THRUST_200600_302600_NS11hip_rocprim14__parallel_for6kernelILj256ENS1_13__swap_ranges6swap_fINS0_12zip_iteratorINS0_5tupleINS0_6detail15normal_iteratorINS0_10device_ptrIiEEEESC_NS0_9null_typeESD_SD_SD_SD_SD_SD_SD_EEEENS0_16reverse_iteratorISF_EEEElLj1EEEvT0_T1_SK_
		.amdhsa_group_segment_fixed_size 0
		.amdhsa_private_segment_fixed_size 0
		.amdhsa_kernarg_size 48
		.amdhsa_user_sgpr_count 6
		.amdhsa_user_sgpr_private_segment_buffer 1
		.amdhsa_user_sgpr_dispatch_ptr 0
		.amdhsa_user_sgpr_queue_ptr 0
		.amdhsa_user_sgpr_kernarg_segment_ptr 1
		.amdhsa_user_sgpr_dispatch_id 0
		.amdhsa_user_sgpr_flat_scratch_init 0
		.amdhsa_user_sgpr_kernarg_preload_length 0
		.amdhsa_user_sgpr_kernarg_preload_offset 0
		.amdhsa_user_sgpr_private_segment_size 0
		.amdhsa_uses_dynamic_stack 0
		.amdhsa_system_sgpr_private_segment_wavefront_offset 0
		.amdhsa_system_sgpr_workgroup_id_x 1
		.amdhsa_system_sgpr_workgroup_id_y 0
		.amdhsa_system_sgpr_workgroup_id_z 0
		.amdhsa_system_sgpr_workgroup_info 0
		.amdhsa_system_vgpr_workitem_id 0
		.amdhsa_next_free_vgpr 12
		.amdhsa_next_free_sgpr 12
		.amdhsa_accum_offset 12
		.amdhsa_reserve_vcc 1
		.amdhsa_reserve_flat_scratch 0
		.amdhsa_float_round_mode_32 0
		.amdhsa_float_round_mode_16_64 0
		.amdhsa_float_denorm_mode_32 3
		.amdhsa_float_denorm_mode_16_64 3
		.amdhsa_dx10_clamp 1
		.amdhsa_ieee_mode 1
		.amdhsa_fp16_overflow 0
		.amdhsa_tg_split 0
		.amdhsa_exception_fp_ieee_invalid_op 0
		.amdhsa_exception_fp_denorm_src 0
		.amdhsa_exception_fp_ieee_div_zero 0
		.amdhsa_exception_fp_ieee_overflow 0
		.amdhsa_exception_fp_ieee_underflow 0
		.amdhsa_exception_fp_ieee_inexact 0
		.amdhsa_exception_int_div_zero 0
	.end_amdhsa_kernel
	.section	.text._ZN6thrust23THRUST_200600_302600_NS11hip_rocprim14__parallel_for6kernelILj256ENS1_13__swap_ranges6swap_fINS0_12zip_iteratorINS0_5tupleINS0_6detail15normal_iteratorINS0_10device_ptrIiEEEESC_NS0_9null_typeESD_SD_SD_SD_SD_SD_SD_EEEENS0_16reverse_iteratorISF_EEEElLj1EEEvT0_T1_SK_,"axG",@progbits,_ZN6thrust23THRUST_200600_302600_NS11hip_rocprim14__parallel_for6kernelILj256ENS1_13__swap_ranges6swap_fINS0_12zip_iteratorINS0_5tupleINS0_6detail15normal_iteratorINS0_10device_ptrIiEEEESC_NS0_9null_typeESD_SD_SD_SD_SD_SD_SD_EEEENS0_16reverse_iteratorISF_EEEElLj1EEEvT0_T1_SK_,comdat
.Lfunc_end3659:
	.size	_ZN6thrust23THRUST_200600_302600_NS11hip_rocprim14__parallel_for6kernelILj256ENS1_13__swap_ranges6swap_fINS0_12zip_iteratorINS0_5tupleINS0_6detail15normal_iteratorINS0_10device_ptrIiEEEESC_NS0_9null_typeESD_SD_SD_SD_SD_SD_SD_EEEENS0_16reverse_iteratorISF_EEEElLj1EEEvT0_T1_SK_, .Lfunc_end3659-_ZN6thrust23THRUST_200600_302600_NS11hip_rocprim14__parallel_for6kernelILj256ENS1_13__swap_ranges6swap_fINS0_12zip_iteratorINS0_5tupleINS0_6detail15normal_iteratorINS0_10device_ptrIiEEEESC_NS0_9null_typeESD_SD_SD_SD_SD_SD_SD_EEEENS0_16reverse_iteratorISF_EEEElLj1EEEvT0_T1_SK_
                                        ; -- End function
	.section	.AMDGPU.csdata,"",@progbits
; Kernel info:
; codeLenInByte = 248
; NumSgprs: 16
; NumVgprs: 12
; NumAgprs: 0
; TotalNumVgprs: 12
; ScratchSize: 0
; MemoryBound: 0
; FloatMode: 240
; IeeeMode: 1
; LDSByteSize: 0 bytes/workgroup (compile time only)
; SGPRBlocks: 1
; VGPRBlocks: 1
; NumSGPRsForWavesPerEU: 16
; NumVGPRsForWavesPerEU: 12
; AccumOffset: 12
; Occupancy: 8
; WaveLimiterHint : 0
; COMPUTE_PGM_RSRC2:SCRATCH_EN: 0
; COMPUTE_PGM_RSRC2:USER_SGPR: 6
; COMPUTE_PGM_RSRC2:TRAP_HANDLER: 0
; COMPUTE_PGM_RSRC2:TGID_X_EN: 1
; COMPUTE_PGM_RSRC2:TGID_Y_EN: 0
; COMPUTE_PGM_RSRC2:TGID_Z_EN: 0
; COMPUTE_PGM_RSRC2:TIDIG_COMP_CNT: 0
; COMPUTE_PGM_RSRC3_GFX90A:ACCUM_OFFSET: 2
; COMPUTE_PGM_RSRC3_GFX90A:TG_SPLIT: 0
	.section	.text._ZN6thrust23THRUST_200600_302600_NS11hip_rocprim14__parallel_for6kernelILj256ENS1_13__swap_ranges6swap_fINS0_12zip_iteratorINS0_5tupleINS0_6detail15normal_iteratorINS0_10device_ptrIsEEEESC_NS0_9null_typeESD_SD_SD_SD_SD_SD_SD_EEEENS0_16reverse_iteratorISF_EEEElLj1EEEvT0_T1_SK_,"axG",@progbits,_ZN6thrust23THRUST_200600_302600_NS11hip_rocprim14__parallel_for6kernelILj256ENS1_13__swap_ranges6swap_fINS0_12zip_iteratorINS0_5tupleINS0_6detail15normal_iteratorINS0_10device_ptrIsEEEESC_NS0_9null_typeESD_SD_SD_SD_SD_SD_SD_EEEENS0_16reverse_iteratorISF_EEEElLj1EEEvT0_T1_SK_,comdat
	.protected	_ZN6thrust23THRUST_200600_302600_NS11hip_rocprim14__parallel_for6kernelILj256ENS1_13__swap_ranges6swap_fINS0_12zip_iteratorINS0_5tupleINS0_6detail15normal_iteratorINS0_10device_ptrIsEEEESC_NS0_9null_typeESD_SD_SD_SD_SD_SD_SD_EEEENS0_16reverse_iteratorISF_EEEElLj1EEEvT0_T1_SK_ ; -- Begin function _ZN6thrust23THRUST_200600_302600_NS11hip_rocprim14__parallel_for6kernelILj256ENS1_13__swap_ranges6swap_fINS0_12zip_iteratorINS0_5tupleINS0_6detail15normal_iteratorINS0_10device_ptrIsEEEESC_NS0_9null_typeESD_SD_SD_SD_SD_SD_SD_EEEENS0_16reverse_iteratorISF_EEEElLj1EEEvT0_T1_SK_
	.globl	_ZN6thrust23THRUST_200600_302600_NS11hip_rocprim14__parallel_for6kernelILj256ENS1_13__swap_ranges6swap_fINS0_12zip_iteratorINS0_5tupleINS0_6detail15normal_iteratorINS0_10device_ptrIsEEEESC_NS0_9null_typeESD_SD_SD_SD_SD_SD_SD_EEEENS0_16reverse_iteratorISF_EEEElLj1EEEvT0_T1_SK_
	.p2align	8
	.type	_ZN6thrust23THRUST_200600_302600_NS11hip_rocprim14__parallel_for6kernelILj256ENS1_13__swap_ranges6swap_fINS0_12zip_iteratorINS0_5tupleINS0_6detail15normal_iteratorINS0_10device_ptrIsEEEESC_NS0_9null_typeESD_SD_SD_SD_SD_SD_SD_EEEENS0_16reverse_iteratorISF_EEEElLj1EEEvT0_T1_SK_,@function
_ZN6thrust23THRUST_200600_302600_NS11hip_rocprim14__parallel_for6kernelILj256ENS1_13__swap_ranges6swap_fINS0_12zip_iteratorINS0_5tupleINS0_6detail15normal_iteratorINS0_10device_ptrIsEEEESC_NS0_9null_typeESD_SD_SD_SD_SD_SD_SD_EEEENS0_16reverse_iteratorISF_EEEElLj1EEEvT0_T1_SK_: ; @_ZN6thrust23THRUST_200600_302600_NS11hip_rocprim14__parallel_for6kernelILj256ENS1_13__swap_ranges6swap_fINS0_12zip_iteratorINS0_5tupleINS0_6detail15normal_iteratorINS0_10device_ptrIsEEEESC_NS0_9null_typeESD_SD_SD_SD_SD_SD_SD_EEEENS0_16reverse_iteratorISF_EEEElLj1EEEvT0_T1_SK_
; %bb.0:
	s_load_dwordx4 s[8:11], s[4:5], 0x20
	s_lshl_b32 s0, s6, 8
	v_mov_b32_e32 v2, 0x100
	v_mov_b32_e32 v3, 0
	s_waitcnt lgkmcnt(0)
	s_add_u32 s0, s0, s10
	s_addc_u32 s1, 0, s11
	s_sub_u32 s2, s8, s0
	s_subb_u32 s3, s9, s1
	v_cmp_lt_i64_e32 vcc, s[2:3], v[2:3]
	s_and_b64 s[6:7], vcc, exec
	s_cselect_b32 s6, s2, 0x100
	s_cmpk_eq_i32 s6, 0x100
	s_cselect_b64 s[2:3], -1, 0
	v_cmp_gt_u32_e32 vcc, s6, v0
	s_or_b64 s[2:3], s[2:3], vcc
	s_and_saveexec_b64 s[6:7], s[2:3]
	s_cbranch_execz .LBB3660_2
; %bb.1:
	s_load_dwordx8 s[4:11], s[4:5], 0x0
	v_mov_b32_e32 v1, s1
	v_add_co_u32_e32 v0, vcc, s0, v0
	v_addc_co_u32_e32 v1, vcc, 0, v1, vcc
	v_lshlrev_b64 v[0:1], 1, v[0:1]
	s_waitcnt lgkmcnt(0)
	v_mov_b32_e32 v3, s5
	v_add_co_u32_e32 v2, vcc, s4, v0
	v_addc_co_u32_e32 v3, vcc, v3, v1, vcc
	v_mov_b32_e32 v5, s7
	v_add_co_u32_e32 v4, vcc, s6, v0
	v_addc_co_u32_e32 v5, vcc, v5, v1, vcc
	v_mov_b32_e32 v7, s9
	v_sub_co_u32_e32 v6, vcc, s8, v0
	v_subb_co_u32_e32 v7, vcc, v7, v1, vcc
	v_mov_b32_e32 v8, s11
	v_sub_co_u32_e32 v0, vcc, s10, v0
	v_subb_co_u32_e32 v1, vcc, v8, v1, vcc
	global_load_ushort v8, v[6:7], off offset:-2
	global_load_ushort v9, v[0:1], off offset:-2
	global_load_ushort v10, v[2:3], off
	global_load_ushort v11, v[4:5], off
	s_waitcnt vmcnt(3)
	global_store_short v[2:3], v8, off
	s_waitcnt vmcnt(3)
	global_store_short v[4:5], v9, off
	s_waitcnt vmcnt(3)
	global_store_short v[6:7], v10, off offset:-2
	s_waitcnt vmcnt(3)
	global_store_short v[0:1], v11, off offset:-2
.LBB3660_2:
	s_endpgm
	.section	.rodata,"a",@progbits
	.p2align	6, 0x0
	.amdhsa_kernel _ZN6thrust23THRUST_200600_302600_NS11hip_rocprim14__parallel_for6kernelILj256ENS1_13__swap_ranges6swap_fINS0_12zip_iteratorINS0_5tupleINS0_6detail15normal_iteratorINS0_10device_ptrIsEEEESC_NS0_9null_typeESD_SD_SD_SD_SD_SD_SD_EEEENS0_16reverse_iteratorISF_EEEElLj1EEEvT0_T1_SK_
		.amdhsa_group_segment_fixed_size 0
		.amdhsa_private_segment_fixed_size 0
		.amdhsa_kernarg_size 48
		.amdhsa_user_sgpr_count 6
		.amdhsa_user_sgpr_private_segment_buffer 1
		.amdhsa_user_sgpr_dispatch_ptr 0
		.amdhsa_user_sgpr_queue_ptr 0
		.amdhsa_user_sgpr_kernarg_segment_ptr 1
		.amdhsa_user_sgpr_dispatch_id 0
		.amdhsa_user_sgpr_flat_scratch_init 0
		.amdhsa_user_sgpr_kernarg_preload_length 0
		.amdhsa_user_sgpr_kernarg_preload_offset 0
		.amdhsa_user_sgpr_private_segment_size 0
		.amdhsa_uses_dynamic_stack 0
		.amdhsa_system_sgpr_private_segment_wavefront_offset 0
		.amdhsa_system_sgpr_workgroup_id_x 1
		.amdhsa_system_sgpr_workgroup_id_y 0
		.amdhsa_system_sgpr_workgroup_id_z 0
		.amdhsa_system_sgpr_workgroup_info 0
		.amdhsa_system_vgpr_workitem_id 0
		.amdhsa_next_free_vgpr 12
		.amdhsa_next_free_sgpr 12
		.amdhsa_accum_offset 12
		.amdhsa_reserve_vcc 1
		.amdhsa_reserve_flat_scratch 0
		.amdhsa_float_round_mode_32 0
		.amdhsa_float_round_mode_16_64 0
		.amdhsa_float_denorm_mode_32 3
		.amdhsa_float_denorm_mode_16_64 3
		.amdhsa_dx10_clamp 1
		.amdhsa_ieee_mode 1
		.amdhsa_fp16_overflow 0
		.amdhsa_tg_split 0
		.amdhsa_exception_fp_ieee_invalid_op 0
		.amdhsa_exception_fp_denorm_src 0
		.amdhsa_exception_fp_ieee_div_zero 0
		.amdhsa_exception_fp_ieee_overflow 0
		.amdhsa_exception_fp_ieee_underflow 0
		.amdhsa_exception_fp_ieee_inexact 0
		.amdhsa_exception_int_div_zero 0
	.end_amdhsa_kernel
	.section	.text._ZN6thrust23THRUST_200600_302600_NS11hip_rocprim14__parallel_for6kernelILj256ENS1_13__swap_ranges6swap_fINS0_12zip_iteratorINS0_5tupleINS0_6detail15normal_iteratorINS0_10device_ptrIsEEEESC_NS0_9null_typeESD_SD_SD_SD_SD_SD_SD_EEEENS0_16reverse_iteratorISF_EEEElLj1EEEvT0_T1_SK_,"axG",@progbits,_ZN6thrust23THRUST_200600_302600_NS11hip_rocprim14__parallel_for6kernelILj256ENS1_13__swap_ranges6swap_fINS0_12zip_iteratorINS0_5tupleINS0_6detail15normal_iteratorINS0_10device_ptrIsEEEESC_NS0_9null_typeESD_SD_SD_SD_SD_SD_SD_EEEENS0_16reverse_iteratorISF_EEEElLj1EEEvT0_T1_SK_,comdat
.Lfunc_end3660:
	.size	_ZN6thrust23THRUST_200600_302600_NS11hip_rocprim14__parallel_for6kernelILj256ENS1_13__swap_ranges6swap_fINS0_12zip_iteratorINS0_5tupleINS0_6detail15normal_iteratorINS0_10device_ptrIsEEEESC_NS0_9null_typeESD_SD_SD_SD_SD_SD_SD_EEEENS0_16reverse_iteratorISF_EEEElLj1EEEvT0_T1_SK_, .Lfunc_end3660-_ZN6thrust23THRUST_200600_302600_NS11hip_rocprim14__parallel_for6kernelILj256ENS1_13__swap_ranges6swap_fINS0_12zip_iteratorINS0_5tupleINS0_6detail15normal_iteratorINS0_10device_ptrIsEEEESC_NS0_9null_typeESD_SD_SD_SD_SD_SD_SD_EEEENS0_16reverse_iteratorISF_EEEElLj1EEEvT0_T1_SK_
                                        ; -- End function
	.section	.AMDGPU.csdata,"",@progbits
; Kernel info:
; codeLenInByte = 248
; NumSgprs: 16
; NumVgprs: 12
; NumAgprs: 0
; TotalNumVgprs: 12
; ScratchSize: 0
; MemoryBound: 0
; FloatMode: 240
; IeeeMode: 1
; LDSByteSize: 0 bytes/workgroup (compile time only)
; SGPRBlocks: 1
; VGPRBlocks: 1
; NumSGPRsForWavesPerEU: 16
; NumVGPRsForWavesPerEU: 12
; AccumOffset: 12
; Occupancy: 8
; WaveLimiterHint : 0
; COMPUTE_PGM_RSRC2:SCRATCH_EN: 0
; COMPUTE_PGM_RSRC2:USER_SGPR: 6
; COMPUTE_PGM_RSRC2:TRAP_HANDLER: 0
; COMPUTE_PGM_RSRC2:TGID_X_EN: 1
; COMPUTE_PGM_RSRC2:TGID_Y_EN: 0
; COMPUTE_PGM_RSRC2:TGID_Z_EN: 0
; COMPUTE_PGM_RSRC2:TIDIG_COMP_CNT: 0
; COMPUTE_PGM_RSRC3_GFX90A:ACCUM_OFFSET: 2
; COMPUTE_PGM_RSRC3_GFX90A:TG_SPLIT: 0
	.section	.text._ZN6thrust23THRUST_200600_302600_NS11hip_rocprim14__parallel_for6kernelILj256ENS1_20__uninitialized_copy7functorINS0_10device_ptrIiEENS0_6detail15normal_iteratorINS0_7pointerIiNS1_5par_tENS0_11use_defaultESC_EEEEEElLj1EEEvT0_T1_SH_,"axG",@progbits,_ZN6thrust23THRUST_200600_302600_NS11hip_rocprim14__parallel_for6kernelILj256ENS1_20__uninitialized_copy7functorINS0_10device_ptrIiEENS0_6detail15normal_iteratorINS0_7pointerIiNS1_5par_tENS0_11use_defaultESC_EEEEEElLj1EEEvT0_T1_SH_,comdat
	.protected	_ZN6thrust23THRUST_200600_302600_NS11hip_rocprim14__parallel_for6kernelILj256ENS1_20__uninitialized_copy7functorINS0_10device_ptrIiEENS0_6detail15normal_iteratorINS0_7pointerIiNS1_5par_tENS0_11use_defaultESC_EEEEEElLj1EEEvT0_T1_SH_ ; -- Begin function _ZN6thrust23THRUST_200600_302600_NS11hip_rocprim14__parallel_for6kernelILj256ENS1_20__uninitialized_copy7functorINS0_10device_ptrIiEENS0_6detail15normal_iteratorINS0_7pointerIiNS1_5par_tENS0_11use_defaultESC_EEEEEElLj1EEEvT0_T1_SH_
	.globl	_ZN6thrust23THRUST_200600_302600_NS11hip_rocprim14__parallel_for6kernelILj256ENS1_20__uninitialized_copy7functorINS0_10device_ptrIiEENS0_6detail15normal_iteratorINS0_7pointerIiNS1_5par_tENS0_11use_defaultESC_EEEEEElLj1EEEvT0_T1_SH_
	.p2align	8
	.type	_ZN6thrust23THRUST_200600_302600_NS11hip_rocprim14__parallel_for6kernelILj256ENS1_20__uninitialized_copy7functorINS0_10device_ptrIiEENS0_6detail15normal_iteratorINS0_7pointerIiNS1_5par_tENS0_11use_defaultESC_EEEEEElLj1EEEvT0_T1_SH_,@function
_ZN6thrust23THRUST_200600_302600_NS11hip_rocprim14__parallel_for6kernelILj256ENS1_20__uninitialized_copy7functorINS0_10device_ptrIiEENS0_6detail15normal_iteratorINS0_7pointerIiNS1_5par_tENS0_11use_defaultESC_EEEEEElLj1EEEvT0_T1_SH_: ; @_ZN6thrust23THRUST_200600_302600_NS11hip_rocprim14__parallel_for6kernelILj256ENS1_20__uninitialized_copy7functorINS0_10device_ptrIiEENS0_6detail15normal_iteratorINS0_7pointerIiNS1_5par_tENS0_11use_defaultESC_EEEEEElLj1EEEvT0_T1_SH_
; %bb.0:
	s_load_dwordx8 s[8:15], s[4:5], 0x0
	s_lshl_b32 s0, s6, 8
	v_mov_b32_e32 v2, 0x100
	v_mov_b32_e32 v3, 0
	s_waitcnt lgkmcnt(0)
	s_add_u32 s6, s0, s14
	s_addc_u32 s7, 0, s15
	s_sub_u32 s0, s12, s6
	s_subb_u32 s1, s13, s7
	v_cmp_lt_i64_e32 vcc, s[0:1], v[2:3]
	s_and_b64 s[2:3], vcc, exec
	s_cselect_b32 s0, s0, 0x100
	s_cmpk_lg_i32 s0, 0x100
	s_cbranch_scc0 .LBB3661_4
; %bb.1:
	v_cmp_gt_u32_e32 vcc, s0, v0
	s_mov_b64 s[2:3], 0
	s_mov_b64 s[0:1], 0
                                        ; implicit-def: $vgpr2_vgpr3
                                        ; implicit-def: $vgpr4_vgpr5
	s_and_saveexec_b64 s[4:5], vcc
	s_xor_b64 s[4:5], exec, s[4:5]
; %bb.2:
	v_mov_b32_e32 v1, s7
	v_add_co_u32_e32 v2, vcc, s6, v0
	v_addc_co_u32_e32 v3, vcc, 0, v1, vcc
	v_lshlrev_b64 v[4:5], 2, v[2:3]
	v_mov_b32_e32 v1, s11
	v_add_co_u32_e32 v2, vcc, s10, v4
	v_addc_co_u32_e32 v3, vcc, v1, v5, vcc
	v_mov_b32_e32 v1, s9
	v_add_co_u32_e32 v4, vcc, s8, v4
	s_mov_b64 s[0:1], exec
	v_addc_co_u32_e32 v5, vcc, v1, v5, vcc
; %bb.3:
	s_or_b64 exec, exec, s[4:5]
	s_and_b64 vcc, exec, s[2:3]
	s_cbranch_vccnz .LBB3661_5
	s_branch .LBB3661_6
.LBB3661_4:
	s_mov_b64 s[0:1], 0
                                        ; implicit-def: $vgpr2_vgpr3
                                        ; implicit-def: $vgpr4_vgpr5
	s_cbranch_execz .LBB3661_6
.LBB3661_5:
	v_mov_b32_e32 v1, s7
	v_add_co_u32_e32 v0, vcc, s6, v0
	v_addc_co_u32_e32 v1, vcc, 0, v1, vcc
	v_lshlrev_b64 v[0:1], 2, v[0:1]
	v_mov_b32_e32 v2, s9
	v_add_co_u32_e32 v4, vcc, s8, v0
	v_addc_co_u32_e32 v5, vcc, v2, v1, vcc
	v_mov_b32_e32 v3, s11
	v_add_co_u32_e32 v2, vcc, s10, v0
	v_addc_co_u32_e32 v3, vcc, v3, v1, vcc
	s_or_b64 s[0:1], s[0:1], exec
.LBB3661_6:
	s_and_saveexec_b64 s[2:3], s[0:1]
	s_cbranch_execnz .LBB3661_8
; %bb.7:
	s_endpgm
.LBB3661_8:
	flat_load_dword v0, v[4:5]
	s_waitcnt vmcnt(0) lgkmcnt(0)
	flat_store_dword v[2:3], v0
	s_endpgm
	.section	.rodata,"a",@progbits
	.p2align	6, 0x0
	.amdhsa_kernel _ZN6thrust23THRUST_200600_302600_NS11hip_rocprim14__parallel_for6kernelILj256ENS1_20__uninitialized_copy7functorINS0_10device_ptrIiEENS0_6detail15normal_iteratorINS0_7pointerIiNS1_5par_tENS0_11use_defaultESC_EEEEEElLj1EEEvT0_T1_SH_
		.amdhsa_group_segment_fixed_size 0
		.amdhsa_private_segment_fixed_size 0
		.amdhsa_kernarg_size 32
		.amdhsa_user_sgpr_count 6
		.amdhsa_user_sgpr_private_segment_buffer 1
		.amdhsa_user_sgpr_dispatch_ptr 0
		.amdhsa_user_sgpr_queue_ptr 0
		.amdhsa_user_sgpr_kernarg_segment_ptr 1
		.amdhsa_user_sgpr_dispatch_id 0
		.amdhsa_user_sgpr_flat_scratch_init 0
		.amdhsa_user_sgpr_kernarg_preload_length 0
		.amdhsa_user_sgpr_kernarg_preload_offset 0
		.amdhsa_user_sgpr_private_segment_size 0
		.amdhsa_uses_dynamic_stack 0
		.amdhsa_system_sgpr_private_segment_wavefront_offset 0
		.amdhsa_system_sgpr_workgroup_id_x 1
		.amdhsa_system_sgpr_workgroup_id_y 0
		.amdhsa_system_sgpr_workgroup_id_z 0
		.amdhsa_system_sgpr_workgroup_info 0
		.amdhsa_system_vgpr_workitem_id 0
		.amdhsa_next_free_vgpr 6
		.amdhsa_next_free_sgpr 16
		.amdhsa_accum_offset 8
		.amdhsa_reserve_vcc 1
		.amdhsa_reserve_flat_scratch 0
		.amdhsa_float_round_mode_32 0
		.amdhsa_float_round_mode_16_64 0
		.amdhsa_float_denorm_mode_32 3
		.amdhsa_float_denorm_mode_16_64 3
		.amdhsa_dx10_clamp 1
		.amdhsa_ieee_mode 1
		.amdhsa_fp16_overflow 0
		.amdhsa_tg_split 0
		.amdhsa_exception_fp_ieee_invalid_op 0
		.amdhsa_exception_fp_denorm_src 0
		.amdhsa_exception_fp_ieee_div_zero 0
		.amdhsa_exception_fp_ieee_overflow 0
		.amdhsa_exception_fp_ieee_underflow 0
		.amdhsa_exception_fp_ieee_inexact 0
		.amdhsa_exception_int_div_zero 0
	.end_amdhsa_kernel
	.section	.text._ZN6thrust23THRUST_200600_302600_NS11hip_rocprim14__parallel_for6kernelILj256ENS1_20__uninitialized_copy7functorINS0_10device_ptrIiEENS0_6detail15normal_iteratorINS0_7pointerIiNS1_5par_tENS0_11use_defaultESC_EEEEEElLj1EEEvT0_T1_SH_,"axG",@progbits,_ZN6thrust23THRUST_200600_302600_NS11hip_rocprim14__parallel_for6kernelILj256ENS1_20__uninitialized_copy7functorINS0_10device_ptrIiEENS0_6detail15normal_iteratorINS0_7pointerIiNS1_5par_tENS0_11use_defaultESC_EEEEEElLj1EEEvT0_T1_SH_,comdat
.Lfunc_end3661:
	.size	_ZN6thrust23THRUST_200600_302600_NS11hip_rocprim14__parallel_for6kernelILj256ENS1_20__uninitialized_copy7functorINS0_10device_ptrIiEENS0_6detail15normal_iteratorINS0_7pointerIiNS1_5par_tENS0_11use_defaultESC_EEEEEElLj1EEEvT0_T1_SH_, .Lfunc_end3661-_ZN6thrust23THRUST_200600_302600_NS11hip_rocprim14__parallel_for6kernelILj256ENS1_20__uninitialized_copy7functorINS0_10device_ptrIiEENS0_6detail15normal_iteratorINS0_7pointerIiNS1_5par_tENS0_11use_defaultESC_EEEEEElLj1EEEvT0_T1_SH_
                                        ; -- End function
	.section	.AMDGPU.csdata,"",@progbits
; Kernel info:
; codeLenInByte = 244
; NumSgprs: 20
; NumVgprs: 6
; NumAgprs: 0
; TotalNumVgprs: 6
; ScratchSize: 0
; MemoryBound: 0
; FloatMode: 240
; IeeeMode: 1
; LDSByteSize: 0 bytes/workgroup (compile time only)
; SGPRBlocks: 2
; VGPRBlocks: 0
; NumSGPRsForWavesPerEU: 20
; NumVGPRsForWavesPerEU: 6
; AccumOffset: 8
; Occupancy: 8
; WaveLimiterHint : 0
; COMPUTE_PGM_RSRC2:SCRATCH_EN: 0
; COMPUTE_PGM_RSRC2:USER_SGPR: 6
; COMPUTE_PGM_RSRC2:TRAP_HANDLER: 0
; COMPUTE_PGM_RSRC2:TGID_X_EN: 1
; COMPUTE_PGM_RSRC2:TGID_Y_EN: 0
; COMPUTE_PGM_RSRC2:TGID_Z_EN: 0
; COMPUTE_PGM_RSRC2:TIDIG_COMP_CNT: 0
; COMPUTE_PGM_RSRC3_GFX90A:ACCUM_OFFSET: 1
; COMPUTE_PGM_RSRC3_GFX90A:TG_SPLIT: 0
	.section	.text._ZN7rocprim17ROCPRIM_400000_NS6detail17trampoline_kernelINS0_14default_configENS1_25partition_config_selectorILNS1_17partition_subalgoE3EiNS0_10empty_typeEbEEZZNS1_14partition_implILS5_3ELb0ES3_jN6thrust23THRUST_200600_302600_NS6detail15normal_iteratorINSA_7pointerIiNSA_11hip_rocprim5par_tENSA_11use_defaultESG_EEEEPS6_SJ_NS0_5tupleIJPiSJ_EEENSK_IJSJ_SJ_EEES6_PlJ7is_evenIiEEEE10hipError_tPvRmT3_T4_T5_T6_T7_T9_mT8_P12ihipStream_tbDpT10_ENKUlT_T0_E_clISt17integral_constantIbLb0EES1A_EEDaS15_S16_EUlS15_E_NS1_11comp_targetILNS1_3genE0ELNS1_11target_archE4294967295ELNS1_3gpuE0ELNS1_3repE0EEENS1_30default_config_static_selectorELNS0_4arch9wavefront6targetE1EEEvT1_,"axG",@progbits,_ZN7rocprim17ROCPRIM_400000_NS6detail17trampoline_kernelINS0_14default_configENS1_25partition_config_selectorILNS1_17partition_subalgoE3EiNS0_10empty_typeEbEEZZNS1_14partition_implILS5_3ELb0ES3_jN6thrust23THRUST_200600_302600_NS6detail15normal_iteratorINSA_7pointerIiNSA_11hip_rocprim5par_tENSA_11use_defaultESG_EEEEPS6_SJ_NS0_5tupleIJPiSJ_EEENSK_IJSJ_SJ_EEES6_PlJ7is_evenIiEEEE10hipError_tPvRmT3_T4_T5_T6_T7_T9_mT8_P12ihipStream_tbDpT10_ENKUlT_T0_E_clISt17integral_constantIbLb0EES1A_EEDaS15_S16_EUlS15_E_NS1_11comp_targetILNS1_3genE0ELNS1_11target_archE4294967295ELNS1_3gpuE0ELNS1_3repE0EEENS1_30default_config_static_selectorELNS0_4arch9wavefront6targetE1EEEvT1_,comdat
	.protected	_ZN7rocprim17ROCPRIM_400000_NS6detail17trampoline_kernelINS0_14default_configENS1_25partition_config_selectorILNS1_17partition_subalgoE3EiNS0_10empty_typeEbEEZZNS1_14partition_implILS5_3ELb0ES3_jN6thrust23THRUST_200600_302600_NS6detail15normal_iteratorINSA_7pointerIiNSA_11hip_rocprim5par_tENSA_11use_defaultESG_EEEEPS6_SJ_NS0_5tupleIJPiSJ_EEENSK_IJSJ_SJ_EEES6_PlJ7is_evenIiEEEE10hipError_tPvRmT3_T4_T5_T6_T7_T9_mT8_P12ihipStream_tbDpT10_ENKUlT_T0_E_clISt17integral_constantIbLb0EES1A_EEDaS15_S16_EUlS15_E_NS1_11comp_targetILNS1_3genE0ELNS1_11target_archE4294967295ELNS1_3gpuE0ELNS1_3repE0EEENS1_30default_config_static_selectorELNS0_4arch9wavefront6targetE1EEEvT1_ ; -- Begin function _ZN7rocprim17ROCPRIM_400000_NS6detail17trampoline_kernelINS0_14default_configENS1_25partition_config_selectorILNS1_17partition_subalgoE3EiNS0_10empty_typeEbEEZZNS1_14partition_implILS5_3ELb0ES3_jN6thrust23THRUST_200600_302600_NS6detail15normal_iteratorINSA_7pointerIiNSA_11hip_rocprim5par_tENSA_11use_defaultESG_EEEEPS6_SJ_NS0_5tupleIJPiSJ_EEENSK_IJSJ_SJ_EEES6_PlJ7is_evenIiEEEE10hipError_tPvRmT3_T4_T5_T6_T7_T9_mT8_P12ihipStream_tbDpT10_ENKUlT_T0_E_clISt17integral_constantIbLb0EES1A_EEDaS15_S16_EUlS15_E_NS1_11comp_targetILNS1_3genE0ELNS1_11target_archE4294967295ELNS1_3gpuE0ELNS1_3repE0EEENS1_30default_config_static_selectorELNS0_4arch9wavefront6targetE1EEEvT1_
	.globl	_ZN7rocprim17ROCPRIM_400000_NS6detail17trampoline_kernelINS0_14default_configENS1_25partition_config_selectorILNS1_17partition_subalgoE3EiNS0_10empty_typeEbEEZZNS1_14partition_implILS5_3ELb0ES3_jN6thrust23THRUST_200600_302600_NS6detail15normal_iteratorINSA_7pointerIiNSA_11hip_rocprim5par_tENSA_11use_defaultESG_EEEEPS6_SJ_NS0_5tupleIJPiSJ_EEENSK_IJSJ_SJ_EEES6_PlJ7is_evenIiEEEE10hipError_tPvRmT3_T4_T5_T6_T7_T9_mT8_P12ihipStream_tbDpT10_ENKUlT_T0_E_clISt17integral_constantIbLb0EES1A_EEDaS15_S16_EUlS15_E_NS1_11comp_targetILNS1_3genE0ELNS1_11target_archE4294967295ELNS1_3gpuE0ELNS1_3repE0EEENS1_30default_config_static_selectorELNS0_4arch9wavefront6targetE1EEEvT1_
	.p2align	8
	.type	_ZN7rocprim17ROCPRIM_400000_NS6detail17trampoline_kernelINS0_14default_configENS1_25partition_config_selectorILNS1_17partition_subalgoE3EiNS0_10empty_typeEbEEZZNS1_14partition_implILS5_3ELb0ES3_jN6thrust23THRUST_200600_302600_NS6detail15normal_iteratorINSA_7pointerIiNSA_11hip_rocprim5par_tENSA_11use_defaultESG_EEEEPS6_SJ_NS0_5tupleIJPiSJ_EEENSK_IJSJ_SJ_EEES6_PlJ7is_evenIiEEEE10hipError_tPvRmT3_T4_T5_T6_T7_T9_mT8_P12ihipStream_tbDpT10_ENKUlT_T0_E_clISt17integral_constantIbLb0EES1A_EEDaS15_S16_EUlS15_E_NS1_11comp_targetILNS1_3genE0ELNS1_11target_archE4294967295ELNS1_3gpuE0ELNS1_3repE0EEENS1_30default_config_static_selectorELNS0_4arch9wavefront6targetE1EEEvT1_,@function
_ZN7rocprim17ROCPRIM_400000_NS6detail17trampoline_kernelINS0_14default_configENS1_25partition_config_selectorILNS1_17partition_subalgoE3EiNS0_10empty_typeEbEEZZNS1_14partition_implILS5_3ELb0ES3_jN6thrust23THRUST_200600_302600_NS6detail15normal_iteratorINSA_7pointerIiNSA_11hip_rocprim5par_tENSA_11use_defaultESG_EEEEPS6_SJ_NS0_5tupleIJPiSJ_EEENSK_IJSJ_SJ_EEES6_PlJ7is_evenIiEEEE10hipError_tPvRmT3_T4_T5_T6_T7_T9_mT8_P12ihipStream_tbDpT10_ENKUlT_T0_E_clISt17integral_constantIbLb0EES1A_EEDaS15_S16_EUlS15_E_NS1_11comp_targetILNS1_3genE0ELNS1_11target_archE4294967295ELNS1_3gpuE0ELNS1_3repE0EEENS1_30default_config_static_selectorELNS0_4arch9wavefront6targetE1EEEvT1_: ; @_ZN7rocprim17ROCPRIM_400000_NS6detail17trampoline_kernelINS0_14default_configENS1_25partition_config_selectorILNS1_17partition_subalgoE3EiNS0_10empty_typeEbEEZZNS1_14partition_implILS5_3ELb0ES3_jN6thrust23THRUST_200600_302600_NS6detail15normal_iteratorINSA_7pointerIiNSA_11hip_rocprim5par_tENSA_11use_defaultESG_EEEEPS6_SJ_NS0_5tupleIJPiSJ_EEENSK_IJSJ_SJ_EEES6_PlJ7is_evenIiEEEE10hipError_tPvRmT3_T4_T5_T6_T7_T9_mT8_P12ihipStream_tbDpT10_ENKUlT_T0_E_clISt17integral_constantIbLb0EES1A_EEDaS15_S16_EUlS15_E_NS1_11comp_targetILNS1_3genE0ELNS1_11target_archE4294967295ELNS1_3gpuE0ELNS1_3repE0EEENS1_30default_config_static_selectorELNS0_4arch9wavefront6targetE1EEEvT1_
; %bb.0:
	.section	.rodata,"a",@progbits
	.p2align	6, 0x0
	.amdhsa_kernel _ZN7rocprim17ROCPRIM_400000_NS6detail17trampoline_kernelINS0_14default_configENS1_25partition_config_selectorILNS1_17partition_subalgoE3EiNS0_10empty_typeEbEEZZNS1_14partition_implILS5_3ELb0ES3_jN6thrust23THRUST_200600_302600_NS6detail15normal_iteratorINSA_7pointerIiNSA_11hip_rocprim5par_tENSA_11use_defaultESG_EEEEPS6_SJ_NS0_5tupleIJPiSJ_EEENSK_IJSJ_SJ_EEES6_PlJ7is_evenIiEEEE10hipError_tPvRmT3_T4_T5_T6_T7_T9_mT8_P12ihipStream_tbDpT10_ENKUlT_T0_E_clISt17integral_constantIbLb0EES1A_EEDaS15_S16_EUlS15_E_NS1_11comp_targetILNS1_3genE0ELNS1_11target_archE4294967295ELNS1_3gpuE0ELNS1_3repE0EEENS1_30default_config_static_selectorELNS0_4arch9wavefront6targetE1EEEvT1_
		.amdhsa_group_segment_fixed_size 0
		.amdhsa_private_segment_fixed_size 0
		.amdhsa_kernarg_size 120
		.amdhsa_user_sgpr_count 6
		.amdhsa_user_sgpr_private_segment_buffer 1
		.amdhsa_user_sgpr_dispatch_ptr 0
		.amdhsa_user_sgpr_queue_ptr 0
		.amdhsa_user_sgpr_kernarg_segment_ptr 1
		.amdhsa_user_sgpr_dispatch_id 0
		.amdhsa_user_sgpr_flat_scratch_init 0
		.amdhsa_user_sgpr_kernarg_preload_length 0
		.amdhsa_user_sgpr_kernarg_preload_offset 0
		.amdhsa_user_sgpr_private_segment_size 0
		.amdhsa_uses_dynamic_stack 0
		.amdhsa_system_sgpr_private_segment_wavefront_offset 0
		.amdhsa_system_sgpr_workgroup_id_x 1
		.amdhsa_system_sgpr_workgroup_id_y 0
		.amdhsa_system_sgpr_workgroup_id_z 0
		.amdhsa_system_sgpr_workgroup_info 0
		.amdhsa_system_vgpr_workitem_id 0
		.amdhsa_next_free_vgpr 1
		.amdhsa_next_free_sgpr 0
		.amdhsa_accum_offset 4
		.amdhsa_reserve_vcc 0
		.amdhsa_reserve_flat_scratch 0
		.amdhsa_float_round_mode_32 0
		.amdhsa_float_round_mode_16_64 0
		.amdhsa_float_denorm_mode_32 3
		.amdhsa_float_denorm_mode_16_64 3
		.amdhsa_dx10_clamp 1
		.amdhsa_ieee_mode 1
		.amdhsa_fp16_overflow 0
		.amdhsa_tg_split 0
		.amdhsa_exception_fp_ieee_invalid_op 0
		.amdhsa_exception_fp_denorm_src 0
		.amdhsa_exception_fp_ieee_div_zero 0
		.amdhsa_exception_fp_ieee_overflow 0
		.amdhsa_exception_fp_ieee_underflow 0
		.amdhsa_exception_fp_ieee_inexact 0
		.amdhsa_exception_int_div_zero 0
	.end_amdhsa_kernel
	.section	.text._ZN7rocprim17ROCPRIM_400000_NS6detail17trampoline_kernelINS0_14default_configENS1_25partition_config_selectorILNS1_17partition_subalgoE3EiNS0_10empty_typeEbEEZZNS1_14partition_implILS5_3ELb0ES3_jN6thrust23THRUST_200600_302600_NS6detail15normal_iteratorINSA_7pointerIiNSA_11hip_rocprim5par_tENSA_11use_defaultESG_EEEEPS6_SJ_NS0_5tupleIJPiSJ_EEENSK_IJSJ_SJ_EEES6_PlJ7is_evenIiEEEE10hipError_tPvRmT3_T4_T5_T6_T7_T9_mT8_P12ihipStream_tbDpT10_ENKUlT_T0_E_clISt17integral_constantIbLb0EES1A_EEDaS15_S16_EUlS15_E_NS1_11comp_targetILNS1_3genE0ELNS1_11target_archE4294967295ELNS1_3gpuE0ELNS1_3repE0EEENS1_30default_config_static_selectorELNS0_4arch9wavefront6targetE1EEEvT1_,"axG",@progbits,_ZN7rocprim17ROCPRIM_400000_NS6detail17trampoline_kernelINS0_14default_configENS1_25partition_config_selectorILNS1_17partition_subalgoE3EiNS0_10empty_typeEbEEZZNS1_14partition_implILS5_3ELb0ES3_jN6thrust23THRUST_200600_302600_NS6detail15normal_iteratorINSA_7pointerIiNSA_11hip_rocprim5par_tENSA_11use_defaultESG_EEEEPS6_SJ_NS0_5tupleIJPiSJ_EEENSK_IJSJ_SJ_EEES6_PlJ7is_evenIiEEEE10hipError_tPvRmT3_T4_T5_T6_T7_T9_mT8_P12ihipStream_tbDpT10_ENKUlT_T0_E_clISt17integral_constantIbLb0EES1A_EEDaS15_S16_EUlS15_E_NS1_11comp_targetILNS1_3genE0ELNS1_11target_archE4294967295ELNS1_3gpuE0ELNS1_3repE0EEENS1_30default_config_static_selectorELNS0_4arch9wavefront6targetE1EEEvT1_,comdat
.Lfunc_end3662:
	.size	_ZN7rocprim17ROCPRIM_400000_NS6detail17trampoline_kernelINS0_14default_configENS1_25partition_config_selectorILNS1_17partition_subalgoE3EiNS0_10empty_typeEbEEZZNS1_14partition_implILS5_3ELb0ES3_jN6thrust23THRUST_200600_302600_NS6detail15normal_iteratorINSA_7pointerIiNSA_11hip_rocprim5par_tENSA_11use_defaultESG_EEEEPS6_SJ_NS0_5tupleIJPiSJ_EEENSK_IJSJ_SJ_EEES6_PlJ7is_evenIiEEEE10hipError_tPvRmT3_T4_T5_T6_T7_T9_mT8_P12ihipStream_tbDpT10_ENKUlT_T0_E_clISt17integral_constantIbLb0EES1A_EEDaS15_S16_EUlS15_E_NS1_11comp_targetILNS1_3genE0ELNS1_11target_archE4294967295ELNS1_3gpuE0ELNS1_3repE0EEENS1_30default_config_static_selectorELNS0_4arch9wavefront6targetE1EEEvT1_, .Lfunc_end3662-_ZN7rocprim17ROCPRIM_400000_NS6detail17trampoline_kernelINS0_14default_configENS1_25partition_config_selectorILNS1_17partition_subalgoE3EiNS0_10empty_typeEbEEZZNS1_14partition_implILS5_3ELb0ES3_jN6thrust23THRUST_200600_302600_NS6detail15normal_iteratorINSA_7pointerIiNSA_11hip_rocprim5par_tENSA_11use_defaultESG_EEEEPS6_SJ_NS0_5tupleIJPiSJ_EEENSK_IJSJ_SJ_EEES6_PlJ7is_evenIiEEEE10hipError_tPvRmT3_T4_T5_T6_T7_T9_mT8_P12ihipStream_tbDpT10_ENKUlT_T0_E_clISt17integral_constantIbLb0EES1A_EEDaS15_S16_EUlS15_E_NS1_11comp_targetILNS1_3genE0ELNS1_11target_archE4294967295ELNS1_3gpuE0ELNS1_3repE0EEENS1_30default_config_static_selectorELNS0_4arch9wavefront6targetE1EEEvT1_
                                        ; -- End function
	.section	.AMDGPU.csdata,"",@progbits
; Kernel info:
; codeLenInByte = 0
; NumSgprs: 4
; NumVgprs: 0
; NumAgprs: 0
; TotalNumVgprs: 0
; ScratchSize: 0
; MemoryBound: 0
; FloatMode: 240
; IeeeMode: 1
; LDSByteSize: 0 bytes/workgroup (compile time only)
; SGPRBlocks: 0
; VGPRBlocks: 0
; NumSGPRsForWavesPerEU: 4
; NumVGPRsForWavesPerEU: 1
; AccumOffset: 4
; Occupancy: 8
; WaveLimiterHint : 0
; COMPUTE_PGM_RSRC2:SCRATCH_EN: 0
; COMPUTE_PGM_RSRC2:USER_SGPR: 6
; COMPUTE_PGM_RSRC2:TRAP_HANDLER: 0
; COMPUTE_PGM_RSRC2:TGID_X_EN: 1
; COMPUTE_PGM_RSRC2:TGID_Y_EN: 0
; COMPUTE_PGM_RSRC2:TGID_Z_EN: 0
; COMPUTE_PGM_RSRC2:TIDIG_COMP_CNT: 0
; COMPUTE_PGM_RSRC3_GFX90A:ACCUM_OFFSET: 0
; COMPUTE_PGM_RSRC3_GFX90A:TG_SPLIT: 0
	.section	.text._ZN7rocprim17ROCPRIM_400000_NS6detail17trampoline_kernelINS0_14default_configENS1_25partition_config_selectorILNS1_17partition_subalgoE3EiNS0_10empty_typeEbEEZZNS1_14partition_implILS5_3ELb0ES3_jN6thrust23THRUST_200600_302600_NS6detail15normal_iteratorINSA_7pointerIiNSA_11hip_rocprim5par_tENSA_11use_defaultESG_EEEEPS6_SJ_NS0_5tupleIJPiSJ_EEENSK_IJSJ_SJ_EEES6_PlJ7is_evenIiEEEE10hipError_tPvRmT3_T4_T5_T6_T7_T9_mT8_P12ihipStream_tbDpT10_ENKUlT_T0_E_clISt17integral_constantIbLb0EES1A_EEDaS15_S16_EUlS15_E_NS1_11comp_targetILNS1_3genE5ELNS1_11target_archE942ELNS1_3gpuE9ELNS1_3repE0EEENS1_30default_config_static_selectorELNS0_4arch9wavefront6targetE1EEEvT1_,"axG",@progbits,_ZN7rocprim17ROCPRIM_400000_NS6detail17trampoline_kernelINS0_14default_configENS1_25partition_config_selectorILNS1_17partition_subalgoE3EiNS0_10empty_typeEbEEZZNS1_14partition_implILS5_3ELb0ES3_jN6thrust23THRUST_200600_302600_NS6detail15normal_iteratorINSA_7pointerIiNSA_11hip_rocprim5par_tENSA_11use_defaultESG_EEEEPS6_SJ_NS0_5tupleIJPiSJ_EEENSK_IJSJ_SJ_EEES6_PlJ7is_evenIiEEEE10hipError_tPvRmT3_T4_T5_T6_T7_T9_mT8_P12ihipStream_tbDpT10_ENKUlT_T0_E_clISt17integral_constantIbLb0EES1A_EEDaS15_S16_EUlS15_E_NS1_11comp_targetILNS1_3genE5ELNS1_11target_archE942ELNS1_3gpuE9ELNS1_3repE0EEENS1_30default_config_static_selectorELNS0_4arch9wavefront6targetE1EEEvT1_,comdat
	.protected	_ZN7rocprim17ROCPRIM_400000_NS6detail17trampoline_kernelINS0_14default_configENS1_25partition_config_selectorILNS1_17partition_subalgoE3EiNS0_10empty_typeEbEEZZNS1_14partition_implILS5_3ELb0ES3_jN6thrust23THRUST_200600_302600_NS6detail15normal_iteratorINSA_7pointerIiNSA_11hip_rocprim5par_tENSA_11use_defaultESG_EEEEPS6_SJ_NS0_5tupleIJPiSJ_EEENSK_IJSJ_SJ_EEES6_PlJ7is_evenIiEEEE10hipError_tPvRmT3_T4_T5_T6_T7_T9_mT8_P12ihipStream_tbDpT10_ENKUlT_T0_E_clISt17integral_constantIbLb0EES1A_EEDaS15_S16_EUlS15_E_NS1_11comp_targetILNS1_3genE5ELNS1_11target_archE942ELNS1_3gpuE9ELNS1_3repE0EEENS1_30default_config_static_selectorELNS0_4arch9wavefront6targetE1EEEvT1_ ; -- Begin function _ZN7rocprim17ROCPRIM_400000_NS6detail17trampoline_kernelINS0_14default_configENS1_25partition_config_selectorILNS1_17partition_subalgoE3EiNS0_10empty_typeEbEEZZNS1_14partition_implILS5_3ELb0ES3_jN6thrust23THRUST_200600_302600_NS6detail15normal_iteratorINSA_7pointerIiNSA_11hip_rocprim5par_tENSA_11use_defaultESG_EEEEPS6_SJ_NS0_5tupleIJPiSJ_EEENSK_IJSJ_SJ_EEES6_PlJ7is_evenIiEEEE10hipError_tPvRmT3_T4_T5_T6_T7_T9_mT8_P12ihipStream_tbDpT10_ENKUlT_T0_E_clISt17integral_constantIbLb0EES1A_EEDaS15_S16_EUlS15_E_NS1_11comp_targetILNS1_3genE5ELNS1_11target_archE942ELNS1_3gpuE9ELNS1_3repE0EEENS1_30default_config_static_selectorELNS0_4arch9wavefront6targetE1EEEvT1_
	.globl	_ZN7rocprim17ROCPRIM_400000_NS6detail17trampoline_kernelINS0_14default_configENS1_25partition_config_selectorILNS1_17partition_subalgoE3EiNS0_10empty_typeEbEEZZNS1_14partition_implILS5_3ELb0ES3_jN6thrust23THRUST_200600_302600_NS6detail15normal_iteratorINSA_7pointerIiNSA_11hip_rocprim5par_tENSA_11use_defaultESG_EEEEPS6_SJ_NS0_5tupleIJPiSJ_EEENSK_IJSJ_SJ_EEES6_PlJ7is_evenIiEEEE10hipError_tPvRmT3_T4_T5_T6_T7_T9_mT8_P12ihipStream_tbDpT10_ENKUlT_T0_E_clISt17integral_constantIbLb0EES1A_EEDaS15_S16_EUlS15_E_NS1_11comp_targetILNS1_3genE5ELNS1_11target_archE942ELNS1_3gpuE9ELNS1_3repE0EEENS1_30default_config_static_selectorELNS0_4arch9wavefront6targetE1EEEvT1_
	.p2align	8
	.type	_ZN7rocprim17ROCPRIM_400000_NS6detail17trampoline_kernelINS0_14default_configENS1_25partition_config_selectorILNS1_17partition_subalgoE3EiNS0_10empty_typeEbEEZZNS1_14partition_implILS5_3ELb0ES3_jN6thrust23THRUST_200600_302600_NS6detail15normal_iteratorINSA_7pointerIiNSA_11hip_rocprim5par_tENSA_11use_defaultESG_EEEEPS6_SJ_NS0_5tupleIJPiSJ_EEENSK_IJSJ_SJ_EEES6_PlJ7is_evenIiEEEE10hipError_tPvRmT3_T4_T5_T6_T7_T9_mT8_P12ihipStream_tbDpT10_ENKUlT_T0_E_clISt17integral_constantIbLb0EES1A_EEDaS15_S16_EUlS15_E_NS1_11comp_targetILNS1_3genE5ELNS1_11target_archE942ELNS1_3gpuE9ELNS1_3repE0EEENS1_30default_config_static_selectorELNS0_4arch9wavefront6targetE1EEEvT1_,@function
_ZN7rocprim17ROCPRIM_400000_NS6detail17trampoline_kernelINS0_14default_configENS1_25partition_config_selectorILNS1_17partition_subalgoE3EiNS0_10empty_typeEbEEZZNS1_14partition_implILS5_3ELb0ES3_jN6thrust23THRUST_200600_302600_NS6detail15normal_iteratorINSA_7pointerIiNSA_11hip_rocprim5par_tENSA_11use_defaultESG_EEEEPS6_SJ_NS0_5tupleIJPiSJ_EEENSK_IJSJ_SJ_EEES6_PlJ7is_evenIiEEEE10hipError_tPvRmT3_T4_T5_T6_T7_T9_mT8_P12ihipStream_tbDpT10_ENKUlT_T0_E_clISt17integral_constantIbLb0EES1A_EEDaS15_S16_EUlS15_E_NS1_11comp_targetILNS1_3genE5ELNS1_11target_archE942ELNS1_3gpuE9ELNS1_3repE0EEENS1_30default_config_static_selectorELNS0_4arch9wavefront6targetE1EEEvT1_: ; @_ZN7rocprim17ROCPRIM_400000_NS6detail17trampoline_kernelINS0_14default_configENS1_25partition_config_selectorILNS1_17partition_subalgoE3EiNS0_10empty_typeEbEEZZNS1_14partition_implILS5_3ELb0ES3_jN6thrust23THRUST_200600_302600_NS6detail15normal_iteratorINSA_7pointerIiNSA_11hip_rocprim5par_tENSA_11use_defaultESG_EEEEPS6_SJ_NS0_5tupleIJPiSJ_EEENSK_IJSJ_SJ_EEES6_PlJ7is_evenIiEEEE10hipError_tPvRmT3_T4_T5_T6_T7_T9_mT8_P12ihipStream_tbDpT10_ENKUlT_T0_E_clISt17integral_constantIbLb0EES1A_EEDaS15_S16_EUlS15_E_NS1_11comp_targetILNS1_3genE5ELNS1_11target_archE942ELNS1_3gpuE9ELNS1_3repE0EEENS1_30default_config_static_selectorELNS0_4arch9wavefront6targetE1EEEvT1_
; %bb.0:
	.section	.rodata,"a",@progbits
	.p2align	6, 0x0
	.amdhsa_kernel _ZN7rocprim17ROCPRIM_400000_NS6detail17trampoline_kernelINS0_14default_configENS1_25partition_config_selectorILNS1_17partition_subalgoE3EiNS0_10empty_typeEbEEZZNS1_14partition_implILS5_3ELb0ES3_jN6thrust23THRUST_200600_302600_NS6detail15normal_iteratorINSA_7pointerIiNSA_11hip_rocprim5par_tENSA_11use_defaultESG_EEEEPS6_SJ_NS0_5tupleIJPiSJ_EEENSK_IJSJ_SJ_EEES6_PlJ7is_evenIiEEEE10hipError_tPvRmT3_T4_T5_T6_T7_T9_mT8_P12ihipStream_tbDpT10_ENKUlT_T0_E_clISt17integral_constantIbLb0EES1A_EEDaS15_S16_EUlS15_E_NS1_11comp_targetILNS1_3genE5ELNS1_11target_archE942ELNS1_3gpuE9ELNS1_3repE0EEENS1_30default_config_static_selectorELNS0_4arch9wavefront6targetE1EEEvT1_
		.amdhsa_group_segment_fixed_size 0
		.amdhsa_private_segment_fixed_size 0
		.amdhsa_kernarg_size 120
		.amdhsa_user_sgpr_count 6
		.amdhsa_user_sgpr_private_segment_buffer 1
		.amdhsa_user_sgpr_dispatch_ptr 0
		.amdhsa_user_sgpr_queue_ptr 0
		.amdhsa_user_sgpr_kernarg_segment_ptr 1
		.amdhsa_user_sgpr_dispatch_id 0
		.amdhsa_user_sgpr_flat_scratch_init 0
		.amdhsa_user_sgpr_kernarg_preload_length 0
		.amdhsa_user_sgpr_kernarg_preload_offset 0
		.amdhsa_user_sgpr_private_segment_size 0
		.amdhsa_uses_dynamic_stack 0
		.amdhsa_system_sgpr_private_segment_wavefront_offset 0
		.amdhsa_system_sgpr_workgroup_id_x 1
		.amdhsa_system_sgpr_workgroup_id_y 0
		.amdhsa_system_sgpr_workgroup_id_z 0
		.amdhsa_system_sgpr_workgroup_info 0
		.amdhsa_system_vgpr_workitem_id 0
		.amdhsa_next_free_vgpr 1
		.amdhsa_next_free_sgpr 0
		.amdhsa_accum_offset 4
		.amdhsa_reserve_vcc 0
		.amdhsa_reserve_flat_scratch 0
		.amdhsa_float_round_mode_32 0
		.amdhsa_float_round_mode_16_64 0
		.amdhsa_float_denorm_mode_32 3
		.amdhsa_float_denorm_mode_16_64 3
		.amdhsa_dx10_clamp 1
		.amdhsa_ieee_mode 1
		.amdhsa_fp16_overflow 0
		.amdhsa_tg_split 0
		.amdhsa_exception_fp_ieee_invalid_op 0
		.amdhsa_exception_fp_denorm_src 0
		.amdhsa_exception_fp_ieee_div_zero 0
		.amdhsa_exception_fp_ieee_overflow 0
		.amdhsa_exception_fp_ieee_underflow 0
		.amdhsa_exception_fp_ieee_inexact 0
		.amdhsa_exception_int_div_zero 0
	.end_amdhsa_kernel
	.section	.text._ZN7rocprim17ROCPRIM_400000_NS6detail17trampoline_kernelINS0_14default_configENS1_25partition_config_selectorILNS1_17partition_subalgoE3EiNS0_10empty_typeEbEEZZNS1_14partition_implILS5_3ELb0ES3_jN6thrust23THRUST_200600_302600_NS6detail15normal_iteratorINSA_7pointerIiNSA_11hip_rocprim5par_tENSA_11use_defaultESG_EEEEPS6_SJ_NS0_5tupleIJPiSJ_EEENSK_IJSJ_SJ_EEES6_PlJ7is_evenIiEEEE10hipError_tPvRmT3_T4_T5_T6_T7_T9_mT8_P12ihipStream_tbDpT10_ENKUlT_T0_E_clISt17integral_constantIbLb0EES1A_EEDaS15_S16_EUlS15_E_NS1_11comp_targetILNS1_3genE5ELNS1_11target_archE942ELNS1_3gpuE9ELNS1_3repE0EEENS1_30default_config_static_selectorELNS0_4arch9wavefront6targetE1EEEvT1_,"axG",@progbits,_ZN7rocprim17ROCPRIM_400000_NS6detail17trampoline_kernelINS0_14default_configENS1_25partition_config_selectorILNS1_17partition_subalgoE3EiNS0_10empty_typeEbEEZZNS1_14partition_implILS5_3ELb0ES3_jN6thrust23THRUST_200600_302600_NS6detail15normal_iteratorINSA_7pointerIiNSA_11hip_rocprim5par_tENSA_11use_defaultESG_EEEEPS6_SJ_NS0_5tupleIJPiSJ_EEENSK_IJSJ_SJ_EEES6_PlJ7is_evenIiEEEE10hipError_tPvRmT3_T4_T5_T6_T7_T9_mT8_P12ihipStream_tbDpT10_ENKUlT_T0_E_clISt17integral_constantIbLb0EES1A_EEDaS15_S16_EUlS15_E_NS1_11comp_targetILNS1_3genE5ELNS1_11target_archE942ELNS1_3gpuE9ELNS1_3repE0EEENS1_30default_config_static_selectorELNS0_4arch9wavefront6targetE1EEEvT1_,comdat
.Lfunc_end3663:
	.size	_ZN7rocprim17ROCPRIM_400000_NS6detail17trampoline_kernelINS0_14default_configENS1_25partition_config_selectorILNS1_17partition_subalgoE3EiNS0_10empty_typeEbEEZZNS1_14partition_implILS5_3ELb0ES3_jN6thrust23THRUST_200600_302600_NS6detail15normal_iteratorINSA_7pointerIiNSA_11hip_rocprim5par_tENSA_11use_defaultESG_EEEEPS6_SJ_NS0_5tupleIJPiSJ_EEENSK_IJSJ_SJ_EEES6_PlJ7is_evenIiEEEE10hipError_tPvRmT3_T4_T5_T6_T7_T9_mT8_P12ihipStream_tbDpT10_ENKUlT_T0_E_clISt17integral_constantIbLb0EES1A_EEDaS15_S16_EUlS15_E_NS1_11comp_targetILNS1_3genE5ELNS1_11target_archE942ELNS1_3gpuE9ELNS1_3repE0EEENS1_30default_config_static_selectorELNS0_4arch9wavefront6targetE1EEEvT1_, .Lfunc_end3663-_ZN7rocprim17ROCPRIM_400000_NS6detail17trampoline_kernelINS0_14default_configENS1_25partition_config_selectorILNS1_17partition_subalgoE3EiNS0_10empty_typeEbEEZZNS1_14partition_implILS5_3ELb0ES3_jN6thrust23THRUST_200600_302600_NS6detail15normal_iteratorINSA_7pointerIiNSA_11hip_rocprim5par_tENSA_11use_defaultESG_EEEEPS6_SJ_NS0_5tupleIJPiSJ_EEENSK_IJSJ_SJ_EEES6_PlJ7is_evenIiEEEE10hipError_tPvRmT3_T4_T5_T6_T7_T9_mT8_P12ihipStream_tbDpT10_ENKUlT_T0_E_clISt17integral_constantIbLb0EES1A_EEDaS15_S16_EUlS15_E_NS1_11comp_targetILNS1_3genE5ELNS1_11target_archE942ELNS1_3gpuE9ELNS1_3repE0EEENS1_30default_config_static_selectorELNS0_4arch9wavefront6targetE1EEEvT1_
                                        ; -- End function
	.section	.AMDGPU.csdata,"",@progbits
; Kernel info:
; codeLenInByte = 0
; NumSgprs: 4
; NumVgprs: 0
; NumAgprs: 0
; TotalNumVgprs: 0
; ScratchSize: 0
; MemoryBound: 0
; FloatMode: 240
; IeeeMode: 1
; LDSByteSize: 0 bytes/workgroup (compile time only)
; SGPRBlocks: 0
; VGPRBlocks: 0
; NumSGPRsForWavesPerEU: 4
; NumVGPRsForWavesPerEU: 1
; AccumOffset: 4
; Occupancy: 8
; WaveLimiterHint : 0
; COMPUTE_PGM_RSRC2:SCRATCH_EN: 0
; COMPUTE_PGM_RSRC2:USER_SGPR: 6
; COMPUTE_PGM_RSRC2:TRAP_HANDLER: 0
; COMPUTE_PGM_RSRC2:TGID_X_EN: 1
; COMPUTE_PGM_RSRC2:TGID_Y_EN: 0
; COMPUTE_PGM_RSRC2:TGID_Z_EN: 0
; COMPUTE_PGM_RSRC2:TIDIG_COMP_CNT: 0
; COMPUTE_PGM_RSRC3_GFX90A:ACCUM_OFFSET: 0
; COMPUTE_PGM_RSRC3_GFX90A:TG_SPLIT: 0
	.section	.text._ZN7rocprim17ROCPRIM_400000_NS6detail17trampoline_kernelINS0_14default_configENS1_25partition_config_selectorILNS1_17partition_subalgoE3EiNS0_10empty_typeEbEEZZNS1_14partition_implILS5_3ELb0ES3_jN6thrust23THRUST_200600_302600_NS6detail15normal_iteratorINSA_7pointerIiNSA_11hip_rocprim5par_tENSA_11use_defaultESG_EEEEPS6_SJ_NS0_5tupleIJPiSJ_EEENSK_IJSJ_SJ_EEES6_PlJ7is_evenIiEEEE10hipError_tPvRmT3_T4_T5_T6_T7_T9_mT8_P12ihipStream_tbDpT10_ENKUlT_T0_E_clISt17integral_constantIbLb0EES1A_EEDaS15_S16_EUlS15_E_NS1_11comp_targetILNS1_3genE4ELNS1_11target_archE910ELNS1_3gpuE8ELNS1_3repE0EEENS1_30default_config_static_selectorELNS0_4arch9wavefront6targetE1EEEvT1_,"axG",@progbits,_ZN7rocprim17ROCPRIM_400000_NS6detail17trampoline_kernelINS0_14default_configENS1_25partition_config_selectorILNS1_17partition_subalgoE3EiNS0_10empty_typeEbEEZZNS1_14partition_implILS5_3ELb0ES3_jN6thrust23THRUST_200600_302600_NS6detail15normal_iteratorINSA_7pointerIiNSA_11hip_rocprim5par_tENSA_11use_defaultESG_EEEEPS6_SJ_NS0_5tupleIJPiSJ_EEENSK_IJSJ_SJ_EEES6_PlJ7is_evenIiEEEE10hipError_tPvRmT3_T4_T5_T6_T7_T9_mT8_P12ihipStream_tbDpT10_ENKUlT_T0_E_clISt17integral_constantIbLb0EES1A_EEDaS15_S16_EUlS15_E_NS1_11comp_targetILNS1_3genE4ELNS1_11target_archE910ELNS1_3gpuE8ELNS1_3repE0EEENS1_30default_config_static_selectorELNS0_4arch9wavefront6targetE1EEEvT1_,comdat
	.protected	_ZN7rocprim17ROCPRIM_400000_NS6detail17trampoline_kernelINS0_14default_configENS1_25partition_config_selectorILNS1_17partition_subalgoE3EiNS0_10empty_typeEbEEZZNS1_14partition_implILS5_3ELb0ES3_jN6thrust23THRUST_200600_302600_NS6detail15normal_iteratorINSA_7pointerIiNSA_11hip_rocprim5par_tENSA_11use_defaultESG_EEEEPS6_SJ_NS0_5tupleIJPiSJ_EEENSK_IJSJ_SJ_EEES6_PlJ7is_evenIiEEEE10hipError_tPvRmT3_T4_T5_T6_T7_T9_mT8_P12ihipStream_tbDpT10_ENKUlT_T0_E_clISt17integral_constantIbLb0EES1A_EEDaS15_S16_EUlS15_E_NS1_11comp_targetILNS1_3genE4ELNS1_11target_archE910ELNS1_3gpuE8ELNS1_3repE0EEENS1_30default_config_static_selectorELNS0_4arch9wavefront6targetE1EEEvT1_ ; -- Begin function _ZN7rocprim17ROCPRIM_400000_NS6detail17trampoline_kernelINS0_14default_configENS1_25partition_config_selectorILNS1_17partition_subalgoE3EiNS0_10empty_typeEbEEZZNS1_14partition_implILS5_3ELb0ES3_jN6thrust23THRUST_200600_302600_NS6detail15normal_iteratorINSA_7pointerIiNSA_11hip_rocprim5par_tENSA_11use_defaultESG_EEEEPS6_SJ_NS0_5tupleIJPiSJ_EEENSK_IJSJ_SJ_EEES6_PlJ7is_evenIiEEEE10hipError_tPvRmT3_T4_T5_T6_T7_T9_mT8_P12ihipStream_tbDpT10_ENKUlT_T0_E_clISt17integral_constantIbLb0EES1A_EEDaS15_S16_EUlS15_E_NS1_11comp_targetILNS1_3genE4ELNS1_11target_archE910ELNS1_3gpuE8ELNS1_3repE0EEENS1_30default_config_static_selectorELNS0_4arch9wavefront6targetE1EEEvT1_
	.globl	_ZN7rocprim17ROCPRIM_400000_NS6detail17trampoline_kernelINS0_14default_configENS1_25partition_config_selectorILNS1_17partition_subalgoE3EiNS0_10empty_typeEbEEZZNS1_14partition_implILS5_3ELb0ES3_jN6thrust23THRUST_200600_302600_NS6detail15normal_iteratorINSA_7pointerIiNSA_11hip_rocprim5par_tENSA_11use_defaultESG_EEEEPS6_SJ_NS0_5tupleIJPiSJ_EEENSK_IJSJ_SJ_EEES6_PlJ7is_evenIiEEEE10hipError_tPvRmT3_T4_T5_T6_T7_T9_mT8_P12ihipStream_tbDpT10_ENKUlT_T0_E_clISt17integral_constantIbLb0EES1A_EEDaS15_S16_EUlS15_E_NS1_11comp_targetILNS1_3genE4ELNS1_11target_archE910ELNS1_3gpuE8ELNS1_3repE0EEENS1_30default_config_static_selectorELNS0_4arch9wavefront6targetE1EEEvT1_
	.p2align	8
	.type	_ZN7rocprim17ROCPRIM_400000_NS6detail17trampoline_kernelINS0_14default_configENS1_25partition_config_selectorILNS1_17partition_subalgoE3EiNS0_10empty_typeEbEEZZNS1_14partition_implILS5_3ELb0ES3_jN6thrust23THRUST_200600_302600_NS6detail15normal_iteratorINSA_7pointerIiNSA_11hip_rocprim5par_tENSA_11use_defaultESG_EEEEPS6_SJ_NS0_5tupleIJPiSJ_EEENSK_IJSJ_SJ_EEES6_PlJ7is_evenIiEEEE10hipError_tPvRmT3_T4_T5_T6_T7_T9_mT8_P12ihipStream_tbDpT10_ENKUlT_T0_E_clISt17integral_constantIbLb0EES1A_EEDaS15_S16_EUlS15_E_NS1_11comp_targetILNS1_3genE4ELNS1_11target_archE910ELNS1_3gpuE8ELNS1_3repE0EEENS1_30default_config_static_selectorELNS0_4arch9wavefront6targetE1EEEvT1_,@function
_ZN7rocprim17ROCPRIM_400000_NS6detail17trampoline_kernelINS0_14default_configENS1_25partition_config_selectorILNS1_17partition_subalgoE3EiNS0_10empty_typeEbEEZZNS1_14partition_implILS5_3ELb0ES3_jN6thrust23THRUST_200600_302600_NS6detail15normal_iteratorINSA_7pointerIiNSA_11hip_rocprim5par_tENSA_11use_defaultESG_EEEEPS6_SJ_NS0_5tupleIJPiSJ_EEENSK_IJSJ_SJ_EEES6_PlJ7is_evenIiEEEE10hipError_tPvRmT3_T4_T5_T6_T7_T9_mT8_P12ihipStream_tbDpT10_ENKUlT_T0_E_clISt17integral_constantIbLb0EES1A_EEDaS15_S16_EUlS15_E_NS1_11comp_targetILNS1_3genE4ELNS1_11target_archE910ELNS1_3gpuE8ELNS1_3repE0EEENS1_30default_config_static_selectorELNS0_4arch9wavefront6targetE1EEEvT1_: ; @_ZN7rocprim17ROCPRIM_400000_NS6detail17trampoline_kernelINS0_14default_configENS1_25partition_config_selectorILNS1_17partition_subalgoE3EiNS0_10empty_typeEbEEZZNS1_14partition_implILS5_3ELb0ES3_jN6thrust23THRUST_200600_302600_NS6detail15normal_iteratorINSA_7pointerIiNSA_11hip_rocprim5par_tENSA_11use_defaultESG_EEEEPS6_SJ_NS0_5tupleIJPiSJ_EEENSK_IJSJ_SJ_EEES6_PlJ7is_evenIiEEEE10hipError_tPvRmT3_T4_T5_T6_T7_T9_mT8_P12ihipStream_tbDpT10_ENKUlT_T0_E_clISt17integral_constantIbLb0EES1A_EEDaS15_S16_EUlS15_E_NS1_11comp_targetILNS1_3genE4ELNS1_11target_archE910ELNS1_3gpuE8ELNS1_3repE0EEENS1_30default_config_static_selectorELNS0_4arch9wavefront6targetE1EEEvT1_
; %bb.0:
	s_load_dwordx4 s[20:23], s[4:5], 0x8
	s_load_dwordx4 s[24:27], s[4:5], 0x48
	s_load_dwordx2 s[28:29], s[4:5], 0x58
	s_load_dword s2, s[4:5], 0x70
	s_mul_i32 s30, s6, 0xa00
	s_waitcnt lgkmcnt(0)
	s_lshl_b64 s[0:1], s[22:23], 2
	s_add_u32 s7, s20, s0
	s_addc_u32 s8, s21, s1
	s_mul_i32 s0, s2, 0xa00
	s_add_i32 s1, s0, s22
	s_sub_i32 s33, s28, s1
	s_add_i32 s3, s2, -1
	s_addk_i32 s33, 0xa00
	s_add_u32 s0, s22, s0
	s_addc_u32 s1, s23, 0
	s_cmp_eq_u32 s6, s3
	s_load_dwordx2 s[34:35], s[26:27], 0x0
	v_pk_mov_b32 v[2:3], s[28:29], s[28:29] op_sel:[0,1]
	s_cselect_b64 s[26:27], -1, 0
	s_cmp_lg_u32 s6, s3
	s_mov_b32 s31, 0
	v_cmp_lt_u64_e32 vcc, s[0:1], v[2:3]
	s_cselect_b64 s[0:1], -1, 0
	s_or_b64 s[2:3], s[0:1], vcc
	s_lshl_b64 s[0:1], s[30:31], 2
	s_add_u32 s7, s7, s0
	s_addc_u32 s10, s8, s1
	s_mov_b64 s[0:1], -1
	s_and_b64 vcc, exec, s[2:3]
	v_lshlrev_b32_e32 v1, 2, v0
	s_cbranch_vccz .LBB3664_2
; %bb.1:
	v_mov_b32_e32 v3, s10
	v_add_co_u32_e32 v2, vcc, s7, v1
	v_addc_co_u32_e32 v3, vcc, 0, v3, vcc
	v_add_co_u32_e32 v4, vcc, 0x1000, v2
	v_addc_co_u32_e32 v5, vcc, 0, v3, vcc
	flat_load_dword v6, v[2:3]
	flat_load_dword v7, v[2:3] offset:1024
	flat_load_dword v8, v[2:3] offset:2048
	;; [unrolled: 1-line block ×3, first 2 shown]
	flat_load_dword v10, v[4:5]
	flat_load_dword v11, v[4:5] offset:1024
	flat_load_dword v12, v[4:5] offset:2048
	;; [unrolled: 1-line block ×3, first 2 shown]
	v_add_co_u32_e32 v2, vcc, 0x2000, v2
	v_addc_co_u32_e32 v3, vcc, 0, v3, vcc
	flat_load_dword v4, v[2:3]
	flat_load_dword v5, v[2:3] offset:1024
	s_mov_b64 s[0:1], 0
	s_waitcnt vmcnt(0) lgkmcnt(0)
	ds_write2st64_b32 v1, v6, v7 offset1:4
	ds_write2st64_b32 v1, v8, v9 offset0:8 offset1:12
	ds_write2st64_b32 v1, v10, v11 offset0:16 offset1:20
	;; [unrolled: 1-line block ×4, first 2 shown]
	s_waitcnt lgkmcnt(0)
	s_barrier
.LBB3664_2:
	s_andn2_b64 vcc, exec, s[0:1]
	v_cmp_gt_u32_e64 s[0:1], s33, v0
	s_cbranch_vccnz .LBB3664_24
; %bb.3:
                                        ; implicit-def: $vgpr2_vgpr3_vgpr4_vgpr5_vgpr6_vgpr7_vgpr8_vgpr9_vgpr10_vgpr11
	s_and_saveexec_b64 s[8:9], s[0:1]
	s_cbranch_execz .LBB3664_5
; %bb.4:
	v_mov_b32_e32 v3, s10
	v_add_co_u32_e32 v2, vcc, s7, v1
	v_addc_co_u32_e32 v3, vcc, 0, v3, vcc
	flat_load_dword v2, v[2:3]
.LBB3664_5:
	s_or_b64 exec, exec, s[8:9]
	v_or_b32_e32 v12, 0x100, v0
	v_cmp_gt_u32_e32 vcc, s33, v12
	s_and_saveexec_b64 s[0:1], vcc
	s_cbranch_execz .LBB3664_7
; %bb.6:
	v_mov_b32_e32 v3, s10
	v_add_co_u32_e32 v12, vcc, s7, v1
	v_addc_co_u32_e32 v13, vcc, 0, v3, vcc
	flat_load_dword v3, v[12:13] offset:1024
.LBB3664_7:
	s_or_b64 exec, exec, s[0:1]
	v_or_b32_e32 v12, 0x200, v0
	v_cmp_gt_u32_e32 vcc, s33, v12
	s_and_saveexec_b64 s[0:1], vcc
	s_cbranch_execz .LBB3664_9
; %bb.8:
	v_mov_b32_e32 v4, s10
	v_add_co_u32_e32 v12, vcc, s7, v1
	v_addc_co_u32_e32 v13, vcc, 0, v4, vcc
	flat_load_dword v4, v[12:13] offset:2048
.LBB3664_9:
	;; [unrolled: 11-line block ×3, first 2 shown]
	s_or_b64 exec, exec, s[0:1]
	v_or_b32_e32 v12, 0x400, v0
	v_cmp_gt_u32_e32 vcc, s33, v12
	s_and_saveexec_b64 s[0:1], vcc
	s_cbranch_execz .LBB3664_13
; %bb.12:
	v_lshlrev_b32_e32 v6, 2, v12
	v_mov_b32_e32 v13, s10
	v_add_co_u32_e32 v12, vcc, s7, v6
	v_addc_co_u32_e32 v13, vcc, 0, v13, vcc
	flat_load_dword v6, v[12:13]
.LBB3664_13:
	s_or_b64 exec, exec, s[0:1]
	v_or_b32_e32 v12, 0x500, v0
	v_cmp_gt_u32_e32 vcc, s33, v12
	s_and_saveexec_b64 s[0:1], vcc
	s_cbranch_execz .LBB3664_15
; %bb.14:
	v_lshlrev_b32_e32 v7, 2, v12
	v_mov_b32_e32 v13, s10
	v_add_co_u32_e32 v12, vcc, s7, v7
	v_addc_co_u32_e32 v13, vcc, 0, v13, vcc
	flat_load_dword v7, v[12:13]
.LBB3664_15:
	;; [unrolled: 12-line block ×6, first 2 shown]
	s_or_b64 exec, exec, s[0:1]
	s_waitcnt vmcnt(0) lgkmcnt(0)
	ds_write2st64_b32 v1, v2, v3 offset1:4
	ds_write2st64_b32 v1, v4, v5 offset0:8 offset1:12
	ds_write2st64_b32 v1, v6, v7 offset0:16 offset1:20
	;; [unrolled: 1-line block ×4, first 2 shown]
	s_waitcnt lgkmcnt(0)
	s_barrier
.LBB3664_24:
	v_mul_u32_u24_e32 v23, 10, v0
	v_lshlrev_b32_e32 v29, 2, v23
	s_waitcnt lgkmcnt(0)
	ds_read2_b64 v[6:9], v29 offset1:1
	ds_read2_b64 v[2:5], v29 offset0:2 offset1:3
	ds_read_b64 v[12:13], v29 offset:32
	v_cndmask_b32_e64 v10, 0, 1, s[2:3]
	v_cmp_ne_u32_e64 s[0:1], 1, v10
	s_andn2_b64 vcc, exec, s[2:3]
	s_waitcnt lgkmcnt(2)
	v_xor_b32_e32 v21, -1, v6
	v_xor_b32_e32 v20, -1, v7
	;; [unrolled: 1-line block ×4, first 2 shown]
	s_waitcnt lgkmcnt(1)
	v_xor_b32_e32 v17, -1, v2
	v_xor_b32_e32 v16, -1, v3
	;; [unrolled: 1-line block ×4, first 2 shown]
	s_waitcnt lgkmcnt(0)
	v_xor_b32_e32 v11, -1, v12
	v_xor_b32_e32 v10, -1, v13
	s_barrier
	s_cbranch_vccnz .LBB3664_26
; %bb.25:
	v_mov_b32_e32 v22, 1
	v_and_b32_e32 v25, 1, v21
	v_and_b32_sdwa v26, v20, v22 dst_sel:BYTE_1 dst_unused:UNUSED_PAD src0_sel:DWORD src1_sel:DWORD
	v_and_b32_e32 v27, 1, v19
	v_and_b32_sdwa v28, v18, v22 dst_sel:BYTE_1 dst_unused:UNUSED_PAD src0_sel:DWORD src1_sel:DWORD
	;; [unrolled: 2-line block ×4, first 2 shown]
	v_or_b32_e32 v25, v25, v26
	v_or_b32_sdwa v26, v27, v28 dst_sel:WORD_1 dst_unused:UNUSED_PAD src0_sel:DWORD src1_sel:DWORD
	v_or_b32_sdwa v26, v25, v26 dst_sel:DWORD dst_unused:UNUSED_PAD src0_sel:WORD_0 src1_sel:DWORD
	v_or_b32_e32 v25, v30, v31
	v_or_b32_sdwa v27, v32, v33 dst_sel:WORD_1 dst_unused:UNUSED_PAD src0_sel:DWORD src1_sel:DWORD
	v_and_b32_e32 v24, 1, v11
	v_and_b32_e32 v22, 1, v10
	v_or_b32_sdwa v25, v25, v27 dst_sel:DWORD dst_unused:UNUSED_PAD src0_sel:WORD_0 src1_sel:DWORD
	s_load_dwordx2 s[36:37], s[4:5], 0x68
	s_cbranch_execz .LBB3664_27
	s_branch .LBB3664_28
.LBB3664_26:
                                        ; implicit-def: $vgpr22
                                        ; implicit-def: $vgpr24
                                        ; implicit-def: $vgpr25
                                        ; implicit-def: $vgpr26
	s_load_dwordx2 s[36:37], s[4:5], 0x68
.LBB3664_27:
	v_or_b32_e32 v32, 1, v23
	v_cmp_gt_u32_e32 vcc, s33, v23
	v_add_u32_e32 v22, 2, v23
	v_cndmask_b32_e64 v33, 0, 1, vcc
	v_cmp_gt_u32_e32 vcc, s33, v32
	v_add_u32_e32 v31, 3, v23
	v_cndmask_b32_e64 v32, 0, 1, vcc
	;; [unrolled: 3-line block ×3, first 2 shown]
	v_cmp_gt_u32_e32 vcc, s33, v31
	v_add_u32_e32 v30, 5, v23
	v_and_b32_e32 v19, v22, v19
	v_cndmask_b32_e64 v22, 0, 1, vcc
	v_cmp_gt_u32_e32 vcc, s33, v24
	v_add_u32_e32 v25, 6, v23
	v_and_b32_sdwa v18, v22, v18 dst_sel:BYTE_1 dst_unused:UNUSED_PAD src0_sel:DWORD src1_sel:DWORD
	v_cndmask_b32_e64 v22, 0, 1, vcc
	v_cmp_gt_u32_e32 vcc, s33, v30
	v_add_u32_e32 v28, 7, v23
	v_and_b32_e32 v17, v22, v17
	v_cndmask_b32_e64 v22, 0, 1, vcc
	v_cmp_gt_u32_e32 vcc, s33, v25
	v_add_u32_e32 v26, 8, v23
	v_and_b32_sdwa v16, v22, v16 dst_sel:BYTE_1 dst_unused:UNUSED_PAD src0_sel:DWORD src1_sel:DWORD
	v_cndmask_b32_e64 v22, 0, 1, vcc
	v_cmp_gt_u32_e32 vcc, s33, v28
	v_add_u32_e32 v27, 9, v23
	v_and_b32_e32 v15, v22, v15
	v_cndmask_b32_e64 v22, 0, 1, vcc
	v_cmp_gt_u32_e32 vcc, s33, v26
	v_and_b32_sdwa v14, v22, v14 dst_sel:BYTE_1 dst_unused:UNUSED_PAD src0_sel:DWORD src1_sel:DWORD
	v_cndmask_b32_e64 v22, 0, 1, vcc
	v_cmp_gt_u32_e32 vcc, s33, v27
	v_and_b32_e32 v21, v33, v21
	v_and_b32_sdwa v20, v32, v20 dst_sel:BYTE_1 dst_unused:UNUSED_PAD src0_sel:DWORD src1_sel:DWORD
	v_and_b32_e32 v24, v22, v11
	v_cndmask_b32_e64 v11, 0, 1, vcc
	v_and_b32_e32 v22, v11, v10
	v_or_b32_e32 v10, v21, v20
	v_or_b32_sdwa v11, v19, v18 dst_sel:WORD_1 dst_unused:UNUSED_PAD src0_sel:DWORD src1_sel:DWORD
	v_or_b32_sdwa v26, v10, v11 dst_sel:DWORD dst_unused:UNUSED_PAD src0_sel:WORD_0 src1_sel:DWORD
	v_or_b32_e32 v10, v17, v16
	v_or_b32_sdwa v11, v15, v14 dst_sel:WORD_1 dst_unused:UNUSED_PAD src0_sel:DWORD src1_sel:DWORD
	v_or_b32_sdwa v25, v10, v11 dst_sel:DWORD dst_unused:UNUSED_PAD src0_sel:WORD_0 src1_sel:DWORD
.LBB3664_28:
	v_bfe_u32 v30, v26, 16, 8
	v_lshrrev_b32_e32 v28, 24, v26
	v_add_u32_sdwa v11, v26, v26 dst_sel:DWORD dst_unused:UNUSED_PAD src0_sel:BYTE_1 src1_sel:BYTE_0
	v_and_b32_e32 v31, 0xff, v25
	v_bfe_u32 v32, v25, 8, 8
	v_add3_u32 v11, v11, v30, v28
	v_bfe_u32 v33, v25, 16, 8
	v_lshrrev_b32_e32 v27, 24, v25
	v_add3_u32 v11, v11, v31, v32
	v_and_b32_e32 v34, 0xff, v24
	v_and_b32_e32 v10, 0xff, v22
	v_add3_u32 v11, v11, v33, v27
	v_add3_u32 v37, v11, v34, v10
	v_mbcnt_lo_u32_b32 v10, -1, 0
	v_mbcnt_hi_u32_b32 v35, -1, v10
	v_and_b32_e32 v10, 15, v35
	v_cmp_eq_u32_e64 s[16:17], 0, v10
	v_cmp_lt_u32_e64 s[14:15], 1, v10
	v_cmp_lt_u32_e64 s[12:13], 3, v10
	;; [unrolled: 1-line block ×3, first 2 shown]
	v_and_b32_e32 v10, 16, v35
	v_cmp_eq_u32_e64 s[8:9], 0, v10
	v_or_b32_e32 v10, 63, v0
	s_cmp_lg_u32 s6, 0
	v_cmp_lt_u32_e64 s[2:3], 31, v35
	v_lshrrev_b32_e32 v36, 6, v0
	v_cmp_eq_u32_e64 s[20:21], v10, v0
	s_cbranch_scc0 .LBB3664_55
; %bb.29:
	v_mov_b32_dpp v10, v37 row_shr:1 row_mask:0xf bank_mask:0xf
	v_cndmask_b32_e64 v10, v10, 0, s[16:17]
	v_add_u32_e32 v10, v10, v37
	s_nop 1
	v_mov_b32_dpp v11, v10 row_shr:2 row_mask:0xf bank_mask:0xf
	v_cndmask_b32_e64 v11, 0, v11, s[14:15]
	v_add_u32_e32 v10, v10, v11
	s_nop 1
	;; [unrolled: 4-line block ×4, first 2 shown]
	v_mov_b32_dpp v11, v10 row_bcast:15 row_mask:0xf bank_mask:0xf
	v_cndmask_b32_e64 v11, v11, 0, s[8:9]
	v_add_u32_e32 v10, v10, v11
	s_nop 1
	v_mov_b32_dpp v11, v10 row_bcast:31 row_mask:0xf bank_mask:0xf
	v_cndmask_b32_e64 v11, 0, v11, s[2:3]
	v_add_u32_e32 v10, v10, v11
	s_and_saveexec_b64 s[18:19], s[20:21]
	s_cbranch_execz .LBB3664_31
; %bb.30:
	v_lshlrev_b32_e32 v11, 2, v36
	ds_write_b32 v11, v10
.LBB3664_31:
	s_or_b64 exec, exec, s[18:19]
	v_cmp_gt_u32_e32 vcc, 4, v0
	s_waitcnt lgkmcnt(0)
	s_barrier
	s_and_saveexec_b64 s[18:19], vcc
	s_cbranch_execz .LBB3664_33
; %bb.32:
	ds_read_b32 v11, v1
	v_and_b32_e32 v14, 3, v35
	v_cmp_ne_u32_e32 vcc, 0, v14
	s_waitcnt lgkmcnt(0)
	v_mov_b32_dpp v15, v11 row_shr:1 row_mask:0xf bank_mask:0xf
	v_cndmask_b32_e32 v15, 0, v15, vcc
	v_add_u32_e32 v11, v15, v11
	v_cmp_lt_u32_e32 vcc, 1, v14
	s_nop 0
	v_mov_b32_dpp v15, v11 row_shr:2 row_mask:0xf bank_mask:0xf
	v_cndmask_b32_e32 v14, 0, v15, vcc
	v_add_u32_e32 v11, v11, v14
	ds_write_b32 v1, v11
.LBB3664_33:
	s_or_b64 exec, exec, s[18:19]
	v_cmp_gt_u32_e32 vcc, 64, v0
	v_cmp_lt_u32_e64 s[18:19], 63, v0
	s_waitcnt lgkmcnt(0)
	s_barrier
	s_waitcnt lgkmcnt(0)
                                        ; implicit-def: $vgpr38
	s_and_saveexec_b64 s[38:39], s[18:19]
	s_cbranch_execz .LBB3664_35
; %bb.34:
	v_lshl_add_u32 v11, v36, 2, -4
	ds_read_b32 v38, v11
	s_waitcnt lgkmcnt(0)
	v_add_u32_e32 v10, v38, v10
.LBB3664_35:
	s_or_b64 exec, exec, s[38:39]
	v_add_u32_e32 v11, -1, v35
	v_and_b32_e32 v14, 64, v35
	v_cmp_lt_i32_e64 s[18:19], v11, v14
	v_cndmask_b32_e64 v11, v11, v35, s[18:19]
	v_lshlrev_b32_e32 v11, 2, v11
	ds_bpermute_b32 v39, v11, v10
	v_cmp_eq_u32_e64 s[18:19], 0, v35
	s_and_saveexec_b64 s[38:39], vcc
	s_cbranch_execz .LBB3664_54
; %bb.36:
	v_mov_b32_e32 v19, 0
	ds_read_b32 v10, v19 offset:12
	s_and_saveexec_b64 s[40:41], s[18:19]
	s_cbranch_execz .LBB3664_38
; %bb.37:
	s_add_i32 s42, s6, 64
	s_mov_b32 s43, 0
	s_lshl_b64 s[42:43], s[42:43], 3
	s_add_u32 s42, s36, s42
	v_mov_b32_e32 v11, 1
	s_addc_u32 s43, s37, s43
	s_waitcnt lgkmcnt(0)
	global_store_dwordx2 v19, v[10:11], s[42:43]
.LBB3664_38:
	s_or_b64 exec, exec, s[40:41]
	v_xad_u32 v14, v35, -1, s6
	v_add_u32_e32 v18, 64, v14
	v_lshlrev_b64 v[16:17], 3, v[18:19]
	v_mov_b32_e32 v11, s37
	v_add_co_u32_e32 v20, vcc, s36, v16
	v_addc_co_u32_e32 v21, vcc, v11, v17, vcc
	global_load_dwordx2 v[16:17], v[20:21], off glc
	s_waitcnt vmcnt(0)
	v_cmp_eq_u16_sdwa s[42:43], v17, v19 src0_sel:BYTE_0 src1_sel:DWORD
	s_and_saveexec_b64 s[40:41], s[42:43]
	s_cbranch_execz .LBB3664_42
; %bb.39:
	s_mov_b64 s[42:43], 0
	v_mov_b32_e32 v11, 0
.LBB3664_40:                            ; =>This Inner Loop Header: Depth=1
	global_load_dwordx2 v[16:17], v[20:21], off glc
	s_waitcnt vmcnt(0)
	v_cmp_ne_u16_sdwa s[44:45], v17, v11 src0_sel:BYTE_0 src1_sel:DWORD
	s_or_b64 s[42:43], s[44:45], s[42:43]
	s_andn2_b64 exec, exec, s[42:43]
	s_cbranch_execnz .LBB3664_40
; %bb.41:
	s_or_b64 exec, exec, s[42:43]
.LBB3664_42:
	s_or_b64 exec, exec, s[40:41]
	v_and_b32_e32 v41, 63, v35
	v_mov_b32_e32 v40, 2
	v_cmp_ne_u32_e32 vcc, 63, v41
	v_cmp_eq_u16_sdwa s[40:41], v17, v40 src0_sel:BYTE_0 src1_sel:DWORD
	v_lshlrev_b64 v[18:19], v35, -1
	v_addc_co_u32_e32 v20, vcc, 0, v35, vcc
	v_and_b32_e32 v11, s41, v19
	v_lshlrev_b32_e32 v42, 2, v20
	v_or_b32_e32 v11, 0x80000000, v11
	ds_bpermute_b32 v20, v42, v16
	v_and_b32_e32 v15, s40, v18
	v_ffbl_b32_e32 v11, v11
	v_add_u32_e32 v11, 32, v11
	v_ffbl_b32_e32 v15, v15
	v_min_u32_e32 v11, v15, v11
	v_cmp_lt_u32_e32 vcc, v41, v11
	s_waitcnt lgkmcnt(0)
	v_cndmask_b32_e32 v15, 0, v20, vcc
	v_cmp_gt_u32_e32 vcc, 62, v41
	v_add_u32_e32 v15, v15, v16
	v_cndmask_b32_e64 v16, 0, 1, vcc
	v_lshlrev_b32_e32 v16, 1, v16
	v_add_lshl_u32 v43, v16, v35, 2
	ds_bpermute_b32 v16, v43, v15
	v_add_u32_e32 v44, 2, v41
	v_cmp_le_u32_e32 vcc, v44, v11
	v_add_u32_e32 v46, 4, v41
	v_add_u32_e32 v48, 8, v41
	s_waitcnt lgkmcnt(0)
	v_cndmask_b32_e32 v16, 0, v16, vcc
	v_cmp_gt_u32_e32 vcc, 60, v41
	v_add_u32_e32 v15, v15, v16
	v_cndmask_b32_e64 v16, 0, 1, vcc
	v_lshlrev_b32_e32 v16, 2, v16
	v_add_lshl_u32 v45, v16, v35, 2
	ds_bpermute_b32 v16, v45, v15
	v_cmp_le_u32_e32 vcc, v46, v11
	v_add_u32_e32 v50, 16, v41
	v_add_u32_e32 v52, 32, v41
	s_waitcnt lgkmcnt(0)
	v_cndmask_b32_e32 v16, 0, v16, vcc
	v_cmp_gt_u32_e32 vcc, 56, v41
	v_add_u32_e32 v15, v15, v16
	v_cndmask_b32_e64 v16, 0, 1, vcc
	v_lshlrev_b32_e32 v16, 3, v16
	v_add_lshl_u32 v47, v16, v35, 2
	ds_bpermute_b32 v16, v47, v15
	v_cmp_le_u32_e32 vcc, v48, v11
	s_waitcnt lgkmcnt(0)
	v_cndmask_b32_e32 v16, 0, v16, vcc
	v_cmp_gt_u32_e32 vcc, 48, v41
	v_add_u32_e32 v15, v15, v16
	v_cndmask_b32_e64 v16, 0, 1, vcc
	v_lshlrev_b32_e32 v16, 4, v16
	v_add_lshl_u32 v49, v16, v35, 2
	ds_bpermute_b32 v16, v49, v15
	v_cmp_le_u32_e32 vcc, v50, v11
	;; [unrolled: 9-line block ×3, first 2 shown]
	s_waitcnt lgkmcnt(0)
	v_cndmask_b32_e32 v11, 0, v16, vcc
	v_add_u32_e32 v16, v15, v11
	v_mov_b32_e32 v15, 0
	s_branch .LBB3664_44
.LBB3664_43:                            ;   in Loop: Header=BB3664_44 Depth=1
	s_or_b64 exec, exec, s[40:41]
	v_cmp_eq_u16_sdwa s[40:41], v17, v40 src0_sel:BYTE_0 src1_sel:DWORD
	v_and_b32_e32 v20, s41, v19
	v_or_b32_e32 v20, 0x80000000, v20
	ds_bpermute_b32 v53, v42, v16
	v_and_b32_e32 v21, s40, v18
	v_ffbl_b32_e32 v20, v20
	v_add_u32_e32 v20, 32, v20
	v_ffbl_b32_e32 v21, v21
	v_min_u32_e32 v20, v21, v20
	v_cmp_lt_u32_e32 vcc, v41, v20
	s_waitcnt lgkmcnt(0)
	v_cndmask_b32_e32 v21, 0, v53, vcc
	v_add_u32_e32 v16, v21, v16
	ds_bpermute_b32 v21, v43, v16
	v_cmp_le_u32_e32 vcc, v44, v20
	v_subrev_u32_e32 v14, 64, v14
	s_waitcnt lgkmcnt(0)
	v_cndmask_b32_e32 v21, 0, v21, vcc
	v_add_u32_e32 v16, v16, v21
	ds_bpermute_b32 v21, v45, v16
	v_cmp_le_u32_e32 vcc, v46, v20
	s_waitcnt lgkmcnt(0)
	v_cndmask_b32_e32 v21, 0, v21, vcc
	v_add_u32_e32 v16, v16, v21
	ds_bpermute_b32 v21, v47, v16
	v_cmp_le_u32_e32 vcc, v48, v20
	;; [unrolled: 5-line block ×4, first 2 shown]
	s_waitcnt lgkmcnt(0)
	v_cndmask_b32_e32 v20, 0, v21, vcc
	v_add3_u32 v16, v20, v11, v16
.LBB3664_44:                            ; =>This Loop Header: Depth=1
                                        ;     Child Loop BB3664_47 Depth 2
	v_cmp_ne_u16_sdwa s[40:41], v17, v40 src0_sel:BYTE_0 src1_sel:DWORD
	v_cndmask_b32_e64 v11, 0, 1, s[40:41]
	;;#ASMSTART
	;;#ASMEND
	v_cmp_ne_u32_e32 vcc, 0, v11
	s_cmp_lg_u64 vcc, exec
	v_mov_b32_e32 v11, v16
	s_cbranch_scc1 .LBB3664_49
; %bb.45:                               ;   in Loop: Header=BB3664_44 Depth=1
	v_lshlrev_b64 v[16:17], 3, v[14:15]
	v_mov_b32_e32 v21, s37
	v_add_co_u32_e32 v20, vcc, s36, v16
	v_addc_co_u32_e32 v21, vcc, v21, v17, vcc
	global_load_dwordx2 v[16:17], v[20:21], off glc
	s_waitcnt vmcnt(0)
	v_cmp_eq_u16_sdwa s[42:43], v17, v15 src0_sel:BYTE_0 src1_sel:DWORD
	s_and_saveexec_b64 s[40:41], s[42:43]
	s_cbranch_execz .LBB3664_43
; %bb.46:                               ;   in Loop: Header=BB3664_44 Depth=1
	s_mov_b64 s[42:43], 0
.LBB3664_47:                            ;   Parent Loop BB3664_44 Depth=1
                                        ; =>  This Inner Loop Header: Depth=2
	global_load_dwordx2 v[16:17], v[20:21], off glc
	s_waitcnt vmcnt(0)
	v_cmp_ne_u16_sdwa s[44:45], v17, v15 src0_sel:BYTE_0 src1_sel:DWORD
	s_or_b64 s[42:43], s[44:45], s[42:43]
	s_andn2_b64 exec, exec, s[42:43]
	s_cbranch_execnz .LBB3664_47
; %bb.48:                               ;   in Loop: Header=BB3664_44 Depth=1
	s_or_b64 exec, exec, s[42:43]
	s_branch .LBB3664_43
.LBB3664_49:                            ;   in Loop: Header=BB3664_44 Depth=1
                                        ; implicit-def: $vgpr16
                                        ; implicit-def: $vgpr17
	s_cbranch_execz .LBB3664_44
; %bb.50:
	s_and_saveexec_b64 s[40:41], s[18:19]
	s_cbranch_execz .LBB3664_52
; %bb.51:
	s_add_i32 s6, s6, 64
	s_mov_b32 s7, 0
	s_lshl_b64 s[6:7], s[6:7], 3
	s_add_u32 s6, s36, s6
	v_add_u32_e32 v14, v11, v10
	v_mov_b32_e32 v15, 2
	s_addc_u32 s7, s37, s7
	v_mov_b32_e32 v16, 0
	global_store_dwordx2 v16, v[14:15], s[6:7]
	ds_write_b64 v16, v[10:11] offset:10240
.LBB3664_52:
	s_or_b64 exec, exec, s[40:41]
	v_cmp_eq_u32_e32 vcc, 0, v0
	s_and_b64 exec, exec, vcc
	s_cbranch_execz .LBB3664_54
; %bb.53:
	v_mov_b32_e32 v10, 0
	ds_write_b32 v10, v11 offset:12
.LBB3664_54:
	s_or_b64 exec, exec, s[38:39]
	v_mov_b32_e32 v10, 0
	s_waitcnt lgkmcnt(0)
	s_barrier
	ds_read_b32 v11, v10 offset:12
	v_cndmask_b32_e64 v14, v39, v38, s[18:19]
	v_cmp_ne_u32_e32 vcc, 0, v0
	v_cndmask_b32_e32 v14, 0, v14, vcc
	s_waitcnt lgkmcnt(0)
	v_add_u32_e32 v39, v11, v14
	v_add_u32_sdwa v38, v39, v26 dst_sel:DWORD dst_unused:UNUSED_PAD src0_sel:DWORD src1_sel:BYTE_0
	v_add_u32_sdwa v21, v38, v26 dst_sel:DWORD dst_unused:UNUSED_PAD src0_sel:DWORD src1_sel:BYTE_1
	v_add_u32_e32 v20, v21, v30
	v_add_u32_e32 v19, v20, v28
	;; [unrolled: 1-line block ×3, first 2 shown]
	s_barrier
	ds_read_b64 v[10:11], v10 offset:10240
	v_add_u32_e32 v17, v18, v32
	v_add_u32_e32 v16, v17, v33
	;; [unrolled: 1-line block ×4, first 2 shown]
	s_load_dwordx2 s[4:5], s[4:5], 0x28
	s_branch .LBB3664_65
.LBB3664_55:
                                        ; implicit-def: $vgpr11
                                        ; implicit-def: $vgpr14
                                        ; implicit-def: $vgpr15
                                        ; implicit-def: $vgpr16
                                        ; implicit-def: $vgpr17
                                        ; implicit-def: $vgpr18
                                        ; implicit-def: $vgpr19
                                        ; implicit-def: $vgpr20
                                        ; implicit-def: $vgpr21
                                        ; implicit-def: $vgpr38
                                        ; implicit-def: $vgpr39
	s_load_dwordx2 s[4:5], s[4:5], 0x28
	s_cbranch_execz .LBB3664_65
; %bb.56:
	s_waitcnt lgkmcnt(0)
	v_mov_b32_dpp v10, v37 row_shr:1 row_mask:0xf bank_mask:0xf
	v_cndmask_b32_e64 v10, v10, 0, s[16:17]
	v_add_u32_e32 v10, v10, v37
	s_nop 1
	v_mov_b32_dpp v11, v10 row_shr:2 row_mask:0xf bank_mask:0xf
	v_cndmask_b32_e64 v11, 0, v11, s[14:15]
	v_add_u32_e32 v10, v10, v11
	s_nop 1
	;; [unrolled: 4-line block ×4, first 2 shown]
	v_mov_b32_dpp v11, v10 row_bcast:15 row_mask:0xf bank_mask:0xf
	v_cndmask_b32_e64 v11, v11, 0, s[8:9]
	v_add_u32_e32 v10, v10, v11
	s_nop 1
	v_mov_b32_dpp v11, v10 row_bcast:31 row_mask:0xf bank_mask:0xf
	v_cndmask_b32_e64 v11, 0, v11, s[2:3]
	v_add_u32_e32 v10, v10, v11
	s_and_saveexec_b64 s[2:3], s[20:21]
	s_cbranch_execz .LBB3664_58
; %bb.57:
	v_lshlrev_b32_e32 v11, 2, v36
	ds_write_b32 v11, v10
.LBB3664_58:
	s_or_b64 exec, exec, s[2:3]
	v_cmp_gt_u32_e32 vcc, 4, v0
	s_waitcnt lgkmcnt(0)
	s_barrier
	s_and_saveexec_b64 s[2:3], vcc
	s_cbranch_execz .LBB3664_60
; %bb.59:
	s_movk_i32 s6, 0xffdc
	v_mad_i32_i24 v11, v0, s6, v29
	ds_read_b32 v14, v11
	v_and_b32_e32 v15, 3, v35
	v_cmp_ne_u32_e32 vcc, 0, v15
	s_waitcnt lgkmcnt(0)
	v_mov_b32_dpp v16, v14 row_shr:1 row_mask:0xf bank_mask:0xf
	v_cndmask_b32_e32 v16, 0, v16, vcc
	v_add_u32_e32 v14, v16, v14
	v_cmp_lt_u32_e32 vcc, 1, v15
	s_nop 0
	v_mov_b32_dpp v16, v14 row_shr:2 row_mask:0xf bank_mask:0xf
	v_cndmask_b32_e32 v15, 0, v16, vcc
	v_add_u32_e32 v14, v14, v15
	ds_write_b32 v11, v14
.LBB3664_60:
	s_or_b64 exec, exec, s[2:3]
	v_cmp_lt_u32_e32 vcc, 63, v0
	v_mov_b32_e32 v11, 0
	v_mov_b32_e32 v14, 0
	s_waitcnt lgkmcnt(0)
	s_barrier
	s_and_saveexec_b64 s[2:3], vcc
	s_cbranch_execz .LBB3664_62
; %bb.61:
	v_lshl_add_u32 v14, v36, 2, -4
	ds_read_b32 v14, v14
.LBB3664_62:
	s_or_b64 exec, exec, s[2:3]
	v_add_u32_e32 v15, -1, v35
	v_and_b32_e32 v16, 64, v35
	v_cmp_lt_i32_e32 vcc, v15, v16
	v_cndmask_b32_e32 v15, v15, v35, vcc
	s_waitcnt lgkmcnt(0)
	v_add_u32_e32 v10, v14, v10
	v_lshlrev_b32_e32 v15, 2, v15
	ds_bpermute_b32 v15, v15, v10
	ds_read_b32 v10, v11 offset:12
	v_cmp_eq_u32_e32 vcc, 0, v0
	s_and_saveexec_b64 s[2:3], vcc
	s_cbranch_execz .LBB3664_64
; %bb.63:
	v_mov_b32_e32 v16, 0
	v_mov_b32_e32 v11, 2
	s_waitcnt lgkmcnt(0)
	global_store_dwordx2 v16, v[10:11], s[36:37] offset:512
.LBB3664_64:
	s_or_b64 exec, exec, s[2:3]
	v_cmp_eq_u32_e64 s[2:3], 0, v35
	s_waitcnt lgkmcnt(1)
	v_cndmask_b32_e64 v14, v15, v14, s[2:3]
	v_cndmask_b32_e64 v39, v14, 0, vcc
	v_add_u32_sdwa v38, v39, v26 dst_sel:DWORD dst_unused:UNUSED_PAD src0_sel:DWORD src1_sel:BYTE_0
	v_add_u32_sdwa v21, v38, v26 dst_sel:DWORD dst_unused:UNUSED_PAD src0_sel:DWORD src1_sel:BYTE_1
	v_add_u32_e32 v20, v21, v30
	v_add_u32_e32 v19, v20, v28
	;; [unrolled: 1-line block ×6, first 2 shown]
	v_mov_b32_e32 v11, 0
	v_add_u32_e32 v14, v15, v34
	s_waitcnt lgkmcnt(0)
	s_barrier
.LBB3664_65:
	s_waitcnt lgkmcnt(0)
	v_add_u32_e32 v23, v10, v23
	v_sub_u32_e32 v31, v39, v11
	v_and_b32_e32 v33, 1, v26
	v_sub_u32_e32 v32, v23, v31
	v_cmp_eq_u32_e32 vcc, 1, v33
	v_cndmask_b32_e32 v31, v32, v31, vcc
	v_lshlrev_b32_e32 v31, 2, v31
	v_lshrrev_b32_e32 v30, 8, v26
	ds_write_b32 v31, v6
	v_sub_u32_e32 v6, v38, v11
	v_sub_u32_e32 v31, v23, v6
	v_and_b32_e32 v30, 1, v30
	v_add_u32_e32 v31, 1, v31
	v_cmp_eq_u32_e32 vcc, 1, v30
	v_cndmask_b32_e32 v6, v31, v6, vcc
	v_lshlrev_b32_e32 v6, 2, v6
	ds_write_b32 v6, v7
	v_sub_u32_e32 v6, v21, v11
	v_mov_b32_e32 v21, 1
	v_sub_u32_e32 v7, v23, v6
	v_and_b32_sdwa v26, v21, v26 dst_sel:DWORD dst_unused:UNUSED_PAD src0_sel:DWORD src1_sel:WORD_1
	v_add_u32_e32 v7, 2, v7
	v_cmp_eq_u32_e32 vcc, 1, v26
	v_cndmask_b32_e32 v6, v7, v6, vcc
	v_lshlrev_b32_e32 v6, 2, v6
	ds_write_b32 v6, v8
	v_sub_u32_e32 v6, v20, v11
	v_sub_u32_e32 v7, v23, v6
	v_and_b32_e32 v8, 1, v28
	v_add_u32_e32 v7, 3, v7
	v_cmp_eq_u32_e32 vcc, 1, v8
	v_cndmask_b32_e32 v6, v7, v6, vcc
	v_lshlrev_b32_e32 v6, 2, v6
	ds_write_b32 v6, v9
	v_sub_u32_e32 v6, v19, v11
	v_sub_u32_e32 v7, v23, v6
	v_and_b32_e32 v8, 1, v25
	v_add_u32_e32 v7, 4, v7
	v_cmp_eq_u32_e32 vcc, 1, v8
	v_cndmask_b32_e32 v6, v7, v6, vcc
	v_lshlrev_b32_e32 v6, 2, v6
	v_lshrrev_b32_e32 v29, 8, v25
	ds_write_b32 v6, v2
	v_sub_u32_e32 v2, v18, v11
	v_sub_u32_e32 v6, v23, v2
	v_and_b32_e32 v7, 1, v29
	v_add_u32_e32 v6, 5, v6
	v_cmp_eq_u32_e32 vcc, 1, v7
	v_cndmask_b32_e32 v2, v6, v2, vcc
	v_lshlrev_b32_e32 v2, 2, v2
	ds_write_b32 v2, v3
	v_sub_u32_e32 v2, v17, v11
	v_sub_u32_e32 v3, v23, v2
	v_and_b32_sdwa v6, v21, v25 dst_sel:DWORD dst_unused:UNUSED_PAD src0_sel:DWORD src1_sel:WORD_1
	v_add_u32_e32 v3, 6, v3
	v_cmp_eq_u32_e32 vcc, 1, v6
	v_cndmask_b32_e32 v2, v3, v2, vcc
	v_lshlrev_b32_e32 v2, 2, v2
	ds_write_b32 v2, v4
	v_sub_u32_e32 v2, v16, v11
	v_sub_u32_e32 v3, v23, v2
	v_and_b32_e32 v4, 1, v27
	v_add_u32_e32 v3, 7, v3
	v_cmp_eq_u32_e32 vcc, 1, v4
	v_cndmask_b32_e32 v2, v3, v2, vcc
	v_lshlrev_b32_e32 v2, 2, v2
	ds_write_b32 v2, v5
	v_sub_u32_e32 v2, v15, v11
	v_sub_u32_e32 v3, v23, v2
	v_and_b32_e32 v4, 1, v24
	;; [unrolled: 8-line block ×3, first 2 shown]
	v_add_u32_e32 v3, 9, v3
	v_cmp_eq_u32_e32 vcc, 1, v4
	v_cndmask_b32_e32 v2, v3, v2, vcc
	s_add_u32 s2, s22, s30
	v_lshlrev_b32_e32 v2, 2, v2
	s_addc_u32 s3, s23, 0
	ds_write_b32 v2, v13
	s_waitcnt lgkmcnt(0)
	s_barrier
	ds_read2st64_b32 v[12:13], v1 offset1:4
	ds_read2st64_b32 v[8:9], v1 offset0:8 offset1:12
	ds_read2st64_b32 v[6:7], v1 offset0:16 offset1:20
	;; [unrolled: 1-line block ×4, first 2 shown]
	v_mov_b32_e32 v14, s35
	v_add_co_u32_e32 v1, vcc, s34, v11
	s_sub_u32 s2, s28, s2
	v_addc_co_u32_e32 v11, vcc, 0, v14, vcc
	s_subb_u32 s3, s29, s3
	v_mov_b32_e32 v14, s3
	v_add_co_u32_e32 v15, vcc, s2, v10
	v_addc_co_u32_e32 v14, vcc, 0, v14, vcc
	s_and_b64 vcc, exec, s[0:1]
	v_add_co_u32_e64 v17, s[0:1], v15, v1
	v_or_b32_e32 v26, 0x100, v0
	v_or_b32_e32 v25, 0x200, v0
	v_or_b32_e32 v24, 0x300, v0
	v_or_b32_e32 v23, 0x400, v0
	v_or_b32_e32 v22, 0x500, v0
	v_or_b32_e32 v21, 0x600, v0
	v_or_b32_e32 v20, 0x700, v0
	v_or_b32_e32 v19, 0x800, v0
	v_or_b32_e32 v16, 0x900, v0
	v_addc_co_u32_e64 v18, s[0:1], v14, v11, s[0:1]
	s_cbranch_vccnz .LBB3664_107
; %bb.66:
	v_cmp_ge_u32_e32 vcc, v0, v10
                                        ; implicit-def: $vgpr14_vgpr15
	s_and_saveexec_b64 s[0:1], vcc
	s_xor_b64 s[0:1], exec, s[0:1]
; %bb.67:
	v_not_b32_e32 v14, v0
	v_ashrrev_i32_e32 v15, 31, v14
	v_add_co_u32_e32 v14, vcc, v17, v14
	v_addc_co_u32_e32 v15, vcc, v18, v15, vcc
; %bb.68:
	s_andn2_saveexec_b64 s[0:1], s[0:1]
; %bb.69:
	v_add_co_u32_e32 v14, vcc, v1, v0
	v_addc_co_u32_e32 v15, vcc, 0, v11, vcc
; %bb.70:
	s_or_b64 exec, exec, s[0:1]
	v_lshlrev_b64 v[14:15], 2, v[14:15]
	v_mov_b32_e32 v27, s5
	v_add_co_u32_e32 v14, vcc, s4, v14
	v_addc_co_u32_e32 v15, vcc, v27, v15, vcc
	v_cmp_ge_u32_e32 vcc, v26, v10
	s_waitcnt lgkmcnt(4)
	global_store_dword v[14:15], v12, off
                                        ; implicit-def: $vgpr14_vgpr15
	s_and_saveexec_b64 s[0:1], vcc
	s_xor_b64 s[0:1], exec, s[0:1]
; %bb.71:
	v_xor_b32_e32 v14, 0xfffffeff, v0
	v_ashrrev_i32_e32 v15, 31, v14
	v_add_co_u32_e32 v14, vcc, v17, v14
	v_addc_co_u32_e32 v15, vcc, v18, v15, vcc
; %bb.72:
	s_andn2_saveexec_b64 s[0:1], s[0:1]
; %bb.73:
	v_add_co_u32_e32 v14, vcc, v1, v26
	v_addc_co_u32_e32 v15, vcc, 0, v11, vcc
; %bb.74:
	s_or_b64 exec, exec, s[0:1]
	v_lshlrev_b64 v[14:15], 2, v[14:15]
	v_mov_b32_e32 v27, s5
	v_add_co_u32_e32 v14, vcc, s4, v14
	v_addc_co_u32_e32 v15, vcc, v27, v15, vcc
	v_cmp_ge_u32_e32 vcc, v25, v10
	global_store_dword v[14:15], v13, off
                                        ; implicit-def: $vgpr14_vgpr15
	s_and_saveexec_b64 s[0:1], vcc
	s_xor_b64 s[0:1], exec, s[0:1]
; %bb.75:
	v_xor_b32_e32 v14, 0xfffffdff, v0
	v_ashrrev_i32_e32 v15, 31, v14
	v_add_co_u32_e32 v14, vcc, v17, v14
	v_addc_co_u32_e32 v15, vcc, v18, v15, vcc
; %bb.76:
	s_andn2_saveexec_b64 s[0:1], s[0:1]
; %bb.77:
	v_add_co_u32_e32 v14, vcc, v1, v25
	v_addc_co_u32_e32 v15, vcc, 0, v11, vcc
; %bb.78:
	s_or_b64 exec, exec, s[0:1]
	v_lshlrev_b64 v[14:15], 2, v[14:15]
	v_mov_b32_e32 v27, s5
	v_add_co_u32_e32 v14, vcc, s4, v14
	v_addc_co_u32_e32 v15, vcc, v27, v15, vcc
	v_cmp_ge_u32_e32 vcc, v24, v10
	s_waitcnt lgkmcnt(3)
	global_store_dword v[14:15], v8, off
                                        ; implicit-def: $vgpr14_vgpr15
	s_and_saveexec_b64 s[0:1], vcc
	s_xor_b64 s[0:1], exec, s[0:1]
; %bb.79:
	v_xor_b32_e32 v14, 0xfffffcff, v0
	v_ashrrev_i32_e32 v15, 31, v14
	v_add_co_u32_e32 v14, vcc, v17, v14
	v_addc_co_u32_e32 v15, vcc, v18, v15, vcc
; %bb.80:
	s_andn2_saveexec_b64 s[0:1], s[0:1]
; %bb.81:
	v_add_co_u32_e32 v14, vcc, v1, v24
	v_addc_co_u32_e32 v15, vcc, 0, v11, vcc
; %bb.82:
	s_or_b64 exec, exec, s[0:1]
	v_lshlrev_b64 v[14:15], 2, v[14:15]
	v_mov_b32_e32 v27, s5
	v_add_co_u32_e32 v14, vcc, s4, v14
	v_addc_co_u32_e32 v15, vcc, v27, v15, vcc
	v_cmp_ge_u32_e32 vcc, v23, v10
	global_store_dword v[14:15], v9, off
                                        ; implicit-def: $vgpr14_vgpr15
	s_and_saveexec_b64 s[0:1], vcc
	s_xor_b64 s[0:1], exec, s[0:1]
; %bb.83:
	v_xor_b32_e32 v14, 0xfffffbff, v0
	;; [unrolled: 43-line block ×4, first 2 shown]
	v_ashrrev_i32_e32 v15, 31, v14
	v_add_co_u32_e32 v14, vcc, v17, v14
	v_addc_co_u32_e32 v15, vcc, v18, v15, vcc
; %bb.100:
	s_andn2_saveexec_b64 s[0:1], s[0:1]
; %bb.101:
	v_add_co_u32_e32 v14, vcc, v1, v19
	v_addc_co_u32_e32 v15, vcc, 0, v11, vcc
; %bb.102:
	s_or_b64 exec, exec, s[0:1]
	v_lshlrev_b64 v[14:15], 2, v[14:15]
	v_mov_b32_e32 v27, s5
	v_add_co_u32_e32 v14, vcc, s4, v14
	v_addc_co_u32_e32 v15, vcc, v27, v15, vcc
	v_cmp_ge_u32_e32 vcc, v16, v10
	s_waitcnt lgkmcnt(0)
	global_store_dword v[14:15], v2, off
                                        ; implicit-def: $vgpr14_vgpr15
	s_and_saveexec_b64 s[0:1], vcc
	s_xor_b64 s[0:1], exec, s[0:1]
; %bb.103:
	v_xor_b32_e32 v14, 0xfffff6ff, v0
	v_ashrrev_i32_e32 v15, 31, v14
	v_add_co_u32_e32 v14, vcc, v17, v14
	v_addc_co_u32_e32 v15, vcc, v18, v15, vcc
; %bb.104:
	s_andn2_saveexec_b64 s[0:1], s[0:1]
; %bb.105:
	v_add_co_u32_e32 v14, vcc, v1, v16
	v_addc_co_u32_e32 v15, vcc, 0, v11, vcc
; %bb.106:
	s_or_b64 exec, exec, s[0:1]
	s_mov_b64 s[0:1], -1
	s_branch .LBB3664_169
.LBB3664_107:
	s_mov_b64 s[0:1], 0
                                        ; implicit-def: $vgpr14_vgpr15
	s_cbranch_execz .LBB3664_169
; %bb.108:
	v_cmp_gt_u32_e32 vcc, s33, v0
	s_and_saveexec_b64 s[2:3], vcc
	s_cbranch_execz .LBB3664_134
; %bb.109:
	v_cmp_ge_u32_e32 vcc, v0, v10
                                        ; implicit-def: $vgpr14_vgpr15
	s_and_saveexec_b64 s[6:7], vcc
	s_xor_b64 s[6:7], exec, s[6:7]
; %bb.110:
	v_not_b32_e32 v14, v0
	v_ashrrev_i32_e32 v15, 31, v14
	v_add_co_u32_e32 v14, vcc, v17, v14
	v_addc_co_u32_e32 v15, vcc, v18, v15, vcc
; %bb.111:
	s_andn2_saveexec_b64 s[6:7], s[6:7]
; %bb.112:
	v_add_co_u32_e32 v14, vcc, v1, v0
	v_addc_co_u32_e32 v15, vcc, 0, v11, vcc
; %bb.113:
	s_or_b64 exec, exec, s[6:7]
	v_lshlrev_b64 v[14:15], 2, v[14:15]
	v_mov_b32_e32 v27, s5
	v_add_co_u32_e32 v14, vcc, s4, v14
	v_addc_co_u32_e32 v15, vcc, v27, v15, vcc
	s_waitcnt lgkmcnt(4)
	global_store_dword v[14:15], v12, off
	s_or_b64 exec, exec, s[2:3]
	v_cmp_gt_u32_e32 vcc, s33, v26
	s_and_saveexec_b64 s[2:3], vcc
	s_cbranch_execnz .LBB3664_135
.LBB3664_114:
	s_or_b64 exec, exec, s[2:3]
	v_cmp_gt_u32_e32 vcc, s33, v25
	s_and_saveexec_b64 s[2:3], vcc
	s_cbranch_execz .LBB3664_140
.LBB3664_115:
	v_cmp_ge_u32_e32 vcc, v25, v10
                                        ; implicit-def: $vgpr12_vgpr13
	s_and_saveexec_b64 s[6:7], vcc
	s_xor_b64 s[6:7], exec, s[6:7]
	s_cbranch_execz .LBB3664_117
; %bb.116:
	s_waitcnt lgkmcnt(4)
	v_xor_b32_e32 v12, 0xfffffdff, v0
	v_ashrrev_i32_e32 v13, 31, v12
	v_add_co_u32_e32 v12, vcc, v17, v12
	v_addc_co_u32_e32 v13, vcc, v18, v13, vcc
                                        ; implicit-def: $vgpr25
.LBB3664_117:
	s_andn2_saveexec_b64 s[6:7], s[6:7]
	s_cbranch_execz .LBB3664_119
; %bb.118:
	s_waitcnt lgkmcnt(4)
	v_add_co_u32_e32 v12, vcc, v1, v25
	v_addc_co_u32_e32 v13, vcc, 0, v11, vcc
.LBB3664_119:
	s_or_b64 exec, exec, s[6:7]
	s_waitcnt lgkmcnt(4)
	v_lshlrev_b64 v[12:13], 2, v[12:13]
	v_mov_b32_e32 v14, s5
	v_add_co_u32_e32 v12, vcc, s4, v12
	v_addc_co_u32_e32 v13, vcc, v14, v13, vcc
	s_waitcnt lgkmcnt(3)
	global_store_dword v[12:13], v8, off
	s_or_b64 exec, exec, s[2:3]
	v_cmp_gt_u32_e32 vcc, s33, v24
	s_and_saveexec_b64 s[2:3], vcc
	s_cbranch_execnz .LBB3664_141
.LBB3664_120:
	s_or_b64 exec, exec, s[2:3]
	v_cmp_gt_u32_e32 vcc, s33, v23
	s_and_saveexec_b64 s[2:3], vcc
	s_cbranch_execz .LBB3664_146
.LBB3664_121:
	v_cmp_ge_u32_e32 vcc, v23, v10
                                        ; implicit-def: $vgpr8_vgpr9
	s_and_saveexec_b64 s[6:7], vcc
	s_xor_b64 s[6:7], exec, s[6:7]
	s_cbranch_execz .LBB3664_123
; %bb.122:
	s_waitcnt lgkmcnt(3)
	v_xor_b32_e32 v8, 0xfffffbff, v0
	v_ashrrev_i32_e32 v9, 31, v8
	v_add_co_u32_e32 v8, vcc, v17, v8
	v_addc_co_u32_e32 v9, vcc, v18, v9, vcc
                                        ; implicit-def: $vgpr23
.LBB3664_123:
	s_andn2_saveexec_b64 s[6:7], s[6:7]
	s_cbranch_execz .LBB3664_125
; %bb.124:
	s_waitcnt lgkmcnt(3)
	v_add_co_u32_e32 v8, vcc, v1, v23
	v_addc_co_u32_e32 v9, vcc, 0, v11, vcc
.LBB3664_125:
	s_or_b64 exec, exec, s[6:7]
	s_waitcnt lgkmcnt(3)
	v_lshlrev_b64 v[8:9], 2, v[8:9]
	v_mov_b32_e32 v12, s5
	v_add_co_u32_e32 v8, vcc, s4, v8
	v_addc_co_u32_e32 v9, vcc, v12, v9, vcc
	s_waitcnt lgkmcnt(2)
	global_store_dword v[8:9], v6, off
	s_or_b64 exec, exec, s[2:3]
	v_cmp_gt_u32_e32 vcc, s33, v22
	s_and_saveexec_b64 s[2:3], vcc
	s_cbranch_execnz .LBB3664_147
.LBB3664_126:
	s_or_b64 exec, exec, s[2:3]
	v_cmp_gt_u32_e32 vcc, s33, v21
	s_and_saveexec_b64 s[2:3], vcc
	s_cbranch_execz .LBB3664_152
.LBB3664_127:
	v_cmp_ge_u32_e32 vcc, v21, v10
                                        ; implicit-def: $vgpr6_vgpr7
	s_and_saveexec_b64 s[6:7], vcc
	s_xor_b64 s[6:7], exec, s[6:7]
	s_cbranch_execz .LBB3664_129
; %bb.128:
	s_waitcnt lgkmcnt(2)
	v_xor_b32_e32 v6, 0xfffff9ff, v0
	v_ashrrev_i32_e32 v7, 31, v6
	v_add_co_u32_e32 v6, vcc, v17, v6
	v_addc_co_u32_e32 v7, vcc, v18, v7, vcc
                                        ; implicit-def: $vgpr21
.LBB3664_129:
	s_andn2_saveexec_b64 s[6:7], s[6:7]
	s_cbranch_execz .LBB3664_131
; %bb.130:
	s_waitcnt lgkmcnt(2)
	v_add_co_u32_e32 v6, vcc, v1, v21
	v_addc_co_u32_e32 v7, vcc, 0, v11, vcc
.LBB3664_131:
	s_or_b64 exec, exec, s[6:7]
	s_waitcnt lgkmcnt(2)
	v_lshlrev_b64 v[6:7], 2, v[6:7]
	v_mov_b32_e32 v8, s5
	v_add_co_u32_e32 v6, vcc, s4, v6
	v_addc_co_u32_e32 v7, vcc, v8, v7, vcc
	s_waitcnt lgkmcnt(1)
	global_store_dword v[6:7], v4, off
	s_or_b64 exec, exec, s[2:3]
	v_cmp_gt_u32_e32 vcc, s33, v20
	s_and_saveexec_b64 s[2:3], vcc
	s_cbranch_execnz .LBB3664_153
.LBB3664_132:
	s_or_b64 exec, exec, s[2:3]
	v_cmp_gt_u32_e32 vcc, s33, v19
	s_and_saveexec_b64 s[2:3], vcc
	s_cbranch_execnz .LBB3664_158
.LBB3664_133:
	s_or_b64 exec, exec, s[2:3]
	v_cmp_gt_u32_e32 vcc, s33, v16
                                        ; implicit-def: $vgpr14_vgpr15
	s_and_saveexec_b64 s[2:3], vcc
	s_cbranch_execz .LBB3664_168
	s_branch .LBB3664_163
.LBB3664_134:
	s_or_b64 exec, exec, s[2:3]
	v_cmp_gt_u32_e32 vcc, s33, v26
	s_and_saveexec_b64 s[2:3], vcc
	s_cbranch_execz .LBB3664_114
.LBB3664_135:
	v_cmp_ge_u32_e32 vcc, v26, v10
                                        ; implicit-def: $vgpr14_vgpr15
	s_and_saveexec_b64 s[6:7], vcc
	s_xor_b64 s[6:7], exec, s[6:7]
	s_cbranch_execz .LBB3664_137
; %bb.136:
	s_waitcnt lgkmcnt(4)
	v_xor_b32_e32 v12, 0xfffffeff, v0
	v_ashrrev_i32_e32 v15, 31, v12
	v_add_co_u32_e32 v14, vcc, v17, v12
	v_addc_co_u32_e32 v15, vcc, v18, v15, vcc
                                        ; implicit-def: $vgpr26
.LBB3664_137:
	s_andn2_saveexec_b64 s[6:7], s[6:7]
; %bb.138:
	v_add_co_u32_e32 v14, vcc, v1, v26
	v_addc_co_u32_e32 v15, vcc, 0, v11, vcc
; %bb.139:
	s_or_b64 exec, exec, s[6:7]
	v_lshlrev_b64 v[14:15], 2, v[14:15]
	s_waitcnt lgkmcnt(4)
	v_mov_b32_e32 v12, s5
	v_add_co_u32_e32 v14, vcc, s4, v14
	v_addc_co_u32_e32 v15, vcc, v12, v15, vcc
	global_store_dword v[14:15], v13, off
	s_or_b64 exec, exec, s[2:3]
	v_cmp_gt_u32_e32 vcc, s33, v25
	s_and_saveexec_b64 s[2:3], vcc
	s_cbranch_execnz .LBB3664_115
.LBB3664_140:
	s_or_b64 exec, exec, s[2:3]
	v_cmp_gt_u32_e32 vcc, s33, v24
	s_and_saveexec_b64 s[2:3], vcc
	s_cbranch_execz .LBB3664_120
.LBB3664_141:
	v_cmp_ge_u32_e32 vcc, v24, v10
                                        ; implicit-def: $vgpr12_vgpr13
	s_and_saveexec_b64 s[6:7], vcc
	s_xor_b64 s[6:7], exec, s[6:7]
	s_cbranch_execz .LBB3664_143
; %bb.142:
	s_waitcnt lgkmcnt(3)
	v_xor_b32_e32 v8, 0xfffffcff, v0
	v_ashrrev_i32_e32 v13, 31, v8
	v_add_co_u32_e32 v12, vcc, v17, v8
	v_addc_co_u32_e32 v13, vcc, v18, v13, vcc
                                        ; implicit-def: $vgpr24
.LBB3664_143:
	s_andn2_saveexec_b64 s[6:7], s[6:7]
	s_cbranch_execz .LBB3664_145
; %bb.144:
	s_waitcnt lgkmcnt(4)
	v_add_co_u32_e32 v12, vcc, v1, v24
	v_addc_co_u32_e32 v13, vcc, 0, v11, vcc
.LBB3664_145:
	s_or_b64 exec, exec, s[6:7]
	s_waitcnt lgkmcnt(4)
	v_lshlrev_b64 v[12:13], 2, v[12:13]
	s_waitcnt lgkmcnt(3)
	v_mov_b32_e32 v8, s5
	v_add_co_u32_e32 v12, vcc, s4, v12
	v_addc_co_u32_e32 v13, vcc, v8, v13, vcc
	global_store_dword v[12:13], v9, off
	s_or_b64 exec, exec, s[2:3]
	v_cmp_gt_u32_e32 vcc, s33, v23
	s_and_saveexec_b64 s[2:3], vcc
	s_cbranch_execnz .LBB3664_121
.LBB3664_146:
	s_or_b64 exec, exec, s[2:3]
	v_cmp_gt_u32_e32 vcc, s33, v22
	s_and_saveexec_b64 s[2:3], vcc
	s_cbranch_execz .LBB3664_126
.LBB3664_147:
	v_cmp_ge_u32_e32 vcc, v22, v10
                                        ; implicit-def: $vgpr8_vgpr9
	s_and_saveexec_b64 s[6:7], vcc
	s_xor_b64 s[6:7], exec, s[6:7]
	s_cbranch_execz .LBB3664_149
; %bb.148:
	s_waitcnt lgkmcnt(2)
	v_xor_b32_e32 v6, 0xfffffaff, v0
	v_ashrrev_i32_e32 v9, 31, v6
	v_add_co_u32_e32 v8, vcc, v17, v6
	v_addc_co_u32_e32 v9, vcc, v18, v9, vcc
                                        ; implicit-def: $vgpr22
.LBB3664_149:
	s_andn2_saveexec_b64 s[6:7], s[6:7]
	s_cbranch_execz .LBB3664_151
; %bb.150:
	s_waitcnt lgkmcnt(3)
	v_add_co_u32_e32 v8, vcc, v1, v22
	v_addc_co_u32_e32 v9, vcc, 0, v11, vcc
.LBB3664_151:
	s_or_b64 exec, exec, s[6:7]
	s_waitcnt lgkmcnt(3)
	v_lshlrev_b64 v[8:9], 2, v[8:9]
	s_waitcnt lgkmcnt(2)
	v_mov_b32_e32 v6, s5
	v_add_co_u32_e32 v8, vcc, s4, v8
	v_addc_co_u32_e32 v9, vcc, v6, v9, vcc
	global_store_dword v[8:9], v7, off
	s_or_b64 exec, exec, s[2:3]
	v_cmp_gt_u32_e32 vcc, s33, v21
	s_and_saveexec_b64 s[2:3], vcc
	s_cbranch_execnz .LBB3664_127
.LBB3664_152:
	s_or_b64 exec, exec, s[2:3]
	v_cmp_gt_u32_e32 vcc, s33, v20
	s_and_saveexec_b64 s[2:3], vcc
	s_cbranch_execz .LBB3664_132
.LBB3664_153:
	v_cmp_ge_u32_e32 vcc, v20, v10
                                        ; implicit-def: $vgpr6_vgpr7
	s_and_saveexec_b64 s[6:7], vcc
	s_xor_b64 s[6:7], exec, s[6:7]
	s_cbranch_execz .LBB3664_155
; %bb.154:
	s_waitcnt lgkmcnt(1)
	v_xor_b32_e32 v4, 0xfffff8ff, v0
	v_ashrrev_i32_e32 v7, 31, v4
	v_add_co_u32_e32 v6, vcc, v17, v4
	v_addc_co_u32_e32 v7, vcc, v18, v7, vcc
                                        ; implicit-def: $vgpr20
.LBB3664_155:
	s_andn2_saveexec_b64 s[6:7], s[6:7]
	s_cbranch_execz .LBB3664_157
; %bb.156:
	s_waitcnt lgkmcnt(2)
	v_add_co_u32_e32 v6, vcc, v1, v20
	v_addc_co_u32_e32 v7, vcc, 0, v11, vcc
.LBB3664_157:
	s_or_b64 exec, exec, s[6:7]
	s_waitcnt lgkmcnt(2)
	v_lshlrev_b64 v[6:7], 2, v[6:7]
	s_waitcnt lgkmcnt(1)
	v_mov_b32_e32 v4, s5
	v_add_co_u32_e32 v6, vcc, s4, v6
	v_addc_co_u32_e32 v7, vcc, v4, v7, vcc
	global_store_dword v[6:7], v5, off
	s_or_b64 exec, exec, s[2:3]
	v_cmp_gt_u32_e32 vcc, s33, v19
	s_and_saveexec_b64 s[2:3], vcc
	s_cbranch_execz .LBB3664_133
.LBB3664_158:
	v_cmp_ge_u32_e32 vcc, v19, v10
                                        ; implicit-def: $vgpr4_vgpr5
	s_and_saveexec_b64 s[6:7], vcc
	s_xor_b64 s[6:7], exec, s[6:7]
	s_cbranch_execz .LBB3664_160
; %bb.159:
	s_waitcnt lgkmcnt(1)
	v_xor_b32_e32 v4, 0xfffff7ff, v0
	v_ashrrev_i32_e32 v5, 31, v4
	v_add_co_u32_e32 v4, vcc, v17, v4
	v_addc_co_u32_e32 v5, vcc, v18, v5, vcc
                                        ; implicit-def: $vgpr19
.LBB3664_160:
	s_andn2_saveexec_b64 s[6:7], s[6:7]
	s_cbranch_execz .LBB3664_162
; %bb.161:
	s_waitcnt lgkmcnt(1)
	v_add_co_u32_e32 v4, vcc, v1, v19
	v_addc_co_u32_e32 v5, vcc, 0, v11, vcc
.LBB3664_162:
	s_or_b64 exec, exec, s[6:7]
	s_waitcnt lgkmcnt(1)
	v_lshlrev_b64 v[4:5], 2, v[4:5]
	v_mov_b32_e32 v6, s5
	v_add_co_u32_e32 v4, vcc, s4, v4
	v_addc_co_u32_e32 v5, vcc, v6, v5, vcc
	s_waitcnt lgkmcnt(0)
	global_store_dword v[4:5], v2, off
	s_or_b64 exec, exec, s[2:3]
	v_cmp_gt_u32_e32 vcc, s33, v16
                                        ; implicit-def: $vgpr14_vgpr15
	s_and_saveexec_b64 s[2:3], vcc
	s_cbranch_execz .LBB3664_168
.LBB3664_163:
	v_cmp_ge_u32_e32 vcc, v16, v10
                                        ; implicit-def: $vgpr14_vgpr15
	s_and_saveexec_b64 s[6:7], vcc
	s_xor_b64 s[6:7], exec, s[6:7]
	s_cbranch_execz .LBB3664_165
; %bb.164:
	s_waitcnt lgkmcnt(0)
	v_xor_b32_e32 v2, 0xfffff6ff, v0
	v_ashrrev_i32_e32 v4, 31, v2
	v_add_co_u32_e32 v14, vcc, v17, v2
	v_addc_co_u32_e32 v15, vcc, v18, v4, vcc
                                        ; implicit-def: $vgpr16
.LBB3664_165:
	s_andn2_saveexec_b64 s[6:7], s[6:7]
; %bb.166:
	v_add_co_u32_e32 v14, vcc, v1, v16
	v_addc_co_u32_e32 v15, vcc, 0, v11, vcc
; %bb.167:
	s_or_b64 exec, exec, s[6:7]
	s_or_b64 s[0:1], s[0:1], exec
.LBB3664_168:
	s_or_b64 exec, exec, s[2:3]
.LBB3664_169:
	s_and_saveexec_b64 s[2:3], s[0:1]
	s_cbranch_execz .LBB3664_171
; %bb.170:
	s_waitcnt lgkmcnt(1)
	v_lshlrev_b64 v[4:5], 2, v[14:15]
	s_waitcnt lgkmcnt(0)
	v_mov_b32_e32 v2, s5
	v_add_co_u32_e32 v4, vcc, s4, v4
	v_addc_co_u32_e32 v5, vcc, v2, v5, vcc
	global_store_dword v[4:5], v3, off
.LBB3664_171:
	s_or_b64 exec, exec, s[2:3]
	v_cmp_eq_u32_e32 vcc, 0, v0
	s_and_b64 s[0:1], vcc, s[26:27]
	s_and_saveexec_b64 s[2:3], s[0:1]
	s_cbranch_execz .LBB3664_173
; %bb.172:
	v_add_co_u32_e32 v0, vcc, v1, v10
	s_waitcnt lgkmcnt(0)
	v_mov_b32_e32 v2, 0
	v_addc_co_u32_e32 v1, vcc, 0, v11, vcc
	global_store_dwordx2 v2, v[0:1], s[24:25]
.LBB3664_173:
	s_endpgm
	.section	.rodata,"a",@progbits
	.p2align	6, 0x0
	.amdhsa_kernel _ZN7rocprim17ROCPRIM_400000_NS6detail17trampoline_kernelINS0_14default_configENS1_25partition_config_selectorILNS1_17partition_subalgoE3EiNS0_10empty_typeEbEEZZNS1_14partition_implILS5_3ELb0ES3_jN6thrust23THRUST_200600_302600_NS6detail15normal_iteratorINSA_7pointerIiNSA_11hip_rocprim5par_tENSA_11use_defaultESG_EEEEPS6_SJ_NS0_5tupleIJPiSJ_EEENSK_IJSJ_SJ_EEES6_PlJ7is_evenIiEEEE10hipError_tPvRmT3_T4_T5_T6_T7_T9_mT8_P12ihipStream_tbDpT10_ENKUlT_T0_E_clISt17integral_constantIbLb0EES1A_EEDaS15_S16_EUlS15_E_NS1_11comp_targetILNS1_3genE4ELNS1_11target_archE910ELNS1_3gpuE8ELNS1_3repE0EEENS1_30default_config_static_selectorELNS0_4arch9wavefront6targetE1EEEvT1_
		.amdhsa_group_segment_fixed_size 10248
		.amdhsa_private_segment_fixed_size 0
		.amdhsa_kernarg_size 120
		.amdhsa_user_sgpr_count 6
		.amdhsa_user_sgpr_private_segment_buffer 1
		.amdhsa_user_sgpr_dispatch_ptr 0
		.amdhsa_user_sgpr_queue_ptr 0
		.amdhsa_user_sgpr_kernarg_segment_ptr 1
		.amdhsa_user_sgpr_dispatch_id 0
		.amdhsa_user_sgpr_flat_scratch_init 0
		.amdhsa_user_sgpr_kernarg_preload_length 0
		.amdhsa_user_sgpr_kernarg_preload_offset 0
		.amdhsa_user_sgpr_private_segment_size 0
		.amdhsa_uses_dynamic_stack 0
		.amdhsa_system_sgpr_private_segment_wavefront_offset 0
		.amdhsa_system_sgpr_workgroup_id_x 1
		.amdhsa_system_sgpr_workgroup_id_y 0
		.amdhsa_system_sgpr_workgroup_id_z 0
		.amdhsa_system_sgpr_workgroup_info 0
		.amdhsa_system_vgpr_workitem_id 0
		.amdhsa_next_free_vgpr 54
		.amdhsa_next_free_sgpr 46
		.amdhsa_accum_offset 56
		.amdhsa_reserve_vcc 1
		.amdhsa_reserve_flat_scratch 0
		.amdhsa_float_round_mode_32 0
		.amdhsa_float_round_mode_16_64 0
		.amdhsa_float_denorm_mode_32 3
		.amdhsa_float_denorm_mode_16_64 3
		.amdhsa_dx10_clamp 1
		.amdhsa_ieee_mode 1
		.amdhsa_fp16_overflow 0
		.amdhsa_tg_split 0
		.amdhsa_exception_fp_ieee_invalid_op 0
		.amdhsa_exception_fp_denorm_src 0
		.amdhsa_exception_fp_ieee_div_zero 0
		.amdhsa_exception_fp_ieee_overflow 0
		.amdhsa_exception_fp_ieee_underflow 0
		.amdhsa_exception_fp_ieee_inexact 0
		.amdhsa_exception_int_div_zero 0
	.end_amdhsa_kernel
	.section	.text._ZN7rocprim17ROCPRIM_400000_NS6detail17trampoline_kernelINS0_14default_configENS1_25partition_config_selectorILNS1_17partition_subalgoE3EiNS0_10empty_typeEbEEZZNS1_14partition_implILS5_3ELb0ES3_jN6thrust23THRUST_200600_302600_NS6detail15normal_iteratorINSA_7pointerIiNSA_11hip_rocprim5par_tENSA_11use_defaultESG_EEEEPS6_SJ_NS0_5tupleIJPiSJ_EEENSK_IJSJ_SJ_EEES6_PlJ7is_evenIiEEEE10hipError_tPvRmT3_T4_T5_T6_T7_T9_mT8_P12ihipStream_tbDpT10_ENKUlT_T0_E_clISt17integral_constantIbLb0EES1A_EEDaS15_S16_EUlS15_E_NS1_11comp_targetILNS1_3genE4ELNS1_11target_archE910ELNS1_3gpuE8ELNS1_3repE0EEENS1_30default_config_static_selectorELNS0_4arch9wavefront6targetE1EEEvT1_,"axG",@progbits,_ZN7rocprim17ROCPRIM_400000_NS6detail17trampoline_kernelINS0_14default_configENS1_25partition_config_selectorILNS1_17partition_subalgoE3EiNS0_10empty_typeEbEEZZNS1_14partition_implILS5_3ELb0ES3_jN6thrust23THRUST_200600_302600_NS6detail15normal_iteratorINSA_7pointerIiNSA_11hip_rocprim5par_tENSA_11use_defaultESG_EEEEPS6_SJ_NS0_5tupleIJPiSJ_EEENSK_IJSJ_SJ_EEES6_PlJ7is_evenIiEEEE10hipError_tPvRmT3_T4_T5_T6_T7_T9_mT8_P12ihipStream_tbDpT10_ENKUlT_T0_E_clISt17integral_constantIbLb0EES1A_EEDaS15_S16_EUlS15_E_NS1_11comp_targetILNS1_3genE4ELNS1_11target_archE910ELNS1_3gpuE8ELNS1_3repE0EEENS1_30default_config_static_selectorELNS0_4arch9wavefront6targetE1EEEvT1_,comdat
.Lfunc_end3664:
	.size	_ZN7rocprim17ROCPRIM_400000_NS6detail17trampoline_kernelINS0_14default_configENS1_25partition_config_selectorILNS1_17partition_subalgoE3EiNS0_10empty_typeEbEEZZNS1_14partition_implILS5_3ELb0ES3_jN6thrust23THRUST_200600_302600_NS6detail15normal_iteratorINSA_7pointerIiNSA_11hip_rocprim5par_tENSA_11use_defaultESG_EEEEPS6_SJ_NS0_5tupleIJPiSJ_EEENSK_IJSJ_SJ_EEES6_PlJ7is_evenIiEEEE10hipError_tPvRmT3_T4_T5_T6_T7_T9_mT8_P12ihipStream_tbDpT10_ENKUlT_T0_E_clISt17integral_constantIbLb0EES1A_EEDaS15_S16_EUlS15_E_NS1_11comp_targetILNS1_3genE4ELNS1_11target_archE910ELNS1_3gpuE8ELNS1_3repE0EEENS1_30default_config_static_selectorELNS0_4arch9wavefront6targetE1EEEvT1_, .Lfunc_end3664-_ZN7rocprim17ROCPRIM_400000_NS6detail17trampoline_kernelINS0_14default_configENS1_25partition_config_selectorILNS1_17partition_subalgoE3EiNS0_10empty_typeEbEEZZNS1_14partition_implILS5_3ELb0ES3_jN6thrust23THRUST_200600_302600_NS6detail15normal_iteratorINSA_7pointerIiNSA_11hip_rocprim5par_tENSA_11use_defaultESG_EEEEPS6_SJ_NS0_5tupleIJPiSJ_EEENSK_IJSJ_SJ_EEES6_PlJ7is_evenIiEEEE10hipError_tPvRmT3_T4_T5_T6_T7_T9_mT8_P12ihipStream_tbDpT10_ENKUlT_T0_E_clISt17integral_constantIbLb0EES1A_EEDaS15_S16_EUlS15_E_NS1_11comp_targetILNS1_3genE4ELNS1_11target_archE910ELNS1_3gpuE8ELNS1_3repE0EEENS1_30default_config_static_selectorELNS0_4arch9wavefront6targetE1EEEvT1_
                                        ; -- End function
	.section	.AMDGPU.csdata,"",@progbits
; Kernel info:
; codeLenInByte = 6108
; NumSgprs: 50
; NumVgprs: 54
; NumAgprs: 0
; TotalNumVgprs: 54
; ScratchSize: 0
; MemoryBound: 0
; FloatMode: 240
; IeeeMode: 1
; LDSByteSize: 10248 bytes/workgroup (compile time only)
; SGPRBlocks: 6
; VGPRBlocks: 6
; NumSGPRsForWavesPerEU: 50
; NumVGPRsForWavesPerEU: 54
; AccumOffset: 56
; Occupancy: 6
; WaveLimiterHint : 1
; COMPUTE_PGM_RSRC2:SCRATCH_EN: 0
; COMPUTE_PGM_RSRC2:USER_SGPR: 6
; COMPUTE_PGM_RSRC2:TRAP_HANDLER: 0
; COMPUTE_PGM_RSRC2:TGID_X_EN: 1
; COMPUTE_PGM_RSRC2:TGID_Y_EN: 0
; COMPUTE_PGM_RSRC2:TGID_Z_EN: 0
; COMPUTE_PGM_RSRC2:TIDIG_COMP_CNT: 0
; COMPUTE_PGM_RSRC3_GFX90A:ACCUM_OFFSET: 13
; COMPUTE_PGM_RSRC3_GFX90A:TG_SPLIT: 0
	.section	.text._ZN7rocprim17ROCPRIM_400000_NS6detail17trampoline_kernelINS0_14default_configENS1_25partition_config_selectorILNS1_17partition_subalgoE3EiNS0_10empty_typeEbEEZZNS1_14partition_implILS5_3ELb0ES3_jN6thrust23THRUST_200600_302600_NS6detail15normal_iteratorINSA_7pointerIiNSA_11hip_rocprim5par_tENSA_11use_defaultESG_EEEEPS6_SJ_NS0_5tupleIJPiSJ_EEENSK_IJSJ_SJ_EEES6_PlJ7is_evenIiEEEE10hipError_tPvRmT3_T4_T5_T6_T7_T9_mT8_P12ihipStream_tbDpT10_ENKUlT_T0_E_clISt17integral_constantIbLb0EES1A_EEDaS15_S16_EUlS15_E_NS1_11comp_targetILNS1_3genE3ELNS1_11target_archE908ELNS1_3gpuE7ELNS1_3repE0EEENS1_30default_config_static_selectorELNS0_4arch9wavefront6targetE1EEEvT1_,"axG",@progbits,_ZN7rocprim17ROCPRIM_400000_NS6detail17trampoline_kernelINS0_14default_configENS1_25partition_config_selectorILNS1_17partition_subalgoE3EiNS0_10empty_typeEbEEZZNS1_14partition_implILS5_3ELb0ES3_jN6thrust23THRUST_200600_302600_NS6detail15normal_iteratorINSA_7pointerIiNSA_11hip_rocprim5par_tENSA_11use_defaultESG_EEEEPS6_SJ_NS0_5tupleIJPiSJ_EEENSK_IJSJ_SJ_EEES6_PlJ7is_evenIiEEEE10hipError_tPvRmT3_T4_T5_T6_T7_T9_mT8_P12ihipStream_tbDpT10_ENKUlT_T0_E_clISt17integral_constantIbLb0EES1A_EEDaS15_S16_EUlS15_E_NS1_11comp_targetILNS1_3genE3ELNS1_11target_archE908ELNS1_3gpuE7ELNS1_3repE0EEENS1_30default_config_static_selectorELNS0_4arch9wavefront6targetE1EEEvT1_,comdat
	.protected	_ZN7rocprim17ROCPRIM_400000_NS6detail17trampoline_kernelINS0_14default_configENS1_25partition_config_selectorILNS1_17partition_subalgoE3EiNS0_10empty_typeEbEEZZNS1_14partition_implILS5_3ELb0ES3_jN6thrust23THRUST_200600_302600_NS6detail15normal_iteratorINSA_7pointerIiNSA_11hip_rocprim5par_tENSA_11use_defaultESG_EEEEPS6_SJ_NS0_5tupleIJPiSJ_EEENSK_IJSJ_SJ_EEES6_PlJ7is_evenIiEEEE10hipError_tPvRmT3_T4_T5_T6_T7_T9_mT8_P12ihipStream_tbDpT10_ENKUlT_T0_E_clISt17integral_constantIbLb0EES1A_EEDaS15_S16_EUlS15_E_NS1_11comp_targetILNS1_3genE3ELNS1_11target_archE908ELNS1_3gpuE7ELNS1_3repE0EEENS1_30default_config_static_selectorELNS0_4arch9wavefront6targetE1EEEvT1_ ; -- Begin function _ZN7rocprim17ROCPRIM_400000_NS6detail17trampoline_kernelINS0_14default_configENS1_25partition_config_selectorILNS1_17partition_subalgoE3EiNS0_10empty_typeEbEEZZNS1_14partition_implILS5_3ELb0ES3_jN6thrust23THRUST_200600_302600_NS6detail15normal_iteratorINSA_7pointerIiNSA_11hip_rocprim5par_tENSA_11use_defaultESG_EEEEPS6_SJ_NS0_5tupleIJPiSJ_EEENSK_IJSJ_SJ_EEES6_PlJ7is_evenIiEEEE10hipError_tPvRmT3_T4_T5_T6_T7_T9_mT8_P12ihipStream_tbDpT10_ENKUlT_T0_E_clISt17integral_constantIbLb0EES1A_EEDaS15_S16_EUlS15_E_NS1_11comp_targetILNS1_3genE3ELNS1_11target_archE908ELNS1_3gpuE7ELNS1_3repE0EEENS1_30default_config_static_selectorELNS0_4arch9wavefront6targetE1EEEvT1_
	.globl	_ZN7rocprim17ROCPRIM_400000_NS6detail17trampoline_kernelINS0_14default_configENS1_25partition_config_selectorILNS1_17partition_subalgoE3EiNS0_10empty_typeEbEEZZNS1_14partition_implILS5_3ELb0ES3_jN6thrust23THRUST_200600_302600_NS6detail15normal_iteratorINSA_7pointerIiNSA_11hip_rocprim5par_tENSA_11use_defaultESG_EEEEPS6_SJ_NS0_5tupleIJPiSJ_EEENSK_IJSJ_SJ_EEES6_PlJ7is_evenIiEEEE10hipError_tPvRmT3_T4_T5_T6_T7_T9_mT8_P12ihipStream_tbDpT10_ENKUlT_T0_E_clISt17integral_constantIbLb0EES1A_EEDaS15_S16_EUlS15_E_NS1_11comp_targetILNS1_3genE3ELNS1_11target_archE908ELNS1_3gpuE7ELNS1_3repE0EEENS1_30default_config_static_selectorELNS0_4arch9wavefront6targetE1EEEvT1_
	.p2align	8
	.type	_ZN7rocprim17ROCPRIM_400000_NS6detail17trampoline_kernelINS0_14default_configENS1_25partition_config_selectorILNS1_17partition_subalgoE3EiNS0_10empty_typeEbEEZZNS1_14partition_implILS5_3ELb0ES3_jN6thrust23THRUST_200600_302600_NS6detail15normal_iteratorINSA_7pointerIiNSA_11hip_rocprim5par_tENSA_11use_defaultESG_EEEEPS6_SJ_NS0_5tupleIJPiSJ_EEENSK_IJSJ_SJ_EEES6_PlJ7is_evenIiEEEE10hipError_tPvRmT3_T4_T5_T6_T7_T9_mT8_P12ihipStream_tbDpT10_ENKUlT_T0_E_clISt17integral_constantIbLb0EES1A_EEDaS15_S16_EUlS15_E_NS1_11comp_targetILNS1_3genE3ELNS1_11target_archE908ELNS1_3gpuE7ELNS1_3repE0EEENS1_30default_config_static_selectorELNS0_4arch9wavefront6targetE1EEEvT1_,@function
_ZN7rocprim17ROCPRIM_400000_NS6detail17trampoline_kernelINS0_14default_configENS1_25partition_config_selectorILNS1_17partition_subalgoE3EiNS0_10empty_typeEbEEZZNS1_14partition_implILS5_3ELb0ES3_jN6thrust23THRUST_200600_302600_NS6detail15normal_iteratorINSA_7pointerIiNSA_11hip_rocprim5par_tENSA_11use_defaultESG_EEEEPS6_SJ_NS0_5tupleIJPiSJ_EEENSK_IJSJ_SJ_EEES6_PlJ7is_evenIiEEEE10hipError_tPvRmT3_T4_T5_T6_T7_T9_mT8_P12ihipStream_tbDpT10_ENKUlT_T0_E_clISt17integral_constantIbLb0EES1A_EEDaS15_S16_EUlS15_E_NS1_11comp_targetILNS1_3genE3ELNS1_11target_archE908ELNS1_3gpuE7ELNS1_3repE0EEENS1_30default_config_static_selectorELNS0_4arch9wavefront6targetE1EEEvT1_: ; @_ZN7rocprim17ROCPRIM_400000_NS6detail17trampoline_kernelINS0_14default_configENS1_25partition_config_selectorILNS1_17partition_subalgoE3EiNS0_10empty_typeEbEEZZNS1_14partition_implILS5_3ELb0ES3_jN6thrust23THRUST_200600_302600_NS6detail15normal_iteratorINSA_7pointerIiNSA_11hip_rocprim5par_tENSA_11use_defaultESG_EEEEPS6_SJ_NS0_5tupleIJPiSJ_EEENSK_IJSJ_SJ_EEES6_PlJ7is_evenIiEEEE10hipError_tPvRmT3_T4_T5_T6_T7_T9_mT8_P12ihipStream_tbDpT10_ENKUlT_T0_E_clISt17integral_constantIbLb0EES1A_EEDaS15_S16_EUlS15_E_NS1_11comp_targetILNS1_3genE3ELNS1_11target_archE908ELNS1_3gpuE7ELNS1_3repE0EEENS1_30default_config_static_selectorELNS0_4arch9wavefront6targetE1EEEvT1_
; %bb.0:
	.section	.rodata,"a",@progbits
	.p2align	6, 0x0
	.amdhsa_kernel _ZN7rocprim17ROCPRIM_400000_NS6detail17trampoline_kernelINS0_14default_configENS1_25partition_config_selectorILNS1_17partition_subalgoE3EiNS0_10empty_typeEbEEZZNS1_14partition_implILS5_3ELb0ES3_jN6thrust23THRUST_200600_302600_NS6detail15normal_iteratorINSA_7pointerIiNSA_11hip_rocprim5par_tENSA_11use_defaultESG_EEEEPS6_SJ_NS0_5tupleIJPiSJ_EEENSK_IJSJ_SJ_EEES6_PlJ7is_evenIiEEEE10hipError_tPvRmT3_T4_T5_T6_T7_T9_mT8_P12ihipStream_tbDpT10_ENKUlT_T0_E_clISt17integral_constantIbLb0EES1A_EEDaS15_S16_EUlS15_E_NS1_11comp_targetILNS1_3genE3ELNS1_11target_archE908ELNS1_3gpuE7ELNS1_3repE0EEENS1_30default_config_static_selectorELNS0_4arch9wavefront6targetE1EEEvT1_
		.amdhsa_group_segment_fixed_size 0
		.amdhsa_private_segment_fixed_size 0
		.amdhsa_kernarg_size 120
		.amdhsa_user_sgpr_count 6
		.amdhsa_user_sgpr_private_segment_buffer 1
		.amdhsa_user_sgpr_dispatch_ptr 0
		.amdhsa_user_sgpr_queue_ptr 0
		.amdhsa_user_sgpr_kernarg_segment_ptr 1
		.amdhsa_user_sgpr_dispatch_id 0
		.amdhsa_user_sgpr_flat_scratch_init 0
		.amdhsa_user_sgpr_kernarg_preload_length 0
		.amdhsa_user_sgpr_kernarg_preload_offset 0
		.amdhsa_user_sgpr_private_segment_size 0
		.amdhsa_uses_dynamic_stack 0
		.amdhsa_system_sgpr_private_segment_wavefront_offset 0
		.amdhsa_system_sgpr_workgroup_id_x 1
		.amdhsa_system_sgpr_workgroup_id_y 0
		.amdhsa_system_sgpr_workgroup_id_z 0
		.amdhsa_system_sgpr_workgroup_info 0
		.amdhsa_system_vgpr_workitem_id 0
		.amdhsa_next_free_vgpr 1
		.amdhsa_next_free_sgpr 0
		.amdhsa_accum_offset 4
		.amdhsa_reserve_vcc 0
		.amdhsa_reserve_flat_scratch 0
		.amdhsa_float_round_mode_32 0
		.amdhsa_float_round_mode_16_64 0
		.amdhsa_float_denorm_mode_32 3
		.amdhsa_float_denorm_mode_16_64 3
		.amdhsa_dx10_clamp 1
		.amdhsa_ieee_mode 1
		.amdhsa_fp16_overflow 0
		.amdhsa_tg_split 0
		.amdhsa_exception_fp_ieee_invalid_op 0
		.amdhsa_exception_fp_denorm_src 0
		.amdhsa_exception_fp_ieee_div_zero 0
		.amdhsa_exception_fp_ieee_overflow 0
		.amdhsa_exception_fp_ieee_underflow 0
		.amdhsa_exception_fp_ieee_inexact 0
		.amdhsa_exception_int_div_zero 0
	.end_amdhsa_kernel
	.section	.text._ZN7rocprim17ROCPRIM_400000_NS6detail17trampoline_kernelINS0_14default_configENS1_25partition_config_selectorILNS1_17partition_subalgoE3EiNS0_10empty_typeEbEEZZNS1_14partition_implILS5_3ELb0ES3_jN6thrust23THRUST_200600_302600_NS6detail15normal_iteratorINSA_7pointerIiNSA_11hip_rocprim5par_tENSA_11use_defaultESG_EEEEPS6_SJ_NS0_5tupleIJPiSJ_EEENSK_IJSJ_SJ_EEES6_PlJ7is_evenIiEEEE10hipError_tPvRmT3_T4_T5_T6_T7_T9_mT8_P12ihipStream_tbDpT10_ENKUlT_T0_E_clISt17integral_constantIbLb0EES1A_EEDaS15_S16_EUlS15_E_NS1_11comp_targetILNS1_3genE3ELNS1_11target_archE908ELNS1_3gpuE7ELNS1_3repE0EEENS1_30default_config_static_selectorELNS0_4arch9wavefront6targetE1EEEvT1_,"axG",@progbits,_ZN7rocprim17ROCPRIM_400000_NS6detail17trampoline_kernelINS0_14default_configENS1_25partition_config_selectorILNS1_17partition_subalgoE3EiNS0_10empty_typeEbEEZZNS1_14partition_implILS5_3ELb0ES3_jN6thrust23THRUST_200600_302600_NS6detail15normal_iteratorINSA_7pointerIiNSA_11hip_rocprim5par_tENSA_11use_defaultESG_EEEEPS6_SJ_NS0_5tupleIJPiSJ_EEENSK_IJSJ_SJ_EEES6_PlJ7is_evenIiEEEE10hipError_tPvRmT3_T4_T5_T6_T7_T9_mT8_P12ihipStream_tbDpT10_ENKUlT_T0_E_clISt17integral_constantIbLb0EES1A_EEDaS15_S16_EUlS15_E_NS1_11comp_targetILNS1_3genE3ELNS1_11target_archE908ELNS1_3gpuE7ELNS1_3repE0EEENS1_30default_config_static_selectorELNS0_4arch9wavefront6targetE1EEEvT1_,comdat
.Lfunc_end3665:
	.size	_ZN7rocprim17ROCPRIM_400000_NS6detail17trampoline_kernelINS0_14default_configENS1_25partition_config_selectorILNS1_17partition_subalgoE3EiNS0_10empty_typeEbEEZZNS1_14partition_implILS5_3ELb0ES3_jN6thrust23THRUST_200600_302600_NS6detail15normal_iteratorINSA_7pointerIiNSA_11hip_rocprim5par_tENSA_11use_defaultESG_EEEEPS6_SJ_NS0_5tupleIJPiSJ_EEENSK_IJSJ_SJ_EEES6_PlJ7is_evenIiEEEE10hipError_tPvRmT3_T4_T5_T6_T7_T9_mT8_P12ihipStream_tbDpT10_ENKUlT_T0_E_clISt17integral_constantIbLb0EES1A_EEDaS15_S16_EUlS15_E_NS1_11comp_targetILNS1_3genE3ELNS1_11target_archE908ELNS1_3gpuE7ELNS1_3repE0EEENS1_30default_config_static_selectorELNS0_4arch9wavefront6targetE1EEEvT1_, .Lfunc_end3665-_ZN7rocprim17ROCPRIM_400000_NS6detail17trampoline_kernelINS0_14default_configENS1_25partition_config_selectorILNS1_17partition_subalgoE3EiNS0_10empty_typeEbEEZZNS1_14partition_implILS5_3ELb0ES3_jN6thrust23THRUST_200600_302600_NS6detail15normal_iteratorINSA_7pointerIiNSA_11hip_rocprim5par_tENSA_11use_defaultESG_EEEEPS6_SJ_NS0_5tupleIJPiSJ_EEENSK_IJSJ_SJ_EEES6_PlJ7is_evenIiEEEE10hipError_tPvRmT3_T4_T5_T6_T7_T9_mT8_P12ihipStream_tbDpT10_ENKUlT_T0_E_clISt17integral_constantIbLb0EES1A_EEDaS15_S16_EUlS15_E_NS1_11comp_targetILNS1_3genE3ELNS1_11target_archE908ELNS1_3gpuE7ELNS1_3repE0EEENS1_30default_config_static_selectorELNS0_4arch9wavefront6targetE1EEEvT1_
                                        ; -- End function
	.section	.AMDGPU.csdata,"",@progbits
; Kernel info:
; codeLenInByte = 0
; NumSgprs: 4
; NumVgprs: 0
; NumAgprs: 0
; TotalNumVgprs: 0
; ScratchSize: 0
; MemoryBound: 0
; FloatMode: 240
; IeeeMode: 1
; LDSByteSize: 0 bytes/workgroup (compile time only)
; SGPRBlocks: 0
; VGPRBlocks: 0
; NumSGPRsForWavesPerEU: 4
; NumVGPRsForWavesPerEU: 1
; AccumOffset: 4
; Occupancy: 8
; WaveLimiterHint : 0
; COMPUTE_PGM_RSRC2:SCRATCH_EN: 0
; COMPUTE_PGM_RSRC2:USER_SGPR: 6
; COMPUTE_PGM_RSRC2:TRAP_HANDLER: 0
; COMPUTE_PGM_RSRC2:TGID_X_EN: 1
; COMPUTE_PGM_RSRC2:TGID_Y_EN: 0
; COMPUTE_PGM_RSRC2:TGID_Z_EN: 0
; COMPUTE_PGM_RSRC2:TIDIG_COMP_CNT: 0
; COMPUTE_PGM_RSRC3_GFX90A:ACCUM_OFFSET: 0
; COMPUTE_PGM_RSRC3_GFX90A:TG_SPLIT: 0
	.section	.text._ZN7rocprim17ROCPRIM_400000_NS6detail17trampoline_kernelINS0_14default_configENS1_25partition_config_selectorILNS1_17partition_subalgoE3EiNS0_10empty_typeEbEEZZNS1_14partition_implILS5_3ELb0ES3_jN6thrust23THRUST_200600_302600_NS6detail15normal_iteratorINSA_7pointerIiNSA_11hip_rocprim5par_tENSA_11use_defaultESG_EEEEPS6_SJ_NS0_5tupleIJPiSJ_EEENSK_IJSJ_SJ_EEES6_PlJ7is_evenIiEEEE10hipError_tPvRmT3_T4_T5_T6_T7_T9_mT8_P12ihipStream_tbDpT10_ENKUlT_T0_E_clISt17integral_constantIbLb0EES1A_EEDaS15_S16_EUlS15_E_NS1_11comp_targetILNS1_3genE2ELNS1_11target_archE906ELNS1_3gpuE6ELNS1_3repE0EEENS1_30default_config_static_selectorELNS0_4arch9wavefront6targetE1EEEvT1_,"axG",@progbits,_ZN7rocprim17ROCPRIM_400000_NS6detail17trampoline_kernelINS0_14default_configENS1_25partition_config_selectorILNS1_17partition_subalgoE3EiNS0_10empty_typeEbEEZZNS1_14partition_implILS5_3ELb0ES3_jN6thrust23THRUST_200600_302600_NS6detail15normal_iteratorINSA_7pointerIiNSA_11hip_rocprim5par_tENSA_11use_defaultESG_EEEEPS6_SJ_NS0_5tupleIJPiSJ_EEENSK_IJSJ_SJ_EEES6_PlJ7is_evenIiEEEE10hipError_tPvRmT3_T4_T5_T6_T7_T9_mT8_P12ihipStream_tbDpT10_ENKUlT_T0_E_clISt17integral_constantIbLb0EES1A_EEDaS15_S16_EUlS15_E_NS1_11comp_targetILNS1_3genE2ELNS1_11target_archE906ELNS1_3gpuE6ELNS1_3repE0EEENS1_30default_config_static_selectorELNS0_4arch9wavefront6targetE1EEEvT1_,comdat
	.protected	_ZN7rocprim17ROCPRIM_400000_NS6detail17trampoline_kernelINS0_14default_configENS1_25partition_config_selectorILNS1_17partition_subalgoE3EiNS0_10empty_typeEbEEZZNS1_14partition_implILS5_3ELb0ES3_jN6thrust23THRUST_200600_302600_NS6detail15normal_iteratorINSA_7pointerIiNSA_11hip_rocprim5par_tENSA_11use_defaultESG_EEEEPS6_SJ_NS0_5tupleIJPiSJ_EEENSK_IJSJ_SJ_EEES6_PlJ7is_evenIiEEEE10hipError_tPvRmT3_T4_T5_T6_T7_T9_mT8_P12ihipStream_tbDpT10_ENKUlT_T0_E_clISt17integral_constantIbLb0EES1A_EEDaS15_S16_EUlS15_E_NS1_11comp_targetILNS1_3genE2ELNS1_11target_archE906ELNS1_3gpuE6ELNS1_3repE0EEENS1_30default_config_static_selectorELNS0_4arch9wavefront6targetE1EEEvT1_ ; -- Begin function _ZN7rocprim17ROCPRIM_400000_NS6detail17trampoline_kernelINS0_14default_configENS1_25partition_config_selectorILNS1_17partition_subalgoE3EiNS0_10empty_typeEbEEZZNS1_14partition_implILS5_3ELb0ES3_jN6thrust23THRUST_200600_302600_NS6detail15normal_iteratorINSA_7pointerIiNSA_11hip_rocprim5par_tENSA_11use_defaultESG_EEEEPS6_SJ_NS0_5tupleIJPiSJ_EEENSK_IJSJ_SJ_EEES6_PlJ7is_evenIiEEEE10hipError_tPvRmT3_T4_T5_T6_T7_T9_mT8_P12ihipStream_tbDpT10_ENKUlT_T0_E_clISt17integral_constantIbLb0EES1A_EEDaS15_S16_EUlS15_E_NS1_11comp_targetILNS1_3genE2ELNS1_11target_archE906ELNS1_3gpuE6ELNS1_3repE0EEENS1_30default_config_static_selectorELNS0_4arch9wavefront6targetE1EEEvT1_
	.globl	_ZN7rocprim17ROCPRIM_400000_NS6detail17trampoline_kernelINS0_14default_configENS1_25partition_config_selectorILNS1_17partition_subalgoE3EiNS0_10empty_typeEbEEZZNS1_14partition_implILS5_3ELb0ES3_jN6thrust23THRUST_200600_302600_NS6detail15normal_iteratorINSA_7pointerIiNSA_11hip_rocprim5par_tENSA_11use_defaultESG_EEEEPS6_SJ_NS0_5tupleIJPiSJ_EEENSK_IJSJ_SJ_EEES6_PlJ7is_evenIiEEEE10hipError_tPvRmT3_T4_T5_T6_T7_T9_mT8_P12ihipStream_tbDpT10_ENKUlT_T0_E_clISt17integral_constantIbLb0EES1A_EEDaS15_S16_EUlS15_E_NS1_11comp_targetILNS1_3genE2ELNS1_11target_archE906ELNS1_3gpuE6ELNS1_3repE0EEENS1_30default_config_static_selectorELNS0_4arch9wavefront6targetE1EEEvT1_
	.p2align	8
	.type	_ZN7rocprim17ROCPRIM_400000_NS6detail17trampoline_kernelINS0_14default_configENS1_25partition_config_selectorILNS1_17partition_subalgoE3EiNS0_10empty_typeEbEEZZNS1_14partition_implILS5_3ELb0ES3_jN6thrust23THRUST_200600_302600_NS6detail15normal_iteratorINSA_7pointerIiNSA_11hip_rocprim5par_tENSA_11use_defaultESG_EEEEPS6_SJ_NS0_5tupleIJPiSJ_EEENSK_IJSJ_SJ_EEES6_PlJ7is_evenIiEEEE10hipError_tPvRmT3_T4_T5_T6_T7_T9_mT8_P12ihipStream_tbDpT10_ENKUlT_T0_E_clISt17integral_constantIbLb0EES1A_EEDaS15_S16_EUlS15_E_NS1_11comp_targetILNS1_3genE2ELNS1_11target_archE906ELNS1_3gpuE6ELNS1_3repE0EEENS1_30default_config_static_selectorELNS0_4arch9wavefront6targetE1EEEvT1_,@function
_ZN7rocprim17ROCPRIM_400000_NS6detail17trampoline_kernelINS0_14default_configENS1_25partition_config_selectorILNS1_17partition_subalgoE3EiNS0_10empty_typeEbEEZZNS1_14partition_implILS5_3ELb0ES3_jN6thrust23THRUST_200600_302600_NS6detail15normal_iteratorINSA_7pointerIiNSA_11hip_rocprim5par_tENSA_11use_defaultESG_EEEEPS6_SJ_NS0_5tupleIJPiSJ_EEENSK_IJSJ_SJ_EEES6_PlJ7is_evenIiEEEE10hipError_tPvRmT3_T4_T5_T6_T7_T9_mT8_P12ihipStream_tbDpT10_ENKUlT_T0_E_clISt17integral_constantIbLb0EES1A_EEDaS15_S16_EUlS15_E_NS1_11comp_targetILNS1_3genE2ELNS1_11target_archE906ELNS1_3gpuE6ELNS1_3repE0EEENS1_30default_config_static_selectorELNS0_4arch9wavefront6targetE1EEEvT1_: ; @_ZN7rocprim17ROCPRIM_400000_NS6detail17trampoline_kernelINS0_14default_configENS1_25partition_config_selectorILNS1_17partition_subalgoE3EiNS0_10empty_typeEbEEZZNS1_14partition_implILS5_3ELb0ES3_jN6thrust23THRUST_200600_302600_NS6detail15normal_iteratorINSA_7pointerIiNSA_11hip_rocprim5par_tENSA_11use_defaultESG_EEEEPS6_SJ_NS0_5tupleIJPiSJ_EEENSK_IJSJ_SJ_EEES6_PlJ7is_evenIiEEEE10hipError_tPvRmT3_T4_T5_T6_T7_T9_mT8_P12ihipStream_tbDpT10_ENKUlT_T0_E_clISt17integral_constantIbLb0EES1A_EEDaS15_S16_EUlS15_E_NS1_11comp_targetILNS1_3genE2ELNS1_11target_archE906ELNS1_3gpuE6ELNS1_3repE0EEENS1_30default_config_static_selectorELNS0_4arch9wavefront6targetE1EEEvT1_
; %bb.0:
	.section	.rodata,"a",@progbits
	.p2align	6, 0x0
	.amdhsa_kernel _ZN7rocprim17ROCPRIM_400000_NS6detail17trampoline_kernelINS0_14default_configENS1_25partition_config_selectorILNS1_17partition_subalgoE3EiNS0_10empty_typeEbEEZZNS1_14partition_implILS5_3ELb0ES3_jN6thrust23THRUST_200600_302600_NS6detail15normal_iteratorINSA_7pointerIiNSA_11hip_rocprim5par_tENSA_11use_defaultESG_EEEEPS6_SJ_NS0_5tupleIJPiSJ_EEENSK_IJSJ_SJ_EEES6_PlJ7is_evenIiEEEE10hipError_tPvRmT3_T4_T5_T6_T7_T9_mT8_P12ihipStream_tbDpT10_ENKUlT_T0_E_clISt17integral_constantIbLb0EES1A_EEDaS15_S16_EUlS15_E_NS1_11comp_targetILNS1_3genE2ELNS1_11target_archE906ELNS1_3gpuE6ELNS1_3repE0EEENS1_30default_config_static_selectorELNS0_4arch9wavefront6targetE1EEEvT1_
		.amdhsa_group_segment_fixed_size 0
		.amdhsa_private_segment_fixed_size 0
		.amdhsa_kernarg_size 120
		.amdhsa_user_sgpr_count 6
		.amdhsa_user_sgpr_private_segment_buffer 1
		.amdhsa_user_sgpr_dispatch_ptr 0
		.amdhsa_user_sgpr_queue_ptr 0
		.amdhsa_user_sgpr_kernarg_segment_ptr 1
		.amdhsa_user_sgpr_dispatch_id 0
		.amdhsa_user_sgpr_flat_scratch_init 0
		.amdhsa_user_sgpr_kernarg_preload_length 0
		.amdhsa_user_sgpr_kernarg_preload_offset 0
		.amdhsa_user_sgpr_private_segment_size 0
		.amdhsa_uses_dynamic_stack 0
		.amdhsa_system_sgpr_private_segment_wavefront_offset 0
		.amdhsa_system_sgpr_workgroup_id_x 1
		.amdhsa_system_sgpr_workgroup_id_y 0
		.amdhsa_system_sgpr_workgroup_id_z 0
		.amdhsa_system_sgpr_workgroup_info 0
		.amdhsa_system_vgpr_workitem_id 0
		.amdhsa_next_free_vgpr 1
		.amdhsa_next_free_sgpr 0
		.amdhsa_accum_offset 4
		.amdhsa_reserve_vcc 0
		.amdhsa_reserve_flat_scratch 0
		.amdhsa_float_round_mode_32 0
		.amdhsa_float_round_mode_16_64 0
		.amdhsa_float_denorm_mode_32 3
		.amdhsa_float_denorm_mode_16_64 3
		.amdhsa_dx10_clamp 1
		.amdhsa_ieee_mode 1
		.amdhsa_fp16_overflow 0
		.amdhsa_tg_split 0
		.amdhsa_exception_fp_ieee_invalid_op 0
		.amdhsa_exception_fp_denorm_src 0
		.amdhsa_exception_fp_ieee_div_zero 0
		.amdhsa_exception_fp_ieee_overflow 0
		.amdhsa_exception_fp_ieee_underflow 0
		.amdhsa_exception_fp_ieee_inexact 0
		.amdhsa_exception_int_div_zero 0
	.end_amdhsa_kernel
	.section	.text._ZN7rocprim17ROCPRIM_400000_NS6detail17trampoline_kernelINS0_14default_configENS1_25partition_config_selectorILNS1_17partition_subalgoE3EiNS0_10empty_typeEbEEZZNS1_14partition_implILS5_3ELb0ES3_jN6thrust23THRUST_200600_302600_NS6detail15normal_iteratorINSA_7pointerIiNSA_11hip_rocprim5par_tENSA_11use_defaultESG_EEEEPS6_SJ_NS0_5tupleIJPiSJ_EEENSK_IJSJ_SJ_EEES6_PlJ7is_evenIiEEEE10hipError_tPvRmT3_T4_T5_T6_T7_T9_mT8_P12ihipStream_tbDpT10_ENKUlT_T0_E_clISt17integral_constantIbLb0EES1A_EEDaS15_S16_EUlS15_E_NS1_11comp_targetILNS1_3genE2ELNS1_11target_archE906ELNS1_3gpuE6ELNS1_3repE0EEENS1_30default_config_static_selectorELNS0_4arch9wavefront6targetE1EEEvT1_,"axG",@progbits,_ZN7rocprim17ROCPRIM_400000_NS6detail17trampoline_kernelINS0_14default_configENS1_25partition_config_selectorILNS1_17partition_subalgoE3EiNS0_10empty_typeEbEEZZNS1_14partition_implILS5_3ELb0ES3_jN6thrust23THRUST_200600_302600_NS6detail15normal_iteratorINSA_7pointerIiNSA_11hip_rocprim5par_tENSA_11use_defaultESG_EEEEPS6_SJ_NS0_5tupleIJPiSJ_EEENSK_IJSJ_SJ_EEES6_PlJ7is_evenIiEEEE10hipError_tPvRmT3_T4_T5_T6_T7_T9_mT8_P12ihipStream_tbDpT10_ENKUlT_T0_E_clISt17integral_constantIbLb0EES1A_EEDaS15_S16_EUlS15_E_NS1_11comp_targetILNS1_3genE2ELNS1_11target_archE906ELNS1_3gpuE6ELNS1_3repE0EEENS1_30default_config_static_selectorELNS0_4arch9wavefront6targetE1EEEvT1_,comdat
.Lfunc_end3666:
	.size	_ZN7rocprim17ROCPRIM_400000_NS6detail17trampoline_kernelINS0_14default_configENS1_25partition_config_selectorILNS1_17partition_subalgoE3EiNS0_10empty_typeEbEEZZNS1_14partition_implILS5_3ELb0ES3_jN6thrust23THRUST_200600_302600_NS6detail15normal_iteratorINSA_7pointerIiNSA_11hip_rocprim5par_tENSA_11use_defaultESG_EEEEPS6_SJ_NS0_5tupleIJPiSJ_EEENSK_IJSJ_SJ_EEES6_PlJ7is_evenIiEEEE10hipError_tPvRmT3_T4_T5_T6_T7_T9_mT8_P12ihipStream_tbDpT10_ENKUlT_T0_E_clISt17integral_constantIbLb0EES1A_EEDaS15_S16_EUlS15_E_NS1_11comp_targetILNS1_3genE2ELNS1_11target_archE906ELNS1_3gpuE6ELNS1_3repE0EEENS1_30default_config_static_selectorELNS0_4arch9wavefront6targetE1EEEvT1_, .Lfunc_end3666-_ZN7rocprim17ROCPRIM_400000_NS6detail17trampoline_kernelINS0_14default_configENS1_25partition_config_selectorILNS1_17partition_subalgoE3EiNS0_10empty_typeEbEEZZNS1_14partition_implILS5_3ELb0ES3_jN6thrust23THRUST_200600_302600_NS6detail15normal_iteratorINSA_7pointerIiNSA_11hip_rocprim5par_tENSA_11use_defaultESG_EEEEPS6_SJ_NS0_5tupleIJPiSJ_EEENSK_IJSJ_SJ_EEES6_PlJ7is_evenIiEEEE10hipError_tPvRmT3_T4_T5_T6_T7_T9_mT8_P12ihipStream_tbDpT10_ENKUlT_T0_E_clISt17integral_constantIbLb0EES1A_EEDaS15_S16_EUlS15_E_NS1_11comp_targetILNS1_3genE2ELNS1_11target_archE906ELNS1_3gpuE6ELNS1_3repE0EEENS1_30default_config_static_selectorELNS0_4arch9wavefront6targetE1EEEvT1_
                                        ; -- End function
	.section	.AMDGPU.csdata,"",@progbits
; Kernel info:
; codeLenInByte = 0
; NumSgprs: 4
; NumVgprs: 0
; NumAgprs: 0
; TotalNumVgprs: 0
; ScratchSize: 0
; MemoryBound: 0
; FloatMode: 240
; IeeeMode: 1
; LDSByteSize: 0 bytes/workgroup (compile time only)
; SGPRBlocks: 0
; VGPRBlocks: 0
; NumSGPRsForWavesPerEU: 4
; NumVGPRsForWavesPerEU: 1
; AccumOffset: 4
; Occupancy: 8
; WaveLimiterHint : 0
; COMPUTE_PGM_RSRC2:SCRATCH_EN: 0
; COMPUTE_PGM_RSRC2:USER_SGPR: 6
; COMPUTE_PGM_RSRC2:TRAP_HANDLER: 0
; COMPUTE_PGM_RSRC2:TGID_X_EN: 1
; COMPUTE_PGM_RSRC2:TGID_Y_EN: 0
; COMPUTE_PGM_RSRC2:TGID_Z_EN: 0
; COMPUTE_PGM_RSRC2:TIDIG_COMP_CNT: 0
; COMPUTE_PGM_RSRC3_GFX90A:ACCUM_OFFSET: 0
; COMPUTE_PGM_RSRC3_GFX90A:TG_SPLIT: 0
	.section	.text._ZN7rocprim17ROCPRIM_400000_NS6detail17trampoline_kernelINS0_14default_configENS1_25partition_config_selectorILNS1_17partition_subalgoE3EiNS0_10empty_typeEbEEZZNS1_14partition_implILS5_3ELb0ES3_jN6thrust23THRUST_200600_302600_NS6detail15normal_iteratorINSA_7pointerIiNSA_11hip_rocprim5par_tENSA_11use_defaultESG_EEEEPS6_SJ_NS0_5tupleIJPiSJ_EEENSK_IJSJ_SJ_EEES6_PlJ7is_evenIiEEEE10hipError_tPvRmT3_T4_T5_T6_T7_T9_mT8_P12ihipStream_tbDpT10_ENKUlT_T0_E_clISt17integral_constantIbLb0EES1A_EEDaS15_S16_EUlS15_E_NS1_11comp_targetILNS1_3genE10ELNS1_11target_archE1200ELNS1_3gpuE4ELNS1_3repE0EEENS1_30default_config_static_selectorELNS0_4arch9wavefront6targetE1EEEvT1_,"axG",@progbits,_ZN7rocprim17ROCPRIM_400000_NS6detail17trampoline_kernelINS0_14default_configENS1_25partition_config_selectorILNS1_17partition_subalgoE3EiNS0_10empty_typeEbEEZZNS1_14partition_implILS5_3ELb0ES3_jN6thrust23THRUST_200600_302600_NS6detail15normal_iteratorINSA_7pointerIiNSA_11hip_rocprim5par_tENSA_11use_defaultESG_EEEEPS6_SJ_NS0_5tupleIJPiSJ_EEENSK_IJSJ_SJ_EEES6_PlJ7is_evenIiEEEE10hipError_tPvRmT3_T4_T5_T6_T7_T9_mT8_P12ihipStream_tbDpT10_ENKUlT_T0_E_clISt17integral_constantIbLb0EES1A_EEDaS15_S16_EUlS15_E_NS1_11comp_targetILNS1_3genE10ELNS1_11target_archE1200ELNS1_3gpuE4ELNS1_3repE0EEENS1_30default_config_static_selectorELNS0_4arch9wavefront6targetE1EEEvT1_,comdat
	.protected	_ZN7rocprim17ROCPRIM_400000_NS6detail17trampoline_kernelINS0_14default_configENS1_25partition_config_selectorILNS1_17partition_subalgoE3EiNS0_10empty_typeEbEEZZNS1_14partition_implILS5_3ELb0ES3_jN6thrust23THRUST_200600_302600_NS6detail15normal_iteratorINSA_7pointerIiNSA_11hip_rocprim5par_tENSA_11use_defaultESG_EEEEPS6_SJ_NS0_5tupleIJPiSJ_EEENSK_IJSJ_SJ_EEES6_PlJ7is_evenIiEEEE10hipError_tPvRmT3_T4_T5_T6_T7_T9_mT8_P12ihipStream_tbDpT10_ENKUlT_T0_E_clISt17integral_constantIbLb0EES1A_EEDaS15_S16_EUlS15_E_NS1_11comp_targetILNS1_3genE10ELNS1_11target_archE1200ELNS1_3gpuE4ELNS1_3repE0EEENS1_30default_config_static_selectorELNS0_4arch9wavefront6targetE1EEEvT1_ ; -- Begin function _ZN7rocprim17ROCPRIM_400000_NS6detail17trampoline_kernelINS0_14default_configENS1_25partition_config_selectorILNS1_17partition_subalgoE3EiNS0_10empty_typeEbEEZZNS1_14partition_implILS5_3ELb0ES3_jN6thrust23THRUST_200600_302600_NS6detail15normal_iteratorINSA_7pointerIiNSA_11hip_rocprim5par_tENSA_11use_defaultESG_EEEEPS6_SJ_NS0_5tupleIJPiSJ_EEENSK_IJSJ_SJ_EEES6_PlJ7is_evenIiEEEE10hipError_tPvRmT3_T4_T5_T6_T7_T9_mT8_P12ihipStream_tbDpT10_ENKUlT_T0_E_clISt17integral_constantIbLb0EES1A_EEDaS15_S16_EUlS15_E_NS1_11comp_targetILNS1_3genE10ELNS1_11target_archE1200ELNS1_3gpuE4ELNS1_3repE0EEENS1_30default_config_static_selectorELNS0_4arch9wavefront6targetE1EEEvT1_
	.globl	_ZN7rocprim17ROCPRIM_400000_NS6detail17trampoline_kernelINS0_14default_configENS1_25partition_config_selectorILNS1_17partition_subalgoE3EiNS0_10empty_typeEbEEZZNS1_14partition_implILS5_3ELb0ES3_jN6thrust23THRUST_200600_302600_NS6detail15normal_iteratorINSA_7pointerIiNSA_11hip_rocprim5par_tENSA_11use_defaultESG_EEEEPS6_SJ_NS0_5tupleIJPiSJ_EEENSK_IJSJ_SJ_EEES6_PlJ7is_evenIiEEEE10hipError_tPvRmT3_T4_T5_T6_T7_T9_mT8_P12ihipStream_tbDpT10_ENKUlT_T0_E_clISt17integral_constantIbLb0EES1A_EEDaS15_S16_EUlS15_E_NS1_11comp_targetILNS1_3genE10ELNS1_11target_archE1200ELNS1_3gpuE4ELNS1_3repE0EEENS1_30default_config_static_selectorELNS0_4arch9wavefront6targetE1EEEvT1_
	.p2align	8
	.type	_ZN7rocprim17ROCPRIM_400000_NS6detail17trampoline_kernelINS0_14default_configENS1_25partition_config_selectorILNS1_17partition_subalgoE3EiNS0_10empty_typeEbEEZZNS1_14partition_implILS5_3ELb0ES3_jN6thrust23THRUST_200600_302600_NS6detail15normal_iteratorINSA_7pointerIiNSA_11hip_rocprim5par_tENSA_11use_defaultESG_EEEEPS6_SJ_NS0_5tupleIJPiSJ_EEENSK_IJSJ_SJ_EEES6_PlJ7is_evenIiEEEE10hipError_tPvRmT3_T4_T5_T6_T7_T9_mT8_P12ihipStream_tbDpT10_ENKUlT_T0_E_clISt17integral_constantIbLb0EES1A_EEDaS15_S16_EUlS15_E_NS1_11comp_targetILNS1_3genE10ELNS1_11target_archE1200ELNS1_3gpuE4ELNS1_3repE0EEENS1_30default_config_static_selectorELNS0_4arch9wavefront6targetE1EEEvT1_,@function
_ZN7rocprim17ROCPRIM_400000_NS6detail17trampoline_kernelINS0_14default_configENS1_25partition_config_selectorILNS1_17partition_subalgoE3EiNS0_10empty_typeEbEEZZNS1_14partition_implILS5_3ELb0ES3_jN6thrust23THRUST_200600_302600_NS6detail15normal_iteratorINSA_7pointerIiNSA_11hip_rocprim5par_tENSA_11use_defaultESG_EEEEPS6_SJ_NS0_5tupleIJPiSJ_EEENSK_IJSJ_SJ_EEES6_PlJ7is_evenIiEEEE10hipError_tPvRmT3_T4_T5_T6_T7_T9_mT8_P12ihipStream_tbDpT10_ENKUlT_T0_E_clISt17integral_constantIbLb0EES1A_EEDaS15_S16_EUlS15_E_NS1_11comp_targetILNS1_3genE10ELNS1_11target_archE1200ELNS1_3gpuE4ELNS1_3repE0EEENS1_30default_config_static_selectorELNS0_4arch9wavefront6targetE1EEEvT1_: ; @_ZN7rocprim17ROCPRIM_400000_NS6detail17trampoline_kernelINS0_14default_configENS1_25partition_config_selectorILNS1_17partition_subalgoE3EiNS0_10empty_typeEbEEZZNS1_14partition_implILS5_3ELb0ES3_jN6thrust23THRUST_200600_302600_NS6detail15normal_iteratorINSA_7pointerIiNSA_11hip_rocprim5par_tENSA_11use_defaultESG_EEEEPS6_SJ_NS0_5tupleIJPiSJ_EEENSK_IJSJ_SJ_EEES6_PlJ7is_evenIiEEEE10hipError_tPvRmT3_T4_T5_T6_T7_T9_mT8_P12ihipStream_tbDpT10_ENKUlT_T0_E_clISt17integral_constantIbLb0EES1A_EEDaS15_S16_EUlS15_E_NS1_11comp_targetILNS1_3genE10ELNS1_11target_archE1200ELNS1_3gpuE4ELNS1_3repE0EEENS1_30default_config_static_selectorELNS0_4arch9wavefront6targetE1EEEvT1_
; %bb.0:
	.section	.rodata,"a",@progbits
	.p2align	6, 0x0
	.amdhsa_kernel _ZN7rocprim17ROCPRIM_400000_NS6detail17trampoline_kernelINS0_14default_configENS1_25partition_config_selectorILNS1_17partition_subalgoE3EiNS0_10empty_typeEbEEZZNS1_14partition_implILS5_3ELb0ES3_jN6thrust23THRUST_200600_302600_NS6detail15normal_iteratorINSA_7pointerIiNSA_11hip_rocprim5par_tENSA_11use_defaultESG_EEEEPS6_SJ_NS0_5tupleIJPiSJ_EEENSK_IJSJ_SJ_EEES6_PlJ7is_evenIiEEEE10hipError_tPvRmT3_T4_T5_T6_T7_T9_mT8_P12ihipStream_tbDpT10_ENKUlT_T0_E_clISt17integral_constantIbLb0EES1A_EEDaS15_S16_EUlS15_E_NS1_11comp_targetILNS1_3genE10ELNS1_11target_archE1200ELNS1_3gpuE4ELNS1_3repE0EEENS1_30default_config_static_selectorELNS0_4arch9wavefront6targetE1EEEvT1_
		.amdhsa_group_segment_fixed_size 0
		.amdhsa_private_segment_fixed_size 0
		.amdhsa_kernarg_size 120
		.amdhsa_user_sgpr_count 6
		.amdhsa_user_sgpr_private_segment_buffer 1
		.amdhsa_user_sgpr_dispatch_ptr 0
		.amdhsa_user_sgpr_queue_ptr 0
		.amdhsa_user_sgpr_kernarg_segment_ptr 1
		.amdhsa_user_sgpr_dispatch_id 0
		.amdhsa_user_sgpr_flat_scratch_init 0
		.amdhsa_user_sgpr_kernarg_preload_length 0
		.amdhsa_user_sgpr_kernarg_preload_offset 0
		.amdhsa_user_sgpr_private_segment_size 0
		.amdhsa_uses_dynamic_stack 0
		.amdhsa_system_sgpr_private_segment_wavefront_offset 0
		.amdhsa_system_sgpr_workgroup_id_x 1
		.amdhsa_system_sgpr_workgroup_id_y 0
		.amdhsa_system_sgpr_workgroup_id_z 0
		.amdhsa_system_sgpr_workgroup_info 0
		.amdhsa_system_vgpr_workitem_id 0
		.amdhsa_next_free_vgpr 1
		.amdhsa_next_free_sgpr 0
		.amdhsa_accum_offset 4
		.amdhsa_reserve_vcc 0
		.amdhsa_reserve_flat_scratch 0
		.amdhsa_float_round_mode_32 0
		.amdhsa_float_round_mode_16_64 0
		.amdhsa_float_denorm_mode_32 3
		.amdhsa_float_denorm_mode_16_64 3
		.amdhsa_dx10_clamp 1
		.amdhsa_ieee_mode 1
		.amdhsa_fp16_overflow 0
		.amdhsa_tg_split 0
		.amdhsa_exception_fp_ieee_invalid_op 0
		.amdhsa_exception_fp_denorm_src 0
		.amdhsa_exception_fp_ieee_div_zero 0
		.amdhsa_exception_fp_ieee_overflow 0
		.amdhsa_exception_fp_ieee_underflow 0
		.amdhsa_exception_fp_ieee_inexact 0
		.amdhsa_exception_int_div_zero 0
	.end_amdhsa_kernel
	.section	.text._ZN7rocprim17ROCPRIM_400000_NS6detail17trampoline_kernelINS0_14default_configENS1_25partition_config_selectorILNS1_17partition_subalgoE3EiNS0_10empty_typeEbEEZZNS1_14partition_implILS5_3ELb0ES3_jN6thrust23THRUST_200600_302600_NS6detail15normal_iteratorINSA_7pointerIiNSA_11hip_rocprim5par_tENSA_11use_defaultESG_EEEEPS6_SJ_NS0_5tupleIJPiSJ_EEENSK_IJSJ_SJ_EEES6_PlJ7is_evenIiEEEE10hipError_tPvRmT3_T4_T5_T6_T7_T9_mT8_P12ihipStream_tbDpT10_ENKUlT_T0_E_clISt17integral_constantIbLb0EES1A_EEDaS15_S16_EUlS15_E_NS1_11comp_targetILNS1_3genE10ELNS1_11target_archE1200ELNS1_3gpuE4ELNS1_3repE0EEENS1_30default_config_static_selectorELNS0_4arch9wavefront6targetE1EEEvT1_,"axG",@progbits,_ZN7rocprim17ROCPRIM_400000_NS6detail17trampoline_kernelINS0_14default_configENS1_25partition_config_selectorILNS1_17partition_subalgoE3EiNS0_10empty_typeEbEEZZNS1_14partition_implILS5_3ELb0ES3_jN6thrust23THRUST_200600_302600_NS6detail15normal_iteratorINSA_7pointerIiNSA_11hip_rocprim5par_tENSA_11use_defaultESG_EEEEPS6_SJ_NS0_5tupleIJPiSJ_EEENSK_IJSJ_SJ_EEES6_PlJ7is_evenIiEEEE10hipError_tPvRmT3_T4_T5_T6_T7_T9_mT8_P12ihipStream_tbDpT10_ENKUlT_T0_E_clISt17integral_constantIbLb0EES1A_EEDaS15_S16_EUlS15_E_NS1_11comp_targetILNS1_3genE10ELNS1_11target_archE1200ELNS1_3gpuE4ELNS1_3repE0EEENS1_30default_config_static_selectorELNS0_4arch9wavefront6targetE1EEEvT1_,comdat
.Lfunc_end3667:
	.size	_ZN7rocprim17ROCPRIM_400000_NS6detail17trampoline_kernelINS0_14default_configENS1_25partition_config_selectorILNS1_17partition_subalgoE3EiNS0_10empty_typeEbEEZZNS1_14partition_implILS5_3ELb0ES3_jN6thrust23THRUST_200600_302600_NS6detail15normal_iteratorINSA_7pointerIiNSA_11hip_rocprim5par_tENSA_11use_defaultESG_EEEEPS6_SJ_NS0_5tupleIJPiSJ_EEENSK_IJSJ_SJ_EEES6_PlJ7is_evenIiEEEE10hipError_tPvRmT3_T4_T5_T6_T7_T9_mT8_P12ihipStream_tbDpT10_ENKUlT_T0_E_clISt17integral_constantIbLb0EES1A_EEDaS15_S16_EUlS15_E_NS1_11comp_targetILNS1_3genE10ELNS1_11target_archE1200ELNS1_3gpuE4ELNS1_3repE0EEENS1_30default_config_static_selectorELNS0_4arch9wavefront6targetE1EEEvT1_, .Lfunc_end3667-_ZN7rocprim17ROCPRIM_400000_NS6detail17trampoline_kernelINS0_14default_configENS1_25partition_config_selectorILNS1_17partition_subalgoE3EiNS0_10empty_typeEbEEZZNS1_14partition_implILS5_3ELb0ES3_jN6thrust23THRUST_200600_302600_NS6detail15normal_iteratorINSA_7pointerIiNSA_11hip_rocprim5par_tENSA_11use_defaultESG_EEEEPS6_SJ_NS0_5tupleIJPiSJ_EEENSK_IJSJ_SJ_EEES6_PlJ7is_evenIiEEEE10hipError_tPvRmT3_T4_T5_T6_T7_T9_mT8_P12ihipStream_tbDpT10_ENKUlT_T0_E_clISt17integral_constantIbLb0EES1A_EEDaS15_S16_EUlS15_E_NS1_11comp_targetILNS1_3genE10ELNS1_11target_archE1200ELNS1_3gpuE4ELNS1_3repE0EEENS1_30default_config_static_selectorELNS0_4arch9wavefront6targetE1EEEvT1_
                                        ; -- End function
	.section	.AMDGPU.csdata,"",@progbits
; Kernel info:
; codeLenInByte = 0
; NumSgprs: 4
; NumVgprs: 0
; NumAgprs: 0
; TotalNumVgprs: 0
; ScratchSize: 0
; MemoryBound: 0
; FloatMode: 240
; IeeeMode: 1
; LDSByteSize: 0 bytes/workgroup (compile time only)
; SGPRBlocks: 0
; VGPRBlocks: 0
; NumSGPRsForWavesPerEU: 4
; NumVGPRsForWavesPerEU: 1
; AccumOffset: 4
; Occupancy: 8
; WaveLimiterHint : 0
; COMPUTE_PGM_RSRC2:SCRATCH_EN: 0
; COMPUTE_PGM_RSRC2:USER_SGPR: 6
; COMPUTE_PGM_RSRC2:TRAP_HANDLER: 0
; COMPUTE_PGM_RSRC2:TGID_X_EN: 1
; COMPUTE_PGM_RSRC2:TGID_Y_EN: 0
; COMPUTE_PGM_RSRC2:TGID_Z_EN: 0
; COMPUTE_PGM_RSRC2:TIDIG_COMP_CNT: 0
; COMPUTE_PGM_RSRC3_GFX90A:ACCUM_OFFSET: 0
; COMPUTE_PGM_RSRC3_GFX90A:TG_SPLIT: 0
	.section	.text._ZN7rocprim17ROCPRIM_400000_NS6detail17trampoline_kernelINS0_14default_configENS1_25partition_config_selectorILNS1_17partition_subalgoE3EiNS0_10empty_typeEbEEZZNS1_14partition_implILS5_3ELb0ES3_jN6thrust23THRUST_200600_302600_NS6detail15normal_iteratorINSA_7pointerIiNSA_11hip_rocprim5par_tENSA_11use_defaultESG_EEEEPS6_SJ_NS0_5tupleIJPiSJ_EEENSK_IJSJ_SJ_EEES6_PlJ7is_evenIiEEEE10hipError_tPvRmT3_T4_T5_T6_T7_T9_mT8_P12ihipStream_tbDpT10_ENKUlT_T0_E_clISt17integral_constantIbLb0EES1A_EEDaS15_S16_EUlS15_E_NS1_11comp_targetILNS1_3genE9ELNS1_11target_archE1100ELNS1_3gpuE3ELNS1_3repE0EEENS1_30default_config_static_selectorELNS0_4arch9wavefront6targetE1EEEvT1_,"axG",@progbits,_ZN7rocprim17ROCPRIM_400000_NS6detail17trampoline_kernelINS0_14default_configENS1_25partition_config_selectorILNS1_17partition_subalgoE3EiNS0_10empty_typeEbEEZZNS1_14partition_implILS5_3ELb0ES3_jN6thrust23THRUST_200600_302600_NS6detail15normal_iteratorINSA_7pointerIiNSA_11hip_rocprim5par_tENSA_11use_defaultESG_EEEEPS6_SJ_NS0_5tupleIJPiSJ_EEENSK_IJSJ_SJ_EEES6_PlJ7is_evenIiEEEE10hipError_tPvRmT3_T4_T5_T6_T7_T9_mT8_P12ihipStream_tbDpT10_ENKUlT_T0_E_clISt17integral_constantIbLb0EES1A_EEDaS15_S16_EUlS15_E_NS1_11comp_targetILNS1_3genE9ELNS1_11target_archE1100ELNS1_3gpuE3ELNS1_3repE0EEENS1_30default_config_static_selectorELNS0_4arch9wavefront6targetE1EEEvT1_,comdat
	.protected	_ZN7rocprim17ROCPRIM_400000_NS6detail17trampoline_kernelINS0_14default_configENS1_25partition_config_selectorILNS1_17partition_subalgoE3EiNS0_10empty_typeEbEEZZNS1_14partition_implILS5_3ELb0ES3_jN6thrust23THRUST_200600_302600_NS6detail15normal_iteratorINSA_7pointerIiNSA_11hip_rocprim5par_tENSA_11use_defaultESG_EEEEPS6_SJ_NS0_5tupleIJPiSJ_EEENSK_IJSJ_SJ_EEES6_PlJ7is_evenIiEEEE10hipError_tPvRmT3_T4_T5_T6_T7_T9_mT8_P12ihipStream_tbDpT10_ENKUlT_T0_E_clISt17integral_constantIbLb0EES1A_EEDaS15_S16_EUlS15_E_NS1_11comp_targetILNS1_3genE9ELNS1_11target_archE1100ELNS1_3gpuE3ELNS1_3repE0EEENS1_30default_config_static_selectorELNS0_4arch9wavefront6targetE1EEEvT1_ ; -- Begin function _ZN7rocprim17ROCPRIM_400000_NS6detail17trampoline_kernelINS0_14default_configENS1_25partition_config_selectorILNS1_17partition_subalgoE3EiNS0_10empty_typeEbEEZZNS1_14partition_implILS5_3ELb0ES3_jN6thrust23THRUST_200600_302600_NS6detail15normal_iteratorINSA_7pointerIiNSA_11hip_rocprim5par_tENSA_11use_defaultESG_EEEEPS6_SJ_NS0_5tupleIJPiSJ_EEENSK_IJSJ_SJ_EEES6_PlJ7is_evenIiEEEE10hipError_tPvRmT3_T4_T5_T6_T7_T9_mT8_P12ihipStream_tbDpT10_ENKUlT_T0_E_clISt17integral_constantIbLb0EES1A_EEDaS15_S16_EUlS15_E_NS1_11comp_targetILNS1_3genE9ELNS1_11target_archE1100ELNS1_3gpuE3ELNS1_3repE0EEENS1_30default_config_static_selectorELNS0_4arch9wavefront6targetE1EEEvT1_
	.globl	_ZN7rocprim17ROCPRIM_400000_NS6detail17trampoline_kernelINS0_14default_configENS1_25partition_config_selectorILNS1_17partition_subalgoE3EiNS0_10empty_typeEbEEZZNS1_14partition_implILS5_3ELb0ES3_jN6thrust23THRUST_200600_302600_NS6detail15normal_iteratorINSA_7pointerIiNSA_11hip_rocprim5par_tENSA_11use_defaultESG_EEEEPS6_SJ_NS0_5tupleIJPiSJ_EEENSK_IJSJ_SJ_EEES6_PlJ7is_evenIiEEEE10hipError_tPvRmT3_T4_T5_T6_T7_T9_mT8_P12ihipStream_tbDpT10_ENKUlT_T0_E_clISt17integral_constantIbLb0EES1A_EEDaS15_S16_EUlS15_E_NS1_11comp_targetILNS1_3genE9ELNS1_11target_archE1100ELNS1_3gpuE3ELNS1_3repE0EEENS1_30default_config_static_selectorELNS0_4arch9wavefront6targetE1EEEvT1_
	.p2align	8
	.type	_ZN7rocprim17ROCPRIM_400000_NS6detail17trampoline_kernelINS0_14default_configENS1_25partition_config_selectorILNS1_17partition_subalgoE3EiNS0_10empty_typeEbEEZZNS1_14partition_implILS5_3ELb0ES3_jN6thrust23THRUST_200600_302600_NS6detail15normal_iteratorINSA_7pointerIiNSA_11hip_rocprim5par_tENSA_11use_defaultESG_EEEEPS6_SJ_NS0_5tupleIJPiSJ_EEENSK_IJSJ_SJ_EEES6_PlJ7is_evenIiEEEE10hipError_tPvRmT3_T4_T5_T6_T7_T9_mT8_P12ihipStream_tbDpT10_ENKUlT_T0_E_clISt17integral_constantIbLb0EES1A_EEDaS15_S16_EUlS15_E_NS1_11comp_targetILNS1_3genE9ELNS1_11target_archE1100ELNS1_3gpuE3ELNS1_3repE0EEENS1_30default_config_static_selectorELNS0_4arch9wavefront6targetE1EEEvT1_,@function
_ZN7rocprim17ROCPRIM_400000_NS6detail17trampoline_kernelINS0_14default_configENS1_25partition_config_selectorILNS1_17partition_subalgoE3EiNS0_10empty_typeEbEEZZNS1_14partition_implILS5_3ELb0ES3_jN6thrust23THRUST_200600_302600_NS6detail15normal_iteratorINSA_7pointerIiNSA_11hip_rocprim5par_tENSA_11use_defaultESG_EEEEPS6_SJ_NS0_5tupleIJPiSJ_EEENSK_IJSJ_SJ_EEES6_PlJ7is_evenIiEEEE10hipError_tPvRmT3_T4_T5_T6_T7_T9_mT8_P12ihipStream_tbDpT10_ENKUlT_T0_E_clISt17integral_constantIbLb0EES1A_EEDaS15_S16_EUlS15_E_NS1_11comp_targetILNS1_3genE9ELNS1_11target_archE1100ELNS1_3gpuE3ELNS1_3repE0EEENS1_30default_config_static_selectorELNS0_4arch9wavefront6targetE1EEEvT1_: ; @_ZN7rocprim17ROCPRIM_400000_NS6detail17trampoline_kernelINS0_14default_configENS1_25partition_config_selectorILNS1_17partition_subalgoE3EiNS0_10empty_typeEbEEZZNS1_14partition_implILS5_3ELb0ES3_jN6thrust23THRUST_200600_302600_NS6detail15normal_iteratorINSA_7pointerIiNSA_11hip_rocprim5par_tENSA_11use_defaultESG_EEEEPS6_SJ_NS0_5tupleIJPiSJ_EEENSK_IJSJ_SJ_EEES6_PlJ7is_evenIiEEEE10hipError_tPvRmT3_T4_T5_T6_T7_T9_mT8_P12ihipStream_tbDpT10_ENKUlT_T0_E_clISt17integral_constantIbLb0EES1A_EEDaS15_S16_EUlS15_E_NS1_11comp_targetILNS1_3genE9ELNS1_11target_archE1100ELNS1_3gpuE3ELNS1_3repE0EEENS1_30default_config_static_selectorELNS0_4arch9wavefront6targetE1EEEvT1_
; %bb.0:
	.section	.rodata,"a",@progbits
	.p2align	6, 0x0
	.amdhsa_kernel _ZN7rocprim17ROCPRIM_400000_NS6detail17trampoline_kernelINS0_14default_configENS1_25partition_config_selectorILNS1_17partition_subalgoE3EiNS0_10empty_typeEbEEZZNS1_14partition_implILS5_3ELb0ES3_jN6thrust23THRUST_200600_302600_NS6detail15normal_iteratorINSA_7pointerIiNSA_11hip_rocprim5par_tENSA_11use_defaultESG_EEEEPS6_SJ_NS0_5tupleIJPiSJ_EEENSK_IJSJ_SJ_EEES6_PlJ7is_evenIiEEEE10hipError_tPvRmT3_T4_T5_T6_T7_T9_mT8_P12ihipStream_tbDpT10_ENKUlT_T0_E_clISt17integral_constantIbLb0EES1A_EEDaS15_S16_EUlS15_E_NS1_11comp_targetILNS1_3genE9ELNS1_11target_archE1100ELNS1_3gpuE3ELNS1_3repE0EEENS1_30default_config_static_selectorELNS0_4arch9wavefront6targetE1EEEvT1_
		.amdhsa_group_segment_fixed_size 0
		.amdhsa_private_segment_fixed_size 0
		.amdhsa_kernarg_size 120
		.amdhsa_user_sgpr_count 6
		.amdhsa_user_sgpr_private_segment_buffer 1
		.amdhsa_user_sgpr_dispatch_ptr 0
		.amdhsa_user_sgpr_queue_ptr 0
		.amdhsa_user_sgpr_kernarg_segment_ptr 1
		.amdhsa_user_sgpr_dispatch_id 0
		.amdhsa_user_sgpr_flat_scratch_init 0
		.amdhsa_user_sgpr_kernarg_preload_length 0
		.amdhsa_user_sgpr_kernarg_preload_offset 0
		.amdhsa_user_sgpr_private_segment_size 0
		.amdhsa_uses_dynamic_stack 0
		.amdhsa_system_sgpr_private_segment_wavefront_offset 0
		.amdhsa_system_sgpr_workgroup_id_x 1
		.amdhsa_system_sgpr_workgroup_id_y 0
		.amdhsa_system_sgpr_workgroup_id_z 0
		.amdhsa_system_sgpr_workgroup_info 0
		.amdhsa_system_vgpr_workitem_id 0
		.amdhsa_next_free_vgpr 1
		.amdhsa_next_free_sgpr 0
		.amdhsa_accum_offset 4
		.amdhsa_reserve_vcc 0
		.amdhsa_reserve_flat_scratch 0
		.amdhsa_float_round_mode_32 0
		.amdhsa_float_round_mode_16_64 0
		.amdhsa_float_denorm_mode_32 3
		.amdhsa_float_denorm_mode_16_64 3
		.amdhsa_dx10_clamp 1
		.amdhsa_ieee_mode 1
		.amdhsa_fp16_overflow 0
		.amdhsa_tg_split 0
		.amdhsa_exception_fp_ieee_invalid_op 0
		.amdhsa_exception_fp_denorm_src 0
		.amdhsa_exception_fp_ieee_div_zero 0
		.amdhsa_exception_fp_ieee_overflow 0
		.amdhsa_exception_fp_ieee_underflow 0
		.amdhsa_exception_fp_ieee_inexact 0
		.amdhsa_exception_int_div_zero 0
	.end_amdhsa_kernel
	.section	.text._ZN7rocprim17ROCPRIM_400000_NS6detail17trampoline_kernelINS0_14default_configENS1_25partition_config_selectorILNS1_17partition_subalgoE3EiNS0_10empty_typeEbEEZZNS1_14partition_implILS5_3ELb0ES3_jN6thrust23THRUST_200600_302600_NS6detail15normal_iteratorINSA_7pointerIiNSA_11hip_rocprim5par_tENSA_11use_defaultESG_EEEEPS6_SJ_NS0_5tupleIJPiSJ_EEENSK_IJSJ_SJ_EEES6_PlJ7is_evenIiEEEE10hipError_tPvRmT3_T4_T5_T6_T7_T9_mT8_P12ihipStream_tbDpT10_ENKUlT_T0_E_clISt17integral_constantIbLb0EES1A_EEDaS15_S16_EUlS15_E_NS1_11comp_targetILNS1_3genE9ELNS1_11target_archE1100ELNS1_3gpuE3ELNS1_3repE0EEENS1_30default_config_static_selectorELNS0_4arch9wavefront6targetE1EEEvT1_,"axG",@progbits,_ZN7rocprim17ROCPRIM_400000_NS6detail17trampoline_kernelINS0_14default_configENS1_25partition_config_selectorILNS1_17partition_subalgoE3EiNS0_10empty_typeEbEEZZNS1_14partition_implILS5_3ELb0ES3_jN6thrust23THRUST_200600_302600_NS6detail15normal_iteratorINSA_7pointerIiNSA_11hip_rocprim5par_tENSA_11use_defaultESG_EEEEPS6_SJ_NS0_5tupleIJPiSJ_EEENSK_IJSJ_SJ_EEES6_PlJ7is_evenIiEEEE10hipError_tPvRmT3_T4_T5_T6_T7_T9_mT8_P12ihipStream_tbDpT10_ENKUlT_T0_E_clISt17integral_constantIbLb0EES1A_EEDaS15_S16_EUlS15_E_NS1_11comp_targetILNS1_3genE9ELNS1_11target_archE1100ELNS1_3gpuE3ELNS1_3repE0EEENS1_30default_config_static_selectorELNS0_4arch9wavefront6targetE1EEEvT1_,comdat
.Lfunc_end3668:
	.size	_ZN7rocprim17ROCPRIM_400000_NS6detail17trampoline_kernelINS0_14default_configENS1_25partition_config_selectorILNS1_17partition_subalgoE3EiNS0_10empty_typeEbEEZZNS1_14partition_implILS5_3ELb0ES3_jN6thrust23THRUST_200600_302600_NS6detail15normal_iteratorINSA_7pointerIiNSA_11hip_rocprim5par_tENSA_11use_defaultESG_EEEEPS6_SJ_NS0_5tupleIJPiSJ_EEENSK_IJSJ_SJ_EEES6_PlJ7is_evenIiEEEE10hipError_tPvRmT3_T4_T5_T6_T7_T9_mT8_P12ihipStream_tbDpT10_ENKUlT_T0_E_clISt17integral_constantIbLb0EES1A_EEDaS15_S16_EUlS15_E_NS1_11comp_targetILNS1_3genE9ELNS1_11target_archE1100ELNS1_3gpuE3ELNS1_3repE0EEENS1_30default_config_static_selectorELNS0_4arch9wavefront6targetE1EEEvT1_, .Lfunc_end3668-_ZN7rocprim17ROCPRIM_400000_NS6detail17trampoline_kernelINS0_14default_configENS1_25partition_config_selectorILNS1_17partition_subalgoE3EiNS0_10empty_typeEbEEZZNS1_14partition_implILS5_3ELb0ES3_jN6thrust23THRUST_200600_302600_NS6detail15normal_iteratorINSA_7pointerIiNSA_11hip_rocprim5par_tENSA_11use_defaultESG_EEEEPS6_SJ_NS0_5tupleIJPiSJ_EEENSK_IJSJ_SJ_EEES6_PlJ7is_evenIiEEEE10hipError_tPvRmT3_T4_T5_T6_T7_T9_mT8_P12ihipStream_tbDpT10_ENKUlT_T0_E_clISt17integral_constantIbLb0EES1A_EEDaS15_S16_EUlS15_E_NS1_11comp_targetILNS1_3genE9ELNS1_11target_archE1100ELNS1_3gpuE3ELNS1_3repE0EEENS1_30default_config_static_selectorELNS0_4arch9wavefront6targetE1EEEvT1_
                                        ; -- End function
	.section	.AMDGPU.csdata,"",@progbits
; Kernel info:
; codeLenInByte = 0
; NumSgprs: 4
; NumVgprs: 0
; NumAgprs: 0
; TotalNumVgprs: 0
; ScratchSize: 0
; MemoryBound: 0
; FloatMode: 240
; IeeeMode: 1
; LDSByteSize: 0 bytes/workgroup (compile time only)
; SGPRBlocks: 0
; VGPRBlocks: 0
; NumSGPRsForWavesPerEU: 4
; NumVGPRsForWavesPerEU: 1
; AccumOffset: 4
; Occupancy: 8
; WaveLimiterHint : 0
; COMPUTE_PGM_RSRC2:SCRATCH_EN: 0
; COMPUTE_PGM_RSRC2:USER_SGPR: 6
; COMPUTE_PGM_RSRC2:TRAP_HANDLER: 0
; COMPUTE_PGM_RSRC2:TGID_X_EN: 1
; COMPUTE_PGM_RSRC2:TGID_Y_EN: 0
; COMPUTE_PGM_RSRC2:TGID_Z_EN: 0
; COMPUTE_PGM_RSRC2:TIDIG_COMP_CNT: 0
; COMPUTE_PGM_RSRC3_GFX90A:ACCUM_OFFSET: 0
; COMPUTE_PGM_RSRC3_GFX90A:TG_SPLIT: 0
	.section	.text._ZN7rocprim17ROCPRIM_400000_NS6detail17trampoline_kernelINS0_14default_configENS1_25partition_config_selectorILNS1_17partition_subalgoE3EiNS0_10empty_typeEbEEZZNS1_14partition_implILS5_3ELb0ES3_jN6thrust23THRUST_200600_302600_NS6detail15normal_iteratorINSA_7pointerIiNSA_11hip_rocprim5par_tENSA_11use_defaultESG_EEEEPS6_SJ_NS0_5tupleIJPiSJ_EEENSK_IJSJ_SJ_EEES6_PlJ7is_evenIiEEEE10hipError_tPvRmT3_T4_T5_T6_T7_T9_mT8_P12ihipStream_tbDpT10_ENKUlT_T0_E_clISt17integral_constantIbLb0EES1A_EEDaS15_S16_EUlS15_E_NS1_11comp_targetILNS1_3genE8ELNS1_11target_archE1030ELNS1_3gpuE2ELNS1_3repE0EEENS1_30default_config_static_selectorELNS0_4arch9wavefront6targetE1EEEvT1_,"axG",@progbits,_ZN7rocprim17ROCPRIM_400000_NS6detail17trampoline_kernelINS0_14default_configENS1_25partition_config_selectorILNS1_17partition_subalgoE3EiNS0_10empty_typeEbEEZZNS1_14partition_implILS5_3ELb0ES3_jN6thrust23THRUST_200600_302600_NS6detail15normal_iteratorINSA_7pointerIiNSA_11hip_rocprim5par_tENSA_11use_defaultESG_EEEEPS6_SJ_NS0_5tupleIJPiSJ_EEENSK_IJSJ_SJ_EEES6_PlJ7is_evenIiEEEE10hipError_tPvRmT3_T4_T5_T6_T7_T9_mT8_P12ihipStream_tbDpT10_ENKUlT_T0_E_clISt17integral_constantIbLb0EES1A_EEDaS15_S16_EUlS15_E_NS1_11comp_targetILNS1_3genE8ELNS1_11target_archE1030ELNS1_3gpuE2ELNS1_3repE0EEENS1_30default_config_static_selectorELNS0_4arch9wavefront6targetE1EEEvT1_,comdat
	.protected	_ZN7rocprim17ROCPRIM_400000_NS6detail17trampoline_kernelINS0_14default_configENS1_25partition_config_selectorILNS1_17partition_subalgoE3EiNS0_10empty_typeEbEEZZNS1_14partition_implILS5_3ELb0ES3_jN6thrust23THRUST_200600_302600_NS6detail15normal_iteratorINSA_7pointerIiNSA_11hip_rocprim5par_tENSA_11use_defaultESG_EEEEPS6_SJ_NS0_5tupleIJPiSJ_EEENSK_IJSJ_SJ_EEES6_PlJ7is_evenIiEEEE10hipError_tPvRmT3_T4_T5_T6_T7_T9_mT8_P12ihipStream_tbDpT10_ENKUlT_T0_E_clISt17integral_constantIbLb0EES1A_EEDaS15_S16_EUlS15_E_NS1_11comp_targetILNS1_3genE8ELNS1_11target_archE1030ELNS1_3gpuE2ELNS1_3repE0EEENS1_30default_config_static_selectorELNS0_4arch9wavefront6targetE1EEEvT1_ ; -- Begin function _ZN7rocprim17ROCPRIM_400000_NS6detail17trampoline_kernelINS0_14default_configENS1_25partition_config_selectorILNS1_17partition_subalgoE3EiNS0_10empty_typeEbEEZZNS1_14partition_implILS5_3ELb0ES3_jN6thrust23THRUST_200600_302600_NS6detail15normal_iteratorINSA_7pointerIiNSA_11hip_rocprim5par_tENSA_11use_defaultESG_EEEEPS6_SJ_NS0_5tupleIJPiSJ_EEENSK_IJSJ_SJ_EEES6_PlJ7is_evenIiEEEE10hipError_tPvRmT3_T4_T5_T6_T7_T9_mT8_P12ihipStream_tbDpT10_ENKUlT_T0_E_clISt17integral_constantIbLb0EES1A_EEDaS15_S16_EUlS15_E_NS1_11comp_targetILNS1_3genE8ELNS1_11target_archE1030ELNS1_3gpuE2ELNS1_3repE0EEENS1_30default_config_static_selectorELNS0_4arch9wavefront6targetE1EEEvT1_
	.globl	_ZN7rocprim17ROCPRIM_400000_NS6detail17trampoline_kernelINS0_14default_configENS1_25partition_config_selectorILNS1_17partition_subalgoE3EiNS0_10empty_typeEbEEZZNS1_14partition_implILS5_3ELb0ES3_jN6thrust23THRUST_200600_302600_NS6detail15normal_iteratorINSA_7pointerIiNSA_11hip_rocprim5par_tENSA_11use_defaultESG_EEEEPS6_SJ_NS0_5tupleIJPiSJ_EEENSK_IJSJ_SJ_EEES6_PlJ7is_evenIiEEEE10hipError_tPvRmT3_T4_T5_T6_T7_T9_mT8_P12ihipStream_tbDpT10_ENKUlT_T0_E_clISt17integral_constantIbLb0EES1A_EEDaS15_S16_EUlS15_E_NS1_11comp_targetILNS1_3genE8ELNS1_11target_archE1030ELNS1_3gpuE2ELNS1_3repE0EEENS1_30default_config_static_selectorELNS0_4arch9wavefront6targetE1EEEvT1_
	.p2align	8
	.type	_ZN7rocprim17ROCPRIM_400000_NS6detail17trampoline_kernelINS0_14default_configENS1_25partition_config_selectorILNS1_17partition_subalgoE3EiNS0_10empty_typeEbEEZZNS1_14partition_implILS5_3ELb0ES3_jN6thrust23THRUST_200600_302600_NS6detail15normal_iteratorINSA_7pointerIiNSA_11hip_rocprim5par_tENSA_11use_defaultESG_EEEEPS6_SJ_NS0_5tupleIJPiSJ_EEENSK_IJSJ_SJ_EEES6_PlJ7is_evenIiEEEE10hipError_tPvRmT3_T4_T5_T6_T7_T9_mT8_P12ihipStream_tbDpT10_ENKUlT_T0_E_clISt17integral_constantIbLb0EES1A_EEDaS15_S16_EUlS15_E_NS1_11comp_targetILNS1_3genE8ELNS1_11target_archE1030ELNS1_3gpuE2ELNS1_3repE0EEENS1_30default_config_static_selectorELNS0_4arch9wavefront6targetE1EEEvT1_,@function
_ZN7rocprim17ROCPRIM_400000_NS6detail17trampoline_kernelINS0_14default_configENS1_25partition_config_selectorILNS1_17partition_subalgoE3EiNS0_10empty_typeEbEEZZNS1_14partition_implILS5_3ELb0ES3_jN6thrust23THRUST_200600_302600_NS6detail15normal_iteratorINSA_7pointerIiNSA_11hip_rocprim5par_tENSA_11use_defaultESG_EEEEPS6_SJ_NS0_5tupleIJPiSJ_EEENSK_IJSJ_SJ_EEES6_PlJ7is_evenIiEEEE10hipError_tPvRmT3_T4_T5_T6_T7_T9_mT8_P12ihipStream_tbDpT10_ENKUlT_T0_E_clISt17integral_constantIbLb0EES1A_EEDaS15_S16_EUlS15_E_NS1_11comp_targetILNS1_3genE8ELNS1_11target_archE1030ELNS1_3gpuE2ELNS1_3repE0EEENS1_30default_config_static_selectorELNS0_4arch9wavefront6targetE1EEEvT1_: ; @_ZN7rocprim17ROCPRIM_400000_NS6detail17trampoline_kernelINS0_14default_configENS1_25partition_config_selectorILNS1_17partition_subalgoE3EiNS0_10empty_typeEbEEZZNS1_14partition_implILS5_3ELb0ES3_jN6thrust23THRUST_200600_302600_NS6detail15normal_iteratorINSA_7pointerIiNSA_11hip_rocprim5par_tENSA_11use_defaultESG_EEEEPS6_SJ_NS0_5tupleIJPiSJ_EEENSK_IJSJ_SJ_EEES6_PlJ7is_evenIiEEEE10hipError_tPvRmT3_T4_T5_T6_T7_T9_mT8_P12ihipStream_tbDpT10_ENKUlT_T0_E_clISt17integral_constantIbLb0EES1A_EEDaS15_S16_EUlS15_E_NS1_11comp_targetILNS1_3genE8ELNS1_11target_archE1030ELNS1_3gpuE2ELNS1_3repE0EEENS1_30default_config_static_selectorELNS0_4arch9wavefront6targetE1EEEvT1_
; %bb.0:
	.section	.rodata,"a",@progbits
	.p2align	6, 0x0
	.amdhsa_kernel _ZN7rocprim17ROCPRIM_400000_NS6detail17trampoline_kernelINS0_14default_configENS1_25partition_config_selectorILNS1_17partition_subalgoE3EiNS0_10empty_typeEbEEZZNS1_14partition_implILS5_3ELb0ES3_jN6thrust23THRUST_200600_302600_NS6detail15normal_iteratorINSA_7pointerIiNSA_11hip_rocprim5par_tENSA_11use_defaultESG_EEEEPS6_SJ_NS0_5tupleIJPiSJ_EEENSK_IJSJ_SJ_EEES6_PlJ7is_evenIiEEEE10hipError_tPvRmT3_T4_T5_T6_T7_T9_mT8_P12ihipStream_tbDpT10_ENKUlT_T0_E_clISt17integral_constantIbLb0EES1A_EEDaS15_S16_EUlS15_E_NS1_11comp_targetILNS1_3genE8ELNS1_11target_archE1030ELNS1_3gpuE2ELNS1_3repE0EEENS1_30default_config_static_selectorELNS0_4arch9wavefront6targetE1EEEvT1_
		.amdhsa_group_segment_fixed_size 0
		.amdhsa_private_segment_fixed_size 0
		.amdhsa_kernarg_size 120
		.amdhsa_user_sgpr_count 6
		.amdhsa_user_sgpr_private_segment_buffer 1
		.amdhsa_user_sgpr_dispatch_ptr 0
		.amdhsa_user_sgpr_queue_ptr 0
		.amdhsa_user_sgpr_kernarg_segment_ptr 1
		.amdhsa_user_sgpr_dispatch_id 0
		.amdhsa_user_sgpr_flat_scratch_init 0
		.amdhsa_user_sgpr_kernarg_preload_length 0
		.amdhsa_user_sgpr_kernarg_preload_offset 0
		.amdhsa_user_sgpr_private_segment_size 0
		.amdhsa_uses_dynamic_stack 0
		.amdhsa_system_sgpr_private_segment_wavefront_offset 0
		.amdhsa_system_sgpr_workgroup_id_x 1
		.amdhsa_system_sgpr_workgroup_id_y 0
		.amdhsa_system_sgpr_workgroup_id_z 0
		.amdhsa_system_sgpr_workgroup_info 0
		.amdhsa_system_vgpr_workitem_id 0
		.amdhsa_next_free_vgpr 1
		.amdhsa_next_free_sgpr 0
		.amdhsa_accum_offset 4
		.amdhsa_reserve_vcc 0
		.amdhsa_reserve_flat_scratch 0
		.amdhsa_float_round_mode_32 0
		.amdhsa_float_round_mode_16_64 0
		.amdhsa_float_denorm_mode_32 3
		.amdhsa_float_denorm_mode_16_64 3
		.amdhsa_dx10_clamp 1
		.amdhsa_ieee_mode 1
		.amdhsa_fp16_overflow 0
		.amdhsa_tg_split 0
		.amdhsa_exception_fp_ieee_invalid_op 0
		.amdhsa_exception_fp_denorm_src 0
		.amdhsa_exception_fp_ieee_div_zero 0
		.amdhsa_exception_fp_ieee_overflow 0
		.amdhsa_exception_fp_ieee_underflow 0
		.amdhsa_exception_fp_ieee_inexact 0
		.amdhsa_exception_int_div_zero 0
	.end_amdhsa_kernel
	.section	.text._ZN7rocprim17ROCPRIM_400000_NS6detail17trampoline_kernelINS0_14default_configENS1_25partition_config_selectorILNS1_17partition_subalgoE3EiNS0_10empty_typeEbEEZZNS1_14partition_implILS5_3ELb0ES3_jN6thrust23THRUST_200600_302600_NS6detail15normal_iteratorINSA_7pointerIiNSA_11hip_rocprim5par_tENSA_11use_defaultESG_EEEEPS6_SJ_NS0_5tupleIJPiSJ_EEENSK_IJSJ_SJ_EEES6_PlJ7is_evenIiEEEE10hipError_tPvRmT3_T4_T5_T6_T7_T9_mT8_P12ihipStream_tbDpT10_ENKUlT_T0_E_clISt17integral_constantIbLb0EES1A_EEDaS15_S16_EUlS15_E_NS1_11comp_targetILNS1_3genE8ELNS1_11target_archE1030ELNS1_3gpuE2ELNS1_3repE0EEENS1_30default_config_static_selectorELNS0_4arch9wavefront6targetE1EEEvT1_,"axG",@progbits,_ZN7rocprim17ROCPRIM_400000_NS6detail17trampoline_kernelINS0_14default_configENS1_25partition_config_selectorILNS1_17partition_subalgoE3EiNS0_10empty_typeEbEEZZNS1_14partition_implILS5_3ELb0ES3_jN6thrust23THRUST_200600_302600_NS6detail15normal_iteratorINSA_7pointerIiNSA_11hip_rocprim5par_tENSA_11use_defaultESG_EEEEPS6_SJ_NS0_5tupleIJPiSJ_EEENSK_IJSJ_SJ_EEES6_PlJ7is_evenIiEEEE10hipError_tPvRmT3_T4_T5_T6_T7_T9_mT8_P12ihipStream_tbDpT10_ENKUlT_T0_E_clISt17integral_constantIbLb0EES1A_EEDaS15_S16_EUlS15_E_NS1_11comp_targetILNS1_3genE8ELNS1_11target_archE1030ELNS1_3gpuE2ELNS1_3repE0EEENS1_30default_config_static_selectorELNS0_4arch9wavefront6targetE1EEEvT1_,comdat
.Lfunc_end3669:
	.size	_ZN7rocprim17ROCPRIM_400000_NS6detail17trampoline_kernelINS0_14default_configENS1_25partition_config_selectorILNS1_17partition_subalgoE3EiNS0_10empty_typeEbEEZZNS1_14partition_implILS5_3ELb0ES3_jN6thrust23THRUST_200600_302600_NS6detail15normal_iteratorINSA_7pointerIiNSA_11hip_rocprim5par_tENSA_11use_defaultESG_EEEEPS6_SJ_NS0_5tupleIJPiSJ_EEENSK_IJSJ_SJ_EEES6_PlJ7is_evenIiEEEE10hipError_tPvRmT3_T4_T5_T6_T7_T9_mT8_P12ihipStream_tbDpT10_ENKUlT_T0_E_clISt17integral_constantIbLb0EES1A_EEDaS15_S16_EUlS15_E_NS1_11comp_targetILNS1_3genE8ELNS1_11target_archE1030ELNS1_3gpuE2ELNS1_3repE0EEENS1_30default_config_static_selectorELNS0_4arch9wavefront6targetE1EEEvT1_, .Lfunc_end3669-_ZN7rocprim17ROCPRIM_400000_NS6detail17trampoline_kernelINS0_14default_configENS1_25partition_config_selectorILNS1_17partition_subalgoE3EiNS0_10empty_typeEbEEZZNS1_14partition_implILS5_3ELb0ES3_jN6thrust23THRUST_200600_302600_NS6detail15normal_iteratorINSA_7pointerIiNSA_11hip_rocprim5par_tENSA_11use_defaultESG_EEEEPS6_SJ_NS0_5tupleIJPiSJ_EEENSK_IJSJ_SJ_EEES6_PlJ7is_evenIiEEEE10hipError_tPvRmT3_T4_T5_T6_T7_T9_mT8_P12ihipStream_tbDpT10_ENKUlT_T0_E_clISt17integral_constantIbLb0EES1A_EEDaS15_S16_EUlS15_E_NS1_11comp_targetILNS1_3genE8ELNS1_11target_archE1030ELNS1_3gpuE2ELNS1_3repE0EEENS1_30default_config_static_selectorELNS0_4arch9wavefront6targetE1EEEvT1_
                                        ; -- End function
	.section	.AMDGPU.csdata,"",@progbits
; Kernel info:
; codeLenInByte = 0
; NumSgprs: 4
; NumVgprs: 0
; NumAgprs: 0
; TotalNumVgprs: 0
; ScratchSize: 0
; MemoryBound: 0
; FloatMode: 240
; IeeeMode: 1
; LDSByteSize: 0 bytes/workgroup (compile time only)
; SGPRBlocks: 0
; VGPRBlocks: 0
; NumSGPRsForWavesPerEU: 4
; NumVGPRsForWavesPerEU: 1
; AccumOffset: 4
; Occupancy: 8
; WaveLimiterHint : 0
; COMPUTE_PGM_RSRC2:SCRATCH_EN: 0
; COMPUTE_PGM_RSRC2:USER_SGPR: 6
; COMPUTE_PGM_RSRC2:TRAP_HANDLER: 0
; COMPUTE_PGM_RSRC2:TGID_X_EN: 1
; COMPUTE_PGM_RSRC2:TGID_Y_EN: 0
; COMPUTE_PGM_RSRC2:TGID_Z_EN: 0
; COMPUTE_PGM_RSRC2:TIDIG_COMP_CNT: 0
; COMPUTE_PGM_RSRC3_GFX90A:ACCUM_OFFSET: 0
; COMPUTE_PGM_RSRC3_GFX90A:TG_SPLIT: 0
	.section	.text._ZN7rocprim17ROCPRIM_400000_NS6detail17trampoline_kernelINS0_14default_configENS1_25partition_config_selectorILNS1_17partition_subalgoE3EiNS0_10empty_typeEbEEZZNS1_14partition_implILS5_3ELb0ES3_jN6thrust23THRUST_200600_302600_NS6detail15normal_iteratorINSA_7pointerIiNSA_11hip_rocprim5par_tENSA_11use_defaultESG_EEEEPS6_SJ_NS0_5tupleIJPiSJ_EEENSK_IJSJ_SJ_EEES6_PlJ7is_evenIiEEEE10hipError_tPvRmT3_T4_T5_T6_T7_T9_mT8_P12ihipStream_tbDpT10_ENKUlT_T0_E_clISt17integral_constantIbLb1EES1A_EEDaS15_S16_EUlS15_E_NS1_11comp_targetILNS1_3genE0ELNS1_11target_archE4294967295ELNS1_3gpuE0ELNS1_3repE0EEENS1_30default_config_static_selectorELNS0_4arch9wavefront6targetE1EEEvT1_,"axG",@progbits,_ZN7rocprim17ROCPRIM_400000_NS6detail17trampoline_kernelINS0_14default_configENS1_25partition_config_selectorILNS1_17partition_subalgoE3EiNS0_10empty_typeEbEEZZNS1_14partition_implILS5_3ELb0ES3_jN6thrust23THRUST_200600_302600_NS6detail15normal_iteratorINSA_7pointerIiNSA_11hip_rocprim5par_tENSA_11use_defaultESG_EEEEPS6_SJ_NS0_5tupleIJPiSJ_EEENSK_IJSJ_SJ_EEES6_PlJ7is_evenIiEEEE10hipError_tPvRmT3_T4_T5_T6_T7_T9_mT8_P12ihipStream_tbDpT10_ENKUlT_T0_E_clISt17integral_constantIbLb1EES1A_EEDaS15_S16_EUlS15_E_NS1_11comp_targetILNS1_3genE0ELNS1_11target_archE4294967295ELNS1_3gpuE0ELNS1_3repE0EEENS1_30default_config_static_selectorELNS0_4arch9wavefront6targetE1EEEvT1_,comdat
	.protected	_ZN7rocprim17ROCPRIM_400000_NS6detail17trampoline_kernelINS0_14default_configENS1_25partition_config_selectorILNS1_17partition_subalgoE3EiNS0_10empty_typeEbEEZZNS1_14partition_implILS5_3ELb0ES3_jN6thrust23THRUST_200600_302600_NS6detail15normal_iteratorINSA_7pointerIiNSA_11hip_rocprim5par_tENSA_11use_defaultESG_EEEEPS6_SJ_NS0_5tupleIJPiSJ_EEENSK_IJSJ_SJ_EEES6_PlJ7is_evenIiEEEE10hipError_tPvRmT3_T4_T5_T6_T7_T9_mT8_P12ihipStream_tbDpT10_ENKUlT_T0_E_clISt17integral_constantIbLb1EES1A_EEDaS15_S16_EUlS15_E_NS1_11comp_targetILNS1_3genE0ELNS1_11target_archE4294967295ELNS1_3gpuE0ELNS1_3repE0EEENS1_30default_config_static_selectorELNS0_4arch9wavefront6targetE1EEEvT1_ ; -- Begin function _ZN7rocprim17ROCPRIM_400000_NS6detail17trampoline_kernelINS0_14default_configENS1_25partition_config_selectorILNS1_17partition_subalgoE3EiNS0_10empty_typeEbEEZZNS1_14partition_implILS5_3ELb0ES3_jN6thrust23THRUST_200600_302600_NS6detail15normal_iteratorINSA_7pointerIiNSA_11hip_rocprim5par_tENSA_11use_defaultESG_EEEEPS6_SJ_NS0_5tupleIJPiSJ_EEENSK_IJSJ_SJ_EEES6_PlJ7is_evenIiEEEE10hipError_tPvRmT3_T4_T5_T6_T7_T9_mT8_P12ihipStream_tbDpT10_ENKUlT_T0_E_clISt17integral_constantIbLb1EES1A_EEDaS15_S16_EUlS15_E_NS1_11comp_targetILNS1_3genE0ELNS1_11target_archE4294967295ELNS1_3gpuE0ELNS1_3repE0EEENS1_30default_config_static_selectorELNS0_4arch9wavefront6targetE1EEEvT1_
	.globl	_ZN7rocprim17ROCPRIM_400000_NS6detail17trampoline_kernelINS0_14default_configENS1_25partition_config_selectorILNS1_17partition_subalgoE3EiNS0_10empty_typeEbEEZZNS1_14partition_implILS5_3ELb0ES3_jN6thrust23THRUST_200600_302600_NS6detail15normal_iteratorINSA_7pointerIiNSA_11hip_rocprim5par_tENSA_11use_defaultESG_EEEEPS6_SJ_NS0_5tupleIJPiSJ_EEENSK_IJSJ_SJ_EEES6_PlJ7is_evenIiEEEE10hipError_tPvRmT3_T4_T5_T6_T7_T9_mT8_P12ihipStream_tbDpT10_ENKUlT_T0_E_clISt17integral_constantIbLb1EES1A_EEDaS15_S16_EUlS15_E_NS1_11comp_targetILNS1_3genE0ELNS1_11target_archE4294967295ELNS1_3gpuE0ELNS1_3repE0EEENS1_30default_config_static_selectorELNS0_4arch9wavefront6targetE1EEEvT1_
	.p2align	8
	.type	_ZN7rocprim17ROCPRIM_400000_NS6detail17trampoline_kernelINS0_14default_configENS1_25partition_config_selectorILNS1_17partition_subalgoE3EiNS0_10empty_typeEbEEZZNS1_14partition_implILS5_3ELb0ES3_jN6thrust23THRUST_200600_302600_NS6detail15normal_iteratorINSA_7pointerIiNSA_11hip_rocprim5par_tENSA_11use_defaultESG_EEEEPS6_SJ_NS0_5tupleIJPiSJ_EEENSK_IJSJ_SJ_EEES6_PlJ7is_evenIiEEEE10hipError_tPvRmT3_T4_T5_T6_T7_T9_mT8_P12ihipStream_tbDpT10_ENKUlT_T0_E_clISt17integral_constantIbLb1EES1A_EEDaS15_S16_EUlS15_E_NS1_11comp_targetILNS1_3genE0ELNS1_11target_archE4294967295ELNS1_3gpuE0ELNS1_3repE0EEENS1_30default_config_static_selectorELNS0_4arch9wavefront6targetE1EEEvT1_,@function
_ZN7rocprim17ROCPRIM_400000_NS6detail17trampoline_kernelINS0_14default_configENS1_25partition_config_selectorILNS1_17partition_subalgoE3EiNS0_10empty_typeEbEEZZNS1_14partition_implILS5_3ELb0ES3_jN6thrust23THRUST_200600_302600_NS6detail15normal_iteratorINSA_7pointerIiNSA_11hip_rocprim5par_tENSA_11use_defaultESG_EEEEPS6_SJ_NS0_5tupleIJPiSJ_EEENSK_IJSJ_SJ_EEES6_PlJ7is_evenIiEEEE10hipError_tPvRmT3_T4_T5_T6_T7_T9_mT8_P12ihipStream_tbDpT10_ENKUlT_T0_E_clISt17integral_constantIbLb1EES1A_EEDaS15_S16_EUlS15_E_NS1_11comp_targetILNS1_3genE0ELNS1_11target_archE4294967295ELNS1_3gpuE0ELNS1_3repE0EEENS1_30default_config_static_selectorELNS0_4arch9wavefront6targetE1EEEvT1_: ; @_ZN7rocprim17ROCPRIM_400000_NS6detail17trampoline_kernelINS0_14default_configENS1_25partition_config_selectorILNS1_17partition_subalgoE3EiNS0_10empty_typeEbEEZZNS1_14partition_implILS5_3ELb0ES3_jN6thrust23THRUST_200600_302600_NS6detail15normal_iteratorINSA_7pointerIiNSA_11hip_rocprim5par_tENSA_11use_defaultESG_EEEEPS6_SJ_NS0_5tupleIJPiSJ_EEENSK_IJSJ_SJ_EEES6_PlJ7is_evenIiEEEE10hipError_tPvRmT3_T4_T5_T6_T7_T9_mT8_P12ihipStream_tbDpT10_ENKUlT_T0_E_clISt17integral_constantIbLb1EES1A_EEDaS15_S16_EUlS15_E_NS1_11comp_targetILNS1_3genE0ELNS1_11target_archE4294967295ELNS1_3gpuE0ELNS1_3repE0EEENS1_30default_config_static_selectorELNS0_4arch9wavefront6targetE1EEEvT1_
; %bb.0:
	.section	.rodata,"a",@progbits
	.p2align	6, 0x0
	.amdhsa_kernel _ZN7rocprim17ROCPRIM_400000_NS6detail17trampoline_kernelINS0_14default_configENS1_25partition_config_selectorILNS1_17partition_subalgoE3EiNS0_10empty_typeEbEEZZNS1_14partition_implILS5_3ELb0ES3_jN6thrust23THRUST_200600_302600_NS6detail15normal_iteratorINSA_7pointerIiNSA_11hip_rocprim5par_tENSA_11use_defaultESG_EEEEPS6_SJ_NS0_5tupleIJPiSJ_EEENSK_IJSJ_SJ_EEES6_PlJ7is_evenIiEEEE10hipError_tPvRmT3_T4_T5_T6_T7_T9_mT8_P12ihipStream_tbDpT10_ENKUlT_T0_E_clISt17integral_constantIbLb1EES1A_EEDaS15_S16_EUlS15_E_NS1_11comp_targetILNS1_3genE0ELNS1_11target_archE4294967295ELNS1_3gpuE0ELNS1_3repE0EEENS1_30default_config_static_selectorELNS0_4arch9wavefront6targetE1EEEvT1_
		.amdhsa_group_segment_fixed_size 0
		.amdhsa_private_segment_fixed_size 0
		.amdhsa_kernarg_size 136
		.amdhsa_user_sgpr_count 6
		.amdhsa_user_sgpr_private_segment_buffer 1
		.amdhsa_user_sgpr_dispatch_ptr 0
		.amdhsa_user_sgpr_queue_ptr 0
		.amdhsa_user_sgpr_kernarg_segment_ptr 1
		.amdhsa_user_sgpr_dispatch_id 0
		.amdhsa_user_sgpr_flat_scratch_init 0
		.amdhsa_user_sgpr_kernarg_preload_length 0
		.amdhsa_user_sgpr_kernarg_preload_offset 0
		.amdhsa_user_sgpr_private_segment_size 0
		.amdhsa_uses_dynamic_stack 0
		.amdhsa_system_sgpr_private_segment_wavefront_offset 0
		.amdhsa_system_sgpr_workgroup_id_x 1
		.amdhsa_system_sgpr_workgroup_id_y 0
		.amdhsa_system_sgpr_workgroup_id_z 0
		.amdhsa_system_sgpr_workgroup_info 0
		.amdhsa_system_vgpr_workitem_id 0
		.amdhsa_next_free_vgpr 1
		.amdhsa_next_free_sgpr 0
		.amdhsa_accum_offset 4
		.amdhsa_reserve_vcc 0
		.amdhsa_reserve_flat_scratch 0
		.amdhsa_float_round_mode_32 0
		.amdhsa_float_round_mode_16_64 0
		.amdhsa_float_denorm_mode_32 3
		.amdhsa_float_denorm_mode_16_64 3
		.amdhsa_dx10_clamp 1
		.amdhsa_ieee_mode 1
		.amdhsa_fp16_overflow 0
		.amdhsa_tg_split 0
		.amdhsa_exception_fp_ieee_invalid_op 0
		.amdhsa_exception_fp_denorm_src 0
		.amdhsa_exception_fp_ieee_div_zero 0
		.amdhsa_exception_fp_ieee_overflow 0
		.amdhsa_exception_fp_ieee_underflow 0
		.amdhsa_exception_fp_ieee_inexact 0
		.amdhsa_exception_int_div_zero 0
	.end_amdhsa_kernel
	.section	.text._ZN7rocprim17ROCPRIM_400000_NS6detail17trampoline_kernelINS0_14default_configENS1_25partition_config_selectorILNS1_17partition_subalgoE3EiNS0_10empty_typeEbEEZZNS1_14partition_implILS5_3ELb0ES3_jN6thrust23THRUST_200600_302600_NS6detail15normal_iteratorINSA_7pointerIiNSA_11hip_rocprim5par_tENSA_11use_defaultESG_EEEEPS6_SJ_NS0_5tupleIJPiSJ_EEENSK_IJSJ_SJ_EEES6_PlJ7is_evenIiEEEE10hipError_tPvRmT3_T4_T5_T6_T7_T9_mT8_P12ihipStream_tbDpT10_ENKUlT_T0_E_clISt17integral_constantIbLb1EES1A_EEDaS15_S16_EUlS15_E_NS1_11comp_targetILNS1_3genE0ELNS1_11target_archE4294967295ELNS1_3gpuE0ELNS1_3repE0EEENS1_30default_config_static_selectorELNS0_4arch9wavefront6targetE1EEEvT1_,"axG",@progbits,_ZN7rocprim17ROCPRIM_400000_NS6detail17trampoline_kernelINS0_14default_configENS1_25partition_config_selectorILNS1_17partition_subalgoE3EiNS0_10empty_typeEbEEZZNS1_14partition_implILS5_3ELb0ES3_jN6thrust23THRUST_200600_302600_NS6detail15normal_iteratorINSA_7pointerIiNSA_11hip_rocprim5par_tENSA_11use_defaultESG_EEEEPS6_SJ_NS0_5tupleIJPiSJ_EEENSK_IJSJ_SJ_EEES6_PlJ7is_evenIiEEEE10hipError_tPvRmT3_T4_T5_T6_T7_T9_mT8_P12ihipStream_tbDpT10_ENKUlT_T0_E_clISt17integral_constantIbLb1EES1A_EEDaS15_S16_EUlS15_E_NS1_11comp_targetILNS1_3genE0ELNS1_11target_archE4294967295ELNS1_3gpuE0ELNS1_3repE0EEENS1_30default_config_static_selectorELNS0_4arch9wavefront6targetE1EEEvT1_,comdat
.Lfunc_end3670:
	.size	_ZN7rocprim17ROCPRIM_400000_NS6detail17trampoline_kernelINS0_14default_configENS1_25partition_config_selectorILNS1_17partition_subalgoE3EiNS0_10empty_typeEbEEZZNS1_14partition_implILS5_3ELb0ES3_jN6thrust23THRUST_200600_302600_NS6detail15normal_iteratorINSA_7pointerIiNSA_11hip_rocprim5par_tENSA_11use_defaultESG_EEEEPS6_SJ_NS0_5tupleIJPiSJ_EEENSK_IJSJ_SJ_EEES6_PlJ7is_evenIiEEEE10hipError_tPvRmT3_T4_T5_T6_T7_T9_mT8_P12ihipStream_tbDpT10_ENKUlT_T0_E_clISt17integral_constantIbLb1EES1A_EEDaS15_S16_EUlS15_E_NS1_11comp_targetILNS1_3genE0ELNS1_11target_archE4294967295ELNS1_3gpuE0ELNS1_3repE0EEENS1_30default_config_static_selectorELNS0_4arch9wavefront6targetE1EEEvT1_, .Lfunc_end3670-_ZN7rocprim17ROCPRIM_400000_NS6detail17trampoline_kernelINS0_14default_configENS1_25partition_config_selectorILNS1_17partition_subalgoE3EiNS0_10empty_typeEbEEZZNS1_14partition_implILS5_3ELb0ES3_jN6thrust23THRUST_200600_302600_NS6detail15normal_iteratorINSA_7pointerIiNSA_11hip_rocprim5par_tENSA_11use_defaultESG_EEEEPS6_SJ_NS0_5tupleIJPiSJ_EEENSK_IJSJ_SJ_EEES6_PlJ7is_evenIiEEEE10hipError_tPvRmT3_T4_T5_T6_T7_T9_mT8_P12ihipStream_tbDpT10_ENKUlT_T0_E_clISt17integral_constantIbLb1EES1A_EEDaS15_S16_EUlS15_E_NS1_11comp_targetILNS1_3genE0ELNS1_11target_archE4294967295ELNS1_3gpuE0ELNS1_3repE0EEENS1_30default_config_static_selectorELNS0_4arch9wavefront6targetE1EEEvT1_
                                        ; -- End function
	.section	.AMDGPU.csdata,"",@progbits
; Kernel info:
; codeLenInByte = 0
; NumSgprs: 4
; NumVgprs: 0
; NumAgprs: 0
; TotalNumVgprs: 0
; ScratchSize: 0
; MemoryBound: 0
; FloatMode: 240
; IeeeMode: 1
; LDSByteSize: 0 bytes/workgroup (compile time only)
; SGPRBlocks: 0
; VGPRBlocks: 0
; NumSGPRsForWavesPerEU: 4
; NumVGPRsForWavesPerEU: 1
; AccumOffset: 4
; Occupancy: 8
; WaveLimiterHint : 0
; COMPUTE_PGM_RSRC2:SCRATCH_EN: 0
; COMPUTE_PGM_RSRC2:USER_SGPR: 6
; COMPUTE_PGM_RSRC2:TRAP_HANDLER: 0
; COMPUTE_PGM_RSRC2:TGID_X_EN: 1
; COMPUTE_PGM_RSRC2:TGID_Y_EN: 0
; COMPUTE_PGM_RSRC2:TGID_Z_EN: 0
; COMPUTE_PGM_RSRC2:TIDIG_COMP_CNT: 0
; COMPUTE_PGM_RSRC3_GFX90A:ACCUM_OFFSET: 0
; COMPUTE_PGM_RSRC3_GFX90A:TG_SPLIT: 0
	.section	.text._ZN7rocprim17ROCPRIM_400000_NS6detail17trampoline_kernelINS0_14default_configENS1_25partition_config_selectorILNS1_17partition_subalgoE3EiNS0_10empty_typeEbEEZZNS1_14partition_implILS5_3ELb0ES3_jN6thrust23THRUST_200600_302600_NS6detail15normal_iteratorINSA_7pointerIiNSA_11hip_rocprim5par_tENSA_11use_defaultESG_EEEEPS6_SJ_NS0_5tupleIJPiSJ_EEENSK_IJSJ_SJ_EEES6_PlJ7is_evenIiEEEE10hipError_tPvRmT3_T4_T5_T6_T7_T9_mT8_P12ihipStream_tbDpT10_ENKUlT_T0_E_clISt17integral_constantIbLb1EES1A_EEDaS15_S16_EUlS15_E_NS1_11comp_targetILNS1_3genE5ELNS1_11target_archE942ELNS1_3gpuE9ELNS1_3repE0EEENS1_30default_config_static_selectorELNS0_4arch9wavefront6targetE1EEEvT1_,"axG",@progbits,_ZN7rocprim17ROCPRIM_400000_NS6detail17trampoline_kernelINS0_14default_configENS1_25partition_config_selectorILNS1_17partition_subalgoE3EiNS0_10empty_typeEbEEZZNS1_14partition_implILS5_3ELb0ES3_jN6thrust23THRUST_200600_302600_NS6detail15normal_iteratorINSA_7pointerIiNSA_11hip_rocprim5par_tENSA_11use_defaultESG_EEEEPS6_SJ_NS0_5tupleIJPiSJ_EEENSK_IJSJ_SJ_EEES6_PlJ7is_evenIiEEEE10hipError_tPvRmT3_T4_T5_T6_T7_T9_mT8_P12ihipStream_tbDpT10_ENKUlT_T0_E_clISt17integral_constantIbLb1EES1A_EEDaS15_S16_EUlS15_E_NS1_11comp_targetILNS1_3genE5ELNS1_11target_archE942ELNS1_3gpuE9ELNS1_3repE0EEENS1_30default_config_static_selectorELNS0_4arch9wavefront6targetE1EEEvT1_,comdat
	.protected	_ZN7rocprim17ROCPRIM_400000_NS6detail17trampoline_kernelINS0_14default_configENS1_25partition_config_selectorILNS1_17partition_subalgoE3EiNS0_10empty_typeEbEEZZNS1_14partition_implILS5_3ELb0ES3_jN6thrust23THRUST_200600_302600_NS6detail15normal_iteratorINSA_7pointerIiNSA_11hip_rocprim5par_tENSA_11use_defaultESG_EEEEPS6_SJ_NS0_5tupleIJPiSJ_EEENSK_IJSJ_SJ_EEES6_PlJ7is_evenIiEEEE10hipError_tPvRmT3_T4_T5_T6_T7_T9_mT8_P12ihipStream_tbDpT10_ENKUlT_T0_E_clISt17integral_constantIbLb1EES1A_EEDaS15_S16_EUlS15_E_NS1_11comp_targetILNS1_3genE5ELNS1_11target_archE942ELNS1_3gpuE9ELNS1_3repE0EEENS1_30default_config_static_selectorELNS0_4arch9wavefront6targetE1EEEvT1_ ; -- Begin function _ZN7rocprim17ROCPRIM_400000_NS6detail17trampoline_kernelINS0_14default_configENS1_25partition_config_selectorILNS1_17partition_subalgoE3EiNS0_10empty_typeEbEEZZNS1_14partition_implILS5_3ELb0ES3_jN6thrust23THRUST_200600_302600_NS6detail15normal_iteratorINSA_7pointerIiNSA_11hip_rocprim5par_tENSA_11use_defaultESG_EEEEPS6_SJ_NS0_5tupleIJPiSJ_EEENSK_IJSJ_SJ_EEES6_PlJ7is_evenIiEEEE10hipError_tPvRmT3_T4_T5_T6_T7_T9_mT8_P12ihipStream_tbDpT10_ENKUlT_T0_E_clISt17integral_constantIbLb1EES1A_EEDaS15_S16_EUlS15_E_NS1_11comp_targetILNS1_3genE5ELNS1_11target_archE942ELNS1_3gpuE9ELNS1_3repE0EEENS1_30default_config_static_selectorELNS0_4arch9wavefront6targetE1EEEvT1_
	.globl	_ZN7rocprim17ROCPRIM_400000_NS6detail17trampoline_kernelINS0_14default_configENS1_25partition_config_selectorILNS1_17partition_subalgoE3EiNS0_10empty_typeEbEEZZNS1_14partition_implILS5_3ELb0ES3_jN6thrust23THRUST_200600_302600_NS6detail15normal_iteratorINSA_7pointerIiNSA_11hip_rocprim5par_tENSA_11use_defaultESG_EEEEPS6_SJ_NS0_5tupleIJPiSJ_EEENSK_IJSJ_SJ_EEES6_PlJ7is_evenIiEEEE10hipError_tPvRmT3_T4_T5_T6_T7_T9_mT8_P12ihipStream_tbDpT10_ENKUlT_T0_E_clISt17integral_constantIbLb1EES1A_EEDaS15_S16_EUlS15_E_NS1_11comp_targetILNS1_3genE5ELNS1_11target_archE942ELNS1_3gpuE9ELNS1_3repE0EEENS1_30default_config_static_selectorELNS0_4arch9wavefront6targetE1EEEvT1_
	.p2align	8
	.type	_ZN7rocprim17ROCPRIM_400000_NS6detail17trampoline_kernelINS0_14default_configENS1_25partition_config_selectorILNS1_17partition_subalgoE3EiNS0_10empty_typeEbEEZZNS1_14partition_implILS5_3ELb0ES3_jN6thrust23THRUST_200600_302600_NS6detail15normal_iteratorINSA_7pointerIiNSA_11hip_rocprim5par_tENSA_11use_defaultESG_EEEEPS6_SJ_NS0_5tupleIJPiSJ_EEENSK_IJSJ_SJ_EEES6_PlJ7is_evenIiEEEE10hipError_tPvRmT3_T4_T5_T6_T7_T9_mT8_P12ihipStream_tbDpT10_ENKUlT_T0_E_clISt17integral_constantIbLb1EES1A_EEDaS15_S16_EUlS15_E_NS1_11comp_targetILNS1_3genE5ELNS1_11target_archE942ELNS1_3gpuE9ELNS1_3repE0EEENS1_30default_config_static_selectorELNS0_4arch9wavefront6targetE1EEEvT1_,@function
_ZN7rocprim17ROCPRIM_400000_NS6detail17trampoline_kernelINS0_14default_configENS1_25partition_config_selectorILNS1_17partition_subalgoE3EiNS0_10empty_typeEbEEZZNS1_14partition_implILS5_3ELb0ES3_jN6thrust23THRUST_200600_302600_NS6detail15normal_iteratorINSA_7pointerIiNSA_11hip_rocprim5par_tENSA_11use_defaultESG_EEEEPS6_SJ_NS0_5tupleIJPiSJ_EEENSK_IJSJ_SJ_EEES6_PlJ7is_evenIiEEEE10hipError_tPvRmT3_T4_T5_T6_T7_T9_mT8_P12ihipStream_tbDpT10_ENKUlT_T0_E_clISt17integral_constantIbLb1EES1A_EEDaS15_S16_EUlS15_E_NS1_11comp_targetILNS1_3genE5ELNS1_11target_archE942ELNS1_3gpuE9ELNS1_3repE0EEENS1_30default_config_static_selectorELNS0_4arch9wavefront6targetE1EEEvT1_: ; @_ZN7rocprim17ROCPRIM_400000_NS6detail17trampoline_kernelINS0_14default_configENS1_25partition_config_selectorILNS1_17partition_subalgoE3EiNS0_10empty_typeEbEEZZNS1_14partition_implILS5_3ELb0ES3_jN6thrust23THRUST_200600_302600_NS6detail15normal_iteratorINSA_7pointerIiNSA_11hip_rocprim5par_tENSA_11use_defaultESG_EEEEPS6_SJ_NS0_5tupleIJPiSJ_EEENSK_IJSJ_SJ_EEES6_PlJ7is_evenIiEEEE10hipError_tPvRmT3_T4_T5_T6_T7_T9_mT8_P12ihipStream_tbDpT10_ENKUlT_T0_E_clISt17integral_constantIbLb1EES1A_EEDaS15_S16_EUlS15_E_NS1_11comp_targetILNS1_3genE5ELNS1_11target_archE942ELNS1_3gpuE9ELNS1_3repE0EEENS1_30default_config_static_selectorELNS0_4arch9wavefront6targetE1EEEvT1_
; %bb.0:
	.section	.rodata,"a",@progbits
	.p2align	6, 0x0
	.amdhsa_kernel _ZN7rocprim17ROCPRIM_400000_NS6detail17trampoline_kernelINS0_14default_configENS1_25partition_config_selectorILNS1_17partition_subalgoE3EiNS0_10empty_typeEbEEZZNS1_14partition_implILS5_3ELb0ES3_jN6thrust23THRUST_200600_302600_NS6detail15normal_iteratorINSA_7pointerIiNSA_11hip_rocprim5par_tENSA_11use_defaultESG_EEEEPS6_SJ_NS0_5tupleIJPiSJ_EEENSK_IJSJ_SJ_EEES6_PlJ7is_evenIiEEEE10hipError_tPvRmT3_T4_T5_T6_T7_T9_mT8_P12ihipStream_tbDpT10_ENKUlT_T0_E_clISt17integral_constantIbLb1EES1A_EEDaS15_S16_EUlS15_E_NS1_11comp_targetILNS1_3genE5ELNS1_11target_archE942ELNS1_3gpuE9ELNS1_3repE0EEENS1_30default_config_static_selectorELNS0_4arch9wavefront6targetE1EEEvT1_
		.amdhsa_group_segment_fixed_size 0
		.amdhsa_private_segment_fixed_size 0
		.amdhsa_kernarg_size 136
		.amdhsa_user_sgpr_count 6
		.amdhsa_user_sgpr_private_segment_buffer 1
		.amdhsa_user_sgpr_dispatch_ptr 0
		.amdhsa_user_sgpr_queue_ptr 0
		.amdhsa_user_sgpr_kernarg_segment_ptr 1
		.amdhsa_user_sgpr_dispatch_id 0
		.amdhsa_user_sgpr_flat_scratch_init 0
		.amdhsa_user_sgpr_kernarg_preload_length 0
		.amdhsa_user_sgpr_kernarg_preload_offset 0
		.amdhsa_user_sgpr_private_segment_size 0
		.amdhsa_uses_dynamic_stack 0
		.amdhsa_system_sgpr_private_segment_wavefront_offset 0
		.amdhsa_system_sgpr_workgroup_id_x 1
		.amdhsa_system_sgpr_workgroup_id_y 0
		.amdhsa_system_sgpr_workgroup_id_z 0
		.amdhsa_system_sgpr_workgroup_info 0
		.amdhsa_system_vgpr_workitem_id 0
		.amdhsa_next_free_vgpr 1
		.amdhsa_next_free_sgpr 0
		.amdhsa_accum_offset 4
		.amdhsa_reserve_vcc 0
		.amdhsa_reserve_flat_scratch 0
		.amdhsa_float_round_mode_32 0
		.amdhsa_float_round_mode_16_64 0
		.amdhsa_float_denorm_mode_32 3
		.amdhsa_float_denorm_mode_16_64 3
		.amdhsa_dx10_clamp 1
		.amdhsa_ieee_mode 1
		.amdhsa_fp16_overflow 0
		.amdhsa_tg_split 0
		.amdhsa_exception_fp_ieee_invalid_op 0
		.amdhsa_exception_fp_denorm_src 0
		.amdhsa_exception_fp_ieee_div_zero 0
		.amdhsa_exception_fp_ieee_overflow 0
		.amdhsa_exception_fp_ieee_underflow 0
		.amdhsa_exception_fp_ieee_inexact 0
		.amdhsa_exception_int_div_zero 0
	.end_amdhsa_kernel
	.section	.text._ZN7rocprim17ROCPRIM_400000_NS6detail17trampoline_kernelINS0_14default_configENS1_25partition_config_selectorILNS1_17partition_subalgoE3EiNS0_10empty_typeEbEEZZNS1_14partition_implILS5_3ELb0ES3_jN6thrust23THRUST_200600_302600_NS6detail15normal_iteratorINSA_7pointerIiNSA_11hip_rocprim5par_tENSA_11use_defaultESG_EEEEPS6_SJ_NS0_5tupleIJPiSJ_EEENSK_IJSJ_SJ_EEES6_PlJ7is_evenIiEEEE10hipError_tPvRmT3_T4_T5_T6_T7_T9_mT8_P12ihipStream_tbDpT10_ENKUlT_T0_E_clISt17integral_constantIbLb1EES1A_EEDaS15_S16_EUlS15_E_NS1_11comp_targetILNS1_3genE5ELNS1_11target_archE942ELNS1_3gpuE9ELNS1_3repE0EEENS1_30default_config_static_selectorELNS0_4arch9wavefront6targetE1EEEvT1_,"axG",@progbits,_ZN7rocprim17ROCPRIM_400000_NS6detail17trampoline_kernelINS0_14default_configENS1_25partition_config_selectorILNS1_17partition_subalgoE3EiNS0_10empty_typeEbEEZZNS1_14partition_implILS5_3ELb0ES3_jN6thrust23THRUST_200600_302600_NS6detail15normal_iteratorINSA_7pointerIiNSA_11hip_rocprim5par_tENSA_11use_defaultESG_EEEEPS6_SJ_NS0_5tupleIJPiSJ_EEENSK_IJSJ_SJ_EEES6_PlJ7is_evenIiEEEE10hipError_tPvRmT3_T4_T5_T6_T7_T9_mT8_P12ihipStream_tbDpT10_ENKUlT_T0_E_clISt17integral_constantIbLb1EES1A_EEDaS15_S16_EUlS15_E_NS1_11comp_targetILNS1_3genE5ELNS1_11target_archE942ELNS1_3gpuE9ELNS1_3repE0EEENS1_30default_config_static_selectorELNS0_4arch9wavefront6targetE1EEEvT1_,comdat
.Lfunc_end3671:
	.size	_ZN7rocprim17ROCPRIM_400000_NS6detail17trampoline_kernelINS0_14default_configENS1_25partition_config_selectorILNS1_17partition_subalgoE3EiNS0_10empty_typeEbEEZZNS1_14partition_implILS5_3ELb0ES3_jN6thrust23THRUST_200600_302600_NS6detail15normal_iteratorINSA_7pointerIiNSA_11hip_rocprim5par_tENSA_11use_defaultESG_EEEEPS6_SJ_NS0_5tupleIJPiSJ_EEENSK_IJSJ_SJ_EEES6_PlJ7is_evenIiEEEE10hipError_tPvRmT3_T4_T5_T6_T7_T9_mT8_P12ihipStream_tbDpT10_ENKUlT_T0_E_clISt17integral_constantIbLb1EES1A_EEDaS15_S16_EUlS15_E_NS1_11comp_targetILNS1_3genE5ELNS1_11target_archE942ELNS1_3gpuE9ELNS1_3repE0EEENS1_30default_config_static_selectorELNS0_4arch9wavefront6targetE1EEEvT1_, .Lfunc_end3671-_ZN7rocprim17ROCPRIM_400000_NS6detail17trampoline_kernelINS0_14default_configENS1_25partition_config_selectorILNS1_17partition_subalgoE3EiNS0_10empty_typeEbEEZZNS1_14partition_implILS5_3ELb0ES3_jN6thrust23THRUST_200600_302600_NS6detail15normal_iteratorINSA_7pointerIiNSA_11hip_rocprim5par_tENSA_11use_defaultESG_EEEEPS6_SJ_NS0_5tupleIJPiSJ_EEENSK_IJSJ_SJ_EEES6_PlJ7is_evenIiEEEE10hipError_tPvRmT3_T4_T5_T6_T7_T9_mT8_P12ihipStream_tbDpT10_ENKUlT_T0_E_clISt17integral_constantIbLb1EES1A_EEDaS15_S16_EUlS15_E_NS1_11comp_targetILNS1_3genE5ELNS1_11target_archE942ELNS1_3gpuE9ELNS1_3repE0EEENS1_30default_config_static_selectorELNS0_4arch9wavefront6targetE1EEEvT1_
                                        ; -- End function
	.section	.AMDGPU.csdata,"",@progbits
; Kernel info:
; codeLenInByte = 0
; NumSgprs: 4
; NumVgprs: 0
; NumAgprs: 0
; TotalNumVgprs: 0
; ScratchSize: 0
; MemoryBound: 0
; FloatMode: 240
; IeeeMode: 1
; LDSByteSize: 0 bytes/workgroup (compile time only)
; SGPRBlocks: 0
; VGPRBlocks: 0
; NumSGPRsForWavesPerEU: 4
; NumVGPRsForWavesPerEU: 1
; AccumOffset: 4
; Occupancy: 8
; WaveLimiterHint : 0
; COMPUTE_PGM_RSRC2:SCRATCH_EN: 0
; COMPUTE_PGM_RSRC2:USER_SGPR: 6
; COMPUTE_PGM_RSRC2:TRAP_HANDLER: 0
; COMPUTE_PGM_RSRC2:TGID_X_EN: 1
; COMPUTE_PGM_RSRC2:TGID_Y_EN: 0
; COMPUTE_PGM_RSRC2:TGID_Z_EN: 0
; COMPUTE_PGM_RSRC2:TIDIG_COMP_CNT: 0
; COMPUTE_PGM_RSRC3_GFX90A:ACCUM_OFFSET: 0
; COMPUTE_PGM_RSRC3_GFX90A:TG_SPLIT: 0
	.section	.text._ZN7rocprim17ROCPRIM_400000_NS6detail17trampoline_kernelINS0_14default_configENS1_25partition_config_selectorILNS1_17partition_subalgoE3EiNS0_10empty_typeEbEEZZNS1_14partition_implILS5_3ELb0ES3_jN6thrust23THRUST_200600_302600_NS6detail15normal_iteratorINSA_7pointerIiNSA_11hip_rocprim5par_tENSA_11use_defaultESG_EEEEPS6_SJ_NS0_5tupleIJPiSJ_EEENSK_IJSJ_SJ_EEES6_PlJ7is_evenIiEEEE10hipError_tPvRmT3_T4_T5_T6_T7_T9_mT8_P12ihipStream_tbDpT10_ENKUlT_T0_E_clISt17integral_constantIbLb1EES1A_EEDaS15_S16_EUlS15_E_NS1_11comp_targetILNS1_3genE4ELNS1_11target_archE910ELNS1_3gpuE8ELNS1_3repE0EEENS1_30default_config_static_selectorELNS0_4arch9wavefront6targetE1EEEvT1_,"axG",@progbits,_ZN7rocprim17ROCPRIM_400000_NS6detail17trampoline_kernelINS0_14default_configENS1_25partition_config_selectorILNS1_17partition_subalgoE3EiNS0_10empty_typeEbEEZZNS1_14partition_implILS5_3ELb0ES3_jN6thrust23THRUST_200600_302600_NS6detail15normal_iteratorINSA_7pointerIiNSA_11hip_rocprim5par_tENSA_11use_defaultESG_EEEEPS6_SJ_NS0_5tupleIJPiSJ_EEENSK_IJSJ_SJ_EEES6_PlJ7is_evenIiEEEE10hipError_tPvRmT3_T4_T5_T6_T7_T9_mT8_P12ihipStream_tbDpT10_ENKUlT_T0_E_clISt17integral_constantIbLb1EES1A_EEDaS15_S16_EUlS15_E_NS1_11comp_targetILNS1_3genE4ELNS1_11target_archE910ELNS1_3gpuE8ELNS1_3repE0EEENS1_30default_config_static_selectorELNS0_4arch9wavefront6targetE1EEEvT1_,comdat
	.protected	_ZN7rocprim17ROCPRIM_400000_NS6detail17trampoline_kernelINS0_14default_configENS1_25partition_config_selectorILNS1_17partition_subalgoE3EiNS0_10empty_typeEbEEZZNS1_14partition_implILS5_3ELb0ES3_jN6thrust23THRUST_200600_302600_NS6detail15normal_iteratorINSA_7pointerIiNSA_11hip_rocprim5par_tENSA_11use_defaultESG_EEEEPS6_SJ_NS0_5tupleIJPiSJ_EEENSK_IJSJ_SJ_EEES6_PlJ7is_evenIiEEEE10hipError_tPvRmT3_T4_T5_T6_T7_T9_mT8_P12ihipStream_tbDpT10_ENKUlT_T0_E_clISt17integral_constantIbLb1EES1A_EEDaS15_S16_EUlS15_E_NS1_11comp_targetILNS1_3genE4ELNS1_11target_archE910ELNS1_3gpuE8ELNS1_3repE0EEENS1_30default_config_static_selectorELNS0_4arch9wavefront6targetE1EEEvT1_ ; -- Begin function _ZN7rocprim17ROCPRIM_400000_NS6detail17trampoline_kernelINS0_14default_configENS1_25partition_config_selectorILNS1_17partition_subalgoE3EiNS0_10empty_typeEbEEZZNS1_14partition_implILS5_3ELb0ES3_jN6thrust23THRUST_200600_302600_NS6detail15normal_iteratorINSA_7pointerIiNSA_11hip_rocprim5par_tENSA_11use_defaultESG_EEEEPS6_SJ_NS0_5tupleIJPiSJ_EEENSK_IJSJ_SJ_EEES6_PlJ7is_evenIiEEEE10hipError_tPvRmT3_T4_T5_T6_T7_T9_mT8_P12ihipStream_tbDpT10_ENKUlT_T0_E_clISt17integral_constantIbLb1EES1A_EEDaS15_S16_EUlS15_E_NS1_11comp_targetILNS1_3genE4ELNS1_11target_archE910ELNS1_3gpuE8ELNS1_3repE0EEENS1_30default_config_static_selectorELNS0_4arch9wavefront6targetE1EEEvT1_
	.globl	_ZN7rocprim17ROCPRIM_400000_NS6detail17trampoline_kernelINS0_14default_configENS1_25partition_config_selectorILNS1_17partition_subalgoE3EiNS0_10empty_typeEbEEZZNS1_14partition_implILS5_3ELb0ES3_jN6thrust23THRUST_200600_302600_NS6detail15normal_iteratorINSA_7pointerIiNSA_11hip_rocprim5par_tENSA_11use_defaultESG_EEEEPS6_SJ_NS0_5tupleIJPiSJ_EEENSK_IJSJ_SJ_EEES6_PlJ7is_evenIiEEEE10hipError_tPvRmT3_T4_T5_T6_T7_T9_mT8_P12ihipStream_tbDpT10_ENKUlT_T0_E_clISt17integral_constantIbLb1EES1A_EEDaS15_S16_EUlS15_E_NS1_11comp_targetILNS1_3genE4ELNS1_11target_archE910ELNS1_3gpuE8ELNS1_3repE0EEENS1_30default_config_static_selectorELNS0_4arch9wavefront6targetE1EEEvT1_
	.p2align	8
	.type	_ZN7rocprim17ROCPRIM_400000_NS6detail17trampoline_kernelINS0_14default_configENS1_25partition_config_selectorILNS1_17partition_subalgoE3EiNS0_10empty_typeEbEEZZNS1_14partition_implILS5_3ELb0ES3_jN6thrust23THRUST_200600_302600_NS6detail15normal_iteratorINSA_7pointerIiNSA_11hip_rocprim5par_tENSA_11use_defaultESG_EEEEPS6_SJ_NS0_5tupleIJPiSJ_EEENSK_IJSJ_SJ_EEES6_PlJ7is_evenIiEEEE10hipError_tPvRmT3_T4_T5_T6_T7_T9_mT8_P12ihipStream_tbDpT10_ENKUlT_T0_E_clISt17integral_constantIbLb1EES1A_EEDaS15_S16_EUlS15_E_NS1_11comp_targetILNS1_3genE4ELNS1_11target_archE910ELNS1_3gpuE8ELNS1_3repE0EEENS1_30default_config_static_selectorELNS0_4arch9wavefront6targetE1EEEvT1_,@function
_ZN7rocprim17ROCPRIM_400000_NS6detail17trampoline_kernelINS0_14default_configENS1_25partition_config_selectorILNS1_17partition_subalgoE3EiNS0_10empty_typeEbEEZZNS1_14partition_implILS5_3ELb0ES3_jN6thrust23THRUST_200600_302600_NS6detail15normal_iteratorINSA_7pointerIiNSA_11hip_rocprim5par_tENSA_11use_defaultESG_EEEEPS6_SJ_NS0_5tupleIJPiSJ_EEENSK_IJSJ_SJ_EEES6_PlJ7is_evenIiEEEE10hipError_tPvRmT3_T4_T5_T6_T7_T9_mT8_P12ihipStream_tbDpT10_ENKUlT_T0_E_clISt17integral_constantIbLb1EES1A_EEDaS15_S16_EUlS15_E_NS1_11comp_targetILNS1_3genE4ELNS1_11target_archE910ELNS1_3gpuE8ELNS1_3repE0EEENS1_30default_config_static_selectorELNS0_4arch9wavefront6targetE1EEEvT1_: ; @_ZN7rocprim17ROCPRIM_400000_NS6detail17trampoline_kernelINS0_14default_configENS1_25partition_config_selectorILNS1_17partition_subalgoE3EiNS0_10empty_typeEbEEZZNS1_14partition_implILS5_3ELb0ES3_jN6thrust23THRUST_200600_302600_NS6detail15normal_iteratorINSA_7pointerIiNSA_11hip_rocprim5par_tENSA_11use_defaultESG_EEEEPS6_SJ_NS0_5tupleIJPiSJ_EEENSK_IJSJ_SJ_EEES6_PlJ7is_evenIiEEEE10hipError_tPvRmT3_T4_T5_T6_T7_T9_mT8_P12ihipStream_tbDpT10_ENKUlT_T0_E_clISt17integral_constantIbLb1EES1A_EEDaS15_S16_EUlS15_E_NS1_11comp_targetILNS1_3genE4ELNS1_11target_archE910ELNS1_3gpuE8ELNS1_3repE0EEENS1_30default_config_static_selectorELNS0_4arch9wavefront6targetE1EEEvT1_
; %bb.0:
	s_load_dwordx2 s[28:29], s[4:5], 0x28
	s_load_dwordx4 s[20:23], s[4:5], 0x48
	s_load_dwordx2 s[30:31], s[4:5], 0x58
	s_load_dwordx2 s[34:35], s[4:5], 0x68
	v_cmp_eq_u32_e64 s[0:1], 0, v0
	s_and_saveexec_b64 s[2:3], s[0:1]
	s_cbranch_execz .LBB3672_4
; %bb.1:
	s_mov_b64 s[8:9], exec
	v_mbcnt_lo_u32_b32 v1, s8, 0
	v_mbcnt_hi_u32_b32 v1, s9, v1
	v_cmp_eq_u32_e32 vcc, 0, v1
                                        ; implicit-def: $vgpr2
	s_and_saveexec_b64 s[6:7], vcc
	s_cbranch_execz .LBB3672_3
; %bb.2:
	s_load_dwordx2 s[10:11], s[4:5], 0x78
	s_bcnt1_i32_b64 s8, s[8:9]
	v_mov_b32_e32 v2, 0
	v_mov_b32_e32 v3, s8
	s_waitcnt lgkmcnt(0)
	global_atomic_add v2, v2, v3, s[10:11] glc
.LBB3672_3:
	s_or_b64 exec, exec, s[6:7]
	s_waitcnt vmcnt(0)
	v_readfirstlane_b32 s6, v2
	v_add_u32_e32 v1, s6, v1
	v_mov_b32_e32 v2, 0
	ds_write_b32 v2, v1
.LBB3672_4:
	s_or_b64 exec, exec, s[2:3]
	v_mov_b32_e32 v13, 0
	s_load_dwordx4 s[24:27], s[4:5], 0x8
	s_load_dword s2, s[4:5], 0x70
	s_waitcnt lgkmcnt(0)
	s_barrier
	ds_read_b32 v1, v13
	s_waitcnt lgkmcnt(0)
	s_barrier
	global_load_dwordx2 v[14:15], v13, s[22:23]
	s_lshl_b64 s[4:5], s[26:27], 2
	s_add_u32 s6, s24, s4
	s_addc_u32 s7, s25, s5
	s_movk_i32 s3, 0xa00
	s_add_i32 s4, s2, -1
	s_mulk_i32 s2, 0xa00
	v_mul_lo_u32 v12, v1, s3
	s_add_i32 s3, s2, s26
	s_sub_i32 s33, s30, s3
	s_addk_i32 s33, 0xa00
	s_add_u32 s2, s26, s2
	v_readfirstlane_b32 s40, v1
	s_addc_u32 s3, s27, 0
	s_cmp_eq_u32 s40, s4
	v_pk_mov_b32 v[2:3], s[30:31], s[30:31] op_sel:[0,1]
	s_cselect_b64 s[22:23], -1, 0
	s_cmp_lg_u32 s40, s4
	v_cmp_lt_u64_e32 vcc, s[2:3], v[2:3]
	s_cselect_b64 s[2:3], -1, 0
	v_lshlrev_b64 v[2:3], 2, v[12:13]
	s_or_b64 s[4:5], vcc, s[2:3]
	v_mov_b32_e32 v1, s7
	v_add_co_u32_e32 v13, vcc, s6, v2
	v_addc_co_u32_e32 v16, vcc, v1, v3, vcc
	s_mov_b64 s[2:3], -1
	s_and_b64 vcc, exec, s[4:5]
	v_lshlrev_b32_e32 v1, 2, v0
	s_cbranch_vccz .LBB3672_6
; %bb.5:
	v_add_co_u32_e32 v2, vcc, v13, v1
	v_addc_co_u32_e32 v3, vcc, 0, v16, vcc
	v_add_co_u32_e32 v4, vcc, 0x1000, v2
	v_addc_co_u32_e32 v5, vcc, 0, v3, vcc
	flat_load_dword v6, v[2:3]
	flat_load_dword v7, v[2:3] offset:1024
	flat_load_dword v8, v[2:3] offset:2048
	;; [unrolled: 1-line block ×3, first 2 shown]
	flat_load_dword v10, v[4:5]
	flat_load_dword v11, v[4:5] offset:1024
	flat_load_dword v17, v[4:5] offset:2048
	;; [unrolled: 1-line block ×3, first 2 shown]
	v_add_co_u32_e32 v2, vcc, 0x2000, v2
	v_addc_co_u32_e32 v3, vcc, 0, v3, vcc
	flat_load_dword v4, v[2:3]
	flat_load_dword v5, v[2:3] offset:1024
	s_mov_b64 s[2:3], 0
	s_waitcnt vmcnt(0) lgkmcnt(0)
	ds_write2st64_b32 v1, v6, v7 offset1:4
	ds_write2st64_b32 v1, v8, v9 offset0:8 offset1:12
	ds_write2st64_b32 v1, v10, v11 offset0:16 offset1:20
	ds_write2st64_b32 v1, v17, v18 offset0:24 offset1:28
	ds_write2st64_b32 v1, v4, v5 offset0:32 offset1:36
	s_waitcnt lgkmcnt(0)
	s_barrier
.LBB3672_6:
	s_andn2_b64 vcc, exec, s[2:3]
	v_cmp_gt_u32_e64 s[2:3], s33, v0
	s_cbranch_vccnz .LBB3672_28
; %bb.7:
                                        ; implicit-def: $vgpr2_vgpr3_vgpr4_vgpr5_vgpr6_vgpr7_vgpr8_vgpr9_vgpr10_vgpr11
	s_and_saveexec_b64 s[6:7], s[2:3]
	s_cbranch_execz .LBB3672_9
; %bb.8:
	v_add_co_u32_e32 v2, vcc, v13, v1
	v_addc_co_u32_e32 v3, vcc, 0, v16, vcc
	flat_load_dword v2, v[2:3]
.LBB3672_9:
	s_or_b64 exec, exec, s[6:7]
	v_or_b32_e32 v17, 0x100, v0
	v_cmp_gt_u32_e32 vcc, s33, v17
	s_and_saveexec_b64 s[2:3], vcc
	s_cbranch_execz .LBB3672_11
; %bb.10:
	v_add_co_u32_e32 v18, vcc, v13, v1
	v_addc_co_u32_e32 v19, vcc, 0, v16, vcc
	flat_load_dword v3, v[18:19] offset:1024
.LBB3672_11:
	s_or_b64 exec, exec, s[2:3]
	v_or_b32_e32 v17, 0x200, v0
	v_cmp_gt_u32_e32 vcc, s33, v17
	s_and_saveexec_b64 s[2:3], vcc
	s_cbranch_execz .LBB3672_13
; %bb.12:
	v_add_co_u32_e32 v18, vcc, v13, v1
	v_addc_co_u32_e32 v19, vcc, 0, v16, vcc
	flat_load_dword v4, v[18:19] offset:2048
.LBB3672_13:
	;; [unrolled: 10-line block ×3, first 2 shown]
	s_or_b64 exec, exec, s[2:3]
	v_or_b32_e32 v17, 0x400, v0
	v_cmp_gt_u32_e32 vcc, s33, v17
	s_and_saveexec_b64 s[2:3], vcc
	s_cbranch_execz .LBB3672_17
; %bb.16:
	v_lshlrev_b32_e32 v6, 2, v17
	v_add_co_u32_e32 v18, vcc, v13, v6
	v_addc_co_u32_e32 v19, vcc, 0, v16, vcc
	flat_load_dword v6, v[18:19]
.LBB3672_17:
	s_or_b64 exec, exec, s[2:3]
	v_or_b32_e32 v17, 0x500, v0
	v_cmp_gt_u32_e32 vcc, s33, v17
	s_and_saveexec_b64 s[2:3], vcc
	s_cbranch_execz .LBB3672_19
; %bb.18:
	v_lshlrev_b32_e32 v7, 2, v17
	v_add_co_u32_e32 v18, vcc, v13, v7
	v_addc_co_u32_e32 v19, vcc, 0, v16, vcc
	flat_load_dword v7, v[18:19]
.LBB3672_19:
	;; [unrolled: 11-line block ×6, first 2 shown]
	s_or_b64 exec, exec, s[2:3]
	s_waitcnt vmcnt(0) lgkmcnt(0)
	ds_write2st64_b32 v1, v2, v3 offset1:4
	ds_write2st64_b32 v1, v4, v5 offset0:8 offset1:12
	ds_write2st64_b32 v1, v6, v7 offset0:16 offset1:20
	;; [unrolled: 1-line block ×4, first 2 shown]
	s_waitcnt lgkmcnt(0)
	s_barrier
.LBB3672_28:
	v_mul_u32_u24_e32 v26, 10, v0
	v_lshlrev_b32_e32 v32, 2, v26
	ds_read2_b64 v[6:9], v32 offset1:1
	ds_read2_b64 v[2:5], v32 offset0:2 offset1:3
	ds_read_b64 v[16:17], v32 offset:32
	v_cndmask_b32_e64 v10, 0, 1, s[4:5]
	v_cmp_ne_u32_e64 s[2:3], 1, v10
	s_andn2_b64 vcc, exec, s[4:5]
	s_waitcnt lgkmcnt(2)
	v_xor_b32_e32 v25, -1, v6
	v_xor_b32_e32 v24, -1, v7
	v_xor_b32_e32 v23, -1, v8
	v_xor_b32_e32 v22, -1, v9
	s_waitcnt lgkmcnt(1)
	v_xor_b32_e32 v21, -1, v2
	v_xor_b32_e32 v20, -1, v3
	v_xor_b32_e32 v19, -1, v4
	v_xor_b32_e32 v18, -1, v5
	s_waitcnt lgkmcnt(0)
	v_xor_b32_e32 v11, -1, v16
	v_xor_b32_e32 v10, -1, v17
	s_barrier
	s_cbranch_vccnz .LBB3672_30
; %bb.29:
	v_mov_b32_e32 v13, 1
	v_and_b32_e32 v28, 1, v25
	v_and_b32_sdwa v29, v24, v13 dst_sel:BYTE_1 dst_unused:UNUSED_PAD src0_sel:DWORD src1_sel:DWORD
	v_and_b32_e32 v30, 1, v23
	v_and_b32_sdwa v31, v22, v13 dst_sel:BYTE_1 dst_unused:UNUSED_PAD src0_sel:DWORD src1_sel:DWORD
	;; [unrolled: 2-line block ×4, first 2 shown]
	v_or_b32_e32 v28, v28, v29
	v_or_b32_sdwa v29, v30, v31 dst_sel:WORD_1 dst_unused:UNUSED_PAD src0_sel:DWORD src1_sel:DWORD
	v_or_b32_sdwa v29, v28, v29 dst_sel:DWORD dst_unused:UNUSED_PAD src0_sel:WORD_0 src1_sel:DWORD
	v_or_b32_e32 v28, v33, v34
	v_or_b32_sdwa v30, v35, v36 dst_sel:WORD_1 dst_unused:UNUSED_PAD src0_sel:DWORD src1_sel:DWORD
	v_and_b32_e32 v27, 1, v11
	v_and_b32_e32 v13, 1, v10
	v_or_b32_sdwa v28, v28, v30 dst_sel:DWORD dst_unused:UNUSED_PAD src0_sel:WORD_0 src1_sel:DWORD
	s_cbranch_execz .LBB3672_31
	s_branch .LBB3672_32
.LBB3672_30:
                                        ; implicit-def: $vgpr13
                                        ; implicit-def: $vgpr27
                                        ; implicit-def: $vgpr28
                                        ; implicit-def: $vgpr29
.LBB3672_31:
	v_or_b32_e32 v35, 1, v26
	v_cmp_gt_u32_e32 vcc, s33, v26
	v_add_u32_e32 v13, 2, v26
	v_cndmask_b32_e64 v36, 0, 1, vcc
	v_cmp_gt_u32_e32 vcc, s33, v35
	v_add_u32_e32 v34, 3, v26
	v_cndmask_b32_e64 v35, 0, 1, vcc
	;; [unrolled: 3-line block ×3, first 2 shown]
	v_cmp_gt_u32_e32 vcc, s33, v34
	v_add_u32_e32 v33, 5, v26
	v_and_b32_e32 v23, v13, v23
	v_cndmask_b32_e64 v13, 0, 1, vcc
	v_cmp_gt_u32_e32 vcc, s33, v27
	v_add_u32_e32 v28, 6, v26
	v_and_b32_sdwa v22, v13, v22 dst_sel:BYTE_1 dst_unused:UNUSED_PAD src0_sel:DWORD src1_sel:DWORD
	v_cndmask_b32_e64 v13, 0, 1, vcc
	v_cmp_gt_u32_e32 vcc, s33, v33
	v_add_u32_e32 v31, 7, v26
	v_and_b32_e32 v21, v13, v21
	v_cndmask_b32_e64 v13, 0, 1, vcc
	v_cmp_gt_u32_e32 vcc, s33, v28
	v_add_u32_e32 v29, 8, v26
	v_and_b32_sdwa v20, v13, v20 dst_sel:BYTE_1 dst_unused:UNUSED_PAD src0_sel:DWORD src1_sel:DWORD
	v_cndmask_b32_e64 v13, 0, 1, vcc
	v_cmp_gt_u32_e32 vcc, s33, v31
	v_add_u32_e32 v30, 9, v26
	v_and_b32_e32 v19, v13, v19
	v_cndmask_b32_e64 v13, 0, 1, vcc
	v_cmp_gt_u32_e32 vcc, s33, v29
	v_and_b32_sdwa v18, v13, v18 dst_sel:BYTE_1 dst_unused:UNUSED_PAD src0_sel:DWORD src1_sel:DWORD
	v_cndmask_b32_e64 v13, 0, 1, vcc
	v_cmp_gt_u32_e32 vcc, s33, v30
	v_and_b32_e32 v25, v36, v25
	v_and_b32_sdwa v24, v35, v24 dst_sel:BYTE_1 dst_unused:UNUSED_PAD src0_sel:DWORD src1_sel:DWORD
	v_and_b32_e32 v27, v13, v11
	v_cndmask_b32_e64 v11, 0, 1, vcc
	v_and_b32_e32 v13, v11, v10
	v_or_b32_e32 v10, v25, v24
	v_or_b32_sdwa v11, v23, v22 dst_sel:WORD_1 dst_unused:UNUSED_PAD src0_sel:DWORD src1_sel:DWORD
	v_or_b32_sdwa v29, v10, v11 dst_sel:DWORD dst_unused:UNUSED_PAD src0_sel:WORD_0 src1_sel:DWORD
	v_or_b32_e32 v10, v21, v20
	v_or_b32_sdwa v11, v19, v18 dst_sel:WORD_1 dst_unused:UNUSED_PAD src0_sel:DWORD src1_sel:DWORD
	v_or_b32_sdwa v28, v10, v11 dst_sel:DWORD dst_unused:UNUSED_PAD src0_sel:WORD_0 src1_sel:DWORD
.LBB3672_32:
	v_bfe_u32 v33, v29, 16, 8
	v_lshrrev_b32_e32 v31, 24, v29
	v_add_u32_sdwa v11, v29, v29 dst_sel:DWORD dst_unused:UNUSED_PAD src0_sel:BYTE_1 src1_sel:BYTE_0
	v_and_b32_e32 v34, 0xff, v28
	v_bfe_u32 v35, v28, 8, 8
	v_add3_u32 v11, v11, v33, v31
	v_bfe_u32 v36, v28, 16, 8
	v_lshrrev_b32_e32 v30, 24, v28
	v_add3_u32 v11, v11, v34, v35
	v_and_b32_e32 v37, 0xff, v27
	v_and_b32_e32 v10, 0xff, v13
	v_add3_u32 v11, v11, v36, v30
	v_add3_u32 v40, v11, v37, v10
	v_mbcnt_lo_u32_b32 v10, -1, 0
	v_mbcnt_hi_u32_b32 v38, -1, v10
	v_and_b32_e32 v10, 15, v38
	v_cmp_eq_u32_e64 s[16:17], 0, v10
	v_cmp_lt_u32_e64 s[14:15], 1, v10
	v_cmp_lt_u32_e64 s[12:13], 3, v10
	;; [unrolled: 1-line block ×3, first 2 shown]
	v_and_b32_e32 v10, 16, v38
	v_cmp_eq_u32_e64 s[8:9], 0, v10
	v_or_b32_e32 v10, 63, v0
	s_cmp_lg_u32 s40, 0
	v_cmp_lt_u32_e64 s[4:5], 31, v38
	v_lshrrev_b32_e32 v39, 6, v0
	v_cmp_eq_u32_e64 s[6:7], v10, v0
	s_cbranch_scc0 .LBB3672_63
; %bb.33:
	v_mov_b32_dpp v10, v40 row_shr:1 row_mask:0xf bank_mask:0xf
	v_cndmask_b32_e64 v10, v10, 0, s[16:17]
	v_add_u32_e32 v10, v10, v40
	s_nop 1
	v_mov_b32_dpp v11, v10 row_shr:2 row_mask:0xf bank_mask:0xf
	v_cndmask_b32_e64 v11, 0, v11, s[14:15]
	v_add_u32_e32 v10, v10, v11
	s_nop 1
	;; [unrolled: 4-line block ×4, first 2 shown]
	v_mov_b32_dpp v11, v10 row_bcast:15 row_mask:0xf bank_mask:0xf
	v_cndmask_b32_e64 v11, v11, 0, s[8:9]
	v_add_u32_e32 v10, v10, v11
	s_nop 1
	v_mov_b32_dpp v11, v10 row_bcast:31 row_mask:0xf bank_mask:0xf
	v_cndmask_b32_e64 v11, 0, v11, s[4:5]
	v_add_u32_e32 v10, v10, v11
	s_and_saveexec_b64 s[18:19], s[6:7]
	s_cbranch_execz .LBB3672_35
; %bb.34:
	v_lshlrev_b32_e32 v11, 2, v39
	ds_write_b32 v11, v10
.LBB3672_35:
	s_or_b64 exec, exec, s[18:19]
	v_cmp_gt_u32_e32 vcc, 4, v0
	s_waitcnt lgkmcnt(0)
	s_barrier
	s_and_saveexec_b64 s[18:19], vcc
	s_cbranch_execz .LBB3672_37
; %bb.36:
	ds_read_b32 v11, v1
	v_and_b32_e32 v18, 3, v38
	v_cmp_ne_u32_e32 vcc, 0, v18
	s_waitcnt lgkmcnt(0)
	v_mov_b32_dpp v19, v11 row_shr:1 row_mask:0xf bank_mask:0xf
	v_cndmask_b32_e32 v19, 0, v19, vcc
	v_add_u32_e32 v11, v19, v11
	v_cmp_lt_u32_e32 vcc, 1, v18
	s_nop 0
	v_mov_b32_dpp v19, v11 row_shr:2 row_mask:0xf bank_mask:0xf
	v_cndmask_b32_e32 v18, 0, v19, vcc
	v_add_u32_e32 v11, v11, v18
	ds_write_b32 v1, v11
.LBB3672_37:
	s_or_b64 exec, exec, s[18:19]
	v_cmp_gt_u32_e32 vcc, 64, v0
	v_cmp_lt_u32_e64 s[18:19], 63, v0
	s_waitcnt lgkmcnt(0)
	s_barrier
	s_waitcnt lgkmcnt(0)
                                        ; implicit-def: $vgpr41
	s_and_saveexec_b64 s[24:25], s[18:19]
	s_cbranch_execz .LBB3672_39
; %bb.38:
	v_lshl_add_u32 v11, v39, 2, -4
	ds_read_b32 v41, v11
	s_waitcnt lgkmcnt(0)
	v_add_u32_e32 v10, v41, v10
.LBB3672_39:
	s_or_b64 exec, exec, s[24:25]
	v_add_u32_e32 v11, -1, v38
	v_and_b32_e32 v18, 64, v38
	v_cmp_lt_i32_e64 s[18:19], v11, v18
	v_cndmask_b32_e64 v11, v11, v38, s[18:19]
	v_lshlrev_b32_e32 v11, 2, v11
	ds_bpermute_b32 v42, v11, v10
	v_cmp_eq_u32_e64 s[18:19], 0, v38
	s_and_saveexec_b64 s[24:25], vcc
	s_cbranch_execz .LBB3672_62
; %bb.40:
	v_mov_b32_e32 v25, 0
	ds_read_b32 v10, v25 offset:12
	s_and_saveexec_b64 s[36:37], s[18:19]
	s_cbranch_execz .LBB3672_42
; %bb.41:
	s_add_i32 s38, s40, 64
	s_mov_b32 s39, 0
	s_lshl_b64 s[38:39], s[38:39], 3
	s_add_u32 s38, s34, s38
	v_mov_b32_e32 v11, 1
	s_addc_u32 s39, s35, s39
	s_waitcnt lgkmcnt(0)
	global_store_dwordx2 v25, v[10:11], s[38:39]
.LBB3672_42:
	s_or_b64 exec, exec, s[36:37]
	v_xad_u32 v18, v38, -1, s40
	v_add_u32_e32 v24, 64, v18
	v_lshlrev_b64 v[20:21], 3, v[24:25]
	v_mov_b32_e32 v11, s35
	v_add_co_u32_e32 v20, vcc, s34, v20
	v_addc_co_u32_e32 v21, vcc, v11, v21, vcc
	global_load_dwordx2 v[22:23], v[20:21], off glc
	s_waitcnt vmcnt(0)
	v_cmp_eq_u16_sdwa s[38:39], v23, v25 src0_sel:BYTE_0 src1_sel:DWORD
	s_and_saveexec_b64 s[36:37], s[38:39]
	s_cbranch_execz .LBB3672_48
; %bb.43:
	s_mov_b32 s41, 1
	s_mov_b64 s[38:39], 0
	v_mov_b32_e32 v11, 0
.LBB3672_44:                            ; =>This Loop Header: Depth=1
                                        ;     Child Loop BB3672_45 Depth 2
	s_max_u32 s42, s41, 1
.LBB3672_45:                            ;   Parent Loop BB3672_44 Depth=1
                                        ; =>  This Inner Loop Header: Depth=2
	s_add_i32 s42, s42, -1
	s_cmp_eq_u32 s42, 0
	s_sleep 1
	s_cbranch_scc0 .LBB3672_45
; %bb.46:                               ;   in Loop: Header=BB3672_44 Depth=1
	global_load_dwordx2 v[22:23], v[20:21], off glc
	s_cmp_lt_u32 s41, 32
	s_cselect_b64 s[42:43], -1, 0
	s_cmp_lg_u64 s[42:43], 0
	s_addc_u32 s41, s41, 0
	s_waitcnt vmcnt(0)
	v_cmp_ne_u16_sdwa s[42:43], v23, v11 src0_sel:BYTE_0 src1_sel:DWORD
	s_or_b64 s[38:39], s[42:43], s[38:39]
	s_andn2_b64 exec, exec, s[38:39]
	s_cbranch_execnz .LBB3672_44
; %bb.47:
	s_or_b64 exec, exec, s[38:39]
.LBB3672_48:
	s_or_b64 exec, exec, s[36:37]
	v_and_b32_e32 v44, 63, v38
	v_mov_b32_e32 v43, 2
	v_cmp_ne_u32_e32 vcc, 63, v44
	v_cmp_eq_u16_sdwa s[36:37], v23, v43 src0_sel:BYTE_0 src1_sel:DWORD
	v_lshlrev_b64 v[20:21], v38, -1
	v_addc_co_u32_e32 v24, vcc, 0, v38, vcc
	v_and_b32_e32 v11, s37, v21
	v_lshlrev_b32_e32 v45, 2, v24
	v_or_b32_e32 v11, 0x80000000, v11
	ds_bpermute_b32 v24, v45, v22
	v_and_b32_e32 v19, s36, v20
	v_ffbl_b32_e32 v11, v11
	v_add_u32_e32 v11, 32, v11
	v_ffbl_b32_e32 v19, v19
	v_min_u32_e32 v11, v19, v11
	v_cmp_lt_u32_e32 vcc, v44, v11
	s_waitcnt lgkmcnt(0)
	v_cndmask_b32_e32 v19, 0, v24, vcc
	v_cmp_gt_u32_e32 vcc, 62, v44
	v_add_u32_e32 v19, v19, v22
	v_cndmask_b32_e64 v22, 0, 1, vcc
	v_lshlrev_b32_e32 v22, 1, v22
	v_add_lshl_u32 v46, v22, v38, 2
	ds_bpermute_b32 v22, v46, v19
	v_add_u32_e32 v47, 2, v44
	v_cmp_le_u32_e32 vcc, v47, v11
	v_add_u32_e32 v49, 4, v44
	v_add_u32_e32 v51, 8, v44
	s_waitcnt lgkmcnt(0)
	v_cndmask_b32_e32 v22, 0, v22, vcc
	v_cmp_gt_u32_e32 vcc, 60, v44
	v_add_u32_e32 v19, v19, v22
	v_cndmask_b32_e64 v22, 0, 1, vcc
	v_lshlrev_b32_e32 v22, 2, v22
	v_add_lshl_u32 v48, v22, v38, 2
	ds_bpermute_b32 v22, v48, v19
	v_cmp_le_u32_e32 vcc, v49, v11
	v_add_u32_e32 v53, 16, v44
	v_add_u32_e32 v55, 32, v44
	s_waitcnt lgkmcnt(0)
	v_cndmask_b32_e32 v22, 0, v22, vcc
	v_cmp_gt_u32_e32 vcc, 56, v44
	v_add_u32_e32 v19, v19, v22
	v_cndmask_b32_e64 v22, 0, 1, vcc
	v_lshlrev_b32_e32 v22, 3, v22
	v_add_lshl_u32 v50, v22, v38, 2
	ds_bpermute_b32 v22, v50, v19
	v_cmp_le_u32_e32 vcc, v51, v11
	s_waitcnt lgkmcnt(0)
	v_cndmask_b32_e32 v22, 0, v22, vcc
	v_cmp_gt_u32_e32 vcc, 48, v44
	v_add_u32_e32 v19, v19, v22
	v_cndmask_b32_e64 v22, 0, 1, vcc
	v_lshlrev_b32_e32 v22, 4, v22
	v_add_lshl_u32 v52, v22, v38, 2
	ds_bpermute_b32 v22, v52, v19
	v_cmp_le_u32_e32 vcc, v53, v11
	;; [unrolled: 9-line block ×3, first 2 shown]
	s_waitcnt lgkmcnt(0)
	v_cndmask_b32_e32 v11, 0, v22, vcc
	v_add_u32_e32 v22, v19, v11
	v_mov_b32_e32 v19, 0
	s_branch .LBB3672_50
.LBB3672_49:                            ;   in Loop: Header=BB3672_50 Depth=1
	s_or_b64 exec, exec, s[36:37]
	v_cmp_eq_u16_sdwa s[36:37], v23, v43 src0_sel:BYTE_0 src1_sel:DWORD
	v_and_b32_e32 v24, s37, v21
	v_or_b32_e32 v24, 0x80000000, v24
	ds_bpermute_b32 v56, v45, v22
	v_and_b32_e32 v25, s36, v20
	v_ffbl_b32_e32 v24, v24
	v_add_u32_e32 v24, 32, v24
	v_ffbl_b32_e32 v25, v25
	v_min_u32_e32 v24, v25, v24
	v_cmp_lt_u32_e32 vcc, v44, v24
	s_waitcnt lgkmcnt(0)
	v_cndmask_b32_e32 v25, 0, v56, vcc
	v_add_u32_e32 v22, v25, v22
	ds_bpermute_b32 v25, v46, v22
	v_cmp_le_u32_e32 vcc, v47, v24
	v_subrev_u32_e32 v18, 64, v18
	s_waitcnt lgkmcnt(0)
	v_cndmask_b32_e32 v25, 0, v25, vcc
	v_add_u32_e32 v22, v22, v25
	ds_bpermute_b32 v25, v48, v22
	v_cmp_le_u32_e32 vcc, v49, v24
	s_waitcnt lgkmcnt(0)
	v_cndmask_b32_e32 v25, 0, v25, vcc
	v_add_u32_e32 v22, v22, v25
	ds_bpermute_b32 v25, v50, v22
	v_cmp_le_u32_e32 vcc, v51, v24
	;; [unrolled: 5-line block ×4, first 2 shown]
	s_waitcnt lgkmcnt(0)
	v_cndmask_b32_e32 v24, 0, v25, vcc
	v_add3_u32 v22, v24, v11, v22
.LBB3672_50:                            ; =>This Loop Header: Depth=1
                                        ;     Child Loop BB3672_53 Depth 2
                                        ;       Child Loop BB3672_54 Depth 3
	v_cmp_ne_u16_sdwa s[36:37], v23, v43 src0_sel:BYTE_0 src1_sel:DWORD
	v_cndmask_b32_e64 v11, 0, 1, s[36:37]
	;;#ASMSTART
	;;#ASMEND
	v_cmp_ne_u32_e32 vcc, 0, v11
	s_cmp_lg_u64 vcc, exec
	v_mov_b32_e32 v11, v22
	s_cbranch_scc1 .LBB3672_57
; %bb.51:                               ;   in Loop: Header=BB3672_50 Depth=1
	v_lshlrev_b64 v[22:23], 3, v[18:19]
	v_mov_b32_e32 v25, s35
	v_add_co_u32_e32 v24, vcc, s34, v22
	v_addc_co_u32_e32 v25, vcc, v25, v23, vcc
	global_load_dwordx2 v[22:23], v[24:25], off glc
	s_waitcnt vmcnt(0)
	v_cmp_eq_u16_sdwa s[38:39], v23, v19 src0_sel:BYTE_0 src1_sel:DWORD
	s_and_saveexec_b64 s[36:37], s[38:39]
	s_cbranch_execz .LBB3672_49
; %bb.52:                               ;   in Loop: Header=BB3672_50 Depth=1
	s_mov_b32 s41, 1
	s_mov_b64 s[38:39], 0
.LBB3672_53:                            ;   Parent Loop BB3672_50 Depth=1
                                        ; =>  This Loop Header: Depth=2
                                        ;       Child Loop BB3672_54 Depth 3
	s_max_u32 s42, s41, 1
.LBB3672_54:                            ;   Parent Loop BB3672_50 Depth=1
                                        ;     Parent Loop BB3672_53 Depth=2
                                        ; =>    This Inner Loop Header: Depth=3
	s_add_i32 s42, s42, -1
	s_cmp_eq_u32 s42, 0
	s_sleep 1
	s_cbranch_scc0 .LBB3672_54
; %bb.55:                               ;   in Loop: Header=BB3672_53 Depth=2
	global_load_dwordx2 v[22:23], v[24:25], off glc
	s_cmp_lt_u32 s41, 32
	s_cselect_b64 s[42:43], -1, 0
	s_cmp_lg_u64 s[42:43], 0
	s_addc_u32 s41, s41, 0
	s_waitcnt vmcnt(0)
	v_cmp_ne_u16_sdwa s[42:43], v23, v19 src0_sel:BYTE_0 src1_sel:DWORD
	s_or_b64 s[38:39], s[42:43], s[38:39]
	s_andn2_b64 exec, exec, s[38:39]
	s_cbranch_execnz .LBB3672_53
; %bb.56:                               ;   in Loop: Header=BB3672_50 Depth=1
	s_or_b64 exec, exec, s[38:39]
	s_branch .LBB3672_49
.LBB3672_57:                            ;   in Loop: Header=BB3672_50 Depth=1
                                        ; implicit-def: $vgpr22
                                        ; implicit-def: $vgpr23
	s_cbranch_execz .LBB3672_50
; %bb.58:
	s_and_saveexec_b64 s[36:37], s[18:19]
	s_cbranch_execz .LBB3672_60
; %bb.59:
	s_add_i32 s38, s40, 64
	s_mov_b32 s39, 0
	s_lshl_b64 s[38:39], s[38:39], 3
	s_add_u32 s38, s34, s38
	v_add_u32_e32 v18, v11, v10
	v_mov_b32_e32 v19, 2
	s_addc_u32 s39, s35, s39
	v_mov_b32_e32 v20, 0
	global_store_dwordx2 v20, v[18:19], s[38:39]
	ds_write_b64 v20, v[10:11] offset:10240
.LBB3672_60:
	s_or_b64 exec, exec, s[36:37]
	s_and_b64 exec, exec, s[0:1]
	s_cbranch_execz .LBB3672_62
; %bb.61:
	v_mov_b32_e32 v10, 0
	ds_write_b32 v10, v11 offset:12
.LBB3672_62:
	s_or_b64 exec, exec, s[24:25]
	v_mov_b32_e32 v10, 0
	s_waitcnt lgkmcnt(0)
	s_barrier
	ds_read_b32 v11, v10 offset:12
	v_cndmask_b32_e64 v18, v42, v41, s[18:19]
	v_cndmask_b32_e64 v18, v18, 0, s[0:1]
	s_waitcnt lgkmcnt(0)
	s_barrier
	v_add_u32_e32 v42, v11, v18
	v_add_u32_sdwa v41, v42, v29 dst_sel:DWORD dst_unused:UNUSED_PAD src0_sel:DWORD src1_sel:BYTE_0
	v_add_u32_sdwa v25, v41, v29 dst_sel:DWORD dst_unused:UNUSED_PAD src0_sel:DWORD src1_sel:BYTE_1
	v_add_u32_e32 v24, v25, v33
	v_add_u32_e32 v23, v24, v31
	;; [unrolled: 1-line block ×3, first 2 shown]
	ds_read_b64 v[10:11], v10 offset:10240
	v_add_u32_e32 v21, v22, v35
	v_add_u32_e32 v20, v21, v36
	;; [unrolled: 1-line block ×4, first 2 shown]
	s_branch .LBB3672_73
.LBB3672_63:
                                        ; implicit-def: $vgpr11
                                        ; implicit-def: $vgpr18
                                        ; implicit-def: $vgpr19
                                        ; implicit-def: $vgpr20
                                        ; implicit-def: $vgpr21
                                        ; implicit-def: $vgpr22
                                        ; implicit-def: $vgpr23
                                        ; implicit-def: $vgpr24
                                        ; implicit-def: $vgpr25
                                        ; implicit-def: $vgpr41
                                        ; implicit-def: $vgpr42
	s_cbranch_execz .LBB3672_73
; %bb.64:
	s_waitcnt lgkmcnt(0)
	v_mov_b32_dpp v10, v40 row_shr:1 row_mask:0xf bank_mask:0xf
	v_cndmask_b32_e64 v10, v10, 0, s[16:17]
	v_add_u32_e32 v10, v10, v40
	s_nop 1
	v_mov_b32_dpp v11, v10 row_shr:2 row_mask:0xf bank_mask:0xf
	v_cndmask_b32_e64 v11, 0, v11, s[14:15]
	v_add_u32_e32 v10, v10, v11
	s_nop 1
	;; [unrolled: 4-line block ×4, first 2 shown]
	v_mov_b32_dpp v11, v10 row_bcast:15 row_mask:0xf bank_mask:0xf
	v_cndmask_b32_e64 v11, v11, 0, s[8:9]
	v_add_u32_e32 v10, v10, v11
	s_nop 1
	v_mov_b32_dpp v11, v10 row_bcast:31 row_mask:0xf bank_mask:0xf
	v_cndmask_b32_e64 v11, 0, v11, s[4:5]
	v_add_u32_e32 v10, v10, v11
	s_and_saveexec_b64 s[4:5], s[6:7]
	s_cbranch_execz .LBB3672_66
; %bb.65:
	v_lshlrev_b32_e32 v11, 2, v39
	ds_write_b32 v11, v10
.LBB3672_66:
	s_or_b64 exec, exec, s[4:5]
	v_cmp_gt_u32_e32 vcc, 4, v0
	s_waitcnt lgkmcnt(0)
	s_barrier
	s_and_saveexec_b64 s[4:5], vcc
	s_cbranch_execz .LBB3672_68
; %bb.67:
	s_movk_i32 s6, 0xffdc
	v_mad_i32_i24 v11, v0, s6, v32
	ds_read_b32 v18, v11
	v_and_b32_e32 v19, 3, v38
	v_cmp_ne_u32_e32 vcc, 0, v19
	s_waitcnt lgkmcnt(0)
	v_mov_b32_dpp v20, v18 row_shr:1 row_mask:0xf bank_mask:0xf
	v_cndmask_b32_e32 v20, 0, v20, vcc
	v_add_u32_e32 v18, v20, v18
	v_cmp_lt_u32_e32 vcc, 1, v19
	s_nop 0
	v_mov_b32_dpp v20, v18 row_shr:2 row_mask:0xf bank_mask:0xf
	v_cndmask_b32_e32 v19, 0, v20, vcc
	v_add_u32_e32 v18, v18, v19
	ds_write_b32 v11, v18
.LBB3672_68:
	s_or_b64 exec, exec, s[4:5]
	v_cmp_lt_u32_e32 vcc, 63, v0
	v_mov_b32_e32 v11, 0
	v_mov_b32_e32 v18, 0
	s_waitcnt lgkmcnt(0)
	s_barrier
	s_and_saveexec_b64 s[4:5], vcc
	s_cbranch_execz .LBB3672_70
; %bb.69:
	v_lshl_add_u32 v18, v39, 2, -4
	ds_read_b32 v18, v18
.LBB3672_70:
	s_or_b64 exec, exec, s[4:5]
	v_add_u32_e32 v19, -1, v38
	v_and_b32_e32 v20, 64, v38
	v_cmp_lt_i32_e32 vcc, v19, v20
	v_cndmask_b32_e32 v19, v19, v38, vcc
	s_waitcnt lgkmcnt(0)
	v_add_u32_e32 v10, v18, v10
	v_lshlrev_b32_e32 v19, 2, v19
	ds_bpermute_b32 v19, v19, v10
	ds_read_b32 v10, v11 offset:12
	s_and_saveexec_b64 s[4:5], s[0:1]
	s_cbranch_execz .LBB3672_72
; %bb.71:
	v_mov_b32_e32 v20, 0
	v_mov_b32_e32 v11, 2
	s_waitcnt lgkmcnt(0)
	global_store_dwordx2 v20, v[10:11], s[34:35] offset:512
.LBB3672_72:
	s_or_b64 exec, exec, s[4:5]
	v_cmp_eq_u32_e32 vcc, 0, v38
	s_waitcnt lgkmcnt(1)
	v_cndmask_b32_e32 v18, v19, v18, vcc
	v_cndmask_b32_e64 v42, v18, 0, s[0:1]
	v_add_u32_sdwa v41, v42, v29 dst_sel:DWORD dst_unused:UNUSED_PAD src0_sel:DWORD src1_sel:BYTE_0
	v_add_u32_sdwa v25, v41, v29 dst_sel:DWORD dst_unused:UNUSED_PAD src0_sel:DWORD src1_sel:BYTE_1
	v_add_u32_e32 v24, v25, v33
	v_add_u32_e32 v23, v24, v31
	;; [unrolled: 1-line block ×6, first 2 shown]
	v_mov_b32_e32 v11, 0
	v_add_u32_e32 v18, v19, v37
	s_waitcnt lgkmcnt(0)
	s_barrier
.LBB3672_73:
	s_waitcnt lgkmcnt(0)
	v_add_u32_e32 v26, v10, v26
	v_sub_u32_e32 v34, v42, v11
	v_and_b32_e32 v36, 1, v29
	v_sub_u32_e32 v35, v26, v34
	v_cmp_eq_u32_e32 vcc, 1, v36
	v_cndmask_b32_e32 v34, v35, v34, vcc
	v_lshlrev_b32_e32 v34, 2, v34
	v_lshrrev_b32_e32 v33, 8, v29
	ds_write_b32 v34, v6
	v_sub_u32_e32 v6, v41, v11
	v_sub_u32_e32 v34, v26, v6
	v_and_b32_e32 v33, 1, v33
	v_add_u32_e32 v34, 1, v34
	v_cmp_eq_u32_e32 vcc, 1, v33
	v_cndmask_b32_e32 v6, v34, v6, vcc
	v_lshlrev_b32_e32 v6, 2, v6
	ds_write_b32 v6, v7
	v_sub_u32_e32 v6, v25, v11
	v_mov_b32_e32 v25, 1
	v_sub_u32_e32 v7, v26, v6
	v_and_b32_sdwa v29, v25, v29 dst_sel:DWORD dst_unused:UNUSED_PAD src0_sel:DWORD src1_sel:WORD_1
	v_add_u32_e32 v7, 2, v7
	v_cmp_eq_u32_e32 vcc, 1, v29
	v_cndmask_b32_e32 v6, v7, v6, vcc
	v_lshlrev_b32_e32 v6, 2, v6
	ds_write_b32 v6, v8
	v_sub_u32_e32 v6, v24, v11
	v_sub_u32_e32 v7, v26, v6
	v_and_b32_e32 v8, 1, v31
	v_add_u32_e32 v7, 3, v7
	v_cmp_eq_u32_e32 vcc, 1, v8
	v_cndmask_b32_e32 v6, v7, v6, vcc
	v_lshlrev_b32_e32 v6, 2, v6
	ds_write_b32 v6, v9
	v_sub_u32_e32 v6, v23, v11
	v_sub_u32_e32 v7, v26, v6
	v_and_b32_e32 v8, 1, v28
	v_add_u32_e32 v7, 4, v7
	v_cmp_eq_u32_e32 vcc, 1, v8
	v_cndmask_b32_e32 v6, v7, v6, vcc
	v_lshlrev_b32_e32 v6, 2, v6
	v_lshrrev_b32_e32 v32, 8, v28
	ds_write_b32 v6, v2
	v_sub_u32_e32 v2, v22, v11
	v_sub_u32_e32 v6, v26, v2
	v_and_b32_e32 v7, 1, v32
	v_add_u32_e32 v6, 5, v6
	v_cmp_eq_u32_e32 vcc, 1, v7
	v_cndmask_b32_e32 v2, v6, v2, vcc
	v_lshlrev_b32_e32 v2, 2, v2
	ds_write_b32 v2, v3
	v_sub_u32_e32 v2, v21, v11
	v_sub_u32_e32 v3, v26, v2
	v_and_b32_sdwa v6, v25, v28 dst_sel:DWORD dst_unused:UNUSED_PAD src0_sel:DWORD src1_sel:WORD_1
	v_add_u32_e32 v3, 6, v3
	v_cmp_eq_u32_e32 vcc, 1, v6
	v_cndmask_b32_e32 v2, v3, v2, vcc
	v_lshlrev_b32_e32 v2, 2, v2
	ds_write_b32 v2, v4
	v_sub_u32_e32 v2, v20, v11
	v_sub_u32_e32 v3, v26, v2
	v_and_b32_e32 v4, 1, v30
	v_add_u32_e32 v3, 7, v3
	v_cmp_eq_u32_e32 vcc, 1, v4
	v_cndmask_b32_e32 v2, v3, v2, vcc
	v_lshlrev_b32_e32 v2, 2, v2
	ds_write_b32 v2, v5
	v_sub_u32_e32 v2, v19, v11
	v_sub_u32_e32 v3, v26, v2
	v_and_b32_e32 v4, 1, v27
	;; [unrolled: 8-line block ×3, first 2 shown]
	v_add_u32_e32 v3, 9, v3
	v_cmp_eq_u32_e32 vcc, 1, v4
	v_cndmask_b32_e32 v2, v3, v2, vcc
	v_lshlrev_b32_e32 v2, 2, v2
	ds_write_b32 v2, v17
	s_waitcnt lgkmcnt(0)
	s_barrier
	ds_read2st64_b32 v[16:17], v1 offset1:4
	ds_read2st64_b32 v[8:9], v1 offset0:8 offset1:12
	ds_read2st64_b32 v[6:7], v1 offset0:16 offset1:20
	;; [unrolled: 1-line block ×4, first 2 shown]
	s_waitcnt vmcnt(0)
	v_add_co_u32_e32 v1, vcc, v14, v11
	v_addc_co_u32_e32 v11, vcc, 0, v15, vcc
	v_mov_b32_e32 v13, s27
	v_add_co_u32_e32 v12, vcc, s26, v12
	v_addc_co_u32_e32 v13, vcc, 0, v13, vcc
	v_mov_b32_e32 v14, s31
	v_sub_co_u32_e32 v12, vcc, s30, v12
	v_subb_co_u32_e32 v13, vcc, v14, v13, vcc
	v_add_co_u32_e32 v12, vcc, v12, v10
	v_addc_co_u32_e32 v13, vcc, 0, v13, vcc
	s_and_b64 vcc, exec, s[2:3]
	v_add_co_u32_e64 v14, s[2:3], v12, v1
	v_or_b32_e32 v26, 0x100, v0
	v_or_b32_e32 v25, 0x200, v0
	;; [unrolled: 1-line block ×9, first 2 shown]
	v_addc_co_u32_e64 v15, s[2:3], v13, v11, s[2:3]
	s_cbranch_vccnz .LBB3672_118
; %bb.74:
	v_cmp_ge_u32_e32 vcc, v0, v10
                                        ; implicit-def: $vgpr12_vgpr13
	s_and_saveexec_b64 s[2:3], vcc
	s_xor_b64 s[2:3], exec, s[2:3]
; %bb.75:
	v_not_b32_e32 v12, v0
	v_ashrrev_i32_e32 v13, 31, v12
	v_add_co_u32_e32 v12, vcc, v14, v12
	v_addc_co_u32_e32 v13, vcc, v15, v13, vcc
; %bb.76:
	s_andn2_saveexec_b64 s[2:3], s[2:3]
; %bb.77:
	v_add_co_u32_e32 v12, vcc, v1, v0
	v_addc_co_u32_e32 v13, vcc, 0, v11, vcc
; %bb.78:
	s_or_b64 exec, exec, s[2:3]
	v_lshlrev_b64 v[12:13], 2, v[12:13]
	v_mov_b32_e32 v27, s29
	v_add_co_u32_e32 v12, vcc, s28, v12
	v_addc_co_u32_e32 v13, vcc, v27, v13, vcc
	v_cmp_ge_u32_e32 vcc, v26, v10
	s_waitcnt lgkmcnt(4)
	global_store_dword v[12:13], v16, off
                                        ; implicit-def: $vgpr12_vgpr13
	s_and_saveexec_b64 s[2:3], vcc
	s_xor_b64 s[2:3], exec, s[2:3]
; %bb.79:
	v_xor_b32_e32 v12, 0xfffffeff, v0
	v_ashrrev_i32_e32 v13, 31, v12
	v_add_co_u32_e32 v12, vcc, v14, v12
	v_addc_co_u32_e32 v13, vcc, v15, v13, vcc
; %bb.80:
	s_andn2_saveexec_b64 s[2:3], s[2:3]
; %bb.81:
	v_add_co_u32_e32 v12, vcc, v1, v26
	v_addc_co_u32_e32 v13, vcc, 0, v11, vcc
; %bb.82:
	s_or_b64 exec, exec, s[2:3]
	v_lshlrev_b64 v[12:13], 2, v[12:13]
	v_mov_b32_e32 v27, s29
	v_add_co_u32_e32 v12, vcc, s28, v12
	v_addc_co_u32_e32 v13, vcc, v27, v13, vcc
	v_cmp_ge_u32_e32 vcc, v25, v10
	global_store_dword v[12:13], v17, off
                                        ; implicit-def: $vgpr12_vgpr13
	s_and_saveexec_b64 s[2:3], vcc
	s_xor_b64 s[2:3], exec, s[2:3]
; %bb.83:
	v_xor_b32_e32 v12, 0xfffffdff, v0
	v_ashrrev_i32_e32 v13, 31, v12
	v_add_co_u32_e32 v12, vcc, v14, v12
	v_addc_co_u32_e32 v13, vcc, v15, v13, vcc
; %bb.84:
	s_andn2_saveexec_b64 s[2:3], s[2:3]
; %bb.85:
	v_add_co_u32_e32 v12, vcc, v1, v25
	v_addc_co_u32_e32 v13, vcc, 0, v11, vcc
; %bb.86:
	s_or_b64 exec, exec, s[2:3]
	v_lshlrev_b64 v[12:13], 2, v[12:13]
	v_mov_b32_e32 v27, s29
	v_add_co_u32_e32 v12, vcc, s28, v12
	v_addc_co_u32_e32 v13, vcc, v27, v13, vcc
	v_cmp_ge_u32_e32 vcc, v24, v10
	s_waitcnt lgkmcnt(3)
	global_store_dword v[12:13], v8, off
                                        ; implicit-def: $vgpr12_vgpr13
	s_and_saveexec_b64 s[2:3], vcc
	s_xor_b64 s[2:3], exec, s[2:3]
; %bb.87:
	v_xor_b32_e32 v12, 0xfffffcff, v0
	v_ashrrev_i32_e32 v13, 31, v12
	v_add_co_u32_e32 v12, vcc, v14, v12
	v_addc_co_u32_e32 v13, vcc, v15, v13, vcc
; %bb.88:
	s_andn2_saveexec_b64 s[2:3], s[2:3]
; %bb.89:
	v_add_co_u32_e32 v12, vcc, v1, v24
	v_addc_co_u32_e32 v13, vcc, 0, v11, vcc
; %bb.90:
	s_or_b64 exec, exec, s[2:3]
	v_lshlrev_b64 v[12:13], 2, v[12:13]
	v_mov_b32_e32 v27, s29
	v_add_co_u32_e32 v12, vcc, s28, v12
	v_addc_co_u32_e32 v13, vcc, v27, v13, vcc
	v_cmp_ge_u32_e32 vcc, v23, v10
	global_store_dword v[12:13], v9, off
                                        ; implicit-def: $vgpr12_vgpr13
	s_and_saveexec_b64 s[2:3], vcc
	s_xor_b64 s[2:3], exec, s[2:3]
; %bb.91:
	v_xor_b32_e32 v12, 0xfffffbff, v0
	;; [unrolled: 43-line block ×4, first 2 shown]
	v_ashrrev_i32_e32 v13, 31, v12
	v_add_co_u32_e32 v12, vcc, v14, v12
	v_addc_co_u32_e32 v13, vcc, v15, v13, vcc
; %bb.108:
	s_andn2_saveexec_b64 s[2:3], s[2:3]
; %bb.109:
	v_add_co_u32_e32 v12, vcc, v1, v19
	v_addc_co_u32_e32 v13, vcc, 0, v11, vcc
; %bb.110:
	s_or_b64 exec, exec, s[2:3]
	v_lshlrev_b64 v[12:13], 2, v[12:13]
	v_mov_b32_e32 v27, s29
	v_add_co_u32_e32 v12, vcc, s28, v12
	v_addc_co_u32_e32 v13, vcc, v27, v13, vcc
	v_cmp_ge_u32_e32 vcc, v18, v10
	s_waitcnt lgkmcnt(0)
	global_store_dword v[12:13], v2, off
                                        ; implicit-def: $vgpr12_vgpr13
	s_and_saveexec_b64 s[2:3], vcc
	s_xor_b64 s[2:3], exec, s[2:3]
; %bb.111:
	v_xor_b32_e32 v12, 0xfffff6ff, v0
	v_ashrrev_i32_e32 v13, 31, v12
	v_add_co_u32_e32 v12, vcc, v14, v12
	v_addc_co_u32_e32 v13, vcc, v15, v13, vcc
; %bb.112:
	s_andn2_saveexec_b64 s[2:3], s[2:3]
; %bb.113:
	v_add_co_u32_e32 v12, vcc, v1, v18
	v_addc_co_u32_e32 v13, vcc, 0, v11, vcc
; %bb.114:
	s_or_b64 exec, exec, s[2:3]
	s_mov_b64 s[2:3], -1
.LBB3672_115:
	s_and_saveexec_b64 s[4:5], s[2:3]
	s_cbranch_execz .LBB3672_146
.LBB3672_116:
	s_waitcnt lgkmcnt(1)
	v_lshlrev_b64 v[4:5], 2, v[12:13]
	v_mov_b32_e32 v0, s29
	v_add_co_u32_e32 v4, vcc, s28, v4
	v_addc_co_u32_e32 v5, vcc, v0, v5, vcc
	s_waitcnt lgkmcnt(0)
	global_store_dword v[4:5], v3, off
	s_or_b64 exec, exec, s[4:5]
	s_and_b64 s[0:1], s[0:1], s[22:23]
	s_and_saveexec_b64 s[2:3], s[0:1]
	s_cbranch_execnz .LBB3672_147
.LBB3672_117:
	s_endpgm
.LBB3672_118:
	s_mov_b64 s[2:3], 0
                                        ; implicit-def: $vgpr12_vgpr13
	s_cbranch_execz .LBB3672_115
; %bb.119:
	v_cmp_gt_u32_e32 vcc, s33, v0
	s_and_saveexec_b64 s[4:5], vcc
	s_cbranch_execz .LBB3672_148
; %bb.120:
	v_cmp_ge_u32_e32 vcc, v0, v10
                                        ; implicit-def: $vgpr12_vgpr13
	s_and_saveexec_b64 s[6:7], vcc
	s_xor_b64 s[6:7], exec, s[6:7]
; %bb.121:
	v_not_b32_e32 v12, v0
	v_ashrrev_i32_e32 v13, 31, v12
	v_add_co_u32_e32 v12, vcc, v14, v12
	v_addc_co_u32_e32 v13, vcc, v15, v13, vcc
; %bb.122:
	s_andn2_saveexec_b64 s[6:7], s[6:7]
; %bb.123:
	v_add_co_u32_e32 v12, vcc, v1, v0
	v_addc_co_u32_e32 v13, vcc, 0, v11, vcc
; %bb.124:
	s_or_b64 exec, exec, s[6:7]
	v_lshlrev_b64 v[12:13], 2, v[12:13]
	v_mov_b32_e32 v27, s29
	v_add_co_u32_e32 v12, vcc, s28, v12
	v_addc_co_u32_e32 v13, vcc, v27, v13, vcc
	s_waitcnt lgkmcnt(4)
	global_store_dword v[12:13], v16, off
	s_or_b64 exec, exec, s[4:5]
	v_cmp_gt_u32_e32 vcc, s33, v26
	s_and_saveexec_b64 s[4:5], vcc
	s_cbranch_execnz .LBB3672_149
.LBB3672_125:
	s_or_b64 exec, exec, s[4:5]
	v_cmp_gt_u32_e32 vcc, s33, v25
	s_and_saveexec_b64 s[4:5], vcc
	s_cbranch_execz .LBB3672_154
.LBB3672_126:
	v_cmp_ge_u32_e32 vcc, v25, v10
                                        ; implicit-def: $vgpr12_vgpr13
	s_and_saveexec_b64 s[6:7], vcc
	s_xor_b64 s[6:7], exec, s[6:7]
; %bb.127:
	v_xor_b32_e32 v12, 0xfffffdff, v0
	v_ashrrev_i32_e32 v13, 31, v12
	v_add_co_u32_e32 v12, vcc, v14, v12
	v_addc_co_u32_e32 v13, vcc, v15, v13, vcc
                                        ; implicit-def: $vgpr25
; %bb.128:
	s_andn2_saveexec_b64 s[6:7], s[6:7]
; %bb.129:
	v_add_co_u32_e32 v12, vcc, v1, v25
	v_addc_co_u32_e32 v13, vcc, 0, v11, vcc
; %bb.130:
	s_or_b64 exec, exec, s[6:7]
	v_lshlrev_b64 v[12:13], 2, v[12:13]
	s_waitcnt lgkmcnt(4)
	v_mov_b32_e32 v16, s29
	v_add_co_u32_e32 v12, vcc, s28, v12
	v_addc_co_u32_e32 v13, vcc, v16, v13, vcc
	s_waitcnt lgkmcnt(3)
	global_store_dword v[12:13], v8, off
	s_or_b64 exec, exec, s[4:5]
	v_cmp_gt_u32_e32 vcc, s33, v24
	s_and_saveexec_b64 s[4:5], vcc
	s_cbranch_execnz .LBB3672_155
.LBB3672_131:
	s_or_b64 exec, exec, s[4:5]
	v_cmp_gt_u32_e32 vcc, s33, v23
	s_and_saveexec_b64 s[4:5], vcc
	s_cbranch_execz .LBB3672_160
.LBB3672_132:
	v_cmp_ge_u32_e32 vcc, v23, v10
                                        ; implicit-def: $vgpr8_vgpr9
	s_and_saveexec_b64 s[6:7], vcc
	s_xor_b64 s[6:7], exec, s[6:7]
	s_cbranch_execz .LBB3672_134
; %bb.133:
	s_waitcnt lgkmcnt(3)
	v_xor_b32_e32 v8, 0xfffffbff, v0
	v_ashrrev_i32_e32 v9, 31, v8
	v_add_co_u32_e32 v8, vcc, v14, v8
	v_addc_co_u32_e32 v9, vcc, v15, v9, vcc
                                        ; implicit-def: $vgpr23
.LBB3672_134:
	s_andn2_saveexec_b64 s[6:7], s[6:7]
	s_cbranch_execz .LBB3672_136
; %bb.135:
	s_waitcnt lgkmcnt(3)
	v_add_co_u32_e32 v8, vcc, v1, v23
	v_addc_co_u32_e32 v9, vcc, 0, v11, vcc
.LBB3672_136:
	s_or_b64 exec, exec, s[6:7]
	s_waitcnt lgkmcnt(3)
	v_lshlrev_b64 v[8:9], 2, v[8:9]
	v_mov_b32_e32 v12, s29
	v_add_co_u32_e32 v8, vcc, s28, v8
	v_addc_co_u32_e32 v9, vcc, v12, v9, vcc
	s_waitcnt lgkmcnt(2)
	global_store_dword v[8:9], v6, off
	s_or_b64 exec, exec, s[4:5]
	v_cmp_gt_u32_e32 vcc, s33, v22
	s_and_saveexec_b64 s[4:5], vcc
	s_cbranch_execnz .LBB3672_161
.LBB3672_137:
	s_or_b64 exec, exec, s[4:5]
	v_cmp_gt_u32_e32 vcc, s33, v21
	s_and_saveexec_b64 s[4:5], vcc
	s_cbranch_execz .LBB3672_166
.LBB3672_138:
	v_cmp_ge_u32_e32 vcc, v21, v10
                                        ; implicit-def: $vgpr6_vgpr7
	s_and_saveexec_b64 s[6:7], vcc
	s_xor_b64 s[6:7], exec, s[6:7]
	s_cbranch_execz .LBB3672_140
; %bb.139:
	s_waitcnt lgkmcnt(2)
	v_xor_b32_e32 v6, 0xfffff9ff, v0
	v_ashrrev_i32_e32 v7, 31, v6
	v_add_co_u32_e32 v6, vcc, v14, v6
	v_addc_co_u32_e32 v7, vcc, v15, v7, vcc
                                        ; implicit-def: $vgpr21
.LBB3672_140:
	s_andn2_saveexec_b64 s[6:7], s[6:7]
	s_cbranch_execz .LBB3672_142
; %bb.141:
	s_waitcnt lgkmcnt(2)
	v_add_co_u32_e32 v6, vcc, v1, v21
	v_addc_co_u32_e32 v7, vcc, 0, v11, vcc
.LBB3672_142:
	s_or_b64 exec, exec, s[6:7]
	s_waitcnt lgkmcnt(2)
	v_lshlrev_b64 v[6:7], 2, v[6:7]
	v_mov_b32_e32 v8, s29
	v_add_co_u32_e32 v6, vcc, s28, v6
	v_addc_co_u32_e32 v7, vcc, v8, v7, vcc
	s_waitcnt lgkmcnt(1)
	global_store_dword v[6:7], v4, off
	s_or_b64 exec, exec, s[4:5]
	v_cmp_gt_u32_e32 vcc, s33, v20
	s_and_saveexec_b64 s[4:5], vcc
	s_cbranch_execnz .LBB3672_167
.LBB3672_143:
	s_or_b64 exec, exec, s[4:5]
	v_cmp_gt_u32_e32 vcc, s33, v19
	s_and_saveexec_b64 s[4:5], vcc
	s_cbranch_execnz .LBB3672_172
.LBB3672_144:
	s_or_b64 exec, exec, s[4:5]
	v_cmp_gt_u32_e32 vcc, s33, v18
                                        ; implicit-def: $vgpr12_vgpr13
	s_and_saveexec_b64 s[4:5], vcc
	s_cbranch_execnz .LBB3672_177
.LBB3672_145:
	s_or_b64 exec, exec, s[4:5]
	s_and_saveexec_b64 s[4:5], s[2:3]
	s_cbranch_execnz .LBB3672_116
.LBB3672_146:
	s_or_b64 exec, exec, s[4:5]
	s_and_b64 s[0:1], s[0:1], s[22:23]
	s_and_saveexec_b64 s[2:3], s[0:1]
	s_cbranch_execz .LBB3672_117
.LBB3672_147:
	v_add_co_u32_e32 v0, vcc, v1, v10
	s_waitcnt lgkmcnt(0)
	v_mov_b32_e32 v2, 0
	v_addc_co_u32_e32 v1, vcc, 0, v11, vcc
	global_store_dwordx2 v2, v[0:1], s[20:21]
	s_endpgm
.LBB3672_148:
	s_or_b64 exec, exec, s[4:5]
	v_cmp_gt_u32_e32 vcc, s33, v26
	s_and_saveexec_b64 s[4:5], vcc
	s_cbranch_execz .LBB3672_125
.LBB3672_149:
	v_cmp_ge_u32_e32 vcc, v26, v10
                                        ; implicit-def: $vgpr12_vgpr13
	s_and_saveexec_b64 s[6:7], vcc
	s_xor_b64 s[6:7], exec, s[6:7]
; %bb.150:
	v_xor_b32_e32 v12, 0xfffffeff, v0
	v_ashrrev_i32_e32 v13, 31, v12
	v_add_co_u32_e32 v12, vcc, v14, v12
	v_addc_co_u32_e32 v13, vcc, v15, v13, vcc
                                        ; implicit-def: $vgpr26
; %bb.151:
	s_andn2_saveexec_b64 s[6:7], s[6:7]
; %bb.152:
	v_add_co_u32_e32 v12, vcc, v1, v26
	v_addc_co_u32_e32 v13, vcc, 0, v11, vcc
; %bb.153:
	s_or_b64 exec, exec, s[6:7]
	v_lshlrev_b64 v[12:13], 2, v[12:13]
	s_waitcnt lgkmcnt(4)
	v_mov_b32_e32 v16, s29
	v_add_co_u32_e32 v12, vcc, s28, v12
	v_addc_co_u32_e32 v13, vcc, v16, v13, vcc
	global_store_dword v[12:13], v17, off
	s_or_b64 exec, exec, s[4:5]
	v_cmp_gt_u32_e32 vcc, s33, v25
	s_and_saveexec_b64 s[4:5], vcc
	s_cbranch_execnz .LBB3672_126
.LBB3672_154:
	s_or_b64 exec, exec, s[4:5]
	v_cmp_gt_u32_e32 vcc, s33, v24
	s_and_saveexec_b64 s[4:5], vcc
	s_cbranch_execz .LBB3672_131
.LBB3672_155:
	v_cmp_ge_u32_e32 vcc, v24, v10
                                        ; implicit-def: $vgpr12_vgpr13
	s_and_saveexec_b64 s[6:7], vcc
	s_xor_b64 s[6:7], exec, s[6:7]
	s_cbranch_execz .LBB3672_157
; %bb.156:
	s_waitcnt lgkmcnt(3)
	v_xor_b32_e32 v8, 0xfffffcff, v0
	v_ashrrev_i32_e32 v13, 31, v8
	v_add_co_u32_e32 v12, vcc, v14, v8
	v_addc_co_u32_e32 v13, vcc, v15, v13, vcc
                                        ; implicit-def: $vgpr24
.LBB3672_157:
	s_andn2_saveexec_b64 s[6:7], s[6:7]
; %bb.158:
	v_add_co_u32_e32 v12, vcc, v1, v24
	v_addc_co_u32_e32 v13, vcc, 0, v11, vcc
; %bb.159:
	s_or_b64 exec, exec, s[6:7]
	v_lshlrev_b64 v[12:13], 2, v[12:13]
	s_waitcnt lgkmcnt(3)
	v_mov_b32_e32 v8, s29
	v_add_co_u32_e32 v12, vcc, s28, v12
	v_addc_co_u32_e32 v13, vcc, v8, v13, vcc
	global_store_dword v[12:13], v9, off
	s_or_b64 exec, exec, s[4:5]
	v_cmp_gt_u32_e32 vcc, s33, v23
	s_and_saveexec_b64 s[4:5], vcc
	s_cbranch_execnz .LBB3672_132
.LBB3672_160:
	s_or_b64 exec, exec, s[4:5]
	v_cmp_gt_u32_e32 vcc, s33, v22
	s_and_saveexec_b64 s[4:5], vcc
	s_cbranch_execz .LBB3672_137
.LBB3672_161:
	v_cmp_ge_u32_e32 vcc, v22, v10
                                        ; implicit-def: $vgpr8_vgpr9
	s_and_saveexec_b64 s[6:7], vcc
	s_xor_b64 s[6:7], exec, s[6:7]
	s_cbranch_execz .LBB3672_163
; %bb.162:
	s_waitcnt lgkmcnt(2)
	v_xor_b32_e32 v6, 0xfffffaff, v0
	v_ashrrev_i32_e32 v9, 31, v6
	v_add_co_u32_e32 v8, vcc, v14, v6
	v_addc_co_u32_e32 v9, vcc, v15, v9, vcc
                                        ; implicit-def: $vgpr22
.LBB3672_163:
	s_andn2_saveexec_b64 s[6:7], s[6:7]
	s_cbranch_execz .LBB3672_165
; %bb.164:
	s_waitcnt lgkmcnt(3)
	v_add_co_u32_e32 v8, vcc, v1, v22
	v_addc_co_u32_e32 v9, vcc, 0, v11, vcc
.LBB3672_165:
	s_or_b64 exec, exec, s[6:7]
	s_waitcnt lgkmcnt(3)
	v_lshlrev_b64 v[8:9], 2, v[8:9]
	s_waitcnt lgkmcnt(2)
	v_mov_b32_e32 v6, s29
	v_add_co_u32_e32 v8, vcc, s28, v8
	v_addc_co_u32_e32 v9, vcc, v6, v9, vcc
	global_store_dword v[8:9], v7, off
	s_or_b64 exec, exec, s[4:5]
	v_cmp_gt_u32_e32 vcc, s33, v21
	s_and_saveexec_b64 s[4:5], vcc
	s_cbranch_execnz .LBB3672_138
.LBB3672_166:
	s_or_b64 exec, exec, s[4:5]
	v_cmp_gt_u32_e32 vcc, s33, v20
	s_and_saveexec_b64 s[4:5], vcc
	s_cbranch_execz .LBB3672_143
.LBB3672_167:
	v_cmp_ge_u32_e32 vcc, v20, v10
                                        ; implicit-def: $vgpr6_vgpr7
	s_and_saveexec_b64 s[6:7], vcc
	s_xor_b64 s[6:7], exec, s[6:7]
	s_cbranch_execz .LBB3672_169
; %bb.168:
	s_waitcnt lgkmcnt(1)
	v_xor_b32_e32 v4, 0xfffff8ff, v0
	v_ashrrev_i32_e32 v7, 31, v4
	v_add_co_u32_e32 v6, vcc, v14, v4
	v_addc_co_u32_e32 v7, vcc, v15, v7, vcc
                                        ; implicit-def: $vgpr20
.LBB3672_169:
	s_andn2_saveexec_b64 s[6:7], s[6:7]
	s_cbranch_execz .LBB3672_171
; %bb.170:
	s_waitcnt lgkmcnt(2)
	v_add_co_u32_e32 v6, vcc, v1, v20
	v_addc_co_u32_e32 v7, vcc, 0, v11, vcc
.LBB3672_171:
	s_or_b64 exec, exec, s[6:7]
	s_waitcnt lgkmcnt(2)
	v_lshlrev_b64 v[6:7], 2, v[6:7]
	s_waitcnt lgkmcnt(1)
	v_mov_b32_e32 v4, s29
	v_add_co_u32_e32 v6, vcc, s28, v6
	v_addc_co_u32_e32 v7, vcc, v4, v7, vcc
	global_store_dword v[6:7], v5, off
	s_or_b64 exec, exec, s[4:5]
	v_cmp_gt_u32_e32 vcc, s33, v19
	s_and_saveexec_b64 s[4:5], vcc
	s_cbranch_execz .LBB3672_144
.LBB3672_172:
	v_cmp_ge_u32_e32 vcc, v19, v10
                                        ; implicit-def: $vgpr4_vgpr5
	s_and_saveexec_b64 s[6:7], vcc
	s_xor_b64 s[6:7], exec, s[6:7]
	s_cbranch_execz .LBB3672_174
; %bb.173:
	s_waitcnt lgkmcnt(1)
	v_xor_b32_e32 v4, 0xfffff7ff, v0
	v_ashrrev_i32_e32 v5, 31, v4
	v_add_co_u32_e32 v4, vcc, v14, v4
	v_addc_co_u32_e32 v5, vcc, v15, v5, vcc
                                        ; implicit-def: $vgpr19
.LBB3672_174:
	s_andn2_saveexec_b64 s[6:7], s[6:7]
	s_cbranch_execz .LBB3672_176
; %bb.175:
	s_waitcnt lgkmcnt(1)
	v_add_co_u32_e32 v4, vcc, v1, v19
	v_addc_co_u32_e32 v5, vcc, 0, v11, vcc
.LBB3672_176:
	s_or_b64 exec, exec, s[6:7]
	s_waitcnt lgkmcnt(1)
	v_lshlrev_b64 v[4:5], 2, v[4:5]
	v_mov_b32_e32 v6, s29
	v_add_co_u32_e32 v4, vcc, s28, v4
	v_addc_co_u32_e32 v5, vcc, v6, v5, vcc
	s_waitcnt lgkmcnt(0)
	global_store_dword v[4:5], v2, off
	s_or_b64 exec, exec, s[4:5]
	v_cmp_gt_u32_e32 vcc, s33, v18
                                        ; implicit-def: $vgpr12_vgpr13
	s_and_saveexec_b64 s[4:5], vcc
	s_cbranch_execz .LBB3672_145
.LBB3672_177:
	v_cmp_ge_u32_e32 vcc, v18, v10
                                        ; implicit-def: $vgpr12_vgpr13
	s_and_saveexec_b64 s[6:7], vcc
	s_xor_b64 s[6:7], exec, s[6:7]
	s_cbranch_execz .LBB3672_179
; %bb.178:
	v_xor_b32_e32 v0, 0xfffff6ff, v0
	s_waitcnt lgkmcnt(0)
	v_ashrrev_i32_e32 v2, 31, v0
	v_add_co_u32_e32 v12, vcc, v14, v0
	v_addc_co_u32_e32 v13, vcc, v15, v2, vcc
                                        ; implicit-def: $vgpr18
.LBB3672_179:
	s_andn2_saveexec_b64 s[6:7], s[6:7]
; %bb.180:
	v_add_co_u32_e32 v12, vcc, v1, v18
	v_addc_co_u32_e32 v13, vcc, 0, v11, vcc
; %bb.181:
	s_or_b64 exec, exec, s[6:7]
	s_or_b64 s[2:3], s[2:3], exec
	s_or_b64 exec, exec, s[4:5]
	s_and_saveexec_b64 s[4:5], s[2:3]
	s_cbranch_execnz .LBB3672_116
	s_branch .LBB3672_146
	.section	.rodata,"a",@progbits
	.p2align	6, 0x0
	.amdhsa_kernel _ZN7rocprim17ROCPRIM_400000_NS6detail17trampoline_kernelINS0_14default_configENS1_25partition_config_selectorILNS1_17partition_subalgoE3EiNS0_10empty_typeEbEEZZNS1_14partition_implILS5_3ELb0ES3_jN6thrust23THRUST_200600_302600_NS6detail15normal_iteratorINSA_7pointerIiNSA_11hip_rocprim5par_tENSA_11use_defaultESG_EEEEPS6_SJ_NS0_5tupleIJPiSJ_EEENSK_IJSJ_SJ_EEES6_PlJ7is_evenIiEEEE10hipError_tPvRmT3_T4_T5_T6_T7_T9_mT8_P12ihipStream_tbDpT10_ENKUlT_T0_E_clISt17integral_constantIbLb1EES1A_EEDaS15_S16_EUlS15_E_NS1_11comp_targetILNS1_3genE4ELNS1_11target_archE910ELNS1_3gpuE8ELNS1_3repE0EEENS1_30default_config_static_selectorELNS0_4arch9wavefront6targetE1EEEvT1_
		.amdhsa_group_segment_fixed_size 10248
		.amdhsa_private_segment_fixed_size 0
		.amdhsa_kernarg_size 136
		.amdhsa_user_sgpr_count 6
		.amdhsa_user_sgpr_private_segment_buffer 1
		.amdhsa_user_sgpr_dispatch_ptr 0
		.amdhsa_user_sgpr_queue_ptr 0
		.amdhsa_user_sgpr_kernarg_segment_ptr 1
		.amdhsa_user_sgpr_dispatch_id 0
		.amdhsa_user_sgpr_flat_scratch_init 0
		.amdhsa_user_sgpr_kernarg_preload_length 0
		.amdhsa_user_sgpr_kernarg_preload_offset 0
		.amdhsa_user_sgpr_private_segment_size 0
		.amdhsa_uses_dynamic_stack 0
		.amdhsa_system_sgpr_private_segment_wavefront_offset 0
		.amdhsa_system_sgpr_workgroup_id_x 1
		.amdhsa_system_sgpr_workgroup_id_y 0
		.amdhsa_system_sgpr_workgroup_id_z 0
		.amdhsa_system_sgpr_workgroup_info 0
		.amdhsa_system_vgpr_workitem_id 0
		.amdhsa_next_free_vgpr 57
		.amdhsa_next_free_sgpr 44
		.amdhsa_accum_offset 60
		.amdhsa_reserve_vcc 1
		.amdhsa_reserve_flat_scratch 0
		.amdhsa_float_round_mode_32 0
		.amdhsa_float_round_mode_16_64 0
		.amdhsa_float_denorm_mode_32 3
		.amdhsa_float_denorm_mode_16_64 3
		.amdhsa_dx10_clamp 1
		.amdhsa_ieee_mode 1
		.amdhsa_fp16_overflow 0
		.amdhsa_tg_split 0
		.amdhsa_exception_fp_ieee_invalid_op 0
		.amdhsa_exception_fp_denorm_src 0
		.amdhsa_exception_fp_ieee_div_zero 0
		.amdhsa_exception_fp_ieee_overflow 0
		.amdhsa_exception_fp_ieee_underflow 0
		.amdhsa_exception_fp_ieee_inexact 0
		.amdhsa_exception_int_div_zero 0
	.end_amdhsa_kernel
	.section	.text._ZN7rocprim17ROCPRIM_400000_NS6detail17trampoline_kernelINS0_14default_configENS1_25partition_config_selectorILNS1_17partition_subalgoE3EiNS0_10empty_typeEbEEZZNS1_14partition_implILS5_3ELb0ES3_jN6thrust23THRUST_200600_302600_NS6detail15normal_iteratorINSA_7pointerIiNSA_11hip_rocprim5par_tENSA_11use_defaultESG_EEEEPS6_SJ_NS0_5tupleIJPiSJ_EEENSK_IJSJ_SJ_EEES6_PlJ7is_evenIiEEEE10hipError_tPvRmT3_T4_T5_T6_T7_T9_mT8_P12ihipStream_tbDpT10_ENKUlT_T0_E_clISt17integral_constantIbLb1EES1A_EEDaS15_S16_EUlS15_E_NS1_11comp_targetILNS1_3genE4ELNS1_11target_archE910ELNS1_3gpuE8ELNS1_3repE0EEENS1_30default_config_static_selectorELNS0_4arch9wavefront6targetE1EEEvT1_,"axG",@progbits,_ZN7rocprim17ROCPRIM_400000_NS6detail17trampoline_kernelINS0_14default_configENS1_25partition_config_selectorILNS1_17partition_subalgoE3EiNS0_10empty_typeEbEEZZNS1_14partition_implILS5_3ELb0ES3_jN6thrust23THRUST_200600_302600_NS6detail15normal_iteratorINSA_7pointerIiNSA_11hip_rocprim5par_tENSA_11use_defaultESG_EEEEPS6_SJ_NS0_5tupleIJPiSJ_EEENSK_IJSJ_SJ_EEES6_PlJ7is_evenIiEEEE10hipError_tPvRmT3_T4_T5_T6_T7_T9_mT8_P12ihipStream_tbDpT10_ENKUlT_T0_E_clISt17integral_constantIbLb1EES1A_EEDaS15_S16_EUlS15_E_NS1_11comp_targetILNS1_3genE4ELNS1_11target_archE910ELNS1_3gpuE8ELNS1_3repE0EEENS1_30default_config_static_selectorELNS0_4arch9wavefront6targetE1EEEvT1_,comdat
.Lfunc_end3672:
	.size	_ZN7rocprim17ROCPRIM_400000_NS6detail17trampoline_kernelINS0_14default_configENS1_25partition_config_selectorILNS1_17partition_subalgoE3EiNS0_10empty_typeEbEEZZNS1_14partition_implILS5_3ELb0ES3_jN6thrust23THRUST_200600_302600_NS6detail15normal_iteratorINSA_7pointerIiNSA_11hip_rocprim5par_tENSA_11use_defaultESG_EEEEPS6_SJ_NS0_5tupleIJPiSJ_EEENSK_IJSJ_SJ_EEES6_PlJ7is_evenIiEEEE10hipError_tPvRmT3_T4_T5_T6_T7_T9_mT8_P12ihipStream_tbDpT10_ENKUlT_T0_E_clISt17integral_constantIbLb1EES1A_EEDaS15_S16_EUlS15_E_NS1_11comp_targetILNS1_3genE4ELNS1_11target_archE910ELNS1_3gpuE8ELNS1_3repE0EEENS1_30default_config_static_selectorELNS0_4arch9wavefront6targetE1EEEvT1_, .Lfunc_end3672-_ZN7rocprim17ROCPRIM_400000_NS6detail17trampoline_kernelINS0_14default_configENS1_25partition_config_selectorILNS1_17partition_subalgoE3EiNS0_10empty_typeEbEEZZNS1_14partition_implILS5_3ELb0ES3_jN6thrust23THRUST_200600_302600_NS6detail15normal_iteratorINSA_7pointerIiNSA_11hip_rocprim5par_tENSA_11use_defaultESG_EEEEPS6_SJ_NS0_5tupleIJPiSJ_EEENSK_IJSJ_SJ_EEES6_PlJ7is_evenIiEEEE10hipError_tPvRmT3_T4_T5_T6_T7_T9_mT8_P12ihipStream_tbDpT10_ENKUlT_T0_E_clISt17integral_constantIbLb1EES1A_EEDaS15_S16_EUlS15_E_NS1_11comp_targetILNS1_3genE4ELNS1_11target_archE910ELNS1_3gpuE8ELNS1_3repE0EEENS1_30default_config_static_selectorELNS0_4arch9wavefront6targetE1EEEvT1_
                                        ; -- End function
	.section	.AMDGPU.csdata,"",@progbits
; Kernel info:
; codeLenInByte = 6252
; NumSgprs: 48
; NumVgprs: 57
; NumAgprs: 0
; TotalNumVgprs: 57
; ScratchSize: 0
; MemoryBound: 0
; FloatMode: 240
; IeeeMode: 1
; LDSByteSize: 10248 bytes/workgroup (compile time only)
; SGPRBlocks: 5
; VGPRBlocks: 7
; NumSGPRsForWavesPerEU: 48
; NumVGPRsForWavesPerEU: 57
; AccumOffset: 60
; Occupancy: 6
; WaveLimiterHint : 1
; COMPUTE_PGM_RSRC2:SCRATCH_EN: 0
; COMPUTE_PGM_RSRC2:USER_SGPR: 6
; COMPUTE_PGM_RSRC2:TRAP_HANDLER: 0
; COMPUTE_PGM_RSRC2:TGID_X_EN: 1
; COMPUTE_PGM_RSRC2:TGID_Y_EN: 0
; COMPUTE_PGM_RSRC2:TGID_Z_EN: 0
; COMPUTE_PGM_RSRC2:TIDIG_COMP_CNT: 0
; COMPUTE_PGM_RSRC3_GFX90A:ACCUM_OFFSET: 14
; COMPUTE_PGM_RSRC3_GFX90A:TG_SPLIT: 0
	.section	.text._ZN7rocprim17ROCPRIM_400000_NS6detail17trampoline_kernelINS0_14default_configENS1_25partition_config_selectorILNS1_17partition_subalgoE3EiNS0_10empty_typeEbEEZZNS1_14partition_implILS5_3ELb0ES3_jN6thrust23THRUST_200600_302600_NS6detail15normal_iteratorINSA_7pointerIiNSA_11hip_rocprim5par_tENSA_11use_defaultESG_EEEEPS6_SJ_NS0_5tupleIJPiSJ_EEENSK_IJSJ_SJ_EEES6_PlJ7is_evenIiEEEE10hipError_tPvRmT3_T4_T5_T6_T7_T9_mT8_P12ihipStream_tbDpT10_ENKUlT_T0_E_clISt17integral_constantIbLb1EES1A_EEDaS15_S16_EUlS15_E_NS1_11comp_targetILNS1_3genE3ELNS1_11target_archE908ELNS1_3gpuE7ELNS1_3repE0EEENS1_30default_config_static_selectorELNS0_4arch9wavefront6targetE1EEEvT1_,"axG",@progbits,_ZN7rocprim17ROCPRIM_400000_NS6detail17trampoline_kernelINS0_14default_configENS1_25partition_config_selectorILNS1_17partition_subalgoE3EiNS0_10empty_typeEbEEZZNS1_14partition_implILS5_3ELb0ES3_jN6thrust23THRUST_200600_302600_NS6detail15normal_iteratorINSA_7pointerIiNSA_11hip_rocprim5par_tENSA_11use_defaultESG_EEEEPS6_SJ_NS0_5tupleIJPiSJ_EEENSK_IJSJ_SJ_EEES6_PlJ7is_evenIiEEEE10hipError_tPvRmT3_T4_T5_T6_T7_T9_mT8_P12ihipStream_tbDpT10_ENKUlT_T0_E_clISt17integral_constantIbLb1EES1A_EEDaS15_S16_EUlS15_E_NS1_11comp_targetILNS1_3genE3ELNS1_11target_archE908ELNS1_3gpuE7ELNS1_3repE0EEENS1_30default_config_static_selectorELNS0_4arch9wavefront6targetE1EEEvT1_,comdat
	.protected	_ZN7rocprim17ROCPRIM_400000_NS6detail17trampoline_kernelINS0_14default_configENS1_25partition_config_selectorILNS1_17partition_subalgoE3EiNS0_10empty_typeEbEEZZNS1_14partition_implILS5_3ELb0ES3_jN6thrust23THRUST_200600_302600_NS6detail15normal_iteratorINSA_7pointerIiNSA_11hip_rocprim5par_tENSA_11use_defaultESG_EEEEPS6_SJ_NS0_5tupleIJPiSJ_EEENSK_IJSJ_SJ_EEES6_PlJ7is_evenIiEEEE10hipError_tPvRmT3_T4_T5_T6_T7_T9_mT8_P12ihipStream_tbDpT10_ENKUlT_T0_E_clISt17integral_constantIbLb1EES1A_EEDaS15_S16_EUlS15_E_NS1_11comp_targetILNS1_3genE3ELNS1_11target_archE908ELNS1_3gpuE7ELNS1_3repE0EEENS1_30default_config_static_selectorELNS0_4arch9wavefront6targetE1EEEvT1_ ; -- Begin function _ZN7rocprim17ROCPRIM_400000_NS6detail17trampoline_kernelINS0_14default_configENS1_25partition_config_selectorILNS1_17partition_subalgoE3EiNS0_10empty_typeEbEEZZNS1_14partition_implILS5_3ELb0ES3_jN6thrust23THRUST_200600_302600_NS6detail15normal_iteratorINSA_7pointerIiNSA_11hip_rocprim5par_tENSA_11use_defaultESG_EEEEPS6_SJ_NS0_5tupleIJPiSJ_EEENSK_IJSJ_SJ_EEES6_PlJ7is_evenIiEEEE10hipError_tPvRmT3_T4_T5_T6_T7_T9_mT8_P12ihipStream_tbDpT10_ENKUlT_T0_E_clISt17integral_constantIbLb1EES1A_EEDaS15_S16_EUlS15_E_NS1_11comp_targetILNS1_3genE3ELNS1_11target_archE908ELNS1_3gpuE7ELNS1_3repE0EEENS1_30default_config_static_selectorELNS0_4arch9wavefront6targetE1EEEvT1_
	.globl	_ZN7rocprim17ROCPRIM_400000_NS6detail17trampoline_kernelINS0_14default_configENS1_25partition_config_selectorILNS1_17partition_subalgoE3EiNS0_10empty_typeEbEEZZNS1_14partition_implILS5_3ELb0ES3_jN6thrust23THRUST_200600_302600_NS6detail15normal_iteratorINSA_7pointerIiNSA_11hip_rocprim5par_tENSA_11use_defaultESG_EEEEPS6_SJ_NS0_5tupleIJPiSJ_EEENSK_IJSJ_SJ_EEES6_PlJ7is_evenIiEEEE10hipError_tPvRmT3_T4_T5_T6_T7_T9_mT8_P12ihipStream_tbDpT10_ENKUlT_T0_E_clISt17integral_constantIbLb1EES1A_EEDaS15_S16_EUlS15_E_NS1_11comp_targetILNS1_3genE3ELNS1_11target_archE908ELNS1_3gpuE7ELNS1_3repE0EEENS1_30default_config_static_selectorELNS0_4arch9wavefront6targetE1EEEvT1_
	.p2align	8
	.type	_ZN7rocprim17ROCPRIM_400000_NS6detail17trampoline_kernelINS0_14default_configENS1_25partition_config_selectorILNS1_17partition_subalgoE3EiNS0_10empty_typeEbEEZZNS1_14partition_implILS5_3ELb0ES3_jN6thrust23THRUST_200600_302600_NS6detail15normal_iteratorINSA_7pointerIiNSA_11hip_rocprim5par_tENSA_11use_defaultESG_EEEEPS6_SJ_NS0_5tupleIJPiSJ_EEENSK_IJSJ_SJ_EEES6_PlJ7is_evenIiEEEE10hipError_tPvRmT3_T4_T5_T6_T7_T9_mT8_P12ihipStream_tbDpT10_ENKUlT_T0_E_clISt17integral_constantIbLb1EES1A_EEDaS15_S16_EUlS15_E_NS1_11comp_targetILNS1_3genE3ELNS1_11target_archE908ELNS1_3gpuE7ELNS1_3repE0EEENS1_30default_config_static_selectorELNS0_4arch9wavefront6targetE1EEEvT1_,@function
_ZN7rocprim17ROCPRIM_400000_NS6detail17trampoline_kernelINS0_14default_configENS1_25partition_config_selectorILNS1_17partition_subalgoE3EiNS0_10empty_typeEbEEZZNS1_14partition_implILS5_3ELb0ES3_jN6thrust23THRUST_200600_302600_NS6detail15normal_iteratorINSA_7pointerIiNSA_11hip_rocprim5par_tENSA_11use_defaultESG_EEEEPS6_SJ_NS0_5tupleIJPiSJ_EEENSK_IJSJ_SJ_EEES6_PlJ7is_evenIiEEEE10hipError_tPvRmT3_T4_T5_T6_T7_T9_mT8_P12ihipStream_tbDpT10_ENKUlT_T0_E_clISt17integral_constantIbLb1EES1A_EEDaS15_S16_EUlS15_E_NS1_11comp_targetILNS1_3genE3ELNS1_11target_archE908ELNS1_3gpuE7ELNS1_3repE0EEENS1_30default_config_static_selectorELNS0_4arch9wavefront6targetE1EEEvT1_: ; @_ZN7rocprim17ROCPRIM_400000_NS6detail17trampoline_kernelINS0_14default_configENS1_25partition_config_selectorILNS1_17partition_subalgoE3EiNS0_10empty_typeEbEEZZNS1_14partition_implILS5_3ELb0ES3_jN6thrust23THRUST_200600_302600_NS6detail15normal_iteratorINSA_7pointerIiNSA_11hip_rocprim5par_tENSA_11use_defaultESG_EEEEPS6_SJ_NS0_5tupleIJPiSJ_EEENSK_IJSJ_SJ_EEES6_PlJ7is_evenIiEEEE10hipError_tPvRmT3_T4_T5_T6_T7_T9_mT8_P12ihipStream_tbDpT10_ENKUlT_T0_E_clISt17integral_constantIbLb1EES1A_EEDaS15_S16_EUlS15_E_NS1_11comp_targetILNS1_3genE3ELNS1_11target_archE908ELNS1_3gpuE7ELNS1_3repE0EEENS1_30default_config_static_selectorELNS0_4arch9wavefront6targetE1EEEvT1_
; %bb.0:
	.section	.rodata,"a",@progbits
	.p2align	6, 0x0
	.amdhsa_kernel _ZN7rocprim17ROCPRIM_400000_NS6detail17trampoline_kernelINS0_14default_configENS1_25partition_config_selectorILNS1_17partition_subalgoE3EiNS0_10empty_typeEbEEZZNS1_14partition_implILS5_3ELb0ES3_jN6thrust23THRUST_200600_302600_NS6detail15normal_iteratorINSA_7pointerIiNSA_11hip_rocprim5par_tENSA_11use_defaultESG_EEEEPS6_SJ_NS0_5tupleIJPiSJ_EEENSK_IJSJ_SJ_EEES6_PlJ7is_evenIiEEEE10hipError_tPvRmT3_T4_T5_T6_T7_T9_mT8_P12ihipStream_tbDpT10_ENKUlT_T0_E_clISt17integral_constantIbLb1EES1A_EEDaS15_S16_EUlS15_E_NS1_11comp_targetILNS1_3genE3ELNS1_11target_archE908ELNS1_3gpuE7ELNS1_3repE0EEENS1_30default_config_static_selectorELNS0_4arch9wavefront6targetE1EEEvT1_
		.amdhsa_group_segment_fixed_size 0
		.amdhsa_private_segment_fixed_size 0
		.amdhsa_kernarg_size 136
		.amdhsa_user_sgpr_count 6
		.amdhsa_user_sgpr_private_segment_buffer 1
		.amdhsa_user_sgpr_dispatch_ptr 0
		.amdhsa_user_sgpr_queue_ptr 0
		.amdhsa_user_sgpr_kernarg_segment_ptr 1
		.amdhsa_user_sgpr_dispatch_id 0
		.amdhsa_user_sgpr_flat_scratch_init 0
		.amdhsa_user_sgpr_kernarg_preload_length 0
		.amdhsa_user_sgpr_kernarg_preload_offset 0
		.amdhsa_user_sgpr_private_segment_size 0
		.amdhsa_uses_dynamic_stack 0
		.amdhsa_system_sgpr_private_segment_wavefront_offset 0
		.amdhsa_system_sgpr_workgroup_id_x 1
		.amdhsa_system_sgpr_workgroup_id_y 0
		.amdhsa_system_sgpr_workgroup_id_z 0
		.amdhsa_system_sgpr_workgroup_info 0
		.amdhsa_system_vgpr_workitem_id 0
		.amdhsa_next_free_vgpr 1
		.amdhsa_next_free_sgpr 0
		.amdhsa_accum_offset 4
		.amdhsa_reserve_vcc 0
		.amdhsa_reserve_flat_scratch 0
		.amdhsa_float_round_mode_32 0
		.amdhsa_float_round_mode_16_64 0
		.amdhsa_float_denorm_mode_32 3
		.amdhsa_float_denorm_mode_16_64 3
		.amdhsa_dx10_clamp 1
		.amdhsa_ieee_mode 1
		.amdhsa_fp16_overflow 0
		.amdhsa_tg_split 0
		.amdhsa_exception_fp_ieee_invalid_op 0
		.amdhsa_exception_fp_denorm_src 0
		.amdhsa_exception_fp_ieee_div_zero 0
		.amdhsa_exception_fp_ieee_overflow 0
		.amdhsa_exception_fp_ieee_underflow 0
		.amdhsa_exception_fp_ieee_inexact 0
		.amdhsa_exception_int_div_zero 0
	.end_amdhsa_kernel
	.section	.text._ZN7rocprim17ROCPRIM_400000_NS6detail17trampoline_kernelINS0_14default_configENS1_25partition_config_selectorILNS1_17partition_subalgoE3EiNS0_10empty_typeEbEEZZNS1_14partition_implILS5_3ELb0ES3_jN6thrust23THRUST_200600_302600_NS6detail15normal_iteratorINSA_7pointerIiNSA_11hip_rocprim5par_tENSA_11use_defaultESG_EEEEPS6_SJ_NS0_5tupleIJPiSJ_EEENSK_IJSJ_SJ_EEES6_PlJ7is_evenIiEEEE10hipError_tPvRmT3_T4_T5_T6_T7_T9_mT8_P12ihipStream_tbDpT10_ENKUlT_T0_E_clISt17integral_constantIbLb1EES1A_EEDaS15_S16_EUlS15_E_NS1_11comp_targetILNS1_3genE3ELNS1_11target_archE908ELNS1_3gpuE7ELNS1_3repE0EEENS1_30default_config_static_selectorELNS0_4arch9wavefront6targetE1EEEvT1_,"axG",@progbits,_ZN7rocprim17ROCPRIM_400000_NS6detail17trampoline_kernelINS0_14default_configENS1_25partition_config_selectorILNS1_17partition_subalgoE3EiNS0_10empty_typeEbEEZZNS1_14partition_implILS5_3ELb0ES3_jN6thrust23THRUST_200600_302600_NS6detail15normal_iteratorINSA_7pointerIiNSA_11hip_rocprim5par_tENSA_11use_defaultESG_EEEEPS6_SJ_NS0_5tupleIJPiSJ_EEENSK_IJSJ_SJ_EEES6_PlJ7is_evenIiEEEE10hipError_tPvRmT3_T4_T5_T6_T7_T9_mT8_P12ihipStream_tbDpT10_ENKUlT_T0_E_clISt17integral_constantIbLb1EES1A_EEDaS15_S16_EUlS15_E_NS1_11comp_targetILNS1_3genE3ELNS1_11target_archE908ELNS1_3gpuE7ELNS1_3repE0EEENS1_30default_config_static_selectorELNS0_4arch9wavefront6targetE1EEEvT1_,comdat
.Lfunc_end3673:
	.size	_ZN7rocprim17ROCPRIM_400000_NS6detail17trampoline_kernelINS0_14default_configENS1_25partition_config_selectorILNS1_17partition_subalgoE3EiNS0_10empty_typeEbEEZZNS1_14partition_implILS5_3ELb0ES3_jN6thrust23THRUST_200600_302600_NS6detail15normal_iteratorINSA_7pointerIiNSA_11hip_rocprim5par_tENSA_11use_defaultESG_EEEEPS6_SJ_NS0_5tupleIJPiSJ_EEENSK_IJSJ_SJ_EEES6_PlJ7is_evenIiEEEE10hipError_tPvRmT3_T4_T5_T6_T7_T9_mT8_P12ihipStream_tbDpT10_ENKUlT_T0_E_clISt17integral_constantIbLb1EES1A_EEDaS15_S16_EUlS15_E_NS1_11comp_targetILNS1_3genE3ELNS1_11target_archE908ELNS1_3gpuE7ELNS1_3repE0EEENS1_30default_config_static_selectorELNS0_4arch9wavefront6targetE1EEEvT1_, .Lfunc_end3673-_ZN7rocprim17ROCPRIM_400000_NS6detail17trampoline_kernelINS0_14default_configENS1_25partition_config_selectorILNS1_17partition_subalgoE3EiNS0_10empty_typeEbEEZZNS1_14partition_implILS5_3ELb0ES3_jN6thrust23THRUST_200600_302600_NS6detail15normal_iteratorINSA_7pointerIiNSA_11hip_rocprim5par_tENSA_11use_defaultESG_EEEEPS6_SJ_NS0_5tupleIJPiSJ_EEENSK_IJSJ_SJ_EEES6_PlJ7is_evenIiEEEE10hipError_tPvRmT3_T4_T5_T6_T7_T9_mT8_P12ihipStream_tbDpT10_ENKUlT_T0_E_clISt17integral_constantIbLb1EES1A_EEDaS15_S16_EUlS15_E_NS1_11comp_targetILNS1_3genE3ELNS1_11target_archE908ELNS1_3gpuE7ELNS1_3repE0EEENS1_30default_config_static_selectorELNS0_4arch9wavefront6targetE1EEEvT1_
                                        ; -- End function
	.section	.AMDGPU.csdata,"",@progbits
; Kernel info:
; codeLenInByte = 0
; NumSgprs: 4
; NumVgprs: 0
; NumAgprs: 0
; TotalNumVgprs: 0
; ScratchSize: 0
; MemoryBound: 0
; FloatMode: 240
; IeeeMode: 1
; LDSByteSize: 0 bytes/workgroup (compile time only)
; SGPRBlocks: 0
; VGPRBlocks: 0
; NumSGPRsForWavesPerEU: 4
; NumVGPRsForWavesPerEU: 1
; AccumOffset: 4
; Occupancy: 8
; WaveLimiterHint : 0
; COMPUTE_PGM_RSRC2:SCRATCH_EN: 0
; COMPUTE_PGM_RSRC2:USER_SGPR: 6
; COMPUTE_PGM_RSRC2:TRAP_HANDLER: 0
; COMPUTE_PGM_RSRC2:TGID_X_EN: 1
; COMPUTE_PGM_RSRC2:TGID_Y_EN: 0
; COMPUTE_PGM_RSRC2:TGID_Z_EN: 0
; COMPUTE_PGM_RSRC2:TIDIG_COMP_CNT: 0
; COMPUTE_PGM_RSRC3_GFX90A:ACCUM_OFFSET: 0
; COMPUTE_PGM_RSRC3_GFX90A:TG_SPLIT: 0
	.section	.text._ZN7rocprim17ROCPRIM_400000_NS6detail17trampoline_kernelINS0_14default_configENS1_25partition_config_selectorILNS1_17partition_subalgoE3EiNS0_10empty_typeEbEEZZNS1_14partition_implILS5_3ELb0ES3_jN6thrust23THRUST_200600_302600_NS6detail15normal_iteratorINSA_7pointerIiNSA_11hip_rocprim5par_tENSA_11use_defaultESG_EEEEPS6_SJ_NS0_5tupleIJPiSJ_EEENSK_IJSJ_SJ_EEES6_PlJ7is_evenIiEEEE10hipError_tPvRmT3_T4_T5_T6_T7_T9_mT8_P12ihipStream_tbDpT10_ENKUlT_T0_E_clISt17integral_constantIbLb1EES1A_EEDaS15_S16_EUlS15_E_NS1_11comp_targetILNS1_3genE2ELNS1_11target_archE906ELNS1_3gpuE6ELNS1_3repE0EEENS1_30default_config_static_selectorELNS0_4arch9wavefront6targetE1EEEvT1_,"axG",@progbits,_ZN7rocprim17ROCPRIM_400000_NS6detail17trampoline_kernelINS0_14default_configENS1_25partition_config_selectorILNS1_17partition_subalgoE3EiNS0_10empty_typeEbEEZZNS1_14partition_implILS5_3ELb0ES3_jN6thrust23THRUST_200600_302600_NS6detail15normal_iteratorINSA_7pointerIiNSA_11hip_rocprim5par_tENSA_11use_defaultESG_EEEEPS6_SJ_NS0_5tupleIJPiSJ_EEENSK_IJSJ_SJ_EEES6_PlJ7is_evenIiEEEE10hipError_tPvRmT3_T4_T5_T6_T7_T9_mT8_P12ihipStream_tbDpT10_ENKUlT_T0_E_clISt17integral_constantIbLb1EES1A_EEDaS15_S16_EUlS15_E_NS1_11comp_targetILNS1_3genE2ELNS1_11target_archE906ELNS1_3gpuE6ELNS1_3repE0EEENS1_30default_config_static_selectorELNS0_4arch9wavefront6targetE1EEEvT1_,comdat
	.protected	_ZN7rocprim17ROCPRIM_400000_NS6detail17trampoline_kernelINS0_14default_configENS1_25partition_config_selectorILNS1_17partition_subalgoE3EiNS0_10empty_typeEbEEZZNS1_14partition_implILS5_3ELb0ES3_jN6thrust23THRUST_200600_302600_NS6detail15normal_iteratorINSA_7pointerIiNSA_11hip_rocprim5par_tENSA_11use_defaultESG_EEEEPS6_SJ_NS0_5tupleIJPiSJ_EEENSK_IJSJ_SJ_EEES6_PlJ7is_evenIiEEEE10hipError_tPvRmT3_T4_T5_T6_T7_T9_mT8_P12ihipStream_tbDpT10_ENKUlT_T0_E_clISt17integral_constantIbLb1EES1A_EEDaS15_S16_EUlS15_E_NS1_11comp_targetILNS1_3genE2ELNS1_11target_archE906ELNS1_3gpuE6ELNS1_3repE0EEENS1_30default_config_static_selectorELNS0_4arch9wavefront6targetE1EEEvT1_ ; -- Begin function _ZN7rocprim17ROCPRIM_400000_NS6detail17trampoline_kernelINS0_14default_configENS1_25partition_config_selectorILNS1_17partition_subalgoE3EiNS0_10empty_typeEbEEZZNS1_14partition_implILS5_3ELb0ES3_jN6thrust23THRUST_200600_302600_NS6detail15normal_iteratorINSA_7pointerIiNSA_11hip_rocprim5par_tENSA_11use_defaultESG_EEEEPS6_SJ_NS0_5tupleIJPiSJ_EEENSK_IJSJ_SJ_EEES6_PlJ7is_evenIiEEEE10hipError_tPvRmT3_T4_T5_T6_T7_T9_mT8_P12ihipStream_tbDpT10_ENKUlT_T0_E_clISt17integral_constantIbLb1EES1A_EEDaS15_S16_EUlS15_E_NS1_11comp_targetILNS1_3genE2ELNS1_11target_archE906ELNS1_3gpuE6ELNS1_3repE0EEENS1_30default_config_static_selectorELNS0_4arch9wavefront6targetE1EEEvT1_
	.globl	_ZN7rocprim17ROCPRIM_400000_NS6detail17trampoline_kernelINS0_14default_configENS1_25partition_config_selectorILNS1_17partition_subalgoE3EiNS0_10empty_typeEbEEZZNS1_14partition_implILS5_3ELb0ES3_jN6thrust23THRUST_200600_302600_NS6detail15normal_iteratorINSA_7pointerIiNSA_11hip_rocprim5par_tENSA_11use_defaultESG_EEEEPS6_SJ_NS0_5tupleIJPiSJ_EEENSK_IJSJ_SJ_EEES6_PlJ7is_evenIiEEEE10hipError_tPvRmT3_T4_T5_T6_T7_T9_mT8_P12ihipStream_tbDpT10_ENKUlT_T0_E_clISt17integral_constantIbLb1EES1A_EEDaS15_S16_EUlS15_E_NS1_11comp_targetILNS1_3genE2ELNS1_11target_archE906ELNS1_3gpuE6ELNS1_3repE0EEENS1_30default_config_static_selectorELNS0_4arch9wavefront6targetE1EEEvT1_
	.p2align	8
	.type	_ZN7rocprim17ROCPRIM_400000_NS6detail17trampoline_kernelINS0_14default_configENS1_25partition_config_selectorILNS1_17partition_subalgoE3EiNS0_10empty_typeEbEEZZNS1_14partition_implILS5_3ELb0ES3_jN6thrust23THRUST_200600_302600_NS6detail15normal_iteratorINSA_7pointerIiNSA_11hip_rocprim5par_tENSA_11use_defaultESG_EEEEPS6_SJ_NS0_5tupleIJPiSJ_EEENSK_IJSJ_SJ_EEES6_PlJ7is_evenIiEEEE10hipError_tPvRmT3_T4_T5_T6_T7_T9_mT8_P12ihipStream_tbDpT10_ENKUlT_T0_E_clISt17integral_constantIbLb1EES1A_EEDaS15_S16_EUlS15_E_NS1_11comp_targetILNS1_3genE2ELNS1_11target_archE906ELNS1_3gpuE6ELNS1_3repE0EEENS1_30default_config_static_selectorELNS0_4arch9wavefront6targetE1EEEvT1_,@function
_ZN7rocprim17ROCPRIM_400000_NS6detail17trampoline_kernelINS0_14default_configENS1_25partition_config_selectorILNS1_17partition_subalgoE3EiNS0_10empty_typeEbEEZZNS1_14partition_implILS5_3ELb0ES3_jN6thrust23THRUST_200600_302600_NS6detail15normal_iteratorINSA_7pointerIiNSA_11hip_rocprim5par_tENSA_11use_defaultESG_EEEEPS6_SJ_NS0_5tupleIJPiSJ_EEENSK_IJSJ_SJ_EEES6_PlJ7is_evenIiEEEE10hipError_tPvRmT3_T4_T5_T6_T7_T9_mT8_P12ihipStream_tbDpT10_ENKUlT_T0_E_clISt17integral_constantIbLb1EES1A_EEDaS15_S16_EUlS15_E_NS1_11comp_targetILNS1_3genE2ELNS1_11target_archE906ELNS1_3gpuE6ELNS1_3repE0EEENS1_30default_config_static_selectorELNS0_4arch9wavefront6targetE1EEEvT1_: ; @_ZN7rocprim17ROCPRIM_400000_NS6detail17trampoline_kernelINS0_14default_configENS1_25partition_config_selectorILNS1_17partition_subalgoE3EiNS0_10empty_typeEbEEZZNS1_14partition_implILS5_3ELb0ES3_jN6thrust23THRUST_200600_302600_NS6detail15normal_iteratorINSA_7pointerIiNSA_11hip_rocprim5par_tENSA_11use_defaultESG_EEEEPS6_SJ_NS0_5tupleIJPiSJ_EEENSK_IJSJ_SJ_EEES6_PlJ7is_evenIiEEEE10hipError_tPvRmT3_T4_T5_T6_T7_T9_mT8_P12ihipStream_tbDpT10_ENKUlT_T0_E_clISt17integral_constantIbLb1EES1A_EEDaS15_S16_EUlS15_E_NS1_11comp_targetILNS1_3genE2ELNS1_11target_archE906ELNS1_3gpuE6ELNS1_3repE0EEENS1_30default_config_static_selectorELNS0_4arch9wavefront6targetE1EEEvT1_
; %bb.0:
	.section	.rodata,"a",@progbits
	.p2align	6, 0x0
	.amdhsa_kernel _ZN7rocprim17ROCPRIM_400000_NS6detail17trampoline_kernelINS0_14default_configENS1_25partition_config_selectorILNS1_17partition_subalgoE3EiNS0_10empty_typeEbEEZZNS1_14partition_implILS5_3ELb0ES3_jN6thrust23THRUST_200600_302600_NS6detail15normal_iteratorINSA_7pointerIiNSA_11hip_rocprim5par_tENSA_11use_defaultESG_EEEEPS6_SJ_NS0_5tupleIJPiSJ_EEENSK_IJSJ_SJ_EEES6_PlJ7is_evenIiEEEE10hipError_tPvRmT3_T4_T5_T6_T7_T9_mT8_P12ihipStream_tbDpT10_ENKUlT_T0_E_clISt17integral_constantIbLb1EES1A_EEDaS15_S16_EUlS15_E_NS1_11comp_targetILNS1_3genE2ELNS1_11target_archE906ELNS1_3gpuE6ELNS1_3repE0EEENS1_30default_config_static_selectorELNS0_4arch9wavefront6targetE1EEEvT1_
		.amdhsa_group_segment_fixed_size 0
		.amdhsa_private_segment_fixed_size 0
		.amdhsa_kernarg_size 136
		.amdhsa_user_sgpr_count 6
		.amdhsa_user_sgpr_private_segment_buffer 1
		.amdhsa_user_sgpr_dispatch_ptr 0
		.amdhsa_user_sgpr_queue_ptr 0
		.amdhsa_user_sgpr_kernarg_segment_ptr 1
		.amdhsa_user_sgpr_dispatch_id 0
		.amdhsa_user_sgpr_flat_scratch_init 0
		.amdhsa_user_sgpr_kernarg_preload_length 0
		.amdhsa_user_sgpr_kernarg_preload_offset 0
		.amdhsa_user_sgpr_private_segment_size 0
		.amdhsa_uses_dynamic_stack 0
		.amdhsa_system_sgpr_private_segment_wavefront_offset 0
		.amdhsa_system_sgpr_workgroup_id_x 1
		.amdhsa_system_sgpr_workgroup_id_y 0
		.amdhsa_system_sgpr_workgroup_id_z 0
		.amdhsa_system_sgpr_workgroup_info 0
		.amdhsa_system_vgpr_workitem_id 0
		.amdhsa_next_free_vgpr 1
		.amdhsa_next_free_sgpr 0
		.amdhsa_accum_offset 4
		.amdhsa_reserve_vcc 0
		.amdhsa_reserve_flat_scratch 0
		.amdhsa_float_round_mode_32 0
		.amdhsa_float_round_mode_16_64 0
		.amdhsa_float_denorm_mode_32 3
		.amdhsa_float_denorm_mode_16_64 3
		.amdhsa_dx10_clamp 1
		.amdhsa_ieee_mode 1
		.amdhsa_fp16_overflow 0
		.amdhsa_tg_split 0
		.amdhsa_exception_fp_ieee_invalid_op 0
		.amdhsa_exception_fp_denorm_src 0
		.amdhsa_exception_fp_ieee_div_zero 0
		.amdhsa_exception_fp_ieee_overflow 0
		.amdhsa_exception_fp_ieee_underflow 0
		.amdhsa_exception_fp_ieee_inexact 0
		.amdhsa_exception_int_div_zero 0
	.end_amdhsa_kernel
	.section	.text._ZN7rocprim17ROCPRIM_400000_NS6detail17trampoline_kernelINS0_14default_configENS1_25partition_config_selectorILNS1_17partition_subalgoE3EiNS0_10empty_typeEbEEZZNS1_14partition_implILS5_3ELb0ES3_jN6thrust23THRUST_200600_302600_NS6detail15normal_iteratorINSA_7pointerIiNSA_11hip_rocprim5par_tENSA_11use_defaultESG_EEEEPS6_SJ_NS0_5tupleIJPiSJ_EEENSK_IJSJ_SJ_EEES6_PlJ7is_evenIiEEEE10hipError_tPvRmT3_T4_T5_T6_T7_T9_mT8_P12ihipStream_tbDpT10_ENKUlT_T0_E_clISt17integral_constantIbLb1EES1A_EEDaS15_S16_EUlS15_E_NS1_11comp_targetILNS1_3genE2ELNS1_11target_archE906ELNS1_3gpuE6ELNS1_3repE0EEENS1_30default_config_static_selectorELNS0_4arch9wavefront6targetE1EEEvT1_,"axG",@progbits,_ZN7rocprim17ROCPRIM_400000_NS6detail17trampoline_kernelINS0_14default_configENS1_25partition_config_selectorILNS1_17partition_subalgoE3EiNS0_10empty_typeEbEEZZNS1_14partition_implILS5_3ELb0ES3_jN6thrust23THRUST_200600_302600_NS6detail15normal_iteratorINSA_7pointerIiNSA_11hip_rocprim5par_tENSA_11use_defaultESG_EEEEPS6_SJ_NS0_5tupleIJPiSJ_EEENSK_IJSJ_SJ_EEES6_PlJ7is_evenIiEEEE10hipError_tPvRmT3_T4_T5_T6_T7_T9_mT8_P12ihipStream_tbDpT10_ENKUlT_T0_E_clISt17integral_constantIbLb1EES1A_EEDaS15_S16_EUlS15_E_NS1_11comp_targetILNS1_3genE2ELNS1_11target_archE906ELNS1_3gpuE6ELNS1_3repE0EEENS1_30default_config_static_selectorELNS0_4arch9wavefront6targetE1EEEvT1_,comdat
.Lfunc_end3674:
	.size	_ZN7rocprim17ROCPRIM_400000_NS6detail17trampoline_kernelINS0_14default_configENS1_25partition_config_selectorILNS1_17partition_subalgoE3EiNS0_10empty_typeEbEEZZNS1_14partition_implILS5_3ELb0ES3_jN6thrust23THRUST_200600_302600_NS6detail15normal_iteratorINSA_7pointerIiNSA_11hip_rocprim5par_tENSA_11use_defaultESG_EEEEPS6_SJ_NS0_5tupleIJPiSJ_EEENSK_IJSJ_SJ_EEES6_PlJ7is_evenIiEEEE10hipError_tPvRmT3_T4_T5_T6_T7_T9_mT8_P12ihipStream_tbDpT10_ENKUlT_T0_E_clISt17integral_constantIbLb1EES1A_EEDaS15_S16_EUlS15_E_NS1_11comp_targetILNS1_3genE2ELNS1_11target_archE906ELNS1_3gpuE6ELNS1_3repE0EEENS1_30default_config_static_selectorELNS0_4arch9wavefront6targetE1EEEvT1_, .Lfunc_end3674-_ZN7rocprim17ROCPRIM_400000_NS6detail17trampoline_kernelINS0_14default_configENS1_25partition_config_selectorILNS1_17partition_subalgoE3EiNS0_10empty_typeEbEEZZNS1_14partition_implILS5_3ELb0ES3_jN6thrust23THRUST_200600_302600_NS6detail15normal_iteratorINSA_7pointerIiNSA_11hip_rocprim5par_tENSA_11use_defaultESG_EEEEPS6_SJ_NS0_5tupleIJPiSJ_EEENSK_IJSJ_SJ_EEES6_PlJ7is_evenIiEEEE10hipError_tPvRmT3_T4_T5_T6_T7_T9_mT8_P12ihipStream_tbDpT10_ENKUlT_T0_E_clISt17integral_constantIbLb1EES1A_EEDaS15_S16_EUlS15_E_NS1_11comp_targetILNS1_3genE2ELNS1_11target_archE906ELNS1_3gpuE6ELNS1_3repE0EEENS1_30default_config_static_selectorELNS0_4arch9wavefront6targetE1EEEvT1_
                                        ; -- End function
	.section	.AMDGPU.csdata,"",@progbits
; Kernel info:
; codeLenInByte = 0
; NumSgprs: 4
; NumVgprs: 0
; NumAgprs: 0
; TotalNumVgprs: 0
; ScratchSize: 0
; MemoryBound: 0
; FloatMode: 240
; IeeeMode: 1
; LDSByteSize: 0 bytes/workgroup (compile time only)
; SGPRBlocks: 0
; VGPRBlocks: 0
; NumSGPRsForWavesPerEU: 4
; NumVGPRsForWavesPerEU: 1
; AccumOffset: 4
; Occupancy: 8
; WaveLimiterHint : 0
; COMPUTE_PGM_RSRC2:SCRATCH_EN: 0
; COMPUTE_PGM_RSRC2:USER_SGPR: 6
; COMPUTE_PGM_RSRC2:TRAP_HANDLER: 0
; COMPUTE_PGM_RSRC2:TGID_X_EN: 1
; COMPUTE_PGM_RSRC2:TGID_Y_EN: 0
; COMPUTE_PGM_RSRC2:TGID_Z_EN: 0
; COMPUTE_PGM_RSRC2:TIDIG_COMP_CNT: 0
; COMPUTE_PGM_RSRC3_GFX90A:ACCUM_OFFSET: 0
; COMPUTE_PGM_RSRC3_GFX90A:TG_SPLIT: 0
	.section	.text._ZN7rocprim17ROCPRIM_400000_NS6detail17trampoline_kernelINS0_14default_configENS1_25partition_config_selectorILNS1_17partition_subalgoE3EiNS0_10empty_typeEbEEZZNS1_14partition_implILS5_3ELb0ES3_jN6thrust23THRUST_200600_302600_NS6detail15normal_iteratorINSA_7pointerIiNSA_11hip_rocprim5par_tENSA_11use_defaultESG_EEEEPS6_SJ_NS0_5tupleIJPiSJ_EEENSK_IJSJ_SJ_EEES6_PlJ7is_evenIiEEEE10hipError_tPvRmT3_T4_T5_T6_T7_T9_mT8_P12ihipStream_tbDpT10_ENKUlT_T0_E_clISt17integral_constantIbLb1EES1A_EEDaS15_S16_EUlS15_E_NS1_11comp_targetILNS1_3genE10ELNS1_11target_archE1200ELNS1_3gpuE4ELNS1_3repE0EEENS1_30default_config_static_selectorELNS0_4arch9wavefront6targetE1EEEvT1_,"axG",@progbits,_ZN7rocprim17ROCPRIM_400000_NS6detail17trampoline_kernelINS0_14default_configENS1_25partition_config_selectorILNS1_17partition_subalgoE3EiNS0_10empty_typeEbEEZZNS1_14partition_implILS5_3ELb0ES3_jN6thrust23THRUST_200600_302600_NS6detail15normal_iteratorINSA_7pointerIiNSA_11hip_rocprim5par_tENSA_11use_defaultESG_EEEEPS6_SJ_NS0_5tupleIJPiSJ_EEENSK_IJSJ_SJ_EEES6_PlJ7is_evenIiEEEE10hipError_tPvRmT3_T4_T5_T6_T7_T9_mT8_P12ihipStream_tbDpT10_ENKUlT_T0_E_clISt17integral_constantIbLb1EES1A_EEDaS15_S16_EUlS15_E_NS1_11comp_targetILNS1_3genE10ELNS1_11target_archE1200ELNS1_3gpuE4ELNS1_3repE0EEENS1_30default_config_static_selectorELNS0_4arch9wavefront6targetE1EEEvT1_,comdat
	.protected	_ZN7rocprim17ROCPRIM_400000_NS6detail17trampoline_kernelINS0_14default_configENS1_25partition_config_selectorILNS1_17partition_subalgoE3EiNS0_10empty_typeEbEEZZNS1_14partition_implILS5_3ELb0ES3_jN6thrust23THRUST_200600_302600_NS6detail15normal_iteratorINSA_7pointerIiNSA_11hip_rocprim5par_tENSA_11use_defaultESG_EEEEPS6_SJ_NS0_5tupleIJPiSJ_EEENSK_IJSJ_SJ_EEES6_PlJ7is_evenIiEEEE10hipError_tPvRmT3_T4_T5_T6_T7_T9_mT8_P12ihipStream_tbDpT10_ENKUlT_T0_E_clISt17integral_constantIbLb1EES1A_EEDaS15_S16_EUlS15_E_NS1_11comp_targetILNS1_3genE10ELNS1_11target_archE1200ELNS1_3gpuE4ELNS1_3repE0EEENS1_30default_config_static_selectorELNS0_4arch9wavefront6targetE1EEEvT1_ ; -- Begin function _ZN7rocprim17ROCPRIM_400000_NS6detail17trampoline_kernelINS0_14default_configENS1_25partition_config_selectorILNS1_17partition_subalgoE3EiNS0_10empty_typeEbEEZZNS1_14partition_implILS5_3ELb0ES3_jN6thrust23THRUST_200600_302600_NS6detail15normal_iteratorINSA_7pointerIiNSA_11hip_rocprim5par_tENSA_11use_defaultESG_EEEEPS6_SJ_NS0_5tupleIJPiSJ_EEENSK_IJSJ_SJ_EEES6_PlJ7is_evenIiEEEE10hipError_tPvRmT3_T4_T5_T6_T7_T9_mT8_P12ihipStream_tbDpT10_ENKUlT_T0_E_clISt17integral_constantIbLb1EES1A_EEDaS15_S16_EUlS15_E_NS1_11comp_targetILNS1_3genE10ELNS1_11target_archE1200ELNS1_3gpuE4ELNS1_3repE0EEENS1_30default_config_static_selectorELNS0_4arch9wavefront6targetE1EEEvT1_
	.globl	_ZN7rocprim17ROCPRIM_400000_NS6detail17trampoline_kernelINS0_14default_configENS1_25partition_config_selectorILNS1_17partition_subalgoE3EiNS0_10empty_typeEbEEZZNS1_14partition_implILS5_3ELb0ES3_jN6thrust23THRUST_200600_302600_NS6detail15normal_iteratorINSA_7pointerIiNSA_11hip_rocprim5par_tENSA_11use_defaultESG_EEEEPS6_SJ_NS0_5tupleIJPiSJ_EEENSK_IJSJ_SJ_EEES6_PlJ7is_evenIiEEEE10hipError_tPvRmT3_T4_T5_T6_T7_T9_mT8_P12ihipStream_tbDpT10_ENKUlT_T0_E_clISt17integral_constantIbLb1EES1A_EEDaS15_S16_EUlS15_E_NS1_11comp_targetILNS1_3genE10ELNS1_11target_archE1200ELNS1_3gpuE4ELNS1_3repE0EEENS1_30default_config_static_selectorELNS0_4arch9wavefront6targetE1EEEvT1_
	.p2align	8
	.type	_ZN7rocprim17ROCPRIM_400000_NS6detail17trampoline_kernelINS0_14default_configENS1_25partition_config_selectorILNS1_17partition_subalgoE3EiNS0_10empty_typeEbEEZZNS1_14partition_implILS5_3ELb0ES3_jN6thrust23THRUST_200600_302600_NS6detail15normal_iteratorINSA_7pointerIiNSA_11hip_rocprim5par_tENSA_11use_defaultESG_EEEEPS6_SJ_NS0_5tupleIJPiSJ_EEENSK_IJSJ_SJ_EEES6_PlJ7is_evenIiEEEE10hipError_tPvRmT3_T4_T5_T6_T7_T9_mT8_P12ihipStream_tbDpT10_ENKUlT_T0_E_clISt17integral_constantIbLb1EES1A_EEDaS15_S16_EUlS15_E_NS1_11comp_targetILNS1_3genE10ELNS1_11target_archE1200ELNS1_3gpuE4ELNS1_3repE0EEENS1_30default_config_static_selectorELNS0_4arch9wavefront6targetE1EEEvT1_,@function
_ZN7rocprim17ROCPRIM_400000_NS6detail17trampoline_kernelINS0_14default_configENS1_25partition_config_selectorILNS1_17partition_subalgoE3EiNS0_10empty_typeEbEEZZNS1_14partition_implILS5_3ELb0ES3_jN6thrust23THRUST_200600_302600_NS6detail15normal_iteratorINSA_7pointerIiNSA_11hip_rocprim5par_tENSA_11use_defaultESG_EEEEPS6_SJ_NS0_5tupleIJPiSJ_EEENSK_IJSJ_SJ_EEES6_PlJ7is_evenIiEEEE10hipError_tPvRmT3_T4_T5_T6_T7_T9_mT8_P12ihipStream_tbDpT10_ENKUlT_T0_E_clISt17integral_constantIbLb1EES1A_EEDaS15_S16_EUlS15_E_NS1_11comp_targetILNS1_3genE10ELNS1_11target_archE1200ELNS1_3gpuE4ELNS1_3repE0EEENS1_30default_config_static_selectorELNS0_4arch9wavefront6targetE1EEEvT1_: ; @_ZN7rocprim17ROCPRIM_400000_NS6detail17trampoline_kernelINS0_14default_configENS1_25partition_config_selectorILNS1_17partition_subalgoE3EiNS0_10empty_typeEbEEZZNS1_14partition_implILS5_3ELb0ES3_jN6thrust23THRUST_200600_302600_NS6detail15normal_iteratorINSA_7pointerIiNSA_11hip_rocprim5par_tENSA_11use_defaultESG_EEEEPS6_SJ_NS0_5tupleIJPiSJ_EEENSK_IJSJ_SJ_EEES6_PlJ7is_evenIiEEEE10hipError_tPvRmT3_T4_T5_T6_T7_T9_mT8_P12ihipStream_tbDpT10_ENKUlT_T0_E_clISt17integral_constantIbLb1EES1A_EEDaS15_S16_EUlS15_E_NS1_11comp_targetILNS1_3genE10ELNS1_11target_archE1200ELNS1_3gpuE4ELNS1_3repE0EEENS1_30default_config_static_selectorELNS0_4arch9wavefront6targetE1EEEvT1_
; %bb.0:
	.section	.rodata,"a",@progbits
	.p2align	6, 0x0
	.amdhsa_kernel _ZN7rocprim17ROCPRIM_400000_NS6detail17trampoline_kernelINS0_14default_configENS1_25partition_config_selectorILNS1_17partition_subalgoE3EiNS0_10empty_typeEbEEZZNS1_14partition_implILS5_3ELb0ES3_jN6thrust23THRUST_200600_302600_NS6detail15normal_iteratorINSA_7pointerIiNSA_11hip_rocprim5par_tENSA_11use_defaultESG_EEEEPS6_SJ_NS0_5tupleIJPiSJ_EEENSK_IJSJ_SJ_EEES6_PlJ7is_evenIiEEEE10hipError_tPvRmT3_T4_T5_T6_T7_T9_mT8_P12ihipStream_tbDpT10_ENKUlT_T0_E_clISt17integral_constantIbLb1EES1A_EEDaS15_S16_EUlS15_E_NS1_11comp_targetILNS1_3genE10ELNS1_11target_archE1200ELNS1_3gpuE4ELNS1_3repE0EEENS1_30default_config_static_selectorELNS0_4arch9wavefront6targetE1EEEvT1_
		.amdhsa_group_segment_fixed_size 0
		.amdhsa_private_segment_fixed_size 0
		.amdhsa_kernarg_size 136
		.amdhsa_user_sgpr_count 6
		.amdhsa_user_sgpr_private_segment_buffer 1
		.amdhsa_user_sgpr_dispatch_ptr 0
		.amdhsa_user_sgpr_queue_ptr 0
		.amdhsa_user_sgpr_kernarg_segment_ptr 1
		.amdhsa_user_sgpr_dispatch_id 0
		.amdhsa_user_sgpr_flat_scratch_init 0
		.amdhsa_user_sgpr_kernarg_preload_length 0
		.amdhsa_user_sgpr_kernarg_preload_offset 0
		.amdhsa_user_sgpr_private_segment_size 0
		.amdhsa_uses_dynamic_stack 0
		.amdhsa_system_sgpr_private_segment_wavefront_offset 0
		.amdhsa_system_sgpr_workgroup_id_x 1
		.amdhsa_system_sgpr_workgroup_id_y 0
		.amdhsa_system_sgpr_workgroup_id_z 0
		.amdhsa_system_sgpr_workgroup_info 0
		.amdhsa_system_vgpr_workitem_id 0
		.amdhsa_next_free_vgpr 1
		.amdhsa_next_free_sgpr 0
		.amdhsa_accum_offset 4
		.amdhsa_reserve_vcc 0
		.amdhsa_reserve_flat_scratch 0
		.amdhsa_float_round_mode_32 0
		.amdhsa_float_round_mode_16_64 0
		.amdhsa_float_denorm_mode_32 3
		.amdhsa_float_denorm_mode_16_64 3
		.amdhsa_dx10_clamp 1
		.amdhsa_ieee_mode 1
		.amdhsa_fp16_overflow 0
		.amdhsa_tg_split 0
		.amdhsa_exception_fp_ieee_invalid_op 0
		.amdhsa_exception_fp_denorm_src 0
		.amdhsa_exception_fp_ieee_div_zero 0
		.amdhsa_exception_fp_ieee_overflow 0
		.amdhsa_exception_fp_ieee_underflow 0
		.amdhsa_exception_fp_ieee_inexact 0
		.amdhsa_exception_int_div_zero 0
	.end_amdhsa_kernel
	.section	.text._ZN7rocprim17ROCPRIM_400000_NS6detail17trampoline_kernelINS0_14default_configENS1_25partition_config_selectorILNS1_17partition_subalgoE3EiNS0_10empty_typeEbEEZZNS1_14partition_implILS5_3ELb0ES3_jN6thrust23THRUST_200600_302600_NS6detail15normal_iteratorINSA_7pointerIiNSA_11hip_rocprim5par_tENSA_11use_defaultESG_EEEEPS6_SJ_NS0_5tupleIJPiSJ_EEENSK_IJSJ_SJ_EEES6_PlJ7is_evenIiEEEE10hipError_tPvRmT3_T4_T5_T6_T7_T9_mT8_P12ihipStream_tbDpT10_ENKUlT_T0_E_clISt17integral_constantIbLb1EES1A_EEDaS15_S16_EUlS15_E_NS1_11comp_targetILNS1_3genE10ELNS1_11target_archE1200ELNS1_3gpuE4ELNS1_3repE0EEENS1_30default_config_static_selectorELNS0_4arch9wavefront6targetE1EEEvT1_,"axG",@progbits,_ZN7rocprim17ROCPRIM_400000_NS6detail17trampoline_kernelINS0_14default_configENS1_25partition_config_selectorILNS1_17partition_subalgoE3EiNS0_10empty_typeEbEEZZNS1_14partition_implILS5_3ELb0ES3_jN6thrust23THRUST_200600_302600_NS6detail15normal_iteratorINSA_7pointerIiNSA_11hip_rocprim5par_tENSA_11use_defaultESG_EEEEPS6_SJ_NS0_5tupleIJPiSJ_EEENSK_IJSJ_SJ_EEES6_PlJ7is_evenIiEEEE10hipError_tPvRmT3_T4_T5_T6_T7_T9_mT8_P12ihipStream_tbDpT10_ENKUlT_T0_E_clISt17integral_constantIbLb1EES1A_EEDaS15_S16_EUlS15_E_NS1_11comp_targetILNS1_3genE10ELNS1_11target_archE1200ELNS1_3gpuE4ELNS1_3repE0EEENS1_30default_config_static_selectorELNS0_4arch9wavefront6targetE1EEEvT1_,comdat
.Lfunc_end3675:
	.size	_ZN7rocprim17ROCPRIM_400000_NS6detail17trampoline_kernelINS0_14default_configENS1_25partition_config_selectorILNS1_17partition_subalgoE3EiNS0_10empty_typeEbEEZZNS1_14partition_implILS5_3ELb0ES3_jN6thrust23THRUST_200600_302600_NS6detail15normal_iteratorINSA_7pointerIiNSA_11hip_rocprim5par_tENSA_11use_defaultESG_EEEEPS6_SJ_NS0_5tupleIJPiSJ_EEENSK_IJSJ_SJ_EEES6_PlJ7is_evenIiEEEE10hipError_tPvRmT3_T4_T5_T6_T7_T9_mT8_P12ihipStream_tbDpT10_ENKUlT_T0_E_clISt17integral_constantIbLb1EES1A_EEDaS15_S16_EUlS15_E_NS1_11comp_targetILNS1_3genE10ELNS1_11target_archE1200ELNS1_3gpuE4ELNS1_3repE0EEENS1_30default_config_static_selectorELNS0_4arch9wavefront6targetE1EEEvT1_, .Lfunc_end3675-_ZN7rocprim17ROCPRIM_400000_NS6detail17trampoline_kernelINS0_14default_configENS1_25partition_config_selectorILNS1_17partition_subalgoE3EiNS0_10empty_typeEbEEZZNS1_14partition_implILS5_3ELb0ES3_jN6thrust23THRUST_200600_302600_NS6detail15normal_iteratorINSA_7pointerIiNSA_11hip_rocprim5par_tENSA_11use_defaultESG_EEEEPS6_SJ_NS0_5tupleIJPiSJ_EEENSK_IJSJ_SJ_EEES6_PlJ7is_evenIiEEEE10hipError_tPvRmT3_T4_T5_T6_T7_T9_mT8_P12ihipStream_tbDpT10_ENKUlT_T0_E_clISt17integral_constantIbLb1EES1A_EEDaS15_S16_EUlS15_E_NS1_11comp_targetILNS1_3genE10ELNS1_11target_archE1200ELNS1_3gpuE4ELNS1_3repE0EEENS1_30default_config_static_selectorELNS0_4arch9wavefront6targetE1EEEvT1_
                                        ; -- End function
	.section	.AMDGPU.csdata,"",@progbits
; Kernel info:
; codeLenInByte = 0
; NumSgprs: 4
; NumVgprs: 0
; NumAgprs: 0
; TotalNumVgprs: 0
; ScratchSize: 0
; MemoryBound: 0
; FloatMode: 240
; IeeeMode: 1
; LDSByteSize: 0 bytes/workgroup (compile time only)
; SGPRBlocks: 0
; VGPRBlocks: 0
; NumSGPRsForWavesPerEU: 4
; NumVGPRsForWavesPerEU: 1
; AccumOffset: 4
; Occupancy: 8
; WaveLimiterHint : 0
; COMPUTE_PGM_RSRC2:SCRATCH_EN: 0
; COMPUTE_PGM_RSRC2:USER_SGPR: 6
; COMPUTE_PGM_RSRC2:TRAP_HANDLER: 0
; COMPUTE_PGM_RSRC2:TGID_X_EN: 1
; COMPUTE_PGM_RSRC2:TGID_Y_EN: 0
; COMPUTE_PGM_RSRC2:TGID_Z_EN: 0
; COMPUTE_PGM_RSRC2:TIDIG_COMP_CNT: 0
; COMPUTE_PGM_RSRC3_GFX90A:ACCUM_OFFSET: 0
; COMPUTE_PGM_RSRC3_GFX90A:TG_SPLIT: 0
	.section	.text._ZN7rocprim17ROCPRIM_400000_NS6detail17trampoline_kernelINS0_14default_configENS1_25partition_config_selectorILNS1_17partition_subalgoE3EiNS0_10empty_typeEbEEZZNS1_14partition_implILS5_3ELb0ES3_jN6thrust23THRUST_200600_302600_NS6detail15normal_iteratorINSA_7pointerIiNSA_11hip_rocprim5par_tENSA_11use_defaultESG_EEEEPS6_SJ_NS0_5tupleIJPiSJ_EEENSK_IJSJ_SJ_EEES6_PlJ7is_evenIiEEEE10hipError_tPvRmT3_T4_T5_T6_T7_T9_mT8_P12ihipStream_tbDpT10_ENKUlT_T0_E_clISt17integral_constantIbLb1EES1A_EEDaS15_S16_EUlS15_E_NS1_11comp_targetILNS1_3genE9ELNS1_11target_archE1100ELNS1_3gpuE3ELNS1_3repE0EEENS1_30default_config_static_selectorELNS0_4arch9wavefront6targetE1EEEvT1_,"axG",@progbits,_ZN7rocprim17ROCPRIM_400000_NS6detail17trampoline_kernelINS0_14default_configENS1_25partition_config_selectorILNS1_17partition_subalgoE3EiNS0_10empty_typeEbEEZZNS1_14partition_implILS5_3ELb0ES3_jN6thrust23THRUST_200600_302600_NS6detail15normal_iteratorINSA_7pointerIiNSA_11hip_rocprim5par_tENSA_11use_defaultESG_EEEEPS6_SJ_NS0_5tupleIJPiSJ_EEENSK_IJSJ_SJ_EEES6_PlJ7is_evenIiEEEE10hipError_tPvRmT3_T4_T5_T6_T7_T9_mT8_P12ihipStream_tbDpT10_ENKUlT_T0_E_clISt17integral_constantIbLb1EES1A_EEDaS15_S16_EUlS15_E_NS1_11comp_targetILNS1_3genE9ELNS1_11target_archE1100ELNS1_3gpuE3ELNS1_3repE0EEENS1_30default_config_static_selectorELNS0_4arch9wavefront6targetE1EEEvT1_,comdat
	.protected	_ZN7rocprim17ROCPRIM_400000_NS6detail17trampoline_kernelINS0_14default_configENS1_25partition_config_selectorILNS1_17partition_subalgoE3EiNS0_10empty_typeEbEEZZNS1_14partition_implILS5_3ELb0ES3_jN6thrust23THRUST_200600_302600_NS6detail15normal_iteratorINSA_7pointerIiNSA_11hip_rocprim5par_tENSA_11use_defaultESG_EEEEPS6_SJ_NS0_5tupleIJPiSJ_EEENSK_IJSJ_SJ_EEES6_PlJ7is_evenIiEEEE10hipError_tPvRmT3_T4_T5_T6_T7_T9_mT8_P12ihipStream_tbDpT10_ENKUlT_T0_E_clISt17integral_constantIbLb1EES1A_EEDaS15_S16_EUlS15_E_NS1_11comp_targetILNS1_3genE9ELNS1_11target_archE1100ELNS1_3gpuE3ELNS1_3repE0EEENS1_30default_config_static_selectorELNS0_4arch9wavefront6targetE1EEEvT1_ ; -- Begin function _ZN7rocprim17ROCPRIM_400000_NS6detail17trampoline_kernelINS0_14default_configENS1_25partition_config_selectorILNS1_17partition_subalgoE3EiNS0_10empty_typeEbEEZZNS1_14partition_implILS5_3ELb0ES3_jN6thrust23THRUST_200600_302600_NS6detail15normal_iteratorINSA_7pointerIiNSA_11hip_rocprim5par_tENSA_11use_defaultESG_EEEEPS6_SJ_NS0_5tupleIJPiSJ_EEENSK_IJSJ_SJ_EEES6_PlJ7is_evenIiEEEE10hipError_tPvRmT3_T4_T5_T6_T7_T9_mT8_P12ihipStream_tbDpT10_ENKUlT_T0_E_clISt17integral_constantIbLb1EES1A_EEDaS15_S16_EUlS15_E_NS1_11comp_targetILNS1_3genE9ELNS1_11target_archE1100ELNS1_3gpuE3ELNS1_3repE0EEENS1_30default_config_static_selectorELNS0_4arch9wavefront6targetE1EEEvT1_
	.globl	_ZN7rocprim17ROCPRIM_400000_NS6detail17trampoline_kernelINS0_14default_configENS1_25partition_config_selectorILNS1_17partition_subalgoE3EiNS0_10empty_typeEbEEZZNS1_14partition_implILS5_3ELb0ES3_jN6thrust23THRUST_200600_302600_NS6detail15normal_iteratorINSA_7pointerIiNSA_11hip_rocprim5par_tENSA_11use_defaultESG_EEEEPS6_SJ_NS0_5tupleIJPiSJ_EEENSK_IJSJ_SJ_EEES6_PlJ7is_evenIiEEEE10hipError_tPvRmT3_T4_T5_T6_T7_T9_mT8_P12ihipStream_tbDpT10_ENKUlT_T0_E_clISt17integral_constantIbLb1EES1A_EEDaS15_S16_EUlS15_E_NS1_11comp_targetILNS1_3genE9ELNS1_11target_archE1100ELNS1_3gpuE3ELNS1_3repE0EEENS1_30default_config_static_selectorELNS0_4arch9wavefront6targetE1EEEvT1_
	.p2align	8
	.type	_ZN7rocprim17ROCPRIM_400000_NS6detail17trampoline_kernelINS0_14default_configENS1_25partition_config_selectorILNS1_17partition_subalgoE3EiNS0_10empty_typeEbEEZZNS1_14partition_implILS5_3ELb0ES3_jN6thrust23THRUST_200600_302600_NS6detail15normal_iteratorINSA_7pointerIiNSA_11hip_rocprim5par_tENSA_11use_defaultESG_EEEEPS6_SJ_NS0_5tupleIJPiSJ_EEENSK_IJSJ_SJ_EEES6_PlJ7is_evenIiEEEE10hipError_tPvRmT3_T4_T5_T6_T7_T9_mT8_P12ihipStream_tbDpT10_ENKUlT_T0_E_clISt17integral_constantIbLb1EES1A_EEDaS15_S16_EUlS15_E_NS1_11comp_targetILNS1_3genE9ELNS1_11target_archE1100ELNS1_3gpuE3ELNS1_3repE0EEENS1_30default_config_static_selectorELNS0_4arch9wavefront6targetE1EEEvT1_,@function
_ZN7rocprim17ROCPRIM_400000_NS6detail17trampoline_kernelINS0_14default_configENS1_25partition_config_selectorILNS1_17partition_subalgoE3EiNS0_10empty_typeEbEEZZNS1_14partition_implILS5_3ELb0ES3_jN6thrust23THRUST_200600_302600_NS6detail15normal_iteratorINSA_7pointerIiNSA_11hip_rocprim5par_tENSA_11use_defaultESG_EEEEPS6_SJ_NS0_5tupleIJPiSJ_EEENSK_IJSJ_SJ_EEES6_PlJ7is_evenIiEEEE10hipError_tPvRmT3_T4_T5_T6_T7_T9_mT8_P12ihipStream_tbDpT10_ENKUlT_T0_E_clISt17integral_constantIbLb1EES1A_EEDaS15_S16_EUlS15_E_NS1_11comp_targetILNS1_3genE9ELNS1_11target_archE1100ELNS1_3gpuE3ELNS1_3repE0EEENS1_30default_config_static_selectorELNS0_4arch9wavefront6targetE1EEEvT1_: ; @_ZN7rocprim17ROCPRIM_400000_NS6detail17trampoline_kernelINS0_14default_configENS1_25partition_config_selectorILNS1_17partition_subalgoE3EiNS0_10empty_typeEbEEZZNS1_14partition_implILS5_3ELb0ES3_jN6thrust23THRUST_200600_302600_NS6detail15normal_iteratorINSA_7pointerIiNSA_11hip_rocprim5par_tENSA_11use_defaultESG_EEEEPS6_SJ_NS0_5tupleIJPiSJ_EEENSK_IJSJ_SJ_EEES6_PlJ7is_evenIiEEEE10hipError_tPvRmT3_T4_T5_T6_T7_T9_mT8_P12ihipStream_tbDpT10_ENKUlT_T0_E_clISt17integral_constantIbLb1EES1A_EEDaS15_S16_EUlS15_E_NS1_11comp_targetILNS1_3genE9ELNS1_11target_archE1100ELNS1_3gpuE3ELNS1_3repE0EEENS1_30default_config_static_selectorELNS0_4arch9wavefront6targetE1EEEvT1_
; %bb.0:
	.section	.rodata,"a",@progbits
	.p2align	6, 0x0
	.amdhsa_kernel _ZN7rocprim17ROCPRIM_400000_NS6detail17trampoline_kernelINS0_14default_configENS1_25partition_config_selectorILNS1_17partition_subalgoE3EiNS0_10empty_typeEbEEZZNS1_14partition_implILS5_3ELb0ES3_jN6thrust23THRUST_200600_302600_NS6detail15normal_iteratorINSA_7pointerIiNSA_11hip_rocprim5par_tENSA_11use_defaultESG_EEEEPS6_SJ_NS0_5tupleIJPiSJ_EEENSK_IJSJ_SJ_EEES6_PlJ7is_evenIiEEEE10hipError_tPvRmT3_T4_T5_T6_T7_T9_mT8_P12ihipStream_tbDpT10_ENKUlT_T0_E_clISt17integral_constantIbLb1EES1A_EEDaS15_S16_EUlS15_E_NS1_11comp_targetILNS1_3genE9ELNS1_11target_archE1100ELNS1_3gpuE3ELNS1_3repE0EEENS1_30default_config_static_selectorELNS0_4arch9wavefront6targetE1EEEvT1_
		.amdhsa_group_segment_fixed_size 0
		.amdhsa_private_segment_fixed_size 0
		.amdhsa_kernarg_size 136
		.amdhsa_user_sgpr_count 6
		.amdhsa_user_sgpr_private_segment_buffer 1
		.amdhsa_user_sgpr_dispatch_ptr 0
		.amdhsa_user_sgpr_queue_ptr 0
		.amdhsa_user_sgpr_kernarg_segment_ptr 1
		.amdhsa_user_sgpr_dispatch_id 0
		.amdhsa_user_sgpr_flat_scratch_init 0
		.amdhsa_user_sgpr_kernarg_preload_length 0
		.amdhsa_user_sgpr_kernarg_preload_offset 0
		.amdhsa_user_sgpr_private_segment_size 0
		.amdhsa_uses_dynamic_stack 0
		.amdhsa_system_sgpr_private_segment_wavefront_offset 0
		.amdhsa_system_sgpr_workgroup_id_x 1
		.amdhsa_system_sgpr_workgroup_id_y 0
		.amdhsa_system_sgpr_workgroup_id_z 0
		.amdhsa_system_sgpr_workgroup_info 0
		.amdhsa_system_vgpr_workitem_id 0
		.amdhsa_next_free_vgpr 1
		.amdhsa_next_free_sgpr 0
		.amdhsa_accum_offset 4
		.amdhsa_reserve_vcc 0
		.amdhsa_reserve_flat_scratch 0
		.amdhsa_float_round_mode_32 0
		.amdhsa_float_round_mode_16_64 0
		.amdhsa_float_denorm_mode_32 3
		.amdhsa_float_denorm_mode_16_64 3
		.amdhsa_dx10_clamp 1
		.amdhsa_ieee_mode 1
		.amdhsa_fp16_overflow 0
		.amdhsa_tg_split 0
		.amdhsa_exception_fp_ieee_invalid_op 0
		.amdhsa_exception_fp_denorm_src 0
		.amdhsa_exception_fp_ieee_div_zero 0
		.amdhsa_exception_fp_ieee_overflow 0
		.amdhsa_exception_fp_ieee_underflow 0
		.amdhsa_exception_fp_ieee_inexact 0
		.amdhsa_exception_int_div_zero 0
	.end_amdhsa_kernel
	.section	.text._ZN7rocprim17ROCPRIM_400000_NS6detail17trampoline_kernelINS0_14default_configENS1_25partition_config_selectorILNS1_17partition_subalgoE3EiNS0_10empty_typeEbEEZZNS1_14partition_implILS5_3ELb0ES3_jN6thrust23THRUST_200600_302600_NS6detail15normal_iteratorINSA_7pointerIiNSA_11hip_rocprim5par_tENSA_11use_defaultESG_EEEEPS6_SJ_NS0_5tupleIJPiSJ_EEENSK_IJSJ_SJ_EEES6_PlJ7is_evenIiEEEE10hipError_tPvRmT3_T4_T5_T6_T7_T9_mT8_P12ihipStream_tbDpT10_ENKUlT_T0_E_clISt17integral_constantIbLb1EES1A_EEDaS15_S16_EUlS15_E_NS1_11comp_targetILNS1_3genE9ELNS1_11target_archE1100ELNS1_3gpuE3ELNS1_3repE0EEENS1_30default_config_static_selectorELNS0_4arch9wavefront6targetE1EEEvT1_,"axG",@progbits,_ZN7rocprim17ROCPRIM_400000_NS6detail17trampoline_kernelINS0_14default_configENS1_25partition_config_selectorILNS1_17partition_subalgoE3EiNS0_10empty_typeEbEEZZNS1_14partition_implILS5_3ELb0ES3_jN6thrust23THRUST_200600_302600_NS6detail15normal_iteratorINSA_7pointerIiNSA_11hip_rocprim5par_tENSA_11use_defaultESG_EEEEPS6_SJ_NS0_5tupleIJPiSJ_EEENSK_IJSJ_SJ_EEES6_PlJ7is_evenIiEEEE10hipError_tPvRmT3_T4_T5_T6_T7_T9_mT8_P12ihipStream_tbDpT10_ENKUlT_T0_E_clISt17integral_constantIbLb1EES1A_EEDaS15_S16_EUlS15_E_NS1_11comp_targetILNS1_3genE9ELNS1_11target_archE1100ELNS1_3gpuE3ELNS1_3repE0EEENS1_30default_config_static_selectorELNS0_4arch9wavefront6targetE1EEEvT1_,comdat
.Lfunc_end3676:
	.size	_ZN7rocprim17ROCPRIM_400000_NS6detail17trampoline_kernelINS0_14default_configENS1_25partition_config_selectorILNS1_17partition_subalgoE3EiNS0_10empty_typeEbEEZZNS1_14partition_implILS5_3ELb0ES3_jN6thrust23THRUST_200600_302600_NS6detail15normal_iteratorINSA_7pointerIiNSA_11hip_rocprim5par_tENSA_11use_defaultESG_EEEEPS6_SJ_NS0_5tupleIJPiSJ_EEENSK_IJSJ_SJ_EEES6_PlJ7is_evenIiEEEE10hipError_tPvRmT3_T4_T5_T6_T7_T9_mT8_P12ihipStream_tbDpT10_ENKUlT_T0_E_clISt17integral_constantIbLb1EES1A_EEDaS15_S16_EUlS15_E_NS1_11comp_targetILNS1_3genE9ELNS1_11target_archE1100ELNS1_3gpuE3ELNS1_3repE0EEENS1_30default_config_static_selectorELNS0_4arch9wavefront6targetE1EEEvT1_, .Lfunc_end3676-_ZN7rocprim17ROCPRIM_400000_NS6detail17trampoline_kernelINS0_14default_configENS1_25partition_config_selectorILNS1_17partition_subalgoE3EiNS0_10empty_typeEbEEZZNS1_14partition_implILS5_3ELb0ES3_jN6thrust23THRUST_200600_302600_NS6detail15normal_iteratorINSA_7pointerIiNSA_11hip_rocprim5par_tENSA_11use_defaultESG_EEEEPS6_SJ_NS0_5tupleIJPiSJ_EEENSK_IJSJ_SJ_EEES6_PlJ7is_evenIiEEEE10hipError_tPvRmT3_T4_T5_T6_T7_T9_mT8_P12ihipStream_tbDpT10_ENKUlT_T0_E_clISt17integral_constantIbLb1EES1A_EEDaS15_S16_EUlS15_E_NS1_11comp_targetILNS1_3genE9ELNS1_11target_archE1100ELNS1_3gpuE3ELNS1_3repE0EEENS1_30default_config_static_selectorELNS0_4arch9wavefront6targetE1EEEvT1_
                                        ; -- End function
	.section	.AMDGPU.csdata,"",@progbits
; Kernel info:
; codeLenInByte = 0
; NumSgprs: 4
; NumVgprs: 0
; NumAgprs: 0
; TotalNumVgprs: 0
; ScratchSize: 0
; MemoryBound: 0
; FloatMode: 240
; IeeeMode: 1
; LDSByteSize: 0 bytes/workgroup (compile time only)
; SGPRBlocks: 0
; VGPRBlocks: 0
; NumSGPRsForWavesPerEU: 4
; NumVGPRsForWavesPerEU: 1
; AccumOffset: 4
; Occupancy: 8
; WaveLimiterHint : 0
; COMPUTE_PGM_RSRC2:SCRATCH_EN: 0
; COMPUTE_PGM_RSRC2:USER_SGPR: 6
; COMPUTE_PGM_RSRC2:TRAP_HANDLER: 0
; COMPUTE_PGM_RSRC2:TGID_X_EN: 1
; COMPUTE_PGM_RSRC2:TGID_Y_EN: 0
; COMPUTE_PGM_RSRC2:TGID_Z_EN: 0
; COMPUTE_PGM_RSRC2:TIDIG_COMP_CNT: 0
; COMPUTE_PGM_RSRC3_GFX90A:ACCUM_OFFSET: 0
; COMPUTE_PGM_RSRC3_GFX90A:TG_SPLIT: 0
	.section	.text._ZN7rocprim17ROCPRIM_400000_NS6detail17trampoline_kernelINS0_14default_configENS1_25partition_config_selectorILNS1_17partition_subalgoE3EiNS0_10empty_typeEbEEZZNS1_14partition_implILS5_3ELb0ES3_jN6thrust23THRUST_200600_302600_NS6detail15normal_iteratorINSA_7pointerIiNSA_11hip_rocprim5par_tENSA_11use_defaultESG_EEEEPS6_SJ_NS0_5tupleIJPiSJ_EEENSK_IJSJ_SJ_EEES6_PlJ7is_evenIiEEEE10hipError_tPvRmT3_T4_T5_T6_T7_T9_mT8_P12ihipStream_tbDpT10_ENKUlT_T0_E_clISt17integral_constantIbLb1EES1A_EEDaS15_S16_EUlS15_E_NS1_11comp_targetILNS1_3genE8ELNS1_11target_archE1030ELNS1_3gpuE2ELNS1_3repE0EEENS1_30default_config_static_selectorELNS0_4arch9wavefront6targetE1EEEvT1_,"axG",@progbits,_ZN7rocprim17ROCPRIM_400000_NS6detail17trampoline_kernelINS0_14default_configENS1_25partition_config_selectorILNS1_17partition_subalgoE3EiNS0_10empty_typeEbEEZZNS1_14partition_implILS5_3ELb0ES3_jN6thrust23THRUST_200600_302600_NS6detail15normal_iteratorINSA_7pointerIiNSA_11hip_rocprim5par_tENSA_11use_defaultESG_EEEEPS6_SJ_NS0_5tupleIJPiSJ_EEENSK_IJSJ_SJ_EEES6_PlJ7is_evenIiEEEE10hipError_tPvRmT3_T4_T5_T6_T7_T9_mT8_P12ihipStream_tbDpT10_ENKUlT_T0_E_clISt17integral_constantIbLb1EES1A_EEDaS15_S16_EUlS15_E_NS1_11comp_targetILNS1_3genE8ELNS1_11target_archE1030ELNS1_3gpuE2ELNS1_3repE0EEENS1_30default_config_static_selectorELNS0_4arch9wavefront6targetE1EEEvT1_,comdat
	.protected	_ZN7rocprim17ROCPRIM_400000_NS6detail17trampoline_kernelINS0_14default_configENS1_25partition_config_selectorILNS1_17partition_subalgoE3EiNS0_10empty_typeEbEEZZNS1_14partition_implILS5_3ELb0ES3_jN6thrust23THRUST_200600_302600_NS6detail15normal_iteratorINSA_7pointerIiNSA_11hip_rocprim5par_tENSA_11use_defaultESG_EEEEPS6_SJ_NS0_5tupleIJPiSJ_EEENSK_IJSJ_SJ_EEES6_PlJ7is_evenIiEEEE10hipError_tPvRmT3_T4_T5_T6_T7_T9_mT8_P12ihipStream_tbDpT10_ENKUlT_T0_E_clISt17integral_constantIbLb1EES1A_EEDaS15_S16_EUlS15_E_NS1_11comp_targetILNS1_3genE8ELNS1_11target_archE1030ELNS1_3gpuE2ELNS1_3repE0EEENS1_30default_config_static_selectorELNS0_4arch9wavefront6targetE1EEEvT1_ ; -- Begin function _ZN7rocprim17ROCPRIM_400000_NS6detail17trampoline_kernelINS0_14default_configENS1_25partition_config_selectorILNS1_17partition_subalgoE3EiNS0_10empty_typeEbEEZZNS1_14partition_implILS5_3ELb0ES3_jN6thrust23THRUST_200600_302600_NS6detail15normal_iteratorINSA_7pointerIiNSA_11hip_rocprim5par_tENSA_11use_defaultESG_EEEEPS6_SJ_NS0_5tupleIJPiSJ_EEENSK_IJSJ_SJ_EEES6_PlJ7is_evenIiEEEE10hipError_tPvRmT3_T4_T5_T6_T7_T9_mT8_P12ihipStream_tbDpT10_ENKUlT_T0_E_clISt17integral_constantIbLb1EES1A_EEDaS15_S16_EUlS15_E_NS1_11comp_targetILNS1_3genE8ELNS1_11target_archE1030ELNS1_3gpuE2ELNS1_3repE0EEENS1_30default_config_static_selectorELNS0_4arch9wavefront6targetE1EEEvT1_
	.globl	_ZN7rocprim17ROCPRIM_400000_NS6detail17trampoline_kernelINS0_14default_configENS1_25partition_config_selectorILNS1_17partition_subalgoE3EiNS0_10empty_typeEbEEZZNS1_14partition_implILS5_3ELb0ES3_jN6thrust23THRUST_200600_302600_NS6detail15normal_iteratorINSA_7pointerIiNSA_11hip_rocprim5par_tENSA_11use_defaultESG_EEEEPS6_SJ_NS0_5tupleIJPiSJ_EEENSK_IJSJ_SJ_EEES6_PlJ7is_evenIiEEEE10hipError_tPvRmT3_T4_T5_T6_T7_T9_mT8_P12ihipStream_tbDpT10_ENKUlT_T0_E_clISt17integral_constantIbLb1EES1A_EEDaS15_S16_EUlS15_E_NS1_11comp_targetILNS1_3genE8ELNS1_11target_archE1030ELNS1_3gpuE2ELNS1_3repE0EEENS1_30default_config_static_selectorELNS0_4arch9wavefront6targetE1EEEvT1_
	.p2align	8
	.type	_ZN7rocprim17ROCPRIM_400000_NS6detail17trampoline_kernelINS0_14default_configENS1_25partition_config_selectorILNS1_17partition_subalgoE3EiNS0_10empty_typeEbEEZZNS1_14partition_implILS5_3ELb0ES3_jN6thrust23THRUST_200600_302600_NS6detail15normal_iteratorINSA_7pointerIiNSA_11hip_rocprim5par_tENSA_11use_defaultESG_EEEEPS6_SJ_NS0_5tupleIJPiSJ_EEENSK_IJSJ_SJ_EEES6_PlJ7is_evenIiEEEE10hipError_tPvRmT3_T4_T5_T6_T7_T9_mT8_P12ihipStream_tbDpT10_ENKUlT_T0_E_clISt17integral_constantIbLb1EES1A_EEDaS15_S16_EUlS15_E_NS1_11comp_targetILNS1_3genE8ELNS1_11target_archE1030ELNS1_3gpuE2ELNS1_3repE0EEENS1_30default_config_static_selectorELNS0_4arch9wavefront6targetE1EEEvT1_,@function
_ZN7rocprim17ROCPRIM_400000_NS6detail17trampoline_kernelINS0_14default_configENS1_25partition_config_selectorILNS1_17partition_subalgoE3EiNS0_10empty_typeEbEEZZNS1_14partition_implILS5_3ELb0ES3_jN6thrust23THRUST_200600_302600_NS6detail15normal_iteratorINSA_7pointerIiNSA_11hip_rocprim5par_tENSA_11use_defaultESG_EEEEPS6_SJ_NS0_5tupleIJPiSJ_EEENSK_IJSJ_SJ_EEES6_PlJ7is_evenIiEEEE10hipError_tPvRmT3_T4_T5_T6_T7_T9_mT8_P12ihipStream_tbDpT10_ENKUlT_T0_E_clISt17integral_constantIbLb1EES1A_EEDaS15_S16_EUlS15_E_NS1_11comp_targetILNS1_3genE8ELNS1_11target_archE1030ELNS1_3gpuE2ELNS1_3repE0EEENS1_30default_config_static_selectorELNS0_4arch9wavefront6targetE1EEEvT1_: ; @_ZN7rocprim17ROCPRIM_400000_NS6detail17trampoline_kernelINS0_14default_configENS1_25partition_config_selectorILNS1_17partition_subalgoE3EiNS0_10empty_typeEbEEZZNS1_14partition_implILS5_3ELb0ES3_jN6thrust23THRUST_200600_302600_NS6detail15normal_iteratorINSA_7pointerIiNSA_11hip_rocprim5par_tENSA_11use_defaultESG_EEEEPS6_SJ_NS0_5tupleIJPiSJ_EEENSK_IJSJ_SJ_EEES6_PlJ7is_evenIiEEEE10hipError_tPvRmT3_T4_T5_T6_T7_T9_mT8_P12ihipStream_tbDpT10_ENKUlT_T0_E_clISt17integral_constantIbLb1EES1A_EEDaS15_S16_EUlS15_E_NS1_11comp_targetILNS1_3genE8ELNS1_11target_archE1030ELNS1_3gpuE2ELNS1_3repE0EEENS1_30default_config_static_selectorELNS0_4arch9wavefront6targetE1EEEvT1_
; %bb.0:
	.section	.rodata,"a",@progbits
	.p2align	6, 0x0
	.amdhsa_kernel _ZN7rocprim17ROCPRIM_400000_NS6detail17trampoline_kernelINS0_14default_configENS1_25partition_config_selectorILNS1_17partition_subalgoE3EiNS0_10empty_typeEbEEZZNS1_14partition_implILS5_3ELb0ES3_jN6thrust23THRUST_200600_302600_NS6detail15normal_iteratorINSA_7pointerIiNSA_11hip_rocprim5par_tENSA_11use_defaultESG_EEEEPS6_SJ_NS0_5tupleIJPiSJ_EEENSK_IJSJ_SJ_EEES6_PlJ7is_evenIiEEEE10hipError_tPvRmT3_T4_T5_T6_T7_T9_mT8_P12ihipStream_tbDpT10_ENKUlT_T0_E_clISt17integral_constantIbLb1EES1A_EEDaS15_S16_EUlS15_E_NS1_11comp_targetILNS1_3genE8ELNS1_11target_archE1030ELNS1_3gpuE2ELNS1_3repE0EEENS1_30default_config_static_selectorELNS0_4arch9wavefront6targetE1EEEvT1_
		.amdhsa_group_segment_fixed_size 0
		.amdhsa_private_segment_fixed_size 0
		.amdhsa_kernarg_size 136
		.amdhsa_user_sgpr_count 6
		.amdhsa_user_sgpr_private_segment_buffer 1
		.amdhsa_user_sgpr_dispatch_ptr 0
		.amdhsa_user_sgpr_queue_ptr 0
		.amdhsa_user_sgpr_kernarg_segment_ptr 1
		.amdhsa_user_sgpr_dispatch_id 0
		.amdhsa_user_sgpr_flat_scratch_init 0
		.amdhsa_user_sgpr_kernarg_preload_length 0
		.amdhsa_user_sgpr_kernarg_preload_offset 0
		.amdhsa_user_sgpr_private_segment_size 0
		.amdhsa_uses_dynamic_stack 0
		.amdhsa_system_sgpr_private_segment_wavefront_offset 0
		.amdhsa_system_sgpr_workgroup_id_x 1
		.amdhsa_system_sgpr_workgroup_id_y 0
		.amdhsa_system_sgpr_workgroup_id_z 0
		.amdhsa_system_sgpr_workgroup_info 0
		.amdhsa_system_vgpr_workitem_id 0
		.amdhsa_next_free_vgpr 1
		.amdhsa_next_free_sgpr 0
		.amdhsa_accum_offset 4
		.amdhsa_reserve_vcc 0
		.amdhsa_reserve_flat_scratch 0
		.amdhsa_float_round_mode_32 0
		.amdhsa_float_round_mode_16_64 0
		.amdhsa_float_denorm_mode_32 3
		.amdhsa_float_denorm_mode_16_64 3
		.amdhsa_dx10_clamp 1
		.amdhsa_ieee_mode 1
		.amdhsa_fp16_overflow 0
		.amdhsa_tg_split 0
		.amdhsa_exception_fp_ieee_invalid_op 0
		.amdhsa_exception_fp_denorm_src 0
		.amdhsa_exception_fp_ieee_div_zero 0
		.amdhsa_exception_fp_ieee_overflow 0
		.amdhsa_exception_fp_ieee_underflow 0
		.amdhsa_exception_fp_ieee_inexact 0
		.amdhsa_exception_int_div_zero 0
	.end_amdhsa_kernel
	.section	.text._ZN7rocprim17ROCPRIM_400000_NS6detail17trampoline_kernelINS0_14default_configENS1_25partition_config_selectorILNS1_17partition_subalgoE3EiNS0_10empty_typeEbEEZZNS1_14partition_implILS5_3ELb0ES3_jN6thrust23THRUST_200600_302600_NS6detail15normal_iteratorINSA_7pointerIiNSA_11hip_rocprim5par_tENSA_11use_defaultESG_EEEEPS6_SJ_NS0_5tupleIJPiSJ_EEENSK_IJSJ_SJ_EEES6_PlJ7is_evenIiEEEE10hipError_tPvRmT3_T4_T5_T6_T7_T9_mT8_P12ihipStream_tbDpT10_ENKUlT_T0_E_clISt17integral_constantIbLb1EES1A_EEDaS15_S16_EUlS15_E_NS1_11comp_targetILNS1_3genE8ELNS1_11target_archE1030ELNS1_3gpuE2ELNS1_3repE0EEENS1_30default_config_static_selectorELNS0_4arch9wavefront6targetE1EEEvT1_,"axG",@progbits,_ZN7rocprim17ROCPRIM_400000_NS6detail17trampoline_kernelINS0_14default_configENS1_25partition_config_selectorILNS1_17partition_subalgoE3EiNS0_10empty_typeEbEEZZNS1_14partition_implILS5_3ELb0ES3_jN6thrust23THRUST_200600_302600_NS6detail15normal_iteratorINSA_7pointerIiNSA_11hip_rocprim5par_tENSA_11use_defaultESG_EEEEPS6_SJ_NS0_5tupleIJPiSJ_EEENSK_IJSJ_SJ_EEES6_PlJ7is_evenIiEEEE10hipError_tPvRmT3_T4_T5_T6_T7_T9_mT8_P12ihipStream_tbDpT10_ENKUlT_T0_E_clISt17integral_constantIbLb1EES1A_EEDaS15_S16_EUlS15_E_NS1_11comp_targetILNS1_3genE8ELNS1_11target_archE1030ELNS1_3gpuE2ELNS1_3repE0EEENS1_30default_config_static_selectorELNS0_4arch9wavefront6targetE1EEEvT1_,comdat
.Lfunc_end3677:
	.size	_ZN7rocprim17ROCPRIM_400000_NS6detail17trampoline_kernelINS0_14default_configENS1_25partition_config_selectorILNS1_17partition_subalgoE3EiNS0_10empty_typeEbEEZZNS1_14partition_implILS5_3ELb0ES3_jN6thrust23THRUST_200600_302600_NS6detail15normal_iteratorINSA_7pointerIiNSA_11hip_rocprim5par_tENSA_11use_defaultESG_EEEEPS6_SJ_NS0_5tupleIJPiSJ_EEENSK_IJSJ_SJ_EEES6_PlJ7is_evenIiEEEE10hipError_tPvRmT3_T4_T5_T6_T7_T9_mT8_P12ihipStream_tbDpT10_ENKUlT_T0_E_clISt17integral_constantIbLb1EES1A_EEDaS15_S16_EUlS15_E_NS1_11comp_targetILNS1_3genE8ELNS1_11target_archE1030ELNS1_3gpuE2ELNS1_3repE0EEENS1_30default_config_static_selectorELNS0_4arch9wavefront6targetE1EEEvT1_, .Lfunc_end3677-_ZN7rocprim17ROCPRIM_400000_NS6detail17trampoline_kernelINS0_14default_configENS1_25partition_config_selectorILNS1_17partition_subalgoE3EiNS0_10empty_typeEbEEZZNS1_14partition_implILS5_3ELb0ES3_jN6thrust23THRUST_200600_302600_NS6detail15normal_iteratorINSA_7pointerIiNSA_11hip_rocprim5par_tENSA_11use_defaultESG_EEEEPS6_SJ_NS0_5tupleIJPiSJ_EEENSK_IJSJ_SJ_EEES6_PlJ7is_evenIiEEEE10hipError_tPvRmT3_T4_T5_T6_T7_T9_mT8_P12ihipStream_tbDpT10_ENKUlT_T0_E_clISt17integral_constantIbLb1EES1A_EEDaS15_S16_EUlS15_E_NS1_11comp_targetILNS1_3genE8ELNS1_11target_archE1030ELNS1_3gpuE2ELNS1_3repE0EEENS1_30default_config_static_selectorELNS0_4arch9wavefront6targetE1EEEvT1_
                                        ; -- End function
	.section	.AMDGPU.csdata,"",@progbits
; Kernel info:
; codeLenInByte = 0
; NumSgprs: 4
; NumVgprs: 0
; NumAgprs: 0
; TotalNumVgprs: 0
; ScratchSize: 0
; MemoryBound: 0
; FloatMode: 240
; IeeeMode: 1
; LDSByteSize: 0 bytes/workgroup (compile time only)
; SGPRBlocks: 0
; VGPRBlocks: 0
; NumSGPRsForWavesPerEU: 4
; NumVGPRsForWavesPerEU: 1
; AccumOffset: 4
; Occupancy: 8
; WaveLimiterHint : 0
; COMPUTE_PGM_RSRC2:SCRATCH_EN: 0
; COMPUTE_PGM_RSRC2:USER_SGPR: 6
; COMPUTE_PGM_RSRC2:TRAP_HANDLER: 0
; COMPUTE_PGM_RSRC2:TGID_X_EN: 1
; COMPUTE_PGM_RSRC2:TGID_Y_EN: 0
; COMPUTE_PGM_RSRC2:TGID_Z_EN: 0
; COMPUTE_PGM_RSRC2:TIDIG_COMP_CNT: 0
; COMPUTE_PGM_RSRC3_GFX90A:ACCUM_OFFSET: 0
; COMPUTE_PGM_RSRC3_GFX90A:TG_SPLIT: 0
	.section	.text._ZN7rocprim17ROCPRIM_400000_NS6detail17trampoline_kernelINS0_14default_configENS1_25partition_config_selectorILNS1_17partition_subalgoE3EiNS0_10empty_typeEbEEZZNS1_14partition_implILS5_3ELb0ES3_jN6thrust23THRUST_200600_302600_NS6detail15normal_iteratorINSA_7pointerIiNSA_11hip_rocprim5par_tENSA_11use_defaultESG_EEEEPS6_SJ_NS0_5tupleIJPiSJ_EEENSK_IJSJ_SJ_EEES6_PlJ7is_evenIiEEEE10hipError_tPvRmT3_T4_T5_T6_T7_T9_mT8_P12ihipStream_tbDpT10_ENKUlT_T0_E_clISt17integral_constantIbLb1EES19_IbLb0EEEEDaS15_S16_EUlS15_E_NS1_11comp_targetILNS1_3genE0ELNS1_11target_archE4294967295ELNS1_3gpuE0ELNS1_3repE0EEENS1_30default_config_static_selectorELNS0_4arch9wavefront6targetE1EEEvT1_,"axG",@progbits,_ZN7rocprim17ROCPRIM_400000_NS6detail17trampoline_kernelINS0_14default_configENS1_25partition_config_selectorILNS1_17partition_subalgoE3EiNS0_10empty_typeEbEEZZNS1_14partition_implILS5_3ELb0ES3_jN6thrust23THRUST_200600_302600_NS6detail15normal_iteratorINSA_7pointerIiNSA_11hip_rocprim5par_tENSA_11use_defaultESG_EEEEPS6_SJ_NS0_5tupleIJPiSJ_EEENSK_IJSJ_SJ_EEES6_PlJ7is_evenIiEEEE10hipError_tPvRmT3_T4_T5_T6_T7_T9_mT8_P12ihipStream_tbDpT10_ENKUlT_T0_E_clISt17integral_constantIbLb1EES19_IbLb0EEEEDaS15_S16_EUlS15_E_NS1_11comp_targetILNS1_3genE0ELNS1_11target_archE4294967295ELNS1_3gpuE0ELNS1_3repE0EEENS1_30default_config_static_selectorELNS0_4arch9wavefront6targetE1EEEvT1_,comdat
	.protected	_ZN7rocprim17ROCPRIM_400000_NS6detail17trampoline_kernelINS0_14default_configENS1_25partition_config_selectorILNS1_17partition_subalgoE3EiNS0_10empty_typeEbEEZZNS1_14partition_implILS5_3ELb0ES3_jN6thrust23THRUST_200600_302600_NS6detail15normal_iteratorINSA_7pointerIiNSA_11hip_rocprim5par_tENSA_11use_defaultESG_EEEEPS6_SJ_NS0_5tupleIJPiSJ_EEENSK_IJSJ_SJ_EEES6_PlJ7is_evenIiEEEE10hipError_tPvRmT3_T4_T5_T6_T7_T9_mT8_P12ihipStream_tbDpT10_ENKUlT_T0_E_clISt17integral_constantIbLb1EES19_IbLb0EEEEDaS15_S16_EUlS15_E_NS1_11comp_targetILNS1_3genE0ELNS1_11target_archE4294967295ELNS1_3gpuE0ELNS1_3repE0EEENS1_30default_config_static_selectorELNS0_4arch9wavefront6targetE1EEEvT1_ ; -- Begin function _ZN7rocprim17ROCPRIM_400000_NS6detail17trampoline_kernelINS0_14default_configENS1_25partition_config_selectorILNS1_17partition_subalgoE3EiNS0_10empty_typeEbEEZZNS1_14partition_implILS5_3ELb0ES3_jN6thrust23THRUST_200600_302600_NS6detail15normal_iteratorINSA_7pointerIiNSA_11hip_rocprim5par_tENSA_11use_defaultESG_EEEEPS6_SJ_NS0_5tupleIJPiSJ_EEENSK_IJSJ_SJ_EEES6_PlJ7is_evenIiEEEE10hipError_tPvRmT3_T4_T5_T6_T7_T9_mT8_P12ihipStream_tbDpT10_ENKUlT_T0_E_clISt17integral_constantIbLb1EES19_IbLb0EEEEDaS15_S16_EUlS15_E_NS1_11comp_targetILNS1_3genE0ELNS1_11target_archE4294967295ELNS1_3gpuE0ELNS1_3repE0EEENS1_30default_config_static_selectorELNS0_4arch9wavefront6targetE1EEEvT1_
	.globl	_ZN7rocprim17ROCPRIM_400000_NS6detail17trampoline_kernelINS0_14default_configENS1_25partition_config_selectorILNS1_17partition_subalgoE3EiNS0_10empty_typeEbEEZZNS1_14partition_implILS5_3ELb0ES3_jN6thrust23THRUST_200600_302600_NS6detail15normal_iteratorINSA_7pointerIiNSA_11hip_rocprim5par_tENSA_11use_defaultESG_EEEEPS6_SJ_NS0_5tupleIJPiSJ_EEENSK_IJSJ_SJ_EEES6_PlJ7is_evenIiEEEE10hipError_tPvRmT3_T4_T5_T6_T7_T9_mT8_P12ihipStream_tbDpT10_ENKUlT_T0_E_clISt17integral_constantIbLb1EES19_IbLb0EEEEDaS15_S16_EUlS15_E_NS1_11comp_targetILNS1_3genE0ELNS1_11target_archE4294967295ELNS1_3gpuE0ELNS1_3repE0EEENS1_30default_config_static_selectorELNS0_4arch9wavefront6targetE1EEEvT1_
	.p2align	8
	.type	_ZN7rocprim17ROCPRIM_400000_NS6detail17trampoline_kernelINS0_14default_configENS1_25partition_config_selectorILNS1_17partition_subalgoE3EiNS0_10empty_typeEbEEZZNS1_14partition_implILS5_3ELb0ES3_jN6thrust23THRUST_200600_302600_NS6detail15normal_iteratorINSA_7pointerIiNSA_11hip_rocprim5par_tENSA_11use_defaultESG_EEEEPS6_SJ_NS0_5tupleIJPiSJ_EEENSK_IJSJ_SJ_EEES6_PlJ7is_evenIiEEEE10hipError_tPvRmT3_T4_T5_T6_T7_T9_mT8_P12ihipStream_tbDpT10_ENKUlT_T0_E_clISt17integral_constantIbLb1EES19_IbLb0EEEEDaS15_S16_EUlS15_E_NS1_11comp_targetILNS1_3genE0ELNS1_11target_archE4294967295ELNS1_3gpuE0ELNS1_3repE0EEENS1_30default_config_static_selectorELNS0_4arch9wavefront6targetE1EEEvT1_,@function
_ZN7rocprim17ROCPRIM_400000_NS6detail17trampoline_kernelINS0_14default_configENS1_25partition_config_selectorILNS1_17partition_subalgoE3EiNS0_10empty_typeEbEEZZNS1_14partition_implILS5_3ELb0ES3_jN6thrust23THRUST_200600_302600_NS6detail15normal_iteratorINSA_7pointerIiNSA_11hip_rocprim5par_tENSA_11use_defaultESG_EEEEPS6_SJ_NS0_5tupleIJPiSJ_EEENSK_IJSJ_SJ_EEES6_PlJ7is_evenIiEEEE10hipError_tPvRmT3_T4_T5_T6_T7_T9_mT8_P12ihipStream_tbDpT10_ENKUlT_T0_E_clISt17integral_constantIbLb1EES19_IbLb0EEEEDaS15_S16_EUlS15_E_NS1_11comp_targetILNS1_3genE0ELNS1_11target_archE4294967295ELNS1_3gpuE0ELNS1_3repE0EEENS1_30default_config_static_selectorELNS0_4arch9wavefront6targetE1EEEvT1_: ; @_ZN7rocprim17ROCPRIM_400000_NS6detail17trampoline_kernelINS0_14default_configENS1_25partition_config_selectorILNS1_17partition_subalgoE3EiNS0_10empty_typeEbEEZZNS1_14partition_implILS5_3ELb0ES3_jN6thrust23THRUST_200600_302600_NS6detail15normal_iteratorINSA_7pointerIiNSA_11hip_rocprim5par_tENSA_11use_defaultESG_EEEEPS6_SJ_NS0_5tupleIJPiSJ_EEENSK_IJSJ_SJ_EEES6_PlJ7is_evenIiEEEE10hipError_tPvRmT3_T4_T5_T6_T7_T9_mT8_P12ihipStream_tbDpT10_ENKUlT_T0_E_clISt17integral_constantIbLb1EES19_IbLb0EEEEDaS15_S16_EUlS15_E_NS1_11comp_targetILNS1_3genE0ELNS1_11target_archE4294967295ELNS1_3gpuE0ELNS1_3repE0EEENS1_30default_config_static_selectorELNS0_4arch9wavefront6targetE1EEEvT1_
; %bb.0:
	.section	.rodata,"a",@progbits
	.p2align	6, 0x0
	.amdhsa_kernel _ZN7rocprim17ROCPRIM_400000_NS6detail17trampoline_kernelINS0_14default_configENS1_25partition_config_selectorILNS1_17partition_subalgoE3EiNS0_10empty_typeEbEEZZNS1_14partition_implILS5_3ELb0ES3_jN6thrust23THRUST_200600_302600_NS6detail15normal_iteratorINSA_7pointerIiNSA_11hip_rocprim5par_tENSA_11use_defaultESG_EEEEPS6_SJ_NS0_5tupleIJPiSJ_EEENSK_IJSJ_SJ_EEES6_PlJ7is_evenIiEEEE10hipError_tPvRmT3_T4_T5_T6_T7_T9_mT8_P12ihipStream_tbDpT10_ENKUlT_T0_E_clISt17integral_constantIbLb1EES19_IbLb0EEEEDaS15_S16_EUlS15_E_NS1_11comp_targetILNS1_3genE0ELNS1_11target_archE4294967295ELNS1_3gpuE0ELNS1_3repE0EEENS1_30default_config_static_selectorELNS0_4arch9wavefront6targetE1EEEvT1_
		.amdhsa_group_segment_fixed_size 0
		.amdhsa_private_segment_fixed_size 0
		.amdhsa_kernarg_size 120
		.amdhsa_user_sgpr_count 6
		.amdhsa_user_sgpr_private_segment_buffer 1
		.amdhsa_user_sgpr_dispatch_ptr 0
		.amdhsa_user_sgpr_queue_ptr 0
		.amdhsa_user_sgpr_kernarg_segment_ptr 1
		.amdhsa_user_sgpr_dispatch_id 0
		.amdhsa_user_sgpr_flat_scratch_init 0
		.amdhsa_user_sgpr_kernarg_preload_length 0
		.amdhsa_user_sgpr_kernarg_preload_offset 0
		.amdhsa_user_sgpr_private_segment_size 0
		.amdhsa_uses_dynamic_stack 0
		.amdhsa_system_sgpr_private_segment_wavefront_offset 0
		.amdhsa_system_sgpr_workgroup_id_x 1
		.amdhsa_system_sgpr_workgroup_id_y 0
		.amdhsa_system_sgpr_workgroup_id_z 0
		.amdhsa_system_sgpr_workgroup_info 0
		.amdhsa_system_vgpr_workitem_id 0
		.amdhsa_next_free_vgpr 1
		.amdhsa_next_free_sgpr 0
		.amdhsa_accum_offset 4
		.amdhsa_reserve_vcc 0
		.amdhsa_reserve_flat_scratch 0
		.amdhsa_float_round_mode_32 0
		.amdhsa_float_round_mode_16_64 0
		.amdhsa_float_denorm_mode_32 3
		.amdhsa_float_denorm_mode_16_64 3
		.amdhsa_dx10_clamp 1
		.amdhsa_ieee_mode 1
		.amdhsa_fp16_overflow 0
		.amdhsa_tg_split 0
		.amdhsa_exception_fp_ieee_invalid_op 0
		.amdhsa_exception_fp_denorm_src 0
		.amdhsa_exception_fp_ieee_div_zero 0
		.amdhsa_exception_fp_ieee_overflow 0
		.amdhsa_exception_fp_ieee_underflow 0
		.amdhsa_exception_fp_ieee_inexact 0
		.amdhsa_exception_int_div_zero 0
	.end_amdhsa_kernel
	.section	.text._ZN7rocprim17ROCPRIM_400000_NS6detail17trampoline_kernelINS0_14default_configENS1_25partition_config_selectorILNS1_17partition_subalgoE3EiNS0_10empty_typeEbEEZZNS1_14partition_implILS5_3ELb0ES3_jN6thrust23THRUST_200600_302600_NS6detail15normal_iteratorINSA_7pointerIiNSA_11hip_rocprim5par_tENSA_11use_defaultESG_EEEEPS6_SJ_NS0_5tupleIJPiSJ_EEENSK_IJSJ_SJ_EEES6_PlJ7is_evenIiEEEE10hipError_tPvRmT3_T4_T5_T6_T7_T9_mT8_P12ihipStream_tbDpT10_ENKUlT_T0_E_clISt17integral_constantIbLb1EES19_IbLb0EEEEDaS15_S16_EUlS15_E_NS1_11comp_targetILNS1_3genE0ELNS1_11target_archE4294967295ELNS1_3gpuE0ELNS1_3repE0EEENS1_30default_config_static_selectorELNS0_4arch9wavefront6targetE1EEEvT1_,"axG",@progbits,_ZN7rocprim17ROCPRIM_400000_NS6detail17trampoline_kernelINS0_14default_configENS1_25partition_config_selectorILNS1_17partition_subalgoE3EiNS0_10empty_typeEbEEZZNS1_14partition_implILS5_3ELb0ES3_jN6thrust23THRUST_200600_302600_NS6detail15normal_iteratorINSA_7pointerIiNSA_11hip_rocprim5par_tENSA_11use_defaultESG_EEEEPS6_SJ_NS0_5tupleIJPiSJ_EEENSK_IJSJ_SJ_EEES6_PlJ7is_evenIiEEEE10hipError_tPvRmT3_T4_T5_T6_T7_T9_mT8_P12ihipStream_tbDpT10_ENKUlT_T0_E_clISt17integral_constantIbLb1EES19_IbLb0EEEEDaS15_S16_EUlS15_E_NS1_11comp_targetILNS1_3genE0ELNS1_11target_archE4294967295ELNS1_3gpuE0ELNS1_3repE0EEENS1_30default_config_static_selectorELNS0_4arch9wavefront6targetE1EEEvT1_,comdat
.Lfunc_end3678:
	.size	_ZN7rocprim17ROCPRIM_400000_NS6detail17trampoline_kernelINS0_14default_configENS1_25partition_config_selectorILNS1_17partition_subalgoE3EiNS0_10empty_typeEbEEZZNS1_14partition_implILS5_3ELb0ES3_jN6thrust23THRUST_200600_302600_NS6detail15normal_iteratorINSA_7pointerIiNSA_11hip_rocprim5par_tENSA_11use_defaultESG_EEEEPS6_SJ_NS0_5tupleIJPiSJ_EEENSK_IJSJ_SJ_EEES6_PlJ7is_evenIiEEEE10hipError_tPvRmT3_T4_T5_T6_T7_T9_mT8_P12ihipStream_tbDpT10_ENKUlT_T0_E_clISt17integral_constantIbLb1EES19_IbLb0EEEEDaS15_S16_EUlS15_E_NS1_11comp_targetILNS1_3genE0ELNS1_11target_archE4294967295ELNS1_3gpuE0ELNS1_3repE0EEENS1_30default_config_static_selectorELNS0_4arch9wavefront6targetE1EEEvT1_, .Lfunc_end3678-_ZN7rocprim17ROCPRIM_400000_NS6detail17trampoline_kernelINS0_14default_configENS1_25partition_config_selectorILNS1_17partition_subalgoE3EiNS0_10empty_typeEbEEZZNS1_14partition_implILS5_3ELb0ES3_jN6thrust23THRUST_200600_302600_NS6detail15normal_iteratorINSA_7pointerIiNSA_11hip_rocprim5par_tENSA_11use_defaultESG_EEEEPS6_SJ_NS0_5tupleIJPiSJ_EEENSK_IJSJ_SJ_EEES6_PlJ7is_evenIiEEEE10hipError_tPvRmT3_T4_T5_T6_T7_T9_mT8_P12ihipStream_tbDpT10_ENKUlT_T0_E_clISt17integral_constantIbLb1EES19_IbLb0EEEEDaS15_S16_EUlS15_E_NS1_11comp_targetILNS1_3genE0ELNS1_11target_archE4294967295ELNS1_3gpuE0ELNS1_3repE0EEENS1_30default_config_static_selectorELNS0_4arch9wavefront6targetE1EEEvT1_
                                        ; -- End function
	.section	.AMDGPU.csdata,"",@progbits
; Kernel info:
; codeLenInByte = 0
; NumSgprs: 4
; NumVgprs: 0
; NumAgprs: 0
; TotalNumVgprs: 0
; ScratchSize: 0
; MemoryBound: 0
; FloatMode: 240
; IeeeMode: 1
; LDSByteSize: 0 bytes/workgroup (compile time only)
; SGPRBlocks: 0
; VGPRBlocks: 0
; NumSGPRsForWavesPerEU: 4
; NumVGPRsForWavesPerEU: 1
; AccumOffset: 4
; Occupancy: 8
; WaveLimiterHint : 0
; COMPUTE_PGM_RSRC2:SCRATCH_EN: 0
; COMPUTE_PGM_RSRC2:USER_SGPR: 6
; COMPUTE_PGM_RSRC2:TRAP_HANDLER: 0
; COMPUTE_PGM_RSRC2:TGID_X_EN: 1
; COMPUTE_PGM_RSRC2:TGID_Y_EN: 0
; COMPUTE_PGM_RSRC2:TGID_Z_EN: 0
; COMPUTE_PGM_RSRC2:TIDIG_COMP_CNT: 0
; COMPUTE_PGM_RSRC3_GFX90A:ACCUM_OFFSET: 0
; COMPUTE_PGM_RSRC3_GFX90A:TG_SPLIT: 0
	.section	.text._ZN7rocprim17ROCPRIM_400000_NS6detail17trampoline_kernelINS0_14default_configENS1_25partition_config_selectorILNS1_17partition_subalgoE3EiNS0_10empty_typeEbEEZZNS1_14partition_implILS5_3ELb0ES3_jN6thrust23THRUST_200600_302600_NS6detail15normal_iteratorINSA_7pointerIiNSA_11hip_rocprim5par_tENSA_11use_defaultESG_EEEEPS6_SJ_NS0_5tupleIJPiSJ_EEENSK_IJSJ_SJ_EEES6_PlJ7is_evenIiEEEE10hipError_tPvRmT3_T4_T5_T6_T7_T9_mT8_P12ihipStream_tbDpT10_ENKUlT_T0_E_clISt17integral_constantIbLb1EES19_IbLb0EEEEDaS15_S16_EUlS15_E_NS1_11comp_targetILNS1_3genE5ELNS1_11target_archE942ELNS1_3gpuE9ELNS1_3repE0EEENS1_30default_config_static_selectorELNS0_4arch9wavefront6targetE1EEEvT1_,"axG",@progbits,_ZN7rocprim17ROCPRIM_400000_NS6detail17trampoline_kernelINS0_14default_configENS1_25partition_config_selectorILNS1_17partition_subalgoE3EiNS0_10empty_typeEbEEZZNS1_14partition_implILS5_3ELb0ES3_jN6thrust23THRUST_200600_302600_NS6detail15normal_iteratorINSA_7pointerIiNSA_11hip_rocprim5par_tENSA_11use_defaultESG_EEEEPS6_SJ_NS0_5tupleIJPiSJ_EEENSK_IJSJ_SJ_EEES6_PlJ7is_evenIiEEEE10hipError_tPvRmT3_T4_T5_T6_T7_T9_mT8_P12ihipStream_tbDpT10_ENKUlT_T0_E_clISt17integral_constantIbLb1EES19_IbLb0EEEEDaS15_S16_EUlS15_E_NS1_11comp_targetILNS1_3genE5ELNS1_11target_archE942ELNS1_3gpuE9ELNS1_3repE0EEENS1_30default_config_static_selectorELNS0_4arch9wavefront6targetE1EEEvT1_,comdat
	.protected	_ZN7rocprim17ROCPRIM_400000_NS6detail17trampoline_kernelINS0_14default_configENS1_25partition_config_selectorILNS1_17partition_subalgoE3EiNS0_10empty_typeEbEEZZNS1_14partition_implILS5_3ELb0ES3_jN6thrust23THRUST_200600_302600_NS6detail15normal_iteratorINSA_7pointerIiNSA_11hip_rocprim5par_tENSA_11use_defaultESG_EEEEPS6_SJ_NS0_5tupleIJPiSJ_EEENSK_IJSJ_SJ_EEES6_PlJ7is_evenIiEEEE10hipError_tPvRmT3_T4_T5_T6_T7_T9_mT8_P12ihipStream_tbDpT10_ENKUlT_T0_E_clISt17integral_constantIbLb1EES19_IbLb0EEEEDaS15_S16_EUlS15_E_NS1_11comp_targetILNS1_3genE5ELNS1_11target_archE942ELNS1_3gpuE9ELNS1_3repE0EEENS1_30default_config_static_selectorELNS0_4arch9wavefront6targetE1EEEvT1_ ; -- Begin function _ZN7rocprim17ROCPRIM_400000_NS6detail17trampoline_kernelINS0_14default_configENS1_25partition_config_selectorILNS1_17partition_subalgoE3EiNS0_10empty_typeEbEEZZNS1_14partition_implILS5_3ELb0ES3_jN6thrust23THRUST_200600_302600_NS6detail15normal_iteratorINSA_7pointerIiNSA_11hip_rocprim5par_tENSA_11use_defaultESG_EEEEPS6_SJ_NS0_5tupleIJPiSJ_EEENSK_IJSJ_SJ_EEES6_PlJ7is_evenIiEEEE10hipError_tPvRmT3_T4_T5_T6_T7_T9_mT8_P12ihipStream_tbDpT10_ENKUlT_T0_E_clISt17integral_constantIbLb1EES19_IbLb0EEEEDaS15_S16_EUlS15_E_NS1_11comp_targetILNS1_3genE5ELNS1_11target_archE942ELNS1_3gpuE9ELNS1_3repE0EEENS1_30default_config_static_selectorELNS0_4arch9wavefront6targetE1EEEvT1_
	.globl	_ZN7rocprim17ROCPRIM_400000_NS6detail17trampoline_kernelINS0_14default_configENS1_25partition_config_selectorILNS1_17partition_subalgoE3EiNS0_10empty_typeEbEEZZNS1_14partition_implILS5_3ELb0ES3_jN6thrust23THRUST_200600_302600_NS6detail15normal_iteratorINSA_7pointerIiNSA_11hip_rocprim5par_tENSA_11use_defaultESG_EEEEPS6_SJ_NS0_5tupleIJPiSJ_EEENSK_IJSJ_SJ_EEES6_PlJ7is_evenIiEEEE10hipError_tPvRmT3_T4_T5_T6_T7_T9_mT8_P12ihipStream_tbDpT10_ENKUlT_T0_E_clISt17integral_constantIbLb1EES19_IbLb0EEEEDaS15_S16_EUlS15_E_NS1_11comp_targetILNS1_3genE5ELNS1_11target_archE942ELNS1_3gpuE9ELNS1_3repE0EEENS1_30default_config_static_selectorELNS0_4arch9wavefront6targetE1EEEvT1_
	.p2align	8
	.type	_ZN7rocprim17ROCPRIM_400000_NS6detail17trampoline_kernelINS0_14default_configENS1_25partition_config_selectorILNS1_17partition_subalgoE3EiNS0_10empty_typeEbEEZZNS1_14partition_implILS5_3ELb0ES3_jN6thrust23THRUST_200600_302600_NS6detail15normal_iteratorINSA_7pointerIiNSA_11hip_rocprim5par_tENSA_11use_defaultESG_EEEEPS6_SJ_NS0_5tupleIJPiSJ_EEENSK_IJSJ_SJ_EEES6_PlJ7is_evenIiEEEE10hipError_tPvRmT3_T4_T5_T6_T7_T9_mT8_P12ihipStream_tbDpT10_ENKUlT_T0_E_clISt17integral_constantIbLb1EES19_IbLb0EEEEDaS15_S16_EUlS15_E_NS1_11comp_targetILNS1_3genE5ELNS1_11target_archE942ELNS1_3gpuE9ELNS1_3repE0EEENS1_30default_config_static_selectorELNS0_4arch9wavefront6targetE1EEEvT1_,@function
_ZN7rocprim17ROCPRIM_400000_NS6detail17trampoline_kernelINS0_14default_configENS1_25partition_config_selectorILNS1_17partition_subalgoE3EiNS0_10empty_typeEbEEZZNS1_14partition_implILS5_3ELb0ES3_jN6thrust23THRUST_200600_302600_NS6detail15normal_iteratorINSA_7pointerIiNSA_11hip_rocprim5par_tENSA_11use_defaultESG_EEEEPS6_SJ_NS0_5tupleIJPiSJ_EEENSK_IJSJ_SJ_EEES6_PlJ7is_evenIiEEEE10hipError_tPvRmT3_T4_T5_T6_T7_T9_mT8_P12ihipStream_tbDpT10_ENKUlT_T0_E_clISt17integral_constantIbLb1EES19_IbLb0EEEEDaS15_S16_EUlS15_E_NS1_11comp_targetILNS1_3genE5ELNS1_11target_archE942ELNS1_3gpuE9ELNS1_3repE0EEENS1_30default_config_static_selectorELNS0_4arch9wavefront6targetE1EEEvT1_: ; @_ZN7rocprim17ROCPRIM_400000_NS6detail17trampoline_kernelINS0_14default_configENS1_25partition_config_selectorILNS1_17partition_subalgoE3EiNS0_10empty_typeEbEEZZNS1_14partition_implILS5_3ELb0ES3_jN6thrust23THRUST_200600_302600_NS6detail15normal_iteratorINSA_7pointerIiNSA_11hip_rocprim5par_tENSA_11use_defaultESG_EEEEPS6_SJ_NS0_5tupleIJPiSJ_EEENSK_IJSJ_SJ_EEES6_PlJ7is_evenIiEEEE10hipError_tPvRmT3_T4_T5_T6_T7_T9_mT8_P12ihipStream_tbDpT10_ENKUlT_T0_E_clISt17integral_constantIbLb1EES19_IbLb0EEEEDaS15_S16_EUlS15_E_NS1_11comp_targetILNS1_3genE5ELNS1_11target_archE942ELNS1_3gpuE9ELNS1_3repE0EEENS1_30default_config_static_selectorELNS0_4arch9wavefront6targetE1EEEvT1_
; %bb.0:
	.section	.rodata,"a",@progbits
	.p2align	6, 0x0
	.amdhsa_kernel _ZN7rocprim17ROCPRIM_400000_NS6detail17trampoline_kernelINS0_14default_configENS1_25partition_config_selectorILNS1_17partition_subalgoE3EiNS0_10empty_typeEbEEZZNS1_14partition_implILS5_3ELb0ES3_jN6thrust23THRUST_200600_302600_NS6detail15normal_iteratorINSA_7pointerIiNSA_11hip_rocprim5par_tENSA_11use_defaultESG_EEEEPS6_SJ_NS0_5tupleIJPiSJ_EEENSK_IJSJ_SJ_EEES6_PlJ7is_evenIiEEEE10hipError_tPvRmT3_T4_T5_T6_T7_T9_mT8_P12ihipStream_tbDpT10_ENKUlT_T0_E_clISt17integral_constantIbLb1EES19_IbLb0EEEEDaS15_S16_EUlS15_E_NS1_11comp_targetILNS1_3genE5ELNS1_11target_archE942ELNS1_3gpuE9ELNS1_3repE0EEENS1_30default_config_static_selectorELNS0_4arch9wavefront6targetE1EEEvT1_
		.amdhsa_group_segment_fixed_size 0
		.amdhsa_private_segment_fixed_size 0
		.amdhsa_kernarg_size 120
		.amdhsa_user_sgpr_count 6
		.amdhsa_user_sgpr_private_segment_buffer 1
		.amdhsa_user_sgpr_dispatch_ptr 0
		.amdhsa_user_sgpr_queue_ptr 0
		.amdhsa_user_sgpr_kernarg_segment_ptr 1
		.amdhsa_user_sgpr_dispatch_id 0
		.amdhsa_user_sgpr_flat_scratch_init 0
		.amdhsa_user_sgpr_kernarg_preload_length 0
		.amdhsa_user_sgpr_kernarg_preload_offset 0
		.amdhsa_user_sgpr_private_segment_size 0
		.amdhsa_uses_dynamic_stack 0
		.amdhsa_system_sgpr_private_segment_wavefront_offset 0
		.amdhsa_system_sgpr_workgroup_id_x 1
		.amdhsa_system_sgpr_workgroup_id_y 0
		.amdhsa_system_sgpr_workgroup_id_z 0
		.amdhsa_system_sgpr_workgroup_info 0
		.amdhsa_system_vgpr_workitem_id 0
		.amdhsa_next_free_vgpr 1
		.amdhsa_next_free_sgpr 0
		.amdhsa_accum_offset 4
		.amdhsa_reserve_vcc 0
		.amdhsa_reserve_flat_scratch 0
		.amdhsa_float_round_mode_32 0
		.amdhsa_float_round_mode_16_64 0
		.amdhsa_float_denorm_mode_32 3
		.amdhsa_float_denorm_mode_16_64 3
		.amdhsa_dx10_clamp 1
		.amdhsa_ieee_mode 1
		.amdhsa_fp16_overflow 0
		.amdhsa_tg_split 0
		.amdhsa_exception_fp_ieee_invalid_op 0
		.amdhsa_exception_fp_denorm_src 0
		.amdhsa_exception_fp_ieee_div_zero 0
		.amdhsa_exception_fp_ieee_overflow 0
		.amdhsa_exception_fp_ieee_underflow 0
		.amdhsa_exception_fp_ieee_inexact 0
		.amdhsa_exception_int_div_zero 0
	.end_amdhsa_kernel
	.section	.text._ZN7rocprim17ROCPRIM_400000_NS6detail17trampoline_kernelINS0_14default_configENS1_25partition_config_selectorILNS1_17partition_subalgoE3EiNS0_10empty_typeEbEEZZNS1_14partition_implILS5_3ELb0ES3_jN6thrust23THRUST_200600_302600_NS6detail15normal_iteratorINSA_7pointerIiNSA_11hip_rocprim5par_tENSA_11use_defaultESG_EEEEPS6_SJ_NS0_5tupleIJPiSJ_EEENSK_IJSJ_SJ_EEES6_PlJ7is_evenIiEEEE10hipError_tPvRmT3_T4_T5_T6_T7_T9_mT8_P12ihipStream_tbDpT10_ENKUlT_T0_E_clISt17integral_constantIbLb1EES19_IbLb0EEEEDaS15_S16_EUlS15_E_NS1_11comp_targetILNS1_3genE5ELNS1_11target_archE942ELNS1_3gpuE9ELNS1_3repE0EEENS1_30default_config_static_selectorELNS0_4arch9wavefront6targetE1EEEvT1_,"axG",@progbits,_ZN7rocprim17ROCPRIM_400000_NS6detail17trampoline_kernelINS0_14default_configENS1_25partition_config_selectorILNS1_17partition_subalgoE3EiNS0_10empty_typeEbEEZZNS1_14partition_implILS5_3ELb0ES3_jN6thrust23THRUST_200600_302600_NS6detail15normal_iteratorINSA_7pointerIiNSA_11hip_rocprim5par_tENSA_11use_defaultESG_EEEEPS6_SJ_NS0_5tupleIJPiSJ_EEENSK_IJSJ_SJ_EEES6_PlJ7is_evenIiEEEE10hipError_tPvRmT3_T4_T5_T6_T7_T9_mT8_P12ihipStream_tbDpT10_ENKUlT_T0_E_clISt17integral_constantIbLb1EES19_IbLb0EEEEDaS15_S16_EUlS15_E_NS1_11comp_targetILNS1_3genE5ELNS1_11target_archE942ELNS1_3gpuE9ELNS1_3repE0EEENS1_30default_config_static_selectorELNS0_4arch9wavefront6targetE1EEEvT1_,comdat
.Lfunc_end3679:
	.size	_ZN7rocprim17ROCPRIM_400000_NS6detail17trampoline_kernelINS0_14default_configENS1_25partition_config_selectorILNS1_17partition_subalgoE3EiNS0_10empty_typeEbEEZZNS1_14partition_implILS5_3ELb0ES3_jN6thrust23THRUST_200600_302600_NS6detail15normal_iteratorINSA_7pointerIiNSA_11hip_rocprim5par_tENSA_11use_defaultESG_EEEEPS6_SJ_NS0_5tupleIJPiSJ_EEENSK_IJSJ_SJ_EEES6_PlJ7is_evenIiEEEE10hipError_tPvRmT3_T4_T5_T6_T7_T9_mT8_P12ihipStream_tbDpT10_ENKUlT_T0_E_clISt17integral_constantIbLb1EES19_IbLb0EEEEDaS15_S16_EUlS15_E_NS1_11comp_targetILNS1_3genE5ELNS1_11target_archE942ELNS1_3gpuE9ELNS1_3repE0EEENS1_30default_config_static_selectorELNS0_4arch9wavefront6targetE1EEEvT1_, .Lfunc_end3679-_ZN7rocprim17ROCPRIM_400000_NS6detail17trampoline_kernelINS0_14default_configENS1_25partition_config_selectorILNS1_17partition_subalgoE3EiNS0_10empty_typeEbEEZZNS1_14partition_implILS5_3ELb0ES3_jN6thrust23THRUST_200600_302600_NS6detail15normal_iteratorINSA_7pointerIiNSA_11hip_rocprim5par_tENSA_11use_defaultESG_EEEEPS6_SJ_NS0_5tupleIJPiSJ_EEENSK_IJSJ_SJ_EEES6_PlJ7is_evenIiEEEE10hipError_tPvRmT3_T4_T5_T6_T7_T9_mT8_P12ihipStream_tbDpT10_ENKUlT_T0_E_clISt17integral_constantIbLb1EES19_IbLb0EEEEDaS15_S16_EUlS15_E_NS1_11comp_targetILNS1_3genE5ELNS1_11target_archE942ELNS1_3gpuE9ELNS1_3repE0EEENS1_30default_config_static_selectorELNS0_4arch9wavefront6targetE1EEEvT1_
                                        ; -- End function
	.section	.AMDGPU.csdata,"",@progbits
; Kernel info:
; codeLenInByte = 0
; NumSgprs: 4
; NumVgprs: 0
; NumAgprs: 0
; TotalNumVgprs: 0
; ScratchSize: 0
; MemoryBound: 0
; FloatMode: 240
; IeeeMode: 1
; LDSByteSize: 0 bytes/workgroup (compile time only)
; SGPRBlocks: 0
; VGPRBlocks: 0
; NumSGPRsForWavesPerEU: 4
; NumVGPRsForWavesPerEU: 1
; AccumOffset: 4
; Occupancy: 8
; WaveLimiterHint : 0
; COMPUTE_PGM_RSRC2:SCRATCH_EN: 0
; COMPUTE_PGM_RSRC2:USER_SGPR: 6
; COMPUTE_PGM_RSRC2:TRAP_HANDLER: 0
; COMPUTE_PGM_RSRC2:TGID_X_EN: 1
; COMPUTE_PGM_RSRC2:TGID_Y_EN: 0
; COMPUTE_PGM_RSRC2:TGID_Z_EN: 0
; COMPUTE_PGM_RSRC2:TIDIG_COMP_CNT: 0
; COMPUTE_PGM_RSRC3_GFX90A:ACCUM_OFFSET: 0
; COMPUTE_PGM_RSRC3_GFX90A:TG_SPLIT: 0
	.section	.text._ZN7rocprim17ROCPRIM_400000_NS6detail17trampoline_kernelINS0_14default_configENS1_25partition_config_selectorILNS1_17partition_subalgoE3EiNS0_10empty_typeEbEEZZNS1_14partition_implILS5_3ELb0ES3_jN6thrust23THRUST_200600_302600_NS6detail15normal_iteratorINSA_7pointerIiNSA_11hip_rocprim5par_tENSA_11use_defaultESG_EEEEPS6_SJ_NS0_5tupleIJPiSJ_EEENSK_IJSJ_SJ_EEES6_PlJ7is_evenIiEEEE10hipError_tPvRmT3_T4_T5_T6_T7_T9_mT8_P12ihipStream_tbDpT10_ENKUlT_T0_E_clISt17integral_constantIbLb1EES19_IbLb0EEEEDaS15_S16_EUlS15_E_NS1_11comp_targetILNS1_3genE4ELNS1_11target_archE910ELNS1_3gpuE8ELNS1_3repE0EEENS1_30default_config_static_selectorELNS0_4arch9wavefront6targetE1EEEvT1_,"axG",@progbits,_ZN7rocprim17ROCPRIM_400000_NS6detail17trampoline_kernelINS0_14default_configENS1_25partition_config_selectorILNS1_17partition_subalgoE3EiNS0_10empty_typeEbEEZZNS1_14partition_implILS5_3ELb0ES3_jN6thrust23THRUST_200600_302600_NS6detail15normal_iteratorINSA_7pointerIiNSA_11hip_rocprim5par_tENSA_11use_defaultESG_EEEEPS6_SJ_NS0_5tupleIJPiSJ_EEENSK_IJSJ_SJ_EEES6_PlJ7is_evenIiEEEE10hipError_tPvRmT3_T4_T5_T6_T7_T9_mT8_P12ihipStream_tbDpT10_ENKUlT_T0_E_clISt17integral_constantIbLb1EES19_IbLb0EEEEDaS15_S16_EUlS15_E_NS1_11comp_targetILNS1_3genE4ELNS1_11target_archE910ELNS1_3gpuE8ELNS1_3repE0EEENS1_30default_config_static_selectorELNS0_4arch9wavefront6targetE1EEEvT1_,comdat
	.protected	_ZN7rocprim17ROCPRIM_400000_NS6detail17trampoline_kernelINS0_14default_configENS1_25partition_config_selectorILNS1_17partition_subalgoE3EiNS0_10empty_typeEbEEZZNS1_14partition_implILS5_3ELb0ES3_jN6thrust23THRUST_200600_302600_NS6detail15normal_iteratorINSA_7pointerIiNSA_11hip_rocprim5par_tENSA_11use_defaultESG_EEEEPS6_SJ_NS0_5tupleIJPiSJ_EEENSK_IJSJ_SJ_EEES6_PlJ7is_evenIiEEEE10hipError_tPvRmT3_T4_T5_T6_T7_T9_mT8_P12ihipStream_tbDpT10_ENKUlT_T0_E_clISt17integral_constantIbLb1EES19_IbLb0EEEEDaS15_S16_EUlS15_E_NS1_11comp_targetILNS1_3genE4ELNS1_11target_archE910ELNS1_3gpuE8ELNS1_3repE0EEENS1_30default_config_static_selectorELNS0_4arch9wavefront6targetE1EEEvT1_ ; -- Begin function _ZN7rocprim17ROCPRIM_400000_NS6detail17trampoline_kernelINS0_14default_configENS1_25partition_config_selectorILNS1_17partition_subalgoE3EiNS0_10empty_typeEbEEZZNS1_14partition_implILS5_3ELb0ES3_jN6thrust23THRUST_200600_302600_NS6detail15normal_iteratorINSA_7pointerIiNSA_11hip_rocprim5par_tENSA_11use_defaultESG_EEEEPS6_SJ_NS0_5tupleIJPiSJ_EEENSK_IJSJ_SJ_EEES6_PlJ7is_evenIiEEEE10hipError_tPvRmT3_T4_T5_T6_T7_T9_mT8_P12ihipStream_tbDpT10_ENKUlT_T0_E_clISt17integral_constantIbLb1EES19_IbLb0EEEEDaS15_S16_EUlS15_E_NS1_11comp_targetILNS1_3genE4ELNS1_11target_archE910ELNS1_3gpuE8ELNS1_3repE0EEENS1_30default_config_static_selectorELNS0_4arch9wavefront6targetE1EEEvT1_
	.globl	_ZN7rocprim17ROCPRIM_400000_NS6detail17trampoline_kernelINS0_14default_configENS1_25partition_config_selectorILNS1_17partition_subalgoE3EiNS0_10empty_typeEbEEZZNS1_14partition_implILS5_3ELb0ES3_jN6thrust23THRUST_200600_302600_NS6detail15normal_iteratorINSA_7pointerIiNSA_11hip_rocprim5par_tENSA_11use_defaultESG_EEEEPS6_SJ_NS0_5tupleIJPiSJ_EEENSK_IJSJ_SJ_EEES6_PlJ7is_evenIiEEEE10hipError_tPvRmT3_T4_T5_T6_T7_T9_mT8_P12ihipStream_tbDpT10_ENKUlT_T0_E_clISt17integral_constantIbLb1EES19_IbLb0EEEEDaS15_S16_EUlS15_E_NS1_11comp_targetILNS1_3genE4ELNS1_11target_archE910ELNS1_3gpuE8ELNS1_3repE0EEENS1_30default_config_static_selectorELNS0_4arch9wavefront6targetE1EEEvT1_
	.p2align	8
	.type	_ZN7rocprim17ROCPRIM_400000_NS6detail17trampoline_kernelINS0_14default_configENS1_25partition_config_selectorILNS1_17partition_subalgoE3EiNS0_10empty_typeEbEEZZNS1_14partition_implILS5_3ELb0ES3_jN6thrust23THRUST_200600_302600_NS6detail15normal_iteratorINSA_7pointerIiNSA_11hip_rocprim5par_tENSA_11use_defaultESG_EEEEPS6_SJ_NS0_5tupleIJPiSJ_EEENSK_IJSJ_SJ_EEES6_PlJ7is_evenIiEEEE10hipError_tPvRmT3_T4_T5_T6_T7_T9_mT8_P12ihipStream_tbDpT10_ENKUlT_T0_E_clISt17integral_constantIbLb1EES19_IbLb0EEEEDaS15_S16_EUlS15_E_NS1_11comp_targetILNS1_3genE4ELNS1_11target_archE910ELNS1_3gpuE8ELNS1_3repE0EEENS1_30default_config_static_selectorELNS0_4arch9wavefront6targetE1EEEvT1_,@function
_ZN7rocprim17ROCPRIM_400000_NS6detail17trampoline_kernelINS0_14default_configENS1_25partition_config_selectorILNS1_17partition_subalgoE3EiNS0_10empty_typeEbEEZZNS1_14partition_implILS5_3ELb0ES3_jN6thrust23THRUST_200600_302600_NS6detail15normal_iteratorINSA_7pointerIiNSA_11hip_rocprim5par_tENSA_11use_defaultESG_EEEEPS6_SJ_NS0_5tupleIJPiSJ_EEENSK_IJSJ_SJ_EEES6_PlJ7is_evenIiEEEE10hipError_tPvRmT3_T4_T5_T6_T7_T9_mT8_P12ihipStream_tbDpT10_ENKUlT_T0_E_clISt17integral_constantIbLb1EES19_IbLb0EEEEDaS15_S16_EUlS15_E_NS1_11comp_targetILNS1_3genE4ELNS1_11target_archE910ELNS1_3gpuE8ELNS1_3repE0EEENS1_30default_config_static_selectorELNS0_4arch9wavefront6targetE1EEEvT1_: ; @_ZN7rocprim17ROCPRIM_400000_NS6detail17trampoline_kernelINS0_14default_configENS1_25partition_config_selectorILNS1_17partition_subalgoE3EiNS0_10empty_typeEbEEZZNS1_14partition_implILS5_3ELb0ES3_jN6thrust23THRUST_200600_302600_NS6detail15normal_iteratorINSA_7pointerIiNSA_11hip_rocprim5par_tENSA_11use_defaultESG_EEEEPS6_SJ_NS0_5tupleIJPiSJ_EEENSK_IJSJ_SJ_EEES6_PlJ7is_evenIiEEEE10hipError_tPvRmT3_T4_T5_T6_T7_T9_mT8_P12ihipStream_tbDpT10_ENKUlT_T0_E_clISt17integral_constantIbLb1EES19_IbLb0EEEEDaS15_S16_EUlS15_E_NS1_11comp_targetILNS1_3genE4ELNS1_11target_archE910ELNS1_3gpuE8ELNS1_3repE0EEENS1_30default_config_static_selectorELNS0_4arch9wavefront6targetE1EEEvT1_
; %bb.0:
	s_load_dwordx4 s[20:23], s[4:5], 0x8
	s_load_dwordx4 s[24:27], s[4:5], 0x48
	s_load_dwordx2 s[28:29], s[4:5], 0x58
	s_load_dword s2, s[4:5], 0x70
	s_mul_i32 s30, s6, 0xa00
	s_waitcnt lgkmcnt(0)
	s_lshl_b64 s[0:1], s[22:23], 2
	s_add_u32 s7, s20, s0
	s_addc_u32 s8, s21, s1
	s_mul_i32 s0, s2, 0xa00
	s_add_i32 s1, s0, s22
	s_sub_i32 s33, s28, s1
	s_add_i32 s3, s2, -1
	s_addk_i32 s33, 0xa00
	s_add_u32 s0, s22, s0
	s_addc_u32 s1, s23, 0
	s_cmp_eq_u32 s6, s3
	s_load_dwordx2 s[34:35], s[26:27], 0x0
	v_pk_mov_b32 v[2:3], s[28:29], s[28:29] op_sel:[0,1]
	s_cselect_b64 s[26:27], -1, 0
	s_cmp_lg_u32 s6, s3
	s_mov_b32 s31, 0
	v_cmp_lt_u64_e32 vcc, s[0:1], v[2:3]
	s_cselect_b64 s[0:1], -1, 0
	s_or_b64 s[2:3], s[0:1], vcc
	s_lshl_b64 s[0:1], s[30:31], 2
	s_add_u32 s7, s7, s0
	s_addc_u32 s10, s8, s1
	s_mov_b64 s[0:1], -1
	s_and_b64 vcc, exec, s[2:3]
	v_lshlrev_b32_e32 v1, 2, v0
	s_cbranch_vccz .LBB3680_2
; %bb.1:
	v_mov_b32_e32 v3, s10
	v_add_co_u32_e32 v2, vcc, s7, v1
	v_addc_co_u32_e32 v3, vcc, 0, v3, vcc
	v_add_co_u32_e32 v4, vcc, 0x1000, v2
	v_addc_co_u32_e32 v5, vcc, 0, v3, vcc
	flat_load_dword v6, v[2:3]
	flat_load_dword v7, v[2:3] offset:1024
	flat_load_dword v8, v[2:3] offset:2048
	;; [unrolled: 1-line block ×3, first 2 shown]
	flat_load_dword v10, v[4:5]
	flat_load_dword v11, v[4:5] offset:1024
	flat_load_dword v12, v[4:5] offset:2048
	flat_load_dword v13, v[4:5] offset:3072
	v_add_co_u32_e32 v2, vcc, 0x2000, v2
	v_addc_co_u32_e32 v3, vcc, 0, v3, vcc
	flat_load_dword v4, v[2:3]
	flat_load_dword v5, v[2:3] offset:1024
	s_mov_b64 s[0:1], 0
	s_waitcnt vmcnt(0) lgkmcnt(0)
	ds_write2st64_b32 v1, v6, v7 offset1:4
	ds_write2st64_b32 v1, v8, v9 offset0:8 offset1:12
	ds_write2st64_b32 v1, v10, v11 offset0:16 offset1:20
	ds_write2st64_b32 v1, v12, v13 offset0:24 offset1:28
	ds_write2st64_b32 v1, v4, v5 offset0:32 offset1:36
	s_waitcnt lgkmcnt(0)
	s_barrier
.LBB3680_2:
	s_andn2_b64 vcc, exec, s[0:1]
	v_cmp_gt_u32_e64 s[0:1], s33, v0
	s_cbranch_vccnz .LBB3680_24
; %bb.3:
                                        ; implicit-def: $vgpr2_vgpr3_vgpr4_vgpr5_vgpr6_vgpr7_vgpr8_vgpr9_vgpr10_vgpr11
	s_and_saveexec_b64 s[8:9], s[0:1]
	s_cbranch_execz .LBB3680_5
; %bb.4:
	v_mov_b32_e32 v3, s10
	v_add_co_u32_e32 v2, vcc, s7, v1
	v_addc_co_u32_e32 v3, vcc, 0, v3, vcc
	flat_load_dword v2, v[2:3]
.LBB3680_5:
	s_or_b64 exec, exec, s[8:9]
	v_or_b32_e32 v12, 0x100, v0
	v_cmp_gt_u32_e32 vcc, s33, v12
	s_and_saveexec_b64 s[0:1], vcc
	s_cbranch_execz .LBB3680_7
; %bb.6:
	v_mov_b32_e32 v3, s10
	v_add_co_u32_e32 v12, vcc, s7, v1
	v_addc_co_u32_e32 v13, vcc, 0, v3, vcc
	flat_load_dword v3, v[12:13] offset:1024
.LBB3680_7:
	s_or_b64 exec, exec, s[0:1]
	v_or_b32_e32 v12, 0x200, v0
	v_cmp_gt_u32_e32 vcc, s33, v12
	s_and_saveexec_b64 s[0:1], vcc
	s_cbranch_execz .LBB3680_9
; %bb.8:
	v_mov_b32_e32 v4, s10
	v_add_co_u32_e32 v12, vcc, s7, v1
	v_addc_co_u32_e32 v13, vcc, 0, v4, vcc
	flat_load_dword v4, v[12:13] offset:2048
.LBB3680_9:
	;; [unrolled: 11-line block ×3, first 2 shown]
	s_or_b64 exec, exec, s[0:1]
	v_or_b32_e32 v12, 0x400, v0
	v_cmp_gt_u32_e32 vcc, s33, v12
	s_and_saveexec_b64 s[0:1], vcc
	s_cbranch_execz .LBB3680_13
; %bb.12:
	v_lshlrev_b32_e32 v6, 2, v12
	v_mov_b32_e32 v13, s10
	v_add_co_u32_e32 v12, vcc, s7, v6
	v_addc_co_u32_e32 v13, vcc, 0, v13, vcc
	flat_load_dword v6, v[12:13]
.LBB3680_13:
	s_or_b64 exec, exec, s[0:1]
	v_or_b32_e32 v12, 0x500, v0
	v_cmp_gt_u32_e32 vcc, s33, v12
	s_and_saveexec_b64 s[0:1], vcc
	s_cbranch_execz .LBB3680_15
; %bb.14:
	v_lshlrev_b32_e32 v7, 2, v12
	v_mov_b32_e32 v13, s10
	v_add_co_u32_e32 v12, vcc, s7, v7
	v_addc_co_u32_e32 v13, vcc, 0, v13, vcc
	flat_load_dword v7, v[12:13]
.LBB3680_15:
	;; [unrolled: 12-line block ×6, first 2 shown]
	s_or_b64 exec, exec, s[0:1]
	s_waitcnt vmcnt(0) lgkmcnt(0)
	ds_write2st64_b32 v1, v2, v3 offset1:4
	ds_write2st64_b32 v1, v4, v5 offset0:8 offset1:12
	ds_write2st64_b32 v1, v6, v7 offset0:16 offset1:20
	ds_write2st64_b32 v1, v8, v9 offset0:24 offset1:28
	ds_write2st64_b32 v1, v10, v11 offset0:32 offset1:36
	s_waitcnt lgkmcnt(0)
	s_barrier
.LBB3680_24:
	v_mul_u32_u24_e32 v23, 10, v0
	v_lshlrev_b32_e32 v29, 2, v23
	s_waitcnt lgkmcnt(0)
	ds_read2_b64 v[6:9], v29 offset1:1
	ds_read2_b64 v[2:5], v29 offset0:2 offset1:3
	ds_read_b64 v[12:13], v29 offset:32
	v_cndmask_b32_e64 v10, 0, 1, s[2:3]
	v_cmp_ne_u32_e64 s[0:1], 1, v10
	s_andn2_b64 vcc, exec, s[2:3]
	s_waitcnt lgkmcnt(2)
	v_xor_b32_e32 v21, -1, v6
	v_xor_b32_e32 v20, -1, v7
	;; [unrolled: 1-line block ×4, first 2 shown]
	s_waitcnt lgkmcnt(1)
	v_xor_b32_e32 v17, -1, v2
	v_xor_b32_e32 v16, -1, v3
	;; [unrolled: 1-line block ×4, first 2 shown]
	s_waitcnt lgkmcnt(0)
	v_xor_b32_e32 v11, -1, v12
	v_xor_b32_e32 v10, -1, v13
	s_barrier
	s_cbranch_vccnz .LBB3680_26
; %bb.25:
	v_mov_b32_e32 v22, 1
	v_and_b32_e32 v25, 1, v21
	v_and_b32_sdwa v26, v20, v22 dst_sel:BYTE_1 dst_unused:UNUSED_PAD src0_sel:DWORD src1_sel:DWORD
	v_and_b32_e32 v27, 1, v19
	v_and_b32_sdwa v28, v18, v22 dst_sel:BYTE_1 dst_unused:UNUSED_PAD src0_sel:DWORD src1_sel:DWORD
	;; [unrolled: 2-line block ×4, first 2 shown]
	v_or_b32_e32 v25, v25, v26
	v_or_b32_sdwa v26, v27, v28 dst_sel:WORD_1 dst_unused:UNUSED_PAD src0_sel:DWORD src1_sel:DWORD
	v_or_b32_sdwa v26, v25, v26 dst_sel:DWORD dst_unused:UNUSED_PAD src0_sel:WORD_0 src1_sel:DWORD
	v_or_b32_e32 v25, v30, v31
	v_or_b32_sdwa v27, v32, v33 dst_sel:WORD_1 dst_unused:UNUSED_PAD src0_sel:DWORD src1_sel:DWORD
	v_and_b32_e32 v24, 1, v11
	v_and_b32_e32 v22, 1, v10
	v_or_b32_sdwa v25, v25, v27 dst_sel:DWORD dst_unused:UNUSED_PAD src0_sel:WORD_0 src1_sel:DWORD
	s_load_dwordx2 s[36:37], s[4:5], 0x68
	s_cbranch_execz .LBB3680_27
	s_branch .LBB3680_28
.LBB3680_26:
                                        ; implicit-def: $vgpr22
                                        ; implicit-def: $vgpr24
                                        ; implicit-def: $vgpr25
                                        ; implicit-def: $vgpr26
	s_load_dwordx2 s[36:37], s[4:5], 0x68
.LBB3680_27:
	v_or_b32_e32 v32, 1, v23
	v_cmp_gt_u32_e32 vcc, s33, v23
	v_add_u32_e32 v22, 2, v23
	v_cndmask_b32_e64 v33, 0, 1, vcc
	v_cmp_gt_u32_e32 vcc, s33, v32
	v_add_u32_e32 v31, 3, v23
	v_cndmask_b32_e64 v32, 0, 1, vcc
	;; [unrolled: 3-line block ×3, first 2 shown]
	v_cmp_gt_u32_e32 vcc, s33, v31
	v_add_u32_e32 v30, 5, v23
	v_and_b32_e32 v19, v22, v19
	v_cndmask_b32_e64 v22, 0, 1, vcc
	v_cmp_gt_u32_e32 vcc, s33, v24
	v_add_u32_e32 v25, 6, v23
	v_and_b32_sdwa v18, v22, v18 dst_sel:BYTE_1 dst_unused:UNUSED_PAD src0_sel:DWORD src1_sel:DWORD
	v_cndmask_b32_e64 v22, 0, 1, vcc
	v_cmp_gt_u32_e32 vcc, s33, v30
	v_add_u32_e32 v28, 7, v23
	v_and_b32_e32 v17, v22, v17
	v_cndmask_b32_e64 v22, 0, 1, vcc
	v_cmp_gt_u32_e32 vcc, s33, v25
	v_add_u32_e32 v26, 8, v23
	v_and_b32_sdwa v16, v22, v16 dst_sel:BYTE_1 dst_unused:UNUSED_PAD src0_sel:DWORD src1_sel:DWORD
	v_cndmask_b32_e64 v22, 0, 1, vcc
	v_cmp_gt_u32_e32 vcc, s33, v28
	v_add_u32_e32 v27, 9, v23
	v_and_b32_e32 v15, v22, v15
	v_cndmask_b32_e64 v22, 0, 1, vcc
	v_cmp_gt_u32_e32 vcc, s33, v26
	v_and_b32_sdwa v14, v22, v14 dst_sel:BYTE_1 dst_unused:UNUSED_PAD src0_sel:DWORD src1_sel:DWORD
	v_cndmask_b32_e64 v22, 0, 1, vcc
	v_cmp_gt_u32_e32 vcc, s33, v27
	v_and_b32_e32 v21, v33, v21
	v_and_b32_sdwa v20, v32, v20 dst_sel:BYTE_1 dst_unused:UNUSED_PAD src0_sel:DWORD src1_sel:DWORD
	v_and_b32_e32 v24, v22, v11
	v_cndmask_b32_e64 v11, 0, 1, vcc
	v_and_b32_e32 v22, v11, v10
	v_or_b32_e32 v10, v21, v20
	v_or_b32_sdwa v11, v19, v18 dst_sel:WORD_1 dst_unused:UNUSED_PAD src0_sel:DWORD src1_sel:DWORD
	v_or_b32_sdwa v26, v10, v11 dst_sel:DWORD dst_unused:UNUSED_PAD src0_sel:WORD_0 src1_sel:DWORD
	v_or_b32_e32 v10, v17, v16
	v_or_b32_sdwa v11, v15, v14 dst_sel:WORD_1 dst_unused:UNUSED_PAD src0_sel:DWORD src1_sel:DWORD
	v_or_b32_sdwa v25, v10, v11 dst_sel:DWORD dst_unused:UNUSED_PAD src0_sel:WORD_0 src1_sel:DWORD
.LBB3680_28:
	v_bfe_u32 v30, v26, 16, 8
	v_lshrrev_b32_e32 v28, 24, v26
	v_add_u32_sdwa v11, v26, v26 dst_sel:DWORD dst_unused:UNUSED_PAD src0_sel:BYTE_1 src1_sel:BYTE_0
	v_and_b32_e32 v31, 0xff, v25
	v_bfe_u32 v32, v25, 8, 8
	v_add3_u32 v11, v11, v30, v28
	v_bfe_u32 v33, v25, 16, 8
	v_lshrrev_b32_e32 v27, 24, v25
	v_add3_u32 v11, v11, v31, v32
	v_and_b32_e32 v34, 0xff, v24
	v_and_b32_e32 v10, 0xff, v22
	v_add3_u32 v11, v11, v33, v27
	v_add3_u32 v37, v11, v34, v10
	v_mbcnt_lo_u32_b32 v10, -1, 0
	v_mbcnt_hi_u32_b32 v35, -1, v10
	v_and_b32_e32 v10, 15, v35
	v_cmp_eq_u32_e64 s[16:17], 0, v10
	v_cmp_lt_u32_e64 s[14:15], 1, v10
	v_cmp_lt_u32_e64 s[12:13], 3, v10
	;; [unrolled: 1-line block ×3, first 2 shown]
	v_and_b32_e32 v10, 16, v35
	v_cmp_eq_u32_e64 s[8:9], 0, v10
	v_or_b32_e32 v10, 63, v0
	s_cmp_lg_u32 s6, 0
	v_cmp_lt_u32_e64 s[2:3], 31, v35
	v_lshrrev_b32_e32 v36, 6, v0
	v_cmp_eq_u32_e64 s[20:21], v10, v0
	s_cbranch_scc0 .LBB3680_59
; %bb.29:
	v_mov_b32_dpp v10, v37 row_shr:1 row_mask:0xf bank_mask:0xf
	v_cndmask_b32_e64 v10, v10, 0, s[16:17]
	v_add_u32_e32 v10, v10, v37
	s_nop 1
	v_mov_b32_dpp v11, v10 row_shr:2 row_mask:0xf bank_mask:0xf
	v_cndmask_b32_e64 v11, 0, v11, s[14:15]
	v_add_u32_e32 v10, v10, v11
	s_nop 1
	;; [unrolled: 4-line block ×4, first 2 shown]
	v_mov_b32_dpp v11, v10 row_bcast:15 row_mask:0xf bank_mask:0xf
	v_cndmask_b32_e64 v11, v11, 0, s[8:9]
	v_add_u32_e32 v10, v10, v11
	s_nop 1
	v_mov_b32_dpp v11, v10 row_bcast:31 row_mask:0xf bank_mask:0xf
	v_cndmask_b32_e64 v11, 0, v11, s[2:3]
	v_add_u32_e32 v10, v10, v11
	s_and_saveexec_b64 s[18:19], s[20:21]
	s_cbranch_execz .LBB3680_31
; %bb.30:
	v_lshlrev_b32_e32 v11, 2, v36
	ds_write_b32 v11, v10
.LBB3680_31:
	s_or_b64 exec, exec, s[18:19]
	v_cmp_gt_u32_e32 vcc, 4, v0
	s_waitcnt lgkmcnt(0)
	s_barrier
	s_and_saveexec_b64 s[18:19], vcc
	s_cbranch_execz .LBB3680_33
; %bb.32:
	ds_read_b32 v11, v1
	v_and_b32_e32 v14, 3, v35
	v_cmp_ne_u32_e32 vcc, 0, v14
	s_waitcnt lgkmcnt(0)
	v_mov_b32_dpp v15, v11 row_shr:1 row_mask:0xf bank_mask:0xf
	v_cndmask_b32_e32 v15, 0, v15, vcc
	v_add_u32_e32 v11, v15, v11
	v_cmp_lt_u32_e32 vcc, 1, v14
	s_nop 0
	v_mov_b32_dpp v15, v11 row_shr:2 row_mask:0xf bank_mask:0xf
	v_cndmask_b32_e32 v14, 0, v15, vcc
	v_add_u32_e32 v11, v11, v14
	ds_write_b32 v1, v11
.LBB3680_33:
	s_or_b64 exec, exec, s[18:19]
	v_cmp_gt_u32_e32 vcc, 64, v0
	v_cmp_lt_u32_e64 s[18:19], 63, v0
	s_waitcnt lgkmcnt(0)
	s_barrier
	s_waitcnt lgkmcnt(0)
                                        ; implicit-def: $vgpr38
	s_and_saveexec_b64 s[38:39], s[18:19]
	s_cbranch_execz .LBB3680_35
; %bb.34:
	v_lshl_add_u32 v11, v36, 2, -4
	ds_read_b32 v38, v11
	s_waitcnt lgkmcnt(0)
	v_add_u32_e32 v10, v38, v10
.LBB3680_35:
	s_or_b64 exec, exec, s[38:39]
	v_add_u32_e32 v11, -1, v35
	v_and_b32_e32 v14, 64, v35
	v_cmp_lt_i32_e64 s[18:19], v11, v14
	v_cndmask_b32_e64 v11, v11, v35, s[18:19]
	v_lshlrev_b32_e32 v11, 2, v11
	ds_bpermute_b32 v39, v11, v10
	v_cmp_eq_u32_e64 s[18:19], 0, v35
	s_and_saveexec_b64 s[38:39], vcc
	s_cbranch_execz .LBB3680_58
; %bb.36:
	v_mov_b32_e32 v21, 0
	ds_read_b32 v10, v21 offset:12
	s_and_saveexec_b64 s[40:41], s[18:19]
	s_cbranch_execz .LBB3680_38
; %bb.37:
	s_add_i32 s42, s6, 64
	s_mov_b32 s43, 0
	s_lshl_b64 s[42:43], s[42:43], 3
	s_add_u32 s42, s36, s42
	v_mov_b32_e32 v11, 1
	s_addc_u32 s43, s37, s43
	s_waitcnt lgkmcnt(0)
	global_store_dwordx2 v21, v[10:11], s[42:43]
.LBB3680_38:
	s_or_b64 exec, exec, s[40:41]
	v_xad_u32 v14, v35, -1, s6
	v_add_u32_e32 v20, 64, v14
	v_lshlrev_b64 v[16:17], 3, v[20:21]
	v_mov_b32_e32 v11, s37
	v_add_co_u32_e32 v16, vcc, s36, v16
	v_addc_co_u32_e32 v17, vcc, v11, v17, vcc
	global_load_dwordx2 v[18:19], v[16:17], off glc
	s_waitcnt vmcnt(0)
	v_cmp_eq_u16_sdwa s[42:43], v19, v21 src0_sel:BYTE_0 src1_sel:DWORD
	s_and_saveexec_b64 s[40:41], s[42:43]
	s_cbranch_execz .LBB3680_44
; %bb.39:
	s_mov_b32 s7, 1
	s_mov_b64 s[42:43], 0
	v_mov_b32_e32 v11, 0
.LBB3680_40:                            ; =>This Loop Header: Depth=1
                                        ;     Child Loop BB3680_41 Depth 2
	s_max_u32 s31, s7, 1
.LBB3680_41:                            ;   Parent Loop BB3680_40 Depth=1
                                        ; =>  This Inner Loop Header: Depth=2
	s_add_i32 s31, s31, -1
	s_cmp_eq_u32 s31, 0
	s_sleep 1
	s_cbranch_scc0 .LBB3680_41
; %bb.42:                               ;   in Loop: Header=BB3680_40 Depth=1
	global_load_dwordx2 v[18:19], v[16:17], off glc
	s_cmp_lt_u32 s7, 32
	s_cselect_b64 s[44:45], -1, 0
	s_cmp_lg_u64 s[44:45], 0
	s_addc_u32 s7, s7, 0
	s_waitcnt vmcnt(0)
	v_cmp_ne_u16_sdwa s[44:45], v19, v11 src0_sel:BYTE_0 src1_sel:DWORD
	s_or_b64 s[42:43], s[44:45], s[42:43]
	s_andn2_b64 exec, exec, s[42:43]
	s_cbranch_execnz .LBB3680_40
; %bb.43:
	s_or_b64 exec, exec, s[42:43]
.LBB3680_44:
	s_or_b64 exec, exec, s[40:41]
	v_and_b32_e32 v41, 63, v35
	v_mov_b32_e32 v40, 2
	v_cmp_ne_u32_e32 vcc, 63, v41
	v_cmp_eq_u16_sdwa s[40:41], v19, v40 src0_sel:BYTE_0 src1_sel:DWORD
	v_lshlrev_b64 v[16:17], v35, -1
	v_addc_co_u32_e32 v20, vcc, 0, v35, vcc
	v_and_b32_e32 v11, s41, v17
	v_lshlrev_b32_e32 v42, 2, v20
	v_or_b32_e32 v11, 0x80000000, v11
	ds_bpermute_b32 v20, v42, v18
	v_and_b32_e32 v15, s40, v16
	v_ffbl_b32_e32 v11, v11
	v_add_u32_e32 v11, 32, v11
	v_ffbl_b32_e32 v15, v15
	v_min_u32_e32 v11, v15, v11
	v_cmp_lt_u32_e32 vcc, v41, v11
	s_waitcnt lgkmcnt(0)
	v_cndmask_b32_e32 v15, 0, v20, vcc
	v_cmp_gt_u32_e32 vcc, 62, v41
	v_add_u32_e32 v15, v15, v18
	v_cndmask_b32_e64 v18, 0, 1, vcc
	v_lshlrev_b32_e32 v18, 1, v18
	v_add_lshl_u32 v43, v18, v35, 2
	ds_bpermute_b32 v18, v43, v15
	v_add_u32_e32 v44, 2, v41
	v_cmp_le_u32_e32 vcc, v44, v11
	v_add_u32_e32 v46, 4, v41
	v_add_u32_e32 v48, 8, v41
	s_waitcnt lgkmcnt(0)
	v_cndmask_b32_e32 v18, 0, v18, vcc
	v_cmp_gt_u32_e32 vcc, 60, v41
	v_add_u32_e32 v15, v15, v18
	v_cndmask_b32_e64 v18, 0, 1, vcc
	v_lshlrev_b32_e32 v18, 2, v18
	v_add_lshl_u32 v45, v18, v35, 2
	ds_bpermute_b32 v18, v45, v15
	v_cmp_le_u32_e32 vcc, v46, v11
	v_add_u32_e32 v50, 16, v41
	v_add_u32_e32 v52, 32, v41
	s_waitcnt lgkmcnt(0)
	v_cndmask_b32_e32 v18, 0, v18, vcc
	v_cmp_gt_u32_e32 vcc, 56, v41
	v_add_u32_e32 v15, v15, v18
	v_cndmask_b32_e64 v18, 0, 1, vcc
	v_lshlrev_b32_e32 v18, 3, v18
	v_add_lshl_u32 v47, v18, v35, 2
	ds_bpermute_b32 v18, v47, v15
	v_cmp_le_u32_e32 vcc, v48, v11
	s_waitcnt lgkmcnt(0)
	v_cndmask_b32_e32 v18, 0, v18, vcc
	v_cmp_gt_u32_e32 vcc, 48, v41
	v_add_u32_e32 v15, v15, v18
	v_cndmask_b32_e64 v18, 0, 1, vcc
	v_lshlrev_b32_e32 v18, 4, v18
	v_add_lshl_u32 v49, v18, v35, 2
	ds_bpermute_b32 v18, v49, v15
	v_cmp_le_u32_e32 vcc, v50, v11
	;; [unrolled: 9-line block ×3, first 2 shown]
	s_waitcnt lgkmcnt(0)
	v_cndmask_b32_e32 v11, 0, v18, vcc
	v_add_u32_e32 v18, v15, v11
	v_mov_b32_e32 v15, 0
	s_branch .LBB3680_46
.LBB3680_45:                            ;   in Loop: Header=BB3680_46 Depth=1
	s_or_b64 exec, exec, s[40:41]
	v_cmp_eq_u16_sdwa s[40:41], v19, v40 src0_sel:BYTE_0 src1_sel:DWORD
	v_and_b32_e32 v20, s41, v17
	v_or_b32_e32 v20, 0x80000000, v20
	ds_bpermute_b32 v53, v42, v18
	v_and_b32_e32 v21, s40, v16
	v_ffbl_b32_e32 v20, v20
	v_add_u32_e32 v20, 32, v20
	v_ffbl_b32_e32 v21, v21
	v_min_u32_e32 v20, v21, v20
	v_cmp_lt_u32_e32 vcc, v41, v20
	s_waitcnt lgkmcnt(0)
	v_cndmask_b32_e32 v21, 0, v53, vcc
	v_add_u32_e32 v18, v21, v18
	ds_bpermute_b32 v21, v43, v18
	v_cmp_le_u32_e32 vcc, v44, v20
	v_subrev_u32_e32 v14, 64, v14
	s_waitcnt lgkmcnt(0)
	v_cndmask_b32_e32 v21, 0, v21, vcc
	v_add_u32_e32 v18, v18, v21
	ds_bpermute_b32 v21, v45, v18
	v_cmp_le_u32_e32 vcc, v46, v20
	s_waitcnt lgkmcnt(0)
	v_cndmask_b32_e32 v21, 0, v21, vcc
	v_add_u32_e32 v18, v18, v21
	ds_bpermute_b32 v21, v47, v18
	v_cmp_le_u32_e32 vcc, v48, v20
	;; [unrolled: 5-line block ×4, first 2 shown]
	s_waitcnt lgkmcnt(0)
	v_cndmask_b32_e32 v20, 0, v21, vcc
	v_add3_u32 v18, v20, v11, v18
.LBB3680_46:                            ; =>This Loop Header: Depth=1
                                        ;     Child Loop BB3680_49 Depth 2
                                        ;       Child Loop BB3680_50 Depth 3
	v_cmp_ne_u16_sdwa s[40:41], v19, v40 src0_sel:BYTE_0 src1_sel:DWORD
	v_cndmask_b32_e64 v11, 0, 1, s[40:41]
	;;#ASMSTART
	;;#ASMEND
	v_cmp_ne_u32_e32 vcc, 0, v11
	s_cmp_lg_u64 vcc, exec
	v_mov_b32_e32 v11, v18
	s_cbranch_scc1 .LBB3680_53
; %bb.47:                               ;   in Loop: Header=BB3680_46 Depth=1
	v_lshlrev_b64 v[18:19], 3, v[14:15]
	v_mov_b32_e32 v21, s37
	v_add_co_u32_e32 v20, vcc, s36, v18
	v_addc_co_u32_e32 v21, vcc, v21, v19, vcc
	global_load_dwordx2 v[18:19], v[20:21], off glc
	s_waitcnt vmcnt(0)
	v_cmp_eq_u16_sdwa s[42:43], v19, v15 src0_sel:BYTE_0 src1_sel:DWORD
	s_and_saveexec_b64 s[40:41], s[42:43]
	s_cbranch_execz .LBB3680_45
; %bb.48:                               ;   in Loop: Header=BB3680_46 Depth=1
	s_mov_b32 s7, 1
	s_mov_b64 s[42:43], 0
.LBB3680_49:                            ;   Parent Loop BB3680_46 Depth=1
                                        ; =>  This Loop Header: Depth=2
                                        ;       Child Loop BB3680_50 Depth 3
	s_max_u32 s31, s7, 1
.LBB3680_50:                            ;   Parent Loop BB3680_46 Depth=1
                                        ;     Parent Loop BB3680_49 Depth=2
                                        ; =>    This Inner Loop Header: Depth=3
	s_add_i32 s31, s31, -1
	s_cmp_eq_u32 s31, 0
	s_sleep 1
	s_cbranch_scc0 .LBB3680_50
; %bb.51:                               ;   in Loop: Header=BB3680_49 Depth=2
	global_load_dwordx2 v[18:19], v[20:21], off glc
	s_cmp_lt_u32 s7, 32
	s_cselect_b64 s[44:45], -1, 0
	s_cmp_lg_u64 s[44:45], 0
	s_addc_u32 s7, s7, 0
	s_waitcnt vmcnt(0)
	v_cmp_ne_u16_sdwa s[44:45], v19, v15 src0_sel:BYTE_0 src1_sel:DWORD
	s_or_b64 s[42:43], s[44:45], s[42:43]
	s_andn2_b64 exec, exec, s[42:43]
	s_cbranch_execnz .LBB3680_49
; %bb.52:                               ;   in Loop: Header=BB3680_46 Depth=1
	s_or_b64 exec, exec, s[42:43]
	s_branch .LBB3680_45
.LBB3680_53:                            ;   in Loop: Header=BB3680_46 Depth=1
                                        ; implicit-def: $vgpr18
                                        ; implicit-def: $vgpr19
	s_cbranch_execz .LBB3680_46
; %bb.54:
	s_and_saveexec_b64 s[40:41], s[18:19]
	s_cbranch_execz .LBB3680_56
; %bb.55:
	s_add_i32 s6, s6, 64
	s_mov_b32 s7, 0
	s_lshl_b64 s[6:7], s[6:7], 3
	s_add_u32 s6, s36, s6
	v_add_u32_e32 v14, v11, v10
	v_mov_b32_e32 v15, 2
	s_addc_u32 s7, s37, s7
	v_mov_b32_e32 v16, 0
	global_store_dwordx2 v16, v[14:15], s[6:7]
	ds_write_b64 v16, v[10:11] offset:10240
.LBB3680_56:
	s_or_b64 exec, exec, s[40:41]
	v_cmp_eq_u32_e32 vcc, 0, v0
	s_and_b64 exec, exec, vcc
	s_cbranch_execz .LBB3680_58
; %bb.57:
	v_mov_b32_e32 v10, 0
	ds_write_b32 v10, v11 offset:12
.LBB3680_58:
	s_or_b64 exec, exec, s[38:39]
	v_mov_b32_e32 v10, 0
	s_waitcnt lgkmcnt(0)
	s_barrier
	ds_read_b32 v11, v10 offset:12
	v_cndmask_b32_e64 v14, v39, v38, s[18:19]
	v_cmp_ne_u32_e32 vcc, 0, v0
	v_cndmask_b32_e32 v14, 0, v14, vcc
	s_waitcnt lgkmcnt(0)
	v_add_u32_e32 v39, v11, v14
	v_add_u32_sdwa v38, v39, v26 dst_sel:DWORD dst_unused:UNUSED_PAD src0_sel:DWORD src1_sel:BYTE_0
	v_add_u32_sdwa v21, v38, v26 dst_sel:DWORD dst_unused:UNUSED_PAD src0_sel:DWORD src1_sel:BYTE_1
	v_add_u32_e32 v20, v21, v30
	v_add_u32_e32 v19, v20, v28
	;; [unrolled: 1-line block ×3, first 2 shown]
	s_barrier
	ds_read_b64 v[10:11], v10 offset:10240
	v_add_u32_e32 v17, v18, v32
	v_add_u32_e32 v16, v17, v33
	;; [unrolled: 1-line block ×4, first 2 shown]
	s_load_dwordx2 s[4:5], s[4:5], 0x28
	s_branch .LBB3680_69
.LBB3680_59:
                                        ; implicit-def: $vgpr11
                                        ; implicit-def: $vgpr14
                                        ; implicit-def: $vgpr15
                                        ; implicit-def: $vgpr16
                                        ; implicit-def: $vgpr17
                                        ; implicit-def: $vgpr18
                                        ; implicit-def: $vgpr19
                                        ; implicit-def: $vgpr20
                                        ; implicit-def: $vgpr21
                                        ; implicit-def: $vgpr38
                                        ; implicit-def: $vgpr39
	s_load_dwordx2 s[4:5], s[4:5], 0x28
	s_cbranch_execz .LBB3680_69
; %bb.60:
	s_waitcnt lgkmcnt(0)
	v_mov_b32_dpp v10, v37 row_shr:1 row_mask:0xf bank_mask:0xf
	v_cndmask_b32_e64 v10, v10, 0, s[16:17]
	v_add_u32_e32 v10, v10, v37
	s_nop 1
	v_mov_b32_dpp v11, v10 row_shr:2 row_mask:0xf bank_mask:0xf
	v_cndmask_b32_e64 v11, 0, v11, s[14:15]
	v_add_u32_e32 v10, v10, v11
	s_nop 1
	;; [unrolled: 4-line block ×4, first 2 shown]
	v_mov_b32_dpp v11, v10 row_bcast:15 row_mask:0xf bank_mask:0xf
	v_cndmask_b32_e64 v11, v11, 0, s[8:9]
	v_add_u32_e32 v10, v10, v11
	s_nop 1
	v_mov_b32_dpp v11, v10 row_bcast:31 row_mask:0xf bank_mask:0xf
	v_cndmask_b32_e64 v11, 0, v11, s[2:3]
	v_add_u32_e32 v10, v10, v11
	s_and_saveexec_b64 s[2:3], s[20:21]
	s_cbranch_execz .LBB3680_62
; %bb.61:
	v_lshlrev_b32_e32 v11, 2, v36
	ds_write_b32 v11, v10
.LBB3680_62:
	s_or_b64 exec, exec, s[2:3]
	v_cmp_gt_u32_e32 vcc, 4, v0
	s_waitcnt lgkmcnt(0)
	s_barrier
	s_and_saveexec_b64 s[2:3], vcc
	s_cbranch_execz .LBB3680_64
; %bb.63:
	s_movk_i32 s6, 0xffdc
	v_mad_i32_i24 v11, v0, s6, v29
	ds_read_b32 v14, v11
	v_and_b32_e32 v15, 3, v35
	v_cmp_ne_u32_e32 vcc, 0, v15
	s_waitcnt lgkmcnt(0)
	v_mov_b32_dpp v16, v14 row_shr:1 row_mask:0xf bank_mask:0xf
	v_cndmask_b32_e32 v16, 0, v16, vcc
	v_add_u32_e32 v14, v16, v14
	v_cmp_lt_u32_e32 vcc, 1, v15
	s_nop 0
	v_mov_b32_dpp v16, v14 row_shr:2 row_mask:0xf bank_mask:0xf
	v_cndmask_b32_e32 v15, 0, v16, vcc
	v_add_u32_e32 v14, v14, v15
	ds_write_b32 v11, v14
.LBB3680_64:
	s_or_b64 exec, exec, s[2:3]
	v_cmp_lt_u32_e32 vcc, 63, v0
	v_mov_b32_e32 v11, 0
	v_mov_b32_e32 v14, 0
	s_waitcnt lgkmcnt(0)
	s_barrier
	s_and_saveexec_b64 s[2:3], vcc
	s_cbranch_execz .LBB3680_66
; %bb.65:
	v_lshl_add_u32 v14, v36, 2, -4
	ds_read_b32 v14, v14
.LBB3680_66:
	s_or_b64 exec, exec, s[2:3]
	v_add_u32_e32 v15, -1, v35
	v_and_b32_e32 v16, 64, v35
	v_cmp_lt_i32_e32 vcc, v15, v16
	v_cndmask_b32_e32 v15, v15, v35, vcc
	s_waitcnt lgkmcnt(0)
	v_add_u32_e32 v10, v14, v10
	v_lshlrev_b32_e32 v15, 2, v15
	ds_bpermute_b32 v15, v15, v10
	ds_read_b32 v10, v11 offset:12
	v_cmp_eq_u32_e32 vcc, 0, v0
	s_and_saveexec_b64 s[2:3], vcc
	s_cbranch_execz .LBB3680_68
; %bb.67:
	v_mov_b32_e32 v16, 0
	v_mov_b32_e32 v11, 2
	s_waitcnt lgkmcnt(0)
	global_store_dwordx2 v16, v[10:11], s[36:37] offset:512
.LBB3680_68:
	s_or_b64 exec, exec, s[2:3]
	v_cmp_eq_u32_e64 s[2:3], 0, v35
	s_waitcnt lgkmcnt(1)
	v_cndmask_b32_e64 v14, v15, v14, s[2:3]
	v_cndmask_b32_e64 v39, v14, 0, vcc
	v_add_u32_sdwa v38, v39, v26 dst_sel:DWORD dst_unused:UNUSED_PAD src0_sel:DWORD src1_sel:BYTE_0
	v_add_u32_sdwa v21, v38, v26 dst_sel:DWORD dst_unused:UNUSED_PAD src0_sel:DWORD src1_sel:BYTE_1
	v_add_u32_e32 v20, v21, v30
	v_add_u32_e32 v19, v20, v28
	;; [unrolled: 1-line block ×6, first 2 shown]
	v_mov_b32_e32 v11, 0
	v_add_u32_e32 v14, v15, v34
	s_waitcnt lgkmcnt(0)
	s_barrier
.LBB3680_69:
	s_waitcnt lgkmcnt(0)
	v_add_u32_e32 v23, v10, v23
	v_sub_u32_e32 v31, v39, v11
	v_and_b32_e32 v33, 1, v26
	v_sub_u32_e32 v32, v23, v31
	v_cmp_eq_u32_e32 vcc, 1, v33
	v_cndmask_b32_e32 v31, v32, v31, vcc
	v_lshlrev_b32_e32 v31, 2, v31
	v_lshrrev_b32_e32 v30, 8, v26
	ds_write_b32 v31, v6
	v_sub_u32_e32 v6, v38, v11
	v_sub_u32_e32 v31, v23, v6
	v_and_b32_e32 v30, 1, v30
	v_add_u32_e32 v31, 1, v31
	v_cmp_eq_u32_e32 vcc, 1, v30
	v_cndmask_b32_e32 v6, v31, v6, vcc
	v_lshlrev_b32_e32 v6, 2, v6
	ds_write_b32 v6, v7
	v_sub_u32_e32 v6, v21, v11
	v_mov_b32_e32 v21, 1
	v_sub_u32_e32 v7, v23, v6
	v_and_b32_sdwa v26, v21, v26 dst_sel:DWORD dst_unused:UNUSED_PAD src0_sel:DWORD src1_sel:WORD_1
	v_add_u32_e32 v7, 2, v7
	v_cmp_eq_u32_e32 vcc, 1, v26
	v_cndmask_b32_e32 v6, v7, v6, vcc
	v_lshlrev_b32_e32 v6, 2, v6
	ds_write_b32 v6, v8
	v_sub_u32_e32 v6, v20, v11
	v_sub_u32_e32 v7, v23, v6
	v_and_b32_e32 v8, 1, v28
	v_add_u32_e32 v7, 3, v7
	v_cmp_eq_u32_e32 vcc, 1, v8
	v_cndmask_b32_e32 v6, v7, v6, vcc
	v_lshlrev_b32_e32 v6, 2, v6
	ds_write_b32 v6, v9
	v_sub_u32_e32 v6, v19, v11
	v_sub_u32_e32 v7, v23, v6
	v_and_b32_e32 v8, 1, v25
	v_add_u32_e32 v7, 4, v7
	v_cmp_eq_u32_e32 vcc, 1, v8
	v_cndmask_b32_e32 v6, v7, v6, vcc
	v_lshlrev_b32_e32 v6, 2, v6
	v_lshrrev_b32_e32 v29, 8, v25
	ds_write_b32 v6, v2
	v_sub_u32_e32 v2, v18, v11
	v_sub_u32_e32 v6, v23, v2
	v_and_b32_e32 v7, 1, v29
	v_add_u32_e32 v6, 5, v6
	v_cmp_eq_u32_e32 vcc, 1, v7
	v_cndmask_b32_e32 v2, v6, v2, vcc
	v_lshlrev_b32_e32 v2, 2, v2
	ds_write_b32 v2, v3
	v_sub_u32_e32 v2, v17, v11
	v_sub_u32_e32 v3, v23, v2
	v_and_b32_sdwa v6, v21, v25 dst_sel:DWORD dst_unused:UNUSED_PAD src0_sel:DWORD src1_sel:WORD_1
	v_add_u32_e32 v3, 6, v3
	v_cmp_eq_u32_e32 vcc, 1, v6
	v_cndmask_b32_e32 v2, v3, v2, vcc
	v_lshlrev_b32_e32 v2, 2, v2
	ds_write_b32 v2, v4
	v_sub_u32_e32 v2, v16, v11
	v_sub_u32_e32 v3, v23, v2
	v_and_b32_e32 v4, 1, v27
	v_add_u32_e32 v3, 7, v3
	v_cmp_eq_u32_e32 vcc, 1, v4
	v_cndmask_b32_e32 v2, v3, v2, vcc
	v_lshlrev_b32_e32 v2, 2, v2
	ds_write_b32 v2, v5
	v_sub_u32_e32 v2, v15, v11
	v_sub_u32_e32 v3, v23, v2
	v_and_b32_e32 v4, 1, v24
	;; [unrolled: 8-line block ×3, first 2 shown]
	v_add_u32_e32 v3, 9, v3
	v_cmp_eq_u32_e32 vcc, 1, v4
	v_cndmask_b32_e32 v2, v3, v2, vcc
	s_add_u32 s2, s22, s30
	v_lshlrev_b32_e32 v2, 2, v2
	s_addc_u32 s3, s23, 0
	ds_write_b32 v2, v13
	s_waitcnt lgkmcnt(0)
	s_barrier
	ds_read2st64_b32 v[12:13], v1 offset1:4
	ds_read2st64_b32 v[8:9], v1 offset0:8 offset1:12
	ds_read2st64_b32 v[6:7], v1 offset0:16 offset1:20
	;; [unrolled: 1-line block ×4, first 2 shown]
	v_mov_b32_e32 v14, s35
	v_add_co_u32_e32 v1, vcc, s34, v11
	s_sub_u32 s2, s28, s2
	v_addc_co_u32_e32 v11, vcc, 0, v14, vcc
	s_subb_u32 s3, s29, s3
	v_mov_b32_e32 v14, s3
	v_add_co_u32_e32 v15, vcc, s2, v10
	v_addc_co_u32_e32 v14, vcc, 0, v14, vcc
	s_and_b64 vcc, exec, s[0:1]
	v_add_co_u32_e64 v17, s[0:1], v15, v1
	v_or_b32_e32 v26, 0x100, v0
	v_or_b32_e32 v25, 0x200, v0
	;; [unrolled: 1-line block ×9, first 2 shown]
	v_addc_co_u32_e64 v18, s[0:1], v14, v11, s[0:1]
	s_cbranch_vccnz .LBB3680_111
; %bb.70:
	v_cmp_ge_u32_e32 vcc, v0, v10
                                        ; implicit-def: $vgpr14_vgpr15
	s_and_saveexec_b64 s[0:1], vcc
	s_xor_b64 s[0:1], exec, s[0:1]
; %bb.71:
	v_not_b32_e32 v14, v0
	v_ashrrev_i32_e32 v15, 31, v14
	v_add_co_u32_e32 v14, vcc, v17, v14
	v_addc_co_u32_e32 v15, vcc, v18, v15, vcc
; %bb.72:
	s_andn2_saveexec_b64 s[0:1], s[0:1]
; %bb.73:
	v_add_co_u32_e32 v14, vcc, v1, v0
	v_addc_co_u32_e32 v15, vcc, 0, v11, vcc
; %bb.74:
	s_or_b64 exec, exec, s[0:1]
	v_lshlrev_b64 v[14:15], 2, v[14:15]
	v_mov_b32_e32 v27, s5
	v_add_co_u32_e32 v14, vcc, s4, v14
	v_addc_co_u32_e32 v15, vcc, v27, v15, vcc
	v_cmp_ge_u32_e32 vcc, v26, v10
	s_waitcnt lgkmcnt(4)
	global_store_dword v[14:15], v12, off
                                        ; implicit-def: $vgpr14_vgpr15
	s_and_saveexec_b64 s[0:1], vcc
	s_xor_b64 s[0:1], exec, s[0:1]
; %bb.75:
	v_xor_b32_e32 v14, 0xfffffeff, v0
	v_ashrrev_i32_e32 v15, 31, v14
	v_add_co_u32_e32 v14, vcc, v17, v14
	v_addc_co_u32_e32 v15, vcc, v18, v15, vcc
; %bb.76:
	s_andn2_saveexec_b64 s[0:1], s[0:1]
; %bb.77:
	v_add_co_u32_e32 v14, vcc, v1, v26
	v_addc_co_u32_e32 v15, vcc, 0, v11, vcc
; %bb.78:
	s_or_b64 exec, exec, s[0:1]
	v_lshlrev_b64 v[14:15], 2, v[14:15]
	v_mov_b32_e32 v27, s5
	v_add_co_u32_e32 v14, vcc, s4, v14
	v_addc_co_u32_e32 v15, vcc, v27, v15, vcc
	v_cmp_ge_u32_e32 vcc, v25, v10
	global_store_dword v[14:15], v13, off
                                        ; implicit-def: $vgpr14_vgpr15
	s_and_saveexec_b64 s[0:1], vcc
	s_xor_b64 s[0:1], exec, s[0:1]
; %bb.79:
	v_xor_b32_e32 v14, 0xfffffdff, v0
	v_ashrrev_i32_e32 v15, 31, v14
	v_add_co_u32_e32 v14, vcc, v17, v14
	v_addc_co_u32_e32 v15, vcc, v18, v15, vcc
; %bb.80:
	s_andn2_saveexec_b64 s[0:1], s[0:1]
; %bb.81:
	v_add_co_u32_e32 v14, vcc, v1, v25
	v_addc_co_u32_e32 v15, vcc, 0, v11, vcc
; %bb.82:
	s_or_b64 exec, exec, s[0:1]
	v_lshlrev_b64 v[14:15], 2, v[14:15]
	v_mov_b32_e32 v27, s5
	v_add_co_u32_e32 v14, vcc, s4, v14
	v_addc_co_u32_e32 v15, vcc, v27, v15, vcc
	v_cmp_ge_u32_e32 vcc, v24, v10
	s_waitcnt lgkmcnt(3)
	global_store_dword v[14:15], v8, off
                                        ; implicit-def: $vgpr14_vgpr15
	s_and_saveexec_b64 s[0:1], vcc
	s_xor_b64 s[0:1], exec, s[0:1]
; %bb.83:
	v_xor_b32_e32 v14, 0xfffffcff, v0
	v_ashrrev_i32_e32 v15, 31, v14
	v_add_co_u32_e32 v14, vcc, v17, v14
	v_addc_co_u32_e32 v15, vcc, v18, v15, vcc
; %bb.84:
	s_andn2_saveexec_b64 s[0:1], s[0:1]
; %bb.85:
	v_add_co_u32_e32 v14, vcc, v1, v24
	v_addc_co_u32_e32 v15, vcc, 0, v11, vcc
; %bb.86:
	s_or_b64 exec, exec, s[0:1]
	v_lshlrev_b64 v[14:15], 2, v[14:15]
	v_mov_b32_e32 v27, s5
	v_add_co_u32_e32 v14, vcc, s4, v14
	v_addc_co_u32_e32 v15, vcc, v27, v15, vcc
	v_cmp_ge_u32_e32 vcc, v23, v10
	global_store_dword v[14:15], v9, off
                                        ; implicit-def: $vgpr14_vgpr15
	s_and_saveexec_b64 s[0:1], vcc
	s_xor_b64 s[0:1], exec, s[0:1]
; %bb.87:
	v_xor_b32_e32 v14, 0xfffffbff, v0
	;; [unrolled: 43-line block ×4, first 2 shown]
	v_ashrrev_i32_e32 v15, 31, v14
	v_add_co_u32_e32 v14, vcc, v17, v14
	v_addc_co_u32_e32 v15, vcc, v18, v15, vcc
; %bb.104:
	s_andn2_saveexec_b64 s[0:1], s[0:1]
; %bb.105:
	v_add_co_u32_e32 v14, vcc, v1, v19
	v_addc_co_u32_e32 v15, vcc, 0, v11, vcc
; %bb.106:
	s_or_b64 exec, exec, s[0:1]
	v_lshlrev_b64 v[14:15], 2, v[14:15]
	v_mov_b32_e32 v27, s5
	v_add_co_u32_e32 v14, vcc, s4, v14
	v_addc_co_u32_e32 v15, vcc, v27, v15, vcc
	v_cmp_ge_u32_e32 vcc, v16, v10
	s_waitcnt lgkmcnt(0)
	global_store_dword v[14:15], v2, off
                                        ; implicit-def: $vgpr14_vgpr15
	s_and_saveexec_b64 s[0:1], vcc
	s_xor_b64 s[0:1], exec, s[0:1]
; %bb.107:
	v_xor_b32_e32 v14, 0xfffff6ff, v0
	v_ashrrev_i32_e32 v15, 31, v14
	v_add_co_u32_e32 v14, vcc, v17, v14
	v_addc_co_u32_e32 v15, vcc, v18, v15, vcc
; %bb.108:
	s_andn2_saveexec_b64 s[0:1], s[0:1]
; %bb.109:
	v_add_co_u32_e32 v14, vcc, v1, v16
	v_addc_co_u32_e32 v15, vcc, 0, v11, vcc
; %bb.110:
	s_or_b64 exec, exec, s[0:1]
	s_mov_b64 s[0:1], -1
	s_branch .LBB3680_173
.LBB3680_111:
	s_mov_b64 s[0:1], 0
                                        ; implicit-def: $vgpr14_vgpr15
	s_cbranch_execz .LBB3680_173
; %bb.112:
	v_cmp_gt_u32_e32 vcc, s33, v0
	s_and_saveexec_b64 s[2:3], vcc
	s_cbranch_execz .LBB3680_138
; %bb.113:
	v_cmp_ge_u32_e32 vcc, v0, v10
                                        ; implicit-def: $vgpr14_vgpr15
	s_and_saveexec_b64 s[6:7], vcc
	s_xor_b64 s[6:7], exec, s[6:7]
; %bb.114:
	v_not_b32_e32 v14, v0
	v_ashrrev_i32_e32 v15, 31, v14
	v_add_co_u32_e32 v14, vcc, v17, v14
	v_addc_co_u32_e32 v15, vcc, v18, v15, vcc
; %bb.115:
	s_andn2_saveexec_b64 s[6:7], s[6:7]
; %bb.116:
	v_add_co_u32_e32 v14, vcc, v1, v0
	v_addc_co_u32_e32 v15, vcc, 0, v11, vcc
; %bb.117:
	s_or_b64 exec, exec, s[6:7]
	v_lshlrev_b64 v[14:15], 2, v[14:15]
	v_mov_b32_e32 v27, s5
	v_add_co_u32_e32 v14, vcc, s4, v14
	v_addc_co_u32_e32 v15, vcc, v27, v15, vcc
	s_waitcnt lgkmcnt(4)
	global_store_dword v[14:15], v12, off
	s_or_b64 exec, exec, s[2:3]
	v_cmp_gt_u32_e32 vcc, s33, v26
	s_and_saveexec_b64 s[2:3], vcc
	s_cbranch_execnz .LBB3680_139
.LBB3680_118:
	s_or_b64 exec, exec, s[2:3]
	v_cmp_gt_u32_e32 vcc, s33, v25
	s_and_saveexec_b64 s[2:3], vcc
	s_cbranch_execz .LBB3680_144
.LBB3680_119:
	v_cmp_ge_u32_e32 vcc, v25, v10
                                        ; implicit-def: $vgpr12_vgpr13
	s_and_saveexec_b64 s[6:7], vcc
	s_xor_b64 s[6:7], exec, s[6:7]
	s_cbranch_execz .LBB3680_121
; %bb.120:
	s_waitcnt lgkmcnt(4)
	v_xor_b32_e32 v12, 0xfffffdff, v0
	v_ashrrev_i32_e32 v13, 31, v12
	v_add_co_u32_e32 v12, vcc, v17, v12
	v_addc_co_u32_e32 v13, vcc, v18, v13, vcc
                                        ; implicit-def: $vgpr25
.LBB3680_121:
	s_andn2_saveexec_b64 s[6:7], s[6:7]
	s_cbranch_execz .LBB3680_123
; %bb.122:
	s_waitcnt lgkmcnt(4)
	v_add_co_u32_e32 v12, vcc, v1, v25
	v_addc_co_u32_e32 v13, vcc, 0, v11, vcc
.LBB3680_123:
	s_or_b64 exec, exec, s[6:7]
	s_waitcnt lgkmcnt(4)
	v_lshlrev_b64 v[12:13], 2, v[12:13]
	v_mov_b32_e32 v14, s5
	v_add_co_u32_e32 v12, vcc, s4, v12
	v_addc_co_u32_e32 v13, vcc, v14, v13, vcc
	s_waitcnt lgkmcnt(3)
	global_store_dword v[12:13], v8, off
	s_or_b64 exec, exec, s[2:3]
	v_cmp_gt_u32_e32 vcc, s33, v24
	s_and_saveexec_b64 s[2:3], vcc
	s_cbranch_execnz .LBB3680_145
.LBB3680_124:
	s_or_b64 exec, exec, s[2:3]
	v_cmp_gt_u32_e32 vcc, s33, v23
	s_and_saveexec_b64 s[2:3], vcc
	s_cbranch_execz .LBB3680_150
.LBB3680_125:
	v_cmp_ge_u32_e32 vcc, v23, v10
                                        ; implicit-def: $vgpr8_vgpr9
	s_and_saveexec_b64 s[6:7], vcc
	s_xor_b64 s[6:7], exec, s[6:7]
	s_cbranch_execz .LBB3680_127
; %bb.126:
	s_waitcnt lgkmcnt(3)
	v_xor_b32_e32 v8, 0xfffffbff, v0
	v_ashrrev_i32_e32 v9, 31, v8
	v_add_co_u32_e32 v8, vcc, v17, v8
	v_addc_co_u32_e32 v9, vcc, v18, v9, vcc
                                        ; implicit-def: $vgpr23
.LBB3680_127:
	s_andn2_saveexec_b64 s[6:7], s[6:7]
	s_cbranch_execz .LBB3680_129
; %bb.128:
	s_waitcnt lgkmcnt(3)
	v_add_co_u32_e32 v8, vcc, v1, v23
	v_addc_co_u32_e32 v9, vcc, 0, v11, vcc
.LBB3680_129:
	s_or_b64 exec, exec, s[6:7]
	s_waitcnt lgkmcnt(3)
	v_lshlrev_b64 v[8:9], 2, v[8:9]
	v_mov_b32_e32 v12, s5
	v_add_co_u32_e32 v8, vcc, s4, v8
	v_addc_co_u32_e32 v9, vcc, v12, v9, vcc
	s_waitcnt lgkmcnt(2)
	global_store_dword v[8:9], v6, off
	s_or_b64 exec, exec, s[2:3]
	v_cmp_gt_u32_e32 vcc, s33, v22
	s_and_saveexec_b64 s[2:3], vcc
	s_cbranch_execnz .LBB3680_151
.LBB3680_130:
	s_or_b64 exec, exec, s[2:3]
	v_cmp_gt_u32_e32 vcc, s33, v21
	s_and_saveexec_b64 s[2:3], vcc
	s_cbranch_execz .LBB3680_156
.LBB3680_131:
	v_cmp_ge_u32_e32 vcc, v21, v10
                                        ; implicit-def: $vgpr6_vgpr7
	s_and_saveexec_b64 s[6:7], vcc
	s_xor_b64 s[6:7], exec, s[6:7]
	s_cbranch_execz .LBB3680_133
; %bb.132:
	s_waitcnt lgkmcnt(2)
	v_xor_b32_e32 v6, 0xfffff9ff, v0
	v_ashrrev_i32_e32 v7, 31, v6
	v_add_co_u32_e32 v6, vcc, v17, v6
	v_addc_co_u32_e32 v7, vcc, v18, v7, vcc
                                        ; implicit-def: $vgpr21
.LBB3680_133:
	s_andn2_saveexec_b64 s[6:7], s[6:7]
	s_cbranch_execz .LBB3680_135
; %bb.134:
	s_waitcnt lgkmcnt(2)
	v_add_co_u32_e32 v6, vcc, v1, v21
	v_addc_co_u32_e32 v7, vcc, 0, v11, vcc
.LBB3680_135:
	s_or_b64 exec, exec, s[6:7]
	s_waitcnt lgkmcnt(2)
	v_lshlrev_b64 v[6:7], 2, v[6:7]
	v_mov_b32_e32 v8, s5
	v_add_co_u32_e32 v6, vcc, s4, v6
	v_addc_co_u32_e32 v7, vcc, v8, v7, vcc
	s_waitcnt lgkmcnt(1)
	global_store_dword v[6:7], v4, off
	s_or_b64 exec, exec, s[2:3]
	v_cmp_gt_u32_e32 vcc, s33, v20
	s_and_saveexec_b64 s[2:3], vcc
	s_cbranch_execnz .LBB3680_157
.LBB3680_136:
	s_or_b64 exec, exec, s[2:3]
	v_cmp_gt_u32_e32 vcc, s33, v19
	s_and_saveexec_b64 s[2:3], vcc
	s_cbranch_execnz .LBB3680_162
.LBB3680_137:
	s_or_b64 exec, exec, s[2:3]
	v_cmp_gt_u32_e32 vcc, s33, v16
                                        ; implicit-def: $vgpr14_vgpr15
	s_and_saveexec_b64 s[2:3], vcc
	s_cbranch_execz .LBB3680_172
	s_branch .LBB3680_167
.LBB3680_138:
	s_or_b64 exec, exec, s[2:3]
	v_cmp_gt_u32_e32 vcc, s33, v26
	s_and_saveexec_b64 s[2:3], vcc
	s_cbranch_execz .LBB3680_118
.LBB3680_139:
	v_cmp_ge_u32_e32 vcc, v26, v10
                                        ; implicit-def: $vgpr14_vgpr15
	s_and_saveexec_b64 s[6:7], vcc
	s_xor_b64 s[6:7], exec, s[6:7]
	s_cbranch_execz .LBB3680_141
; %bb.140:
	s_waitcnt lgkmcnt(4)
	v_xor_b32_e32 v12, 0xfffffeff, v0
	v_ashrrev_i32_e32 v15, 31, v12
	v_add_co_u32_e32 v14, vcc, v17, v12
	v_addc_co_u32_e32 v15, vcc, v18, v15, vcc
                                        ; implicit-def: $vgpr26
.LBB3680_141:
	s_andn2_saveexec_b64 s[6:7], s[6:7]
; %bb.142:
	v_add_co_u32_e32 v14, vcc, v1, v26
	v_addc_co_u32_e32 v15, vcc, 0, v11, vcc
; %bb.143:
	s_or_b64 exec, exec, s[6:7]
	v_lshlrev_b64 v[14:15], 2, v[14:15]
	s_waitcnt lgkmcnt(4)
	v_mov_b32_e32 v12, s5
	v_add_co_u32_e32 v14, vcc, s4, v14
	v_addc_co_u32_e32 v15, vcc, v12, v15, vcc
	global_store_dword v[14:15], v13, off
	s_or_b64 exec, exec, s[2:3]
	v_cmp_gt_u32_e32 vcc, s33, v25
	s_and_saveexec_b64 s[2:3], vcc
	s_cbranch_execnz .LBB3680_119
.LBB3680_144:
	s_or_b64 exec, exec, s[2:3]
	v_cmp_gt_u32_e32 vcc, s33, v24
	s_and_saveexec_b64 s[2:3], vcc
	s_cbranch_execz .LBB3680_124
.LBB3680_145:
	v_cmp_ge_u32_e32 vcc, v24, v10
                                        ; implicit-def: $vgpr12_vgpr13
	s_and_saveexec_b64 s[6:7], vcc
	s_xor_b64 s[6:7], exec, s[6:7]
	s_cbranch_execz .LBB3680_147
; %bb.146:
	s_waitcnt lgkmcnt(3)
	v_xor_b32_e32 v8, 0xfffffcff, v0
	v_ashrrev_i32_e32 v13, 31, v8
	v_add_co_u32_e32 v12, vcc, v17, v8
	v_addc_co_u32_e32 v13, vcc, v18, v13, vcc
                                        ; implicit-def: $vgpr24
.LBB3680_147:
	s_andn2_saveexec_b64 s[6:7], s[6:7]
	s_cbranch_execz .LBB3680_149
; %bb.148:
	s_waitcnt lgkmcnt(4)
	v_add_co_u32_e32 v12, vcc, v1, v24
	v_addc_co_u32_e32 v13, vcc, 0, v11, vcc
.LBB3680_149:
	s_or_b64 exec, exec, s[6:7]
	s_waitcnt lgkmcnt(4)
	v_lshlrev_b64 v[12:13], 2, v[12:13]
	s_waitcnt lgkmcnt(3)
	v_mov_b32_e32 v8, s5
	v_add_co_u32_e32 v12, vcc, s4, v12
	v_addc_co_u32_e32 v13, vcc, v8, v13, vcc
	global_store_dword v[12:13], v9, off
	s_or_b64 exec, exec, s[2:3]
	v_cmp_gt_u32_e32 vcc, s33, v23
	s_and_saveexec_b64 s[2:3], vcc
	s_cbranch_execnz .LBB3680_125
.LBB3680_150:
	s_or_b64 exec, exec, s[2:3]
	v_cmp_gt_u32_e32 vcc, s33, v22
	s_and_saveexec_b64 s[2:3], vcc
	s_cbranch_execz .LBB3680_130
.LBB3680_151:
	v_cmp_ge_u32_e32 vcc, v22, v10
                                        ; implicit-def: $vgpr8_vgpr9
	s_and_saveexec_b64 s[6:7], vcc
	s_xor_b64 s[6:7], exec, s[6:7]
	s_cbranch_execz .LBB3680_153
; %bb.152:
	s_waitcnt lgkmcnt(2)
	v_xor_b32_e32 v6, 0xfffffaff, v0
	v_ashrrev_i32_e32 v9, 31, v6
	v_add_co_u32_e32 v8, vcc, v17, v6
	v_addc_co_u32_e32 v9, vcc, v18, v9, vcc
                                        ; implicit-def: $vgpr22
.LBB3680_153:
	s_andn2_saveexec_b64 s[6:7], s[6:7]
	s_cbranch_execz .LBB3680_155
; %bb.154:
	s_waitcnt lgkmcnt(3)
	v_add_co_u32_e32 v8, vcc, v1, v22
	v_addc_co_u32_e32 v9, vcc, 0, v11, vcc
.LBB3680_155:
	s_or_b64 exec, exec, s[6:7]
	s_waitcnt lgkmcnt(3)
	v_lshlrev_b64 v[8:9], 2, v[8:9]
	s_waitcnt lgkmcnt(2)
	v_mov_b32_e32 v6, s5
	v_add_co_u32_e32 v8, vcc, s4, v8
	v_addc_co_u32_e32 v9, vcc, v6, v9, vcc
	global_store_dword v[8:9], v7, off
	s_or_b64 exec, exec, s[2:3]
	v_cmp_gt_u32_e32 vcc, s33, v21
	s_and_saveexec_b64 s[2:3], vcc
	s_cbranch_execnz .LBB3680_131
.LBB3680_156:
	s_or_b64 exec, exec, s[2:3]
	v_cmp_gt_u32_e32 vcc, s33, v20
	s_and_saveexec_b64 s[2:3], vcc
	s_cbranch_execz .LBB3680_136
.LBB3680_157:
	v_cmp_ge_u32_e32 vcc, v20, v10
                                        ; implicit-def: $vgpr6_vgpr7
	s_and_saveexec_b64 s[6:7], vcc
	s_xor_b64 s[6:7], exec, s[6:7]
	s_cbranch_execz .LBB3680_159
; %bb.158:
	s_waitcnt lgkmcnt(1)
	v_xor_b32_e32 v4, 0xfffff8ff, v0
	v_ashrrev_i32_e32 v7, 31, v4
	v_add_co_u32_e32 v6, vcc, v17, v4
	v_addc_co_u32_e32 v7, vcc, v18, v7, vcc
                                        ; implicit-def: $vgpr20
.LBB3680_159:
	s_andn2_saveexec_b64 s[6:7], s[6:7]
	s_cbranch_execz .LBB3680_161
; %bb.160:
	s_waitcnt lgkmcnt(2)
	v_add_co_u32_e32 v6, vcc, v1, v20
	v_addc_co_u32_e32 v7, vcc, 0, v11, vcc
.LBB3680_161:
	s_or_b64 exec, exec, s[6:7]
	s_waitcnt lgkmcnt(2)
	v_lshlrev_b64 v[6:7], 2, v[6:7]
	s_waitcnt lgkmcnt(1)
	v_mov_b32_e32 v4, s5
	v_add_co_u32_e32 v6, vcc, s4, v6
	v_addc_co_u32_e32 v7, vcc, v4, v7, vcc
	global_store_dword v[6:7], v5, off
	s_or_b64 exec, exec, s[2:3]
	v_cmp_gt_u32_e32 vcc, s33, v19
	s_and_saveexec_b64 s[2:3], vcc
	s_cbranch_execz .LBB3680_137
.LBB3680_162:
	v_cmp_ge_u32_e32 vcc, v19, v10
                                        ; implicit-def: $vgpr4_vgpr5
	s_and_saveexec_b64 s[6:7], vcc
	s_xor_b64 s[6:7], exec, s[6:7]
	s_cbranch_execz .LBB3680_164
; %bb.163:
	s_waitcnt lgkmcnt(1)
	v_xor_b32_e32 v4, 0xfffff7ff, v0
	v_ashrrev_i32_e32 v5, 31, v4
	v_add_co_u32_e32 v4, vcc, v17, v4
	v_addc_co_u32_e32 v5, vcc, v18, v5, vcc
                                        ; implicit-def: $vgpr19
.LBB3680_164:
	s_andn2_saveexec_b64 s[6:7], s[6:7]
	s_cbranch_execz .LBB3680_166
; %bb.165:
	s_waitcnt lgkmcnt(1)
	v_add_co_u32_e32 v4, vcc, v1, v19
	v_addc_co_u32_e32 v5, vcc, 0, v11, vcc
.LBB3680_166:
	s_or_b64 exec, exec, s[6:7]
	s_waitcnt lgkmcnt(1)
	v_lshlrev_b64 v[4:5], 2, v[4:5]
	v_mov_b32_e32 v6, s5
	v_add_co_u32_e32 v4, vcc, s4, v4
	v_addc_co_u32_e32 v5, vcc, v6, v5, vcc
	s_waitcnt lgkmcnt(0)
	global_store_dword v[4:5], v2, off
	s_or_b64 exec, exec, s[2:3]
	v_cmp_gt_u32_e32 vcc, s33, v16
                                        ; implicit-def: $vgpr14_vgpr15
	s_and_saveexec_b64 s[2:3], vcc
	s_cbranch_execz .LBB3680_172
.LBB3680_167:
	v_cmp_ge_u32_e32 vcc, v16, v10
                                        ; implicit-def: $vgpr14_vgpr15
	s_and_saveexec_b64 s[6:7], vcc
	s_xor_b64 s[6:7], exec, s[6:7]
	s_cbranch_execz .LBB3680_169
; %bb.168:
	s_waitcnt lgkmcnt(0)
	v_xor_b32_e32 v2, 0xfffff6ff, v0
	v_ashrrev_i32_e32 v4, 31, v2
	v_add_co_u32_e32 v14, vcc, v17, v2
	v_addc_co_u32_e32 v15, vcc, v18, v4, vcc
                                        ; implicit-def: $vgpr16
.LBB3680_169:
	s_andn2_saveexec_b64 s[6:7], s[6:7]
; %bb.170:
	v_add_co_u32_e32 v14, vcc, v1, v16
	v_addc_co_u32_e32 v15, vcc, 0, v11, vcc
; %bb.171:
	s_or_b64 exec, exec, s[6:7]
	s_or_b64 s[0:1], s[0:1], exec
.LBB3680_172:
	s_or_b64 exec, exec, s[2:3]
.LBB3680_173:
	s_and_saveexec_b64 s[2:3], s[0:1]
	s_cbranch_execz .LBB3680_175
; %bb.174:
	s_waitcnt lgkmcnt(1)
	v_lshlrev_b64 v[4:5], 2, v[14:15]
	s_waitcnt lgkmcnt(0)
	v_mov_b32_e32 v2, s5
	v_add_co_u32_e32 v4, vcc, s4, v4
	v_addc_co_u32_e32 v5, vcc, v2, v5, vcc
	global_store_dword v[4:5], v3, off
.LBB3680_175:
	s_or_b64 exec, exec, s[2:3]
	v_cmp_eq_u32_e32 vcc, 0, v0
	s_and_b64 s[0:1], vcc, s[26:27]
	s_and_saveexec_b64 s[2:3], s[0:1]
	s_cbranch_execz .LBB3680_177
; %bb.176:
	v_add_co_u32_e32 v0, vcc, v1, v10
	s_waitcnt lgkmcnt(0)
	v_mov_b32_e32 v2, 0
	v_addc_co_u32_e32 v1, vcc, 0, v11, vcc
	global_store_dwordx2 v2, v[0:1], s[24:25]
.LBB3680_177:
	s_endpgm
	.section	.rodata,"a",@progbits
	.p2align	6, 0x0
	.amdhsa_kernel _ZN7rocprim17ROCPRIM_400000_NS6detail17trampoline_kernelINS0_14default_configENS1_25partition_config_selectorILNS1_17partition_subalgoE3EiNS0_10empty_typeEbEEZZNS1_14partition_implILS5_3ELb0ES3_jN6thrust23THRUST_200600_302600_NS6detail15normal_iteratorINSA_7pointerIiNSA_11hip_rocprim5par_tENSA_11use_defaultESG_EEEEPS6_SJ_NS0_5tupleIJPiSJ_EEENSK_IJSJ_SJ_EEES6_PlJ7is_evenIiEEEE10hipError_tPvRmT3_T4_T5_T6_T7_T9_mT8_P12ihipStream_tbDpT10_ENKUlT_T0_E_clISt17integral_constantIbLb1EES19_IbLb0EEEEDaS15_S16_EUlS15_E_NS1_11comp_targetILNS1_3genE4ELNS1_11target_archE910ELNS1_3gpuE8ELNS1_3repE0EEENS1_30default_config_static_selectorELNS0_4arch9wavefront6targetE1EEEvT1_
		.amdhsa_group_segment_fixed_size 10248
		.amdhsa_private_segment_fixed_size 0
		.amdhsa_kernarg_size 120
		.amdhsa_user_sgpr_count 6
		.amdhsa_user_sgpr_private_segment_buffer 1
		.amdhsa_user_sgpr_dispatch_ptr 0
		.amdhsa_user_sgpr_queue_ptr 0
		.amdhsa_user_sgpr_kernarg_segment_ptr 1
		.amdhsa_user_sgpr_dispatch_id 0
		.amdhsa_user_sgpr_flat_scratch_init 0
		.amdhsa_user_sgpr_kernarg_preload_length 0
		.amdhsa_user_sgpr_kernarg_preload_offset 0
		.amdhsa_user_sgpr_private_segment_size 0
		.amdhsa_uses_dynamic_stack 0
		.amdhsa_system_sgpr_private_segment_wavefront_offset 0
		.amdhsa_system_sgpr_workgroup_id_x 1
		.amdhsa_system_sgpr_workgroup_id_y 0
		.amdhsa_system_sgpr_workgroup_id_z 0
		.amdhsa_system_sgpr_workgroup_info 0
		.amdhsa_system_vgpr_workitem_id 0
		.amdhsa_next_free_vgpr 54
		.amdhsa_next_free_sgpr 46
		.amdhsa_accum_offset 56
		.amdhsa_reserve_vcc 1
		.amdhsa_reserve_flat_scratch 0
		.amdhsa_float_round_mode_32 0
		.amdhsa_float_round_mode_16_64 0
		.amdhsa_float_denorm_mode_32 3
		.amdhsa_float_denorm_mode_16_64 3
		.amdhsa_dx10_clamp 1
		.amdhsa_ieee_mode 1
		.amdhsa_fp16_overflow 0
		.amdhsa_tg_split 0
		.amdhsa_exception_fp_ieee_invalid_op 0
		.amdhsa_exception_fp_denorm_src 0
		.amdhsa_exception_fp_ieee_div_zero 0
		.amdhsa_exception_fp_ieee_overflow 0
		.amdhsa_exception_fp_ieee_underflow 0
		.amdhsa_exception_fp_ieee_inexact 0
		.amdhsa_exception_int_div_zero 0
	.end_amdhsa_kernel
	.section	.text._ZN7rocprim17ROCPRIM_400000_NS6detail17trampoline_kernelINS0_14default_configENS1_25partition_config_selectorILNS1_17partition_subalgoE3EiNS0_10empty_typeEbEEZZNS1_14partition_implILS5_3ELb0ES3_jN6thrust23THRUST_200600_302600_NS6detail15normal_iteratorINSA_7pointerIiNSA_11hip_rocprim5par_tENSA_11use_defaultESG_EEEEPS6_SJ_NS0_5tupleIJPiSJ_EEENSK_IJSJ_SJ_EEES6_PlJ7is_evenIiEEEE10hipError_tPvRmT3_T4_T5_T6_T7_T9_mT8_P12ihipStream_tbDpT10_ENKUlT_T0_E_clISt17integral_constantIbLb1EES19_IbLb0EEEEDaS15_S16_EUlS15_E_NS1_11comp_targetILNS1_3genE4ELNS1_11target_archE910ELNS1_3gpuE8ELNS1_3repE0EEENS1_30default_config_static_selectorELNS0_4arch9wavefront6targetE1EEEvT1_,"axG",@progbits,_ZN7rocprim17ROCPRIM_400000_NS6detail17trampoline_kernelINS0_14default_configENS1_25partition_config_selectorILNS1_17partition_subalgoE3EiNS0_10empty_typeEbEEZZNS1_14partition_implILS5_3ELb0ES3_jN6thrust23THRUST_200600_302600_NS6detail15normal_iteratorINSA_7pointerIiNSA_11hip_rocprim5par_tENSA_11use_defaultESG_EEEEPS6_SJ_NS0_5tupleIJPiSJ_EEENSK_IJSJ_SJ_EEES6_PlJ7is_evenIiEEEE10hipError_tPvRmT3_T4_T5_T6_T7_T9_mT8_P12ihipStream_tbDpT10_ENKUlT_T0_E_clISt17integral_constantIbLb1EES19_IbLb0EEEEDaS15_S16_EUlS15_E_NS1_11comp_targetILNS1_3genE4ELNS1_11target_archE910ELNS1_3gpuE8ELNS1_3repE0EEENS1_30default_config_static_selectorELNS0_4arch9wavefront6targetE1EEEvT1_,comdat
.Lfunc_end3680:
	.size	_ZN7rocprim17ROCPRIM_400000_NS6detail17trampoline_kernelINS0_14default_configENS1_25partition_config_selectorILNS1_17partition_subalgoE3EiNS0_10empty_typeEbEEZZNS1_14partition_implILS5_3ELb0ES3_jN6thrust23THRUST_200600_302600_NS6detail15normal_iteratorINSA_7pointerIiNSA_11hip_rocprim5par_tENSA_11use_defaultESG_EEEEPS6_SJ_NS0_5tupleIJPiSJ_EEENSK_IJSJ_SJ_EEES6_PlJ7is_evenIiEEEE10hipError_tPvRmT3_T4_T5_T6_T7_T9_mT8_P12ihipStream_tbDpT10_ENKUlT_T0_E_clISt17integral_constantIbLb1EES19_IbLb0EEEEDaS15_S16_EUlS15_E_NS1_11comp_targetILNS1_3genE4ELNS1_11target_archE910ELNS1_3gpuE8ELNS1_3repE0EEENS1_30default_config_static_selectorELNS0_4arch9wavefront6targetE1EEEvT1_, .Lfunc_end3680-_ZN7rocprim17ROCPRIM_400000_NS6detail17trampoline_kernelINS0_14default_configENS1_25partition_config_selectorILNS1_17partition_subalgoE3EiNS0_10empty_typeEbEEZZNS1_14partition_implILS5_3ELb0ES3_jN6thrust23THRUST_200600_302600_NS6detail15normal_iteratorINSA_7pointerIiNSA_11hip_rocprim5par_tENSA_11use_defaultESG_EEEEPS6_SJ_NS0_5tupleIJPiSJ_EEENSK_IJSJ_SJ_EEES6_PlJ7is_evenIiEEEE10hipError_tPvRmT3_T4_T5_T6_T7_T9_mT8_P12ihipStream_tbDpT10_ENKUlT_T0_E_clISt17integral_constantIbLb1EES19_IbLb0EEEEDaS15_S16_EUlS15_E_NS1_11comp_targetILNS1_3genE4ELNS1_11target_archE910ELNS1_3gpuE8ELNS1_3repE0EEENS1_30default_config_static_selectorELNS0_4arch9wavefront6targetE1EEEvT1_
                                        ; -- End function
	.section	.AMDGPU.csdata,"",@progbits
; Kernel info:
; codeLenInByte = 6188
; NumSgprs: 50
; NumVgprs: 54
; NumAgprs: 0
; TotalNumVgprs: 54
; ScratchSize: 0
; MemoryBound: 0
; FloatMode: 240
; IeeeMode: 1
; LDSByteSize: 10248 bytes/workgroup (compile time only)
; SGPRBlocks: 6
; VGPRBlocks: 6
; NumSGPRsForWavesPerEU: 50
; NumVGPRsForWavesPerEU: 54
; AccumOffset: 56
; Occupancy: 6
; WaveLimiterHint : 1
; COMPUTE_PGM_RSRC2:SCRATCH_EN: 0
; COMPUTE_PGM_RSRC2:USER_SGPR: 6
; COMPUTE_PGM_RSRC2:TRAP_HANDLER: 0
; COMPUTE_PGM_RSRC2:TGID_X_EN: 1
; COMPUTE_PGM_RSRC2:TGID_Y_EN: 0
; COMPUTE_PGM_RSRC2:TGID_Z_EN: 0
; COMPUTE_PGM_RSRC2:TIDIG_COMP_CNT: 0
; COMPUTE_PGM_RSRC3_GFX90A:ACCUM_OFFSET: 13
; COMPUTE_PGM_RSRC3_GFX90A:TG_SPLIT: 0
	.section	.text._ZN7rocprim17ROCPRIM_400000_NS6detail17trampoline_kernelINS0_14default_configENS1_25partition_config_selectorILNS1_17partition_subalgoE3EiNS0_10empty_typeEbEEZZNS1_14partition_implILS5_3ELb0ES3_jN6thrust23THRUST_200600_302600_NS6detail15normal_iteratorINSA_7pointerIiNSA_11hip_rocprim5par_tENSA_11use_defaultESG_EEEEPS6_SJ_NS0_5tupleIJPiSJ_EEENSK_IJSJ_SJ_EEES6_PlJ7is_evenIiEEEE10hipError_tPvRmT3_T4_T5_T6_T7_T9_mT8_P12ihipStream_tbDpT10_ENKUlT_T0_E_clISt17integral_constantIbLb1EES19_IbLb0EEEEDaS15_S16_EUlS15_E_NS1_11comp_targetILNS1_3genE3ELNS1_11target_archE908ELNS1_3gpuE7ELNS1_3repE0EEENS1_30default_config_static_selectorELNS0_4arch9wavefront6targetE1EEEvT1_,"axG",@progbits,_ZN7rocprim17ROCPRIM_400000_NS6detail17trampoline_kernelINS0_14default_configENS1_25partition_config_selectorILNS1_17partition_subalgoE3EiNS0_10empty_typeEbEEZZNS1_14partition_implILS5_3ELb0ES3_jN6thrust23THRUST_200600_302600_NS6detail15normal_iteratorINSA_7pointerIiNSA_11hip_rocprim5par_tENSA_11use_defaultESG_EEEEPS6_SJ_NS0_5tupleIJPiSJ_EEENSK_IJSJ_SJ_EEES6_PlJ7is_evenIiEEEE10hipError_tPvRmT3_T4_T5_T6_T7_T9_mT8_P12ihipStream_tbDpT10_ENKUlT_T0_E_clISt17integral_constantIbLb1EES19_IbLb0EEEEDaS15_S16_EUlS15_E_NS1_11comp_targetILNS1_3genE3ELNS1_11target_archE908ELNS1_3gpuE7ELNS1_3repE0EEENS1_30default_config_static_selectorELNS0_4arch9wavefront6targetE1EEEvT1_,comdat
	.protected	_ZN7rocprim17ROCPRIM_400000_NS6detail17trampoline_kernelINS0_14default_configENS1_25partition_config_selectorILNS1_17partition_subalgoE3EiNS0_10empty_typeEbEEZZNS1_14partition_implILS5_3ELb0ES3_jN6thrust23THRUST_200600_302600_NS6detail15normal_iteratorINSA_7pointerIiNSA_11hip_rocprim5par_tENSA_11use_defaultESG_EEEEPS6_SJ_NS0_5tupleIJPiSJ_EEENSK_IJSJ_SJ_EEES6_PlJ7is_evenIiEEEE10hipError_tPvRmT3_T4_T5_T6_T7_T9_mT8_P12ihipStream_tbDpT10_ENKUlT_T0_E_clISt17integral_constantIbLb1EES19_IbLb0EEEEDaS15_S16_EUlS15_E_NS1_11comp_targetILNS1_3genE3ELNS1_11target_archE908ELNS1_3gpuE7ELNS1_3repE0EEENS1_30default_config_static_selectorELNS0_4arch9wavefront6targetE1EEEvT1_ ; -- Begin function _ZN7rocprim17ROCPRIM_400000_NS6detail17trampoline_kernelINS0_14default_configENS1_25partition_config_selectorILNS1_17partition_subalgoE3EiNS0_10empty_typeEbEEZZNS1_14partition_implILS5_3ELb0ES3_jN6thrust23THRUST_200600_302600_NS6detail15normal_iteratorINSA_7pointerIiNSA_11hip_rocprim5par_tENSA_11use_defaultESG_EEEEPS6_SJ_NS0_5tupleIJPiSJ_EEENSK_IJSJ_SJ_EEES6_PlJ7is_evenIiEEEE10hipError_tPvRmT3_T4_T5_T6_T7_T9_mT8_P12ihipStream_tbDpT10_ENKUlT_T0_E_clISt17integral_constantIbLb1EES19_IbLb0EEEEDaS15_S16_EUlS15_E_NS1_11comp_targetILNS1_3genE3ELNS1_11target_archE908ELNS1_3gpuE7ELNS1_3repE0EEENS1_30default_config_static_selectorELNS0_4arch9wavefront6targetE1EEEvT1_
	.globl	_ZN7rocprim17ROCPRIM_400000_NS6detail17trampoline_kernelINS0_14default_configENS1_25partition_config_selectorILNS1_17partition_subalgoE3EiNS0_10empty_typeEbEEZZNS1_14partition_implILS5_3ELb0ES3_jN6thrust23THRUST_200600_302600_NS6detail15normal_iteratorINSA_7pointerIiNSA_11hip_rocprim5par_tENSA_11use_defaultESG_EEEEPS6_SJ_NS0_5tupleIJPiSJ_EEENSK_IJSJ_SJ_EEES6_PlJ7is_evenIiEEEE10hipError_tPvRmT3_T4_T5_T6_T7_T9_mT8_P12ihipStream_tbDpT10_ENKUlT_T0_E_clISt17integral_constantIbLb1EES19_IbLb0EEEEDaS15_S16_EUlS15_E_NS1_11comp_targetILNS1_3genE3ELNS1_11target_archE908ELNS1_3gpuE7ELNS1_3repE0EEENS1_30default_config_static_selectorELNS0_4arch9wavefront6targetE1EEEvT1_
	.p2align	8
	.type	_ZN7rocprim17ROCPRIM_400000_NS6detail17trampoline_kernelINS0_14default_configENS1_25partition_config_selectorILNS1_17partition_subalgoE3EiNS0_10empty_typeEbEEZZNS1_14partition_implILS5_3ELb0ES3_jN6thrust23THRUST_200600_302600_NS6detail15normal_iteratorINSA_7pointerIiNSA_11hip_rocprim5par_tENSA_11use_defaultESG_EEEEPS6_SJ_NS0_5tupleIJPiSJ_EEENSK_IJSJ_SJ_EEES6_PlJ7is_evenIiEEEE10hipError_tPvRmT3_T4_T5_T6_T7_T9_mT8_P12ihipStream_tbDpT10_ENKUlT_T0_E_clISt17integral_constantIbLb1EES19_IbLb0EEEEDaS15_S16_EUlS15_E_NS1_11comp_targetILNS1_3genE3ELNS1_11target_archE908ELNS1_3gpuE7ELNS1_3repE0EEENS1_30default_config_static_selectorELNS0_4arch9wavefront6targetE1EEEvT1_,@function
_ZN7rocprim17ROCPRIM_400000_NS6detail17trampoline_kernelINS0_14default_configENS1_25partition_config_selectorILNS1_17partition_subalgoE3EiNS0_10empty_typeEbEEZZNS1_14partition_implILS5_3ELb0ES3_jN6thrust23THRUST_200600_302600_NS6detail15normal_iteratorINSA_7pointerIiNSA_11hip_rocprim5par_tENSA_11use_defaultESG_EEEEPS6_SJ_NS0_5tupleIJPiSJ_EEENSK_IJSJ_SJ_EEES6_PlJ7is_evenIiEEEE10hipError_tPvRmT3_T4_T5_T6_T7_T9_mT8_P12ihipStream_tbDpT10_ENKUlT_T0_E_clISt17integral_constantIbLb1EES19_IbLb0EEEEDaS15_S16_EUlS15_E_NS1_11comp_targetILNS1_3genE3ELNS1_11target_archE908ELNS1_3gpuE7ELNS1_3repE0EEENS1_30default_config_static_selectorELNS0_4arch9wavefront6targetE1EEEvT1_: ; @_ZN7rocprim17ROCPRIM_400000_NS6detail17trampoline_kernelINS0_14default_configENS1_25partition_config_selectorILNS1_17partition_subalgoE3EiNS0_10empty_typeEbEEZZNS1_14partition_implILS5_3ELb0ES3_jN6thrust23THRUST_200600_302600_NS6detail15normal_iteratorINSA_7pointerIiNSA_11hip_rocprim5par_tENSA_11use_defaultESG_EEEEPS6_SJ_NS0_5tupleIJPiSJ_EEENSK_IJSJ_SJ_EEES6_PlJ7is_evenIiEEEE10hipError_tPvRmT3_T4_T5_T6_T7_T9_mT8_P12ihipStream_tbDpT10_ENKUlT_T0_E_clISt17integral_constantIbLb1EES19_IbLb0EEEEDaS15_S16_EUlS15_E_NS1_11comp_targetILNS1_3genE3ELNS1_11target_archE908ELNS1_3gpuE7ELNS1_3repE0EEENS1_30default_config_static_selectorELNS0_4arch9wavefront6targetE1EEEvT1_
; %bb.0:
	.section	.rodata,"a",@progbits
	.p2align	6, 0x0
	.amdhsa_kernel _ZN7rocprim17ROCPRIM_400000_NS6detail17trampoline_kernelINS0_14default_configENS1_25partition_config_selectorILNS1_17partition_subalgoE3EiNS0_10empty_typeEbEEZZNS1_14partition_implILS5_3ELb0ES3_jN6thrust23THRUST_200600_302600_NS6detail15normal_iteratorINSA_7pointerIiNSA_11hip_rocprim5par_tENSA_11use_defaultESG_EEEEPS6_SJ_NS0_5tupleIJPiSJ_EEENSK_IJSJ_SJ_EEES6_PlJ7is_evenIiEEEE10hipError_tPvRmT3_T4_T5_T6_T7_T9_mT8_P12ihipStream_tbDpT10_ENKUlT_T0_E_clISt17integral_constantIbLb1EES19_IbLb0EEEEDaS15_S16_EUlS15_E_NS1_11comp_targetILNS1_3genE3ELNS1_11target_archE908ELNS1_3gpuE7ELNS1_3repE0EEENS1_30default_config_static_selectorELNS0_4arch9wavefront6targetE1EEEvT1_
		.amdhsa_group_segment_fixed_size 0
		.amdhsa_private_segment_fixed_size 0
		.amdhsa_kernarg_size 120
		.amdhsa_user_sgpr_count 6
		.amdhsa_user_sgpr_private_segment_buffer 1
		.amdhsa_user_sgpr_dispatch_ptr 0
		.amdhsa_user_sgpr_queue_ptr 0
		.amdhsa_user_sgpr_kernarg_segment_ptr 1
		.amdhsa_user_sgpr_dispatch_id 0
		.amdhsa_user_sgpr_flat_scratch_init 0
		.amdhsa_user_sgpr_kernarg_preload_length 0
		.amdhsa_user_sgpr_kernarg_preload_offset 0
		.amdhsa_user_sgpr_private_segment_size 0
		.amdhsa_uses_dynamic_stack 0
		.amdhsa_system_sgpr_private_segment_wavefront_offset 0
		.amdhsa_system_sgpr_workgroup_id_x 1
		.amdhsa_system_sgpr_workgroup_id_y 0
		.amdhsa_system_sgpr_workgroup_id_z 0
		.amdhsa_system_sgpr_workgroup_info 0
		.amdhsa_system_vgpr_workitem_id 0
		.amdhsa_next_free_vgpr 1
		.amdhsa_next_free_sgpr 0
		.amdhsa_accum_offset 4
		.amdhsa_reserve_vcc 0
		.amdhsa_reserve_flat_scratch 0
		.amdhsa_float_round_mode_32 0
		.amdhsa_float_round_mode_16_64 0
		.amdhsa_float_denorm_mode_32 3
		.amdhsa_float_denorm_mode_16_64 3
		.amdhsa_dx10_clamp 1
		.amdhsa_ieee_mode 1
		.amdhsa_fp16_overflow 0
		.amdhsa_tg_split 0
		.amdhsa_exception_fp_ieee_invalid_op 0
		.amdhsa_exception_fp_denorm_src 0
		.amdhsa_exception_fp_ieee_div_zero 0
		.amdhsa_exception_fp_ieee_overflow 0
		.amdhsa_exception_fp_ieee_underflow 0
		.amdhsa_exception_fp_ieee_inexact 0
		.amdhsa_exception_int_div_zero 0
	.end_amdhsa_kernel
	.section	.text._ZN7rocprim17ROCPRIM_400000_NS6detail17trampoline_kernelINS0_14default_configENS1_25partition_config_selectorILNS1_17partition_subalgoE3EiNS0_10empty_typeEbEEZZNS1_14partition_implILS5_3ELb0ES3_jN6thrust23THRUST_200600_302600_NS6detail15normal_iteratorINSA_7pointerIiNSA_11hip_rocprim5par_tENSA_11use_defaultESG_EEEEPS6_SJ_NS0_5tupleIJPiSJ_EEENSK_IJSJ_SJ_EEES6_PlJ7is_evenIiEEEE10hipError_tPvRmT3_T4_T5_T6_T7_T9_mT8_P12ihipStream_tbDpT10_ENKUlT_T0_E_clISt17integral_constantIbLb1EES19_IbLb0EEEEDaS15_S16_EUlS15_E_NS1_11comp_targetILNS1_3genE3ELNS1_11target_archE908ELNS1_3gpuE7ELNS1_3repE0EEENS1_30default_config_static_selectorELNS0_4arch9wavefront6targetE1EEEvT1_,"axG",@progbits,_ZN7rocprim17ROCPRIM_400000_NS6detail17trampoline_kernelINS0_14default_configENS1_25partition_config_selectorILNS1_17partition_subalgoE3EiNS0_10empty_typeEbEEZZNS1_14partition_implILS5_3ELb0ES3_jN6thrust23THRUST_200600_302600_NS6detail15normal_iteratorINSA_7pointerIiNSA_11hip_rocprim5par_tENSA_11use_defaultESG_EEEEPS6_SJ_NS0_5tupleIJPiSJ_EEENSK_IJSJ_SJ_EEES6_PlJ7is_evenIiEEEE10hipError_tPvRmT3_T4_T5_T6_T7_T9_mT8_P12ihipStream_tbDpT10_ENKUlT_T0_E_clISt17integral_constantIbLb1EES19_IbLb0EEEEDaS15_S16_EUlS15_E_NS1_11comp_targetILNS1_3genE3ELNS1_11target_archE908ELNS1_3gpuE7ELNS1_3repE0EEENS1_30default_config_static_selectorELNS0_4arch9wavefront6targetE1EEEvT1_,comdat
.Lfunc_end3681:
	.size	_ZN7rocprim17ROCPRIM_400000_NS6detail17trampoline_kernelINS0_14default_configENS1_25partition_config_selectorILNS1_17partition_subalgoE3EiNS0_10empty_typeEbEEZZNS1_14partition_implILS5_3ELb0ES3_jN6thrust23THRUST_200600_302600_NS6detail15normal_iteratorINSA_7pointerIiNSA_11hip_rocprim5par_tENSA_11use_defaultESG_EEEEPS6_SJ_NS0_5tupleIJPiSJ_EEENSK_IJSJ_SJ_EEES6_PlJ7is_evenIiEEEE10hipError_tPvRmT3_T4_T5_T6_T7_T9_mT8_P12ihipStream_tbDpT10_ENKUlT_T0_E_clISt17integral_constantIbLb1EES19_IbLb0EEEEDaS15_S16_EUlS15_E_NS1_11comp_targetILNS1_3genE3ELNS1_11target_archE908ELNS1_3gpuE7ELNS1_3repE0EEENS1_30default_config_static_selectorELNS0_4arch9wavefront6targetE1EEEvT1_, .Lfunc_end3681-_ZN7rocprim17ROCPRIM_400000_NS6detail17trampoline_kernelINS0_14default_configENS1_25partition_config_selectorILNS1_17partition_subalgoE3EiNS0_10empty_typeEbEEZZNS1_14partition_implILS5_3ELb0ES3_jN6thrust23THRUST_200600_302600_NS6detail15normal_iteratorINSA_7pointerIiNSA_11hip_rocprim5par_tENSA_11use_defaultESG_EEEEPS6_SJ_NS0_5tupleIJPiSJ_EEENSK_IJSJ_SJ_EEES6_PlJ7is_evenIiEEEE10hipError_tPvRmT3_T4_T5_T6_T7_T9_mT8_P12ihipStream_tbDpT10_ENKUlT_T0_E_clISt17integral_constantIbLb1EES19_IbLb0EEEEDaS15_S16_EUlS15_E_NS1_11comp_targetILNS1_3genE3ELNS1_11target_archE908ELNS1_3gpuE7ELNS1_3repE0EEENS1_30default_config_static_selectorELNS0_4arch9wavefront6targetE1EEEvT1_
                                        ; -- End function
	.section	.AMDGPU.csdata,"",@progbits
; Kernel info:
; codeLenInByte = 0
; NumSgprs: 4
; NumVgprs: 0
; NumAgprs: 0
; TotalNumVgprs: 0
; ScratchSize: 0
; MemoryBound: 0
; FloatMode: 240
; IeeeMode: 1
; LDSByteSize: 0 bytes/workgroup (compile time only)
; SGPRBlocks: 0
; VGPRBlocks: 0
; NumSGPRsForWavesPerEU: 4
; NumVGPRsForWavesPerEU: 1
; AccumOffset: 4
; Occupancy: 8
; WaveLimiterHint : 0
; COMPUTE_PGM_RSRC2:SCRATCH_EN: 0
; COMPUTE_PGM_RSRC2:USER_SGPR: 6
; COMPUTE_PGM_RSRC2:TRAP_HANDLER: 0
; COMPUTE_PGM_RSRC2:TGID_X_EN: 1
; COMPUTE_PGM_RSRC2:TGID_Y_EN: 0
; COMPUTE_PGM_RSRC2:TGID_Z_EN: 0
; COMPUTE_PGM_RSRC2:TIDIG_COMP_CNT: 0
; COMPUTE_PGM_RSRC3_GFX90A:ACCUM_OFFSET: 0
; COMPUTE_PGM_RSRC3_GFX90A:TG_SPLIT: 0
	.section	.text._ZN7rocprim17ROCPRIM_400000_NS6detail17trampoline_kernelINS0_14default_configENS1_25partition_config_selectorILNS1_17partition_subalgoE3EiNS0_10empty_typeEbEEZZNS1_14partition_implILS5_3ELb0ES3_jN6thrust23THRUST_200600_302600_NS6detail15normal_iteratorINSA_7pointerIiNSA_11hip_rocprim5par_tENSA_11use_defaultESG_EEEEPS6_SJ_NS0_5tupleIJPiSJ_EEENSK_IJSJ_SJ_EEES6_PlJ7is_evenIiEEEE10hipError_tPvRmT3_T4_T5_T6_T7_T9_mT8_P12ihipStream_tbDpT10_ENKUlT_T0_E_clISt17integral_constantIbLb1EES19_IbLb0EEEEDaS15_S16_EUlS15_E_NS1_11comp_targetILNS1_3genE2ELNS1_11target_archE906ELNS1_3gpuE6ELNS1_3repE0EEENS1_30default_config_static_selectorELNS0_4arch9wavefront6targetE1EEEvT1_,"axG",@progbits,_ZN7rocprim17ROCPRIM_400000_NS6detail17trampoline_kernelINS0_14default_configENS1_25partition_config_selectorILNS1_17partition_subalgoE3EiNS0_10empty_typeEbEEZZNS1_14partition_implILS5_3ELb0ES3_jN6thrust23THRUST_200600_302600_NS6detail15normal_iteratorINSA_7pointerIiNSA_11hip_rocprim5par_tENSA_11use_defaultESG_EEEEPS6_SJ_NS0_5tupleIJPiSJ_EEENSK_IJSJ_SJ_EEES6_PlJ7is_evenIiEEEE10hipError_tPvRmT3_T4_T5_T6_T7_T9_mT8_P12ihipStream_tbDpT10_ENKUlT_T0_E_clISt17integral_constantIbLb1EES19_IbLb0EEEEDaS15_S16_EUlS15_E_NS1_11comp_targetILNS1_3genE2ELNS1_11target_archE906ELNS1_3gpuE6ELNS1_3repE0EEENS1_30default_config_static_selectorELNS0_4arch9wavefront6targetE1EEEvT1_,comdat
	.protected	_ZN7rocprim17ROCPRIM_400000_NS6detail17trampoline_kernelINS0_14default_configENS1_25partition_config_selectorILNS1_17partition_subalgoE3EiNS0_10empty_typeEbEEZZNS1_14partition_implILS5_3ELb0ES3_jN6thrust23THRUST_200600_302600_NS6detail15normal_iteratorINSA_7pointerIiNSA_11hip_rocprim5par_tENSA_11use_defaultESG_EEEEPS6_SJ_NS0_5tupleIJPiSJ_EEENSK_IJSJ_SJ_EEES6_PlJ7is_evenIiEEEE10hipError_tPvRmT3_T4_T5_T6_T7_T9_mT8_P12ihipStream_tbDpT10_ENKUlT_T0_E_clISt17integral_constantIbLb1EES19_IbLb0EEEEDaS15_S16_EUlS15_E_NS1_11comp_targetILNS1_3genE2ELNS1_11target_archE906ELNS1_3gpuE6ELNS1_3repE0EEENS1_30default_config_static_selectorELNS0_4arch9wavefront6targetE1EEEvT1_ ; -- Begin function _ZN7rocprim17ROCPRIM_400000_NS6detail17trampoline_kernelINS0_14default_configENS1_25partition_config_selectorILNS1_17partition_subalgoE3EiNS0_10empty_typeEbEEZZNS1_14partition_implILS5_3ELb0ES3_jN6thrust23THRUST_200600_302600_NS6detail15normal_iteratorINSA_7pointerIiNSA_11hip_rocprim5par_tENSA_11use_defaultESG_EEEEPS6_SJ_NS0_5tupleIJPiSJ_EEENSK_IJSJ_SJ_EEES6_PlJ7is_evenIiEEEE10hipError_tPvRmT3_T4_T5_T6_T7_T9_mT8_P12ihipStream_tbDpT10_ENKUlT_T0_E_clISt17integral_constantIbLb1EES19_IbLb0EEEEDaS15_S16_EUlS15_E_NS1_11comp_targetILNS1_3genE2ELNS1_11target_archE906ELNS1_3gpuE6ELNS1_3repE0EEENS1_30default_config_static_selectorELNS0_4arch9wavefront6targetE1EEEvT1_
	.globl	_ZN7rocprim17ROCPRIM_400000_NS6detail17trampoline_kernelINS0_14default_configENS1_25partition_config_selectorILNS1_17partition_subalgoE3EiNS0_10empty_typeEbEEZZNS1_14partition_implILS5_3ELb0ES3_jN6thrust23THRUST_200600_302600_NS6detail15normal_iteratorINSA_7pointerIiNSA_11hip_rocprim5par_tENSA_11use_defaultESG_EEEEPS6_SJ_NS0_5tupleIJPiSJ_EEENSK_IJSJ_SJ_EEES6_PlJ7is_evenIiEEEE10hipError_tPvRmT3_T4_T5_T6_T7_T9_mT8_P12ihipStream_tbDpT10_ENKUlT_T0_E_clISt17integral_constantIbLb1EES19_IbLb0EEEEDaS15_S16_EUlS15_E_NS1_11comp_targetILNS1_3genE2ELNS1_11target_archE906ELNS1_3gpuE6ELNS1_3repE0EEENS1_30default_config_static_selectorELNS0_4arch9wavefront6targetE1EEEvT1_
	.p2align	8
	.type	_ZN7rocprim17ROCPRIM_400000_NS6detail17trampoline_kernelINS0_14default_configENS1_25partition_config_selectorILNS1_17partition_subalgoE3EiNS0_10empty_typeEbEEZZNS1_14partition_implILS5_3ELb0ES3_jN6thrust23THRUST_200600_302600_NS6detail15normal_iteratorINSA_7pointerIiNSA_11hip_rocprim5par_tENSA_11use_defaultESG_EEEEPS6_SJ_NS0_5tupleIJPiSJ_EEENSK_IJSJ_SJ_EEES6_PlJ7is_evenIiEEEE10hipError_tPvRmT3_T4_T5_T6_T7_T9_mT8_P12ihipStream_tbDpT10_ENKUlT_T0_E_clISt17integral_constantIbLb1EES19_IbLb0EEEEDaS15_S16_EUlS15_E_NS1_11comp_targetILNS1_3genE2ELNS1_11target_archE906ELNS1_3gpuE6ELNS1_3repE0EEENS1_30default_config_static_selectorELNS0_4arch9wavefront6targetE1EEEvT1_,@function
_ZN7rocprim17ROCPRIM_400000_NS6detail17trampoline_kernelINS0_14default_configENS1_25partition_config_selectorILNS1_17partition_subalgoE3EiNS0_10empty_typeEbEEZZNS1_14partition_implILS5_3ELb0ES3_jN6thrust23THRUST_200600_302600_NS6detail15normal_iteratorINSA_7pointerIiNSA_11hip_rocprim5par_tENSA_11use_defaultESG_EEEEPS6_SJ_NS0_5tupleIJPiSJ_EEENSK_IJSJ_SJ_EEES6_PlJ7is_evenIiEEEE10hipError_tPvRmT3_T4_T5_T6_T7_T9_mT8_P12ihipStream_tbDpT10_ENKUlT_T0_E_clISt17integral_constantIbLb1EES19_IbLb0EEEEDaS15_S16_EUlS15_E_NS1_11comp_targetILNS1_3genE2ELNS1_11target_archE906ELNS1_3gpuE6ELNS1_3repE0EEENS1_30default_config_static_selectorELNS0_4arch9wavefront6targetE1EEEvT1_: ; @_ZN7rocprim17ROCPRIM_400000_NS6detail17trampoline_kernelINS0_14default_configENS1_25partition_config_selectorILNS1_17partition_subalgoE3EiNS0_10empty_typeEbEEZZNS1_14partition_implILS5_3ELb0ES3_jN6thrust23THRUST_200600_302600_NS6detail15normal_iteratorINSA_7pointerIiNSA_11hip_rocprim5par_tENSA_11use_defaultESG_EEEEPS6_SJ_NS0_5tupleIJPiSJ_EEENSK_IJSJ_SJ_EEES6_PlJ7is_evenIiEEEE10hipError_tPvRmT3_T4_T5_T6_T7_T9_mT8_P12ihipStream_tbDpT10_ENKUlT_T0_E_clISt17integral_constantIbLb1EES19_IbLb0EEEEDaS15_S16_EUlS15_E_NS1_11comp_targetILNS1_3genE2ELNS1_11target_archE906ELNS1_3gpuE6ELNS1_3repE0EEENS1_30default_config_static_selectorELNS0_4arch9wavefront6targetE1EEEvT1_
; %bb.0:
	.section	.rodata,"a",@progbits
	.p2align	6, 0x0
	.amdhsa_kernel _ZN7rocprim17ROCPRIM_400000_NS6detail17trampoline_kernelINS0_14default_configENS1_25partition_config_selectorILNS1_17partition_subalgoE3EiNS0_10empty_typeEbEEZZNS1_14partition_implILS5_3ELb0ES3_jN6thrust23THRUST_200600_302600_NS6detail15normal_iteratorINSA_7pointerIiNSA_11hip_rocprim5par_tENSA_11use_defaultESG_EEEEPS6_SJ_NS0_5tupleIJPiSJ_EEENSK_IJSJ_SJ_EEES6_PlJ7is_evenIiEEEE10hipError_tPvRmT3_T4_T5_T6_T7_T9_mT8_P12ihipStream_tbDpT10_ENKUlT_T0_E_clISt17integral_constantIbLb1EES19_IbLb0EEEEDaS15_S16_EUlS15_E_NS1_11comp_targetILNS1_3genE2ELNS1_11target_archE906ELNS1_3gpuE6ELNS1_3repE0EEENS1_30default_config_static_selectorELNS0_4arch9wavefront6targetE1EEEvT1_
		.amdhsa_group_segment_fixed_size 0
		.amdhsa_private_segment_fixed_size 0
		.amdhsa_kernarg_size 120
		.amdhsa_user_sgpr_count 6
		.amdhsa_user_sgpr_private_segment_buffer 1
		.amdhsa_user_sgpr_dispatch_ptr 0
		.amdhsa_user_sgpr_queue_ptr 0
		.amdhsa_user_sgpr_kernarg_segment_ptr 1
		.amdhsa_user_sgpr_dispatch_id 0
		.amdhsa_user_sgpr_flat_scratch_init 0
		.amdhsa_user_sgpr_kernarg_preload_length 0
		.amdhsa_user_sgpr_kernarg_preload_offset 0
		.amdhsa_user_sgpr_private_segment_size 0
		.amdhsa_uses_dynamic_stack 0
		.amdhsa_system_sgpr_private_segment_wavefront_offset 0
		.amdhsa_system_sgpr_workgroup_id_x 1
		.amdhsa_system_sgpr_workgroup_id_y 0
		.amdhsa_system_sgpr_workgroup_id_z 0
		.amdhsa_system_sgpr_workgroup_info 0
		.amdhsa_system_vgpr_workitem_id 0
		.amdhsa_next_free_vgpr 1
		.amdhsa_next_free_sgpr 0
		.amdhsa_accum_offset 4
		.amdhsa_reserve_vcc 0
		.amdhsa_reserve_flat_scratch 0
		.amdhsa_float_round_mode_32 0
		.amdhsa_float_round_mode_16_64 0
		.amdhsa_float_denorm_mode_32 3
		.amdhsa_float_denorm_mode_16_64 3
		.amdhsa_dx10_clamp 1
		.amdhsa_ieee_mode 1
		.amdhsa_fp16_overflow 0
		.amdhsa_tg_split 0
		.amdhsa_exception_fp_ieee_invalid_op 0
		.amdhsa_exception_fp_denorm_src 0
		.amdhsa_exception_fp_ieee_div_zero 0
		.amdhsa_exception_fp_ieee_overflow 0
		.amdhsa_exception_fp_ieee_underflow 0
		.amdhsa_exception_fp_ieee_inexact 0
		.amdhsa_exception_int_div_zero 0
	.end_amdhsa_kernel
	.section	.text._ZN7rocprim17ROCPRIM_400000_NS6detail17trampoline_kernelINS0_14default_configENS1_25partition_config_selectorILNS1_17partition_subalgoE3EiNS0_10empty_typeEbEEZZNS1_14partition_implILS5_3ELb0ES3_jN6thrust23THRUST_200600_302600_NS6detail15normal_iteratorINSA_7pointerIiNSA_11hip_rocprim5par_tENSA_11use_defaultESG_EEEEPS6_SJ_NS0_5tupleIJPiSJ_EEENSK_IJSJ_SJ_EEES6_PlJ7is_evenIiEEEE10hipError_tPvRmT3_T4_T5_T6_T7_T9_mT8_P12ihipStream_tbDpT10_ENKUlT_T0_E_clISt17integral_constantIbLb1EES19_IbLb0EEEEDaS15_S16_EUlS15_E_NS1_11comp_targetILNS1_3genE2ELNS1_11target_archE906ELNS1_3gpuE6ELNS1_3repE0EEENS1_30default_config_static_selectorELNS0_4arch9wavefront6targetE1EEEvT1_,"axG",@progbits,_ZN7rocprim17ROCPRIM_400000_NS6detail17trampoline_kernelINS0_14default_configENS1_25partition_config_selectorILNS1_17partition_subalgoE3EiNS0_10empty_typeEbEEZZNS1_14partition_implILS5_3ELb0ES3_jN6thrust23THRUST_200600_302600_NS6detail15normal_iteratorINSA_7pointerIiNSA_11hip_rocprim5par_tENSA_11use_defaultESG_EEEEPS6_SJ_NS0_5tupleIJPiSJ_EEENSK_IJSJ_SJ_EEES6_PlJ7is_evenIiEEEE10hipError_tPvRmT3_T4_T5_T6_T7_T9_mT8_P12ihipStream_tbDpT10_ENKUlT_T0_E_clISt17integral_constantIbLb1EES19_IbLb0EEEEDaS15_S16_EUlS15_E_NS1_11comp_targetILNS1_3genE2ELNS1_11target_archE906ELNS1_3gpuE6ELNS1_3repE0EEENS1_30default_config_static_selectorELNS0_4arch9wavefront6targetE1EEEvT1_,comdat
.Lfunc_end3682:
	.size	_ZN7rocprim17ROCPRIM_400000_NS6detail17trampoline_kernelINS0_14default_configENS1_25partition_config_selectorILNS1_17partition_subalgoE3EiNS0_10empty_typeEbEEZZNS1_14partition_implILS5_3ELb0ES3_jN6thrust23THRUST_200600_302600_NS6detail15normal_iteratorINSA_7pointerIiNSA_11hip_rocprim5par_tENSA_11use_defaultESG_EEEEPS6_SJ_NS0_5tupleIJPiSJ_EEENSK_IJSJ_SJ_EEES6_PlJ7is_evenIiEEEE10hipError_tPvRmT3_T4_T5_T6_T7_T9_mT8_P12ihipStream_tbDpT10_ENKUlT_T0_E_clISt17integral_constantIbLb1EES19_IbLb0EEEEDaS15_S16_EUlS15_E_NS1_11comp_targetILNS1_3genE2ELNS1_11target_archE906ELNS1_3gpuE6ELNS1_3repE0EEENS1_30default_config_static_selectorELNS0_4arch9wavefront6targetE1EEEvT1_, .Lfunc_end3682-_ZN7rocprim17ROCPRIM_400000_NS6detail17trampoline_kernelINS0_14default_configENS1_25partition_config_selectorILNS1_17partition_subalgoE3EiNS0_10empty_typeEbEEZZNS1_14partition_implILS5_3ELb0ES3_jN6thrust23THRUST_200600_302600_NS6detail15normal_iteratorINSA_7pointerIiNSA_11hip_rocprim5par_tENSA_11use_defaultESG_EEEEPS6_SJ_NS0_5tupleIJPiSJ_EEENSK_IJSJ_SJ_EEES6_PlJ7is_evenIiEEEE10hipError_tPvRmT3_T4_T5_T6_T7_T9_mT8_P12ihipStream_tbDpT10_ENKUlT_T0_E_clISt17integral_constantIbLb1EES19_IbLb0EEEEDaS15_S16_EUlS15_E_NS1_11comp_targetILNS1_3genE2ELNS1_11target_archE906ELNS1_3gpuE6ELNS1_3repE0EEENS1_30default_config_static_selectorELNS0_4arch9wavefront6targetE1EEEvT1_
                                        ; -- End function
	.section	.AMDGPU.csdata,"",@progbits
; Kernel info:
; codeLenInByte = 0
; NumSgprs: 4
; NumVgprs: 0
; NumAgprs: 0
; TotalNumVgprs: 0
; ScratchSize: 0
; MemoryBound: 0
; FloatMode: 240
; IeeeMode: 1
; LDSByteSize: 0 bytes/workgroup (compile time only)
; SGPRBlocks: 0
; VGPRBlocks: 0
; NumSGPRsForWavesPerEU: 4
; NumVGPRsForWavesPerEU: 1
; AccumOffset: 4
; Occupancy: 8
; WaveLimiterHint : 0
; COMPUTE_PGM_RSRC2:SCRATCH_EN: 0
; COMPUTE_PGM_RSRC2:USER_SGPR: 6
; COMPUTE_PGM_RSRC2:TRAP_HANDLER: 0
; COMPUTE_PGM_RSRC2:TGID_X_EN: 1
; COMPUTE_PGM_RSRC2:TGID_Y_EN: 0
; COMPUTE_PGM_RSRC2:TGID_Z_EN: 0
; COMPUTE_PGM_RSRC2:TIDIG_COMP_CNT: 0
; COMPUTE_PGM_RSRC3_GFX90A:ACCUM_OFFSET: 0
; COMPUTE_PGM_RSRC3_GFX90A:TG_SPLIT: 0
	.section	.text._ZN7rocprim17ROCPRIM_400000_NS6detail17trampoline_kernelINS0_14default_configENS1_25partition_config_selectorILNS1_17partition_subalgoE3EiNS0_10empty_typeEbEEZZNS1_14partition_implILS5_3ELb0ES3_jN6thrust23THRUST_200600_302600_NS6detail15normal_iteratorINSA_7pointerIiNSA_11hip_rocprim5par_tENSA_11use_defaultESG_EEEEPS6_SJ_NS0_5tupleIJPiSJ_EEENSK_IJSJ_SJ_EEES6_PlJ7is_evenIiEEEE10hipError_tPvRmT3_T4_T5_T6_T7_T9_mT8_P12ihipStream_tbDpT10_ENKUlT_T0_E_clISt17integral_constantIbLb1EES19_IbLb0EEEEDaS15_S16_EUlS15_E_NS1_11comp_targetILNS1_3genE10ELNS1_11target_archE1200ELNS1_3gpuE4ELNS1_3repE0EEENS1_30default_config_static_selectorELNS0_4arch9wavefront6targetE1EEEvT1_,"axG",@progbits,_ZN7rocprim17ROCPRIM_400000_NS6detail17trampoline_kernelINS0_14default_configENS1_25partition_config_selectorILNS1_17partition_subalgoE3EiNS0_10empty_typeEbEEZZNS1_14partition_implILS5_3ELb0ES3_jN6thrust23THRUST_200600_302600_NS6detail15normal_iteratorINSA_7pointerIiNSA_11hip_rocprim5par_tENSA_11use_defaultESG_EEEEPS6_SJ_NS0_5tupleIJPiSJ_EEENSK_IJSJ_SJ_EEES6_PlJ7is_evenIiEEEE10hipError_tPvRmT3_T4_T5_T6_T7_T9_mT8_P12ihipStream_tbDpT10_ENKUlT_T0_E_clISt17integral_constantIbLb1EES19_IbLb0EEEEDaS15_S16_EUlS15_E_NS1_11comp_targetILNS1_3genE10ELNS1_11target_archE1200ELNS1_3gpuE4ELNS1_3repE0EEENS1_30default_config_static_selectorELNS0_4arch9wavefront6targetE1EEEvT1_,comdat
	.protected	_ZN7rocprim17ROCPRIM_400000_NS6detail17trampoline_kernelINS0_14default_configENS1_25partition_config_selectorILNS1_17partition_subalgoE3EiNS0_10empty_typeEbEEZZNS1_14partition_implILS5_3ELb0ES3_jN6thrust23THRUST_200600_302600_NS6detail15normal_iteratorINSA_7pointerIiNSA_11hip_rocprim5par_tENSA_11use_defaultESG_EEEEPS6_SJ_NS0_5tupleIJPiSJ_EEENSK_IJSJ_SJ_EEES6_PlJ7is_evenIiEEEE10hipError_tPvRmT3_T4_T5_T6_T7_T9_mT8_P12ihipStream_tbDpT10_ENKUlT_T0_E_clISt17integral_constantIbLb1EES19_IbLb0EEEEDaS15_S16_EUlS15_E_NS1_11comp_targetILNS1_3genE10ELNS1_11target_archE1200ELNS1_3gpuE4ELNS1_3repE0EEENS1_30default_config_static_selectorELNS0_4arch9wavefront6targetE1EEEvT1_ ; -- Begin function _ZN7rocprim17ROCPRIM_400000_NS6detail17trampoline_kernelINS0_14default_configENS1_25partition_config_selectorILNS1_17partition_subalgoE3EiNS0_10empty_typeEbEEZZNS1_14partition_implILS5_3ELb0ES3_jN6thrust23THRUST_200600_302600_NS6detail15normal_iteratorINSA_7pointerIiNSA_11hip_rocprim5par_tENSA_11use_defaultESG_EEEEPS6_SJ_NS0_5tupleIJPiSJ_EEENSK_IJSJ_SJ_EEES6_PlJ7is_evenIiEEEE10hipError_tPvRmT3_T4_T5_T6_T7_T9_mT8_P12ihipStream_tbDpT10_ENKUlT_T0_E_clISt17integral_constantIbLb1EES19_IbLb0EEEEDaS15_S16_EUlS15_E_NS1_11comp_targetILNS1_3genE10ELNS1_11target_archE1200ELNS1_3gpuE4ELNS1_3repE0EEENS1_30default_config_static_selectorELNS0_4arch9wavefront6targetE1EEEvT1_
	.globl	_ZN7rocprim17ROCPRIM_400000_NS6detail17trampoline_kernelINS0_14default_configENS1_25partition_config_selectorILNS1_17partition_subalgoE3EiNS0_10empty_typeEbEEZZNS1_14partition_implILS5_3ELb0ES3_jN6thrust23THRUST_200600_302600_NS6detail15normal_iteratorINSA_7pointerIiNSA_11hip_rocprim5par_tENSA_11use_defaultESG_EEEEPS6_SJ_NS0_5tupleIJPiSJ_EEENSK_IJSJ_SJ_EEES6_PlJ7is_evenIiEEEE10hipError_tPvRmT3_T4_T5_T6_T7_T9_mT8_P12ihipStream_tbDpT10_ENKUlT_T0_E_clISt17integral_constantIbLb1EES19_IbLb0EEEEDaS15_S16_EUlS15_E_NS1_11comp_targetILNS1_3genE10ELNS1_11target_archE1200ELNS1_3gpuE4ELNS1_3repE0EEENS1_30default_config_static_selectorELNS0_4arch9wavefront6targetE1EEEvT1_
	.p2align	8
	.type	_ZN7rocprim17ROCPRIM_400000_NS6detail17trampoline_kernelINS0_14default_configENS1_25partition_config_selectorILNS1_17partition_subalgoE3EiNS0_10empty_typeEbEEZZNS1_14partition_implILS5_3ELb0ES3_jN6thrust23THRUST_200600_302600_NS6detail15normal_iteratorINSA_7pointerIiNSA_11hip_rocprim5par_tENSA_11use_defaultESG_EEEEPS6_SJ_NS0_5tupleIJPiSJ_EEENSK_IJSJ_SJ_EEES6_PlJ7is_evenIiEEEE10hipError_tPvRmT3_T4_T5_T6_T7_T9_mT8_P12ihipStream_tbDpT10_ENKUlT_T0_E_clISt17integral_constantIbLb1EES19_IbLb0EEEEDaS15_S16_EUlS15_E_NS1_11comp_targetILNS1_3genE10ELNS1_11target_archE1200ELNS1_3gpuE4ELNS1_3repE0EEENS1_30default_config_static_selectorELNS0_4arch9wavefront6targetE1EEEvT1_,@function
_ZN7rocprim17ROCPRIM_400000_NS6detail17trampoline_kernelINS0_14default_configENS1_25partition_config_selectorILNS1_17partition_subalgoE3EiNS0_10empty_typeEbEEZZNS1_14partition_implILS5_3ELb0ES3_jN6thrust23THRUST_200600_302600_NS6detail15normal_iteratorINSA_7pointerIiNSA_11hip_rocprim5par_tENSA_11use_defaultESG_EEEEPS6_SJ_NS0_5tupleIJPiSJ_EEENSK_IJSJ_SJ_EEES6_PlJ7is_evenIiEEEE10hipError_tPvRmT3_T4_T5_T6_T7_T9_mT8_P12ihipStream_tbDpT10_ENKUlT_T0_E_clISt17integral_constantIbLb1EES19_IbLb0EEEEDaS15_S16_EUlS15_E_NS1_11comp_targetILNS1_3genE10ELNS1_11target_archE1200ELNS1_3gpuE4ELNS1_3repE0EEENS1_30default_config_static_selectorELNS0_4arch9wavefront6targetE1EEEvT1_: ; @_ZN7rocprim17ROCPRIM_400000_NS6detail17trampoline_kernelINS0_14default_configENS1_25partition_config_selectorILNS1_17partition_subalgoE3EiNS0_10empty_typeEbEEZZNS1_14partition_implILS5_3ELb0ES3_jN6thrust23THRUST_200600_302600_NS6detail15normal_iteratorINSA_7pointerIiNSA_11hip_rocprim5par_tENSA_11use_defaultESG_EEEEPS6_SJ_NS0_5tupleIJPiSJ_EEENSK_IJSJ_SJ_EEES6_PlJ7is_evenIiEEEE10hipError_tPvRmT3_T4_T5_T6_T7_T9_mT8_P12ihipStream_tbDpT10_ENKUlT_T0_E_clISt17integral_constantIbLb1EES19_IbLb0EEEEDaS15_S16_EUlS15_E_NS1_11comp_targetILNS1_3genE10ELNS1_11target_archE1200ELNS1_3gpuE4ELNS1_3repE0EEENS1_30default_config_static_selectorELNS0_4arch9wavefront6targetE1EEEvT1_
; %bb.0:
	.section	.rodata,"a",@progbits
	.p2align	6, 0x0
	.amdhsa_kernel _ZN7rocprim17ROCPRIM_400000_NS6detail17trampoline_kernelINS0_14default_configENS1_25partition_config_selectorILNS1_17partition_subalgoE3EiNS0_10empty_typeEbEEZZNS1_14partition_implILS5_3ELb0ES3_jN6thrust23THRUST_200600_302600_NS6detail15normal_iteratorINSA_7pointerIiNSA_11hip_rocprim5par_tENSA_11use_defaultESG_EEEEPS6_SJ_NS0_5tupleIJPiSJ_EEENSK_IJSJ_SJ_EEES6_PlJ7is_evenIiEEEE10hipError_tPvRmT3_T4_T5_T6_T7_T9_mT8_P12ihipStream_tbDpT10_ENKUlT_T0_E_clISt17integral_constantIbLb1EES19_IbLb0EEEEDaS15_S16_EUlS15_E_NS1_11comp_targetILNS1_3genE10ELNS1_11target_archE1200ELNS1_3gpuE4ELNS1_3repE0EEENS1_30default_config_static_selectorELNS0_4arch9wavefront6targetE1EEEvT1_
		.amdhsa_group_segment_fixed_size 0
		.amdhsa_private_segment_fixed_size 0
		.amdhsa_kernarg_size 120
		.amdhsa_user_sgpr_count 6
		.amdhsa_user_sgpr_private_segment_buffer 1
		.amdhsa_user_sgpr_dispatch_ptr 0
		.amdhsa_user_sgpr_queue_ptr 0
		.amdhsa_user_sgpr_kernarg_segment_ptr 1
		.amdhsa_user_sgpr_dispatch_id 0
		.amdhsa_user_sgpr_flat_scratch_init 0
		.amdhsa_user_sgpr_kernarg_preload_length 0
		.amdhsa_user_sgpr_kernarg_preload_offset 0
		.amdhsa_user_sgpr_private_segment_size 0
		.amdhsa_uses_dynamic_stack 0
		.amdhsa_system_sgpr_private_segment_wavefront_offset 0
		.amdhsa_system_sgpr_workgroup_id_x 1
		.amdhsa_system_sgpr_workgroup_id_y 0
		.amdhsa_system_sgpr_workgroup_id_z 0
		.amdhsa_system_sgpr_workgroup_info 0
		.amdhsa_system_vgpr_workitem_id 0
		.amdhsa_next_free_vgpr 1
		.amdhsa_next_free_sgpr 0
		.amdhsa_accum_offset 4
		.amdhsa_reserve_vcc 0
		.amdhsa_reserve_flat_scratch 0
		.amdhsa_float_round_mode_32 0
		.amdhsa_float_round_mode_16_64 0
		.amdhsa_float_denorm_mode_32 3
		.amdhsa_float_denorm_mode_16_64 3
		.amdhsa_dx10_clamp 1
		.amdhsa_ieee_mode 1
		.amdhsa_fp16_overflow 0
		.amdhsa_tg_split 0
		.amdhsa_exception_fp_ieee_invalid_op 0
		.amdhsa_exception_fp_denorm_src 0
		.amdhsa_exception_fp_ieee_div_zero 0
		.amdhsa_exception_fp_ieee_overflow 0
		.amdhsa_exception_fp_ieee_underflow 0
		.amdhsa_exception_fp_ieee_inexact 0
		.amdhsa_exception_int_div_zero 0
	.end_amdhsa_kernel
	.section	.text._ZN7rocprim17ROCPRIM_400000_NS6detail17trampoline_kernelINS0_14default_configENS1_25partition_config_selectorILNS1_17partition_subalgoE3EiNS0_10empty_typeEbEEZZNS1_14partition_implILS5_3ELb0ES3_jN6thrust23THRUST_200600_302600_NS6detail15normal_iteratorINSA_7pointerIiNSA_11hip_rocprim5par_tENSA_11use_defaultESG_EEEEPS6_SJ_NS0_5tupleIJPiSJ_EEENSK_IJSJ_SJ_EEES6_PlJ7is_evenIiEEEE10hipError_tPvRmT3_T4_T5_T6_T7_T9_mT8_P12ihipStream_tbDpT10_ENKUlT_T0_E_clISt17integral_constantIbLb1EES19_IbLb0EEEEDaS15_S16_EUlS15_E_NS1_11comp_targetILNS1_3genE10ELNS1_11target_archE1200ELNS1_3gpuE4ELNS1_3repE0EEENS1_30default_config_static_selectorELNS0_4arch9wavefront6targetE1EEEvT1_,"axG",@progbits,_ZN7rocprim17ROCPRIM_400000_NS6detail17trampoline_kernelINS0_14default_configENS1_25partition_config_selectorILNS1_17partition_subalgoE3EiNS0_10empty_typeEbEEZZNS1_14partition_implILS5_3ELb0ES3_jN6thrust23THRUST_200600_302600_NS6detail15normal_iteratorINSA_7pointerIiNSA_11hip_rocprim5par_tENSA_11use_defaultESG_EEEEPS6_SJ_NS0_5tupleIJPiSJ_EEENSK_IJSJ_SJ_EEES6_PlJ7is_evenIiEEEE10hipError_tPvRmT3_T4_T5_T6_T7_T9_mT8_P12ihipStream_tbDpT10_ENKUlT_T0_E_clISt17integral_constantIbLb1EES19_IbLb0EEEEDaS15_S16_EUlS15_E_NS1_11comp_targetILNS1_3genE10ELNS1_11target_archE1200ELNS1_3gpuE4ELNS1_3repE0EEENS1_30default_config_static_selectorELNS0_4arch9wavefront6targetE1EEEvT1_,comdat
.Lfunc_end3683:
	.size	_ZN7rocprim17ROCPRIM_400000_NS6detail17trampoline_kernelINS0_14default_configENS1_25partition_config_selectorILNS1_17partition_subalgoE3EiNS0_10empty_typeEbEEZZNS1_14partition_implILS5_3ELb0ES3_jN6thrust23THRUST_200600_302600_NS6detail15normal_iteratorINSA_7pointerIiNSA_11hip_rocprim5par_tENSA_11use_defaultESG_EEEEPS6_SJ_NS0_5tupleIJPiSJ_EEENSK_IJSJ_SJ_EEES6_PlJ7is_evenIiEEEE10hipError_tPvRmT3_T4_T5_T6_T7_T9_mT8_P12ihipStream_tbDpT10_ENKUlT_T0_E_clISt17integral_constantIbLb1EES19_IbLb0EEEEDaS15_S16_EUlS15_E_NS1_11comp_targetILNS1_3genE10ELNS1_11target_archE1200ELNS1_3gpuE4ELNS1_3repE0EEENS1_30default_config_static_selectorELNS0_4arch9wavefront6targetE1EEEvT1_, .Lfunc_end3683-_ZN7rocprim17ROCPRIM_400000_NS6detail17trampoline_kernelINS0_14default_configENS1_25partition_config_selectorILNS1_17partition_subalgoE3EiNS0_10empty_typeEbEEZZNS1_14partition_implILS5_3ELb0ES3_jN6thrust23THRUST_200600_302600_NS6detail15normal_iteratorINSA_7pointerIiNSA_11hip_rocprim5par_tENSA_11use_defaultESG_EEEEPS6_SJ_NS0_5tupleIJPiSJ_EEENSK_IJSJ_SJ_EEES6_PlJ7is_evenIiEEEE10hipError_tPvRmT3_T4_T5_T6_T7_T9_mT8_P12ihipStream_tbDpT10_ENKUlT_T0_E_clISt17integral_constantIbLb1EES19_IbLb0EEEEDaS15_S16_EUlS15_E_NS1_11comp_targetILNS1_3genE10ELNS1_11target_archE1200ELNS1_3gpuE4ELNS1_3repE0EEENS1_30default_config_static_selectorELNS0_4arch9wavefront6targetE1EEEvT1_
                                        ; -- End function
	.section	.AMDGPU.csdata,"",@progbits
; Kernel info:
; codeLenInByte = 0
; NumSgprs: 4
; NumVgprs: 0
; NumAgprs: 0
; TotalNumVgprs: 0
; ScratchSize: 0
; MemoryBound: 0
; FloatMode: 240
; IeeeMode: 1
; LDSByteSize: 0 bytes/workgroup (compile time only)
; SGPRBlocks: 0
; VGPRBlocks: 0
; NumSGPRsForWavesPerEU: 4
; NumVGPRsForWavesPerEU: 1
; AccumOffset: 4
; Occupancy: 8
; WaveLimiterHint : 0
; COMPUTE_PGM_RSRC2:SCRATCH_EN: 0
; COMPUTE_PGM_RSRC2:USER_SGPR: 6
; COMPUTE_PGM_RSRC2:TRAP_HANDLER: 0
; COMPUTE_PGM_RSRC2:TGID_X_EN: 1
; COMPUTE_PGM_RSRC2:TGID_Y_EN: 0
; COMPUTE_PGM_RSRC2:TGID_Z_EN: 0
; COMPUTE_PGM_RSRC2:TIDIG_COMP_CNT: 0
; COMPUTE_PGM_RSRC3_GFX90A:ACCUM_OFFSET: 0
; COMPUTE_PGM_RSRC3_GFX90A:TG_SPLIT: 0
	.section	.text._ZN7rocprim17ROCPRIM_400000_NS6detail17trampoline_kernelINS0_14default_configENS1_25partition_config_selectorILNS1_17partition_subalgoE3EiNS0_10empty_typeEbEEZZNS1_14partition_implILS5_3ELb0ES3_jN6thrust23THRUST_200600_302600_NS6detail15normal_iteratorINSA_7pointerIiNSA_11hip_rocprim5par_tENSA_11use_defaultESG_EEEEPS6_SJ_NS0_5tupleIJPiSJ_EEENSK_IJSJ_SJ_EEES6_PlJ7is_evenIiEEEE10hipError_tPvRmT3_T4_T5_T6_T7_T9_mT8_P12ihipStream_tbDpT10_ENKUlT_T0_E_clISt17integral_constantIbLb1EES19_IbLb0EEEEDaS15_S16_EUlS15_E_NS1_11comp_targetILNS1_3genE9ELNS1_11target_archE1100ELNS1_3gpuE3ELNS1_3repE0EEENS1_30default_config_static_selectorELNS0_4arch9wavefront6targetE1EEEvT1_,"axG",@progbits,_ZN7rocprim17ROCPRIM_400000_NS6detail17trampoline_kernelINS0_14default_configENS1_25partition_config_selectorILNS1_17partition_subalgoE3EiNS0_10empty_typeEbEEZZNS1_14partition_implILS5_3ELb0ES3_jN6thrust23THRUST_200600_302600_NS6detail15normal_iteratorINSA_7pointerIiNSA_11hip_rocprim5par_tENSA_11use_defaultESG_EEEEPS6_SJ_NS0_5tupleIJPiSJ_EEENSK_IJSJ_SJ_EEES6_PlJ7is_evenIiEEEE10hipError_tPvRmT3_T4_T5_T6_T7_T9_mT8_P12ihipStream_tbDpT10_ENKUlT_T0_E_clISt17integral_constantIbLb1EES19_IbLb0EEEEDaS15_S16_EUlS15_E_NS1_11comp_targetILNS1_3genE9ELNS1_11target_archE1100ELNS1_3gpuE3ELNS1_3repE0EEENS1_30default_config_static_selectorELNS0_4arch9wavefront6targetE1EEEvT1_,comdat
	.protected	_ZN7rocprim17ROCPRIM_400000_NS6detail17trampoline_kernelINS0_14default_configENS1_25partition_config_selectorILNS1_17partition_subalgoE3EiNS0_10empty_typeEbEEZZNS1_14partition_implILS5_3ELb0ES3_jN6thrust23THRUST_200600_302600_NS6detail15normal_iteratorINSA_7pointerIiNSA_11hip_rocprim5par_tENSA_11use_defaultESG_EEEEPS6_SJ_NS0_5tupleIJPiSJ_EEENSK_IJSJ_SJ_EEES6_PlJ7is_evenIiEEEE10hipError_tPvRmT3_T4_T5_T6_T7_T9_mT8_P12ihipStream_tbDpT10_ENKUlT_T0_E_clISt17integral_constantIbLb1EES19_IbLb0EEEEDaS15_S16_EUlS15_E_NS1_11comp_targetILNS1_3genE9ELNS1_11target_archE1100ELNS1_3gpuE3ELNS1_3repE0EEENS1_30default_config_static_selectorELNS0_4arch9wavefront6targetE1EEEvT1_ ; -- Begin function _ZN7rocprim17ROCPRIM_400000_NS6detail17trampoline_kernelINS0_14default_configENS1_25partition_config_selectorILNS1_17partition_subalgoE3EiNS0_10empty_typeEbEEZZNS1_14partition_implILS5_3ELb0ES3_jN6thrust23THRUST_200600_302600_NS6detail15normal_iteratorINSA_7pointerIiNSA_11hip_rocprim5par_tENSA_11use_defaultESG_EEEEPS6_SJ_NS0_5tupleIJPiSJ_EEENSK_IJSJ_SJ_EEES6_PlJ7is_evenIiEEEE10hipError_tPvRmT3_T4_T5_T6_T7_T9_mT8_P12ihipStream_tbDpT10_ENKUlT_T0_E_clISt17integral_constantIbLb1EES19_IbLb0EEEEDaS15_S16_EUlS15_E_NS1_11comp_targetILNS1_3genE9ELNS1_11target_archE1100ELNS1_3gpuE3ELNS1_3repE0EEENS1_30default_config_static_selectorELNS0_4arch9wavefront6targetE1EEEvT1_
	.globl	_ZN7rocprim17ROCPRIM_400000_NS6detail17trampoline_kernelINS0_14default_configENS1_25partition_config_selectorILNS1_17partition_subalgoE3EiNS0_10empty_typeEbEEZZNS1_14partition_implILS5_3ELb0ES3_jN6thrust23THRUST_200600_302600_NS6detail15normal_iteratorINSA_7pointerIiNSA_11hip_rocprim5par_tENSA_11use_defaultESG_EEEEPS6_SJ_NS0_5tupleIJPiSJ_EEENSK_IJSJ_SJ_EEES6_PlJ7is_evenIiEEEE10hipError_tPvRmT3_T4_T5_T6_T7_T9_mT8_P12ihipStream_tbDpT10_ENKUlT_T0_E_clISt17integral_constantIbLb1EES19_IbLb0EEEEDaS15_S16_EUlS15_E_NS1_11comp_targetILNS1_3genE9ELNS1_11target_archE1100ELNS1_3gpuE3ELNS1_3repE0EEENS1_30default_config_static_selectorELNS0_4arch9wavefront6targetE1EEEvT1_
	.p2align	8
	.type	_ZN7rocprim17ROCPRIM_400000_NS6detail17trampoline_kernelINS0_14default_configENS1_25partition_config_selectorILNS1_17partition_subalgoE3EiNS0_10empty_typeEbEEZZNS1_14partition_implILS5_3ELb0ES3_jN6thrust23THRUST_200600_302600_NS6detail15normal_iteratorINSA_7pointerIiNSA_11hip_rocprim5par_tENSA_11use_defaultESG_EEEEPS6_SJ_NS0_5tupleIJPiSJ_EEENSK_IJSJ_SJ_EEES6_PlJ7is_evenIiEEEE10hipError_tPvRmT3_T4_T5_T6_T7_T9_mT8_P12ihipStream_tbDpT10_ENKUlT_T0_E_clISt17integral_constantIbLb1EES19_IbLb0EEEEDaS15_S16_EUlS15_E_NS1_11comp_targetILNS1_3genE9ELNS1_11target_archE1100ELNS1_3gpuE3ELNS1_3repE0EEENS1_30default_config_static_selectorELNS0_4arch9wavefront6targetE1EEEvT1_,@function
_ZN7rocprim17ROCPRIM_400000_NS6detail17trampoline_kernelINS0_14default_configENS1_25partition_config_selectorILNS1_17partition_subalgoE3EiNS0_10empty_typeEbEEZZNS1_14partition_implILS5_3ELb0ES3_jN6thrust23THRUST_200600_302600_NS6detail15normal_iteratorINSA_7pointerIiNSA_11hip_rocprim5par_tENSA_11use_defaultESG_EEEEPS6_SJ_NS0_5tupleIJPiSJ_EEENSK_IJSJ_SJ_EEES6_PlJ7is_evenIiEEEE10hipError_tPvRmT3_T4_T5_T6_T7_T9_mT8_P12ihipStream_tbDpT10_ENKUlT_T0_E_clISt17integral_constantIbLb1EES19_IbLb0EEEEDaS15_S16_EUlS15_E_NS1_11comp_targetILNS1_3genE9ELNS1_11target_archE1100ELNS1_3gpuE3ELNS1_3repE0EEENS1_30default_config_static_selectorELNS0_4arch9wavefront6targetE1EEEvT1_: ; @_ZN7rocprim17ROCPRIM_400000_NS6detail17trampoline_kernelINS0_14default_configENS1_25partition_config_selectorILNS1_17partition_subalgoE3EiNS0_10empty_typeEbEEZZNS1_14partition_implILS5_3ELb0ES3_jN6thrust23THRUST_200600_302600_NS6detail15normal_iteratorINSA_7pointerIiNSA_11hip_rocprim5par_tENSA_11use_defaultESG_EEEEPS6_SJ_NS0_5tupleIJPiSJ_EEENSK_IJSJ_SJ_EEES6_PlJ7is_evenIiEEEE10hipError_tPvRmT3_T4_T5_T6_T7_T9_mT8_P12ihipStream_tbDpT10_ENKUlT_T0_E_clISt17integral_constantIbLb1EES19_IbLb0EEEEDaS15_S16_EUlS15_E_NS1_11comp_targetILNS1_3genE9ELNS1_11target_archE1100ELNS1_3gpuE3ELNS1_3repE0EEENS1_30default_config_static_selectorELNS0_4arch9wavefront6targetE1EEEvT1_
; %bb.0:
	.section	.rodata,"a",@progbits
	.p2align	6, 0x0
	.amdhsa_kernel _ZN7rocprim17ROCPRIM_400000_NS6detail17trampoline_kernelINS0_14default_configENS1_25partition_config_selectorILNS1_17partition_subalgoE3EiNS0_10empty_typeEbEEZZNS1_14partition_implILS5_3ELb0ES3_jN6thrust23THRUST_200600_302600_NS6detail15normal_iteratorINSA_7pointerIiNSA_11hip_rocprim5par_tENSA_11use_defaultESG_EEEEPS6_SJ_NS0_5tupleIJPiSJ_EEENSK_IJSJ_SJ_EEES6_PlJ7is_evenIiEEEE10hipError_tPvRmT3_T4_T5_T6_T7_T9_mT8_P12ihipStream_tbDpT10_ENKUlT_T0_E_clISt17integral_constantIbLb1EES19_IbLb0EEEEDaS15_S16_EUlS15_E_NS1_11comp_targetILNS1_3genE9ELNS1_11target_archE1100ELNS1_3gpuE3ELNS1_3repE0EEENS1_30default_config_static_selectorELNS0_4arch9wavefront6targetE1EEEvT1_
		.amdhsa_group_segment_fixed_size 0
		.amdhsa_private_segment_fixed_size 0
		.amdhsa_kernarg_size 120
		.amdhsa_user_sgpr_count 6
		.amdhsa_user_sgpr_private_segment_buffer 1
		.amdhsa_user_sgpr_dispatch_ptr 0
		.amdhsa_user_sgpr_queue_ptr 0
		.amdhsa_user_sgpr_kernarg_segment_ptr 1
		.amdhsa_user_sgpr_dispatch_id 0
		.amdhsa_user_sgpr_flat_scratch_init 0
		.amdhsa_user_sgpr_kernarg_preload_length 0
		.amdhsa_user_sgpr_kernarg_preload_offset 0
		.amdhsa_user_sgpr_private_segment_size 0
		.amdhsa_uses_dynamic_stack 0
		.amdhsa_system_sgpr_private_segment_wavefront_offset 0
		.amdhsa_system_sgpr_workgroup_id_x 1
		.amdhsa_system_sgpr_workgroup_id_y 0
		.amdhsa_system_sgpr_workgroup_id_z 0
		.amdhsa_system_sgpr_workgroup_info 0
		.amdhsa_system_vgpr_workitem_id 0
		.amdhsa_next_free_vgpr 1
		.amdhsa_next_free_sgpr 0
		.amdhsa_accum_offset 4
		.amdhsa_reserve_vcc 0
		.amdhsa_reserve_flat_scratch 0
		.amdhsa_float_round_mode_32 0
		.amdhsa_float_round_mode_16_64 0
		.amdhsa_float_denorm_mode_32 3
		.amdhsa_float_denorm_mode_16_64 3
		.amdhsa_dx10_clamp 1
		.amdhsa_ieee_mode 1
		.amdhsa_fp16_overflow 0
		.amdhsa_tg_split 0
		.amdhsa_exception_fp_ieee_invalid_op 0
		.amdhsa_exception_fp_denorm_src 0
		.amdhsa_exception_fp_ieee_div_zero 0
		.amdhsa_exception_fp_ieee_overflow 0
		.amdhsa_exception_fp_ieee_underflow 0
		.amdhsa_exception_fp_ieee_inexact 0
		.amdhsa_exception_int_div_zero 0
	.end_amdhsa_kernel
	.section	.text._ZN7rocprim17ROCPRIM_400000_NS6detail17trampoline_kernelINS0_14default_configENS1_25partition_config_selectorILNS1_17partition_subalgoE3EiNS0_10empty_typeEbEEZZNS1_14partition_implILS5_3ELb0ES3_jN6thrust23THRUST_200600_302600_NS6detail15normal_iteratorINSA_7pointerIiNSA_11hip_rocprim5par_tENSA_11use_defaultESG_EEEEPS6_SJ_NS0_5tupleIJPiSJ_EEENSK_IJSJ_SJ_EEES6_PlJ7is_evenIiEEEE10hipError_tPvRmT3_T4_T5_T6_T7_T9_mT8_P12ihipStream_tbDpT10_ENKUlT_T0_E_clISt17integral_constantIbLb1EES19_IbLb0EEEEDaS15_S16_EUlS15_E_NS1_11comp_targetILNS1_3genE9ELNS1_11target_archE1100ELNS1_3gpuE3ELNS1_3repE0EEENS1_30default_config_static_selectorELNS0_4arch9wavefront6targetE1EEEvT1_,"axG",@progbits,_ZN7rocprim17ROCPRIM_400000_NS6detail17trampoline_kernelINS0_14default_configENS1_25partition_config_selectorILNS1_17partition_subalgoE3EiNS0_10empty_typeEbEEZZNS1_14partition_implILS5_3ELb0ES3_jN6thrust23THRUST_200600_302600_NS6detail15normal_iteratorINSA_7pointerIiNSA_11hip_rocprim5par_tENSA_11use_defaultESG_EEEEPS6_SJ_NS0_5tupleIJPiSJ_EEENSK_IJSJ_SJ_EEES6_PlJ7is_evenIiEEEE10hipError_tPvRmT3_T4_T5_T6_T7_T9_mT8_P12ihipStream_tbDpT10_ENKUlT_T0_E_clISt17integral_constantIbLb1EES19_IbLb0EEEEDaS15_S16_EUlS15_E_NS1_11comp_targetILNS1_3genE9ELNS1_11target_archE1100ELNS1_3gpuE3ELNS1_3repE0EEENS1_30default_config_static_selectorELNS0_4arch9wavefront6targetE1EEEvT1_,comdat
.Lfunc_end3684:
	.size	_ZN7rocprim17ROCPRIM_400000_NS6detail17trampoline_kernelINS0_14default_configENS1_25partition_config_selectorILNS1_17partition_subalgoE3EiNS0_10empty_typeEbEEZZNS1_14partition_implILS5_3ELb0ES3_jN6thrust23THRUST_200600_302600_NS6detail15normal_iteratorINSA_7pointerIiNSA_11hip_rocprim5par_tENSA_11use_defaultESG_EEEEPS6_SJ_NS0_5tupleIJPiSJ_EEENSK_IJSJ_SJ_EEES6_PlJ7is_evenIiEEEE10hipError_tPvRmT3_T4_T5_T6_T7_T9_mT8_P12ihipStream_tbDpT10_ENKUlT_T0_E_clISt17integral_constantIbLb1EES19_IbLb0EEEEDaS15_S16_EUlS15_E_NS1_11comp_targetILNS1_3genE9ELNS1_11target_archE1100ELNS1_3gpuE3ELNS1_3repE0EEENS1_30default_config_static_selectorELNS0_4arch9wavefront6targetE1EEEvT1_, .Lfunc_end3684-_ZN7rocprim17ROCPRIM_400000_NS6detail17trampoline_kernelINS0_14default_configENS1_25partition_config_selectorILNS1_17partition_subalgoE3EiNS0_10empty_typeEbEEZZNS1_14partition_implILS5_3ELb0ES3_jN6thrust23THRUST_200600_302600_NS6detail15normal_iteratorINSA_7pointerIiNSA_11hip_rocprim5par_tENSA_11use_defaultESG_EEEEPS6_SJ_NS0_5tupleIJPiSJ_EEENSK_IJSJ_SJ_EEES6_PlJ7is_evenIiEEEE10hipError_tPvRmT3_T4_T5_T6_T7_T9_mT8_P12ihipStream_tbDpT10_ENKUlT_T0_E_clISt17integral_constantIbLb1EES19_IbLb0EEEEDaS15_S16_EUlS15_E_NS1_11comp_targetILNS1_3genE9ELNS1_11target_archE1100ELNS1_3gpuE3ELNS1_3repE0EEENS1_30default_config_static_selectorELNS0_4arch9wavefront6targetE1EEEvT1_
                                        ; -- End function
	.section	.AMDGPU.csdata,"",@progbits
; Kernel info:
; codeLenInByte = 0
; NumSgprs: 4
; NumVgprs: 0
; NumAgprs: 0
; TotalNumVgprs: 0
; ScratchSize: 0
; MemoryBound: 0
; FloatMode: 240
; IeeeMode: 1
; LDSByteSize: 0 bytes/workgroup (compile time only)
; SGPRBlocks: 0
; VGPRBlocks: 0
; NumSGPRsForWavesPerEU: 4
; NumVGPRsForWavesPerEU: 1
; AccumOffset: 4
; Occupancy: 8
; WaveLimiterHint : 0
; COMPUTE_PGM_RSRC2:SCRATCH_EN: 0
; COMPUTE_PGM_RSRC2:USER_SGPR: 6
; COMPUTE_PGM_RSRC2:TRAP_HANDLER: 0
; COMPUTE_PGM_RSRC2:TGID_X_EN: 1
; COMPUTE_PGM_RSRC2:TGID_Y_EN: 0
; COMPUTE_PGM_RSRC2:TGID_Z_EN: 0
; COMPUTE_PGM_RSRC2:TIDIG_COMP_CNT: 0
; COMPUTE_PGM_RSRC3_GFX90A:ACCUM_OFFSET: 0
; COMPUTE_PGM_RSRC3_GFX90A:TG_SPLIT: 0
	.section	.text._ZN7rocprim17ROCPRIM_400000_NS6detail17trampoline_kernelINS0_14default_configENS1_25partition_config_selectorILNS1_17partition_subalgoE3EiNS0_10empty_typeEbEEZZNS1_14partition_implILS5_3ELb0ES3_jN6thrust23THRUST_200600_302600_NS6detail15normal_iteratorINSA_7pointerIiNSA_11hip_rocprim5par_tENSA_11use_defaultESG_EEEEPS6_SJ_NS0_5tupleIJPiSJ_EEENSK_IJSJ_SJ_EEES6_PlJ7is_evenIiEEEE10hipError_tPvRmT3_T4_T5_T6_T7_T9_mT8_P12ihipStream_tbDpT10_ENKUlT_T0_E_clISt17integral_constantIbLb1EES19_IbLb0EEEEDaS15_S16_EUlS15_E_NS1_11comp_targetILNS1_3genE8ELNS1_11target_archE1030ELNS1_3gpuE2ELNS1_3repE0EEENS1_30default_config_static_selectorELNS0_4arch9wavefront6targetE1EEEvT1_,"axG",@progbits,_ZN7rocprim17ROCPRIM_400000_NS6detail17trampoline_kernelINS0_14default_configENS1_25partition_config_selectorILNS1_17partition_subalgoE3EiNS0_10empty_typeEbEEZZNS1_14partition_implILS5_3ELb0ES3_jN6thrust23THRUST_200600_302600_NS6detail15normal_iteratorINSA_7pointerIiNSA_11hip_rocprim5par_tENSA_11use_defaultESG_EEEEPS6_SJ_NS0_5tupleIJPiSJ_EEENSK_IJSJ_SJ_EEES6_PlJ7is_evenIiEEEE10hipError_tPvRmT3_T4_T5_T6_T7_T9_mT8_P12ihipStream_tbDpT10_ENKUlT_T0_E_clISt17integral_constantIbLb1EES19_IbLb0EEEEDaS15_S16_EUlS15_E_NS1_11comp_targetILNS1_3genE8ELNS1_11target_archE1030ELNS1_3gpuE2ELNS1_3repE0EEENS1_30default_config_static_selectorELNS0_4arch9wavefront6targetE1EEEvT1_,comdat
	.protected	_ZN7rocprim17ROCPRIM_400000_NS6detail17trampoline_kernelINS0_14default_configENS1_25partition_config_selectorILNS1_17partition_subalgoE3EiNS0_10empty_typeEbEEZZNS1_14partition_implILS5_3ELb0ES3_jN6thrust23THRUST_200600_302600_NS6detail15normal_iteratorINSA_7pointerIiNSA_11hip_rocprim5par_tENSA_11use_defaultESG_EEEEPS6_SJ_NS0_5tupleIJPiSJ_EEENSK_IJSJ_SJ_EEES6_PlJ7is_evenIiEEEE10hipError_tPvRmT3_T4_T5_T6_T7_T9_mT8_P12ihipStream_tbDpT10_ENKUlT_T0_E_clISt17integral_constantIbLb1EES19_IbLb0EEEEDaS15_S16_EUlS15_E_NS1_11comp_targetILNS1_3genE8ELNS1_11target_archE1030ELNS1_3gpuE2ELNS1_3repE0EEENS1_30default_config_static_selectorELNS0_4arch9wavefront6targetE1EEEvT1_ ; -- Begin function _ZN7rocprim17ROCPRIM_400000_NS6detail17trampoline_kernelINS0_14default_configENS1_25partition_config_selectorILNS1_17partition_subalgoE3EiNS0_10empty_typeEbEEZZNS1_14partition_implILS5_3ELb0ES3_jN6thrust23THRUST_200600_302600_NS6detail15normal_iteratorINSA_7pointerIiNSA_11hip_rocprim5par_tENSA_11use_defaultESG_EEEEPS6_SJ_NS0_5tupleIJPiSJ_EEENSK_IJSJ_SJ_EEES6_PlJ7is_evenIiEEEE10hipError_tPvRmT3_T4_T5_T6_T7_T9_mT8_P12ihipStream_tbDpT10_ENKUlT_T0_E_clISt17integral_constantIbLb1EES19_IbLb0EEEEDaS15_S16_EUlS15_E_NS1_11comp_targetILNS1_3genE8ELNS1_11target_archE1030ELNS1_3gpuE2ELNS1_3repE0EEENS1_30default_config_static_selectorELNS0_4arch9wavefront6targetE1EEEvT1_
	.globl	_ZN7rocprim17ROCPRIM_400000_NS6detail17trampoline_kernelINS0_14default_configENS1_25partition_config_selectorILNS1_17partition_subalgoE3EiNS0_10empty_typeEbEEZZNS1_14partition_implILS5_3ELb0ES3_jN6thrust23THRUST_200600_302600_NS6detail15normal_iteratorINSA_7pointerIiNSA_11hip_rocprim5par_tENSA_11use_defaultESG_EEEEPS6_SJ_NS0_5tupleIJPiSJ_EEENSK_IJSJ_SJ_EEES6_PlJ7is_evenIiEEEE10hipError_tPvRmT3_T4_T5_T6_T7_T9_mT8_P12ihipStream_tbDpT10_ENKUlT_T0_E_clISt17integral_constantIbLb1EES19_IbLb0EEEEDaS15_S16_EUlS15_E_NS1_11comp_targetILNS1_3genE8ELNS1_11target_archE1030ELNS1_3gpuE2ELNS1_3repE0EEENS1_30default_config_static_selectorELNS0_4arch9wavefront6targetE1EEEvT1_
	.p2align	8
	.type	_ZN7rocprim17ROCPRIM_400000_NS6detail17trampoline_kernelINS0_14default_configENS1_25partition_config_selectorILNS1_17partition_subalgoE3EiNS0_10empty_typeEbEEZZNS1_14partition_implILS5_3ELb0ES3_jN6thrust23THRUST_200600_302600_NS6detail15normal_iteratorINSA_7pointerIiNSA_11hip_rocprim5par_tENSA_11use_defaultESG_EEEEPS6_SJ_NS0_5tupleIJPiSJ_EEENSK_IJSJ_SJ_EEES6_PlJ7is_evenIiEEEE10hipError_tPvRmT3_T4_T5_T6_T7_T9_mT8_P12ihipStream_tbDpT10_ENKUlT_T0_E_clISt17integral_constantIbLb1EES19_IbLb0EEEEDaS15_S16_EUlS15_E_NS1_11comp_targetILNS1_3genE8ELNS1_11target_archE1030ELNS1_3gpuE2ELNS1_3repE0EEENS1_30default_config_static_selectorELNS0_4arch9wavefront6targetE1EEEvT1_,@function
_ZN7rocprim17ROCPRIM_400000_NS6detail17trampoline_kernelINS0_14default_configENS1_25partition_config_selectorILNS1_17partition_subalgoE3EiNS0_10empty_typeEbEEZZNS1_14partition_implILS5_3ELb0ES3_jN6thrust23THRUST_200600_302600_NS6detail15normal_iteratorINSA_7pointerIiNSA_11hip_rocprim5par_tENSA_11use_defaultESG_EEEEPS6_SJ_NS0_5tupleIJPiSJ_EEENSK_IJSJ_SJ_EEES6_PlJ7is_evenIiEEEE10hipError_tPvRmT3_T4_T5_T6_T7_T9_mT8_P12ihipStream_tbDpT10_ENKUlT_T0_E_clISt17integral_constantIbLb1EES19_IbLb0EEEEDaS15_S16_EUlS15_E_NS1_11comp_targetILNS1_3genE8ELNS1_11target_archE1030ELNS1_3gpuE2ELNS1_3repE0EEENS1_30default_config_static_selectorELNS0_4arch9wavefront6targetE1EEEvT1_: ; @_ZN7rocprim17ROCPRIM_400000_NS6detail17trampoline_kernelINS0_14default_configENS1_25partition_config_selectorILNS1_17partition_subalgoE3EiNS0_10empty_typeEbEEZZNS1_14partition_implILS5_3ELb0ES3_jN6thrust23THRUST_200600_302600_NS6detail15normal_iteratorINSA_7pointerIiNSA_11hip_rocprim5par_tENSA_11use_defaultESG_EEEEPS6_SJ_NS0_5tupleIJPiSJ_EEENSK_IJSJ_SJ_EEES6_PlJ7is_evenIiEEEE10hipError_tPvRmT3_T4_T5_T6_T7_T9_mT8_P12ihipStream_tbDpT10_ENKUlT_T0_E_clISt17integral_constantIbLb1EES19_IbLb0EEEEDaS15_S16_EUlS15_E_NS1_11comp_targetILNS1_3genE8ELNS1_11target_archE1030ELNS1_3gpuE2ELNS1_3repE0EEENS1_30default_config_static_selectorELNS0_4arch9wavefront6targetE1EEEvT1_
; %bb.0:
	.section	.rodata,"a",@progbits
	.p2align	6, 0x0
	.amdhsa_kernel _ZN7rocprim17ROCPRIM_400000_NS6detail17trampoline_kernelINS0_14default_configENS1_25partition_config_selectorILNS1_17partition_subalgoE3EiNS0_10empty_typeEbEEZZNS1_14partition_implILS5_3ELb0ES3_jN6thrust23THRUST_200600_302600_NS6detail15normal_iteratorINSA_7pointerIiNSA_11hip_rocprim5par_tENSA_11use_defaultESG_EEEEPS6_SJ_NS0_5tupleIJPiSJ_EEENSK_IJSJ_SJ_EEES6_PlJ7is_evenIiEEEE10hipError_tPvRmT3_T4_T5_T6_T7_T9_mT8_P12ihipStream_tbDpT10_ENKUlT_T0_E_clISt17integral_constantIbLb1EES19_IbLb0EEEEDaS15_S16_EUlS15_E_NS1_11comp_targetILNS1_3genE8ELNS1_11target_archE1030ELNS1_3gpuE2ELNS1_3repE0EEENS1_30default_config_static_selectorELNS0_4arch9wavefront6targetE1EEEvT1_
		.amdhsa_group_segment_fixed_size 0
		.amdhsa_private_segment_fixed_size 0
		.amdhsa_kernarg_size 120
		.amdhsa_user_sgpr_count 6
		.amdhsa_user_sgpr_private_segment_buffer 1
		.amdhsa_user_sgpr_dispatch_ptr 0
		.amdhsa_user_sgpr_queue_ptr 0
		.amdhsa_user_sgpr_kernarg_segment_ptr 1
		.amdhsa_user_sgpr_dispatch_id 0
		.amdhsa_user_sgpr_flat_scratch_init 0
		.amdhsa_user_sgpr_kernarg_preload_length 0
		.amdhsa_user_sgpr_kernarg_preload_offset 0
		.amdhsa_user_sgpr_private_segment_size 0
		.amdhsa_uses_dynamic_stack 0
		.amdhsa_system_sgpr_private_segment_wavefront_offset 0
		.amdhsa_system_sgpr_workgroup_id_x 1
		.amdhsa_system_sgpr_workgroup_id_y 0
		.amdhsa_system_sgpr_workgroup_id_z 0
		.amdhsa_system_sgpr_workgroup_info 0
		.amdhsa_system_vgpr_workitem_id 0
		.amdhsa_next_free_vgpr 1
		.amdhsa_next_free_sgpr 0
		.amdhsa_accum_offset 4
		.amdhsa_reserve_vcc 0
		.amdhsa_reserve_flat_scratch 0
		.amdhsa_float_round_mode_32 0
		.amdhsa_float_round_mode_16_64 0
		.amdhsa_float_denorm_mode_32 3
		.amdhsa_float_denorm_mode_16_64 3
		.amdhsa_dx10_clamp 1
		.amdhsa_ieee_mode 1
		.amdhsa_fp16_overflow 0
		.amdhsa_tg_split 0
		.amdhsa_exception_fp_ieee_invalid_op 0
		.amdhsa_exception_fp_denorm_src 0
		.amdhsa_exception_fp_ieee_div_zero 0
		.amdhsa_exception_fp_ieee_overflow 0
		.amdhsa_exception_fp_ieee_underflow 0
		.amdhsa_exception_fp_ieee_inexact 0
		.amdhsa_exception_int_div_zero 0
	.end_amdhsa_kernel
	.section	.text._ZN7rocprim17ROCPRIM_400000_NS6detail17trampoline_kernelINS0_14default_configENS1_25partition_config_selectorILNS1_17partition_subalgoE3EiNS0_10empty_typeEbEEZZNS1_14partition_implILS5_3ELb0ES3_jN6thrust23THRUST_200600_302600_NS6detail15normal_iteratorINSA_7pointerIiNSA_11hip_rocprim5par_tENSA_11use_defaultESG_EEEEPS6_SJ_NS0_5tupleIJPiSJ_EEENSK_IJSJ_SJ_EEES6_PlJ7is_evenIiEEEE10hipError_tPvRmT3_T4_T5_T6_T7_T9_mT8_P12ihipStream_tbDpT10_ENKUlT_T0_E_clISt17integral_constantIbLb1EES19_IbLb0EEEEDaS15_S16_EUlS15_E_NS1_11comp_targetILNS1_3genE8ELNS1_11target_archE1030ELNS1_3gpuE2ELNS1_3repE0EEENS1_30default_config_static_selectorELNS0_4arch9wavefront6targetE1EEEvT1_,"axG",@progbits,_ZN7rocprim17ROCPRIM_400000_NS6detail17trampoline_kernelINS0_14default_configENS1_25partition_config_selectorILNS1_17partition_subalgoE3EiNS0_10empty_typeEbEEZZNS1_14partition_implILS5_3ELb0ES3_jN6thrust23THRUST_200600_302600_NS6detail15normal_iteratorINSA_7pointerIiNSA_11hip_rocprim5par_tENSA_11use_defaultESG_EEEEPS6_SJ_NS0_5tupleIJPiSJ_EEENSK_IJSJ_SJ_EEES6_PlJ7is_evenIiEEEE10hipError_tPvRmT3_T4_T5_T6_T7_T9_mT8_P12ihipStream_tbDpT10_ENKUlT_T0_E_clISt17integral_constantIbLb1EES19_IbLb0EEEEDaS15_S16_EUlS15_E_NS1_11comp_targetILNS1_3genE8ELNS1_11target_archE1030ELNS1_3gpuE2ELNS1_3repE0EEENS1_30default_config_static_selectorELNS0_4arch9wavefront6targetE1EEEvT1_,comdat
.Lfunc_end3685:
	.size	_ZN7rocprim17ROCPRIM_400000_NS6detail17trampoline_kernelINS0_14default_configENS1_25partition_config_selectorILNS1_17partition_subalgoE3EiNS0_10empty_typeEbEEZZNS1_14partition_implILS5_3ELb0ES3_jN6thrust23THRUST_200600_302600_NS6detail15normal_iteratorINSA_7pointerIiNSA_11hip_rocprim5par_tENSA_11use_defaultESG_EEEEPS6_SJ_NS0_5tupleIJPiSJ_EEENSK_IJSJ_SJ_EEES6_PlJ7is_evenIiEEEE10hipError_tPvRmT3_T4_T5_T6_T7_T9_mT8_P12ihipStream_tbDpT10_ENKUlT_T0_E_clISt17integral_constantIbLb1EES19_IbLb0EEEEDaS15_S16_EUlS15_E_NS1_11comp_targetILNS1_3genE8ELNS1_11target_archE1030ELNS1_3gpuE2ELNS1_3repE0EEENS1_30default_config_static_selectorELNS0_4arch9wavefront6targetE1EEEvT1_, .Lfunc_end3685-_ZN7rocprim17ROCPRIM_400000_NS6detail17trampoline_kernelINS0_14default_configENS1_25partition_config_selectorILNS1_17partition_subalgoE3EiNS0_10empty_typeEbEEZZNS1_14partition_implILS5_3ELb0ES3_jN6thrust23THRUST_200600_302600_NS6detail15normal_iteratorINSA_7pointerIiNSA_11hip_rocprim5par_tENSA_11use_defaultESG_EEEEPS6_SJ_NS0_5tupleIJPiSJ_EEENSK_IJSJ_SJ_EEES6_PlJ7is_evenIiEEEE10hipError_tPvRmT3_T4_T5_T6_T7_T9_mT8_P12ihipStream_tbDpT10_ENKUlT_T0_E_clISt17integral_constantIbLb1EES19_IbLb0EEEEDaS15_S16_EUlS15_E_NS1_11comp_targetILNS1_3genE8ELNS1_11target_archE1030ELNS1_3gpuE2ELNS1_3repE0EEENS1_30default_config_static_selectorELNS0_4arch9wavefront6targetE1EEEvT1_
                                        ; -- End function
	.section	.AMDGPU.csdata,"",@progbits
; Kernel info:
; codeLenInByte = 0
; NumSgprs: 4
; NumVgprs: 0
; NumAgprs: 0
; TotalNumVgprs: 0
; ScratchSize: 0
; MemoryBound: 0
; FloatMode: 240
; IeeeMode: 1
; LDSByteSize: 0 bytes/workgroup (compile time only)
; SGPRBlocks: 0
; VGPRBlocks: 0
; NumSGPRsForWavesPerEU: 4
; NumVGPRsForWavesPerEU: 1
; AccumOffset: 4
; Occupancy: 8
; WaveLimiterHint : 0
; COMPUTE_PGM_RSRC2:SCRATCH_EN: 0
; COMPUTE_PGM_RSRC2:USER_SGPR: 6
; COMPUTE_PGM_RSRC2:TRAP_HANDLER: 0
; COMPUTE_PGM_RSRC2:TGID_X_EN: 1
; COMPUTE_PGM_RSRC2:TGID_Y_EN: 0
; COMPUTE_PGM_RSRC2:TGID_Z_EN: 0
; COMPUTE_PGM_RSRC2:TIDIG_COMP_CNT: 0
; COMPUTE_PGM_RSRC3_GFX90A:ACCUM_OFFSET: 0
; COMPUTE_PGM_RSRC3_GFX90A:TG_SPLIT: 0
	.section	.text._ZN7rocprim17ROCPRIM_400000_NS6detail17trampoline_kernelINS0_14default_configENS1_25partition_config_selectorILNS1_17partition_subalgoE3EiNS0_10empty_typeEbEEZZNS1_14partition_implILS5_3ELb0ES3_jN6thrust23THRUST_200600_302600_NS6detail15normal_iteratorINSA_7pointerIiNSA_11hip_rocprim5par_tENSA_11use_defaultESG_EEEEPS6_SJ_NS0_5tupleIJPiSJ_EEENSK_IJSJ_SJ_EEES6_PlJ7is_evenIiEEEE10hipError_tPvRmT3_T4_T5_T6_T7_T9_mT8_P12ihipStream_tbDpT10_ENKUlT_T0_E_clISt17integral_constantIbLb0EES19_IbLb1EEEEDaS15_S16_EUlS15_E_NS1_11comp_targetILNS1_3genE0ELNS1_11target_archE4294967295ELNS1_3gpuE0ELNS1_3repE0EEENS1_30default_config_static_selectorELNS0_4arch9wavefront6targetE1EEEvT1_,"axG",@progbits,_ZN7rocprim17ROCPRIM_400000_NS6detail17trampoline_kernelINS0_14default_configENS1_25partition_config_selectorILNS1_17partition_subalgoE3EiNS0_10empty_typeEbEEZZNS1_14partition_implILS5_3ELb0ES3_jN6thrust23THRUST_200600_302600_NS6detail15normal_iteratorINSA_7pointerIiNSA_11hip_rocprim5par_tENSA_11use_defaultESG_EEEEPS6_SJ_NS0_5tupleIJPiSJ_EEENSK_IJSJ_SJ_EEES6_PlJ7is_evenIiEEEE10hipError_tPvRmT3_T4_T5_T6_T7_T9_mT8_P12ihipStream_tbDpT10_ENKUlT_T0_E_clISt17integral_constantIbLb0EES19_IbLb1EEEEDaS15_S16_EUlS15_E_NS1_11comp_targetILNS1_3genE0ELNS1_11target_archE4294967295ELNS1_3gpuE0ELNS1_3repE0EEENS1_30default_config_static_selectorELNS0_4arch9wavefront6targetE1EEEvT1_,comdat
	.protected	_ZN7rocprim17ROCPRIM_400000_NS6detail17trampoline_kernelINS0_14default_configENS1_25partition_config_selectorILNS1_17partition_subalgoE3EiNS0_10empty_typeEbEEZZNS1_14partition_implILS5_3ELb0ES3_jN6thrust23THRUST_200600_302600_NS6detail15normal_iteratorINSA_7pointerIiNSA_11hip_rocprim5par_tENSA_11use_defaultESG_EEEEPS6_SJ_NS0_5tupleIJPiSJ_EEENSK_IJSJ_SJ_EEES6_PlJ7is_evenIiEEEE10hipError_tPvRmT3_T4_T5_T6_T7_T9_mT8_P12ihipStream_tbDpT10_ENKUlT_T0_E_clISt17integral_constantIbLb0EES19_IbLb1EEEEDaS15_S16_EUlS15_E_NS1_11comp_targetILNS1_3genE0ELNS1_11target_archE4294967295ELNS1_3gpuE0ELNS1_3repE0EEENS1_30default_config_static_selectorELNS0_4arch9wavefront6targetE1EEEvT1_ ; -- Begin function _ZN7rocprim17ROCPRIM_400000_NS6detail17trampoline_kernelINS0_14default_configENS1_25partition_config_selectorILNS1_17partition_subalgoE3EiNS0_10empty_typeEbEEZZNS1_14partition_implILS5_3ELb0ES3_jN6thrust23THRUST_200600_302600_NS6detail15normal_iteratorINSA_7pointerIiNSA_11hip_rocprim5par_tENSA_11use_defaultESG_EEEEPS6_SJ_NS0_5tupleIJPiSJ_EEENSK_IJSJ_SJ_EEES6_PlJ7is_evenIiEEEE10hipError_tPvRmT3_T4_T5_T6_T7_T9_mT8_P12ihipStream_tbDpT10_ENKUlT_T0_E_clISt17integral_constantIbLb0EES19_IbLb1EEEEDaS15_S16_EUlS15_E_NS1_11comp_targetILNS1_3genE0ELNS1_11target_archE4294967295ELNS1_3gpuE0ELNS1_3repE0EEENS1_30default_config_static_selectorELNS0_4arch9wavefront6targetE1EEEvT1_
	.globl	_ZN7rocprim17ROCPRIM_400000_NS6detail17trampoline_kernelINS0_14default_configENS1_25partition_config_selectorILNS1_17partition_subalgoE3EiNS0_10empty_typeEbEEZZNS1_14partition_implILS5_3ELb0ES3_jN6thrust23THRUST_200600_302600_NS6detail15normal_iteratorINSA_7pointerIiNSA_11hip_rocprim5par_tENSA_11use_defaultESG_EEEEPS6_SJ_NS0_5tupleIJPiSJ_EEENSK_IJSJ_SJ_EEES6_PlJ7is_evenIiEEEE10hipError_tPvRmT3_T4_T5_T6_T7_T9_mT8_P12ihipStream_tbDpT10_ENKUlT_T0_E_clISt17integral_constantIbLb0EES19_IbLb1EEEEDaS15_S16_EUlS15_E_NS1_11comp_targetILNS1_3genE0ELNS1_11target_archE4294967295ELNS1_3gpuE0ELNS1_3repE0EEENS1_30default_config_static_selectorELNS0_4arch9wavefront6targetE1EEEvT1_
	.p2align	8
	.type	_ZN7rocprim17ROCPRIM_400000_NS6detail17trampoline_kernelINS0_14default_configENS1_25partition_config_selectorILNS1_17partition_subalgoE3EiNS0_10empty_typeEbEEZZNS1_14partition_implILS5_3ELb0ES3_jN6thrust23THRUST_200600_302600_NS6detail15normal_iteratorINSA_7pointerIiNSA_11hip_rocprim5par_tENSA_11use_defaultESG_EEEEPS6_SJ_NS0_5tupleIJPiSJ_EEENSK_IJSJ_SJ_EEES6_PlJ7is_evenIiEEEE10hipError_tPvRmT3_T4_T5_T6_T7_T9_mT8_P12ihipStream_tbDpT10_ENKUlT_T0_E_clISt17integral_constantIbLb0EES19_IbLb1EEEEDaS15_S16_EUlS15_E_NS1_11comp_targetILNS1_3genE0ELNS1_11target_archE4294967295ELNS1_3gpuE0ELNS1_3repE0EEENS1_30default_config_static_selectorELNS0_4arch9wavefront6targetE1EEEvT1_,@function
_ZN7rocprim17ROCPRIM_400000_NS6detail17trampoline_kernelINS0_14default_configENS1_25partition_config_selectorILNS1_17partition_subalgoE3EiNS0_10empty_typeEbEEZZNS1_14partition_implILS5_3ELb0ES3_jN6thrust23THRUST_200600_302600_NS6detail15normal_iteratorINSA_7pointerIiNSA_11hip_rocprim5par_tENSA_11use_defaultESG_EEEEPS6_SJ_NS0_5tupleIJPiSJ_EEENSK_IJSJ_SJ_EEES6_PlJ7is_evenIiEEEE10hipError_tPvRmT3_T4_T5_T6_T7_T9_mT8_P12ihipStream_tbDpT10_ENKUlT_T0_E_clISt17integral_constantIbLb0EES19_IbLb1EEEEDaS15_S16_EUlS15_E_NS1_11comp_targetILNS1_3genE0ELNS1_11target_archE4294967295ELNS1_3gpuE0ELNS1_3repE0EEENS1_30default_config_static_selectorELNS0_4arch9wavefront6targetE1EEEvT1_: ; @_ZN7rocprim17ROCPRIM_400000_NS6detail17trampoline_kernelINS0_14default_configENS1_25partition_config_selectorILNS1_17partition_subalgoE3EiNS0_10empty_typeEbEEZZNS1_14partition_implILS5_3ELb0ES3_jN6thrust23THRUST_200600_302600_NS6detail15normal_iteratorINSA_7pointerIiNSA_11hip_rocprim5par_tENSA_11use_defaultESG_EEEEPS6_SJ_NS0_5tupleIJPiSJ_EEENSK_IJSJ_SJ_EEES6_PlJ7is_evenIiEEEE10hipError_tPvRmT3_T4_T5_T6_T7_T9_mT8_P12ihipStream_tbDpT10_ENKUlT_T0_E_clISt17integral_constantIbLb0EES19_IbLb1EEEEDaS15_S16_EUlS15_E_NS1_11comp_targetILNS1_3genE0ELNS1_11target_archE4294967295ELNS1_3gpuE0ELNS1_3repE0EEENS1_30default_config_static_selectorELNS0_4arch9wavefront6targetE1EEEvT1_
; %bb.0:
	.section	.rodata,"a",@progbits
	.p2align	6, 0x0
	.amdhsa_kernel _ZN7rocprim17ROCPRIM_400000_NS6detail17trampoline_kernelINS0_14default_configENS1_25partition_config_selectorILNS1_17partition_subalgoE3EiNS0_10empty_typeEbEEZZNS1_14partition_implILS5_3ELb0ES3_jN6thrust23THRUST_200600_302600_NS6detail15normal_iteratorINSA_7pointerIiNSA_11hip_rocprim5par_tENSA_11use_defaultESG_EEEEPS6_SJ_NS0_5tupleIJPiSJ_EEENSK_IJSJ_SJ_EEES6_PlJ7is_evenIiEEEE10hipError_tPvRmT3_T4_T5_T6_T7_T9_mT8_P12ihipStream_tbDpT10_ENKUlT_T0_E_clISt17integral_constantIbLb0EES19_IbLb1EEEEDaS15_S16_EUlS15_E_NS1_11comp_targetILNS1_3genE0ELNS1_11target_archE4294967295ELNS1_3gpuE0ELNS1_3repE0EEENS1_30default_config_static_selectorELNS0_4arch9wavefront6targetE1EEEvT1_
		.amdhsa_group_segment_fixed_size 0
		.amdhsa_private_segment_fixed_size 0
		.amdhsa_kernarg_size 136
		.amdhsa_user_sgpr_count 6
		.amdhsa_user_sgpr_private_segment_buffer 1
		.amdhsa_user_sgpr_dispatch_ptr 0
		.amdhsa_user_sgpr_queue_ptr 0
		.amdhsa_user_sgpr_kernarg_segment_ptr 1
		.amdhsa_user_sgpr_dispatch_id 0
		.amdhsa_user_sgpr_flat_scratch_init 0
		.amdhsa_user_sgpr_kernarg_preload_length 0
		.amdhsa_user_sgpr_kernarg_preload_offset 0
		.amdhsa_user_sgpr_private_segment_size 0
		.amdhsa_uses_dynamic_stack 0
		.amdhsa_system_sgpr_private_segment_wavefront_offset 0
		.amdhsa_system_sgpr_workgroup_id_x 1
		.amdhsa_system_sgpr_workgroup_id_y 0
		.amdhsa_system_sgpr_workgroup_id_z 0
		.amdhsa_system_sgpr_workgroup_info 0
		.amdhsa_system_vgpr_workitem_id 0
		.amdhsa_next_free_vgpr 1
		.amdhsa_next_free_sgpr 0
		.amdhsa_accum_offset 4
		.amdhsa_reserve_vcc 0
		.amdhsa_reserve_flat_scratch 0
		.amdhsa_float_round_mode_32 0
		.amdhsa_float_round_mode_16_64 0
		.amdhsa_float_denorm_mode_32 3
		.amdhsa_float_denorm_mode_16_64 3
		.amdhsa_dx10_clamp 1
		.amdhsa_ieee_mode 1
		.amdhsa_fp16_overflow 0
		.amdhsa_tg_split 0
		.amdhsa_exception_fp_ieee_invalid_op 0
		.amdhsa_exception_fp_denorm_src 0
		.amdhsa_exception_fp_ieee_div_zero 0
		.amdhsa_exception_fp_ieee_overflow 0
		.amdhsa_exception_fp_ieee_underflow 0
		.amdhsa_exception_fp_ieee_inexact 0
		.amdhsa_exception_int_div_zero 0
	.end_amdhsa_kernel
	.section	.text._ZN7rocprim17ROCPRIM_400000_NS6detail17trampoline_kernelINS0_14default_configENS1_25partition_config_selectorILNS1_17partition_subalgoE3EiNS0_10empty_typeEbEEZZNS1_14partition_implILS5_3ELb0ES3_jN6thrust23THRUST_200600_302600_NS6detail15normal_iteratorINSA_7pointerIiNSA_11hip_rocprim5par_tENSA_11use_defaultESG_EEEEPS6_SJ_NS0_5tupleIJPiSJ_EEENSK_IJSJ_SJ_EEES6_PlJ7is_evenIiEEEE10hipError_tPvRmT3_T4_T5_T6_T7_T9_mT8_P12ihipStream_tbDpT10_ENKUlT_T0_E_clISt17integral_constantIbLb0EES19_IbLb1EEEEDaS15_S16_EUlS15_E_NS1_11comp_targetILNS1_3genE0ELNS1_11target_archE4294967295ELNS1_3gpuE0ELNS1_3repE0EEENS1_30default_config_static_selectorELNS0_4arch9wavefront6targetE1EEEvT1_,"axG",@progbits,_ZN7rocprim17ROCPRIM_400000_NS6detail17trampoline_kernelINS0_14default_configENS1_25partition_config_selectorILNS1_17partition_subalgoE3EiNS0_10empty_typeEbEEZZNS1_14partition_implILS5_3ELb0ES3_jN6thrust23THRUST_200600_302600_NS6detail15normal_iteratorINSA_7pointerIiNSA_11hip_rocprim5par_tENSA_11use_defaultESG_EEEEPS6_SJ_NS0_5tupleIJPiSJ_EEENSK_IJSJ_SJ_EEES6_PlJ7is_evenIiEEEE10hipError_tPvRmT3_T4_T5_T6_T7_T9_mT8_P12ihipStream_tbDpT10_ENKUlT_T0_E_clISt17integral_constantIbLb0EES19_IbLb1EEEEDaS15_S16_EUlS15_E_NS1_11comp_targetILNS1_3genE0ELNS1_11target_archE4294967295ELNS1_3gpuE0ELNS1_3repE0EEENS1_30default_config_static_selectorELNS0_4arch9wavefront6targetE1EEEvT1_,comdat
.Lfunc_end3686:
	.size	_ZN7rocprim17ROCPRIM_400000_NS6detail17trampoline_kernelINS0_14default_configENS1_25partition_config_selectorILNS1_17partition_subalgoE3EiNS0_10empty_typeEbEEZZNS1_14partition_implILS5_3ELb0ES3_jN6thrust23THRUST_200600_302600_NS6detail15normal_iteratorINSA_7pointerIiNSA_11hip_rocprim5par_tENSA_11use_defaultESG_EEEEPS6_SJ_NS0_5tupleIJPiSJ_EEENSK_IJSJ_SJ_EEES6_PlJ7is_evenIiEEEE10hipError_tPvRmT3_T4_T5_T6_T7_T9_mT8_P12ihipStream_tbDpT10_ENKUlT_T0_E_clISt17integral_constantIbLb0EES19_IbLb1EEEEDaS15_S16_EUlS15_E_NS1_11comp_targetILNS1_3genE0ELNS1_11target_archE4294967295ELNS1_3gpuE0ELNS1_3repE0EEENS1_30default_config_static_selectorELNS0_4arch9wavefront6targetE1EEEvT1_, .Lfunc_end3686-_ZN7rocprim17ROCPRIM_400000_NS6detail17trampoline_kernelINS0_14default_configENS1_25partition_config_selectorILNS1_17partition_subalgoE3EiNS0_10empty_typeEbEEZZNS1_14partition_implILS5_3ELb0ES3_jN6thrust23THRUST_200600_302600_NS6detail15normal_iteratorINSA_7pointerIiNSA_11hip_rocprim5par_tENSA_11use_defaultESG_EEEEPS6_SJ_NS0_5tupleIJPiSJ_EEENSK_IJSJ_SJ_EEES6_PlJ7is_evenIiEEEE10hipError_tPvRmT3_T4_T5_T6_T7_T9_mT8_P12ihipStream_tbDpT10_ENKUlT_T0_E_clISt17integral_constantIbLb0EES19_IbLb1EEEEDaS15_S16_EUlS15_E_NS1_11comp_targetILNS1_3genE0ELNS1_11target_archE4294967295ELNS1_3gpuE0ELNS1_3repE0EEENS1_30default_config_static_selectorELNS0_4arch9wavefront6targetE1EEEvT1_
                                        ; -- End function
	.section	.AMDGPU.csdata,"",@progbits
; Kernel info:
; codeLenInByte = 0
; NumSgprs: 4
; NumVgprs: 0
; NumAgprs: 0
; TotalNumVgprs: 0
; ScratchSize: 0
; MemoryBound: 0
; FloatMode: 240
; IeeeMode: 1
; LDSByteSize: 0 bytes/workgroup (compile time only)
; SGPRBlocks: 0
; VGPRBlocks: 0
; NumSGPRsForWavesPerEU: 4
; NumVGPRsForWavesPerEU: 1
; AccumOffset: 4
; Occupancy: 8
; WaveLimiterHint : 0
; COMPUTE_PGM_RSRC2:SCRATCH_EN: 0
; COMPUTE_PGM_RSRC2:USER_SGPR: 6
; COMPUTE_PGM_RSRC2:TRAP_HANDLER: 0
; COMPUTE_PGM_RSRC2:TGID_X_EN: 1
; COMPUTE_PGM_RSRC2:TGID_Y_EN: 0
; COMPUTE_PGM_RSRC2:TGID_Z_EN: 0
; COMPUTE_PGM_RSRC2:TIDIG_COMP_CNT: 0
; COMPUTE_PGM_RSRC3_GFX90A:ACCUM_OFFSET: 0
; COMPUTE_PGM_RSRC3_GFX90A:TG_SPLIT: 0
	.section	.text._ZN7rocprim17ROCPRIM_400000_NS6detail17trampoline_kernelINS0_14default_configENS1_25partition_config_selectorILNS1_17partition_subalgoE3EiNS0_10empty_typeEbEEZZNS1_14partition_implILS5_3ELb0ES3_jN6thrust23THRUST_200600_302600_NS6detail15normal_iteratorINSA_7pointerIiNSA_11hip_rocprim5par_tENSA_11use_defaultESG_EEEEPS6_SJ_NS0_5tupleIJPiSJ_EEENSK_IJSJ_SJ_EEES6_PlJ7is_evenIiEEEE10hipError_tPvRmT3_T4_T5_T6_T7_T9_mT8_P12ihipStream_tbDpT10_ENKUlT_T0_E_clISt17integral_constantIbLb0EES19_IbLb1EEEEDaS15_S16_EUlS15_E_NS1_11comp_targetILNS1_3genE5ELNS1_11target_archE942ELNS1_3gpuE9ELNS1_3repE0EEENS1_30default_config_static_selectorELNS0_4arch9wavefront6targetE1EEEvT1_,"axG",@progbits,_ZN7rocprim17ROCPRIM_400000_NS6detail17trampoline_kernelINS0_14default_configENS1_25partition_config_selectorILNS1_17partition_subalgoE3EiNS0_10empty_typeEbEEZZNS1_14partition_implILS5_3ELb0ES3_jN6thrust23THRUST_200600_302600_NS6detail15normal_iteratorINSA_7pointerIiNSA_11hip_rocprim5par_tENSA_11use_defaultESG_EEEEPS6_SJ_NS0_5tupleIJPiSJ_EEENSK_IJSJ_SJ_EEES6_PlJ7is_evenIiEEEE10hipError_tPvRmT3_T4_T5_T6_T7_T9_mT8_P12ihipStream_tbDpT10_ENKUlT_T0_E_clISt17integral_constantIbLb0EES19_IbLb1EEEEDaS15_S16_EUlS15_E_NS1_11comp_targetILNS1_3genE5ELNS1_11target_archE942ELNS1_3gpuE9ELNS1_3repE0EEENS1_30default_config_static_selectorELNS0_4arch9wavefront6targetE1EEEvT1_,comdat
	.protected	_ZN7rocprim17ROCPRIM_400000_NS6detail17trampoline_kernelINS0_14default_configENS1_25partition_config_selectorILNS1_17partition_subalgoE3EiNS0_10empty_typeEbEEZZNS1_14partition_implILS5_3ELb0ES3_jN6thrust23THRUST_200600_302600_NS6detail15normal_iteratorINSA_7pointerIiNSA_11hip_rocprim5par_tENSA_11use_defaultESG_EEEEPS6_SJ_NS0_5tupleIJPiSJ_EEENSK_IJSJ_SJ_EEES6_PlJ7is_evenIiEEEE10hipError_tPvRmT3_T4_T5_T6_T7_T9_mT8_P12ihipStream_tbDpT10_ENKUlT_T0_E_clISt17integral_constantIbLb0EES19_IbLb1EEEEDaS15_S16_EUlS15_E_NS1_11comp_targetILNS1_3genE5ELNS1_11target_archE942ELNS1_3gpuE9ELNS1_3repE0EEENS1_30default_config_static_selectorELNS0_4arch9wavefront6targetE1EEEvT1_ ; -- Begin function _ZN7rocprim17ROCPRIM_400000_NS6detail17trampoline_kernelINS0_14default_configENS1_25partition_config_selectorILNS1_17partition_subalgoE3EiNS0_10empty_typeEbEEZZNS1_14partition_implILS5_3ELb0ES3_jN6thrust23THRUST_200600_302600_NS6detail15normal_iteratorINSA_7pointerIiNSA_11hip_rocprim5par_tENSA_11use_defaultESG_EEEEPS6_SJ_NS0_5tupleIJPiSJ_EEENSK_IJSJ_SJ_EEES6_PlJ7is_evenIiEEEE10hipError_tPvRmT3_T4_T5_T6_T7_T9_mT8_P12ihipStream_tbDpT10_ENKUlT_T0_E_clISt17integral_constantIbLb0EES19_IbLb1EEEEDaS15_S16_EUlS15_E_NS1_11comp_targetILNS1_3genE5ELNS1_11target_archE942ELNS1_3gpuE9ELNS1_3repE0EEENS1_30default_config_static_selectorELNS0_4arch9wavefront6targetE1EEEvT1_
	.globl	_ZN7rocprim17ROCPRIM_400000_NS6detail17trampoline_kernelINS0_14default_configENS1_25partition_config_selectorILNS1_17partition_subalgoE3EiNS0_10empty_typeEbEEZZNS1_14partition_implILS5_3ELb0ES3_jN6thrust23THRUST_200600_302600_NS6detail15normal_iteratorINSA_7pointerIiNSA_11hip_rocprim5par_tENSA_11use_defaultESG_EEEEPS6_SJ_NS0_5tupleIJPiSJ_EEENSK_IJSJ_SJ_EEES6_PlJ7is_evenIiEEEE10hipError_tPvRmT3_T4_T5_T6_T7_T9_mT8_P12ihipStream_tbDpT10_ENKUlT_T0_E_clISt17integral_constantIbLb0EES19_IbLb1EEEEDaS15_S16_EUlS15_E_NS1_11comp_targetILNS1_3genE5ELNS1_11target_archE942ELNS1_3gpuE9ELNS1_3repE0EEENS1_30default_config_static_selectorELNS0_4arch9wavefront6targetE1EEEvT1_
	.p2align	8
	.type	_ZN7rocprim17ROCPRIM_400000_NS6detail17trampoline_kernelINS0_14default_configENS1_25partition_config_selectorILNS1_17partition_subalgoE3EiNS0_10empty_typeEbEEZZNS1_14partition_implILS5_3ELb0ES3_jN6thrust23THRUST_200600_302600_NS6detail15normal_iteratorINSA_7pointerIiNSA_11hip_rocprim5par_tENSA_11use_defaultESG_EEEEPS6_SJ_NS0_5tupleIJPiSJ_EEENSK_IJSJ_SJ_EEES6_PlJ7is_evenIiEEEE10hipError_tPvRmT3_T4_T5_T6_T7_T9_mT8_P12ihipStream_tbDpT10_ENKUlT_T0_E_clISt17integral_constantIbLb0EES19_IbLb1EEEEDaS15_S16_EUlS15_E_NS1_11comp_targetILNS1_3genE5ELNS1_11target_archE942ELNS1_3gpuE9ELNS1_3repE0EEENS1_30default_config_static_selectorELNS0_4arch9wavefront6targetE1EEEvT1_,@function
_ZN7rocprim17ROCPRIM_400000_NS6detail17trampoline_kernelINS0_14default_configENS1_25partition_config_selectorILNS1_17partition_subalgoE3EiNS0_10empty_typeEbEEZZNS1_14partition_implILS5_3ELb0ES3_jN6thrust23THRUST_200600_302600_NS6detail15normal_iteratorINSA_7pointerIiNSA_11hip_rocprim5par_tENSA_11use_defaultESG_EEEEPS6_SJ_NS0_5tupleIJPiSJ_EEENSK_IJSJ_SJ_EEES6_PlJ7is_evenIiEEEE10hipError_tPvRmT3_T4_T5_T6_T7_T9_mT8_P12ihipStream_tbDpT10_ENKUlT_T0_E_clISt17integral_constantIbLb0EES19_IbLb1EEEEDaS15_S16_EUlS15_E_NS1_11comp_targetILNS1_3genE5ELNS1_11target_archE942ELNS1_3gpuE9ELNS1_3repE0EEENS1_30default_config_static_selectorELNS0_4arch9wavefront6targetE1EEEvT1_: ; @_ZN7rocprim17ROCPRIM_400000_NS6detail17trampoline_kernelINS0_14default_configENS1_25partition_config_selectorILNS1_17partition_subalgoE3EiNS0_10empty_typeEbEEZZNS1_14partition_implILS5_3ELb0ES3_jN6thrust23THRUST_200600_302600_NS6detail15normal_iteratorINSA_7pointerIiNSA_11hip_rocprim5par_tENSA_11use_defaultESG_EEEEPS6_SJ_NS0_5tupleIJPiSJ_EEENSK_IJSJ_SJ_EEES6_PlJ7is_evenIiEEEE10hipError_tPvRmT3_T4_T5_T6_T7_T9_mT8_P12ihipStream_tbDpT10_ENKUlT_T0_E_clISt17integral_constantIbLb0EES19_IbLb1EEEEDaS15_S16_EUlS15_E_NS1_11comp_targetILNS1_3genE5ELNS1_11target_archE942ELNS1_3gpuE9ELNS1_3repE0EEENS1_30default_config_static_selectorELNS0_4arch9wavefront6targetE1EEEvT1_
; %bb.0:
	.section	.rodata,"a",@progbits
	.p2align	6, 0x0
	.amdhsa_kernel _ZN7rocprim17ROCPRIM_400000_NS6detail17trampoline_kernelINS0_14default_configENS1_25partition_config_selectorILNS1_17partition_subalgoE3EiNS0_10empty_typeEbEEZZNS1_14partition_implILS5_3ELb0ES3_jN6thrust23THRUST_200600_302600_NS6detail15normal_iteratorINSA_7pointerIiNSA_11hip_rocprim5par_tENSA_11use_defaultESG_EEEEPS6_SJ_NS0_5tupleIJPiSJ_EEENSK_IJSJ_SJ_EEES6_PlJ7is_evenIiEEEE10hipError_tPvRmT3_T4_T5_T6_T7_T9_mT8_P12ihipStream_tbDpT10_ENKUlT_T0_E_clISt17integral_constantIbLb0EES19_IbLb1EEEEDaS15_S16_EUlS15_E_NS1_11comp_targetILNS1_3genE5ELNS1_11target_archE942ELNS1_3gpuE9ELNS1_3repE0EEENS1_30default_config_static_selectorELNS0_4arch9wavefront6targetE1EEEvT1_
		.amdhsa_group_segment_fixed_size 0
		.amdhsa_private_segment_fixed_size 0
		.amdhsa_kernarg_size 136
		.amdhsa_user_sgpr_count 6
		.amdhsa_user_sgpr_private_segment_buffer 1
		.amdhsa_user_sgpr_dispatch_ptr 0
		.amdhsa_user_sgpr_queue_ptr 0
		.amdhsa_user_sgpr_kernarg_segment_ptr 1
		.amdhsa_user_sgpr_dispatch_id 0
		.amdhsa_user_sgpr_flat_scratch_init 0
		.amdhsa_user_sgpr_kernarg_preload_length 0
		.amdhsa_user_sgpr_kernarg_preload_offset 0
		.amdhsa_user_sgpr_private_segment_size 0
		.amdhsa_uses_dynamic_stack 0
		.amdhsa_system_sgpr_private_segment_wavefront_offset 0
		.amdhsa_system_sgpr_workgroup_id_x 1
		.amdhsa_system_sgpr_workgroup_id_y 0
		.amdhsa_system_sgpr_workgroup_id_z 0
		.amdhsa_system_sgpr_workgroup_info 0
		.amdhsa_system_vgpr_workitem_id 0
		.amdhsa_next_free_vgpr 1
		.amdhsa_next_free_sgpr 0
		.amdhsa_accum_offset 4
		.amdhsa_reserve_vcc 0
		.amdhsa_reserve_flat_scratch 0
		.amdhsa_float_round_mode_32 0
		.amdhsa_float_round_mode_16_64 0
		.amdhsa_float_denorm_mode_32 3
		.amdhsa_float_denorm_mode_16_64 3
		.amdhsa_dx10_clamp 1
		.amdhsa_ieee_mode 1
		.amdhsa_fp16_overflow 0
		.amdhsa_tg_split 0
		.amdhsa_exception_fp_ieee_invalid_op 0
		.amdhsa_exception_fp_denorm_src 0
		.amdhsa_exception_fp_ieee_div_zero 0
		.amdhsa_exception_fp_ieee_overflow 0
		.amdhsa_exception_fp_ieee_underflow 0
		.amdhsa_exception_fp_ieee_inexact 0
		.amdhsa_exception_int_div_zero 0
	.end_amdhsa_kernel
	.section	.text._ZN7rocprim17ROCPRIM_400000_NS6detail17trampoline_kernelINS0_14default_configENS1_25partition_config_selectorILNS1_17partition_subalgoE3EiNS0_10empty_typeEbEEZZNS1_14partition_implILS5_3ELb0ES3_jN6thrust23THRUST_200600_302600_NS6detail15normal_iteratorINSA_7pointerIiNSA_11hip_rocprim5par_tENSA_11use_defaultESG_EEEEPS6_SJ_NS0_5tupleIJPiSJ_EEENSK_IJSJ_SJ_EEES6_PlJ7is_evenIiEEEE10hipError_tPvRmT3_T4_T5_T6_T7_T9_mT8_P12ihipStream_tbDpT10_ENKUlT_T0_E_clISt17integral_constantIbLb0EES19_IbLb1EEEEDaS15_S16_EUlS15_E_NS1_11comp_targetILNS1_3genE5ELNS1_11target_archE942ELNS1_3gpuE9ELNS1_3repE0EEENS1_30default_config_static_selectorELNS0_4arch9wavefront6targetE1EEEvT1_,"axG",@progbits,_ZN7rocprim17ROCPRIM_400000_NS6detail17trampoline_kernelINS0_14default_configENS1_25partition_config_selectorILNS1_17partition_subalgoE3EiNS0_10empty_typeEbEEZZNS1_14partition_implILS5_3ELb0ES3_jN6thrust23THRUST_200600_302600_NS6detail15normal_iteratorINSA_7pointerIiNSA_11hip_rocprim5par_tENSA_11use_defaultESG_EEEEPS6_SJ_NS0_5tupleIJPiSJ_EEENSK_IJSJ_SJ_EEES6_PlJ7is_evenIiEEEE10hipError_tPvRmT3_T4_T5_T6_T7_T9_mT8_P12ihipStream_tbDpT10_ENKUlT_T0_E_clISt17integral_constantIbLb0EES19_IbLb1EEEEDaS15_S16_EUlS15_E_NS1_11comp_targetILNS1_3genE5ELNS1_11target_archE942ELNS1_3gpuE9ELNS1_3repE0EEENS1_30default_config_static_selectorELNS0_4arch9wavefront6targetE1EEEvT1_,comdat
.Lfunc_end3687:
	.size	_ZN7rocprim17ROCPRIM_400000_NS6detail17trampoline_kernelINS0_14default_configENS1_25partition_config_selectorILNS1_17partition_subalgoE3EiNS0_10empty_typeEbEEZZNS1_14partition_implILS5_3ELb0ES3_jN6thrust23THRUST_200600_302600_NS6detail15normal_iteratorINSA_7pointerIiNSA_11hip_rocprim5par_tENSA_11use_defaultESG_EEEEPS6_SJ_NS0_5tupleIJPiSJ_EEENSK_IJSJ_SJ_EEES6_PlJ7is_evenIiEEEE10hipError_tPvRmT3_T4_T5_T6_T7_T9_mT8_P12ihipStream_tbDpT10_ENKUlT_T0_E_clISt17integral_constantIbLb0EES19_IbLb1EEEEDaS15_S16_EUlS15_E_NS1_11comp_targetILNS1_3genE5ELNS1_11target_archE942ELNS1_3gpuE9ELNS1_3repE0EEENS1_30default_config_static_selectorELNS0_4arch9wavefront6targetE1EEEvT1_, .Lfunc_end3687-_ZN7rocprim17ROCPRIM_400000_NS6detail17trampoline_kernelINS0_14default_configENS1_25partition_config_selectorILNS1_17partition_subalgoE3EiNS0_10empty_typeEbEEZZNS1_14partition_implILS5_3ELb0ES3_jN6thrust23THRUST_200600_302600_NS6detail15normal_iteratorINSA_7pointerIiNSA_11hip_rocprim5par_tENSA_11use_defaultESG_EEEEPS6_SJ_NS0_5tupleIJPiSJ_EEENSK_IJSJ_SJ_EEES6_PlJ7is_evenIiEEEE10hipError_tPvRmT3_T4_T5_T6_T7_T9_mT8_P12ihipStream_tbDpT10_ENKUlT_T0_E_clISt17integral_constantIbLb0EES19_IbLb1EEEEDaS15_S16_EUlS15_E_NS1_11comp_targetILNS1_3genE5ELNS1_11target_archE942ELNS1_3gpuE9ELNS1_3repE0EEENS1_30default_config_static_selectorELNS0_4arch9wavefront6targetE1EEEvT1_
                                        ; -- End function
	.section	.AMDGPU.csdata,"",@progbits
; Kernel info:
; codeLenInByte = 0
; NumSgprs: 4
; NumVgprs: 0
; NumAgprs: 0
; TotalNumVgprs: 0
; ScratchSize: 0
; MemoryBound: 0
; FloatMode: 240
; IeeeMode: 1
; LDSByteSize: 0 bytes/workgroup (compile time only)
; SGPRBlocks: 0
; VGPRBlocks: 0
; NumSGPRsForWavesPerEU: 4
; NumVGPRsForWavesPerEU: 1
; AccumOffset: 4
; Occupancy: 8
; WaveLimiterHint : 0
; COMPUTE_PGM_RSRC2:SCRATCH_EN: 0
; COMPUTE_PGM_RSRC2:USER_SGPR: 6
; COMPUTE_PGM_RSRC2:TRAP_HANDLER: 0
; COMPUTE_PGM_RSRC2:TGID_X_EN: 1
; COMPUTE_PGM_RSRC2:TGID_Y_EN: 0
; COMPUTE_PGM_RSRC2:TGID_Z_EN: 0
; COMPUTE_PGM_RSRC2:TIDIG_COMP_CNT: 0
; COMPUTE_PGM_RSRC3_GFX90A:ACCUM_OFFSET: 0
; COMPUTE_PGM_RSRC3_GFX90A:TG_SPLIT: 0
	.section	.text._ZN7rocprim17ROCPRIM_400000_NS6detail17trampoline_kernelINS0_14default_configENS1_25partition_config_selectorILNS1_17partition_subalgoE3EiNS0_10empty_typeEbEEZZNS1_14partition_implILS5_3ELb0ES3_jN6thrust23THRUST_200600_302600_NS6detail15normal_iteratorINSA_7pointerIiNSA_11hip_rocprim5par_tENSA_11use_defaultESG_EEEEPS6_SJ_NS0_5tupleIJPiSJ_EEENSK_IJSJ_SJ_EEES6_PlJ7is_evenIiEEEE10hipError_tPvRmT3_T4_T5_T6_T7_T9_mT8_P12ihipStream_tbDpT10_ENKUlT_T0_E_clISt17integral_constantIbLb0EES19_IbLb1EEEEDaS15_S16_EUlS15_E_NS1_11comp_targetILNS1_3genE4ELNS1_11target_archE910ELNS1_3gpuE8ELNS1_3repE0EEENS1_30default_config_static_selectorELNS0_4arch9wavefront6targetE1EEEvT1_,"axG",@progbits,_ZN7rocprim17ROCPRIM_400000_NS6detail17trampoline_kernelINS0_14default_configENS1_25partition_config_selectorILNS1_17partition_subalgoE3EiNS0_10empty_typeEbEEZZNS1_14partition_implILS5_3ELb0ES3_jN6thrust23THRUST_200600_302600_NS6detail15normal_iteratorINSA_7pointerIiNSA_11hip_rocprim5par_tENSA_11use_defaultESG_EEEEPS6_SJ_NS0_5tupleIJPiSJ_EEENSK_IJSJ_SJ_EEES6_PlJ7is_evenIiEEEE10hipError_tPvRmT3_T4_T5_T6_T7_T9_mT8_P12ihipStream_tbDpT10_ENKUlT_T0_E_clISt17integral_constantIbLb0EES19_IbLb1EEEEDaS15_S16_EUlS15_E_NS1_11comp_targetILNS1_3genE4ELNS1_11target_archE910ELNS1_3gpuE8ELNS1_3repE0EEENS1_30default_config_static_selectorELNS0_4arch9wavefront6targetE1EEEvT1_,comdat
	.protected	_ZN7rocprim17ROCPRIM_400000_NS6detail17trampoline_kernelINS0_14default_configENS1_25partition_config_selectorILNS1_17partition_subalgoE3EiNS0_10empty_typeEbEEZZNS1_14partition_implILS5_3ELb0ES3_jN6thrust23THRUST_200600_302600_NS6detail15normal_iteratorINSA_7pointerIiNSA_11hip_rocprim5par_tENSA_11use_defaultESG_EEEEPS6_SJ_NS0_5tupleIJPiSJ_EEENSK_IJSJ_SJ_EEES6_PlJ7is_evenIiEEEE10hipError_tPvRmT3_T4_T5_T6_T7_T9_mT8_P12ihipStream_tbDpT10_ENKUlT_T0_E_clISt17integral_constantIbLb0EES19_IbLb1EEEEDaS15_S16_EUlS15_E_NS1_11comp_targetILNS1_3genE4ELNS1_11target_archE910ELNS1_3gpuE8ELNS1_3repE0EEENS1_30default_config_static_selectorELNS0_4arch9wavefront6targetE1EEEvT1_ ; -- Begin function _ZN7rocprim17ROCPRIM_400000_NS6detail17trampoline_kernelINS0_14default_configENS1_25partition_config_selectorILNS1_17partition_subalgoE3EiNS0_10empty_typeEbEEZZNS1_14partition_implILS5_3ELb0ES3_jN6thrust23THRUST_200600_302600_NS6detail15normal_iteratorINSA_7pointerIiNSA_11hip_rocprim5par_tENSA_11use_defaultESG_EEEEPS6_SJ_NS0_5tupleIJPiSJ_EEENSK_IJSJ_SJ_EEES6_PlJ7is_evenIiEEEE10hipError_tPvRmT3_T4_T5_T6_T7_T9_mT8_P12ihipStream_tbDpT10_ENKUlT_T0_E_clISt17integral_constantIbLb0EES19_IbLb1EEEEDaS15_S16_EUlS15_E_NS1_11comp_targetILNS1_3genE4ELNS1_11target_archE910ELNS1_3gpuE8ELNS1_3repE0EEENS1_30default_config_static_selectorELNS0_4arch9wavefront6targetE1EEEvT1_
	.globl	_ZN7rocprim17ROCPRIM_400000_NS6detail17trampoline_kernelINS0_14default_configENS1_25partition_config_selectorILNS1_17partition_subalgoE3EiNS0_10empty_typeEbEEZZNS1_14partition_implILS5_3ELb0ES3_jN6thrust23THRUST_200600_302600_NS6detail15normal_iteratorINSA_7pointerIiNSA_11hip_rocprim5par_tENSA_11use_defaultESG_EEEEPS6_SJ_NS0_5tupleIJPiSJ_EEENSK_IJSJ_SJ_EEES6_PlJ7is_evenIiEEEE10hipError_tPvRmT3_T4_T5_T6_T7_T9_mT8_P12ihipStream_tbDpT10_ENKUlT_T0_E_clISt17integral_constantIbLb0EES19_IbLb1EEEEDaS15_S16_EUlS15_E_NS1_11comp_targetILNS1_3genE4ELNS1_11target_archE910ELNS1_3gpuE8ELNS1_3repE0EEENS1_30default_config_static_selectorELNS0_4arch9wavefront6targetE1EEEvT1_
	.p2align	8
	.type	_ZN7rocprim17ROCPRIM_400000_NS6detail17trampoline_kernelINS0_14default_configENS1_25partition_config_selectorILNS1_17partition_subalgoE3EiNS0_10empty_typeEbEEZZNS1_14partition_implILS5_3ELb0ES3_jN6thrust23THRUST_200600_302600_NS6detail15normal_iteratorINSA_7pointerIiNSA_11hip_rocprim5par_tENSA_11use_defaultESG_EEEEPS6_SJ_NS0_5tupleIJPiSJ_EEENSK_IJSJ_SJ_EEES6_PlJ7is_evenIiEEEE10hipError_tPvRmT3_T4_T5_T6_T7_T9_mT8_P12ihipStream_tbDpT10_ENKUlT_T0_E_clISt17integral_constantIbLb0EES19_IbLb1EEEEDaS15_S16_EUlS15_E_NS1_11comp_targetILNS1_3genE4ELNS1_11target_archE910ELNS1_3gpuE8ELNS1_3repE0EEENS1_30default_config_static_selectorELNS0_4arch9wavefront6targetE1EEEvT1_,@function
_ZN7rocprim17ROCPRIM_400000_NS6detail17trampoline_kernelINS0_14default_configENS1_25partition_config_selectorILNS1_17partition_subalgoE3EiNS0_10empty_typeEbEEZZNS1_14partition_implILS5_3ELb0ES3_jN6thrust23THRUST_200600_302600_NS6detail15normal_iteratorINSA_7pointerIiNSA_11hip_rocprim5par_tENSA_11use_defaultESG_EEEEPS6_SJ_NS0_5tupleIJPiSJ_EEENSK_IJSJ_SJ_EEES6_PlJ7is_evenIiEEEE10hipError_tPvRmT3_T4_T5_T6_T7_T9_mT8_P12ihipStream_tbDpT10_ENKUlT_T0_E_clISt17integral_constantIbLb0EES19_IbLb1EEEEDaS15_S16_EUlS15_E_NS1_11comp_targetILNS1_3genE4ELNS1_11target_archE910ELNS1_3gpuE8ELNS1_3repE0EEENS1_30default_config_static_selectorELNS0_4arch9wavefront6targetE1EEEvT1_: ; @_ZN7rocprim17ROCPRIM_400000_NS6detail17trampoline_kernelINS0_14default_configENS1_25partition_config_selectorILNS1_17partition_subalgoE3EiNS0_10empty_typeEbEEZZNS1_14partition_implILS5_3ELb0ES3_jN6thrust23THRUST_200600_302600_NS6detail15normal_iteratorINSA_7pointerIiNSA_11hip_rocprim5par_tENSA_11use_defaultESG_EEEEPS6_SJ_NS0_5tupleIJPiSJ_EEENSK_IJSJ_SJ_EEES6_PlJ7is_evenIiEEEE10hipError_tPvRmT3_T4_T5_T6_T7_T9_mT8_P12ihipStream_tbDpT10_ENKUlT_T0_E_clISt17integral_constantIbLb0EES19_IbLb1EEEEDaS15_S16_EUlS15_E_NS1_11comp_targetILNS1_3genE4ELNS1_11target_archE910ELNS1_3gpuE8ELNS1_3repE0EEENS1_30default_config_static_selectorELNS0_4arch9wavefront6targetE1EEEvT1_
; %bb.0:
	s_load_dwordx2 s[28:29], s[4:5], 0x28
	s_load_dwordx4 s[20:23], s[4:5], 0x48
	s_load_dwordx2 s[30:31], s[4:5], 0x58
	s_load_dwordx2 s[34:35], s[4:5], 0x68
	v_cmp_eq_u32_e64 s[0:1], 0, v0
	s_and_saveexec_b64 s[2:3], s[0:1]
	s_cbranch_execz .LBB3688_4
; %bb.1:
	s_mov_b64 s[8:9], exec
	v_mbcnt_lo_u32_b32 v1, s8, 0
	v_mbcnt_hi_u32_b32 v1, s9, v1
	v_cmp_eq_u32_e32 vcc, 0, v1
                                        ; implicit-def: $vgpr2
	s_and_saveexec_b64 s[6:7], vcc
	s_cbranch_execz .LBB3688_3
; %bb.2:
	s_load_dwordx2 s[10:11], s[4:5], 0x78
	s_bcnt1_i32_b64 s8, s[8:9]
	v_mov_b32_e32 v2, 0
	v_mov_b32_e32 v3, s8
	s_waitcnt lgkmcnt(0)
	global_atomic_add v2, v2, v3, s[10:11] glc
.LBB3688_3:
	s_or_b64 exec, exec, s[6:7]
	s_waitcnt vmcnt(0)
	v_readfirstlane_b32 s6, v2
	v_add_u32_e32 v1, s6, v1
	v_mov_b32_e32 v2, 0
	ds_write_b32 v2, v1
.LBB3688_4:
	s_or_b64 exec, exec, s[2:3]
	v_mov_b32_e32 v13, 0
	s_load_dwordx4 s[24:27], s[4:5], 0x8
	s_load_dword s2, s[4:5], 0x70
	s_waitcnt lgkmcnt(0)
	s_barrier
	ds_read_b32 v1, v13
	s_waitcnt lgkmcnt(0)
	s_barrier
	global_load_dwordx2 v[14:15], v13, s[22:23]
	s_lshl_b64 s[4:5], s[26:27], 2
	s_add_u32 s6, s24, s4
	s_addc_u32 s7, s25, s5
	s_movk_i32 s3, 0xa00
	s_add_i32 s4, s2, -1
	s_mulk_i32 s2, 0xa00
	v_mul_lo_u32 v12, v1, s3
	s_add_i32 s3, s2, s26
	s_sub_i32 s33, s30, s3
	s_addk_i32 s33, 0xa00
	s_add_u32 s2, s26, s2
	v_readfirstlane_b32 s40, v1
	s_addc_u32 s3, s27, 0
	s_cmp_eq_u32 s40, s4
	v_pk_mov_b32 v[2:3], s[30:31], s[30:31] op_sel:[0,1]
	s_cselect_b64 s[22:23], -1, 0
	s_cmp_lg_u32 s40, s4
	v_cmp_lt_u64_e32 vcc, s[2:3], v[2:3]
	s_cselect_b64 s[2:3], -1, 0
	v_lshlrev_b64 v[2:3], 2, v[12:13]
	s_or_b64 s[4:5], vcc, s[2:3]
	v_mov_b32_e32 v1, s7
	v_add_co_u32_e32 v13, vcc, s6, v2
	v_addc_co_u32_e32 v16, vcc, v1, v3, vcc
	s_mov_b64 s[2:3], -1
	s_and_b64 vcc, exec, s[4:5]
	v_lshlrev_b32_e32 v1, 2, v0
	s_cbranch_vccz .LBB3688_6
; %bb.5:
	v_add_co_u32_e32 v2, vcc, v13, v1
	v_addc_co_u32_e32 v3, vcc, 0, v16, vcc
	v_add_co_u32_e32 v4, vcc, 0x1000, v2
	v_addc_co_u32_e32 v5, vcc, 0, v3, vcc
	flat_load_dword v6, v[2:3]
	flat_load_dword v7, v[2:3] offset:1024
	flat_load_dword v8, v[2:3] offset:2048
	flat_load_dword v9, v[2:3] offset:3072
	flat_load_dword v10, v[4:5]
	flat_load_dword v11, v[4:5] offset:1024
	flat_load_dword v17, v[4:5] offset:2048
	;; [unrolled: 1-line block ×3, first 2 shown]
	v_add_co_u32_e32 v2, vcc, 0x2000, v2
	v_addc_co_u32_e32 v3, vcc, 0, v3, vcc
	flat_load_dword v4, v[2:3]
	flat_load_dword v5, v[2:3] offset:1024
	s_mov_b64 s[2:3], 0
	s_waitcnt vmcnt(0) lgkmcnt(0)
	ds_write2st64_b32 v1, v6, v7 offset1:4
	ds_write2st64_b32 v1, v8, v9 offset0:8 offset1:12
	ds_write2st64_b32 v1, v10, v11 offset0:16 offset1:20
	;; [unrolled: 1-line block ×4, first 2 shown]
	s_waitcnt lgkmcnt(0)
	s_barrier
.LBB3688_6:
	s_andn2_b64 vcc, exec, s[2:3]
	v_cmp_gt_u32_e64 s[2:3], s33, v0
	s_cbranch_vccnz .LBB3688_28
; %bb.7:
                                        ; implicit-def: $vgpr2_vgpr3_vgpr4_vgpr5_vgpr6_vgpr7_vgpr8_vgpr9_vgpr10_vgpr11
	s_and_saveexec_b64 s[6:7], s[2:3]
	s_cbranch_execz .LBB3688_9
; %bb.8:
	v_add_co_u32_e32 v2, vcc, v13, v1
	v_addc_co_u32_e32 v3, vcc, 0, v16, vcc
	flat_load_dword v2, v[2:3]
.LBB3688_9:
	s_or_b64 exec, exec, s[6:7]
	v_or_b32_e32 v17, 0x100, v0
	v_cmp_gt_u32_e32 vcc, s33, v17
	s_and_saveexec_b64 s[2:3], vcc
	s_cbranch_execz .LBB3688_11
; %bb.10:
	v_add_co_u32_e32 v18, vcc, v13, v1
	v_addc_co_u32_e32 v19, vcc, 0, v16, vcc
	flat_load_dword v3, v[18:19] offset:1024
.LBB3688_11:
	s_or_b64 exec, exec, s[2:3]
	v_or_b32_e32 v17, 0x200, v0
	v_cmp_gt_u32_e32 vcc, s33, v17
	s_and_saveexec_b64 s[2:3], vcc
	s_cbranch_execz .LBB3688_13
; %bb.12:
	v_add_co_u32_e32 v18, vcc, v13, v1
	v_addc_co_u32_e32 v19, vcc, 0, v16, vcc
	flat_load_dword v4, v[18:19] offset:2048
.LBB3688_13:
	;; [unrolled: 10-line block ×3, first 2 shown]
	s_or_b64 exec, exec, s[2:3]
	v_or_b32_e32 v17, 0x400, v0
	v_cmp_gt_u32_e32 vcc, s33, v17
	s_and_saveexec_b64 s[2:3], vcc
	s_cbranch_execz .LBB3688_17
; %bb.16:
	v_lshlrev_b32_e32 v6, 2, v17
	v_add_co_u32_e32 v18, vcc, v13, v6
	v_addc_co_u32_e32 v19, vcc, 0, v16, vcc
	flat_load_dword v6, v[18:19]
.LBB3688_17:
	s_or_b64 exec, exec, s[2:3]
	v_or_b32_e32 v17, 0x500, v0
	v_cmp_gt_u32_e32 vcc, s33, v17
	s_and_saveexec_b64 s[2:3], vcc
	s_cbranch_execz .LBB3688_19
; %bb.18:
	v_lshlrev_b32_e32 v7, 2, v17
	v_add_co_u32_e32 v18, vcc, v13, v7
	v_addc_co_u32_e32 v19, vcc, 0, v16, vcc
	flat_load_dword v7, v[18:19]
.LBB3688_19:
	;; [unrolled: 11-line block ×6, first 2 shown]
	s_or_b64 exec, exec, s[2:3]
	s_waitcnt vmcnt(0) lgkmcnt(0)
	ds_write2st64_b32 v1, v2, v3 offset1:4
	ds_write2st64_b32 v1, v4, v5 offset0:8 offset1:12
	ds_write2st64_b32 v1, v6, v7 offset0:16 offset1:20
	;; [unrolled: 1-line block ×4, first 2 shown]
	s_waitcnt lgkmcnt(0)
	s_barrier
.LBB3688_28:
	v_mul_u32_u24_e32 v26, 10, v0
	v_lshlrev_b32_e32 v32, 2, v26
	ds_read2_b64 v[6:9], v32 offset1:1
	ds_read2_b64 v[2:5], v32 offset0:2 offset1:3
	ds_read_b64 v[16:17], v32 offset:32
	v_cndmask_b32_e64 v10, 0, 1, s[4:5]
	v_cmp_ne_u32_e64 s[2:3], 1, v10
	s_andn2_b64 vcc, exec, s[4:5]
	s_waitcnt lgkmcnt(2)
	v_xor_b32_e32 v25, -1, v6
	v_xor_b32_e32 v24, -1, v7
	;; [unrolled: 1-line block ×4, first 2 shown]
	s_waitcnt lgkmcnt(1)
	v_xor_b32_e32 v21, -1, v2
	v_xor_b32_e32 v20, -1, v3
	;; [unrolled: 1-line block ×4, first 2 shown]
	s_waitcnt lgkmcnt(0)
	v_xor_b32_e32 v11, -1, v16
	v_xor_b32_e32 v10, -1, v17
	s_barrier
	s_cbranch_vccnz .LBB3688_30
; %bb.29:
	v_mov_b32_e32 v13, 1
	v_and_b32_e32 v28, 1, v25
	v_and_b32_sdwa v29, v24, v13 dst_sel:BYTE_1 dst_unused:UNUSED_PAD src0_sel:DWORD src1_sel:DWORD
	v_and_b32_e32 v30, 1, v23
	v_and_b32_sdwa v31, v22, v13 dst_sel:BYTE_1 dst_unused:UNUSED_PAD src0_sel:DWORD src1_sel:DWORD
	;; [unrolled: 2-line block ×4, first 2 shown]
	v_or_b32_e32 v28, v28, v29
	v_or_b32_sdwa v29, v30, v31 dst_sel:WORD_1 dst_unused:UNUSED_PAD src0_sel:DWORD src1_sel:DWORD
	v_or_b32_sdwa v29, v28, v29 dst_sel:DWORD dst_unused:UNUSED_PAD src0_sel:WORD_0 src1_sel:DWORD
	v_or_b32_e32 v28, v33, v34
	v_or_b32_sdwa v30, v35, v36 dst_sel:WORD_1 dst_unused:UNUSED_PAD src0_sel:DWORD src1_sel:DWORD
	v_and_b32_e32 v27, 1, v11
	v_and_b32_e32 v13, 1, v10
	v_or_b32_sdwa v28, v28, v30 dst_sel:DWORD dst_unused:UNUSED_PAD src0_sel:WORD_0 src1_sel:DWORD
	s_cbranch_execz .LBB3688_31
	s_branch .LBB3688_32
.LBB3688_30:
                                        ; implicit-def: $vgpr13
                                        ; implicit-def: $vgpr27
                                        ; implicit-def: $vgpr28
                                        ; implicit-def: $vgpr29
.LBB3688_31:
	v_or_b32_e32 v35, 1, v26
	v_cmp_gt_u32_e32 vcc, s33, v26
	v_add_u32_e32 v13, 2, v26
	v_cndmask_b32_e64 v36, 0, 1, vcc
	v_cmp_gt_u32_e32 vcc, s33, v35
	v_add_u32_e32 v34, 3, v26
	v_cndmask_b32_e64 v35, 0, 1, vcc
	;; [unrolled: 3-line block ×3, first 2 shown]
	v_cmp_gt_u32_e32 vcc, s33, v34
	v_add_u32_e32 v33, 5, v26
	v_and_b32_e32 v23, v13, v23
	v_cndmask_b32_e64 v13, 0, 1, vcc
	v_cmp_gt_u32_e32 vcc, s33, v27
	v_add_u32_e32 v28, 6, v26
	v_and_b32_sdwa v22, v13, v22 dst_sel:BYTE_1 dst_unused:UNUSED_PAD src0_sel:DWORD src1_sel:DWORD
	v_cndmask_b32_e64 v13, 0, 1, vcc
	v_cmp_gt_u32_e32 vcc, s33, v33
	v_add_u32_e32 v31, 7, v26
	v_and_b32_e32 v21, v13, v21
	v_cndmask_b32_e64 v13, 0, 1, vcc
	v_cmp_gt_u32_e32 vcc, s33, v28
	v_add_u32_e32 v29, 8, v26
	v_and_b32_sdwa v20, v13, v20 dst_sel:BYTE_1 dst_unused:UNUSED_PAD src0_sel:DWORD src1_sel:DWORD
	v_cndmask_b32_e64 v13, 0, 1, vcc
	v_cmp_gt_u32_e32 vcc, s33, v31
	v_add_u32_e32 v30, 9, v26
	v_and_b32_e32 v19, v13, v19
	v_cndmask_b32_e64 v13, 0, 1, vcc
	v_cmp_gt_u32_e32 vcc, s33, v29
	v_and_b32_sdwa v18, v13, v18 dst_sel:BYTE_1 dst_unused:UNUSED_PAD src0_sel:DWORD src1_sel:DWORD
	v_cndmask_b32_e64 v13, 0, 1, vcc
	v_cmp_gt_u32_e32 vcc, s33, v30
	v_and_b32_e32 v25, v36, v25
	v_and_b32_sdwa v24, v35, v24 dst_sel:BYTE_1 dst_unused:UNUSED_PAD src0_sel:DWORD src1_sel:DWORD
	v_and_b32_e32 v27, v13, v11
	v_cndmask_b32_e64 v11, 0, 1, vcc
	v_and_b32_e32 v13, v11, v10
	v_or_b32_e32 v10, v25, v24
	v_or_b32_sdwa v11, v23, v22 dst_sel:WORD_1 dst_unused:UNUSED_PAD src0_sel:DWORD src1_sel:DWORD
	v_or_b32_sdwa v29, v10, v11 dst_sel:DWORD dst_unused:UNUSED_PAD src0_sel:WORD_0 src1_sel:DWORD
	v_or_b32_e32 v10, v21, v20
	v_or_b32_sdwa v11, v19, v18 dst_sel:WORD_1 dst_unused:UNUSED_PAD src0_sel:DWORD src1_sel:DWORD
	v_or_b32_sdwa v28, v10, v11 dst_sel:DWORD dst_unused:UNUSED_PAD src0_sel:WORD_0 src1_sel:DWORD
.LBB3688_32:
	v_bfe_u32 v33, v29, 16, 8
	v_lshrrev_b32_e32 v31, 24, v29
	v_add_u32_sdwa v11, v29, v29 dst_sel:DWORD dst_unused:UNUSED_PAD src0_sel:BYTE_1 src1_sel:BYTE_0
	v_and_b32_e32 v34, 0xff, v28
	v_bfe_u32 v35, v28, 8, 8
	v_add3_u32 v11, v11, v33, v31
	v_bfe_u32 v36, v28, 16, 8
	v_lshrrev_b32_e32 v30, 24, v28
	v_add3_u32 v11, v11, v34, v35
	v_and_b32_e32 v37, 0xff, v27
	v_and_b32_e32 v10, 0xff, v13
	v_add3_u32 v11, v11, v36, v30
	v_add3_u32 v40, v11, v37, v10
	v_mbcnt_lo_u32_b32 v10, -1, 0
	v_mbcnt_hi_u32_b32 v38, -1, v10
	v_and_b32_e32 v10, 15, v38
	v_cmp_eq_u32_e64 s[16:17], 0, v10
	v_cmp_lt_u32_e64 s[14:15], 1, v10
	v_cmp_lt_u32_e64 s[12:13], 3, v10
	;; [unrolled: 1-line block ×3, first 2 shown]
	v_and_b32_e32 v10, 16, v38
	v_cmp_eq_u32_e64 s[8:9], 0, v10
	v_or_b32_e32 v10, 63, v0
	s_cmp_lg_u32 s40, 0
	v_cmp_lt_u32_e64 s[4:5], 31, v38
	v_lshrrev_b32_e32 v39, 6, v0
	v_cmp_eq_u32_e64 s[6:7], v10, v0
	s_cbranch_scc0 .LBB3688_59
; %bb.33:
	v_mov_b32_dpp v10, v40 row_shr:1 row_mask:0xf bank_mask:0xf
	v_cndmask_b32_e64 v10, v10, 0, s[16:17]
	v_add_u32_e32 v10, v10, v40
	s_nop 1
	v_mov_b32_dpp v11, v10 row_shr:2 row_mask:0xf bank_mask:0xf
	v_cndmask_b32_e64 v11, 0, v11, s[14:15]
	v_add_u32_e32 v10, v10, v11
	s_nop 1
	;; [unrolled: 4-line block ×4, first 2 shown]
	v_mov_b32_dpp v11, v10 row_bcast:15 row_mask:0xf bank_mask:0xf
	v_cndmask_b32_e64 v11, v11, 0, s[8:9]
	v_add_u32_e32 v10, v10, v11
	s_nop 1
	v_mov_b32_dpp v11, v10 row_bcast:31 row_mask:0xf bank_mask:0xf
	v_cndmask_b32_e64 v11, 0, v11, s[4:5]
	v_add_u32_e32 v10, v10, v11
	s_and_saveexec_b64 s[18:19], s[6:7]
	s_cbranch_execz .LBB3688_35
; %bb.34:
	v_lshlrev_b32_e32 v11, 2, v39
	ds_write_b32 v11, v10
.LBB3688_35:
	s_or_b64 exec, exec, s[18:19]
	v_cmp_gt_u32_e32 vcc, 4, v0
	s_waitcnt lgkmcnt(0)
	s_barrier
	s_and_saveexec_b64 s[18:19], vcc
	s_cbranch_execz .LBB3688_37
; %bb.36:
	ds_read_b32 v11, v1
	v_and_b32_e32 v18, 3, v38
	v_cmp_ne_u32_e32 vcc, 0, v18
	s_waitcnt lgkmcnt(0)
	v_mov_b32_dpp v19, v11 row_shr:1 row_mask:0xf bank_mask:0xf
	v_cndmask_b32_e32 v19, 0, v19, vcc
	v_add_u32_e32 v11, v19, v11
	v_cmp_lt_u32_e32 vcc, 1, v18
	s_nop 0
	v_mov_b32_dpp v19, v11 row_shr:2 row_mask:0xf bank_mask:0xf
	v_cndmask_b32_e32 v18, 0, v19, vcc
	v_add_u32_e32 v11, v11, v18
	ds_write_b32 v1, v11
.LBB3688_37:
	s_or_b64 exec, exec, s[18:19]
	v_cmp_gt_u32_e32 vcc, 64, v0
	v_cmp_lt_u32_e64 s[18:19], 63, v0
	s_waitcnt lgkmcnt(0)
	s_barrier
	s_waitcnt lgkmcnt(0)
                                        ; implicit-def: $vgpr41
	s_and_saveexec_b64 s[24:25], s[18:19]
	s_cbranch_execz .LBB3688_39
; %bb.38:
	v_lshl_add_u32 v11, v39, 2, -4
	ds_read_b32 v41, v11
	s_waitcnt lgkmcnt(0)
	v_add_u32_e32 v10, v41, v10
.LBB3688_39:
	s_or_b64 exec, exec, s[24:25]
	v_add_u32_e32 v11, -1, v38
	v_and_b32_e32 v18, 64, v38
	v_cmp_lt_i32_e64 s[18:19], v11, v18
	v_cndmask_b32_e64 v11, v11, v38, s[18:19]
	v_lshlrev_b32_e32 v11, 2, v11
	ds_bpermute_b32 v42, v11, v10
	v_cmp_eq_u32_e64 s[18:19], 0, v38
	s_and_saveexec_b64 s[24:25], vcc
	s_cbranch_execz .LBB3688_58
; %bb.40:
	v_mov_b32_e32 v23, 0
	ds_read_b32 v10, v23 offset:12
	s_and_saveexec_b64 s[36:37], s[18:19]
	s_cbranch_execz .LBB3688_42
; %bb.41:
	s_add_i32 s38, s40, 64
	s_mov_b32 s39, 0
	s_lshl_b64 s[38:39], s[38:39], 3
	s_add_u32 s38, s34, s38
	v_mov_b32_e32 v11, 1
	s_addc_u32 s39, s35, s39
	s_waitcnt lgkmcnt(0)
	global_store_dwordx2 v23, v[10:11], s[38:39]
.LBB3688_42:
	s_or_b64 exec, exec, s[36:37]
	v_xad_u32 v18, v38, -1, s40
	v_add_u32_e32 v22, 64, v18
	v_lshlrev_b64 v[20:21], 3, v[22:23]
	v_mov_b32_e32 v11, s35
	v_add_co_u32_e32 v24, vcc, s34, v20
	v_addc_co_u32_e32 v25, vcc, v11, v21, vcc
	global_load_dwordx2 v[20:21], v[24:25], off glc
	s_waitcnt vmcnt(0)
	v_cmp_eq_u16_sdwa s[38:39], v21, v23 src0_sel:BYTE_0 src1_sel:DWORD
	s_and_saveexec_b64 s[36:37], s[38:39]
	s_cbranch_execz .LBB3688_46
; %bb.43:
	s_mov_b64 s[38:39], 0
	v_mov_b32_e32 v11, 0
.LBB3688_44:                            ; =>This Inner Loop Header: Depth=1
	global_load_dwordx2 v[20:21], v[24:25], off glc
	s_waitcnt vmcnt(0)
	v_cmp_ne_u16_sdwa s[42:43], v21, v11 src0_sel:BYTE_0 src1_sel:DWORD
	s_or_b64 s[38:39], s[42:43], s[38:39]
	s_andn2_b64 exec, exec, s[38:39]
	s_cbranch_execnz .LBB3688_44
; %bb.45:
	s_or_b64 exec, exec, s[38:39]
.LBB3688_46:
	s_or_b64 exec, exec, s[36:37]
	v_and_b32_e32 v44, 63, v38
	v_mov_b32_e32 v43, 2
	v_cmp_ne_u32_e32 vcc, 63, v44
	v_cmp_eq_u16_sdwa s[36:37], v21, v43 src0_sel:BYTE_0 src1_sel:DWORD
	v_lshlrev_b64 v[22:23], v38, -1
	v_addc_co_u32_e32 v24, vcc, 0, v38, vcc
	v_and_b32_e32 v11, s37, v23
	v_lshlrev_b32_e32 v45, 2, v24
	v_or_b32_e32 v11, 0x80000000, v11
	ds_bpermute_b32 v24, v45, v20
	v_and_b32_e32 v19, s36, v22
	v_ffbl_b32_e32 v11, v11
	v_add_u32_e32 v11, 32, v11
	v_ffbl_b32_e32 v19, v19
	v_min_u32_e32 v11, v19, v11
	v_cmp_lt_u32_e32 vcc, v44, v11
	s_waitcnt lgkmcnt(0)
	v_cndmask_b32_e32 v19, 0, v24, vcc
	v_cmp_gt_u32_e32 vcc, 62, v44
	v_add_u32_e32 v19, v19, v20
	v_cndmask_b32_e64 v20, 0, 1, vcc
	v_lshlrev_b32_e32 v20, 1, v20
	v_add_lshl_u32 v46, v20, v38, 2
	ds_bpermute_b32 v20, v46, v19
	v_add_u32_e32 v47, 2, v44
	v_cmp_le_u32_e32 vcc, v47, v11
	v_add_u32_e32 v49, 4, v44
	v_add_u32_e32 v51, 8, v44
	s_waitcnt lgkmcnt(0)
	v_cndmask_b32_e32 v20, 0, v20, vcc
	v_cmp_gt_u32_e32 vcc, 60, v44
	v_add_u32_e32 v19, v19, v20
	v_cndmask_b32_e64 v20, 0, 1, vcc
	v_lshlrev_b32_e32 v20, 2, v20
	v_add_lshl_u32 v48, v20, v38, 2
	ds_bpermute_b32 v20, v48, v19
	v_cmp_le_u32_e32 vcc, v49, v11
	v_add_u32_e32 v53, 16, v44
	v_add_u32_e32 v55, 32, v44
	s_waitcnt lgkmcnt(0)
	v_cndmask_b32_e32 v20, 0, v20, vcc
	v_cmp_gt_u32_e32 vcc, 56, v44
	v_add_u32_e32 v19, v19, v20
	v_cndmask_b32_e64 v20, 0, 1, vcc
	v_lshlrev_b32_e32 v20, 3, v20
	v_add_lshl_u32 v50, v20, v38, 2
	ds_bpermute_b32 v20, v50, v19
	v_cmp_le_u32_e32 vcc, v51, v11
	s_waitcnt lgkmcnt(0)
	v_cndmask_b32_e32 v20, 0, v20, vcc
	v_cmp_gt_u32_e32 vcc, 48, v44
	v_add_u32_e32 v19, v19, v20
	v_cndmask_b32_e64 v20, 0, 1, vcc
	v_lshlrev_b32_e32 v20, 4, v20
	v_add_lshl_u32 v52, v20, v38, 2
	ds_bpermute_b32 v20, v52, v19
	v_cmp_le_u32_e32 vcc, v53, v11
	;; [unrolled: 9-line block ×3, first 2 shown]
	s_waitcnt lgkmcnt(0)
	v_cndmask_b32_e32 v11, 0, v20, vcc
	v_add_u32_e32 v20, v19, v11
	v_mov_b32_e32 v19, 0
	s_branch .LBB3688_48
.LBB3688_47:                            ;   in Loop: Header=BB3688_48 Depth=1
	s_or_b64 exec, exec, s[36:37]
	v_cmp_eq_u16_sdwa s[36:37], v21, v43 src0_sel:BYTE_0 src1_sel:DWORD
	v_and_b32_e32 v24, s37, v23
	v_or_b32_e32 v24, 0x80000000, v24
	ds_bpermute_b32 v56, v45, v20
	v_and_b32_e32 v25, s36, v22
	v_ffbl_b32_e32 v24, v24
	v_add_u32_e32 v24, 32, v24
	v_ffbl_b32_e32 v25, v25
	v_min_u32_e32 v24, v25, v24
	v_cmp_lt_u32_e32 vcc, v44, v24
	s_waitcnt lgkmcnt(0)
	v_cndmask_b32_e32 v25, 0, v56, vcc
	v_add_u32_e32 v20, v25, v20
	ds_bpermute_b32 v25, v46, v20
	v_cmp_le_u32_e32 vcc, v47, v24
	v_subrev_u32_e32 v18, 64, v18
	s_waitcnt lgkmcnt(0)
	v_cndmask_b32_e32 v25, 0, v25, vcc
	v_add_u32_e32 v20, v20, v25
	ds_bpermute_b32 v25, v48, v20
	v_cmp_le_u32_e32 vcc, v49, v24
	s_waitcnt lgkmcnt(0)
	v_cndmask_b32_e32 v25, 0, v25, vcc
	v_add_u32_e32 v20, v20, v25
	ds_bpermute_b32 v25, v50, v20
	v_cmp_le_u32_e32 vcc, v51, v24
	;; [unrolled: 5-line block ×4, first 2 shown]
	s_waitcnt lgkmcnt(0)
	v_cndmask_b32_e32 v24, 0, v25, vcc
	v_add3_u32 v20, v24, v11, v20
.LBB3688_48:                            ; =>This Loop Header: Depth=1
                                        ;     Child Loop BB3688_51 Depth 2
	v_cmp_ne_u16_sdwa s[36:37], v21, v43 src0_sel:BYTE_0 src1_sel:DWORD
	v_cndmask_b32_e64 v11, 0, 1, s[36:37]
	;;#ASMSTART
	;;#ASMEND
	v_cmp_ne_u32_e32 vcc, 0, v11
	s_cmp_lg_u64 vcc, exec
	v_mov_b32_e32 v11, v20
	s_cbranch_scc1 .LBB3688_53
; %bb.49:                               ;   in Loop: Header=BB3688_48 Depth=1
	v_lshlrev_b64 v[20:21], 3, v[18:19]
	v_mov_b32_e32 v25, s35
	v_add_co_u32_e32 v24, vcc, s34, v20
	v_addc_co_u32_e32 v25, vcc, v25, v21, vcc
	global_load_dwordx2 v[20:21], v[24:25], off glc
	s_waitcnt vmcnt(0)
	v_cmp_eq_u16_sdwa s[38:39], v21, v19 src0_sel:BYTE_0 src1_sel:DWORD
	s_and_saveexec_b64 s[36:37], s[38:39]
	s_cbranch_execz .LBB3688_47
; %bb.50:                               ;   in Loop: Header=BB3688_48 Depth=1
	s_mov_b64 s[38:39], 0
.LBB3688_51:                            ;   Parent Loop BB3688_48 Depth=1
                                        ; =>  This Inner Loop Header: Depth=2
	global_load_dwordx2 v[20:21], v[24:25], off glc
	s_waitcnt vmcnt(0)
	v_cmp_ne_u16_sdwa s[42:43], v21, v19 src0_sel:BYTE_0 src1_sel:DWORD
	s_or_b64 s[38:39], s[42:43], s[38:39]
	s_andn2_b64 exec, exec, s[38:39]
	s_cbranch_execnz .LBB3688_51
; %bb.52:                               ;   in Loop: Header=BB3688_48 Depth=1
	s_or_b64 exec, exec, s[38:39]
	s_branch .LBB3688_47
.LBB3688_53:                            ;   in Loop: Header=BB3688_48 Depth=1
                                        ; implicit-def: $vgpr20
                                        ; implicit-def: $vgpr21
	s_cbranch_execz .LBB3688_48
; %bb.54:
	s_and_saveexec_b64 s[36:37], s[18:19]
	s_cbranch_execz .LBB3688_56
; %bb.55:
	s_add_i32 s38, s40, 64
	s_mov_b32 s39, 0
	s_lshl_b64 s[38:39], s[38:39], 3
	s_add_u32 s38, s34, s38
	v_add_u32_e32 v18, v11, v10
	v_mov_b32_e32 v19, 2
	s_addc_u32 s39, s35, s39
	v_mov_b32_e32 v20, 0
	global_store_dwordx2 v20, v[18:19], s[38:39]
	ds_write_b64 v20, v[10:11] offset:10240
.LBB3688_56:
	s_or_b64 exec, exec, s[36:37]
	s_and_b64 exec, exec, s[0:1]
	s_cbranch_execz .LBB3688_58
; %bb.57:
	v_mov_b32_e32 v10, 0
	ds_write_b32 v10, v11 offset:12
.LBB3688_58:
	s_or_b64 exec, exec, s[24:25]
	v_mov_b32_e32 v10, 0
	s_waitcnt lgkmcnt(0)
	s_barrier
	ds_read_b32 v11, v10 offset:12
	v_cndmask_b32_e64 v18, v42, v41, s[18:19]
	v_cndmask_b32_e64 v18, v18, 0, s[0:1]
	s_waitcnt lgkmcnt(0)
	s_barrier
	v_add_u32_e32 v42, v11, v18
	v_add_u32_sdwa v41, v42, v29 dst_sel:DWORD dst_unused:UNUSED_PAD src0_sel:DWORD src1_sel:BYTE_0
	v_add_u32_sdwa v25, v41, v29 dst_sel:DWORD dst_unused:UNUSED_PAD src0_sel:DWORD src1_sel:BYTE_1
	v_add_u32_e32 v24, v25, v33
	v_add_u32_e32 v23, v24, v31
	;; [unrolled: 1-line block ×3, first 2 shown]
	ds_read_b64 v[10:11], v10 offset:10240
	v_add_u32_e32 v21, v22, v35
	v_add_u32_e32 v20, v21, v36
	;; [unrolled: 1-line block ×4, first 2 shown]
	s_branch .LBB3688_69
.LBB3688_59:
                                        ; implicit-def: $vgpr11
                                        ; implicit-def: $vgpr18
                                        ; implicit-def: $vgpr19
                                        ; implicit-def: $vgpr20
                                        ; implicit-def: $vgpr21
                                        ; implicit-def: $vgpr22
                                        ; implicit-def: $vgpr23
                                        ; implicit-def: $vgpr24
                                        ; implicit-def: $vgpr25
                                        ; implicit-def: $vgpr41
                                        ; implicit-def: $vgpr42
	s_cbranch_execz .LBB3688_69
; %bb.60:
	s_waitcnt lgkmcnt(0)
	v_mov_b32_dpp v10, v40 row_shr:1 row_mask:0xf bank_mask:0xf
	v_cndmask_b32_e64 v10, v10, 0, s[16:17]
	v_add_u32_e32 v10, v10, v40
	s_nop 1
	v_mov_b32_dpp v11, v10 row_shr:2 row_mask:0xf bank_mask:0xf
	v_cndmask_b32_e64 v11, 0, v11, s[14:15]
	v_add_u32_e32 v10, v10, v11
	s_nop 1
	;; [unrolled: 4-line block ×4, first 2 shown]
	v_mov_b32_dpp v11, v10 row_bcast:15 row_mask:0xf bank_mask:0xf
	v_cndmask_b32_e64 v11, v11, 0, s[8:9]
	v_add_u32_e32 v10, v10, v11
	s_nop 1
	v_mov_b32_dpp v11, v10 row_bcast:31 row_mask:0xf bank_mask:0xf
	v_cndmask_b32_e64 v11, 0, v11, s[4:5]
	v_add_u32_e32 v10, v10, v11
	s_and_saveexec_b64 s[4:5], s[6:7]
	s_cbranch_execz .LBB3688_62
; %bb.61:
	v_lshlrev_b32_e32 v11, 2, v39
	ds_write_b32 v11, v10
.LBB3688_62:
	s_or_b64 exec, exec, s[4:5]
	v_cmp_gt_u32_e32 vcc, 4, v0
	s_waitcnt lgkmcnt(0)
	s_barrier
	s_and_saveexec_b64 s[4:5], vcc
	s_cbranch_execz .LBB3688_64
; %bb.63:
	s_movk_i32 s6, 0xffdc
	v_mad_i32_i24 v11, v0, s6, v32
	ds_read_b32 v18, v11
	v_and_b32_e32 v19, 3, v38
	v_cmp_ne_u32_e32 vcc, 0, v19
	s_waitcnt lgkmcnt(0)
	v_mov_b32_dpp v20, v18 row_shr:1 row_mask:0xf bank_mask:0xf
	v_cndmask_b32_e32 v20, 0, v20, vcc
	v_add_u32_e32 v18, v20, v18
	v_cmp_lt_u32_e32 vcc, 1, v19
	s_nop 0
	v_mov_b32_dpp v20, v18 row_shr:2 row_mask:0xf bank_mask:0xf
	v_cndmask_b32_e32 v19, 0, v20, vcc
	v_add_u32_e32 v18, v18, v19
	ds_write_b32 v11, v18
.LBB3688_64:
	s_or_b64 exec, exec, s[4:5]
	v_cmp_lt_u32_e32 vcc, 63, v0
	v_mov_b32_e32 v11, 0
	v_mov_b32_e32 v18, 0
	s_waitcnt lgkmcnt(0)
	s_barrier
	s_and_saveexec_b64 s[4:5], vcc
	s_cbranch_execz .LBB3688_66
; %bb.65:
	v_lshl_add_u32 v18, v39, 2, -4
	ds_read_b32 v18, v18
.LBB3688_66:
	s_or_b64 exec, exec, s[4:5]
	v_add_u32_e32 v19, -1, v38
	v_and_b32_e32 v20, 64, v38
	v_cmp_lt_i32_e32 vcc, v19, v20
	v_cndmask_b32_e32 v19, v19, v38, vcc
	s_waitcnt lgkmcnt(0)
	v_add_u32_e32 v10, v18, v10
	v_lshlrev_b32_e32 v19, 2, v19
	ds_bpermute_b32 v19, v19, v10
	ds_read_b32 v10, v11 offset:12
	s_and_saveexec_b64 s[4:5], s[0:1]
	s_cbranch_execz .LBB3688_68
; %bb.67:
	v_mov_b32_e32 v20, 0
	v_mov_b32_e32 v11, 2
	s_waitcnt lgkmcnt(0)
	global_store_dwordx2 v20, v[10:11], s[34:35] offset:512
.LBB3688_68:
	s_or_b64 exec, exec, s[4:5]
	v_cmp_eq_u32_e32 vcc, 0, v38
	s_waitcnt lgkmcnt(1)
	v_cndmask_b32_e32 v18, v19, v18, vcc
	v_cndmask_b32_e64 v42, v18, 0, s[0:1]
	v_add_u32_sdwa v41, v42, v29 dst_sel:DWORD dst_unused:UNUSED_PAD src0_sel:DWORD src1_sel:BYTE_0
	v_add_u32_sdwa v25, v41, v29 dst_sel:DWORD dst_unused:UNUSED_PAD src0_sel:DWORD src1_sel:BYTE_1
	v_add_u32_e32 v24, v25, v33
	v_add_u32_e32 v23, v24, v31
	;; [unrolled: 1-line block ×6, first 2 shown]
	v_mov_b32_e32 v11, 0
	v_add_u32_e32 v18, v19, v37
	s_waitcnt lgkmcnt(0)
	s_barrier
.LBB3688_69:
	s_waitcnt lgkmcnt(0)
	v_add_u32_e32 v26, v10, v26
	v_sub_u32_e32 v34, v42, v11
	v_and_b32_e32 v36, 1, v29
	v_sub_u32_e32 v35, v26, v34
	v_cmp_eq_u32_e32 vcc, 1, v36
	v_cndmask_b32_e32 v34, v35, v34, vcc
	v_lshlrev_b32_e32 v34, 2, v34
	v_lshrrev_b32_e32 v33, 8, v29
	ds_write_b32 v34, v6
	v_sub_u32_e32 v6, v41, v11
	v_sub_u32_e32 v34, v26, v6
	v_and_b32_e32 v33, 1, v33
	v_add_u32_e32 v34, 1, v34
	v_cmp_eq_u32_e32 vcc, 1, v33
	v_cndmask_b32_e32 v6, v34, v6, vcc
	v_lshlrev_b32_e32 v6, 2, v6
	ds_write_b32 v6, v7
	v_sub_u32_e32 v6, v25, v11
	v_mov_b32_e32 v25, 1
	v_sub_u32_e32 v7, v26, v6
	v_and_b32_sdwa v29, v25, v29 dst_sel:DWORD dst_unused:UNUSED_PAD src0_sel:DWORD src1_sel:WORD_1
	v_add_u32_e32 v7, 2, v7
	v_cmp_eq_u32_e32 vcc, 1, v29
	v_cndmask_b32_e32 v6, v7, v6, vcc
	v_lshlrev_b32_e32 v6, 2, v6
	ds_write_b32 v6, v8
	v_sub_u32_e32 v6, v24, v11
	v_sub_u32_e32 v7, v26, v6
	v_and_b32_e32 v8, 1, v31
	v_add_u32_e32 v7, 3, v7
	v_cmp_eq_u32_e32 vcc, 1, v8
	v_cndmask_b32_e32 v6, v7, v6, vcc
	v_lshlrev_b32_e32 v6, 2, v6
	ds_write_b32 v6, v9
	v_sub_u32_e32 v6, v23, v11
	v_sub_u32_e32 v7, v26, v6
	v_and_b32_e32 v8, 1, v28
	v_add_u32_e32 v7, 4, v7
	v_cmp_eq_u32_e32 vcc, 1, v8
	v_cndmask_b32_e32 v6, v7, v6, vcc
	v_lshlrev_b32_e32 v6, 2, v6
	v_lshrrev_b32_e32 v32, 8, v28
	ds_write_b32 v6, v2
	v_sub_u32_e32 v2, v22, v11
	v_sub_u32_e32 v6, v26, v2
	v_and_b32_e32 v7, 1, v32
	v_add_u32_e32 v6, 5, v6
	v_cmp_eq_u32_e32 vcc, 1, v7
	v_cndmask_b32_e32 v2, v6, v2, vcc
	v_lshlrev_b32_e32 v2, 2, v2
	ds_write_b32 v2, v3
	v_sub_u32_e32 v2, v21, v11
	v_sub_u32_e32 v3, v26, v2
	v_and_b32_sdwa v6, v25, v28 dst_sel:DWORD dst_unused:UNUSED_PAD src0_sel:DWORD src1_sel:WORD_1
	v_add_u32_e32 v3, 6, v3
	v_cmp_eq_u32_e32 vcc, 1, v6
	v_cndmask_b32_e32 v2, v3, v2, vcc
	v_lshlrev_b32_e32 v2, 2, v2
	ds_write_b32 v2, v4
	v_sub_u32_e32 v2, v20, v11
	v_sub_u32_e32 v3, v26, v2
	v_and_b32_e32 v4, 1, v30
	v_add_u32_e32 v3, 7, v3
	v_cmp_eq_u32_e32 vcc, 1, v4
	v_cndmask_b32_e32 v2, v3, v2, vcc
	v_lshlrev_b32_e32 v2, 2, v2
	ds_write_b32 v2, v5
	v_sub_u32_e32 v2, v19, v11
	v_sub_u32_e32 v3, v26, v2
	v_and_b32_e32 v4, 1, v27
	;; [unrolled: 8-line block ×3, first 2 shown]
	v_add_u32_e32 v3, 9, v3
	v_cmp_eq_u32_e32 vcc, 1, v4
	v_cndmask_b32_e32 v2, v3, v2, vcc
	v_lshlrev_b32_e32 v2, 2, v2
	ds_write_b32 v2, v17
	s_waitcnt lgkmcnt(0)
	s_barrier
	ds_read2st64_b32 v[16:17], v1 offset1:4
	ds_read2st64_b32 v[8:9], v1 offset0:8 offset1:12
	ds_read2st64_b32 v[6:7], v1 offset0:16 offset1:20
	;; [unrolled: 1-line block ×4, first 2 shown]
	s_waitcnt vmcnt(0)
	v_add_co_u32_e32 v1, vcc, v14, v11
	v_addc_co_u32_e32 v11, vcc, 0, v15, vcc
	v_mov_b32_e32 v13, s27
	v_add_co_u32_e32 v12, vcc, s26, v12
	v_addc_co_u32_e32 v13, vcc, 0, v13, vcc
	v_mov_b32_e32 v14, s31
	v_sub_co_u32_e32 v12, vcc, s30, v12
	v_subb_co_u32_e32 v13, vcc, v14, v13, vcc
	v_add_co_u32_e32 v12, vcc, v12, v10
	v_addc_co_u32_e32 v13, vcc, 0, v13, vcc
	s_and_b64 vcc, exec, s[2:3]
	v_add_co_u32_e64 v14, s[2:3], v12, v1
	v_or_b32_e32 v26, 0x100, v0
	v_or_b32_e32 v25, 0x200, v0
	;; [unrolled: 1-line block ×9, first 2 shown]
	v_addc_co_u32_e64 v15, s[2:3], v13, v11, s[2:3]
	s_cbranch_vccnz .LBB3688_114
; %bb.70:
	v_cmp_ge_u32_e32 vcc, v0, v10
                                        ; implicit-def: $vgpr12_vgpr13
	s_and_saveexec_b64 s[2:3], vcc
	s_xor_b64 s[2:3], exec, s[2:3]
; %bb.71:
	v_not_b32_e32 v12, v0
	v_ashrrev_i32_e32 v13, 31, v12
	v_add_co_u32_e32 v12, vcc, v14, v12
	v_addc_co_u32_e32 v13, vcc, v15, v13, vcc
; %bb.72:
	s_andn2_saveexec_b64 s[2:3], s[2:3]
; %bb.73:
	v_add_co_u32_e32 v12, vcc, v1, v0
	v_addc_co_u32_e32 v13, vcc, 0, v11, vcc
; %bb.74:
	s_or_b64 exec, exec, s[2:3]
	v_lshlrev_b64 v[12:13], 2, v[12:13]
	v_mov_b32_e32 v27, s29
	v_add_co_u32_e32 v12, vcc, s28, v12
	v_addc_co_u32_e32 v13, vcc, v27, v13, vcc
	v_cmp_ge_u32_e32 vcc, v26, v10
	s_waitcnt lgkmcnt(4)
	global_store_dword v[12:13], v16, off
                                        ; implicit-def: $vgpr12_vgpr13
	s_and_saveexec_b64 s[2:3], vcc
	s_xor_b64 s[2:3], exec, s[2:3]
; %bb.75:
	v_xor_b32_e32 v12, 0xfffffeff, v0
	v_ashrrev_i32_e32 v13, 31, v12
	v_add_co_u32_e32 v12, vcc, v14, v12
	v_addc_co_u32_e32 v13, vcc, v15, v13, vcc
; %bb.76:
	s_andn2_saveexec_b64 s[2:3], s[2:3]
; %bb.77:
	v_add_co_u32_e32 v12, vcc, v1, v26
	v_addc_co_u32_e32 v13, vcc, 0, v11, vcc
; %bb.78:
	s_or_b64 exec, exec, s[2:3]
	v_lshlrev_b64 v[12:13], 2, v[12:13]
	v_mov_b32_e32 v27, s29
	v_add_co_u32_e32 v12, vcc, s28, v12
	v_addc_co_u32_e32 v13, vcc, v27, v13, vcc
	v_cmp_ge_u32_e32 vcc, v25, v10
	global_store_dword v[12:13], v17, off
                                        ; implicit-def: $vgpr12_vgpr13
	s_and_saveexec_b64 s[2:3], vcc
	s_xor_b64 s[2:3], exec, s[2:3]
; %bb.79:
	v_xor_b32_e32 v12, 0xfffffdff, v0
	v_ashrrev_i32_e32 v13, 31, v12
	v_add_co_u32_e32 v12, vcc, v14, v12
	v_addc_co_u32_e32 v13, vcc, v15, v13, vcc
; %bb.80:
	s_andn2_saveexec_b64 s[2:3], s[2:3]
; %bb.81:
	v_add_co_u32_e32 v12, vcc, v1, v25
	v_addc_co_u32_e32 v13, vcc, 0, v11, vcc
; %bb.82:
	s_or_b64 exec, exec, s[2:3]
	v_lshlrev_b64 v[12:13], 2, v[12:13]
	v_mov_b32_e32 v27, s29
	v_add_co_u32_e32 v12, vcc, s28, v12
	v_addc_co_u32_e32 v13, vcc, v27, v13, vcc
	v_cmp_ge_u32_e32 vcc, v24, v10
	s_waitcnt lgkmcnt(3)
	global_store_dword v[12:13], v8, off
                                        ; implicit-def: $vgpr12_vgpr13
	s_and_saveexec_b64 s[2:3], vcc
	s_xor_b64 s[2:3], exec, s[2:3]
; %bb.83:
	v_xor_b32_e32 v12, 0xfffffcff, v0
	v_ashrrev_i32_e32 v13, 31, v12
	v_add_co_u32_e32 v12, vcc, v14, v12
	v_addc_co_u32_e32 v13, vcc, v15, v13, vcc
; %bb.84:
	s_andn2_saveexec_b64 s[2:3], s[2:3]
; %bb.85:
	v_add_co_u32_e32 v12, vcc, v1, v24
	v_addc_co_u32_e32 v13, vcc, 0, v11, vcc
; %bb.86:
	s_or_b64 exec, exec, s[2:3]
	v_lshlrev_b64 v[12:13], 2, v[12:13]
	v_mov_b32_e32 v27, s29
	v_add_co_u32_e32 v12, vcc, s28, v12
	v_addc_co_u32_e32 v13, vcc, v27, v13, vcc
	v_cmp_ge_u32_e32 vcc, v23, v10
	global_store_dword v[12:13], v9, off
                                        ; implicit-def: $vgpr12_vgpr13
	s_and_saveexec_b64 s[2:3], vcc
	s_xor_b64 s[2:3], exec, s[2:3]
; %bb.87:
	v_xor_b32_e32 v12, 0xfffffbff, v0
	v_ashrrev_i32_e32 v13, 31, v12
	v_add_co_u32_e32 v12, vcc, v14, v12
	v_addc_co_u32_e32 v13, vcc, v15, v13, vcc
; %bb.88:
	s_andn2_saveexec_b64 s[2:3], s[2:3]
; %bb.89:
	v_add_co_u32_e32 v12, vcc, v1, v23
	v_addc_co_u32_e32 v13, vcc, 0, v11, vcc
; %bb.90:
	s_or_b64 exec, exec, s[2:3]
	v_lshlrev_b64 v[12:13], 2, v[12:13]
	v_mov_b32_e32 v27, s29
	v_add_co_u32_e32 v12, vcc, s28, v12
	v_addc_co_u32_e32 v13, vcc, v27, v13, vcc
	v_cmp_ge_u32_e32 vcc, v22, v10
	s_waitcnt lgkmcnt(2)
	global_store_dword v[12:13], v6, off
                                        ; implicit-def: $vgpr12_vgpr13
	s_and_saveexec_b64 s[2:3], vcc
	s_xor_b64 s[2:3], exec, s[2:3]
; %bb.91:
	v_xor_b32_e32 v12, 0xfffffaff, v0
	v_ashrrev_i32_e32 v13, 31, v12
	v_add_co_u32_e32 v12, vcc, v14, v12
	v_addc_co_u32_e32 v13, vcc, v15, v13, vcc
; %bb.92:
	s_andn2_saveexec_b64 s[2:3], s[2:3]
; %bb.93:
	v_add_co_u32_e32 v12, vcc, v1, v22
	v_addc_co_u32_e32 v13, vcc, 0, v11, vcc
; %bb.94:
	s_or_b64 exec, exec, s[2:3]
	v_lshlrev_b64 v[12:13], 2, v[12:13]
	v_mov_b32_e32 v27, s29
	v_add_co_u32_e32 v12, vcc, s28, v12
	v_addc_co_u32_e32 v13, vcc, v27, v13, vcc
	v_cmp_ge_u32_e32 vcc, v21, v10
	global_store_dword v[12:13], v7, off
                                        ; implicit-def: $vgpr12_vgpr13
	s_and_saveexec_b64 s[2:3], vcc
	s_xor_b64 s[2:3], exec, s[2:3]
; %bb.95:
	v_xor_b32_e32 v12, 0xfffff9ff, v0
	v_ashrrev_i32_e32 v13, 31, v12
	v_add_co_u32_e32 v12, vcc, v14, v12
	v_addc_co_u32_e32 v13, vcc, v15, v13, vcc
; %bb.96:
	s_andn2_saveexec_b64 s[2:3], s[2:3]
; %bb.97:
	v_add_co_u32_e32 v12, vcc, v1, v21
	v_addc_co_u32_e32 v13, vcc, 0, v11, vcc
; %bb.98:
	s_or_b64 exec, exec, s[2:3]
	v_lshlrev_b64 v[12:13], 2, v[12:13]
	v_mov_b32_e32 v27, s29
	v_add_co_u32_e32 v12, vcc, s28, v12
	v_addc_co_u32_e32 v13, vcc, v27, v13, vcc
	v_cmp_ge_u32_e32 vcc, v20, v10
	s_waitcnt lgkmcnt(1)
	global_store_dword v[12:13], v4, off
                                        ; implicit-def: $vgpr12_vgpr13
	s_and_saveexec_b64 s[2:3], vcc
	s_xor_b64 s[2:3], exec, s[2:3]
; %bb.99:
	v_xor_b32_e32 v12, 0xfffff8ff, v0
	v_ashrrev_i32_e32 v13, 31, v12
	v_add_co_u32_e32 v12, vcc, v14, v12
	v_addc_co_u32_e32 v13, vcc, v15, v13, vcc
; %bb.100:
	s_andn2_saveexec_b64 s[2:3], s[2:3]
; %bb.101:
	v_add_co_u32_e32 v12, vcc, v1, v20
	v_addc_co_u32_e32 v13, vcc, 0, v11, vcc
; %bb.102:
	s_or_b64 exec, exec, s[2:3]
	v_lshlrev_b64 v[12:13], 2, v[12:13]
	v_mov_b32_e32 v27, s29
	v_add_co_u32_e32 v12, vcc, s28, v12
	v_addc_co_u32_e32 v13, vcc, v27, v13, vcc
	v_cmp_ge_u32_e32 vcc, v19, v10
	global_store_dword v[12:13], v5, off
                                        ; implicit-def: $vgpr12_vgpr13
	s_and_saveexec_b64 s[2:3], vcc
	s_xor_b64 s[2:3], exec, s[2:3]
; %bb.103:
	v_xor_b32_e32 v12, 0xfffff7ff, v0
	v_ashrrev_i32_e32 v13, 31, v12
	v_add_co_u32_e32 v12, vcc, v14, v12
	v_addc_co_u32_e32 v13, vcc, v15, v13, vcc
; %bb.104:
	s_andn2_saveexec_b64 s[2:3], s[2:3]
; %bb.105:
	v_add_co_u32_e32 v12, vcc, v1, v19
	v_addc_co_u32_e32 v13, vcc, 0, v11, vcc
; %bb.106:
	s_or_b64 exec, exec, s[2:3]
	v_lshlrev_b64 v[12:13], 2, v[12:13]
	v_mov_b32_e32 v27, s29
	v_add_co_u32_e32 v12, vcc, s28, v12
	v_addc_co_u32_e32 v13, vcc, v27, v13, vcc
	v_cmp_ge_u32_e32 vcc, v18, v10
	s_waitcnt lgkmcnt(0)
	global_store_dword v[12:13], v2, off
                                        ; implicit-def: $vgpr12_vgpr13
	s_and_saveexec_b64 s[2:3], vcc
	s_xor_b64 s[2:3], exec, s[2:3]
; %bb.107:
	v_xor_b32_e32 v12, 0xfffff6ff, v0
	v_ashrrev_i32_e32 v13, 31, v12
	v_add_co_u32_e32 v12, vcc, v14, v12
	v_addc_co_u32_e32 v13, vcc, v15, v13, vcc
; %bb.108:
	s_andn2_saveexec_b64 s[2:3], s[2:3]
; %bb.109:
	v_add_co_u32_e32 v12, vcc, v1, v18
	v_addc_co_u32_e32 v13, vcc, 0, v11, vcc
; %bb.110:
	s_or_b64 exec, exec, s[2:3]
	s_mov_b64 s[2:3], -1
.LBB3688_111:
	s_and_saveexec_b64 s[4:5], s[2:3]
	s_cbranch_execz .LBB3688_142
.LBB3688_112:
	s_waitcnt lgkmcnt(1)
	v_lshlrev_b64 v[4:5], 2, v[12:13]
	v_mov_b32_e32 v0, s29
	v_add_co_u32_e32 v4, vcc, s28, v4
	v_addc_co_u32_e32 v5, vcc, v0, v5, vcc
	s_waitcnt lgkmcnt(0)
	global_store_dword v[4:5], v3, off
	s_or_b64 exec, exec, s[4:5]
	s_and_b64 s[0:1], s[0:1], s[22:23]
	s_and_saveexec_b64 s[2:3], s[0:1]
	s_cbranch_execnz .LBB3688_143
.LBB3688_113:
	s_endpgm
.LBB3688_114:
	s_mov_b64 s[2:3], 0
                                        ; implicit-def: $vgpr12_vgpr13
	s_cbranch_execz .LBB3688_111
; %bb.115:
	v_cmp_gt_u32_e32 vcc, s33, v0
	s_and_saveexec_b64 s[4:5], vcc
	s_cbranch_execz .LBB3688_144
; %bb.116:
	v_cmp_ge_u32_e32 vcc, v0, v10
                                        ; implicit-def: $vgpr12_vgpr13
	s_and_saveexec_b64 s[6:7], vcc
	s_xor_b64 s[6:7], exec, s[6:7]
; %bb.117:
	v_not_b32_e32 v12, v0
	v_ashrrev_i32_e32 v13, 31, v12
	v_add_co_u32_e32 v12, vcc, v14, v12
	v_addc_co_u32_e32 v13, vcc, v15, v13, vcc
; %bb.118:
	s_andn2_saveexec_b64 s[6:7], s[6:7]
; %bb.119:
	v_add_co_u32_e32 v12, vcc, v1, v0
	v_addc_co_u32_e32 v13, vcc, 0, v11, vcc
; %bb.120:
	s_or_b64 exec, exec, s[6:7]
	v_lshlrev_b64 v[12:13], 2, v[12:13]
	v_mov_b32_e32 v27, s29
	v_add_co_u32_e32 v12, vcc, s28, v12
	v_addc_co_u32_e32 v13, vcc, v27, v13, vcc
	s_waitcnt lgkmcnt(4)
	global_store_dword v[12:13], v16, off
	s_or_b64 exec, exec, s[4:5]
	v_cmp_gt_u32_e32 vcc, s33, v26
	s_and_saveexec_b64 s[4:5], vcc
	s_cbranch_execnz .LBB3688_145
.LBB3688_121:
	s_or_b64 exec, exec, s[4:5]
	v_cmp_gt_u32_e32 vcc, s33, v25
	s_and_saveexec_b64 s[4:5], vcc
	s_cbranch_execz .LBB3688_150
.LBB3688_122:
	v_cmp_ge_u32_e32 vcc, v25, v10
                                        ; implicit-def: $vgpr12_vgpr13
	s_and_saveexec_b64 s[6:7], vcc
	s_xor_b64 s[6:7], exec, s[6:7]
; %bb.123:
	v_xor_b32_e32 v12, 0xfffffdff, v0
	v_ashrrev_i32_e32 v13, 31, v12
	v_add_co_u32_e32 v12, vcc, v14, v12
	v_addc_co_u32_e32 v13, vcc, v15, v13, vcc
                                        ; implicit-def: $vgpr25
; %bb.124:
	s_andn2_saveexec_b64 s[6:7], s[6:7]
; %bb.125:
	v_add_co_u32_e32 v12, vcc, v1, v25
	v_addc_co_u32_e32 v13, vcc, 0, v11, vcc
; %bb.126:
	s_or_b64 exec, exec, s[6:7]
	v_lshlrev_b64 v[12:13], 2, v[12:13]
	s_waitcnt lgkmcnt(4)
	v_mov_b32_e32 v16, s29
	v_add_co_u32_e32 v12, vcc, s28, v12
	v_addc_co_u32_e32 v13, vcc, v16, v13, vcc
	s_waitcnt lgkmcnt(3)
	global_store_dword v[12:13], v8, off
	s_or_b64 exec, exec, s[4:5]
	v_cmp_gt_u32_e32 vcc, s33, v24
	s_and_saveexec_b64 s[4:5], vcc
	s_cbranch_execnz .LBB3688_151
.LBB3688_127:
	s_or_b64 exec, exec, s[4:5]
	v_cmp_gt_u32_e32 vcc, s33, v23
	s_and_saveexec_b64 s[4:5], vcc
	s_cbranch_execz .LBB3688_156
.LBB3688_128:
	v_cmp_ge_u32_e32 vcc, v23, v10
                                        ; implicit-def: $vgpr8_vgpr9
	s_and_saveexec_b64 s[6:7], vcc
	s_xor_b64 s[6:7], exec, s[6:7]
	s_cbranch_execz .LBB3688_130
; %bb.129:
	s_waitcnt lgkmcnt(3)
	v_xor_b32_e32 v8, 0xfffffbff, v0
	v_ashrrev_i32_e32 v9, 31, v8
	v_add_co_u32_e32 v8, vcc, v14, v8
	v_addc_co_u32_e32 v9, vcc, v15, v9, vcc
                                        ; implicit-def: $vgpr23
.LBB3688_130:
	s_andn2_saveexec_b64 s[6:7], s[6:7]
	s_cbranch_execz .LBB3688_132
; %bb.131:
	s_waitcnt lgkmcnt(3)
	v_add_co_u32_e32 v8, vcc, v1, v23
	v_addc_co_u32_e32 v9, vcc, 0, v11, vcc
.LBB3688_132:
	s_or_b64 exec, exec, s[6:7]
	s_waitcnt lgkmcnt(3)
	v_lshlrev_b64 v[8:9], 2, v[8:9]
	v_mov_b32_e32 v12, s29
	v_add_co_u32_e32 v8, vcc, s28, v8
	v_addc_co_u32_e32 v9, vcc, v12, v9, vcc
	s_waitcnt lgkmcnt(2)
	global_store_dword v[8:9], v6, off
	s_or_b64 exec, exec, s[4:5]
	v_cmp_gt_u32_e32 vcc, s33, v22
	s_and_saveexec_b64 s[4:5], vcc
	s_cbranch_execnz .LBB3688_157
.LBB3688_133:
	s_or_b64 exec, exec, s[4:5]
	v_cmp_gt_u32_e32 vcc, s33, v21
	s_and_saveexec_b64 s[4:5], vcc
	s_cbranch_execz .LBB3688_162
.LBB3688_134:
	v_cmp_ge_u32_e32 vcc, v21, v10
                                        ; implicit-def: $vgpr6_vgpr7
	s_and_saveexec_b64 s[6:7], vcc
	s_xor_b64 s[6:7], exec, s[6:7]
	s_cbranch_execz .LBB3688_136
; %bb.135:
	s_waitcnt lgkmcnt(2)
	v_xor_b32_e32 v6, 0xfffff9ff, v0
	v_ashrrev_i32_e32 v7, 31, v6
	v_add_co_u32_e32 v6, vcc, v14, v6
	v_addc_co_u32_e32 v7, vcc, v15, v7, vcc
                                        ; implicit-def: $vgpr21
.LBB3688_136:
	s_andn2_saveexec_b64 s[6:7], s[6:7]
	s_cbranch_execz .LBB3688_138
; %bb.137:
	s_waitcnt lgkmcnt(2)
	v_add_co_u32_e32 v6, vcc, v1, v21
	v_addc_co_u32_e32 v7, vcc, 0, v11, vcc
.LBB3688_138:
	s_or_b64 exec, exec, s[6:7]
	s_waitcnt lgkmcnt(2)
	v_lshlrev_b64 v[6:7], 2, v[6:7]
	v_mov_b32_e32 v8, s29
	v_add_co_u32_e32 v6, vcc, s28, v6
	v_addc_co_u32_e32 v7, vcc, v8, v7, vcc
	s_waitcnt lgkmcnt(1)
	global_store_dword v[6:7], v4, off
	s_or_b64 exec, exec, s[4:5]
	v_cmp_gt_u32_e32 vcc, s33, v20
	s_and_saveexec_b64 s[4:5], vcc
	s_cbranch_execnz .LBB3688_163
.LBB3688_139:
	s_or_b64 exec, exec, s[4:5]
	v_cmp_gt_u32_e32 vcc, s33, v19
	s_and_saveexec_b64 s[4:5], vcc
	s_cbranch_execnz .LBB3688_168
.LBB3688_140:
	s_or_b64 exec, exec, s[4:5]
	v_cmp_gt_u32_e32 vcc, s33, v18
                                        ; implicit-def: $vgpr12_vgpr13
	s_and_saveexec_b64 s[4:5], vcc
	s_cbranch_execnz .LBB3688_173
.LBB3688_141:
	s_or_b64 exec, exec, s[4:5]
	s_and_saveexec_b64 s[4:5], s[2:3]
	s_cbranch_execnz .LBB3688_112
.LBB3688_142:
	s_or_b64 exec, exec, s[4:5]
	s_and_b64 s[0:1], s[0:1], s[22:23]
	s_and_saveexec_b64 s[2:3], s[0:1]
	s_cbranch_execz .LBB3688_113
.LBB3688_143:
	v_add_co_u32_e32 v0, vcc, v1, v10
	s_waitcnt lgkmcnt(0)
	v_mov_b32_e32 v2, 0
	v_addc_co_u32_e32 v1, vcc, 0, v11, vcc
	global_store_dwordx2 v2, v[0:1], s[20:21]
	s_endpgm
.LBB3688_144:
	s_or_b64 exec, exec, s[4:5]
	v_cmp_gt_u32_e32 vcc, s33, v26
	s_and_saveexec_b64 s[4:5], vcc
	s_cbranch_execz .LBB3688_121
.LBB3688_145:
	v_cmp_ge_u32_e32 vcc, v26, v10
                                        ; implicit-def: $vgpr12_vgpr13
	s_and_saveexec_b64 s[6:7], vcc
	s_xor_b64 s[6:7], exec, s[6:7]
; %bb.146:
	v_xor_b32_e32 v12, 0xfffffeff, v0
	v_ashrrev_i32_e32 v13, 31, v12
	v_add_co_u32_e32 v12, vcc, v14, v12
	v_addc_co_u32_e32 v13, vcc, v15, v13, vcc
                                        ; implicit-def: $vgpr26
; %bb.147:
	s_andn2_saveexec_b64 s[6:7], s[6:7]
; %bb.148:
	v_add_co_u32_e32 v12, vcc, v1, v26
	v_addc_co_u32_e32 v13, vcc, 0, v11, vcc
; %bb.149:
	s_or_b64 exec, exec, s[6:7]
	v_lshlrev_b64 v[12:13], 2, v[12:13]
	s_waitcnt lgkmcnt(4)
	v_mov_b32_e32 v16, s29
	v_add_co_u32_e32 v12, vcc, s28, v12
	v_addc_co_u32_e32 v13, vcc, v16, v13, vcc
	global_store_dword v[12:13], v17, off
	s_or_b64 exec, exec, s[4:5]
	v_cmp_gt_u32_e32 vcc, s33, v25
	s_and_saveexec_b64 s[4:5], vcc
	s_cbranch_execnz .LBB3688_122
.LBB3688_150:
	s_or_b64 exec, exec, s[4:5]
	v_cmp_gt_u32_e32 vcc, s33, v24
	s_and_saveexec_b64 s[4:5], vcc
	s_cbranch_execz .LBB3688_127
.LBB3688_151:
	v_cmp_ge_u32_e32 vcc, v24, v10
                                        ; implicit-def: $vgpr12_vgpr13
	s_and_saveexec_b64 s[6:7], vcc
	s_xor_b64 s[6:7], exec, s[6:7]
	s_cbranch_execz .LBB3688_153
; %bb.152:
	s_waitcnt lgkmcnt(3)
	v_xor_b32_e32 v8, 0xfffffcff, v0
	v_ashrrev_i32_e32 v13, 31, v8
	v_add_co_u32_e32 v12, vcc, v14, v8
	v_addc_co_u32_e32 v13, vcc, v15, v13, vcc
                                        ; implicit-def: $vgpr24
.LBB3688_153:
	s_andn2_saveexec_b64 s[6:7], s[6:7]
; %bb.154:
	v_add_co_u32_e32 v12, vcc, v1, v24
	v_addc_co_u32_e32 v13, vcc, 0, v11, vcc
; %bb.155:
	s_or_b64 exec, exec, s[6:7]
	v_lshlrev_b64 v[12:13], 2, v[12:13]
	s_waitcnt lgkmcnt(3)
	v_mov_b32_e32 v8, s29
	v_add_co_u32_e32 v12, vcc, s28, v12
	v_addc_co_u32_e32 v13, vcc, v8, v13, vcc
	global_store_dword v[12:13], v9, off
	s_or_b64 exec, exec, s[4:5]
	v_cmp_gt_u32_e32 vcc, s33, v23
	s_and_saveexec_b64 s[4:5], vcc
	s_cbranch_execnz .LBB3688_128
.LBB3688_156:
	s_or_b64 exec, exec, s[4:5]
	v_cmp_gt_u32_e32 vcc, s33, v22
	s_and_saveexec_b64 s[4:5], vcc
	s_cbranch_execz .LBB3688_133
.LBB3688_157:
	v_cmp_ge_u32_e32 vcc, v22, v10
                                        ; implicit-def: $vgpr8_vgpr9
	s_and_saveexec_b64 s[6:7], vcc
	s_xor_b64 s[6:7], exec, s[6:7]
	s_cbranch_execz .LBB3688_159
; %bb.158:
	s_waitcnt lgkmcnt(2)
	v_xor_b32_e32 v6, 0xfffffaff, v0
	v_ashrrev_i32_e32 v9, 31, v6
	v_add_co_u32_e32 v8, vcc, v14, v6
	v_addc_co_u32_e32 v9, vcc, v15, v9, vcc
                                        ; implicit-def: $vgpr22
.LBB3688_159:
	s_andn2_saveexec_b64 s[6:7], s[6:7]
	s_cbranch_execz .LBB3688_161
; %bb.160:
	s_waitcnt lgkmcnt(3)
	v_add_co_u32_e32 v8, vcc, v1, v22
	v_addc_co_u32_e32 v9, vcc, 0, v11, vcc
.LBB3688_161:
	s_or_b64 exec, exec, s[6:7]
	s_waitcnt lgkmcnt(3)
	v_lshlrev_b64 v[8:9], 2, v[8:9]
	s_waitcnt lgkmcnt(2)
	v_mov_b32_e32 v6, s29
	v_add_co_u32_e32 v8, vcc, s28, v8
	v_addc_co_u32_e32 v9, vcc, v6, v9, vcc
	global_store_dword v[8:9], v7, off
	s_or_b64 exec, exec, s[4:5]
	v_cmp_gt_u32_e32 vcc, s33, v21
	s_and_saveexec_b64 s[4:5], vcc
	s_cbranch_execnz .LBB3688_134
.LBB3688_162:
	s_or_b64 exec, exec, s[4:5]
	v_cmp_gt_u32_e32 vcc, s33, v20
	s_and_saveexec_b64 s[4:5], vcc
	s_cbranch_execz .LBB3688_139
.LBB3688_163:
	v_cmp_ge_u32_e32 vcc, v20, v10
                                        ; implicit-def: $vgpr6_vgpr7
	s_and_saveexec_b64 s[6:7], vcc
	s_xor_b64 s[6:7], exec, s[6:7]
	s_cbranch_execz .LBB3688_165
; %bb.164:
	s_waitcnt lgkmcnt(1)
	v_xor_b32_e32 v4, 0xfffff8ff, v0
	v_ashrrev_i32_e32 v7, 31, v4
	v_add_co_u32_e32 v6, vcc, v14, v4
	v_addc_co_u32_e32 v7, vcc, v15, v7, vcc
                                        ; implicit-def: $vgpr20
.LBB3688_165:
	s_andn2_saveexec_b64 s[6:7], s[6:7]
	s_cbranch_execz .LBB3688_167
; %bb.166:
	s_waitcnt lgkmcnt(2)
	v_add_co_u32_e32 v6, vcc, v1, v20
	v_addc_co_u32_e32 v7, vcc, 0, v11, vcc
.LBB3688_167:
	s_or_b64 exec, exec, s[6:7]
	s_waitcnt lgkmcnt(2)
	v_lshlrev_b64 v[6:7], 2, v[6:7]
	s_waitcnt lgkmcnt(1)
	v_mov_b32_e32 v4, s29
	v_add_co_u32_e32 v6, vcc, s28, v6
	v_addc_co_u32_e32 v7, vcc, v4, v7, vcc
	global_store_dword v[6:7], v5, off
	s_or_b64 exec, exec, s[4:5]
	v_cmp_gt_u32_e32 vcc, s33, v19
	s_and_saveexec_b64 s[4:5], vcc
	s_cbranch_execz .LBB3688_140
.LBB3688_168:
	v_cmp_ge_u32_e32 vcc, v19, v10
                                        ; implicit-def: $vgpr4_vgpr5
	s_and_saveexec_b64 s[6:7], vcc
	s_xor_b64 s[6:7], exec, s[6:7]
	s_cbranch_execz .LBB3688_170
; %bb.169:
	s_waitcnt lgkmcnt(1)
	v_xor_b32_e32 v4, 0xfffff7ff, v0
	v_ashrrev_i32_e32 v5, 31, v4
	v_add_co_u32_e32 v4, vcc, v14, v4
	v_addc_co_u32_e32 v5, vcc, v15, v5, vcc
                                        ; implicit-def: $vgpr19
.LBB3688_170:
	s_andn2_saveexec_b64 s[6:7], s[6:7]
	s_cbranch_execz .LBB3688_172
; %bb.171:
	s_waitcnt lgkmcnt(1)
	v_add_co_u32_e32 v4, vcc, v1, v19
	v_addc_co_u32_e32 v5, vcc, 0, v11, vcc
.LBB3688_172:
	s_or_b64 exec, exec, s[6:7]
	s_waitcnt lgkmcnt(1)
	v_lshlrev_b64 v[4:5], 2, v[4:5]
	v_mov_b32_e32 v6, s29
	v_add_co_u32_e32 v4, vcc, s28, v4
	v_addc_co_u32_e32 v5, vcc, v6, v5, vcc
	s_waitcnt lgkmcnt(0)
	global_store_dword v[4:5], v2, off
	s_or_b64 exec, exec, s[4:5]
	v_cmp_gt_u32_e32 vcc, s33, v18
                                        ; implicit-def: $vgpr12_vgpr13
	s_and_saveexec_b64 s[4:5], vcc
	s_cbranch_execz .LBB3688_141
.LBB3688_173:
	v_cmp_ge_u32_e32 vcc, v18, v10
                                        ; implicit-def: $vgpr12_vgpr13
	s_and_saveexec_b64 s[6:7], vcc
	s_xor_b64 s[6:7], exec, s[6:7]
	s_cbranch_execz .LBB3688_175
; %bb.174:
	v_xor_b32_e32 v0, 0xfffff6ff, v0
	s_waitcnt lgkmcnt(0)
	v_ashrrev_i32_e32 v2, 31, v0
	v_add_co_u32_e32 v12, vcc, v14, v0
	v_addc_co_u32_e32 v13, vcc, v15, v2, vcc
                                        ; implicit-def: $vgpr18
.LBB3688_175:
	s_andn2_saveexec_b64 s[6:7], s[6:7]
; %bb.176:
	v_add_co_u32_e32 v12, vcc, v1, v18
	v_addc_co_u32_e32 v13, vcc, 0, v11, vcc
; %bb.177:
	s_or_b64 exec, exec, s[6:7]
	s_or_b64 s[2:3], s[2:3], exec
	s_or_b64 exec, exec, s[4:5]
	s_and_saveexec_b64 s[4:5], s[2:3]
	s_cbranch_execnz .LBB3688_112
	s_branch .LBB3688_142
	.section	.rodata,"a",@progbits
	.p2align	6, 0x0
	.amdhsa_kernel _ZN7rocprim17ROCPRIM_400000_NS6detail17trampoline_kernelINS0_14default_configENS1_25partition_config_selectorILNS1_17partition_subalgoE3EiNS0_10empty_typeEbEEZZNS1_14partition_implILS5_3ELb0ES3_jN6thrust23THRUST_200600_302600_NS6detail15normal_iteratorINSA_7pointerIiNSA_11hip_rocprim5par_tENSA_11use_defaultESG_EEEEPS6_SJ_NS0_5tupleIJPiSJ_EEENSK_IJSJ_SJ_EEES6_PlJ7is_evenIiEEEE10hipError_tPvRmT3_T4_T5_T6_T7_T9_mT8_P12ihipStream_tbDpT10_ENKUlT_T0_E_clISt17integral_constantIbLb0EES19_IbLb1EEEEDaS15_S16_EUlS15_E_NS1_11comp_targetILNS1_3genE4ELNS1_11target_archE910ELNS1_3gpuE8ELNS1_3repE0EEENS1_30default_config_static_selectorELNS0_4arch9wavefront6targetE1EEEvT1_
		.amdhsa_group_segment_fixed_size 10248
		.amdhsa_private_segment_fixed_size 0
		.amdhsa_kernarg_size 136
		.amdhsa_user_sgpr_count 6
		.amdhsa_user_sgpr_private_segment_buffer 1
		.amdhsa_user_sgpr_dispatch_ptr 0
		.amdhsa_user_sgpr_queue_ptr 0
		.amdhsa_user_sgpr_kernarg_segment_ptr 1
		.amdhsa_user_sgpr_dispatch_id 0
		.amdhsa_user_sgpr_flat_scratch_init 0
		.amdhsa_user_sgpr_kernarg_preload_length 0
		.amdhsa_user_sgpr_kernarg_preload_offset 0
		.amdhsa_user_sgpr_private_segment_size 0
		.amdhsa_uses_dynamic_stack 0
		.amdhsa_system_sgpr_private_segment_wavefront_offset 0
		.amdhsa_system_sgpr_workgroup_id_x 1
		.amdhsa_system_sgpr_workgroup_id_y 0
		.amdhsa_system_sgpr_workgroup_id_z 0
		.amdhsa_system_sgpr_workgroup_info 0
		.amdhsa_system_vgpr_workitem_id 0
		.amdhsa_next_free_vgpr 57
		.amdhsa_next_free_sgpr 44
		.amdhsa_accum_offset 60
		.amdhsa_reserve_vcc 1
		.amdhsa_reserve_flat_scratch 0
		.amdhsa_float_round_mode_32 0
		.amdhsa_float_round_mode_16_64 0
		.amdhsa_float_denorm_mode_32 3
		.amdhsa_float_denorm_mode_16_64 3
		.amdhsa_dx10_clamp 1
		.amdhsa_ieee_mode 1
		.amdhsa_fp16_overflow 0
		.amdhsa_tg_split 0
		.amdhsa_exception_fp_ieee_invalid_op 0
		.amdhsa_exception_fp_denorm_src 0
		.amdhsa_exception_fp_ieee_div_zero 0
		.amdhsa_exception_fp_ieee_overflow 0
		.amdhsa_exception_fp_ieee_underflow 0
		.amdhsa_exception_fp_ieee_inexact 0
		.amdhsa_exception_int_div_zero 0
	.end_amdhsa_kernel
	.section	.text._ZN7rocprim17ROCPRIM_400000_NS6detail17trampoline_kernelINS0_14default_configENS1_25partition_config_selectorILNS1_17partition_subalgoE3EiNS0_10empty_typeEbEEZZNS1_14partition_implILS5_3ELb0ES3_jN6thrust23THRUST_200600_302600_NS6detail15normal_iteratorINSA_7pointerIiNSA_11hip_rocprim5par_tENSA_11use_defaultESG_EEEEPS6_SJ_NS0_5tupleIJPiSJ_EEENSK_IJSJ_SJ_EEES6_PlJ7is_evenIiEEEE10hipError_tPvRmT3_T4_T5_T6_T7_T9_mT8_P12ihipStream_tbDpT10_ENKUlT_T0_E_clISt17integral_constantIbLb0EES19_IbLb1EEEEDaS15_S16_EUlS15_E_NS1_11comp_targetILNS1_3genE4ELNS1_11target_archE910ELNS1_3gpuE8ELNS1_3repE0EEENS1_30default_config_static_selectorELNS0_4arch9wavefront6targetE1EEEvT1_,"axG",@progbits,_ZN7rocprim17ROCPRIM_400000_NS6detail17trampoline_kernelINS0_14default_configENS1_25partition_config_selectorILNS1_17partition_subalgoE3EiNS0_10empty_typeEbEEZZNS1_14partition_implILS5_3ELb0ES3_jN6thrust23THRUST_200600_302600_NS6detail15normal_iteratorINSA_7pointerIiNSA_11hip_rocprim5par_tENSA_11use_defaultESG_EEEEPS6_SJ_NS0_5tupleIJPiSJ_EEENSK_IJSJ_SJ_EEES6_PlJ7is_evenIiEEEE10hipError_tPvRmT3_T4_T5_T6_T7_T9_mT8_P12ihipStream_tbDpT10_ENKUlT_T0_E_clISt17integral_constantIbLb0EES19_IbLb1EEEEDaS15_S16_EUlS15_E_NS1_11comp_targetILNS1_3genE4ELNS1_11target_archE910ELNS1_3gpuE8ELNS1_3repE0EEENS1_30default_config_static_selectorELNS0_4arch9wavefront6targetE1EEEvT1_,comdat
.Lfunc_end3688:
	.size	_ZN7rocprim17ROCPRIM_400000_NS6detail17trampoline_kernelINS0_14default_configENS1_25partition_config_selectorILNS1_17partition_subalgoE3EiNS0_10empty_typeEbEEZZNS1_14partition_implILS5_3ELb0ES3_jN6thrust23THRUST_200600_302600_NS6detail15normal_iteratorINSA_7pointerIiNSA_11hip_rocprim5par_tENSA_11use_defaultESG_EEEEPS6_SJ_NS0_5tupleIJPiSJ_EEENSK_IJSJ_SJ_EEES6_PlJ7is_evenIiEEEE10hipError_tPvRmT3_T4_T5_T6_T7_T9_mT8_P12ihipStream_tbDpT10_ENKUlT_T0_E_clISt17integral_constantIbLb0EES19_IbLb1EEEEDaS15_S16_EUlS15_E_NS1_11comp_targetILNS1_3genE4ELNS1_11target_archE910ELNS1_3gpuE8ELNS1_3repE0EEENS1_30default_config_static_selectorELNS0_4arch9wavefront6targetE1EEEvT1_, .Lfunc_end3688-_ZN7rocprim17ROCPRIM_400000_NS6detail17trampoline_kernelINS0_14default_configENS1_25partition_config_selectorILNS1_17partition_subalgoE3EiNS0_10empty_typeEbEEZZNS1_14partition_implILS5_3ELb0ES3_jN6thrust23THRUST_200600_302600_NS6detail15normal_iteratorINSA_7pointerIiNSA_11hip_rocprim5par_tENSA_11use_defaultESG_EEEEPS6_SJ_NS0_5tupleIJPiSJ_EEENSK_IJSJ_SJ_EEES6_PlJ7is_evenIiEEEE10hipError_tPvRmT3_T4_T5_T6_T7_T9_mT8_P12ihipStream_tbDpT10_ENKUlT_T0_E_clISt17integral_constantIbLb0EES19_IbLb1EEEEDaS15_S16_EUlS15_E_NS1_11comp_targetILNS1_3genE4ELNS1_11target_archE910ELNS1_3gpuE8ELNS1_3repE0EEENS1_30default_config_static_selectorELNS0_4arch9wavefront6targetE1EEEvT1_
                                        ; -- End function
	.section	.AMDGPU.csdata,"",@progbits
; Kernel info:
; codeLenInByte = 6172
; NumSgprs: 48
; NumVgprs: 57
; NumAgprs: 0
; TotalNumVgprs: 57
; ScratchSize: 0
; MemoryBound: 0
; FloatMode: 240
; IeeeMode: 1
; LDSByteSize: 10248 bytes/workgroup (compile time only)
; SGPRBlocks: 5
; VGPRBlocks: 7
; NumSGPRsForWavesPerEU: 48
; NumVGPRsForWavesPerEU: 57
; AccumOffset: 60
; Occupancy: 6
; WaveLimiterHint : 1
; COMPUTE_PGM_RSRC2:SCRATCH_EN: 0
; COMPUTE_PGM_RSRC2:USER_SGPR: 6
; COMPUTE_PGM_RSRC2:TRAP_HANDLER: 0
; COMPUTE_PGM_RSRC2:TGID_X_EN: 1
; COMPUTE_PGM_RSRC2:TGID_Y_EN: 0
; COMPUTE_PGM_RSRC2:TGID_Z_EN: 0
; COMPUTE_PGM_RSRC2:TIDIG_COMP_CNT: 0
; COMPUTE_PGM_RSRC3_GFX90A:ACCUM_OFFSET: 14
; COMPUTE_PGM_RSRC3_GFX90A:TG_SPLIT: 0
	.section	.text._ZN7rocprim17ROCPRIM_400000_NS6detail17trampoline_kernelINS0_14default_configENS1_25partition_config_selectorILNS1_17partition_subalgoE3EiNS0_10empty_typeEbEEZZNS1_14partition_implILS5_3ELb0ES3_jN6thrust23THRUST_200600_302600_NS6detail15normal_iteratorINSA_7pointerIiNSA_11hip_rocprim5par_tENSA_11use_defaultESG_EEEEPS6_SJ_NS0_5tupleIJPiSJ_EEENSK_IJSJ_SJ_EEES6_PlJ7is_evenIiEEEE10hipError_tPvRmT3_T4_T5_T6_T7_T9_mT8_P12ihipStream_tbDpT10_ENKUlT_T0_E_clISt17integral_constantIbLb0EES19_IbLb1EEEEDaS15_S16_EUlS15_E_NS1_11comp_targetILNS1_3genE3ELNS1_11target_archE908ELNS1_3gpuE7ELNS1_3repE0EEENS1_30default_config_static_selectorELNS0_4arch9wavefront6targetE1EEEvT1_,"axG",@progbits,_ZN7rocprim17ROCPRIM_400000_NS6detail17trampoline_kernelINS0_14default_configENS1_25partition_config_selectorILNS1_17partition_subalgoE3EiNS0_10empty_typeEbEEZZNS1_14partition_implILS5_3ELb0ES3_jN6thrust23THRUST_200600_302600_NS6detail15normal_iteratorINSA_7pointerIiNSA_11hip_rocprim5par_tENSA_11use_defaultESG_EEEEPS6_SJ_NS0_5tupleIJPiSJ_EEENSK_IJSJ_SJ_EEES6_PlJ7is_evenIiEEEE10hipError_tPvRmT3_T4_T5_T6_T7_T9_mT8_P12ihipStream_tbDpT10_ENKUlT_T0_E_clISt17integral_constantIbLb0EES19_IbLb1EEEEDaS15_S16_EUlS15_E_NS1_11comp_targetILNS1_3genE3ELNS1_11target_archE908ELNS1_3gpuE7ELNS1_3repE0EEENS1_30default_config_static_selectorELNS0_4arch9wavefront6targetE1EEEvT1_,comdat
	.protected	_ZN7rocprim17ROCPRIM_400000_NS6detail17trampoline_kernelINS0_14default_configENS1_25partition_config_selectorILNS1_17partition_subalgoE3EiNS0_10empty_typeEbEEZZNS1_14partition_implILS5_3ELb0ES3_jN6thrust23THRUST_200600_302600_NS6detail15normal_iteratorINSA_7pointerIiNSA_11hip_rocprim5par_tENSA_11use_defaultESG_EEEEPS6_SJ_NS0_5tupleIJPiSJ_EEENSK_IJSJ_SJ_EEES6_PlJ7is_evenIiEEEE10hipError_tPvRmT3_T4_T5_T6_T7_T9_mT8_P12ihipStream_tbDpT10_ENKUlT_T0_E_clISt17integral_constantIbLb0EES19_IbLb1EEEEDaS15_S16_EUlS15_E_NS1_11comp_targetILNS1_3genE3ELNS1_11target_archE908ELNS1_3gpuE7ELNS1_3repE0EEENS1_30default_config_static_selectorELNS0_4arch9wavefront6targetE1EEEvT1_ ; -- Begin function _ZN7rocprim17ROCPRIM_400000_NS6detail17trampoline_kernelINS0_14default_configENS1_25partition_config_selectorILNS1_17partition_subalgoE3EiNS0_10empty_typeEbEEZZNS1_14partition_implILS5_3ELb0ES3_jN6thrust23THRUST_200600_302600_NS6detail15normal_iteratorINSA_7pointerIiNSA_11hip_rocprim5par_tENSA_11use_defaultESG_EEEEPS6_SJ_NS0_5tupleIJPiSJ_EEENSK_IJSJ_SJ_EEES6_PlJ7is_evenIiEEEE10hipError_tPvRmT3_T4_T5_T6_T7_T9_mT8_P12ihipStream_tbDpT10_ENKUlT_T0_E_clISt17integral_constantIbLb0EES19_IbLb1EEEEDaS15_S16_EUlS15_E_NS1_11comp_targetILNS1_3genE3ELNS1_11target_archE908ELNS1_3gpuE7ELNS1_3repE0EEENS1_30default_config_static_selectorELNS0_4arch9wavefront6targetE1EEEvT1_
	.globl	_ZN7rocprim17ROCPRIM_400000_NS6detail17trampoline_kernelINS0_14default_configENS1_25partition_config_selectorILNS1_17partition_subalgoE3EiNS0_10empty_typeEbEEZZNS1_14partition_implILS5_3ELb0ES3_jN6thrust23THRUST_200600_302600_NS6detail15normal_iteratorINSA_7pointerIiNSA_11hip_rocprim5par_tENSA_11use_defaultESG_EEEEPS6_SJ_NS0_5tupleIJPiSJ_EEENSK_IJSJ_SJ_EEES6_PlJ7is_evenIiEEEE10hipError_tPvRmT3_T4_T5_T6_T7_T9_mT8_P12ihipStream_tbDpT10_ENKUlT_T0_E_clISt17integral_constantIbLb0EES19_IbLb1EEEEDaS15_S16_EUlS15_E_NS1_11comp_targetILNS1_3genE3ELNS1_11target_archE908ELNS1_3gpuE7ELNS1_3repE0EEENS1_30default_config_static_selectorELNS0_4arch9wavefront6targetE1EEEvT1_
	.p2align	8
	.type	_ZN7rocprim17ROCPRIM_400000_NS6detail17trampoline_kernelINS0_14default_configENS1_25partition_config_selectorILNS1_17partition_subalgoE3EiNS0_10empty_typeEbEEZZNS1_14partition_implILS5_3ELb0ES3_jN6thrust23THRUST_200600_302600_NS6detail15normal_iteratorINSA_7pointerIiNSA_11hip_rocprim5par_tENSA_11use_defaultESG_EEEEPS6_SJ_NS0_5tupleIJPiSJ_EEENSK_IJSJ_SJ_EEES6_PlJ7is_evenIiEEEE10hipError_tPvRmT3_T4_T5_T6_T7_T9_mT8_P12ihipStream_tbDpT10_ENKUlT_T0_E_clISt17integral_constantIbLb0EES19_IbLb1EEEEDaS15_S16_EUlS15_E_NS1_11comp_targetILNS1_3genE3ELNS1_11target_archE908ELNS1_3gpuE7ELNS1_3repE0EEENS1_30default_config_static_selectorELNS0_4arch9wavefront6targetE1EEEvT1_,@function
_ZN7rocprim17ROCPRIM_400000_NS6detail17trampoline_kernelINS0_14default_configENS1_25partition_config_selectorILNS1_17partition_subalgoE3EiNS0_10empty_typeEbEEZZNS1_14partition_implILS5_3ELb0ES3_jN6thrust23THRUST_200600_302600_NS6detail15normal_iteratorINSA_7pointerIiNSA_11hip_rocprim5par_tENSA_11use_defaultESG_EEEEPS6_SJ_NS0_5tupleIJPiSJ_EEENSK_IJSJ_SJ_EEES6_PlJ7is_evenIiEEEE10hipError_tPvRmT3_T4_T5_T6_T7_T9_mT8_P12ihipStream_tbDpT10_ENKUlT_T0_E_clISt17integral_constantIbLb0EES19_IbLb1EEEEDaS15_S16_EUlS15_E_NS1_11comp_targetILNS1_3genE3ELNS1_11target_archE908ELNS1_3gpuE7ELNS1_3repE0EEENS1_30default_config_static_selectorELNS0_4arch9wavefront6targetE1EEEvT1_: ; @_ZN7rocprim17ROCPRIM_400000_NS6detail17trampoline_kernelINS0_14default_configENS1_25partition_config_selectorILNS1_17partition_subalgoE3EiNS0_10empty_typeEbEEZZNS1_14partition_implILS5_3ELb0ES3_jN6thrust23THRUST_200600_302600_NS6detail15normal_iteratorINSA_7pointerIiNSA_11hip_rocprim5par_tENSA_11use_defaultESG_EEEEPS6_SJ_NS0_5tupleIJPiSJ_EEENSK_IJSJ_SJ_EEES6_PlJ7is_evenIiEEEE10hipError_tPvRmT3_T4_T5_T6_T7_T9_mT8_P12ihipStream_tbDpT10_ENKUlT_T0_E_clISt17integral_constantIbLb0EES19_IbLb1EEEEDaS15_S16_EUlS15_E_NS1_11comp_targetILNS1_3genE3ELNS1_11target_archE908ELNS1_3gpuE7ELNS1_3repE0EEENS1_30default_config_static_selectorELNS0_4arch9wavefront6targetE1EEEvT1_
; %bb.0:
	.section	.rodata,"a",@progbits
	.p2align	6, 0x0
	.amdhsa_kernel _ZN7rocprim17ROCPRIM_400000_NS6detail17trampoline_kernelINS0_14default_configENS1_25partition_config_selectorILNS1_17partition_subalgoE3EiNS0_10empty_typeEbEEZZNS1_14partition_implILS5_3ELb0ES3_jN6thrust23THRUST_200600_302600_NS6detail15normal_iteratorINSA_7pointerIiNSA_11hip_rocprim5par_tENSA_11use_defaultESG_EEEEPS6_SJ_NS0_5tupleIJPiSJ_EEENSK_IJSJ_SJ_EEES6_PlJ7is_evenIiEEEE10hipError_tPvRmT3_T4_T5_T6_T7_T9_mT8_P12ihipStream_tbDpT10_ENKUlT_T0_E_clISt17integral_constantIbLb0EES19_IbLb1EEEEDaS15_S16_EUlS15_E_NS1_11comp_targetILNS1_3genE3ELNS1_11target_archE908ELNS1_3gpuE7ELNS1_3repE0EEENS1_30default_config_static_selectorELNS0_4arch9wavefront6targetE1EEEvT1_
		.amdhsa_group_segment_fixed_size 0
		.amdhsa_private_segment_fixed_size 0
		.amdhsa_kernarg_size 136
		.amdhsa_user_sgpr_count 6
		.amdhsa_user_sgpr_private_segment_buffer 1
		.amdhsa_user_sgpr_dispatch_ptr 0
		.amdhsa_user_sgpr_queue_ptr 0
		.amdhsa_user_sgpr_kernarg_segment_ptr 1
		.amdhsa_user_sgpr_dispatch_id 0
		.amdhsa_user_sgpr_flat_scratch_init 0
		.amdhsa_user_sgpr_kernarg_preload_length 0
		.amdhsa_user_sgpr_kernarg_preload_offset 0
		.amdhsa_user_sgpr_private_segment_size 0
		.amdhsa_uses_dynamic_stack 0
		.amdhsa_system_sgpr_private_segment_wavefront_offset 0
		.amdhsa_system_sgpr_workgroup_id_x 1
		.amdhsa_system_sgpr_workgroup_id_y 0
		.amdhsa_system_sgpr_workgroup_id_z 0
		.amdhsa_system_sgpr_workgroup_info 0
		.amdhsa_system_vgpr_workitem_id 0
		.amdhsa_next_free_vgpr 1
		.amdhsa_next_free_sgpr 0
		.amdhsa_accum_offset 4
		.amdhsa_reserve_vcc 0
		.amdhsa_reserve_flat_scratch 0
		.amdhsa_float_round_mode_32 0
		.amdhsa_float_round_mode_16_64 0
		.amdhsa_float_denorm_mode_32 3
		.amdhsa_float_denorm_mode_16_64 3
		.amdhsa_dx10_clamp 1
		.amdhsa_ieee_mode 1
		.amdhsa_fp16_overflow 0
		.amdhsa_tg_split 0
		.amdhsa_exception_fp_ieee_invalid_op 0
		.amdhsa_exception_fp_denorm_src 0
		.amdhsa_exception_fp_ieee_div_zero 0
		.amdhsa_exception_fp_ieee_overflow 0
		.amdhsa_exception_fp_ieee_underflow 0
		.amdhsa_exception_fp_ieee_inexact 0
		.amdhsa_exception_int_div_zero 0
	.end_amdhsa_kernel
	.section	.text._ZN7rocprim17ROCPRIM_400000_NS6detail17trampoline_kernelINS0_14default_configENS1_25partition_config_selectorILNS1_17partition_subalgoE3EiNS0_10empty_typeEbEEZZNS1_14partition_implILS5_3ELb0ES3_jN6thrust23THRUST_200600_302600_NS6detail15normal_iteratorINSA_7pointerIiNSA_11hip_rocprim5par_tENSA_11use_defaultESG_EEEEPS6_SJ_NS0_5tupleIJPiSJ_EEENSK_IJSJ_SJ_EEES6_PlJ7is_evenIiEEEE10hipError_tPvRmT3_T4_T5_T6_T7_T9_mT8_P12ihipStream_tbDpT10_ENKUlT_T0_E_clISt17integral_constantIbLb0EES19_IbLb1EEEEDaS15_S16_EUlS15_E_NS1_11comp_targetILNS1_3genE3ELNS1_11target_archE908ELNS1_3gpuE7ELNS1_3repE0EEENS1_30default_config_static_selectorELNS0_4arch9wavefront6targetE1EEEvT1_,"axG",@progbits,_ZN7rocprim17ROCPRIM_400000_NS6detail17trampoline_kernelINS0_14default_configENS1_25partition_config_selectorILNS1_17partition_subalgoE3EiNS0_10empty_typeEbEEZZNS1_14partition_implILS5_3ELb0ES3_jN6thrust23THRUST_200600_302600_NS6detail15normal_iteratorINSA_7pointerIiNSA_11hip_rocprim5par_tENSA_11use_defaultESG_EEEEPS6_SJ_NS0_5tupleIJPiSJ_EEENSK_IJSJ_SJ_EEES6_PlJ7is_evenIiEEEE10hipError_tPvRmT3_T4_T5_T6_T7_T9_mT8_P12ihipStream_tbDpT10_ENKUlT_T0_E_clISt17integral_constantIbLb0EES19_IbLb1EEEEDaS15_S16_EUlS15_E_NS1_11comp_targetILNS1_3genE3ELNS1_11target_archE908ELNS1_3gpuE7ELNS1_3repE0EEENS1_30default_config_static_selectorELNS0_4arch9wavefront6targetE1EEEvT1_,comdat
.Lfunc_end3689:
	.size	_ZN7rocprim17ROCPRIM_400000_NS6detail17trampoline_kernelINS0_14default_configENS1_25partition_config_selectorILNS1_17partition_subalgoE3EiNS0_10empty_typeEbEEZZNS1_14partition_implILS5_3ELb0ES3_jN6thrust23THRUST_200600_302600_NS6detail15normal_iteratorINSA_7pointerIiNSA_11hip_rocprim5par_tENSA_11use_defaultESG_EEEEPS6_SJ_NS0_5tupleIJPiSJ_EEENSK_IJSJ_SJ_EEES6_PlJ7is_evenIiEEEE10hipError_tPvRmT3_T4_T5_T6_T7_T9_mT8_P12ihipStream_tbDpT10_ENKUlT_T0_E_clISt17integral_constantIbLb0EES19_IbLb1EEEEDaS15_S16_EUlS15_E_NS1_11comp_targetILNS1_3genE3ELNS1_11target_archE908ELNS1_3gpuE7ELNS1_3repE0EEENS1_30default_config_static_selectorELNS0_4arch9wavefront6targetE1EEEvT1_, .Lfunc_end3689-_ZN7rocprim17ROCPRIM_400000_NS6detail17trampoline_kernelINS0_14default_configENS1_25partition_config_selectorILNS1_17partition_subalgoE3EiNS0_10empty_typeEbEEZZNS1_14partition_implILS5_3ELb0ES3_jN6thrust23THRUST_200600_302600_NS6detail15normal_iteratorINSA_7pointerIiNSA_11hip_rocprim5par_tENSA_11use_defaultESG_EEEEPS6_SJ_NS0_5tupleIJPiSJ_EEENSK_IJSJ_SJ_EEES6_PlJ7is_evenIiEEEE10hipError_tPvRmT3_T4_T5_T6_T7_T9_mT8_P12ihipStream_tbDpT10_ENKUlT_T0_E_clISt17integral_constantIbLb0EES19_IbLb1EEEEDaS15_S16_EUlS15_E_NS1_11comp_targetILNS1_3genE3ELNS1_11target_archE908ELNS1_3gpuE7ELNS1_3repE0EEENS1_30default_config_static_selectorELNS0_4arch9wavefront6targetE1EEEvT1_
                                        ; -- End function
	.section	.AMDGPU.csdata,"",@progbits
; Kernel info:
; codeLenInByte = 0
; NumSgprs: 4
; NumVgprs: 0
; NumAgprs: 0
; TotalNumVgprs: 0
; ScratchSize: 0
; MemoryBound: 0
; FloatMode: 240
; IeeeMode: 1
; LDSByteSize: 0 bytes/workgroup (compile time only)
; SGPRBlocks: 0
; VGPRBlocks: 0
; NumSGPRsForWavesPerEU: 4
; NumVGPRsForWavesPerEU: 1
; AccumOffset: 4
; Occupancy: 8
; WaveLimiterHint : 0
; COMPUTE_PGM_RSRC2:SCRATCH_EN: 0
; COMPUTE_PGM_RSRC2:USER_SGPR: 6
; COMPUTE_PGM_RSRC2:TRAP_HANDLER: 0
; COMPUTE_PGM_RSRC2:TGID_X_EN: 1
; COMPUTE_PGM_RSRC2:TGID_Y_EN: 0
; COMPUTE_PGM_RSRC2:TGID_Z_EN: 0
; COMPUTE_PGM_RSRC2:TIDIG_COMP_CNT: 0
; COMPUTE_PGM_RSRC3_GFX90A:ACCUM_OFFSET: 0
; COMPUTE_PGM_RSRC3_GFX90A:TG_SPLIT: 0
	.section	.text._ZN7rocprim17ROCPRIM_400000_NS6detail17trampoline_kernelINS0_14default_configENS1_25partition_config_selectorILNS1_17partition_subalgoE3EiNS0_10empty_typeEbEEZZNS1_14partition_implILS5_3ELb0ES3_jN6thrust23THRUST_200600_302600_NS6detail15normal_iteratorINSA_7pointerIiNSA_11hip_rocprim5par_tENSA_11use_defaultESG_EEEEPS6_SJ_NS0_5tupleIJPiSJ_EEENSK_IJSJ_SJ_EEES6_PlJ7is_evenIiEEEE10hipError_tPvRmT3_T4_T5_T6_T7_T9_mT8_P12ihipStream_tbDpT10_ENKUlT_T0_E_clISt17integral_constantIbLb0EES19_IbLb1EEEEDaS15_S16_EUlS15_E_NS1_11comp_targetILNS1_3genE2ELNS1_11target_archE906ELNS1_3gpuE6ELNS1_3repE0EEENS1_30default_config_static_selectorELNS0_4arch9wavefront6targetE1EEEvT1_,"axG",@progbits,_ZN7rocprim17ROCPRIM_400000_NS6detail17trampoline_kernelINS0_14default_configENS1_25partition_config_selectorILNS1_17partition_subalgoE3EiNS0_10empty_typeEbEEZZNS1_14partition_implILS5_3ELb0ES3_jN6thrust23THRUST_200600_302600_NS6detail15normal_iteratorINSA_7pointerIiNSA_11hip_rocprim5par_tENSA_11use_defaultESG_EEEEPS6_SJ_NS0_5tupleIJPiSJ_EEENSK_IJSJ_SJ_EEES6_PlJ7is_evenIiEEEE10hipError_tPvRmT3_T4_T5_T6_T7_T9_mT8_P12ihipStream_tbDpT10_ENKUlT_T0_E_clISt17integral_constantIbLb0EES19_IbLb1EEEEDaS15_S16_EUlS15_E_NS1_11comp_targetILNS1_3genE2ELNS1_11target_archE906ELNS1_3gpuE6ELNS1_3repE0EEENS1_30default_config_static_selectorELNS0_4arch9wavefront6targetE1EEEvT1_,comdat
	.protected	_ZN7rocprim17ROCPRIM_400000_NS6detail17trampoline_kernelINS0_14default_configENS1_25partition_config_selectorILNS1_17partition_subalgoE3EiNS0_10empty_typeEbEEZZNS1_14partition_implILS5_3ELb0ES3_jN6thrust23THRUST_200600_302600_NS6detail15normal_iteratorINSA_7pointerIiNSA_11hip_rocprim5par_tENSA_11use_defaultESG_EEEEPS6_SJ_NS0_5tupleIJPiSJ_EEENSK_IJSJ_SJ_EEES6_PlJ7is_evenIiEEEE10hipError_tPvRmT3_T4_T5_T6_T7_T9_mT8_P12ihipStream_tbDpT10_ENKUlT_T0_E_clISt17integral_constantIbLb0EES19_IbLb1EEEEDaS15_S16_EUlS15_E_NS1_11comp_targetILNS1_3genE2ELNS1_11target_archE906ELNS1_3gpuE6ELNS1_3repE0EEENS1_30default_config_static_selectorELNS0_4arch9wavefront6targetE1EEEvT1_ ; -- Begin function _ZN7rocprim17ROCPRIM_400000_NS6detail17trampoline_kernelINS0_14default_configENS1_25partition_config_selectorILNS1_17partition_subalgoE3EiNS0_10empty_typeEbEEZZNS1_14partition_implILS5_3ELb0ES3_jN6thrust23THRUST_200600_302600_NS6detail15normal_iteratorINSA_7pointerIiNSA_11hip_rocprim5par_tENSA_11use_defaultESG_EEEEPS6_SJ_NS0_5tupleIJPiSJ_EEENSK_IJSJ_SJ_EEES6_PlJ7is_evenIiEEEE10hipError_tPvRmT3_T4_T5_T6_T7_T9_mT8_P12ihipStream_tbDpT10_ENKUlT_T0_E_clISt17integral_constantIbLb0EES19_IbLb1EEEEDaS15_S16_EUlS15_E_NS1_11comp_targetILNS1_3genE2ELNS1_11target_archE906ELNS1_3gpuE6ELNS1_3repE0EEENS1_30default_config_static_selectorELNS0_4arch9wavefront6targetE1EEEvT1_
	.globl	_ZN7rocprim17ROCPRIM_400000_NS6detail17trampoline_kernelINS0_14default_configENS1_25partition_config_selectorILNS1_17partition_subalgoE3EiNS0_10empty_typeEbEEZZNS1_14partition_implILS5_3ELb0ES3_jN6thrust23THRUST_200600_302600_NS6detail15normal_iteratorINSA_7pointerIiNSA_11hip_rocprim5par_tENSA_11use_defaultESG_EEEEPS6_SJ_NS0_5tupleIJPiSJ_EEENSK_IJSJ_SJ_EEES6_PlJ7is_evenIiEEEE10hipError_tPvRmT3_T4_T5_T6_T7_T9_mT8_P12ihipStream_tbDpT10_ENKUlT_T0_E_clISt17integral_constantIbLb0EES19_IbLb1EEEEDaS15_S16_EUlS15_E_NS1_11comp_targetILNS1_3genE2ELNS1_11target_archE906ELNS1_3gpuE6ELNS1_3repE0EEENS1_30default_config_static_selectorELNS0_4arch9wavefront6targetE1EEEvT1_
	.p2align	8
	.type	_ZN7rocprim17ROCPRIM_400000_NS6detail17trampoline_kernelINS0_14default_configENS1_25partition_config_selectorILNS1_17partition_subalgoE3EiNS0_10empty_typeEbEEZZNS1_14partition_implILS5_3ELb0ES3_jN6thrust23THRUST_200600_302600_NS6detail15normal_iteratorINSA_7pointerIiNSA_11hip_rocprim5par_tENSA_11use_defaultESG_EEEEPS6_SJ_NS0_5tupleIJPiSJ_EEENSK_IJSJ_SJ_EEES6_PlJ7is_evenIiEEEE10hipError_tPvRmT3_T4_T5_T6_T7_T9_mT8_P12ihipStream_tbDpT10_ENKUlT_T0_E_clISt17integral_constantIbLb0EES19_IbLb1EEEEDaS15_S16_EUlS15_E_NS1_11comp_targetILNS1_3genE2ELNS1_11target_archE906ELNS1_3gpuE6ELNS1_3repE0EEENS1_30default_config_static_selectorELNS0_4arch9wavefront6targetE1EEEvT1_,@function
_ZN7rocprim17ROCPRIM_400000_NS6detail17trampoline_kernelINS0_14default_configENS1_25partition_config_selectorILNS1_17partition_subalgoE3EiNS0_10empty_typeEbEEZZNS1_14partition_implILS5_3ELb0ES3_jN6thrust23THRUST_200600_302600_NS6detail15normal_iteratorINSA_7pointerIiNSA_11hip_rocprim5par_tENSA_11use_defaultESG_EEEEPS6_SJ_NS0_5tupleIJPiSJ_EEENSK_IJSJ_SJ_EEES6_PlJ7is_evenIiEEEE10hipError_tPvRmT3_T4_T5_T6_T7_T9_mT8_P12ihipStream_tbDpT10_ENKUlT_T0_E_clISt17integral_constantIbLb0EES19_IbLb1EEEEDaS15_S16_EUlS15_E_NS1_11comp_targetILNS1_3genE2ELNS1_11target_archE906ELNS1_3gpuE6ELNS1_3repE0EEENS1_30default_config_static_selectorELNS0_4arch9wavefront6targetE1EEEvT1_: ; @_ZN7rocprim17ROCPRIM_400000_NS6detail17trampoline_kernelINS0_14default_configENS1_25partition_config_selectorILNS1_17partition_subalgoE3EiNS0_10empty_typeEbEEZZNS1_14partition_implILS5_3ELb0ES3_jN6thrust23THRUST_200600_302600_NS6detail15normal_iteratorINSA_7pointerIiNSA_11hip_rocprim5par_tENSA_11use_defaultESG_EEEEPS6_SJ_NS0_5tupleIJPiSJ_EEENSK_IJSJ_SJ_EEES6_PlJ7is_evenIiEEEE10hipError_tPvRmT3_T4_T5_T6_T7_T9_mT8_P12ihipStream_tbDpT10_ENKUlT_T0_E_clISt17integral_constantIbLb0EES19_IbLb1EEEEDaS15_S16_EUlS15_E_NS1_11comp_targetILNS1_3genE2ELNS1_11target_archE906ELNS1_3gpuE6ELNS1_3repE0EEENS1_30default_config_static_selectorELNS0_4arch9wavefront6targetE1EEEvT1_
; %bb.0:
	.section	.rodata,"a",@progbits
	.p2align	6, 0x0
	.amdhsa_kernel _ZN7rocprim17ROCPRIM_400000_NS6detail17trampoline_kernelINS0_14default_configENS1_25partition_config_selectorILNS1_17partition_subalgoE3EiNS0_10empty_typeEbEEZZNS1_14partition_implILS5_3ELb0ES3_jN6thrust23THRUST_200600_302600_NS6detail15normal_iteratorINSA_7pointerIiNSA_11hip_rocprim5par_tENSA_11use_defaultESG_EEEEPS6_SJ_NS0_5tupleIJPiSJ_EEENSK_IJSJ_SJ_EEES6_PlJ7is_evenIiEEEE10hipError_tPvRmT3_T4_T5_T6_T7_T9_mT8_P12ihipStream_tbDpT10_ENKUlT_T0_E_clISt17integral_constantIbLb0EES19_IbLb1EEEEDaS15_S16_EUlS15_E_NS1_11comp_targetILNS1_3genE2ELNS1_11target_archE906ELNS1_3gpuE6ELNS1_3repE0EEENS1_30default_config_static_selectorELNS0_4arch9wavefront6targetE1EEEvT1_
		.amdhsa_group_segment_fixed_size 0
		.amdhsa_private_segment_fixed_size 0
		.amdhsa_kernarg_size 136
		.amdhsa_user_sgpr_count 6
		.amdhsa_user_sgpr_private_segment_buffer 1
		.amdhsa_user_sgpr_dispatch_ptr 0
		.amdhsa_user_sgpr_queue_ptr 0
		.amdhsa_user_sgpr_kernarg_segment_ptr 1
		.amdhsa_user_sgpr_dispatch_id 0
		.amdhsa_user_sgpr_flat_scratch_init 0
		.amdhsa_user_sgpr_kernarg_preload_length 0
		.amdhsa_user_sgpr_kernarg_preload_offset 0
		.amdhsa_user_sgpr_private_segment_size 0
		.amdhsa_uses_dynamic_stack 0
		.amdhsa_system_sgpr_private_segment_wavefront_offset 0
		.amdhsa_system_sgpr_workgroup_id_x 1
		.amdhsa_system_sgpr_workgroup_id_y 0
		.amdhsa_system_sgpr_workgroup_id_z 0
		.amdhsa_system_sgpr_workgroup_info 0
		.amdhsa_system_vgpr_workitem_id 0
		.amdhsa_next_free_vgpr 1
		.amdhsa_next_free_sgpr 0
		.amdhsa_accum_offset 4
		.amdhsa_reserve_vcc 0
		.amdhsa_reserve_flat_scratch 0
		.amdhsa_float_round_mode_32 0
		.amdhsa_float_round_mode_16_64 0
		.amdhsa_float_denorm_mode_32 3
		.amdhsa_float_denorm_mode_16_64 3
		.amdhsa_dx10_clamp 1
		.amdhsa_ieee_mode 1
		.amdhsa_fp16_overflow 0
		.amdhsa_tg_split 0
		.amdhsa_exception_fp_ieee_invalid_op 0
		.amdhsa_exception_fp_denorm_src 0
		.amdhsa_exception_fp_ieee_div_zero 0
		.amdhsa_exception_fp_ieee_overflow 0
		.amdhsa_exception_fp_ieee_underflow 0
		.amdhsa_exception_fp_ieee_inexact 0
		.amdhsa_exception_int_div_zero 0
	.end_amdhsa_kernel
	.section	.text._ZN7rocprim17ROCPRIM_400000_NS6detail17trampoline_kernelINS0_14default_configENS1_25partition_config_selectorILNS1_17partition_subalgoE3EiNS0_10empty_typeEbEEZZNS1_14partition_implILS5_3ELb0ES3_jN6thrust23THRUST_200600_302600_NS6detail15normal_iteratorINSA_7pointerIiNSA_11hip_rocprim5par_tENSA_11use_defaultESG_EEEEPS6_SJ_NS0_5tupleIJPiSJ_EEENSK_IJSJ_SJ_EEES6_PlJ7is_evenIiEEEE10hipError_tPvRmT3_T4_T5_T6_T7_T9_mT8_P12ihipStream_tbDpT10_ENKUlT_T0_E_clISt17integral_constantIbLb0EES19_IbLb1EEEEDaS15_S16_EUlS15_E_NS1_11comp_targetILNS1_3genE2ELNS1_11target_archE906ELNS1_3gpuE6ELNS1_3repE0EEENS1_30default_config_static_selectorELNS0_4arch9wavefront6targetE1EEEvT1_,"axG",@progbits,_ZN7rocprim17ROCPRIM_400000_NS6detail17trampoline_kernelINS0_14default_configENS1_25partition_config_selectorILNS1_17partition_subalgoE3EiNS0_10empty_typeEbEEZZNS1_14partition_implILS5_3ELb0ES3_jN6thrust23THRUST_200600_302600_NS6detail15normal_iteratorINSA_7pointerIiNSA_11hip_rocprim5par_tENSA_11use_defaultESG_EEEEPS6_SJ_NS0_5tupleIJPiSJ_EEENSK_IJSJ_SJ_EEES6_PlJ7is_evenIiEEEE10hipError_tPvRmT3_T4_T5_T6_T7_T9_mT8_P12ihipStream_tbDpT10_ENKUlT_T0_E_clISt17integral_constantIbLb0EES19_IbLb1EEEEDaS15_S16_EUlS15_E_NS1_11comp_targetILNS1_3genE2ELNS1_11target_archE906ELNS1_3gpuE6ELNS1_3repE0EEENS1_30default_config_static_selectorELNS0_4arch9wavefront6targetE1EEEvT1_,comdat
.Lfunc_end3690:
	.size	_ZN7rocprim17ROCPRIM_400000_NS6detail17trampoline_kernelINS0_14default_configENS1_25partition_config_selectorILNS1_17partition_subalgoE3EiNS0_10empty_typeEbEEZZNS1_14partition_implILS5_3ELb0ES3_jN6thrust23THRUST_200600_302600_NS6detail15normal_iteratorINSA_7pointerIiNSA_11hip_rocprim5par_tENSA_11use_defaultESG_EEEEPS6_SJ_NS0_5tupleIJPiSJ_EEENSK_IJSJ_SJ_EEES6_PlJ7is_evenIiEEEE10hipError_tPvRmT3_T4_T5_T6_T7_T9_mT8_P12ihipStream_tbDpT10_ENKUlT_T0_E_clISt17integral_constantIbLb0EES19_IbLb1EEEEDaS15_S16_EUlS15_E_NS1_11comp_targetILNS1_3genE2ELNS1_11target_archE906ELNS1_3gpuE6ELNS1_3repE0EEENS1_30default_config_static_selectorELNS0_4arch9wavefront6targetE1EEEvT1_, .Lfunc_end3690-_ZN7rocprim17ROCPRIM_400000_NS6detail17trampoline_kernelINS0_14default_configENS1_25partition_config_selectorILNS1_17partition_subalgoE3EiNS0_10empty_typeEbEEZZNS1_14partition_implILS5_3ELb0ES3_jN6thrust23THRUST_200600_302600_NS6detail15normal_iteratorINSA_7pointerIiNSA_11hip_rocprim5par_tENSA_11use_defaultESG_EEEEPS6_SJ_NS0_5tupleIJPiSJ_EEENSK_IJSJ_SJ_EEES6_PlJ7is_evenIiEEEE10hipError_tPvRmT3_T4_T5_T6_T7_T9_mT8_P12ihipStream_tbDpT10_ENKUlT_T0_E_clISt17integral_constantIbLb0EES19_IbLb1EEEEDaS15_S16_EUlS15_E_NS1_11comp_targetILNS1_3genE2ELNS1_11target_archE906ELNS1_3gpuE6ELNS1_3repE0EEENS1_30default_config_static_selectorELNS0_4arch9wavefront6targetE1EEEvT1_
                                        ; -- End function
	.section	.AMDGPU.csdata,"",@progbits
; Kernel info:
; codeLenInByte = 0
; NumSgprs: 4
; NumVgprs: 0
; NumAgprs: 0
; TotalNumVgprs: 0
; ScratchSize: 0
; MemoryBound: 0
; FloatMode: 240
; IeeeMode: 1
; LDSByteSize: 0 bytes/workgroup (compile time only)
; SGPRBlocks: 0
; VGPRBlocks: 0
; NumSGPRsForWavesPerEU: 4
; NumVGPRsForWavesPerEU: 1
; AccumOffset: 4
; Occupancy: 8
; WaveLimiterHint : 0
; COMPUTE_PGM_RSRC2:SCRATCH_EN: 0
; COMPUTE_PGM_RSRC2:USER_SGPR: 6
; COMPUTE_PGM_RSRC2:TRAP_HANDLER: 0
; COMPUTE_PGM_RSRC2:TGID_X_EN: 1
; COMPUTE_PGM_RSRC2:TGID_Y_EN: 0
; COMPUTE_PGM_RSRC2:TGID_Z_EN: 0
; COMPUTE_PGM_RSRC2:TIDIG_COMP_CNT: 0
; COMPUTE_PGM_RSRC3_GFX90A:ACCUM_OFFSET: 0
; COMPUTE_PGM_RSRC3_GFX90A:TG_SPLIT: 0
	.section	.text._ZN7rocprim17ROCPRIM_400000_NS6detail17trampoline_kernelINS0_14default_configENS1_25partition_config_selectorILNS1_17partition_subalgoE3EiNS0_10empty_typeEbEEZZNS1_14partition_implILS5_3ELb0ES3_jN6thrust23THRUST_200600_302600_NS6detail15normal_iteratorINSA_7pointerIiNSA_11hip_rocprim5par_tENSA_11use_defaultESG_EEEEPS6_SJ_NS0_5tupleIJPiSJ_EEENSK_IJSJ_SJ_EEES6_PlJ7is_evenIiEEEE10hipError_tPvRmT3_T4_T5_T6_T7_T9_mT8_P12ihipStream_tbDpT10_ENKUlT_T0_E_clISt17integral_constantIbLb0EES19_IbLb1EEEEDaS15_S16_EUlS15_E_NS1_11comp_targetILNS1_3genE10ELNS1_11target_archE1200ELNS1_3gpuE4ELNS1_3repE0EEENS1_30default_config_static_selectorELNS0_4arch9wavefront6targetE1EEEvT1_,"axG",@progbits,_ZN7rocprim17ROCPRIM_400000_NS6detail17trampoline_kernelINS0_14default_configENS1_25partition_config_selectorILNS1_17partition_subalgoE3EiNS0_10empty_typeEbEEZZNS1_14partition_implILS5_3ELb0ES3_jN6thrust23THRUST_200600_302600_NS6detail15normal_iteratorINSA_7pointerIiNSA_11hip_rocprim5par_tENSA_11use_defaultESG_EEEEPS6_SJ_NS0_5tupleIJPiSJ_EEENSK_IJSJ_SJ_EEES6_PlJ7is_evenIiEEEE10hipError_tPvRmT3_T4_T5_T6_T7_T9_mT8_P12ihipStream_tbDpT10_ENKUlT_T0_E_clISt17integral_constantIbLb0EES19_IbLb1EEEEDaS15_S16_EUlS15_E_NS1_11comp_targetILNS1_3genE10ELNS1_11target_archE1200ELNS1_3gpuE4ELNS1_3repE0EEENS1_30default_config_static_selectorELNS0_4arch9wavefront6targetE1EEEvT1_,comdat
	.protected	_ZN7rocprim17ROCPRIM_400000_NS6detail17trampoline_kernelINS0_14default_configENS1_25partition_config_selectorILNS1_17partition_subalgoE3EiNS0_10empty_typeEbEEZZNS1_14partition_implILS5_3ELb0ES3_jN6thrust23THRUST_200600_302600_NS6detail15normal_iteratorINSA_7pointerIiNSA_11hip_rocprim5par_tENSA_11use_defaultESG_EEEEPS6_SJ_NS0_5tupleIJPiSJ_EEENSK_IJSJ_SJ_EEES6_PlJ7is_evenIiEEEE10hipError_tPvRmT3_T4_T5_T6_T7_T9_mT8_P12ihipStream_tbDpT10_ENKUlT_T0_E_clISt17integral_constantIbLb0EES19_IbLb1EEEEDaS15_S16_EUlS15_E_NS1_11comp_targetILNS1_3genE10ELNS1_11target_archE1200ELNS1_3gpuE4ELNS1_3repE0EEENS1_30default_config_static_selectorELNS0_4arch9wavefront6targetE1EEEvT1_ ; -- Begin function _ZN7rocprim17ROCPRIM_400000_NS6detail17trampoline_kernelINS0_14default_configENS1_25partition_config_selectorILNS1_17partition_subalgoE3EiNS0_10empty_typeEbEEZZNS1_14partition_implILS5_3ELb0ES3_jN6thrust23THRUST_200600_302600_NS6detail15normal_iteratorINSA_7pointerIiNSA_11hip_rocprim5par_tENSA_11use_defaultESG_EEEEPS6_SJ_NS0_5tupleIJPiSJ_EEENSK_IJSJ_SJ_EEES6_PlJ7is_evenIiEEEE10hipError_tPvRmT3_T4_T5_T6_T7_T9_mT8_P12ihipStream_tbDpT10_ENKUlT_T0_E_clISt17integral_constantIbLb0EES19_IbLb1EEEEDaS15_S16_EUlS15_E_NS1_11comp_targetILNS1_3genE10ELNS1_11target_archE1200ELNS1_3gpuE4ELNS1_3repE0EEENS1_30default_config_static_selectorELNS0_4arch9wavefront6targetE1EEEvT1_
	.globl	_ZN7rocprim17ROCPRIM_400000_NS6detail17trampoline_kernelINS0_14default_configENS1_25partition_config_selectorILNS1_17partition_subalgoE3EiNS0_10empty_typeEbEEZZNS1_14partition_implILS5_3ELb0ES3_jN6thrust23THRUST_200600_302600_NS6detail15normal_iteratorINSA_7pointerIiNSA_11hip_rocprim5par_tENSA_11use_defaultESG_EEEEPS6_SJ_NS0_5tupleIJPiSJ_EEENSK_IJSJ_SJ_EEES6_PlJ7is_evenIiEEEE10hipError_tPvRmT3_T4_T5_T6_T7_T9_mT8_P12ihipStream_tbDpT10_ENKUlT_T0_E_clISt17integral_constantIbLb0EES19_IbLb1EEEEDaS15_S16_EUlS15_E_NS1_11comp_targetILNS1_3genE10ELNS1_11target_archE1200ELNS1_3gpuE4ELNS1_3repE0EEENS1_30default_config_static_selectorELNS0_4arch9wavefront6targetE1EEEvT1_
	.p2align	8
	.type	_ZN7rocprim17ROCPRIM_400000_NS6detail17trampoline_kernelINS0_14default_configENS1_25partition_config_selectorILNS1_17partition_subalgoE3EiNS0_10empty_typeEbEEZZNS1_14partition_implILS5_3ELb0ES3_jN6thrust23THRUST_200600_302600_NS6detail15normal_iteratorINSA_7pointerIiNSA_11hip_rocprim5par_tENSA_11use_defaultESG_EEEEPS6_SJ_NS0_5tupleIJPiSJ_EEENSK_IJSJ_SJ_EEES6_PlJ7is_evenIiEEEE10hipError_tPvRmT3_T4_T5_T6_T7_T9_mT8_P12ihipStream_tbDpT10_ENKUlT_T0_E_clISt17integral_constantIbLb0EES19_IbLb1EEEEDaS15_S16_EUlS15_E_NS1_11comp_targetILNS1_3genE10ELNS1_11target_archE1200ELNS1_3gpuE4ELNS1_3repE0EEENS1_30default_config_static_selectorELNS0_4arch9wavefront6targetE1EEEvT1_,@function
_ZN7rocprim17ROCPRIM_400000_NS6detail17trampoline_kernelINS0_14default_configENS1_25partition_config_selectorILNS1_17partition_subalgoE3EiNS0_10empty_typeEbEEZZNS1_14partition_implILS5_3ELb0ES3_jN6thrust23THRUST_200600_302600_NS6detail15normal_iteratorINSA_7pointerIiNSA_11hip_rocprim5par_tENSA_11use_defaultESG_EEEEPS6_SJ_NS0_5tupleIJPiSJ_EEENSK_IJSJ_SJ_EEES6_PlJ7is_evenIiEEEE10hipError_tPvRmT3_T4_T5_T6_T7_T9_mT8_P12ihipStream_tbDpT10_ENKUlT_T0_E_clISt17integral_constantIbLb0EES19_IbLb1EEEEDaS15_S16_EUlS15_E_NS1_11comp_targetILNS1_3genE10ELNS1_11target_archE1200ELNS1_3gpuE4ELNS1_3repE0EEENS1_30default_config_static_selectorELNS0_4arch9wavefront6targetE1EEEvT1_: ; @_ZN7rocprim17ROCPRIM_400000_NS6detail17trampoline_kernelINS0_14default_configENS1_25partition_config_selectorILNS1_17partition_subalgoE3EiNS0_10empty_typeEbEEZZNS1_14partition_implILS5_3ELb0ES3_jN6thrust23THRUST_200600_302600_NS6detail15normal_iteratorINSA_7pointerIiNSA_11hip_rocprim5par_tENSA_11use_defaultESG_EEEEPS6_SJ_NS0_5tupleIJPiSJ_EEENSK_IJSJ_SJ_EEES6_PlJ7is_evenIiEEEE10hipError_tPvRmT3_T4_T5_T6_T7_T9_mT8_P12ihipStream_tbDpT10_ENKUlT_T0_E_clISt17integral_constantIbLb0EES19_IbLb1EEEEDaS15_S16_EUlS15_E_NS1_11comp_targetILNS1_3genE10ELNS1_11target_archE1200ELNS1_3gpuE4ELNS1_3repE0EEENS1_30default_config_static_selectorELNS0_4arch9wavefront6targetE1EEEvT1_
; %bb.0:
	.section	.rodata,"a",@progbits
	.p2align	6, 0x0
	.amdhsa_kernel _ZN7rocprim17ROCPRIM_400000_NS6detail17trampoline_kernelINS0_14default_configENS1_25partition_config_selectorILNS1_17partition_subalgoE3EiNS0_10empty_typeEbEEZZNS1_14partition_implILS5_3ELb0ES3_jN6thrust23THRUST_200600_302600_NS6detail15normal_iteratorINSA_7pointerIiNSA_11hip_rocprim5par_tENSA_11use_defaultESG_EEEEPS6_SJ_NS0_5tupleIJPiSJ_EEENSK_IJSJ_SJ_EEES6_PlJ7is_evenIiEEEE10hipError_tPvRmT3_T4_T5_T6_T7_T9_mT8_P12ihipStream_tbDpT10_ENKUlT_T0_E_clISt17integral_constantIbLb0EES19_IbLb1EEEEDaS15_S16_EUlS15_E_NS1_11comp_targetILNS1_3genE10ELNS1_11target_archE1200ELNS1_3gpuE4ELNS1_3repE0EEENS1_30default_config_static_selectorELNS0_4arch9wavefront6targetE1EEEvT1_
		.amdhsa_group_segment_fixed_size 0
		.amdhsa_private_segment_fixed_size 0
		.amdhsa_kernarg_size 136
		.amdhsa_user_sgpr_count 6
		.amdhsa_user_sgpr_private_segment_buffer 1
		.amdhsa_user_sgpr_dispatch_ptr 0
		.amdhsa_user_sgpr_queue_ptr 0
		.amdhsa_user_sgpr_kernarg_segment_ptr 1
		.amdhsa_user_sgpr_dispatch_id 0
		.amdhsa_user_sgpr_flat_scratch_init 0
		.amdhsa_user_sgpr_kernarg_preload_length 0
		.amdhsa_user_sgpr_kernarg_preload_offset 0
		.amdhsa_user_sgpr_private_segment_size 0
		.amdhsa_uses_dynamic_stack 0
		.amdhsa_system_sgpr_private_segment_wavefront_offset 0
		.amdhsa_system_sgpr_workgroup_id_x 1
		.amdhsa_system_sgpr_workgroup_id_y 0
		.amdhsa_system_sgpr_workgroup_id_z 0
		.amdhsa_system_sgpr_workgroup_info 0
		.amdhsa_system_vgpr_workitem_id 0
		.amdhsa_next_free_vgpr 1
		.amdhsa_next_free_sgpr 0
		.amdhsa_accum_offset 4
		.amdhsa_reserve_vcc 0
		.amdhsa_reserve_flat_scratch 0
		.amdhsa_float_round_mode_32 0
		.amdhsa_float_round_mode_16_64 0
		.amdhsa_float_denorm_mode_32 3
		.amdhsa_float_denorm_mode_16_64 3
		.amdhsa_dx10_clamp 1
		.amdhsa_ieee_mode 1
		.amdhsa_fp16_overflow 0
		.amdhsa_tg_split 0
		.amdhsa_exception_fp_ieee_invalid_op 0
		.amdhsa_exception_fp_denorm_src 0
		.amdhsa_exception_fp_ieee_div_zero 0
		.amdhsa_exception_fp_ieee_overflow 0
		.amdhsa_exception_fp_ieee_underflow 0
		.amdhsa_exception_fp_ieee_inexact 0
		.amdhsa_exception_int_div_zero 0
	.end_amdhsa_kernel
	.section	.text._ZN7rocprim17ROCPRIM_400000_NS6detail17trampoline_kernelINS0_14default_configENS1_25partition_config_selectorILNS1_17partition_subalgoE3EiNS0_10empty_typeEbEEZZNS1_14partition_implILS5_3ELb0ES3_jN6thrust23THRUST_200600_302600_NS6detail15normal_iteratorINSA_7pointerIiNSA_11hip_rocprim5par_tENSA_11use_defaultESG_EEEEPS6_SJ_NS0_5tupleIJPiSJ_EEENSK_IJSJ_SJ_EEES6_PlJ7is_evenIiEEEE10hipError_tPvRmT3_T4_T5_T6_T7_T9_mT8_P12ihipStream_tbDpT10_ENKUlT_T0_E_clISt17integral_constantIbLb0EES19_IbLb1EEEEDaS15_S16_EUlS15_E_NS1_11comp_targetILNS1_3genE10ELNS1_11target_archE1200ELNS1_3gpuE4ELNS1_3repE0EEENS1_30default_config_static_selectorELNS0_4arch9wavefront6targetE1EEEvT1_,"axG",@progbits,_ZN7rocprim17ROCPRIM_400000_NS6detail17trampoline_kernelINS0_14default_configENS1_25partition_config_selectorILNS1_17partition_subalgoE3EiNS0_10empty_typeEbEEZZNS1_14partition_implILS5_3ELb0ES3_jN6thrust23THRUST_200600_302600_NS6detail15normal_iteratorINSA_7pointerIiNSA_11hip_rocprim5par_tENSA_11use_defaultESG_EEEEPS6_SJ_NS0_5tupleIJPiSJ_EEENSK_IJSJ_SJ_EEES6_PlJ7is_evenIiEEEE10hipError_tPvRmT3_T4_T5_T6_T7_T9_mT8_P12ihipStream_tbDpT10_ENKUlT_T0_E_clISt17integral_constantIbLb0EES19_IbLb1EEEEDaS15_S16_EUlS15_E_NS1_11comp_targetILNS1_3genE10ELNS1_11target_archE1200ELNS1_3gpuE4ELNS1_3repE0EEENS1_30default_config_static_selectorELNS0_4arch9wavefront6targetE1EEEvT1_,comdat
.Lfunc_end3691:
	.size	_ZN7rocprim17ROCPRIM_400000_NS6detail17trampoline_kernelINS0_14default_configENS1_25partition_config_selectorILNS1_17partition_subalgoE3EiNS0_10empty_typeEbEEZZNS1_14partition_implILS5_3ELb0ES3_jN6thrust23THRUST_200600_302600_NS6detail15normal_iteratorINSA_7pointerIiNSA_11hip_rocprim5par_tENSA_11use_defaultESG_EEEEPS6_SJ_NS0_5tupleIJPiSJ_EEENSK_IJSJ_SJ_EEES6_PlJ7is_evenIiEEEE10hipError_tPvRmT3_T4_T5_T6_T7_T9_mT8_P12ihipStream_tbDpT10_ENKUlT_T0_E_clISt17integral_constantIbLb0EES19_IbLb1EEEEDaS15_S16_EUlS15_E_NS1_11comp_targetILNS1_3genE10ELNS1_11target_archE1200ELNS1_3gpuE4ELNS1_3repE0EEENS1_30default_config_static_selectorELNS0_4arch9wavefront6targetE1EEEvT1_, .Lfunc_end3691-_ZN7rocprim17ROCPRIM_400000_NS6detail17trampoline_kernelINS0_14default_configENS1_25partition_config_selectorILNS1_17partition_subalgoE3EiNS0_10empty_typeEbEEZZNS1_14partition_implILS5_3ELb0ES3_jN6thrust23THRUST_200600_302600_NS6detail15normal_iteratorINSA_7pointerIiNSA_11hip_rocprim5par_tENSA_11use_defaultESG_EEEEPS6_SJ_NS0_5tupleIJPiSJ_EEENSK_IJSJ_SJ_EEES6_PlJ7is_evenIiEEEE10hipError_tPvRmT3_T4_T5_T6_T7_T9_mT8_P12ihipStream_tbDpT10_ENKUlT_T0_E_clISt17integral_constantIbLb0EES19_IbLb1EEEEDaS15_S16_EUlS15_E_NS1_11comp_targetILNS1_3genE10ELNS1_11target_archE1200ELNS1_3gpuE4ELNS1_3repE0EEENS1_30default_config_static_selectorELNS0_4arch9wavefront6targetE1EEEvT1_
                                        ; -- End function
	.section	.AMDGPU.csdata,"",@progbits
; Kernel info:
; codeLenInByte = 0
; NumSgprs: 4
; NumVgprs: 0
; NumAgprs: 0
; TotalNumVgprs: 0
; ScratchSize: 0
; MemoryBound: 0
; FloatMode: 240
; IeeeMode: 1
; LDSByteSize: 0 bytes/workgroup (compile time only)
; SGPRBlocks: 0
; VGPRBlocks: 0
; NumSGPRsForWavesPerEU: 4
; NumVGPRsForWavesPerEU: 1
; AccumOffset: 4
; Occupancy: 8
; WaveLimiterHint : 0
; COMPUTE_PGM_RSRC2:SCRATCH_EN: 0
; COMPUTE_PGM_RSRC2:USER_SGPR: 6
; COMPUTE_PGM_RSRC2:TRAP_HANDLER: 0
; COMPUTE_PGM_RSRC2:TGID_X_EN: 1
; COMPUTE_PGM_RSRC2:TGID_Y_EN: 0
; COMPUTE_PGM_RSRC2:TGID_Z_EN: 0
; COMPUTE_PGM_RSRC2:TIDIG_COMP_CNT: 0
; COMPUTE_PGM_RSRC3_GFX90A:ACCUM_OFFSET: 0
; COMPUTE_PGM_RSRC3_GFX90A:TG_SPLIT: 0
	.section	.text._ZN7rocprim17ROCPRIM_400000_NS6detail17trampoline_kernelINS0_14default_configENS1_25partition_config_selectorILNS1_17partition_subalgoE3EiNS0_10empty_typeEbEEZZNS1_14partition_implILS5_3ELb0ES3_jN6thrust23THRUST_200600_302600_NS6detail15normal_iteratorINSA_7pointerIiNSA_11hip_rocprim5par_tENSA_11use_defaultESG_EEEEPS6_SJ_NS0_5tupleIJPiSJ_EEENSK_IJSJ_SJ_EEES6_PlJ7is_evenIiEEEE10hipError_tPvRmT3_T4_T5_T6_T7_T9_mT8_P12ihipStream_tbDpT10_ENKUlT_T0_E_clISt17integral_constantIbLb0EES19_IbLb1EEEEDaS15_S16_EUlS15_E_NS1_11comp_targetILNS1_3genE9ELNS1_11target_archE1100ELNS1_3gpuE3ELNS1_3repE0EEENS1_30default_config_static_selectorELNS0_4arch9wavefront6targetE1EEEvT1_,"axG",@progbits,_ZN7rocprim17ROCPRIM_400000_NS6detail17trampoline_kernelINS0_14default_configENS1_25partition_config_selectorILNS1_17partition_subalgoE3EiNS0_10empty_typeEbEEZZNS1_14partition_implILS5_3ELb0ES3_jN6thrust23THRUST_200600_302600_NS6detail15normal_iteratorINSA_7pointerIiNSA_11hip_rocprim5par_tENSA_11use_defaultESG_EEEEPS6_SJ_NS0_5tupleIJPiSJ_EEENSK_IJSJ_SJ_EEES6_PlJ7is_evenIiEEEE10hipError_tPvRmT3_T4_T5_T6_T7_T9_mT8_P12ihipStream_tbDpT10_ENKUlT_T0_E_clISt17integral_constantIbLb0EES19_IbLb1EEEEDaS15_S16_EUlS15_E_NS1_11comp_targetILNS1_3genE9ELNS1_11target_archE1100ELNS1_3gpuE3ELNS1_3repE0EEENS1_30default_config_static_selectorELNS0_4arch9wavefront6targetE1EEEvT1_,comdat
	.protected	_ZN7rocprim17ROCPRIM_400000_NS6detail17trampoline_kernelINS0_14default_configENS1_25partition_config_selectorILNS1_17partition_subalgoE3EiNS0_10empty_typeEbEEZZNS1_14partition_implILS5_3ELb0ES3_jN6thrust23THRUST_200600_302600_NS6detail15normal_iteratorINSA_7pointerIiNSA_11hip_rocprim5par_tENSA_11use_defaultESG_EEEEPS6_SJ_NS0_5tupleIJPiSJ_EEENSK_IJSJ_SJ_EEES6_PlJ7is_evenIiEEEE10hipError_tPvRmT3_T4_T5_T6_T7_T9_mT8_P12ihipStream_tbDpT10_ENKUlT_T0_E_clISt17integral_constantIbLb0EES19_IbLb1EEEEDaS15_S16_EUlS15_E_NS1_11comp_targetILNS1_3genE9ELNS1_11target_archE1100ELNS1_3gpuE3ELNS1_3repE0EEENS1_30default_config_static_selectorELNS0_4arch9wavefront6targetE1EEEvT1_ ; -- Begin function _ZN7rocprim17ROCPRIM_400000_NS6detail17trampoline_kernelINS0_14default_configENS1_25partition_config_selectorILNS1_17partition_subalgoE3EiNS0_10empty_typeEbEEZZNS1_14partition_implILS5_3ELb0ES3_jN6thrust23THRUST_200600_302600_NS6detail15normal_iteratorINSA_7pointerIiNSA_11hip_rocprim5par_tENSA_11use_defaultESG_EEEEPS6_SJ_NS0_5tupleIJPiSJ_EEENSK_IJSJ_SJ_EEES6_PlJ7is_evenIiEEEE10hipError_tPvRmT3_T4_T5_T6_T7_T9_mT8_P12ihipStream_tbDpT10_ENKUlT_T0_E_clISt17integral_constantIbLb0EES19_IbLb1EEEEDaS15_S16_EUlS15_E_NS1_11comp_targetILNS1_3genE9ELNS1_11target_archE1100ELNS1_3gpuE3ELNS1_3repE0EEENS1_30default_config_static_selectorELNS0_4arch9wavefront6targetE1EEEvT1_
	.globl	_ZN7rocprim17ROCPRIM_400000_NS6detail17trampoline_kernelINS0_14default_configENS1_25partition_config_selectorILNS1_17partition_subalgoE3EiNS0_10empty_typeEbEEZZNS1_14partition_implILS5_3ELb0ES3_jN6thrust23THRUST_200600_302600_NS6detail15normal_iteratorINSA_7pointerIiNSA_11hip_rocprim5par_tENSA_11use_defaultESG_EEEEPS6_SJ_NS0_5tupleIJPiSJ_EEENSK_IJSJ_SJ_EEES6_PlJ7is_evenIiEEEE10hipError_tPvRmT3_T4_T5_T6_T7_T9_mT8_P12ihipStream_tbDpT10_ENKUlT_T0_E_clISt17integral_constantIbLb0EES19_IbLb1EEEEDaS15_S16_EUlS15_E_NS1_11comp_targetILNS1_3genE9ELNS1_11target_archE1100ELNS1_3gpuE3ELNS1_3repE0EEENS1_30default_config_static_selectorELNS0_4arch9wavefront6targetE1EEEvT1_
	.p2align	8
	.type	_ZN7rocprim17ROCPRIM_400000_NS6detail17trampoline_kernelINS0_14default_configENS1_25partition_config_selectorILNS1_17partition_subalgoE3EiNS0_10empty_typeEbEEZZNS1_14partition_implILS5_3ELb0ES3_jN6thrust23THRUST_200600_302600_NS6detail15normal_iteratorINSA_7pointerIiNSA_11hip_rocprim5par_tENSA_11use_defaultESG_EEEEPS6_SJ_NS0_5tupleIJPiSJ_EEENSK_IJSJ_SJ_EEES6_PlJ7is_evenIiEEEE10hipError_tPvRmT3_T4_T5_T6_T7_T9_mT8_P12ihipStream_tbDpT10_ENKUlT_T0_E_clISt17integral_constantIbLb0EES19_IbLb1EEEEDaS15_S16_EUlS15_E_NS1_11comp_targetILNS1_3genE9ELNS1_11target_archE1100ELNS1_3gpuE3ELNS1_3repE0EEENS1_30default_config_static_selectorELNS0_4arch9wavefront6targetE1EEEvT1_,@function
_ZN7rocprim17ROCPRIM_400000_NS6detail17trampoline_kernelINS0_14default_configENS1_25partition_config_selectorILNS1_17partition_subalgoE3EiNS0_10empty_typeEbEEZZNS1_14partition_implILS5_3ELb0ES3_jN6thrust23THRUST_200600_302600_NS6detail15normal_iteratorINSA_7pointerIiNSA_11hip_rocprim5par_tENSA_11use_defaultESG_EEEEPS6_SJ_NS0_5tupleIJPiSJ_EEENSK_IJSJ_SJ_EEES6_PlJ7is_evenIiEEEE10hipError_tPvRmT3_T4_T5_T6_T7_T9_mT8_P12ihipStream_tbDpT10_ENKUlT_T0_E_clISt17integral_constantIbLb0EES19_IbLb1EEEEDaS15_S16_EUlS15_E_NS1_11comp_targetILNS1_3genE9ELNS1_11target_archE1100ELNS1_3gpuE3ELNS1_3repE0EEENS1_30default_config_static_selectorELNS0_4arch9wavefront6targetE1EEEvT1_: ; @_ZN7rocprim17ROCPRIM_400000_NS6detail17trampoline_kernelINS0_14default_configENS1_25partition_config_selectorILNS1_17partition_subalgoE3EiNS0_10empty_typeEbEEZZNS1_14partition_implILS5_3ELb0ES3_jN6thrust23THRUST_200600_302600_NS6detail15normal_iteratorINSA_7pointerIiNSA_11hip_rocprim5par_tENSA_11use_defaultESG_EEEEPS6_SJ_NS0_5tupleIJPiSJ_EEENSK_IJSJ_SJ_EEES6_PlJ7is_evenIiEEEE10hipError_tPvRmT3_T4_T5_T6_T7_T9_mT8_P12ihipStream_tbDpT10_ENKUlT_T0_E_clISt17integral_constantIbLb0EES19_IbLb1EEEEDaS15_S16_EUlS15_E_NS1_11comp_targetILNS1_3genE9ELNS1_11target_archE1100ELNS1_3gpuE3ELNS1_3repE0EEENS1_30default_config_static_selectorELNS0_4arch9wavefront6targetE1EEEvT1_
; %bb.0:
	.section	.rodata,"a",@progbits
	.p2align	6, 0x0
	.amdhsa_kernel _ZN7rocprim17ROCPRIM_400000_NS6detail17trampoline_kernelINS0_14default_configENS1_25partition_config_selectorILNS1_17partition_subalgoE3EiNS0_10empty_typeEbEEZZNS1_14partition_implILS5_3ELb0ES3_jN6thrust23THRUST_200600_302600_NS6detail15normal_iteratorINSA_7pointerIiNSA_11hip_rocprim5par_tENSA_11use_defaultESG_EEEEPS6_SJ_NS0_5tupleIJPiSJ_EEENSK_IJSJ_SJ_EEES6_PlJ7is_evenIiEEEE10hipError_tPvRmT3_T4_T5_T6_T7_T9_mT8_P12ihipStream_tbDpT10_ENKUlT_T0_E_clISt17integral_constantIbLb0EES19_IbLb1EEEEDaS15_S16_EUlS15_E_NS1_11comp_targetILNS1_3genE9ELNS1_11target_archE1100ELNS1_3gpuE3ELNS1_3repE0EEENS1_30default_config_static_selectorELNS0_4arch9wavefront6targetE1EEEvT1_
		.amdhsa_group_segment_fixed_size 0
		.amdhsa_private_segment_fixed_size 0
		.amdhsa_kernarg_size 136
		.amdhsa_user_sgpr_count 6
		.amdhsa_user_sgpr_private_segment_buffer 1
		.amdhsa_user_sgpr_dispatch_ptr 0
		.amdhsa_user_sgpr_queue_ptr 0
		.amdhsa_user_sgpr_kernarg_segment_ptr 1
		.amdhsa_user_sgpr_dispatch_id 0
		.amdhsa_user_sgpr_flat_scratch_init 0
		.amdhsa_user_sgpr_kernarg_preload_length 0
		.amdhsa_user_sgpr_kernarg_preload_offset 0
		.amdhsa_user_sgpr_private_segment_size 0
		.amdhsa_uses_dynamic_stack 0
		.amdhsa_system_sgpr_private_segment_wavefront_offset 0
		.amdhsa_system_sgpr_workgroup_id_x 1
		.amdhsa_system_sgpr_workgroup_id_y 0
		.amdhsa_system_sgpr_workgroup_id_z 0
		.amdhsa_system_sgpr_workgroup_info 0
		.amdhsa_system_vgpr_workitem_id 0
		.amdhsa_next_free_vgpr 1
		.amdhsa_next_free_sgpr 0
		.amdhsa_accum_offset 4
		.amdhsa_reserve_vcc 0
		.amdhsa_reserve_flat_scratch 0
		.amdhsa_float_round_mode_32 0
		.amdhsa_float_round_mode_16_64 0
		.amdhsa_float_denorm_mode_32 3
		.amdhsa_float_denorm_mode_16_64 3
		.amdhsa_dx10_clamp 1
		.amdhsa_ieee_mode 1
		.amdhsa_fp16_overflow 0
		.amdhsa_tg_split 0
		.amdhsa_exception_fp_ieee_invalid_op 0
		.amdhsa_exception_fp_denorm_src 0
		.amdhsa_exception_fp_ieee_div_zero 0
		.amdhsa_exception_fp_ieee_overflow 0
		.amdhsa_exception_fp_ieee_underflow 0
		.amdhsa_exception_fp_ieee_inexact 0
		.amdhsa_exception_int_div_zero 0
	.end_amdhsa_kernel
	.section	.text._ZN7rocprim17ROCPRIM_400000_NS6detail17trampoline_kernelINS0_14default_configENS1_25partition_config_selectorILNS1_17partition_subalgoE3EiNS0_10empty_typeEbEEZZNS1_14partition_implILS5_3ELb0ES3_jN6thrust23THRUST_200600_302600_NS6detail15normal_iteratorINSA_7pointerIiNSA_11hip_rocprim5par_tENSA_11use_defaultESG_EEEEPS6_SJ_NS0_5tupleIJPiSJ_EEENSK_IJSJ_SJ_EEES6_PlJ7is_evenIiEEEE10hipError_tPvRmT3_T4_T5_T6_T7_T9_mT8_P12ihipStream_tbDpT10_ENKUlT_T0_E_clISt17integral_constantIbLb0EES19_IbLb1EEEEDaS15_S16_EUlS15_E_NS1_11comp_targetILNS1_3genE9ELNS1_11target_archE1100ELNS1_3gpuE3ELNS1_3repE0EEENS1_30default_config_static_selectorELNS0_4arch9wavefront6targetE1EEEvT1_,"axG",@progbits,_ZN7rocprim17ROCPRIM_400000_NS6detail17trampoline_kernelINS0_14default_configENS1_25partition_config_selectorILNS1_17partition_subalgoE3EiNS0_10empty_typeEbEEZZNS1_14partition_implILS5_3ELb0ES3_jN6thrust23THRUST_200600_302600_NS6detail15normal_iteratorINSA_7pointerIiNSA_11hip_rocprim5par_tENSA_11use_defaultESG_EEEEPS6_SJ_NS0_5tupleIJPiSJ_EEENSK_IJSJ_SJ_EEES6_PlJ7is_evenIiEEEE10hipError_tPvRmT3_T4_T5_T6_T7_T9_mT8_P12ihipStream_tbDpT10_ENKUlT_T0_E_clISt17integral_constantIbLb0EES19_IbLb1EEEEDaS15_S16_EUlS15_E_NS1_11comp_targetILNS1_3genE9ELNS1_11target_archE1100ELNS1_3gpuE3ELNS1_3repE0EEENS1_30default_config_static_selectorELNS0_4arch9wavefront6targetE1EEEvT1_,comdat
.Lfunc_end3692:
	.size	_ZN7rocprim17ROCPRIM_400000_NS6detail17trampoline_kernelINS0_14default_configENS1_25partition_config_selectorILNS1_17partition_subalgoE3EiNS0_10empty_typeEbEEZZNS1_14partition_implILS5_3ELb0ES3_jN6thrust23THRUST_200600_302600_NS6detail15normal_iteratorINSA_7pointerIiNSA_11hip_rocprim5par_tENSA_11use_defaultESG_EEEEPS6_SJ_NS0_5tupleIJPiSJ_EEENSK_IJSJ_SJ_EEES6_PlJ7is_evenIiEEEE10hipError_tPvRmT3_T4_T5_T6_T7_T9_mT8_P12ihipStream_tbDpT10_ENKUlT_T0_E_clISt17integral_constantIbLb0EES19_IbLb1EEEEDaS15_S16_EUlS15_E_NS1_11comp_targetILNS1_3genE9ELNS1_11target_archE1100ELNS1_3gpuE3ELNS1_3repE0EEENS1_30default_config_static_selectorELNS0_4arch9wavefront6targetE1EEEvT1_, .Lfunc_end3692-_ZN7rocprim17ROCPRIM_400000_NS6detail17trampoline_kernelINS0_14default_configENS1_25partition_config_selectorILNS1_17partition_subalgoE3EiNS0_10empty_typeEbEEZZNS1_14partition_implILS5_3ELb0ES3_jN6thrust23THRUST_200600_302600_NS6detail15normal_iteratorINSA_7pointerIiNSA_11hip_rocprim5par_tENSA_11use_defaultESG_EEEEPS6_SJ_NS0_5tupleIJPiSJ_EEENSK_IJSJ_SJ_EEES6_PlJ7is_evenIiEEEE10hipError_tPvRmT3_T4_T5_T6_T7_T9_mT8_P12ihipStream_tbDpT10_ENKUlT_T0_E_clISt17integral_constantIbLb0EES19_IbLb1EEEEDaS15_S16_EUlS15_E_NS1_11comp_targetILNS1_3genE9ELNS1_11target_archE1100ELNS1_3gpuE3ELNS1_3repE0EEENS1_30default_config_static_selectorELNS0_4arch9wavefront6targetE1EEEvT1_
                                        ; -- End function
	.section	.AMDGPU.csdata,"",@progbits
; Kernel info:
; codeLenInByte = 0
; NumSgprs: 4
; NumVgprs: 0
; NumAgprs: 0
; TotalNumVgprs: 0
; ScratchSize: 0
; MemoryBound: 0
; FloatMode: 240
; IeeeMode: 1
; LDSByteSize: 0 bytes/workgroup (compile time only)
; SGPRBlocks: 0
; VGPRBlocks: 0
; NumSGPRsForWavesPerEU: 4
; NumVGPRsForWavesPerEU: 1
; AccumOffset: 4
; Occupancy: 8
; WaveLimiterHint : 0
; COMPUTE_PGM_RSRC2:SCRATCH_EN: 0
; COMPUTE_PGM_RSRC2:USER_SGPR: 6
; COMPUTE_PGM_RSRC2:TRAP_HANDLER: 0
; COMPUTE_PGM_RSRC2:TGID_X_EN: 1
; COMPUTE_PGM_RSRC2:TGID_Y_EN: 0
; COMPUTE_PGM_RSRC2:TGID_Z_EN: 0
; COMPUTE_PGM_RSRC2:TIDIG_COMP_CNT: 0
; COMPUTE_PGM_RSRC3_GFX90A:ACCUM_OFFSET: 0
; COMPUTE_PGM_RSRC3_GFX90A:TG_SPLIT: 0
	.section	.text._ZN7rocprim17ROCPRIM_400000_NS6detail17trampoline_kernelINS0_14default_configENS1_25partition_config_selectorILNS1_17partition_subalgoE3EiNS0_10empty_typeEbEEZZNS1_14partition_implILS5_3ELb0ES3_jN6thrust23THRUST_200600_302600_NS6detail15normal_iteratorINSA_7pointerIiNSA_11hip_rocprim5par_tENSA_11use_defaultESG_EEEEPS6_SJ_NS0_5tupleIJPiSJ_EEENSK_IJSJ_SJ_EEES6_PlJ7is_evenIiEEEE10hipError_tPvRmT3_T4_T5_T6_T7_T9_mT8_P12ihipStream_tbDpT10_ENKUlT_T0_E_clISt17integral_constantIbLb0EES19_IbLb1EEEEDaS15_S16_EUlS15_E_NS1_11comp_targetILNS1_3genE8ELNS1_11target_archE1030ELNS1_3gpuE2ELNS1_3repE0EEENS1_30default_config_static_selectorELNS0_4arch9wavefront6targetE1EEEvT1_,"axG",@progbits,_ZN7rocprim17ROCPRIM_400000_NS6detail17trampoline_kernelINS0_14default_configENS1_25partition_config_selectorILNS1_17partition_subalgoE3EiNS0_10empty_typeEbEEZZNS1_14partition_implILS5_3ELb0ES3_jN6thrust23THRUST_200600_302600_NS6detail15normal_iteratorINSA_7pointerIiNSA_11hip_rocprim5par_tENSA_11use_defaultESG_EEEEPS6_SJ_NS0_5tupleIJPiSJ_EEENSK_IJSJ_SJ_EEES6_PlJ7is_evenIiEEEE10hipError_tPvRmT3_T4_T5_T6_T7_T9_mT8_P12ihipStream_tbDpT10_ENKUlT_T0_E_clISt17integral_constantIbLb0EES19_IbLb1EEEEDaS15_S16_EUlS15_E_NS1_11comp_targetILNS1_3genE8ELNS1_11target_archE1030ELNS1_3gpuE2ELNS1_3repE0EEENS1_30default_config_static_selectorELNS0_4arch9wavefront6targetE1EEEvT1_,comdat
	.protected	_ZN7rocprim17ROCPRIM_400000_NS6detail17trampoline_kernelINS0_14default_configENS1_25partition_config_selectorILNS1_17partition_subalgoE3EiNS0_10empty_typeEbEEZZNS1_14partition_implILS5_3ELb0ES3_jN6thrust23THRUST_200600_302600_NS6detail15normal_iteratorINSA_7pointerIiNSA_11hip_rocprim5par_tENSA_11use_defaultESG_EEEEPS6_SJ_NS0_5tupleIJPiSJ_EEENSK_IJSJ_SJ_EEES6_PlJ7is_evenIiEEEE10hipError_tPvRmT3_T4_T5_T6_T7_T9_mT8_P12ihipStream_tbDpT10_ENKUlT_T0_E_clISt17integral_constantIbLb0EES19_IbLb1EEEEDaS15_S16_EUlS15_E_NS1_11comp_targetILNS1_3genE8ELNS1_11target_archE1030ELNS1_3gpuE2ELNS1_3repE0EEENS1_30default_config_static_selectorELNS0_4arch9wavefront6targetE1EEEvT1_ ; -- Begin function _ZN7rocprim17ROCPRIM_400000_NS6detail17trampoline_kernelINS0_14default_configENS1_25partition_config_selectorILNS1_17partition_subalgoE3EiNS0_10empty_typeEbEEZZNS1_14partition_implILS5_3ELb0ES3_jN6thrust23THRUST_200600_302600_NS6detail15normal_iteratorINSA_7pointerIiNSA_11hip_rocprim5par_tENSA_11use_defaultESG_EEEEPS6_SJ_NS0_5tupleIJPiSJ_EEENSK_IJSJ_SJ_EEES6_PlJ7is_evenIiEEEE10hipError_tPvRmT3_T4_T5_T6_T7_T9_mT8_P12ihipStream_tbDpT10_ENKUlT_T0_E_clISt17integral_constantIbLb0EES19_IbLb1EEEEDaS15_S16_EUlS15_E_NS1_11comp_targetILNS1_3genE8ELNS1_11target_archE1030ELNS1_3gpuE2ELNS1_3repE0EEENS1_30default_config_static_selectorELNS0_4arch9wavefront6targetE1EEEvT1_
	.globl	_ZN7rocprim17ROCPRIM_400000_NS6detail17trampoline_kernelINS0_14default_configENS1_25partition_config_selectorILNS1_17partition_subalgoE3EiNS0_10empty_typeEbEEZZNS1_14partition_implILS5_3ELb0ES3_jN6thrust23THRUST_200600_302600_NS6detail15normal_iteratorINSA_7pointerIiNSA_11hip_rocprim5par_tENSA_11use_defaultESG_EEEEPS6_SJ_NS0_5tupleIJPiSJ_EEENSK_IJSJ_SJ_EEES6_PlJ7is_evenIiEEEE10hipError_tPvRmT3_T4_T5_T6_T7_T9_mT8_P12ihipStream_tbDpT10_ENKUlT_T0_E_clISt17integral_constantIbLb0EES19_IbLb1EEEEDaS15_S16_EUlS15_E_NS1_11comp_targetILNS1_3genE8ELNS1_11target_archE1030ELNS1_3gpuE2ELNS1_3repE0EEENS1_30default_config_static_selectorELNS0_4arch9wavefront6targetE1EEEvT1_
	.p2align	8
	.type	_ZN7rocprim17ROCPRIM_400000_NS6detail17trampoline_kernelINS0_14default_configENS1_25partition_config_selectorILNS1_17partition_subalgoE3EiNS0_10empty_typeEbEEZZNS1_14partition_implILS5_3ELb0ES3_jN6thrust23THRUST_200600_302600_NS6detail15normal_iteratorINSA_7pointerIiNSA_11hip_rocprim5par_tENSA_11use_defaultESG_EEEEPS6_SJ_NS0_5tupleIJPiSJ_EEENSK_IJSJ_SJ_EEES6_PlJ7is_evenIiEEEE10hipError_tPvRmT3_T4_T5_T6_T7_T9_mT8_P12ihipStream_tbDpT10_ENKUlT_T0_E_clISt17integral_constantIbLb0EES19_IbLb1EEEEDaS15_S16_EUlS15_E_NS1_11comp_targetILNS1_3genE8ELNS1_11target_archE1030ELNS1_3gpuE2ELNS1_3repE0EEENS1_30default_config_static_selectorELNS0_4arch9wavefront6targetE1EEEvT1_,@function
_ZN7rocprim17ROCPRIM_400000_NS6detail17trampoline_kernelINS0_14default_configENS1_25partition_config_selectorILNS1_17partition_subalgoE3EiNS0_10empty_typeEbEEZZNS1_14partition_implILS5_3ELb0ES3_jN6thrust23THRUST_200600_302600_NS6detail15normal_iteratorINSA_7pointerIiNSA_11hip_rocprim5par_tENSA_11use_defaultESG_EEEEPS6_SJ_NS0_5tupleIJPiSJ_EEENSK_IJSJ_SJ_EEES6_PlJ7is_evenIiEEEE10hipError_tPvRmT3_T4_T5_T6_T7_T9_mT8_P12ihipStream_tbDpT10_ENKUlT_T0_E_clISt17integral_constantIbLb0EES19_IbLb1EEEEDaS15_S16_EUlS15_E_NS1_11comp_targetILNS1_3genE8ELNS1_11target_archE1030ELNS1_3gpuE2ELNS1_3repE0EEENS1_30default_config_static_selectorELNS0_4arch9wavefront6targetE1EEEvT1_: ; @_ZN7rocprim17ROCPRIM_400000_NS6detail17trampoline_kernelINS0_14default_configENS1_25partition_config_selectorILNS1_17partition_subalgoE3EiNS0_10empty_typeEbEEZZNS1_14partition_implILS5_3ELb0ES3_jN6thrust23THRUST_200600_302600_NS6detail15normal_iteratorINSA_7pointerIiNSA_11hip_rocprim5par_tENSA_11use_defaultESG_EEEEPS6_SJ_NS0_5tupleIJPiSJ_EEENSK_IJSJ_SJ_EEES6_PlJ7is_evenIiEEEE10hipError_tPvRmT3_T4_T5_T6_T7_T9_mT8_P12ihipStream_tbDpT10_ENKUlT_T0_E_clISt17integral_constantIbLb0EES19_IbLb1EEEEDaS15_S16_EUlS15_E_NS1_11comp_targetILNS1_3genE8ELNS1_11target_archE1030ELNS1_3gpuE2ELNS1_3repE0EEENS1_30default_config_static_selectorELNS0_4arch9wavefront6targetE1EEEvT1_
; %bb.0:
	.section	.rodata,"a",@progbits
	.p2align	6, 0x0
	.amdhsa_kernel _ZN7rocprim17ROCPRIM_400000_NS6detail17trampoline_kernelINS0_14default_configENS1_25partition_config_selectorILNS1_17partition_subalgoE3EiNS0_10empty_typeEbEEZZNS1_14partition_implILS5_3ELb0ES3_jN6thrust23THRUST_200600_302600_NS6detail15normal_iteratorINSA_7pointerIiNSA_11hip_rocprim5par_tENSA_11use_defaultESG_EEEEPS6_SJ_NS0_5tupleIJPiSJ_EEENSK_IJSJ_SJ_EEES6_PlJ7is_evenIiEEEE10hipError_tPvRmT3_T4_T5_T6_T7_T9_mT8_P12ihipStream_tbDpT10_ENKUlT_T0_E_clISt17integral_constantIbLb0EES19_IbLb1EEEEDaS15_S16_EUlS15_E_NS1_11comp_targetILNS1_3genE8ELNS1_11target_archE1030ELNS1_3gpuE2ELNS1_3repE0EEENS1_30default_config_static_selectorELNS0_4arch9wavefront6targetE1EEEvT1_
		.amdhsa_group_segment_fixed_size 0
		.amdhsa_private_segment_fixed_size 0
		.amdhsa_kernarg_size 136
		.amdhsa_user_sgpr_count 6
		.amdhsa_user_sgpr_private_segment_buffer 1
		.amdhsa_user_sgpr_dispatch_ptr 0
		.amdhsa_user_sgpr_queue_ptr 0
		.amdhsa_user_sgpr_kernarg_segment_ptr 1
		.amdhsa_user_sgpr_dispatch_id 0
		.amdhsa_user_sgpr_flat_scratch_init 0
		.amdhsa_user_sgpr_kernarg_preload_length 0
		.amdhsa_user_sgpr_kernarg_preload_offset 0
		.amdhsa_user_sgpr_private_segment_size 0
		.amdhsa_uses_dynamic_stack 0
		.amdhsa_system_sgpr_private_segment_wavefront_offset 0
		.amdhsa_system_sgpr_workgroup_id_x 1
		.amdhsa_system_sgpr_workgroup_id_y 0
		.amdhsa_system_sgpr_workgroup_id_z 0
		.amdhsa_system_sgpr_workgroup_info 0
		.amdhsa_system_vgpr_workitem_id 0
		.amdhsa_next_free_vgpr 1
		.amdhsa_next_free_sgpr 0
		.amdhsa_accum_offset 4
		.amdhsa_reserve_vcc 0
		.amdhsa_reserve_flat_scratch 0
		.amdhsa_float_round_mode_32 0
		.amdhsa_float_round_mode_16_64 0
		.amdhsa_float_denorm_mode_32 3
		.amdhsa_float_denorm_mode_16_64 3
		.amdhsa_dx10_clamp 1
		.amdhsa_ieee_mode 1
		.amdhsa_fp16_overflow 0
		.amdhsa_tg_split 0
		.amdhsa_exception_fp_ieee_invalid_op 0
		.amdhsa_exception_fp_denorm_src 0
		.amdhsa_exception_fp_ieee_div_zero 0
		.amdhsa_exception_fp_ieee_overflow 0
		.amdhsa_exception_fp_ieee_underflow 0
		.amdhsa_exception_fp_ieee_inexact 0
		.amdhsa_exception_int_div_zero 0
	.end_amdhsa_kernel
	.section	.text._ZN7rocprim17ROCPRIM_400000_NS6detail17trampoline_kernelINS0_14default_configENS1_25partition_config_selectorILNS1_17partition_subalgoE3EiNS0_10empty_typeEbEEZZNS1_14partition_implILS5_3ELb0ES3_jN6thrust23THRUST_200600_302600_NS6detail15normal_iteratorINSA_7pointerIiNSA_11hip_rocprim5par_tENSA_11use_defaultESG_EEEEPS6_SJ_NS0_5tupleIJPiSJ_EEENSK_IJSJ_SJ_EEES6_PlJ7is_evenIiEEEE10hipError_tPvRmT3_T4_T5_T6_T7_T9_mT8_P12ihipStream_tbDpT10_ENKUlT_T0_E_clISt17integral_constantIbLb0EES19_IbLb1EEEEDaS15_S16_EUlS15_E_NS1_11comp_targetILNS1_3genE8ELNS1_11target_archE1030ELNS1_3gpuE2ELNS1_3repE0EEENS1_30default_config_static_selectorELNS0_4arch9wavefront6targetE1EEEvT1_,"axG",@progbits,_ZN7rocprim17ROCPRIM_400000_NS6detail17trampoline_kernelINS0_14default_configENS1_25partition_config_selectorILNS1_17partition_subalgoE3EiNS0_10empty_typeEbEEZZNS1_14partition_implILS5_3ELb0ES3_jN6thrust23THRUST_200600_302600_NS6detail15normal_iteratorINSA_7pointerIiNSA_11hip_rocprim5par_tENSA_11use_defaultESG_EEEEPS6_SJ_NS0_5tupleIJPiSJ_EEENSK_IJSJ_SJ_EEES6_PlJ7is_evenIiEEEE10hipError_tPvRmT3_T4_T5_T6_T7_T9_mT8_P12ihipStream_tbDpT10_ENKUlT_T0_E_clISt17integral_constantIbLb0EES19_IbLb1EEEEDaS15_S16_EUlS15_E_NS1_11comp_targetILNS1_3genE8ELNS1_11target_archE1030ELNS1_3gpuE2ELNS1_3repE0EEENS1_30default_config_static_selectorELNS0_4arch9wavefront6targetE1EEEvT1_,comdat
.Lfunc_end3693:
	.size	_ZN7rocprim17ROCPRIM_400000_NS6detail17trampoline_kernelINS0_14default_configENS1_25partition_config_selectorILNS1_17partition_subalgoE3EiNS0_10empty_typeEbEEZZNS1_14partition_implILS5_3ELb0ES3_jN6thrust23THRUST_200600_302600_NS6detail15normal_iteratorINSA_7pointerIiNSA_11hip_rocprim5par_tENSA_11use_defaultESG_EEEEPS6_SJ_NS0_5tupleIJPiSJ_EEENSK_IJSJ_SJ_EEES6_PlJ7is_evenIiEEEE10hipError_tPvRmT3_T4_T5_T6_T7_T9_mT8_P12ihipStream_tbDpT10_ENKUlT_T0_E_clISt17integral_constantIbLb0EES19_IbLb1EEEEDaS15_S16_EUlS15_E_NS1_11comp_targetILNS1_3genE8ELNS1_11target_archE1030ELNS1_3gpuE2ELNS1_3repE0EEENS1_30default_config_static_selectorELNS0_4arch9wavefront6targetE1EEEvT1_, .Lfunc_end3693-_ZN7rocprim17ROCPRIM_400000_NS6detail17trampoline_kernelINS0_14default_configENS1_25partition_config_selectorILNS1_17partition_subalgoE3EiNS0_10empty_typeEbEEZZNS1_14partition_implILS5_3ELb0ES3_jN6thrust23THRUST_200600_302600_NS6detail15normal_iteratorINSA_7pointerIiNSA_11hip_rocprim5par_tENSA_11use_defaultESG_EEEEPS6_SJ_NS0_5tupleIJPiSJ_EEENSK_IJSJ_SJ_EEES6_PlJ7is_evenIiEEEE10hipError_tPvRmT3_T4_T5_T6_T7_T9_mT8_P12ihipStream_tbDpT10_ENKUlT_T0_E_clISt17integral_constantIbLb0EES19_IbLb1EEEEDaS15_S16_EUlS15_E_NS1_11comp_targetILNS1_3genE8ELNS1_11target_archE1030ELNS1_3gpuE2ELNS1_3repE0EEENS1_30default_config_static_selectorELNS0_4arch9wavefront6targetE1EEEvT1_
                                        ; -- End function
	.section	.AMDGPU.csdata,"",@progbits
; Kernel info:
; codeLenInByte = 0
; NumSgprs: 4
; NumVgprs: 0
; NumAgprs: 0
; TotalNumVgprs: 0
; ScratchSize: 0
; MemoryBound: 0
; FloatMode: 240
; IeeeMode: 1
; LDSByteSize: 0 bytes/workgroup (compile time only)
; SGPRBlocks: 0
; VGPRBlocks: 0
; NumSGPRsForWavesPerEU: 4
; NumVGPRsForWavesPerEU: 1
; AccumOffset: 4
; Occupancy: 8
; WaveLimiterHint : 0
; COMPUTE_PGM_RSRC2:SCRATCH_EN: 0
; COMPUTE_PGM_RSRC2:USER_SGPR: 6
; COMPUTE_PGM_RSRC2:TRAP_HANDLER: 0
; COMPUTE_PGM_RSRC2:TGID_X_EN: 1
; COMPUTE_PGM_RSRC2:TGID_Y_EN: 0
; COMPUTE_PGM_RSRC2:TGID_Z_EN: 0
; COMPUTE_PGM_RSRC2:TIDIG_COMP_CNT: 0
; COMPUTE_PGM_RSRC3_GFX90A:ACCUM_OFFSET: 0
; COMPUTE_PGM_RSRC3_GFX90A:TG_SPLIT: 0
	.section	.text._ZN7rocprim17ROCPRIM_400000_NS6detail17trampoline_kernelINS0_14default_configENS1_25partition_config_selectorILNS1_17partition_subalgoE0EiNS0_10empty_typeEbEEZZNS1_14partition_implILS5_0ELb0ES3_jN6thrust23THRUST_200600_302600_NS10device_ptrIiEEPS6_SD_NS0_5tupleIJSC_SC_EEENSE_IJSD_SD_EEES6_PlJ7is_evenIiEEEE10hipError_tPvRmT3_T4_T5_T6_T7_T9_mT8_P12ihipStream_tbDpT10_ENKUlT_T0_E_clISt17integral_constantIbLb0EES13_EEDaSY_SZ_EUlSY_E_NS1_11comp_targetILNS1_3genE0ELNS1_11target_archE4294967295ELNS1_3gpuE0ELNS1_3repE0EEENS1_30default_config_static_selectorELNS0_4arch9wavefront6targetE1EEEvT1_,"axG",@progbits,_ZN7rocprim17ROCPRIM_400000_NS6detail17trampoline_kernelINS0_14default_configENS1_25partition_config_selectorILNS1_17partition_subalgoE0EiNS0_10empty_typeEbEEZZNS1_14partition_implILS5_0ELb0ES3_jN6thrust23THRUST_200600_302600_NS10device_ptrIiEEPS6_SD_NS0_5tupleIJSC_SC_EEENSE_IJSD_SD_EEES6_PlJ7is_evenIiEEEE10hipError_tPvRmT3_T4_T5_T6_T7_T9_mT8_P12ihipStream_tbDpT10_ENKUlT_T0_E_clISt17integral_constantIbLb0EES13_EEDaSY_SZ_EUlSY_E_NS1_11comp_targetILNS1_3genE0ELNS1_11target_archE4294967295ELNS1_3gpuE0ELNS1_3repE0EEENS1_30default_config_static_selectorELNS0_4arch9wavefront6targetE1EEEvT1_,comdat
	.protected	_ZN7rocprim17ROCPRIM_400000_NS6detail17trampoline_kernelINS0_14default_configENS1_25partition_config_selectorILNS1_17partition_subalgoE0EiNS0_10empty_typeEbEEZZNS1_14partition_implILS5_0ELb0ES3_jN6thrust23THRUST_200600_302600_NS10device_ptrIiEEPS6_SD_NS0_5tupleIJSC_SC_EEENSE_IJSD_SD_EEES6_PlJ7is_evenIiEEEE10hipError_tPvRmT3_T4_T5_T6_T7_T9_mT8_P12ihipStream_tbDpT10_ENKUlT_T0_E_clISt17integral_constantIbLb0EES13_EEDaSY_SZ_EUlSY_E_NS1_11comp_targetILNS1_3genE0ELNS1_11target_archE4294967295ELNS1_3gpuE0ELNS1_3repE0EEENS1_30default_config_static_selectorELNS0_4arch9wavefront6targetE1EEEvT1_ ; -- Begin function _ZN7rocprim17ROCPRIM_400000_NS6detail17trampoline_kernelINS0_14default_configENS1_25partition_config_selectorILNS1_17partition_subalgoE0EiNS0_10empty_typeEbEEZZNS1_14partition_implILS5_0ELb0ES3_jN6thrust23THRUST_200600_302600_NS10device_ptrIiEEPS6_SD_NS0_5tupleIJSC_SC_EEENSE_IJSD_SD_EEES6_PlJ7is_evenIiEEEE10hipError_tPvRmT3_T4_T5_T6_T7_T9_mT8_P12ihipStream_tbDpT10_ENKUlT_T0_E_clISt17integral_constantIbLb0EES13_EEDaSY_SZ_EUlSY_E_NS1_11comp_targetILNS1_3genE0ELNS1_11target_archE4294967295ELNS1_3gpuE0ELNS1_3repE0EEENS1_30default_config_static_selectorELNS0_4arch9wavefront6targetE1EEEvT1_
	.globl	_ZN7rocprim17ROCPRIM_400000_NS6detail17trampoline_kernelINS0_14default_configENS1_25partition_config_selectorILNS1_17partition_subalgoE0EiNS0_10empty_typeEbEEZZNS1_14partition_implILS5_0ELb0ES3_jN6thrust23THRUST_200600_302600_NS10device_ptrIiEEPS6_SD_NS0_5tupleIJSC_SC_EEENSE_IJSD_SD_EEES6_PlJ7is_evenIiEEEE10hipError_tPvRmT3_T4_T5_T6_T7_T9_mT8_P12ihipStream_tbDpT10_ENKUlT_T0_E_clISt17integral_constantIbLb0EES13_EEDaSY_SZ_EUlSY_E_NS1_11comp_targetILNS1_3genE0ELNS1_11target_archE4294967295ELNS1_3gpuE0ELNS1_3repE0EEENS1_30default_config_static_selectorELNS0_4arch9wavefront6targetE1EEEvT1_
	.p2align	8
	.type	_ZN7rocprim17ROCPRIM_400000_NS6detail17trampoline_kernelINS0_14default_configENS1_25partition_config_selectorILNS1_17partition_subalgoE0EiNS0_10empty_typeEbEEZZNS1_14partition_implILS5_0ELb0ES3_jN6thrust23THRUST_200600_302600_NS10device_ptrIiEEPS6_SD_NS0_5tupleIJSC_SC_EEENSE_IJSD_SD_EEES6_PlJ7is_evenIiEEEE10hipError_tPvRmT3_T4_T5_T6_T7_T9_mT8_P12ihipStream_tbDpT10_ENKUlT_T0_E_clISt17integral_constantIbLb0EES13_EEDaSY_SZ_EUlSY_E_NS1_11comp_targetILNS1_3genE0ELNS1_11target_archE4294967295ELNS1_3gpuE0ELNS1_3repE0EEENS1_30default_config_static_selectorELNS0_4arch9wavefront6targetE1EEEvT1_,@function
_ZN7rocprim17ROCPRIM_400000_NS6detail17trampoline_kernelINS0_14default_configENS1_25partition_config_selectorILNS1_17partition_subalgoE0EiNS0_10empty_typeEbEEZZNS1_14partition_implILS5_0ELb0ES3_jN6thrust23THRUST_200600_302600_NS10device_ptrIiEEPS6_SD_NS0_5tupleIJSC_SC_EEENSE_IJSD_SD_EEES6_PlJ7is_evenIiEEEE10hipError_tPvRmT3_T4_T5_T6_T7_T9_mT8_P12ihipStream_tbDpT10_ENKUlT_T0_E_clISt17integral_constantIbLb0EES13_EEDaSY_SZ_EUlSY_E_NS1_11comp_targetILNS1_3genE0ELNS1_11target_archE4294967295ELNS1_3gpuE0ELNS1_3repE0EEENS1_30default_config_static_selectorELNS0_4arch9wavefront6targetE1EEEvT1_: ; @_ZN7rocprim17ROCPRIM_400000_NS6detail17trampoline_kernelINS0_14default_configENS1_25partition_config_selectorILNS1_17partition_subalgoE0EiNS0_10empty_typeEbEEZZNS1_14partition_implILS5_0ELb0ES3_jN6thrust23THRUST_200600_302600_NS10device_ptrIiEEPS6_SD_NS0_5tupleIJSC_SC_EEENSE_IJSD_SD_EEES6_PlJ7is_evenIiEEEE10hipError_tPvRmT3_T4_T5_T6_T7_T9_mT8_P12ihipStream_tbDpT10_ENKUlT_T0_E_clISt17integral_constantIbLb0EES13_EEDaSY_SZ_EUlSY_E_NS1_11comp_targetILNS1_3genE0ELNS1_11target_archE4294967295ELNS1_3gpuE0ELNS1_3repE0EEENS1_30default_config_static_selectorELNS0_4arch9wavefront6targetE1EEEvT1_
; %bb.0:
	.section	.rodata,"a",@progbits
	.p2align	6, 0x0
	.amdhsa_kernel _ZN7rocprim17ROCPRIM_400000_NS6detail17trampoline_kernelINS0_14default_configENS1_25partition_config_selectorILNS1_17partition_subalgoE0EiNS0_10empty_typeEbEEZZNS1_14partition_implILS5_0ELb0ES3_jN6thrust23THRUST_200600_302600_NS10device_ptrIiEEPS6_SD_NS0_5tupleIJSC_SC_EEENSE_IJSD_SD_EEES6_PlJ7is_evenIiEEEE10hipError_tPvRmT3_T4_T5_T6_T7_T9_mT8_P12ihipStream_tbDpT10_ENKUlT_T0_E_clISt17integral_constantIbLb0EES13_EEDaSY_SZ_EUlSY_E_NS1_11comp_targetILNS1_3genE0ELNS1_11target_archE4294967295ELNS1_3gpuE0ELNS1_3repE0EEENS1_30default_config_static_selectorELNS0_4arch9wavefront6targetE1EEEvT1_
		.amdhsa_group_segment_fixed_size 0
		.amdhsa_private_segment_fixed_size 0
		.amdhsa_kernarg_size 120
		.amdhsa_user_sgpr_count 6
		.amdhsa_user_sgpr_private_segment_buffer 1
		.amdhsa_user_sgpr_dispatch_ptr 0
		.amdhsa_user_sgpr_queue_ptr 0
		.amdhsa_user_sgpr_kernarg_segment_ptr 1
		.amdhsa_user_sgpr_dispatch_id 0
		.amdhsa_user_sgpr_flat_scratch_init 0
		.amdhsa_user_sgpr_kernarg_preload_length 0
		.amdhsa_user_sgpr_kernarg_preload_offset 0
		.amdhsa_user_sgpr_private_segment_size 0
		.amdhsa_uses_dynamic_stack 0
		.amdhsa_system_sgpr_private_segment_wavefront_offset 0
		.amdhsa_system_sgpr_workgroup_id_x 1
		.amdhsa_system_sgpr_workgroup_id_y 0
		.amdhsa_system_sgpr_workgroup_id_z 0
		.amdhsa_system_sgpr_workgroup_info 0
		.amdhsa_system_vgpr_workitem_id 0
		.amdhsa_next_free_vgpr 1
		.amdhsa_next_free_sgpr 0
		.amdhsa_accum_offset 4
		.amdhsa_reserve_vcc 0
		.amdhsa_reserve_flat_scratch 0
		.amdhsa_float_round_mode_32 0
		.amdhsa_float_round_mode_16_64 0
		.amdhsa_float_denorm_mode_32 3
		.amdhsa_float_denorm_mode_16_64 3
		.amdhsa_dx10_clamp 1
		.amdhsa_ieee_mode 1
		.amdhsa_fp16_overflow 0
		.amdhsa_tg_split 0
		.amdhsa_exception_fp_ieee_invalid_op 0
		.amdhsa_exception_fp_denorm_src 0
		.amdhsa_exception_fp_ieee_div_zero 0
		.amdhsa_exception_fp_ieee_overflow 0
		.amdhsa_exception_fp_ieee_underflow 0
		.amdhsa_exception_fp_ieee_inexact 0
		.amdhsa_exception_int_div_zero 0
	.end_amdhsa_kernel
	.section	.text._ZN7rocprim17ROCPRIM_400000_NS6detail17trampoline_kernelINS0_14default_configENS1_25partition_config_selectorILNS1_17partition_subalgoE0EiNS0_10empty_typeEbEEZZNS1_14partition_implILS5_0ELb0ES3_jN6thrust23THRUST_200600_302600_NS10device_ptrIiEEPS6_SD_NS0_5tupleIJSC_SC_EEENSE_IJSD_SD_EEES6_PlJ7is_evenIiEEEE10hipError_tPvRmT3_T4_T5_T6_T7_T9_mT8_P12ihipStream_tbDpT10_ENKUlT_T0_E_clISt17integral_constantIbLb0EES13_EEDaSY_SZ_EUlSY_E_NS1_11comp_targetILNS1_3genE0ELNS1_11target_archE4294967295ELNS1_3gpuE0ELNS1_3repE0EEENS1_30default_config_static_selectorELNS0_4arch9wavefront6targetE1EEEvT1_,"axG",@progbits,_ZN7rocprim17ROCPRIM_400000_NS6detail17trampoline_kernelINS0_14default_configENS1_25partition_config_selectorILNS1_17partition_subalgoE0EiNS0_10empty_typeEbEEZZNS1_14partition_implILS5_0ELb0ES3_jN6thrust23THRUST_200600_302600_NS10device_ptrIiEEPS6_SD_NS0_5tupleIJSC_SC_EEENSE_IJSD_SD_EEES6_PlJ7is_evenIiEEEE10hipError_tPvRmT3_T4_T5_T6_T7_T9_mT8_P12ihipStream_tbDpT10_ENKUlT_T0_E_clISt17integral_constantIbLb0EES13_EEDaSY_SZ_EUlSY_E_NS1_11comp_targetILNS1_3genE0ELNS1_11target_archE4294967295ELNS1_3gpuE0ELNS1_3repE0EEENS1_30default_config_static_selectorELNS0_4arch9wavefront6targetE1EEEvT1_,comdat
.Lfunc_end3694:
	.size	_ZN7rocprim17ROCPRIM_400000_NS6detail17trampoline_kernelINS0_14default_configENS1_25partition_config_selectorILNS1_17partition_subalgoE0EiNS0_10empty_typeEbEEZZNS1_14partition_implILS5_0ELb0ES3_jN6thrust23THRUST_200600_302600_NS10device_ptrIiEEPS6_SD_NS0_5tupleIJSC_SC_EEENSE_IJSD_SD_EEES6_PlJ7is_evenIiEEEE10hipError_tPvRmT3_T4_T5_T6_T7_T9_mT8_P12ihipStream_tbDpT10_ENKUlT_T0_E_clISt17integral_constantIbLb0EES13_EEDaSY_SZ_EUlSY_E_NS1_11comp_targetILNS1_3genE0ELNS1_11target_archE4294967295ELNS1_3gpuE0ELNS1_3repE0EEENS1_30default_config_static_selectorELNS0_4arch9wavefront6targetE1EEEvT1_, .Lfunc_end3694-_ZN7rocprim17ROCPRIM_400000_NS6detail17trampoline_kernelINS0_14default_configENS1_25partition_config_selectorILNS1_17partition_subalgoE0EiNS0_10empty_typeEbEEZZNS1_14partition_implILS5_0ELb0ES3_jN6thrust23THRUST_200600_302600_NS10device_ptrIiEEPS6_SD_NS0_5tupleIJSC_SC_EEENSE_IJSD_SD_EEES6_PlJ7is_evenIiEEEE10hipError_tPvRmT3_T4_T5_T6_T7_T9_mT8_P12ihipStream_tbDpT10_ENKUlT_T0_E_clISt17integral_constantIbLb0EES13_EEDaSY_SZ_EUlSY_E_NS1_11comp_targetILNS1_3genE0ELNS1_11target_archE4294967295ELNS1_3gpuE0ELNS1_3repE0EEENS1_30default_config_static_selectorELNS0_4arch9wavefront6targetE1EEEvT1_
                                        ; -- End function
	.section	.AMDGPU.csdata,"",@progbits
; Kernel info:
; codeLenInByte = 0
; NumSgprs: 4
; NumVgprs: 0
; NumAgprs: 0
; TotalNumVgprs: 0
; ScratchSize: 0
; MemoryBound: 0
; FloatMode: 240
; IeeeMode: 1
; LDSByteSize: 0 bytes/workgroup (compile time only)
; SGPRBlocks: 0
; VGPRBlocks: 0
; NumSGPRsForWavesPerEU: 4
; NumVGPRsForWavesPerEU: 1
; AccumOffset: 4
; Occupancy: 8
; WaveLimiterHint : 0
; COMPUTE_PGM_RSRC2:SCRATCH_EN: 0
; COMPUTE_PGM_RSRC2:USER_SGPR: 6
; COMPUTE_PGM_RSRC2:TRAP_HANDLER: 0
; COMPUTE_PGM_RSRC2:TGID_X_EN: 1
; COMPUTE_PGM_RSRC2:TGID_Y_EN: 0
; COMPUTE_PGM_RSRC2:TGID_Z_EN: 0
; COMPUTE_PGM_RSRC2:TIDIG_COMP_CNT: 0
; COMPUTE_PGM_RSRC3_GFX90A:ACCUM_OFFSET: 0
; COMPUTE_PGM_RSRC3_GFX90A:TG_SPLIT: 0
	.section	.text._ZN7rocprim17ROCPRIM_400000_NS6detail17trampoline_kernelINS0_14default_configENS1_25partition_config_selectorILNS1_17partition_subalgoE0EiNS0_10empty_typeEbEEZZNS1_14partition_implILS5_0ELb0ES3_jN6thrust23THRUST_200600_302600_NS10device_ptrIiEEPS6_SD_NS0_5tupleIJSC_SC_EEENSE_IJSD_SD_EEES6_PlJ7is_evenIiEEEE10hipError_tPvRmT3_T4_T5_T6_T7_T9_mT8_P12ihipStream_tbDpT10_ENKUlT_T0_E_clISt17integral_constantIbLb0EES13_EEDaSY_SZ_EUlSY_E_NS1_11comp_targetILNS1_3genE5ELNS1_11target_archE942ELNS1_3gpuE9ELNS1_3repE0EEENS1_30default_config_static_selectorELNS0_4arch9wavefront6targetE1EEEvT1_,"axG",@progbits,_ZN7rocprim17ROCPRIM_400000_NS6detail17trampoline_kernelINS0_14default_configENS1_25partition_config_selectorILNS1_17partition_subalgoE0EiNS0_10empty_typeEbEEZZNS1_14partition_implILS5_0ELb0ES3_jN6thrust23THRUST_200600_302600_NS10device_ptrIiEEPS6_SD_NS0_5tupleIJSC_SC_EEENSE_IJSD_SD_EEES6_PlJ7is_evenIiEEEE10hipError_tPvRmT3_T4_T5_T6_T7_T9_mT8_P12ihipStream_tbDpT10_ENKUlT_T0_E_clISt17integral_constantIbLb0EES13_EEDaSY_SZ_EUlSY_E_NS1_11comp_targetILNS1_3genE5ELNS1_11target_archE942ELNS1_3gpuE9ELNS1_3repE0EEENS1_30default_config_static_selectorELNS0_4arch9wavefront6targetE1EEEvT1_,comdat
	.protected	_ZN7rocprim17ROCPRIM_400000_NS6detail17trampoline_kernelINS0_14default_configENS1_25partition_config_selectorILNS1_17partition_subalgoE0EiNS0_10empty_typeEbEEZZNS1_14partition_implILS5_0ELb0ES3_jN6thrust23THRUST_200600_302600_NS10device_ptrIiEEPS6_SD_NS0_5tupleIJSC_SC_EEENSE_IJSD_SD_EEES6_PlJ7is_evenIiEEEE10hipError_tPvRmT3_T4_T5_T6_T7_T9_mT8_P12ihipStream_tbDpT10_ENKUlT_T0_E_clISt17integral_constantIbLb0EES13_EEDaSY_SZ_EUlSY_E_NS1_11comp_targetILNS1_3genE5ELNS1_11target_archE942ELNS1_3gpuE9ELNS1_3repE0EEENS1_30default_config_static_selectorELNS0_4arch9wavefront6targetE1EEEvT1_ ; -- Begin function _ZN7rocprim17ROCPRIM_400000_NS6detail17trampoline_kernelINS0_14default_configENS1_25partition_config_selectorILNS1_17partition_subalgoE0EiNS0_10empty_typeEbEEZZNS1_14partition_implILS5_0ELb0ES3_jN6thrust23THRUST_200600_302600_NS10device_ptrIiEEPS6_SD_NS0_5tupleIJSC_SC_EEENSE_IJSD_SD_EEES6_PlJ7is_evenIiEEEE10hipError_tPvRmT3_T4_T5_T6_T7_T9_mT8_P12ihipStream_tbDpT10_ENKUlT_T0_E_clISt17integral_constantIbLb0EES13_EEDaSY_SZ_EUlSY_E_NS1_11comp_targetILNS1_3genE5ELNS1_11target_archE942ELNS1_3gpuE9ELNS1_3repE0EEENS1_30default_config_static_selectorELNS0_4arch9wavefront6targetE1EEEvT1_
	.globl	_ZN7rocprim17ROCPRIM_400000_NS6detail17trampoline_kernelINS0_14default_configENS1_25partition_config_selectorILNS1_17partition_subalgoE0EiNS0_10empty_typeEbEEZZNS1_14partition_implILS5_0ELb0ES3_jN6thrust23THRUST_200600_302600_NS10device_ptrIiEEPS6_SD_NS0_5tupleIJSC_SC_EEENSE_IJSD_SD_EEES6_PlJ7is_evenIiEEEE10hipError_tPvRmT3_T4_T5_T6_T7_T9_mT8_P12ihipStream_tbDpT10_ENKUlT_T0_E_clISt17integral_constantIbLb0EES13_EEDaSY_SZ_EUlSY_E_NS1_11comp_targetILNS1_3genE5ELNS1_11target_archE942ELNS1_3gpuE9ELNS1_3repE0EEENS1_30default_config_static_selectorELNS0_4arch9wavefront6targetE1EEEvT1_
	.p2align	8
	.type	_ZN7rocprim17ROCPRIM_400000_NS6detail17trampoline_kernelINS0_14default_configENS1_25partition_config_selectorILNS1_17partition_subalgoE0EiNS0_10empty_typeEbEEZZNS1_14partition_implILS5_0ELb0ES3_jN6thrust23THRUST_200600_302600_NS10device_ptrIiEEPS6_SD_NS0_5tupleIJSC_SC_EEENSE_IJSD_SD_EEES6_PlJ7is_evenIiEEEE10hipError_tPvRmT3_T4_T5_T6_T7_T9_mT8_P12ihipStream_tbDpT10_ENKUlT_T0_E_clISt17integral_constantIbLb0EES13_EEDaSY_SZ_EUlSY_E_NS1_11comp_targetILNS1_3genE5ELNS1_11target_archE942ELNS1_3gpuE9ELNS1_3repE0EEENS1_30default_config_static_selectorELNS0_4arch9wavefront6targetE1EEEvT1_,@function
_ZN7rocprim17ROCPRIM_400000_NS6detail17trampoline_kernelINS0_14default_configENS1_25partition_config_selectorILNS1_17partition_subalgoE0EiNS0_10empty_typeEbEEZZNS1_14partition_implILS5_0ELb0ES3_jN6thrust23THRUST_200600_302600_NS10device_ptrIiEEPS6_SD_NS0_5tupleIJSC_SC_EEENSE_IJSD_SD_EEES6_PlJ7is_evenIiEEEE10hipError_tPvRmT3_T4_T5_T6_T7_T9_mT8_P12ihipStream_tbDpT10_ENKUlT_T0_E_clISt17integral_constantIbLb0EES13_EEDaSY_SZ_EUlSY_E_NS1_11comp_targetILNS1_3genE5ELNS1_11target_archE942ELNS1_3gpuE9ELNS1_3repE0EEENS1_30default_config_static_selectorELNS0_4arch9wavefront6targetE1EEEvT1_: ; @_ZN7rocprim17ROCPRIM_400000_NS6detail17trampoline_kernelINS0_14default_configENS1_25partition_config_selectorILNS1_17partition_subalgoE0EiNS0_10empty_typeEbEEZZNS1_14partition_implILS5_0ELb0ES3_jN6thrust23THRUST_200600_302600_NS10device_ptrIiEEPS6_SD_NS0_5tupleIJSC_SC_EEENSE_IJSD_SD_EEES6_PlJ7is_evenIiEEEE10hipError_tPvRmT3_T4_T5_T6_T7_T9_mT8_P12ihipStream_tbDpT10_ENKUlT_T0_E_clISt17integral_constantIbLb0EES13_EEDaSY_SZ_EUlSY_E_NS1_11comp_targetILNS1_3genE5ELNS1_11target_archE942ELNS1_3gpuE9ELNS1_3repE0EEENS1_30default_config_static_selectorELNS0_4arch9wavefront6targetE1EEEvT1_
; %bb.0:
	.section	.rodata,"a",@progbits
	.p2align	6, 0x0
	.amdhsa_kernel _ZN7rocprim17ROCPRIM_400000_NS6detail17trampoline_kernelINS0_14default_configENS1_25partition_config_selectorILNS1_17partition_subalgoE0EiNS0_10empty_typeEbEEZZNS1_14partition_implILS5_0ELb0ES3_jN6thrust23THRUST_200600_302600_NS10device_ptrIiEEPS6_SD_NS0_5tupleIJSC_SC_EEENSE_IJSD_SD_EEES6_PlJ7is_evenIiEEEE10hipError_tPvRmT3_T4_T5_T6_T7_T9_mT8_P12ihipStream_tbDpT10_ENKUlT_T0_E_clISt17integral_constantIbLb0EES13_EEDaSY_SZ_EUlSY_E_NS1_11comp_targetILNS1_3genE5ELNS1_11target_archE942ELNS1_3gpuE9ELNS1_3repE0EEENS1_30default_config_static_selectorELNS0_4arch9wavefront6targetE1EEEvT1_
		.amdhsa_group_segment_fixed_size 0
		.amdhsa_private_segment_fixed_size 0
		.amdhsa_kernarg_size 120
		.amdhsa_user_sgpr_count 6
		.amdhsa_user_sgpr_private_segment_buffer 1
		.amdhsa_user_sgpr_dispatch_ptr 0
		.amdhsa_user_sgpr_queue_ptr 0
		.amdhsa_user_sgpr_kernarg_segment_ptr 1
		.amdhsa_user_sgpr_dispatch_id 0
		.amdhsa_user_sgpr_flat_scratch_init 0
		.amdhsa_user_sgpr_kernarg_preload_length 0
		.amdhsa_user_sgpr_kernarg_preload_offset 0
		.amdhsa_user_sgpr_private_segment_size 0
		.amdhsa_uses_dynamic_stack 0
		.amdhsa_system_sgpr_private_segment_wavefront_offset 0
		.amdhsa_system_sgpr_workgroup_id_x 1
		.amdhsa_system_sgpr_workgroup_id_y 0
		.amdhsa_system_sgpr_workgroup_id_z 0
		.amdhsa_system_sgpr_workgroup_info 0
		.amdhsa_system_vgpr_workitem_id 0
		.amdhsa_next_free_vgpr 1
		.amdhsa_next_free_sgpr 0
		.amdhsa_accum_offset 4
		.amdhsa_reserve_vcc 0
		.amdhsa_reserve_flat_scratch 0
		.amdhsa_float_round_mode_32 0
		.amdhsa_float_round_mode_16_64 0
		.amdhsa_float_denorm_mode_32 3
		.amdhsa_float_denorm_mode_16_64 3
		.amdhsa_dx10_clamp 1
		.amdhsa_ieee_mode 1
		.amdhsa_fp16_overflow 0
		.amdhsa_tg_split 0
		.amdhsa_exception_fp_ieee_invalid_op 0
		.amdhsa_exception_fp_denorm_src 0
		.amdhsa_exception_fp_ieee_div_zero 0
		.amdhsa_exception_fp_ieee_overflow 0
		.amdhsa_exception_fp_ieee_underflow 0
		.amdhsa_exception_fp_ieee_inexact 0
		.amdhsa_exception_int_div_zero 0
	.end_amdhsa_kernel
	.section	.text._ZN7rocprim17ROCPRIM_400000_NS6detail17trampoline_kernelINS0_14default_configENS1_25partition_config_selectorILNS1_17partition_subalgoE0EiNS0_10empty_typeEbEEZZNS1_14partition_implILS5_0ELb0ES3_jN6thrust23THRUST_200600_302600_NS10device_ptrIiEEPS6_SD_NS0_5tupleIJSC_SC_EEENSE_IJSD_SD_EEES6_PlJ7is_evenIiEEEE10hipError_tPvRmT3_T4_T5_T6_T7_T9_mT8_P12ihipStream_tbDpT10_ENKUlT_T0_E_clISt17integral_constantIbLb0EES13_EEDaSY_SZ_EUlSY_E_NS1_11comp_targetILNS1_3genE5ELNS1_11target_archE942ELNS1_3gpuE9ELNS1_3repE0EEENS1_30default_config_static_selectorELNS0_4arch9wavefront6targetE1EEEvT1_,"axG",@progbits,_ZN7rocprim17ROCPRIM_400000_NS6detail17trampoline_kernelINS0_14default_configENS1_25partition_config_selectorILNS1_17partition_subalgoE0EiNS0_10empty_typeEbEEZZNS1_14partition_implILS5_0ELb0ES3_jN6thrust23THRUST_200600_302600_NS10device_ptrIiEEPS6_SD_NS0_5tupleIJSC_SC_EEENSE_IJSD_SD_EEES6_PlJ7is_evenIiEEEE10hipError_tPvRmT3_T4_T5_T6_T7_T9_mT8_P12ihipStream_tbDpT10_ENKUlT_T0_E_clISt17integral_constantIbLb0EES13_EEDaSY_SZ_EUlSY_E_NS1_11comp_targetILNS1_3genE5ELNS1_11target_archE942ELNS1_3gpuE9ELNS1_3repE0EEENS1_30default_config_static_selectorELNS0_4arch9wavefront6targetE1EEEvT1_,comdat
.Lfunc_end3695:
	.size	_ZN7rocprim17ROCPRIM_400000_NS6detail17trampoline_kernelINS0_14default_configENS1_25partition_config_selectorILNS1_17partition_subalgoE0EiNS0_10empty_typeEbEEZZNS1_14partition_implILS5_0ELb0ES3_jN6thrust23THRUST_200600_302600_NS10device_ptrIiEEPS6_SD_NS0_5tupleIJSC_SC_EEENSE_IJSD_SD_EEES6_PlJ7is_evenIiEEEE10hipError_tPvRmT3_T4_T5_T6_T7_T9_mT8_P12ihipStream_tbDpT10_ENKUlT_T0_E_clISt17integral_constantIbLb0EES13_EEDaSY_SZ_EUlSY_E_NS1_11comp_targetILNS1_3genE5ELNS1_11target_archE942ELNS1_3gpuE9ELNS1_3repE0EEENS1_30default_config_static_selectorELNS0_4arch9wavefront6targetE1EEEvT1_, .Lfunc_end3695-_ZN7rocprim17ROCPRIM_400000_NS6detail17trampoline_kernelINS0_14default_configENS1_25partition_config_selectorILNS1_17partition_subalgoE0EiNS0_10empty_typeEbEEZZNS1_14partition_implILS5_0ELb0ES3_jN6thrust23THRUST_200600_302600_NS10device_ptrIiEEPS6_SD_NS0_5tupleIJSC_SC_EEENSE_IJSD_SD_EEES6_PlJ7is_evenIiEEEE10hipError_tPvRmT3_T4_T5_T6_T7_T9_mT8_P12ihipStream_tbDpT10_ENKUlT_T0_E_clISt17integral_constantIbLb0EES13_EEDaSY_SZ_EUlSY_E_NS1_11comp_targetILNS1_3genE5ELNS1_11target_archE942ELNS1_3gpuE9ELNS1_3repE0EEENS1_30default_config_static_selectorELNS0_4arch9wavefront6targetE1EEEvT1_
                                        ; -- End function
	.section	.AMDGPU.csdata,"",@progbits
; Kernel info:
; codeLenInByte = 0
; NumSgprs: 4
; NumVgprs: 0
; NumAgprs: 0
; TotalNumVgprs: 0
; ScratchSize: 0
; MemoryBound: 0
; FloatMode: 240
; IeeeMode: 1
; LDSByteSize: 0 bytes/workgroup (compile time only)
; SGPRBlocks: 0
; VGPRBlocks: 0
; NumSGPRsForWavesPerEU: 4
; NumVGPRsForWavesPerEU: 1
; AccumOffset: 4
; Occupancy: 8
; WaveLimiterHint : 0
; COMPUTE_PGM_RSRC2:SCRATCH_EN: 0
; COMPUTE_PGM_RSRC2:USER_SGPR: 6
; COMPUTE_PGM_RSRC2:TRAP_HANDLER: 0
; COMPUTE_PGM_RSRC2:TGID_X_EN: 1
; COMPUTE_PGM_RSRC2:TGID_Y_EN: 0
; COMPUTE_PGM_RSRC2:TGID_Z_EN: 0
; COMPUTE_PGM_RSRC2:TIDIG_COMP_CNT: 0
; COMPUTE_PGM_RSRC3_GFX90A:ACCUM_OFFSET: 0
; COMPUTE_PGM_RSRC3_GFX90A:TG_SPLIT: 0
	.section	.text._ZN7rocprim17ROCPRIM_400000_NS6detail17trampoline_kernelINS0_14default_configENS1_25partition_config_selectorILNS1_17partition_subalgoE0EiNS0_10empty_typeEbEEZZNS1_14partition_implILS5_0ELb0ES3_jN6thrust23THRUST_200600_302600_NS10device_ptrIiEEPS6_SD_NS0_5tupleIJSC_SC_EEENSE_IJSD_SD_EEES6_PlJ7is_evenIiEEEE10hipError_tPvRmT3_T4_T5_T6_T7_T9_mT8_P12ihipStream_tbDpT10_ENKUlT_T0_E_clISt17integral_constantIbLb0EES13_EEDaSY_SZ_EUlSY_E_NS1_11comp_targetILNS1_3genE4ELNS1_11target_archE910ELNS1_3gpuE8ELNS1_3repE0EEENS1_30default_config_static_selectorELNS0_4arch9wavefront6targetE1EEEvT1_,"axG",@progbits,_ZN7rocprim17ROCPRIM_400000_NS6detail17trampoline_kernelINS0_14default_configENS1_25partition_config_selectorILNS1_17partition_subalgoE0EiNS0_10empty_typeEbEEZZNS1_14partition_implILS5_0ELb0ES3_jN6thrust23THRUST_200600_302600_NS10device_ptrIiEEPS6_SD_NS0_5tupleIJSC_SC_EEENSE_IJSD_SD_EEES6_PlJ7is_evenIiEEEE10hipError_tPvRmT3_T4_T5_T6_T7_T9_mT8_P12ihipStream_tbDpT10_ENKUlT_T0_E_clISt17integral_constantIbLb0EES13_EEDaSY_SZ_EUlSY_E_NS1_11comp_targetILNS1_3genE4ELNS1_11target_archE910ELNS1_3gpuE8ELNS1_3repE0EEENS1_30default_config_static_selectorELNS0_4arch9wavefront6targetE1EEEvT1_,comdat
	.protected	_ZN7rocprim17ROCPRIM_400000_NS6detail17trampoline_kernelINS0_14default_configENS1_25partition_config_selectorILNS1_17partition_subalgoE0EiNS0_10empty_typeEbEEZZNS1_14partition_implILS5_0ELb0ES3_jN6thrust23THRUST_200600_302600_NS10device_ptrIiEEPS6_SD_NS0_5tupleIJSC_SC_EEENSE_IJSD_SD_EEES6_PlJ7is_evenIiEEEE10hipError_tPvRmT3_T4_T5_T6_T7_T9_mT8_P12ihipStream_tbDpT10_ENKUlT_T0_E_clISt17integral_constantIbLb0EES13_EEDaSY_SZ_EUlSY_E_NS1_11comp_targetILNS1_3genE4ELNS1_11target_archE910ELNS1_3gpuE8ELNS1_3repE0EEENS1_30default_config_static_selectorELNS0_4arch9wavefront6targetE1EEEvT1_ ; -- Begin function _ZN7rocprim17ROCPRIM_400000_NS6detail17trampoline_kernelINS0_14default_configENS1_25partition_config_selectorILNS1_17partition_subalgoE0EiNS0_10empty_typeEbEEZZNS1_14partition_implILS5_0ELb0ES3_jN6thrust23THRUST_200600_302600_NS10device_ptrIiEEPS6_SD_NS0_5tupleIJSC_SC_EEENSE_IJSD_SD_EEES6_PlJ7is_evenIiEEEE10hipError_tPvRmT3_T4_T5_T6_T7_T9_mT8_P12ihipStream_tbDpT10_ENKUlT_T0_E_clISt17integral_constantIbLb0EES13_EEDaSY_SZ_EUlSY_E_NS1_11comp_targetILNS1_3genE4ELNS1_11target_archE910ELNS1_3gpuE8ELNS1_3repE0EEENS1_30default_config_static_selectorELNS0_4arch9wavefront6targetE1EEEvT1_
	.globl	_ZN7rocprim17ROCPRIM_400000_NS6detail17trampoline_kernelINS0_14default_configENS1_25partition_config_selectorILNS1_17partition_subalgoE0EiNS0_10empty_typeEbEEZZNS1_14partition_implILS5_0ELb0ES3_jN6thrust23THRUST_200600_302600_NS10device_ptrIiEEPS6_SD_NS0_5tupleIJSC_SC_EEENSE_IJSD_SD_EEES6_PlJ7is_evenIiEEEE10hipError_tPvRmT3_T4_T5_T6_T7_T9_mT8_P12ihipStream_tbDpT10_ENKUlT_T0_E_clISt17integral_constantIbLb0EES13_EEDaSY_SZ_EUlSY_E_NS1_11comp_targetILNS1_3genE4ELNS1_11target_archE910ELNS1_3gpuE8ELNS1_3repE0EEENS1_30default_config_static_selectorELNS0_4arch9wavefront6targetE1EEEvT1_
	.p2align	8
	.type	_ZN7rocprim17ROCPRIM_400000_NS6detail17trampoline_kernelINS0_14default_configENS1_25partition_config_selectorILNS1_17partition_subalgoE0EiNS0_10empty_typeEbEEZZNS1_14partition_implILS5_0ELb0ES3_jN6thrust23THRUST_200600_302600_NS10device_ptrIiEEPS6_SD_NS0_5tupleIJSC_SC_EEENSE_IJSD_SD_EEES6_PlJ7is_evenIiEEEE10hipError_tPvRmT3_T4_T5_T6_T7_T9_mT8_P12ihipStream_tbDpT10_ENKUlT_T0_E_clISt17integral_constantIbLb0EES13_EEDaSY_SZ_EUlSY_E_NS1_11comp_targetILNS1_3genE4ELNS1_11target_archE910ELNS1_3gpuE8ELNS1_3repE0EEENS1_30default_config_static_selectorELNS0_4arch9wavefront6targetE1EEEvT1_,@function
_ZN7rocprim17ROCPRIM_400000_NS6detail17trampoline_kernelINS0_14default_configENS1_25partition_config_selectorILNS1_17partition_subalgoE0EiNS0_10empty_typeEbEEZZNS1_14partition_implILS5_0ELb0ES3_jN6thrust23THRUST_200600_302600_NS10device_ptrIiEEPS6_SD_NS0_5tupleIJSC_SC_EEENSE_IJSD_SD_EEES6_PlJ7is_evenIiEEEE10hipError_tPvRmT3_T4_T5_T6_T7_T9_mT8_P12ihipStream_tbDpT10_ENKUlT_T0_E_clISt17integral_constantIbLb0EES13_EEDaSY_SZ_EUlSY_E_NS1_11comp_targetILNS1_3genE4ELNS1_11target_archE910ELNS1_3gpuE8ELNS1_3repE0EEENS1_30default_config_static_selectorELNS0_4arch9wavefront6targetE1EEEvT1_: ; @_ZN7rocprim17ROCPRIM_400000_NS6detail17trampoline_kernelINS0_14default_configENS1_25partition_config_selectorILNS1_17partition_subalgoE0EiNS0_10empty_typeEbEEZZNS1_14partition_implILS5_0ELb0ES3_jN6thrust23THRUST_200600_302600_NS10device_ptrIiEEPS6_SD_NS0_5tupleIJSC_SC_EEENSE_IJSD_SD_EEES6_PlJ7is_evenIiEEEE10hipError_tPvRmT3_T4_T5_T6_T7_T9_mT8_P12ihipStream_tbDpT10_ENKUlT_T0_E_clISt17integral_constantIbLb0EES13_EEDaSY_SZ_EUlSY_E_NS1_11comp_targetILNS1_3genE4ELNS1_11target_archE910ELNS1_3gpuE8ELNS1_3repE0EEENS1_30default_config_static_selectorELNS0_4arch9wavefront6targetE1EEEvT1_
; %bb.0:
	s_load_dwordx2 s[0:1], s[4:5], 0x58
	s_load_dwordx4 s[20:23], s[4:5], 0x8
	s_load_dwordx4 s[24:27], s[4:5], 0x48
	s_load_dword s7, s[4:5], 0x70
	s_mul_i32 s8, s6, 0xa00
	s_waitcnt lgkmcnt(0)
	v_mov_b32_e32 v3, s1
	s_lshl_b64 s[2:3], s[22:23], 2
	s_add_u32 s10, s20, s2
	s_mul_i32 s1, s7, 0xa00
	s_addc_u32 s11, s21, s3
	s_add_i32 s3, s1, s22
	s_sub_i32 s33, s0, s3
	s_add_i32 s2, s7, -1
	s_addk_i32 s33, 0xa00
	v_mov_b32_e32 v2, s0
	s_add_u32 s0, s22, s1
	s_addc_u32 s1, s23, 0
	s_cmp_eq_u32 s6, s2
	s_load_dwordx2 s[30:31], s[26:27], 0x0
	s_cselect_b64 s[26:27], -1, 0
	s_cmp_lg_u32 s6, s2
	s_mov_b32 s9, 0
	v_cmp_lt_u64_e32 vcc, s[0:1], v[2:3]
	s_cselect_b64 s[0:1], -1, 0
	s_or_b64 s[2:3], s[0:1], vcc
	s_lshl_b64 s[28:29], s[8:9], 2
	s_add_u32 s7, s10, s28
	s_addc_u32 s10, s11, s29
	s_mov_b64 s[0:1], -1
	s_and_b64 vcc, exec, s[2:3]
	v_lshlrev_b32_e32 v1, 2, v0
	s_cbranch_vccz .LBB3696_2
; %bb.1:
	v_mov_b32_e32 v3, s10
	v_add_co_u32_e32 v2, vcc, s7, v1
	v_addc_co_u32_e32 v3, vcc, 0, v3, vcc
	v_add_co_u32_e32 v4, vcc, 0x1000, v2
	v_addc_co_u32_e32 v5, vcc, 0, v3, vcc
	flat_load_dword v6, v[2:3]
	flat_load_dword v7, v[2:3] offset:1024
	flat_load_dword v8, v[2:3] offset:2048
	;; [unrolled: 1-line block ×3, first 2 shown]
	flat_load_dword v10, v[4:5]
	flat_load_dword v11, v[4:5] offset:1024
	flat_load_dword v12, v[4:5] offset:2048
	;; [unrolled: 1-line block ×3, first 2 shown]
	v_add_co_u32_e32 v2, vcc, 0x2000, v2
	v_addc_co_u32_e32 v3, vcc, 0, v3, vcc
	flat_load_dword v4, v[2:3]
	flat_load_dword v5, v[2:3] offset:1024
	s_mov_b64 s[0:1], 0
	s_waitcnt vmcnt(0) lgkmcnt(0)
	ds_write2st64_b32 v1, v6, v7 offset1:4
	ds_write2st64_b32 v1, v8, v9 offset0:8 offset1:12
	ds_write2st64_b32 v1, v10, v11 offset0:16 offset1:20
	;; [unrolled: 1-line block ×4, first 2 shown]
	s_waitcnt lgkmcnt(0)
	s_barrier
.LBB3696_2:
	s_andn2_b64 vcc, exec, s[0:1]
	v_cmp_gt_u32_e64 s[0:1], s33, v0
	s_cbranch_vccnz .LBB3696_24
; %bb.3:
                                        ; implicit-def: $vgpr2_vgpr3_vgpr4_vgpr5_vgpr6_vgpr7_vgpr8_vgpr9_vgpr10_vgpr11
	s_and_saveexec_b64 s[8:9], s[0:1]
	s_cbranch_execz .LBB3696_5
; %bb.4:
	v_mov_b32_e32 v3, s10
	v_add_co_u32_e32 v2, vcc, s7, v1
	v_addc_co_u32_e32 v3, vcc, 0, v3, vcc
	flat_load_dword v2, v[2:3]
.LBB3696_5:
	s_or_b64 exec, exec, s[8:9]
	v_or_b32_e32 v12, 0x100, v0
	v_cmp_gt_u32_e32 vcc, s33, v12
	s_and_saveexec_b64 s[0:1], vcc
	s_cbranch_execz .LBB3696_7
; %bb.6:
	v_mov_b32_e32 v3, s10
	v_add_co_u32_e32 v12, vcc, s7, v1
	v_addc_co_u32_e32 v13, vcc, 0, v3, vcc
	flat_load_dword v3, v[12:13] offset:1024
.LBB3696_7:
	s_or_b64 exec, exec, s[0:1]
	v_or_b32_e32 v12, 0x200, v0
	v_cmp_gt_u32_e32 vcc, s33, v12
	s_and_saveexec_b64 s[0:1], vcc
	s_cbranch_execz .LBB3696_9
; %bb.8:
	v_mov_b32_e32 v4, s10
	v_add_co_u32_e32 v12, vcc, s7, v1
	v_addc_co_u32_e32 v13, vcc, 0, v4, vcc
	flat_load_dword v4, v[12:13] offset:2048
.LBB3696_9:
	s_or_b64 exec, exec, s[0:1]
	v_or_b32_e32 v12, 0x300, v0
	v_cmp_gt_u32_e32 vcc, s33, v12
	s_and_saveexec_b64 s[0:1], vcc
	s_cbranch_execz .LBB3696_11
; %bb.10:
	v_mov_b32_e32 v5, s10
	v_add_co_u32_e32 v12, vcc, s7, v1
	v_addc_co_u32_e32 v13, vcc, 0, v5, vcc
	flat_load_dword v5, v[12:13] offset:3072
.LBB3696_11:
	s_or_b64 exec, exec, s[0:1]
	v_or_b32_e32 v12, 0x400, v0
	v_cmp_gt_u32_e32 vcc, s33, v12
	s_and_saveexec_b64 s[0:1], vcc
	s_cbranch_execz .LBB3696_13
; %bb.12:
	v_lshlrev_b32_e32 v6, 2, v12
	v_mov_b32_e32 v13, s10
	v_add_co_u32_e32 v12, vcc, s7, v6
	v_addc_co_u32_e32 v13, vcc, 0, v13, vcc
	flat_load_dword v6, v[12:13]
.LBB3696_13:
	s_or_b64 exec, exec, s[0:1]
	v_or_b32_e32 v12, 0x500, v0
	v_cmp_gt_u32_e32 vcc, s33, v12
	s_and_saveexec_b64 s[0:1], vcc
	s_cbranch_execz .LBB3696_15
; %bb.14:
	v_lshlrev_b32_e32 v7, 2, v12
	v_mov_b32_e32 v13, s10
	v_add_co_u32_e32 v12, vcc, s7, v7
	v_addc_co_u32_e32 v13, vcc, 0, v13, vcc
	flat_load_dword v7, v[12:13]
.LBB3696_15:
	;; [unrolled: 12-line block ×6, first 2 shown]
	s_or_b64 exec, exec, s[0:1]
	s_waitcnt vmcnt(0) lgkmcnt(0)
	ds_write2st64_b32 v1, v2, v3 offset1:4
	ds_write2st64_b32 v1, v4, v5 offset0:8 offset1:12
	ds_write2st64_b32 v1, v6, v7 offset0:16 offset1:20
	;; [unrolled: 1-line block ×4, first 2 shown]
	s_waitcnt lgkmcnt(0)
	s_barrier
.LBB3696_24:
	v_mul_u32_u24_e32 v23, 10, v0
	v_lshlrev_b32_e32 v29, 2, v23
	s_waitcnt lgkmcnt(0)
	ds_read2_b64 v[6:9], v29 offset1:1
	ds_read2_b64 v[2:5], v29 offset0:2 offset1:3
	ds_read_b64 v[10:11], v29 offset:32
	v_cndmask_b32_e64 v12, 0, 1, s[2:3]
	v_cmp_ne_u32_e64 s[0:1], 1, v12
	s_andn2_b64 vcc, exec, s[2:3]
	s_waitcnt lgkmcnt(2)
	v_xor_b32_e32 v21, -1, v6
	v_xor_b32_e32 v20, -1, v7
	v_xor_b32_e32 v19, -1, v8
	v_xor_b32_e32 v18, -1, v9
	s_waitcnt lgkmcnt(1)
	v_xor_b32_e32 v17, -1, v2
	v_xor_b32_e32 v16, -1, v3
	;; [unrolled: 1-line block ×4, first 2 shown]
	s_waitcnt lgkmcnt(0)
	v_xor_b32_e32 v13, -1, v10
	v_xor_b32_e32 v12, -1, v11
	s_barrier
	s_cbranch_vccnz .LBB3696_26
; %bb.25:
	v_mov_b32_e32 v22, 1
	v_and_b32_e32 v25, 1, v21
	v_and_b32_sdwa v26, v20, v22 dst_sel:BYTE_1 dst_unused:UNUSED_PAD src0_sel:DWORD src1_sel:DWORD
	v_and_b32_e32 v27, 1, v19
	v_and_b32_sdwa v28, v18, v22 dst_sel:BYTE_1 dst_unused:UNUSED_PAD src0_sel:DWORD src1_sel:DWORD
	v_and_b32_e32 v30, 1, v17
	v_and_b32_sdwa v31, v16, v22 dst_sel:BYTE_1 dst_unused:UNUSED_PAD src0_sel:DWORD src1_sel:DWORD
	v_and_b32_e32 v32, 1, v15
	v_and_b32_sdwa v33, v14, v22 dst_sel:BYTE_1 dst_unused:UNUSED_PAD src0_sel:DWORD src1_sel:DWORD
	v_or_b32_e32 v25, v25, v26
	v_or_b32_sdwa v26, v27, v28 dst_sel:WORD_1 dst_unused:UNUSED_PAD src0_sel:DWORD src1_sel:DWORD
	v_or_b32_sdwa v26, v25, v26 dst_sel:DWORD dst_unused:UNUSED_PAD src0_sel:WORD_0 src1_sel:DWORD
	v_or_b32_e32 v25, v30, v31
	v_or_b32_sdwa v27, v32, v33 dst_sel:WORD_1 dst_unused:UNUSED_PAD src0_sel:DWORD src1_sel:DWORD
	v_and_b32_e32 v24, 1, v13
	v_and_b32_e32 v22, 1, v12
	v_or_b32_sdwa v25, v25, v27 dst_sel:DWORD dst_unused:UNUSED_PAD src0_sel:WORD_0 src1_sel:DWORD
	s_load_dwordx2 s[34:35], s[4:5], 0x68
	s_cbranch_execz .LBB3696_27
	s_branch .LBB3696_28
.LBB3696_26:
                                        ; implicit-def: $vgpr22
                                        ; implicit-def: $vgpr24
                                        ; implicit-def: $vgpr25
                                        ; implicit-def: $vgpr26
	s_load_dwordx2 s[34:35], s[4:5], 0x68
.LBB3696_27:
	v_or_b32_e32 v32, 1, v23
	v_cmp_gt_u32_e32 vcc, s33, v23
	v_add_u32_e32 v22, 2, v23
	v_cndmask_b32_e64 v33, 0, 1, vcc
	v_cmp_gt_u32_e32 vcc, s33, v32
	v_add_u32_e32 v31, 3, v23
	v_cndmask_b32_e64 v32, 0, 1, vcc
	;; [unrolled: 3-line block ×3, first 2 shown]
	v_cmp_gt_u32_e32 vcc, s33, v31
	v_add_u32_e32 v30, 5, v23
	v_and_b32_e32 v19, v22, v19
	v_cndmask_b32_e64 v22, 0, 1, vcc
	v_cmp_gt_u32_e32 vcc, s33, v24
	v_add_u32_e32 v25, 6, v23
	v_and_b32_sdwa v18, v22, v18 dst_sel:BYTE_1 dst_unused:UNUSED_PAD src0_sel:DWORD src1_sel:DWORD
	v_cndmask_b32_e64 v22, 0, 1, vcc
	v_cmp_gt_u32_e32 vcc, s33, v30
	v_add_u32_e32 v28, 7, v23
	v_and_b32_e32 v17, v22, v17
	v_cndmask_b32_e64 v22, 0, 1, vcc
	v_cmp_gt_u32_e32 vcc, s33, v25
	v_add_u32_e32 v26, 8, v23
	v_and_b32_sdwa v16, v22, v16 dst_sel:BYTE_1 dst_unused:UNUSED_PAD src0_sel:DWORD src1_sel:DWORD
	v_cndmask_b32_e64 v22, 0, 1, vcc
	v_cmp_gt_u32_e32 vcc, s33, v28
	v_add_u32_e32 v27, 9, v23
	v_and_b32_e32 v15, v22, v15
	v_cndmask_b32_e64 v22, 0, 1, vcc
	v_cmp_gt_u32_e32 vcc, s33, v26
	v_and_b32_sdwa v14, v22, v14 dst_sel:BYTE_1 dst_unused:UNUSED_PAD src0_sel:DWORD src1_sel:DWORD
	v_cndmask_b32_e64 v22, 0, 1, vcc
	v_cmp_gt_u32_e32 vcc, s33, v27
	v_and_b32_e32 v21, v33, v21
	v_and_b32_sdwa v20, v32, v20 dst_sel:BYTE_1 dst_unused:UNUSED_PAD src0_sel:DWORD src1_sel:DWORD
	v_and_b32_e32 v24, v22, v13
	v_cndmask_b32_e64 v13, 0, 1, vcc
	v_and_b32_e32 v22, v13, v12
	v_or_b32_e32 v12, v21, v20
	v_or_b32_sdwa v13, v19, v18 dst_sel:WORD_1 dst_unused:UNUSED_PAD src0_sel:DWORD src1_sel:DWORD
	v_or_b32_sdwa v26, v12, v13 dst_sel:DWORD dst_unused:UNUSED_PAD src0_sel:WORD_0 src1_sel:DWORD
	v_or_b32_e32 v12, v17, v16
	v_or_b32_sdwa v13, v15, v14 dst_sel:WORD_1 dst_unused:UNUSED_PAD src0_sel:DWORD src1_sel:DWORD
	v_or_b32_sdwa v25, v12, v13 dst_sel:DWORD dst_unused:UNUSED_PAD src0_sel:WORD_0 src1_sel:DWORD
.LBB3696_28:
	v_bfe_u32 v30, v26, 16, 8
	v_lshrrev_b32_e32 v28, 24, v26
	v_add_u32_sdwa v13, v26, v26 dst_sel:DWORD dst_unused:UNUSED_PAD src0_sel:BYTE_1 src1_sel:BYTE_0
	v_and_b32_e32 v31, 0xff, v25
	v_bfe_u32 v32, v25, 8, 8
	v_add3_u32 v13, v13, v30, v28
	v_bfe_u32 v33, v25, 16, 8
	v_lshrrev_b32_e32 v27, 24, v25
	v_add3_u32 v13, v13, v31, v32
	v_and_b32_e32 v34, 0xff, v24
	v_and_b32_e32 v12, 0xff, v22
	v_add3_u32 v13, v13, v33, v27
	v_add3_u32 v37, v13, v34, v12
	v_mbcnt_lo_u32_b32 v12, -1, 0
	v_mbcnt_hi_u32_b32 v35, -1, v12
	v_and_b32_e32 v12, 15, v35
	v_cmp_eq_u32_e64 s[16:17], 0, v12
	v_cmp_lt_u32_e64 s[14:15], 1, v12
	v_cmp_lt_u32_e64 s[12:13], 3, v12
	;; [unrolled: 1-line block ×3, first 2 shown]
	v_and_b32_e32 v12, 16, v35
	v_cmp_eq_u32_e64 s[8:9], 0, v12
	v_or_b32_e32 v12, 63, v0
	s_cmp_lg_u32 s6, 0
	v_cmp_lt_u32_e64 s[2:3], 31, v35
	v_lshrrev_b32_e32 v36, 6, v0
	v_cmp_eq_u32_e64 s[20:21], v12, v0
	s_cbranch_scc0 .LBB3696_55
; %bb.29:
	v_mov_b32_dpp v12, v37 row_shr:1 row_mask:0xf bank_mask:0xf
	v_cndmask_b32_e64 v12, v12, 0, s[16:17]
	v_add_u32_e32 v12, v12, v37
	s_nop 1
	v_mov_b32_dpp v13, v12 row_shr:2 row_mask:0xf bank_mask:0xf
	v_cndmask_b32_e64 v13, 0, v13, s[14:15]
	v_add_u32_e32 v12, v12, v13
	s_nop 1
	;; [unrolled: 4-line block ×4, first 2 shown]
	v_mov_b32_dpp v13, v12 row_bcast:15 row_mask:0xf bank_mask:0xf
	v_cndmask_b32_e64 v13, v13, 0, s[8:9]
	v_add_u32_e32 v12, v12, v13
	s_nop 1
	v_mov_b32_dpp v13, v12 row_bcast:31 row_mask:0xf bank_mask:0xf
	v_cndmask_b32_e64 v13, 0, v13, s[2:3]
	v_add_u32_e32 v12, v12, v13
	s_and_saveexec_b64 s[18:19], s[20:21]
	s_cbranch_execz .LBB3696_31
; %bb.30:
	v_lshlrev_b32_e32 v13, 2, v36
	ds_write_b32 v13, v12
.LBB3696_31:
	s_or_b64 exec, exec, s[18:19]
	v_cmp_gt_u32_e32 vcc, 4, v0
	s_waitcnt lgkmcnt(0)
	s_barrier
	s_and_saveexec_b64 s[18:19], vcc
	s_cbranch_execz .LBB3696_33
; %bb.32:
	ds_read_b32 v13, v1
	v_and_b32_e32 v14, 3, v35
	v_cmp_ne_u32_e32 vcc, 0, v14
	s_waitcnt lgkmcnt(0)
	v_mov_b32_dpp v15, v13 row_shr:1 row_mask:0xf bank_mask:0xf
	v_cndmask_b32_e32 v15, 0, v15, vcc
	v_add_u32_e32 v13, v15, v13
	v_cmp_lt_u32_e32 vcc, 1, v14
	s_nop 0
	v_mov_b32_dpp v15, v13 row_shr:2 row_mask:0xf bank_mask:0xf
	v_cndmask_b32_e32 v14, 0, v15, vcc
	v_add_u32_e32 v13, v13, v14
	ds_write_b32 v1, v13
.LBB3696_33:
	s_or_b64 exec, exec, s[18:19]
	v_cmp_gt_u32_e32 vcc, 64, v0
	v_cmp_lt_u32_e64 s[18:19], 63, v0
	s_waitcnt lgkmcnt(0)
	s_barrier
	s_waitcnt lgkmcnt(0)
                                        ; implicit-def: $vgpr38
	s_and_saveexec_b64 s[36:37], s[18:19]
	s_cbranch_execz .LBB3696_35
; %bb.34:
	v_lshl_add_u32 v13, v36, 2, -4
	ds_read_b32 v38, v13
	s_waitcnt lgkmcnt(0)
	v_add_u32_e32 v12, v38, v12
.LBB3696_35:
	s_or_b64 exec, exec, s[36:37]
	v_add_u32_e32 v13, -1, v35
	v_and_b32_e32 v14, 64, v35
	v_cmp_lt_i32_e64 s[18:19], v13, v14
	v_cndmask_b32_e64 v13, v13, v35, s[18:19]
	v_lshlrev_b32_e32 v13, 2, v13
	ds_bpermute_b32 v39, v13, v12
	v_cmp_eq_u32_e64 s[18:19], 0, v35
	s_and_saveexec_b64 s[36:37], vcc
	s_cbranch_execz .LBB3696_54
; %bb.36:
	v_mov_b32_e32 v19, 0
	ds_read_b32 v12, v19 offset:12
	s_and_saveexec_b64 s[38:39], s[18:19]
	s_cbranch_execz .LBB3696_38
; %bb.37:
	s_add_i32 s40, s6, 64
	s_mov_b32 s41, 0
	s_lshl_b64 s[40:41], s[40:41], 3
	s_add_u32 s40, s34, s40
	v_mov_b32_e32 v13, 1
	s_addc_u32 s41, s35, s41
	s_waitcnt lgkmcnt(0)
	global_store_dwordx2 v19, v[12:13], s[40:41]
.LBB3696_38:
	s_or_b64 exec, exec, s[38:39]
	v_xad_u32 v14, v35, -1, s6
	v_add_u32_e32 v18, 64, v14
	v_lshlrev_b64 v[16:17], 3, v[18:19]
	v_mov_b32_e32 v13, s35
	v_add_co_u32_e32 v20, vcc, s34, v16
	v_addc_co_u32_e32 v21, vcc, v13, v17, vcc
	global_load_dwordx2 v[16:17], v[20:21], off glc
	s_waitcnt vmcnt(0)
	v_cmp_eq_u16_sdwa s[40:41], v17, v19 src0_sel:BYTE_0 src1_sel:DWORD
	s_and_saveexec_b64 s[38:39], s[40:41]
	s_cbranch_execz .LBB3696_42
; %bb.39:
	s_mov_b64 s[40:41], 0
	v_mov_b32_e32 v13, 0
.LBB3696_40:                            ; =>This Inner Loop Header: Depth=1
	global_load_dwordx2 v[16:17], v[20:21], off glc
	s_waitcnt vmcnt(0)
	v_cmp_ne_u16_sdwa s[42:43], v17, v13 src0_sel:BYTE_0 src1_sel:DWORD
	s_or_b64 s[40:41], s[42:43], s[40:41]
	s_andn2_b64 exec, exec, s[40:41]
	s_cbranch_execnz .LBB3696_40
; %bb.41:
	s_or_b64 exec, exec, s[40:41]
.LBB3696_42:
	s_or_b64 exec, exec, s[38:39]
	v_and_b32_e32 v41, 63, v35
	v_mov_b32_e32 v40, 2
	v_cmp_ne_u32_e32 vcc, 63, v41
	v_cmp_eq_u16_sdwa s[38:39], v17, v40 src0_sel:BYTE_0 src1_sel:DWORD
	v_lshlrev_b64 v[18:19], v35, -1
	v_addc_co_u32_e32 v20, vcc, 0, v35, vcc
	v_and_b32_e32 v13, s39, v19
	v_lshlrev_b32_e32 v42, 2, v20
	v_or_b32_e32 v13, 0x80000000, v13
	ds_bpermute_b32 v20, v42, v16
	v_and_b32_e32 v15, s38, v18
	v_ffbl_b32_e32 v13, v13
	v_add_u32_e32 v13, 32, v13
	v_ffbl_b32_e32 v15, v15
	v_min_u32_e32 v13, v15, v13
	v_cmp_lt_u32_e32 vcc, v41, v13
	s_waitcnt lgkmcnt(0)
	v_cndmask_b32_e32 v15, 0, v20, vcc
	v_cmp_gt_u32_e32 vcc, 62, v41
	v_add_u32_e32 v15, v15, v16
	v_cndmask_b32_e64 v16, 0, 1, vcc
	v_lshlrev_b32_e32 v16, 1, v16
	v_add_lshl_u32 v43, v16, v35, 2
	ds_bpermute_b32 v16, v43, v15
	v_add_u32_e32 v44, 2, v41
	v_cmp_le_u32_e32 vcc, v44, v13
	v_add_u32_e32 v46, 4, v41
	v_add_u32_e32 v48, 8, v41
	s_waitcnt lgkmcnt(0)
	v_cndmask_b32_e32 v16, 0, v16, vcc
	v_cmp_gt_u32_e32 vcc, 60, v41
	v_add_u32_e32 v15, v15, v16
	v_cndmask_b32_e64 v16, 0, 1, vcc
	v_lshlrev_b32_e32 v16, 2, v16
	v_add_lshl_u32 v45, v16, v35, 2
	ds_bpermute_b32 v16, v45, v15
	v_cmp_le_u32_e32 vcc, v46, v13
	v_add_u32_e32 v50, 16, v41
	v_add_u32_e32 v52, 32, v41
	s_waitcnt lgkmcnt(0)
	v_cndmask_b32_e32 v16, 0, v16, vcc
	v_cmp_gt_u32_e32 vcc, 56, v41
	v_add_u32_e32 v15, v15, v16
	v_cndmask_b32_e64 v16, 0, 1, vcc
	v_lshlrev_b32_e32 v16, 3, v16
	v_add_lshl_u32 v47, v16, v35, 2
	ds_bpermute_b32 v16, v47, v15
	v_cmp_le_u32_e32 vcc, v48, v13
	s_waitcnt lgkmcnt(0)
	v_cndmask_b32_e32 v16, 0, v16, vcc
	v_cmp_gt_u32_e32 vcc, 48, v41
	v_add_u32_e32 v15, v15, v16
	v_cndmask_b32_e64 v16, 0, 1, vcc
	v_lshlrev_b32_e32 v16, 4, v16
	v_add_lshl_u32 v49, v16, v35, 2
	ds_bpermute_b32 v16, v49, v15
	v_cmp_le_u32_e32 vcc, v50, v13
	;; [unrolled: 9-line block ×3, first 2 shown]
	s_waitcnt lgkmcnt(0)
	v_cndmask_b32_e32 v13, 0, v16, vcc
	v_add_u32_e32 v16, v15, v13
	v_mov_b32_e32 v15, 0
	s_branch .LBB3696_44
.LBB3696_43:                            ;   in Loop: Header=BB3696_44 Depth=1
	s_or_b64 exec, exec, s[38:39]
	v_cmp_eq_u16_sdwa s[38:39], v17, v40 src0_sel:BYTE_0 src1_sel:DWORD
	v_and_b32_e32 v20, s39, v19
	v_or_b32_e32 v20, 0x80000000, v20
	ds_bpermute_b32 v53, v42, v16
	v_and_b32_e32 v21, s38, v18
	v_ffbl_b32_e32 v20, v20
	v_add_u32_e32 v20, 32, v20
	v_ffbl_b32_e32 v21, v21
	v_min_u32_e32 v20, v21, v20
	v_cmp_lt_u32_e32 vcc, v41, v20
	s_waitcnt lgkmcnt(0)
	v_cndmask_b32_e32 v21, 0, v53, vcc
	v_add_u32_e32 v16, v21, v16
	ds_bpermute_b32 v21, v43, v16
	v_cmp_le_u32_e32 vcc, v44, v20
	v_subrev_u32_e32 v14, 64, v14
	s_waitcnt lgkmcnt(0)
	v_cndmask_b32_e32 v21, 0, v21, vcc
	v_add_u32_e32 v16, v16, v21
	ds_bpermute_b32 v21, v45, v16
	v_cmp_le_u32_e32 vcc, v46, v20
	s_waitcnt lgkmcnt(0)
	v_cndmask_b32_e32 v21, 0, v21, vcc
	v_add_u32_e32 v16, v16, v21
	ds_bpermute_b32 v21, v47, v16
	v_cmp_le_u32_e32 vcc, v48, v20
	;; [unrolled: 5-line block ×4, first 2 shown]
	s_waitcnt lgkmcnt(0)
	v_cndmask_b32_e32 v20, 0, v21, vcc
	v_add3_u32 v16, v20, v13, v16
.LBB3696_44:                            ; =>This Loop Header: Depth=1
                                        ;     Child Loop BB3696_47 Depth 2
	v_cmp_ne_u16_sdwa s[38:39], v17, v40 src0_sel:BYTE_0 src1_sel:DWORD
	v_cndmask_b32_e64 v13, 0, 1, s[38:39]
	;;#ASMSTART
	;;#ASMEND
	v_cmp_ne_u32_e32 vcc, 0, v13
	s_cmp_lg_u64 vcc, exec
	v_mov_b32_e32 v13, v16
	s_cbranch_scc1 .LBB3696_49
; %bb.45:                               ;   in Loop: Header=BB3696_44 Depth=1
	v_lshlrev_b64 v[16:17], 3, v[14:15]
	v_mov_b32_e32 v21, s35
	v_add_co_u32_e32 v20, vcc, s34, v16
	v_addc_co_u32_e32 v21, vcc, v21, v17, vcc
	global_load_dwordx2 v[16:17], v[20:21], off glc
	s_waitcnt vmcnt(0)
	v_cmp_eq_u16_sdwa s[40:41], v17, v15 src0_sel:BYTE_0 src1_sel:DWORD
	s_and_saveexec_b64 s[38:39], s[40:41]
	s_cbranch_execz .LBB3696_43
; %bb.46:                               ;   in Loop: Header=BB3696_44 Depth=1
	s_mov_b64 s[40:41], 0
.LBB3696_47:                            ;   Parent Loop BB3696_44 Depth=1
                                        ; =>  This Inner Loop Header: Depth=2
	global_load_dwordx2 v[16:17], v[20:21], off glc
	s_waitcnt vmcnt(0)
	v_cmp_ne_u16_sdwa s[42:43], v17, v15 src0_sel:BYTE_0 src1_sel:DWORD
	s_or_b64 s[40:41], s[42:43], s[40:41]
	s_andn2_b64 exec, exec, s[40:41]
	s_cbranch_execnz .LBB3696_47
; %bb.48:                               ;   in Loop: Header=BB3696_44 Depth=1
	s_or_b64 exec, exec, s[40:41]
	s_branch .LBB3696_43
.LBB3696_49:                            ;   in Loop: Header=BB3696_44 Depth=1
                                        ; implicit-def: $vgpr16
                                        ; implicit-def: $vgpr17
	s_cbranch_execz .LBB3696_44
; %bb.50:
	s_and_saveexec_b64 s[38:39], s[18:19]
	s_cbranch_execz .LBB3696_52
; %bb.51:
	s_add_i32 s6, s6, 64
	s_mov_b32 s7, 0
	s_lshl_b64 s[6:7], s[6:7], 3
	s_add_u32 s6, s34, s6
	v_add_u32_e32 v14, v13, v12
	v_mov_b32_e32 v15, 2
	s_addc_u32 s7, s35, s7
	v_mov_b32_e32 v16, 0
	global_store_dwordx2 v16, v[14:15], s[6:7]
	ds_write_b64 v16, v[12:13] offset:10240
.LBB3696_52:
	s_or_b64 exec, exec, s[38:39]
	v_cmp_eq_u32_e32 vcc, 0, v0
	s_and_b64 exec, exec, vcc
	s_cbranch_execz .LBB3696_54
; %bb.53:
	v_mov_b32_e32 v12, 0
	ds_write_b32 v12, v13 offset:12
.LBB3696_54:
	s_or_b64 exec, exec, s[36:37]
	v_mov_b32_e32 v12, 0
	s_waitcnt lgkmcnt(0)
	s_barrier
	ds_read_b32 v13, v12 offset:12
	v_cndmask_b32_e64 v14, v39, v38, s[18:19]
	v_cmp_ne_u32_e32 vcc, 0, v0
	v_cndmask_b32_e32 v14, 0, v14, vcc
	s_waitcnt lgkmcnt(0)
	v_add_u32_e32 v39, v13, v14
	v_add_u32_sdwa v38, v39, v26 dst_sel:DWORD dst_unused:UNUSED_PAD src0_sel:DWORD src1_sel:BYTE_0
	v_add_u32_sdwa v21, v38, v26 dst_sel:DWORD dst_unused:UNUSED_PAD src0_sel:DWORD src1_sel:BYTE_1
	v_add_u32_e32 v20, v21, v30
	v_add_u32_e32 v19, v20, v28
	v_add_u32_e32 v18, v19, v31
	s_barrier
	ds_read_b64 v[12:13], v12 offset:10240
	v_add_u32_e32 v17, v18, v32
	v_add_u32_e32 v16, v17, v33
	v_add_u32_e32 v15, v16, v27
	v_add_u32_e32 v14, v15, v34
	s_branch .LBB3696_65
.LBB3696_55:
                                        ; implicit-def: $vgpr13
                                        ; implicit-def: $vgpr14
                                        ; implicit-def: $vgpr15
                                        ; implicit-def: $vgpr16
                                        ; implicit-def: $vgpr17
                                        ; implicit-def: $vgpr18
                                        ; implicit-def: $vgpr19
                                        ; implicit-def: $vgpr20
                                        ; implicit-def: $vgpr21
                                        ; implicit-def: $vgpr38
                                        ; implicit-def: $vgpr39
	s_cbranch_execz .LBB3696_65
; %bb.56:
	s_waitcnt lgkmcnt(0)
	v_mov_b32_dpp v12, v37 row_shr:1 row_mask:0xf bank_mask:0xf
	v_cndmask_b32_e64 v12, v12, 0, s[16:17]
	v_add_u32_e32 v12, v12, v37
	s_nop 1
	v_mov_b32_dpp v13, v12 row_shr:2 row_mask:0xf bank_mask:0xf
	v_cndmask_b32_e64 v13, 0, v13, s[14:15]
	v_add_u32_e32 v12, v12, v13
	s_nop 1
	;; [unrolled: 4-line block ×4, first 2 shown]
	v_mov_b32_dpp v13, v12 row_bcast:15 row_mask:0xf bank_mask:0xf
	v_cndmask_b32_e64 v13, v13, 0, s[8:9]
	v_add_u32_e32 v12, v12, v13
	s_nop 1
	v_mov_b32_dpp v13, v12 row_bcast:31 row_mask:0xf bank_mask:0xf
	v_cndmask_b32_e64 v13, 0, v13, s[2:3]
	v_add_u32_e32 v12, v12, v13
	s_and_saveexec_b64 s[2:3], s[20:21]
	s_cbranch_execz .LBB3696_58
; %bb.57:
	v_lshlrev_b32_e32 v13, 2, v36
	ds_write_b32 v13, v12
.LBB3696_58:
	s_or_b64 exec, exec, s[2:3]
	v_cmp_gt_u32_e32 vcc, 4, v0
	s_waitcnt lgkmcnt(0)
	s_barrier
	s_and_saveexec_b64 s[2:3], vcc
	s_cbranch_execz .LBB3696_60
; %bb.59:
	s_movk_i32 s6, 0xffdc
	v_mad_i32_i24 v13, v0, s6, v29
	ds_read_b32 v14, v13
	v_and_b32_e32 v15, 3, v35
	v_cmp_ne_u32_e32 vcc, 0, v15
	s_waitcnt lgkmcnt(0)
	v_mov_b32_dpp v16, v14 row_shr:1 row_mask:0xf bank_mask:0xf
	v_cndmask_b32_e32 v16, 0, v16, vcc
	v_add_u32_e32 v14, v16, v14
	v_cmp_lt_u32_e32 vcc, 1, v15
	s_nop 0
	v_mov_b32_dpp v16, v14 row_shr:2 row_mask:0xf bank_mask:0xf
	v_cndmask_b32_e32 v15, 0, v16, vcc
	v_add_u32_e32 v14, v14, v15
	ds_write_b32 v13, v14
.LBB3696_60:
	s_or_b64 exec, exec, s[2:3]
	v_cmp_lt_u32_e32 vcc, 63, v0
	v_mov_b32_e32 v13, 0
	v_mov_b32_e32 v14, 0
	s_waitcnt lgkmcnt(0)
	s_barrier
	s_and_saveexec_b64 s[2:3], vcc
	s_cbranch_execz .LBB3696_62
; %bb.61:
	v_lshl_add_u32 v14, v36, 2, -4
	ds_read_b32 v14, v14
.LBB3696_62:
	s_or_b64 exec, exec, s[2:3]
	v_add_u32_e32 v15, -1, v35
	v_and_b32_e32 v16, 64, v35
	v_cmp_lt_i32_e32 vcc, v15, v16
	v_cndmask_b32_e32 v15, v15, v35, vcc
	s_waitcnt lgkmcnt(0)
	v_add_u32_e32 v12, v14, v12
	v_lshlrev_b32_e32 v15, 2, v15
	ds_bpermute_b32 v15, v15, v12
	ds_read_b32 v12, v13 offset:12
	v_cmp_eq_u32_e32 vcc, 0, v0
	s_and_saveexec_b64 s[2:3], vcc
	s_cbranch_execz .LBB3696_64
; %bb.63:
	v_mov_b32_e32 v16, 0
	v_mov_b32_e32 v13, 2
	s_waitcnt lgkmcnt(0)
	global_store_dwordx2 v16, v[12:13], s[34:35] offset:512
.LBB3696_64:
	s_or_b64 exec, exec, s[2:3]
	v_cmp_eq_u32_e64 s[2:3], 0, v35
	s_waitcnt lgkmcnt(1)
	v_cndmask_b32_e64 v14, v15, v14, s[2:3]
	v_cndmask_b32_e64 v39, v14, 0, vcc
	v_add_u32_sdwa v38, v39, v26 dst_sel:DWORD dst_unused:UNUSED_PAD src0_sel:DWORD src1_sel:BYTE_0
	v_add_u32_sdwa v21, v38, v26 dst_sel:DWORD dst_unused:UNUSED_PAD src0_sel:DWORD src1_sel:BYTE_1
	v_add_u32_e32 v20, v21, v30
	v_add_u32_e32 v19, v20, v28
	;; [unrolled: 1-line block ×6, first 2 shown]
	v_mov_b32_e32 v13, 0
	v_add_u32_e32 v14, v15, v34
	s_waitcnt lgkmcnt(0)
	s_barrier
.LBB3696_65:
	s_waitcnt lgkmcnt(0)
	v_add_u32_e32 v23, v12, v23
	v_sub_u32_e32 v31, v39, v13
	v_and_b32_e32 v33, 1, v26
	v_sub_u32_e32 v32, v23, v31
	v_cmp_eq_u32_e32 vcc, 1, v33
	v_cndmask_b32_e32 v31, v32, v31, vcc
	v_lshlrev_b32_e32 v31, 2, v31
	v_lshrrev_b32_e32 v30, 8, v26
	ds_write_b32 v31, v6
	v_sub_u32_e32 v6, v38, v13
	v_sub_u32_e32 v31, v23, v6
	v_and_b32_e32 v30, 1, v30
	v_add_u32_e32 v31, 1, v31
	v_cmp_eq_u32_e32 vcc, 1, v30
	v_cndmask_b32_e32 v6, v31, v6, vcc
	v_lshlrev_b32_e32 v6, 2, v6
	ds_write_b32 v6, v7
	v_sub_u32_e32 v6, v21, v13
	v_mov_b32_e32 v21, 1
	v_sub_u32_e32 v7, v23, v6
	v_and_b32_sdwa v26, v21, v26 dst_sel:DWORD dst_unused:UNUSED_PAD src0_sel:DWORD src1_sel:WORD_1
	v_add_u32_e32 v7, 2, v7
	v_cmp_eq_u32_e32 vcc, 1, v26
	v_cndmask_b32_e32 v6, v7, v6, vcc
	v_lshlrev_b32_e32 v6, 2, v6
	ds_write_b32 v6, v8
	v_sub_u32_e32 v6, v20, v13
	v_sub_u32_e32 v7, v23, v6
	v_and_b32_e32 v8, 1, v28
	v_add_u32_e32 v7, 3, v7
	v_cmp_eq_u32_e32 vcc, 1, v8
	v_cndmask_b32_e32 v6, v7, v6, vcc
	v_lshlrev_b32_e32 v6, 2, v6
	ds_write_b32 v6, v9
	v_sub_u32_e32 v6, v19, v13
	v_sub_u32_e32 v7, v23, v6
	v_and_b32_e32 v8, 1, v25
	v_add_u32_e32 v7, 4, v7
	v_cmp_eq_u32_e32 vcc, 1, v8
	v_cndmask_b32_e32 v6, v7, v6, vcc
	v_lshlrev_b32_e32 v6, 2, v6
	v_lshrrev_b32_e32 v29, 8, v25
	ds_write_b32 v6, v2
	v_sub_u32_e32 v2, v18, v13
	v_sub_u32_e32 v6, v23, v2
	v_and_b32_e32 v7, 1, v29
	v_add_u32_e32 v6, 5, v6
	v_cmp_eq_u32_e32 vcc, 1, v7
	v_cndmask_b32_e32 v2, v6, v2, vcc
	v_lshlrev_b32_e32 v2, 2, v2
	ds_write_b32 v2, v3
	v_sub_u32_e32 v2, v17, v13
	v_sub_u32_e32 v3, v23, v2
	v_and_b32_sdwa v6, v21, v25 dst_sel:DWORD dst_unused:UNUSED_PAD src0_sel:DWORD src1_sel:WORD_1
	v_add_u32_e32 v3, 6, v3
	v_cmp_eq_u32_e32 vcc, 1, v6
	v_cndmask_b32_e32 v2, v3, v2, vcc
	v_lshlrev_b32_e32 v2, 2, v2
	ds_write_b32 v2, v4
	v_sub_u32_e32 v2, v16, v13
	v_sub_u32_e32 v3, v23, v2
	v_and_b32_e32 v4, 1, v27
	v_add_u32_e32 v3, 7, v3
	v_cmp_eq_u32_e32 vcc, 1, v4
	v_cndmask_b32_e32 v2, v3, v2, vcc
	v_lshlrev_b32_e32 v2, 2, v2
	ds_write_b32 v2, v5
	v_sub_u32_e32 v2, v15, v13
	v_sub_u32_e32 v3, v23, v2
	v_and_b32_e32 v4, 1, v24
	;; [unrolled: 8-line block ×3, first 2 shown]
	v_add_u32_e32 v3, 9, v3
	v_cmp_eq_u32_e32 vcc, 1, v4
	v_cndmask_b32_e32 v2, v3, v2, vcc
	v_lshlrev_b32_e32 v2, 2, v2
	ds_write_b32 v2, v11
	v_mov_b32_e32 v2, s31
	v_add_co_u32_e32 v28, vcc, s30, v13
	v_addc_co_u32_e32 v29, vcc, 0, v2, vcc
	s_load_dwordx4 s[4:7], s[4:5], 0x28
	v_add_co_u32_e32 v2, vcc, v28, v12
	v_addc_co_u32_e32 v3, vcc, 0, v29, vcc
	v_mov_b32_e32 v13, s23
	v_sub_co_u32_e32 v18, vcc, s22, v2
	v_subb_co_u32_e32 v19, vcc, v13, v3, vcc
	v_lshlrev_b64 v[18:19], 2, v[18:19]
	s_waitcnt lgkmcnt(0)
	v_mov_b32_e32 v13, s7
	v_add_co_u32_e32 v18, vcc, s6, v18
	s_barrier
	ds_read2st64_b32 v[14:15], v1 offset1:4
	ds_read2st64_b32 v[10:11], v1 offset0:8 offset1:12
	ds_read2st64_b32 v[8:9], v1 offset0:16 offset1:20
	ds_read2st64_b32 v[6:7], v1 offset0:24 offset1:28
	ds_read2st64_b32 v[4:5], v1 offset0:32 offset1:36
	v_addc_co_u32_e32 v19, vcc, v13, v19, vcc
	v_mov_b32_e32 v20, s29
	v_add_co_u32_e32 v13, vcc, s28, v18
	v_addc_co_u32_e32 v18, vcc, v19, v20, vcc
	v_lshlrev_b64 v[28:29], 2, v[28:29]
	v_mov_b32_e32 v20, s5
	s_and_b64 vcc, exec, s[0:1]
	v_add_co_u32_e64 v19, s[0:1], s4, v28
	v_or_b32_e32 v27, 0x100, v0
	v_or_b32_e32 v26, 0x200, v0
	;; [unrolled: 1-line block ×9, first 2 shown]
	v_addc_co_u32_e64 v20, s[0:1], v20, v29, s[0:1]
	s_cbranch_vccnz .LBB3696_67
; %bb.66:
	v_cmp_gt_u32_e32 vcc, v12, v0
	v_cndmask_b32_e32 v28, v13, v19, vcc
	v_cndmask_b32_e32 v29, v18, v20, vcc
	v_add_co_u32_e32 v28, vcc, v28, v1
	v_addc_co_u32_e32 v29, vcc, 0, v29, vcc
	v_cmp_lt_u32_e32 vcc, v27, v12
	s_waitcnt lgkmcnt(4)
	global_store_dword v[28:29], v14, off
	v_cndmask_b32_e32 v28, v13, v19, vcc
	v_cndmask_b32_e32 v29, v18, v20, vcc
	v_add_co_u32_e32 v28, vcc, v28, v1
	v_addc_co_u32_e32 v29, vcc, 0, v29, vcc
	v_cmp_lt_u32_e32 vcc, v26, v12
	global_store_dword v[28:29], v15, off offset:1024
	v_cndmask_b32_e32 v28, v13, v19, vcc
	v_cndmask_b32_e32 v29, v18, v20, vcc
	v_add_co_u32_e32 v28, vcc, v28, v1
	v_addc_co_u32_e32 v29, vcc, 0, v29, vcc
	v_cmp_lt_u32_e32 vcc, v25, v12
	s_waitcnt lgkmcnt(3)
	global_store_dword v[28:29], v10, off offset:2048
	v_cndmask_b32_e32 v28, v13, v19, vcc
	v_cndmask_b32_e32 v29, v18, v20, vcc
	v_add_co_u32_e32 v28, vcc, v28, v1
	v_addc_co_u32_e32 v29, vcc, 0, v29, vcc
	v_cmp_lt_u32_e32 vcc, v24, v12
	global_store_dword v[28:29], v11, off offset:3072
	v_cndmask_b32_e32 v28, v13, v19, vcc
	v_lshlrev_b32_e32 v30, 2, v24
	v_cndmask_b32_e32 v29, v18, v20, vcc
	v_add_co_u32_e32 v28, vcc, v28, v30
	v_addc_co_u32_e32 v29, vcc, 0, v29, vcc
	v_cmp_lt_u32_e32 vcc, v23, v12
	s_waitcnt lgkmcnt(2)
	global_store_dword v[28:29], v8, off
	v_cndmask_b32_e32 v28, v13, v19, vcc
	v_lshlrev_b32_e32 v30, 2, v23
	v_cndmask_b32_e32 v29, v18, v20, vcc
	v_add_co_u32_e32 v28, vcc, v28, v30
	v_addc_co_u32_e32 v29, vcc, 0, v29, vcc
	v_cmp_lt_u32_e32 vcc, v22, v12
	global_store_dword v[28:29], v9, off
	v_cndmask_b32_e32 v28, v13, v19, vcc
	v_lshlrev_b32_e32 v30, 2, v22
	v_cndmask_b32_e32 v29, v18, v20, vcc
	v_add_co_u32_e32 v28, vcc, v28, v30
	v_addc_co_u32_e32 v29, vcc, 0, v29, vcc
	v_cmp_lt_u32_e32 vcc, v21, v12
	s_waitcnt lgkmcnt(1)
	global_store_dword v[28:29], v6, off
	v_cndmask_b32_e32 v28, v13, v19, vcc
	v_lshlrev_b32_e32 v30, 2, v21
	v_cndmask_b32_e32 v29, v18, v20, vcc
	v_add_co_u32_e32 v28, vcc, v28, v30
	v_addc_co_u32_e32 v29, vcc, 0, v29, vcc
	v_cmp_lt_u32_e32 vcc, v17, v12
	global_store_dword v[28:29], v7, off
	v_cndmask_b32_e32 v28, v13, v19, vcc
	v_lshlrev_b32_e32 v30, 2, v17
	v_cndmask_b32_e32 v29, v18, v20, vcc
	v_add_co_u32_e32 v28, vcc, v28, v30
	v_addc_co_u32_e32 v29, vcc, 0, v29, vcc
	s_mov_b64 s[0:1], -1
	s_waitcnt lgkmcnt(0)
	global_store_dword v[28:29], v4, off
	s_cbranch_execz .LBB3696_68
	s_branch .LBB3696_79
.LBB3696_67:
	s_mov_b64 s[0:1], 0
.LBB3696_68:
	v_cmp_gt_u32_e32 vcc, s33, v0
	s_and_saveexec_b64 s[0:1], vcc
	s_cbranch_execnz .LBB3696_84
; %bb.69:
	s_or_b64 exec, exec, s[0:1]
	v_cmp_gt_u32_e32 vcc, s33, v27
	s_and_saveexec_b64 s[0:1], vcc
	s_cbranch_execnz .LBB3696_85
.LBB3696_70:
	s_or_b64 exec, exec, s[0:1]
	v_cmp_gt_u32_e32 vcc, s33, v26
	s_and_saveexec_b64 s[0:1], vcc
	s_cbranch_execnz .LBB3696_86
.LBB3696_71:
	s_or_b64 exec, exec, s[0:1]
	v_cmp_gt_u32_e32 vcc, s33, v25
	s_and_saveexec_b64 s[0:1], vcc
	s_cbranch_execnz .LBB3696_87
.LBB3696_72:
	s_or_b64 exec, exec, s[0:1]
	v_cmp_gt_u32_e32 vcc, s33, v24
	s_and_saveexec_b64 s[0:1], vcc
	s_cbranch_execnz .LBB3696_88
.LBB3696_73:
	s_or_b64 exec, exec, s[0:1]
	v_cmp_gt_u32_e32 vcc, s33, v23
	s_and_saveexec_b64 s[0:1], vcc
	s_cbranch_execnz .LBB3696_89
.LBB3696_74:
	s_or_b64 exec, exec, s[0:1]
	v_cmp_gt_u32_e32 vcc, s33, v22
	s_and_saveexec_b64 s[0:1], vcc
	s_cbranch_execnz .LBB3696_90
.LBB3696_75:
	s_or_b64 exec, exec, s[0:1]
	v_cmp_gt_u32_e32 vcc, s33, v21
	s_and_saveexec_b64 s[0:1], vcc
	s_cbranch_execnz .LBB3696_91
.LBB3696_76:
	s_or_b64 exec, exec, s[0:1]
	v_cmp_gt_u32_e32 vcc, s33, v17
	s_and_saveexec_b64 s[0:1], vcc
	s_cbranch_execz .LBB3696_78
.LBB3696_77:
	v_cmp_lt_u32_e32 vcc, v17, v12
	s_waitcnt lgkmcnt(1)
	v_cndmask_b32_e32 v6, v13, v19, vcc
	v_lshlrev_b32_e32 v7, 2, v17
	v_cndmask_b32_e32 v1, v18, v20, vcc
	v_add_co_u32_e32 v6, vcc, v6, v7
	v_addc_co_u32_e32 v7, vcc, 0, v1, vcc
	s_waitcnt lgkmcnt(0)
	global_store_dword v[6:7], v4, off
.LBB3696_78:
	s_or_b64 exec, exec, s[0:1]
	v_cmp_gt_u32_e64 s[0:1], s33, v16
.LBB3696_79:
	s_and_saveexec_b64 s[2:3], s[0:1]
	s_cbranch_execz .LBB3696_81
; %bb.80:
	v_cmp_lt_u32_e32 vcc, v16, v12
	s_waitcnt lgkmcnt(0)
	v_cndmask_b32_e32 v4, v13, v19, vcc
	v_lshlrev_b32_e32 v6, 2, v16
	v_cndmask_b32_e32 v1, v18, v20, vcc
	v_add_co_u32_e32 v6, vcc, v4, v6
	v_addc_co_u32_e32 v7, vcc, 0, v1, vcc
	global_store_dword v[6:7], v5, off
.LBB3696_81:
	s_or_b64 exec, exec, s[2:3]
	v_cmp_eq_u32_e32 vcc, 0, v0
	s_and_b64 s[0:1], vcc, s[26:27]
	s_and_saveexec_b64 s[2:3], s[0:1]
	s_cbranch_execz .LBB3696_83
; %bb.82:
	v_mov_b32_e32 v0, 0
	global_store_dwordx2 v0, v[2:3], s[24:25]
.LBB3696_83:
	s_endpgm
.LBB3696_84:
	v_cmp_gt_u32_e32 vcc, v12, v0
	v_cndmask_b32_e32 v28, v13, v19, vcc
	v_cndmask_b32_e32 v29, v18, v20, vcc
	v_add_co_u32_e32 v28, vcc, v28, v1
	v_addc_co_u32_e32 v29, vcc, 0, v29, vcc
	s_waitcnt lgkmcnt(4)
	global_store_dword v[28:29], v14, off
	s_or_b64 exec, exec, s[0:1]
	v_cmp_gt_u32_e32 vcc, s33, v27
	s_and_saveexec_b64 s[0:1], vcc
	s_cbranch_execz .LBB3696_70
.LBB3696_85:
	v_cmp_lt_u32_e32 vcc, v27, v12
	v_cndmask_b32_e32 v27, v13, v19, vcc
	s_waitcnt lgkmcnt(4)
	v_cndmask_b32_e32 v14, v18, v20, vcc
	v_add_co_u32_e32 v28, vcc, v27, v1
	v_addc_co_u32_e32 v29, vcc, 0, v14, vcc
	global_store_dword v[28:29], v15, off offset:1024
	s_or_b64 exec, exec, s[0:1]
	v_cmp_gt_u32_e32 vcc, s33, v26
	s_and_saveexec_b64 s[0:1], vcc
	s_cbranch_execz .LBB3696_71
.LBB3696_86:
	v_cmp_lt_u32_e32 vcc, v26, v12
	s_waitcnt lgkmcnt(4)
	v_cndmask_b32_e32 v14, v13, v19, vcc
	v_cndmask_b32_e32 v15, v18, v20, vcc
	v_add_co_u32_e32 v14, vcc, v14, v1
	v_addc_co_u32_e32 v15, vcc, 0, v15, vcc
	s_waitcnt lgkmcnt(3)
	global_store_dword v[14:15], v10, off offset:2048
	s_or_b64 exec, exec, s[0:1]
	v_cmp_gt_u32_e32 vcc, s33, v25
	s_and_saveexec_b64 s[0:1], vcc
	s_cbranch_execz .LBB3696_72
.LBB3696_87:
	v_cmp_lt_u32_e32 vcc, v25, v12
	s_waitcnt lgkmcnt(4)
	v_cndmask_b32_e32 v14, v13, v19, vcc
	s_waitcnt lgkmcnt(3)
	v_cndmask_b32_e32 v10, v18, v20, vcc
	v_add_co_u32_e32 v14, vcc, v14, v1
	v_addc_co_u32_e32 v15, vcc, 0, v10, vcc
	global_store_dword v[14:15], v11, off offset:3072
	s_or_b64 exec, exec, s[0:1]
	v_cmp_gt_u32_e32 vcc, s33, v24
	s_and_saveexec_b64 s[0:1], vcc
	s_cbranch_execz .LBB3696_73
.LBB3696_88:
	v_cmp_lt_u32_e32 vcc, v24, v12
	s_waitcnt lgkmcnt(3)
	v_cndmask_b32_e32 v10, v13, v19, vcc
	v_lshlrev_b32_e32 v11, 2, v24
	v_cndmask_b32_e32 v1, v18, v20, vcc
	v_add_co_u32_e32 v10, vcc, v10, v11
	v_addc_co_u32_e32 v11, vcc, 0, v1, vcc
	s_waitcnt lgkmcnt(2)
	global_store_dword v[10:11], v8, off
	s_or_b64 exec, exec, s[0:1]
	v_cmp_gt_u32_e32 vcc, s33, v23
	s_and_saveexec_b64 s[0:1], vcc
	s_cbranch_execz .LBB3696_74
.LBB3696_89:
	v_cmp_lt_u32_e32 vcc, v23, v12
	s_waitcnt lgkmcnt(2)
	v_cndmask_b32_e32 v8, v13, v19, vcc
	v_lshlrev_b32_e32 v10, 2, v23
	v_cndmask_b32_e32 v1, v18, v20, vcc
	v_add_co_u32_e32 v10, vcc, v8, v10
	v_addc_co_u32_e32 v11, vcc, 0, v1, vcc
	global_store_dword v[10:11], v9, off
	s_or_b64 exec, exec, s[0:1]
	v_cmp_gt_u32_e32 vcc, s33, v22
	s_and_saveexec_b64 s[0:1], vcc
	s_cbranch_execz .LBB3696_75
.LBB3696_90:
	v_cmp_lt_u32_e32 vcc, v22, v12
	s_waitcnt lgkmcnt(2)
	v_cndmask_b32_e32 v8, v13, v19, vcc
	v_lshlrev_b32_e32 v9, 2, v22
	v_cndmask_b32_e32 v1, v18, v20, vcc
	v_add_co_u32_e32 v8, vcc, v8, v9
	v_addc_co_u32_e32 v9, vcc, 0, v1, vcc
	s_waitcnt lgkmcnt(1)
	global_store_dword v[8:9], v6, off
	s_or_b64 exec, exec, s[0:1]
	v_cmp_gt_u32_e32 vcc, s33, v21
	s_and_saveexec_b64 s[0:1], vcc
	s_cbranch_execz .LBB3696_76
.LBB3696_91:
	v_cmp_lt_u32_e32 vcc, v21, v12
	s_waitcnt lgkmcnt(1)
	v_cndmask_b32_e32 v6, v13, v19, vcc
	v_lshlrev_b32_e32 v8, 2, v21
	v_cndmask_b32_e32 v1, v18, v20, vcc
	v_add_co_u32_e32 v8, vcc, v6, v8
	v_addc_co_u32_e32 v9, vcc, 0, v1, vcc
	global_store_dword v[8:9], v7, off
	s_or_b64 exec, exec, s[0:1]
	v_cmp_gt_u32_e32 vcc, s33, v17
	s_and_saveexec_b64 s[0:1], vcc
	s_cbranch_execnz .LBB3696_77
	s_branch .LBB3696_78
	.section	.rodata,"a",@progbits
	.p2align	6, 0x0
	.amdhsa_kernel _ZN7rocprim17ROCPRIM_400000_NS6detail17trampoline_kernelINS0_14default_configENS1_25partition_config_selectorILNS1_17partition_subalgoE0EiNS0_10empty_typeEbEEZZNS1_14partition_implILS5_0ELb0ES3_jN6thrust23THRUST_200600_302600_NS10device_ptrIiEEPS6_SD_NS0_5tupleIJSC_SC_EEENSE_IJSD_SD_EEES6_PlJ7is_evenIiEEEE10hipError_tPvRmT3_T4_T5_T6_T7_T9_mT8_P12ihipStream_tbDpT10_ENKUlT_T0_E_clISt17integral_constantIbLb0EES13_EEDaSY_SZ_EUlSY_E_NS1_11comp_targetILNS1_3genE4ELNS1_11target_archE910ELNS1_3gpuE8ELNS1_3repE0EEENS1_30default_config_static_selectorELNS0_4arch9wavefront6targetE1EEEvT1_
		.amdhsa_group_segment_fixed_size 10248
		.amdhsa_private_segment_fixed_size 0
		.amdhsa_kernarg_size 120
		.amdhsa_user_sgpr_count 6
		.amdhsa_user_sgpr_private_segment_buffer 1
		.amdhsa_user_sgpr_dispatch_ptr 0
		.amdhsa_user_sgpr_queue_ptr 0
		.amdhsa_user_sgpr_kernarg_segment_ptr 1
		.amdhsa_user_sgpr_dispatch_id 0
		.amdhsa_user_sgpr_flat_scratch_init 0
		.amdhsa_user_sgpr_kernarg_preload_length 0
		.amdhsa_user_sgpr_kernarg_preload_offset 0
		.amdhsa_user_sgpr_private_segment_size 0
		.amdhsa_uses_dynamic_stack 0
		.amdhsa_system_sgpr_private_segment_wavefront_offset 0
		.amdhsa_system_sgpr_workgroup_id_x 1
		.amdhsa_system_sgpr_workgroup_id_y 0
		.amdhsa_system_sgpr_workgroup_id_z 0
		.amdhsa_system_sgpr_workgroup_info 0
		.amdhsa_system_vgpr_workitem_id 0
		.amdhsa_next_free_vgpr 54
		.amdhsa_next_free_sgpr 44
		.amdhsa_accum_offset 56
		.amdhsa_reserve_vcc 1
		.amdhsa_reserve_flat_scratch 0
		.amdhsa_float_round_mode_32 0
		.amdhsa_float_round_mode_16_64 0
		.amdhsa_float_denorm_mode_32 3
		.amdhsa_float_denorm_mode_16_64 3
		.amdhsa_dx10_clamp 1
		.amdhsa_ieee_mode 1
		.amdhsa_fp16_overflow 0
		.amdhsa_tg_split 0
		.amdhsa_exception_fp_ieee_invalid_op 0
		.amdhsa_exception_fp_denorm_src 0
		.amdhsa_exception_fp_ieee_div_zero 0
		.amdhsa_exception_fp_ieee_overflow 0
		.amdhsa_exception_fp_ieee_underflow 0
		.amdhsa_exception_fp_ieee_inexact 0
		.amdhsa_exception_int_div_zero 0
	.end_amdhsa_kernel
	.section	.text._ZN7rocprim17ROCPRIM_400000_NS6detail17trampoline_kernelINS0_14default_configENS1_25partition_config_selectorILNS1_17partition_subalgoE0EiNS0_10empty_typeEbEEZZNS1_14partition_implILS5_0ELb0ES3_jN6thrust23THRUST_200600_302600_NS10device_ptrIiEEPS6_SD_NS0_5tupleIJSC_SC_EEENSE_IJSD_SD_EEES6_PlJ7is_evenIiEEEE10hipError_tPvRmT3_T4_T5_T6_T7_T9_mT8_P12ihipStream_tbDpT10_ENKUlT_T0_E_clISt17integral_constantIbLb0EES13_EEDaSY_SZ_EUlSY_E_NS1_11comp_targetILNS1_3genE4ELNS1_11target_archE910ELNS1_3gpuE8ELNS1_3repE0EEENS1_30default_config_static_selectorELNS0_4arch9wavefront6targetE1EEEvT1_,"axG",@progbits,_ZN7rocprim17ROCPRIM_400000_NS6detail17trampoline_kernelINS0_14default_configENS1_25partition_config_selectorILNS1_17partition_subalgoE0EiNS0_10empty_typeEbEEZZNS1_14partition_implILS5_0ELb0ES3_jN6thrust23THRUST_200600_302600_NS10device_ptrIiEEPS6_SD_NS0_5tupleIJSC_SC_EEENSE_IJSD_SD_EEES6_PlJ7is_evenIiEEEE10hipError_tPvRmT3_T4_T5_T6_T7_T9_mT8_P12ihipStream_tbDpT10_ENKUlT_T0_E_clISt17integral_constantIbLb0EES13_EEDaSY_SZ_EUlSY_E_NS1_11comp_targetILNS1_3genE4ELNS1_11target_archE910ELNS1_3gpuE8ELNS1_3repE0EEENS1_30default_config_static_selectorELNS0_4arch9wavefront6targetE1EEEvT1_,comdat
.Lfunc_end3696:
	.size	_ZN7rocprim17ROCPRIM_400000_NS6detail17trampoline_kernelINS0_14default_configENS1_25partition_config_selectorILNS1_17partition_subalgoE0EiNS0_10empty_typeEbEEZZNS1_14partition_implILS5_0ELb0ES3_jN6thrust23THRUST_200600_302600_NS10device_ptrIiEEPS6_SD_NS0_5tupleIJSC_SC_EEENSE_IJSD_SD_EEES6_PlJ7is_evenIiEEEE10hipError_tPvRmT3_T4_T5_T6_T7_T9_mT8_P12ihipStream_tbDpT10_ENKUlT_T0_E_clISt17integral_constantIbLb0EES13_EEDaSY_SZ_EUlSY_E_NS1_11comp_targetILNS1_3genE4ELNS1_11target_archE910ELNS1_3gpuE8ELNS1_3repE0EEENS1_30default_config_static_selectorELNS0_4arch9wavefront6targetE1EEEvT1_, .Lfunc_end3696-_ZN7rocprim17ROCPRIM_400000_NS6detail17trampoline_kernelINS0_14default_configENS1_25partition_config_selectorILNS1_17partition_subalgoE0EiNS0_10empty_typeEbEEZZNS1_14partition_implILS5_0ELb0ES3_jN6thrust23THRUST_200600_302600_NS10device_ptrIiEEPS6_SD_NS0_5tupleIJSC_SC_EEENSE_IJSD_SD_EEES6_PlJ7is_evenIiEEEE10hipError_tPvRmT3_T4_T5_T6_T7_T9_mT8_P12ihipStream_tbDpT10_ENKUlT_T0_E_clISt17integral_constantIbLb0EES13_EEDaSY_SZ_EUlSY_E_NS1_11comp_targetILNS1_3genE4ELNS1_11target_archE910ELNS1_3gpuE8ELNS1_3repE0EEENS1_30default_config_static_selectorELNS0_4arch9wavefront6targetE1EEEvT1_
                                        ; -- End function
	.section	.AMDGPU.csdata,"",@progbits
; Kernel info:
; codeLenInByte = 5048
; NumSgprs: 48
; NumVgprs: 54
; NumAgprs: 0
; TotalNumVgprs: 54
; ScratchSize: 0
; MemoryBound: 0
; FloatMode: 240
; IeeeMode: 1
; LDSByteSize: 10248 bytes/workgroup (compile time only)
; SGPRBlocks: 5
; VGPRBlocks: 6
; NumSGPRsForWavesPerEU: 48
; NumVGPRsForWavesPerEU: 54
; AccumOffset: 56
; Occupancy: 6
; WaveLimiterHint : 1
; COMPUTE_PGM_RSRC2:SCRATCH_EN: 0
; COMPUTE_PGM_RSRC2:USER_SGPR: 6
; COMPUTE_PGM_RSRC2:TRAP_HANDLER: 0
; COMPUTE_PGM_RSRC2:TGID_X_EN: 1
; COMPUTE_PGM_RSRC2:TGID_Y_EN: 0
; COMPUTE_PGM_RSRC2:TGID_Z_EN: 0
; COMPUTE_PGM_RSRC2:TIDIG_COMP_CNT: 0
; COMPUTE_PGM_RSRC3_GFX90A:ACCUM_OFFSET: 13
; COMPUTE_PGM_RSRC3_GFX90A:TG_SPLIT: 0
	.section	.text._ZN7rocprim17ROCPRIM_400000_NS6detail17trampoline_kernelINS0_14default_configENS1_25partition_config_selectorILNS1_17partition_subalgoE0EiNS0_10empty_typeEbEEZZNS1_14partition_implILS5_0ELb0ES3_jN6thrust23THRUST_200600_302600_NS10device_ptrIiEEPS6_SD_NS0_5tupleIJSC_SC_EEENSE_IJSD_SD_EEES6_PlJ7is_evenIiEEEE10hipError_tPvRmT3_T4_T5_T6_T7_T9_mT8_P12ihipStream_tbDpT10_ENKUlT_T0_E_clISt17integral_constantIbLb0EES13_EEDaSY_SZ_EUlSY_E_NS1_11comp_targetILNS1_3genE3ELNS1_11target_archE908ELNS1_3gpuE7ELNS1_3repE0EEENS1_30default_config_static_selectorELNS0_4arch9wavefront6targetE1EEEvT1_,"axG",@progbits,_ZN7rocprim17ROCPRIM_400000_NS6detail17trampoline_kernelINS0_14default_configENS1_25partition_config_selectorILNS1_17partition_subalgoE0EiNS0_10empty_typeEbEEZZNS1_14partition_implILS5_0ELb0ES3_jN6thrust23THRUST_200600_302600_NS10device_ptrIiEEPS6_SD_NS0_5tupleIJSC_SC_EEENSE_IJSD_SD_EEES6_PlJ7is_evenIiEEEE10hipError_tPvRmT3_T4_T5_T6_T7_T9_mT8_P12ihipStream_tbDpT10_ENKUlT_T0_E_clISt17integral_constantIbLb0EES13_EEDaSY_SZ_EUlSY_E_NS1_11comp_targetILNS1_3genE3ELNS1_11target_archE908ELNS1_3gpuE7ELNS1_3repE0EEENS1_30default_config_static_selectorELNS0_4arch9wavefront6targetE1EEEvT1_,comdat
	.protected	_ZN7rocprim17ROCPRIM_400000_NS6detail17trampoline_kernelINS0_14default_configENS1_25partition_config_selectorILNS1_17partition_subalgoE0EiNS0_10empty_typeEbEEZZNS1_14partition_implILS5_0ELb0ES3_jN6thrust23THRUST_200600_302600_NS10device_ptrIiEEPS6_SD_NS0_5tupleIJSC_SC_EEENSE_IJSD_SD_EEES6_PlJ7is_evenIiEEEE10hipError_tPvRmT3_T4_T5_T6_T7_T9_mT8_P12ihipStream_tbDpT10_ENKUlT_T0_E_clISt17integral_constantIbLb0EES13_EEDaSY_SZ_EUlSY_E_NS1_11comp_targetILNS1_3genE3ELNS1_11target_archE908ELNS1_3gpuE7ELNS1_3repE0EEENS1_30default_config_static_selectorELNS0_4arch9wavefront6targetE1EEEvT1_ ; -- Begin function _ZN7rocprim17ROCPRIM_400000_NS6detail17trampoline_kernelINS0_14default_configENS1_25partition_config_selectorILNS1_17partition_subalgoE0EiNS0_10empty_typeEbEEZZNS1_14partition_implILS5_0ELb0ES3_jN6thrust23THRUST_200600_302600_NS10device_ptrIiEEPS6_SD_NS0_5tupleIJSC_SC_EEENSE_IJSD_SD_EEES6_PlJ7is_evenIiEEEE10hipError_tPvRmT3_T4_T5_T6_T7_T9_mT8_P12ihipStream_tbDpT10_ENKUlT_T0_E_clISt17integral_constantIbLb0EES13_EEDaSY_SZ_EUlSY_E_NS1_11comp_targetILNS1_3genE3ELNS1_11target_archE908ELNS1_3gpuE7ELNS1_3repE0EEENS1_30default_config_static_selectorELNS0_4arch9wavefront6targetE1EEEvT1_
	.globl	_ZN7rocprim17ROCPRIM_400000_NS6detail17trampoline_kernelINS0_14default_configENS1_25partition_config_selectorILNS1_17partition_subalgoE0EiNS0_10empty_typeEbEEZZNS1_14partition_implILS5_0ELb0ES3_jN6thrust23THRUST_200600_302600_NS10device_ptrIiEEPS6_SD_NS0_5tupleIJSC_SC_EEENSE_IJSD_SD_EEES6_PlJ7is_evenIiEEEE10hipError_tPvRmT3_T4_T5_T6_T7_T9_mT8_P12ihipStream_tbDpT10_ENKUlT_T0_E_clISt17integral_constantIbLb0EES13_EEDaSY_SZ_EUlSY_E_NS1_11comp_targetILNS1_3genE3ELNS1_11target_archE908ELNS1_3gpuE7ELNS1_3repE0EEENS1_30default_config_static_selectorELNS0_4arch9wavefront6targetE1EEEvT1_
	.p2align	8
	.type	_ZN7rocprim17ROCPRIM_400000_NS6detail17trampoline_kernelINS0_14default_configENS1_25partition_config_selectorILNS1_17partition_subalgoE0EiNS0_10empty_typeEbEEZZNS1_14partition_implILS5_0ELb0ES3_jN6thrust23THRUST_200600_302600_NS10device_ptrIiEEPS6_SD_NS0_5tupleIJSC_SC_EEENSE_IJSD_SD_EEES6_PlJ7is_evenIiEEEE10hipError_tPvRmT3_T4_T5_T6_T7_T9_mT8_P12ihipStream_tbDpT10_ENKUlT_T0_E_clISt17integral_constantIbLb0EES13_EEDaSY_SZ_EUlSY_E_NS1_11comp_targetILNS1_3genE3ELNS1_11target_archE908ELNS1_3gpuE7ELNS1_3repE0EEENS1_30default_config_static_selectorELNS0_4arch9wavefront6targetE1EEEvT1_,@function
_ZN7rocprim17ROCPRIM_400000_NS6detail17trampoline_kernelINS0_14default_configENS1_25partition_config_selectorILNS1_17partition_subalgoE0EiNS0_10empty_typeEbEEZZNS1_14partition_implILS5_0ELb0ES3_jN6thrust23THRUST_200600_302600_NS10device_ptrIiEEPS6_SD_NS0_5tupleIJSC_SC_EEENSE_IJSD_SD_EEES6_PlJ7is_evenIiEEEE10hipError_tPvRmT3_T4_T5_T6_T7_T9_mT8_P12ihipStream_tbDpT10_ENKUlT_T0_E_clISt17integral_constantIbLb0EES13_EEDaSY_SZ_EUlSY_E_NS1_11comp_targetILNS1_3genE3ELNS1_11target_archE908ELNS1_3gpuE7ELNS1_3repE0EEENS1_30default_config_static_selectorELNS0_4arch9wavefront6targetE1EEEvT1_: ; @_ZN7rocprim17ROCPRIM_400000_NS6detail17trampoline_kernelINS0_14default_configENS1_25partition_config_selectorILNS1_17partition_subalgoE0EiNS0_10empty_typeEbEEZZNS1_14partition_implILS5_0ELb0ES3_jN6thrust23THRUST_200600_302600_NS10device_ptrIiEEPS6_SD_NS0_5tupleIJSC_SC_EEENSE_IJSD_SD_EEES6_PlJ7is_evenIiEEEE10hipError_tPvRmT3_T4_T5_T6_T7_T9_mT8_P12ihipStream_tbDpT10_ENKUlT_T0_E_clISt17integral_constantIbLb0EES13_EEDaSY_SZ_EUlSY_E_NS1_11comp_targetILNS1_3genE3ELNS1_11target_archE908ELNS1_3gpuE7ELNS1_3repE0EEENS1_30default_config_static_selectorELNS0_4arch9wavefront6targetE1EEEvT1_
; %bb.0:
	.section	.rodata,"a",@progbits
	.p2align	6, 0x0
	.amdhsa_kernel _ZN7rocprim17ROCPRIM_400000_NS6detail17trampoline_kernelINS0_14default_configENS1_25partition_config_selectorILNS1_17partition_subalgoE0EiNS0_10empty_typeEbEEZZNS1_14partition_implILS5_0ELb0ES3_jN6thrust23THRUST_200600_302600_NS10device_ptrIiEEPS6_SD_NS0_5tupleIJSC_SC_EEENSE_IJSD_SD_EEES6_PlJ7is_evenIiEEEE10hipError_tPvRmT3_T4_T5_T6_T7_T9_mT8_P12ihipStream_tbDpT10_ENKUlT_T0_E_clISt17integral_constantIbLb0EES13_EEDaSY_SZ_EUlSY_E_NS1_11comp_targetILNS1_3genE3ELNS1_11target_archE908ELNS1_3gpuE7ELNS1_3repE0EEENS1_30default_config_static_selectorELNS0_4arch9wavefront6targetE1EEEvT1_
		.amdhsa_group_segment_fixed_size 0
		.amdhsa_private_segment_fixed_size 0
		.amdhsa_kernarg_size 120
		.amdhsa_user_sgpr_count 6
		.amdhsa_user_sgpr_private_segment_buffer 1
		.amdhsa_user_sgpr_dispatch_ptr 0
		.amdhsa_user_sgpr_queue_ptr 0
		.amdhsa_user_sgpr_kernarg_segment_ptr 1
		.amdhsa_user_sgpr_dispatch_id 0
		.amdhsa_user_sgpr_flat_scratch_init 0
		.amdhsa_user_sgpr_kernarg_preload_length 0
		.amdhsa_user_sgpr_kernarg_preload_offset 0
		.amdhsa_user_sgpr_private_segment_size 0
		.amdhsa_uses_dynamic_stack 0
		.amdhsa_system_sgpr_private_segment_wavefront_offset 0
		.amdhsa_system_sgpr_workgroup_id_x 1
		.amdhsa_system_sgpr_workgroup_id_y 0
		.amdhsa_system_sgpr_workgroup_id_z 0
		.amdhsa_system_sgpr_workgroup_info 0
		.amdhsa_system_vgpr_workitem_id 0
		.amdhsa_next_free_vgpr 1
		.amdhsa_next_free_sgpr 0
		.amdhsa_accum_offset 4
		.amdhsa_reserve_vcc 0
		.amdhsa_reserve_flat_scratch 0
		.amdhsa_float_round_mode_32 0
		.amdhsa_float_round_mode_16_64 0
		.amdhsa_float_denorm_mode_32 3
		.amdhsa_float_denorm_mode_16_64 3
		.amdhsa_dx10_clamp 1
		.amdhsa_ieee_mode 1
		.amdhsa_fp16_overflow 0
		.amdhsa_tg_split 0
		.amdhsa_exception_fp_ieee_invalid_op 0
		.amdhsa_exception_fp_denorm_src 0
		.amdhsa_exception_fp_ieee_div_zero 0
		.amdhsa_exception_fp_ieee_overflow 0
		.amdhsa_exception_fp_ieee_underflow 0
		.amdhsa_exception_fp_ieee_inexact 0
		.amdhsa_exception_int_div_zero 0
	.end_amdhsa_kernel
	.section	.text._ZN7rocprim17ROCPRIM_400000_NS6detail17trampoline_kernelINS0_14default_configENS1_25partition_config_selectorILNS1_17partition_subalgoE0EiNS0_10empty_typeEbEEZZNS1_14partition_implILS5_0ELb0ES3_jN6thrust23THRUST_200600_302600_NS10device_ptrIiEEPS6_SD_NS0_5tupleIJSC_SC_EEENSE_IJSD_SD_EEES6_PlJ7is_evenIiEEEE10hipError_tPvRmT3_T4_T5_T6_T7_T9_mT8_P12ihipStream_tbDpT10_ENKUlT_T0_E_clISt17integral_constantIbLb0EES13_EEDaSY_SZ_EUlSY_E_NS1_11comp_targetILNS1_3genE3ELNS1_11target_archE908ELNS1_3gpuE7ELNS1_3repE0EEENS1_30default_config_static_selectorELNS0_4arch9wavefront6targetE1EEEvT1_,"axG",@progbits,_ZN7rocprim17ROCPRIM_400000_NS6detail17trampoline_kernelINS0_14default_configENS1_25partition_config_selectorILNS1_17partition_subalgoE0EiNS0_10empty_typeEbEEZZNS1_14partition_implILS5_0ELb0ES3_jN6thrust23THRUST_200600_302600_NS10device_ptrIiEEPS6_SD_NS0_5tupleIJSC_SC_EEENSE_IJSD_SD_EEES6_PlJ7is_evenIiEEEE10hipError_tPvRmT3_T4_T5_T6_T7_T9_mT8_P12ihipStream_tbDpT10_ENKUlT_T0_E_clISt17integral_constantIbLb0EES13_EEDaSY_SZ_EUlSY_E_NS1_11comp_targetILNS1_3genE3ELNS1_11target_archE908ELNS1_3gpuE7ELNS1_3repE0EEENS1_30default_config_static_selectorELNS0_4arch9wavefront6targetE1EEEvT1_,comdat
.Lfunc_end3697:
	.size	_ZN7rocprim17ROCPRIM_400000_NS6detail17trampoline_kernelINS0_14default_configENS1_25partition_config_selectorILNS1_17partition_subalgoE0EiNS0_10empty_typeEbEEZZNS1_14partition_implILS5_0ELb0ES3_jN6thrust23THRUST_200600_302600_NS10device_ptrIiEEPS6_SD_NS0_5tupleIJSC_SC_EEENSE_IJSD_SD_EEES6_PlJ7is_evenIiEEEE10hipError_tPvRmT3_T4_T5_T6_T7_T9_mT8_P12ihipStream_tbDpT10_ENKUlT_T0_E_clISt17integral_constantIbLb0EES13_EEDaSY_SZ_EUlSY_E_NS1_11comp_targetILNS1_3genE3ELNS1_11target_archE908ELNS1_3gpuE7ELNS1_3repE0EEENS1_30default_config_static_selectorELNS0_4arch9wavefront6targetE1EEEvT1_, .Lfunc_end3697-_ZN7rocprim17ROCPRIM_400000_NS6detail17trampoline_kernelINS0_14default_configENS1_25partition_config_selectorILNS1_17partition_subalgoE0EiNS0_10empty_typeEbEEZZNS1_14partition_implILS5_0ELb0ES3_jN6thrust23THRUST_200600_302600_NS10device_ptrIiEEPS6_SD_NS0_5tupleIJSC_SC_EEENSE_IJSD_SD_EEES6_PlJ7is_evenIiEEEE10hipError_tPvRmT3_T4_T5_T6_T7_T9_mT8_P12ihipStream_tbDpT10_ENKUlT_T0_E_clISt17integral_constantIbLb0EES13_EEDaSY_SZ_EUlSY_E_NS1_11comp_targetILNS1_3genE3ELNS1_11target_archE908ELNS1_3gpuE7ELNS1_3repE0EEENS1_30default_config_static_selectorELNS0_4arch9wavefront6targetE1EEEvT1_
                                        ; -- End function
	.section	.AMDGPU.csdata,"",@progbits
; Kernel info:
; codeLenInByte = 0
; NumSgprs: 4
; NumVgprs: 0
; NumAgprs: 0
; TotalNumVgprs: 0
; ScratchSize: 0
; MemoryBound: 0
; FloatMode: 240
; IeeeMode: 1
; LDSByteSize: 0 bytes/workgroup (compile time only)
; SGPRBlocks: 0
; VGPRBlocks: 0
; NumSGPRsForWavesPerEU: 4
; NumVGPRsForWavesPerEU: 1
; AccumOffset: 4
; Occupancy: 8
; WaveLimiterHint : 0
; COMPUTE_PGM_RSRC2:SCRATCH_EN: 0
; COMPUTE_PGM_RSRC2:USER_SGPR: 6
; COMPUTE_PGM_RSRC2:TRAP_HANDLER: 0
; COMPUTE_PGM_RSRC2:TGID_X_EN: 1
; COMPUTE_PGM_RSRC2:TGID_Y_EN: 0
; COMPUTE_PGM_RSRC2:TGID_Z_EN: 0
; COMPUTE_PGM_RSRC2:TIDIG_COMP_CNT: 0
; COMPUTE_PGM_RSRC3_GFX90A:ACCUM_OFFSET: 0
; COMPUTE_PGM_RSRC3_GFX90A:TG_SPLIT: 0
	.section	.text._ZN7rocprim17ROCPRIM_400000_NS6detail17trampoline_kernelINS0_14default_configENS1_25partition_config_selectorILNS1_17partition_subalgoE0EiNS0_10empty_typeEbEEZZNS1_14partition_implILS5_0ELb0ES3_jN6thrust23THRUST_200600_302600_NS10device_ptrIiEEPS6_SD_NS0_5tupleIJSC_SC_EEENSE_IJSD_SD_EEES6_PlJ7is_evenIiEEEE10hipError_tPvRmT3_T4_T5_T6_T7_T9_mT8_P12ihipStream_tbDpT10_ENKUlT_T0_E_clISt17integral_constantIbLb0EES13_EEDaSY_SZ_EUlSY_E_NS1_11comp_targetILNS1_3genE2ELNS1_11target_archE906ELNS1_3gpuE6ELNS1_3repE0EEENS1_30default_config_static_selectorELNS0_4arch9wavefront6targetE1EEEvT1_,"axG",@progbits,_ZN7rocprim17ROCPRIM_400000_NS6detail17trampoline_kernelINS0_14default_configENS1_25partition_config_selectorILNS1_17partition_subalgoE0EiNS0_10empty_typeEbEEZZNS1_14partition_implILS5_0ELb0ES3_jN6thrust23THRUST_200600_302600_NS10device_ptrIiEEPS6_SD_NS0_5tupleIJSC_SC_EEENSE_IJSD_SD_EEES6_PlJ7is_evenIiEEEE10hipError_tPvRmT3_T4_T5_T6_T7_T9_mT8_P12ihipStream_tbDpT10_ENKUlT_T0_E_clISt17integral_constantIbLb0EES13_EEDaSY_SZ_EUlSY_E_NS1_11comp_targetILNS1_3genE2ELNS1_11target_archE906ELNS1_3gpuE6ELNS1_3repE0EEENS1_30default_config_static_selectorELNS0_4arch9wavefront6targetE1EEEvT1_,comdat
	.protected	_ZN7rocprim17ROCPRIM_400000_NS6detail17trampoline_kernelINS0_14default_configENS1_25partition_config_selectorILNS1_17partition_subalgoE0EiNS0_10empty_typeEbEEZZNS1_14partition_implILS5_0ELb0ES3_jN6thrust23THRUST_200600_302600_NS10device_ptrIiEEPS6_SD_NS0_5tupleIJSC_SC_EEENSE_IJSD_SD_EEES6_PlJ7is_evenIiEEEE10hipError_tPvRmT3_T4_T5_T6_T7_T9_mT8_P12ihipStream_tbDpT10_ENKUlT_T0_E_clISt17integral_constantIbLb0EES13_EEDaSY_SZ_EUlSY_E_NS1_11comp_targetILNS1_3genE2ELNS1_11target_archE906ELNS1_3gpuE6ELNS1_3repE0EEENS1_30default_config_static_selectorELNS0_4arch9wavefront6targetE1EEEvT1_ ; -- Begin function _ZN7rocprim17ROCPRIM_400000_NS6detail17trampoline_kernelINS0_14default_configENS1_25partition_config_selectorILNS1_17partition_subalgoE0EiNS0_10empty_typeEbEEZZNS1_14partition_implILS5_0ELb0ES3_jN6thrust23THRUST_200600_302600_NS10device_ptrIiEEPS6_SD_NS0_5tupleIJSC_SC_EEENSE_IJSD_SD_EEES6_PlJ7is_evenIiEEEE10hipError_tPvRmT3_T4_T5_T6_T7_T9_mT8_P12ihipStream_tbDpT10_ENKUlT_T0_E_clISt17integral_constantIbLb0EES13_EEDaSY_SZ_EUlSY_E_NS1_11comp_targetILNS1_3genE2ELNS1_11target_archE906ELNS1_3gpuE6ELNS1_3repE0EEENS1_30default_config_static_selectorELNS0_4arch9wavefront6targetE1EEEvT1_
	.globl	_ZN7rocprim17ROCPRIM_400000_NS6detail17trampoline_kernelINS0_14default_configENS1_25partition_config_selectorILNS1_17partition_subalgoE0EiNS0_10empty_typeEbEEZZNS1_14partition_implILS5_0ELb0ES3_jN6thrust23THRUST_200600_302600_NS10device_ptrIiEEPS6_SD_NS0_5tupleIJSC_SC_EEENSE_IJSD_SD_EEES6_PlJ7is_evenIiEEEE10hipError_tPvRmT3_T4_T5_T6_T7_T9_mT8_P12ihipStream_tbDpT10_ENKUlT_T0_E_clISt17integral_constantIbLb0EES13_EEDaSY_SZ_EUlSY_E_NS1_11comp_targetILNS1_3genE2ELNS1_11target_archE906ELNS1_3gpuE6ELNS1_3repE0EEENS1_30default_config_static_selectorELNS0_4arch9wavefront6targetE1EEEvT1_
	.p2align	8
	.type	_ZN7rocprim17ROCPRIM_400000_NS6detail17trampoline_kernelINS0_14default_configENS1_25partition_config_selectorILNS1_17partition_subalgoE0EiNS0_10empty_typeEbEEZZNS1_14partition_implILS5_0ELb0ES3_jN6thrust23THRUST_200600_302600_NS10device_ptrIiEEPS6_SD_NS0_5tupleIJSC_SC_EEENSE_IJSD_SD_EEES6_PlJ7is_evenIiEEEE10hipError_tPvRmT3_T4_T5_T6_T7_T9_mT8_P12ihipStream_tbDpT10_ENKUlT_T0_E_clISt17integral_constantIbLb0EES13_EEDaSY_SZ_EUlSY_E_NS1_11comp_targetILNS1_3genE2ELNS1_11target_archE906ELNS1_3gpuE6ELNS1_3repE0EEENS1_30default_config_static_selectorELNS0_4arch9wavefront6targetE1EEEvT1_,@function
_ZN7rocprim17ROCPRIM_400000_NS6detail17trampoline_kernelINS0_14default_configENS1_25partition_config_selectorILNS1_17partition_subalgoE0EiNS0_10empty_typeEbEEZZNS1_14partition_implILS5_0ELb0ES3_jN6thrust23THRUST_200600_302600_NS10device_ptrIiEEPS6_SD_NS0_5tupleIJSC_SC_EEENSE_IJSD_SD_EEES6_PlJ7is_evenIiEEEE10hipError_tPvRmT3_T4_T5_T6_T7_T9_mT8_P12ihipStream_tbDpT10_ENKUlT_T0_E_clISt17integral_constantIbLb0EES13_EEDaSY_SZ_EUlSY_E_NS1_11comp_targetILNS1_3genE2ELNS1_11target_archE906ELNS1_3gpuE6ELNS1_3repE0EEENS1_30default_config_static_selectorELNS0_4arch9wavefront6targetE1EEEvT1_: ; @_ZN7rocprim17ROCPRIM_400000_NS6detail17trampoline_kernelINS0_14default_configENS1_25partition_config_selectorILNS1_17partition_subalgoE0EiNS0_10empty_typeEbEEZZNS1_14partition_implILS5_0ELb0ES3_jN6thrust23THRUST_200600_302600_NS10device_ptrIiEEPS6_SD_NS0_5tupleIJSC_SC_EEENSE_IJSD_SD_EEES6_PlJ7is_evenIiEEEE10hipError_tPvRmT3_T4_T5_T6_T7_T9_mT8_P12ihipStream_tbDpT10_ENKUlT_T0_E_clISt17integral_constantIbLb0EES13_EEDaSY_SZ_EUlSY_E_NS1_11comp_targetILNS1_3genE2ELNS1_11target_archE906ELNS1_3gpuE6ELNS1_3repE0EEENS1_30default_config_static_selectorELNS0_4arch9wavefront6targetE1EEEvT1_
; %bb.0:
	.section	.rodata,"a",@progbits
	.p2align	6, 0x0
	.amdhsa_kernel _ZN7rocprim17ROCPRIM_400000_NS6detail17trampoline_kernelINS0_14default_configENS1_25partition_config_selectorILNS1_17partition_subalgoE0EiNS0_10empty_typeEbEEZZNS1_14partition_implILS5_0ELb0ES3_jN6thrust23THRUST_200600_302600_NS10device_ptrIiEEPS6_SD_NS0_5tupleIJSC_SC_EEENSE_IJSD_SD_EEES6_PlJ7is_evenIiEEEE10hipError_tPvRmT3_T4_T5_T6_T7_T9_mT8_P12ihipStream_tbDpT10_ENKUlT_T0_E_clISt17integral_constantIbLb0EES13_EEDaSY_SZ_EUlSY_E_NS1_11comp_targetILNS1_3genE2ELNS1_11target_archE906ELNS1_3gpuE6ELNS1_3repE0EEENS1_30default_config_static_selectorELNS0_4arch9wavefront6targetE1EEEvT1_
		.amdhsa_group_segment_fixed_size 0
		.amdhsa_private_segment_fixed_size 0
		.amdhsa_kernarg_size 120
		.amdhsa_user_sgpr_count 6
		.amdhsa_user_sgpr_private_segment_buffer 1
		.amdhsa_user_sgpr_dispatch_ptr 0
		.amdhsa_user_sgpr_queue_ptr 0
		.amdhsa_user_sgpr_kernarg_segment_ptr 1
		.amdhsa_user_sgpr_dispatch_id 0
		.amdhsa_user_sgpr_flat_scratch_init 0
		.amdhsa_user_sgpr_kernarg_preload_length 0
		.amdhsa_user_sgpr_kernarg_preload_offset 0
		.amdhsa_user_sgpr_private_segment_size 0
		.amdhsa_uses_dynamic_stack 0
		.amdhsa_system_sgpr_private_segment_wavefront_offset 0
		.amdhsa_system_sgpr_workgroup_id_x 1
		.amdhsa_system_sgpr_workgroup_id_y 0
		.amdhsa_system_sgpr_workgroup_id_z 0
		.amdhsa_system_sgpr_workgroup_info 0
		.amdhsa_system_vgpr_workitem_id 0
		.amdhsa_next_free_vgpr 1
		.amdhsa_next_free_sgpr 0
		.amdhsa_accum_offset 4
		.amdhsa_reserve_vcc 0
		.amdhsa_reserve_flat_scratch 0
		.amdhsa_float_round_mode_32 0
		.amdhsa_float_round_mode_16_64 0
		.amdhsa_float_denorm_mode_32 3
		.amdhsa_float_denorm_mode_16_64 3
		.amdhsa_dx10_clamp 1
		.amdhsa_ieee_mode 1
		.amdhsa_fp16_overflow 0
		.amdhsa_tg_split 0
		.amdhsa_exception_fp_ieee_invalid_op 0
		.amdhsa_exception_fp_denorm_src 0
		.amdhsa_exception_fp_ieee_div_zero 0
		.amdhsa_exception_fp_ieee_overflow 0
		.amdhsa_exception_fp_ieee_underflow 0
		.amdhsa_exception_fp_ieee_inexact 0
		.amdhsa_exception_int_div_zero 0
	.end_amdhsa_kernel
	.section	.text._ZN7rocprim17ROCPRIM_400000_NS6detail17trampoline_kernelINS0_14default_configENS1_25partition_config_selectorILNS1_17partition_subalgoE0EiNS0_10empty_typeEbEEZZNS1_14partition_implILS5_0ELb0ES3_jN6thrust23THRUST_200600_302600_NS10device_ptrIiEEPS6_SD_NS0_5tupleIJSC_SC_EEENSE_IJSD_SD_EEES6_PlJ7is_evenIiEEEE10hipError_tPvRmT3_T4_T5_T6_T7_T9_mT8_P12ihipStream_tbDpT10_ENKUlT_T0_E_clISt17integral_constantIbLb0EES13_EEDaSY_SZ_EUlSY_E_NS1_11comp_targetILNS1_3genE2ELNS1_11target_archE906ELNS1_3gpuE6ELNS1_3repE0EEENS1_30default_config_static_selectorELNS0_4arch9wavefront6targetE1EEEvT1_,"axG",@progbits,_ZN7rocprim17ROCPRIM_400000_NS6detail17trampoline_kernelINS0_14default_configENS1_25partition_config_selectorILNS1_17partition_subalgoE0EiNS0_10empty_typeEbEEZZNS1_14partition_implILS5_0ELb0ES3_jN6thrust23THRUST_200600_302600_NS10device_ptrIiEEPS6_SD_NS0_5tupleIJSC_SC_EEENSE_IJSD_SD_EEES6_PlJ7is_evenIiEEEE10hipError_tPvRmT3_T4_T5_T6_T7_T9_mT8_P12ihipStream_tbDpT10_ENKUlT_T0_E_clISt17integral_constantIbLb0EES13_EEDaSY_SZ_EUlSY_E_NS1_11comp_targetILNS1_3genE2ELNS1_11target_archE906ELNS1_3gpuE6ELNS1_3repE0EEENS1_30default_config_static_selectorELNS0_4arch9wavefront6targetE1EEEvT1_,comdat
.Lfunc_end3698:
	.size	_ZN7rocprim17ROCPRIM_400000_NS6detail17trampoline_kernelINS0_14default_configENS1_25partition_config_selectorILNS1_17partition_subalgoE0EiNS0_10empty_typeEbEEZZNS1_14partition_implILS5_0ELb0ES3_jN6thrust23THRUST_200600_302600_NS10device_ptrIiEEPS6_SD_NS0_5tupleIJSC_SC_EEENSE_IJSD_SD_EEES6_PlJ7is_evenIiEEEE10hipError_tPvRmT3_T4_T5_T6_T7_T9_mT8_P12ihipStream_tbDpT10_ENKUlT_T0_E_clISt17integral_constantIbLb0EES13_EEDaSY_SZ_EUlSY_E_NS1_11comp_targetILNS1_3genE2ELNS1_11target_archE906ELNS1_3gpuE6ELNS1_3repE0EEENS1_30default_config_static_selectorELNS0_4arch9wavefront6targetE1EEEvT1_, .Lfunc_end3698-_ZN7rocprim17ROCPRIM_400000_NS6detail17trampoline_kernelINS0_14default_configENS1_25partition_config_selectorILNS1_17partition_subalgoE0EiNS0_10empty_typeEbEEZZNS1_14partition_implILS5_0ELb0ES3_jN6thrust23THRUST_200600_302600_NS10device_ptrIiEEPS6_SD_NS0_5tupleIJSC_SC_EEENSE_IJSD_SD_EEES6_PlJ7is_evenIiEEEE10hipError_tPvRmT3_T4_T5_T6_T7_T9_mT8_P12ihipStream_tbDpT10_ENKUlT_T0_E_clISt17integral_constantIbLb0EES13_EEDaSY_SZ_EUlSY_E_NS1_11comp_targetILNS1_3genE2ELNS1_11target_archE906ELNS1_3gpuE6ELNS1_3repE0EEENS1_30default_config_static_selectorELNS0_4arch9wavefront6targetE1EEEvT1_
                                        ; -- End function
	.section	.AMDGPU.csdata,"",@progbits
; Kernel info:
; codeLenInByte = 0
; NumSgprs: 4
; NumVgprs: 0
; NumAgprs: 0
; TotalNumVgprs: 0
; ScratchSize: 0
; MemoryBound: 0
; FloatMode: 240
; IeeeMode: 1
; LDSByteSize: 0 bytes/workgroup (compile time only)
; SGPRBlocks: 0
; VGPRBlocks: 0
; NumSGPRsForWavesPerEU: 4
; NumVGPRsForWavesPerEU: 1
; AccumOffset: 4
; Occupancy: 8
; WaveLimiterHint : 0
; COMPUTE_PGM_RSRC2:SCRATCH_EN: 0
; COMPUTE_PGM_RSRC2:USER_SGPR: 6
; COMPUTE_PGM_RSRC2:TRAP_HANDLER: 0
; COMPUTE_PGM_RSRC2:TGID_X_EN: 1
; COMPUTE_PGM_RSRC2:TGID_Y_EN: 0
; COMPUTE_PGM_RSRC2:TGID_Z_EN: 0
; COMPUTE_PGM_RSRC2:TIDIG_COMP_CNT: 0
; COMPUTE_PGM_RSRC3_GFX90A:ACCUM_OFFSET: 0
; COMPUTE_PGM_RSRC3_GFX90A:TG_SPLIT: 0
	.section	.text._ZN7rocprim17ROCPRIM_400000_NS6detail17trampoline_kernelINS0_14default_configENS1_25partition_config_selectorILNS1_17partition_subalgoE0EiNS0_10empty_typeEbEEZZNS1_14partition_implILS5_0ELb0ES3_jN6thrust23THRUST_200600_302600_NS10device_ptrIiEEPS6_SD_NS0_5tupleIJSC_SC_EEENSE_IJSD_SD_EEES6_PlJ7is_evenIiEEEE10hipError_tPvRmT3_T4_T5_T6_T7_T9_mT8_P12ihipStream_tbDpT10_ENKUlT_T0_E_clISt17integral_constantIbLb0EES13_EEDaSY_SZ_EUlSY_E_NS1_11comp_targetILNS1_3genE10ELNS1_11target_archE1200ELNS1_3gpuE4ELNS1_3repE0EEENS1_30default_config_static_selectorELNS0_4arch9wavefront6targetE1EEEvT1_,"axG",@progbits,_ZN7rocprim17ROCPRIM_400000_NS6detail17trampoline_kernelINS0_14default_configENS1_25partition_config_selectorILNS1_17partition_subalgoE0EiNS0_10empty_typeEbEEZZNS1_14partition_implILS5_0ELb0ES3_jN6thrust23THRUST_200600_302600_NS10device_ptrIiEEPS6_SD_NS0_5tupleIJSC_SC_EEENSE_IJSD_SD_EEES6_PlJ7is_evenIiEEEE10hipError_tPvRmT3_T4_T5_T6_T7_T9_mT8_P12ihipStream_tbDpT10_ENKUlT_T0_E_clISt17integral_constantIbLb0EES13_EEDaSY_SZ_EUlSY_E_NS1_11comp_targetILNS1_3genE10ELNS1_11target_archE1200ELNS1_3gpuE4ELNS1_3repE0EEENS1_30default_config_static_selectorELNS0_4arch9wavefront6targetE1EEEvT1_,comdat
	.protected	_ZN7rocprim17ROCPRIM_400000_NS6detail17trampoline_kernelINS0_14default_configENS1_25partition_config_selectorILNS1_17partition_subalgoE0EiNS0_10empty_typeEbEEZZNS1_14partition_implILS5_0ELb0ES3_jN6thrust23THRUST_200600_302600_NS10device_ptrIiEEPS6_SD_NS0_5tupleIJSC_SC_EEENSE_IJSD_SD_EEES6_PlJ7is_evenIiEEEE10hipError_tPvRmT3_T4_T5_T6_T7_T9_mT8_P12ihipStream_tbDpT10_ENKUlT_T0_E_clISt17integral_constantIbLb0EES13_EEDaSY_SZ_EUlSY_E_NS1_11comp_targetILNS1_3genE10ELNS1_11target_archE1200ELNS1_3gpuE4ELNS1_3repE0EEENS1_30default_config_static_selectorELNS0_4arch9wavefront6targetE1EEEvT1_ ; -- Begin function _ZN7rocprim17ROCPRIM_400000_NS6detail17trampoline_kernelINS0_14default_configENS1_25partition_config_selectorILNS1_17partition_subalgoE0EiNS0_10empty_typeEbEEZZNS1_14partition_implILS5_0ELb0ES3_jN6thrust23THRUST_200600_302600_NS10device_ptrIiEEPS6_SD_NS0_5tupleIJSC_SC_EEENSE_IJSD_SD_EEES6_PlJ7is_evenIiEEEE10hipError_tPvRmT3_T4_T5_T6_T7_T9_mT8_P12ihipStream_tbDpT10_ENKUlT_T0_E_clISt17integral_constantIbLb0EES13_EEDaSY_SZ_EUlSY_E_NS1_11comp_targetILNS1_3genE10ELNS1_11target_archE1200ELNS1_3gpuE4ELNS1_3repE0EEENS1_30default_config_static_selectorELNS0_4arch9wavefront6targetE1EEEvT1_
	.globl	_ZN7rocprim17ROCPRIM_400000_NS6detail17trampoline_kernelINS0_14default_configENS1_25partition_config_selectorILNS1_17partition_subalgoE0EiNS0_10empty_typeEbEEZZNS1_14partition_implILS5_0ELb0ES3_jN6thrust23THRUST_200600_302600_NS10device_ptrIiEEPS6_SD_NS0_5tupleIJSC_SC_EEENSE_IJSD_SD_EEES6_PlJ7is_evenIiEEEE10hipError_tPvRmT3_T4_T5_T6_T7_T9_mT8_P12ihipStream_tbDpT10_ENKUlT_T0_E_clISt17integral_constantIbLb0EES13_EEDaSY_SZ_EUlSY_E_NS1_11comp_targetILNS1_3genE10ELNS1_11target_archE1200ELNS1_3gpuE4ELNS1_3repE0EEENS1_30default_config_static_selectorELNS0_4arch9wavefront6targetE1EEEvT1_
	.p2align	8
	.type	_ZN7rocprim17ROCPRIM_400000_NS6detail17trampoline_kernelINS0_14default_configENS1_25partition_config_selectorILNS1_17partition_subalgoE0EiNS0_10empty_typeEbEEZZNS1_14partition_implILS5_0ELb0ES3_jN6thrust23THRUST_200600_302600_NS10device_ptrIiEEPS6_SD_NS0_5tupleIJSC_SC_EEENSE_IJSD_SD_EEES6_PlJ7is_evenIiEEEE10hipError_tPvRmT3_T4_T5_T6_T7_T9_mT8_P12ihipStream_tbDpT10_ENKUlT_T0_E_clISt17integral_constantIbLb0EES13_EEDaSY_SZ_EUlSY_E_NS1_11comp_targetILNS1_3genE10ELNS1_11target_archE1200ELNS1_3gpuE4ELNS1_3repE0EEENS1_30default_config_static_selectorELNS0_4arch9wavefront6targetE1EEEvT1_,@function
_ZN7rocprim17ROCPRIM_400000_NS6detail17trampoline_kernelINS0_14default_configENS1_25partition_config_selectorILNS1_17partition_subalgoE0EiNS0_10empty_typeEbEEZZNS1_14partition_implILS5_0ELb0ES3_jN6thrust23THRUST_200600_302600_NS10device_ptrIiEEPS6_SD_NS0_5tupleIJSC_SC_EEENSE_IJSD_SD_EEES6_PlJ7is_evenIiEEEE10hipError_tPvRmT3_T4_T5_T6_T7_T9_mT8_P12ihipStream_tbDpT10_ENKUlT_T0_E_clISt17integral_constantIbLb0EES13_EEDaSY_SZ_EUlSY_E_NS1_11comp_targetILNS1_3genE10ELNS1_11target_archE1200ELNS1_3gpuE4ELNS1_3repE0EEENS1_30default_config_static_selectorELNS0_4arch9wavefront6targetE1EEEvT1_: ; @_ZN7rocprim17ROCPRIM_400000_NS6detail17trampoline_kernelINS0_14default_configENS1_25partition_config_selectorILNS1_17partition_subalgoE0EiNS0_10empty_typeEbEEZZNS1_14partition_implILS5_0ELb0ES3_jN6thrust23THRUST_200600_302600_NS10device_ptrIiEEPS6_SD_NS0_5tupleIJSC_SC_EEENSE_IJSD_SD_EEES6_PlJ7is_evenIiEEEE10hipError_tPvRmT3_T4_T5_T6_T7_T9_mT8_P12ihipStream_tbDpT10_ENKUlT_T0_E_clISt17integral_constantIbLb0EES13_EEDaSY_SZ_EUlSY_E_NS1_11comp_targetILNS1_3genE10ELNS1_11target_archE1200ELNS1_3gpuE4ELNS1_3repE0EEENS1_30default_config_static_selectorELNS0_4arch9wavefront6targetE1EEEvT1_
; %bb.0:
	.section	.rodata,"a",@progbits
	.p2align	6, 0x0
	.amdhsa_kernel _ZN7rocprim17ROCPRIM_400000_NS6detail17trampoline_kernelINS0_14default_configENS1_25partition_config_selectorILNS1_17partition_subalgoE0EiNS0_10empty_typeEbEEZZNS1_14partition_implILS5_0ELb0ES3_jN6thrust23THRUST_200600_302600_NS10device_ptrIiEEPS6_SD_NS0_5tupleIJSC_SC_EEENSE_IJSD_SD_EEES6_PlJ7is_evenIiEEEE10hipError_tPvRmT3_T4_T5_T6_T7_T9_mT8_P12ihipStream_tbDpT10_ENKUlT_T0_E_clISt17integral_constantIbLb0EES13_EEDaSY_SZ_EUlSY_E_NS1_11comp_targetILNS1_3genE10ELNS1_11target_archE1200ELNS1_3gpuE4ELNS1_3repE0EEENS1_30default_config_static_selectorELNS0_4arch9wavefront6targetE1EEEvT1_
		.amdhsa_group_segment_fixed_size 0
		.amdhsa_private_segment_fixed_size 0
		.amdhsa_kernarg_size 120
		.amdhsa_user_sgpr_count 6
		.amdhsa_user_sgpr_private_segment_buffer 1
		.amdhsa_user_sgpr_dispatch_ptr 0
		.amdhsa_user_sgpr_queue_ptr 0
		.amdhsa_user_sgpr_kernarg_segment_ptr 1
		.amdhsa_user_sgpr_dispatch_id 0
		.amdhsa_user_sgpr_flat_scratch_init 0
		.amdhsa_user_sgpr_kernarg_preload_length 0
		.amdhsa_user_sgpr_kernarg_preload_offset 0
		.amdhsa_user_sgpr_private_segment_size 0
		.amdhsa_uses_dynamic_stack 0
		.amdhsa_system_sgpr_private_segment_wavefront_offset 0
		.amdhsa_system_sgpr_workgroup_id_x 1
		.amdhsa_system_sgpr_workgroup_id_y 0
		.amdhsa_system_sgpr_workgroup_id_z 0
		.amdhsa_system_sgpr_workgroup_info 0
		.amdhsa_system_vgpr_workitem_id 0
		.amdhsa_next_free_vgpr 1
		.amdhsa_next_free_sgpr 0
		.amdhsa_accum_offset 4
		.amdhsa_reserve_vcc 0
		.amdhsa_reserve_flat_scratch 0
		.amdhsa_float_round_mode_32 0
		.amdhsa_float_round_mode_16_64 0
		.amdhsa_float_denorm_mode_32 3
		.amdhsa_float_denorm_mode_16_64 3
		.amdhsa_dx10_clamp 1
		.amdhsa_ieee_mode 1
		.amdhsa_fp16_overflow 0
		.amdhsa_tg_split 0
		.amdhsa_exception_fp_ieee_invalid_op 0
		.amdhsa_exception_fp_denorm_src 0
		.amdhsa_exception_fp_ieee_div_zero 0
		.amdhsa_exception_fp_ieee_overflow 0
		.amdhsa_exception_fp_ieee_underflow 0
		.amdhsa_exception_fp_ieee_inexact 0
		.amdhsa_exception_int_div_zero 0
	.end_amdhsa_kernel
	.section	.text._ZN7rocprim17ROCPRIM_400000_NS6detail17trampoline_kernelINS0_14default_configENS1_25partition_config_selectorILNS1_17partition_subalgoE0EiNS0_10empty_typeEbEEZZNS1_14partition_implILS5_0ELb0ES3_jN6thrust23THRUST_200600_302600_NS10device_ptrIiEEPS6_SD_NS0_5tupleIJSC_SC_EEENSE_IJSD_SD_EEES6_PlJ7is_evenIiEEEE10hipError_tPvRmT3_T4_T5_T6_T7_T9_mT8_P12ihipStream_tbDpT10_ENKUlT_T0_E_clISt17integral_constantIbLb0EES13_EEDaSY_SZ_EUlSY_E_NS1_11comp_targetILNS1_3genE10ELNS1_11target_archE1200ELNS1_3gpuE4ELNS1_3repE0EEENS1_30default_config_static_selectorELNS0_4arch9wavefront6targetE1EEEvT1_,"axG",@progbits,_ZN7rocprim17ROCPRIM_400000_NS6detail17trampoline_kernelINS0_14default_configENS1_25partition_config_selectorILNS1_17partition_subalgoE0EiNS0_10empty_typeEbEEZZNS1_14partition_implILS5_0ELb0ES3_jN6thrust23THRUST_200600_302600_NS10device_ptrIiEEPS6_SD_NS0_5tupleIJSC_SC_EEENSE_IJSD_SD_EEES6_PlJ7is_evenIiEEEE10hipError_tPvRmT3_T4_T5_T6_T7_T9_mT8_P12ihipStream_tbDpT10_ENKUlT_T0_E_clISt17integral_constantIbLb0EES13_EEDaSY_SZ_EUlSY_E_NS1_11comp_targetILNS1_3genE10ELNS1_11target_archE1200ELNS1_3gpuE4ELNS1_3repE0EEENS1_30default_config_static_selectorELNS0_4arch9wavefront6targetE1EEEvT1_,comdat
.Lfunc_end3699:
	.size	_ZN7rocprim17ROCPRIM_400000_NS6detail17trampoline_kernelINS0_14default_configENS1_25partition_config_selectorILNS1_17partition_subalgoE0EiNS0_10empty_typeEbEEZZNS1_14partition_implILS5_0ELb0ES3_jN6thrust23THRUST_200600_302600_NS10device_ptrIiEEPS6_SD_NS0_5tupleIJSC_SC_EEENSE_IJSD_SD_EEES6_PlJ7is_evenIiEEEE10hipError_tPvRmT3_T4_T5_T6_T7_T9_mT8_P12ihipStream_tbDpT10_ENKUlT_T0_E_clISt17integral_constantIbLb0EES13_EEDaSY_SZ_EUlSY_E_NS1_11comp_targetILNS1_3genE10ELNS1_11target_archE1200ELNS1_3gpuE4ELNS1_3repE0EEENS1_30default_config_static_selectorELNS0_4arch9wavefront6targetE1EEEvT1_, .Lfunc_end3699-_ZN7rocprim17ROCPRIM_400000_NS6detail17trampoline_kernelINS0_14default_configENS1_25partition_config_selectorILNS1_17partition_subalgoE0EiNS0_10empty_typeEbEEZZNS1_14partition_implILS5_0ELb0ES3_jN6thrust23THRUST_200600_302600_NS10device_ptrIiEEPS6_SD_NS0_5tupleIJSC_SC_EEENSE_IJSD_SD_EEES6_PlJ7is_evenIiEEEE10hipError_tPvRmT3_T4_T5_T6_T7_T9_mT8_P12ihipStream_tbDpT10_ENKUlT_T0_E_clISt17integral_constantIbLb0EES13_EEDaSY_SZ_EUlSY_E_NS1_11comp_targetILNS1_3genE10ELNS1_11target_archE1200ELNS1_3gpuE4ELNS1_3repE0EEENS1_30default_config_static_selectorELNS0_4arch9wavefront6targetE1EEEvT1_
                                        ; -- End function
	.section	.AMDGPU.csdata,"",@progbits
; Kernel info:
; codeLenInByte = 0
; NumSgprs: 4
; NumVgprs: 0
; NumAgprs: 0
; TotalNumVgprs: 0
; ScratchSize: 0
; MemoryBound: 0
; FloatMode: 240
; IeeeMode: 1
; LDSByteSize: 0 bytes/workgroup (compile time only)
; SGPRBlocks: 0
; VGPRBlocks: 0
; NumSGPRsForWavesPerEU: 4
; NumVGPRsForWavesPerEU: 1
; AccumOffset: 4
; Occupancy: 8
; WaveLimiterHint : 0
; COMPUTE_PGM_RSRC2:SCRATCH_EN: 0
; COMPUTE_PGM_RSRC2:USER_SGPR: 6
; COMPUTE_PGM_RSRC2:TRAP_HANDLER: 0
; COMPUTE_PGM_RSRC2:TGID_X_EN: 1
; COMPUTE_PGM_RSRC2:TGID_Y_EN: 0
; COMPUTE_PGM_RSRC2:TGID_Z_EN: 0
; COMPUTE_PGM_RSRC2:TIDIG_COMP_CNT: 0
; COMPUTE_PGM_RSRC3_GFX90A:ACCUM_OFFSET: 0
; COMPUTE_PGM_RSRC3_GFX90A:TG_SPLIT: 0
	.section	.text._ZN7rocprim17ROCPRIM_400000_NS6detail17trampoline_kernelINS0_14default_configENS1_25partition_config_selectorILNS1_17partition_subalgoE0EiNS0_10empty_typeEbEEZZNS1_14partition_implILS5_0ELb0ES3_jN6thrust23THRUST_200600_302600_NS10device_ptrIiEEPS6_SD_NS0_5tupleIJSC_SC_EEENSE_IJSD_SD_EEES6_PlJ7is_evenIiEEEE10hipError_tPvRmT3_T4_T5_T6_T7_T9_mT8_P12ihipStream_tbDpT10_ENKUlT_T0_E_clISt17integral_constantIbLb0EES13_EEDaSY_SZ_EUlSY_E_NS1_11comp_targetILNS1_3genE9ELNS1_11target_archE1100ELNS1_3gpuE3ELNS1_3repE0EEENS1_30default_config_static_selectorELNS0_4arch9wavefront6targetE1EEEvT1_,"axG",@progbits,_ZN7rocprim17ROCPRIM_400000_NS6detail17trampoline_kernelINS0_14default_configENS1_25partition_config_selectorILNS1_17partition_subalgoE0EiNS0_10empty_typeEbEEZZNS1_14partition_implILS5_0ELb0ES3_jN6thrust23THRUST_200600_302600_NS10device_ptrIiEEPS6_SD_NS0_5tupleIJSC_SC_EEENSE_IJSD_SD_EEES6_PlJ7is_evenIiEEEE10hipError_tPvRmT3_T4_T5_T6_T7_T9_mT8_P12ihipStream_tbDpT10_ENKUlT_T0_E_clISt17integral_constantIbLb0EES13_EEDaSY_SZ_EUlSY_E_NS1_11comp_targetILNS1_3genE9ELNS1_11target_archE1100ELNS1_3gpuE3ELNS1_3repE0EEENS1_30default_config_static_selectorELNS0_4arch9wavefront6targetE1EEEvT1_,comdat
	.protected	_ZN7rocprim17ROCPRIM_400000_NS6detail17trampoline_kernelINS0_14default_configENS1_25partition_config_selectorILNS1_17partition_subalgoE0EiNS0_10empty_typeEbEEZZNS1_14partition_implILS5_0ELb0ES3_jN6thrust23THRUST_200600_302600_NS10device_ptrIiEEPS6_SD_NS0_5tupleIJSC_SC_EEENSE_IJSD_SD_EEES6_PlJ7is_evenIiEEEE10hipError_tPvRmT3_T4_T5_T6_T7_T9_mT8_P12ihipStream_tbDpT10_ENKUlT_T0_E_clISt17integral_constantIbLb0EES13_EEDaSY_SZ_EUlSY_E_NS1_11comp_targetILNS1_3genE9ELNS1_11target_archE1100ELNS1_3gpuE3ELNS1_3repE0EEENS1_30default_config_static_selectorELNS0_4arch9wavefront6targetE1EEEvT1_ ; -- Begin function _ZN7rocprim17ROCPRIM_400000_NS6detail17trampoline_kernelINS0_14default_configENS1_25partition_config_selectorILNS1_17partition_subalgoE0EiNS0_10empty_typeEbEEZZNS1_14partition_implILS5_0ELb0ES3_jN6thrust23THRUST_200600_302600_NS10device_ptrIiEEPS6_SD_NS0_5tupleIJSC_SC_EEENSE_IJSD_SD_EEES6_PlJ7is_evenIiEEEE10hipError_tPvRmT3_T4_T5_T6_T7_T9_mT8_P12ihipStream_tbDpT10_ENKUlT_T0_E_clISt17integral_constantIbLb0EES13_EEDaSY_SZ_EUlSY_E_NS1_11comp_targetILNS1_3genE9ELNS1_11target_archE1100ELNS1_3gpuE3ELNS1_3repE0EEENS1_30default_config_static_selectorELNS0_4arch9wavefront6targetE1EEEvT1_
	.globl	_ZN7rocprim17ROCPRIM_400000_NS6detail17trampoline_kernelINS0_14default_configENS1_25partition_config_selectorILNS1_17partition_subalgoE0EiNS0_10empty_typeEbEEZZNS1_14partition_implILS5_0ELb0ES3_jN6thrust23THRUST_200600_302600_NS10device_ptrIiEEPS6_SD_NS0_5tupleIJSC_SC_EEENSE_IJSD_SD_EEES6_PlJ7is_evenIiEEEE10hipError_tPvRmT3_T4_T5_T6_T7_T9_mT8_P12ihipStream_tbDpT10_ENKUlT_T0_E_clISt17integral_constantIbLb0EES13_EEDaSY_SZ_EUlSY_E_NS1_11comp_targetILNS1_3genE9ELNS1_11target_archE1100ELNS1_3gpuE3ELNS1_3repE0EEENS1_30default_config_static_selectorELNS0_4arch9wavefront6targetE1EEEvT1_
	.p2align	8
	.type	_ZN7rocprim17ROCPRIM_400000_NS6detail17trampoline_kernelINS0_14default_configENS1_25partition_config_selectorILNS1_17partition_subalgoE0EiNS0_10empty_typeEbEEZZNS1_14partition_implILS5_0ELb0ES3_jN6thrust23THRUST_200600_302600_NS10device_ptrIiEEPS6_SD_NS0_5tupleIJSC_SC_EEENSE_IJSD_SD_EEES6_PlJ7is_evenIiEEEE10hipError_tPvRmT3_T4_T5_T6_T7_T9_mT8_P12ihipStream_tbDpT10_ENKUlT_T0_E_clISt17integral_constantIbLb0EES13_EEDaSY_SZ_EUlSY_E_NS1_11comp_targetILNS1_3genE9ELNS1_11target_archE1100ELNS1_3gpuE3ELNS1_3repE0EEENS1_30default_config_static_selectorELNS0_4arch9wavefront6targetE1EEEvT1_,@function
_ZN7rocprim17ROCPRIM_400000_NS6detail17trampoline_kernelINS0_14default_configENS1_25partition_config_selectorILNS1_17partition_subalgoE0EiNS0_10empty_typeEbEEZZNS1_14partition_implILS5_0ELb0ES3_jN6thrust23THRUST_200600_302600_NS10device_ptrIiEEPS6_SD_NS0_5tupleIJSC_SC_EEENSE_IJSD_SD_EEES6_PlJ7is_evenIiEEEE10hipError_tPvRmT3_T4_T5_T6_T7_T9_mT8_P12ihipStream_tbDpT10_ENKUlT_T0_E_clISt17integral_constantIbLb0EES13_EEDaSY_SZ_EUlSY_E_NS1_11comp_targetILNS1_3genE9ELNS1_11target_archE1100ELNS1_3gpuE3ELNS1_3repE0EEENS1_30default_config_static_selectorELNS0_4arch9wavefront6targetE1EEEvT1_: ; @_ZN7rocprim17ROCPRIM_400000_NS6detail17trampoline_kernelINS0_14default_configENS1_25partition_config_selectorILNS1_17partition_subalgoE0EiNS0_10empty_typeEbEEZZNS1_14partition_implILS5_0ELb0ES3_jN6thrust23THRUST_200600_302600_NS10device_ptrIiEEPS6_SD_NS0_5tupleIJSC_SC_EEENSE_IJSD_SD_EEES6_PlJ7is_evenIiEEEE10hipError_tPvRmT3_T4_T5_T6_T7_T9_mT8_P12ihipStream_tbDpT10_ENKUlT_T0_E_clISt17integral_constantIbLb0EES13_EEDaSY_SZ_EUlSY_E_NS1_11comp_targetILNS1_3genE9ELNS1_11target_archE1100ELNS1_3gpuE3ELNS1_3repE0EEENS1_30default_config_static_selectorELNS0_4arch9wavefront6targetE1EEEvT1_
; %bb.0:
	.section	.rodata,"a",@progbits
	.p2align	6, 0x0
	.amdhsa_kernel _ZN7rocprim17ROCPRIM_400000_NS6detail17trampoline_kernelINS0_14default_configENS1_25partition_config_selectorILNS1_17partition_subalgoE0EiNS0_10empty_typeEbEEZZNS1_14partition_implILS5_0ELb0ES3_jN6thrust23THRUST_200600_302600_NS10device_ptrIiEEPS6_SD_NS0_5tupleIJSC_SC_EEENSE_IJSD_SD_EEES6_PlJ7is_evenIiEEEE10hipError_tPvRmT3_T4_T5_T6_T7_T9_mT8_P12ihipStream_tbDpT10_ENKUlT_T0_E_clISt17integral_constantIbLb0EES13_EEDaSY_SZ_EUlSY_E_NS1_11comp_targetILNS1_3genE9ELNS1_11target_archE1100ELNS1_3gpuE3ELNS1_3repE0EEENS1_30default_config_static_selectorELNS0_4arch9wavefront6targetE1EEEvT1_
		.amdhsa_group_segment_fixed_size 0
		.amdhsa_private_segment_fixed_size 0
		.amdhsa_kernarg_size 120
		.amdhsa_user_sgpr_count 6
		.amdhsa_user_sgpr_private_segment_buffer 1
		.amdhsa_user_sgpr_dispatch_ptr 0
		.amdhsa_user_sgpr_queue_ptr 0
		.amdhsa_user_sgpr_kernarg_segment_ptr 1
		.amdhsa_user_sgpr_dispatch_id 0
		.amdhsa_user_sgpr_flat_scratch_init 0
		.amdhsa_user_sgpr_kernarg_preload_length 0
		.amdhsa_user_sgpr_kernarg_preload_offset 0
		.amdhsa_user_sgpr_private_segment_size 0
		.amdhsa_uses_dynamic_stack 0
		.amdhsa_system_sgpr_private_segment_wavefront_offset 0
		.amdhsa_system_sgpr_workgroup_id_x 1
		.amdhsa_system_sgpr_workgroup_id_y 0
		.amdhsa_system_sgpr_workgroup_id_z 0
		.amdhsa_system_sgpr_workgroup_info 0
		.amdhsa_system_vgpr_workitem_id 0
		.amdhsa_next_free_vgpr 1
		.amdhsa_next_free_sgpr 0
		.amdhsa_accum_offset 4
		.amdhsa_reserve_vcc 0
		.amdhsa_reserve_flat_scratch 0
		.amdhsa_float_round_mode_32 0
		.amdhsa_float_round_mode_16_64 0
		.amdhsa_float_denorm_mode_32 3
		.amdhsa_float_denorm_mode_16_64 3
		.amdhsa_dx10_clamp 1
		.amdhsa_ieee_mode 1
		.amdhsa_fp16_overflow 0
		.amdhsa_tg_split 0
		.amdhsa_exception_fp_ieee_invalid_op 0
		.amdhsa_exception_fp_denorm_src 0
		.amdhsa_exception_fp_ieee_div_zero 0
		.amdhsa_exception_fp_ieee_overflow 0
		.amdhsa_exception_fp_ieee_underflow 0
		.amdhsa_exception_fp_ieee_inexact 0
		.amdhsa_exception_int_div_zero 0
	.end_amdhsa_kernel
	.section	.text._ZN7rocprim17ROCPRIM_400000_NS6detail17trampoline_kernelINS0_14default_configENS1_25partition_config_selectorILNS1_17partition_subalgoE0EiNS0_10empty_typeEbEEZZNS1_14partition_implILS5_0ELb0ES3_jN6thrust23THRUST_200600_302600_NS10device_ptrIiEEPS6_SD_NS0_5tupleIJSC_SC_EEENSE_IJSD_SD_EEES6_PlJ7is_evenIiEEEE10hipError_tPvRmT3_T4_T5_T6_T7_T9_mT8_P12ihipStream_tbDpT10_ENKUlT_T0_E_clISt17integral_constantIbLb0EES13_EEDaSY_SZ_EUlSY_E_NS1_11comp_targetILNS1_3genE9ELNS1_11target_archE1100ELNS1_3gpuE3ELNS1_3repE0EEENS1_30default_config_static_selectorELNS0_4arch9wavefront6targetE1EEEvT1_,"axG",@progbits,_ZN7rocprim17ROCPRIM_400000_NS6detail17trampoline_kernelINS0_14default_configENS1_25partition_config_selectorILNS1_17partition_subalgoE0EiNS0_10empty_typeEbEEZZNS1_14partition_implILS5_0ELb0ES3_jN6thrust23THRUST_200600_302600_NS10device_ptrIiEEPS6_SD_NS0_5tupleIJSC_SC_EEENSE_IJSD_SD_EEES6_PlJ7is_evenIiEEEE10hipError_tPvRmT3_T4_T5_T6_T7_T9_mT8_P12ihipStream_tbDpT10_ENKUlT_T0_E_clISt17integral_constantIbLb0EES13_EEDaSY_SZ_EUlSY_E_NS1_11comp_targetILNS1_3genE9ELNS1_11target_archE1100ELNS1_3gpuE3ELNS1_3repE0EEENS1_30default_config_static_selectorELNS0_4arch9wavefront6targetE1EEEvT1_,comdat
.Lfunc_end3700:
	.size	_ZN7rocprim17ROCPRIM_400000_NS6detail17trampoline_kernelINS0_14default_configENS1_25partition_config_selectorILNS1_17partition_subalgoE0EiNS0_10empty_typeEbEEZZNS1_14partition_implILS5_0ELb0ES3_jN6thrust23THRUST_200600_302600_NS10device_ptrIiEEPS6_SD_NS0_5tupleIJSC_SC_EEENSE_IJSD_SD_EEES6_PlJ7is_evenIiEEEE10hipError_tPvRmT3_T4_T5_T6_T7_T9_mT8_P12ihipStream_tbDpT10_ENKUlT_T0_E_clISt17integral_constantIbLb0EES13_EEDaSY_SZ_EUlSY_E_NS1_11comp_targetILNS1_3genE9ELNS1_11target_archE1100ELNS1_3gpuE3ELNS1_3repE0EEENS1_30default_config_static_selectorELNS0_4arch9wavefront6targetE1EEEvT1_, .Lfunc_end3700-_ZN7rocprim17ROCPRIM_400000_NS6detail17trampoline_kernelINS0_14default_configENS1_25partition_config_selectorILNS1_17partition_subalgoE0EiNS0_10empty_typeEbEEZZNS1_14partition_implILS5_0ELb0ES3_jN6thrust23THRUST_200600_302600_NS10device_ptrIiEEPS6_SD_NS0_5tupleIJSC_SC_EEENSE_IJSD_SD_EEES6_PlJ7is_evenIiEEEE10hipError_tPvRmT3_T4_T5_T6_T7_T9_mT8_P12ihipStream_tbDpT10_ENKUlT_T0_E_clISt17integral_constantIbLb0EES13_EEDaSY_SZ_EUlSY_E_NS1_11comp_targetILNS1_3genE9ELNS1_11target_archE1100ELNS1_3gpuE3ELNS1_3repE0EEENS1_30default_config_static_selectorELNS0_4arch9wavefront6targetE1EEEvT1_
                                        ; -- End function
	.section	.AMDGPU.csdata,"",@progbits
; Kernel info:
; codeLenInByte = 0
; NumSgprs: 4
; NumVgprs: 0
; NumAgprs: 0
; TotalNumVgprs: 0
; ScratchSize: 0
; MemoryBound: 0
; FloatMode: 240
; IeeeMode: 1
; LDSByteSize: 0 bytes/workgroup (compile time only)
; SGPRBlocks: 0
; VGPRBlocks: 0
; NumSGPRsForWavesPerEU: 4
; NumVGPRsForWavesPerEU: 1
; AccumOffset: 4
; Occupancy: 8
; WaveLimiterHint : 0
; COMPUTE_PGM_RSRC2:SCRATCH_EN: 0
; COMPUTE_PGM_RSRC2:USER_SGPR: 6
; COMPUTE_PGM_RSRC2:TRAP_HANDLER: 0
; COMPUTE_PGM_RSRC2:TGID_X_EN: 1
; COMPUTE_PGM_RSRC2:TGID_Y_EN: 0
; COMPUTE_PGM_RSRC2:TGID_Z_EN: 0
; COMPUTE_PGM_RSRC2:TIDIG_COMP_CNT: 0
; COMPUTE_PGM_RSRC3_GFX90A:ACCUM_OFFSET: 0
; COMPUTE_PGM_RSRC3_GFX90A:TG_SPLIT: 0
	.section	.text._ZN7rocprim17ROCPRIM_400000_NS6detail17trampoline_kernelINS0_14default_configENS1_25partition_config_selectorILNS1_17partition_subalgoE0EiNS0_10empty_typeEbEEZZNS1_14partition_implILS5_0ELb0ES3_jN6thrust23THRUST_200600_302600_NS10device_ptrIiEEPS6_SD_NS0_5tupleIJSC_SC_EEENSE_IJSD_SD_EEES6_PlJ7is_evenIiEEEE10hipError_tPvRmT3_T4_T5_T6_T7_T9_mT8_P12ihipStream_tbDpT10_ENKUlT_T0_E_clISt17integral_constantIbLb0EES13_EEDaSY_SZ_EUlSY_E_NS1_11comp_targetILNS1_3genE8ELNS1_11target_archE1030ELNS1_3gpuE2ELNS1_3repE0EEENS1_30default_config_static_selectorELNS0_4arch9wavefront6targetE1EEEvT1_,"axG",@progbits,_ZN7rocprim17ROCPRIM_400000_NS6detail17trampoline_kernelINS0_14default_configENS1_25partition_config_selectorILNS1_17partition_subalgoE0EiNS0_10empty_typeEbEEZZNS1_14partition_implILS5_0ELb0ES3_jN6thrust23THRUST_200600_302600_NS10device_ptrIiEEPS6_SD_NS0_5tupleIJSC_SC_EEENSE_IJSD_SD_EEES6_PlJ7is_evenIiEEEE10hipError_tPvRmT3_T4_T5_T6_T7_T9_mT8_P12ihipStream_tbDpT10_ENKUlT_T0_E_clISt17integral_constantIbLb0EES13_EEDaSY_SZ_EUlSY_E_NS1_11comp_targetILNS1_3genE8ELNS1_11target_archE1030ELNS1_3gpuE2ELNS1_3repE0EEENS1_30default_config_static_selectorELNS0_4arch9wavefront6targetE1EEEvT1_,comdat
	.protected	_ZN7rocprim17ROCPRIM_400000_NS6detail17trampoline_kernelINS0_14default_configENS1_25partition_config_selectorILNS1_17partition_subalgoE0EiNS0_10empty_typeEbEEZZNS1_14partition_implILS5_0ELb0ES3_jN6thrust23THRUST_200600_302600_NS10device_ptrIiEEPS6_SD_NS0_5tupleIJSC_SC_EEENSE_IJSD_SD_EEES6_PlJ7is_evenIiEEEE10hipError_tPvRmT3_T4_T5_T6_T7_T9_mT8_P12ihipStream_tbDpT10_ENKUlT_T0_E_clISt17integral_constantIbLb0EES13_EEDaSY_SZ_EUlSY_E_NS1_11comp_targetILNS1_3genE8ELNS1_11target_archE1030ELNS1_3gpuE2ELNS1_3repE0EEENS1_30default_config_static_selectorELNS0_4arch9wavefront6targetE1EEEvT1_ ; -- Begin function _ZN7rocprim17ROCPRIM_400000_NS6detail17trampoline_kernelINS0_14default_configENS1_25partition_config_selectorILNS1_17partition_subalgoE0EiNS0_10empty_typeEbEEZZNS1_14partition_implILS5_0ELb0ES3_jN6thrust23THRUST_200600_302600_NS10device_ptrIiEEPS6_SD_NS0_5tupleIJSC_SC_EEENSE_IJSD_SD_EEES6_PlJ7is_evenIiEEEE10hipError_tPvRmT3_T4_T5_T6_T7_T9_mT8_P12ihipStream_tbDpT10_ENKUlT_T0_E_clISt17integral_constantIbLb0EES13_EEDaSY_SZ_EUlSY_E_NS1_11comp_targetILNS1_3genE8ELNS1_11target_archE1030ELNS1_3gpuE2ELNS1_3repE0EEENS1_30default_config_static_selectorELNS0_4arch9wavefront6targetE1EEEvT1_
	.globl	_ZN7rocprim17ROCPRIM_400000_NS6detail17trampoline_kernelINS0_14default_configENS1_25partition_config_selectorILNS1_17partition_subalgoE0EiNS0_10empty_typeEbEEZZNS1_14partition_implILS5_0ELb0ES3_jN6thrust23THRUST_200600_302600_NS10device_ptrIiEEPS6_SD_NS0_5tupleIJSC_SC_EEENSE_IJSD_SD_EEES6_PlJ7is_evenIiEEEE10hipError_tPvRmT3_T4_T5_T6_T7_T9_mT8_P12ihipStream_tbDpT10_ENKUlT_T0_E_clISt17integral_constantIbLb0EES13_EEDaSY_SZ_EUlSY_E_NS1_11comp_targetILNS1_3genE8ELNS1_11target_archE1030ELNS1_3gpuE2ELNS1_3repE0EEENS1_30default_config_static_selectorELNS0_4arch9wavefront6targetE1EEEvT1_
	.p2align	8
	.type	_ZN7rocprim17ROCPRIM_400000_NS6detail17trampoline_kernelINS0_14default_configENS1_25partition_config_selectorILNS1_17partition_subalgoE0EiNS0_10empty_typeEbEEZZNS1_14partition_implILS5_0ELb0ES3_jN6thrust23THRUST_200600_302600_NS10device_ptrIiEEPS6_SD_NS0_5tupleIJSC_SC_EEENSE_IJSD_SD_EEES6_PlJ7is_evenIiEEEE10hipError_tPvRmT3_T4_T5_T6_T7_T9_mT8_P12ihipStream_tbDpT10_ENKUlT_T0_E_clISt17integral_constantIbLb0EES13_EEDaSY_SZ_EUlSY_E_NS1_11comp_targetILNS1_3genE8ELNS1_11target_archE1030ELNS1_3gpuE2ELNS1_3repE0EEENS1_30default_config_static_selectorELNS0_4arch9wavefront6targetE1EEEvT1_,@function
_ZN7rocprim17ROCPRIM_400000_NS6detail17trampoline_kernelINS0_14default_configENS1_25partition_config_selectorILNS1_17partition_subalgoE0EiNS0_10empty_typeEbEEZZNS1_14partition_implILS5_0ELb0ES3_jN6thrust23THRUST_200600_302600_NS10device_ptrIiEEPS6_SD_NS0_5tupleIJSC_SC_EEENSE_IJSD_SD_EEES6_PlJ7is_evenIiEEEE10hipError_tPvRmT3_T4_T5_T6_T7_T9_mT8_P12ihipStream_tbDpT10_ENKUlT_T0_E_clISt17integral_constantIbLb0EES13_EEDaSY_SZ_EUlSY_E_NS1_11comp_targetILNS1_3genE8ELNS1_11target_archE1030ELNS1_3gpuE2ELNS1_3repE0EEENS1_30default_config_static_selectorELNS0_4arch9wavefront6targetE1EEEvT1_: ; @_ZN7rocprim17ROCPRIM_400000_NS6detail17trampoline_kernelINS0_14default_configENS1_25partition_config_selectorILNS1_17partition_subalgoE0EiNS0_10empty_typeEbEEZZNS1_14partition_implILS5_0ELb0ES3_jN6thrust23THRUST_200600_302600_NS10device_ptrIiEEPS6_SD_NS0_5tupleIJSC_SC_EEENSE_IJSD_SD_EEES6_PlJ7is_evenIiEEEE10hipError_tPvRmT3_T4_T5_T6_T7_T9_mT8_P12ihipStream_tbDpT10_ENKUlT_T0_E_clISt17integral_constantIbLb0EES13_EEDaSY_SZ_EUlSY_E_NS1_11comp_targetILNS1_3genE8ELNS1_11target_archE1030ELNS1_3gpuE2ELNS1_3repE0EEENS1_30default_config_static_selectorELNS0_4arch9wavefront6targetE1EEEvT1_
; %bb.0:
	.section	.rodata,"a",@progbits
	.p2align	6, 0x0
	.amdhsa_kernel _ZN7rocprim17ROCPRIM_400000_NS6detail17trampoline_kernelINS0_14default_configENS1_25partition_config_selectorILNS1_17partition_subalgoE0EiNS0_10empty_typeEbEEZZNS1_14partition_implILS5_0ELb0ES3_jN6thrust23THRUST_200600_302600_NS10device_ptrIiEEPS6_SD_NS0_5tupleIJSC_SC_EEENSE_IJSD_SD_EEES6_PlJ7is_evenIiEEEE10hipError_tPvRmT3_T4_T5_T6_T7_T9_mT8_P12ihipStream_tbDpT10_ENKUlT_T0_E_clISt17integral_constantIbLb0EES13_EEDaSY_SZ_EUlSY_E_NS1_11comp_targetILNS1_3genE8ELNS1_11target_archE1030ELNS1_3gpuE2ELNS1_3repE0EEENS1_30default_config_static_selectorELNS0_4arch9wavefront6targetE1EEEvT1_
		.amdhsa_group_segment_fixed_size 0
		.amdhsa_private_segment_fixed_size 0
		.amdhsa_kernarg_size 120
		.amdhsa_user_sgpr_count 6
		.amdhsa_user_sgpr_private_segment_buffer 1
		.amdhsa_user_sgpr_dispatch_ptr 0
		.amdhsa_user_sgpr_queue_ptr 0
		.amdhsa_user_sgpr_kernarg_segment_ptr 1
		.amdhsa_user_sgpr_dispatch_id 0
		.amdhsa_user_sgpr_flat_scratch_init 0
		.amdhsa_user_sgpr_kernarg_preload_length 0
		.amdhsa_user_sgpr_kernarg_preload_offset 0
		.amdhsa_user_sgpr_private_segment_size 0
		.amdhsa_uses_dynamic_stack 0
		.amdhsa_system_sgpr_private_segment_wavefront_offset 0
		.amdhsa_system_sgpr_workgroup_id_x 1
		.amdhsa_system_sgpr_workgroup_id_y 0
		.amdhsa_system_sgpr_workgroup_id_z 0
		.amdhsa_system_sgpr_workgroup_info 0
		.amdhsa_system_vgpr_workitem_id 0
		.amdhsa_next_free_vgpr 1
		.amdhsa_next_free_sgpr 0
		.amdhsa_accum_offset 4
		.amdhsa_reserve_vcc 0
		.amdhsa_reserve_flat_scratch 0
		.amdhsa_float_round_mode_32 0
		.amdhsa_float_round_mode_16_64 0
		.amdhsa_float_denorm_mode_32 3
		.amdhsa_float_denorm_mode_16_64 3
		.amdhsa_dx10_clamp 1
		.amdhsa_ieee_mode 1
		.amdhsa_fp16_overflow 0
		.amdhsa_tg_split 0
		.amdhsa_exception_fp_ieee_invalid_op 0
		.amdhsa_exception_fp_denorm_src 0
		.amdhsa_exception_fp_ieee_div_zero 0
		.amdhsa_exception_fp_ieee_overflow 0
		.amdhsa_exception_fp_ieee_underflow 0
		.amdhsa_exception_fp_ieee_inexact 0
		.amdhsa_exception_int_div_zero 0
	.end_amdhsa_kernel
	.section	.text._ZN7rocprim17ROCPRIM_400000_NS6detail17trampoline_kernelINS0_14default_configENS1_25partition_config_selectorILNS1_17partition_subalgoE0EiNS0_10empty_typeEbEEZZNS1_14partition_implILS5_0ELb0ES3_jN6thrust23THRUST_200600_302600_NS10device_ptrIiEEPS6_SD_NS0_5tupleIJSC_SC_EEENSE_IJSD_SD_EEES6_PlJ7is_evenIiEEEE10hipError_tPvRmT3_T4_T5_T6_T7_T9_mT8_P12ihipStream_tbDpT10_ENKUlT_T0_E_clISt17integral_constantIbLb0EES13_EEDaSY_SZ_EUlSY_E_NS1_11comp_targetILNS1_3genE8ELNS1_11target_archE1030ELNS1_3gpuE2ELNS1_3repE0EEENS1_30default_config_static_selectorELNS0_4arch9wavefront6targetE1EEEvT1_,"axG",@progbits,_ZN7rocprim17ROCPRIM_400000_NS6detail17trampoline_kernelINS0_14default_configENS1_25partition_config_selectorILNS1_17partition_subalgoE0EiNS0_10empty_typeEbEEZZNS1_14partition_implILS5_0ELb0ES3_jN6thrust23THRUST_200600_302600_NS10device_ptrIiEEPS6_SD_NS0_5tupleIJSC_SC_EEENSE_IJSD_SD_EEES6_PlJ7is_evenIiEEEE10hipError_tPvRmT3_T4_T5_T6_T7_T9_mT8_P12ihipStream_tbDpT10_ENKUlT_T0_E_clISt17integral_constantIbLb0EES13_EEDaSY_SZ_EUlSY_E_NS1_11comp_targetILNS1_3genE8ELNS1_11target_archE1030ELNS1_3gpuE2ELNS1_3repE0EEENS1_30default_config_static_selectorELNS0_4arch9wavefront6targetE1EEEvT1_,comdat
.Lfunc_end3701:
	.size	_ZN7rocprim17ROCPRIM_400000_NS6detail17trampoline_kernelINS0_14default_configENS1_25partition_config_selectorILNS1_17partition_subalgoE0EiNS0_10empty_typeEbEEZZNS1_14partition_implILS5_0ELb0ES3_jN6thrust23THRUST_200600_302600_NS10device_ptrIiEEPS6_SD_NS0_5tupleIJSC_SC_EEENSE_IJSD_SD_EEES6_PlJ7is_evenIiEEEE10hipError_tPvRmT3_T4_T5_T6_T7_T9_mT8_P12ihipStream_tbDpT10_ENKUlT_T0_E_clISt17integral_constantIbLb0EES13_EEDaSY_SZ_EUlSY_E_NS1_11comp_targetILNS1_3genE8ELNS1_11target_archE1030ELNS1_3gpuE2ELNS1_3repE0EEENS1_30default_config_static_selectorELNS0_4arch9wavefront6targetE1EEEvT1_, .Lfunc_end3701-_ZN7rocprim17ROCPRIM_400000_NS6detail17trampoline_kernelINS0_14default_configENS1_25partition_config_selectorILNS1_17partition_subalgoE0EiNS0_10empty_typeEbEEZZNS1_14partition_implILS5_0ELb0ES3_jN6thrust23THRUST_200600_302600_NS10device_ptrIiEEPS6_SD_NS0_5tupleIJSC_SC_EEENSE_IJSD_SD_EEES6_PlJ7is_evenIiEEEE10hipError_tPvRmT3_T4_T5_T6_T7_T9_mT8_P12ihipStream_tbDpT10_ENKUlT_T0_E_clISt17integral_constantIbLb0EES13_EEDaSY_SZ_EUlSY_E_NS1_11comp_targetILNS1_3genE8ELNS1_11target_archE1030ELNS1_3gpuE2ELNS1_3repE0EEENS1_30default_config_static_selectorELNS0_4arch9wavefront6targetE1EEEvT1_
                                        ; -- End function
	.section	.AMDGPU.csdata,"",@progbits
; Kernel info:
; codeLenInByte = 0
; NumSgprs: 4
; NumVgprs: 0
; NumAgprs: 0
; TotalNumVgprs: 0
; ScratchSize: 0
; MemoryBound: 0
; FloatMode: 240
; IeeeMode: 1
; LDSByteSize: 0 bytes/workgroup (compile time only)
; SGPRBlocks: 0
; VGPRBlocks: 0
; NumSGPRsForWavesPerEU: 4
; NumVGPRsForWavesPerEU: 1
; AccumOffset: 4
; Occupancy: 8
; WaveLimiterHint : 0
; COMPUTE_PGM_RSRC2:SCRATCH_EN: 0
; COMPUTE_PGM_RSRC2:USER_SGPR: 6
; COMPUTE_PGM_RSRC2:TRAP_HANDLER: 0
; COMPUTE_PGM_RSRC2:TGID_X_EN: 1
; COMPUTE_PGM_RSRC2:TGID_Y_EN: 0
; COMPUTE_PGM_RSRC2:TGID_Z_EN: 0
; COMPUTE_PGM_RSRC2:TIDIG_COMP_CNT: 0
; COMPUTE_PGM_RSRC3_GFX90A:ACCUM_OFFSET: 0
; COMPUTE_PGM_RSRC3_GFX90A:TG_SPLIT: 0
	.section	.text._ZN7rocprim17ROCPRIM_400000_NS6detail17trampoline_kernelINS0_14default_configENS1_25partition_config_selectorILNS1_17partition_subalgoE0EiNS0_10empty_typeEbEEZZNS1_14partition_implILS5_0ELb0ES3_jN6thrust23THRUST_200600_302600_NS10device_ptrIiEEPS6_SD_NS0_5tupleIJSC_SC_EEENSE_IJSD_SD_EEES6_PlJ7is_evenIiEEEE10hipError_tPvRmT3_T4_T5_T6_T7_T9_mT8_P12ihipStream_tbDpT10_ENKUlT_T0_E_clISt17integral_constantIbLb1EES13_EEDaSY_SZ_EUlSY_E_NS1_11comp_targetILNS1_3genE0ELNS1_11target_archE4294967295ELNS1_3gpuE0ELNS1_3repE0EEENS1_30default_config_static_selectorELNS0_4arch9wavefront6targetE1EEEvT1_,"axG",@progbits,_ZN7rocprim17ROCPRIM_400000_NS6detail17trampoline_kernelINS0_14default_configENS1_25partition_config_selectorILNS1_17partition_subalgoE0EiNS0_10empty_typeEbEEZZNS1_14partition_implILS5_0ELb0ES3_jN6thrust23THRUST_200600_302600_NS10device_ptrIiEEPS6_SD_NS0_5tupleIJSC_SC_EEENSE_IJSD_SD_EEES6_PlJ7is_evenIiEEEE10hipError_tPvRmT3_T4_T5_T6_T7_T9_mT8_P12ihipStream_tbDpT10_ENKUlT_T0_E_clISt17integral_constantIbLb1EES13_EEDaSY_SZ_EUlSY_E_NS1_11comp_targetILNS1_3genE0ELNS1_11target_archE4294967295ELNS1_3gpuE0ELNS1_3repE0EEENS1_30default_config_static_selectorELNS0_4arch9wavefront6targetE1EEEvT1_,comdat
	.protected	_ZN7rocprim17ROCPRIM_400000_NS6detail17trampoline_kernelINS0_14default_configENS1_25partition_config_selectorILNS1_17partition_subalgoE0EiNS0_10empty_typeEbEEZZNS1_14partition_implILS5_0ELb0ES3_jN6thrust23THRUST_200600_302600_NS10device_ptrIiEEPS6_SD_NS0_5tupleIJSC_SC_EEENSE_IJSD_SD_EEES6_PlJ7is_evenIiEEEE10hipError_tPvRmT3_T4_T5_T6_T7_T9_mT8_P12ihipStream_tbDpT10_ENKUlT_T0_E_clISt17integral_constantIbLb1EES13_EEDaSY_SZ_EUlSY_E_NS1_11comp_targetILNS1_3genE0ELNS1_11target_archE4294967295ELNS1_3gpuE0ELNS1_3repE0EEENS1_30default_config_static_selectorELNS0_4arch9wavefront6targetE1EEEvT1_ ; -- Begin function _ZN7rocprim17ROCPRIM_400000_NS6detail17trampoline_kernelINS0_14default_configENS1_25partition_config_selectorILNS1_17partition_subalgoE0EiNS0_10empty_typeEbEEZZNS1_14partition_implILS5_0ELb0ES3_jN6thrust23THRUST_200600_302600_NS10device_ptrIiEEPS6_SD_NS0_5tupleIJSC_SC_EEENSE_IJSD_SD_EEES6_PlJ7is_evenIiEEEE10hipError_tPvRmT3_T4_T5_T6_T7_T9_mT8_P12ihipStream_tbDpT10_ENKUlT_T0_E_clISt17integral_constantIbLb1EES13_EEDaSY_SZ_EUlSY_E_NS1_11comp_targetILNS1_3genE0ELNS1_11target_archE4294967295ELNS1_3gpuE0ELNS1_3repE0EEENS1_30default_config_static_selectorELNS0_4arch9wavefront6targetE1EEEvT1_
	.globl	_ZN7rocprim17ROCPRIM_400000_NS6detail17trampoline_kernelINS0_14default_configENS1_25partition_config_selectorILNS1_17partition_subalgoE0EiNS0_10empty_typeEbEEZZNS1_14partition_implILS5_0ELb0ES3_jN6thrust23THRUST_200600_302600_NS10device_ptrIiEEPS6_SD_NS0_5tupleIJSC_SC_EEENSE_IJSD_SD_EEES6_PlJ7is_evenIiEEEE10hipError_tPvRmT3_T4_T5_T6_T7_T9_mT8_P12ihipStream_tbDpT10_ENKUlT_T0_E_clISt17integral_constantIbLb1EES13_EEDaSY_SZ_EUlSY_E_NS1_11comp_targetILNS1_3genE0ELNS1_11target_archE4294967295ELNS1_3gpuE0ELNS1_3repE0EEENS1_30default_config_static_selectorELNS0_4arch9wavefront6targetE1EEEvT1_
	.p2align	8
	.type	_ZN7rocprim17ROCPRIM_400000_NS6detail17trampoline_kernelINS0_14default_configENS1_25partition_config_selectorILNS1_17partition_subalgoE0EiNS0_10empty_typeEbEEZZNS1_14partition_implILS5_0ELb0ES3_jN6thrust23THRUST_200600_302600_NS10device_ptrIiEEPS6_SD_NS0_5tupleIJSC_SC_EEENSE_IJSD_SD_EEES6_PlJ7is_evenIiEEEE10hipError_tPvRmT3_T4_T5_T6_T7_T9_mT8_P12ihipStream_tbDpT10_ENKUlT_T0_E_clISt17integral_constantIbLb1EES13_EEDaSY_SZ_EUlSY_E_NS1_11comp_targetILNS1_3genE0ELNS1_11target_archE4294967295ELNS1_3gpuE0ELNS1_3repE0EEENS1_30default_config_static_selectorELNS0_4arch9wavefront6targetE1EEEvT1_,@function
_ZN7rocprim17ROCPRIM_400000_NS6detail17trampoline_kernelINS0_14default_configENS1_25partition_config_selectorILNS1_17partition_subalgoE0EiNS0_10empty_typeEbEEZZNS1_14partition_implILS5_0ELb0ES3_jN6thrust23THRUST_200600_302600_NS10device_ptrIiEEPS6_SD_NS0_5tupleIJSC_SC_EEENSE_IJSD_SD_EEES6_PlJ7is_evenIiEEEE10hipError_tPvRmT3_T4_T5_T6_T7_T9_mT8_P12ihipStream_tbDpT10_ENKUlT_T0_E_clISt17integral_constantIbLb1EES13_EEDaSY_SZ_EUlSY_E_NS1_11comp_targetILNS1_3genE0ELNS1_11target_archE4294967295ELNS1_3gpuE0ELNS1_3repE0EEENS1_30default_config_static_selectorELNS0_4arch9wavefront6targetE1EEEvT1_: ; @_ZN7rocprim17ROCPRIM_400000_NS6detail17trampoline_kernelINS0_14default_configENS1_25partition_config_selectorILNS1_17partition_subalgoE0EiNS0_10empty_typeEbEEZZNS1_14partition_implILS5_0ELb0ES3_jN6thrust23THRUST_200600_302600_NS10device_ptrIiEEPS6_SD_NS0_5tupleIJSC_SC_EEENSE_IJSD_SD_EEES6_PlJ7is_evenIiEEEE10hipError_tPvRmT3_T4_T5_T6_T7_T9_mT8_P12ihipStream_tbDpT10_ENKUlT_T0_E_clISt17integral_constantIbLb1EES13_EEDaSY_SZ_EUlSY_E_NS1_11comp_targetILNS1_3genE0ELNS1_11target_archE4294967295ELNS1_3gpuE0ELNS1_3repE0EEENS1_30default_config_static_selectorELNS0_4arch9wavefront6targetE1EEEvT1_
; %bb.0:
	.section	.rodata,"a",@progbits
	.p2align	6, 0x0
	.amdhsa_kernel _ZN7rocprim17ROCPRIM_400000_NS6detail17trampoline_kernelINS0_14default_configENS1_25partition_config_selectorILNS1_17partition_subalgoE0EiNS0_10empty_typeEbEEZZNS1_14partition_implILS5_0ELb0ES3_jN6thrust23THRUST_200600_302600_NS10device_ptrIiEEPS6_SD_NS0_5tupleIJSC_SC_EEENSE_IJSD_SD_EEES6_PlJ7is_evenIiEEEE10hipError_tPvRmT3_T4_T5_T6_T7_T9_mT8_P12ihipStream_tbDpT10_ENKUlT_T0_E_clISt17integral_constantIbLb1EES13_EEDaSY_SZ_EUlSY_E_NS1_11comp_targetILNS1_3genE0ELNS1_11target_archE4294967295ELNS1_3gpuE0ELNS1_3repE0EEENS1_30default_config_static_selectorELNS0_4arch9wavefront6targetE1EEEvT1_
		.amdhsa_group_segment_fixed_size 0
		.amdhsa_private_segment_fixed_size 0
		.amdhsa_kernarg_size 136
		.amdhsa_user_sgpr_count 6
		.amdhsa_user_sgpr_private_segment_buffer 1
		.amdhsa_user_sgpr_dispatch_ptr 0
		.amdhsa_user_sgpr_queue_ptr 0
		.amdhsa_user_sgpr_kernarg_segment_ptr 1
		.amdhsa_user_sgpr_dispatch_id 0
		.amdhsa_user_sgpr_flat_scratch_init 0
		.amdhsa_user_sgpr_kernarg_preload_length 0
		.amdhsa_user_sgpr_kernarg_preload_offset 0
		.amdhsa_user_sgpr_private_segment_size 0
		.amdhsa_uses_dynamic_stack 0
		.amdhsa_system_sgpr_private_segment_wavefront_offset 0
		.amdhsa_system_sgpr_workgroup_id_x 1
		.amdhsa_system_sgpr_workgroup_id_y 0
		.amdhsa_system_sgpr_workgroup_id_z 0
		.amdhsa_system_sgpr_workgroup_info 0
		.amdhsa_system_vgpr_workitem_id 0
		.amdhsa_next_free_vgpr 1
		.amdhsa_next_free_sgpr 0
		.amdhsa_accum_offset 4
		.amdhsa_reserve_vcc 0
		.amdhsa_reserve_flat_scratch 0
		.amdhsa_float_round_mode_32 0
		.amdhsa_float_round_mode_16_64 0
		.amdhsa_float_denorm_mode_32 3
		.amdhsa_float_denorm_mode_16_64 3
		.amdhsa_dx10_clamp 1
		.amdhsa_ieee_mode 1
		.amdhsa_fp16_overflow 0
		.amdhsa_tg_split 0
		.amdhsa_exception_fp_ieee_invalid_op 0
		.amdhsa_exception_fp_denorm_src 0
		.amdhsa_exception_fp_ieee_div_zero 0
		.amdhsa_exception_fp_ieee_overflow 0
		.amdhsa_exception_fp_ieee_underflow 0
		.amdhsa_exception_fp_ieee_inexact 0
		.amdhsa_exception_int_div_zero 0
	.end_amdhsa_kernel
	.section	.text._ZN7rocprim17ROCPRIM_400000_NS6detail17trampoline_kernelINS0_14default_configENS1_25partition_config_selectorILNS1_17partition_subalgoE0EiNS0_10empty_typeEbEEZZNS1_14partition_implILS5_0ELb0ES3_jN6thrust23THRUST_200600_302600_NS10device_ptrIiEEPS6_SD_NS0_5tupleIJSC_SC_EEENSE_IJSD_SD_EEES6_PlJ7is_evenIiEEEE10hipError_tPvRmT3_T4_T5_T6_T7_T9_mT8_P12ihipStream_tbDpT10_ENKUlT_T0_E_clISt17integral_constantIbLb1EES13_EEDaSY_SZ_EUlSY_E_NS1_11comp_targetILNS1_3genE0ELNS1_11target_archE4294967295ELNS1_3gpuE0ELNS1_3repE0EEENS1_30default_config_static_selectorELNS0_4arch9wavefront6targetE1EEEvT1_,"axG",@progbits,_ZN7rocprim17ROCPRIM_400000_NS6detail17trampoline_kernelINS0_14default_configENS1_25partition_config_selectorILNS1_17partition_subalgoE0EiNS0_10empty_typeEbEEZZNS1_14partition_implILS5_0ELb0ES3_jN6thrust23THRUST_200600_302600_NS10device_ptrIiEEPS6_SD_NS0_5tupleIJSC_SC_EEENSE_IJSD_SD_EEES6_PlJ7is_evenIiEEEE10hipError_tPvRmT3_T4_T5_T6_T7_T9_mT8_P12ihipStream_tbDpT10_ENKUlT_T0_E_clISt17integral_constantIbLb1EES13_EEDaSY_SZ_EUlSY_E_NS1_11comp_targetILNS1_3genE0ELNS1_11target_archE4294967295ELNS1_3gpuE0ELNS1_3repE0EEENS1_30default_config_static_selectorELNS0_4arch9wavefront6targetE1EEEvT1_,comdat
.Lfunc_end3702:
	.size	_ZN7rocprim17ROCPRIM_400000_NS6detail17trampoline_kernelINS0_14default_configENS1_25partition_config_selectorILNS1_17partition_subalgoE0EiNS0_10empty_typeEbEEZZNS1_14partition_implILS5_0ELb0ES3_jN6thrust23THRUST_200600_302600_NS10device_ptrIiEEPS6_SD_NS0_5tupleIJSC_SC_EEENSE_IJSD_SD_EEES6_PlJ7is_evenIiEEEE10hipError_tPvRmT3_T4_T5_T6_T7_T9_mT8_P12ihipStream_tbDpT10_ENKUlT_T0_E_clISt17integral_constantIbLb1EES13_EEDaSY_SZ_EUlSY_E_NS1_11comp_targetILNS1_3genE0ELNS1_11target_archE4294967295ELNS1_3gpuE0ELNS1_3repE0EEENS1_30default_config_static_selectorELNS0_4arch9wavefront6targetE1EEEvT1_, .Lfunc_end3702-_ZN7rocprim17ROCPRIM_400000_NS6detail17trampoline_kernelINS0_14default_configENS1_25partition_config_selectorILNS1_17partition_subalgoE0EiNS0_10empty_typeEbEEZZNS1_14partition_implILS5_0ELb0ES3_jN6thrust23THRUST_200600_302600_NS10device_ptrIiEEPS6_SD_NS0_5tupleIJSC_SC_EEENSE_IJSD_SD_EEES6_PlJ7is_evenIiEEEE10hipError_tPvRmT3_T4_T5_T6_T7_T9_mT8_P12ihipStream_tbDpT10_ENKUlT_T0_E_clISt17integral_constantIbLb1EES13_EEDaSY_SZ_EUlSY_E_NS1_11comp_targetILNS1_3genE0ELNS1_11target_archE4294967295ELNS1_3gpuE0ELNS1_3repE0EEENS1_30default_config_static_selectorELNS0_4arch9wavefront6targetE1EEEvT1_
                                        ; -- End function
	.section	.AMDGPU.csdata,"",@progbits
; Kernel info:
; codeLenInByte = 0
; NumSgprs: 4
; NumVgprs: 0
; NumAgprs: 0
; TotalNumVgprs: 0
; ScratchSize: 0
; MemoryBound: 0
; FloatMode: 240
; IeeeMode: 1
; LDSByteSize: 0 bytes/workgroup (compile time only)
; SGPRBlocks: 0
; VGPRBlocks: 0
; NumSGPRsForWavesPerEU: 4
; NumVGPRsForWavesPerEU: 1
; AccumOffset: 4
; Occupancy: 8
; WaveLimiterHint : 0
; COMPUTE_PGM_RSRC2:SCRATCH_EN: 0
; COMPUTE_PGM_RSRC2:USER_SGPR: 6
; COMPUTE_PGM_RSRC2:TRAP_HANDLER: 0
; COMPUTE_PGM_RSRC2:TGID_X_EN: 1
; COMPUTE_PGM_RSRC2:TGID_Y_EN: 0
; COMPUTE_PGM_RSRC2:TGID_Z_EN: 0
; COMPUTE_PGM_RSRC2:TIDIG_COMP_CNT: 0
; COMPUTE_PGM_RSRC3_GFX90A:ACCUM_OFFSET: 0
; COMPUTE_PGM_RSRC3_GFX90A:TG_SPLIT: 0
	.section	.text._ZN7rocprim17ROCPRIM_400000_NS6detail17trampoline_kernelINS0_14default_configENS1_25partition_config_selectorILNS1_17partition_subalgoE0EiNS0_10empty_typeEbEEZZNS1_14partition_implILS5_0ELb0ES3_jN6thrust23THRUST_200600_302600_NS10device_ptrIiEEPS6_SD_NS0_5tupleIJSC_SC_EEENSE_IJSD_SD_EEES6_PlJ7is_evenIiEEEE10hipError_tPvRmT3_T4_T5_T6_T7_T9_mT8_P12ihipStream_tbDpT10_ENKUlT_T0_E_clISt17integral_constantIbLb1EES13_EEDaSY_SZ_EUlSY_E_NS1_11comp_targetILNS1_3genE5ELNS1_11target_archE942ELNS1_3gpuE9ELNS1_3repE0EEENS1_30default_config_static_selectorELNS0_4arch9wavefront6targetE1EEEvT1_,"axG",@progbits,_ZN7rocprim17ROCPRIM_400000_NS6detail17trampoline_kernelINS0_14default_configENS1_25partition_config_selectorILNS1_17partition_subalgoE0EiNS0_10empty_typeEbEEZZNS1_14partition_implILS5_0ELb0ES3_jN6thrust23THRUST_200600_302600_NS10device_ptrIiEEPS6_SD_NS0_5tupleIJSC_SC_EEENSE_IJSD_SD_EEES6_PlJ7is_evenIiEEEE10hipError_tPvRmT3_T4_T5_T6_T7_T9_mT8_P12ihipStream_tbDpT10_ENKUlT_T0_E_clISt17integral_constantIbLb1EES13_EEDaSY_SZ_EUlSY_E_NS1_11comp_targetILNS1_3genE5ELNS1_11target_archE942ELNS1_3gpuE9ELNS1_3repE0EEENS1_30default_config_static_selectorELNS0_4arch9wavefront6targetE1EEEvT1_,comdat
	.protected	_ZN7rocprim17ROCPRIM_400000_NS6detail17trampoline_kernelINS0_14default_configENS1_25partition_config_selectorILNS1_17partition_subalgoE0EiNS0_10empty_typeEbEEZZNS1_14partition_implILS5_0ELb0ES3_jN6thrust23THRUST_200600_302600_NS10device_ptrIiEEPS6_SD_NS0_5tupleIJSC_SC_EEENSE_IJSD_SD_EEES6_PlJ7is_evenIiEEEE10hipError_tPvRmT3_T4_T5_T6_T7_T9_mT8_P12ihipStream_tbDpT10_ENKUlT_T0_E_clISt17integral_constantIbLb1EES13_EEDaSY_SZ_EUlSY_E_NS1_11comp_targetILNS1_3genE5ELNS1_11target_archE942ELNS1_3gpuE9ELNS1_3repE0EEENS1_30default_config_static_selectorELNS0_4arch9wavefront6targetE1EEEvT1_ ; -- Begin function _ZN7rocprim17ROCPRIM_400000_NS6detail17trampoline_kernelINS0_14default_configENS1_25partition_config_selectorILNS1_17partition_subalgoE0EiNS0_10empty_typeEbEEZZNS1_14partition_implILS5_0ELb0ES3_jN6thrust23THRUST_200600_302600_NS10device_ptrIiEEPS6_SD_NS0_5tupleIJSC_SC_EEENSE_IJSD_SD_EEES6_PlJ7is_evenIiEEEE10hipError_tPvRmT3_T4_T5_T6_T7_T9_mT8_P12ihipStream_tbDpT10_ENKUlT_T0_E_clISt17integral_constantIbLb1EES13_EEDaSY_SZ_EUlSY_E_NS1_11comp_targetILNS1_3genE5ELNS1_11target_archE942ELNS1_3gpuE9ELNS1_3repE0EEENS1_30default_config_static_selectorELNS0_4arch9wavefront6targetE1EEEvT1_
	.globl	_ZN7rocprim17ROCPRIM_400000_NS6detail17trampoline_kernelINS0_14default_configENS1_25partition_config_selectorILNS1_17partition_subalgoE0EiNS0_10empty_typeEbEEZZNS1_14partition_implILS5_0ELb0ES3_jN6thrust23THRUST_200600_302600_NS10device_ptrIiEEPS6_SD_NS0_5tupleIJSC_SC_EEENSE_IJSD_SD_EEES6_PlJ7is_evenIiEEEE10hipError_tPvRmT3_T4_T5_T6_T7_T9_mT8_P12ihipStream_tbDpT10_ENKUlT_T0_E_clISt17integral_constantIbLb1EES13_EEDaSY_SZ_EUlSY_E_NS1_11comp_targetILNS1_3genE5ELNS1_11target_archE942ELNS1_3gpuE9ELNS1_3repE0EEENS1_30default_config_static_selectorELNS0_4arch9wavefront6targetE1EEEvT1_
	.p2align	8
	.type	_ZN7rocprim17ROCPRIM_400000_NS6detail17trampoline_kernelINS0_14default_configENS1_25partition_config_selectorILNS1_17partition_subalgoE0EiNS0_10empty_typeEbEEZZNS1_14partition_implILS5_0ELb0ES3_jN6thrust23THRUST_200600_302600_NS10device_ptrIiEEPS6_SD_NS0_5tupleIJSC_SC_EEENSE_IJSD_SD_EEES6_PlJ7is_evenIiEEEE10hipError_tPvRmT3_T4_T5_T6_T7_T9_mT8_P12ihipStream_tbDpT10_ENKUlT_T0_E_clISt17integral_constantIbLb1EES13_EEDaSY_SZ_EUlSY_E_NS1_11comp_targetILNS1_3genE5ELNS1_11target_archE942ELNS1_3gpuE9ELNS1_3repE0EEENS1_30default_config_static_selectorELNS0_4arch9wavefront6targetE1EEEvT1_,@function
_ZN7rocprim17ROCPRIM_400000_NS6detail17trampoline_kernelINS0_14default_configENS1_25partition_config_selectorILNS1_17partition_subalgoE0EiNS0_10empty_typeEbEEZZNS1_14partition_implILS5_0ELb0ES3_jN6thrust23THRUST_200600_302600_NS10device_ptrIiEEPS6_SD_NS0_5tupleIJSC_SC_EEENSE_IJSD_SD_EEES6_PlJ7is_evenIiEEEE10hipError_tPvRmT3_T4_T5_T6_T7_T9_mT8_P12ihipStream_tbDpT10_ENKUlT_T0_E_clISt17integral_constantIbLb1EES13_EEDaSY_SZ_EUlSY_E_NS1_11comp_targetILNS1_3genE5ELNS1_11target_archE942ELNS1_3gpuE9ELNS1_3repE0EEENS1_30default_config_static_selectorELNS0_4arch9wavefront6targetE1EEEvT1_: ; @_ZN7rocprim17ROCPRIM_400000_NS6detail17trampoline_kernelINS0_14default_configENS1_25partition_config_selectorILNS1_17partition_subalgoE0EiNS0_10empty_typeEbEEZZNS1_14partition_implILS5_0ELb0ES3_jN6thrust23THRUST_200600_302600_NS10device_ptrIiEEPS6_SD_NS0_5tupleIJSC_SC_EEENSE_IJSD_SD_EEES6_PlJ7is_evenIiEEEE10hipError_tPvRmT3_T4_T5_T6_T7_T9_mT8_P12ihipStream_tbDpT10_ENKUlT_T0_E_clISt17integral_constantIbLb1EES13_EEDaSY_SZ_EUlSY_E_NS1_11comp_targetILNS1_3genE5ELNS1_11target_archE942ELNS1_3gpuE9ELNS1_3repE0EEENS1_30default_config_static_selectorELNS0_4arch9wavefront6targetE1EEEvT1_
; %bb.0:
	.section	.rodata,"a",@progbits
	.p2align	6, 0x0
	.amdhsa_kernel _ZN7rocprim17ROCPRIM_400000_NS6detail17trampoline_kernelINS0_14default_configENS1_25partition_config_selectorILNS1_17partition_subalgoE0EiNS0_10empty_typeEbEEZZNS1_14partition_implILS5_0ELb0ES3_jN6thrust23THRUST_200600_302600_NS10device_ptrIiEEPS6_SD_NS0_5tupleIJSC_SC_EEENSE_IJSD_SD_EEES6_PlJ7is_evenIiEEEE10hipError_tPvRmT3_T4_T5_T6_T7_T9_mT8_P12ihipStream_tbDpT10_ENKUlT_T0_E_clISt17integral_constantIbLb1EES13_EEDaSY_SZ_EUlSY_E_NS1_11comp_targetILNS1_3genE5ELNS1_11target_archE942ELNS1_3gpuE9ELNS1_3repE0EEENS1_30default_config_static_selectorELNS0_4arch9wavefront6targetE1EEEvT1_
		.amdhsa_group_segment_fixed_size 0
		.amdhsa_private_segment_fixed_size 0
		.amdhsa_kernarg_size 136
		.amdhsa_user_sgpr_count 6
		.amdhsa_user_sgpr_private_segment_buffer 1
		.amdhsa_user_sgpr_dispatch_ptr 0
		.amdhsa_user_sgpr_queue_ptr 0
		.amdhsa_user_sgpr_kernarg_segment_ptr 1
		.amdhsa_user_sgpr_dispatch_id 0
		.amdhsa_user_sgpr_flat_scratch_init 0
		.amdhsa_user_sgpr_kernarg_preload_length 0
		.amdhsa_user_sgpr_kernarg_preload_offset 0
		.amdhsa_user_sgpr_private_segment_size 0
		.amdhsa_uses_dynamic_stack 0
		.amdhsa_system_sgpr_private_segment_wavefront_offset 0
		.amdhsa_system_sgpr_workgroup_id_x 1
		.amdhsa_system_sgpr_workgroup_id_y 0
		.amdhsa_system_sgpr_workgroup_id_z 0
		.amdhsa_system_sgpr_workgroup_info 0
		.amdhsa_system_vgpr_workitem_id 0
		.amdhsa_next_free_vgpr 1
		.amdhsa_next_free_sgpr 0
		.amdhsa_accum_offset 4
		.amdhsa_reserve_vcc 0
		.amdhsa_reserve_flat_scratch 0
		.amdhsa_float_round_mode_32 0
		.amdhsa_float_round_mode_16_64 0
		.amdhsa_float_denorm_mode_32 3
		.amdhsa_float_denorm_mode_16_64 3
		.amdhsa_dx10_clamp 1
		.amdhsa_ieee_mode 1
		.amdhsa_fp16_overflow 0
		.amdhsa_tg_split 0
		.amdhsa_exception_fp_ieee_invalid_op 0
		.amdhsa_exception_fp_denorm_src 0
		.amdhsa_exception_fp_ieee_div_zero 0
		.amdhsa_exception_fp_ieee_overflow 0
		.amdhsa_exception_fp_ieee_underflow 0
		.amdhsa_exception_fp_ieee_inexact 0
		.amdhsa_exception_int_div_zero 0
	.end_amdhsa_kernel
	.section	.text._ZN7rocprim17ROCPRIM_400000_NS6detail17trampoline_kernelINS0_14default_configENS1_25partition_config_selectorILNS1_17partition_subalgoE0EiNS0_10empty_typeEbEEZZNS1_14partition_implILS5_0ELb0ES3_jN6thrust23THRUST_200600_302600_NS10device_ptrIiEEPS6_SD_NS0_5tupleIJSC_SC_EEENSE_IJSD_SD_EEES6_PlJ7is_evenIiEEEE10hipError_tPvRmT3_T4_T5_T6_T7_T9_mT8_P12ihipStream_tbDpT10_ENKUlT_T0_E_clISt17integral_constantIbLb1EES13_EEDaSY_SZ_EUlSY_E_NS1_11comp_targetILNS1_3genE5ELNS1_11target_archE942ELNS1_3gpuE9ELNS1_3repE0EEENS1_30default_config_static_selectorELNS0_4arch9wavefront6targetE1EEEvT1_,"axG",@progbits,_ZN7rocprim17ROCPRIM_400000_NS6detail17trampoline_kernelINS0_14default_configENS1_25partition_config_selectorILNS1_17partition_subalgoE0EiNS0_10empty_typeEbEEZZNS1_14partition_implILS5_0ELb0ES3_jN6thrust23THRUST_200600_302600_NS10device_ptrIiEEPS6_SD_NS0_5tupleIJSC_SC_EEENSE_IJSD_SD_EEES6_PlJ7is_evenIiEEEE10hipError_tPvRmT3_T4_T5_T6_T7_T9_mT8_P12ihipStream_tbDpT10_ENKUlT_T0_E_clISt17integral_constantIbLb1EES13_EEDaSY_SZ_EUlSY_E_NS1_11comp_targetILNS1_3genE5ELNS1_11target_archE942ELNS1_3gpuE9ELNS1_3repE0EEENS1_30default_config_static_selectorELNS0_4arch9wavefront6targetE1EEEvT1_,comdat
.Lfunc_end3703:
	.size	_ZN7rocprim17ROCPRIM_400000_NS6detail17trampoline_kernelINS0_14default_configENS1_25partition_config_selectorILNS1_17partition_subalgoE0EiNS0_10empty_typeEbEEZZNS1_14partition_implILS5_0ELb0ES3_jN6thrust23THRUST_200600_302600_NS10device_ptrIiEEPS6_SD_NS0_5tupleIJSC_SC_EEENSE_IJSD_SD_EEES6_PlJ7is_evenIiEEEE10hipError_tPvRmT3_T4_T5_T6_T7_T9_mT8_P12ihipStream_tbDpT10_ENKUlT_T0_E_clISt17integral_constantIbLb1EES13_EEDaSY_SZ_EUlSY_E_NS1_11comp_targetILNS1_3genE5ELNS1_11target_archE942ELNS1_3gpuE9ELNS1_3repE0EEENS1_30default_config_static_selectorELNS0_4arch9wavefront6targetE1EEEvT1_, .Lfunc_end3703-_ZN7rocprim17ROCPRIM_400000_NS6detail17trampoline_kernelINS0_14default_configENS1_25partition_config_selectorILNS1_17partition_subalgoE0EiNS0_10empty_typeEbEEZZNS1_14partition_implILS5_0ELb0ES3_jN6thrust23THRUST_200600_302600_NS10device_ptrIiEEPS6_SD_NS0_5tupleIJSC_SC_EEENSE_IJSD_SD_EEES6_PlJ7is_evenIiEEEE10hipError_tPvRmT3_T4_T5_T6_T7_T9_mT8_P12ihipStream_tbDpT10_ENKUlT_T0_E_clISt17integral_constantIbLb1EES13_EEDaSY_SZ_EUlSY_E_NS1_11comp_targetILNS1_3genE5ELNS1_11target_archE942ELNS1_3gpuE9ELNS1_3repE0EEENS1_30default_config_static_selectorELNS0_4arch9wavefront6targetE1EEEvT1_
                                        ; -- End function
	.section	.AMDGPU.csdata,"",@progbits
; Kernel info:
; codeLenInByte = 0
; NumSgprs: 4
; NumVgprs: 0
; NumAgprs: 0
; TotalNumVgprs: 0
; ScratchSize: 0
; MemoryBound: 0
; FloatMode: 240
; IeeeMode: 1
; LDSByteSize: 0 bytes/workgroup (compile time only)
; SGPRBlocks: 0
; VGPRBlocks: 0
; NumSGPRsForWavesPerEU: 4
; NumVGPRsForWavesPerEU: 1
; AccumOffset: 4
; Occupancy: 8
; WaveLimiterHint : 0
; COMPUTE_PGM_RSRC2:SCRATCH_EN: 0
; COMPUTE_PGM_RSRC2:USER_SGPR: 6
; COMPUTE_PGM_RSRC2:TRAP_HANDLER: 0
; COMPUTE_PGM_RSRC2:TGID_X_EN: 1
; COMPUTE_PGM_RSRC2:TGID_Y_EN: 0
; COMPUTE_PGM_RSRC2:TGID_Z_EN: 0
; COMPUTE_PGM_RSRC2:TIDIG_COMP_CNT: 0
; COMPUTE_PGM_RSRC3_GFX90A:ACCUM_OFFSET: 0
; COMPUTE_PGM_RSRC3_GFX90A:TG_SPLIT: 0
	.section	.text._ZN7rocprim17ROCPRIM_400000_NS6detail17trampoline_kernelINS0_14default_configENS1_25partition_config_selectorILNS1_17partition_subalgoE0EiNS0_10empty_typeEbEEZZNS1_14partition_implILS5_0ELb0ES3_jN6thrust23THRUST_200600_302600_NS10device_ptrIiEEPS6_SD_NS0_5tupleIJSC_SC_EEENSE_IJSD_SD_EEES6_PlJ7is_evenIiEEEE10hipError_tPvRmT3_T4_T5_T6_T7_T9_mT8_P12ihipStream_tbDpT10_ENKUlT_T0_E_clISt17integral_constantIbLb1EES13_EEDaSY_SZ_EUlSY_E_NS1_11comp_targetILNS1_3genE4ELNS1_11target_archE910ELNS1_3gpuE8ELNS1_3repE0EEENS1_30default_config_static_selectorELNS0_4arch9wavefront6targetE1EEEvT1_,"axG",@progbits,_ZN7rocprim17ROCPRIM_400000_NS6detail17trampoline_kernelINS0_14default_configENS1_25partition_config_selectorILNS1_17partition_subalgoE0EiNS0_10empty_typeEbEEZZNS1_14partition_implILS5_0ELb0ES3_jN6thrust23THRUST_200600_302600_NS10device_ptrIiEEPS6_SD_NS0_5tupleIJSC_SC_EEENSE_IJSD_SD_EEES6_PlJ7is_evenIiEEEE10hipError_tPvRmT3_T4_T5_T6_T7_T9_mT8_P12ihipStream_tbDpT10_ENKUlT_T0_E_clISt17integral_constantIbLb1EES13_EEDaSY_SZ_EUlSY_E_NS1_11comp_targetILNS1_3genE4ELNS1_11target_archE910ELNS1_3gpuE8ELNS1_3repE0EEENS1_30default_config_static_selectorELNS0_4arch9wavefront6targetE1EEEvT1_,comdat
	.protected	_ZN7rocprim17ROCPRIM_400000_NS6detail17trampoline_kernelINS0_14default_configENS1_25partition_config_selectorILNS1_17partition_subalgoE0EiNS0_10empty_typeEbEEZZNS1_14partition_implILS5_0ELb0ES3_jN6thrust23THRUST_200600_302600_NS10device_ptrIiEEPS6_SD_NS0_5tupleIJSC_SC_EEENSE_IJSD_SD_EEES6_PlJ7is_evenIiEEEE10hipError_tPvRmT3_T4_T5_T6_T7_T9_mT8_P12ihipStream_tbDpT10_ENKUlT_T0_E_clISt17integral_constantIbLb1EES13_EEDaSY_SZ_EUlSY_E_NS1_11comp_targetILNS1_3genE4ELNS1_11target_archE910ELNS1_3gpuE8ELNS1_3repE0EEENS1_30default_config_static_selectorELNS0_4arch9wavefront6targetE1EEEvT1_ ; -- Begin function _ZN7rocprim17ROCPRIM_400000_NS6detail17trampoline_kernelINS0_14default_configENS1_25partition_config_selectorILNS1_17partition_subalgoE0EiNS0_10empty_typeEbEEZZNS1_14partition_implILS5_0ELb0ES3_jN6thrust23THRUST_200600_302600_NS10device_ptrIiEEPS6_SD_NS0_5tupleIJSC_SC_EEENSE_IJSD_SD_EEES6_PlJ7is_evenIiEEEE10hipError_tPvRmT3_T4_T5_T6_T7_T9_mT8_P12ihipStream_tbDpT10_ENKUlT_T0_E_clISt17integral_constantIbLb1EES13_EEDaSY_SZ_EUlSY_E_NS1_11comp_targetILNS1_3genE4ELNS1_11target_archE910ELNS1_3gpuE8ELNS1_3repE0EEENS1_30default_config_static_selectorELNS0_4arch9wavefront6targetE1EEEvT1_
	.globl	_ZN7rocprim17ROCPRIM_400000_NS6detail17trampoline_kernelINS0_14default_configENS1_25partition_config_selectorILNS1_17partition_subalgoE0EiNS0_10empty_typeEbEEZZNS1_14partition_implILS5_0ELb0ES3_jN6thrust23THRUST_200600_302600_NS10device_ptrIiEEPS6_SD_NS0_5tupleIJSC_SC_EEENSE_IJSD_SD_EEES6_PlJ7is_evenIiEEEE10hipError_tPvRmT3_T4_T5_T6_T7_T9_mT8_P12ihipStream_tbDpT10_ENKUlT_T0_E_clISt17integral_constantIbLb1EES13_EEDaSY_SZ_EUlSY_E_NS1_11comp_targetILNS1_3genE4ELNS1_11target_archE910ELNS1_3gpuE8ELNS1_3repE0EEENS1_30default_config_static_selectorELNS0_4arch9wavefront6targetE1EEEvT1_
	.p2align	8
	.type	_ZN7rocprim17ROCPRIM_400000_NS6detail17trampoline_kernelINS0_14default_configENS1_25partition_config_selectorILNS1_17partition_subalgoE0EiNS0_10empty_typeEbEEZZNS1_14partition_implILS5_0ELb0ES3_jN6thrust23THRUST_200600_302600_NS10device_ptrIiEEPS6_SD_NS0_5tupleIJSC_SC_EEENSE_IJSD_SD_EEES6_PlJ7is_evenIiEEEE10hipError_tPvRmT3_T4_T5_T6_T7_T9_mT8_P12ihipStream_tbDpT10_ENKUlT_T0_E_clISt17integral_constantIbLb1EES13_EEDaSY_SZ_EUlSY_E_NS1_11comp_targetILNS1_3genE4ELNS1_11target_archE910ELNS1_3gpuE8ELNS1_3repE0EEENS1_30default_config_static_selectorELNS0_4arch9wavefront6targetE1EEEvT1_,@function
_ZN7rocprim17ROCPRIM_400000_NS6detail17trampoline_kernelINS0_14default_configENS1_25partition_config_selectorILNS1_17partition_subalgoE0EiNS0_10empty_typeEbEEZZNS1_14partition_implILS5_0ELb0ES3_jN6thrust23THRUST_200600_302600_NS10device_ptrIiEEPS6_SD_NS0_5tupleIJSC_SC_EEENSE_IJSD_SD_EEES6_PlJ7is_evenIiEEEE10hipError_tPvRmT3_T4_T5_T6_T7_T9_mT8_P12ihipStream_tbDpT10_ENKUlT_T0_E_clISt17integral_constantIbLb1EES13_EEDaSY_SZ_EUlSY_E_NS1_11comp_targetILNS1_3genE4ELNS1_11target_archE910ELNS1_3gpuE8ELNS1_3repE0EEENS1_30default_config_static_selectorELNS0_4arch9wavefront6targetE1EEEvT1_: ; @_ZN7rocprim17ROCPRIM_400000_NS6detail17trampoline_kernelINS0_14default_configENS1_25partition_config_selectorILNS1_17partition_subalgoE0EiNS0_10empty_typeEbEEZZNS1_14partition_implILS5_0ELb0ES3_jN6thrust23THRUST_200600_302600_NS10device_ptrIiEEPS6_SD_NS0_5tupleIJSC_SC_EEENSE_IJSD_SD_EEES6_PlJ7is_evenIiEEEE10hipError_tPvRmT3_T4_T5_T6_T7_T9_mT8_P12ihipStream_tbDpT10_ENKUlT_T0_E_clISt17integral_constantIbLb1EES13_EEDaSY_SZ_EUlSY_E_NS1_11comp_targetILNS1_3genE4ELNS1_11target_archE910ELNS1_3gpuE8ELNS1_3repE0EEENS1_30default_config_static_selectorELNS0_4arch9wavefront6targetE1EEEvT1_
; %bb.0:
	s_load_dwordx2 s[2:3], s[4:5], 0x58
	s_load_dwordx4 s[20:23], s[4:5], 0x48
	s_load_dwordx2 s[34:35], s[4:5], 0x68
	v_cmp_eq_u32_e64 s[0:1], 0, v0
	s_and_saveexec_b64 s[6:7], s[0:1]
	s_cbranch_execz .LBB3704_4
; %bb.1:
	s_mov_b64 s[10:11], exec
	v_mbcnt_lo_u32_b32 v1, s10, 0
	v_mbcnt_hi_u32_b32 v1, s11, v1
	v_cmp_eq_u32_e32 vcc, 0, v1
                                        ; implicit-def: $vgpr2
	s_and_saveexec_b64 s[8:9], vcc
	s_cbranch_execz .LBB3704_3
; %bb.2:
	s_load_dwordx2 s[12:13], s[4:5], 0x78
	s_bcnt1_i32_b64 s10, s[10:11]
	v_mov_b32_e32 v2, 0
	v_mov_b32_e32 v3, s10
	s_waitcnt lgkmcnt(0)
	global_atomic_add v2, v2, v3, s[12:13] glc
.LBB3704_3:
	s_or_b64 exec, exec, s[8:9]
	s_waitcnt vmcnt(0)
	v_readfirstlane_b32 s8, v2
	v_add_u32_e32 v1, s8, v1
	v_mov_b32_e32 v2, 0
	ds_write_b32 v2, v1
.LBB3704_4:
	s_or_b64 exec, exec, s[6:7]
	v_mov_b32_e32 v3, 0
	s_load_dwordx4 s[28:31], s[4:5], 0x8
	s_load_dwordx4 s[24:27], s[4:5], 0x28
	s_load_dword s6, s[4:5], 0x70
	s_waitcnt lgkmcnt(0)
	s_barrier
	ds_read_b32 v1, v3
	s_waitcnt lgkmcnt(0)
	s_barrier
	global_load_dwordx2 v[12:13], v3, s[22:23]
	v_mov_b32_e32 v5, s3
	s_lshl_b64 s[4:5], s[30:31], 2
	s_movk_i32 s3, 0xa00
	s_add_u32 s7, s28, s4
	v_mul_lo_u32 v2, v1, s3
	s_mul_i32 s3, s6, 0xa00
	s_addc_u32 s8, s29, s5
	s_add_i32 s5, s3, s30
	s_sub_i32 s33, s2, s5
	s_add_i32 s4, s6, -1
	s_addk_i32 s33, 0xa00
	v_mov_b32_e32 v4, s2
	s_add_u32 s2, s30, s3
	v_readfirstlane_b32 s40, v1
	s_addc_u32 s3, s31, 0
	s_cmp_eq_u32 s40, s4
	s_cselect_b64 s[22:23], -1, 0
	s_cmp_lg_u32 s40, s4
	v_cmp_lt_u64_e32 vcc, s[2:3], v[4:5]
	s_cselect_b64 s[2:3], -1, 0
	v_lshlrev_b64 v[14:15], 2, v[2:3]
	s_or_b64 s[4:5], vcc, s[2:3]
	v_mov_b32_e32 v1, s8
	v_add_co_u32_e32 v16, vcc, s7, v14
	v_addc_co_u32_e32 v17, vcc, v1, v15, vcc
	s_mov_b64 s[2:3], -1
	s_and_b64 vcc, exec, s[4:5]
	v_lshlrev_b32_e32 v1, 2, v0
	s_cbranch_vccz .LBB3704_6
; %bb.5:
	v_add_co_u32_e32 v2, vcc, v16, v1
	v_addc_co_u32_e32 v3, vcc, 0, v17, vcc
	v_add_co_u32_e32 v4, vcc, 0x1000, v2
	v_addc_co_u32_e32 v5, vcc, 0, v3, vcc
	flat_load_dword v6, v[2:3]
	flat_load_dword v7, v[2:3] offset:1024
	flat_load_dword v8, v[2:3] offset:2048
	;; [unrolled: 1-line block ×3, first 2 shown]
	flat_load_dword v10, v[4:5]
	flat_load_dword v11, v[4:5] offset:1024
	flat_load_dword v18, v[4:5] offset:2048
	flat_load_dword v19, v[4:5] offset:3072
	v_add_co_u32_e32 v2, vcc, 0x2000, v2
	v_addc_co_u32_e32 v3, vcc, 0, v3, vcc
	flat_load_dword v4, v[2:3]
	flat_load_dword v5, v[2:3] offset:1024
	s_mov_b64 s[2:3], 0
	s_waitcnt vmcnt(0) lgkmcnt(0)
	ds_write2st64_b32 v1, v6, v7 offset1:4
	ds_write2st64_b32 v1, v8, v9 offset0:8 offset1:12
	ds_write2st64_b32 v1, v10, v11 offset0:16 offset1:20
	;; [unrolled: 1-line block ×4, first 2 shown]
	s_waitcnt lgkmcnt(0)
	s_barrier
.LBB3704_6:
	s_andn2_b64 vcc, exec, s[2:3]
	v_cmp_gt_u32_e64 s[2:3], s33, v0
	s_cbranch_vccnz .LBB3704_28
; %bb.7:
                                        ; implicit-def: $vgpr2_vgpr3_vgpr4_vgpr5_vgpr6_vgpr7_vgpr8_vgpr9_vgpr10_vgpr11
	s_and_saveexec_b64 s[6:7], s[2:3]
	s_cbranch_execz .LBB3704_9
; %bb.8:
	v_add_co_u32_e32 v2, vcc, v16, v1
	v_addc_co_u32_e32 v3, vcc, 0, v17, vcc
	flat_load_dword v2, v[2:3]
.LBB3704_9:
	s_or_b64 exec, exec, s[6:7]
	v_or_b32_e32 v18, 0x100, v0
	v_cmp_gt_u32_e32 vcc, s33, v18
	s_and_saveexec_b64 s[2:3], vcc
	s_cbranch_execz .LBB3704_11
; %bb.10:
	v_add_co_u32_e32 v18, vcc, v16, v1
	v_addc_co_u32_e32 v19, vcc, 0, v17, vcc
	flat_load_dword v3, v[18:19] offset:1024
.LBB3704_11:
	s_or_b64 exec, exec, s[2:3]
	v_or_b32_e32 v18, 0x200, v0
	v_cmp_gt_u32_e32 vcc, s33, v18
	s_and_saveexec_b64 s[2:3], vcc
	s_cbranch_execz .LBB3704_13
; %bb.12:
	v_add_co_u32_e32 v18, vcc, v16, v1
	v_addc_co_u32_e32 v19, vcc, 0, v17, vcc
	flat_load_dword v4, v[18:19] offset:2048
.LBB3704_13:
	;; [unrolled: 10-line block ×3, first 2 shown]
	s_or_b64 exec, exec, s[2:3]
	v_or_b32_e32 v18, 0x400, v0
	v_cmp_gt_u32_e32 vcc, s33, v18
	s_and_saveexec_b64 s[2:3], vcc
	s_cbranch_execz .LBB3704_17
; %bb.16:
	v_lshlrev_b32_e32 v6, 2, v18
	v_add_co_u32_e32 v18, vcc, v16, v6
	v_addc_co_u32_e32 v19, vcc, 0, v17, vcc
	flat_load_dword v6, v[18:19]
.LBB3704_17:
	s_or_b64 exec, exec, s[2:3]
	v_or_b32_e32 v18, 0x500, v0
	v_cmp_gt_u32_e32 vcc, s33, v18
	s_and_saveexec_b64 s[2:3], vcc
	s_cbranch_execz .LBB3704_19
; %bb.18:
	v_lshlrev_b32_e32 v7, 2, v18
	v_add_co_u32_e32 v18, vcc, v16, v7
	v_addc_co_u32_e32 v19, vcc, 0, v17, vcc
	flat_load_dword v7, v[18:19]
.LBB3704_19:
	;; [unrolled: 11-line block ×6, first 2 shown]
	s_or_b64 exec, exec, s[2:3]
	s_waitcnt vmcnt(0) lgkmcnt(0)
	ds_write2st64_b32 v1, v2, v3 offset1:4
	ds_write2st64_b32 v1, v4, v5 offset0:8 offset1:12
	ds_write2st64_b32 v1, v6, v7 offset0:16 offset1:20
	;; [unrolled: 1-line block ×4, first 2 shown]
	s_waitcnt lgkmcnt(0)
	s_barrier
.LBB3704_28:
	v_mul_u32_u24_e32 v27, 10, v0
	v_lshlrev_b32_e32 v33, 2, v27
	ds_read2_b64 v[6:9], v33 offset1:1
	ds_read2_b64 v[2:5], v33 offset0:2 offset1:3
	ds_read_b64 v[10:11], v33 offset:32
	v_cndmask_b32_e64 v16, 0, 1, s[4:5]
	v_cmp_ne_u32_e64 s[2:3], 1, v16
	s_andn2_b64 vcc, exec, s[4:5]
	s_waitcnt lgkmcnt(2)
	v_xor_b32_e32 v25, -1, v6
	v_xor_b32_e32 v24, -1, v7
	;; [unrolled: 1-line block ×4, first 2 shown]
	s_waitcnt lgkmcnt(1)
	v_xor_b32_e32 v21, -1, v2
	v_xor_b32_e32 v20, -1, v3
	v_xor_b32_e32 v19, -1, v4
	v_xor_b32_e32 v18, -1, v5
	s_waitcnt lgkmcnt(0)
	v_xor_b32_e32 v17, -1, v10
	v_xor_b32_e32 v16, -1, v11
	s_barrier
	s_cbranch_vccnz .LBB3704_30
; %bb.29:
	v_mov_b32_e32 v26, 1
	v_and_b32_e32 v29, 1, v25
	v_and_b32_sdwa v30, v24, v26 dst_sel:BYTE_1 dst_unused:UNUSED_PAD src0_sel:DWORD src1_sel:DWORD
	v_and_b32_e32 v31, 1, v23
	v_and_b32_sdwa v32, v22, v26 dst_sel:BYTE_1 dst_unused:UNUSED_PAD src0_sel:DWORD src1_sel:DWORD
	;; [unrolled: 2-line block ×4, first 2 shown]
	v_or_b32_e32 v29, v29, v30
	v_or_b32_sdwa v30, v31, v32 dst_sel:WORD_1 dst_unused:UNUSED_PAD src0_sel:DWORD src1_sel:DWORD
	v_or_b32_sdwa v30, v29, v30 dst_sel:DWORD dst_unused:UNUSED_PAD src0_sel:WORD_0 src1_sel:DWORD
	v_or_b32_e32 v29, v34, v35
	v_or_b32_sdwa v31, v36, v37 dst_sel:WORD_1 dst_unused:UNUSED_PAD src0_sel:DWORD src1_sel:DWORD
	v_and_b32_e32 v28, 1, v17
	v_and_b32_e32 v26, 1, v16
	v_or_b32_sdwa v29, v29, v31 dst_sel:DWORD dst_unused:UNUSED_PAD src0_sel:WORD_0 src1_sel:DWORD
	s_cbranch_execz .LBB3704_31
	s_branch .LBB3704_32
.LBB3704_30:
                                        ; implicit-def: $vgpr26
                                        ; implicit-def: $vgpr28
                                        ; implicit-def: $vgpr29
                                        ; implicit-def: $vgpr30
.LBB3704_31:
	v_or_b32_e32 v36, 1, v27
	v_cmp_gt_u32_e32 vcc, s33, v27
	v_add_u32_e32 v26, 2, v27
	v_cndmask_b32_e64 v37, 0, 1, vcc
	v_cmp_gt_u32_e32 vcc, s33, v36
	v_add_u32_e32 v35, 3, v27
	v_cndmask_b32_e64 v36, 0, 1, vcc
	;; [unrolled: 3-line block ×3, first 2 shown]
	v_cmp_gt_u32_e32 vcc, s33, v35
	v_add_u32_e32 v34, 5, v27
	v_and_b32_e32 v23, v26, v23
	v_cndmask_b32_e64 v26, 0, 1, vcc
	v_cmp_gt_u32_e32 vcc, s33, v28
	v_add_u32_e32 v29, 6, v27
	v_and_b32_sdwa v22, v26, v22 dst_sel:BYTE_1 dst_unused:UNUSED_PAD src0_sel:DWORD src1_sel:DWORD
	v_cndmask_b32_e64 v26, 0, 1, vcc
	v_cmp_gt_u32_e32 vcc, s33, v34
	v_add_u32_e32 v32, 7, v27
	v_and_b32_e32 v21, v26, v21
	v_cndmask_b32_e64 v26, 0, 1, vcc
	v_cmp_gt_u32_e32 vcc, s33, v29
	v_add_u32_e32 v30, 8, v27
	v_and_b32_sdwa v20, v26, v20 dst_sel:BYTE_1 dst_unused:UNUSED_PAD src0_sel:DWORD src1_sel:DWORD
	v_cndmask_b32_e64 v26, 0, 1, vcc
	v_cmp_gt_u32_e32 vcc, s33, v32
	v_add_u32_e32 v31, 9, v27
	v_and_b32_e32 v19, v26, v19
	v_cndmask_b32_e64 v26, 0, 1, vcc
	v_cmp_gt_u32_e32 vcc, s33, v30
	v_and_b32_sdwa v18, v26, v18 dst_sel:BYTE_1 dst_unused:UNUSED_PAD src0_sel:DWORD src1_sel:DWORD
	v_cndmask_b32_e64 v26, 0, 1, vcc
	v_cmp_gt_u32_e32 vcc, s33, v31
	v_and_b32_e32 v25, v37, v25
	v_and_b32_sdwa v24, v36, v24 dst_sel:BYTE_1 dst_unused:UNUSED_PAD src0_sel:DWORD src1_sel:DWORD
	v_and_b32_e32 v28, v26, v17
	v_cndmask_b32_e64 v17, 0, 1, vcc
	v_and_b32_e32 v26, v17, v16
	v_or_b32_e32 v16, v25, v24
	v_or_b32_sdwa v17, v23, v22 dst_sel:WORD_1 dst_unused:UNUSED_PAD src0_sel:DWORD src1_sel:DWORD
	v_or_b32_sdwa v30, v16, v17 dst_sel:DWORD dst_unused:UNUSED_PAD src0_sel:WORD_0 src1_sel:DWORD
	v_or_b32_e32 v16, v21, v20
	v_or_b32_sdwa v17, v19, v18 dst_sel:WORD_1 dst_unused:UNUSED_PAD src0_sel:DWORD src1_sel:DWORD
	v_or_b32_sdwa v29, v16, v17 dst_sel:DWORD dst_unused:UNUSED_PAD src0_sel:WORD_0 src1_sel:DWORD
.LBB3704_32:
	v_bfe_u32 v34, v30, 16, 8
	v_lshrrev_b32_e32 v32, 24, v30
	v_add_u32_sdwa v17, v30, v30 dst_sel:DWORD dst_unused:UNUSED_PAD src0_sel:BYTE_1 src1_sel:BYTE_0
	v_and_b32_e32 v35, 0xff, v29
	v_bfe_u32 v36, v29, 8, 8
	v_add3_u32 v17, v17, v34, v32
	v_bfe_u32 v37, v29, 16, 8
	v_lshrrev_b32_e32 v31, 24, v29
	v_add3_u32 v17, v17, v35, v36
	v_and_b32_e32 v38, 0xff, v28
	v_and_b32_e32 v16, 0xff, v26
	v_add3_u32 v17, v17, v37, v31
	v_add3_u32 v41, v17, v38, v16
	v_mbcnt_lo_u32_b32 v16, -1, 0
	v_mbcnt_hi_u32_b32 v39, -1, v16
	v_and_b32_e32 v16, 15, v39
	v_cmp_eq_u32_e64 s[16:17], 0, v16
	v_cmp_lt_u32_e64 s[14:15], 1, v16
	v_cmp_lt_u32_e64 s[12:13], 3, v16
	;; [unrolled: 1-line block ×3, first 2 shown]
	v_and_b32_e32 v16, 16, v39
	v_cmp_eq_u32_e64 s[8:9], 0, v16
	v_or_b32_e32 v16, 63, v0
	s_cmp_lg_u32 s40, 0
	v_cmp_lt_u32_e64 s[4:5], 31, v39
	v_lshrrev_b32_e32 v40, 6, v0
	v_cmp_eq_u32_e64 s[6:7], v16, v0
	s_cbranch_scc0 .LBB3704_63
; %bb.33:
	v_mov_b32_dpp v16, v41 row_shr:1 row_mask:0xf bank_mask:0xf
	v_cndmask_b32_e64 v16, v16, 0, s[16:17]
	v_add_u32_e32 v16, v16, v41
	s_nop 1
	v_mov_b32_dpp v17, v16 row_shr:2 row_mask:0xf bank_mask:0xf
	v_cndmask_b32_e64 v17, 0, v17, s[14:15]
	v_add_u32_e32 v16, v16, v17
	s_nop 1
	;; [unrolled: 4-line block ×4, first 2 shown]
	v_mov_b32_dpp v17, v16 row_bcast:15 row_mask:0xf bank_mask:0xf
	v_cndmask_b32_e64 v17, v17, 0, s[8:9]
	v_add_u32_e32 v16, v16, v17
	s_nop 1
	v_mov_b32_dpp v17, v16 row_bcast:31 row_mask:0xf bank_mask:0xf
	v_cndmask_b32_e64 v17, 0, v17, s[4:5]
	v_add_u32_e32 v16, v16, v17
	s_and_saveexec_b64 s[18:19], s[6:7]
	s_cbranch_execz .LBB3704_35
; %bb.34:
	v_lshlrev_b32_e32 v17, 2, v40
	ds_write_b32 v17, v16
.LBB3704_35:
	s_or_b64 exec, exec, s[18:19]
	v_cmp_gt_u32_e32 vcc, 4, v0
	s_waitcnt lgkmcnt(0)
	s_barrier
	s_and_saveexec_b64 s[18:19], vcc
	s_cbranch_execz .LBB3704_37
; %bb.36:
	ds_read_b32 v17, v1
	v_and_b32_e32 v18, 3, v39
	v_cmp_ne_u32_e32 vcc, 0, v18
	s_waitcnt lgkmcnt(0)
	v_mov_b32_dpp v19, v17 row_shr:1 row_mask:0xf bank_mask:0xf
	v_cndmask_b32_e32 v19, 0, v19, vcc
	v_add_u32_e32 v17, v19, v17
	v_cmp_lt_u32_e32 vcc, 1, v18
	s_nop 0
	v_mov_b32_dpp v19, v17 row_shr:2 row_mask:0xf bank_mask:0xf
	v_cndmask_b32_e32 v18, 0, v19, vcc
	v_add_u32_e32 v17, v17, v18
	ds_write_b32 v1, v17
.LBB3704_37:
	s_or_b64 exec, exec, s[18:19]
	v_cmp_gt_u32_e32 vcc, 64, v0
	v_cmp_lt_u32_e64 s[18:19], 63, v0
	s_waitcnt lgkmcnt(0)
	s_barrier
	s_waitcnt lgkmcnt(0)
                                        ; implicit-def: $vgpr42
	s_and_saveexec_b64 s[28:29], s[18:19]
	s_cbranch_execz .LBB3704_39
; %bb.38:
	v_lshl_add_u32 v17, v40, 2, -4
	ds_read_b32 v42, v17
	s_waitcnt lgkmcnt(0)
	v_add_u32_e32 v16, v42, v16
.LBB3704_39:
	s_or_b64 exec, exec, s[28:29]
	v_add_u32_e32 v17, -1, v39
	v_and_b32_e32 v18, 64, v39
	v_cmp_lt_i32_e64 s[18:19], v17, v18
	v_cndmask_b32_e64 v17, v17, v39, s[18:19]
	v_lshlrev_b32_e32 v17, 2, v17
	ds_bpermute_b32 v43, v17, v16
	v_cmp_eq_u32_e64 s[18:19], 0, v39
	s_and_saveexec_b64 s[28:29], vcc
	s_cbranch_execz .LBB3704_62
; %bb.40:
	v_mov_b32_e32 v25, 0
	ds_read_b32 v16, v25 offset:12
	s_and_saveexec_b64 s[36:37], s[18:19]
	s_cbranch_execz .LBB3704_42
; %bb.41:
	s_add_i32 s38, s40, 64
	s_mov_b32 s39, 0
	s_lshl_b64 s[38:39], s[38:39], 3
	s_add_u32 s38, s34, s38
	v_mov_b32_e32 v17, 1
	s_addc_u32 s39, s35, s39
	s_waitcnt lgkmcnt(0)
	global_store_dwordx2 v25, v[16:17], s[38:39]
.LBB3704_42:
	s_or_b64 exec, exec, s[36:37]
	v_xad_u32 v18, v39, -1, s40
	v_add_u32_e32 v24, 64, v18
	v_lshlrev_b64 v[20:21], 3, v[24:25]
	v_mov_b32_e32 v17, s35
	v_add_co_u32_e32 v20, vcc, s34, v20
	v_addc_co_u32_e32 v21, vcc, v17, v21, vcc
	global_load_dwordx2 v[22:23], v[20:21], off glc
	s_waitcnt vmcnt(0)
	v_cmp_eq_u16_sdwa s[38:39], v23, v25 src0_sel:BYTE_0 src1_sel:DWORD
	s_and_saveexec_b64 s[36:37], s[38:39]
	s_cbranch_execz .LBB3704_48
; %bb.43:
	s_mov_b32 s41, 1
	s_mov_b64 s[38:39], 0
	v_mov_b32_e32 v17, 0
.LBB3704_44:                            ; =>This Loop Header: Depth=1
                                        ;     Child Loop BB3704_45 Depth 2
	s_max_u32 s42, s41, 1
.LBB3704_45:                            ;   Parent Loop BB3704_44 Depth=1
                                        ; =>  This Inner Loop Header: Depth=2
	s_add_i32 s42, s42, -1
	s_cmp_eq_u32 s42, 0
	s_sleep 1
	s_cbranch_scc0 .LBB3704_45
; %bb.46:                               ;   in Loop: Header=BB3704_44 Depth=1
	global_load_dwordx2 v[22:23], v[20:21], off glc
	s_cmp_lt_u32 s41, 32
	s_cselect_b64 s[42:43], -1, 0
	s_cmp_lg_u64 s[42:43], 0
	s_addc_u32 s41, s41, 0
	s_waitcnt vmcnt(0)
	v_cmp_ne_u16_sdwa s[42:43], v23, v17 src0_sel:BYTE_0 src1_sel:DWORD
	s_or_b64 s[38:39], s[42:43], s[38:39]
	s_andn2_b64 exec, exec, s[38:39]
	s_cbranch_execnz .LBB3704_44
; %bb.47:
	s_or_b64 exec, exec, s[38:39]
.LBB3704_48:
	s_or_b64 exec, exec, s[36:37]
	v_and_b32_e32 v45, 63, v39
	v_mov_b32_e32 v44, 2
	v_cmp_ne_u32_e32 vcc, 63, v45
	v_cmp_eq_u16_sdwa s[36:37], v23, v44 src0_sel:BYTE_0 src1_sel:DWORD
	v_lshlrev_b64 v[20:21], v39, -1
	v_addc_co_u32_e32 v24, vcc, 0, v39, vcc
	v_and_b32_e32 v17, s37, v21
	v_lshlrev_b32_e32 v46, 2, v24
	v_or_b32_e32 v17, 0x80000000, v17
	ds_bpermute_b32 v24, v46, v22
	v_and_b32_e32 v19, s36, v20
	v_ffbl_b32_e32 v17, v17
	v_add_u32_e32 v17, 32, v17
	v_ffbl_b32_e32 v19, v19
	v_min_u32_e32 v17, v19, v17
	v_cmp_lt_u32_e32 vcc, v45, v17
	s_waitcnt lgkmcnt(0)
	v_cndmask_b32_e32 v19, 0, v24, vcc
	v_cmp_gt_u32_e32 vcc, 62, v45
	v_add_u32_e32 v19, v19, v22
	v_cndmask_b32_e64 v22, 0, 1, vcc
	v_lshlrev_b32_e32 v22, 1, v22
	v_add_lshl_u32 v47, v22, v39, 2
	ds_bpermute_b32 v22, v47, v19
	v_add_u32_e32 v48, 2, v45
	v_cmp_le_u32_e32 vcc, v48, v17
	v_add_u32_e32 v50, 4, v45
	v_add_u32_e32 v52, 8, v45
	s_waitcnt lgkmcnt(0)
	v_cndmask_b32_e32 v22, 0, v22, vcc
	v_cmp_gt_u32_e32 vcc, 60, v45
	v_add_u32_e32 v19, v19, v22
	v_cndmask_b32_e64 v22, 0, 1, vcc
	v_lshlrev_b32_e32 v22, 2, v22
	v_add_lshl_u32 v49, v22, v39, 2
	ds_bpermute_b32 v22, v49, v19
	v_cmp_le_u32_e32 vcc, v50, v17
	v_add_u32_e32 v54, 16, v45
	v_add_u32_e32 v56, 32, v45
	s_waitcnt lgkmcnt(0)
	v_cndmask_b32_e32 v22, 0, v22, vcc
	v_cmp_gt_u32_e32 vcc, 56, v45
	v_add_u32_e32 v19, v19, v22
	v_cndmask_b32_e64 v22, 0, 1, vcc
	v_lshlrev_b32_e32 v22, 3, v22
	v_add_lshl_u32 v51, v22, v39, 2
	ds_bpermute_b32 v22, v51, v19
	v_cmp_le_u32_e32 vcc, v52, v17
	s_waitcnt lgkmcnt(0)
	v_cndmask_b32_e32 v22, 0, v22, vcc
	v_cmp_gt_u32_e32 vcc, 48, v45
	v_add_u32_e32 v19, v19, v22
	v_cndmask_b32_e64 v22, 0, 1, vcc
	v_lshlrev_b32_e32 v22, 4, v22
	v_add_lshl_u32 v53, v22, v39, 2
	ds_bpermute_b32 v22, v53, v19
	v_cmp_le_u32_e32 vcc, v54, v17
	;; [unrolled: 9-line block ×3, first 2 shown]
	s_waitcnt lgkmcnt(0)
	v_cndmask_b32_e32 v17, 0, v22, vcc
	v_add_u32_e32 v22, v19, v17
	v_mov_b32_e32 v19, 0
	s_branch .LBB3704_50
.LBB3704_49:                            ;   in Loop: Header=BB3704_50 Depth=1
	s_or_b64 exec, exec, s[36:37]
	v_cmp_eq_u16_sdwa s[36:37], v23, v44 src0_sel:BYTE_0 src1_sel:DWORD
	v_and_b32_e32 v24, s37, v21
	v_or_b32_e32 v24, 0x80000000, v24
	ds_bpermute_b32 v57, v46, v22
	v_and_b32_e32 v25, s36, v20
	v_ffbl_b32_e32 v24, v24
	v_add_u32_e32 v24, 32, v24
	v_ffbl_b32_e32 v25, v25
	v_min_u32_e32 v24, v25, v24
	v_cmp_lt_u32_e32 vcc, v45, v24
	s_waitcnt lgkmcnt(0)
	v_cndmask_b32_e32 v25, 0, v57, vcc
	v_add_u32_e32 v22, v25, v22
	ds_bpermute_b32 v25, v47, v22
	v_cmp_le_u32_e32 vcc, v48, v24
	v_subrev_u32_e32 v18, 64, v18
	s_waitcnt lgkmcnt(0)
	v_cndmask_b32_e32 v25, 0, v25, vcc
	v_add_u32_e32 v22, v22, v25
	ds_bpermute_b32 v25, v49, v22
	v_cmp_le_u32_e32 vcc, v50, v24
	s_waitcnt lgkmcnt(0)
	v_cndmask_b32_e32 v25, 0, v25, vcc
	v_add_u32_e32 v22, v22, v25
	ds_bpermute_b32 v25, v51, v22
	v_cmp_le_u32_e32 vcc, v52, v24
	;; [unrolled: 5-line block ×4, first 2 shown]
	s_waitcnt lgkmcnt(0)
	v_cndmask_b32_e32 v24, 0, v25, vcc
	v_add3_u32 v22, v24, v17, v22
.LBB3704_50:                            ; =>This Loop Header: Depth=1
                                        ;     Child Loop BB3704_53 Depth 2
                                        ;       Child Loop BB3704_54 Depth 3
	v_cmp_ne_u16_sdwa s[36:37], v23, v44 src0_sel:BYTE_0 src1_sel:DWORD
	v_cndmask_b32_e64 v17, 0, 1, s[36:37]
	;;#ASMSTART
	;;#ASMEND
	v_cmp_ne_u32_e32 vcc, 0, v17
	s_cmp_lg_u64 vcc, exec
	v_mov_b32_e32 v17, v22
	s_cbranch_scc1 .LBB3704_57
; %bb.51:                               ;   in Loop: Header=BB3704_50 Depth=1
	v_lshlrev_b64 v[22:23], 3, v[18:19]
	v_mov_b32_e32 v25, s35
	v_add_co_u32_e32 v24, vcc, s34, v22
	v_addc_co_u32_e32 v25, vcc, v25, v23, vcc
	global_load_dwordx2 v[22:23], v[24:25], off glc
	s_waitcnt vmcnt(0)
	v_cmp_eq_u16_sdwa s[38:39], v23, v19 src0_sel:BYTE_0 src1_sel:DWORD
	s_and_saveexec_b64 s[36:37], s[38:39]
	s_cbranch_execz .LBB3704_49
; %bb.52:                               ;   in Loop: Header=BB3704_50 Depth=1
	s_mov_b32 s41, 1
	s_mov_b64 s[38:39], 0
.LBB3704_53:                            ;   Parent Loop BB3704_50 Depth=1
                                        ; =>  This Loop Header: Depth=2
                                        ;       Child Loop BB3704_54 Depth 3
	s_max_u32 s42, s41, 1
.LBB3704_54:                            ;   Parent Loop BB3704_50 Depth=1
                                        ;     Parent Loop BB3704_53 Depth=2
                                        ; =>    This Inner Loop Header: Depth=3
	s_add_i32 s42, s42, -1
	s_cmp_eq_u32 s42, 0
	s_sleep 1
	s_cbranch_scc0 .LBB3704_54
; %bb.55:                               ;   in Loop: Header=BB3704_53 Depth=2
	global_load_dwordx2 v[22:23], v[24:25], off glc
	s_cmp_lt_u32 s41, 32
	s_cselect_b64 s[42:43], -1, 0
	s_cmp_lg_u64 s[42:43], 0
	s_addc_u32 s41, s41, 0
	s_waitcnt vmcnt(0)
	v_cmp_ne_u16_sdwa s[42:43], v23, v19 src0_sel:BYTE_0 src1_sel:DWORD
	s_or_b64 s[38:39], s[42:43], s[38:39]
	s_andn2_b64 exec, exec, s[38:39]
	s_cbranch_execnz .LBB3704_53
; %bb.56:                               ;   in Loop: Header=BB3704_50 Depth=1
	s_or_b64 exec, exec, s[38:39]
	s_branch .LBB3704_49
.LBB3704_57:                            ;   in Loop: Header=BB3704_50 Depth=1
                                        ; implicit-def: $vgpr22
                                        ; implicit-def: $vgpr23
	s_cbranch_execz .LBB3704_50
; %bb.58:
	s_and_saveexec_b64 s[36:37], s[18:19]
	s_cbranch_execz .LBB3704_60
; %bb.59:
	s_add_i32 s38, s40, 64
	s_mov_b32 s39, 0
	s_lshl_b64 s[38:39], s[38:39], 3
	s_add_u32 s38, s34, s38
	v_add_u32_e32 v18, v17, v16
	v_mov_b32_e32 v19, 2
	s_addc_u32 s39, s35, s39
	v_mov_b32_e32 v20, 0
	global_store_dwordx2 v20, v[18:19], s[38:39]
	ds_write_b64 v20, v[16:17] offset:10240
.LBB3704_60:
	s_or_b64 exec, exec, s[36:37]
	s_and_b64 exec, exec, s[0:1]
	s_cbranch_execz .LBB3704_62
; %bb.61:
	v_mov_b32_e32 v16, 0
	ds_write_b32 v16, v17 offset:12
.LBB3704_62:
	s_or_b64 exec, exec, s[28:29]
	v_mov_b32_e32 v16, 0
	s_waitcnt lgkmcnt(0)
	s_barrier
	ds_read_b32 v17, v16 offset:12
	v_cndmask_b32_e64 v18, v43, v42, s[18:19]
	v_cndmask_b32_e64 v18, v18, 0, s[0:1]
	s_waitcnt lgkmcnt(0)
	s_barrier
	v_add_u32_e32 v43, v17, v18
	v_add_u32_sdwa v42, v43, v30 dst_sel:DWORD dst_unused:UNUSED_PAD src0_sel:DWORD src1_sel:BYTE_0
	v_add_u32_sdwa v25, v42, v30 dst_sel:DWORD dst_unused:UNUSED_PAD src0_sel:DWORD src1_sel:BYTE_1
	v_add_u32_e32 v24, v25, v34
	v_add_u32_e32 v23, v24, v32
	;; [unrolled: 1-line block ×3, first 2 shown]
	ds_read_b64 v[16:17], v16 offset:10240
	v_add_u32_e32 v21, v22, v36
	v_add_u32_e32 v20, v21, v37
	;; [unrolled: 1-line block ×4, first 2 shown]
	s_branch .LBB3704_73
.LBB3704_63:
                                        ; implicit-def: $vgpr17
                                        ; implicit-def: $vgpr18
                                        ; implicit-def: $vgpr19
                                        ; implicit-def: $vgpr20
                                        ; implicit-def: $vgpr21
                                        ; implicit-def: $vgpr22
                                        ; implicit-def: $vgpr23
                                        ; implicit-def: $vgpr24
                                        ; implicit-def: $vgpr25
                                        ; implicit-def: $vgpr42
                                        ; implicit-def: $vgpr43
	s_cbranch_execz .LBB3704_73
; %bb.64:
	s_waitcnt lgkmcnt(0)
	v_mov_b32_dpp v16, v41 row_shr:1 row_mask:0xf bank_mask:0xf
	v_cndmask_b32_e64 v16, v16, 0, s[16:17]
	v_add_u32_e32 v16, v16, v41
	s_nop 1
	v_mov_b32_dpp v17, v16 row_shr:2 row_mask:0xf bank_mask:0xf
	v_cndmask_b32_e64 v17, 0, v17, s[14:15]
	v_add_u32_e32 v16, v16, v17
	s_nop 1
	;; [unrolled: 4-line block ×4, first 2 shown]
	v_mov_b32_dpp v17, v16 row_bcast:15 row_mask:0xf bank_mask:0xf
	v_cndmask_b32_e64 v17, v17, 0, s[8:9]
	v_add_u32_e32 v16, v16, v17
	s_nop 1
	v_mov_b32_dpp v17, v16 row_bcast:31 row_mask:0xf bank_mask:0xf
	v_cndmask_b32_e64 v17, 0, v17, s[4:5]
	v_add_u32_e32 v16, v16, v17
	s_and_saveexec_b64 s[4:5], s[6:7]
	s_cbranch_execz .LBB3704_66
; %bb.65:
	v_lshlrev_b32_e32 v17, 2, v40
	ds_write_b32 v17, v16
.LBB3704_66:
	s_or_b64 exec, exec, s[4:5]
	v_cmp_gt_u32_e32 vcc, 4, v0
	s_waitcnt lgkmcnt(0)
	s_barrier
	s_and_saveexec_b64 s[4:5], vcc
	s_cbranch_execz .LBB3704_68
; %bb.67:
	s_movk_i32 s6, 0xffdc
	v_mad_i32_i24 v17, v0, s6, v33
	ds_read_b32 v18, v17
	v_and_b32_e32 v19, 3, v39
	v_cmp_ne_u32_e32 vcc, 0, v19
	s_waitcnt lgkmcnt(0)
	v_mov_b32_dpp v20, v18 row_shr:1 row_mask:0xf bank_mask:0xf
	v_cndmask_b32_e32 v20, 0, v20, vcc
	v_add_u32_e32 v18, v20, v18
	v_cmp_lt_u32_e32 vcc, 1, v19
	s_nop 0
	v_mov_b32_dpp v20, v18 row_shr:2 row_mask:0xf bank_mask:0xf
	v_cndmask_b32_e32 v19, 0, v20, vcc
	v_add_u32_e32 v18, v18, v19
	ds_write_b32 v17, v18
.LBB3704_68:
	s_or_b64 exec, exec, s[4:5]
	v_cmp_lt_u32_e32 vcc, 63, v0
	v_mov_b32_e32 v17, 0
	v_mov_b32_e32 v18, 0
	s_waitcnt lgkmcnt(0)
	s_barrier
	s_and_saveexec_b64 s[4:5], vcc
	s_cbranch_execz .LBB3704_70
; %bb.69:
	v_lshl_add_u32 v18, v40, 2, -4
	ds_read_b32 v18, v18
.LBB3704_70:
	s_or_b64 exec, exec, s[4:5]
	v_add_u32_e32 v19, -1, v39
	v_and_b32_e32 v20, 64, v39
	v_cmp_lt_i32_e32 vcc, v19, v20
	v_cndmask_b32_e32 v19, v19, v39, vcc
	s_waitcnt lgkmcnt(0)
	v_add_u32_e32 v16, v18, v16
	v_lshlrev_b32_e32 v19, 2, v19
	ds_bpermute_b32 v19, v19, v16
	ds_read_b32 v16, v17 offset:12
	s_and_saveexec_b64 s[4:5], s[0:1]
	s_cbranch_execz .LBB3704_72
; %bb.71:
	v_mov_b32_e32 v20, 0
	v_mov_b32_e32 v17, 2
	s_waitcnt lgkmcnt(0)
	global_store_dwordx2 v20, v[16:17], s[34:35] offset:512
.LBB3704_72:
	s_or_b64 exec, exec, s[4:5]
	v_cmp_eq_u32_e32 vcc, 0, v39
	s_waitcnt lgkmcnt(1)
	v_cndmask_b32_e32 v18, v19, v18, vcc
	v_cndmask_b32_e64 v43, v18, 0, s[0:1]
	v_add_u32_sdwa v42, v43, v30 dst_sel:DWORD dst_unused:UNUSED_PAD src0_sel:DWORD src1_sel:BYTE_0
	v_add_u32_sdwa v25, v42, v30 dst_sel:DWORD dst_unused:UNUSED_PAD src0_sel:DWORD src1_sel:BYTE_1
	v_add_u32_e32 v24, v25, v34
	v_add_u32_e32 v23, v24, v32
	;; [unrolled: 1-line block ×6, first 2 shown]
	v_mov_b32_e32 v17, 0
	v_add_u32_e32 v18, v19, v38
	s_waitcnt lgkmcnt(0)
	s_barrier
.LBB3704_73:
	s_waitcnt lgkmcnt(0)
	v_add_u32_e32 v27, v16, v27
	v_sub_u32_e32 v35, v43, v17
	v_and_b32_e32 v37, 1, v30
	v_sub_u32_e32 v36, v27, v35
	v_cmp_eq_u32_e32 vcc, 1, v37
	v_cndmask_b32_e32 v35, v36, v35, vcc
	v_lshlrev_b32_e32 v35, 2, v35
	v_lshrrev_b32_e32 v34, 8, v30
	ds_write_b32 v35, v6
	v_sub_u32_e32 v6, v42, v17
	v_sub_u32_e32 v35, v27, v6
	v_and_b32_e32 v34, 1, v34
	v_add_u32_e32 v35, 1, v35
	v_cmp_eq_u32_e32 vcc, 1, v34
	v_cndmask_b32_e32 v6, v35, v6, vcc
	v_lshlrev_b32_e32 v6, 2, v6
	ds_write_b32 v6, v7
	v_sub_u32_e32 v6, v25, v17
	v_mov_b32_e32 v25, 1
	v_sub_u32_e32 v7, v27, v6
	v_and_b32_sdwa v30, v25, v30 dst_sel:DWORD dst_unused:UNUSED_PAD src0_sel:DWORD src1_sel:WORD_1
	v_add_u32_e32 v7, 2, v7
	v_cmp_eq_u32_e32 vcc, 1, v30
	v_cndmask_b32_e32 v6, v7, v6, vcc
	v_lshlrev_b32_e32 v6, 2, v6
	ds_write_b32 v6, v8
	v_sub_u32_e32 v6, v24, v17
	v_sub_u32_e32 v7, v27, v6
	v_and_b32_e32 v8, 1, v32
	v_add_u32_e32 v7, 3, v7
	v_cmp_eq_u32_e32 vcc, 1, v8
	v_cndmask_b32_e32 v6, v7, v6, vcc
	v_lshlrev_b32_e32 v6, 2, v6
	ds_write_b32 v6, v9
	v_sub_u32_e32 v6, v23, v17
	v_sub_u32_e32 v7, v27, v6
	v_and_b32_e32 v8, 1, v29
	v_add_u32_e32 v7, 4, v7
	v_cmp_eq_u32_e32 vcc, 1, v8
	v_cndmask_b32_e32 v6, v7, v6, vcc
	v_lshlrev_b32_e32 v6, 2, v6
	v_lshrrev_b32_e32 v33, 8, v29
	ds_write_b32 v6, v2
	v_sub_u32_e32 v2, v22, v17
	v_sub_u32_e32 v6, v27, v2
	v_and_b32_e32 v7, 1, v33
	v_add_u32_e32 v6, 5, v6
	v_cmp_eq_u32_e32 vcc, 1, v7
	v_cndmask_b32_e32 v2, v6, v2, vcc
	v_lshlrev_b32_e32 v2, 2, v2
	ds_write_b32 v2, v3
	v_sub_u32_e32 v2, v21, v17
	v_sub_u32_e32 v3, v27, v2
	v_and_b32_sdwa v6, v25, v29 dst_sel:DWORD dst_unused:UNUSED_PAD src0_sel:DWORD src1_sel:WORD_1
	v_add_u32_e32 v3, 6, v3
	v_cmp_eq_u32_e32 vcc, 1, v6
	v_cndmask_b32_e32 v2, v3, v2, vcc
	v_lshlrev_b32_e32 v2, 2, v2
	ds_write_b32 v2, v4
	v_sub_u32_e32 v2, v20, v17
	v_sub_u32_e32 v3, v27, v2
	v_and_b32_e32 v4, 1, v31
	v_add_u32_e32 v3, 7, v3
	v_cmp_eq_u32_e32 vcc, 1, v4
	v_cndmask_b32_e32 v2, v3, v2, vcc
	v_lshlrev_b32_e32 v2, 2, v2
	ds_write_b32 v2, v5
	v_sub_u32_e32 v2, v19, v17
	v_sub_u32_e32 v3, v27, v2
	v_and_b32_e32 v4, 1, v28
	;; [unrolled: 8-line block ×3, first 2 shown]
	v_add_u32_e32 v3, 9, v3
	v_cmp_eq_u32_e32 vcc, 1, v4
	v_cndmask_b32_e32 v2, v3, v2, vcc
	s_waitcnt vmcnt(0)
	v_add_co_u32_e32 v30, vcc, v12, v17
	v_lshlrev_b32_e32 v2, 2, v2
	v_addc_co_u32_e32 v31, vcc, 0, v13, vcc
	ds_write_b32 v2, v11
	v_add_co_u32_e32 v2, vcc, v30, v16
	v_addc_co_u32_e32 v3, vcc, 0, v31, vcc
	v_mov_b32_e32 v13, s31
	v_sub_co_u32_e32 v12, vcc, s30, v2
	v_subb_co_u32_e32 v13, vcc, v13, v3, vcc
	v_lshlrev_b64 v[12:13], 2, v[12:13]
	v_mov_b32_e32 v17, s27
	v_add_co_u32_e32 v12, vcc, s26, v12
	s_waitcnt lgkmcnt(0)
	s_barrier
	ds_read2st64_b32 v[18:19], v1 offset1:4
	ds_read2st64_b32 v[10:11], v1 offset0:8 offset1:12
	ds_read2st64_b32 v[8:9], v1 offset0:16 offset1:20
	;; [unrolled: 1-line block ×4, first 2 shown]
	v_addc_co_u32_e32 v13, vcc, v17, v13, vcc
	v_add_co_u32_e32 v12, vcc, v12, v14
	v_addc_co_u32_e32 v13, vcc, v13, v15, vcc
	v_lshlrev_b64 v[14:15], 2, v[30:31]
	v_mov_b32_e32 v17, s25
	s_and_b64 vcc, exec, s[2:3]
	v_add_co_u32_e64 v14, s[2:3], s24, v14
	v_or_b32_e32 v28, 0x100, v0
	v_or_b32_e32 v27, 0x200, v0
	;; [unrolled: 1-line block ×9, first 2 shown]
	v_addc_co_u32_e64 v15, s[2:3], v17, v15, s[2:3]
	s_cbranch_vccnz .LBB3704_75
; %bb.74:
	v_cmp_gt_u32_e32 vcc, v16, v0
	v_cndmask_b32_e32 v29, v12, v14, vcc
	v_cndmask_b32_e32 v17, v13, v15, vcc
	v_add_co_u32_e32 v30, vcc, v29, v1
	v_addc_co_u32_e32 v31, vcc, 0, v17, vcc
	v_cmp_lt_u32_e32 vcc, v28, v16
	v_cndmask_b32_e32 v29, v12, v14, vcc
	s_waitcnt lgkmcnt(4)
	global_store_dword v[30:31], v18, off
	v_cndmask_b32_e32 v17, v13, v15, vcc
	v_add_co_u32_e32 v30, vcc, v29, v1
	v_addc_co_u32_e32 v31, vcc, 0, v17, vcc
	v_cmp_lt_u32_e32 vcc, v27, v16
	v_cndmask_b32_e32 v29, v12, v14, vcc
	global_store_dword v[30:31], v19, off offset:1024
	v_cndmask_b32_e32 v17, v13, v15, vcc
	v_add_co_u32_e32 v30, vcc, v29, v1
	v_addc_co_u32_e32 v31, vcc, 0, v17, vcc
	v_cmp_lt_u32_e32 vcc, v26, v16
	v_cndmask_b32_e32 v29, v12, v14, vcc
	s_waitcnt lgkmcnt(3)
	global_store_dword v[30:31], v10, off offset:2048
	v_cndmask_b32_e32 v17, v13, v15, vcc
	v_add_co_u32_e32 v30, vcc, v29, v1
	v_addc_co_u32_e32 v31, vcc, 0, v17, vcc
	v_cmp_lt_u32_e32 vcc, v25, v16
	global_store_dword v[30:31], v11, off offset:3072
	v_cndmask_b32_e32 v29, v12, v14, vcc
	v_lshlrev_b32_e32 v30, 2, v25
	v_cndmask_b32_e32 v17, v13, v15, vcc
	v_add_co_u32_e32 v30, vcc, v29, v30
	v_addc_co_u32_e32 v31, vcc, 0, v17, vcc
	v_cmp_lt_u32_e32 vcc, v24, v16
	s_waitcnt lgkmcnt(2)
	global_store_dword v[30:31], v8, off
	v_cndmask_b32_e32 v29, v12, v14, vcc
	v_lshlrev_b32_e32 v30, 2, v24
	v_cndmask_b32_e32 v17, v13, v15, vcc
	v_add_co_u32_e32 v30, vcc, v29, v30
	v_addc_co_u32_e32 v31, vcc, 0, v17, vcc
	v_cmp_lt_u32_e32 vcc, v23, v16
	global_store_dword v[30:31], v9, off
	v_cndmask_b32_e32 v29, v12, v14, vcc
	v_lshlrev_b32_e32 v30, 2, v23
	v_cndmask_b32_e32 v17, v13, v15, vcc
	v_add_co_u32_e32 v30, vcc, v29, v30
	v_addc_co_u32_e32 v31, vcc, 0, v17, vcc
	v_cmp_lt_u32_e32 vcc, v22, v16
	s_waitcnt lgkmcnt(1)
	global_store_dword v[30:31], v6, off
	v_cndmask_b32_e32 v29, v12, v14, vcc
	v_lshlrev_b32_e32 v30, 2, v22
	v_cndmask_b32_e32 v17, v13, v15, vcc
	v_add_co_u32_e32 v30, vcc, v29, v30
	v_addc_co_u32_e32 v31, vcc, 0, v17, vcc
	v_cmp_lt_u32_e32 vcc, v21, v16
	global_store_dword v[30:31], v7, off
	v_cndmask_b32_e32 v29, v12, v14, vcc
	v_lshlrev_b32_e32 v30, 2, v21
	v_cndmask_b32_e32 v17, v13, v15, vcc
	v_add_co_u32_e32 v30, vcc, v29, v30
	v_addc_co_u32_e32 v31, vcc, 0, v17, vcc
	s_mov_b64 s[2:3], -1
	s_waitcnt lgkmcnt(0)
	global_store_dword v[30:31], v4, off
	s_cbranch_execz .LBB3704_76
	s_branch .LBB3704_87
.LBB3704_75:
	s_mov_b64 s[2:3], 0
.LBB3704_76:
	v_cmp_gt_u32_e32 vcc, s33, v0
	s_and_saveexec_b64 s[2:3], vcc
	s_cbranch_execnz .LBB3704_92
; %bb.77:
	s_or_b64 exec, exec, s[2:3]
	v_cmp_gt_u32_e32 vcc, s33, v28
	s_and_saveexec_b64 s[2:3], vcc
	s_cbranch_execnz .LBB3704_93
.LBB3704_78:
	s_or_b64 exec, exec, s[2:3]
	v_cmp_gt_u32_e32 vcc, s33, v27
	s_and_saveexec_b64 s[2:3], vcc
	s_cbranch_execnz .LBB3704_94
.LBB3704_79:
	s_or_b64 exec, exec, s[2:3]
	v_cmp_gt_u32_e32 vcc, s33, v26
	s_and_saveexec_b64 s[2:3], vcc
	s_cbranch_execnz .LBB3704_95
.LBB3704_80:
	s_or_b64 exec, exec, s[2:3]
	v_cmp_gt_u32_e32 vcc, s33, v25
	s_and_saveexec_b64 s[2:3], vcc
	s_cbranch_execnz .LBB3704_96
.LBB3704_81:
	s_or_b64 exec, exec, s[2:3]
	v_cmp_gt_u32_e32 vcc, s33, v24
	s_and_saveexec_b64 s[2:3], vcc
	s_cbranch_execnz .LBB3704_97
.LBB3704_82:
	s_or_b64 exec, exec, s[2:3]
	v_cmp_gt_u32_e32 vcc, s33, v23
	s_and_saveexec_b64 s[2:3], vcc
	s_cbranch_execnz .LBB3704_98
.LBB3704_83:
	s_or_b64 exec, exec, s[2:3]
	v_cmp_gt_u32_e32 vcc, s33, v22
	s_and_saveexec_b64 s[2:3], vcc
	s_cbranch_execnz .LBB3704_99
.LBB3704_84:
	s_or_b64 exec, exec, s[2:3]
	v_cmp_gt_u32_e32 vcc, s33, v21
	s_and_saveexec_b64 s[2:3], vcc
	s_cbranch_execz .LBB3704_86
.LBB3704_85:
	v_cmp_lt_u32_e32 vcc, v21, v16
	v_cndmask_b32_e32 v0, v12, v14, vcc
	s_waitcnt lgkmcnt(1)
	v_lshlrev_b32_e32 v6, 2, v21
	v_cndmask_b32_e32 v1, v13, v15, vcc
	v_add_co_u32_e32 v0, vcc, v0, v6
	v_addc_co_u32_e32 v1, vcc, 0, v1, vcc
	s_waitcnt lgkmcnt(0)
	global_store_dword v[0:1], v4, off
.LBB3704_86:
	s_or_b64 exec, exec, s[2:3]
	v_cmp_gt_u32_e64 s[2:3], s33, v20
.LBB3704_87:
	s_and_saveexec_b64 s[4:5], s[2:3]
	s_cbranch_execnz .LBB3704_90
; %bb.88:
	s_or_b64 exec, exec, s[4:5]
	s_and_b64 s[0:1], s[0:1], s[22:23]
	s_and_saveexec_b64 s[2:3], s[0:1]
	s_cbranch_execnz .LBB3704_91
.LBB3704_89:
	s_endpgm
.LBB3704_90:
	v_cmp_lt_u32_e32 vcc, v20, v16
	v_cndmask_b32_e32 v0, v12, v14, vcc
	s_waitcnt lgkmcnt(0)
	v_lshlrev_b32_e32 v4, 2, v20
	v_cndmask_b32_e32 v1, v13, v15, vcc
	v_add_co_u32_e32 v0, vcc, v0, v4
	v_addc_co_u32_e32 v1, vcc, 0, v1, vcc
	global_store_dword v[0:1], v5, off
	s_or_b64 exec, exec, s[4:5]
	s_and_b64 s[0:1], s[0:1], s[22:23]
	s_and_saveexec_b64 s[2:3], s[0:1]
	s_cbranch_execz .LBB3704_89
.LBB3704_91:
	v_mov_b32_e32 v0, 0
	global_store_dwordx2 v0, v[2:3], s[20:21]
	s_endpgm
.LBB3704_92:
	v_cmp_gt_u32_e32 vcc, v16, v0
	v_cndmask_b32_e32 v17, v12, v14, vcc
	v_cndmask_b32_e32 v0, v13, v15, vcc
	v_add_co_u32_e32 v30, vcc, v17, v1
	v_addc_co_u32_e32 v31, vcc, 0, v0, vcc
	s_waitcnt lgkmcnt(4)
	global_store_dword v[30:31], v18, off
	s_or_b64 exec, exec, s[2:3]
	v_cmp_gt_u32_e32 vcc, s33, v28
	s_and_saveexec_b64 s[2:3], vcc
	s_cbranch_execz .LBB3704_78
.LBB3704_93:
	v_cmp_lt_u32_e32 vcc, v28, v16
	v_cndmask_b32_e32 v17, v12, v14, vcc
	v_cndmask_b32_e32 v0, v13, v15, vcc
	v_add_co_u32_e32 v28, vcc, v17, v1
	v_addc_co_u32_e32 v29, vcc, 0, v0, vcc
	s_waitcnt lgkmcnt(4)
	global_store_dword v[28:29], v19, off offset:1024
	s_or_b64 exec, exec, s[2:3]
	v_cmp_gt_u32_e32 vcc, s33, v27
	s_and_saveexec_b64 s[2:3], vcc
	s_cbranch_execz .LBB3704_79
.LBB3704_94:
	v_cmp_lt_u32_e32 vcc, v27, v16
	v_cndmask_b32_e32 v17, v12, v14, vcc
	v_cndmask_b32_e32 v0, v13, v15, vcc
	s_waitcnt lgkmcnt(4)
	v_add_co_u32_e32 v18, vcc, v17, v1
	v_addc_co_u32_e32 v19, vcc, 0, v0, vcc
	s_waitcnt lgkmcnt(3)
	global_store_dword v[18:19], v10, off offset:2048
	s_or_b64 exec, exec, s[2:3]
	v_cmp_gt_u32_e32 vcc, s33, v26
	s_and_saveexec_b64 s[2:3], vcc
	s_cbranch_execz .LBB3704_80
.LBB3704_95:
	v_cmp_lt_u32_e32 vcc, v26, v16
	v_cndmask_b32_e32 v0, v12, v14, vcc
	s_waitcnt lgkmcnt(3)
	v_cndmask_b32_e32 v10, v13, v15, vcc
	v_add_co_u32_e32 v0, vcc, v0, v1
	v_addc_co_u32_e32 v1, vcc, 0, v10, vcc
	global_store_dword v[0:1], v11, off offset:3072
	s_or_b64 exec, exec, s[2:3]
	v_cmp_gt_u32_e32 vcc, s33, v25
	s_and_saveexec_b64 s[2:3], vcc
	s_cbranch_execz .LBB3704_81
.LBB3704_96:
	v_cmp_lt_u32_e32 vcc, v25, v16
	v_cndmask_b32_e32 v0, v12, v14, vcc
	s_waitcnt lgkmcnt(3)
	v_lshlrev_b32_e32 v10, 2, v25
	v_cndmask_b32_e32 v1, v13, v15, vcc
	v_add_co_u32_e32 v0, vcc, v0, v10
	v_addc_co_u32_e32 v1, vcc, 0, v1, vcc
	s_waitcnt lgkmcnt(2)
	global_store_dword v[0:1], v8, off
	s_or_b64 exec, exec, s[2:3]
	v_cmp_gt_u32_e32 vcc, s33, v24
	s_and_saveexec_b64 s[2:3], vcc
	s_cbranch_execz .LBB3704_82
.LBB3704_97:
	v_cmp_lt_u32_e32 vcc, v24, v16
	v_cndmask_b32_e32 v0, v12, v14, vcc
	s_waitcnt lgkmcnt(2)
	v_lshlrev_b32_e32 v8, 2, v24
	v_cndmask_b32_e32 v1, v13, v15, vcc
	v_add_co_u32_e32 v0, vcc, v0, v8
	v_addc_co_u32_e32 v1, vcc, 0, v1, vcc
	global_store_dword v[0:1], v9, off
	s_or_b64 exec, exec, s[2:3]
	v_cmp_gt_u32_e32 vcc, s33, v23
	s_and_saveexec_b64 s[2:3], vcc
	s_cbranch_execz .LBB3704_83
.LBB3704_98:
	v_cmp_lt_u32_e32 vcc, v23, v16
	v_cndmask_b32_e32 v0, v12, v14, vcc
	s_waitcnt lgkmcnt(2)
	v_lshlrev_b32_e32 v8, 2, v23
	v_cndmask_b32_e32 v1, v13, v15, vcc
	v_add_co_u32_e32 v0, vcc, v0, v8
	v_addc_co_u32_e32 v1, vcc, 0, v1, vcc
	s_waitcnt lgkmcnt(1)
	global_store_dword v[0:1], v6, off
	s_or_b64 exec, exec, s[2:3]
	v_cmp_gt_u32_e32 vcc, s33, v22
	s_and_saveexec_b64 s[2:3], vcc
	s_cbranch_execz .LBB3704_84
.LBB3704_99:
	v_cmp_lt_u32_e32 vcc, v22, v16
	v_cndmask_b32_e32 v0, v12, v14, vcc
	s_waitcnt lgkmcnt(1)
	v_lshlrev_b32_e32 v6, 2, v22
	v_cndmask_b32_e32 v1, v13, v15, vcc
	v_add_co_u32_e32 v0, vcc, v0, v6
	v_addc_co_u32_e32 v1, vcc, 0, v1, vcc
	global_store_dword v[0:1], v7, off
	s_or_b64 exec, exec, s[2:3]
	v_cmp_gt_u32_e32 vcc, s33, v21
	s_and_saveexec_b64 s[2:3], vcc
	s_cbranch_execnz .LBB3704_85
	s_branch .LBB3704_86
	.section	.rodata,"a",@progbits
	.p2align	6, 0x0
	.amdhsa_kernel _ZN7rocprim17ROCPRIM_400000_NS6detail17trampoline_kernelINS0_14default_configENS1_25partition_config_selectorILNS1_17partition_subalgoE0EiNS0_10empty_typeEbEEZZNS1_14partition_implILS5_0ELb0ES3_jN6thrust23THRUST_200600_302600_NS10device_ptrIiEEPS6_SD_NS0_5tupleIJSC_SC_EEENSE_IJSD_SD_EEES6_PlJ7is_evenIiEEEE10hipError_tPvRmT3_T4_T5_T6_T7_T9_mT8_P12ihipStream_tbDpT10_ENKUlT_T0_E_clISt17integral_constantIbLb1EES13_EEDaSY_SZ_EUlSY_E_NS1_11comp_targetILNS1_3genE4ELNS1_11target_archE910ELNS1_3gpuE8ELNS1_3repE0EEENS1_30default_config_static_selectorELNS0_4arch9wavefront6targetE1EEEvT1_
		.amdhsa_group_segment_fixed_size 10248
		.amdhsa_private_segment_fixed_size 0
		.amdhsa_kernarg_size 136
		.amdhsa_user_sgpr_count 6
		.amdhsa_user_sgpr_private_segment_buffer 1
		.amdhsa_user_sgpr_dispatch_ptr 0
		.amdhsa_user_sgpr_queue_ptr 0
		.amdhsa_user_sgpr_kernarg_segment_ptr 1
		.amdhsa_user_sgpr_dispatch_id 0
		.amdhsa_user_sgpr_flat_scratch_init 0
		.amdhsa_user_sgpr_kernarg_preload_length 0
		.amdhsa_user_sgpr_kernarg_preload_offset 0
		.amdhsa_user_sgpr_private_segment_size 0
		.amdhsa_uses_dynamic_stack 0
		.amdhsa_system_sgpr_private_segment_wavefront_offset 0
		.amdhsa_system_sgpr_workgroup_id_x 1
		.amdhsa_system_sgpr_workgroup_id_y 0
		.amdhsa_system_sgpr_workgroup_id_z 0
		.amdhsa_system_sgpr_workgroup_info 0
		.amdhsa_system_vgpr_workitem_id 0
		.amdhsa_next_free_vgpr 58
		.amdhsa_next_free_sgpr 44
		.amdhsa_accum_offset 60
		.amdhsa_reserve_vcc 1
		.amdhsa_reserve_flat_scratch 0
		.amdhsa_float_round_mode_32 0
		.amdhsa_float_round_mode_16_64 0
		.amdhsa_float_denorm_mode_32 3
		.amdhsa_float_denorm_mode_16_64 3
		.amdhsa_dx10_clamp 1
		.amdhsa_ieee_mode 1
		.amdhsa_fp16_overflow 0
		.amdhsa_tg_split 0
		.amdhsa_exception_fp_ieee_invalid_op 0
		.amdhsa_exception_fp_denorm_src 0
		.amdhsa_exception_fp_ieee_div_zero 0
		.amdhsa_exception_fp_ieee_overflow 0
		.amdhsa_exception_fp_ieee_underflow 0
		.amdhsa_exception_fp_ieee_inexact 0
		.amdhsa_exception_int_div_zero 0
	.end_amdhsa_kernel
	.section	.text._ZN7rocprim17ROCPRIM_400000_NS6detail17trampoline_kernelINS0_14default_configENS1_25partition_config_selectorILNS1_17partition_subalgoE0EiNS0_10empty_typeEbEEZZNS1_14partition_implILS5_0ELb0ES3_jN6thrust23THRUST_200600_302600_NS10device_ptrIiEEPS6_SD_NS0_5tupleIJSC_SC_EEENSE_IJSD_SD_EEES6_PlJ7is_evenIiEEEE10hipError_tPvRmT3_T4_T5_T6_T7_T9_mT8_P12ihipStream_tbDpT10_ENKUlT_T0_E_clISt17integral_constantIbLb1EES13_EEDaSY_SZ_EUlSY_E_NS1_11comp_targetILNS1_3genE4ELNS1_11target_archE910ELNS1_3gpuE8ELNS1_3repE0EEENS1_30default_config_static_selectorELNS0_4arch9wavefront6targetE1EEEvT1_,"axG",@progbits,_ZN7rocprim17ROCPRIM_400000_NS6detail17trampoline_kernelINS0_14default_configENS1_25partition_config_selectorILNS1_17partition_subalgoE0EiNS0_10empty_typeEbEEZZNS1_14partition_implILS5_0ELb0ES3_jN6thrust23THRUST_200600_302600_NS10device_ptrIiEEPS6_SD_NS0_5tupleIJSC_SC_EEENSE_IJSD_SD_EEES6_PlJ7is_evenIiEEEE10hipError_tPvRmT3_T4_T5_T6_T7_T9_mT8_P12ihipStream_tbDpT10_ENKUlT_T0_E_clISt17integral_constantIbLb1EES13_EEDaSY_SZ_EUlSY_E_NS1_11comp_targetILNS1_3genE4ELNS1_11target_archE910ELNS1_3gpuE8ELNS1_3repE0EEENS1_30default_config_static_selectorELNS0_4arch9wavefront6targetE1EEEvT1_,comdat
.Lfunc_end3704:
	.size	_ZN7rocprim17ROCPRIM_400000_NS6detail17trampoline_kernelINS0_14default_configENS1_25partition_config_selectorILNS1_17partition_subalgoE0EiNS0_10empty_typeEbEEZZNS1_14partition_implILS5_0ELb0ES3_jN6thrust23THRUST_200600_302600_NS10device_ptrIiEEPS6_SD_NS0_5tupleIJSC_SC_EEENSE_IJSD_SD_EEES6_PlJ7is_evenIiEEEE10hipError_tPvRmT3_T4_T5_T6_T7_T9_mT8_P12ihipStream_tbDpT10_ENKUlT_T0_E_clISt17integral_constantIbLb1EES13_EEDaSY_SZ_EUlSY_E_NS1_11comp_targetILNS1_3genE4ELNS1_11target_archE910ELNS1_3gpuE8ELNS1_3repE0EEENS1_30default_config_static_selectorELNS0_4arch9wavefront6targetE1EEEvT1_, .Lfunc_end3704-_ZN7rocprim17ROCPRIM_400000_NS6detail17trampoline_kernelINS0_14default_configENS1_25partition_config_selectorILNS1_17partition_subalgoE0EiNS0_10empty_typeEbEEZZNS1_14partition_implILS5_0ELb0ES3_jN6thrust23THRUST_200600_302600_NS10device_ptrIiEEPS6_SD_NS0_5tupleIJSC_SC_EEENSE_IJSD_SD_EEES6_PlJ7is_evenIiEEEE10hipError_tPvRmT3_T4_T5_T6_T7_T9_mT8_P12ihipStream_tbDpT10_ENKUlT_T0_E_clISt17integral_constantIbLb1EES13_EEDaSY_SZ_EUlSY_E_NS1_11comp_targetILNS1_3genE4ELNS1_11target_archE910ELNS1_3gpuE8ELNS1_3repE0EEENS1_30default_config_static_selectorELNS0_4arch9wavefront6targetE1EEEvT1_
                                        ; -- End function
	.section	.AMDGPU.csdata,"",@progbits
; Kernel info:
; codeLenInByte = 5212
; NumSgprs: 48
; NumVgprs: 58
; NumAgprs: 0
; TotalNumVgprs: 58
; ScratchSize: 0
; MemoryBound: 0
; FloatMode: 240
; IeeeMode: 1
; LDSByteSize: 10248 bytes/workgroup (compile time only)
; SGPRBlocks: 5
; VGPRBlocks: 7
; NumSGPRsForWavesPerEU: 48
; NumVGPRsForWavesPerEU: 58
; AccumOffset: 60
; Occupancy: 6
; WaveLimiterHint : 1
; COMPUTE_PGM_RSRC2:SCRATCH_EN: 0
; COMPUTE_PGM_RSRC2:USER_SGPR: 6
; COMPUTE_PGM_RSRC2:TRAP_HANDLER: 0
; COMPUTE_PGM_RSRC2:TGID_X_EN: 1
; COMPUTE_PGM_RSRC2:TGID_Y_EN: 0
; COMPUTE_PGM_RSRC2:TGID_Z_EN: 0
; COMPUTE_PGM_RSRC2:TIDIG_COMP_CNT: 0
; COMPUTE_PGM_RSRC3_GFX90A:ACCUM_OFFSET: 14
; COMPUTE_PGM_RSRC3_GFX90A:TG_SPLIT: 0
	.section	.text._ZN7rocprim17ROCPRIM_400000_NS6detail17trampoline_kernelINS0_14default_configENS1_25partition_config_selectorILNS1_17partition_subalgoE0EiNS0_10empty_typeEbEEZZNS1_14partition_implILS5_0ELb0ES3_jN6thrust23THRUST_200600_302600_NS10device_ptrIiEEPS6_SD_NS0_5tupleIJSC_SC_EEENSE_IJSD_SD_EEES6_PlJ7is_evenIiEEEE10hipError_tPvRmT3_T4_T5_T6_T7_T9_mT8_P12ihipStream_tbDpT10_ENKUlT_T0_E_clISt17integral_constantIbLb1EES13_EEDaSY_SZ_EUlSY_E_NS1_11comp_targetILNS1_3genE3ELNS1_11target_archE908ELNS1_3gpuE7ELNS1_3repE0EEENS1_30default_config_static_selectorELNS0_4arch9wavefront6targetE1EEEvT1_,"axG",@progbits,_ZN7rocprim17ROCPRIM_400000_NS6detail17trampoline_kernelINS0_14default_configENS1_25partition_config_selectorILNS1_17partition_subalgoE0EiNS0_10empty_typeEbEEZZNS1_14partition_implILS5_0ELb0ES3_jN6thrust23THRUST_200600_302600_NS10device_ptrIiEEPS6_SD_NS0_5tupleIJSC_SC_EEENSE_IJSD_SD_EEES6_PlJ7is_evenIiEEEE10hipError_tPvRmT3_T4_T5_T6_T7_T9_mT8_P12ihipStream_tbDpT10_ENKUlT_T0_E_clISt17integral_constantIbLb1EES13_EEDaSY_SZ_EUlSY_E_NS1_11comp_targetILNS1_3genE3ELNS1_11target_archE908ELNS1_3gpuE7ELNS1_3repE0EEENS1_30default_config_static_selectorELNS0_4arch9wavefront6targetE1EEEvT1_,comdat
	.protected	_ZN7rocprim17ROCPRIM_400000_NS6detail17trampoline_kernelINS0_14default_configENS1_25partition_config_selectorILNS1_17partition_subalgoE0EiNS0_10empty_typeEbEEZZNS1_14partition_implILS5_0ELb0ES3_jN6thrust23THRUST_200600_302600_NS10device_ptrIiEEPS6_SD_NS0_5tupleIJSC_SC_EEENSE_IJSD_SD_EEES6_PlJ7is_evenIiEEEE10hipError_tPvRmT3_T4_T5_T6_T7_T9_mT8_P12ihipStream_tbDpT10_ENKUlT_T0_E_clISt17integral_constantIbLb1EES13_EEDaSY_SZ_EUlSY_E_NS1_11comp_targetILNS1_3genE3ELNS1_11target_archE908ELNS1_3gpuE7ELNS1_3repE0EEENS1_30default_config_static_selectorELNS0_4arch9wavefront6targetE1EEEvT1_ ; -- Begin function _ZN7rocprim17ROCPRIM_400000_NS6detail17trampoline_kernelINS0_14default_configENS1_25partition_config_selectorILNS1_17partition_subalgoE0EiNS0_10empty_typeEbEEZZNS1_14partition_implILS5_0ELb0ES3_jN6thrust23THRUST_200600_302600_NS10device_ptrIiEEPS6_SD_NS0_5tupleIJSC_SC_EEENSE_IJSD_SD_EEES6_PlJ7is_evenIiEEEE10hipError_tPvRmT3_T4_T5_T6_T7_T9_mT8_P12ihipStream_tbDpT10_ENKUlT_T0_E_clISt17integral_constantIbLb1EES13_EEDaSY_SZ_EUlSY_E_NS1_11comp_targetILNS1_3genE3ELNS1_11target_archE908ELNS1_3gpuE7ELNS1_3repE0EEENS1_30default_config_static_selectorELNS0_4arch9wavefront6targetE1EEEvT1_
	.globl	_ZN7rocprim17ROCPRIM_400000_NS6detail17trampoline_kernelINS0_14default_configENS1_25partition_config_selectorILNS1_17partition_subalgoE0EiNS0_10empty_typeEbEEZZNS1_14partition_implILS5_0ELb0ES3_jN6thrust23THRUST_200600_302600_NS10device_ptrIiEEPS6_SD_NS0_5tupleIJSC_SC_EEENSE_IJSD_SD_EEES6_PlJ7is_evenIiEEEE10hipError_tPvRmT3_T4_T5_T6_T7_T9_mT8_P12ihipStream_tbDpT10_ENKUlT_T0_E_clISt17integral_constantIbLb1EES13_EEDaSY_SZ_EUlSY_E_NS1_11comp_targetILNS1_3genE3ELNS1_11target_archE908ELNS1_3gpuE7ELNS1_3repE0EEENS1_30default_config_static_selectorELNS0_4arch9wavefront6targetE1EEEvT1_
	.p2align	8
	.type	_ZN7rocprim17ROCPRIM_400000_NS6detail17trampoline_kernelINS0_14default_configENS1_25partition_config_selectorILNS1_17partition_subalgoE0EiNS0_10empty_typeEbEEZZNS1_14partition_implILS5_0ELb0ES3_jN6thrust23THRUST_200600_302600_NS10device_ptrIiEEPS6_SD_NS0_5tupleIJSC_SC_EEENSE_IJSD_SD_EEES6_PlJ7is_evenIiEEEE10hipError_tPvRmT3_T4_T5_T6_T7_T9_mT8_P12ihipStream_tbDpT10_ENKUlT_T0_E_clISt17integral_constantIbLb1EES13_EEDaSY_SZ_EUlSY_E_NS1_11comp_targetILNS1_3genE3ELNS1_11target_archE908ELNS1_3gpuE7ELNS1_3repE0EEENS1_30default_config_static_selectorELNS0_4arch9wavefront6targetE1EEEvT1_,@function
_ZN7rocprim17ROCPRIM_400000_NS6detail17trampoline_kernelINS0_14default_configENS1_25partition_config_selectorILNS1_17partition_subalgoE0EiNS0_10empty_typeEbEEZZNS1_14partition_implILS5_0ELb0ES3_jN6thrust23THRUST_200600_302600_NS10device_ptrIiEEPS6_SD_NS0_5tupleIJSC_SC_EEENSE_IJSD_SD_EEES6_PlJ7is_evenIiEEEE10hipError_tPvRmT3_T4_T5_T6_T7_T9_mT8_P12ihipStream_tbDpT10_ENKUlT_T0_E_clISt17integral_constantIbLb1EES13_EEDaSY_SZ_EUlSY_E_NS1_11comp_targetILNS1_3genE3ELNS1_11target_archE908ELNS1_3gpuE7ELNS1_3repE0EEENS1_30default_config_static_selectorELNS0_4arch9wavefront6targetE1EEEvT1_: ; @_ZN7rocprim17ROCPRIM_400000_NS6detail17trampoline_kernelINS0_14default_configENS1_25partition_config_selectorILNS1_17partition_subalgoE0EiNS0_10empty_typeEbEEZZNS1_14partition_implILS5_0ELb0ES3_jN6thrust23THRUST_200600_302600_NS10device_ptrIiEEPS6_SD_NS0_5tupleIJSC_SC_EEENSE_IJSD_SD_EEES6_PlJ7is_evenIiEEEE10hipError_tPvRmT3_T4_T5_T6_T7_T9_mT8_P12ihipStream_tbDpT10_ENKUlT_T0_E_clISt17integral_constantIbLb1EES13_EEDaSY_SZ_EUlSY_E_NS1_11comp_targetILNS1_3genE3ELNS1_11target_archE908ELNS1_3gpuE7ELNS1_3repE0EEENS1_30default_config_static_selectorELNS0_4arch9wavefront6targetE1EEEvT1_
; %bb.0:
	.section	.rodata,"a",@progbits
	.p2align	6, 0x0
	.amdhsa_kernel _ZN7rocprim17ROCPRIM_400000_NS6detail17trampoline_kernelINS0_14default_configENS1_25partition_config_selectorILNS1_17partition_subalgoE0EiNS0_10empty_typeEbEEZZNS1_14partition_implILS5_0ELb0ES3_jN6thrust23THRUST_200600_302600_NS10device_ptrIiEEPS6_SD_NS0_5tupleIJSC_SC_EEENSE_IJSD_SD_EEES6_PlJ7is_evenIiEEEE10hipError_tPvRmT3_T4_T5_T6_T7_T9_mT8_P12ihipStream_tbDpT10_ENKUlT_T0_E_clISt17integral_constantIbLb1EES13_EEDaSY_SZ_EUlSY_E_NS1_11comp_targetILNS1_3genE3ELNS1_11target_archE908ELNS1_3gpuE7ELNS1_3repE0EEENS1_30default_config_static_selectorELNS0_4arch9wavefront6targetE1EEEvT1_
		.amdhsa_group_segment_fixed_size 0
		.amdhsa_private_segment_fixed_size 0
		.amdhsa_kernarg_size 136
		.amdhsa_user_sgpr_count 6
		.amdhsa_user_sgpr_private_segment_buffer 1
		.amdhsa_user_sgpr_dispatch_ptr 0
		.amdhsa_user_sgpr_queue_ptr 0
		.amdhsa_user_sgpr_kernarg_segment_ptr 1
		.amdhsa_user_sgpr_dispatch_id 0
		.amdhsa_user_sgpr_flat_scratch_init 0
		.amdhsa_user_sgpr_kernarg_preload_length 0
		.amdhsa_user_sgpr_kernarg_preload_offset 0
		.amdhsa_user_sgpr_private_segment_size 0
		.amdhsa_uses_dynamic_stack 0
		.amdhsa_system_sgpr_private_segment_wavefront_offset 0
		.amdhsa_system_sgpr_workgroup_id_x 1
		.amdhsa_system_sgpr_workgroup_id_y 0
		.amdhsa_system_sgpr_workgroup_id_z 0
		.amdhsa_system_sgpr_workgroup_info 0
		.amdhsa_system_vgpr_workitem_id 0
		.amdhsa_next_free_vgpr 1
		.amdhsa_next_free_sgpr 0
		.amdhsa_accum_offset 4
		.amdhsa_reserve_vcc 0
		.amdhsa_reserve_flat_scratch 0
		.amdhsa_float_round_mode_32 0
		.amdhsa_float_round_mode_16_64 0
		.amdhsa_float_denorm_mode_32 3
		.amdhsa_float_denorm_mode_16_64 3
		.amdhsa_dx10_clamp 1
		.amdhsa_ieee_mode 1
		.amdhsa_fp16_overflow 0
		.amdhsa_tg_split 0
		.amdhsa_exception_fp_ieee_invalid_op 0
		.amdhsa_exception_fp_denorm_src 0
		.amdhsa_exception_fp_ieee_div_zero 0
		.amdhsa_exception_fp_ieee_overflow 0
		.amdhsa_exception_fp_ieee_underflow 0
		.amdhsa_exception_fp_ieee_inexact 0
		.amdhsa_exception_int_div_zero 0
	.end_amdhsa_kernel
	.section	.text._ZN7rocprim17ROCPRIM_400000_NS6detail17trampoline_kernelINS0_14default_configENS1_25partition_config_selectorILNS1_17partition_subalgoE0EiNS0_10empty_typeEbEEZZNS1_14partition_implILS5_0ELb0ES3_jN6thrust23THRUST_200600_302600_NS10device_ptrIiEEPS6_SD_NS0_5tupleIJSC_SC_EEENSE_IJSD_SD_EEES6_PlJ7is_evenIiEEEE10hipError_tPvRmT3_T4_T5_T6_T7_T9_mT8_P12ihipStream_tbDpT10_ENKUlT_T0_E_clISt17integral_constantIbLb1EES13_EEDaSY_SZ_EUlSY_E_NS1_11comp_targetILNS1_3genE3ELNS1_11target_archE908ELNS1_3gpuE7ELNS1_3repE0EEENS1_30default_config_static_selectorELNS0_4arch9wavefront6targetE1EEEvT1_,"axG",@progbits,_ZN7rocprim17ROCPRIM_400000_NS6detail17trampoline_kernelINS0_14default_configENS1_25partition_config_selectorILNS1_17partition_subalgoE0EiNS0_10empty_typeEbEEZZNS1_14partition_implILS5_0ELb0ES3_jN6thrust23THRUST_200600_302600_NS10device_ptrIiEEPS6_SD_NS0_5tupleIJSC_SC_EEENSE_IJSD_SD_EEES6_PlJ7is_evenIiEEEE10hipError_tPvRmT3_T4_T5_T6_T7_T9_mT8_P12ihipStream_tbDpT10_ENKUlT_T0_E_clISt17integral_constantIbLb1EES13_EEDaSY_SZ_EUlSY_E_NS1_11comp_targetILNS1_3genE3ELNS1_11target_archE908ELNS1_3gpuE7ELNS1_3repE0EEENS1_30default_config_static_selectorELNS0_4arch9wavefront6targetE1EEEvT1_,comdat
.Lfunc_end3705:
	.size	_ZN7rocprim17ROCPRIM_400000_NS6detail17trampoline_kernelINS0_14default_configENS1_25partition_config_selectorILNS1_17partition_subalgoE0EiNS0_10empty_typeEbEEZZNS1_14partition_implILS5_0ELb0ES3_jN6thrust23THRUST_200600_302600_NS10device_ptrIiEEPS6_SD_NS0_5tupleIJSC_SC_EEENSE_IJSD_SD_EEES6_PlJ7is_evenIiEEEE10hipError_tPvRmT3_T4_T5_T6_T7_T9_mT8_P12ihipStream_tbDpT10_ENKUlT_T0_E_clISt17integral_constantIbLb1EES13_EEDaSY_SZ_EUlSY_E_NS1_11comp_targetILNS1_3genE3ELNS1_11target_archE908ELNS1_3gpuE7ELNS1_3repE0EEENS1_30default_config_static_selectorELNS0_4arch9wavefront6targetE1EEEvT1_, .Lfunc_end3705-_ZN7rocprim17ROCPRIM_400000_NS6detail17trampoline_kernelINS0_14default_configENS1_25partition_config_selectorILNS1_17partition_subalgoE0EiNS0_10empty_typeEbEEZZNS1_14partition_implILS5_0ELb0ES3_jN6thrust23THRUST_200600_302600_NS10device_ptrIiEEPS6_SD_NS0_5tupleIJSC_SC_EEENSE_IJSD_SD_EEES6_PlJ7is_evenIiEEEE10hipError_tPvRmT3_T4_T5_T6_T7_T9_mT8_P12ihipStream_tbDpT10_ENKUlT_T0_E_clISt17integral_constantIbLb1EES13_EEDaSY_SZ_EUlSY_E_NS1_11comp_targetILNS1_3genE3ELNS1_11target_archE908ELNS1_3gpuE7ELNS1_3repE0EEENS1_30default_config_static_selectorELNS0_4arch9wavefront6targetE1EEEvT1_
                                        ; -- End function
	.section	.AMDGPU.csdata,"",@progbits
; Kernel info:
; codeLenInByte = 0
; NumSgprs: 4
; NumVgprs: 0
; NumAgprs: 0
; TotalNumVgprs: 0
; ScratchSize: 0
; MemoryBound: 0
; FloatMode: 240
; IeeeMode: 1
; LDSByteSize: 0 bytes/workgroup (compile time only)
; SGPRBlocks: 0
; VGPRBlocks: 0
; NumSGPRsForWavesPerEU: 4
; NumVGPRsForWavesPerEU: 1
; AccumOffset: 4
; Occupancy: 8
; WaveLimiterHint : 0
; COMPUTE_PGM_RSRC2:SCRATCH_EN: 0
; COMPUTE_PGM_RSRC2:USER_SGPR: 6
; COMPUTE_PGM_RSRC2:TRAP_HANDLER: 0
; COMPUTE_PGM_RSRC2:TGID_X_EN: 1
; COMPUTE_PGM_RSRC2:TGID_Y_EN: 0
; COMPUTE_PGM_RSRC2:TGID_Z_EN: 0
; COMPUTE_PGM_RSRC2:TIDIG_COMP_CNT: 0
; COMPUTE_PGM_RSRC3_GFX90A:ACCUM_OFFSET: 0
; COMPUTE_PGM_RSRC3_GFX90A:TG_SPLIT: 0
	.section	.text._ZN7rocprim17ROCPRIM_400000_NS6detail17trampoline_kernelINS0_14default_configENS1_25partition_config_selectorILNS1_17partition_subalgoE0EiNS0_10empty_typeEbEEZZNS1_14partition_implILS5_0ELb0ES3_jN6thrust23THRUST_200600_302600_NS10device_ptrIiEEPS6_SD_NS0_5tupleIJSC_SC_EEENSE_IJSD_SD_EEES6_PlJ7is_evenIiEEEE10hipError_tPvRmT3_T4_T5_T6_T7_T9_mT8_P12ihipStream_tbDpT10_ENKUlT_T0_E_clISt17integral_constantIbLb1EES13_EEDaSY_SZ_EUlSY_E_NS1_11comp_targetILNS1_3genE2ELNS1_11target_archE906ELNS1_3gpuE6ELNS1_3repE0EEENS1_30default_config_static_selectorELNS0_4arch9wavefront6targetE1EEEvT1_,"axG",@progbits,_ZN7rocprim17ROCPRIM_400000_NS6detail17trampoline_kernelINS0_14default_configENS1_25partition_config_selectorILNS1_17partition_subalgoE0EiNS0_10empty_typeEbEEZZNS1_14partition_implILS5_0ELb0ES3_jN6thrust23THRUST_200600_302600_NS10device_ptrIiEEPS6_SD_NS0_5tupleIJSC_SC_EEENSE_IJSD_SD_EEES6_PlJ7is_evenIiEEEE10hipError_tPvRmT3_T4_T5_T6_T7_T9_mT8_P12ihipStream_tbDpT10_ENKUlT_T0_E_clISt17integral_constantIbLb1EES13_EEDaSY_SZ_EUlSY_E_NS1_11comp_targetILNS1_3genE2ELNS1_11target_archE906ELNS1_3gpuE6ELNS1_3repE0EEENS1_30default_config_static_selectorELNS0_4arch9wavefront6targetE1EEEvT1_,comdat
	.protected	_ZN7rocprim17ROCPRIM_400000_NS6detail17trampoline_kernelINS0_14default_configENS1_25partition_config_selectorILNS1_17partition_subalgoE0EiNS0_10empty_typeEbEEZZNS1_14partition_implILS5_0ELb0ES3_jN6thrust23THRUST_200600_302600_NS10device_ptrIiEEPS6_SD_NS0_5tupleIJSC_SC_EEENSE_IJSD_SD_EEES6_PlJ7is_evenIiEEEE10hipError_tPvRmT3_T4_T5_T6_T7_T9_mT8_P12ihipStream_tbDpT10_ENKUlT_T0_E_clISt17integral_constantIbLb1EES13_EEDaSY_SZ_EUlSY_E_NS1_11comp_targetILNS1_3genE2ELNS1_11target_archE906ELNS1_3gpuE6ELNS1_3repE0EEENS1_30default_config_static_selectorELNS0_4arch9wavefront6targetE1EEEvT1_ ; -- Begin function _ZN7rocprim17ROCPRIM_400000_NS6detail17trampoline_kernelINS0_14default_configENS1_25partition_config_selectorILNS1_17partition_subalgoE0EiNS0_10empty_typeEbEEZZNS1_14partition_implILS5_0ELb0ES3_jN6thrust23THRUST_200600_302600_NS10device_ptrIiEEPS6_SD_NS0_5tupleIJSC_SC_EEENSE_IJSD_SD_EEES6_PlJ7is_evenIiEEEE10hipError_tPvRmT3_T4_T5_T6_T7_T9_mT8_P12ihipStream_tbDpT10_ENKUlT_T0_E_clISt17integral_constantIbLb1EES13_EEDaSY_SZ_EUlSY_E_NS1_11comp_targetILNS1_3genE2ELNS1_11target_archE906ELNS1_3gpuE6ELNS1_3repE0EEENS1_30default_config_static_selectorELNS0_4arch9wavefront6targetE1EEEvT1_
	.globl	_ZN7rocprim17ROCPRIM_400000_NS6detail17trampoline_kernelINS0_14default_configENS1_25partition_config_selectorILNS1_17partition_subalgoE0EiNS0_10empty_typeEbEEZZNS1_14partition_implILS5_0ELb0ES3_jN6thrust23THRUST_200600_302600_NS10device_ptrIiEEPS6_SD_NS0_5tupleIJSC_SC_EEENSE_IJSD_SD_EEES6_PlJ7is_evenIiEEEE10hipError_tPvRmT3_T4_T5_T6_T7_T9_mT8_P12ihipStream_tbDpT10_ENKUlT_T0_E_clISt17integral_constantIbLb1EES13_EEDaSY_SZ_EUlSY_E_NS1_11comp_targetILNS1_3genE2ELNS1_11target_archE906ELNS1_3gpuE6ELNS1_3repE0EEENS1_30default_config_static_selectorELNS0_4arch9wavefront6targetE1EEEvT1_
	.p2align	8
	.type	_ZN7rocprim17ROCPRIM_400000_NS6detail17trampoline_kernelINS0_14default_configENS1_25partition_config_selectorILNS1_17partition_subalgoE0EiNS0_10empty_typeEbEEZZNS1_14partition_implILS5_0ELb0ES3_jN6thrust23THRUST_200600_302600_NS10device_ptrIiEEPS6_SD_NS0_5tupleIJSC_SC_EEENSE_IJSD_SD_EEES6_PlJ7is_evenIiEEEE10hipError_tPvRmT3_T4_T5_T6_T7_T9_mT8_P12ihipStream_tbDpT10_ENKUlT_T0_E_clISt17integral_constantIbLb1EES13_EEDaSY_SZ_EUlSY_E_NS1_11comp_targetILNS1_3genE2ELNS1_11target_archE906ELNS1_3gpuE6ELNS1_3repE0EEENS1_30default_config_static_selectorELNS0_4arch9wavefront6targetE1EEEvT1_,@function
_ZN7rocprim17ROCPRIM_400000_NS6detail17trampoline_kernelINS0_14default_configENS1_25partition_config_selectorILNS1_17partition_subalgoE0EiNS0_10empty_typeEbEEZZNS1_14partition_implILS5_0ELb0ES3_jN6thrust23THRUST_200600_302600_NS10device_ptrIiEEPS6_SD_NS0_5tupleIJSC_SC_EEENSE_IJSD_SD_EEES6_PlJ7is_evenIiEEEE10hipError_tPvRmT3_T4_T5_T6_T7_T9_mT8_P12ihipStream_tbDpT10_ENKUlT_T0_E_clISt17integral_constantIbLb1EES13_EEDaSY_SZ_EUlSY_E_NS1_11comp_targetILNS1_3genE2ELNS1_11target_archE906ELNS1_3gpuE6ELNS1_3repE0EEENS1_30default_config_static_selectorELNS0_4arch9wavefront6targetE1EEEvT1_: ; @_ZN7rocprim17ROCPRIM_400000_NS6detail17trampoline_kernelINS0_14default_configENS1_25partition_config_selectorILNS1_17partition_subalgoE0EiNS0_10empty_typeEbEEZZNS1_14partition_implILS5_0ELb0ES3_jN6thrust23THRUST_200600_302600_NS10device_ptrIiEEPS6_SD_NS0_5tupleIJSC_SC_EEENSE_IJSD_SD_EEES6_PlJ7is_evenIiEEEE10hipError_tPvRmT3_T4_T5_T6_T7_T9_mT8_P12ihipStream_tbDpT10_ENKUlT_T0_E_clISt17integral_constantIbLb1EES13_EEDaSY_SZ_EUlSY_E_NS1_11comp_targetILNS1_3genE2ELNS1_11target_archE906ELNS1_3gpuE6ELNS1_3repE0EEENS1_30default_config_static_selectorELNS0_4arch9wavefront6targetE1EEEvT1_
; %bb.0:
	.section	.rodata,"a",@progbits
	.p2align	6, 0x0
	.amdhsa_kernel _ZN7rocprim17ROCPRIM_400000_NS6detail17trampoline_kernelINS0_14default_configENS1_25partition_config_selectorILNS1_17partition_subalgoE0EiNS0_10empty_typeEbEEZZNS1_14partition_implILS5_0ELb0ES3_jN6thrust23THRUST_200600_302600_NS10device_ptrIiEEPS6_SD_NS0_5tupleIJSC_SC_EEENSE_IJSD_SD_EEES6_PlJ7is_evenIiEEEE10hipError_tPvRmT3_T4_T5_T6_T7_T9_mT8_P12ihipStream_tbDpT10_ENKUlT_T0_E_clISt17integral_constantIbLb1EES13_EEDaSY_SZ_EUlSY_E_NS1_11comp_targetILNS1_3genE2ELNS1_11target_archE906ELNS1_3gpuE6ELNS1_3repE0EEENS1_30default_config_static_selectorELNS0_4arch9wavefront6targetE1EEEvT1_
		.amdhsa_group_segment_fixed_size 0
		.amdhsa_private_segment_fixed_size 0
		.amdhsa_kernarg_size 136
		.amdhsa_user_sgpr_count 6
		.amdhsa_user_sgpr_private_segment_buffer 1
		.amdhsa_user_sgpr_dispatch_ptr 0
		.amdhsa_user_sgpr_queue_ptr 0
		.amdhsa_user_sgpr_kernarg_segment_ptr 1
		.amdhsa_user_sgpr_dispatch_id 0
		.amdhsa_user_sgpr_flat_scratch_init 0
		.amdhsa_user_sgpr_kernarg_preload_length 0
		.amdhsa_user_sgpr_kernarg_preload_offset 0
		.amdhsa_user_sgpr_private_segment_size 0
		.amdhsa_uses_dynamic_stack 0
		.amdhsa_system_sgpr_private_segment_wavefront_offset 0
		.amdhsa_system_sgpr_workgroup_id_x 1
		.amdhsa_system_sgpr_workgroup_id_y 0
		.amdhsa_system_sgpr_workgroup_id_z 0
		.amdhsa_system_sgpr_workgroup_info 0
		.amdhsa_system_vgpr_workitem_id 0
		.amdhsa_next_free_vgpr 1
		.amdhsa_next_free_sgpr 0
		.amdhsa_accum_offset 4
		.amdhsa_reserve_vcc 0
		.amdhsa_reserve_flat_scratch 0
		.amdhsa_float_round_mode_32 0
		.amdhsa_float_round_mode_16_64 0
		.amdhsa_float_denorm_mode_32 3
		.amdhsa_float_denorm_mode_16_64 3
		.amdhsa_dx10_clamp 1
		.amdhsa_ieee_mode 1
		.amdhsa_fp16_overflow 0
		.amdhsa_tg_split 0
		.amdhsa_exception_fp_ieee_invalid_op 0
		.amdhsa_exception_fp_denorm_src 0
		.amdhsa_exception_fp_ieee_div_zero 0
		.amdhsa_exception_fp_ieee_overflow 0
		.amdhsa_exception_fp_ieee_underflow 0
		.amdhsa_exception_fp_ieee_inexact 0
		.amdhsa_exception_int_div_zero 0
	.end_amdhsa_kernel
	.section	.text._ZN7rocprim17ROCPRIM_400000_NS6detail17trampoline_kernelINS0_14default_configENS1_25partition_config_selectorILNS1_17partition_subalgoE0EiNS0_10empty_typeEbEEZZNS1_14partition_implILS5_0ELb0ES3_jN6thrust23THRUST_200600_302600_NS10device_ptrIiEEPS6_SD_NS0_5tupleIJSC_SC_EEENSE_IJSD_SD_EEES6_PlJ7is_evenIiEEEE10hipError_tPvRmT3_T4_T5_T6_T7_T9_mT8_P12ihipStream_tbDpT10_ENKUlT_T0_E_clISt17integral_constantIbLb1EES13_EEDaSY_SZ_EUlSY_E_NS1_11comp_targetILNS1_3genE2ELNS1_11target_archE906ELNS1_3gpuE6ELNS1_3repE0EEENS1_30default_config_static_selectorELNS0_4arch9wavefront6targetE1EEEvT1_,"axG",@progbits,_ZN7rocprim17ROCPRIM_400000_NS6detail17trampoline_kernelINS0_14default_configENS1_25partition_config_selectorILNS1_17partition_subalgoE0EiNS0_10empty_typeEbEEZZNS1_14partition_implILS5_0ELb0ES3_jN6thrust23THRUST_200600_302600_NS10device_ptrIiEEPS6_SD_NS0_5tupleIJSC_SC_EEENSE_IJSD_SD_EEES6_PlJ7is_evenIiEEEE10hipError_tPvRmT3_T4_T5_T6_T7_T9_mT8_P12ihipStream_tbDpT10_ENKUlT_T0_E_clISt17integral_constantIbLb1EES13_EEDaSY_SZ_EUlSY_E_NS1_11comp_targetILNS1_3genE2ELNS1_11target_archE906ELNS1_3gpuE6ELNS1_3repE0EEENS1_30default_config_static_selectorELNS0_4arch9wavefront6targetE1EEEvT1_,comdat
.Lfunc_end3706:
	.size	_ZN7rocprim17ROCPRIM_400000_NS6detail17trampoline_kernelINS0_14default_configENS1_25partition_config_selectorILNS1_17partition_subalgoE0EiNS0_10empty_typeEbEEZZNS1_14partition_implILS5_0ELb0ES3_jN6thrust23THRUST_200600_302600_NS10device_ptrIiEEPS6_SD_NS0_5tupleIJSC_SC_EEENSE_IJSD_SD_EEES6_PlJ7is_evenIiEEEE10hipError_tPvRmT3_T4_T5_T6_T7_T9_mT8_P12ihipStream_tbDpT10_ENKUlT_T0_E_clISt17integral_constantIbLb1EES13_EEDaSY_SZ_EUlSY_E_NS1_11comp_targetILNS1_3genE2ELNS1_11target_archE906ELNS1_3gpuE6ELNS1_3repE0EEENS1_30default_config_static_selectorELNS0_4arch9wavefront6targetE1EEEvT1_, .Lfunc_end3706-_ZN7rocprim17ROCPRIM_400000_NS6detail17trampoline_kernelINS0_14default_configENS1_25partition_config_selectorILNS1_17partition_subalgoE0EiNS0_10empty_typeEbEEZZNS1_14partition_implILS5_0ELb0ES3_jN6thrust23THRUST_200600_302600_NS10device_ptrIiEEPS6_SD_NS0_5tupleIJSC_SC_EEENSE_IJSD_SD_EEES6_PlJ7is_evenIiEEEE10hipError_tPvRmT3_T4_T5_T6_T7_T9_mT8_P12ihipStream_tbDpT10_ENKUlT_T0_E_clISt17integral_constantIbLb1EES13_EEDaSY_SZ_EUlSY_E_NS1_11comp_targetILNS1_3genE2ELNS1_11target_archE906ELNS1_3gpuE6ELNS1_3repE0EEENS1_30default_config_static_selectorELNS0_4arch9wavefront6targetE1EEEvT1_
                                        ; -- End function
	.section	.AMDGPU.csdata,"",@progbits
; Kernel info:
; codeLenInByte = 0
; NumSgprs: 4
; NumVgprs: 0
; NumAgprs: 0
; TotalNumVgprs: 0
; ScratchSize: 0
; MemoryBound: 0
; FloatMode: 240
; IeeeMode: 1
; LDSByteSize: 0 bytes/workgroup (compile time only)
; SGPRBlocks: 0
; VGPRBlocks: 0
; NumSGPRsForWavesPerEU: 4
; NumVGPRsForWavesPerEU: 1
; AccumOffset: 4
; Occupancy: 8
; WaveLimiterHint : 0
; COMPUTE_PGM_RSRC2:SCRATCH_EN: 0
; COMPUTE_PGM_RSRC2:USER_SGPR: 6
; COMPUTE_PGM_RSRC2:TRAP_HANDLER: 0
; COMPUTE_PGM_RSRC2:TGID_X_EN: 1
; COMPUTE_PGM_RSRC2:TGID_Y_EN: 0
; COMPUTE_PGM_RSRC2:TGID_Z_EN: 0
; COMPUTE_PGM_RSRC2:TIDIG_COMP_CNT: 0
; COMPUTE_PGM_RSRC3_GFX90A:ACCUM_OFFSET: 0
; COMPUTE_PGM_RSRC3_GFX90A:TG_SPLIT: 0
	.section	.text._ZN7rocprim17ROCPRIM_400000_NS6detail17trampoline_kernelINS0_14default_configENS1_25partition_config_selectorILNS1_17partition_subalgoE0EiNS0_10empty_typeEbEEZZNS1_14partition_implILS5_0ELb0ES3_jN6thrust23THRUST_200600_302600_NS10device_ptrIiEEPS6_SD_NS0_5tupleIJSC_SC_EEENSE_IJSD_SD_EEES6_PlJ7is_evenIiEEEE10hipError_tPvRmT3_T4_T5_T6_T7_T9_mT8_P12ihipStream_tbDpT10_ENKUlT_T0_E_clISt17integral_constantIbLb1EES13_EEDaSY_SZ_EUlSY_E_NS1_11comp_targetILNS1_3genE10ELNS1_11target_archE1200ELNS1_3gpuE4ELNS1_3repE0EEENS1_30default_config_static_selectorELNS0_4arch9wavefront6targetE1EEEvT1_,"axG",@progbits,_ZN7rocprim17ROCPRIM_400000_NS6detail17trampoline_kernelINS0_14default_configENS1_25partition_config_selectorILNS1_17partition_subalgoE0EiNS0_10empty_typeEbEEZZNS1_14partition_implILS5_0ELb0ES3_jN6thrust23THRUST_200600_302600_NS10device_ptrIiEEPS6_SD_NS0_5tupleIJSC_SC_EEENSE_IJSD_SD_EEES6_PlJ7is_evenIiEEEE10hipError_tPvRmT3_T4_T5_T6_T7_T9_mT8_P12ihipStream_tbDpT10_ENKUlT_T0_E_clISt17integral_constantIbLb1EES13_EEDaSY_SZ_EUlSY_E_NS1_11comp_targetILNS1_3genE10ELNS1_11target_archE1200ELNS1_3gpuE4ELNS1_3repE0EEENS1_30default_config_static_selectorELNS0_4arch9wavefront6targetE1EEEvT1_,comdat
	.protected	_ZN7rocprim17ROCPRIM_400000_NS6detail17trampoline_kernelINS0_14default_configENS1_25partition_config_selectorILNS1_17partition_subalgoE0EiNS0_10empty_typeEbEEZZNS1_14partition_implILS5_0ELb0ES3_jN6thrust23THRUST_200600_302600_NS10device_ptrIiEEPS6_SD_NS0_5tupleIJSC_SC_EEENSE_IJSD_SD_EEES6_PlJ7is_evenIiEEEE10hipError_tPvRmT3_T4_T5_T6_T7_T9_mT8_P12ihipStream_tbDpT10_ENKUlT_T0_E_clISt17integral_constantIbLb1EES13_EEDaSY_SZ_EUlSY_E_NS1_11comp_targetILNS1_3genE10ELNS1_11target_archE1200ELNS1_3gpuE4ELNS1_3repE0EEENS1_30default_config_static_selectorELNS0_4arch9wavefront6targetE1EEEvT1_ ; -- Begin function _ZN7rocprim17ROCPRIM_400000_NS6detail17trampoline_kernelINS0_14default_configENS1_25partition_config_selectorILNS1_17partition_subalgoE0EiNS0_10empty_typeEbEEZZNS1_14partition_implILS5_0ELb0ES3_jN6thrust23THRUST_200600_302600_NS10device_ptrIiEEPS6_SD_NS0_5tupleIJSC_SC_EEENSE_IJSD_SD_EEES6_PlJ7is_evenIiEEEE10hipError_tPvRmT3_T4_T5_T6_T7_T9_mT8_P12ihipStream_tbDpT10_ENKUlT_T0_E_clISt17integral_constantIbLb1EES13_EEDaSY_SZ_EUlSY_E_NS1_11comp_targetILNS1_3genE10ELNS1_11target_archE1200ELNS1_3gpuE4ELNS1_3repE0EEENS1_30default_config_static_selectorELNS0_4arch9wavefront6targetE1EEEvT1_
	.globl	_ZN7rocprim17ROCPRIM_400000_NS6detail17trampoline_kernelINS0_14default_configENS1_25partition_config_selectorILNS1_17partition_subalgoE0EiNS0_10empty_typeEbEEZZNS1_14partition_implILS5_0ELb0ES3_jN6thrust23THRUST_200600_302600_NS10device_ptrIiEEPS6_SD_NS0_5tupleIJSC_SC_EEENSE_IJSD_SD_EEES6_PlJ7is_evenIiEEEE10hipError_tPvRmT3_T4_T5_T6_T7_T9_mT8_P12ihipStream_tbDpT10_ENKUlT_T0_E_clISt17integral_constantIbLb1EES13_EEDaSY_SZ_EUlSY_E_NS1_11comp_targetILNS1_3genE10ELNS1_11target_archE1200ELNS1_3gpuE4ELNS1_3repE0EEENS1_30default_config_static_selectorELNS0_4arch9wavefront6targetE1EEEvT1_
	.p2align	8
	.type	_ZN7rocprim17ROCPRIM_400000_NS6detail17trampoline_kernelINS0_14default_configENS1_25partition_config_selectorILNS1_17partition_subalgoE0EiNS0_10empty_typeEbEEZZNS1_14partition_implILS5_0ELb0ES3_jN6thrust23THRUST_200600_302600_NS10device_ptrIiEEPS6_SD_NS0_5tupleIJSC_SC_EEENSE_IJSD_SD_EEES6_PlJ7is_evenIiEEEE10hipError_tPvRmT3_T4_T5_T6_T7_T9_mT8_P12ihipStream_tbDpT10_ENKUlT_T0_E_clISt17integral_constantIbLb1EES13_EEDaSY_SZ_EUlSY_E_NS1_11comp_targetILNS1_3genE10ELNS1_11target_archE1200ELNS1_3gpuE4ELNS1_3repE0EEENS1_30default_config_static_selectorELNS0_4arch9wavefront6targetE1EEEvT1_,@function
_ZN7rocprim17ROCPRIM_400000_NS6detail17trampoline_kernelINS0_14default_configENS1_25partition_config_selectorILNS1_17partition_subalgoE0EiNS0_10empty_typeEbEEZZNS1_14partition_implILS5_0ELb0ES3_jN6thrust23THRUST_200600_302600_NS10device_ptrIiEEPS6_SD_NS0_5tupleIJSC_SC_EEENSE_IJSD_SD_EEES6_PlJ7is_evenIiEEEE10hipError_tPvRmT3_T4_T5_T6_T7_T9_mT8_P12ihipStream_tbDpT10_ENKUlT_T0_E_clISt17integral_constantIbLb1EES13_EEDaSY_SZ_EUlSY_E_NS1_11comp_targetILNS1_3genE10ELNS1_11target_archE1200ELNS1_3gpuE4ELNS1_3repE0EEENS1_30default_config_static_selectorELNS0_4arch9wavefront6targetE1EEEvT1_: ; @_ZN7rocprim17ROCPRIM_400000_NS6detail17trampoline_kernelINS0_14default_configENS1_25partition_config_selectorILNS1_17partition_subalgoE0EiNS0_10empty_typeEbEEZZNS1_14partition_implILS5_0ELb0ES3_jN6thrust23THRUST_200600_302600_NS10device_ptrIiEEPS6_SD_NS0_5tupleIJSC_SC_EEENSE_IJSD_SD_EEES6_PlJ7is_evenIiEEEE10hipError_tPvRmT3_T4_T5_T6_T7_T9_mT8_P12ihipStream_tbDpT10_ENKUlT_T0_E_clISt17integral_constantIbLb1EES13_EEDaSY_SZ_EUlSY_E_NS1_11comp_targetILNS1_3genE10ELNS1_11target_archE1200ELNS1_3gpuE4ELNS1_3repE0EEENS1_30default_config_static_selectorELNS0_4arch9wavefront6targetE1EEEvT1_
; %bb.0:
	.section	.rodata,"a",@progbits
	.p2align	6, 0x0
	.amdhsa_kernel _ZN7rocprim17ROCPRIM_400000_NS6detail17trampoline_kernelINS0_14default_configENS1_25partition_config_selectorILNS1_17partition_subalgoE0EiNS0_10empty_typeEbEEZZNS1_14partition_implILS5_0ELb0ES3_jN6thrust23THRUST_200600_302600_NS10device_ptrIiEEPS6_SD_NS0_5tupleIJSC_SC_EEENSE_IJSD_SD_EEES6_PlJ7is_evenIiEEEE10hipError_tPvRmT3_T4_T5_T6_T7_T9_mT8_P12ihipStream_tbDpT10_ENKUlT_T0_E_clISt17integral_constantIbLb1EES13_EEDaSY_SZ_EUlSY_E_NS1_11comp_targetILNS1_3genE10ELNS1_11target_archE1200ELNS1_3gpuE4ELNS1_3repE0EEENS1_30default_config_static_selectorELNS0_4arch9wavefront6targetE1EEEvT1_
		.amdhsa_group_segment_fixed_size 0
		.amdhsa_private_segment_fixed_size 0
		.amdhsa_kernarg_size 136
		.amdhsa_user_sgpr_count 6
		.amdhsa_user_sgpr_private_segment_buffer 1
		.amdhsa_user_sgpr_dispatch_ptr 0
		.amdhsa_user_sgpr_queue_ptr 0
		.amdhsa_user_sgpr_kernarg_segment_ptr 1
		.amdhsa_user_sgpr_dispatch_id 0
		.amdhsa_user_sgpr_flat_scratch_init 0
		.amdhsa_user_sgpr_kernarg_preload_length 0
		.amdhsa_user_sgpr_kernarg_preload_offset 0
		.amdhsa_user_sgpr_private_segment_size 0
		.amdhsa_uses_dynamic_stack 0
		.amdhsa_system_sgpr_private_segment_wavefront_offset 0
		.amdhsa_system_sgpr_workgroup_id_x 1
		.amdhsa_system_sgpr_workgroup_id_y 0
		.amdhsa_system_sgpr_workgroup_id_z 0
		.amdhsa_system_sgpr_workgroup_info 0
		.amdhsa_system_vgpr_workitem_id 0
		.amdhsa_next_free_vgpr 1
		.amdhsa_next_free_sgpr 0
		.amdhsa_accum_offset 4
		.amdhsa_reserve_vcc 0
		.amdhsa_reserve_flat_scratch 0
		.amdhsa_float_round_mode_32 0
		.amdhsa_float_round_mode_16_64 0
		.amdhsa_float_denorm_mode_32 3
		.amdhsa_float_denorm_mode_16_64 3
		.amdhsa_dx10_clamp 1
		.amdhsa_ieee_mode 1
		.amdhsa_fp16_overflow 0
		.amdhsa_tg_split 0
		.amdhsa_exception_fp_ieee_invalid_op 0
		.amdhsa_exception_fp_denorm_src 0
		.amdhsa_exception_fp_ieee_div_zero 0
		.amdhsa_exception_fp_ieee_overflow 0
		.amdhsa_exception_fp_ieee_underflow 0
		.amdhsa_exception_fp_ieee_inexact 0
		.amdhsa_exception_int_div_zero 0
	.end_amdhsa_kernel
	.section	.text._ZN7rocprim17ROCPRIM_400000_NS6detail17trampoline_kernelINS0_14default_configENS1_25partition_config_selectorILNS1_17partition_subalgoE0EiNS0_10empty_typeEbEEZZNS1_14partition_implILS5_0ELb0ES3_jN6thrust23THRUST_200600_302600_NS10device_ptrIiEEPS6_SD_NS0_5tupleIJSC_SC_EEENSE_IJSD_SD_EEES6_PlJ7is_evenIiEEEE10hipError_tPvRmT3_T4_T5_T6_T7_T9_mT8_P12ihipStream_tbDpT10_ENKUlT_T0_E_clISt17integral_constantIbLb1EES13_EEDaSY_SZ_EUlSY_E_NS1_11comp_targetILNS1_3genE10ELNS1_11target_archE1200ELNS1_3gpuE4ELNS1_3repE0EEENS1_30default_config_static_selectorELNS0_4arch9wavefront6targetE1EEEvT1_,"axG",@progbits,_ZN7rocprim17ROCPRIM_400000_NS6detail17trampoline_kernelINS0_14default_configENS1_25partition_config_selectorILNS1_17partition_subalgoE0EiNS0_10empty_typeEbEEZZNS1_14partition_implILS5_0ELb0ES3_jN6thrust23THRUST_200600_302600_NS10device_ptrIiEEPS6_SD_NS0_5tupleIJSC_SC_EEENSE_IJSD_SD_EEES6_PlJ7is_evenIiEEEE10hipError_tPvRmT3_T4_T5_T6_T7_T9_mT8_P12ihipStream_tbDpT10_ENKUlT_T0_E_clISt17integral_constantIbLb1EES13_EEDaSY_SZ_EUlSY_E_NS1_11comp_targetILNS1_3genE10ELNS1_11target_archE1200ELNS1_3gpuE4ELNS1_3repE0EEENS1_30default_config_static_selectorELNS0_4arch9wavefront6targetE1EEEvT1_,comdat
.Lfunc_end3707:
	.size	_ZN7rocprim17ROCPRIM_400000_NS6detail17trampoline_kernelINS0_14default_configENS1_25partition_config_selectorILNS1_17partition_subalgoE0EiNS0_10empty_typeEbEEZZNS1_14partition_implILS5_0ELb0ES3_jN6thrust23THRUST_200600_302600_NS10device_ptrIiEEPS6_SD_NS0_5tupleIJSC_SC_EEENSE_IJSD_SD_EEES6_PlJ7is_evenIiEEEE10hipError_tPvRmT3_T4_T5_T6_T7_T9_mT8_P12ihipStream_tbDpT10_ENKUlT_T0_E_clISt17integral_constantIbLb1EES13_EEDaSY_SZ_EUlSY_E_NS1_11comp_targetILNS1_3genE10ELNS1_11target_archE1200ELNS1_3gpuE4ELNS1_3repE0EEENS1_30default_config_static_selectorELNS0_4arch9wavefront6targetE1EEEvT1_, .Lfunc_end3707-_ZN7rocprim17ROCPRIM_400000_NS6detail17trampoline_kernelINS0_14default_configENS1_25partition_config_selectorILNS1_17partition_subalgoE0EiNS0_10empty_typeEbEEZZNS1_14partition_implILS5_0ELb0ES3_jN6thrust23THRUST_200600_302600_NS10device_ptrIiEEPS6_SD_NS0_5tupleIJSC_SC_EEENSE_IJSD_SD_EEES6_PlJ7is_evenIiEEEE10hipError_tPvRmT3_T4_T5_T6_T7_T9_mT8_P12ihipStream_tbDpT10_ENKUlT_T0_E_clISt17integral_constantIbLb1EES13_EEDaSY_SZ_EUlSY_E_NS1_11comp_targetILNS1_3genE10ELNS1_11target_archE1200ELNS1_3gpuE4ELNS1_3repE0EEENS1_30default_config_static_selectorELNS0_4arch9wavefront6targetE1EEEvT1_
                                        ; -- End function
	.section	.AMDGPU.csdata,"",@progbits
; Kernel info:
; codeLenInByte = 0
; NumSgprs: 4
; NumVgprs: 0
; NumAgprs: 0
; TotalNumVgprs: 0
; ScratchSize: 0
; MemoryBound: 0
; FloatMode: 240
; IeeeMode: 1
; LDSByteSize: 0 bytes/workgroup (compile time only)
; SGPRBlocks: 0
; VGPRBlocks: 0
; NumSGPRsForWavesPerEU: 4
; NumVGPRsForWavesPerEU: 1
; AccumOffset: 4
; Occupancy: 8
; WaveLimiterHint : 0
; COMPUTE_PGM_RSRC2:SCRATCH_EN: 0
; COMPUTE_PGM_RSRC2:USER_SGPR: 6
; COMPUTE_PGM_RSRC2:TRAP_HANDLER: 0
; COMPUTE_PGM_RSRC2:TGID_X_EN: 1
; COMPUTE_PGM_RSRC2:TGID_Y_EN: 0
; COMPUTE_PGM_RSRC2:TGID_Z_EN: 0
; COMPUTE_PGM_RSRC2:TIDIG_COMP_CNT: 0
; COMPUTE_PGM_RSRC3_GFX90A:ACCUM_OFFSET: 0
; COMPUTE_PGM_RSRC3_GFX90A:TG_SPLIT: 0
	.section	.text._ZN7rocprim17ROCPRIM_400000_NS6detail17trampoline_kernelINS0_14default_configENS1_25partition_config_selectorILNS1_17partition_subalgoE0EiNS0_10empty_typeEbEEZZNS1_14partition_implILS5_0ELb0ES3_jN6thrust23THRUST_200600_302600_NS10device_ptrIiEEPS6_SD_NS0_5tupleIJSC_SC_EEENSE_IJSD_SD_EEES6_PlJ7is_evenIiEEEE10hipError_tPvRmT3_T4_T5_T6_T7_T9_mT8_P12ihipStream_tbDpT10_ENKUlT_T0_E_clISt17integral_constantIbLb1EES13_EEDaSY_SZ_EUlSY_E_NS1_11comp_targetILNS1_3genE9ELNS1_11target_archE1100ELNS1_3gpuE3ELNS1_3repE0EEENS1_30default_config_static_selectorELNS0_4arch9wavefront6targetE1EEEvT1_,"axG",@progbits,_ZN7rocprim17ROCPRIM_400000_NS6detail17trampoline_kernelINS0_14default_configENS1_25partition_config_selectorILNS1_17partition_subalgoE0EiNS0_10empty_typeEbEEZZNS1_14partition_implILS5_0ELb0ES3_jN6thrust23THRUST_200600_302600_NS10device_ptrIiEEPS6_SD_NS0_5tupleIJSC_SC_EEENSE_IJSD_SD_EEES6_PlJ7is_evenIiEEEE10hipError_tPvRmT3_T4_T5_T6_T7_T9_mT8_P12ihipStream_tbDpT10_ENKUlT_T0_E_clISt17integral_constantIbLb1EES13_EEDaSY_SZ_EUlSY_E_NS1_11comp_targetILNS1_3genE9ELNS1_11target_archE1100ELNS1_3gpuE3ELNS1_3repE0EEENS1_30default_config_static_selectorELNS0_4arch9wavefront6targetE1EEEvT1_,comdat
	.protected	_ZN7rocprim17ROCPRIM_400000_NS6detail17trampoline_kernelINS0_14default_configENS1_25partition_config_selectorILNS1_17partition_subalgoE0EiNS0_10empty_typeEbEEZZNS1_14partition_implILS5_0ELb0ES3_jN6thrust23THRUST_200600_302600_NS10device_ptrIiEEPS6_SD_NS0_5tupleIJSC_SC_EEENSE_IJSD_SD_EEES6_PlJ7is_evenIiEEEE10hipError_tPvRmT3_T4_T5_T6_T7_T9_mT8_P12ihipStream_tbDpT10_ENKUlT_T0_E_clISt17integral_constantIbLb1EES13_EEDaSY_SZ_EUlSY_E_NS1_11comp_targetILNS1_3genE9ELNS1_11target_archE1100ELNS1_3gpuE3ELNS1_3repE0EEENS1_30default_config_static_selectorELNS0_4arch9wavefront6targetE1EEEvT1_ ; -- Begin function _ZN7rocprim17ROCPRIM_400000_NS6detail17trampoline_kernelINS0_14default_configENS1_25partition_config_selectorILNS1_17partition_subalgoE0EiNS0_10empty_typeEbEEZZNS1_14partition_implILS5_0ELb0ES3_jN6thrust23THRUST_200600_302600_NS10device_ptrIiEEPS6_SD_NS0_5tupleIJSC_SC_EEENSE_IJSD_SD_EEES6_PlJ7is_evenIiEEEE10hipError_tPvRmT3_T4_T5_T6_T7_T9_mT8_P12ihipStream_tbDpT10_ENKUlT_T0_E_clISt17integral_constantIbLb1EES13_EEDaSY_SZ_EUlSY_E_NS1_11comp_targetILNS1_3genE9ELNS1_11target_archE1100ELNS1_3gpuE3ELNS1_3repE0EEENS1_30default_config_static_selectorELNS0_4arch9wavefront6targetE1EEEvT1_
	.globl	_ZN7rocprim17ROCPRIM_400000_NS6detail17trampoline_kernelINS0_14default_configENS1_25partition_config_selectorILNS1_17partition_subalgoE0EiNS0_10empty_typeEbEEZZNS1_14partition_implILS5_0ELb0ES3_jN6thrust23THRUST_200600_302600_NS10device_ptrIiEEPS6_SD_NS0_5tupleIJSC_SC_EEENSE_IJSD_SD_EEES6_PlJ7is_evenIiEEEE10hipError_tPvRmT3_T4_T5_T6_T7_T9_mT8_P12ihipStream_tbDpT10_ENKUlT_T0_E_clISt17integral_constantIbLb1EES13_EEDaSY_SZ_EUlSY_E_NS1_11comp_targetILNS1_3genE9ELNS1_11target_archE1100ELNS1_3gpuE3ELNS1_3repE0EEENS1_30default_config_static_selectorELNS0_4arch9wavefront6targetE1EEEvT1_
	.p2align	8
	.type	_ZN7rocprim17ROCPRIM_400000_NS6detail17trampoline_kernelINS0_14default_configENS1_25partition_config_selectorILNS1_17partition_subalgoE0EiNS0_10empty_typeEbEEZZNS1_14partition_implILS5_0ELb0ES3_jN6thrust23THRUST_200600_302600_NS10device_ptrIiEEPS6_SD_NS0_5tupleIJSC_SC_EEENSE_IJSD_SD_EEES6_PlJ7is_evenIiEEEE10hipError_tPvRmT3_T4_T5_T6_T7_T9_mT8_P12ihipStream_tbDpT10_ENKUlT_T0_E_clISt17integral_constantIbLb1EES13_EEDaSY_SZ_EUlSY_E_NS1_11comp_targetILNS1_3genE9ELNS1_11target_archE1100ELNS1_3gpuE3ELNS1_3repE0EEENS1_30default_config_static_selectorELNS0_4arch9wavefront6targetE1EEEvT1_,@function
_ZN7rocprim17ROCPRIM_400000_NS6detail17trampoline_kernelINS0_14default_configENS1_25partition_config_selectorILNS1_17partition_subalgoE0EiNS0_10empty_typeEbEEZZNS1_14partition_implILS5_0ELb0ES3_jN6thrust23THRUST_200600_302600_NS10device_ptrIiEEPS6_SD_NS0_5tupleIJSC_SC_EEENSE_IJSD_SD_EEES6_PlJ7is_evenIiEEEE10hipError_tPvRmT3_T4_T5_T6_T7_T9_mT8_P12ihipStream_tbDpT10_ENKUlT_T0_E_clISt17integral_constantIbLb1EES13_EEDaSY_SZ_EUlSY_E_NS1_11comp_targetILNS1_3genE9ELNS1_11target_archE1100ELNS1_3gpuE3ELNS1_3repE0EEENS1_30default_config_static_selectorELNS0_4arch9wavefront6targetE1EEEvT1_: ; @_ZN7rocprim17ROCPRIM_400000_NS6detail17trampoline_kernelINS0_14default_configENS1_25partition_config_selectorILNS1_17partition_subalgoE0EiNS0_10empty_typeEbEEZZNS1_14partition_implILS5_0ELb0ES3_jN6thrust23THRUST_200600_302600_NS10device_ptrIiEEPS6_SD_NS0_5tupleIJSC_SC_EEENSE_IJSD_SD_EEES6_PlJ7is_evenIiEEEE10hipError_tPvRmT3_T4_T5_T6_T7_T9_mT8_P12ihipStream_tbDpT10_ENKUlT_T0_E_clISt17integral_constantIbLb1EES13_EEDaSY_SZ_EUlSY_E_NS1_11comp_targetILNS1_3genE9ELNS1_11target_archE1100ELNS1_3gpuE3ELNS1_3repE0EEENS1_30default_config_static_selectorELNS0_4arch9wavefront6targetE1EEEvT1_
; %bb.0:
	.section	.rodata,"a",@progbits
	.p2align	6, 0x0
	.amdhsa_kernel _ZN7rocprim17ROCPRIM_400000_NS6detail17trampoline_kernelINS0_14default_configENS1_25partition_config_selectorILNS1_17partition_subalgoE0EiNS0_10empty_typeEbEEZZNS1_14partition_implILS5_0ELb0ES3_jN6thrust23THRUST_200600_302600_NS10device_ptrIiEEPS6_SD_NS0_5tupleIJSC_SC_EEENSE_IJSD_SD_EEES6_PlJ7is_evenIiEEEE10hipError_tPvRmT3_T4_T5_T6_T7_T9_mT8_P12ihipStream_tbDpT10_ENKUlT_T0_E_clISt17integral_constantIbLb1EES13_EEDaSY_SZ_EUlSY_E_NS1_11comp_targetILNS1_3genE9ELNS1_11target_archE1100ELNS1_3gpuE3ELNS1_3repE0EEENS1_30default_config_static_selectorELNS0_4arch9wavefront6targetE1EEEvT1_
		.amdhsa_group_segment_fixed_size 0
		.amdhsa_private_segment_fixed_size 0
		.amdhsa_kernarg_size 136
		.amdhsa_user_sgpr_count 6
		.amdhsa_user_sgpr_private_segment_buffer 1
		.amdhsa_user_sgpr_dispatch_ptr 0
		.amdhsa_user_sgpr_queue_ptr 0
		.amdhsa_user_sgpr_kernarg_segment_ptr 1
		.amdhsa_user_sgpr_dispatch_id 0
		.amdhsa_user_sgpr_flat_scratch_init 0
		.amdhsa_user_sgpr_kernarg_preload_length 0
		.amdhsa_user_sgpr_kernarg_preload_offset 0
		.amdhsa_user_sgpr_private_segment_size 0
		.amdhsa_uses_dynamic_stack 0
		.amdhsa_system_sgpr_private_segment_wavefront_offset 0
		.amdhsa_system_sgpr_workgroup_id_x 1
		.amdhsa_system_sgpr_workgroup_id_y 0
		.amdhsa_system_sgpr_workgroup_id_z 0
		.amdhsa_system_sgpr_workgroup_info 0
		.amdhsa_system_vgpr_workitem_id 0
		.amdhsa_next_free_vgpr 1
		.amdhsa_next_free_sgpr 0
		.amdhsa_accum_offset 4
		.amdhsa_reserve_vcc 0
		.amdhsa_reserve_flat_scratch 0
		.amdhsa_float_round_mode_32 0
		.amdhsa_float_round_mode_16_64 0
		.amdhsa_float_denorm_mode_32 3
		.amdhsa_float_denorm_mode_16_64 3
		.amdhsa_dx10_clamp 1
		.amdhsa_ieee_mode 1
		.amdhsa_fp16_overflow 0
		.amdhsa_tg_split 0
		.amdhsa_exception_fp_ieee_invalid_op 0
		.amdhsa_exception_fp_denorm_src 0
		.amdhsa_exception_fp_ieee_div_zero 0
		.amdhsa_exception_fp_ieee_overflow 0
		.amdhsa_exception_fp_ieee_underflow 0
		.amdhsa_exception_fp_ieee_inexact 0
		.amdhsa_exception_int_div_zero 0
	.end_amdhsa_kernel
	.section	.text._ZN7rocprim17ROCPRIM_400000_NS6detail17trampoline_kernelINS0_14default_configENS1_25partition_config_selectorILNS1_17partition_subalgoE0EiNS0_10empty_typeEbEEZZNS1_14partition_implILS5_0ELb0ES3_jN6thrust23THRUST_200600_302600_NS10device_ptrIiEEPS6_SD_NS0_5tupleIJSC_SC_EEENSE_IJSD_SD_EEES6_PlJ7is_evenIiEEEE10hipError_tPvRmT3_T4_T5_T6_T7_T9_mT8_P12ihipStream_tbDpT10_ENKUlT_T0_E_clISt17integral_constantIbLb1EES13_EEDaSY_SZ_EUlSY_E_NS1_11comp_targetILNS1_3genE9ELNS1_11target_archE1100ELNS1_3gpuE3ELNS1_3repE0EEENS1_30default_config_static_selectorELNS0_4arch9wavefront6targetE1EEEvT1_,"axG",@progbits,_ZN7rocprim17ROCPRIM_400000_NS6detail17trampoline_kernelINS0_14default_configENS1_25partition_config_selectorILNS1_17partition_subalgoE0EiNS0_10empty_typeEbEEZZNS1_14partition_implILS5_0ELb0ES3_jN6thrust23THRUST_200600_302600_NS10device_ptrIiEEPS6_SD_NS0_5tupleIJSC_SC_EEENSE_IJSD_SD_EEES6_PlJ7is_evenIiEEEE10hipError_tPvRmT3_T4_T5_T6_T7_T9_mT8_P12ihipStream_tbDpT10_ENKUlT_T0_E_clISt17integral_constantIbLb1EES13_EEDaSY_SZ_EUlSY_E_NS1_11comp_targetILNS1_3genE9ELNS1_11target_archE1100ELNS1_3gpuE3ELNS1_3repE0EEENS1_30default_config_static_selectorELNS0_4arch9wavefront6targetE1EEEvT1_,comdat
.Lfunc_end3708:
	.size	_ZN7rocprim17ROCPRIM_400000_NS6detail17trampoline_kernelINS0_14default_configENS1_25partition_config_selectorILNS1_17partition_subalgoE0EiNS0_10empty_typeEbEEZZNS1_14partition_implILS5_0ELb0ES3_jN6thrust23THRUST_200600_302600_NS10device_ptrIiEEPS6_SD_NS0_5tupleIJSC_SC_EEENSE_IJSD_SD_EEES6_PlJ7is_evenIiEEEE10hipError_tPvRmT3_T4_T5_T6_T7_T9_mT8_P12ihipStream_tbDpT10_ENKUlT_T0_E_clISt17integral_constantIbLb1EES13_EEDaSY_SZ_EUlSY_E_NS1_11comp_targetILNS1_3genE9ELNS1_11target_archE1100ELNS1_3gpuE3ELNS1_3repE0EEENS1_30default_config_static_selectorELNS0_4arch9wavefront6targetE1EEEvT1_, .Lfunc_end3708-_ZN7rocprim17ROCPRIM_400000_NS6detail17trampoline_kernelINS0_14default_configENS1_25partition_config_selectorILNS1_17partition_subalgoE0EiNS0_10empty_typeEbEEZZNS1_14partition_implILS5_0ELb0ES3_jN6thrust23THRUST_200600_302600_NS10device_ptrIiEEPS6_SD_NS0_5tupleIJSC_SC_EEENSE_IJSD_SD_EEES6_PlJ7is_evenIiEEEE10hipError_tPvRmT3_T4_T5_T6_T7_T9_mT8_P12ihipStream_tbDpT10_ENKUlT_T0_E_clISt17integral_constantIbLb1EES13_EEDaSY_SZ_EUlSY_E_NS1_11comp_targetILNS1_3genE9ELNS1_11target_archE1100ELNS1_3gpuE3ELNS1_3repE0EEENS1_30default_config_static_selectorELNS0_4arch9wavefront6targetE1EEEvT1_
                                        ; -- End function
	.section	.AMDGPU.csdata,"",@progbits
; Kernel info:
; codeLenInByte = 0
; NumSgprs: 4
; NumVgprs: 0
; NumAgprs: 0
; TotalNumVgprs: 0
; ScratchSize: 0
; MemoryBound: 0
; FloatMode: 240
; IeeeMode: 1
; LDSByteSize: 0 bytes/workgroup (compile time only)
; SGPRBlocks: 0
; VGPRBlocks: 0
; NumSGPRsForWavesPerEU: 4
; NumVGPRsForWavesPerEU: 1
; AccumOffset: 4
; Occupancy: 8
; WaveLimiterHint : 0
; COMPUTE_PGM_RSRC2:SCRATCH_EN: 0
; COMPUTE_PGM_RSRC2:USER_SGPR: 6
; COMPUTE_PGM_RSRC2:TRAP_HANDLER: 0
; COMPUTE_PGM_RSRC2:TGID_X_EN: 1
; COMPUTE_PGM_RSRC2:TGID_Y_EN: 0
; COMPUTE_PGM_RSRC2:TGID_Z_EN: 0
; COMPUTE_PGM_RSRC2:TIDIG_COMP_CNT: 0
; COMPUTE_PGM_RSRC3_GFX90A:ACCUM_OFFSET: 0
; COMPUTE_PGM_RSRC3_GFX90A:TG_SPLIT: 0
	.section	.text._ZN7rocprim17ROCPRIM_400000_NS6detail17trampoline_kernelINS0_14default_configENS1_25partition_config_selectorILNS1_17partition_subalgoE0EiNS0_10empty_typeEbEEZZNS1_14partition_implILS5_0ELb0ES3_jN6thrust23THRUST_200600_302600_NS10device_ptrIiEEPS6_SD_NS0_5tupleIJSC_SC_EEENSE_IJSD_SD_EEES6_PlJ7is_evenIiEEEE10hipError_tPvRmT3_T4_T5_T6_T7_T9_mT8_P12ihipStream_tbDpT10_ENKUlT_T0_E_clISt17integral_constantIbLb1EES13_EEDaSY_SZ_EUlSY_E_NS1_11comp_targetILNS1_3genE8ELNS1_11target_archE1030ELNS1_3gpuE2ELNS1_3repE0EEENS1_30default_config_static_selectorELNS0_4arch9wavefront6targetE1EEEvT1_,"axG",@progbits,_ZN7rocprim17ROCPRIM_400000_NS6detail17trampoline_kernelINS0_14default_configENS1_25partition_config_selectorILNS1_17partition_subalgoE0EiNS0_10empty_typeEbEEZZNS1_14partition_implILS5_0ELb0ES3_jN6thrust23THRUST_200600_302600_NS10device_ptrIiEEPS6_SD_NS0_5tupleIJSC_SC_EEENSE_IJSD_SD_EEES6_PlJ7is_evenIiEEEE10hipError_tPvRmT3_T4_T5_T6_T7_T9_mT8_P12ihipStream_tbDpT10_ENKUlT_T0_E_clISt17integral_constantIbLb1EES13_EEDaSY_SZ_EUlSY_E_NS1_11comp_targetILNS1_3genE8ELNS1_11target_archE1030ELNS1_3gpuE2ELNS1_3repE0EEENS1_30default_config_static_selectorELNS0_4arch9wavefront6targetE1EEEvT1_,comdat
	.protected	_ZN7rocprim17ROCPRIM_400000_NS6detail17trampoline_kernelINS0_14default_configENS1_25partition_config_selectorILNS1_17partition_subalgoE0EiNS0_10empty_typeEbEEZZNS1_14partition_implILS5_0ELb0ES3_jN6thrust23THRUST_200600_302600_NS10device_ptrIiEEPS6_SD_NS0_5tupleIJSC_SC_EEENSE_IJSD_SD_EEES6_PlJ7is_evenIiEEEE10hipError_tPvRmT3_T4_T5_T6_T7_T9_mT8_P12ihipStream_tbDpT10_ENKUlT_T0_E_clISt17integral_constantIbLb1EES13_EEDaSY_SZ_EUlSY_E_NS1_11comp_targetILNS1_3genE8ELNS1_11target_archE1030ELNS1_3gpuE2ELNS1_3repE0EEENS1_30default_config_static_selectorELNS0_4arch9wavefront6targetE1EEEvT1_ ; -- Begin function _ZN7rocprim17ROCPRIM_400000_NS6detail17trampoline_kernelINS0_14default_configENS1_25partition_config_selectorILNS1_17partition_subalgoE0EiNS0_10empty_typeEbEEZZNS1_14partition_implILS5_0ELb0ES3_jN6thrust23THRUST_200600_302600_NS10device_ptrIiEEPS6_SD_NS0_5tupleIJSC_SC_EEENSE_IJSD_SD_EEES6_PlJ7is_evenIiEEEE10hipError_tPvRmT3_T4_T5_T6_T7_T9_mT8_P12ihipStream_tbDpT10_ENKUlT_T0_E_clISt17integral_constantIbLb1EES13_EEDaSY_SZ_EUlSY_E_NS1_11comp_targetILNS1_3genE8ELNS1_11target_archE1030ELNS1_3gpuE2ELNS1_3repE0EEENS1_30default_config_static_selectorELNS0_4arch9wavefront6targetE1EEEvT1_
	.globl	_ZN7rocprim17ROCPRIM_400000_NS6detail17trampoline_kernelINS0_14default_configENS1_25partition_config_selectorILNS1_17partition_subalgoE0EiNS0_10empty_typeEbEEZZNS1_14partition_implILS5_0ELb0ES3_jN6thrust23THRUST_200600_302600_NS10device_ptrIiEEPS6_SD_NS0_5tupleIJSC_SC_EEENSE_IJSD_SD_EEES6_PlJ7is_evenIiEEEE10hipError_tPvRmT3_T4_T5_T6_T7_T9_mT8_P12ihipStream_tbDpT10_ENKUlT_T0_E_clISt17integral_constantIbLb1EES13_EEDaSY_SZ_EUlSY_E_NS1_11comp_targetILNS1_3genE8ELNS1_11target_archE1030ELNS1_3gpuE2ELNS1_3repE0EEENS1_30default_config_static_selectorELNS0_4arch9wavefront6targetE1EEEvT1_
	.p2align	8
	.type	_ZN7rocprim17ROCPRIM_400000_NS6detail17trampoline_kernelINS0_14default_configENS1_25partition_config_selectorILNS1_17partition_subalgoE0EiNS0_10empty_typeEbEEZZNS1_14partition_implILS5_0ELb0ES3_jN6thrust23THRUST_200600_302600_NS10device_ptrIiEEPS6_SD_NS0_5tupleIJSC_SC_EEENSE_IJSD_SD_EEES6_PlJ7is_evenIiEEEE10hipError_tPvRmT3_T4_T5_T6_T7_T9_mT8_P12ihipStream_tbDpT10_ENKUlT_T0_E_clISt17integral_constantIbLb1EES13_EEDaSY_SZ_EUlSY_E_NS1_11comp_targetILNS1_3genE8ELNS1_11target_archE1030ELNS1_3gpuE2ELNS1_3repE0EEENS1_30default_config_static_selectorELNS0_4arch9wavefront6targetE1EEEvT1_,@function
_ZN7rocprim17ROCPRIM_400000_NS6detail17trampoline_kernelINS0_14default_configENS1_25partition_config_selectorILNS1_17partition_subalgoE0EiNS0_10empty_typeEbEEZZNS1_14partition_implILS5_0ELb0ES3_jN6thrust23THRUST_200600_302600_NS10device_ptrIiEEPS6_SD_NS0_5tupleIJSC_SC_EEENSE_IJSD_SD_EEES6_PlJ7is_evenIiEEEE10hipError_tPvRmT3_T4_T5_T6_T7_T9_mT8_P12ihipStream_tbDpT10_ENKUlT_T0_E_clISt17integral_constantIbLb1EES13_EEDaSY_SZ_EUlSY_E_NS1_11comp_targetILNS1_3genE8ELNS1_11target_archE1030ELNS1_3gpuE2ELNS1_3repE0EEENS1_30default_config_static_selectorELNS0_4arch9wavefront6targetE1EEEvT1_: ; @_ZN7rocprim17ROCPRIM_400000_NS6detail17trampoline_kernelINS0_14default_configENS1_25partition_config_selectorILNS1_17partition_subalgoE0EiNS0_10empty_typeEbEEZZNS1_14partition_implILS5_0ELb0ES3_jN6thrust23THRUST_200600_302600_NS10device_ptrIiEEPS6_SD_NS0_5tupleIJSC_SC_EEENSE_IJSD_SD_EEES6_PlJ7is_evenIiEEEE10hipError_tPvRmT3_T4_T5_T6_T7_T9_mT8_P12ihipStream_tbDpT10_ENKUlT_T0_E_clISt17integral_constantIbLb1EES13_EEDaSY_SZ_EUlSY_E_NS1_11comp_targetILNS1_3genE8ELNS1_11target_archE1030ELNS1_3gpuE2ELNS1_3repE0EEENS1_30default_config_static_selectorELNS0_4arch9wavefront6targetE1EEEvT1_
; %bb.0:
	.section	.rodata,"a",@progbits
	.p2align	6, 0x0
	.amdhsa_kernel _ZN7rocprim17ROCPRIM_400000_NS6detail17trampoline_kernelINS0_14default_configENS1_25partition_config_selectorILNS1_17partition_subalgoE0EiNS0_10empty_typeEbEEZZNS1_14partition_implILS5_0ELb0ES3_jN6thrust23THRUST_200600_302600_NS10device_ptrIiEEPS6_SD_NS0_5tupleIJSC_SC_EEENSE_IJSD_SD_EEES6_PlJ7is_evenIiEEEE10hipError_tPvRmT3_T4_T5_T6_T7_T9_mT8_P12ihipStream_tbDpT10_ENKUlT_T0_E_clISt17integral_constantIbLb1EES13_EEDaSY_SZ_EUlSY_E_NS1_11comp_targetILNS1_3genE8ELNS1_11target_archE1030ELNS1_3gpuE2ELNS1_3repE0EEENS1_30default_config_static_selectorELNS0_4arch9wavefront6targetE1EEEvT1_
		.amdhsa_group_segment_fixed_size 0
		.amdhsa_private_segment_fixed_size 0
		.amdhsa_kernarg_size 136
		.amdhsa_user_sgpr_count 6
		.amdhsa_user_sgpr_private_segment_buffer 1
		.amdhsa_user_sgpr_dispatch_ptr 0
		.amdhsa_user_sgpr_queue_ptr 0
		.amdhsa_user_sgpr_kernarg_segment_ptr 1
		.amdhsa_user_sgpr_dispatch_id 0
		.amdhsa_user_sgpr_flat_scratch_init 0
		.amdhsa_user_sgpr_kernarg_preload_length 0
		.amdhsa_user_sgpr_kernarg_preload_offset 0
		.amdhsa_user_sgpr_private_segment_size 0
		.amdhsa_uses_dynamic_stack 0
		.amdhsa_system_sgpr_private_segment_wavefront_offset 0
		.amdhsa_system_sgpr_workgroup_id_x 1
		.amdhsa_system_sgpr_workgroup_id_y 0
		.amdhsa_system_sgpr_workgroup_id_z 0
		.amdhsa_system_sgpr_workgroup_info 0
		.amdhsa_system_vgpr_workitem_id 0
		.amdhsa_next_free_vgpr 1
		.amdhsa_next_free_sgpr 0
		.amdhsa_accum_offset 4
		.amdhsa_reserve_vcc 0
		.amdhsa_reserve_flat_scratch 0
		.amdhsa_float_round_mode_32 0
		.amdhsa_float_round_mode_16_64 0
		.amdhsa_float_denorm_mode_32 3
		.amdhsa_float_denorm_mode_16_64 3
		.amdhsa_dx10_clamp 1
		.amdhsa_ieee_mode 1
		.amdhsa_fp16_overflow 0
		.amdhsa_tg_split 0
		.amdhsa_exception_fp_ieee_invalid_op 0
		.amdhsa_exception_fp_denorm_src 0
		.amdhsa_exception_fp_ieee_div_zero 0
		.amdhsa_exception_fp_ieee_overflow 0
		.amdhsa_exception_fp_ieee_underflow 0
		.amdhsa_exception_fp_ieee_inexact 0
		.amdhsa_exception_int_div_zero 0
	.end_amdhsa_kernel
	.section	.text._ZN7rocprim17ROCPRIM_400000_NS6detail17trampoline_kernelINS0_14default_configENS1_25partition_config_selectorILNS1_17partition_subalgoE0EiNS0_10empty_typeEbEEZZNS1_14partition_implILS5_0ELb0ES3_jN6thrust23THRUST_200600_302600_NS10device_ptrIiEEPS6_SD_NS0_5tupleIJSC_SC_EEENSE_IJSD_SD_EEES6_PlJ7is_evenIiEEEE10hipError_tPvRmT3_T4_T5_T6_T7_T9_mT8_P12ihipStream_tbDpT10_ENKUlT_T0_E_clISt17integral_constantIbLb1EES13_EEDaSY_SZ_EUlSY_E_NS1_11comp_targetILNS1_3genE8ELNS1_11target_archE1030ELNS1_3gpuE2ELNS1_3repE0EEENS1_30default_config_static_selectorELNS0_4arch9wavefront6targetE1EEEvT1_,"axG",@progbits,_ZN7rocprim17ROCPRIM_400000_NS6detail17trampoline_kernelINS0_14default_configENS1_25partition_config_selectorILNS1_17partition_subalgoE0EiNS0_10empty_typeEbEEZZNS1_14partition_implILS5_0ELb0ES3_jN6thrust23THRUST_200600_302600_NS10device_ptrIiEEPS6_SD_NS0_5tupleIJSC_SC_EEENSE_IJSD_SD_EEES6_PlJ7is_evenIiEEEE10hipError_tPvRmT3_T4_T5_T6_T7_T9_mT8_P12ihipStream_tbDpT10_ENKUlT_T0_E_clISt17integral_constantIbLb1EES13_EEDaSY_SZ_EUlSY_E_NS1_11comp_targetILNS1_3genE8ELNS1_11target_archE1030ELNS1_3gpuE2ELNS1_3repE0EEENS1_30default_config_static_selectorELNS0_4arch9wavefront6targetE1EEEvT1_,comdat
.Lfunc_end3709:
	.size	_ZN7rocprim17ROCPRIM_400000_NS6detail17trampoline_kernelINS0_14default_configENS1_25partition_config_selectorILNS1_17partition_subalgoE0EiNS0_10empty_typeEbEEZZNS1_14partition_implILS5_0ELb0ES3_jN6thrust23THRUST_200600_302600_NS10device_ptrIiEEPS6_SD_NS0_5tupleIJSC_SC_EEENSE_IJSD_SD_EEES6_PlJ7is_evenIiEEEE10hipError_tPvRmT3_T4_T5_T6_T7_T9_mT8_P12ihipStream_tbDpT10_ENKUlT_T0_E_clISt17integral_constantIbLb1EES13_EEDaSY_SZ_EUlSY_E_NS1_11comp_targetILNS1_3genE8ELNS1_11target_archE1030ELNS1_3gpuE2ELNS1_3repE0EEENS1_30default_config_static_selectorELNS0_4arch9wavefront6targetE1EEEvT1_, .Lfunc_end3709-_ZN7rocprim17ROCPRIM_400000_NS6detail17trampoline_kernelINS0_14default_configENS1_25partition_config_selectorILNS1_17partition_subalgoE0EiNS0_10empty_typeEbEEZZNS1_14partition_implILS5_0ELb0ES3_jN6thrust23THRUST_200600_302600_NS10device_ptrIiEEPS6_SD_NS0_5tupleIJSC_SC_EEENSE_IJSD_SD_EEES6_PlJ7is_evenIiEEEE10hipError_tPvRmT3_T4_T5_T6_T7_T9_mT8_P12ihipStream_tbDpT10_ENKUlT_T0_E_clISt17integral_constantIbLb1EES13_EEDaSY_SZ_EUlSY_E_NS1_11comp_targetILNS1_3genE8ELNS1_11target_archE1030ELNS1_3gpuE2ELNS1_3repE0EEENS1_30default_config_static_selectorELNS0_4arch9wavefront6targetE1EEEvT1_
                                        ; -- End function
	.section	.AMDGPU.csdata,"",@progbits
; Kernel info:
; codeLenInByte = 0
; NumSgprs: 4
; NumVgprs: 0
; NumAgprs: 0
; TotalNumVgprs: 0
; ScratchSize: 0
; MemoryBound: 0
; FloatMode: 240
; IeeeMode: 1
; LDSByteSize: 0 bytes/workgroup (compile time only)
; SGPRBlocks: 0
; VGPRBlocks: 0
; NumSGPRsForWavesPerEU: 4
; NumVGPRsForWavesPerEU: 1
; AccumOffset: 4
; Occupancy: 8
; WaveLimiterHint : 0
; COMPUTE_PGM_RSRC2:SCRATCH_EN: 0
; COMPUTE_PGM_RSRC2:USER_SGPR: 6
; COMPUTE_PGM_RSRC2:TRAP_HANDLER: 0
; COMPUTE_PGM_RSRC2:TGID_X_EN: 1
; COMPUTE_PGM_RSRC2:TGID_Y_EN: 0
; COMPUTE_PGM_RSRC2:TGID_Z_EN: 0
; COMPUTE_PGM_RSRC2:TIDIG_COMP_CNT: 0
; COMPUTE_PGM_RSRC3_GFX90A:ACCUM_OFFSET: 0
; COMPUTE_PGM_RSRC3_GFX90A:TG_SPLIT: 0
	.section	.text._ZN7rocprim17ROCPRIM_400000_NS6detail17trampoline_kernelINS0_14default_configENS1_25partition_config_selectorILNS1_17partition_subalgoE0EiNS0_10empty_typeEbEEZZNS1_14partition_implILS5_0ELb0ES3_jN6thrust23THRUST_200600_302600_NS10device_ptrIiEEPS6_SD_NS0_5tupleIJSC_SC_EEENSE_IJSD_SD_EEES6_PlJ7is_evenIiEEEE10hipError_tPvRmT3_T4_T5_T6_T7_T9_mT8_P12ihipStream_tbDpT10_ENKUlT_T0_E_clISt17integral_constantIbLb1EES12_IbLb0EEEEDaSY_SZ_EUlSY_E_NS1_11comp_targetILNS1_3genE0ELNS1_11target_archE4294967295ELNS1_3gpuE0ELNS1_3repE0EEENS1_30default_config_static_selectorELNS0_4arch9wavefront6targetE1EEEvT1_,"axG",@progbits,_ZN7rocprim17ROCPRIM_400000_NS6detail17trampoline_kernelINS0_14default_configENS1_25partition_config_selectorILNS1_17partition_subalgoE0EiNS0_10empty_typeEbEEZZNS1_14partition_implILS5_0ELb0ES3_jN6thrust23THRUST_200600_302600_NS10device_ptrIiEEPS6_SD_NS0_5tupleIJSC_SC_EEENSE_IJSD_SD_EEES6_PlJ7is_evenIiEEEE10hipError_tPvRmT3_T4_T5_T6_T7_T9_mT8_P12ihipStream_tbDpT10_ENKUlT_T0_E_clISt17integral_constantIbLb1EES12_IbLb0EEEEDaSY_SZ_EUlSY_E_NS1_11comp_targetILNS1_3genE0ELNS1_11target_archE4294967295ELNS1_3gpuE0ELNS1_3repE0EEENS1_30default_config_static_selectorELNS0_4arch9wavefront6targetE1EEEvT1_,comdat
	.protected	_ZN7rocprim17ROCPRIM_400000_NS6detail17trampoline_kernelINS0_14default_configENS1_25partition_config_selectorILNS1_17partition_subalgoE0EiNS0_10empty_typeEbEEZZNS1_14partition_implILS5_0ELb0ES3_jN6thrust23THRUST_200600_302600_NS10device_ptrIiEEPS6_SD_NS0_5tupleIJSC_SC_EEENSE_IJSD_SD_EEES6_PlJ7is_evenIiEEEE10hipError_tPvRmT3_T4_T5_T6_T7_T9_mT8_P12ihipStream_tbDpT10_ENKUlT_T0_E_clISt17integral_constantIbLb1EES12_IbLb0EEEEDaSY_SZ_EUlSY_E_NS1_11comp_targetILNS1_3genE0ELNS1_11target_archE4294967295ELNS1_3gpuE0ELNS1_3repE0EEENS1_30default_config_static_selectorELNS0_4arch9wavefront6targetE1EEEvT1_ ; -- Begin function _ZN7rocprim17ROCPRIM_400000_NS6detail17trampoline_kernelINS0_14default_configENS1_25partition_config_selectorILNS1_17partition_subalgoE0EiNS0_10empty_typeEbEEZZNS1_14partition_implILS5_0ELb0ES3_jN6thrust23THRUST_200600_302600_NS10device_ptrIiEEPS6_SD_NS0_5tupleIJSC_SC_EEENSE_IJSD_SD_EEES6_PlJ7is_evenIiEEEE10hipError_tPvRmT3_T4_T5_T6_T7_T9_mT8_P12ihipStream_tbDpT10_ENKUlT_T0_E_clISt17integral_constantIbLb1EES12_IbLb0EEEEDaSY_SZ_EUlSY_E_NS1_11comp_targetILNS1_3genE0ELNS1_11target_archE4294967295ELNS1_3gpuE0ELNS1_3repE0EEENS1_30default_config_static_selectorELNS0_4arch9wavefront6targetE1EEEvT1_
	.globl	_ZN7rocprim17ROCPRIM_400000_NS6detail17trampoline_kernelINS0_14default_configENS1_25partition_config_selectorILNS1_17partition_subalgoE0EiNS0_10empty_typeEbEEZZNS1_14partition_implILS5_0ELb0ES3_jN6thrust23THRUST_200600_302600_NS10device_ptrIiEEPS6_SD_NS0_5tupleIJSC_SC_EEENSE_IJSD_SD_EEES6_PlJ7is_evenIiEEEE10hipError_tPvRmT3_T4_T5_T6_T7_T9_mT8_P12ihipStream_tbDpT10_ENKUlT_T0_E_clISt17integral_constantIbLb1EES12_IbLb0EEEEDaSY_SZ_EUlSY_E_NS1_11comp_targetILNS1_3genE0ELNS1_11target_archE4294967295ELNS1_3gpuE0ELNS1_3repE0EEENS1_30default_config_static_selectorELNS0_4arch9wavefront6targetE1EEEvT1_
	.p2align	8
	.type	_ZN7rocprim17ROCPRIM_400000_NS6detail17trampoline_kernelINS0_14default_configENS1_25partition_config_selectorILNS1_17partition_subalgoE0EiNS0_10empty_typeEbEEZZNS1_14partition_implILS5_0ELb0ES3_jN6thrust23THRUST_200600_302600_NS10device_ptrIiEEPS6_SD_NS0_5tupleIJSC_SC_EEENSE_IJSD_SD_EEES6_PlJ7is_evenIiEEEE10hipError_tPvRmT3_T4_T5_T6_T7_T9_mT8_P12ihipStream_tbDpT10_ENKUlT_T0_E_clISt17integral_constantIbLb1EES12_IbLb0EEEEDaSY_SZ_EUlSY_E_NS1_11comp_targetILNS1_3genE0ELNS1_11target_archE4294967295ELNS1_3gpuE0ELNS1_3repE0EEENS1_30default_config_static_selectorELNS0_4arch9wavefront6targetE1EEEvT1_,@function
_ZN7rocprim17ROCPRIM_400000_NS6detail17trampoline_kernelINS0_14default_configENS1_25partition_config_selectorILNS1_17partition_subalgoE0EiNS0_10empty_typeEbEEZZNS1_14partition_implILS5_0ELb0ES3_jN6thrust23THRUST_200600_302600_NS10device_ptrIiEEPS6_SD_NS0_5tupleIJSC_SC_EEENSE_IJSD_SD_EEES6_PlJ7is_evenIiEEEE10hipError_tPvRmT3_T4_T5_T6_T7_T9_mT8_P12ihipStream_tbDpT10_ENKUlT_T0_E_clISt17integral_constantIbLb1EES12_IbLb0EEEEDaSY_SZ_EUlSY_E_NS1_11comp_targetILNS1_3genE0ELNS1_11target_archE4294967295ELNS1_3gpuE0ELNS1_3repE0EEENS1_30default_config_static_selectorELNS0_4arch9wavefront6targetE1EEEvT1_: ; @_ZN7rocprim17ROCPRIM_400000_NS6detail17trampoline_kernelINS0_14default_configENS1_25partition_config_selectorILNS1_17partition_subalgoE0EiNS0_10empty_typeEbEEZZNS1_14partition_implILS5_0ELb0ES3_jN6thrust23THRUST_200600_302600_NS10device_ptrIiEEPS6_SD_NS0_5tupleIJSC_SC_EEENSE_IJSD_SD_EEES6_PlJ7is_evenIiEEEE10hipError_tPvRmT3_T4_T5_T6_T7_T9_mT8_P12ihipStream_tbDpT10_ENKUlT_T0_E_clISt17integral_constantIbLb1EES12_IbLb0EEEEDaSY_SZ_EUlSY_E_NS1_11comp_targetILNS1_3genE0ELNS1_11target_archE4294967295ELNS1_3gpuE0ELNS1_3repE0EEENS1_30default_config_static_selectorELNS0_4arch9wavefront6targetE1EEEvT1_
; %bb.0:
	.section	.rodata,"a",@progbits
	.p2align	6, 0x0
	.amdhsa_kernel _ZN7rocprim17ROCPRIM_400000_NS6detail17trampoline_kernelINS0_14default_configENS1_25partition_config_selectorILNS1_17partition_subalgoE0EiNS0_10empty_typeEbEEZZNS1_14partition_implILS5_0ELb0ES3_jN6thrust23THRUST_200600_302600_NS10device_ptrIiEEPS6_SD_NS0_5tupleIJSC_SC_EEENSE_IJSD_SD_EEES6_PlJ7is_evenIiEEEE10hipError_tPvRmT3_T4_T5_T6_T7_T9_mT8_P12ihipStream_tbDpT10_ENKUlT_T0_E_clISt17integral_constantIbLb1EES12_IbLb0EEEEDaSY_SZ_EUlSY_E_NS1_11comp_targetILNS1_3genE0ELNS1_11target_archE4294967295ELNS1_3gpuE0ELNS1_3repE0EEENS1_30default_config_static_selectorELNS0_4arch9wavefront6targetE1EEEvT1_
		.amdhsa_group_segment_fixed_size 0
		.amdhsa_private_segment_fixed_size 0
		.amdhsa_kernarg_size 120
		.amdhsa_user_sgpr_count 6
		.amdhsa_user_sgpr_private_segment_buffer 1
		.amdhsa_user_sgpr_dispatch_ptr 0
		.amdhsa_user_sgpr_queue_ptr 0
		.amdhsa_user_sgpr_kernarg_segment_ptr 1
		.amdhsa_user_sgpr_dispatch_id 0
		.amdhsa_user_sgpr_flat_scratch_init 0
		.amdhsa_user_sgpr_kernarg_preload_length 0
		.amdhsa_user_sgpr_kernarg_preload_offset 0
		.amdhsa_user_sgpr_private_segment_size 0
		.amdhsa_uses_dynamic_stack 0
		.amdhsa_system_sgpr_private_segment_wavefront_offset 0
		.amdhsa_system_sgpr_workgroup_id_x 1
		.amdhsa_system_sgpr_workgroup_id_y 0
		.amdhsa_system_sgpr_workgroup_id_z 0
		.amdhsa_system_sgpr_workgroup_info 0
		.amdhsa_system_vgpr_workitem_id 0
		.amdhsa_next_free_vgpr 1
		.amdhsa_next_free_sgpr 0
		.amdhsa_accum_offset 4
		.amdhsa_reserve_vcc 0
		.amdhsa_reserve_flat_scratch 0
		.amdhsa_float_round_mode_32 0
		.amdhsa_float_round_mode_16_64 0
		.amdhsa_float_denorm_mode_32 3
		.amdhsa_float_denorm_mode_16_64 3
		.amdhsa_dx10_clamp 1
		.amdhsa_ieee_mode 1
		.amdhsa_fp16_overflow 0
		.amdhsa_tg_split 0
		.amdhsa_exception_fp_ieee_invalid_op 0
		.amdhsa_exception_fp_denorm_src 0
		.amdhsa_exception_fp_ieee_div_zero 0
		.amdhsa_exception_fp_ieee_overflow 0
		.amdhsa_exception_fp_ieee_underflow 0
		.amdhsa_exception_fp_ieee_inexact 0
		.amdhsa_exception_int_div_zero 0
	.end_amdhsa_kernel
	.section	.text._ZN7rocprim17ROCPRIM_400000_NS6detail17trampoline_kernelINS0_14default_configENS1_25partition_config_selectorILNS1_17partition_subalgoE0EiNS0_10empty_typeEbEEZZNS1_14partition_implILS5_0ELb0ES3_jN6thrust23THRUST_200600_302600_NS10device_ptrIiEEPS6_SD_NS0_5tupleIJSC_SC_EEENSE_IJSD_SD_EEES6_PlJ7is_evenIiEEEE10hipError_tPvRmT3_T4_T5_T6_T7_T9_mT8_P12ihipStream_tbDpT10_ENKUlT_T0_E_clISt17integral_constantIbLb1EES12_IbLb0EEEEDaSY_SZ_EUlSY_E_NS1_11comp_targetILNS1_3genE0ELNS1_11target_archE4294967295ELNS1_3gpuE0ELNS1_3repE0EEENS1_30default_config_static_selectorELNS0_4arch9wavefront6targetE1EEEvT1_,"axG",@progbits,_ZN7rocprim17ROCPRIM_400000_NS6detail17trampoline_kernelINS0_14default_configENS1_25partition_config_selectorILNS1_17partition_subalgoE0EiNS0_10empty_typeEbEEZZNS1_14partition_implILS5_0ELb0ES3_jN6thrust23THRUST_200600_302600_NS10device_ptrIiEEPS6_SD_NS0_5tupleIJSC_SC_EEENSE_IJSD_SD_EEES6_PlJ7is_evenIiEEEE10hipError_tPvRmT3_T4_T5_T6_T7_T9_mT8_P12ihipStream_tbDpT10_ENKUlT_T0_E_clISt17integral_constantIbLb1EES12_IbLb0EEEEDaSY_SZ_EUlSY_E_NS1_11comp_targetILNS1_3genE0ELNS1_11target_archE4294967295ELNS1_3gpuE0ELNS1_3repE0EEENS1_30default_config_static_selectorELNS0_4arch9wavefront6targetE1EEEvT1_,comdat
.Lfunc_end3710:
	.size	_ZN7rocprim17ROCPRIM_400000_NS6detail17trampoline_kernelINS0_14default_configENS1_25partition_config_selectorILNS1_17partition_subalgoE0EiNS0_10empty_typeEbEEZZNS1_14partition_implILS5_0ELb0ES3_jN6thrust23THRUST_200600_302600_NS10device_ptrIiEEPS6_SD_NS0_5tupleIJSC_SC_EEENSE_IJSD_SD_EEES6_PlJ7is_evenIiEEEE10hipError_tPvRmT3_T4_T5_T6_T7_T9_mT8_P12ihipStream_tbDpT10_ENKUlT_T0_E_clISt17integral_constantIbLb1EES12_IbLb0EEEEDaSY_SZ_EUlSY_E_NS1_11comp_targetILNS1_3genE0ELNS1_11target_archE4294967295ELNS1_3gpuE0ELNS1_3repE0EEENS1_30default_config_static_selectorELNS0_4arch9wavefront6targetE1EEEvT1_, .Lfunc_end3710-_ZN7rocprim17ROCPRIM_400000_NS6detail17trampoline_kernelINS0_14default_configENS1_25partition_config_selectorILNS1_17partition_subalgoE0EiNS0_10empty_typeEbEEZZNS1_14partition_implILS5_0ELb0ES3_jN6thrust23THRUST_200600_302600_NS10device_ptrIiEEPS6_SD_NS0_5tupleIJSC_SC_EEENSE_IJSD_SD_EEES6_PlJ7is_evenIiEEEE10hipError_tPvRmT3_T4_T5_T6_T7_T9_mT8_P12ihipStream_tbDpT10_ENKUlT_T0_E_clISt17integral_constantIbLb1EES12_IbLb0EEEEDaSY_SZ_EUlSY_E_NS1_11comp_targetILNS1_3genE0ELNS1_11target_archE4294967295ELNS1_3gpuE0ELNS1_3repE0EEENS1_30default_config_static_selectorELNS0_4arch9wavefront6targetE1EEEvT1_
                                        ; -- End function
	.section	.AMDGPU.csdata,"",@progbits
; Kernel info:
; codeLenInByte = 0
; NumSgprs: 4
; NumVgprs: 0
; NumAgprs: 0
; TotalNumVgprs: 0
; ScratchSize: 0
; MemoryBound: 0
; FloatMode: 240
; IeeeMode: 1
; LDSByteSize: 0 bytes/workgroup (compile time only)
; SGPRBlocks: 0
; VGPRBlocks: 0
; NumSGPRsForWavesPerEU: 4
; NumVGPRsForWavesPerEU: 1
; AccumOffset: 4
; Occupancy: 8
; WaveLimiterHint : 0
; COMPUTE_PGM_RSRC2:SCRATCH_EN: 0
; COMPUTE_PGM_RSRC2:USER_SGPR: 6
; COMPUTE_PGM_RSRC2:TRAP_HANDLER: 0
; COMPUTE_PGM_RSRC2:TGID_X_EN: 1
; COMPUTE_PGM_RSRC2:TGID_Y_EN: 0
; COMPUTE_PGM_RSRC2:TGID_Z_EN: 0
; COMPUTE_PGM_RSRC2:TIDIG_COMP_CNT: 0
; COMPUTE_PGM_RSRC3_GFX90A:ACCUM_OFFSET: 0
; COMPUTE_PGM_RSRC3_GFX90A:TG_SPLIT: 0
	.section	.text._ZN7rocprim17ROCPRIM_400000_NS6detail17trampoline_kernelINS0_14default_configENS1_25partition_config_selectorILNS1_17partition_subalgoE0EiNS0_10empty_typeEbEEZZNS1_14partition_implILS5_0ELb0ES3_jN6thrust23THRUST_200600_302600_NS10device_ptrIiEEPS6_SD_NS0_5tupleIJSC_SC_EEENSE_IJSD_SD_EEES6_PlJ7is_evenIiEEEE10hipError_tPvRmT3_T4_T5_T6_T7_T9_mT8_P12ihipStream_tbDpT10_ENKUlT_T0_E_clISt17integral_constantIbLb1EES12_IbLb0EEEEDaSY_SZ_EUlSY_E_NS1_11comp_targetILNS1_3genE5ELNS1_11target_archE942ELNS1_3gpuE9ELNS1_3repE0EEENS1_30default_config_static_selectorELNS0_4arch9wavefront6targetE1EEEvT1_,"axG",@progbits,_ZN7rocprim17ROCPRIM_400000_NS6detail17trampoline_kernelINS0_14default_configENS1_25partition_config_selectorILNS1_17partition_subalgoE0EiNS0_10empty_typeEbEEZZNS1_14partition_implILS5_0ELb0ES3_jN6thrust23THRUST_200600_302600_NS10device_ptrIiEEPS6_SD_NS0_5tupleIJSC_SC_EEENSE_IJSD_SD_EEES6_PlJ7is_evenIiEEEE10hipError_tPvRmT3_T4_T5_T6_T7_T9_mT8_P12ihipStream_tbDpT10_ENKUlT_T0_E_clISt17integral_constantIbLb1EES12_IbLb0EEEEDaSY_SZ_EUlSY_E_NS1_11comp_targetILNS1_3genE5ELNS1_11target_archE942ELNS1_3gpuE9ELNS1_3repE0EEENS1_30default_config_static_selectorELNS0_4arch9wavefront6targetE1EEEvT1_,comdat
	.protected	_ZN7rocprim17ROCPRIM_400000_NS6detail17trampoline_kernelINS0_14default_configENS1_25partition_config_selectorILNS1_17partition_subalgoE0EiNS0_10empty_typeEbEEZZNS1_14partition_implILS5_0ELb0ES3_jN6thrust23THRUST_200600_302600_NS10device_ptrIiEEPS6_SD_NS0_5tupleIJSC_SC_EEENSE_IJSD_SD_EEES6_PlJ7is_evenIiEEEE10hipError_tPvRmT3_T4_T5_T6_T7_T9_mT8_P12ihipStream_tbDpT10_ENKUlT_T0_E_clISt17integral_constantIbLb1EES12_IbLb0EEEEDaSY_SZ_EUlSY_E_NS1_11comp_targetILNS1_3genE5ELNS1_11target_archE942ELNS1_3gpuE9ELNS1_3repE0EEENS1_30default_config_static_selectorELNS0_4arch9wavefront6targetE1EEEvT1_ ; -- Begin function _ZN7rocprim17ROCPRIM_400000_NS6detail17trampoline_kernelINS0_14default_configENS1_25partition_config_selectorILNS1_17partition_subalgoE0EiNS0_10empty_typeEbEEZZNS1_14partition_implILS5_0ELb0ES3_jN6thrust23THRUST_200600_302600_NS10device_ptrIiEEPS6_SD_NS0_5tupleIJSC_SC_EEENSE_IJSD_SD_EEES6_PlJ7is_evenIiEEEE10hipError_tPvRmT3_T4_T5_T6_T7_T9_mT8_P12ihipStream_tbDpT10_ENKUlT_T0_E_clISt17integral_constantIbLb1EES12_IbLb0EEEEDaSY_SZ_EUlSY_E_NS1_11comp_targetILNS1_3genE5ELNS1_11target_archE942ELNS1_3gpuE9ELNS1_3repE0EEENS1_30default_config_static_selectorELNS0_4arch9wavefront6targetE1EEEvT1_
	.globl	_ZN7rocprim17ROCPRIM_400000_NS6detail17trampoline_kernelINS0_14default_configENS1_25partition_config_selectorILNS1_17partition_subalgoE0EiNS0_10empty_typeEbEEZZNS1_14partition_implILS5_0ELb0ES3_jN6thrust23THRUST_200600_302600_NS10device_ptrIiEEPS6_SD_NS0_5tupleIJSC_SC_EEENSE_IJSD_SD_EEES6_PlJ7is_evenIiEEEE10hipError_tPvRmT3_T4_T5_T6_T7_T9_mT8_P12ihipStream_tbDpT10_ENKUlT_T0_E_clISt17integral_constantIbLb1EES12_IbLb0EEEEDaSY_SZ_EUlSY_E_NS1_11comp_targetILNS1_3genE5ELNS1_11target_archE942ELNS1_3gpuE9ELNS1_3repE0EEENS1_30default_config_static_selectorELNS0_4arch9wavefront6targetE1EEEvT1_
	.p2align	8
	.type	_ZN7rocprim17ROCPRIM_400000_NS6detail17trampoline_kernelINS0_14default_configENS1_25partition_config_selectorILNS1_17partition_subalgoE0EiNS0_10empty_typeEbEEZZNS1_14partition_implILS5_0ELb0ES3_jN6thrust23THRUST_200600_302600_NS10device_ptrIiEEPS6_SD_NS0_5tupleIJSC_SC_EEENSE_IJSD_SD_EEES6_PlJ7is_evenIiEEEE10hipError_tPvRmT3_T4_T5_T6_T7_T9_mT8_P12ihipStream_tbDpT10_ENKUlT_T0_E_clISt17integral_constantIbLb1EES12_IbLb0EEEEDaSY_SZ_EUlSY_E_NS1_11comp_targetILNS1_3genE5ELNS1_11target_archE942ELNS1_3gpuE9ELNS1_3repE0EEENS1_30default_config_static_selectorELNS0_4arch9wavefront6targetE1EEEvT1_,@function
_ZN7rocprim17ROCPRIM_400000_NS6detail17trampoline_kernelINS0_14default_configENS1_25partition_config_selectorILNS1_17partition_subalgoE0EiNS0_10empty_typeEbEEZZNS1_14partition_implILS5_0ELb0ES3_jN6thrust23THRUST_200600_302600_NS10device_ptrIiEEPS6_SD_NS0_5tupleIJSC_SC_EEENSE_IJSD_SD_EEES6_PlJ7is_evenIiEEEE10hipError_tPvRmT3_T4_T5_T6_T7_T9_mT8_P12ihipStream_tbDpT10_ENKUlT_T0_E_clISt17integral_constantIbLb1EES12_IbLb0EEEEDaSY_SZ_EUlSY_E_NS1_11comp_targetILNS1_3genE5ELNS1_11target_archE942ELNS1_3gpuE9ELNS1_3repE0EEENS1_30default_config_static_selectorELNS0_4arch9wavefront6targetE1EEEvT1_: ; @_ZN7rocprim17ROCPRIM_400000_NS6detail17trampoline_kernelINS0_14default_configENS1_25partition_config_selectorILNS1_17partition_subalgoE0EiNS0_10empty_typeEbEEZZNS1_14partition_implILS5_0ELb0ES3_jN6thrust23THRUST_200600_302600_NS10device_ptrIiEEPS6_SD_NS0_5tupleIJSC_SC_EEENSE_IJSD_SD_EEES6_PlJ7is_evenIiEEEE10hipError_tPvRmT3_T4_T5_T6_T7_T9_mT8_P12ihipStream_tbDpT10_ENKUlT_T0_E_clISt17integral_constantIbLb1EES12_IbLb0EEEEDaSY_SZ_EUlSY_E_NS1_11comp_targetILNS1_3genE5ELNS1_11target_archE942ELNS1_3gpuE9ELNS1_3repE0EEENS1_30default_config_static_selectorELNS0_4arch9wavefront6targetE1EEEvT1_
; %bb.0:
	.section	.rodata,"a",@progbits
	.p2align	6, 0x0
	.amdhsa_kernel _ZN7rocprim17ROCPRIM_400000_NS6detail17trampoline_kernelINS0_14default_configENS1_25partition_config_selectorILNS1_17partition_subalgoE0EiNS0_10empty_typeEbEEZZNS1_14partition_implILS5_0ELb0ES3_jN6thrust23THRUST_200600_302600_NS10device_ptrIiEEPS6_SD_NS0_5tupleIJSC_SC_EEENSE_IJSD_SD_EEES6_PlJ7is_evenIiEEEE10hipError_tPvRmT3_T4_T5_T6_T7_T9_mT8_P12ihipStream_tbDpT10_ENKUlT_T0_E_clISt17integral_constantIbLb1EES12_IbLb0EEEEDaSY_SZ_EUlSY_E_NS1_11comp_targetILNS1_3genE5ELNS1_11target_archE942ELNS1_3gpuE9ELNS1_3repE0EEENS1_30default_config_static_selectorELNS0_4arch9wavefront6targetE1EEEvT1_
		.amdhsa_group_segment_fixed_size 0
		.amdhsa_private_segment_fixed_size 0
		.amdhsa_kernarg_size 120
		.amdhsa_user_sgpr_count 6
		.amdhsa_user_sgpr_private_segment_buffer 1
		.amdhsa_user_sgpr_dispatch_ptr 0
		.amdhsa_user_sgpr_queue_ptr 0
		.amdhsa_user_sgpr_kernarg_segment_ptr 1
		.amdhsa_user_sgpr_dispatch_id 0
		.amdhsa_user_sgpr_flat_scratch_init 0
		.amdhsa_user_sgpr_kernarg_preload_length 0
		.amdhsa_user_sgpr_kernarg_preload_offset 0
		.amdhsa_user_sgpr_private_segment_size 0
		.amdhsa_uses_dynamic_stack 0
		.amdhsa_system_sgpr_private_segment_wavefront_offset 0
		.amdhsa_system_sgpr_workgroup_id_x 1
		.amdhsa_system_sgpr_workgroup_id_y 0
		.amdhsa_system_sgpr_workgroup_id_z 0
		.amdhsa_system_sgpr_workgroup_info 0
		.amdhsa_system_vgpr_workitem_id 0
		.amdhsa_next_free_vgpr 1
		.amdhsa_next_free_sgpr 0
		.amdhsa_accum_offset 4
		.amdhsa_reserve_vcc 0
		.amdhsa_reserve_flat_scratch 0
		.amdhsa_float_round_mode_32 0
		.amdhsa_float_round_mode_16_64 0
		.amdhsa_float_denorm_mode_32 3
		.amdhsa_float_denorm_mode_16_64 3
		.amdhsa_dx10_clamp 1
		.amdhsa_ieee_mode 1
		.amdhsa_fp16_overflow 0
		.amdhsa_tg_split 0
		.amdhsa_exception_fp_ieee_invalid_op 0
		.amdhsa_exception_fp_denorm_src 0
		.amdhsa_exception_fp_ieee_div_zero 0
		.amdhsa_exception_fp_ieee_overflow 0
		.amdhsa_exception_fp_ieee_underflow 0
		.amdhsa_exception_fp_ieee_inexact 0
		.amdhsa_exception_int_div_zero 0
	.end_amdhsa_kernel
	.section	.text._ZN7rocprim17ROCPRIM_400000_NS6detail17trampoline_kernelINS0_14default_configENS1_25partition_config_selectorILNS1_17partition_subalgoE0EiNS0_10empty_typeEbEEZZNS1_14partition_implILS5_0ELb0ES3_jN6thrust23THRUST_200600_302600_NS10device_ptrIiEEPS6_SD_NS0_5tupleIJSC_SC_EEENSE_IJSD_SD_EEES6_PlJ7is_evenIiEEEE10hipError_tPvRmT3_T4_T5_T6_T7_T9_mT8_P12ihipStream_tbDpT10_ENKUlT_T0_E_clISt17integral_constantIbLb1EES12_IbLb0EEEEDaSY_SZ_EUlSY_E_NS1_11comp_targetILNS1_3genE5ELNS1_11target_archE942ELNS1_3gpuE9ELNS1_3repE0EEENS1_30default_config_static_selectorELNS0_4arch9wavefront6targetE1EEEvT1_,"axG",@progbits,_ZN7rocprim17ROCPRIM_400000_NS6detail17trampoline_kernelINS0_14default_configENS1_25partition_config_selectorILNS1_17partition_subalgoE0EiNS0_10empty_typeEbEEZZNS1_14partition_implILS5_0ELb0ES3_jN6thrust23THRUST_200600_302600_NS10device_ptrIiEEPS6_SD_NS0_5tupleIJSC_SC_EEENSE_IJSD_SD_EEES6_PlJ7is_evenIiEEEE10hipError_tPvRmT3_T4_T5_T6_T7_T9_mT8_P12ihipStream_tbDpT10_ENKUlT_T0_E_clISt17integral_constantIbLb1EES12_IbLb0EEEEDaSY_SZ_EUlSY_E_NS1_11comp_targetILNS1_3genE5ELNS1_11target_archE942ELNS1_3gpuE9ELNS1_3repE0EEENS1_30default_config_static_selectorELNS0_4arch9wavefront6targetE1EEEvT1_,comdat
.Lfunc_end3711:
	.size	_ZN7rocprim17ROCPRIM_400000_NS6detail17trampoline_kernelINS0_14default_configENS1_25partition_config_selectorILNS1_17partition_subalgoE0EiNS0_10empty_typeEbEEZZNS1_14partition_implILS5_0ELb0ES3_jN6thrust23THRUST_200600_302600_NS10device_ptrIiEEPS6_SD_NS0_5tupleIJSC_SC_EEENSE_IJSD_SD_EEES6_PlJ7is_evenIiEEEE10hipError_tPvRmT3_T4_T5_T6_T7_T9_mT8_P12ihipStream_tbDpT10_ENKUlT_T0_E_clISt17integral_constantIbLb1EES12_IbLb0EEEEDaSY_SZ_EUlSY_E_NS1_11comp_targetILNS1_3genE5ELNS1_11target_archE942ELNS1_3gpuE9ELNS1_3repE0EEENS1_30default_config_static_selectorELNS0_4arch9wavefront6targetE1EEEvT1_, .Lfunc_end3711-_ZN7rocprim17ROCPRIM_400000_NS6detail17trampoline_kernelINS0_14default_configENS1_25partition_config_selectorILNS1_17partition_subalgoE0EiNS0_10empty_typeEbEEZZNS1_14partition_implILS5_0ELb0ES3_jN6thrust23THRUST_200600_302600_NS10device_ptrIiEEPS6_SD_NS0_5tupleIJSC_SC_EEENSE_IJSD_SD_EEES6_PlJ7is_evenIiEEEE10hipError_tPvRmT3_T4_T5_T6_T7_T9_mT8_P12ihipStream_tbDpT10_ENKUlT_T0_E_clISt17integral_constantIbLb1EES12_IbLb0EEEEDaSY_SZ_EUlSY_E_NS1_11comp_targetILNS1_3genE5ELNS1_11target_archE942ELNS1_3gpuE9ELNS1_3repE0EEENS1_30default_config_static_selectorELNS0_4arch9wavefront6targetE1EEEvT1_
                                        ; -- End function
	.section	.AMDGPU.csdata,"",@progbits
; Kernel info:
; codeLenInByte = 0
; NumSgprs: 4
; NumVgprs: 0
; NumAgprs: 0
; TotalNumVgprs: 0
; ScratchSize: 0
; MemoryBound: 0
; FloatMode: 240
; IeeeMode: 1
; LDSByteSize: 0 bytes/workgroup (compile time only)
; SGPRBlocks: 0
; VGPRBlocks: 0
; NumSGPRsForWavesPerEU: 4
; NumVGPRsForWavesPerEU: 1
; AccumOffset: 4
; Occupancy: 8
; WaveLimiterHint : 0
; COMPUTE_PGM_RSRC2:SCRATCH_EN: 0
; COMPUTE_PGM_RSRC2:USER_SGPR: 6
; COMPUTE_PGM_RSRC2:TRAP_HANDLER: 0
; COMPUTE_PGM_RSRC2:TGID_X_EN: 1
; COMPUTE_PGM_RSRC2:TGID_Y_EN: 0
; COMPUTE_PGM_RSRC2:TGID_Z_EN: 0
; COMPUTE_PGM_RSRC2:TIDIG_COMP_CNT: 0
; COMPUTE_PGM_RSRC3_GFX90A:ACCUM_OFFSET: 0
; COMPUTE_PGM_RSRC3_GFX90A:TG_SPLIT: 0
	.section	.text._ZN7rocprim17ROCPRIM_400000_NS6detail17trampoline_kernelINS0_14default_configENS1_25partition_config_selectorILNS1_17partition_subalgoE0EiNS0_10empty_typeEbEEZZNS1_14partition_implILS5_0ELb0ES3_jN6thrust23THRUST_200600_302600_NS10device_ptrIiEEPS6_SD_NS0_5tupleIJSC_SC_EEENSE_IJSD_SD_EEES6_PlJ7is_evenIiEEEE10hipError_tPvRmT3_T4_T5_T6_T7_T9_mT8_P12ihipStream_tbDpT10_ENKUlT_T0_E_clISt17integral_constantIbLb1EES12_IbLb0EEEEDaSY_SZ_EUlSY_E_NS1_11comp_targetILNS1_3genE4ELNS1_11target_archE910ELNS1_3gpuE8ELNS1_3repE0EEENS1_30default_config_static_selectorELNS0_4arch9wavefront6targetE1EEEvT1_,"axG",@progbits,_ZN7rocprim17ROCPRIM_400000_NS6detail17trampoline_kernelINS0_14default_configENS1_25partition_config_selectorILNS1_17partition_subalgoE0EiNS0_10empty_typeEbEEZZNS1_14partition_implILS5_0ELb0ES3_jN6thrust23THRUST_200600_302600_NS10device_ptrIiEEPS6_SD_NS0_5tupleIJSC_SC_EEENSE_IJSD_SD_EEES6_PlJ7is_evenIiEEEE10hipError_tPvRmT3_T4_T5_T6_T7_T9_mT8_P12ihipStream_tbDpT10_ENKUlT_T0_E_clISt17integral_constantIbLb1EES12_IbLb0EEEEDaSY_SZ_EUlSY_E_NS1_11comp_targetILNS1_3genE4ELNS1_11target_archE910ELNS1_3gpuE8ELNS1_3repE0EEENS1_30default_config_static_selectorELNS0_4arch9wavefront6targetE1EEEvT1_,comdat
	.protected	_ZN7rocprim17ROCPRIM_400000_NS6detail17trampoline_kernelINS0_14default_configENS1_25partition_config_selectorILNS1_17partition_subalgoE0EiNS0_10empty_typeEbEEZZNS1_14partition_implILS5_0ELb0ES3_jN6thrust23THRUST_200600_302600_NS10device_ptrIiEEPS6_SD_NS0_5tupleIJSC_SC_EEENSE_IJSD_SD_EEES6_PlJ7is_evenIiEEEE10hipError_tPvRmT3_T4_T5_T6_T7_T9_mT8_P12ihipStream_tbDpT10_ENKUlT_T0_E_clISt17integral_constantIbLb1EES12_IbLb0EEEEDaSY_SZ_EUlSY_E_NS1_11comp_targetILNS1_3genE4ELNS1_11target_archE910ELNS1_3gpuE8ELNS1_3repE0EEENS1_30default_config_static_selectorELNS0_4arch9wavefront6targetE1EEEvT1_ ; -- Begin function _ZN7rocprim17ROCPRIM_400000_NS6detail17trampoline_kernelINS0_14default_configENS1_25partition_config_selectorILNS1_17partition_subalgoE0EiNS0_10empty_typeEbEEZZNS1_14partition_implILS5_0ELb0ES3_jN6thrust23THRUST_200600_302600_NS10device_ptrIiEEPS6_SD_NS0_5tupleIJSC_SC_EEENSE_IJSD_SD_EEES6_PlJ7is_evenIiEEEE10hipError_tPvRmT3_T4_T5_T6_T7_T9_mT8_P12ihipStream_tbDpT10_ENKUlT_T0_E_clISt17integral_constantIbLb1EES12_IbLb0EEEEDaSY_SZ_EUlSY_E_NS1_11comp_targetILNS1_3genE4ELNS1_11target_archE910ELNS1_3gpuE8ELNS1_3repE0EEENS1_30default_config_static_selectorELNS0_4arch9wavefront6targetE1EEEvT1_
	.globl	_ZN7rocprim17ROCPRIM_400000_NS6detail17trampoline_kernelINS0_14default_configENS1_25partition_config_selectorILNS1_17partition_subalgoE0EiNS0_10empty_typeEbEEZZNS1_14partition_implILS5_0ELb0ES3_jN6thrust23THRUST_200600_302600_NS10device_ptrIiEEPS6_SD_NS0_5tupleIJSC_SC_EEENSE_IJSD_SD_EEES6_PlJ7is_evenIiEEEE10hipError_tPvRmT3_T4_T5_T6_T7_T9_mT8_P12ihipStream_tbDpT10_ENKUlT_T0_E_clISt17integral_constantIbLb1EES12_IbLb0EEEEDaSY_SZ_EUlSY_E_NS1_11comp_targetILNS1_3genE4ELNS1_11target_archE910ELNS1_3gpuE8ELNS1_3repE0EEENS1_30default_config_static_selectorELNS0_4arch9wavefront6targetE1EEEvT1_
	.p2align	8
	.type	_ZN7rocprim17ROCPRIM_400000_NS6detail17trampoline_kernelINS0_14default_configENS1_25partition_config_selectorILNS1_17partition_subalgoE0EiNS0_10empty_typeEbEEZZNS1_14partition_implILS5_0ELb0ES3_jN6thrust23THRUST_200600_302600_NS10device_ptrIiEEPS6_SD_NS0_5tupleIJSC_SC_EEENSE_IJSD_SD_EEES6_PlJ7is_evenIiEEEE10hipError_tPvRmT3_T4_T5_T6_T7_T9_mT8_P12ihipStream_tbDpT10_ENKUlT_T0_E_clISt17integral_constantIbLb1EES12_IbLb0EEEEDaSY_SZ_EUlSY_E_NS1_11comp_targetILNS1_3genE4ELNS1_11target_archE910ELNS1_3gpuE8ELNS1_3repE0EEENS1_30default_config_static_selectorELNS0_4arch9wavefront6targetE1EEEvT1_,@function
_ZN7rocprim17ROCPRIM_400000_NS6detail17trampoline_kernelINS0_14default_configENS1_25partition_config_selectorILNS1_17partition_subalgoE0EiNS0_10empty_typeEbEEZZNS1_14partition_implILS5_0ELb0ES3_jN6thrust23THRUST_200600_302600_NS10device_ptrIiEEPS6_SD_NS0_5tupleIJSC_SC_EEENSE_IJSD_SD_EEES6_PlJ7is_evenIiEEEE10hipError_tPvRmT3_T4_T5_T6_T7_T9_mT8_P12ihipStream_tbDpT10_ENKUlT_T0_E_clISt17integral_constantIbLb1EES12_IbLb0EEEEDaSY_SZ_EUlSY_E_NS1_11comp_targetILNS1_3genE4ELNS1_11target_archE910ELNS1_3gpuE8ELNS1_3repE0EEENS1_30default_config_static_selectorELNS0_4arch9wavefront6targetE1EEEvT1_: ; @_ZN7rocprim17ROCPRIM_400000_NS6detail17trampoline_kernelINS0_14default_configENS1_25partition_config_selectorILNS1_17partition_subalgoE0EiNS0_10empty_typeEbEEZZNS1_14partition_implILS5_0ELb0ES3_jN6thrust23THRUST_200600_302600_NS10device_ptrIiEEPS6_SD_NS0_5tupleIJSC_SC_EEENSE_IJSD_SD_EEES6_PlJ7is_evenIiEEEE10hipError_tPvRmT3_T4_T5_T6_T7_T9_mT8_P12ihipStream_tbDpT10_ENKUlT_T0_E_clISt17integral_constantIbLb1EES12_IbLb0EEEEDaSY_SZ_EUlSY_E_NS1_11comp_targetILNS1_3genE4ELNS1_11target_archE910ELNS1_3gpuE8ELNS1_3repE0EEENS1_30default_config_static_selectorELNS0_4arch9wavefront6targetE1EEEvT1_
; %bb.0:
	s_load_dwordx2 s[0:1], s[4:5], 0x58
	s_load_dwordx4 s[20:23], s[4:5], 0x8
	s_load_dwordx4 s[24:27], s[4:5], 0x48
	s_load_dword s7, s[4:5], 0x70
	s_mul_i32 s8, s6, 0xa00
	s_waitcnt lgkmcnt(0)
	v_mov_b32_e32 v3, s1
	s_lshl_b64 s[2:3], s[22:23], 2
	s_add_u32 s10, s20, s2
	s_mul_i32 s1, s7, 0xa00
	s_addc_u32 s11, s21, s3
	s_add_i32 s3, s1, s22
	s_sub_i32 s33, s0, s3
	s_add_i32 s2, s7, -1
	s_addk_i32 s33, 0xa00
	v_mov_b32_e32 v2, s0
	s_add_u32 s0, s22, s1
	s_addc_u32 s1, s23, 0
	s_cmp_eq_u32 s6, s2
	s_load_dwordx2 s[30:31], s[26:27], 0x0
	s_cselect_b64 s[26:27], -1, 0
	s_cmp_lg_u32 s6, s2
	s_mov_b32 s9, 0
	v_cmp_lt_u64_e32 vcc, s[0:1], v[2:3]
	s_cselect_b64 s[0:1], -1, 0
	s_or_b64 s[2:3], s[0:1], vcc
	s_lshl_b64 s[28:29], s[8:9], 2
	s_add_u32 s7, s10, s28
	s_addc_u32 s10, s11, s29
	s_mov_b64 s[0:1], -1
	s_and_b64 vcc, exec, s[2:3]
	v_lshlrev_b32_e32 v1, 2, v0
	s_cbranch_vccz .LBB3712_2
; %bb.1:
	v_mov_b32_e32 v3, s10
	v_add_co_u32_e32 v2, vcc, s7, v1
	v_addc_co_u32_e32 v3, vcc, 0, v3, vcc
	v_add_co_u32_e32 v4, vcc, 0x1000, v2
	v_addc_co_u32_e32 v5, vcc, 0, v3, vcc
	flat_load_dword v6, v[2:3]
	flat_load_dword v7, v[2:3] offset:1024
	flat_load_dword v8, v[2:3] offset:2048
	;; [unrolled: 1-line block ×3, first 2 shown]
	flat_load_dword v10, v[4:5]
	flat_load_dword v11, v[4:5] offset:1024
	flat_load_dword v12, v[4:5] offset:2048
	;; [unrolled: 1-line block ×3, first 2 shown]
	v_add_co_u32_e32 v2, vcc, 0x2000, v2
	v_addc_co_u32_e32 v3, vcc, 0, v3, vcc
	flat_load_dword v4, v[2:3]
	flat_load_dword v5, v[2:3] offset:1024
	s_mov_b64 s[0:1], 0
	s_waitcnt vmcnt(0) lgkmcnt(0)
	ds_write2st64_b32 v1, v6, v7 offset1:4
	ds_write2st64_b32 v1, v8, v9 offset0:8 offset1:12
	ds_write2st64_b32 v1, v10, v11 offset0:16 offset1:20
	;; [unrolled: 1-line block ×4, first 2 shown]
	s_waitcnt lgkmcnt(0)
	s_barrier
.LBB3712_2:
	s_andn2_b64 vcc, exec, s[0:1]
	v_cmp_gt_u32_e64 s[0:1], s33, v0
	s_cbranch_vccnz .LBB3712_24
; %bb.3:
                                        ; implicit-def: $vgpr2_vgpr3_vgpr4_vgpr5_vgpr6_vgpr7_vgpr8_vgpr9_vgpr10_vgpr11
	s_and_saveexec_b64 s[8:9], s[0:1]
	s_cbranch_execz .LBB3712_5
; %bb.4:
	v_mov_b32_e32 v3, s10
	v_add_co_u32_e32 v2, vcc, s7, v1
	v_addc_co_u32_e32 v3, vcc, 0, v3, vcc
	flat_load_dword v2, v[2:3]
.LBB3712_5:
	s_or_b64 exec, exec, s[8:9]
	v_or_b32_e32 v12, 0x100, v0
	v_cmp_gt_u32_e32 vcc, s33, v12
	s_and_saveexec_b64 s[0:1], vcc
	s_cbranch_execz .LBB3712_7
; %bb.6:
	v_mov_b32_e32 v3, s10
	v_add_co_u32_e32 v12, vcc, s7, v1
	v_addc_co_u32_e32 v13, vcc, 0, v3, vcc
	flat_load_dword v3, v[12:13] offset:1024
.LBB3712_7:
	s_or_b64 exec, exec, s[0:1]
	v_or_b32_e32 v12, 0x200, v0
	v_cmp_gt_u32_e32 vcc, s33, v12
	s_and_saveexec_b64 s[0:1], vcc
	s_cbranch_execz .LBB3712_9
; %bb.8:
	v_mov_b32_e32 v4, s10
	v_add_co_u32_e32 v12, vcc, s7, v1
	v_addc_co_u32_e32 v13, vcc, 0, v4, vcc
	flat_load_dword v4, v[12:13] offset:2048
.LBB3712_9:
	;; [unrolled: 11-line block ×3, first 2 shown]
	s_or_b64 exec, exec, s[0:1]
	v_or_b32_e32 v12, 0x400, v0
	v_cmp_gt_u32_e32 vcc, s33, v12
	s_and_saveexec_b64 s[0:1], vcc
	s_cbranch_execz .LBB3712_13
; %bb.12:
	v_lshlrev_b32_e32 v6, 2, v12
	v_mov_b32_e32 v13, s10
	v_add_co_u32_e32 v12, vcc, s7, v6
	v_addc_co_u32_e32 v13, vcc, 0, v13, vcc
	flat_load_dword v6, v[12:13]
.LBB3712_13:
	s_or_b64 exec, exec, s[0:1]
	v_or_b32_e32 v12, 0x500, v0
	v_cmp_gt_u32_e32 vcc, s33, v12
	s_and_saveexec_b64 s[0:1], vcc
	s_cbranch_execz .LBB3712_15
; %bb.14:
	v_lshlrev_b32_e32 v7, 2, v12
	v_mov_b32_e32 v13, s10
	v_add_co_u32_e32 v12, vcc, s7, v7
	v_addc_co_u32_e32 v13, vcc, 0, v13, vcc
	flat_load_dword v7, v[12:13]
.LBB3712_15:
	;; [unrolled: 12-line block ×6, first 2 shown]
	s_or_b64 exec, exec, s[0:1]
	s_waitcnt vmcnt(0) lgkmcnt(0)
	ds_write2st64_b32 v1, v2, v3 offset1:4
	ds_write2st64_b32 v1, v4, v5 offset0:8 offset1:12
	ds_write2st64_b32 v1, v6, v7 offset0:16 offset1:20
	;; [unrolled: 1-line block ×4, first 2 shown]
	s_waitcnt lgkmcnt(0)
	s_barrier
.LBB3712_24:
	v_mul_u32_u24_e32 v23, 10, v0
	v_lshlrev_b32_e32 v29, 2, v23
	s_waitcnt lgkmcnt(0)
	ds_read2_b64 v[6:9], v29 offset1:1
	ds_read2_b64 v[2:5], v29 offset0:2 offset1:3
	ds_read_b64 v[10:11], v29 offset:32
	v_cndmask_b32_e64 v12, 0, 1, s[2:3]
	v_cmp_ne_u32_e64 s[0:1], 1, v12
	s_andn2_b64 vcc, exec, s[2:3]
	s_waitcnt lgkmcnt(2)
	v_xor_b32_e32 v21, -1, v6
	v_xor_b32_e32 v20, -1, v7
	;; [unrolled: 1-line block ×4, first 2 shown]
	s_waitcnt lgkmcnt(1)
	v_xor_b32_e32 v17, -1, v2
	v_xor_b32_e32 v16, -1, v3
	v_xor_b32_e32 v15, -1, v4
	v_xor_b32_e32 v14, -1, v5
	s_waitcnt lgkmcnt(0)
	v_xor_b32_e32 v13, -1, v10
	v_xor_b32_e32 v12, -1, v11
	s_barrier
	s_cbranch_vccnz .LBB3712_26
; %bb.25:
	v_mov_b32_e32 v22, 1
	v_and_b32_e32 v25, 1, v21
	v_and_b32_sdwa v26, v20, v22 dst_sel:BYTE_1 dst_unused:UNUSED_PAD src0_sel:DWORD src1_sel:DWORD
	v_and_b32_e32 v27, 1, v19
	v_and_b32_sdwa v28, v18, v22 dst_sel:BYTE_1 dst_unused:UNUSED_PAD src0_sel:DWORD src1_sel:DWORD
	;; [unrolled: 2-line block ×4, first 2 shown]
	v_or_b32_e32 v25, v25, v26
	v_or_b32_sdwa v26, v27, v28 dst_sel:WORD_1 dst_unused:UNUSED_PAD src0_sel:DWORD src1_sel:DWORD
	v_or_b32_sdwa v26, v25, v26 dst_sel:DWORD dst_unused:UNUSED_PAD src0_sel:WORD_0 src1_sel:DWORD
	v_or_b32_e32 v25, v30, v31
	v_or_b32_sdwa v27, v32, v33 dst_sel:WORD_1 dst_unused:UNUSED_PAD src0_sel:DWORD src1_sel:DWORD
	v_and_b32_e32 v24, 1, v13
	v_and_b32_e32 v22, 1, v12
	v_or_b32_sdwa v25, v25, v27 dst_sel:DWORD dst_unused:UNUSED_PAD src0_sel:WORD_0 src1_sel:DWORD
	s_load_dwordx2 s[34:35], s[4:5], 0x68
	s_cbranch_execz .LBB3712_27
	s_branch .LBB3712_28
.LBB3712_26:
                                        ; implicit-def: $vgpr22
                                        ; implicit-def: $vgpr24
                                        ; implicit-def: $vgpr25
                                        ; implicit-def: $vgpr26
	s_load_dwordx2 s[34:35], s[4:5], 0x68
.LBB3712_27:
	v_or_b32_e32 v32, 1, v23
	v_cmp_gt_u32_e32 vcc, s33, v23
	v_add_u32_e32 v22, 2, v23
	v_cndmask_b32_e64 v33, 0, 1, vcc
	v_cmp_gt_u32_e32 vcc, s33, v32
	v_add_u32_e32 v31, 3, v23
	v_cndmask_b32_e64 v32, 0, 1, vcc
	;; [unrolled: 3-line block ×3, first 2 shown]
	v_cmp_gt_u32_e32 vcc, s33, v31
	v_add_u32_e32 v30, 5, v23
	v_and_b32_e32 v19, v22, v19
	v_cndmask_b32_e64 v22, 0, 1, vcc
	v_cmp_gt_u32_e32 vcc, s33, v24
	v_add_u32_e32 v25, 6, v23
	v_and_b32_sdwa v18, v22, v18 dst_sel:BYTE_1 dst_unused:UNUSED_PAD src0_sel:DWORD src1_sel:DWORD
	v_cndmask_b32_e64 v22, 0, 1, vcc
	v_cmp_gt_u32_e32 vcc, s33, v30
	v_add_u32_e32 v28, 7, v23
	v_and_b32_e32 v17, v22, v17
	v_cndmask_b32_e64 v22, 0, 1, vcc
	v_cmp_gt_u32_e32 vcc, s33, v25
	v_add_u32_e32 v26, 8, v23
	v_and_b32_sdwa v16, v22, v16 dst_sel:BYTE_1 dst_unused:UNUSED_PAD src0_sel:DWORD src1_sel:DWORD
	v_cndmask_b32_e64 v22, 0, 1, vcc
	v_cmp_gt_u32_e32 vcc, s33, v28
	v_add_u32_e32 v27, 9, v23
	v_and_b32_e32 v15, v22, v15
	v_cndmask_b32_e64 v22, 0, 1, vcc
	v_cmp_gt_u32_e32 vcc, s33, v26
	v_and_b32_sdwa v14, v22, v14 dst_sel:BYTE_1 dst_unused:UNUSED_PAD src0_sel:DWORD src1_sel:DWORD
	v_cndmask_b32_e64 v22, 0, 1, vcc
	v_cmp_gt_u32_e32 vcc, s33, v27
	v_and_b32_e32 v21, v33, v21
	v_and_b32_sdwa v20, v32, v20 dst_sel:BYTE_1 dst_unused:UNUSED_PAD src0_sel:DWORD src1_sel:DWORD
	v_and_b32_e32 v24, v22, v13
	v_cndmask_b32_e64 v13, 0, 1, vcc
	v_and_b32_e32 v22, v13, v12
	v_or_b32_e32 v12, v21, v20
	v_or_b32_sdwa v13, v19, v18 dst_sel:WORD_1 dst_unused:UNUSED_PAD src0_sel:DWORD src1_sel:DWORD
	v_or_b32_sdwa v26, v12, v13 dst_sel:DWORD dst_unused:UNUSED_PAD src0_sel:WORD_0 src1_sel:DWORD
	v_or_b32_e32 v12, v17, v16
	v_or_b32_sdwa v13, v15, v14 dst_sel:WORD_1 dst_unused:UNUSED_PAD src0_sel:DWORD src1_sel:DWORD
	v_or_b32_sdwa v25, v12, v13 dst_sel:DWORD dst_unused:UNUSED_PAD src0_sel:WORD_0 src1_sel:DWORD
.LBB3712_28:
	v_bfe_u32 v30, v26, 16, 8
	v_lshrrev_b32_e32 v28, 24, v26
	v_add_u32_sdwa v13, v26, v26 dst_sel:DWORD dst_unused:UNUSED_PAD src0_sel:BYTE_1 src1_sel:BYTE_0
	v_and_b32_e32 v31, 0xff, v25
	v_bfe_u32 v32, v25, 8, 8
	v_add3_u32 v13, v13, v30, v28
	v_bfe_u32 v33, v25, 16, 8
	v_lshrrev_b32_e32 v27, 24, v25
	v_add3_u32 v13, v13, v31, v32
	v_and_b32_e32 v34, 0xff, v24
	v_and_b32_e32 v12, 0xff, v22
	v_add3_u32 v13, v13, v33, v27
	v_add3_u32 v37, v13, v34, v12
	v_mbcnt_lo_u32_b32 v12, -1, 0
	v_mbcnt_hi_u32_b32 v35, -1, v12
	v_and_b32_e32 v12, 15, v35
	v_cmp_eq_u32_e64 s[16:17], 0, v12
	v_cmp_lt_u32_e64 s[14:15], 1, v12
	v_cmp_lt_u32_e64 s[12:13], 3, v12
	;; [unrolled: 1-line block ×3, first 2 shown]
	v_and_b32_e32 v12, 16, v35
	v_cmp_eq_u32_e64 s[8:9], 0, v12
	v_or_b32_e32 v12, 63, v0
	s_cmp_lg_u32 s6, 0
	v_cmp_lt_u32_e64 s[2:3], 31, v35
	v_lshrrev_b32_e32 v36, 6, v0
	v_cmp_eq_u32_e64 s[20:21], v12, v0
	s_cbranch_scc0 .LBB3712_59
; %bb.29:
	v_mov_b32_dpp v12, v37 row_shr:1 row_mask:0xf bank_mask:0xf
	v_cndmask_b32_e64 v12, v12, 0, s[16:17]
	v_add_u32_e32 v12, v12, v37
	s_nop 1
	v_mov_b32_dpp v13, v12 row_shr:2 row_mask:0xf bank_mask:0xf
	v_cndmask_b32_e64 v13, 0, v13, s[14:15]
	v_add_u32_e32 v12, v12, v13
	s_nop 1
	;; [unrolled: 4-line block ×4, first 2 shown]
	v_mov_b32_dpp v13, v12 row_bcast:15 row_mask:0xf bank_mask:0xf
	v_cndmask_b32_e64 v13, v13, 0, s[8:9]
	v_add_u32_e32 v12, v12, v13
	s_nop 1
	v_mov_b32_dpp v13, v12 row_bcast:31 row_mask:0xf bank_mask:0xf
	v_cndmask_b32_e64 v13, 0, v13, s[2:3]
	v_add_u32_e32 v12, v12, v13
	s_and_saveexec_b64 s[18:19], s[20:21]
	s_cbranch_execz .LBB3712_31
; %bb.30:
	v_lshlrev_b32_e32 v13, 2, v36
	ds_write_b32 v13, v12
.LBB3712_31:
	s_or_b64 exec, exec, s[18:19]
	v_cmp_gt_u32_e32 vcc, 4, v0
	s_waitcnt lgkmcnt(0)
	s_barrier
	s_and_saveexec_b64 s[18:19], vcc
	s_cbranch_execz .LBB3712_33
; %bb.32:
	ds_read_b32 v13, v1
	v_and_b32_e32 v14, 3, v35
	v_cmp_ne_u32_e32 vcc, 0, v14
	s_waitcnt lgkmcnt(0)
	v_mov_b32_dpp v15, v13 row_shr:1 row_mask:0xf bank_mask:0xf
	v_cndmask_b32_e32 v15, 0, v15, vcc
	v_add_u32_e32 v13, v15, v13
	v_cmp_lt_u32_e32 vcc, 1, v14
	s_nop 0
	v_mov_b32_dpp v15, v13 row_shr:2 row_mask:0xf bank_mask:0xf
	v_cndmask_b32_e32 v14, 0, v15, vcc
	v_add_u32_e32 v13, v13, v14
	ds_write_b32 v1, v13
.LBB3712_33:
	s_or_b64 exec, exec, s[18:19]
	v_cmp_gt_u32_e32 vcc, 64, v0
	v_cmp_lt_u32_e64 s[18:19], 63, v0
	s_waitcnt lgkmcnt(0)
	s_barrier
	s_waitcnt lgkmcnt(0)
                                        ; implicit-def: $vgpr38
	s_and_saveexec_b64 s[36:37], s[18:19]
	s_cbranch_execz .LBB3712_35
; %bb.34:
	v_lshl_add_u32 v13, v36, 2, -4
	ds_read_b32 v38, v13
	s_waitcnt lgkmcnt(0)
	v_add_u32_e32 v12, v38, v12
.LBB3712_35:
	s_or_b64 exec, exec, s[36:37]
	v_add_u32_e32 v13, -1, v35
	v_and_b32_e32 v14, 64, v35
	v_cmp_lt_i32_e64 s[18:19], v13, v14
	v_cndmask_b32_e64 v13, v13, v35, s[18:19]
	v_lshlrev_b32_e32 v13, 2, v13
	ds_bpermute_b32 v39, v13, v12
	v_cmp_eq_u32_e64 s[18:19], 0, v35
	s_and_saveexec_b64 s[36:37], vcc
	s_cbranch_execz .LBB3712_58
; %bb.36:
	v_mov_b32_e32 v21, 0
	ds_read_b32 v12, v21 offset:12
	s_and_saveexec_b64 s[38:39], s[18:19]
	s_cbranch_execz .LBB3712_38
; %bb.37:
	s_add_i32 s40, s6, 64
	s_mov_b32 s41, 0
	s_lshl_b64 s[40:41], s[40:41], 3
	s_add_u32 s40, s34, s40
	v_mov_b32_e32 v13, 1
	s_addc_u32 s41, s35, s41
	s_waitcnt lgkmcnt(0)
	global_store_dwordx2 v21, v[12:13], s[40:41]
.LBB3712_38:
	s_or_b64 exec, exec, s[38:39]
	v_xad_u32 v14, v35, -1, s6
	v_add_u32_e32 v20, 64, v14
	v_lshlrev_b64 v[16:17], 3, v[20:21]
	v_mov_b32_e32 v13, s35
	v_add_co_u32_e32 v16, vcc, s34, v16
	v_addc_co_u32_e32 v17, vcc, v13, v17, vcc
	global_load_dwordx2 v[18:19], v[16:17], off glc
	s_waitcnt vmcnt(0)
	v_cmp_eq_u16_sdwa s[40:41], v19, v21 src0_sel:BYTE_0 src1_sel:DWORD
	s_and_saveexec_b64 s[38:39], s[40:41]
	s_cbranch_execz .LBB3712_44
; %bb.39:
	s_mov_b32 s7, 1
	s_mov_b64 s[40:41], 0
	v_mov_b32_e32 v13, 0
.LBB3712_40:                            ; =>This Loop Header: Depth=1
                                        ;     Child Loop BB3712_41 Depth 2
	s_max_u32 s42, s7, 1
.LBB3712_41:                            ;   Parent Loop BB3712_40 Depth=1
                                        ; =>  This Inner Loop Header: Depth=2
	s_add_i32 s42, s42, -1
	s_cmp_eq_u32 s42, 0
	s_sleep 1
	s_cbranch_scc0 .LBB3712_41
; %bb.42:                               ;   in Loop: Header=BB3712_40 Depth=1
	global_load_dwordx2 v[18:19], v[16:17], off glc
	s_cmp_lt_u32 s7, 32
	s_cselect_b64 s[42:43], -1, 0
	s_cmp_lg_u64 s[42:43], 0
	s_addc_u32 s7, s7, 0
	s_waitcnt vmcnt(0)
	v_cmp_ne_u16_sdwa s[42:43], v19, v13 src0_sel:BYTE_0 src1_sel:DWORD
	s_or_b64 s[40:41], s[42:43], s[40:41]
	s_andn2_b64 exec, exec, s[40:41]
	s_cbranch_execnz .LBB3712_40
; %bb.43:
	s_or_b64 exec, exec, s[40:41]
.LBB3712_44:
	s_or_b64 exec, exec, s[38:39]
	v_and_b32_e32 v41, 63, v35
	v_mov_b32_e32 v40, 2
	v_cmp_ne_u32_e32 vcc, 63, v41
	v_cmp_eq_u16_sdwa s[38:39], v19, v40 src0_sel:BYTE_0 src1_sel:DWORD
	v_lshlrev_b64 v[16:17], v35, -1
	v_addc_co_u32_e32 v20, vcc, 0, v35, vcc
	v_and_b32_e32 v13, s39, v17
	v_lshlrev_b32_e32 v42, 2, v20
	v_or_b32_e32 v13, 0x80000000, v13
	ds_bpermute_b32 v20, v42, v18
	v_and_b32_e32 v15, s38, v16
	v_ffbl_b32_e32 v13, v13
	v_add_u32_e32 v13, 32, v13
	v_ffbl_b32_e32 v15, v15
	v_min_u32_e32 v13, v15, v13
	v_cmp_lt_u32_e32 vcc, v41, v13
	s_waitcnt lgkmcnt(0)
	v_cndmask_b32_e32 v15, 0, v20, vcc
	v_cmp_gt_u32_e32 vcc, 62, v41
	v_add_u32_e32 v15, v15, v18
	v_cndmask_b32_e64 v18, 0, 1, vcc
	v_lshlrev_b32_e32 v18, 1, v18
	v_add_lshl_u32 v43, v18, v35, 2
	ds_bpermute_b32 v18, v43, v15
	v_add_u32_e32 v44, 2, v41
	v_cmp_le_u32_e32 vcc, v44, v13
	v_add_u32_e32 v46, 4, v41
	v_add_u32_e32 v48, 8, v41
	s_waitcnt lgkmcnt(0)
	v_cndmask_b32_e32 v18, 0, v18, vcc
	v_cmp_gt_u32_e32 vcc, 60, v41
	v_add_u32_e32 v15, v15, v18
	v_cndmask_b32_e64 v18, 0, 1, vcc
	v_lshlrev_b32_e32 v18, 2, v18
	v_add_lshl_u32 v45, v18, v35, 2
	ds_bpermute_b32 v18, v45, v15
	v_cmp_le_u32_e32 vcc, v46, v13
	v_add_u32_e32 v50, 16, v41
	v_add_u32_e32 v52, 32, v41
	s_waitcnt lgkmcnt(0)
	v_cndmask_b32_e32 v18, 0, v18, vcc
	v_cmp_gt_u32_e32 vcc, 56, v41
	v_add_u32_e32 v15, v15, v18
	v_cndmask_b32_e64 v18, 0, 1, vcc
	v_lshlrev_b32_e32 v18, 3, v18
	v_add_lshl_u32 v47, v18, v35, 2
	ds_bpermute_b32 v18, v47, v15
	v_cmp_le_u32_e32 vcc, v48, v13
	s_waitcnt lgkmcnt(0)
	v_cndmask_b32_e32 v18, 0, v18, vcc
	v_cmp_gt_u32_e32 vcc, 48, v41
	v_add_u32_e32 v15, v15, v18
	v_cndmask_b32_e64 v18, 0, 1, vcc
	v_lshlrev_b32_e32 v18, 4, v18
	v_add_lshl_u32 v49, v18, v35, 2
	ds_bpermute_b32 v18, v49, v15
	v_cmp_le_u32_e32 vcc, v50, v13
	;; [unrolled: 9-line block ×3, first 2 shown]
	s_waitcnt lgkmcnt(0)
	v_cndmask_b32_e32 v13, 0, v18, vcc
	v_add_u32_e32 v18, v15, v13
	v_mov_b32_e32 v15, 0
	s_branch .LBB3712_46
.LBB3712_45:                            ;   in Loop: Header=BB3712_46 Depth=1
	s_or_b64 exec, exec, s[38:39]
	v_cmp_eq_u16_sdwa s[38:39], v19, v40 src0_sel:BYTE_0 src1_sel:DWORD
	v_and_b32_e32 v20, s39, v17
	v_or_b32_e32 v20, 0x80000000, v20
	ds_bpermute_b32 v53, v42, v18
	v_and_b32_e32 v21, s38, v16
	v_ffbl_b32_e32 v20, v20
	v_add_u32_e32 v20, 32, v20
	v_ffbl_b32_e32 v21, v21
	v_min_u32_e32 v20, v21, v20
	v_cmp_lt_u32_e32 vcc, v41, v20
	s_waitcnt lgkmcnt(0)
	v_cndmask_b32_e32 v21, 0, v53, vcc
	v_add_u32_e32 v18, v21, v18
	ds_bpermute_b32 v21, v43, v18
	v_cmp_le_u32_e32 vcc, v44, v20
	v_subrev_u32_e32 v14, 64, v14
	s_waitcnt lgkmcnt(0)
	v_cndmask_b32_e32 v21, 0, v21, vcc
	v_add_u32_e32 v18, v18, v21
	ds_bpermute_b32 v21, v45, v18
	v_cmp_le_u32_e32 vcc, v46, v20
	s_waitcnt lgkmcnt(0)
	v_cndmask_b32_e32 v21, 0, v21, vcc
	v_add_u32_e32 v18, v18, v21
	ds_bpermute_b32 v21, v47, v18
	v_cmp_le_u32_e32 vcc, v48, v20
	;; [unrolled: 5-line block ×4, first 2 shown]
	s_waitcnt lgkmcnt(0)
	v_cndmask_b32_e32 v20, 0, v21, vcc
	v_add3_u32 v18, v20, v13, v18
.LBB3712_46:                            ; =>This Loop Header: Depth=1
                                        ;     Child Loop BB3712_49 Depth 2
                                        ;       Child Loop BB3712_50 Depth 3
	v_cmp_ne_u16_sdwa s[38:39], v19, v40 src0_sel:BYTE_0 src1_sel:DWORD
	v_cndmask_b32_e64 v13, 0, 1, s[38:39]
	;;#ASMSTART
	;;#ASMEND
	v_cmp_ne_u32_e32 vcc, 0, v13
	s_cmp_lg_u64 vcc, exec
	v_mov_b32_e32 v13, v18
	s_cbranch_scc1 .LBB3712_53
; %bb.47:                               ;   in Loop: Header=BB3712_46 Depth=1
	v_lshlrev_b64 v[18:19], 3, v[14:15]
	v_mov_b32_e32 v21, s35
	v_add_co_u32_e32 v20, vcc, s34, v18
	v_addc_co_u32_e32 v21, vcc, v21, v19, vcc
	global_load_dwordx2 v[18:19], v[20:21], off glc
	s_waitcnt vmcnt(0)
	v_cmp_eq_u16_sdwa s[40:41], v19, v15 src0_sel:BYTE_0 src1_sel:DWORD
	s_and_saveexec_b64 s[38:39], s[40:41]
	s_cbranch_execz .LBB3712_45
; %bb.48:                               ;   in Loop: Header=BB3712_46 Depth=1
	s_mov_b32 s7, 1
	s_mov_b64 s[40:41], 0
.LBB3712_49:                            ;   Parent Loop BB3712_46 Depth=1
                                        ; =>  This Loop Header: Depth=2
                                        ;       Child Loop BB3712_50 Depth 3
	s_max_u32 s42, s7, 1
.LBB3712_50:                            ;   Parent Loop BB3712_46 Depth=1
                                        ;     Parent Loop BB3712_49 Depth=2
                                        ; =>    This Inner Loop Header: Depth=3
	s_add_i32 s42, s42, -1
	s_cmp_eq_u32 s42, 0
	s_sleep 1
	s_cbranch_scc0 .LBB3712_50
; %bb.51:                               ;   in Loop: Header=BB3712_49 Depth=2
	global_load_dwordx2 v[18:19], v[20:21], off glc
	s_cmp_lt_u32 s7, 32
	s_cselect_b64 s[42:43], -1, 0
	s_cmp_lg_u64 s[42:43], 0
	s_addc_u32 s7, s7, 0
	s_waitcnt vmcnt(0)
	v_cmp_ne_u16_sdwa s[42:43], v19, v15 src0_sel:BYTE_0 src1_sel:DWORD
	s_or_b64 s[40:41], s[42:43], s[40:41]
	s_andn2_b64 exec, exec, s[40:41]
	s_cbranch_execnz .LBB3712_49
; %bb.52:                               ;   in Loop: Header=BB3712_46 Depth=1
	s_or_b64 exec, exec, s[40:41]
	s_branch .LBB3712_45
.LBB3712_53:                            ;   in Loop: Header=BB3712_46 Depth=1
                                        ; implicit-def: $vgpr18
                                        ; implicit-def: $vgpr19
	s_cbranch_execz .LBB3712_46
; %bb.54:
	s_and_saveexec_b64 s[38:39], s[18:19]
	s_cbranch_execz .LBB3712_56
; %bb.55:
	s_add_i32 s6, s6, 64
	s_mov_b32 s7, 0
	s_lshl_b64 s[6:7], s[6:7], 3
	s_add_u32 s6, s34, s6
	v_add_u32_e32 v14, v13, v12
	v_mov_b32_e32 v15, 2
	s_addc_u32 s7, s35, s7
	v_mov_b32_e32 v16, 0
	global_store_dwordx2 v16, v[14:15], s[6:7]
	ds_write_b64 v16, v[12:13] offset:10240
.LBB3712_56:
	s_or_b64 exec, exec, s[38:39]
	v_cmp_eq_u32_e32 vcc, 0, v0
	s_and_b64 exec, exec, vcc
	s_cbranch_execz .LBB3712_58
; %bb.57:
	v_mov_b32_e32 v12, 0
	ds_write_b32 v12, v13 offset:12
.LBB3712_58:
	s_or_b64 exec, exec, s[36:37]
	v_mov_b32_e32 v12, 0
	s_waitcnt lgkmcnt(0)
	s_barrier
	ds_read_b32 v13, v12 offset:12
	v_cndmask_b32_e64 v14, v39, v38, s[18:19]
	v_cmp_ne_u32_e32 vcc, 0, v0
	v_cndmask_b32_e32 v14, 0, v14, vcc
	s_waitcnt lgkmcnt(0)
	v_add_u32_e32 v39, v13, v14
	v_add_u32_sdwa v38, v39, v26 dst_sel:DWORD dst_unused:UNUSED_PAD src0_sel:DWORD src1_sel:BYTE_0
	v_add_u32_sdwa v21, v38, v26 dst_sel:DWORD dst_unused:UNUSED_PAD src0_sel:DWORD src1_sel:BYTE_1
	v_add_u32_e32 v20, v21, v30
	v_add_u32_e32 v19, v20, v28
	;; [unrolled: 1-line block ×3, first 2 shown]
	s_barrier
	ds_read_b64 v[12:13], v12 offset:10240
	v_add_u32_e32 v17, v18, v32
	v_add_u32_e32 v16, v17, v33
	;; [unrolled: 1-line block ×4, first 2 shown]
	s_branch .LBB3712_69
.LBB3712_59:
                                        ; implicit-def: $vgpr13
                                        ; implicit-def: $vgpr14
                                        ; implicit-def: $vgpr15
                                        ; implicit-def: $vgpr16
                                        ; implicit-def: $vgpr17
                                        ; implicit-def: $vgpr18
                                        ; implicit-def: $vgpr19
                                        ; implicit-def: $vgpr20
                                        ; implicit-def: $vgpr21
                                        ; implicit-def: $vgpr38
                                        ; implicit-def: $vgpr39
	s_cbranch_execz .LBB3712_69
; %bb.60:
	s_waitcnt lgkmcnt(0)
	v_mov_b32_dpp v12, v37 row_shr:1 row_mask:0xf bank_mask:0xf
	v_cndmask_b32_e64 v12, v12, 0, s[16:17]
	v_add_u32_e32 v12, v12, v37
	s_nop 1
	v_mov_b32_dpp v13, v12 row_shr:2 row_mask:0xf bank_mask:0xf
	v_cndmask_b32_e64 v13, 0, v13, s[14:15]
	v_add_u32_e32 v12, v12, v13
	s_nop 1
	;; [unrolled: 4-line block ×4, first 2 shown]
	v_mov_b32_dpp v13, v12 row_bcast:15 row_mask:0xf bank_mask:0xf
	v_cndmask_b32_e64 v13, v13, 0, s[8:9]
	v_add_u32_e32 v12, v12, v13
	s_nop 1
	v_mov_b32_dpp v13, v12 row_bcast:31 row_mask:0xf bank_mask:0xf
	v_cndmask_b32_e64 v13, 0, v13, s[2:3]
	v_add_u32_e32 v12, v12, v13
	s_and_saveexec_b64 s[2:3], s[20:21]
	s_cbranch_execz .LBB3712_62
; %bb.61:
	v_lshlrev_b32_e32 v13, 2, v36
	ds_write_b32 v13, v12
.LBB3712_62:
	s_or_b64 exec, exec, s[2:3]
	v_cmp_gt_u32_e32 vcc, 4, v0
	s_waitcnt lgkmcnt(0)
	s_barrier
	s_and_saveexec_b64 s[2:3], vcc
	s_cbranch_execz .LBB3712_64
; %bb.63:
	s_movk_i32 s6, 0xffdc
	v_mad_i32_i24 v13, v0, s6, v29
	ds_read_b32 v14, v13
	v_and_b32_e32 v15, 3, v35
	v_cmp_ne_u32_e32 vcc, 0, v15
	s_waitcnt lgkmcnt(0)
	v_mov_b32_dpp v16, v14 row_shr:1 row_mask:0xf bank_mask:0xf
	v_cndmask_b32_e32 v16, 0, v16, vcc
	v_add_u32_e32 v14, v16, v14
	v_cmp_lt_u32_e32 vcc, 1, v15
	s_nop 0
	v_mov_b32_dpp v16, v14 row_shr:2 row_mask:0xf bank_mask:0xf
	v_cndmask_b32_e32 v15, 0, v16, vcc
	v_add_u32_e32 v14, v14, v15
	ds_write_b32 v13, v14
.LBB3712_64:
	s_or_b64 exec, exec, s[2:3]
	v_cmp_lt_u32_e32 vcc, 63, v0
	v_mov_b32_e32 v13, 0
	v_mov_b32_e32 v14, 0
	s_waitcnt lgkmcnt(0)
	s_barrier
	s_and_saveexec_b64 s[2:3], vcc
	s_cbranch_execz .LBB3712_66
; %bb.65:
	v_lshl_add_u32 v14, v36, 2, -4
	ds_read_b32 v14, v14
.LBB3712_66:
	s_or_b64 exec, exec, s[2:3]
	v_add_u32_e32 v15, -1, v35
	v_and_b32_e32 v16, 64, v35
	v_cmp_lt_i32_e32 vcc, v15, v16
	v_cndmask_b32_e32 v15, v15, v35, vcc
	s_waitcnt lgkmcnt(0)
	v_add_u32_e32 v12, v14, v12
	v_lshlrev_b32_e32 v15, 2, v15
	ds_bpermute_b32 v15, v15, v12
	ds_read_b32 v12, v13 offset:12
	v_cmp_eq_u32_e32 vcc, 0, v0
	s_and_saveexec_b64 s[2:3], vcc
	s_cbranch_execz .LBB3712_68
; %bb.67:
	v_mov_b32_e32 v16, 0
	v_mov_b32_e32 v13, 2
	s_waitcnt lgkmcnt(0)
	global_store_dwordx2 v16, v[12:13], s[34:35] offset:512
.LBB3712_68:
	s_or_b64 exec, exec, s[2:3]
	v_cmp_eq_u32_e64 s[2:3], 0, v35
	s_waitcnt lgkmcnt(1)
	v_cndmask_b32_e64 v14, v15, v14, s[2:3]
	v_cndmask_b32_e64 v39, v14, 0, vcc
	v_add_u32_sdwa v38, v39, v26 dst_sel:DWORD dst_unused:UNUSED_PAD src0_sel:DWORD src1_sel:BYTE_0
	v_add_u32_sdwa v21, v38, v26 dst_sel:DWORD dst_unused:UNUSED_PAD src0_sel:DWORD src1_sel:BYTE_1
	v_add_u32_e32 v20, v21, v30
	v_add_u32_e32 v19, v20, v28
	;; [unrolled: 1-line block ×6, first 2 shown]
	v_mov_b32_e32 v13, 0
	v_add_u32_e32 v14, v15, v34
	s_waitcnt lgkmcnt(0)
	s_barrier
.LBB3712_69:
	s_waitcnt lgkmcnt(0)
	v_add_u32_e32 v23, v12, v23
	v_sub_u32_e32 v31, v39, v13
	v_and_b32_e32 v33, 1, v26
	v_sub_u32_e32 v32, v23, v31
	v_cmp_eq_u32_e32 vcc, 1, v33
	v_cndmask_b32_e32 v31, v32, v31, vcc
	v_lshlrev_b32_e32 v31, 2, v31
	v_lshrrev_b32_e32 v30, 8, v26
	ds_write_b32 v31, v6
	v_sub_u32_e32 v6, v38, v13
	v_sub_u32_e32 v31, v23, v6
	v_and_b32_e32 v30, 1, v30
	v_add_u32_e32 v31, 1, v31
	v_cmp_eq_u32_e32 vcc, 1, v30
	v_cndmask_b32_e32 v6, v31, v6, vcc
	v_lshlrev_b32_e32 v6, 2, v6
	ds_write_b32 v6, v7
	v_sub_u32_e32 v6, v21, v13
	v_mov_b32_e32 v21, 1
	v_sub_u32_e32 v7, v23, v6
	v_and_b32_sdwa v26, v21, v26 dst_sel:DWORD dst_unused:UNUSED_PAD src0_sel:DWORD src1_sel:WORD_1
	v_add_u32_e32 v7, 2, v7
	v_cmp_eq_u32_e32 vcc, 1, v26
	v_cndmask_b32_e32 v6, v7, v6, vcc
	v_lshlrev_b32_e32 v6, 2, v6
	ds_write_b32 v6, v8
	v_sub_u32_e32 v6, v20, v13
	v_sub_u32_e32 v7, v23, v6
	v_and_b32_e32 v8, 1, v28
	v_add_u32_e32 v7, 3, v7
	v_cmp_eq_u32_e32 vcc, 1, v8
	v_cndmask_b32_e32 v6, v7, v6, vcc
	v_lshlrev_b32_e32 v6, 2, v6
	ds_write_b32 v6, v9
	v_sub_u32_e32 v6, v19, v13
	v_sub_u32_e32 v7, v23, v6
	v_and_b32_e32 v8, 1, v25
	v_add_u32_e32 v7, 4, v7
	v_cmp_eq_u32_e32 vcc, 1, v8
	v_cndmask_b32_e32 v6, v7, v6, vcc
	v_lshlrev_b32_e32 v6, 2, v6
	v_lshrrev_b32_e32 v29, 8, v25
	ds_write_b32 v6, v2
	v_sub_u32_e32 v2, v18, v13
	v_sub_u32_e32 v6, v23, v2
	v_and_b32_e32 v7, 1, v29
	v_add_u32_e32 v6, 5, v6
	v_cmp_eq_u32_e32 vcc, 1, v7
	v_cndmask_b32_e32 v2, v6, v2, vcc
	v_lshlrev_b32_e32 v2, 2, v2
	ds_write_b32 v2, v3
	v_sub_u32_e32 v2, v17, v13
	v_sub_u32_e32 v3, v23, v2
	v_and_b32_sdwa v6, v21, v25 dst_sel:DWORD dst_unused:UNUSED_PAD src0_sel:DWORD src1_sel:WORD_1
	v_add_u32_e32 v3, 6, v3
	v_cmp_eq_u32_e32 vcc, 1, v6
	v_cndmask_b32_e32 v2, v3, v2, vcc
	v_lshlrev_b32_e32 v2, 2, v2
	ds_write_b32 v2, v4
	v_sub_u32_e32 v2, v16, v13
	v_sub_u32_e32 v3, v23, v2
	v_and_b32_e32 v4, 1, v27
	v_add_u32_e32 v3, 7, v3
	v_cmp_eq_u32_e32 vcc, 1, v4
	v_cndmask_b32_e32 v2, v3, v2, vcc
	v_lshlrev_b32_e32 v2, 2, v2
	ds_write_b32 v2, v5
	v_sub_u32_e32 v2, v15, v13
	v_sub_u32_e32 v3, v23, v2
	v_and_b32_e32 v4, 1, v24
	;; [unrolled: 8-line block ×3, first 2 shown]
	v_add_u32_e32 v3, 9, v3
	v_cmp_eq_u32_e32 vcc, 1, v4
	v_cndmask_b32_e32 v2, v3, v2, vcc
	v_lshlrev_b32_e32 v2, 2, v2
	ds_write_b32 v2, v11
	v_mov_b32_e32 v2, s31
	v_add_co_u32_e32 v28, vcc, s30, v13
	v_addc_co_u32_e32 v29, vcc, 0, v2, vcc
	s_load_dwordx4 s[4:7], s[4:5], 0x28
	v_add_co_u32_e32 v2, vcc, v28, v12
	v_addc_co_u32_e32 v3, vcc, 0, v29, vcc
	v_mov_b32_e32 v13, s23
	v_sub_co_u32_e32 v18, vcc, s22, v2
	v_subb_co_u32_e32 v19, vcc, v13, v3, vcc
	v_lshlrev_b64 v[18:19], 2, v[18:19]
	s_waitcnt lgkmcnt(0)
	v_mov_b32_e32 v13, s7
	v_add_co_u32_e32 v18, vcc, s6, v18
	s_barrier
	ds_read2st64_b32 v[14:15], v1 offset1:4
	ds_read2st64_b32 v[10:11], v1 offset0:8 offset1:12
	ds_read2st64_b32 v[8:9], v1 offset0:16 offset1:20
	;; [unrolled: 1-line block ×4, first 2 shown]
	v_addc_co_u32_e32 v19, vcc, v13, v19, vcc
	v_mov_b32_e32 v20, s29
	v_add_co_u32_e32 v13, vcc, s28, v18
	v_addc_co_u32_e32 v18, vcc, v19, v20, vcc
	v_lshlrev_b64 v[28:29], 2, v[28:29]
	v_mov_b32_e32 v20, s5
	s_and_b64 vcc, exec, s[0:1]
	v_add_co_u32_e64 v19, s[0:1], s4, v28
	v_or_b32_e32 v27, 0x100, v0
	v_or_b32_e32 v26, 0x200, v0
	;; [unrolled: 1-line block ×9, first 2 shown]
	v_addc_co_u32_e64 v20, s[0:1], v20, v29, s[0:1]
	s_cbranch_vccnz .LBB3712_71
; %bb.70:
	v_cmp_gt_u32_e32 vcc, v12, v0
	v_cndmask_b32_e32 v28, v13, v19, vcc
	v_cndmask_b32_e32 v29, v18, v20, vcc
	v_add_co_u32_e32 v28, vcc, v28, v1
	v_addc_co_u32_e32 v29, vcc, 0, v29, vcc
	v_cmp_lt_u32_e32 vcc, v27, v12
	s_waitcnt lgkmcnt(4)
	global_store_dword v[28:29], v14, off
	v_cndmask_b32_e32 v28, v13, v19, vcc
	v_cndmask_b32_e32 v29, v18, v20, vcc
	v_add_co_u32_e32 v28, vcc, v28, v1
	v_addc_co_u32_e32 v29, vcc, 0, v29, vcc
	v_cmp_lt_u32_e32 vcc, v26, v12
	global_store_dword v[28:29], v15, off offset:1024
	v_cndmask_b32_e32 v28, v13, v19, vcc
	v_cndmask_b32_e32 v29, v18, v20, vcc
	v_add_co_u32_e32 v28, vcc, v28, v1
	v_addc_co_u32_e32 v29, vcc, 0, v29, vcc
	v_cmp_lt_u32_e32 vcc, v25, v12
	s_waitcnt lgkmcnt(3)
	global_store_dword v[28:29], v10, off offset:2048
	v_cndmask_b32_e32 v28, v13, v19, vcc
	v_cndmask_b32_e32 v29, v18, v20, vcc
	v_add_co_u32_e32 v28, vcc, v28, v1
	v_addc_co_u32_e32 v29, vcc, 0, v29, vcc
	v_cmp_lt_u32_e32 vcc, v24, v12
	global_store_dword v[28:29], v11, off offset:3072
	v_cndmask_b32_e32 v28, v13, v19, vcc
	v_lshlrev_b32_e32 v30, 2, v24
	v_cndmask_b32_e32 v29, v18, v20, vcc
	v_add_co_u32_e32 v28, vcc, v28, v30
	v_addc_co_u32_e32 v29, vcc, 0, v29, vcc
	v_cmp_lt_u32_e32 vcc, v23, v12
	s_waitcnt lgkmcnt(2)
	global_store_dword v[28:29], v8, off
	v_cndmask_b32_e32 v28, v13, v19, vcc
	v_lshlrev_b32_e32 v30, 2, v23
	v_cndmask_b32_e32 v29, v18, v20, vcc
	v_add_co_u32_e32 v28, vcc, v28, v30
	v_addc_co_u32_e32 v29, vcc, 0, v29, vcc
	v_cmp_lt_u32_e32 vcc, v22, v12
	global_store_dword v[28:29], v9, off
	v_cndmask_b32_e32 v28, v13, v19, vcc
	v_lshlrev_b32_e32 v30, 2, v22
	v_cndmask_b32_e32 v29, v18, v20, vcc
	v_add_co_u32_e32 v28, vcc, v28, v30
	v_addc_co_u32_e32 v29, vcc, 0, v29, vcc
	v_cmp_lt_u32_e32 vcc, v21, v12
	s_waitcnt lgkmcnt(1)
	global_store_dword v[28:29], v6, off
	v_cndmask_b32_e32 v28, v13, v19, vcc
	v_lshlrev_b32_e32 v30, 2, v21
	v_cndmask_b32_e32 v29, v18, v20, vcc
	v_add_co_u32_e32 v28, vcc, v28, v30
	v_addc_co_u32_e32 v29, vcc, 0, v29, vcc
	v_cmp_lt_u32_e32 vcc, v17, v12
	global_store_dword v[28:29], v7, off
	v_cndmask_b32_e32 v28, v13, v19, vcc
	v_lshlrev_b32_e32 v30, 2, v17
	v_cndmask_b32_e32 v29, v18, v20, vcc
	v_add_co_u32_e32 v28, vcc, v28, v30
	v_addc_co_u32_e32 v29, vcc, 0, v29, vcc
	s_mov_b64 s[0:1], -1
	s_waitcnt lgkmcnt(0)
	global_store_dword v[28:29], v4, off
	s_cbranch_execz .LBB3712_72
	s_branch .LBB3712_83
.LBB3712_71:
	s_mov_b64 s[0:1], 0
.LBB3712_72:
	v_cmp_gt_u32_e32 vcc, s33, v0
	s_and_saveexec_b64 s[0:1], vcc
	s_cbranch_execnz .LBB3712_88
; %bb.73:
	s_or_b64 exec, exec, s[0:1]
	v_cmp_gt_u32_e32 vcc, s33, v27
	s_and_saveexec_b64 s[0:1], vcc
	s_cbranch_execnz .LBB3712_89
.LBB3712_74:
	s_or_b64 exec, exec, s[0:1]
	v_cmp_gt_u32_e32 vcc, s33, v26
	s_and_saveexec_b64 s[0:1], vcc
	s_cbranch_execnz .LBB3712_90
.LBB3712_75:
	s_or_b64 exec, exec, s[0:1]
	v_cmp_gt_u32_e32 vcc, s33, v25
	s_and_saveexec_b64 s[0:1], vcc
	s_cbranch_execnz .LBB3712_91
.LBB3712_76:
	s_or_b64 exec, exec, s[0:1]
	v_cmp_gt_u32_e32 vcc, s33, v24
	s_and_saveexec_b64 s[0:1], vcc
	s_cbranch_execnz .LBB3712_92
.LBB3712_77:
	s_or_b64 exec, exec, s[0:1]
	v_cmp_gt_u32_e32 vcc, s33, v23
	s_and_saveexec_b64 s[0:1], vcc
	s_cbranch_execnz .LBB3712_93
.LBB3712_78:
	s_or_b64 exec, exec, s[0:1]
	v_cmp_gt_u32_e32 vcc, s33, v22
	s_and_saveexec_b64 s[0:1], vcc
	s_cbranch_execnz .LBB3712_94
.LBB3712_79:
	s_or_b64 exec, exec, s[0:1]
	v_cmp_gt_u32_e32 vcc, s33, v21
	s_and_saveexec_b64 s[0:1], vcc
	s_cbranch_execnz .LBB3712_95
.LBB3712_80:
	s_or_b64 exec, exec, s[0:1]
	v_cmp_gt_u32_e32 vcc, s33, v17
	s_and_saveexec_b64 s[0:1], vcc
	s_cbranch_execz .LBB3712_82
.LBB3712_81:
	v_cmp_lt_u32_e32 vcc, v17, v12
	s_waitcnt lgkmcnt(1)
	v_cndmask_b32_e32 v6, v13, v19, vcc
	v_lshlrev_b32_e32 v7, 2, v17
	v_cndmask_b32_e32 v1, v18, v20, vcc
	v_add_co_u32_e32 v6, vcc, v6, v7
	v_addc_co_u32_e32 v7, vcc, 0, v1, vcc
	s_waitcnt lgkmcnt(0)
	global_store_dword v[6:7], v4, off
.LBB3712_82:
	s_or_b64 exec, exec, s[0:1]
	v_cmp_gt_u32_e64 s[0:1], s33, v16
.LBB3712_83:
	s_and_saveexec_b64 s[2:3], s[0:1]
	s_cbranch_execz .LBB3712_85
; %bb.84:
	v_cmp_lt_u32_e32 vcc, v16, v12
	s_waitcnt lgkmcnt(0)
	v_cndmask_b32_e32 v4, v13, v19, vcc
	v_lshlrev_b32_e32 v6, 2, v16
	v_cndmask_b32_e32 v1, v18, v20, vcc
	v_add_co_u32_e32 v6, vcc, v4, v6
	v_addc_co_u32_e32 v7, vcc, 0, v1, vcc
	global_store_dword v[6:7], v5, off
.LBB3712_85:
	s_or_b64 exec, exec, s[2:3]
	v_cmp_eq_u32_e32 vcc, 0, v0
	s_and_b64 s[0:1], vcc, s[26:27]
	s_and_saveexec_b64 s[2:3], s[0:1]
	s_cbranch_execz .LBB3712_87
; %bb.86:
	v_mov_b32_e32 v0, 0
	global_store_dwordx2 v0, v[2:3], s[24:25]
.LBB3712_87:
	s_endpgm
.LBB3712_88:
	v_cmp_gt_u32_e32 vcc, v12, v0
	v_cndmask_b32_e32 v28, v13, v19, vcc
	v_cndmask_b32_e32 v29, v18, v20, vcc
	v_add_co_u32_e32 v28, vcc, v28, v1
	v_addc_co_u32_e32 v29, vcc, 0, v29, vcc
	s_waitcnt lgkmcnt(4)
	global_store_dword v[28:29], v14, off
	s_or_b64 exec, exec, s[0:1]
	v_cmp_gt_u32_e32 vcc, s33, v27
	s_and_saveexec_b64 s[0:1], vcc
	s_cbranch_execz .LBB3712_74
.LBB3712_89:
	v_cmp_lt_u32_e32 vcc, v27, v12
	v_cndmask_b32_e32 v27, v13, v19, vcc
	s_waitcnt lgkmcnt(4)
	v_cndmask_b32_e32 v14, v18, v20, vcc
	v_add_co_u32_e32 v28, vcc, v27, v1
	v_addc_co_u32_e32 v29, vcc, 0, v14, vcc
	global_store_dword v[28:29], v15, off offset:1024
	s_or_b64 exec, exec, s[0:1]
	v_cmp_gt_u32_e32 vcc, s33, v26
	s_and_saveexec_b64 s[0:1], vcc
	s_cbranch_execz .LBB3712_75
.LBB3712_90:
	v_cmp_lt_u32_e32 vcc, v26, v12
	s_waitcnt lgkmcnt(4)
	v_cndmask_b32_e32 v14, v13, v19, vcc
	v_cndmask_b32_e32 v15, v18, v20, vcc
	v_add_co_u32_e32 v14, vcc, v14, v1
	v_addc_co_u32_e32 v15, vcc, 0, v15, vcc
	s_waitcnt lgkmcnt(3)
	global_store_dword v[14:15], v10, off offset:2048
	s_or_b64 exec, exec, s[0:1]
	v_cmp_gt_u32_e32 vcc, s33, v25
	s_and_saveexec_b64 s[0:1], vcc
	s_cbranch_execz .LBB3712_76
.LBB3712_91:
	v_cmp_lt_u32_e32 vcc, v25, v12
	s_waitcnt lgkmcnt(4)
	v_cndmask_b32_e32 v14, v13, v19, vcc
	s_waitcnt lgkmcnt(3)
	v_cndmask_b32_e32 v10, v18, v20, vcc
	v_add_co_u32_e32 v14, vcc, v14, v1
	v_addc_co_u32_e32 v15, vcc, 0, v10, vcc
	global_store_dword v[14:15], v11, off offset:3072
	s_or_b64 exec, exec, s[0:1]
	v_cmp_gt_u32_e32 vcc, s33, v24
	s_and_saveexec_b64 s[0:1], vcc
	s_cbranch_execz .LBB3712_77
.LBB3712_92:
	v_cmp_lt_u32_e32 vcc, v24, v12
	s_waitcnt lgkmcnt(3)
	v_cndmask_b32_e32 v10, v13, v19, vcc
	v_lshlrev_b32_e32 v11, 2, v24
	v_cndmask_b32_e32 v1, v18, v20, vcc
	v_add_co_u32_e32 v10, vcc, v10, v11
	v_addc_co_u32_e32 v11, vcc, 0, v1, vcc
	s_waitcnt lgkmcnt(2)
	global_store_dword v[10:11], v8, off
	s_or_b64 exec, exec, s[0:1]
	v_cmp_gt_u32_e32 vcc, s33, v23
	s_and_saveexec_b64 s[0:1], vcc
	s_cbranch_execz .LBB3712_78
.LBB3712_93:
	v_cmp_lt_u32_e32 vcc, v23, v12
	s_waitcnt lgkmcnt(2)
	v_cndmask_b32_e32 v8, v13, v19, vcc
	v_lshlrev_b32_e32 v10, 2, v23
	v_cndmask_b32_e32 v1, v18, v20, vcc
	v_add_co_u32_e32 v10, vcc, v8, v10
	v_addc_co_u32_e32 v11, vcc, 0, v1, vcc
	global_store_dword v[10:11], v9, off
	s_or_b64 exec, exec, s[0:1]
	v_cmp_gt_u32_e32 vcc, s33, v22
	s_and_saveexec_b64 s[0:1], vcc
	s_cbranch_execz .LBB3712_79
.LBB3712_94:
	v_cmp_lt_u32_e32 vcc, v22, v12
	s_waitcnt lgkmcnt(2)
	v_cndmask_b32_e32 v8, v13, v19, vcc
	v_lshlrev_b32_e32 v9, 2, v22
	v_cndmask_b32_e32 v1, v18, v20, vcc
	v_add_co_u32_e32 v8, vcc, v8, v9
	v_addc_co_u32_e32 v9, vcc, 0, v1, vcc
	s_waitcnt lgkmcnt(1)
	global_store_dword v[8:9], v6, off
	s_or_b64 exec, exec, s[0:1]
	v_cmp_gt_u32_e32 vcc, s33, v21
	s_and_saveexec_b64 s[0:1], vcc
	s_cbranch_execz .LBB3712_80
.LBB3712_95:
	v_cmp_lt_u32_e32 vcc, v21, v12
	s_waitcnt lgkmcnt(1)
	v_cndmask_b32_e32 v6, v13, v19, vcc
	v_lshlrev_b32_e32 v8, 2, v21
	v_cndmask_b32_e32 v1, v18, v20, vcc
	v_add_co_u32_e32 v8, vcc, v6, v8
	v_addc_co_u32_e32 v9, vcc, 0, v1, vcc
	global_store_dword v[8:9], v7, off
	s_or_b64 exec, exec, s[0:1]
	v_cmp_gt_u32_e32 vcc, s33, v17
	s_and_saveexec_b64 s[0:1], vcc
	s_cbranch_execnz .LBB3712_81
	s_branch .LBB3712_82
	.section	.rodata,"a",@progbits
	.p2align	6, 0x0
	.amdhsa_kernel _ZN7rocprim17ROCPRIM_400000_NS6detail17trampoline_kernelINS0_14default_configENS1_25partition_config_selectorILNS1_17partition_subalgoE0EiNS0_10empty_typeEbEEZZNS1_14partition_implILS5_0ELb0ES3_jN6thrust23THRUST_200600_302600_NS10device_ptrIiEEPS6_SD_NS0_5tupleIJSC_SC_EEENSE_IJSD_SD_EEES6_PlJ7is_evenIiEEEE10hipError_tPvRmT3_T4_T5_T6_T7_T9_mT8_P12ihipStream_tbDpT10_ENKUlT_T0_E_clISt17integral_constantIbLb1EES12_IbLb0EEEEDaSY_SZ_EUlSY_E_NS1_11comp_targetILNS1_3genE4ELNS1_11target_archE910ELNS1_3gpuE8ELNS1_3repE0EEENS1_30default_config_static_selectorELNS0_4arch9wavefront6targetE1EEEvT1_
		.amdhsa_group_segment_fixed_size 10248
		.amdhsa_private_segment_fixed_size 0
		.amdhsa_kernarg_size 120
		.amdhsa_user_sgpr_count 6
		.amdhsa_user_sgpr_private_segment_buffer 1
		.amdhsa_user_sgpr_dispatch_ptr 0
		.amdhsa_user_sgpr_queue_ptr 0
		.amdhsa_user_sgpr_kernarg_segment_ptr 1
		.amdhsa_user_sgpr_dispatch_id 0
		.amdhsa_user_sgpr_flat_scratch_init 0
		.amdhsa_user_sgpr_kernarg_preload_length 0
		.amdhsa_user_sgpr_kernarg_preload_offset 0
		.amdhsa_user_sgpr_private_segment_size 0
		.amdhsa_uses_dynamic_stack 0
		.amdhsa_system_sgpr_private_segment_wavefront_offset 0
		.amdhsa_system_sgpr_workgroup_id_x 1
		.amdhsa_system_sgpr_workgroup_id_y 0
		.amdhsa_system_sgpr_workgroup_id_z 0
		.amdhsa_system_sgpr_workgroup_info 0
		.amdhsa_system_vgpr_workitem_id 0
		.amdhsa_next_free_vgpr 54
		.amdhsa_next_free_sgpr 44
		.amdhsa_accum_offset 56
		.amdhsa_reserve_vcc 1
		.amdhsa_reserve_flat_scratch 0
		.amdhsa_float_round_mode_32 0
		.amdhsa_float_round_mode_16_64 0
		.amdhsa_float_denorm_mode_32 3
		.amdhsa_float_denorm_mode_16_64 3
		.amdhsa_dx10_clamp 1
		.amdhsa_ieee_mode 1
		.amdhsa_fp16_overflow 0
		.amdhsa_tg_split 0
		.amdhsa_exception_fp_ieee_invalid_op 0
		.amdhsa_exception_fp_denorm_src 0
		.amdhsa_exception_fp_ieee_div_zero 0
		.amdhsa_exception_fp_ieee_overflow 0
		.amdhsa_exception_fp_ieee_underflow 0
		.amdhsa_exception_fp_ieee_inexact 0
		.amdhsa_exception_int_div_zero 0
	.end_amdhsa_kernel
	.section	.text._ZN7rocprim17ROCPRIM_400000_NS6detail17trampoline_kernelINS0_14default_configENS1_25partition_config_selectorILNS1_17partition_subalgoE0EiNS0_10empty_typeEbEEZZNS1_14partition_implILS5_0ELb0ES3_jN6thrust23THRUST_200600_302600_NS10device_ptrIiEEPS6_SD_NS0_5tupleIJSC_SC_EEENSE_IJSD_SD_EEES6_PlJ7is_evenIiEEEE10hipError_tPvRmT3_T4_T5_T6_T7_T9_mT8_P12ihipStream_tbDpT10_ENKUlT_T0_E_clISt17integral_constantIbLb1EES12_IbLb0EEEEDaSY_SZ_EUlSY_E_NS1_11comp_targetILNS1_3genE4ELNS1_11target_archE910ELNS1_3gpuE8ELNS1_3repE0EEENS1_30default_config_static_selectorELNS0_4arch9wavefront6targetE1EEEvT1_,"axG",@progbits,_ZN7rocprim17ROCPRIM_400000_NS6detail17trampoline_kernelINS0_14default_configENS1_25partition_config_selectorILNS1_17partition_subalgoE0EiNS0_10empty_typeEbEEZZNS1_14partition_implILS5_0ELb0ES3_jN6thrust23THRUST_200600_302600_NS10device_ptrIiEEPS6_SD_NS0_5tupleIJSC_SC_EEENSE_IJSD_SD_EEES6_PlJ7is_evenIiEEEE10hipError_tPvRmT3_T4_T5_T6_T7_T9_mT8_P12ihipStream_tbDpT10_ENKUlT_T0_E_clISt17integral_constantIbLb1EES12_IbLb0EEEEDaSY_SZ_EUlSY_E_NS1_11comp_targetILNS1_3genE4ELNS1_11target_archE910ELNS1_3gpuE8ELNS1_3repE0EEENS1_30default_config_static_selectorELNS0_4arch9wavefront6targetE1EEEvT1_,comdat
.Lfunc_end3712:
	.size	_ZN7rocprim17ROCPRIM_400000_NS6detail17trampoline_kernelINS0_14default_configENS1_25partition_config_selectorILNS1_17partition_subalgoE0EiNS0_10empty_typeEbEEZZNS1_14partition_implILS5_0ELb0ES3_jN6thrust23THRUST_200600_302600_NS10device_ptrIiEEPS6_SD_NS0_5tupleIJSC_SC_EEENSE_IJSD_SD_EEES6_PlJ7is_evenIiEEEE10hipError_tPvRmT3_T4_T5_T6_T7_T9_mT8_P12ihipStream_tbDpT10_ENKUlT_T0_E_clISt17integral_constantIbLb1EES12_IbLb0EEEEDaSY_SZ_EUlSY_E_NS1_11comp_targetILNS1_3genE4ELNS1_11target_archE910ELNS1_3gpuE8ELNS1_3repE0EEENS1_30default_config_static_selectorELNS0_4arch9wavefront6targetE1EEEvT1_, .Lfunc_end3712-_ZN7rocprim17ROCPRIM_400000_NS6detail17trampoline_kernelINS0_14default_configENS1_25partition_config_selectorILNS1_17partition_subalgoE0EiNS0_10empty_typeEbEEZZNS1_14partition_implILS5_0ELb0ES3_jN6thrust23THRUST_200600_302600_NS10device_ptrIiEEPS6_SD_NS0_5tupleIJSC_SC_EEENSE_IJSD_SD_EEES6_PlJ7is_evenIiEEEE10hipError_tPvRmT3_T4_T5_T6_T7_T9_mT8_P12ihipStream_tbDpT10_ENKUlT_T0_E_clISt17integral_constantIbLb1EES12_IbLb0EEEEDaSY_SZ_EUlSY_E_NS1_11comp_targetILNS1_3genE4ELNS1_11target_archE910ELNS1_3gpuE8ELNS1_3repE0EEENS1_30default_config_static_selectorELNS0_4arch9wavefront6targetE1EEEvT1_
                                        ; -- End function
	.section	.AMDGPU.csdata,"",@progbits
; Kernel info:
; codeLenInByte = 5128
; NumSgprs: 48
; NumVgprs: 54
; NumAgprs: 0
; TotalNumVgprs: 54
; ScratchSize: 0
; MemoryBound: 0
; FloatMode: 240
; IeeeMode: 1
; LDSByteSize: 10248 bytes/workgroup (compile time only)
; SGPRBlocks: 5
; VGPRBlocks: 6
; NumSGPRsForWavesPerEU: 48
; NumVGPRsForWavesPerEU: 54
; AccumOffset: 56
; Occupancy: 6
; WaveLimiterHint : 1
; COMPUTE_PGM_RSRC2:SCRATCH_EN: 0
; COMPUTE_PGM_RSRC2:USER_SGPR: 6
; COMPUTE_PGM_RSRC2:TRAP_HANDLER: 0
; COMPUTE_PGM_RSRC2:TGID_X_EN: 1
; COMPUTE_PGM_RSRC2:TGID_Y_EN: 0
; COMPUTE_PGM_RSRC2:TGID_Z_EN: 0
; COMPUTE_PGM_RSRC2:TIDIG_COMP_CNT: 0
; COMPUTE_PGM_RSRC3_GFX90A:ACCUM_OFFSET: 13
; COMPUTE_PGM_RSRC3_GFX90A:TG_SPLIT: 0
	.section	.text._ZN7rocprim17ROCPRIM_400000_NS6detail17trampoline_kernelINS0_14default_configENS1_25partition_config_selectorILNS1_17partition_subalgoE0EiNS0_10empty_typeEbEEZZNS1_14partition_implILS5_0ELb0ES3_jN6thrust23THRUST_200600_302600_NS10device_ptrIiEEPS6_SD_NS0_5tupleIJSC_SC_EEENSE_IJSD_SD_EEES6_PlJ7is_evenIiEEEE10hipError_tPvRmT3_T4_T5_T6_T7_T9_mT8_P12ihipStream_tbDpT10_ENKUlT_T0_E_clISt17integral_constantIbLb1EES12_IbLb0EEEEDaSY_SZ_EUlSY_E_NS1_11comp_targetILNS1_3genE3ELNS1_11target_archE908ELNS1_3gpuE7ELNS1_3repE0EEENS1_30default_config_static_selectorELNS0_4arch9wavefront6targetE1EEEvT1_,"axG",@progbits,_ZN7rocprim17ROCPRIM_400000_NS6detail17trampoline_kernelINS0_14default_configENS1_25partition_config_selectorILNS1_17partition_subalgoE0EiNS0_10empty_typeEbEEZZNS1_14partition_implILS5_0ELb0ES3_jN6thrust23THRUST_200600_302600_NS10device_ptrIiEEPS6_SD_NS0_5tupleIJSC_SC_EEENSE_IJSD_SD_EEES6_PlJ7is_evenIiEEEE10hipError_tPvRmT3_T4_T5_T6_T7_T9_mT8_P12ihipStream_tbDpT10_ENKUlT_T0_E_clISt17integral_constantIbLb1EES12_IbLb0EEEEDaSY_SZ_EUlSY_E_NS1_11comp_targetILNS1_3genE3ELNS1_11target_archE908ELNS1_3gpuE7ELNS1_3repE0EEENS1_30default_config_static_selectorELNS0_4arch9wavefront6targetE1EEEvT1_,comdat
	.protected	_ZN7rocprim17ROCPRIM_400000_NS6detail17trampoline_kernelINS0_14default_configENS1_25partition_config_selectorILNS1_17partition_subalgoE0EiNS0_10empty_typeEbEEZZNS1_14partition_implILS5_0ELb0ES3_jN6thrust23THRUST_200600_302600_NS10device_ptrIiEEPS6_SD_NS0_5tupleIJSC_SC_EEENSE_IJSD_SD_EEES6_PlJ7is_evenIiEEEE10hipError_tPvRmT3_T4_T5_T6_T7_T9_mT8_P12ihipStream_tbDpT10_ENKUlT_T0_E_clISt17integral_constantIbLb1EES12_IbLb0EEEEDaSY_SZ_EUlSY_E_NS1_11comp_targetILNS1_3genE3ELNS1_11target_archE908ELNS1_3gpuE7ELNS1_3repE0EEENS1_30default_config_static_selectorELNS0_4arch9wavefront6targetE1EEEvT1_ ; -- Begin function _ZN7rocprim17ROCPRIM_400000_NS6detail17trampoline_kernelINS0_14default_configENS1_25partition_config_selectorILNS1_17partition_subalgoE0EiNS0_10empty_typeEbEEZZNS1_14partition_implILS5_0ELb0ES3_jN6thrust23THRUST_200600_302600_NS10device_ptrIiEEPS6_SD_NS0_5tupleIJSC_SC_EEENSE_IJSD_SD_EEES6_PlJ7is_evenIiEEEE10hipError_tPvRmT3_T4_T5_T6_T7_T9_mT8_P12ihipStream_tbDpT10_ENKUlT_T0_E_clISt17integral_constantIbLb1EES12_IbLb0EEEEDaSY_SZ_EUlSY_E_NS1_11comp_targetILNS1_3genE3ELNS1_11target_archE908ELNS1_3gpuE7ELNS1_3repE0EEENS1_30default_config_static_selectorELNS0_4arch9wavefront6targetE1EEEvT1_
	.globl	_ZN7rocprim17ROCPRIM_400000_NS6detail17trampoline_kernelINS0_14default_configENS1_25partition_config_selectorILNS1_17partition_subalgoE0EiNS0_10empty_typeEbEEZZNS1_14partition_implILS5_0ELb0ES3_jN6thrust23THRUST_200600_302600_NS10device_ptrIiEEPS6_SD_NS0_5tupleIJSC_SC_EEENSE_IJSD_SD_EEES6_PlJ7is_evenIiEEEE10hipError_tPvRmT3_T4_T5_T6_T7_T9_mT8_P12ihipStream_tbDpT10_ENKUlT_T0_E_clISt17integral_constantIbLb1EES12_IbLb0EEEEDaSY_SZ_EUlSY_E_NS1_11comp_targetILNS1_3genE3ELNS1_11target_archE908ELNS1_3gpuE7ELNS1_3repE0EEENS1_30default_config_static_selectorELNS0_4arch9wavefront6targetE1EEEvT1_
	.p2align	8
	.type	_ZN7rocprim17ROCPRIM_400000_NS6detail17trampoline_kernelINS0_14default_configENS1_25partition_config_selectorILNS1_17partition_subalgoE0EiNS0_10empty_typeEbEEZZNS1_14partition_implILS5_0ELb0ES3_jN6thrust23THRUST_200600_302600_NS10device_ptrIiEEPS6_SD_NS0_5tupleIJSC_SC_EEENSE_IJSD_SD_EEES6_PlJ7is_evenIiEEEE10hipError_tPvRmT3_T4_T5_T6_T7_T9_mT8_P12ihipStream_tbDpT10_ENKUlT_T0_E_clISt17integral_constantIbLb1EES12_IbLb0EEEEDaSY_SZ_EUlSY_E_NS1_11comp_targetILNS1_3genE3ELNS1_11target_archE908ELNS1_3gpuE7ELNS1_3repE0EEENS1_30default_config_static_selectorELNS0_4arch9wavefront6targetE1EEEvT1_,@function
_ZN7rocprim17ROCPRIM_400000_NS6detail17trampoline_kernelINS0_14default_configENS1_25partition_config_selectorILNS1_17partition_subalgoE0EiNS0_10empty_typeEbEEZZNS1_14partition_implILS5_0ELb0ES3_jN6thrust23THRUST_200600_302600_NS10device_ptrIiEEPS6_SD_NS0_5tupleIJSC_SC_EEENSE_IJSD_SD_EEES6_PlJ7is_evenIiEEEE10hipError_tPvRmT3_T4_T5_T6_T7_T9_mT8_P12ihipStream_tbDpT10_ENKUlT_T0_E_clISt17integral_constantIbLb1EES12_IbLb0EEEEDaSY_SZ_EUlSY_E_NS1_11comp_targetILNS1_3genE3ELNS1_11target_archE908ELNS1_3gpuE7ELNS1_3repE0EEENS1_30default_config_static_selectorELNS0_4arch9wavefront6targetE1EEEvT1_: ; @_ZN7rocprim17ROCPRIM_400000_NS6detail17trampoline_kernelINS0_14default_configENS1_25partition_config_selectorILNS1_17partition_subalgoE0EiNS0_10empty_typeEbEEZZNS1_14partition_implILS5_0ELb0ES3_jN6thrust23THRUST_200600_302600_NS10device_ptrIiEEPS6_SD_NS0_5tupleIJSC_SC_EEENSE_IJSD_SD_EEES6_PlJ7is_evenIiEEEE10hipError_tPvRmT3_T4_T5_T6_T7_T9_mT8_P12ihipStream_tbDpT10_ENKUlT_T0_E_clISt17integral_constantIbLb1EES12_IbLb0EEEEDaSY_SZ_EUlSY_E_NS1_11comp_targetILNS1_3genE3ELNS1_11target_archE908ELNS1_3gpuE7ELNS1_3repE0EEENS1_30default_config_static_selectorELNS0_4arch9wavefront6targetE1EEEvT1_
; %bb.0:
	.section	.rodata,"a",@progbits
	.p2align	6, 0x0
	.amdhsa_kernel _ZN7rocprim17ROCPRIM_400000_NS6detail17trampoline_kernelINS0_14default_configENS1_25partition_config_selectorILNS1_17partition_subalgoE0EiNS0_10empty_typeEbEEZZNS1_14partition_implILS5_0ELb0ES3_jN6thrust23THRUST_200600_302600_NS10device_ptrIiEEPS6_SD_NS0_5tupleIJSC_SC_EEENSE_IJSD_SD_EEES6_PlJ7is_evenIiEEEE10hipError_tPvRmT3_T4_T5_T6_T7_T9_mT8_P12ihipStream_tbDpT10_ENKUlT_T0_E_clISt17integral_constantIbLb1EES12_IbLb0EEEEDaSY_SZ_EUlSY_E_NS1_11comp_targetILNS1_3genE3ELNS1_11target_archE908ELNS1_3gpuE7ELNS1_3repE0EEENS1_30default_config_static_selectorELNS0_4arch9wavefront6targetE1EEEvT1_
		.amdhsa_group_segment_fixed_size 0
		.amdhsa_private_segment_fixed_size 0
		.amdhsa_kernarg_size 120
		.amdhsa_user_sgpr_count 6
		.amdhsa_user_sgpr_private_segment_buffer 1
		.amdhsa_user_sgpr_dispatch_ptr 0
		.amdhsa_user_sgpr_queue_ptr 0
		.amdhsa_user_sgpr_kernarg_segment_ptr 1
		.amdhsa_user_sgpr_dispatch_id 0
		.amdhsa_user_sgpr_flat_scratch_init 0
		.amdhsa_user_sgpr_kernarg_preload_length 0
		.amdhsa_user_sgpr_kernarg_preload_offset 0
		.amdhsa_user_sgpr_private_segment_size 0
		.amdhsa_uses_dynamic_stack 0
		.amdhsa_system_sgpr_private_segment_wavefront_offset 0
		.amdhsa_system_sgpr_workgroup_id_x 1
		.amdhsa_system_sgpr_workgroup_id_y 0
		.amdhsa_system_sgpr_workgroup_id_z 0
		.amdhsa_system_sgpr_workgroup_info 0
		.amdhsa_system_vgpr_workitem_id 0
		.amdhsa_next_free_vgpr 1
		.amdhsa_next_free_sgpr 0
		.amdhsa_accum_offset 4
		.amdhsa_reserve_vcc 0
		.amdhsa_reserve_flat_scratch 0
		.amdhsa_float_round_mode_32 0
		.amdhsa_float_round_mode_16_64 0
		.amdhsa_float_denorm_mode_32 3
		.amdhsa_float_denorm_mode_16_64 3
		.amdhsa_dx10_clamp 1
		.amdhsa_ieee_mode 1
		.amdhsa_fp16_overflow 0
		.amdhsa_tg_split 0
		.amdhsa_exception_fp_ieee_invalid_op 0
		.amdhsa_exception_fp_denorm_src 0
		.amdhsa_exception_fp_ieee_div_zero 0
		.amdhsa_exception_fp_ieee_overflow 0
		.amdhsa_exception_fp_ieee_underflow 0
		.amdhsa_exception_fp_ieee_inexact 0
		.amdhsa_exception_int_div_zero 0
	.end_amdhsa_kernel
	.section	.text._ZN7rocprim17ROCPRIM_400000_NS6detail17trampoline_kernelINS0_14default_configENS1_25partition_config_selectorILNS1_17partition_subalgoE0EiNS0_10empty_typeEbEEZZNS1_14partition_implILS5_0ELb0ES3_jN6thrust23THRUST_200600_302600_NS10device_ptrIiEEPS6_SD_NS0_5tupleIJSC_SC_EEENSE_IJSD_SD_EEES6_PlJ7is_evenIiEEEE10hipError_tPvRmT3_T4_T5_T6_T7_T9_mT8_P12ihipStream_tbDpT10_ENKUlT_T0_E_clISt17integral_constantIbLb1EES12_IbLb0EEEEDaSY_SZ_EUlSY_E_NS1_11comp_targetILNS1_3genE3ELNS1_11target_archE908ELNS1_3gpuE7ELNS1_3repE0EEENS1_30default_config_static_selectorELNS0_4arch9wavefront6targetE1EEEvT1_,"axG",@progbits,_ZN7rocprim17ROCPRIM_400000_NS6detail17trampoline_kernelINS0_14default_configENS1_25partition_config_selectorILNS1_17partition_subalgoE0EiNS0_10empty_typeEbEEZZNS1_14partition_implILS5_0ELb0ES3_jN6thrust23THRUST_200600_302600_NS10device_ptrIiEEPS6_SD_NS0_5tupleIJSC_SC_EEENSE_IJSD_SD_EEES6_PlJ7is_evenIiEEEE10hipError_tPvRmT3_T4_T5_T6_T7_T9_mT8_P12ihipStream_tbDpT10_ENKUlT_T0_E_clISt17integral_constantIbLb1EES12_IbLb0EEEEDaSY_SZ_EUlSY_E_NS1_11comp_targetILNS1_3genE3ELNS1_11target_archE908ELNS1_3gpuE7ELNS1_3repE0EEENS1_30default_config_static_selectorELNS0_4arch9wavefront6targetE1EEEvT1_,comdat
.Lfunc_end3713:
	.size	_ZN7rocprim17ROCPRIM_400000_NS6detail17trampoline_kernelINS0_14default_configENS1_25partition_config_selectorILNS1_17partition_subalgoE0EiNS0_10empty_typeEbEEZZNS1_14partition_implILS5_0ELb0ES3_jN6thrust23THRUST_200600_302600_NS10device_ptrIiEEPS6_SD_NS0_5tupleIJSC_SC_EEENSE_IJSD_SD_EEES6_PlJ7is_evenIiEEEE10hipError_tPvRmT3_T4_T5_T6_T7_T9_mT8_P12ihipStream_tbDpT10_ENKUlT_T0_E_clISt17integral_constantIbLb1EES12_IbLb0EEEEDaSY_SZ_EUlSY_E_NS1_11comp_targetILNS1_3genE3ELNS1_11target_archE908ELNS1_3gpuE7ELNS1_3repE0EEENS1_30default_config_static_selectorELNS0_4arch9wavefront6targetE1EEEvT1_, .Lfunc_end3713-_ZN7rocprim17ROCPRIM_400000_NS6detail17trampoline_kernelINS0_14default_configENS1_25partition_config_selectorILNS1_17partition_subalgoE0EiNS0_10empty_typeEbEEZZNS1_14partition_implILS5_0ELb0ES3_jN6thrust23THRUST_200600_302600_NS10device_ptrIiEEPS6_SD_NS0_5tupleIJSC_SC_EEENSE_IJSD_SD_EEES6_PlJ7is_evenIiEEEE10hipError_tPvRmT3_T4_T5_T6_T7_T9_mT8_P12ihipStream_tbDpT10_ENKUlT_T0_E_clISt17integral_constantIbLb1EES12_IbLb0EEEEDaSY_SZ_EUlSY_E_NS1_11comp_targetILNS1_3genE3ELNS1_11target_archE908ELNS1_3gpuE7ELNS1_3repE0EEENS1_30default_config_static_selectorELNS0_4arch9wavefront6targetE1EEEvT1_
                                        ; -- End function
	.section	.AMDGPU.csdata,"",@progbits
; Kernel info:
; codeLenInByte = 0
; NumSgprs: 4
; NumVgprs: 0
; NumAgprs: 0
; TotalNumVgprs: 0
; ScratchSize: 0
; MemoryBound: 0
; FloatMode: 240
; IeeeMode: 1
; LDSByteSize: 0 bytes/workgroup (compile time only)
; SGPRBlocks: 0
; VGPRBlocks: 0
; NumSGPRsForWavesPerEU: 4
; NumVGPRsForWavesPerEU: 1
; AccumOffset: 4
; Occupancy: 8
; WaveLimiterHint : 0
; COMPUTE_PGM_RSRC2:SCRATCH_EN: 0
; COMPUTE_PGM_RSRC2:USER_SGPR: 6
; COMPUTE_PGM_RSRC2:TRAP_HANDLER: 0
; COMPUTE_PGM_RSRC2:TGID_X_EN: 1
; COMPUTE_PGM_RSRC2:TGID_Y_EN: 0
; COMPUTE_PGM_RSRC2:TGID_Z_EN: 0
; COMPUTE_PGM_RSRC2:TIDIG_COMP_CNT: 0
; COMPUTE_PGM_RSRC3_GFX90A:ACCUM_OFFSET: 0
; COMPUTE_PGM_RSRC3_GFX90A:TG_SPLIT: 0
	.section	.text._ZN7rocprim17ROCPRIM_400000_NS6detail17trampoline_kernelINS0_14default_configENS1_25partition_config_selectorILNS1_17partition_subalgoE0EiNS0_10empty_typeEbEEZZNS1_14partition_implILS5_0ELb0ES3_jN6thrust23THRUST_200600_302600_NS10device_ptrIiEEPS6_SD_NS0_5tupleIJSC_SC_EEENSE_IJSD_SD_EEES6_PlJ7is_evenIiEEEE10hipError_tPvRmT3_T4_T5_T6_T7_T9_mT8_P12ihipStream_tbDpT10_ENKUlT_T0_E_clISt17integral_constantIbLb1EES12_IbLb0EEEEDaSY_SZ_EUlSY_E_NS1_11comp_targetILNS1_3genE2ELNS1_11target_archE906ELNS1_3gpuE6ELNS1_3repE0EEENS1_30default_config_static_selectorELNS0_4arch9wavefront6targetE1EEEvT1_,"axG",@progbits,_ZN7rocprim17ROCPRIM_400000_NS6detail17trampoline_kernelINS0_14default_configENS1_25partition_config_selectorILNS1_17partition_subalgoE0EiNS0_10empty_typeEbEEZZNS1_14partition_implILS5_0ELb0ES3_jN6thrust23THRUST_200600_302600_NS10device_ptrIiEEPS6_SD_NS0_5tupleIJSC_SC_EEENSE_IJSD_SD_EEES6_PlJ7is_evenIiEEEE10hipError_tPvRmT3_T4_T5_T6_T7_T9_mT8_P12ihipStream_tbDpT10_ENKUlT_T0_E_clISt17integral_constantIbLb1EES12_IbLb0EEEEDaSY_SZ_EUlSY_E_NS1_11comp_targetILNS1_3genE2ELNS1_11target_archE906ELNS1_3gpuE6ELNS1_3repE0EEENS1_30default_config_static_selectorELNS0_4arch9wavefront6targetE1EEEvT1_,comdat
	.protected	_ZN7rocprim17ROCPRIM_400000_NS6detail17trampoline_kernelINS0_14default_configENS1_25partition_config_selectorILNS1_17partition_subalgoE0EiNS0_10empty_typeEbEEZZNS1_14partition_implILS5_0ELb0ES3_jN6thrust23THRUST_200600_302600_NS10device_ptrIiEEPS6_SD_NS0_5tupleIJSC_SC_EEENSE_IJSD_SD_EEES6_PlJ7is_evenIiEEEE10hipError_tPvRmT3_T4_T5_T6_T7_T9_mT8_P12ihipStream_tbDpT10_ENKUlT_T0_E_clISt17integral_constantIbLb1EES12_IbLb0EEEEDaSY_SZ_EUlSY_E_NS1_11comp_targetILNS1_3genE2ELNS1_11target_archE906ELNS1_3gpuE6ELNS1_3repE0EEENS1_30default_config_static_selectorELNS0_4arch9wavefront6targetE1EEEvT1_ ; -- Begin function _ZN7rocprim17ROCPRIM_400000_NS6detail17trampoline_kernelINS0_14default_configENS1_25partition_config_selectorILNS1_17partition_subalgoE0EiNS0_10empty_typeEbEEZZNS1_14partition_implILS5_0ELb0ES3_jN6thrust23THRUST_200600_302600_NS10device_ptrIiEEPS6_SD_NS0_5tupleIJSC_SC_EEENSE_IJSD_SD_EEES6_PlJ7is_evenIiEEEE10hipError_tPvRmT3_T4_T5_T6_T7_T9_mT8_P12ihipStream_tbDpT10_ENKUlT_T0_E_clISt17integral_constantIbLb1EES12_IbLb0EEEEDaSY_SZ_EUlSY_E_NS1_11comp_targetILNS1_3genE2ELNS1_11target_archE906ELNS1_3gpuE6ELNS1_3repE0EEENS1_30default_config_static_selectorELNS0_4arch9wavefront6targetE1EEEvT1_
	.globl	_ZN7rocprim17ROCPRIM_400000_NS6detail17trampoline_kernelINS0_14default_configENS1_25partition_config_selectorILNS1_17partition_subalgoE0EiNS0_10empty_typeEbEEZZNS1_14partition_implILS5_0ELb0ES3_jN6thrust23THRUST_200600_302600_NS10device_ptrIiEEPS6_SD_NS0_5tupleIJSC_SC_EEENSE_IJSD_SD_EEES6_PlJ7is_evenIiEEEE10hipError_tPvRmT3_T4_T5_T6_T7_T9_mT8_P12ihipStream_tbDpT10_ENKUlT_T0_E_clISt17integral_constantIbLb1EES12_IbLb0EEEEDaSY_SZ_EUlSY_E_NS1_11comp_targetILNS1_3genE2ELNS1_11target_archE906ELNS1_3gpuE6ELNS1_3repE0EEENS1_30default_config_static_selectorELNS0_4arch9wavefront6targetE1EEEvT1_
	.p2align	8
	.type	_ZN7rocprim17ROCPRIM_400000_NS6detail17trampoline_kernelINS0_14default_configENS1_25partition_config_selectorILNS1_17partition_subalgoE0EiNS0_10empty_typeEbEEZZNS1_14partition_implILS5_0ELb0ES3_jN6thrust23THRUST_200600_302600_NS10device_ptrIiEEPS6_SD_NS0_5tupleIJSC_SC_EEENSE_IJSD_SD_EEES6_PlJ7is_evenIiEEEE10hipError_tPvRmT3_T4_T5_T6_T7_T9_mT8_P12ihipStream_tbDpT10_ENKUlT_T0_E_clISt17integral_constantIbLb1EES12_IbLb0EEEEDaSY_SZ_EUlSY_E_NS1_11comp_targetILNS1_3genE2ELNS1_11target_archE906ELNS1_3gpuE6ELNS1_3repE0EEENS1_30default_config_static_selectorELNS0_4arch9wavefront6targetE1EEEvT1_,@function
_ZN7rocprim17ROCPRIM_400000_NS6detail17trampoline_kernelINS0_14default_configENS1_25partition_config_selectorILNS1_17partition_subalgoE0EiNS0_10empty_typeEbEEZZNS1_14partition_implILS5_0ELb0ES3_jN6thrust23THRUST_200600_302600_NS10device_ptrIiEEPS6_SD_NS0_5tupleIJSC_SC_EEENSE_IJSD_SD_EEES6_PlJ7is_evenIiEEEE10hipError_tPvRmT3_T4_T5_T6_T7_T9_mT8_P12ihipStream_tbDpT10_ENKUlT_T0_E_clISt17integral_constantIbLb1EES12_IbLb0EEEEDaSY_SZ_EUlSY_E_NS1_11comp_targetILNS1_3genE2ELNS1_11target_archE906ELNS1_3gpuE6ELNS1_3repE0EEENS1_30default_config_static_selectorELNS0_4arch9wavefront6targetE1EEEvT1_: ; @_ZN7rocprim17ROCPRIM_400000_NS6detail17trampoline_kernelINS0_14default_configENS1_25partition_config_selectorILNS1_17partition_subalgoE0EiNS0_10empty_typeEbEEZZNS1_14partition_implILS5_0ELb0ES3_jN6thrust23THRUST_200600_302600_NS10device_ptrIiEEPS6_SD_NS0_5tupleIJSC_SC_EEENSE_IJSD_SD_EEES6_PlJ7is_evenIiEEEE10hipError_tPvRmT3_T4_T5_T6_T7_T9_mT8_P12ihipStream_tbDpT10_ENKUlT_T0_E_clISt17integral_constantIbLb1EES12_IbLb0EEEEDaSY_SZ_EUlSY_E_NS1_11comp_targetILNS1_3genE2ELNS1_11target_archE906ELNS1_3gpuE6ELNS1_3repE0EEENS1_30default_config_static_selectorELNS0_4arch9wavefront6targetE1EEEvT1_
; %bb.0:
	.section	.rodata,"a",@progbits
	.p2align	6, 0x0
	.amdhsa_kernel _ZN7rocprim17ROCPRIM_400000_NS6detail17trampoline_kernelINS0_14default_configENS1_25partition_config_selectorILNS1_17partition_subalgoE0EiNS0_10empty_typeEbEEZZNS1_14partition_implILS5_0ELb0ES3_jN6thrust23THRUST_200600_302600_NS10device_ptrIiEEPS6_SD_NS0_5tupleIJSC_SC_EEENSE_IJSD_SD_EEES6_PlJ7is_evenIiEEEE10hipError_tPvRmT3_T4_T5_T6_T7_T9_mT8_P12ihipStream_tbDpT10_ENKUlT_T0_E_clISt17integral_constantIbLb1EES12_IbLb0EEEEDaSY_SZ_EUlSY_E_NS1_11comp_targetILNS1_3genE2ELNS1_11target_archE906ELNS1_3gpuE6ELNS1_3repE0EEENS1_30default_config_static_selectorELNS0_4arch9wavefront6targetE1EEEvT1_
		.amdhsa_group_segment_fixed_size 0
		.amdhsa_private_segment_fixed_size 0
		.amdhsa_kernarg_size 120
		.amdhsa_user_sgpr_count 6
		.amdhsa_user_sgpr_private_segment_buffer 1
		.amdhsa_user_sgpr_dispatch_ptr 0
		.amdhsa_user_sgpr_queue_ptr 0
		.amdhsa_user_sgpr_kernarg_segment_ptr 1
		.amdhsa_user_sgpr_dispatch_id 0
		.amdhsa_user_sgpr_flat_scratch_init 0
		.amdhsa_user_sgpr_kernarg_preload_length 0
		.amdhsa_user_sgpr_kernarg_preload_offset 0
		.amdhsa_user_sgpr_private_segment_size 0
		.amdhsa_uses_dynamic_stack 0
		.amdhsa_system_sgpr_private_segment_wavefront_offset 0
		.amdhsa_system_sgpr_workgroup_id_x 1
		.amdhsa_system_sgpr_workgroup_id_y 0
		.amdhsa_system_sgpr_workgroup_id_z 0
		.amdhsa_system_sgpr_workgroup_info 0
		.amdhsa_system_vgpr_workitem_id 0
		.amdhsa_next_free_vgpr 1
		.amdhsa_next_free_sgpr 0
		.amdhsa_accum_offset 4
		.amdhsa_reserve_vcc 0
		.amdhsa_reserve_flat_scratch 0
		.amdhsa_float_round_mode_32 0
		.amdhsa_float_round_mode_16_64 0
		.amdhsa_float_denorm_mode_32 3
		.amdhsa_float_denorm_mode_16_64 3
		.amdhsa_dx10_clamp 1
		.amdhsa_ieee_mode 1
		.amdhsa_fp16_overflow 0
		.amdhsa_tg_split 0
		.amdhsa_exception_fp_ieee_invalid_op 0
		.amdhsa_exception_fp_denorm_src 0
		.amdhsa_exception_fp_ieee_div_zero 0
		.amdhsa_exception_fp_ieee_overflow 0
		.amdhsa_exception_fp_ieee_underflow 0
		.amdhsa_exception_fp_ieee_inexact 0
		.amdhsa_exception_int_div_zero 0
	.end_amdhsa_kernel
	.section	.text._ZN7rocprim17ROCPRIM_400000_NS6detail17trampoline_kernelINS0_14default_configENS1_25partition_config_selectorILNS1_17partition_subalgoE0EiNS0_10empty_typeEbEEZZNS1_14partition_implILS5_0ELb0ES3_jN6thrust23THRUST_200600_302600_NS10device_ptrIiEEPS6_SD_NS0_5tupleIJSC_SC_EEENSE_IJSD_SD_EEES6_PlJ7is_evenIiEEEE10hipError_tPvRmT3_T4_T5_T6_T7_T9_mT8_P12ihipStream_tbDpT10_ENKUlT_T0_E_clISt17integral_constantIbLb1EES12_IbLb0EEEEDaSY_SZ_EUlSY_E_NS1_11comp_targetILNS1_3genE2ELNS1_11target_archE906ELNS1_3gpuE6ELNS1_3repE0EEENS1_30default_config_static_selectorELNS0_4arch9wavefront6targetE1EEEvT1_,"axG",@progbits,_ZN7rocprim17ROCPRIM_400000_NS6detail17trampoline_kernelINS0_14default_configENS1_25partition_config_selectorILNS1_17partition_subalgoE0EiNS0_10empty_typeEbEEZZNS1_14partition_implILS5_0ELb0ES3_jN6thrust23THRUST_200600_302600_NS10device_ptrIiEEPS6_SD_NS0_5tupleIJSC_SC_EEENSE_IJSD_SD_EEES6_PlJ7is_evenIiEEEE10hipError_tPvRmT3_T4_T5_T6_T7_T9_mT8_P12ihipStream_tbDpT10_ENKUlT_T0_E_clISt17integral_constantIbLb1EES12_IbLb0EEEEDaSY_SZ_EUlSY_E_NS1_11comp_targetILNS1_3genE2ELNS1_11target_archE906ELNS1_3gpuE6ELNS1_3repE0EEENS1_30default_config_static_selectorELNS0_4arch9wavefront6targetE1EEEvT1_,comdat
.Lfunc_end3714:
	.size	_ZN7rocprim17ROCPRIM_400000_NS6detail17trampoline_kernelINS0_14default_configENS1_25partition_config_selectorILNS1_17partition_subalgoE0EiNS0_10empty_typeEbEEZZNS1_14partition_implILS5_0ELb0ES3_jN6thrust23THRUST_200600_302600_NS10device_ptrIiEEPS6_SD_NS0_5tupleIJSC_SC_EEENSE_IJSD_SD_EEES6_PlJ7is_evenIiEEEE10hipError_tPvRmT3_T4_T5_T6_T7_T9_mT8_P12ihipStream_tbDpT10_ENKUlT_T0_E_clISt17integral_constantIbLb1EES12_IbLb0EEEEDaSY_SZ_EUlSY_E_NS1_11comp_targetILNS1_3genE2ELNS1_11target_archE906ELNS1_3gpuE6ELNS1_3repE0EEENS1_30default_config_static_selectorELNS0_4arch9wavefront6targetE1EEEvT1_, .Lfunc_end3714-_ZN7rocprim17ROCPRIM_400000_NS6detail17trampoline_kernelINS0_14default_configENS1_25partition_config_selectorILNS1_17partition_subalgoE0EiNS0_10empty_typeEbEEZZNS1_14partition_implILS5_0ELb0ES3_jN6thrust23THRUST_200600_302600_NS10device_ptrIiEEPS6_SD_NS0_5tupleIJSC_SC_EEENSE_IJSD_SD_EEES6_PlJ7is_evenIiEEEE10hipError_tPvRmT3_T4_T5_T6_T7_T9_mT8_P12ihipStream_tbDpT10_ENKUlT_T0_E_clISt17integral_constantIbLb1EES12_IbLb0EEEEDaSY_SZ_EUlSY_E_NS1_11comp_targetILNS1_3genE2ELNS1_11target_archE906ELNS1_3gpuE6ELNS1_3repE0EEENS1_30default_config_static_selectorELNS0_4arch9wavefront6targetE1EEEvT1_
                                        ; -- End function
	.section	.AMDGPU.csdata,"",@progbits
; Kernel info:
; codeLenInByte = 0
; NumSgprs: 4
; NumVgprs: 0
; NumAgprs: 0
; TotalNumVgprs: 0
; ScratchSize: 0
; MemoryBound: 0
; FloatMode: 240
; IeeeMode: 1
; LDSByteSize: 0 bytes/workgroup (compile time only)
; SGPRBlocks: 0
; VGPRBlocks: 0
; NumSGPRsForWavesPerEU: 4
; NumVGPRsForWavesPerEU: 1
; AccumOffset: 4
; Occupancy: 8
; WaveLimiterHint : 0
; COMPUTE_PGM_RSRC2:SCRATCH_EN: 0
; COMPUTE_PGM_RSRC2:USER_SGPR: 6
; COMPUTE_PGM_RSRC2:TRAP_HANDLER: 0
; COMPUTE_PGM_RSRC2:TGID_X_EN: 1
; COMPUTE_PGM_RSRC2:TGID_Y_EN: 0
; COMPUTE_PGM_RSRC2:TGID_Z_EN: 0
; COMPUTE_PGM_RSRC2:TIDIG_COMP_CNT: 0
; COMPUTE_PGM_RSRC3_GFX90A:ACCUM_OFFSET: 0
; COMPUTE_PGM_RSRC3_GFX90A:TG_SPLIT: 0
	.section	.text._ZN7rocprim17ROCPRIM_400000_NS6detail17trampoline_kernelINS0_14default_configENS1_25partition_config_selectorILNS1_17partition_subalgoE0EiNS0_10empty_typeEbEEZZNS1_14partition_implILS5_0ELb0ES3_jN6thrust23THRUST_200600_302600_NS10device_ptrIiEEPS6_SD_NS0_5tupleIJSC_SC_EEENSE_IJSD_SD_EEES6_PlJ7is_evenIiEEEE10hipError_tPvRmT3_T4_T5_T6_T7_T9_mT8_P12ihipStream_tbDpT10_ENKUlT_T0_E_clISt17integral_constantIbLb1EES12_IbLb0EEEEDaSY_SZ_EUlSY_E_NS1_11comp_targetILNS1_3genE10ELNS1_11target_archE1200ELNS1_3gpuE4ELNS1_3repE0EEENS1_30default_config_static_selectorELNS0_4arch9wavefront6targetE1EEEvT1_,"axG",@progbits,_ZN7rocprim17ROCPRIM_400000_NS6detail17trampoline_kernelINS0_14default_configENS1_25partition_config_selectorILNS1_17partition_subalgoE0EiNS0_10empty_typeEbEEZZNS1_14partition_implILS5_0ELb0ES3_jN6thrust23THRUST_200600_302600_NS10device_ptrIiEEPS6_SD_NS0_5tupleIJSC_SC_EEENSE_IJSD_SD_EEES6_PlJ7is_evenIiEEEE10hipError_tPvRmT3_T4_T5_T6_T7_T9_mT8_P12ihipStream_tbDpT10_ENKUlT_T0_E_clISt17integral_constantIbLb1EES12_IbLb0EEEEDaSY_SZ_EUlSY_E_NS1_11comp_targetILNS1_3genE10ELNS1_11target_archE1200ELNS1_3gpuE4ELNS1_3repE0EEENS1_30default_config_static_selectorELNS0_4arch9wavefront6targetE1EEEvT1_,comdat
	.protected	_ZN7rocprim17ROCPRIM_400000_NS6detail17trampoline_kernelINS0_14default_configENS1_25partition_config_selectorILNS1_17partition_subalgoE0EiNS0_10empty_typeEbEEZZNS1_14partition_implILS5_0ELb0ES3_jN6thrust23THRUST_200600_302600_NS10device_ptrIiEEPS6_SD_NS0_5tupleIJSC_SC_EEENSE_IJSD_SD_EEES6_PlJ7is_evenIiEEEE10hipError_tPvRmT3_T4_T5_T6_T7_T9_mT8_P12ihipStream_tbDpT10_ENKUlT_T0_E_clISt17integral_constantIbLb1EES12_IbLb0EEEEDaSY_SZ_EUlSY_E_NS1_11comp_targetILNS1_3genE10ELNS1_11target_archE1200ELNS1_3gpuE4ELNS1_3repE0EEENS1_30default_config_static_selectorELNS0_4arch9wavefront6targetE1EEEvT1_ ; -- Begin function _ZN7rocprim17ROCPRIM_400000_NS6detail17trampoline_kernelINS0_14default_configENS1_25partition_config_selectorILNS1_17partition_subalgoE0EiNS0_10empty_typeEbEEZZNS1_14partition_implILS5_0ELb0ES3_jN6thrust23THRUST_200600_302600_NS10device_ptrIiEEPS6_SD_NS0_5tupleIJSC_SC_EEENSE_IJSD_SD_EEES6_PlJ7is_evenIiEEEE10hipError_tPvRmT3_T4_T5_T6_T7_T9_mT8_P12ihipStream_tbDpT10_ENKUlT_T0_E_clISt17integral_constantIbLb1EES12_IbLb0EEEEDaSY_SZ_EUlSY_E_NS1_11comp_targetILNS1_3genE10ELNS1_11target_archE1200ELNS1_3gpuE4ELNS1_3repE0EEENS1_30default_config_static_selectorELNS0_4arch9wavefront6targetE1EEEvT1_
	.globl	_ZN7rocprim17ROCPRIM_400000_NS6detail17trampoline_kernelINS0_14default_configENS1_25partition_config_selectorILNS1_17partition_subalgoE0EiNS0_10empty_typeEbEEZZNS1_14partition_implILS5_0ELb0ES3_jN6thrust23THRUST_200600_302600_NS10device_ptrIiEEPS6_SD_NS0_5tupleIJSC_SC_EEENSE_IJSD_SD_EEES6_PlJ7is_evenIiEEEE10hipError_tPvRmT3_T4_T5_T6_T7_T9_mT8_P12ihipStream_tbDpT10_ENKUlT_T0_E_clISt17integral_constantIbLb1EES12_IbLb0EEEEDaSY_SZ_EUlSY_E_NS1_11comp_targetILNS1_3genE10ELNS1_11target_archE1200ELNS1_3gpuE4ELNS1_3repE0EEENS1_30default_config_static_selectorELNS0_4arch9wavefront6targetE1EEEvT1_
	.p2align	8
	.type	_ZN7rocprim17ROCPRIM_400000_NS6detail17trampoline_kernelINS0_14default_configENS1_25partition_config_selectorILNS1_17partition_subalgoE0EiNS0_10empty_typeEbEEZZNS1_14partition_implILS5_0ELb0ES3_jN6thrust23THRUST_200600_302600_NS10device_ptrIiEEPS6_SD_NS0_5tupleIJSC_SC_EEENSE_IJSD_SD_EEES6_PlJ7is_evenIiEEEE10hipError_tPvRmT3_T4_T5_T6_T7_T9_mT8_P12ihipStream_tbDpT10_ENKUlT_T0_E_clISt17integral_constantIbLb1EES12_IbLb0EEEEDaSY_SZ_EUlSY_E_NS1_11comp_targetILNS1_3genE10ELNS1_11target_archE1200ELNS1_3gpuE4ELNS1_3repE0EEENS1_30default_config_static_selectorELNS0_4arch9wavefront6targetE1EEEvT1_,@function
_ZN7rocprim17ROCPRIM_400000_NS6detail17trampoline_kernelINS0_14default_configENS1_25partition_config_selectorILNS1_17partition_subalgoE0EiNS0_10empty_typeEbEEZZNS1_14partition_implILS5_0ELb0ES3_jN6thrust23THRUST_200600_302600_NS10device_ptrIiEEPS6_SD_NS0_5tupleIJSC_SC_EEENSE_IJSD_SD_EEES6_PlJ7is_evenIiEEEE10hipError_tPvRmT3_T4_T5_T6_T7_T9_mT8_P12ihipStream_tbDpT10_ENKUlT_T0_E_clISt17integral_constantIbLb1EES12_IbLb0EEEEDaSY_SZ_EUlSY_E_NS1_11comp_targetILNS1_3genE10ELNS1_11target_archE1200ELNS1_3gpuE4ELNS1_3repE0EEENS1_30default_config_static_selectorELNS0_4arch9wavefront6targetE1EEEvT1_: ; @_ZN7rocprim17ROCPRIM_400000_NS6detail17trampoline_kernelINS0_14default_configENS1_25partition_config_selectorILNS1_17partition_subalgoE0EiNS0_10empty_typeEbEEZZNS1_14partition_implILS5_0ELb0ES3_jN6thrust23THRUST_200600_302600_NS10device_ptrIiEEPS6_SD_NS0_5tupleIJSC_SC_EEENSE_IJSD_SD_EEES6_PlJ7is_evenIiEEEE10hipError_tPvRmT3_T4_T5_T6_T7_T9_mT8_P12ihipStream_tbDpT10_ENKUlT_T0_E_clISt17integral_constantIbLb1EES12_IbLb0EEEEDaSY_SZ_EUlSY_E_NS1_11comp_targetILNS1_3genE10ELNS1_11target_archE1200ELNS1_3gpuE4ELNS1_3repE0EEENS1_30default_config_static_selectorELNS0_4arch9wavefront6targetE1EEEvT1_
; %bb.0:
	.section	.rodata,"a",@progbits
	.p2align	6, 0x0
	.amdhsa_kernel _ZN7rocprim17ROCPRIM_400000_NS6detail17trampoline_kernelINS0_14default_configENS1_25partition_config_selectorILNS1_17partition_subalgoE0EiNS0_10empty_typeEbEEZZNS1_14partition_implILS5_0ELb0ES3_jN6thrust23THRUST_200600_302600_NS10device_ptrIiEEPS6_SD_NS0_5tupleIJSC_SC_EEENSE_IJSD_SD_EEES6_PlJ7is_evenIiEEEE10hipError_tPvRmT3_T4_T5_T6_T7_T9_mT8_P12ihipStream_tbDpT10_ENKUlT_T0_E_clISt17integral_constantIbLb1EES12_IbLb0EEEEDaSY_SZ_EUlSY_E_NS1_11comp_targetILNS1_3genE10ELNS1_11target_archE1200ELNS1_3gpuE4ELNS1_3repE0EEENS1_30default_config_static_selectorELNS0_4arch9wavefront6targetE1EEEvT1_
		.amdhsa_group_segment_fixed_size 0
		.amdhsa_private_segment_fixed_size 0
		.amdhsa_kernarg_size 120
		.amdhsa_user_sgpr_count 6
		.amdhsa_user_sgpr_private_segment_buffer 1
		.amdhsa_user_sgpr_dispatch_ptr 0
		.amdhsa_user_sgpr_queue_ptr 0
		.amdhsa_user_sgpr_kernarg_segment_ptr 1
		.amdhsa_user_sgpr_dispatch_id 0
		.amdhsa_user_sgpr_flat_scratch_init 0
		.amdhsa_user_sgpr_kernarg_preload_length 0
		.amdhsa_user_sgpr_kernarg_preload_offset 0
		.amdhsa_user_sgpr_private_segment_size 0
		.amdhsa_uses_dynamic_stack 0
		.amdhsa_system_sgpr_private_segment_wavefront_offset 0
		.amdhsa_system_sgpr_workgroup_id_x 1
		.amdhsa_system_sgpr_workgroup_id_y 0
		.amdhsa_system_sgpr_workgroup_id_z 0
		.amdhsa_system_sgpr_workgroup_info 0
		.amdhsa_system_vgpr_workitem_id 0
		.amdhsa_next_free_vgpr 1
		.amdhsa_next_free_sgpr 0
		.amdhsa_accum_offset 4
		.amdhsa_reserve_vcc 0
		.amdhsa_reserve_flat_scratch 0
		.amdhsa_float_round_mode_32 0
		.amdhsa_float_round_mode_16_64 0
		.amdhsa_float_denorm_mode_32 3
		.amdhsa_float_denorm_mode_16_64 3
		.amdhsa_dx10_clamp 1
		.amdhsa_ieee_mode 1
		.amdhsa_fp16_overflow 0
		.amdhsa_tg_split 0
		.amdhsa_exception_fp_ieee_invalid_op 0
		.amdhsa_exception_fp_denorm_src 0
		.amdhsa_exception_fp_ieee_div_zero 0
		.amdhsa_exception_fp_ieee_overflow 0
		.amdhsa_exception_fp_ieee_underflow 0
		.amdhsa_exception_fp_ieee_inexact 0
		.amdhsa_exception_int_div_zero 0
	.end_amdhsa_kernel
	.section	.text._ZN7rocprim17ROCPRIM_400000_NS6detail17trampoline_kernelINS0_14default_configENS1_25partition_config_selectorILNS1_17partition_subalgoE0EiNS0_10empty_typeEbEEZZNS1_14partition_implILS5_0ELb0ES3_jN6thrust23THRUST_200600_302600_NS10device_ptrIiEEPS6_SD_NS0_5tupleIJSC_SC_EEENSE_IJSD_SD_EEES6_PlJ7is_evenIiEEEE10hipError_tPvRmT3_T4_T5_T6_T7_T9_mT8_P12ihipStream_tbDpT10_ENKUlT_T0_E_clISt17integral_constantIbLb1EES12_IbLb0EEEEDaSY_SZ_EUlSY_E_NS1_11comp_targetILNS1_3genE10ELNS1_11target_archE1200ELNS1_3gpuE4ELNS1_3repE0EEENS1_30default_config_static_selectorELNS0_4arch9wavefront6targetE1EEEvT1_,"axG",@progbits,_ZN7rocprim17ROCPRIM_400000_NS6detail17trampoline_kernelINS0_14default_configENS1_25partition_config_selectorILNS1_17partition_subalgoE0EiNS0_10empty_typeEbEEZZNS1_14partition_implILS5_0ELb0ES3_jN6thrust23THRUST_200600_302600_NS10device_ptrIiEEPS6_SD_NS0_5tupleIJSC_SC_EEENSE_IJSD_SD_EEES6_PlJ7is_evenIiEEEE10hipError_tPvRmT3_T4_T5_T6_T7_T9_mT8_P12ihipStream_tbDpT10_ENKUlT_T0_E_clISt17integral_constantIbLb1EES12_IbLb0EEEEDaSY_SZ_EUlSY_E_NS1_11comp_targetILNS1_3genE10ELNS1_11target_archE1200ELNS1_3gpuE4ELNS1_3repE0EEENS1_30default_config_static_selectorELNS0_4arch9wavefront6targetE1EEEvT1_,comdat
.Lfunc_end3715:
	.size	_ZN7rocprim17ROCPRIM_400000_NS6detail17trampoline_kernelINS0_14default_configENS1_25partition_config_selectorILNS1_17partition_subalgoE0EiNS0_10empty_typeEbEEZZNS1_14partition_implILS5_0ELb0ES3_jN6thrust23THRUST_200600_302600_NS10device_ptrIiEEPS6_SD_NS0_5tupleIJSC_SC_EEENSE_IJSD_SD_EEES6_PlJ7is_evenIiEEEE10hipError_tPvRmT3_T4_T5_T6_T7_T9_mT8_P12ihipStream_tbDpT10_ENKUlT_T0_E_clISt17integral_constantIbLb1EES12_IbLb0EEEEDaSY_SZ_EUlSY_E_NS1_11comp_targetILNS1_3genE10ELNS1_11target_archE1200ELNS1_3gpuE4ELNS1_3repE0EEENS1_30default_config_static_selectorELNS0_4arch9wavefront6targetE1EEEvT1_, .Lfunc_end3715-_ZN7rocprim17ROCPRIM_400000_NS6detail17trampoline_kernelINS0_14default_configENS1_25partition_config_selectorILNS1_17partition_subalgoE0EiNS0_10empty_typeEbEEZZNS1_14partition_implILS5_0ELb0ES3_jN6thrust23THRUST_200600_302600_NS10device_ptrIiEEPS6_SD_NS0_5tupleIJSC_SC_EEENSE_IJSD_SD_EEES6_PlJ7is_evenIiEEEE10hipError_tPvRmT3_T4_T5_T6_T7_T9_mT8_P12ihipStream_tbDpT10_ENKUlT_T0_E_clISt17integral_constantIbLb1EES12_IbLb0EEEEDaSY_SZ_EUlSY_E_NS1_11comp_targetILNS1_3genE10ELNS1_11target_archE1200ELNS1_3gpuE4ELNS1_3repE0EEENS1_30default_config_static_selectorELNS0_4arch9wavefront6targetE1EEEvT1_
                                        ; -- End function
	.section	.AMDGPU.csdata,"",@progbits
; Kernel info:
; codeLenInByte = 0
; NumSgprs: 4
; NumVgprs: 0
; NumAgprs: 0
; TotalNumVgprs: 0
; ScratchSize: 0
; MemoryBound: 0
; FloatMode: 240
; IeeeMode: 1
; LDSByteSize: 0 bytes/workgroup (compile time only)
; SGPRBlocks: 0
; VGPRBlocks: 0
; NumSGPRsForWavesPerEU: 4
; NumVGPRsForWavesPerEU: 1
; AccumOffset: 4
; Occupancy: 8
; WaveLimiterHint : 0
; COMPUTE_PGM_RSRC2:SCRATCH_EN: 0
; COMPUTE_PGM_RSRC2:USER_SGPR: 6
; COMPUTE_PGM_RSRC2:TRAP_HANDLER: 0
; COMPUTE_PGM_RSRC2:TGID_X_EN: 1
; COMPUTE_PGM_RSRC2:TGID_Y_EN: 0
; COMPUTE_PGM_RSRC2:TGID_Z_EN: 0
; COMPUTE_PGM_RSRC2:TIDIG_COMP_CNT: 0
; COMPUTE_PGM_RSRC3_GFX90A:ACCUM_OFFSET: 0
; COMPUTE_PGM_RSRC3_GFX90A:TG_SPLIT: 0
	.section	.text._ZN7rocprim17ROCPRIM_400000_NS6detail17trampoline_kernelINS0_14default_configENS1_25partition_config_selectorILNS1_17partition_subalgoE0EiNS0_10empty_typeEbEEZZNS1_14partition_implILS5_0ELb0ES3_jN6thrust23THRUST_200600_302600_NS10device_ptrIiEEPS6_SD_NS0_5tupleIJSC_SC_EEENSE_IJSD_SD_EEES6_PlJ7is_evenIiEEEE10hipError_tPvRmT3_T4_T5_T6_T7_T9_mT8_P12ihipStream_tbDpT10_ENKUlT_T0_E_clISt17integral_constantIbLb1EES12_IbLb0EEEEDaSY_SZ_EUlSY_E_NS1_11comp_targetILNS1_3genE9ELNS1_11target_archE1100ELNS1_3gpuE3ELNS1_3repE0EEENS1_30default_config_static_selectorELNS0_4arch9wavefront6targetE1EEEvT1_,"axG",@progbits,_ZN7rocprim17ROCPRIM_400000_NS6detail17trampoline_kernelINS0_14default_configENS1_25partition_config_selectorILNS1_17partition_subalgoE0EiNS0_10empty_typeEbEEZZNS1_14partition_implILS5_0ELb0ES3_jN6thrust23THRUST_200600_302600_NS10device_ptrIiEEPS6_SD_NS0_5tupleIJSC_SC_EEENSE_IJSD_SD_EEES6_PlJ7is_evenIiEEEE10hipError_tPvRmT3_T4_T5_T6_T7_T9_mT8_P12ihipStream_tbDpT10_ENKUlT_T0_E_clISt17integral_constantIbLb1EES12_IbLb0EEEEDaSY_SZ_EUlSY_E_NS1_11comp_targetILNS1_3genE9ELNS1_11target_archE1100ELNS1_3gpuE3ELNS1_3repE0EEENS1_30default_config_static_selectorELNS0_4arch9wavefront6targetE1EEEvT1_,comdat
	.protected	_ZN7rocprim17ROCPRIM_400000_NS6detail17trampoline_kernelINS0_14default_configENS1_25partition_config_selectorILNS1_17partition_subalgoE0EiNS0_10empty_typeEbEEZZNS1_14partition_implILS5_0ELb0ES3_jN6thrust23THRUST_200600_302600_NS10device_ptrIiEEPS6_SD_NS0_5tupleIJSC_SC_EEENSE_IJSD_SD_EEES6_PlJ7is_evenIiEEEE10hipError_tPvRmT3_T4_T5_T6_T7_T9_mT8_P12ihipStream_tbDpT10_ENKUlT_T0_E_clISt17integral_constantIbLb1EES12_IbLb0EEEEDaSY_SZ_EUlSY_E_NS1_11comp_targetILNS1_3genE9ELNS1_11target_archE1100ELNS1_3gpuE3ELNS1_3repE0EEENS1_30default_config_static_selectorELNS0_4arch9wavefront6targetE1EEEvT1_ ; -- Begin function _ZN7rocprim17ROCPRIM_400000_NS6detail17trampoline_kernelINS0_14default_configENS1_25partition_config_selectorILNS1_17partition_subalgoE0EiNS0_10empty_typeEbEEZZNS1_14partition_implILS5_0ELb0ES3_jN6thrust23THRUST_200600_302600_NS10device_ptrIiEEPS6_SD_NS0_5tupleIJSC_SC_EEENSE_IJSD_SD_EEES6_PlJ7is_evenIiEEEE10hipError_tPvRmT3_T4_T5_T6_T7_T9_mT8_P12ihipStream_tbDpT10_ENKUlT_T0_E_clISt17integral_constantIbLb1EES12_IbLb0EEEEDaSY_SZ_EUlSY_E_NS1_11comp_targetILNS1_3genE9ELNS1_11target_archE1100ELNS1_3gpuE3ELNS1_3repE0EEENS1_30default_config_static_selectorELNS0_4arch9wavefront6targetE1EEEvT1_
	.globl	_ZN7rocprim17ROCPRIM_400000_NS6detail17trampoline_kernelINS0_14default_configENS1_25partition_config_selectorILNS1_17partition_subalgoE0EiNS0_10empty_typeEbEEZZNS1_14partition_implILS5_0ELb0ES3_jN6thrust23THRUST_200600_302600_NS10device_ptrIiEEPS6_SD_NS0_5tupleIJSC_SC_EEENSE_IJSD_SD_EEES6_PlJ7is_evenIiEEEE10hipError_tPvRmT3_T4_T5_T6_T7_T9_mT8_P12ihipStream_tbDpT10_ENKUlT_T0_E_clISt17integral_constantIbLb1EES12_IbLb0EEEEDaSY_SZ_EUlSY_E_NS1_11comp_targetILNS1_3genE9ELNS1_11target_archE1100ELNS1_3gpuE3ELNS1_3repE0EEENS1_30default_config_static_selectorELNS0_4arch9wavefront6targetE1EEEvT1_
	.p2align	8
	.type	_ZN7rocprim17ROCPRIM_400000_NS6detail17trampoline_kernelINS0_14default_configENS1_25partition_config_selectorILNS1_17partition_subalgoE0EiNS0_10empty_typeEbEEZZNS1_14partition_implILS5_0ELb0ES3_jN6thrust23THRUST_200600_302600_NS10device_ptrIiEEPS6_SD_NS0_5tupleIJSC_SC_EEENSE_IJSD_SD_EEES6_PlJ7is_evenIiEEEE10hipError_tPvRmT3_T4_T5_T6_T7_T9_mT8_P12ihipStream_tbDpT10_ENKUlT_T0_E_clISt17integral_constantIbLb1EES12_IbLb0EEEEDaSY_SZ_EUlSY_E_NS1_11comp_targetILNS1_3genE9ELNS1_11target_archE1100ELNS1_3gpuE3ELNS1_3repE0EEENS1_30default_config_static_selectorELNS0_4arch9wavefront6targetE1EEEvT1_,@function
_ZN7rocprim17ROCPRIM_400000_NS6detail17trampoline_kernelINS0_14default_configENS1_25partition_config_selectorILNS1_17partition_subalgoE0EiNS0_10empty_typeEbEEZZNS1_14partition_implILS5_0ELb0ES3_jN6thrust23THRUST_200600_302600_NS10device_ptrIiEEPS6_SD_NS0_5tupleIJSC_SC_EEENSE_IJSD_SD_EEES6_PlJ7is_evenIiEEEE10hipError_tPvRmT3_T4_T5_T6_T7_T9_mT8_P12ihipStream_tbDpT10_ENKUlT_T0_E_clISt17integral_constantIbLb1EES12_IbLb0EEEEDaSY_SZ_EUlSY_E_NS1_11comp_targetILNS1_3genE9ELNS1_11target_archE1100ELNS1_3gpuE3ELNS1_3repE0EEENS1_30default_config_static_selectorELNS0_4arch9wavefront6targetE1EEEvT1_: ; @_ZN7rocprim17ROCPRIM_400000_NS6detail17trampoline_kernelINS0_14default_configENS1_25partition_config_selectorILNS1_17partition_subalgoE0EiNS0_10empty_typeEbEEZZNS1_14partition_implILS5_0ELb0ES3_jN6thrust23THRUST_200600_302600_NS10device_ptrIiEEPS6_SD_NS0_5tupleIJSC_SC_EEENSE_IJSD_SD_EEES6_PlJ7is_evenIiEEEE10hipError_tPvRmT3_T4_T5_T6_T7_T9_mT8_P12ihipStream_tbDpT10_ENKUlT_T0_E_clISt17integral_constantIbLb1EES12_IbLb0EEEEDaSY_SZ_EUlSY_E_NS1_11comp_targetILNS1_3genE9ELNS1_11target_archE1100ELNS1_3gpuE3ELNS1_3repE0EEENS1_30default_config_static_selectorELNS0_4arch9wavefront6targetE1EEEvT1_
; %bb.0:
	.section	.rodata,"a",@progbits
	.p2align	6, 0x0
	.amdhsa_kernel _ZN7rocprim17ROCPRIM_400000_NS6detail17trampoline_kernelINS0_14default_configENS1_25partition_config_selectorILNS1_17partition_subalgoE0EiNS0_10empty_typeEbEEZZNS1_14partition_implILS5_0ELb0ES3_jN6thrust23THRUST_200600_302600_NS10device_ptrIiEEPS6_SD_NS0_5tupleIJSC_SC_EEENSE_IJSD_SD_EEES6_PlJ7is_evenIiEEEE10hipError_tPvRmT3_T4_T5_T6_T7_T9_mT8_P12ihipStream_tbDpT10_ENKUlT_T0_E_clISt17integral_constantIbLb1EES12_IbLb0EEEEDaSY_SZ_EUlSY_E_NS1_11comp_targetILNS1_3genE9ELNS1_11target_archE1100ELNS1_3gpuE3ELNS1_3repE0EEENS1_30default_config_static_selectorELNS0_4arch9wavefront6targetE1EEEvT1_
		.amdhsa_group_segment_fixed_size 0
		.amdhsa_private_segment_fixed_size 0
		.amdhsa_kernarg_size 120
		.amdhsa_user_sgpr_count 6
		.amdhsa_user_sgpr_private_segment_buffer 1
		.amdhsa_user_sgpr_dispatch_ptr 0
		.amdhsa_user_sgpr_queue_ptr 0
		.amdhsa_user_sgpr_kernarg_segment_ptr 1
		.amdhsa_user_sgpr_dispatch_id 0
		.amdhsa_user_sgpr_flat_scratch_init 0
		.amdhsa_user_sgpr_kernarg_preload_length 0
		.amdhsa_user_sgpr_kernarg_preload_offset 0
		.amdhsa_user_sgpr_private_segment_size 0
		.amdhsa_uses_dynamic_stack 0
		.amdhsa_system_sgpr_private_segment_wavefront_offset 0
		.amdhsa_system_sgpr_workgroup_id_x 1
		.amdhsa_system_sgpr_workgroup_id_y 0
		.amdhsa_system_sgpr_workgroup_id_z 0
		.amdhsa_system_sgpr_workgroup_info 0
		.amdhsa_system_vgpr_workitem_id 0
		.amdhsa_next_free_vgpr 1
		.amdhsa_next_free_sgpr 0
		.amdhsa_accum_offset 4
		.amdhsa_reserve_vcc 0
		.amdhsa_reserve_flat_scratch 0
		.amdhsa_float_round_mode_32 0
		.amdhsa_float_round_mode_16_64 0
		.amdhsa_float_denorm_mode_32 3
		.amdhsa_float_denorm_mode_16_64 3
		.amdhsa_dx10_clamp 1
		.amdhsa_ieee_mode 1
		.amdhsa_fp16_overflow 0
		.amdhsa_tg_split 0
		.amdhsa_exception_fp_ieee_invalid_op 0
		.amdhsa_exception_fp_denorm_src 0
		.amdhsa_exception_fp_ieee_div_zero 0
		.amdhsa_exception_fp_ieee_overflow 0
		.amdhsa_exception_fp_ieee_underflow 0
		.amdhsa_exception_fp_ieee_inexact 0
		.amdhsa_exception_int_div_zero 0
	.end_amdhsa_kernel
	.section	.text._ZN7rocprim17ROCPRIM_400000_NS6detail17trampoline_kernelINS0_14default_configENS1_25partition_config_selectorILNS1_17partition_subalgoE0EiNS0_10empty_typeEbEEZZNS1_14partition_implILS5_0ELb0ES3_jN6thrust23THRUST_200600_302600_NS10device_ptrIiEEPS6_SD_NS0_5tupleIJSC_SC_EEENSE_IJSD_SD_EEES6_PlJ7is_evenIiEEEE10hipError_tPvRmT3_T4_T5_T6_T7_T9_mT8_P12ihipStream_tbDpT10_ENKUlT_T0_E_clISt17integral_constantIbLb1EES12_IbLb0EEEEDaSY_SZ_EUlSY_E_NS1_11comp_targetILNS1_3genE9ELNS1_11target_archE1100ELNS1_3gpuE3ELNS1_3repE0EEENS1_30default_config_static_selectorELNS0_4arch9wavefront6targetE1EEEvT1_,"axG",@progbits,_ZN7rocprim17ROCPRIM_400000_NS6detail17trampoline_kernelINS0_14default_configENS1_25partition_config_selectorILNS1_17partition_subalgoE0EiNS0_10empty_typeEbEEZZNS1_14partition_implILS5_0ELb0ES3_jN6thrust23THRUST_200600_302600_NS10device_ptrIiEEPS6_SD_NS0_5tupleIJSC_SC_EEENSE_IJSD_SD_EEES6_PlJ7is_evenIiEEEE10hipError_tPvRmT3_T4_T5_T6_T7_T9_mT8_P12ihipStream_tbDpT10_ENKUlT_T0_E_clISt17integral_constantIbLb1EES12_IbLb0EEEEDaSY_SZ_EUlSY_E_NS1_11comp_targetILNS1_3genE9ELNS1_11target_archE1100ELNS1_3gpuE3ELNS1_3repE0EEENS1_30default_config_static_selectorELNS0_4arch9wavefront6targetE1EEEvT1_,comdat
.Lfunc_end3716:
	.size	_ZN7rocprim17ROCPRIM_400000_NS6detail17trampoline_kernelINS0_14default_configENS1_25partition_config_selectorILNS1_17partition_subalgoE0EiNS0_10empty_typeEbEEZZNS1_14partition_implILS5_0ELb0ES3_jN6thrust23THRUST_200600_302600_NS10device_ptrIiEEPS6_SD_NS0_5tupleIJSC_SC_EEENSE_IJSD_SD_EEES6_PlJ7is_evenIiEEEE10hipError_tPvRmT3_T4_T5_T6_T7_T9_mT8_P12ihipStream_tbDpT10_ENKUlT_T0_E_clISt17integral_constantIbLb1EES12_IbLb0EEEEDaSY_SZ_EUlSY_E_NS1_11comp_targetILNS1_3genE9ELNS1_11target_archE1100ELNS1_3gpuE3ELNS1_3repE0EEENS1_30default_config_static_selectorELNS0_4arch9wavefront6targetE1EEEvT1_, .Lfunc_end3716-_ZN7rocprim17ROCPRIM_400000_NS6detail17trampoline_kernelINS0_14default_configENS1_25partition_config_selectorILNS1_17partition_subalgoE0EiNS0_10empty_typeEbEEZZNS1_14partition_implILS5_0ELb0ES3_jN6thrust23THRUST_200600_302600_NS10device_ptrIiEEPS6_SD_NS0_5tupleIJSC_SC_EEENSE_IJSD_SD_EEES6_PlJ7is_evenIiEEEE10hipError_tPvRmT3_T4_T5_T6_T7_T9_mT8_P12ihipStream_tbDpT10_ENKUlT_T0_E_clISt17integral_constantIbLb1EES12_IbLb0EEEEDaSY_SZ_EUlSY_E_NS1_11comp_targetILNS1_3genE9ELNS1_11target_archE1100ELNS1_3gpuE3ELNS1_3repE0EEENS1_30default_config_static_selectorELNS0_4arch9wavefront6targetE1EEEvT1_
                                        ; -- End function
	.section	.AMDGPU.csdata,"",@progbits
; Kernel info:
; codeLenInByte = 0
; NumSgprs: 4
; NumVgprs: 0
; NumAgprs: 0
; TotalNumVgprs: 0
; ScratchSize: 0
; MemoryBound: 0
; FloatMode: 240
; IeeeMode: 1
; LDSByteSize: 0 bytes/workgroup (compile time only)
; SGPRBlocks: 0
; VGPRBlocks: 0
; NumSGPRsForWavesPerEU: 4
; NumVGPRsForWavesPerEU: 1
; AccumOffset: 4
; Occupancy: 8
; WaveLimiterHint : 0
; COMPUTE_PGM_RSRC2:SCRATCH_EN: 0
; COMPUTE_PGM_RSRC2:USER_SGPR: 6
; COMPUTE_PGM_RSRC2:TRAP_HANDLER: 0
; COMPUTE_PGM_RSRC2:TGID_X_EN: 1
; COMPUTE_PGM_RSRC2:TGID_Y_EN: 0
; COMPUTE_PGM_RSRC2:TGID_Z_EN: 0
; COMPUTE_PGM_RSRC2:TIDIG_COMP_CNT: 0
; COMPUTE_PGM_RSRC3_GFX90A:ACCUM_OFFSET: 0
; COMPUTE_PGM_RSRC3_GFX90A:TG_SPLIT: 0
	.section	.text._ZN7rocprim17ROCPRIM_400000_NS6detail17trampoline_kernelINS0_14default_configENS1_25partition_config_selectorILNS1_17partition_subalgoE0EiNS0_10empty_typeEbEEZZNS1_14partition_implILS5_0ELb0ES3_jN6thrust23THRUST_200600_302600_NS10device_ptrIiEEPS6_SD_NS0_5tupleIJSC_SC_EEENSE_IJSD_SD_EEES6_PlJ7is_evenIiEEEE10hipError_tPvRmT3_T4_T5_T6_T7_T9_mT8_P12ihipStream_tbDpT10_ENKUlT_T0_E_clISt17integral_constantIbLb1EES12_IbLb0EEEEDaSY_SZ_EUlSY_E_NS1_11comp_targetILNS1_3genE8ELNS1_11target_archE1030ELNS1_3gpuE2ELNS1_3repE0EEENS1_30default_config_static_selectorELNS0_4arch9wavefront6targetE1EEEvT1_,"axG",@progbits,_ZN7rocprim17ROCPRIM_400000_NS6detail17trampoline_kernelINS0_14default_configENS1_25partition_config_selectorILNS1_17partition_subalgoE0EiNS0_10empty_typeEbEEZZNS1_14partition_implILS5_0ELb0ES3_jN6thrust23THRUST_200600_302600_NS10device_ptrIiEEPS6_SD_NS0_5tupleIJSC_SC_EEENSE_IJSD_SD_EEES6_PlJ7is_evenIiEEEE10hipError_tPvRmT3_T4_T5_T6_T7_T9_mT8_P12ihipStream_tbDpT10_ENKUlT_T0_E_clISt17integral_constantIbLb1EES12_IbLb0EEEEDaSY_SZ_EUlSY_E_NS1_11comp_targetILNS1_3genE8ELNS1_11target_archE1030ELNS1_3gpuE2ELNS1_3repE0EEENS1_30default_config_static_selectorELNS0_4arch9wavefront6targetE1EEEvT1_,comdat
	.protected	_ZN7rocprim17ROCPRIM_400000_NS6detail17trampoline_kernelINS0_14default_configENS1_25partition_config_selectorILNS1_17partition_subalgoE0EiNS0_10empty_typeEbEEZZNS1_14partition_implILS5_0ELb0ES3_jN6thrust23THRUST_200600_302600_NS10device_ptrIiEEPS6_SD_NS0_5tupleIJSC_SC_EEENSE_IJSD_SD_EEES6_PlJ7is_evenIiEEEE10hipError_tPvRmT3_T4_T5_T6_T7_T9_mT8_P12ihipStream_tbDpT10_ENKUlT_T0_E_clISt17integral_constantIbLb1EES12_IbLb0EEEEDaSY_SZ_EUlSY_E_NS1_11comp_targetILNS1_3genE8ELNS1_11target_archE1030ELNS1_3gpuE2ELNS1_3repE0EEENS1_30default_config_static_selectorELNS0_4arch9wavefront6targetE1EEEvT1_ ; -- Begin function _ZN7rocprim17ROCPRIM_400000_NS6detail17trampoline_kernelINS0_14default_configENS1_25partition_config_selectorILNS1_17partition_subalgoE0EiNS0_10empty_typeEbEEZZNS1_14partition_implILS5_0ELb0ES3_jN6thrust23THRUST_200600_302600_NS10device_ptrIiEEPS6_SD_NS0_5tupleIJSC_SC_EEENSE_IJSD_SD_EEES6_PlJ7is_evenIiEEEE10hipError_tPvRmT3_T4_T5_T6_T7_T9_mT8_P12ihipStream_tbDpT10_ENKUlT_T0_E_clISt17integral_constantIbLb1EES12_IbLb0EEEEDaSY_SZ_EUlSY_E_NS1_11comp_targetILNS1_3genE8ELNS1_11target_archE1030ELNS1_3gpuE2ELNS1_3repE0EEENS1_30default_config_static_selectorELNS0_4arch9wavefront6targetE1EEEvT1_
	.globl	_ZN7rocprim17ROCPRIM_400000_NS6detail17trampoline_kernelINS0_14default_configENS1_25partition_config_selectorILNS1_17partition_subalgoE0EiNS0_10empty_typeEbEEZZNS1_14partition_implILS5_0ELb0ES3_jN6thrust23THRUST_200600_302600_NS10device_ptrIiEEPS6_SD_NS0_5tupleIJSC_SC_EEENSE_IJSD_SD_EEES6_PlJ7is_evenIiEEEE10hipError_tPvRmT3_T4_T5_T6_T7_T9_mT8_P12ihipStream_tbDpT10_ENKUlT_T0_E_clISt17integral_constantIbLb1EES12_IbLb0EEEEDaSY_SZ_EUlSY_E_NS1_11comp_targetILNS1_3genE8ELNS1_11target_archE1030ELNS1_3gpuE2ELNS1_3repE0EEENS1_30default_config_static_selectorELNS0_4arch9wavefront6targetE1EEEvT1_
	.p2align	8
	.type	_ZN7rocprim17ROCPRIM_400000_NS6detail17trampoline_kernelINS0_14default_configENS1_25partition_config_selectorILNS1_17partition_subalgoE0EiNS0_10empty_typeEbEEZZNS1_14partition_implILS5_0ELb0ES3_jN6thrust23THRUST_200600_302600_NS10device_ptrIiEEPS6_SD_NS0_5tupleIJSC_SC_EEENSE_IJSD_SD_EEES6_PlJ7is_evenIiEEEE10hipError_tPvRmT3_T4_T5_T6_T7_T9_mT8_P12ihipStream_tbDpT10_ENKUlT_T0_E_clISt17integral_constantIbLb1EES12_IbLb0EEEEDaSY_SZ_EUlSY_E_NS1_11comp_targetILNS1_3genE8ELNS1_11target_archE1030ELNS1_3gpuE2ELNS1_3repE0EEENS1_30default_config_static_selectorELNS0_4arch9wavefront6targetE1EEEvT1_,@function
_ZN7rocprim17ROCPRIM_400000_NS6detail17trampoline_kernelINS0_14default_configENS1_25partition_config_selectorILNS1_17partition_subalgoE0EiNS0_10empty_typeEbEEZZNS1_14partition_implILS5_0ELb0ES3_jN6thrust23THRUST_200600_302600_NS10device_ptrIiEEPS6_SD_NS0_5tupleIJSC_SC_EEENSE_IJSD_SD_EEES6_PlJ7is_evenIiEEEE10hipError_tPvRmT3_T4_T5_T6_T7_T9_mT8_P12ihipStream_tbDpT10_ENKUlT_T0_E_clISt17integral_constantIbLb1EES12_IbLb0EEEEDaSY_SZ_EUlSY_E_NS1_11comp_targetILNS1_3genE8ELNS1_11target_archE1030ELNS1_3gpuE2ELNS1_3repE0EEENS1_30default_config_static_selectorELNS0_4arch9wavefront6targetE1EEEvT1_: ; @_ZN7rocprim17ROCPRIM_400000_NS6detail17trampoline_kernelINS0_14default_configENS1_25partition_config_selectorILNS1_17partition_subalgoE0EiNS0_10empty_typeEbEEZZNS1_14partition_implILS5_0ELb0ES3_jN6thrust23THRUST_200600_302600_NS10device_ptrIiEEPS6_SD_NS0_5tupleIJSC_SC_EEENSE_IJSD_SD_EEES6_PlJ7is_evenIiEEEE10hipError_tPvRmT3_T4_T5_T6_T7_T9_mT8_P12ihipStream_tbDpT10_ENKUlT_T0_E_clISt17integral_constantIbLb1EES12_IbLb0EEEEDaSY_SZ_EUlSY_E_NS1_11comp_targetILNS1_3genE8ELNS1_11target_archE1030ELNS1_3gpuE2ELNS1_3repE0EEENS1_30default_config_static_selectorELNS0_4arch9wavefront6targetE1EEEvT1_
; %bb.0:
	.section	.rodata,"a",@progbits
	.p2align	6, 0x0
	.amdhsa_kernel _ZN7rocprim17ROCPRIM_400000_NS6detail17trampoline_kernelINS0_14default_configENS1_25partition_config_selectorILNS1_17partition_subalgoE0EiNS0_10empty_typeEbEEZZNS1_14partition_implILS5_0ELb0ES3_jN6thrust23THRUST_200600_302600_NS10device_ptrIiEEPS6_SD_NS0_5tupleIJSC_SC_EEENSE_IJSD_SD_EEES6_PlJ7is_evenIiEEEE10hipError_tPvRmT3_T4_T5_T6_T7_T9_mT8_P12ihipStream_tbDpT10_ENKUlT_T0_E_clISt17integral_constantIbLb1EES12_IbLb0EEEEDaSY_SZ_EUlSY_E_NS1_11comp_targetILNS1_3genE8ELNS1_11target_archE1030ELNS1_3gpuE2ELNS1_3repE0EEENS1_30default_config_static_selectorELNS0_4arch9wavefront6targetE1EEEvT1_
		.amdhsa_group_segment_fixed_size 0
		.amdhsa_private_segment_fixed_size 0
		.amdhsa_kernarg_size 120
		.amdhsa_user_sgpr_count 6
		.amdhsa_user_sgpr_private_segment_buffer 1
		.amdhsa_user_sgpr_dispatch_ptr 0
		.amdhsa_user_sgpr_queue_ptr 0
		.amdhsa_user_sgpr_kernarg_segment_ptr 1
		.amdhsa_user_sgpr_dispatch_id 0
		.amdhsa_user_sgpr_flat_scratch_init 0
		.amdhsa_user_sgpr_kernarg_preload_length 0
		.amdhsa_user_sgpr_kernarg_preload_offset 0
		.amdhsa_user_sgpr_private_segment_size 0
		.amdhsa_uses_dynamic_stack 0
		.amdhsa_system_sgpr_private_segment_wavefront_offset 0
		.amdhsa_system_sgpr_workgroup_id_x 1
		.amdhsa_system_sgpr_workgroup_id_y 0
		.amdhsa_system_sgpr_workgroup_id_z 0
		.amdhsa_system_sgpr_workgroup_info 0
		.amdhsa_system_vgpr_workitem_id 0
		.amdhsa_next_free_vgpr 1
		.amdhsa_next_free_sgpr 0
		.amdhsa_accum_offset 4
		.amdhsa_reserve_vcc 0
		.amdhsa_reserve_flat_scratch 0
		.amdhsa_float_round_mode_32 0
		.amdhsa_float_round_mode_16_64 0
		.amdhsa_float_denorm_mode_32 3
		.amdhsa_float_denorm_mode_16_64 3
		.amdhsa_dx10_clamp 1
		.amdhsa_ieee_mode 1
		.amdhsa_fp16_overflow 0
		.amdhsa_tg_split 0
		.amdhsa_exception_fp_ieee_invalid_op 0
		.amdhsa_exception_fp_denorm_src 0
		.amdhsa_exception_fp_ieee_div_zero 0
		.amdhsa_exception_fp_ieee_overflow 0
		.amdhsa_exception_fp_ieee_underflow 0
		.amdhsa_exception_fp_ieee_inexact 0
		.amdhsa_exception_int_div_zero 0
	.end_amdhsa_kernel
	.section	.text._ZN7rocprim17ROCPRIM_400000_NS6detail17trampoline_kernelINS0_14default_configENS1_25partition_config_selectorILNS1_17partition_subalgoE0EiNS0_10empty_typeEbEEZZNS1_14partition_implILS5_0ELb0ES3_jN6thrust23THRUST_200600_302600_NS10device_ptrIiEEPS6_SD_NS0_5tupleIJSC_SC_EEENSE_IJSD_SD_EEES6_PlJ7is_evenIiEEEE10hipError_tPvRmT3_T4_T5_T6_T7_T9_mT8_P12ihipStream_tbDpT10_ENKUlT_T0_E_clISt17integral_constantIbLb1EES12_IbLb0EEEEDaSY_SZ_EUlSY_E_NS1_11comp_targetILNS1_3genE8ELNS1_11target_archE1030ELNS1_3gpuE2ELNS1_3repE0EEENS1_30default_config_static_selectorELNS0_4arch9wavefront6targetE1EEEvT1_,"axG",@progbits,_ZN7rocprim17ROCPRIM_400000_NS6detail17trampoline_kernelINS0_14default_configENS1_25partition_config_selectorILNS1_17partition_subalgoE0EiNS0_10empty_typeEbEEZZNS1_14partition_implILS5_0ELb0ES3_jN6thrust23THRUST_200600_302600_NS10device_ptrIiEEPS6_SD_NS0_5tupleIJSC_SC_EEENSE_IJSD_SD_EEES6_PlJ7is_evenIiEEEE10hipError_tPvRmT3_T4_T5_T6_T7_T9_mT8_P12ihipStream_tbDpT10_ENKUlT_T0_E_clISt17integral_constantIbLb1EES12_IbLb0EEEEDaSY_SZ_EUlSY_E_NS1_11comp_targetILNS1_3genE8ELNS1_11target_archE1030ELNS1_3gpuE2ELNS1_3repE0EEENS1_30default_config_static_selectorELNS0_4arch9wavefront6targetE1EEEvT1_,comdat
.Lfunc_end3717:
	.size	_ZN7rocprim17ROCPRIM_400000_NS6detail17trampoline_kernelINS0_14default_configENS1_25partition_config_selectorILNS1_17partition_subalgoE0EiNS0_10empty_typeEbEEZZNS1_14partition_implILS5_0ELb0ES3_jN6thrust23THRUST_200600_302600_NS10device_ptrIiEEPS6_SD_NS0_5tupleIJSC_SC_EEENSE_IJSD_SD_EEES6_PlJ7is_evenIiEEEE10hipError_tPvRmT3_T4_T5_T6_T7_T9_mT8_P12ihipStream_tbDpT10_ENKUlT_T0_E_clISt17integral_constantIbLb1EES12_IbLb0EEEEDaSY_SZ_EUlSY_E_NS1_11comp_targetILNS1_3genE8ELNS1_11target_archE1030ELNS1_3gpuE2ELNS1_3repE0EEENS1_30default_config_static_selectorELNS0_4arch9wavefront6targetE1EEEvT1_, .Lfunc_end3717-_ZN7rocprim17ROCPRIM_400000_NS6detail17trampoline_kernelINS0_14default_configENS1_25partition_config_selectorILNS1_17partition_subalgoE0EiNS0_10empty_typeEbEEZZNS1_14partition_implILS5_0ELb0ES3_jN6thrust23THRUST_200600_302600_NS10device_ptrIiEEPS6_SD_NS0_5tupleIJSC_SC_EEENSE_IJSD_SD_EEES6_PlJ7is_evenIiEEEE10hipError_tPvRmT3_T4_T5_T6_T7_T9_mT8_P12ihipStream_tbDpT10_ENKUlT_T0_E_clISt17integral_constantIbLb1EES12_IbLb0EEEEDaSY_SZ_EUlSY_E_NS1_11comp_targetILNS1_3genE8ELNS1_11target_archE1030ELNS1_3gpuE2ELNS1_3repE0EEENS1_30default_config_static_selectorELNS0_4arch9wavefront6targetE1EEEvT1_
                                        ; -- End function
	.section	.AMDGPU.csdata,"",@progbits
; Kernel info:
; codeLenInByte = 0
; NumSgprs: 4
; NumVgprs: 0
; NumAgprs: 0
; TotalNumVgprs: 0
; ScratchSize: 0
; MemoryBound: 0
; FloatMode: 240
; IeeeMode: 1
; LDSByteSize: 0 bytes/workgroup (compile time only)
; SGPRBlocks: 0
; VGPRBlocks: 0
; NumSGPRsForWavesPerEU: 4
; NumVGPRsForWavesPerEU: 1
; AccumOffset: 4
; Occupancy: 8
; WaveLimiterHint : 0
; COMPUTE_PGM_RSRC2:SCRATCH_EN: 0
; COMPUTE_PGM_RSRC2:USER_SGPR: 6
; COMPUTE_PGM_RSRC2:TRAP_HANDLER: 0
; COMPUTE_PGM_RSRC2:TGID_X_EN: 1
; COMPUTE_PGM_RSRC2:TGID_Y_EN: 0
; COMPUTE_PGM_RSRC2:TGID_Z_EN: 0
; COMPUTE_PGM_RSRC2:TIDIG_COMP_CNT: 0
; COMPUTE_PGM_RSRC3_GFX90A:ACCUM_OFFSET: 0
; COMPUTE_PGM_RSRC3_GFX90A:TG_SPLIT: 0
	.section	.text._ZN7rocprim17ROCPRIM_400000_NS6detail17trampoline_kernelINS0_14default_configENS1_25partition_config_selectorILNS1_17partition_subalgoE0EiNS0_10empty_typeEbEEZZNS1_14partition_implILS5_0ELb0ES3_jN6thrust23THRUST_200600_302600_NS10device_ptrIiEEPS6_SD_NS0_5tupleIJSC_SC_EEENSE_IJSD_SD_EEES6_PlJ7is_evenIiEEEE10hipError_tPvRmT3_T4_T5_T6_T7_T9_mT8_P12ihipStream_tbDpT10_ENKUlT_T0_E_clISt17integral_constantIbLb0EES12_IbLb1EEEEDaSY_SZ_EUlSY_E_NS1_11comp_targetILNS1_3genE0ELNS1_11target_archE4294967295ELNS1_3gpuE0ELNS1_3repE0EEENS1_30default_config_static_selectorELNS0_4arch9wavefront6targetE1EEEvT1_,"axG",@progbits,_ZN7rocprim17ROCPRIM_400000_NS6detail17trampoline_kernelINS0_14default_configENS1_25partition_config_selectorILNS1_17partition_subalgoE0EiNS0_10empty_typeEbEEZZNS1_14partition_implILS5_0ELb0ES3_jN6thrust23THRUST_200600_302600_NS10device_ptrIiEEPS6_SD_NS0_5tupleIJSC_SC_EEENSE_IJSD_SD_EEES6_PlJ7is_evenIiEEEE10hipError_tPvRmT3_T4_T5_T6_T7_T9_mT8_P12ihipStream_tbDpT10_ENKUlT_T0_E_clISt17integral_constantIbLb0EES12_IbLb1EEEEDaSY_SZ_EUlSY_E_NS1_11comp_targetILNS1_3genE0ELNS1_11target_archE4294967295ELNS1_3gpuE0ELNS1_3repE0EEENS1_30default_config_static_selectorELNS0_4arch9wavefront6targetE1EEEvT1_,comdat
	.protected	_ZN7rocprim17ROCPRIM_400000_NS6detail17trampoline_kernelINS0_14default_configENS1_25partition_config_selectorILNS1_17partition_subalgoE0EiNS0_10empty_typeEbEEZZNS1_14partition_implILS5_0ELb0ES3_jN6thrust23THRUST_200600_302600_NS10device_ptrIiEEPS6_SD_NS0_5tupleIJSC_SC_EEENSE_IJSD_SD_EEES6_PlJ7is_evenIiEEEE10hipError_tPvRmT3_T4_T5_T6_T7_T9_mT8_P12ihipStream_tbDpT10_ENKUlT_T0_E_clISt17integral_constantIbLb0EES12_IbLb1EEEEDaSY_SZ_EUlSY_E_NS1_11comp_targetILNS1_3genE0ELNS1_11target_archE4294967295ELNS1_3gpuE0ELNS1_3repE0EEENS1_30default_config_static_selectorELNS0_4arch9wavefront6targetE1EEEvT1_ ; -- Begin function _ZN7rocprim17ROCPRIM_400000_NS6detail17trampoline_kernelINS0_14default_configENS1_25partition_config_selectorILNS1_17partition_subalgoE0EiNS0_10empty_typeEbEEZZNS1_14partition_implILS5_0ELb0ES3_jN6thrust23THRUST_200600_302600_NS10device_ptrIiEEPS6_SD_NS0_5tupleIJSC_SC_EEENSE_IJSD_SD_EEES6_PlJ7is_evenIiEEEE10hipError_tPvRmT3_T4_T5_T6_T7_T9_mT8_P12ihipStream_tbDpT10_ENKUlT_T0_E_clISt17integral_constantIbLb0EES12_IbLb1EEEEDaSY_SZ_EUlSY_E_NS1_11comp_targetILNS1_3genE0ELNS1_11target_archE4294967295ELNS1_3gpuE0ELNS1_3repE0EEENS1_30default_config_static_selectorELNS0_4arch9wavefront6targetE1EEEvT1_
	.globl	_ZN7rocprim17ROCPRIM_400000_NS6detail17trampoline_kernelINS0_14default_configENS1_25partition_config_selectorILNS1_17partition_subalgoE0EiNS0_10empty_typeEbEEZZNS1_14partition_implILS5_0ELb0ES3_jN6thrust23THRUST_200600_302600_NS10device_ptrIiEEPS6_SD_NS0_5tupleIJSC_SC_EEENSE_IJSD_SD_EEES6_PlJ7is_evenIiEEEE10hipError_tPvRmT3_T4_T5_T6_T7_T9_mT8_P12ihipStream_tbDpT10_ENKUlT_T0_E_clISt17integral_constantIbLb0EES12_IbLb1EEEEDaSY_SZ_EUlSY_E_NS1_11comp_targetILNS1_3genE0ELNS1_11target_archE4294967295ELNS1_3gpuE0ELNS1_3repE0EEENS1_30default_config_static_selectorELNS0_4arch9wavefront6targetE1EEEvT1_
	.p2align	8
	.type	_ZN7rocprim17ROCPRIM_400000_NS6detail17trampoline_kernelINS0_14default_configENS1_25partition_config_selectorILNS1_17partition_subalgoE0EiNS0_10empty_typeEbEEZZNS1_14partition_implILS5_0ELb0ES3_jN6thrust23THRUST_200600_302600_NS10device_ptrIiEEPS6_SD_NS0_5tupleIJSC_SC_EEENSE_IJSD_SD_EEES6_PlJ7is_evenIiEEEE10hipError_tPvRmT3_T4_T5_T6_T7_T9_mT8_P12ihipStream_tbDpT10_ENKUlT_T0_E_clISt17integral_constantIbLb0EES12_IbLb1EEEEDaSY_SZ_EUlSY_E_NS1_11comp_targetILNS1_3genE0ELNS1_11target_archE4294967295ELNS1_3gpuE0ELNS1_3repE0EEENS1_30default_config_static_selectorELNS0_4arch9wavefront6targetE1EEEvT1_,@function
_ZN7rocprim17ROCPRIM_400000_NS6detail17trampoline_kernelINS0_14default_configENS1_25partition_config_selectorILNS1_17partition_subalgoE0EiNS0_10empty_typeEbEEZZNS1_14partition_implILS5_0ELb0ES3_jN6thrust23THRUST_200600_302600_NS10device_ptrIiEEPS6_SD_NS0_5tupleIJSC_SC_EEENSE_IJSD_SD_EEES6_PlJ7is_evenIiEEEE10hipError_tPvRmT3_T4_T5_T6_T7_T9_mT8_P12ihipStream_tbDpT10_ENKUlT_T0_E_clISt17integral_constantIbLb0EES12_IbLb1EEEEDaSY_SZ_EUlSY_E_NS1_11comp_targetILNS1_3genE0ELNS1_11target_archE4294967295ELNS1_3gpuE0ELNS1_3repE0EEENS1_30default_config_static_selectorELNS0_4arch9wavefront6targetE1EEEvT1_: ; @_ZN7rocprim17ROCPRIM_400000_NS6detail17trampoline_kernelINS0_14default_configENS1_25partition_config_selectorILNS1_17partition_subalgoE0EiNS0_10empty_typeEbEEZZNS1_14partition_implILS5_0ELb0ES3_jN6thrust23THRUST_200600_302600_NS10device_ptrIiEEPS6_SD_NS0_5tupleIJSC_SC_EEENSE_IJSD_SD_EEES6_PlJ7is_evenIiEEEE10hipError_tPvRmT3_T4_T5_T6_T7_T9_mT8_P12ihipStream_tbDpT10_ENKUlT_T0_E_clISt17integral_constantIbLb0EES12_IbLb1EEEEDaSY_SZ_EUlSY_E_NS1_11comp_targetILNS1_3genE0ELNS1_11target_archE4294967295ELNS1_3gpuE0ELNS1_3repE0EEENS1_30default_config_static_selectorELNS0_4arch9wavefront6targetE1EEEvT1_
; %bb.0:
	.section	.rodata,"a",@progbits
	.p2align	6, 0x0
	.amdhsa_kernel _ZN7rocprim17ROCPRIM_400000_NS6detail17trampoline_kernelINS0_14default_configENS1_25partition_config_selectorILNS1_17partition_subalgoE0EiNS0_10empty_typeEbEEZZNS1_14partition_implILS5_0ELb0ES3_jN6thrust23THRUST_200600_302600_NS10device_ptrIiEEPS6_SD_NS0_5tupleIJSC_SC_EEENSE_IJSD_SD_EEES6_PlJ7is_evenIiEEEE10hipError_tPvRmT3_T4_T5_T6_T7_T9_mT8_P12ihipStream_tbDpT10_ENKUlT_T0_E_clISt17integral_constantIbLb0EES12_IbLb1EEEEDaSY_SZ_EUlSY_E_NS1_11comp_targetILNS1_3genE0ELNS1_11target_archE4294967295ELNS1_3gpuE0ELNS1_3repE0EEENS1_30default_config_static_selectorELNS0_4arch9wavefront6targetE1EEEvT1_
		.amdhsa_group_segment_fixed_size 0
		.amdhsa_private_segment_fixed_size 0
		.amdhsa_kernarg_size 136
		.amdhsa_user_sgpr_count 6
		.amdhsa_user_sgpr_private_segment_buffer 1
		.amdhsa_user_sgpr_dispatch_ptr 0
		.amdhsa_user_sgpr_queue_ptr 0
		.amdhsa_user_sgpr_kernarg_segment_ptr 1
		.amdhsa_user_sgpr_dispatch_id 0
		.amdhsa_user_sgpr_flat_scratch_init 0
		.amdhsa_user_sgpr_kernarg_preload_length 0
		.amdhsa_user_sgpr_kernarg_preload_offset 0
		.amdhsa_user_sgpr_private_segment_size 0
		.amdhsa_uses_dynamic_stack 0
		.amdhsa_system_sgpr_private_segment_wavefront_offset 0
		.amdhsa_system_sgpr_workgroup_id_x 1
		.amdhsa_system_sgpr_workgroup_id_y 0
		.amdhsa_system_sgpr_workgroup_id_z 0
		.amdhsa_system_sgpr_workgroup_info 0
		.amdhsa_system_vgpr_workitem_id 0
		.amdhsa_next_free_vgpr 1
		.amdhsa_next_free_sgpr 0
		.amdhsa_accum_offset 4
		.amdhsa_reserve_vcc 0
		.amdhsa_reserve_flat_scratch 0
		.amdhsa_float_round_mode_32 0
		.amdhsa_float_round_mode_16_64 0
		.amdhsa_float_denorm_mode_32 3
		.amdhsa_float_denorm_mode_16_64 3
		.amdhsa_dx10_clamp 1
		.amdhsa_ieee_mode 1
		.amdhsa_fp16_overflow 0
		.amdhsa_tg_split 0
		.amdhsa_exception_fp_ieee_invalid_op 0
		.amdhsa_exception_fp_denorm_src 0
		.amdhsa_exception_fp_ieee_div_zero 0
		.amdhsa_exception_fp_ieee_overflow 0
		.amdhsa_exception_fp_ieee_underflow 0
		.amdhsa_exception_fp_ieee_inexact 0
		.amdhsa_exception_int_div_zero 0
	.end_amdhsa_kernel
	.section	.text._ZN7rocprim17ROCPRIM_400000_NS6detail17trampoline_kernelINS0_14default_configENS1_25partition_config_selectorILNS1_17partition_subalgoE0EiNS0_10empty_typeEbEEZZNS1_14partition_implILS5_0ELb0ES3_jN6thrust23THRUST_200600_302600_NS10device_ptrIiEEPS6_SD_NS0_5tupleIJSC_SC_EEENSE_IJSD_SD_EEES6_PlJ7is_evenIiEEEE10hipError_tPvRmT3_T4_T5_T6_T7_T9_mT8_P12ihipStream_tbDpT10_ENKUlT_T0_E_clISt17integral_constantIbLb0EES12_IbLb1EEEEDaSY_SZ_EUlSY_E_NS1_11comp_targetILNS1_3genE0ELNS1_11target_archE4294967295ELNS1_3gpuE0ELNS1_3repE0EEENS1_30default_config_static_selectorELNS0_4arch9wavefront6targetE1EEEvT1_,"axG",@progbits,_ZN7rocprim17ROCPRIM_400000_NS6detail17trampoline_kernelINS0_14default_configENS1_25partition_config_selectorILNS1_17partition_subalgoE0EiNS0_10empty_typeEbEEZZNS1_14partition_implILS5_0ELb0ES3_jN6thrust23THRUST_200600_302600_NS10device_ptrIiEEPS6_SD_NS0_5tupleIJSC_SC_EEENSE_IJSD_SD_EEES6_PlJ7is_evenIiEEEE10hipError_tPvRmT3_T4_T5_T6_T7_T9_mT8_P12ihipStream_tbDpT10_ENKUlT_T0_E_clISt17integral_constantIbLb0EES12_IbLb1EEEEDaSY_SZ_EUlSY_E_NS1_11comp_targetILNS1_3genE0ELNS1_11target_archE4294967295ELNS1_3gpuE0ELNS1_3repE0EEENS1_30default_config_static_selectorELNS0_4arch9wavefront6targetE1EEEvT1_,comdat
.Lfunc_end3718:
	.size	_ZN7rocprim17ROCPRIM_400000_NS6detail17trampoline_kernelINS0_14default_configENS1_25partition_config_selectorILNS1_17partition_subalgoE0EiNS0_10empty_typeEbEEZZNS1_14partition_implILS5_0ELb0ES3_jN6thrust23THRUST_200600_302600_NS10device_ptrIiEEPS6_SD_NS0_5tupleIJSC_SC_EEENSE_IJSD_SD_EEES6_PlJ7is_evenIiEEEE10hipError_tPvRmT3_T4_T5_T6_T7_T9_mT8_P12ihipStream_tbDpT10_ENKUlT_T0_E_clISt17integral_constantIbLb0EES12_IbLb1EEEEDaSY_SZ_EUlSY_E_NS1_11comp_targetILNS1_3genE0ELNS1_11target_archE4294967295ELNS1_3gpuE0ELNS1_3repE0EEENS1_30default_config_static_selectorELNS0_4arch9wavefront6targetE1EEEvT1_, .Lfunc_end3718-_ZN7rocprim17ROCPRIM_400000_NS6detail17trampoline_kernelINS0_14default_configENS1_25partition_config_selectorILNS1_17partition_subalgoE0EiNS0_10empty_typeEbEEZZNS1_14partition_implILS5_0ELb0ES3_jN6thrust23THRUST_200600_302600_NS10device_ptrIiEEPS6_SD_NS0_5tupleIJSC_SC_EEENSE_IJSD_SD_EEES6_PlJ7is_evenIiEEEE10hipError_tPvRmT3_T4_T5_T6_T7_T9_mT8_P12ihipStream_tbDpT10_ENKUlT_T0_E_clISt17integral_constantIbLb0EES12_IbLb1EEEEDaSY_SZ_EUlSY_E_NS1_11comp_targetILNS1_3genE0ELNS1_11target_archE4294967295ELNS1_3gpuE0ELNS1_3repE0EEENS1_30default_config_static_selectorELNS0_4arch9wavefront6targetE1EEEvT1_
                                        ; -- End function
	.section	.AMDGPU.csdata,"",@progbits
; Kernel info:
; codeLenInByte = 0
; NumSgprs: 4
; NumVgprs: 0
; NumAgprs: 0
; TotalNumVgprs: 0
; ScratchSize: 0
; MemoryBound: 0
; FloatMode: 240
; IeeeMode: 1
; LDSByteSize: 0 bytes/workgroup (compile time only)
; SGPRBlocks: 0
; VGPRBlocks: 0
; NumSGPRsForWavesPerEU: 4
; NumVGPRsForWavesPerEU: 1
; AccumOffset: 4
; Occupancy: 8
; WaveLimiterHint : 0
; COMPUTE_PGM_RSRC2:SCRATCH_EN: 0
; COMPUTE_PGM_RSRC2:USER_SGPR: 6
; COMPUTE_PGM_RSRC2:TRAP_HANDLER: 0
; COMPUTE_PGM_RSRC2:TGID_X_EN: 1
; COMPUTE_PGM_RSRC2:TGID_Y_EN: 0
; COMPUTE_PGM_RSRC2:TGID_Z_EN: 0
; COMPUTE_PGM_RSRC2:TIDIG_COMP_CNT: 0
; COMPUTE_PGM_RSRC3_GFX90A:ACCUM_OFFSET: 0
; COMPUTE_PGM_RSRC3_GFX90A:TG_SPLIT: 0
	.section	.text._ZN7rocprim17ROCPRIM_400000_NS6detail17trampoline_kernelINS0_14default_configENS1_25partition_config_selectorILNS1_17partition_subalgoE0EiNS0_10empty_typeEbEEZZNS1_14partition_implILS5_0ELb0ES3_jN6thrust23THRUST_200600_302600_NS10device_ptrIiEEPS6_SD_NS0_5tupleIJSC_SC_EEENSE_IJSD_SD_EEES6_PlJ7is_evenIiEEEE10hipError_tPvRmT3_T4_T5_T6_T7_T9_mT8_P12ihipStream_tbDpT10_ENKUlT_T0_E_clISt17integral_constantIbLb0EES12_IbLb1EEEEDaSY_SZ_EUlSY_E_NS1_11comp_targetILNS1_3genE5ELNS1_11target_archE942ELNS1_3gpuE9ELNS1_3repE0EEENS1_30default_config_static_selectorELNS0_4arch9wavefront6targetE1EEEvT1_,"axG",@progbits,_ZN7rocprim17ROCPRIM_400000_NS6detail17trampoline_kernelINS0_14default_configENS1_25partition_config_selectorILNS1_17partition_subalgoE0EiNS0_10empty_typeEbEEZZNS1_14partition_implILS5_0ELb0ES3_jN6thrust23THRUST_200600_302600_NS10device_ptrIiEEPS6_SD_NS0_5tupleIJSC_SC_EEENSE_IJSD_SD_EEES6_PlJ7is_evenIiEEEE10hipError_tPvRmT3_T4_T5_T6_T7_T9_mT8_P12ihipStream_tbDpT10_ENKUlT_T0_E_clISt17integral_constantIbLb0EES12_IbLb1EEEEDaSY_SZ_EUlSY_E_NS1_11comp_targetILNS1_3genE5ELNS1_11target_archE942ELNS1_3gpuE9ELNS1_3repE0EEENS1_30default_config_static_selectorELNS0_4arch9wavefront6targetE1EEEvT1_,comdat
	.protected	_ZN7rocprim17ROCPRIM_400000_NS6detail17trampoline_kernelINS0_14default_configENS1_25partition_config_selectorILNS1_17partition_subalgoE0EiNS0_10empty_typeEbEEZZNS1_14partition_implILS5_0ELb0ES3_jN6thrust23THRUST_200600_302600_NS10device_ptrIiEEPS6_SD_NS0_5tupleIJSC_SC_EEENSE_IJSD_SD_EEES6_PlJ7is_evenIiEEEE10hipError_tPvRmT3_T4_T5_T6_T7_T9_mT8_P12ihipStream_tbDpT10_ENKUlT_T0_E_clISt17integral_constantIbLb0EES12_IbLb1EEEEDaSY_SZ_EUlSY_E_NS1_11comp_targetILNS1_3genE5ELNS1_11target_archE942ELNS1_3gpuE9ELNS1_3repE0EEENS1_30default_config_static_selectorELNS0_4arch9wavefront6targetE1EEEvT1_ ; -- Begin function _ZN7rocprim17ROCPRIM_400000_NS6detail17trampoline_kernelINS0_14default_configENS1_25partition_config_selectorILNS1_17partition_subalgoE0EiNS0_10empty_typeEbEEZZNS1_14partition_implILS5_0ELb0ES3_jN6thrust23THRUST_200600_302600_NS10device_ptrIiEEPS6_SD_NS0_5tupleIJSC_SC_EEENSE_IJSD_SD_EEES6_PlJ7is_evenIiEEEE10hipError_tPvRmT3_T4_T5_T6_T7_T9_mT8_P12ihipStream_tbDpT10_ENKUlT_T0_E_clISt17integral_constantIbLb0EES12_IbLb1EEEEDaSY_SZ_EUlSY_E_NS1_11comp_targetILNS1_3genE5ELNS1_11target_archE942ELNS1_3gpuE9ELNS1_3repE0EEENS1_30default_config_static_selectorELNS0_4arch9wavefront6targetE1EEEvT1_
	.globl	_ZN7rocprim17ROCPRIM_400000_NS6detail17trampoline_kernelINS0_14default_configENS1_25partition_config_selectorILNS1_17partition_subalgoE0EiNS0_10empty_typeEbEEZZNS1_14partition_implILS5_0ELb0ES3_jN6thrust23THRUST_200600_302600_NS10device_ptrIiEEPS6_SD_NS0_5tupleIJSC_SC_EEENSE_IJSD_SD_EEES6_PlJ7is_evenIiEEEE10hipError_tPvRmT3_T4_T5_T6_T7_T9_mT8_P12ihipStream_tbDpT10_ENKUlT_T0_E_clISt17integral_constantIbLb0EES12_IbLb1EEEEDaSY_SZ_EUlSY_E_NS1_11comp_targetILNS1_3genE5ELNS1_11target_archE942ELNS1_3gpuE9ELNS1_3repE0EEENS1_30default_config_static_selectorELNS0_4arch9wavefront6targetE1EEEvT1_
	.p2align	8
	.type	_ZN7rocprim17ROCPRIM_400000_NS6detail17trampoline_kernelINS0_14default_configENS1_25partition_config_selectorILNS1_17partition_subalgoE0EiNS0_10empty_typeEbEEZZNS1_14partition_implILS5_0ELb0ES3_jN6thrust23THRUST_200600_302600_NS10device_ptrIiEEPS6_SD_NS0_5tupleIJSC_SC_EEENSE_IJSD_SD_EEES6_PlJ7is_evenIiEEEE10hipError_tPvRmT3_T4_T5_T6_T7_T9_mT8_P12ihipStream_tbDpT10_ENKUlT_T0_E_clISt17integral_constantIbLb0EES12_IbLb1EEEEDaSY_SZ_EUlSY_E_NS1_11comp_targetILNS1_3genE5ELNS1_11target_archE942ELNS1_3gpuE9ELNS1_3repE0EEENS1_30default_config_static_selectorELNS0_4arch9wavefront6targetE1EEEvT1_,@function
_ZN7rocprim17ROCPRIM_400000_NS6detail17trampoline_kernelINS0_14default_configENS1_25partition_config_selectorILNS1_17partition_subalgoE0EiNS0_10empty_typeEbEEZZNS1_14partition_implILS5_0ELb0ES3_jN6thrust23THRUST_200600_302600_NS10device_ptrIiEEPS6_SD_NS0_5tupleIJSC_SC_EEENSE_IJSD_SD_EEES6_PlJ7is_evenIiEEEE10hipError_tPvRmT3_T4_T5_T6_T7_T9_mT8_P12ihipStream_tbDpT10_ENKUlT_T0_E_clISt17integral_constantIbLb0EES12_IbLb1EEEEDaSY_SZ_EUlSY_E_NS1_11comp_targetILNS1_3genE5ELNS1_11target_archE942ELNS1_3gpuE9ELNS1_3repE0EEENS1_30default_config_static_selectorELNS0_4arch9wavefront6targetE1EEEvT1_: ; @_ZN7rocprim17ROCPRIM_400000_NS6detail17trampoline_kernelINS0_14default_configENS1_25partition_config_selectorILNS1_17partition_subalgoE0EiNS0_10empty_typeEbEEZZNS1_14partition_implILS5_0ELb0ES3_jN6thrust23THRUST_200600_302600_NS10device_ptrIiEEPS6_SD_NS0_5tupleIJSC_SC_EEENSE_IJSD_SD_EEES6_PlJ7is_evenIiEEEE10hipError_tPvRmT3_T4_T5_T6_T7_T9_mT8_P12ihipStream_tbDpT10_ENKUlT_T0_E_clISt17integral_constantIbLb0EES12_IbLb1EEEEDaSY_SZ_EUlSY_E_NS1_11comp_targetILNS1_3genE5ELNS1_11target_archE942ELNS1_3gpuE9ELNS1_3repE0EEENS1_30default_config_static_selectorELNS0_4arch9wavefront6targetE1EEEvT1_
; %bb.0:
	.section	.rodata,"a",@progbits
	.p2align	6, 0x0
	.amdhsa_kernel _ZN7rocprim17ROCPRIM_400000_NS6detail17trampoline_kernelINS0_14default_configENS1_25partition_config_selectorILNS1_17partition_subalgoE0EiNS0_10empty_typeEbEEZZNS1_14partition_implILS5_0ELb0ES3_jN6thrust23THRUST_200600_302600_NS10device_ptrIiEEPS6_SD_NS0_5tupleIJSC_SC_EEENSE_IJSD_SD_EEES6_PlJ7is_evenIiEEEE10hipError_tPvRmT3_T4_T5_T6_T7_T9_mT8_P12ihipStream_tbDpT10_ENKUlT_T0_E_clISt17integral_constantIbLb0EES12_IbLb1EEEEDaSY_SZ_EUlSY_E_NS1_11comp_targetILNS1_3genE5ELNS1_11target_archE942ELNS1_3gpuE9ELNS1_3repE0EEENS1_30default_config_static_selectorELNS0_4arch9wavefront6targetE1EEEvT1_
		.amdhsa_group_segment_fixed_size 0
		.amdhsa_private_segment_fixed_size 0
		.amdhsa_kernarg_size 136
		.amdhsa_user_sgpr_count 6
		.amdhsa_user_sgpr_private_segment_buffer 1
		.amdhsa_user_sgpr_dispatch_ptr 0
		.amdhsa_user_sgpr_queue_ptr 0
		.amdhsa_user_sgpr_kernarg_segment_ptr 1
		.amdhsa_user_sgpr_dispatch_id 0
		.amdhsa_user_sgpr_flat_scratch_init 0
		.amdhsa_user_sgpr_kernarg_preload_length 0
		.amdhsa_user_sgpr_kernarg_preload_offset 0
		.amdhsa_user_sgpr_private_segment_size 0
		.amdhsa_uses_dynamic_stack 0
		.amdhsa_system_sgpr_private_segment_wavefront_offset 0
		.amdhsa_system_sgpr_workgroup_id_x 1
		.amdhsa_system_sgpr_workgroup_id_y 0
		.amdhsa_system_sgpr_workgroup_id_z 0
		.amdhsa_system_sgpr_workgroup_info 0
		.amdhsa_system_vgpr_workitem_id 0
		.amdhsa_next_free_vgpr 1
		.amdhsa_next_free_sgpr 0
		.amdhsa_accum_offset 4
		.amdhsa_reserve_vcc 0
		.amdhsa_reserve_flat_scratch 0
		.amdhsa_float_round_mode_32 0
		.amdhsa_float_round_mode_16_64 0
		.amdhsa_float_denorm_mode_32 3
		.amdhsa_float_denorm_mode_16_64 3
		.amdhsa_dx10_clamp 1
		.amdhsa_ieee_mode 1
		.amdhsa_fp16_overflow 0
		.amdhsa_tg_split 0
		.amdhsa_exception_fp_ieee_invalid_op 0
		.amdhsa_exception_fp_denorm_src 0
		.amdhsa_exception_fp_ieee_div_zero 0
		.amdhsa_exception_fp_ieee_overflow 0
		.amdhsa_exception_fp_ieee_underflow 0
		.amdhsa_exception_fp_ieee_inexact 0
		.amdhsa_exception_int_div_zero 0
	.end_amdhsa_kernel
	.section	.text._ZN7rocprim17ROCPRIM_400000_NS6detail17trampoline_kernelINS0_14default_configENS1_25partition_config_selectorILNS1_17partition_subalgoE0EiNS0_10empty_typeEbEEZZNS1_14partition_implILS5_0ELb0ES3_jN6thrust23THRUST_200600_302600_NS10device_ptrIiEEPS6_SD_NS0_5tupleIJSC_SC_EEENSE_IJSD_SD_EEES6_PlJ7is_evenIiEEEE10hipError_tPvRmT3_T4_T5_T6_T7_T9_mT8_P12ihipStream_tbDpT10_ENKUlT_T0_E_clISt17integral_constantIbLb0EES12_IbLb1EEEEDaSY_SZ_EUlSY_E_NS1_11comp_targetILNS1_3genE5ELNS1_11target_archE942ELNS1_3gpuE9ELNS1_3repE0EEENS1_30default_config_static_selectorELNS0_4arch9wavefront6targetE1EEEvT1_,"axG",@progbits,_ZN7rocprim17ROCPRIM_400000_NS6detail17trampoline_kernelINS0_14default_configENS1_25partition_config_selectorILNS1_17partition_subalgoE0EiNS0_10empty_typeEbEEZZNS1_14partition_implILS5_0ELb0ES3_jN6thrust23THRUST_200600_302600_NS10device_ptrIiEEPS6_SD_NS0_5tupleIJSC_SC_EEENSE_IJSD_SD_EEES6_PlJ7is_evenIiEEEE10hipError_tPvRmT3_T4_T5_T6_T7_T9_mT8_P12ihipStream_tbDpT10_ENKUlT_T0_E_clISt17integral_constantIbLb0EES12_IbLb1EEEEDaSY_SZ_EUlSY_E_NS1_11comp_targetILNS1_3genE5ELNS1_11target_archE942ELNS1_3gpuE9ELNS1_3repE0EEENS1_30default_config_static_selectorELNS0_4arch9wavefront6targetE1EEEvT1_,comdat
.Lfunc_end3719:
	.size	_ZN7rocprim17ROCPRIM_400000_NS6detail17trampoline_kernelINS0_14default_configENS1_25partition_config_selectorILNS1_17partition_subalgoE0EiNS0_10empty_typeEbEEZZNS1_14partition_implILS5_0ELb0ES3_jN6thrust23THRUST_200600_302600_NS10device_ptrIiEEPS6_SD_NS0_5tupleIJSC_SC_EEENSE_IJSD_SD_EEES6_PlJ7is_evenIiEEEE10hipError_tPvRmT3_T4_T5_T6_T7_T9_mT8_P12ihipStream_tbDpT10_ENKUlT_T0_E_clISt17integral_constantIbLb0EES12_IbLb1EEEEDaSY_SZ_EUlSY_E_NS1_11comp_targetILNS1_3genE5ELNS1_11target_archE942ELNS1_3gpuE9ELNS1_3repE0EEENS1_30default_config_static_selectorELNS0_4arch9wavefront6targetE1EEEvT1_, .Lfunc_end3719-_ZN7rocprim17ROCPRIM_400000_NS6detail17trampoline_kernelINS0_14default_configENS1_25partition_config_selectorILNS1_17partition_subalgoE0EiNS0_10empty_typeEbEEZZNS1_14partition_implILS5_0ELb0ES3_jN6thrust23THRUST_200600_302600_NS10device_ptrIiEEPS6_SD_NS0_5tupleIJSC_SC_EEENSE_IJSD_SD_EEES6_PlJ7is_evenIiEEEE10hipError_tPvRmT3_T4_T5_T6_T7_T9_mT8_P12ihipStream_tbDpT10_ENKUlT_T0_E_clISt17integral_constantIbLb0EES12_IbLb1EEEEDaSY_SZ_EUlSY_E_NS1_11comp_targetILNS1_3genE5ELNS1_11target_archE942ELNS1_3gpuE9ELNS1_3repE0EEENS1_30default_config_static_selectorELNS0_4arch9wavefront6targetE1EEEvT1_
                                        ; -- End function
	.section	.AMDGPU.csdata,"",@progbits
; Kernel info:
; codeLenInByte = 0
; NumSgprs: 4
; NumVgprs: 0
; NumAgprs: 0
; TotalNumVgprs: 0
; ScratchSize: 0
; MemoryBound: 0
; FloatMode: 240
; IeeeMode: 1
; LDSByteSize: 0 bytes/workgroup (compile time only)
; SGPRBlocks: 0
; VGPRBlocks: 0
; NumSGPRsForWavesPerEU: 4
; NumVGPRsForWavesPerEU: 1
; AccumOffset: 4
; Occupancy: 8
; WaveLimiterHint : 0
; COMPUTE_PGM_RSRC2:SCRATCH_EN: 0
; COMPUTE_PGM_RSRC2:USER_SGPR: 6
; COMPUTE_PGM_RSRC2:TRAP_HANDLER: 0
; COMPUTE_PGM_RSRC2:TGID_X_EN: 1
; COMPUTE_PGM_RSRC2:TGID_Y_EN: 0
; COMPUTE_PGM_RSRC2:TGID_Z_EN: 0
; COMPUTE_PGM_RSRC2:TIDIG_COMP_CNT: 0
; COMPUTE_PGM_RSRC3_GFX90A:ACCUM_OFFSET: 0
; COMPUTE_PGM_RSRC3_GFX90A:TG_SPLIT: 0
	.section	.text._ZN7rocprim17ROCPRIM_400000_NS6detail17trampoline_kernelINS0_14default_configENS1_25partition_config_selectorILNS1_17partition_subalgoE0EiNS0_10empty_typeEbEEZZNS1_14partition_implILS5_0ELb0ES3_jN6thrust23THRUST_200600_302600_NS10device_ptrIiEEPS6_SD_NS0_5tupleIJSC_SC_EEENSE_IJSD_SD_EEES6_PlJ7is_evenIiEEEE10hipError_tPvRmT3_T4_T5_T6_T7_T9_mT8_P12ihipStream_tbDpT10_ENKUlT_T0_E_clISt17integral_constantIbLb0EES12_IbLb1EEEEDaSY_SZ_EUlSY_E_NS1_11comp_targetILNS1_3genE4ELNS1_11target_archE910ELNS1_3gpuE8ELNS1_3repE0EEENS1_30default_config_static_selectorELNS0_4arch9wavefront6targetE1EEEvT1_,"axG",@progbits,_ZN7rocprim17ROCPRIM_400000_NS6detail17trampoline_kernelINS0_14default_configENS1_25partition_config_selectorILNS1_17partition_subalgoE0EiNS0_10empty_typeEbEEZZNS1_14partition_implILS5_0ELb0ES3_jN6thrust23THRUST_200600_302600_NS10device_ptrIiEEPS6_SD_NS0_5tupleIJSC_SC_EEENSE_IJSD_SD_EEES6_PlJ7is_evenIiEEEE10hipError_tPvRmT3_T4_T5_T6_T7_T9_mT8_P12ihipStream_tbDpT10_ENKUlT_T0_E_clISt17integral_constantIbLb0EES12_IbLb1EEEEDaSY_SZ_EUlSY_E_NS1_11comp_targetILNS1_3genE4ELNS1_11target_archE910ELNS1_3gpuE8ELNS1_3repE0EEENS1_30default_config_static_selectorELNS0_4arch9wavefront6targetE1EEEvT1_,comdat
	.protected	_ZN7rocprim17ROCPRIM_400000_NS6detail17trampoline_kernelINS0_14default_configENS1_25partition_config_selectorILNS1_17partition_subalgoE0EiNS0_10empty_typeEbEEZZNS1_14partition_implILS5_0ELb0ES3_jN6thrust23THRUST_200600_302600_NS10device_ptrIiEEPS6_SD_NS0_5tupleIJSC_SC_EEENSE_IJSD_SD_EEES6_PlJ7is_evenIiEEEE10hipError_tPvRmT3_T4_T5_T6_T7_T9_mT8_P12ihipStream_tbDpT10_ENKUlT_T0_E_clISt17integral_constantIbLb0EES12_IbLb1EEEEDaSY_SZ_EUlSY_E_NS1_11comp_targetILNS1_3genE4ELNS1_11target_archE910ELNS1_3gpuE8ELNS1_3repE0EEENS1_30default_config_static_selectorELNS0_4arch9wavefront6targetE1EEEvT1_ ; -- Begin function _ZN7rocprim17ROCPRIM_400000_NS6detail17trampoline_kernelINS0_14default_configENS1_25partition_config_selectorILNS1_17partition_subalgoE0EiNS0_10empty_typeEbEEZZNS1_14partition_implILS5_0ELb0ES3_jN6thrust23THRUST_200600_302600_NS10device_ptrIiEEPS6_SD_NS0_5tupleIJSC_SC_EEENSE_IJSD_SD_EEES6_PlJ7is_evenIiEEEE10hipError_tPvRmT3_T4_T5_T6_T7_T9_mT8_P12ihipStream_tbDpT10_ENKUlT_T0_E_clISt17integral_constantIbLb0EES12_IbLb1EEEEDaSY_SZ_EUlSY_E_NS1_11comp_targetILNS1_3genE4ELNS1_11target_archE910ELNS1_3gpuE8ELNS1_3repE0EEENS1_30default_config_static_selectorELNS0_4arch9wavefront6targetE1EEEvT1_
	.globl	_ZN7rocprim17ROCPRIM_400000_NS6detail17trampoline_kernelINS0_14default_configENS1_25partition_config_selectorILNS1_17partition_subalgoE0EiNS0_10empty_typeEbEEZZNS1_14partition_implILS5_0ELb0ES3_jN6thrust23THRUST_200600_302600_NS10device_ptrIiEEPS6_SD_NS0_5tupleIJSC_SC_EEENSE_IJSD_SD_EEES6_PlJ7is_evenIiEEEE10hipError_tPvRmT3_T4_T5_T6_T7_T9_mT8_P12ihipStream_tbDpT10_ENKUlT_T0_E_clISt17integral_constantIbLb0EES12_IbLb1EEEEDaSY_SZ_EUlSY_E_NS1_11comp_targetILNS1_3genE4ELNS1_11target_archE910ELNS1_3gpuE8ELNS1_3repE0EEENS1_30default_config_static_selectorELNS0_4arch9wavefront6targetE1EEEvT1_
	.p2align	8
	.type	_ZN7rocprim17ROCPRIM_400000_NS6detail17trampoline_kernelINS0_14default_configENS1_25partition_config_selectorILNS1_17partition_subalgoE0EiNS0_10empty_typeEbEEZZNS1_14partition_implILS5_0ELb0ES3_jN6thrust23THRUST_200600_302600_NS10device_ptrIiEEPS6_SD_NS0_5tupleIJSC_SC_EEENSE_IJSD_SD_EEES6_PlJ7is_evenIiEEEE10hipError_tPvRmT3_T4_T5_T6_T7_T9_mT8_P12ihipStream_tbDpT10_ENKUlT_T0_E_clISt17integral_constantIbLb0EES12_IbLb1EEEEDaSY_SZ_EUlSY_E_NS1_11comp_targetILNS1_3genE4ELNS1_11target_archE910ELNS1_3gpuE8ELNS1_3repE0EEENS1_30default_config_static_selectorELNS0_4arch9wavefront6targetE1EEEvT1_,@function
_ZN7rocprim17ROCPRIM_400000_NS6detail17trampoline_kernelINS0_14default_configENS1_25partition_config_selectorILNS1_17partition_subalgoE0EiNS0_10empty_typeEbEEZZNS1_14partition_implILS5_0ELb0ES3_jN6thrust23THRUST_200600_302600_NS10device_ptrIiEEPS6_SD_NS0_5tupleIJSC_SC_EEENSE_IJSD_SD_EEES6_PlJ7is_evenIiEEEE10hipError_tPvRmT3_T4_T5_T6_T7_T9_mT8_P12ihipStream_tbDpT10_ENKUlT_T0_E_clISt17integral_constantIbLb0EES12_IbLb1EEEEDaSY_SZ_EUlSY_E_NS1_11comp_targetILNS1_3genE4ELNS1_11target_archE910ELNS1_3gpuE8ELNS1_3repE0EEENS1_30default_config_static_selectorELNS0_4arch9wavefront6targetE1EEEvT1_: ; @_ZN7rocprim17ROCPRIM_400000_NS6detail17trampoline_kernelINS0_14default_configENS1_25partition_config_selectorILNS1_17partition_subalgoE0EiNS0_10empty_typeEbEEZZNS1_14partition_implILS5_0ELb0ES3_jN6thrust23THRUST_200600_302600_NS10device_ptrIiEEPS6_SD_NS0_5tupleIJSC_SC_EEENSE_IJSD_SD_EEES6_PlJ7is_evenIiEEEE10hipError_tPvRmT3_T4_T5_T6_T7_T9_mT8_P12ihipStream_tbDpT10_ENKUlT_T0_E_clISt17integral_constantIbLb0EES12_IbLb1EEEEDaSY_SZ_EUlSY_E_NS1_11comp_targetILNS1_3genE4ELNS1_11target_archE910ELNS1_3gpuE8ELNS1_3repE0EEENS1_30default_config_static_selectorELNS0_4arch9wavefront6targetE1EEEvT1_
; %bb.0:
	s_load_dwordx2 s[2:3], s[4:5], 0x58
	s_load_dwordx4 s[20:23], s[4:5], 0x48
	s_load_dwordx2 s[34:35], s[4:5], 0x68
	v_cmp_eq_u32_e64 s[0:1], 0, v0
	s_and_saveexec_b64 s[6:7], s[0:1]
	s_cbranch_execz .LBB3720_4
; %bb.1:
	s_mov_b64 s[10:11], exec
	v_mbcnt_lo_u32_b32 v1, s10, 0
	v_mbcnt_hi_u32_b32 v1, s11, v1
	v_cmp_eq_u32_e32 vcc, 0, v1
                                        ; implicit-def: $vgpr2
	s_and_saveexec_b64 s[8:9], vcc
	s_cbranch_execz .LBB3720_3
; %bb.2:
	s_load_dwordx2 s[12:13], s[4:5], 0x78
	s_bcnt1_i32_b64 s10, s[10:11]
	v_mov_b32_e32 v2, 0
	v_mov_b32_e32 v3, s10
	s_waitcnt lgkmcnt(0)
	global_atomic_add v2, v2, v3, s[12:13] glc
.LBB3720_3:
	s_or_b64 exec, exec, s[8:9]
	s_waitcnt vmcnt(0)
	v_readfirstlane_b32 s8, v2
	v_add_u32_e32 v1, s8, v1
	v_mov_b32_e32 v2, 0
	ds_write_b32 v2, v1
.LBB3720_4:
	s_or_b64 exec, exec, s[6:7]
	v_mov_b32_e32 v3, 0
	s_load_dwordx4 s[28:31], s[4:5], 0x8
	s_load_dwordx4 s[24:27], s[4:5], 0x28
	s_load_dword s6, s[4:5], 0x70
	s_waitcnt lgkmcnt(0)
	s_barrier
	ds_read_b32 v1, v3
	s_waitcnt lgkmcnt(0)
	s_barrier
	global_load_dwordx2 v[12:13], v3, s[22:23]
	v_mov_b32_e32 v5, s3
	s_lshl_b64 s[4:5], s[30:31], 2
	s_movk_i32 s3, 0xa00
	s_add_u32 s7, s28, s4
	v_mul_lo_u32 v2, v1, s3
	s_mul_i32 s3, s6, 0xa00
	s_addc_u32 s8, s29, s5
	s_add_i32 s5, s3, s30
	s_sub_i32 s33, s2, s5
	s_add_i32 s4, s6, -1
	s_addk_i32 s33, 0xa00
	v_mov_b32_e32 v4, s2
	s_add_u32 s2, s30, s3
	v_readfirstlane_b32 s40, v1
	s_addc_u32 s3, s31, 0
	s_cmp_eq_u32 s40, s4
	s_cselect_b64 s[22:23], -1, 0
	s_cmp_lg_u32 s40, s4
	v_cmp_lt_u64_e32 vcc, s[2:3], v[4:5]
	s_cselect_b64 s[2:3], -1, 0
	v_lshlrev_b64 v[14:15], 2, v[2:3]
	s_or_b64 s[4:5], vcc, s[2:3]
	v_mov_b32_e32 v1, s8
	v_add_co_u32_e32 v16, vcc, s7, v14
	v_addc_co_u32_e32 v17, vcc, v1, v15, vcc
	s_mov_b64 s[2:3], -1
	s_and_b64 vcc, exec, s[4:5]
	v_lshlrev_b32_e32 v1, 2, v0
	s_cbranch_vccz .LBB3720_6
; %bb.5:
	v_add_co_u32_e32 v2, vcc, v16, v1
	v_addc_co_u32_e32 v3, vcc, 0, v17, vcc
	v_add_co_u32_e32 v4, vcc, 0x1000, v2
	v_addc_co_u32_e32 v5, vcc, 0, v3, vcc
	flat_load_dword v6, v[2:3]
	flat_load_dword v7, v[2:3] offset:1024
	flat_load_dword v8, v[2:3] offset:2048
	;; [unrolled: 1-line block ×3, first 2 shown]
	flat_load_dword v10, v[4:5]
	flat_load_dword v11, v[4:5] offset:1024
	flat_load_dword v18, v[4:5] offset:2048
	;; [unrolled: 1-line block ×3, first 2 shown]
	v_add_co_u32_e32 v2, vcc, 0x2000, v2
	v_addc_co_u32_e32 v3, vcc, 0, v3, vcc
	flat_load_dword v4, v[2:3]
	flat_load_dword v5, v[2:3] offset:1024
	s_mov_b64 s[2:3], 0
	s_waitcnt vmcnt(0) lgkmcnt(0)
	ds_write2st64_b32 v1, v6, v7 offset1:4
	ds_write2st64_b32 v1, v8, v9 offset0:8 offset1:12
	ds_write2st64_b32 v1, v10, v11 offset0:16 offset1:20
	;; [unrolled: 1-line block ×4, first 2 shown]
	s_waitcnt lgkmcnt(0)
	s_barrier
.LBB3720_6:
	s_andn2_b64 vcc, exec, s[2:3]
	v_cmp_gt_u32_e64 s[2:3], s33, v0
	s_cbranch_vccnz .LBB3720_28
; %bb.7:
                                        ; implicit-def: $vgpr2_vgpr3_vgpr4_vgpr5_vgpr6_vgpr7_vgpr8_vgpr9_vgpr10_vgpr11
	s_and_saveexec_b64 s[6:7], s[2:3]
	s_cbranch_execz .LBB3720_9
; %bb.8:
	v_add_co_u32_e32 v2, vcc, v16, v1
	v_addc_co_u32_e32 v3, vcc, 0, v17, vcc
	flat_load_dword v2, v[2:3]
.LBB3720_9:
	s_or_b64 exec, exec, s[6:7]
	v_or_b32_e32 v18, 0x100, v0
	v_cmp_gt_u32_e32 vcc, s33, v18
	s_and_saveexec_b64 s[2:3], vcc
	s_cbranch_execz .LBB3720_11
; %bb.10:
	v_add_co_u32_e32 v18, vcc, v16, v1
	v_addc_co_u32_e32 v19, vcc, 0, v17, vcc
	flat_load_dword v3, v[18:19] offset:1024
.LBB3720_11:
	s_or_b64 exec, exec, s[2:3]
	v_or_b32_e32 v18, 0x200, v0
	v_cmp_gt_u32_e32 vcc, s33, v18
	s_and_saveexec_b64 s[2:3], vcc
	s_cbranch_execz .LBB3720_13
; %bb.12:
	v_add_co_u32_e32 v18, vcc, v16, v1
	v_addc_co_u32_e32 v19, vcc, 0, v17, vcc
	flat_load_dword v4, v[18:19] offset:2048
.LBB3720_13:
	;; [unrolled: 10-line block ×3, first 2 shown]
	s_or_b64 exec, exec, s[2:3]
	v_or_b32_e32 v18, 0x400, v0
	v_cmp_gt_u32_e32 vcc, s33, v18
	s_and_saveexec_b64 s[2:3], vcc
	s_cbranch_execz .LBB3720_17
; %bb.16:
	v_lshlrev_b32_e32 v6, 2, v18
	v_add_co_u32_e32 v18, vcc, v16, v6
	v_addc_co_u32_e32 v19, vcc, 0, v17, vcc
	flat_load_dword v6, v[18:19]
.LBB3720_17:
	s_or_b64 exec, exec, s[2:3]
	v_or_b32_e32 v18, 0x500, v0
	v_cmp_gt_u32_e32 vcc, s33, v18
	s_and_saveexec_b64 s[2:3], vcc
	s_cbranch_execz .LBB3720_19
; %bb.18:
	v_lshlrev_b32_e32 v7, 2, v18
	v_add_co_u32_e32 v18, vcc, v16, v7
	v_addc_co_u32_e32 v19, vcc, 0, v17, vcc
	flat_load_dword v7, v[18:19]
.LBB3720_19:
	;; [unrolled: 11-line block ×6, first 2 shown]
	s_or_b64 exec, exec, s[2:3]
	s_waitcnt vmcnt(0) lgkmcnt(0)
	ds_write2st64_b32 v1, v2, v3 offset1:4
	ds_write2st64_b32 v1, v4, v5 offset0:8 offset1:12
	ds_write2st64_b32 v1, v6, v7 offset0:16 offset1:20
	;; [unrolled: 1-line block ×4, first 2 shown]
	s_waitcnt lgkmcnt(0)
	s_barrier
.LBB3720_28:
	v_mul_u32_u24_e32 v27, 10, v0
	v_lshlrev_b32_e32 v33, 2, v27
	ds_read2_b64 v[6:9], v33 offset1:1
	ds_read2_b64 v[2:5], v33 offset0:2 offset1:3
	ds_read_b64 v[10:11], v33 offset:32
	v_cndmask_b32_e64 v16, 0, 1, s[4:5]
	v_cmp_ne_u32_e64 s[2:3], 1, v16
	s_andn2_b64 vcc, exec, s[4:5]
	s_waitcnt lgkmcnt(2)
	v_xor_b32_e32 v25, -1, v6
	v_xor_b32_e32 v24, -1, v7
	;; [unrolled: 1-line block ×4, first 2 shown]
	s_waitcnt lgkmcnt(1)
	v_xor_b32_e32 v21, -1, v2
	v_xor_b32_e32 v20, -1, v3
	;; [unrolled: 1-line block ×4, first 2 shown]
	s_waitcnt lgkmcnt(0)
	v_xor_b32_e32 v17, -1, v10
	v_xor_b32_e32 v16, -1, v11
	s_barrier
	s_cbranch_vccnz .LBB3720_30
; %bb.29:
	v_mov_b32_e32 v26, 1
	v_and_b32_e32 v29, 1, v25
	v_and_b32_sdwa v30, v24, v26 dst_sel:BYTE_1 dst_unused:UNUSED_PAD src0_sel:DWORD src1_sel:DWORD
	v_and_b32_e32 v31, 1, v23
	v_and_b32_sdwa v32, v22, v26 dst_sel:BYTE_1 dst_unused:UNUSED_PAD src0_sel:DWORD src1_sel:DWORD
	;; [unrolled: 2-line block ×4, first 2 shown]
	v_or_b32_e32 v29, v29, v30
	v_or_b32_sdwa v30, v31, v32 dst_sel:WORD_1 dst_unused:UNUSED_PAD src0_sel:DWORD src1_sel:DWORD
	v_or_b32_sdwa v30, v29, v30 dst_sel:DWORD dst_unused:UNUSED_PAD src0_sel:WORD_0 src1_sel:DWORD
	v_or_b32_e32 v29, v34, v35
	v_or_b32_sdwa v31, v36, v37 dst_sel:WORD_1 dst_unused:UNUSED_PAD src0_sel:DWORD src1_sel:DWORD
	v_and_b32_e32 v28, 1, v17
	v_and_b32_e32 v26, 1, v16
	v_or_b32_sdwa v29, v29, v31 dst_sel:DWORD dst_unused:UNUSED_PAD src0_sel:WORD_0 src1_sel:DWORD
	s_cbranch_execz .LBB3720_31
	s_branch .LBB3720_32
.LBB3720_30:
                                        ; implicit-def: $vgpr26
                                        ; implicit-def: $vgpr28
                                        ; implicit-def: $vgpr29
                                        ; implicit-def: $vgpr30
.LBB3720_31:
	v_or_b32_e32 v36, 1, v27
	v_cmp_gt_u32_e32 vcc, s33, v27
	v_add_u32_e32 v26, 2, v27
	v_cndmask_b32_e64 v37, 0, 1, vcc
	v_cmp_gt_u32_e32 vcc, s33, v36
	v_add_u32_e32 v35, 3, v27
	v_cndmask_b32_e64 v36, 0, 1, vcc
	;; [unrolled: 3-line block ×3, first 2 shown]
	v_cmp_gt_u32_e32 vcc, s33, v35
	v_add_u32_e32 v34, 5, v27
	v_and_b32_e32 v23, v26, v23
	v_cndmask_b32_e64 v26, 0, 1, vcc
	v_cmp_gt_u32_e32 vcc, s33, v28
	v_add_u32_e32 v29, 6, v27
	v_and_b32_sdwa v22, v26, v22 dst_sel:BYTE_1 dst_unused:UNUSED_PAD src0_sel:DWORD src1_sel:DWORD
	v_cndmask_b32_e64 v26, 0, 1, vcc
	v_cmp_gt_u32_e32 vcc, s33, v34
	v_add_u32_e32 v32, 7, v27
	v_and_b32_e32 v21, v26, v21
	v_cndmask_b32_e64 v26, 0, 1, vcc
	v_cmp_gt_u32_e32 vcc, s33, v29
	v_add_u32_e32 v30, 8, v27
	v_and_b32_sdwa v20, v26, v20 dst_sel:BYTE_1 dst_unused:UNUSED_PAD src0_sel:DWORD src1_sel:DWORD
	v_cndmask_b32_e64 v26, 0, 1, vcc
	v_cmp_gt_u32_e32 vcc, s33, v32
	v_add_u32_e32 v31, 9, v27
	v_and_b32_e32 v19, v26, v19
	v_cndmask_b32_e64 v26, 0, 1, vcc
	v_cmp_gt_u32_e32 vcc, s33, v30
	v_and_b32_sdwa v18, v26, v18 dst_sel:BYTE_1 dst_unused:UNUSED_PAD src0_sel:DWORD src1_sel:DWORD
	v_cndmask_b32_e64 v26, 0, 1, vcc
	v_cmp_gt_u32_e32 vcc, s33, v31
	v_and_b32_e32 v25, v37, v25
	v_and_b32_sdwa v24, v36, v24 dst_sel:BYTE_1 dst_unused:UNUSED_PAD src0_sel:DWORD src1_sel:DWORD
	v_and_b32_e32 v28, v26, v17
	v_cndmask_b32_e64 v17, 0, 1, vcc
	v_and_b32_e32 v26, v17, v16
	v_or_b32_e32 v16, v25, v24
	v_or_b32_sdwa v17, v23, v22 dst_sel:WORD_1 dst_unused:UNUSED_PAD src0_sel:DWORD src1_sel:DWORD
	v_or_b32_sdwa v30, v16, v17 dst_sel:DWORD dst_unused:UNUSED_PAD src0_sel:WORD_0 src1_sel:DWORD
	v_or_b32_e32 v16, v21, v20
	v_or_b32_sdwa v17, v19, v18 dst_sel:WORD_1 dst_unused:UNUSED_PAD src0_sel:DWORD src1_sel:DWORD
	v_or_b32_sdwa v29, v16, v17 dst_sel:DWORD dst_unused:UNUSED_PAD src0_sel:WORD_0 src1_sel:DWORD
.LBB3720_32:
	v_bfe_u32 v34, v30, 16, 8
	v_lshrrev_b32_e32 v32, 24, v30
	v_add_u32_sdwa v17, v30, v30 dst_sel:DWORD dst_unused:UNUSED_PAD src0_sel:BYTE_1 src1_sel:BYTE_0
	v_and_b32_e32 v35, 0xff, v29
	v_bfe_u32 v36, v29, 8, 8
	v_add3_u32 v17, v17, v34, v32
	v_bfe_u32 v37, v29, 16, 8
	v_lshrrev_b32_e32 v31, 24, v29
	v_add3_u32 v17, v17, v35, v36
	v_and_b32_e32 v38, 0xff, v28
	v_and_b32_e32 v16, 0xff, v26
	v_add3_u32 v17, v17, v37, v31
	v_add3_u32 v41, v17, v38, v16
	v_mbcnt_lo_u32_b32 v16, -1, 0
	v_mbcnt_hi_u32_b32 v39, -1, v16
	v_and_b32_e32 v16, 15, v39
	v_cmp_eq_u32_e64 s[16:17], 0, v16
	v_cmp_lt_u32_e64 s[14:15], 1, v16
	v_cmp_lt_u32_e64 s[12:13], 3, v16
	;; [unrolled: 1-line block ×3, first 2 shown]
	v_and_b32_e32 v16, 16, v39
	v_cmp_eq_u32_e64 s[8:9], 0, v16
	v_or_b32_e32 v16, 63, v0
	s_cmp_lg_u32 s40, 0
	v_cmp_lt_u32_e64 s[4:5], 31, v39
	v_lshrrev_b32_e32 v40, 6, v0
	v_cmp_eq_u32_e64 s[6:7], v16, v0
	s_cbranch_scc0 .LBB3720_59
; %bb.33:
	v_mov_b32_dpp v16, v41 row_shr:1 row_mask:0xf bank_mask:0xf
	v_cndmask_b32_e64 v16, v16, 0, s[16:17]
	v_add_u32_e32 v16, v16, v41
	s_nop 1
	v_mov_b32_dpp v17, v16 row_shr:2 row_mask:0xf bank_mask:0xf
	v_cndmask_b32_e64 v17, 0, v17, s[14:15]
	v_add_u32_e32 v16, v16, v17
	s_nop 1
	;; [unrolled: 4-line block ×4, first 2 shown]
	v_mov_b32_dpp v17, v16 row_bcast:15 row_mask:0xf bank_mask:0xf
	v_cndmask_b32_e64 v17, v17, 0, s[8:9]
	v_add_u32_e32 v16, v16, v17
	s_nop 1
	v_mov_b32_dpp v17, v16 row_bcast:31 row_mask:0xf bank_mask:0xf
	v_cndmask_b32_e64 v17, 0, v17, s[4:5]
	v_add_u32_e32 v16, v16, v17
	s_and_saveexec_b64 s[18:19], s[6:7]
	s_cbranch_execz .LBB3720_35
; %bb.34:
	v_lshlrev_b32_e32 v17, 2, v40
	ds_write_b32 v17, v16
.LBB3720_35:
	s_or_b64 exec, exec, s[18:19]
	v_cmp_gt_u32_e32 vcc, 4, v0
	s_waitcnt lgkmcnt(0)
	s_barrier
	s_and_saveexec_b64 s[18:19], vcc
	s_cbranch_execz .LBB3720_37
; %bb.36:
	ds_read_b32 v17, v1
	v_and_b32_e32 v18, 3, v39
	v_cmp_ne_u32_e32 vcc, 0, v18
	s_waitcnt lgkmcnt(0)
	v_mov_b32_dpp v19, v17 row_shr:1 row_mask:0xf bank_mask:0xf
	v_cndmask_b32_e32 v19, 0, v19, vcc
	v_add_u32_e32 v17, v19, v17
	v_cmp_lt_u32_e32 vcc, 1, v18
	s_nop 0
	v_mov_b32_dpp v19, v17 row_shr:2 row_mask:0xf bank_mask:0xf
	v_cndmask_b32_e32 v18, 0, v19, vcc
	v_add_u32_e32 v17, v17, v18
	ds_write_b32 v1, v17
.LBB3720_37:
	s_or_b64 exec, exec, s[18:19]
	v_cmp_gt_u32_e32 vcc, 64, v0
	v_cmp_lt_u32_e64 s[18:19], 63, v0
	s_waitcnt lgkmcnt(0)
	s_barrier
	s_waitcnt lgkmcnt(0)
                                        ; implicit-def: $vgpr42
	s_and_saveexec_b64 s[28:29], s[18:19]
	s_cbranch_execz .LBB3720_39
; %bb.38:
	v_lshl_add_u32 v17, v40, 2, -4
	ds_read_b32 v42, v17
	s_waitcnt lgkmcnt(0)
	v_add_u32_e32 v16, v42, v16
.LBB3720_39:
	s_or_b64 exec, exec, s[28:29]
	v_add_u32_e32 v17, -1, v39
	v_and_b32_e32 v18, 64, v39
	v_cmp_lt_i32_e64 s[18:19], v17, v18
	v_cndmask_b32_e64 v17, v17, v39, s[18:19]
	v_lshlrev_b32_e32 v17, 2, v17
	ds_bpermute_b32 v43, v17, v16
	v_cmp_eq_u32_e64 s[18:19], 0, v39
	s_and_saveexec_b64 s[28:29], vcc
	s_cbranch_execz .LBB3720_58
; %bb.40:
	v_mov_b32_e32 v23, 0
	ds_read_b32 v16, v23 offset:12
	s_and_saveexec_b64 s[36:37], s[18:19]
	s_cbranch_execz .LBB3720_42
; %bb.41:
	s_add_i32 s38, s40, 64
	s_mov_b32 s39, 0
	s_lshl_b64 s[38:39], s[38:39], 3
	s_add_u32 s38, s34, s38
	v_mov_b32_e32 v17, 1
	s_addc_u32 s39, s35, s39
	s_waitcnt lgkmcnt(0)
	global_store_dwordx2 v23, v[16:17], s[38:39]
.LBB3720_42:
	s_or_b64 exec, exec, s[36:37]
	v_xad_u32 v18, v39, -1, s40
	v_add_u32_e32 v22, 64, v18
	v_lshlrev_b64 v[20:21], 3, v[22:23]
	v_mov_b32_e32 v17, s35
	v_add_co_u32_e32 v24, vcc, s34, v20
	v_addc_co_u32_e32 v25, vcc, v17, v21, vcc
	global_load_dwordx2 v[20:21], v[24:25], off glc
	s_waitcnt vmcnt(0)
	v_cmp_eq_u16_sdwa s[38:39], v21, v23 src0_sel:BYTE_0 src1_sel:DWORD
	s_and_saveexec_b64 s[36:37], s[38:39]
	s_cbranch_execz .LBB3720_46
; %bb.43:
	s_mov_b64 s[38:39], 0
	v_mov_b32_e32 v17, 0
.LBB3720_44:                            ; =>This Inner Loop Header: Depth=1
	global_load_dwordx2 v[20:21], v[24:25], off glc
	s_waitcnt vmcnt(0)
	v_cmp_ne_u16_sdwa s[42:43], v21, v17 src0_sel:BYTE_0 src1_sel:DWORD
	s_or_b64 s[38:39], s[42:43], s[38:39]
	s_andn2_b64 exec, exec, s[38:39]
	s_cbranch_execnz .LBB3720_44
; %bb.45:
	s_or_b64 exec, exec, s[38:39]
.LBB3720_46:
	s_or_b64 exec, exec, s[36:37]
	v_and_b32_e32 v45, 63, v39
	v_mov_b32_e32 v44, 2
	v_cmp_ne_u32_e32 vcc, 63, v45
	v_cmp_eq_u16_sdwa s[36:37], v21, v44 src0_sel:BYTE_0 src1_sel:DWORD
	v_lshlrev_b64 v[22:23], v39, -1
	v_addc_co_u32_e32 v24, vcc, 0, v39, vcc
	v_and_b32_e32 v17, s37, v23
	v_lshlrev_b32_e32 v46, 2, v24
	v_or_b32_e32 v17, 0x80000000, v17
	ds_bpermute_b32 v24, v46, v20
	v_and_b32_e32 v19, s36, v22
	v_ffbl_b32_e32 v17, v17
	v_add_u32_e32 v17, 32, v17
	v_ffbl_b32_e32 v19, v19
	v_min_u32_e32 v17, v19, v17
	v_cmp_lt_u32_e32 vcc, v45, v17
	s_waitcnt lgkmcnt(0)
	v_cndmask_b32_e32 v19, 0, v24, vcc
	v_cmp_gt_u32_e32 vcc, 62, v45
	v_add_u32_e32 v19, v19, v20
	v_cndmask_b32_e64 v20, 0, 1, vcc
	v_lshlrev_b32_e32 v20, 1, v20
	v_add_lshl_u32 v47, v20, v39, 2
	ds_bpermute_b32 v20, v47, v19
	v_add_u32_e32 v48, 2, v45
	v_cmp_le_u32_e32 vcc, v48, v17
	v_add_u32_e32 v50, 4, v45
	v_add_u32_e32 v52, 8, v45
	s_waitcnt lgkmcnt(0)
	v_cndmask_b32_e32 v20, 0, v20, vcc
	v_cmp_gt_u32_e32 vcc, 60, v45
	v_add_u32_e32 v19, v19, v20
	v_cndmask_b32_e64 v20, 0, 1, vcc
	v_lshlrev_b32_e32 v20, 2, v20
	v_add_lshl_u32 v49, v20, v39, 2
	ds_bpermute_b32 v20, v49, v19
	v_cmp_le_u32_e32 vcc, v50, v17
	v_add_u32_e32 v54, 16, v45
	v_add_u32_e32 v56, 32, v45
	s_waitcnt lgkmcnt(0)
	v_cndmask_b32_e32 v20, 0, v20, vcc
	v_cmp_gt_u32_e32 vcc, 56, v45
	v_add_u32_e32 v19, v19, v20
	v_cndmask_b32_e64 v20, 0, 1, vcc
	v_lshlrev_b32_e32 v20, 3, v20
	v_add_lshl_u32 v51, v20, v39, 2
	ds_bpermute_b32 v20, v51, v19
	v_cmp_le_u32_e32 vcc, v52, v17
	s_waitcnt lgkmcnt(0)
	v_cndmask_b32_e32 v20, 0, v20, vcc
	v_cmp_gt_u32_e32 vcc, 48, v45
	v_add_u32_e32 v19, v19, v20
	v_cndmask_b32_e64 v20, 0, 1, vcc
	v_lshlrev_b32_e32 v20, 4, v20
	v_add_lshl_u32 v53, v20, v39, 2
	ds_bpermute_b32 v20, v53, v19
	v_cmp_le_u32_e32 vcc, v54, v17
	s_waitcnt lgkmcnt(0)
	v_cndmask_b32_e32 v20, 0, v20, vcc
	v_cmp_gt_u32_e32 vcc, 32, v45
	v_add_u32_e32 v19, v19, v20
	v_cndmask_b32_e64 v20, 0, 1, vcc
	v_lshlrev_b32_e32 v20, 5, v20
	v_add_lshl_u32 v55, v20, v39, 2
	ds_bpermute_b32 v20, v55, v19
	v_cmp_le_u32_e32 vcc, v56, v17
	s_waitcnt lgkmcnt(0)
	v_cndmask_b32_e32 v17, 0, v20, vcc
	v_add_u32_e32 v20, v19, v17
	v_mov_b32_e32 v19, 0
	s_branch .LBB3720_48
.LBB3720_47:                            ;   in Loop: Header=BB3720_48 Depth=1
	s_or_b64 exec, exec, s[36:37]
	v_cmp_eq_u16_sdwa s[36:37], v21, v44 src0_sel:BYTE_0 src1_sel:DWORD
	v_and_b32_e32 v24, s37, v23
	v_or_b32_e32 v24, 0x80000000, v24
	ds_bpermute_b32 v57, v46, v20
	v_and_b32_e32 v25, s36, v22
	v_ffbl_b32_e32 v24, v24
	v_add_u32_e32 v24, 32, v24
	v_ffbl_b32_e32 v25, v25
	v_min_u32_e32 v24, v25, v24
	v_cmp_lt_u32_e32 vcc, v45, v24
	s_waitcnt lgkmcnt(0)
	v_cndmask_b32_e32 v25, 0, v57, vcc
	v_add_u32_e32 v20, v25, v20
	ds_bpermute_b32 v25, v47, v20
	v_cmp_le_u32_e32 vcc, v48, v24
	v_subrev_u32_e32 v18, 64, v18
	s_waitcnt lgkmcnt(0)
	v_cndmask_b32_e32 v25, 0, v25, vcc
	v_add_u32_e32 v20, v20, v25
	ds_bpermute_b32 v25, v49, v20
	v_cmp_le_u32_e32 vcc, v50, v24
	s_waitcnt lgkmcnt(0)
	v_cndmask_b32_e32 v25, 0, v25, vcc
	v_add_u32_e32 v20, v20, v25
	ds_bpermute_b32 v25, v51, v20
	v_cmp_le_u32_e32 vcc, v52, v24
	;; [unrolled: 5-line block ×4, first 2 shown]
	s_waitcnt lgkmcnt(0)
	v_cndmask_b32_e32 v24, 0, v25, vcc
	v_add3_u32 v20, v24, v17, v20
.LBB3720_48:                            ; =>This Loop Header: Depth=1
                                        ;     Child Loop BB3720_51 Depth 2
	v_cmp_ne_u16_sdwa s[36:37], v21, v44 src0_sel:BYTE_0 src1_sel:DWORD
	v_cndmask_b32_e64 v17, 0, 1, s[36:37]
	;;#ASMSTART
	;;#ASMEND
	v_cmp_ne_u32_e32 vcc, 0, v17
	s_cmp_lg_u64 vcc, exec
	v_mov_b32_e32 v17, v20
	s_cbranch_scc1 .LBB3720_53
; %bb.49:                               ;   in Loop: Header=BB3720_48 Depth=1
	v_lshlrev_b64 v[20:21], 3, v[18:19]
	v_mov_b32_e32 v25, s35
	v_add_co_u32_e32 v24, vcc, s34, v20
	v_addc_co_u32_e32 v25, vcc, v25, v21, vcc
	global_load_dwordx2 v[20:21], v[24:25], off glc
	s_waitcnt vmcnt(0)
	v_cmp_eq_u16_sdwa s[38:39], v21, v19 src0_sel:BYTE_0 src1_sel:DWORD
	s_and_saveexec_b64 s[36:37], s[38:39]
	s_cbranch_execz .LBB3720_47
; %bb.50:                               ;   in Loop: Header=BB3720_48 Depth=1
	s_mov_b64 s[38:39], 0
.LBB3720_51:                            ;   Parent Loop BB3720_48 Depth=1
                                        ; =>  This Inner Loop Header: Depth=2
	global_load_dwordx2 v[20:21], v[24:25], off glc
	s_waitcnt vmcnt(0)
	v_cmp_ne_u16_sdwa s[42:43], v21, v19 src0_sel:BYTE_0 src1_sel:DWORD
	s_or_b64 s[38:39], s[42:43], s[38:39]
	s_andn2_b64 exec, exec, s[38:39]
	s_cbranch_execnz .LBB3720_51
; %bb.52:                               ;   in Loop: Header=BB3720_48 Depth=1
	s_or_b64 exec, exec, s[38:39]
	s_branch .LBB3720_47
.LBB3720_53:                            ;   in Loop: Header=BB3720_48 Depth=1
                                        ; implicit-def: $vgpr20
                                        ; implicit-def: $vgpr21
	s_cbranch_execz .LBB3720_48
; %bb.54:
	s_and_saveexec_b64 s[36:37], s[18:19]
	s_cbranch_execz .LBB3720_56
; %bb.55:
	s_add_i32 s38, s40, 64
	s_mov_b32 s39, 0
	s_lshl_b64 s[38:39], s[38:39], 3
	s_add_u32 s38, s34, s38
	v_add_u32_e32 v18, v17, v16
	v_mov_b32_e32 v19, 2
	s_addc_u32 s39, s35, s39
	v_mov_b32_e32 v20, 0
	global_store_dwordx2 v20, v[18:19], s[38:39]
	ds_write_b64 v20, v[16:17] offset:10240
.LBB3720_56:
	s_or_b64 exec, exec, s[36:37]
	s_and_b64 exec, exec, s[0:1]
	s_cbranch_execz .LBB3720_58
; %bb.57:
	v_mov_b32_e32 v16, 0
	ds_write_b32 v16, v17 offset:12
.LBB3720_58:
	s_or_b64 exec, exec, s[28:29]
	v_mov_b32_e32 v16, 0
	s_waitcnt lgkmcnt(0)
	s_barrier
	ds_read_b32 v17, v16 offset:12
	v_cndmask_b32_e64 v18, v43, v42, s[18:19]
	v_cndmask_b32_e64 v18, v18, 0, s[0:1]
	s_waitcnt lgkmcnt(0)
	s_barrier
	v_add_u32_e32 v43, v17, v18
	v_add_u32_sdwa v42, v43, v30 dst_sel:DWORD dst_unused:UNUSED_PAD src0_sel:DWORD src1_sel:BYTE_0
	v_add_u32_sdwa v25, v42, v30 dst_sel:DWORD dst_unused:UNUSED_PAD src0_sel:DWORD src1_sel:BYTE_1
	v_add_u32_e32 v24, v25, v34
	v_add_u32_e32 v23, v24, v32
	;; [unrolled: 1-line block ×3, first 2 shown]
	ds_read_b64 v[16:17], v16 offset:10240
	v_add_u32_e32 v21, v22, v36
	v_add_u32_e32 v20, v21, v37
	;; [unrolled: 1-line block ×4, first 2 shown]
	s_branch .LBB3720_69
.LBB3720_59:
                                        ; implicit-def: $vgpr17
                                        ; implicit-def: $vgpr18
                                        ; implicit-def: $vgpr19
                                        ; implicit-def: $vgpr20
                                        ; implicit-def: $vgpr21
                                        ; implicit-def: $vgpr22
                                        ; implicit-def: $vgpr23
                                        ; implicit-def: $vgpr24
                                        ; implicit-def: $vgpr25
                                        ; implicit-def: $vgpr42
                                        ; implicit-def: $vgpr43
	s_cbranch_execz .LBB3720_69
; %bb.60:
	s_waitcnt lgkmcnt(0)
	v_mov_b32_dpp v16, v41 row_shr:1 row_mask:0xf bank_mask:0xf
	v_cndmask_b32_e64 v16, v16, 0, s[16:17]
	v_add_u32_e32 v16, v16, v41
	s_nop 1
	v_mov_b32_dpp v17, v16 row_shr:2 row_mask:0xf bank_mask:0xf
	v_cndmask_b32_e64 v17, 0, v17, s[14:15]
	v_add_u32_e32 v16, v16, v17
	s_nop 1
	;; [unrolled: 4-line block ×4, first 2 shown]
	v_mov_b32_dpp v17, v16 row_bcast:15 row_mask:0xf bank_mask:0xf
	v_cndmask_b32_e64 v17, v17, 0, s[8:9]
	v_add_u32_e32 v16, v16, v17
	s_nop 1
	v_mov_b32_dpp v17, v16 row_bcast:31 row_mask:0xf bank_mask:0xf
	v_cndmask_b32_e64 v17, 0, v17, s[4:5]
	v_add_u32_e32 v16, v16, v17
	s_and_saveexec_b64 s[4:5], s[6:7]
	s_cbranch_execz .LBB3720_62
; %bb.61:
	v_lshlrev_b32_e32 v17, 2, v40
	ds_write_b32 v17, v16
.LBB3720_62:
	s_or_b64 exec, exec, s[4:5]
	v_cmp_gt_u32_e32 vcc, 4, v0
	s_waitcnt lgkmcnt(0)
	s_barrier
	s_and_saveexec_b64 s[4:5], vcc
	s_cbranch_execz .LBB3720_64
; %bb.63:
	s_movk_i32 s6, 0xffdc
	v_mad_i32_i24 v17, v0, s6, v33
	ds_read_b32 v18, v17
	v_and_b32_e32 v19, 3, v39
	v_cmp_ne_u32_e32 vcc, 0, v19
	s_waitcnt lgkmcnt(0)
	v_mov_b32_dpp v20, v18 row_shr:1 row_mask:0xf bank_mask:0xf
	v_cndmask_b32_e32 v20, 0, v20, vcc
	v_add_u32_e32 v18, v20, v18
	v_cmp_lt_u32_e32 vcc, 1, v19
	s_nop 0
	v_mov_b32_dpp v20, v18 row_shr:2 row_mask:0xf bank_mask:0xf
	v_cndmask_b32_e32 v19, 0, v20, vcc
	v_add_u32_e32 v18, v18, v19
	ds_write_b32 v17, v18
.LBB3720_64:
	s_or_b64 exec, exec, s[4:5]
	v_cmp_lt_u32_e32 vcc, 63, v0
	v_mov_b32_e32 v17, 0
	v_mov_b32_e32 v18, 0
	s_waitcnt lgkmcnt(0)
	s_barrier
	s_and_saveexec_b64 s[4:5], vcc
	s_cbranch_execz .LBB3720_66
; %bb.65:
	v_lshl_add_u32 v18, v40, 2, -4
	ds_read_b32 v18, v18
.LBB3720_66:
	s_or_b64 exec, exec, s[4:5]
	v_add_u32_e32 v19, -1, v39
	v_and_b32_e32 v20, 64, v39
	v_cmp_lt_i32_e32 vcc, v19, v20
	v_cndmask_b32_e32 v19, v19, v39, vcc
	s_waitcnt lgkmcnt(0)
	v_add_u32_e32 v16, v18, v16
	v_lshlrev_b32_e32 v19, 2, v19
	ds_bpermute_b32 v19, v19, v16
	ds_read_b32 v16, v17 offset:12
	s_and_saveexec_b64 s[4:5], s[0:1]
	s_cbranch_execz .LBB3720_68
; %bb.67:
	v_mov_b32_e32 v20, 0
	v_mov_b32_e32 v17, 2
	s_waitcnt lgkmcnt(0)
	global_store_dwordx2 v20, v[16:17], s[34:35] offset:512
.LBB3720_68:
	s_or_b64 exec, exec, s[4:5]
	v_cmp_eq_u32_e32 vcc, 0, v39
	s_waitcnt lgkmcnt(1)
	v_cndmask_b32_e32 v18, v19, v18, vcc
	v_cndmask_b32_e64 v43, v18, 0, s[0:1]
	v_add_u32_sdwa v42, v43, v30 dst_sel:DWORD dst_unused:UNUSED_PAD src0_sel:DWORD src1_sel:BYTE_0
	v_add_u32_sdwa v25, v42, v30 dst_sel:DWORD dst_unused:UNUSED_PAD src0_sel:DWORD src1_sel:BYTE_1
	v_add_u32_e32 v24, v25, v34
	v_add_u32_e32 v23, v24, v32
	;; [unrolled: 1-line block ×6, first 2 shown]
	v_mov_b32_e32 v17, 0
	v_add_u32_e32 v18, v19, v38
	s_waitcnt lgkmcnt(0)
	s_barrier
.LBB3720_69:
	s_waitcnt lgkmcnt(0)
	v_add_u32_e32 v27, v16, v27
	v_sub_u32_e32 v35, v43, v17
	v_and_b32_e32 v37, 1, v30
	v_sub_u32_e32 v36, v27, v35
	v_cmp_eq_u32_e32 vcc, 1, v37
	v_cndmask_b32_e32 v35, v36, v35, vcc
	v_lshlrev_b32_e32 v35, 2, v35
	v_lshrrev_b32_e32 v34, 8, v30
	ds_write_b32 v35, v6
	v_sub_u32_e32 v6, v42, v17
	v_sub_u32_e32 v35, v27, v6
	v_and_b32_e32 v34, 1, v34
	v_add_u32_e32 v35, 1, v35
	v_cmp_eq_u32_e32 vcc, 1, v34
	v_cndmask_b32_e32 v6, v35, v6, vcc
	v_lshlrev_b32_e32 v6, 2, v6
	ds_write_b32 v6, v7
	v_sub_u32_e32 v6, v25, v17
	v_mov_b32_e32 v25, 1
	v_sub_u32_e32 v7, v27, v6
	v_and_b32_sdwa v30, v25, v30 dst_sel:DWORD dst_unused:UNUSED_PAD src0_sel:DWORD src1_sel:WORD_1
	v_add_u32_e32 v7, 2, v7
	v_cmp_eq_u32_e32 vcc, 1, v30
	v_cndmask_b32_e32 v6, v7, v6, vcc
	v_lshlrev_b32_e32 v6, 2, v6
	ds_write_b32 v6, v8
	v_sub_u32_e32 v6, v24, v17
	v_sub_u32_e32 v7, v27, v6
	v_and_b32_e32 v8, 1, v32
	v_add_u32_e32 v7, 3, v7
	v_cmp_eq_u32_e32 vcc, 1, v8
	v_cndmask_b32_e32 v6, v7, v6, vcc
	v_lshlrev_b32_e32 v6, 2, v6
	ds_write_b32 v6, v9
	v_sub_u32_e32 v6, v23, v17
	v_sub_u32_e32 v7, v27, v6
	v_and_b32_e32 v8, 1, v29
	v_add_u32_e32 v7, 4, v7
	v_cmp_eq_u32_e32 vcc, 1, v8
	v_cndmask_b32_e32 v6, v7, v6, vcc
	v_lshlrev_b32_e32 v6, 2, v6
	v_lshrrev_b32_e32 v33, 8, v29
	ds_write_b32 v6, v2
	v_sub_u32_e32 v2, v22, v17
	v_sub_u32_e32 v6, v27, v2
	v_and_b32_e32 v7, 1, v33
	v_add_u32_e32 v6, 5, v6
	v_cmp_eq_u32_e32 vcc, 1, v7
	v_cndmask_b32_e32 v2, v6, v2, vcc
	v_lshlrev_b32_e32 v2, 2, v2
	ds_write_b32 v2, v3
	v_sub_u32_e32 v2, v21, v17
	v_sub_u32_e32 v3, v27, v2
	v_and_b32_sdwa v6, v25, v29 dst_sel:DWORD dst_unused:UNUSED_PAD src0_sel:DWORD src1_sel:WORD_1
	v_add_u32_e32 v3, 6, v3
	v_cmp_eq_u32_e32 vcc, 1, v6
	v_cndmask_b32_e32 v2, v3, v2, vcc
	v_lshlrev_b32_e32 v2, 2, v2
	ds_write_b32 v2, v4
	v_sub_u32_e32 v2, v20, v17
	v_sub_u32_e32 v3, v27, v2
	v_and_b32_e32 v4, 1, v31
	v_add_u32_e32 v3, 7, v3
	v_cmp_eq_u32_e32 vcc, 1, v4
	v_cndmask_b32_e32 v2, v3, v2, vcc
	v_lshlrev_b32_e32 v2, 2, v2
	ds_write_b32 v2, v5
	v_sub_u32_e32 v2, v19, v17
	v_sub_u32_e32 v3, v27, v2
	v_and_b32_e32 v4, 1, v28
	;; [unrolled: 8-line block ×3, first 2 shown]
	v_add_u32_e32 v3, 9, v3
	v_cmp_eq_u32_e32 vcc, 1, v4
	v_cndmask_b32_e32 v2, v3, v2, vcc
	s_waitcnt vmcnt(0)
	v_add_co_u32_e32 v30, vcc, v12, v17
	v_lshlrev_b32_e32 v2, 2, v2
	v_addc_co_u32_e32 v31, vcc, 0, v13, vcc
	ds_write_b32 v2, v11
	v_add_co_u32_e32 v2, vcc, v30, v16
	v_addc_co_u32_e32 v3, vcc, 0, v31, vcc
	v_mov_b32_e32 v13, s31
	v_sub_co_u32_e32 v12, vcc, s30, v2
	v_subb_co_u32_e32 v13, vcc, v13, v3, vcc
	v_lshlrev_b64 v[12:13], 2, v[12:13]
	v_mov_b32_e32 v17, s27
	v_add_co_u32_e32 v12, vcc, s26, v12
	s_waitcnt lgkmcnt(0)
	s_barrier
	ds_read2st64_b32 v[18:19], v1 offset1:4
	ds_read2st64_b32 v[10:11], v1 offset0:8 offset1:12
	ds_read2st64_b32 v[8:9], v1 offset0:16 offset1:20
	;; [unrolled: 1-line block ×4, first 2 shown]
	v_addc_co_u32_e32 v13, vcc, v17, v13, vcc
	v_add_co_u32_e32 v12, vcc, v12, v14
	v_addc_co_u32_e32 v13, vcc, v13, v15, vcc
	v_lshlrev_b64 v[14:15], 2, v[30:31]
	v_mov_b32_e32 v17, s25
	s_and_b64 vcc, exec, s[2:3]
	v_add_co_u32_e64 v14, s[2:3], s24, v14
	v_or_b32_e32 v28, 0x100, v0
	v_or_b32_e32 v27, 0x200, v0
	;; [unrolled: 1-line block ×9, first 2 shown]
	v_addc_co_u32_e64 v15, s[2:3], v17, v15, s[2:3]
	s_cbranch_vccnz .LBB3720_71
; %bb.70:
	v_cmp_gt_u32_e32 vcc, v16, v0
	v_cndmask_b32_e32 v29, v12, v14, vcc
	v_cndmask_b32_e32 v17, v13, v15, vcc
	v_add_co_u32_e32 v30, vcc, v29, v1
	v_addc_co_u32_e32 v31, vcc, 0, v17, vcc
	v_cmp_lt_u32_e32 vcc, v28, v16
	v_cndmask_b32_e32 v29, v12, v14, vcc
	s_waitcnt lgkmcnt(4)
	global_store_dword v[30:31], v18, off
	v_cndmask_b32_e32 v17, v13, v15, vcc
	v_add_co_u32_e32 v30, vcc, v29, v1
	v_addc_co_u32_e32 v31, vcc, 0, v17, vcc
	v_cmp_lt_u32_e32 vcc, v27, v16
	v_cndmask_b32_e32 v29, v12, v14, vcc
	global_store_dword v[30:31], v19, off offset:1024
	v_cndmask_b32_e32 v17, v13, v15, vcc
	v_add_co_u32_e32 v30, vcc, v29, v1
	v_addc_co_u32_e32 v31, vcc, 0, v17, vcc
	v_cmp_lt_u32_e32 vcc, v26, v16
	v_cndmask_b32_e32 v29, v12, v14, vcc
	s_waitcnt lgkmcnt(3)
	global_store_dword v[30:31], v10, off offset:2048
	v_cndmask_b32_e32 v17, v13, v15, vcc
	v_add_co_u32_e32 v30, vcc, v29, v1
	v_addc_co_u32_e32 v31, vcc, 0, v17, vcc
	v_cmp_lt_u32_e32 vcc, v25, v16
	global_store_dword v[30:31], v11, off offset:3072
	v_cndmask_b32_e32 v29, v12, v14, vcc
	v_lshlrev_b32_e32 v30, 2, v25
	v_cndmask_b32_e32 v17, v13, v15, vcc
	v_add_co_u32_e32 v30, vcc, v29, v30
	v_addc_co_u32_e32 v31, vcc, 0, v17, vcc
	v_cmp_lt_u32_e32 vcc, v24, v16
	s_waitcnt lgkmcnt(2)
	global_store_dword v[30:31], v8, off
	v_cndmask_b32_e32 v29, v12, v14, vcc
	v_lshlrev_b32_e32 v30, 2, v24
	v_cndmask_b32_e32 v17, v13, v15, vcc
	v_add_co_u32_e32 v30, vcc, v29, v30
	v_addc_co_u32_e32 v31, vcc, 0, v17, vcc
	v_cmp_lt_u32_e32 vcc, v23, v16
	global_store_dword v[30:31], v9, off
	v_cndmask_b32_e32 v29, v12, v14, vcc
	v_lshlrev_b32_e32 v30, 2, v23
	v_cndmask_b32_e32 v17, v13, v15, vcc
	v_add_co_u32_e32 v30, vcc, v29, v30
	v_addc_co_u32_e32 v31, vcc, 0, v17, vcc
	v_cmp_lt_u32_e32 vcc, v22, v16
	s_waitcnt lgkmcnt(1)
	global_store_dword v[30:31], v6, off
	v_cndmask_b32_e32 v29, v12, v14, vcc
	v_lshlrev_b32_e32 v30, 2, v22
	v_cndmask_b32_e32 v17, v13, v15, vcc
	v_add_co_u32_e32 v30, vcc, v29, v30
	v_addc_co_u32_e32 v31, vcc, 0, v17, vcc
	v_cmp_lt_u32_e32 vcc, v21, v16
	global_store_dword v[30:31], v7, off
	v_cndmask_b32_e32 v29, v12, v14, vcc
	v_lshlrev_b32_e32 v30, 2, v21
	v_cndmask_b32_e32 v17, v13, v15, vcc
	v_add_co_u32_e32 v30, vcc, v29, v30
	v_addc_co_u32_e32 v31, vcc, 0, v17, vcc
	s_mov_b64 s[2:3], -1
	s_waitcnt lgkmcnt(0)
	global_store_dword v[30:31], v4, off
	s_cbranch_execz .LBB3720_72
	s_branch .LBB3720_83
.LBB3720_71:
	s_mov_b64 s[2:3], 0
.LBB3720_72:
	v_cmp_gt_u32_e32 vcc, s33, v0
	s_and_saveexec_b64 s[2:3], vcc
	s_cbranch_execnz .LBB3720_88
; %bb.73:
	s_or_b64 exec, exec, s[2:3]
	v_cmp_gt_u32_e32 vcc, s33, v28
	s_and_saveexec_b64 s[2:3], vcc
	s_cbranch_execnz .LBB3720_89
.LBB3720_74:
	s_or_b64 exec, exec, s[2:3]
	v_cmp_gt_u32_e32 vcc, s33, v27
	s_and_saveexec_b64 s[2:3], vcc
	s_cbranch_execnz .LBB3720_90
.LBB3720_75:
	s_or_b64 exec, exec, s[2:3]
	v_cmp_gt_u32_e32 vcc, s33, v26
	s_and_saveexec_b64 s[2:3], vcc
	s_cbranch_execnz .LBB3720_91
.LBB3720_76:
	s_or_b64 exec, exec, s[2:3]
	v_cmp_gt_u32_e32 vcc, s33, v25
	s_and_saveexec_b64 s[2:3], vcc
	s_cbranch_execnz .LBB3720_92
.LBB3720_77:
	s_or_b64 exec, exec, s[2:3]
	v_cmp_gt_u32_e32 vcc, s33, v24
	s_and_saveexec_b64 s[2:3], vcc
	s_cbranch_execnz .LBB3720_93
.LBB3720_78:
	s_or_b64 exec, exec, s[2:3]
	v_cmp_gt_u32_e32 vcc, s33, v23
	s_and_saveexec_b64 s[2:3], vcc
	s_cbranch_execnz .LBB3720_94
.LBB3720_79:
	s_or_b64 exec, exec, s[2:3]
	v_cmp_gt_u32_e32 vcc, s33, v22
	s_and_saveexec_b64 s[2:3], vcc
	s_cbranch_execnz .LBB3720_95
.LBB3720_80:
	s_or_b64 exec, exec, s[2:3]
	v_cmp_gt_u32_e32 vcc, s33, v21
	s_and_saveexec_b64 s[2:3], vcc
	s_cbranch_execz .LBB3720_82
.LBB3720_81:
	v_cmp_lt_u32_e32 vcc, v21, v16
	v_cndmask_b32_e32 v0, v12, v14, vcc
	s_waitcnt lgkmcnt(1)
	v_lshlrev_b32_e32 v6, 2, v21
	v_cndmask_b32_e32 v1, v13, v15, vcc
	v_add_co_u32_e32 v0, vcc, v0, v6
	v_addc_co_u32_e32 v1, vcc, 0, v1, vcc
	s_waitcnt lgkmcnt(0)
	global_store_dword v[0:1], v4, off
.LBB3720_82:
	s_or_b64 exec, exec, s[2:3]
	v_cmp_gt_u32_e64 s[2:3], s33, v20
.LBB3720_83:
	s_and_saveexec_b64 s[4:5], s[2:3]
	s_cbranch_execnz .LBB3720_86
; %bb.84:
	s_or_b64 exec, exec, s[4:5]
	s_and_b64 s[0:1], s[0:1], s[22:23]
	s_and_saveexec_b64 s[2:3], s[0:1]
	s_cbranch_execnz .LBB3720_87
.LBB3720_85:
	s_endpgm
.LBB3720_86:
	v_cmp_lt_u32_e32 vcc, v20, v16
	v_cndmask_b32_e32 v0, v12, v14, vcc
	s_waitcnt lgkmcnt(0)
	v_lshlrev_b32_e32 v4, 2, v20
	v_cndmask_b32_e32 v1, v13, v15, vcc
	v_add_co_u32_e32 v0, vcc, v0, v4
	v_addc_co_u32_e32 v1, vcc, 0, v1, vcc
	global_store_dword v[0:1], v5, off
	s_or_b64 exec, exec, s[4:5]
	s_and_b64 s[0:1], s[0:1], s[22:23]
	s_and_saveexec_b64 s[2:3], s[0:1]
	s_cbranch_execz .LBB3720_85
.LBB3720_87:
	v_mov_b32_e32 v0, 0
	global_store_dwordx2 v0, v[2:3], s[20:21]
	s_endpgm
.LBB3720_88:
	v_cmp_gt_u32_e32 vcc, v16, v0
	v_cndmask_b32_e32 v17, v12, v14, vcc
	v_cndmask_b32_e32 v0, v13, v15, vcc
	v_add_co_u32_e32 v30, vcc, v17, v1
	v_addc_co_u32_e32 v31, vcc, 0, v0, vcc
	s_waitcnt lgkmcnt(4)
	global_store_dword v[30:31], v18, off
	s_or_b64 exec, exec, s[2:3]
	v_cmp_gt_u32_e32 vcc, s33, v28
	s_and_saveexec_b64 s[2:3], vcc
	s_cbranch_execz .LBB3720_74
.LBB3720_89:
	v_cmp_lt_u32_e32 vcc, v28, v16
	v_cndmask_b32_e32 v17, v12, v14, vcc
	v_cndmask_b32_e32 v0, v13, v15, vcc
	v_add_co_u32_e32 v28, vcc, v17, v1
	v_addc_co_u32_e32 v29, vcc, 0, v0, vcc
	s_waitcnt lgkmcnt(4)
	global_store_dword v[28:29], v19, off offset:1024
	s_or_b64 exec, exec, s[2:3]
	v_cmp_gt_u32_e32 vcc, s33, v27
	s_and_saveexec_b64 s[2:3], vcc
	s_cbranch_execz .LBB3720_75
.LBB3720_90:
	v_cmp_lt_u32_e32 vcc, v27, v16
	v_cndmask_b32_e32 v17, v12, v14, vcc
	v_cndmask_b32_e32 v0, v13, v15, vcc
	s_waitcnt lgkmcnt(4)
	v_add_co_u32_e32 v18, vcc, v17, v1
	v_addc_co_u32_e32 v19, vcc, 0, v0, vcc
	s_waitcnt lgkmcnt(3)
	global_store_dword v[18:19], v10, off offset:2048
	s_or_b64 exec, exec, s[2:3]
	v_cmp_gt_u32_e32 vcc, s33, v26
	s_and_saveexec_b64 s[2:3], vcc
	s_cbranch_execz .LBB3720_76
.LBB3720_91:
	v_cmp_lt_u32_e32 vcc, v26, v16
	v_cndmask_b32_e32 v0, v12, v14, vcc
	s_waitcnt lgkmcnt(3)
	v_cndmask_b32_e32 v10, v13, v15, vcc
	v_add_co_u32_e32 v0, vcc, v0, v1
	v_addc_co_u32_e32 v1, vcc, 0, v10, vcc
	global_store_dword v[0:1], v11, off offset:3072
	s_or_b64 exec, exec, s[2:3]
	v_cmp_gt_u32_e32 vcc, s33, v25
	s_and_saveexec_b64 s[2:3], vcc
	s_cbranch_execz .LBB3720_77
.LBB3720_92:
	v_cmp_lt_u32_e32 vcc, v25, v16
	v_cndmask_b32_e32 v0, v12, v14, vcc
	s_waitcnt lgkmcnt(3)
	v_lshlrev_b32_e32 v10, 2, v25
	v_cndmask_b32_e32 v1, v13, v15, vcc
	v_add_co_u32_e32 v0, vcc, v0, v10
	v_addc_co_u32_e32 v1, vcc, 0, v1, vcc
	s_waitcnt lgkmcnt(2)
	global_store_dword v[0:1], v8, off
	s_or_b64 exec, exec, s[2:3]
	v_cmp_gt_u32_e32 vcc, s33, v24
	s_and_saveexec_b64 s[2:3], vcc
	s_cbranch_execz .LBB3720_78
.LBB3720_93:
	v_cmp_lt_u32_e32 vcc, v24, v16
	v_cndmask_b32_e32 v0, v12, v14, vcc
	s_waitcnt lgkmcnt(2)
	v_lshlrev_b32_e32 v8, 2, v24
	v_cndmask_b32_e32 v1, v13, v15, vcc
	v_add_co_u32_e32 v0, vcc, v0, v8
	v_addc_co_u32_e32 v1, vcc, 0, v1, vcc
	global_store_dword v[0:1], v9, off
	s_or_b64 exec, exec, s[2:3]
	v_cmp_gt_u32_e32 vcc, s33, v23
	s_and_saveexec_b64 s[2:3], vcc
	s_cbranch_execz .LBB3720_79
.LBB3720_94:
	v_cmp_lt_u32_e32 vcc, v23, v16
	v_cndmask_b32_e32 v0, v12, v14, vcc
	s_waitcnt lgkmcnt(2)
	v_lshlrev_b32_e32 v8, 2, v23
	v_cndmask_b32_e32 v1, v13, v15, vcc
	v_add_co_u32_e32 v0, vcc, v0, v8
	v_addc_co_u32_e32 v1, vcc, 0, v1, vcc
	s_waitcnt lgkmcnt(1)
	global_store_dword v[0:1], v6, off
	s_or_b64 exec, exec, s[2:3]
	v_cmp_gt_u32_e32 vcc, s33, v22
	s_and_saveexec_b64 s[2:3], vcc
	s_cbranch_execz .LBB3720_80
.LBB3720_95:
	v_cmp_lt_u32_e32 vcc, v22, v16
	v_cndmask_b32_e32 v0, v12, v14, vcc
	s_waitcnt lgkmcnt(1)
	v_lshlrev_b32_e32 v6, 2, v22
	v_cndmask_b32_e32 v1, v13, v15, vcc
	v_add_co_u32_e32 v0, vcc, v0, v6
	v_addc_co_u32_e32 v1, vcc, 0, v1, vcc
	global_store_dword v[0:1], v7, off
	s_or_b64 exec, exec, s[2:3]
	v_cmp_gt_u32_e32 vcc, s33, v21
	s_and_saveexec_b64 s[2:3], vcc
	s_cbranch_execnz .LBB3720_81
	s_branch .LBB3720_82
	.section	.rodata,"a",@progbits
	.p2align	6, 0x0
	.amdhsa_kernel _ZN7rocprim17ROCPRIM_400000_NS6detail17trampoline_kernelINS0_14default_configENS1_25partition_config_selectorILNS1_17partition_subalgoE0EiNS0_10empty_typeEbEEZZNS1_14partition_implILS5_0ELb0ES3_jN6thrust23THRUST_200600_302600_NS10device_ptrIiEEPS6_SD_NS0_5tupleIJSC_SC_EEENSE_IJSD_SD_EEES6_PlJ7is_evenIiEEEE10hipError_tPvRmT3_T4_T5_T6_T7_T9_mT8_P12ihipStream_tbDpT10_ENKUlT_T0_E_clISt17integral_constantIbLb0EES12_IbLb1EEEEDaSY_SZ_EUlSY_E_NS1_11comp_targetILNS1_3genE4ELNS1_11target_archE910ELNS1_3gpuE8ELNS1_3repE0EEENS1_30default_config_static_selectorELNS0_4arch9wavefront6targetE1EEEvT1_
		.amdhsa_group_segment_fixed_size 10248
		.amdhsa_private_segment_fixed_size 0
		.amdhsa_kernarg_size 136
		.amdhsa_user_sgpr_count 6
		.amdhsa_user_sgpr_private_segment_buffer 1
		.amdhsa_user_sgpr_dispatch_ptr 0
		.amdhsa_user_sgpr_queue_ptr 0
		.amdhsa_user_sgpr_kernarg_segment_ptr 1
		.amdhsa_user_sgpr_dispatch_id 0
		.amdhsa_user_sgpr_flat_scratch_init 0
		.amdhsa_user_sgpr_kernarg_preload_length 0
		.amdhsa_user_sgpr_kernarg_preload_offset 0
		.amdhsa_user_sgpr_private_segment_size 0
		.amdhsa_uses_dynamic_stack 0
		.amdhsa_system_sgpr_private_segment_wavefront_offset 0
		.amdhsa_system_sgpr_workgroup_id_x 1
		.amdhsa_system_sgpr_workgroup_id_y 0
		.amdhsa_system_sgpr_workgroup_id_z 0
		.amdhsa_system_sgpr_workgroup_info 0
		.amdhsa_system_vgpr_workitem_id 0
		.amdhsa_next_free_vgpr 58
		.amdhsa_next_free_sgpr 44
		.amdhsa_accum_offset 60
		.amdhsa_reserve_vcc 1
		.amdhsa_reserve_flat_scratch 0
		.amdhsa_float_round_mode_32 0
		.amdhsa_float_round_mode_16_64 0
		.amdhsa_float_denorm_mode_32 3
		.amdhsa_float_denorm_mode_16_64 3
		.amdhsa_dx10_clamp 1
		.amdhsa_ieee_mode 1
		.amdhsa_fp16_overflow 0
		.amdhsa_tg_split 0
		.amdhsa_exception_fp_ieee_invalid_op 0
		.amdhsa_exception_fp_denorm_src 0
		.amdhsa_exception_fp_ieee_div_zero 0
		.amdhsa_exception_fp_ieee_overflow 0
		.amdhsa_exception_fp_ieee_underflow 0
		.amdhsa_exception_fp_ieee_inexact 0
		.amdhsa_exception_int_div_zero 0
	.end_amdhsa_kernel
	.section	.text._ZN7rocprim17ROCPRIM_400000_NS6detail17trampoline_kernelINS0_14default_configENS1_25partition_config_selectorILNS1_17partition_subalgoE0EiNS0_10empty_typeEbEEZZNS1_14partition_implILS5_0ELb0ES3_jN6thrust23THRUST_200600_302600_NS10device_ptrIiEEPS6_SD_NS0_5tupleIJSC_SC_EEENSE_IJSD_SD_EEES6_PlJ7is_evenIiEEEE10hipError_tPvRmT3_T4_T5_T6_T7_T9_mT8_P12ihipStream_tbDpT10_ENKUlT_T0_E_clISt17integral_constantIbLb0EES12_IbLb1EEEEDaSY_SZ_EUlSY_E_NS1_11comp_targetILNS1_3genE4ELNS1_11target_archE910ELNS1_3gpuE8ELNS1_3repE0EEENS1_30default_config_static_selectorELNS0_4arch9wavefront6targetE1EEEvT1_,"axG",@progbits,_ZN7rocprim17ROCPRIM_400000_NS6detail17trampoline_kernelINS0_14default_configENS1_25partition_config_selectorILNS1_17partition_subalgoE0EiNS0_10empty_typeEbEEZZNS1_14partition_implILS5_0ELb0ES3_jN6thrust23THRUST_200600_302600_NS10device_ptrIiEEPS6_SD_NS0_5tupleIJSC_SC_EEENSE_IJSD_SD_EEES6_PlJ7is_evenIiEEEE10hipError_tPvRmT3_T4_T5_T6_T7_T9_mT8_P12ihipStream_tbDpT10_ENKUlT_T0_E_clISt17integral_constantIbLb0EES12_IbLb1EEEEDaSY_SZ_EUlSY_E_NS1_11comp_targetILNS1_3genE4ELNS1_11target_archE910ELNS1_3gpuE8ELNS1_3repE0EEENS1_30default_config_static_selectorELNS0_4arch9wavefront6targetE1EEEvT1_,comdat
.Lfunc_end3720:
	.size	_ZN7rocprim17ROCPRIM_400000_NS6detail17trampoline_kernelINS0_14default_configENS1_25partition_config_selectorILNS1_17partition_subalgoE0EiNS0_10empty_typeEbEEZZNS1_14partition_implILS5_0ELb0ES3_jN6thrust23THRUST_200600_302600_NS10device_ptrIiEEPS6_SD_NS0_5tupleIJSC_SC_EEENSE_IJSD_SD_EEES6_PlJ7is_evenIiEEEE10hipError_tPvRmT3_T4_T5_T6_T7_T9_mT8_P12ihipStream_tbDpT10_ENKUlT_T0_E_clISt17integral_constantIbLb0EES12_IbLb1EEEEDaSY_SZ_EUlSY_E_NS1_11comp_targetILNS1_3genE4ELNS1_11target_archE910ELNS1_3gpuE8ELNS1_3repE0EEENS1_30default_config_static_selectorELNS0_4arch9wavefront6targetE1EEEvT1_, .Lfunc_end3720-_ZN7rocprim17ROCPRIM_400000_NS6detail17trampoline_kernelINS0_14default_configENS1_25partition_config_selectorILNS1_17partition_subalgoE0EiNS0_10empty_typeEbEEZZNS1_14partition_implILS5_0ELb0ES3_jN6thrust23THRUST_200600_302600_NS10device_ptrIiEEPS6_SD_NS0_5tupleIJSC_SC_EEENSE_IJSD_SD_EEES6_PlJ7is_evenIiEEEE10hipError_tPvRmT3_T4_T5_T6_T7_T9_mT8_P12ihipStream_tbDpT10_ENKUlT_T0_E_clISt17integral_constantIbLb0EES12_IbLb1EEEEDaSY_SZ_EUlSY_E_NS1_11comp_targetILNS1_3genE4ELNS1_11target_archE910ELNS1_3gpuE8ELNS1_3repE0EEENS1_30default_config_static_selectorELNS0_4arch9wavefront6targetE1EEEvT1_
                                        ; -- End function
	.section	.AMDGPU.csdata,"",@progbits
; Kernel info:
; codeLenInByte = 5132
; NumSgprs: 48
; NumVgprs: 58
; NumAgprs: 0
; TotalNumVgprs: 58
; ScratchSize: 0
; MemoryBound: 0
; FloatMode: 240
; IeeeMode: 1
; LDSByteSize: 10248 bytes/workgroup (compile time only)
; SGPRBlocks: 5
; VGPRBlocks: 7
; NumSGPRsForWavesPerEU: 48
; NumVGPRsForWavesPerEU: 58
; AccumOffset: 60
; Occupancy: 6
; WaveLimiterHint : 1
; COMPUTE_PGM_RSRC2:SCRATCH_EN: 0
; COMPUTE_PGM_RSRC2:USER_SGPR: 6
; COMPUTE_PGM_RSRC2:TRAP_HANDLER: 0
; COMPUTE_PGM_RSRC2:TGID_X_EN: 1
; COMPUTE_PGM_RSRC2:TGID_Y_EN: 0
; COMPUTE_PGM_RSRC2:TGID_Z_EN: 0
; COMPUTE_PGM_RSRC2:TIDIG_COMP_CNT: 0
; COMPUTE_PGM_RSRC3_GFX90A:ACCUM_OFFSET: 14
; COMPUTE_PGM_RSRC3_GFX90A:TG_SPLIT: 0
	.section	.text._ZN7rocprim17ROCPRIM_400000_NS6detail17trampoline_kernelINS0_14default_configENS1_25partition_config_selectorILNS1_17partition_subalgoE0EiNS0_10empty_typeEbEEZZNS1_14partition_implILS5_0ELb0ES3_jN6thrust23THRUST_200600_302600_NS10device_ptrIiEEPS6_SD_NS0_5tupleIJSC_SC_EEENSE_IJSD_SD_EEES6_PlJ7is_evenIiEEEE10hipError_tPvRmT3_T4_T5_T6_T7_T9_mT8_P12ihipStream_tbDpT10_ENKUlT_T0_E_clISt17integral_constantIbLb0EES12_IbLb1EEEEDaSY_SZ_EUlSY_E_NS1_11comp_targetILNS1_3genE3ELNS1_11target_archE908ELNS1_3gpuE7ELNS1_3repE0EEENS1_30default_config_static_selectorELNS0_4arch9wavefront6targetE1EEEvT1_,"axG",@progbits,_ZN7rocprim17ROCPRIM_400000_NS6detail17trampoline_kernelINS0_14default_configENS1_25partition_config_selectorILNS1_17partition_subalgoE0EiNS0_10empty_typeEbEEZZNS1_14partition_implILS5_0ELb0ES3_jN6thrust23THRUST_200600_302600_NS10device_ptrIiEEPS6_SD_NS0_5tupleIJSC_SC_EEENSE_IJSD_SD_EEES6_PlJ7is_evenIiEEEE10hipError_tPvRmT3_T4_T5_T6_T7_T9_mT8_P12ihipStream_tbDpT10_ENKUlT_T0_E_clISt17integral_constantIbLb0EES12_IbLb1EEEEDaSY_SZ_EUlSY_E_NS1_11comp_targetILNS1_3genE3ELNS1_11target_archE908ELNS1_3gpuE7ELNS1_3repE0EEENS1_30default_config_static_selectorELNS0_4arch9wavefront6targetE1EEEvT1_,comdat
	.protected	_ZN7rocprim17ROCPRIM_400000_NS6detail17trampoline_kernelINS0_14default_configENS1_25partition_config_selectorILNS1_17partition_subalgoE0EiNS0_10empty_typeEbEEZZNS1_14partition_implILS5_0ELb0ES3_jN6thrust23THRUST_200600_302600_NS10device_ptrIiEEPS6_SD_NS0_5tupleIJSC_SC_EEENSE_IJSD_SD_EEES6_PlJ7is_evenIiEEEE10hipError_tPvRmT3_T4_T5_T6_T7_T9_mT8_P12ihipStream_tbDpT10_ENKUlT_T0_E_clISt17integral_constantIbLb0EES12_IbLb1EEEEDaSY_SZ_EUlSY_E_NS1_11comp_targetILNS1_3genE3ELNS1_11target_archE908ELNS1_3gpuE7ELNS1_3repE0EEENS1_30default_config_static_selectorELNS0_4arch9wavefront6targetE1EEEvT1_ ; -- Begin function _ZN7rocprim17ROCPRIM_400000_NS6detail17trampoline_kernelINS0_14default_configENS1_25partition_config_selectorILNS1_17partition_subalgoE0EiNS0_10empty_typeEbEEZZNS1_14partition_implILS5_0ELb0ES3_jN6thrust23THRUST_200600_302600_NS10device_ptrIiEEPS6_SD_NS0_5tupleIJSC_SC_EEENSE_IJSD_SD_EEES6_PlJ7is_evenIiEEEE10hipError_tPvRmT3_T4_T5_T6_T7_T9_mT8_P12ihipStream_tbDpT10_ENKUlT_T0_E_clISt17integral_constantIbLb0EES12_IbLb1EEEEDaSY_SZ_EUlSY_E_NS1_11comp_targetILNS1_3genE3ELNS1_11target_archE908ELNS1_3gpuE7ELNS1_3repE0EEENS1_30default_config_static_selectorELNS0_4arch9wavefront6targetE1EEEvT1_
	.globl	_ZN7rocprim17ROCPRIM_400000_NS6detail17trampoline_kernelINS0_14default_configENS1_25partition_config_selectorILNS1_17partition_subalgoE0EiNS0_10empty_typeEbEEZZNS1_14partition_implILS5_0ELb0ES3_jN6thrust23THRUST_200600_302600_NS10device_ptrIiEEPS6_SD_NS0_5tupleIJSC_SC_EEENSE_IJSD_SD_EEES6_PlJ7is_evenIiEEEE10hipError_tPvRmT3_T4_T5_T6_T7_T9_mT8_P12ihipStream_tbDpT10_ENKUlT_T0_E_clISt17integral_constantIbLb0EES12_IbLb1EEEEDaSY_SZ_EUlSY_E_NS1_11comp_targetILNS1_3genE3ELNS1_11target_archE908ELNS1_3gpuE7ELNS1_3repE0EEENS1_30default_config_static_selectorELNS0_4arch9wavefront6targetE1EEEvT1_
	.p2align	8
	.type	_ZN7rocprim17ROCPRIM_400000_NS6detail17trampoline_kernelINS0_14default_configENS1_25partition_config_selectorILNS1_17partition_subalgoE0EiNS0_10empty_typeEbEEZZNS1_14partition_implILS5_0ELb0ES3_jN6thrust23THRUST_200600_302600_NS10device_ptrIiEEPS6_SD_NS0_5tupleIJSC_SC_EEENSE_IJSD_SD_EEES6_PlJ7is_evenIiEEEE10hipError_tPvRmT3_T4_T5_T6_T7_T9_mT8_P12ihipStream_tbDpT10_ENKUlT_T0_E_clISt17integral_constantIbLb0EES12_IbLb1EEEEDaSY_SZ_EUlSY_E_NS1_11comp_targetILNS1_3genE3ELNS1_11target_archE908ELNS1_3gpuE7ELNS1_3repE0EEENS1_30default_config_static_selectorELNS0_4arch9wavefront6targetE1EEEvT1_,@function
_ZN7rocprim17ROCPRIM_400000_NS6detail17trampoline_kernelINS0_14default_configENS1_25partition_config_selectorILNS1_17partition_subalgoE0EiNS0_10empty_typeEbEEZZNS1_14partition_implILS5_0ELb0ES3_jN6thrust23THRUST_200600_302600_NS10device_ptrIiEEPS6_SD_NS0_5tupleIJSC_SC_EEENSE_IJSD_SD_EEES6_PlJ7is_evenIiEEEE10hipError_tPvRmT3_T4_T5_T6_T7_T9_mT8_P12ihipStream_tbDpT10_ENKUlT_T0_E_clISt17integral_constantIbLb0EES12_IbLb1EEEEDaSY_SZ_EUlSY_E_NS1_11comp_targetILNS1_3genE3ELNS1_11target_archE908ELNS1_3gpuE7ELNS1_3repE0EEENS1_30default_config_static_selectorELNS0_4arch9wavefront6targetE1EEEvT1_: ; @_ZN7rocprim17ROCPRIM_400000_NS6detail17trampoline_kernelINS0_14default_configENS1_25partition_config_selectorILNS1_17partition_subalgoE0EiNS0_10empty_typeEbEEZZNS1_14partition_implILS5_0ELb0ES3_jN6thrust23THRUST_200600_302600_NS10device_ptrIiEEPS6_SD_NS0_5tupleIJSC_SC_EEENSE_IJSD_SD_EEES6_PlJ7is_evenIiEEEE10hipError_tPvRmT3_T4_T5_T6_T7_T9_mT8_P12ihipStream_tbDpT10_ENKUlT_T0_E_clISt17integral_constantIbLb0EES12_IbLb1EEEEDaSY_SZ_EUlSY_E_NS1_11comp_targetILNS1_3genE3ELNS1_11target_archE908ELNS1_3gpuE7ELNS1_3repE0EEENS1_30default_config_static_selectorELNS0_4arch9wavefront6targetE1EEEvT1_
; %bb.0:
	.section	.rodata,"a",@progbits
	.p2align	6, 0x0
	.amdhsa_kernel _ZN7rocprim17ROCPRIM_400000_NS6detail17trampoline_kernelINS0_14default_configENS1_25partition_config_selectorILNS1_17partition_subalgoE0EiNS0_10empty_typeEbEEZZNS1_14partition_implILS5_0ELb0ES3_jN6thrust23THRUST_200600_302600_NS10device_ptrIiEEPS6_SD_NS0_5tupleIJSC_SC_EEENSE_IJSD_SD_EEES6_PlJ7is_evenIiEEEE10hipError_tPvRmT3_T4_T5_T6_T7_T9_mT8_P12ihipStream_tbDpT10_ENKUlT_T0_E_clISt17integral_constantIbLb0EES12_IbLb1EEEEDaSY_SZ_EUlSY_E_NS1_11comp_targetILNS1_3genE3ELNS1_11target_archE908ELNS1_3gpuE7ELNS1_3repE0EEENS1_30default_config_static_selectorELNS0_4arch9wavefront6targetE1EEEvT1_
		.amdhsa_group_segment_fixed_size 0
		.amdhsa_private_segment_fixed_size 0
		.amdhsa_kernarg_size 136
		.amdhsa_user_sgpr_count 6
		.amdhsa_user_sgpr_private_segment_buffer 1
		.amdhsa_user_sgpr_dispatch_ptr 0
		.amdhsa_user_sgpr_queue_ptr 0
		.amdhsa_user_sgpr_kernarg_segment_ptr 1
		.amdhsa_user_sgpr_dispatch_id 0
		.amdhsa_user_sgpr_flat_scratch_init 0
		.amdhsa_user_sgpr_kernarg_preload_length 0
		.amdhsa_user_sgpr_kernarg_preload_offset 0
		.amdhsa_user_sgpr_private_segment_size 0
		.amdhsa_uses_dynamic_stack 0
		.amdhsa_system_sgpr_private_segment_wavefront_offset 0
		.amdhsa_system_sgpr_workgroup_id_x 1
		.amdhsa_system_sgpr_workgroup_id_y 0
		.amdhsa_system_sgpr_workgroup_id_z 0
		.amdhsa_system_sgpr_workgroup_info 0
		.amdhsa_system_vgpr_workitem_id 0
		.amdhsa_next_free_vgpr 1
		.amdhsa_next_free_sgpr 0
		.amdhsa_accum_offset 4
		.amdhsa_reserve_vcc 0
		.amdhsa_reserve_flat_scratch 0
		.amdhsa_float_round_mode_32 0
		.amdhsa_float_round_mode_16_64 0
		.amdhsa_float_denorm_mode_32 3
		.amdhsa_float_denorm_mode_16_64 3
		.amdhsa_dx10_clamp 1
		.amdhsa_ieee_mode 1
		.amdhsa_fp16_overflow 0
		.amdhsa_tg_split 0
		.amdhsa_exception_fp_ieee_invalid_op 0
		.amdhsa_exception_fp_denorm_src 0
		.amdhsa_exception_fp_ieee_div_zero 0
		.amdhsa_exception_fp_ieee_overflow 0
		.amdhsa_exception_fp_ieee_underflow 0
		.amdhsa_exception_fp_ieee_inexact 0
		.amdhsa_exception_int_div_zero 0
	.end_amdhsa_kernel
	.section	.text._ZN7rocprim17ROCPRIM_400000_NS6detail17trampoline_kernelINS0_14default_configENS1_25partition_config_selectorILNS1_17partition_subalgoE0EiNS0_10empty_typeEbEEZZNS1_14partition_implILS5_0ELb0ES3_jN6thrust23THRUST_200600_302600_NS10device_ptrIiEEPS6_SD_NS0_5tupleIJSC_SC_EEENSE_IJSD_SD_EEES6_PlJ7is_evenIiEEEE10hipError_tPvRmT3_T4_T5_T6_T7_T9_mT8_P12ihipStream_tbDpT10_ENKUlT_T0_E_clISt17integral_constantIbLb0EES12_IbLb1EEEEDaSY_SZ_EUlSY_E_NS1_11comp_targetILNS1_3genE3ELNS1_11target_archE908ELNS1_3gpuE7ELNS1_3repE0EEENS1_30default_config_static_selectorELNS0_4arch9wavefront6targetE1EEEvT1_,"axG",@progbits,_ZN7rocprim17ROCPRIM_400000_NS6detail17trampoline_kernelINS0_14default_configENS1_25partition_config_selectorILNS1_17partition_subalgoE0EiNS0_10empty_typeEbEEZZNS1_14partition_implILS5_0ELb0ES3_jN6thrust23THRUST_200600_302600_NS10device_ptrIiEEPS6_SD_NS0_5tupleIJSC_SC_EEENSE_IJSD_SD_EEES6_PlJ7is_evenIiEEEE10hipError_tPvRmT3_T4_T5_T6_T7_T9_mT8_P12ihipStream_tbDpT10_ENKUlT_T0_E_clISt17integral_constantIbLb0EES12_IbLb1EEEEDaSY_SZ_EUlSY_E_NS1_11comp_targetILNS1_3genE3ELNS1_11target_archE908ELNS1_3gpuE7ELNS1_3repE0EEENS1_30default_config_static_selectorELNS0_4arch9wavefront6targetE1EEEvT1_,comdat
.Lfunc_end3721:
	.size	_ZN7rocprim17ROCPRIM_400000_NS6detail17trampoline_kernelINS0_14default_configENS1_25partition_config_selectorILNS1_17partition_subalgoE0EiNS0_10empty_typeEbEEZZNS1_14partition_implILS5_0ELb0ES3_jN6thrust23THRUST_200600_302600_NS10device_ptrIiEEPS6_SD_NS0_5tupleIJSC_SC_EEENSE_IJSD_SD_EEES6_PlJ7is_evenIiEEEE10hipError_tPvRmT3_T4_T5_T6_T7_T9_mT8_P12ihipStream_tbDpT10_ENKUlT_T0_E_clISt17integral_constantIbLb0EES12_IbLb1EEEEDaSY_SZ_EUlSY_E_NS1_11comp_targetILNS1_3genE3ELNS1_11target_archE908ELNS1_3gpuE7ELNS1_3repE0EEENS1_30default_config_static_selectorELNS0_4arch9wavefront6targetE1EEEvT1_, .Lfunc_end3721-_ZN7rocprim17ROCPRIM_400000_NS6detail17trampoline_kernelINS0_14default_configENS1_25partition_config_selectorILNS1_17partition_subalgoE0EiNS0_10empty_typeEbEEZZNS1_14partition_implILS5_0ELb0ES3_jN6thrust23THRUST_200600_302600_NS10device_ptrIiEEPS6_SD_NS0_5tupleIJSC_SC_EEENSE_IJSD_SD_EEES6_PlJ7is_evenIiEEEE10hipError_tPvRmT3_T4_T5_T6_T7_T9_mT8_P12ihipStream_tbDpT10_ENKUlT_T0_E_clISt17integral_constantIbLb0EES12_IbLb1EEEEDaSY_SZ_EUlSY_E_NS1_11comp_targetILNS1_3genE3ELNS1_11target_archE908ELNS1_3gpuE7ELNS1_3repE0EEENS1_30default_config_static_selectorELNS0_4arch9wavefront6targetE1EEEvT1_
                                        ; -- End function
	.section	.AMDGPU.csdata,"",@progbits
; Kernel info:
; codeLenInByte = 0
; NumSgprs: 4
; NumVgprs: 0
; NumAgprs: 0
; TotalNumVgprs: 0
; ScratchSize: 0
; MemoryBound: 0
; FloatMode: 240
; IeeeMode: 1
; LDSByteSize: 0 bytes/workgroup (compile time only)
; SGPRBlocks: 0
; VGPRBlocks: 0
; NumSGPRsForWavesPerEU: 4
; NumVGPRsForWavesPerEU: 1
; AccumOffset: 4
; Occupancy: 8
; WaveLimiterHint : 0
; COMPUTE_PGM_RSRC2:SCRATCH_EN: 0
; COMPUTE_PGM_RSRC2:USER_SGPR: 6
; COMPUTE_PGM_RSRC2:TRAP_HANDLER: 0
; COMPUTE_PGM_RSRC2:TGID_X_EN: 1
; COMPUTE_PGM_RSRC2:TGID_Y_EN: 0
; COMPUTE_PGM_RSRC2:TGID_Z_EN: 0
; COMPUTE_PGM_RSRC2:TIDIG_COMP_CNT: 0
; COMPUTE_PGM_RSRC3_GFX90A:ACCUM_OFFSET: 0
; COMPUTE_PGM_RSRC3_GFX90A:TG_SPLIT: 0
	.section	.text._ZN7rocprim17ROCPRIM_400000_NS6detail17trampoline_kernelINS0_14default_configENS1_25partition_config_selectorILNS1_17partition_subalgoE0EiNS0_10empty_typeEbEEZZNS1_14partition_implILS5_0ELb0ES3_jN6thrust23THRUST_200600_302600_NS10device_ptrIiEEPS6_SD_NS0_5tupleIJSC_SC_EEENSE_IJSD_SD_EEES6_PlJ7is_evenIiEEEE10hipError_tPvRmT3_T4_T5_T6_T7_T9_mT8_P12ihipStream_tbDpT10_ENKUlT_T0_E_clISt17integral_constantIbLb0EES12_IbLb1EEEEDaSY_SZ_EUlSY_E_NS1_11comp_targetILNS1_3genE2ELNS1_11target_archE906ELNS1_3gpuE6ELNS1_3repE0EEENS1_30default_config_static_selectorELNS0_4arch9wavefront6targetE1EEEvT1_,"axG",@progbits,_ZN7rocprim17ROCPRIM_400000_NS6detail17trampoline_kernelINS0_14default_configENS1_25partition_config_selectorILNS1_17partition_subalgoE0EiNS0_10empty_typeEbEEZZNS1_14partition_implILS5_0ELb0ES3_jN6thrust23THRUST_200600_302600_NS10device_ptrIiEEPS6_SD_NS0_5tupleIJSC_SC_EEENSE_IJSD_SD_EEES6_PlJ7is_evenIiEEEE10hipError_tPvRmT3_T4_T5_T6_T7_T9_mT8_P12ihipStream_tbDpT10_ENKUlT_T0_E_clISt17integral_constantIbLb0EES12_IbLb1EEEEDaSY_SZ_EUlSY_E_NS1_11comp_targetILNS1_3genE2ELNS1_11target_archE906ELNS1_3gpuE6ELNS1_3repE0EEENS1_30default_config_static_selectorELNS0_4arch9wavefront6targetE1EEEvT1_,comdat
	.protected	_ZN7rocprim17ROCPRIM_400000_NS6detail17trampoline_kernelINS0_14default_configENS1_25partition_config_selectorILNS1_17partition_subalgoE0EiNS0_10empty_typeEbEEZZNS1_14partition_implILS5_0ELb0ES3_jN6thrust23THRUST_200600_302600_NS10device_ptrIiEEPS6_SD_NS0_5tupleIJSC_SC_EEENSE_IJSD_SD_EEES6_PlJ7is_evenIiEEEE10hipError_tPvRmT3_T4_T5_T6_T7_T9_mT8_P12ihipStream_tbDpT10_ENKUlT_T0_E_clISt17integral_constantIbLb0EES12_IbLb1EEEEDaSY_SZ_EUlSY_E_NS1_11comp_targetILNS1_3genE2ELNS1_11target_archE906ELNS1_3gpuE6ELNS1_3repE0EEENS1_30default_config_static_selectorELNS0_4arch9wavefront6targetE1EEEvT1_ ; -- Begin function _ZN7rocprim17ROCPRIM_400000_NS6detail17trampoline_kernelINS0_14default_configENS1_25partition_config_selectorILNS1_17partition_subalgoE0EiNS0_10empty_typeEbEEZZNS1_14partition_implILS5_0ELb0ES3_jN6thrust23THRUST_200600_302600_NS10device_ptrIiEEPS6_SD_NS0_5tupleIJSC_SC_EEENSE_IJSD_SD_EEES6_PlJ7is_evenIiEEEE10hipError_tPvRmT3_T4_T5_T6_T7_T9_mT8_P12ihipStream_tbDpT10_ENKUlT_T0_E_clISt17integral_constantIbLb0EES12_IbLb1EEEEDaSY_SZ_EUlSY_E_NS1_11comp_targetILNS1_3genE2ELNS1_11target_archE906ELNS1_3gpuE6ELNS1_3repE0EEENS1_30default_config_static_selectorELNS0_4arch9wavefront6targetE1EEEvT1_
	.globl	_ZN7rocprim17ROCPRIM_400000_NS6detail17trampoline_kernelINS0_14default_configENS1_25partition_config_selectorILNS1_17partition_subalgoE0EiNS0_10empty_typeEbEEZZNS1_14partition_implILS5_0ELb0ES3_jN6thrust23THRUST_200600_302600_NS10device_ptrIiEEPS6_SD_NS0_5tupleIJSC_SC_EEENSE_IJSD_SD_EEES6_PlJ7is_evenIiEEEE10hipError_tPvRmT3_T4_T5_T6_T7_T9_mT8_P12ihipStream_tbDpT10_ENKUlT_T0_E_clISt17integral_constantIbLb0EES12_IbLb1EEEEDaSY_SZ_EUlSY_E_NS1_11comp_targetILNS1_3genE2ELNS1_11target_archE906ELNS1_3gpuE6ELNS1_3repE0EEENS1_30default_config_static_selectorELNS0_4arch9wavefront6targetE1EEEvT1_
	.p2align	8
	.type	_ZN7rocprim17ROCPRIM_400000_NS6detail17trampoline_kernelINS0_14default_configENS1_25partition_config_selectorILNS1_17partition_subalgoE0EiNS0_10empty_typeEbEEZZNS1_14partition_implILS5_0ELb0ES3_jN6thrust23THRUST_200600_302600_NS10device_ptrIiEEPS6_SD_NS0_5tupleIJSC_SC_EEENSE_IJSD_SD_EEES6_PlJ7is_evenIiEEEE10hipError_tPvRmT3_T4_T5_T6_T7_T9_mT8_P12ihipStream_tbDpT10_ENKUlT_T0_E_clISt17integral_constantIbLb0EES12_IbLb1EEEEDaSY_SZ_EUlSY_E_NS1_11comp_targetILNS1_3genE2ELNS1_11target_archE906ELNS1_3gpuE6ELNS1_3repE0EEENS1_30default_config_static_selectorELNS0_4arch9wavefront6targetE1EEEvT1_,@function
_ZN7rocprim17ROCPRIM_400000_NS6detail17trampoline_kernelINS0_14default_configENS1_25partition_config_selectorILNS1_17partition_subalgoE0EiNS0_10empty_typeEbEEZZNS1_14partition_implILS5_0ELb0ES3_jN6thrust23THRUST_200600_302600_NS10device_ptrIiEEPS6_SD_NS0_5tupleIJSC_SC_EEENSE_IJSD_SD_EEES6_PlJ7is_evenIiEEEE10hipError_tPvRmT3_T4_T5_T6_T7_T9_mT8_P12ihipStream_tbDpT10_ENKUlT_T0_E_clISt17integral_constantIbLb0EES12_IbLb1EEEEDaSY_SZ_EUlSY_E_NS1_11comp_targetILNS1_3genE2ELNS1_11target_archE906ELNS1_3gpuE6ELNS1_3repE0EEENS1_30default_config_static_selectorELNS0_4arch9wavefront6targetE1EEEvT1_: ; @_ZN7rocprim17ROCPRIM_400000_NS6detail17trampoline_kernelINS0_14default_configENS1_25partition_config_selectorILNS1_17partition_subalgoE0EiNS0_10empty_typeEbEEZZNS1_14partition_implILS5_0ELb0ES3_jN6thrust23THRUST_200600_302600_NS10device_ptrIiEEPS6_SD_NS0_5tupleIJSC_SC_EEENSE_IJSD_SD_EEES6_PlJ7is_evenIiEEEE10hipError_tPvRmT3_T4_T5_T6_T7_T9_mT8_P12ihipStream_tbDpT10_ENKUlT_T0_E_clISt17integral_constantIbLb0EES12_IbLb1EEEEDaSY_SZ_EUlSY_E_NS1_11comp_targetILNS1_3genE2ELNS1_11target_archE906ELNS1_3gpuE6ELNS1_3repE0EEENS1_30default_config_static_selectorELNS0_4arch9wavefront6targetE1EEEvT1_
; %bb.0:
	.section	.rodata,"a",@progbits
	.p2align	6, 0x0
	.amdhsa_kernel _ZN7rocprim17ROCPRIM_400000_NS6detail17trampoline_kernelINS0_14default_configENS1_25partition_config_selectorILNS1_17partition_subalgoE0EiNS0_10empty_typeEbEEZZNS1_14partition_implILS5_0ELb0ES3_jN6thrust23THRUST_200600_302600_NS10device_ptrIiEEPS6_SD_NS0_5tupleIJSC_SC_EEENSE_IJSD_SD_EEES6_PlJ7is_evenIiEEEE10hipError_tPvRmT3_T4_T5_T6_T7_T9_mT8_P12ihipStream_tbDpT10_ENKUlT_T0_E_clISt17integral_constantIbLb0EES12_IbLb1EEEEDaSY_SZ_EUlSY_E_NS1_11comp_targetILNS1_3genE2ELNS1_11target_archE906ELNS1_3gpuE6ELNS1_3repE0EEENS1_30default_config_static_selectorELNS0_4arch9wavefront6targetE1EEEvT1_
		.amdhsa_group_segment_fixed_size 0
		.amdhsa_private_segment_fixed_size 0
		.amdhsa_kernarg_size 136
		.amdhsa_user_sgpr_count 6
		.amdhsa_user_sgpr_private_segment_buffer 1
		.amdhsa_user_sgpr_dispatch_ptr 0
		.amdhsa_user_sgpr_queue_ptr 0
		.amdhsa_user_sgpr_kernarg_segment_ptr 1
		.amdhsa_user_sgpr_dispatch_id 0
		.amdhsa_user_sgpr_flat_scratch_init 0
		.amdhsa_user_sgpr_kernarg_preload_length 0
		.amdhsa_user_sgpr_kernarg_preload_offset 0
		.amdhsa_user_sgpr_private_segment_size 0
		.amdhsa_uses_dynamic_stack 0
		.amdhsa_system_sgpr_private_segment_wavefront_offset 0
		.amdhsa_system_sgpr_workgroup_id_x 1
		.amdhsa_system_sgpr_workgroup_id_y 0
		.amdhsa_system_sgpr_workgroup_id_z 0
		.amdhsa_system_sgpr_workgroup_info 0
		.amdhsa_system_vgpr_workitem_id 0
		.amdhsa_next_free_vgpr 1
		.amdhsa_next_free_sgpr 0
		.amdhsa_accum_offset 4
		.amdhsa_reserve_vcc 0
		.amdhsa_reserve_flat_scratch 0
		.amdhsa_float_round_mode_32 0
		.amdhsa_float_round_mode_16_64 0
		.amdhsa_float_denorm_mode_32 3
		.amdhsa_float_denorm_mode_16_64 3
		.amdhsa_dx10_clamp 1
		.amdhsa_ieee_mode 1
		.amdhsa_fp16_overflow 0
		.amdhsa_tg_split 0
		.amdhsa_exception_fp_ieee_invalid_op 0
		.amdhsa_exception_fp_denorm_src 0
		.amdhsa_exception_fp_ieee_div_zero 0
		.amdhsa_exception_fp_ieee_overflow 0
		.amdhsa_exception_fp_ieee_underflow 0
		.amdhsa_exception_fp_ieee_inexact 0
		.amdhsa_exception_int_div_zero 0
	.end_amdhsa_kernel
	.section	.text._ZN7rocprim17ROCPRIM_400000_NS6detail17trampoline_kernelINS0_14default_configENS1_25partition_config_selectorILNS1_17partition_subalgoE0EiNS0_10empty_typeEbEEZZNS1_14partition_implILS5_0ELb0ES3_jN6thrust23THRUST_200600_302600_NS10device_ptrIiEEPS6_SD_NS0_5tupleIJSC_SC_EEENSE_IJSD_SD_EEES6_PlJ7is_evenIiEEEE10hipError_tPvRmT3_T4_T5_T6_T7_T9_mT8_P12ihipStream_tbDpT10_ENKUlT_T0_E_clISt17integral_constantIbLb0EES12_IbLb1EEEEDaSY_SZ_EUlSY_E_NS1_11comp_targetILNS1_3genE2ELNS1_11target_archE906ELNS1_3gpuE6ELNS1_3repE0EEENS1_30default_config_static_selectorELNS0_4arch9wavefront6targetE1EEEvT1_,"axG",@progbits,_ZN7rocprim17ROCPRIM_400000_NS6detail17trampoline_kernelINS0_14default_configENS1_25partition_config_selectorILNS1_17partition_subalgoE0EiNS0_10empty_typeEbEEZZNS1_14partition_implILS5_0ELb0ES3_jN6thrust23THRUST_200600_302600_NS10device_ptrIiEEPS6_SD_NS0_5tupleIJSC_SC_EEENSE_IJSD_SD_EEES6_PlJ7is_evenIiEEEE10hipError_tPvRmT3_T4_T5_T6_T7_T9_mT8_P12ihipStream_tbDpT10_ENKUlT_T0_E_clISt17integral_constantIbLb0EES12_IbLb1EEEEDaSY_SZ_EUlSY_E_NS1_11comp_targetILNS1_3genE2ELNS1_11target_archE906ELNS1_3gpuE6ELNS1_3repE0EEENS1_30default_config_static_selectorELNS0_4arch9wavefront6targetE1EEEvT1_,comdat
.Lfunc_end3722:
	.size	_ZN7rocprim17ROCPRIM_400000_NS6detail17trampoline_kernelINS0_14default_configENS1_25partition_config_selectorILNS1_17partition_subalgoE0EiNS0_10empty_typeEbEEZZNS1_14partition_implILS5_0ELb0ES3_jN6thrust23THRUST_200600_302600_NS10device_ptrIiEEPS6_SD_NS0_5tupleIJSC_SC_EEENSE_IJSD_SD_EEES6_PlJ7is_evenIiEEEE10hipError_tPvRmT3_T4_T5_T6_T7_T9_mT8_P12ihipStream_tbDpT10_ENKUlT_T0_E_clISt17integral_constantIbLb0EES12_IbLb1EEEEDaSY_SZ_EUlSY_E_NS1_11comp_targetILNS1_3genE2ELNS1_11target_archE906ELNS1_3gpuE6ELNS1_3repE0EEENS1_30default_config_static_selectorELNS0_4arch9wavefront6targetE1EEEvT1_, .Lfunc_end3722-_ZN7rocprim17ROCPRIM_400000_NS6detail17trampoline_kernelINS0_14default_configENS1_25partition_config_selectorILNS1_17partition_subalgoE0EiNS0_10empty_typeEbEEZZNS1_14partition_implILS5_0ELb0ES3_jN6thrust23THRUST_200600_302600_NS10device_ptrIiEEPS6_SD_NS0_5tupleIJSC_SC_EEENSE_IJSD_SD_EEES6_PlJ7is_evenIiEEEE10hipError_tPvRmT3_T4_T5_T6_T7_T9_mT8_P12ihipStream_tbDpT10_ENKUlT_T0_E_clISt17integral_constantIbLb0EES12_IbLb1EEEEDaSY_SZ_EUlSY_E_NS1_11comp_targetILNS1_3genE2ELNS1_11target_archE906ELNS1_3gpuE6ELNS1_3repE0EEENS1_30default_config_static_selectorELNS0_4arch9wavefront6targetE1EEEvT1_
                                        ; -- End function
	.section	.AMDGPU.csdata,"",@progbits
; Kernel info:
; codeLenInByte = 0
; NumSgprs: 4
; NumVgprs: 0
; NumAgprs: 0
; TotalNumVgprs: 0
; ScratchSize: 0
; MemoryBound: 0
; FloatMode: 240
; IeeeMode: 1
; LDSByteSize: 0 bytes/workgroup (compile time only)
; SGPRBlocks: 0
; VGPRBlocks: 0
; NumSGPRsForWavesPerEU: 4
; NumVGPRsForWavesPerEU: 1
; AccumOffset: 4
; Occupancy: 8
; WaveLimiterHint : 0
; COMPUTE_PGM_RSRC2:SCRATCH_EN: 0
; COMPUTE_PGM_RSRC2:USER_SGPR: 6
; COMPUTE_PGM_RSRC2:TRAP_HANDLER: 0
; COMPUTE_PGM_RSRC2:TGID_X_EN: 1
; COMPUTE_PGM_RSRC2:TGID_Y_EN: 0
; COMPUTE_PGM_RSRC2:TGID_Z_EN: 0
; COMPUTE_PGM_RSRC2:TIDIG_COMP_CNT: 0
; COMPUTE_PGM_RSRC3_GFX90A:ACCUM_OFFSET: 0
; COMPUTE_PGM_RSRC3_GFX90A:TG_SPLIT: 0
	.section	.text._ZN7rocprim17ROCPRIM_400000_NS6detail17trampoline_kernelINS0_14default_configENS1_25partition_config_selectorILNS1_17partition_subalgoE0EiNS0_10empty_typeEbEEZZNS1_14partition_implILS5_0ELb0ES3_jN6thrust23THRUST_200600_302600_NS10device_ptrIiEEPS6_SD_NS0_5tupleIJSC_SC_EEENSE_IJSD_SD_EEES6_PlJ7is_evenIiEEEE10hipError_tPvRmT3_T4_T5_T6_T7_T9_mT8_P12ihipStream_tbDpT10_ENKUlT_T0_E_clISt17integral_constantIbLb0EES12_IbLb1EEEEDaSY_SZ_EUlSY_E_NS1_11comp_targetILNS1_3genE10ELNS1_11target_archE1200ELNS1_3gpuE4ELNS1_3repE0EEENS1_30default_config_static_selectorELNS0_4arch9wavefront6targetE1EEEvT1_,"axG",@progbits,_ZN7rocprim17ROCPRIM_400000_NS6detail17trampoline_kernelINS0_14default_configENS1_25partition_config_selectorILNS1_17partition_subalgoE0EiNS0_10empty_typeEbEEZZNS1_14partition_implILS5_0ELb0ES3_jN6thrust23THRUST_200600_302600_NS10device_ptrIiEEPS6_SD_NS0_5tupleIJSC_SC_EEENSE_IJSD_SD_EEES6_PlJ7is_evenIiEEEE10hipError_tPvRmT3_T4_T5_T6_T7_T9_mT8_P12ihipStream_tbDpT10_ENKUlT_T0_E_clISt17integral_constantIbLb0EES12_IbLb1EEEEDaSY_SZ_EUlSY_E_NS1_11comp_targetILNS1_3genE10ELNS1_11target_archE1200ELNS1_3gpuE4ELNS1_3repE0EEENS1_30default_config_static_selectorELNS0_4arch9wavefront6targetE1EEEvT1_,comdat
	.protected	_ZN7rocprim17ROCPRIM_400000_NS6detail17trampoline_kernelINS0_14default_configENS1_25partition_config_selectorILNS1_17partition_subalgoE0EiNS0_10empty_typeEbEEZZNS1_14partition_implILS5_0ELb0ES3_jN6thrust23THRUST_200600_302600_NS10device_ptrIiEEPS6_SD_NS0_5tupleIJSC_SC_EEENSE_IJSD_SD_EEES6_PlJ7is_evenIiEEEE10hipError_tPvRmT3_T4_T5_T6_T7_T9_mT8_P12ihipStream_tbDpT10_ENKUlT_T0_E_clISt17integral_constantIbLb0EES12_IbLb1EEEEDaSY_SZ_EUlSY_E_NS1_11comp_targetILNS1_3genE10ELNS1_11target_archE1200ELNS1_3gpuE4ELNS1_3repE0EEENS1_30default_config_static_selectorELNS0_4arch9wavefront6targetE1EEEvT1_ ; -- Begin function _ZN7rocprim17ROCPRIM_400000_NS6detail17trampoline_kernelINS0_14default_configENS1_25partition_config_selectorILNS1_17partition_subalgoE0EiNS0_10empty_typeEbEEZZNS1_14partition_implILS5_0ELb0ES3_jN6thrust23THRUST_200600_302600_NS10device_ptrIiEEPS6_SD_NS0_5tupleIJSC_SC_EEENSE_IJSD_SD_EEES6_PlJ7is_evenIiEEEE10hipError_tPvRmT3_T4_T5_T6_T7_T9_mT8_P12ihipStream_tbDpT10_ENKUlT_T0_E_clISt17integral_constantIbLb0EES12_IbLb1EEEEDaSY_SZ_EUlSY_E_NS1_11comp_targetILNS1_3genE10ELNS1_11target_archE1200ELNS1_3gpuE4ELNS1_3repE0EEENS1_30default_config_static_selectorELNS0_4arch9wavefront6targetE1EEEvT1_
	.globl	_ZN7rocprim17ROCPRIM_400000_NS6detail17trampoline_kernelINS0_14default_configENS1_25partition_config_selectorILNS1_17partition_subalgoE0EiNS0_10empty_typeEbEEZZNS1_14partition_implILS5_0ELb0ES3_jN6thrust23THRUST_200600_302600_NS10device_ptrIiEEPS6_SD_NS0_5tupleIJSC_SC_EEENSE_IJSD_SD_EEES6_PlJ7is_evenIiEEEE10hipError_tPvRmT3_T4_T5_T6_T7_T9_mT8_P12ihipStream_tbDpT10_ENKUlT_T0_E_clISt17integral_constantIbLb0EES12_IbLb1EEEEDaSY_SZ_EUlSY_E_NS1_11comp_targetILNS1_3genE10ELNS1_11target_archE1200ELNS1_3gpuE4ELNS1_3repE0EEENS1_30default_config_static_selectorELNS0_4arch9wavefront6targetE1EEEvT1_
	.p2align	8
	.type	_ZN7rocprim17ROCPRIM_400000_NS6detail17trampoline_kernelINS0_14default_configENS1_25partition_config_selectorILNS1_17partition_subalgoE0EiNS0_10empty_typeEbEEZZNS1_14partition_implILS5_0ELb0ES3_jN6thrust23THRUST_200600_302600_NS10device_ptrIiEEPS6_SD_NS0_5tupleIJSC_SC_EEENSE_IJSD_SD_EEES6_PlJ7is_evenIiEEEE10hipError_tPvRmT3_T4_T5_T6_T7_T9_mT8_P12ihipStream_tbDpT10_ENKUlT_T0_E_clISt17integral_constantIbLb0EES12_IbLb1EEEEDaSY_SZ_EUlSY_E_NS1_11comp_targetILNS1_3genE10ELNS1_11target_archE1200ELNS1_3gpuE4ELNS1_3repE0EEENS1_30default_config_static_selectorELNS0_4arch9wavefront6targetE1EEEvT1_,@function
_ZN7rocprim17ROCPRIM_400000_NS6detail17trampoline_kernelINS0_14default_configENS1_25partition_config_selectorILNS1_17partition_subalgoE0EiNS0_10empty_typeEbEEZZNS1_14partition_implILS5_0ELb0ES3_jN6thrust23THRUST_200600_302600_NS10device_ptrIiEEPS6_SD_NS0_5tupleIJSC_SC_EEENSE_IJSD_SD_EEES6_PlJ7is_evenIiEEEE10hipError_tPvRmT3_T4_T5_T6_T7_T9_mT8_P12ihipStream_tbDpT10_ENKUlT_T0_E_clISt17integral_constantIbLb0EES12_IbLb1EEEEDaSY_SZ_EUlSY_E_NS1_11comp_targetILNS1_3genE10ELNS1_11target_archE1200ELNS1_3gpuE4ELNS1_3repE0EEENS1_30default_config_static_selectorELNS0_4arch9wavefront6targetE1EEEvT1_: ; @_ZN7rocprim17ROCPRIM_400000_NS6detail17trampoline_kernelINS0_14default_configENS1_25partition_config_selectorILNS1_17partition_subalgoE0EiNS0_10empty_typeEbEEZZNS1_14partition_implILS5_0ELb0ES3_jN6thrust23THRUST_200600_302600_NS10device_ptrIiEEPS6_SD_NS0_5tupleIJSC_SC_EEENSE_IJSD_SD_EEES6_PlJ7is_evenIiEEEE10hipError_tPvRmT3_T4_T5_T6_T7_T9_mT8_P12ihipStream_tbDpT10_ENKUlT_T0_E_clISt17integral_constantIbLb0EES12_IbLb1EEEEDaSY_SZ_EUlSY_E_NS1_11comp_targetILNS1_3genE10ELNS1_11target_archE1200ELNS1_3gpuE4ELNS1_3repE0EEENS1_30default_config_static_selectorELNS0_4arch9wavefront6targetE1EEEvT1_
; %bb.0:
	.section	.rodata,"a",@progbits
	.p2align	6, 0x0
	.amdhsa_kernel _ZN7rocprim17ROCPRIM_400000_NS6detail17trampoline_kernelINS0_14default_configENS1_25partition_config_selectorILNS1_17partition_subalgoE0EiNS0_10empty_typeEbEEZZNS1_14partition_implILS5_0ELb0ES3_jN6thrust23THRUST_200600_302600_NS10device_ptrIiEEPS6_SD_NS0_5tupleIJSC_SC_EEENSE_IJSD_SD_EEES6_PlJ7is_evenIiEEEE10hipError_tPvRmT3_T4_T5_T6_T7_T9_mT8_P12ihipStream_tbDpT10_ENKUlT_T0_E_clISt17integral_constantIbLb0EES12_IbLb1EEEEDaSY_SZ_EUlSY_E_NS1_11comp_targetILNS1_3genE10ELNS1_11target_archE1200ELNS1_3gpuE4ELNS1_3repE0EEENS1_30default_config_static_selectorELNS0_4arch9wavefront6targetE1EEEvT1_
		.amdhsa_group_segment_fixed_size 0
		.amdhsa_private_segment_fixed_size 0
		.amdhsa_kernarg_size 136
		.amdhsa_user_sgpr_count 6
		.amdhsa_user_sgpr_private_segment_buffer 1
		.amdhsa_user_sgpr_dispatch_ptr 0
		.amdhsa_user_sgpr_queue_ptr 0
		.amdhsa_user_sgpr_kernarg_segment_ptr 1
		.amdhsa_user_sgpr_dispatch_id 0
		.amdhsa_user_sgpr_flat_scratch_init 0
		.amdhsa_user_sgpr_kernarg_preload_length 0
		.amdhsa_user_sgpr_kernarg_preload_offset 0
		.amdhsa_user_sgpr_private_segment_size 0
		.amdhsa_uses_dynamic_stack 0
		.amdhsa_system_sgpr_private_segment_wavefront_offset 0
		.amdhsa_system_sgpr_workgroup_id_x 1
		.amdhsa_system_sgpr_workgroup_id_y 0
		.amdhsa_system_sgpr_workgroup_id_z 0
		.amdhsa_system_sgpr_workgroup_info 0
		.amdhsa_system_vgpr_workitem_id 0
		.amdhsa_next_free_vgpr 1
		.amdhsa_next_free_sgpr 0
		.amdhsa_accum_offset 4
		.amdhsa_reserve_vcc 0
		.amdhsa_reserve_flat_scratch 0
		.amdhsa_float_round_mode_32 0
		.amdhsa_float_round_mode_16_64 0
		.amdhsa_float_denorm_mode_32 3
		.amdhsa_float_denorm_mode_16_64 3
		.amdhsa_dx10_clamp 1
		.amdhsa_ieee_mode 1
		.amdhsa_fp16_overflow 0
		.amdhsa_tg_split 0
		.amdhsa_exception_fp_ieee_invalid_op 0
		.amdhsa_exception_fp_denorm_src 0
		.amdhsa_exception_fp_ieee_div_zero 0
		.amdhsa_exception_fp_ieee_overflow 0
		.amdhsa_exception_fp_ieee_underflow 0
		.amdhsa_exception_fp_ieee_inexact 0
		.amdhsa_exception_int_div_zero 0
	.end_amdhsa_kernel
	.section	.text._ZN7rocprim17ROCPRIM_400000_NS6detail17trampoline_kernelINS0_14default_configENS1_25partition_config_selectorILNS1_17partition_subalgoE0EiNS0_10empty_typeEbEEZZNS1_14partition_implILS5_0ELb0ES3_jN6thrust23THRUST_200600_302600_NS10device_ptrIiEEPS6_SD_NS0_5tupleIJSC_SC_EEENSE_IJSD_SD_EEES6_PlJ7is_evenIiEEEE10hipError_tPvRmT3_T4_T5_T6_T7_T9_mT8_P12ihipStream_tbDpT10_ENKUlT_T0_E_clISt17integral_constantIbLb0EES12_IbLb1EEEEDaSY_SZ_EUlSY_E_NS1_11comp_targetILNS1_3genE10ELNS1_11target_archE1200ELNS1_3gpuE4ELNS1_3repE0EEENS1_30default_config_static_selectorELNS0_4arch9wavefront6targetE1EEEvT1_,"axG",@progbits,_ZN7rocprim17ROCPRIM_400000_NS6detail17trampoline_kernelINS0_14default_configENS1_25partition_config_selectorILNS1_17partition_subalgoE0EiNS0_10empty_typeEbEEZZNS1_14partition_implILS5_0ELb0ES3_jN6thrust23THRUST_200600_302600_NS10device_ptrIiEEPS6_SD_NS0_5tupleIJSC_SC_EEENSE_IJSD_SD_EEES6_PlJ7is_evenIiEEEE10hipError_tPvRmT3_T4_T5_T6_T7_T9_mT8_P12ihipStream_tbDpT10_ENKUlT_T0_E_clISt17integral_constantIbLb0EES12_IbLb1EEEEDaSY_SZ_EUlSY_E_NS1_11comp_targetILNS1_3genE10ELNS1_11target_archE1200ELNS1_3gpuE4ELNS1_3repE0EEENS1_30default_config_static_selectorELNS0_4arch9wavefront6targetE1EEEvT1_,comdat
.Lfunc_end3723:
	.size	_ZN7rocprim17ROCPRIM_400000_NS6detail17trampoline_kernelINS0_14default_configENS1_25partition_config_selectorILNS1_17partition_subalgoE0EiNS0_10empty_typeEbEEZZNS1_14partition_implILS5_0ELb0ES3_jN6thrust23THRUST_200600_302600_NS10device_ptrIiEEPS6_SD_NS0_5tupleIJSC_SC_EEENSE_IJSD_SD_EEES6_PlJ7is_evenIiEEEE10hipError_tPvRmT3_T4_T5_T6_T7_T9_mT8_P12ihipStream_tbDpT10_ENKUlT_T0_E_clISt17integral_constantIbLb0EES12_IbLb1EEEEDaSY_SZ_EUlSY_E_NS1_11comp_targetILNS1_3genE10ELNS1_11target_archE1200ELNS1_3gpuE4ELNS1_3repE0EEENS1_30default_config_static_selectorELNS0_4arch9wavefront6targetE1EEEvT1_, .Lfunc_end3723-_ZN7rocprim17ROCPRIM_400000_NS6detail17trampoline_kernelINS0_14default_configENS1_25partition_config_selectorILNS1_17partition_subalgoE0EiNS0_10empty_typeEbEEZZNS1_14partition_implILS5_0ELb0ES3_jN6thrust23THRUST_200600_302600_NS10device_ptrIiEEPS6_SD_NS0_5tupleIJSC_SC_EEENSE_IJSD_SD_EEES6_PlJ7is_evenIiEEEE10hipError_tPvRmT3_T4_T5_T6_T7_T9_mT8_P12ihipStream_tbDpT10_ENKUlT_T0_E_clISt17integral_constantIbLb0EES12_IbLb1EEEEDaSY_SZ_EUlSY_E_NS1_11comp_targetILNS1_3genE10ELNS1_11target_archE1200ELNS1_3gpuE4ELNS1_3repE0EEENS1_30default_config_static_selectorELNS0_4arch9wavefront6targetE1EEEvT1_
                                        ; -- End function
	.section	.AMDGPU.csdata,"",@progbits
; Kernel info:
; codeLenInByte = 0
; NumSgprs: 4
; NumVgprs: 0
; NumAgprs: 0
; TotalNumVgprs: 0
; ScratchSize: 0
; MemoryBound: 0
; FloatMode: 240
; IeeeMode: 1
; LDSByteSize: 0 bytes/workgroup (compile time only)
; SGPRBlocks: 0
; VGPRBlocks: 0
; NumSGPRsForWavesPerEU: 4
; NumVGPRsForWavesPerEU: 1
; AccumOffset: 4
; Occupancy: 8
; WaveLimiterHint : 0
; COMPUTE_PGM_RSRC2:SCRATCH_EN: 0
; COMPUTE_PGM_RSRC2:USER_SGPR: 6
; COMPUTE_PGM_RSRC2:TRAP_HANDLER: 0
; COMPUTE_PGM_RSRC2:TGID_X_EN: 1
; COMPUTE_PGM_RSRC2:TGID_Y_EN: 0
; COMPUTE_PGM_RSRC2:TGID_Z_EN: 0
; COMPUTE_PGM_RSRC2:TIDIG_COMP_CNT: 0
; COMPUTE_PGM_RSRC3_GFX90A:ACCUM_OFFSET: 0
; COMPUTE_PGM_RSRC3_GFX90A:TG_SPLIT: 0
	.section	.text._ZN7rocprim17ROCPRIM_400000_NS6detail17trampoline_kernelINS0_14default_configENS1_25partition_config_selectorILNS1_17partition_subalgoE0EiNS0_10empty_typeEbEEZZNS1_14partition_implILS5_0ELb0ES3_jN6thrust23THRUST_200600_302600_NS10device_ptrIiEEPS6_SD_NS0_5tupleIJSC_SC_EEENSE_IJSD_SD_EEES6_PlJ7is_evenIiEEEE10hipError_tPvRmT3_T4_T5_T6_T7_T9_mT8_P12ihipStream_tbDpT10_ENKUlT_T0_E_clISt17integral_constantIbLb0EES12_IbLb1EEEEDaSY_SZ_EUlSY_E_NS1_11comp_targetILNS1_3genE9ELNS1_11target_archE1100ELNS1_3gpuE3ELNS1_3repE0EEENS1_30default_config_static_selectorELNS0_4arch9wavefront6targetE1EEEvT1_,"axG",@progbits,_ZN7rocprim17ROCPRIM_400000_NS6detail17trampoline_kernelINS0_14default_configENS1_25partition_config_selectorILNS1_17partition_subalgoE0EiNS0_10empty_typeEbEEZZNS1_14partition_implILS5_0ELb0ES3_jN6thrust23THRUST_200600_302600_NS10device_ptrIiEEPS6_SD_NS0_5tupleIJSC_SC_EEENSE_IJSD_SD_EEES6_PlJ7is_evenIiEEEE10hipError_tPvRmT3_T4_T5_T6_T7_T9_mT8_P12ihipStream_tbDpT10_ENKUlT_T0_E_clISt17integral_constantIbLb0EES12_IbLb1EEEEDaSY_SZ_EUlSY_E_NS1_11comp_targetILNS1_3genE9ELNS1_11target_archE1100ELNS1_3gpuE3ELNS1_3repE0EEENS1_30default_config_static_selectorELNS0_4arch9wavefront6targetE1EEEvT1_,comdat
	.protected	_ZN7rocprim17ROCPRIM_400000_NS6detail17trampoline_kernelINS0_14default_configENS1_25partition_config_selectorILNS1_17partition_subalgoE0EiNS0_10empty_typeEbEEZZNS1_14partition_implILS5_0ELb0ES3_jN6thrust23THRUST_200600_302600_NS10device_ptrIiEEPS6_SD_NS0_5tupleIJSC_SC_EEENSE_IJSD_SD_EEES6_PlJ7is_evenIiEEEE10hipError_tPvRmT3_T4_T5_T6_T7_T9_mT8_P12ihipStream_tbDpT10_ENKUlT_T0_E_clISt17integral_constantIbLb0EES12_IbLb1EEEEDaSY_SZ_EUlSY_E_NS1_11comp_targetILNS1_3genE9ELNS1_11target_archE1100ELNS1_3gpuE3ELNS1_3repE0EEENS1_30default_config_static_selectorELNS0_4arch9wavefront6targetE1EEEvT1_ ; -- Begin function _ZN7rocprim17ROCPRIM_400000_NS6detail17trampoline_kernelINS0_14default_configENS1_25partition_config_selectorILNS1_17partition_subalgoE0EiNS0_10empty_typeEbEEZZNS1_14partition_implILS5_0ELb0ES3_jN6thrust23THRUST_200600_302600_NS10device_ptrIiEEPS6_SD_NS0_5tupleIJSC_SC_EEENSE_IJSD_SD_EEES6_PlJ7is_evenIiEEEE10hipError_tPvRmT3_T4_T5_T6_T7_T9_mT8_P12ihipStream_tbDpT10_ENKUlT_T0_E_clISt17integral_constantIbLb0EES12_IbLb1EEEEDaSY_SZ_EUlSY_E_NS1_11comp_targetILNS1_3genE9ELNS1_11target_archE1100ELNS1_3gpuE3ELNS1_3repE0EEENS1_30default_config_static_selectorELNS0_4arch9wavefront6targetE1EEEvT1_
	.globl	_ZN7rocprim17ROCPRIM_400000_NS6detail17trampoline_kernelINS0_14default_configENS1_25partition_config_selectorILNS1_17partition_subalgoE0EiNS0_10empty_typeEbEEZZNS1_14partition_implILS5_0ELb0ES3_jN6thrust23THRUST_200600_302600_NS10device_ptrIiEEPS6_SD_NS0_5tupleIJSC_SC_EEENSE_IJSD_SD_EEES6_PlJ7is_evenIiEEEE10hipError_tPvRmT3_T4_T5_T6_T7_T9_mT8_P12ihipStream_tbDpT10_ENKUlT_T0_E_clISt17integral_constantIbLb0EES12_IbLb1EEEEDaSY_SZ_EUlSY_E_NS1_11comp_targetILNS1_3genE9ELNS1_11target_archE1100ELNS1_3gpuE3ELNS1_3repE0EEENS1_30default_config_static_selectorELNS0_4arch9wavefront6targetE1EEEvT1_
	.p2align	8
	.type	_ZN7rocprim17ROCPRIM_400000_NS6detail17trampoline_kernelINS0_14default_configENS1_25partition_config_selectorILNS1_17partition_subalgoE0EiNS0_10empty_typeEbEEZZNS1_14partition_implILS5_0ELb0ES3_jN6thrust23THRUST_200600_302600_NS10device_ptrIiEEPS6_SD_NS0_5tupleIJSC_SC_EEENSE_IJSD_SD_EEES6_PlJ7is_evenIiEEEE10hipError_tPvRmT3_T4_T5_T6_T7_T9_mT8_P12ihipStream_tbDpT10_ENKUlT_T0_E_clISt17integral_constantIbLb0EES12_IbLb1EEEEDaSY_SZ_EUlSY_E_NS1_11comp_targetILNS1_3genE9ELNS1_11target_archE1100ELNS1_3gpuE3ELNS1_3repE0EEENS1_30default_config_static_selectorELNS0_4arch9wavefront6targetE1EEEvT1_,@function
_ZN7rocprim17ROCPRIM_400000_NS6detail17trampoline_kernelINS0_14default_configENS1_25partition_config_selectorILNS1_17partition_subalgoE0EiNS0_10empty_typeEbEEZZNS1_14partition_implILS5_0ELb0ES3_jN6thrust23THRUST_200600_302600_NS10device_ptrIiEEPS6_SD_NS0_5tupleIJSC_SC_EEENSE_IJSD_SD_EEES6_PlJ7is_evenIiEEEE10hipError_tPvRmT3_T4_T5_T6_T7_T9_mT8_P12ihipStream_tbDpT10_ENKUlT_T0_E_clISt17integral_constantIbLb0EES12_IbLb1EEEEDaSY_SZ_EUlSY_E_NS1_11comp_targetILNS1_3genE9ELNS1_11target_archE1100ELNS1_3gpuE3ELNS1_3repE0EEENS1_30default_config_static_selectorELNS0_4arch9wavefront6targetE1EEEvT1_: ; @_ZN7rocprim17ROCPRIM_400000_NS6detail17trampoline_kernelINS0_14default_configENS1_25partition_config_selectorILNS1_17partition_subalgoE0EiNS0_10empty_typeEbEEZZNS1_14partition_implILS5_0ELb0ES3_jN6thrust23THRUST_200600_302600_NS10device_ptrIiEEPS6_SD_NS0_5tupleIJSC_SC_EEENSE_IJSD_SD_EEES6_PlJ7is_evenIiEEEE10hipError_tPvRmT3_T4_T5_T6_T7_T9_mT8_P12ihipStream_tbDpT10_ENKUlT_T0_E_clISt17integral_constantIbLb0EES12_IbLb1EEEEDaSY_SZ_EUlSY_E_NS1_11comp_targetILNS1_3genE9ELNS1_11target_archE1100ELNS1_3gpuE3ELNS1_3repE0EEENS1_30default_config_static_selectorELNS0_4arch9wavefront6targetE1EEEvT1_
; %bb.0:
	.section	.rodata,"a",@progbits
	.p2align	6, 0x0
	.amdhsa_kernel _ZN7rocprim17ROCPRIM_400000_NS6detail17trampoline_kernelINS0_14default_configENS1_25partition_config_selectorILNS1_17partition_subalgoE0EiNS0_10empty_typeEbEEZZNS1_14partition_implILS5_0ELb0ES3_jN6thrust23THRUST_200600_302600_NS10device_ptrIiEEPS6_SD_NS0_5tupleIJSC_SC_EEENSE_IJSD_SD_EEES6_PlJ7is_evenIiEEEE10hipError_tPvRmT3_T4_T5_T6_T7_T9_mT8_P12ihipStream_tbDpT10_ENKUlT_T0_E_clISt17integral_constantIbLb0EES12_IbLb1EEEEDaSY_SZ_EUlSY_E_NS1_11comp_targetILNS1_3genE9ELNS1_11target_archE1100ELNS1_3gpuE3ELNS1_3repE0EEENS1_30default_config_static_selectorELNS0_4arch9wavefront6targetE1EEEvT1_
		.amdhsa_group_segment_fixed_size 0
		.amdhsa_private_segment_fixed_size 0
		.amdhsa_kernarg_size 136
		.amdhsa_user_sgpr_count 6
		.amdhsa_user_sgpr_private_segment_buffer 1
		.amdhsa_user_sgpr_dispatch_ptr 0
		.amdhsa_user_sgpr_queue_ptr 0
		.amdhsa_user_sgpr_kernarg_segment_ptr 1
		.amdhsa_user_sgpr_dispatch_id 0
		.amdhsa_user_sgpr_flat_scratch_init 0
		.amdhsa_user_sgpr_kernarg_preload_length 0
		.amdhsa_user_sgpr_kernarg_preload_offset 0
		.amdhsa_user_sgpr_private_segment_size 0
		.amdhsa_uses_dynamic_stack 0
		.amdhsa_system_sgpr_private_segment_wavefront_offset 0
		.amdhsa_system_sgpr_workgroup_id_x 1
		.amdhsa_system_sgpr_workgroup_id_y 0
		.amdhsa_system_sgpr_workgroup_id_z 0
		.amdhsa_system_sgpr_workgroup_info 0
		.amdhsa_system_vgpr_workitem_id 0
		.amdhsa_next_free_vgpr 1
		.amdhsa_next_free_sgpr 0
		.amdhsa_accum_offset 4
		.amdhsa_reserve_vcc 0
		.amdhsa_reserve_flat_scratch 0
		.amdhsa_float_round_mode_32 0
		.amdhsa_float_round_mode_16_64 0
		.amdhsa_float_denorm_mode_32 3
		.amdhsa_float_denorm_mode_16_64 3
		.amdhsa_dx10_clamp 1
		.amdhsa_ieee_mode 1
		.amdhsa_fp16_overflow 0
		.amdhsa_tg_split 0
		.amdhsa_exception_fp_ieee_invalid_op 0
		.amdhsa_exception_fp_denorm_src 0
		.amdhsa_exception_fp_ieee_div_zero 0
		.amdhsa_exception_fp_ieee_overflow 0
		.amdhsa_exception_fp_ieee_underflow 0
		.amdhsa_exception_fp_ieee_inexact 0
		.amdhsa_exception_int_div_zero 0
	.end_amdhsa_kernel
	.section	.text._ZN7rocprim17ROCPRIM_400000_NS6detail17trampoline_kernelINS0_14default_configENS1_25partition_config_selectorILNS1_17partition_subalgoE0EiNS0_10empty_typeEbEEZZNS1_14partition_implILS5_0ELb0ES3_jN6thrust23THRUST_200600_302600_NS10device_ptrIiEEPS6_SD_NS0_5tupleIJSC_SC_EEENSE_IJSD_SD_EEES6_PlJ7is_evenIiEEEE10hipError_tPvRmT3_T4_T5_T6_T7_T9_mT8_P12ihipStream_tbDpT10_ENKUlT_T0_E_clISt17integral_constantIbLb0EES12_IbLb1EEEEDaSY_SZ_EUlSY_E_NS1_11comp_targetILNS1_3genE9ELNS1_11target_archE1100ELNS1_3gpuE3ELNS1_3repE0EEENS1_30default_config_static_selectorELNS0_4arch9wavefront6targetE1EEEvT1_,"axG",@progbits,_ZN7rocprim17ROCPRIM_400000_NS6detail17trampoline_kernelINS0_14default_configENS1_25partition_config_selectorILNS1_17partition_subalgoE0EiNS0_10empty_typeEbEEZZNS1_14partition_implILS5_0ELb0ES3_jN6thrust23THRUST_200600_302600_NS10device_ptrIiEEPS6_SD_NS0_5tupleIJSC_SC_EEENSE_IJSD_SD_EEES6_PlJ7is_evenIiEEEE10hipError_tPvRmT3_T4_T5_T6_T7_T9_mT8_P12ihipStream_tbDpT10_ENKUlT_T0_E_clISt17integral_constantIbLb0EES12_IbLb1EEEEDaSY_SZ_EUlSY_E_NS1_11comp_targetILNS1_3genE9ELNS1_11target_archE1100ELNS1_3gpuE3ELNS1_3repE0EEENS1_30default_config_static_selectorELNS0_4arch9wavefront6targetE1EEEvT1_,comdat
.Lfunc_end3724:
	.size	_ZN7rocprim17ROCPRIM_400000_NS6detail17trampoline_kernelINS0_14default_configENS1_25partition_config_selectorILNS1_17partition_subalgoE0EiNS0_10empty_typeEbEEZZNS1_14partition_implILS5_0ELb0ES3_jN6thrust23THRUST_200600_302600_NS10device_ptrIiEEPS6_SD_NS0_5tupleIJSC_SC_EEENSE_IJSD_SD_EEES6_PlJ7is_evenIiEEEE10hipError_tPvRmT3_T4_T5_T6_T7_T9_mT8_P12ihipStream_tbDpT10_ENKUlT_T0_E_clISt17integral_constantIbLb0EES12_IbLb1EEEEDaSY_SZ_EUlSY_E_NS1_11comp_targetILNS1_3genE9ELNS1_11target_archE1100ELNS1_3gpuE3ELNS1_3repE0EEENS1_30default_config_static_selectorELNS0_4arch9wavefront6targetE1EEEvT1_, .Lfunc_end3724-_ZN7rocprim17ROCPRIM_400000_NS6detail17trampoline_kernelINS0_14default_configENS1_25partition_config_selectorILNS1_17partition_subalgoE0EiNS0_10empty_typeEbEEZZNS1_14partition_implILS5_0ELb0ES3_jN6thrust23THRUST_200600_302600_NS10device_ptrIiEEPS6_SD_NS0_5tupleIJSC_SC_EEENSE_IJSD_SD_EEES6_PlJ7is_evenIiEEEE10hipError_tPvRmT3_T4_T5_T6_T7_T9_mT8_P12ihipStream_tbDpT10_ENKUlT_T0_E_clISt17integral_constantIbLb0EES12_IbLb1EEEEDaSY_SZ_EUlSY_E_NS1_11comp_targetILNS1_3genE9ELNS1_11target_archE1100ELNS1_3gpuE3ELNS1_3repE0EEENS1_30default_config_static_selectorELNS0_4arch9wavefront6targetE1EEEvT1_
                                        ; -- End function
	.section	.AMDGPU.csdata,"",@progbits
; Kernel info:
; codeLenInByte = 0
; NumSgprs: 4
; NumVgprs: 0
; NumAgprs: 0
; TotalNumVgprs: 0
; ScratchSize: 0
; MemoryBound: 0
; FloatMode: 240
; IeeeMode: 1
; LDSByteSize: 0 bytes/workgroup (compile time only)
; SGPRBlocks: 0
; VGPRBlocks: 0
; NumSGPRsForWavesPerEU: 4
; NumVGPRsForWavesPerEU: 1
; AccumOffset: 4
; Occupancy: 8
; WaveLimiterHint : 0
; COMPUTE_PGM_RSRC2:SCRATCH_EN: 0
; COMPUTE_PGM_RSRC2:USER_SGPR: 6
; COMPUTE_PGM_RSRC2:TRAP_HANDLER: 0
; COMPUTE_PGM_RSRC2:TGID_X_EN: 1
; COMPUTE_PGM_RSRC2:TGID_Y_EN: 0
; COMPUTE_PGM_RSRC2:TGID_Z_EN: 0
; COMPUTE_PGM_RSRC2:TIDIG_COMP_CNT: 0
; COMPUTE_PGM_RSRC3_GFX90A:ACCUM_OFFSET: 0
; COMPUTE_PGM_RSRC3_GFX90A:TG_SPLIT: 0
	.section	.text._ZN7rocprim17ROCPRIM_400000_NS6detail17trampoline_kernelINS0_14default_configENS1_25partition_config_selectorILNS1_17partition_subalgoE0EiNS0_10empty_typeEbEEZZNS1_14partition_implILS5_0ELb0ES3_jN6thrust23THRUST_200600_302600_NS10device_ptrIiEEPS6_SD_NS0_5tupleIJSC_SC_EEENSE_IJSD_SD_EEES6_PlJ7is_evenIiEEEE10hipError_tPvRmT3_T4_T5_T6_T7_T9_mT8_P12ihipStream_tbDpT10_ENKUlT_T0_E_clISt17integral_constantIbLb0EES12_IbLb1EEEEDaSY_SZ_EUlSY_E_NS1_11comp_targetILNS1_3genE8ELNS1_11target_archE1030ELNS1_3gpuE2ELNS1_3repE0EEENS1_30default_config_static_selectorELNS0_4arch9wavefront6targetE1EEEvT1_,"axG",@progbits,_ZN7rocprim17ROCPRIM_400000_NS6detail17trampoline_kernelINS0_14default_configENS1_25partition_config_selectorILNS1_17partition_subalgoE0EiNS0_10empty_typeEbEEZZNS1_14partition_implILS5_0ELb0ES3_jN6thrust23THRUST_200600_302600_NS10device_ptrIiEEPS6_SD_NS0_5tupleIJSC_SC_EEENSE_IJSD_SD_EEES6_PlJ7is_evenIiEEEE10hipError_tPvRmT3_T4_T5_T6_T7_T9_mT8_P12ihipStream_tbDpT10_ENKUlT_T0_E_clISt17integral_constantIbLb0EES12_IbLb1EEEEDaSY_SZ_EUlSY_E_NS1_11comp_targetILNS1_3genE8ELNS1_11target_archE1030ELNS1_3gpuE2ELNS1_3repE0EEENS1_30default_config_static_selectorELNS0_4arch9wavefront6targetE1EEEvT1_,comdat
	.protected	_ZN7rocprim17ROCPRIM_400000_NS6detail17trampoline_kernelINS0_14default_configENS1_25partition_config_selectorILNS1_17partition_subalgoE0EiNS0_10empty_typeEbEEZZNS1_14partition_implILS5_0ELb0ES3_jN6thrust23THRUST_200600_302600_NS10device_ptrIiEEPS6_SD_NS0_5tupleIJSC_SC_EEENSE_IJSD_SD_EEES6_PlJ7is_evenIiEEEE10hipError_tPvRmT3_T4_T5_T6_T7_T9_mT8_P12ihipStream_tbDpT10_ENKUlT_T0_E_clISt17integral_constantIbLb0EES12_IbLb1EEEEDaSY_SZ_EUlSY_E_NS1_11comp_targetILNS1_3genE8ELNS1_11target_archE1030ELNS1_3gpuE2ELNS1_3repE0EEENS1_30default_config_static_selectorELNS0_4arch9wavefront6targetE1EEEvT1_ ; -- Begin function _ZN7rocprim17ROCPRIM_400000_NS6detail17trampoline_kernelINS0_14default_configENS1_25partition_config_selectorILNS1_17partition_subalgoE0EiNS0_10empty_typeEbEEZZNS1_14partition_implILS5_0ELb0ES3_jN6thrust23THRUST_200600_302600_NS10device_ptrIiEEPS6_SD_NS0_5tupleIJSC_SC_EEENSE_IJSD_SD_EEES6_PlJ7is_evenIiEEEE10hipError_tPvRmT3_T4_T5_T6_T7_T9_mT8_P12ihipStream_tbDpT10_ENKUlT_T0_E_clISt17integral_constantIbLb0EES12_IbLb1EEEEDaSY_SZ_EUlSY_E_NS1_11comp_targetILNS1_3genE8ELNS1_11target_archE1030ELNS1_3gpuE2ELNS1_3repE0EEENS1_30default_config_static_selectorELNS0_4arch9wavefront6targetE1EEEvT1_
	.globl	_ZN7rocprim17ROCPRIM_400000_NS6detail17trampoline_kernelINS0_14default_configENS1_25partition_config_selectorILNS1_17partition_subalgoE0EiNS0_10empty_typeEbEEZZNS1_14partition_implILS5_0ELb0ES3_jN6thrust23THRUST_200600_302600_NS10device_ptrIiEEPS6_SD_NS0_5tupleIJSC_SC_EEENSE_IJSD_SD_EEES6_PlJ7is_evenIiEEEE10hipError_tPvRmT3_T4_T5_T6_T7_T9_mT8_P12ihipStream_tbDpT10_ENKUlT_T0_E_clISt17integral_constantIbLb0EES12_IbLb1EEEEDaSY_SZ_EUlSY_E_NS1_11comp_targetILNS1_3genE8ELNS1_11target_archE1030ELNS1_3gpuE2ELNS1_3repE0EEENS1_30default_config_static_selectorELNS0_4arch9wavefront6targetE1EEEvT1_
	.p2align	8
	.type	_ZN7rocprim17ROCPRIM_400000_NS6detail17trampoline_kernelINS0_14default_configENS1_25partition_config_selectorILNS1_17partition_subalgoE0EiNS0_10empty_typeEbEEZZNS1_14partition_implILS5_0ELb0ES3_jN6thrust23THRUST_200600_302600_NS10device_ptrIiEEPS6_SD_NS0_5tupleIJSC_SC_EEENSE_IJSD_SD_EEES6_PlJ7is_evenIiEEEE10hipError_tPvRmT3_T4_T5_T6_T7_T9_mT8_P12ihipStream_tbDpT10_ENKUlT_T0_E_clISt17integral_constantIbLb0EES12_IbLb1EEEEDaSY_SZ_EUlSY_E_NS1_11comp_targetILNS1_3genE8ELNS1_11target_archE1030ELNS1_3gpuE2ELNS1_3repE0EEENS1_30default_config_static_selectorELNS0_4arch9wavefront6targetE1EEEvT1_,@function
_ZN7rocprim17ROCPRIM_400000_NS6detail17trampoline_kernelINS0_14default_configENS1_25partition_config_selectorILNS1_17partition_subalgoE0EiNS0_10empty_typeEbEEZZNS1_14partition_implILS5_0ELb0ES3_jN6thrust23THRUST_200600_302600_NS10device_ptrIiEEPS6_SD_NS0_5tupleIJSC_SC_EEENSE_IJSD_SD_EEES6_PlJ7is_evenIiEEEE10hipError_tPvRmT3_T4_T5_T6_T7_T9_mT8_P12ihipStream_tbDpT10_ENKUlT_T0_E_clISt17integral_constantIbLb0EES12_IbLb1EEEEDaSY_SZ_EUlSY_E_NS1_11comp_targetILNS1_3genE8ELNS1_11target_archE1030ELNS1_3gpuE2ELNS1_3repE0EEENS1_30default_config_static_selectorELNS0_4arch9wavefront6targetE1EEEvT1_: ; @_ZN7rocprim17ROCPRIM_400000_NS6detail17trampoline_kernelINS0_14default_configENS1_25partition_config_selectorILNS1_17partition_subalgoE0EiNS0_10empty_typeEbEEZZNS1_14partition_implILS5_0ELb0ES3_jN6thrust23THRUST_200600_302600_NS10device_ptrIiEEPS6_SD_NS0_5tupleIJSC_SC_EEENSE_IJSD_SD_EEES6_PlJ7is_evenIiEEEE10hipError_tPvRmT3_T4_T5_T6_T7_T9_mT8_P12ihipStream_tbDpT10_ENKUlT_T0_E_clISt17integral_constantIbLb0EES12_IbLb1EEEEDaSY_SZ_EUlSY_E_NS1_11comp_targetILNS1_3genE8ELNS1_11target_archE1030ELNS1_3gpuE2ELNS1_3repE0EEENS1_30default_config_static_selectorELNS0_4arch9wavefront6targetE1EEEvT1_
; %bb.0:
	.section	.rodata,"a",@progbits
	.p2align	6, 0x0
	.amdhsa_kernel _ZN7rocprim17ROCPRIM_400000_NS6detail17trampoline_kernelINS0_14default_configENS1_25partition_config_selectorILNS1_17partition_subalgoE0EiNS0_10empty_typeEbEEZZNS1_14partition_implILS5_0ELb0ES3_jN6thrust23THRUST_200600_302600_NS10device_ptrIiEEPS6_SD_NS0_5tupleIJSC_SC_EEENSE_IJSD_SD_EEES6_PlJ7is_evenIiEEEE10hipError_tPvRmT3_T4_T5_T6_T7_T9_mT8_P12ihipStream_tbDpT10_ENKUlT_T0_E_clISt17integral_constantIbLb0EES12_IbLb1EEEEDaSY_SZ_EUlSY_E_NS1_11comp_targetILNS1_3genE8ELNS1_11target_archE1030ELNS1_3gpuE2ELNS1_3repE0EEENS1_30default_config_static_selectorELNS0_4arch9wavefront6targetE1EEEvT1_
		.amdhsa_group_segment_fixed_size 0
		.amdhsa_private_segment_fixed_size 0
		.amdhsa_kernarg_size 136
		.amdhsa_user_sgpr_count 6
		.amdhsa_user_sgpr_private_segment_buffer 1
		.amdhsa_user_sgpr_dispatch_ptr 0
		.amdhsa_user_sgpr_queue_ptr 0
		.amdhsa_user_sgpr_kernarg_segment_ptr 1
		.amdhsa_user_sgpr_dispatch_id 0
		.amdhsa_user_sgpr_flat_scratch_init 0
		.amdhsa_user_sgpr_kernarg_preload_length 0
		.amdhsa_user_sgpr_kernarg_preload_offset 0
		.amdhsa_user_sgpr_private_segment_size 0
		.amdhsa_uses_dynamic_stack 0
		.amdhsa_system_sgpr_private_segment_wavefront_offset 0
		.amdhsa_system_sgpr_workgroup_id_x 1
		.amdhsa_system_sgpr_workgroup_id_y 0
		.amdhsa_system_sgpr_workgroup_id_z 0
		.amdhsa_system_sgpr_workgroup_info 0
		.amdhsa_system_vgpr_workitem_id 0
		.amdhsa_next_free_vgpr 1
		.amdhsa_next_free_sgpr 0
		.amdhsa_accum_offset 4
		.amdhsa_reserve_vcc 0
		.amdhsa_reserve_flat_scratch 0
		.amdhsa_float_round_mode_32 0
		.amdhsa_float_round_mode_16_64 0
		.amdhsa_float_denorm_mode_32 3
		.amdhsa_float_denorm_mode_16_64 3
		.amdhsa_dx10_clamp 1
		.amdhsa_ieee_mode 1
		.amdhsa_fp16_overflow 0
		.amdhsa_tg_split 0
		.amdhsa_exception_fp_ieee_invalid_op 0
		.amdhsa_exception_fp_denorm_src 0
		.amdhsa_exception_fp_ieee_div_zero 0
		.amdhsa_exception_fp_ieee_overflow 0
		.amdhsa_exception_fp_ieee_underflow 0
		.amdhsa_exception_fp_ieee_inexact 0
		.amdhsa_exception_int_div_zero 0
	.end_amdhsa_kernel
	.section	.text._ZN7rocprim17ROCPRIM_400000_NS6detail17trampoline_kernelINS0_14default_configENS1_25partition_config_selectorILNS1_17partition_subalgoE0EiNS0_10empty_typeEbEEZZNS1_14partition_implILS5_0ELb0ES3_jN6thrust23THRUST_200600_302600_NS10device_ptrIiEEPS6_SD_NS0_5tupleIJSC_SC_EEENSE_IJSD_SD_EEES6_PlJ7is_evenIiEEEE10hipError_tPvRmT3_T4_T5_T6_T7_T9_mT8_P12ihipStream_tbDpT10_ENKUlT_T0_E_clISt17integral_constantIbLb0EES12_IbLb1EEEEDaSY_SZ_EUlSY_E_NS1_11comp_targetILNS1_3genE8ELNS1_11target_archE1030ELNS1_3gpuE2ELNS1_3repE0EEENS1_30default_config_static_selectorELNS0_4arch9wavefront6targetE1EEEvT1_,"axG",@progbits,_ZN7rocprim17ROCPRIM_400000_NS6detail17trampoline_kernelINS0_14default_configENS1_25partition_config_selectorILNS1_17partition_subalgoE0EiNS0_10empty_typeEbEEZZNS1_14partition_implILS5_0ELb0ES3_jN6thrust23THRUST_200600_302600_NS10device_ptrIiEEPS6_SD_NS0_5tupleIJSC_SC_EEENSE_IJSD_SD_EEES6_PlJ7is_evenIiEEEE10hipError_tPvRmT3_T4_T5_T6_T7_T9_mT8_P12ihipStream_tbDpT10_ENKUlT_T0_E_clISt17integral_constantIbLb0EES12_IbLb1EEEEDaSY_SZ_EUlSY_E_NS1_11comp_targetILNS1_3genE8ELNS1_11target_archE1030ELNS1_3gpuE2ELNS1_3repE0EEENS1_30default_config_static_selectorELNS0_4arch9wavefront6targetE1EEEvT1_,comdat
.Lfunc_end3725:
	.size	_ZN7rocprim17ROCPRIM_400000_NS6detail17trampoline_kernelINS0_14default_configENS1_25partition_config_selectorILNS1_17partition_subalgoE0EiNS0_10empty_typeEbEEZZNS1_14partition_implILS5_0ELb0ES3_jN6thrust23THRUST_200600_302600_NS10device_ptrIiEEPS6_SD_NS0_5tupleIJSC_SC_EEENSE_IJSD_SD_EEES6_PlJ7is_evenIiEEEE10hipError_tPvRmT3_T4_T5_T6_T7_T9_mT8_P12ihipStream_tbDpT10_ENKUlT_T0_E_clISt17integral_constantIbLb0EES12_IbLb1EEEEDaSY_SZ_EUlSY_E_NS1_11comp_targetILNS1_3genE8ELNS1_11target_archE1030ELNS1_3gpuE2ELNS1_3repE0EEENS1_30default_config_static_selectorELNS0_4arch9wavefront6targetE1EEEvT1_, .Lfunc_end3725-_ZN7rocprim17ROCPRIM_400000_NS6detail17trampoline_kernelINS0_14default_configENS1_25partition_config_selectorILNS1_17partition_subalgoE0EiNS0_10empty_typeEbEEZZNS1_14partition_implILS5_0ELb0ES3_jN6thrust23THRUST_200600_302600_NS10device_ptrIiEEPS6_SD_NS0_5tupleIJSC_SC_EEENSE_IJSD_SD_EEES6_PlJ7is_evenIiEEEE10hipError_tPvRmT3_T4_T5_T6_T7_T9_mT8_P12ihipStream_tbDpT10_ENKUlT_T0_E_clISt17integral_constantIbLb0EES12_IbLb1EEEEDaSY_SZ_EUlSY_E_NS1_11comp_targetILNS1_3genE8ELNS1_11target_archE1030ELNS1_3gpuE2ELNS1_3repE0EEENS1_30default_config_static_selectorELNS0_4arch9wavefront6targetE1EEEvT1_
                                        ; -- End function
	.section	.AMDGPU.csdata,"",@progbits
; Kernel info:
; codeLenInByte = 0
; NumSgprs: 4
; NumVgprs: 0
; NumAgprs: 0
; TotalNumVgprs: 0
; ScratchSize: 0
; MemoryBound: 0
; FloatMode: 240
; IeeeMode: 1
; LDSByteSize: 0 bytes/workgroup (compile time only)
; SGPRBlocks: 0
; VGPRBlocks: 0
; NumSGPRsForWavesPerEU: 4
; NumVGPRsForWavesPerEU: 1
; AccumOffset: 4
; Occupancy: 8
; WaveLimiterHint : 0
; COMPUTE_PGM_RSRC2:SCRATCH_EN: 0
; COMPUTE_PGM_RSRC2:USER_SGPR: 6
; COMPUTE_PGM_RSRC2:TRAP_HANDLER: 0
; COMPUTE_PGM_RSRC2:TGID_X_EN: 1
; COMPUTE_PGM_RSRC2:TGID_Y_EN: 0
; COMPUTE_PGM_RSRC2:TGID_Z_EN: 0
; COMPUTE_PGM_RSRC2:TIDIG_COMP_CNT: 0
; COMPUTE_PGM_RSRC3_GFX90A:ACCUM_OFFSET: 0
; COMPUTE_PGM_RSRC3_GFX90A:TG_SPLIT: 0
	.text
	.p2alignl 6, 3212836864
	.fill 256, 4, 3212836864
	.protected	_ZN7rocprim17ROCPRIM_400000_NS16block_radix_sortIyLj256ELj4ENS0_10empty_typeELj1ELj1ELj0ELNS0_26block_radix_rank_algorithmE1ELNS0_18block_padding_hintE2ELNS0_4arch9wavefront6targetE1EE19radix_bits_per_passE ; @_ZN7rocprim17ROCPRIM_400000_NS16block_radix_sortIyLj256ELj4ENS0_10empty_typeELj1ELj1ELj0ELNS0_26block_radix_rank_algorithmE1ELNS0_18block_padding_hintE2ELNS0_4arch9wavefront6targetE1EE19radix_bits_per_passE
	.type	_ZN7rocprim17ROCPRIM_400000_NS16block_radix_sortIyLj256ELj4ENS0_10empty_typeELj1ELj1ELj0ELNS0_26block_radix_rank_algorithmE1ELNS0_18block_padding_hintE2ELNS0_4arch9wavefront6targetE1EE19radix_bits_per_passE,@object
	.section	.rodata._ZN7rocprim17ROCPRIM_400000_NS16block_radix_sortIyLj256ELj4ENS0_10empty_typeELj1ELj1ELj0ELNS0_26block_radix_rank_algorithmE1ELNS0_18block_padding_hintE2ELNS0_4arch9wavefront6targetE1EE19radix_bits_per_passE,"aG",@progbits,_ZN7rocprim17ROCPRIM_400000_NS16block_radix_sortIyLj256ELj4ENS0_10empty_typeELj1ELj1ELj0ELNS0_26block_radix_rank_algorithmE1ELNS0_18block_padding_hintE2ELNS0_4arch9wavefront6targetE1EE19radix_bits_per_passE,comdat
	.weak	_ZN7rocprim17ROCPRIM_400000_NS16block_radix_sortIyLj256ELj4ENS0_10empty_typeELj1ELj1ELj0ELNS0_26block_radix_rank_algorithmE1ELNS0_18block_padding_hintE2ELNS0_4arch9wavefront6targetE1EE19radix_bits_per_passE
	.p2align	2, 0x0
_ZN7rocprim17ROCPRIM_400000_NS16block_radix_sortIyLj256ELj4ENS0_10empty_typeELj1ELj1ELj0ELNS0_26block_radix_rank_algorithmE1ELNS0_18block_padding_hintE2ELNS0_4arch9wavefront6targetE1EE19radix_bits_per_passE:
	.long	8                               ; 0x8
	.size	_ZN7rocprim17ROCPRIM_400000_NS16block_radix_sortIyLj256ELj4ENS0_10empty_typeELj1ELj1ELj0ELNS0_26block_radix_rank_algorithmE1ELNS0_18block_padding_hintE2ELNS0_4arch9wavefront6targetE1EE19radix_bits_per_passE, 4

	.protected	_ZN7rocprim17ROCPRIM_400000_NS16block_radix_sortIjLj256ELj4ENS0_10empty_typeELj1ELj1ELj0ELNS0_26block_radix_rank_algorithmE1ELNS0_18block_padding_hintE2ELNS0_4arch9wavefront6targetE1EE19radix_bits_per_passE ; @_ZN7rocprim17ROCPRIM_400000_NS16block_radix_sortIjLj256ELj4ENS0_10empty_typeELj1ELj1ELj0ELNS0_26block_radix_rank_algorithmE1ELNS0_18block_padding_hintE2ELNS0_4arch9wavefront6targetE1EE19radix_bits_per_passE
	.type	_ZN7rocprim17ROCPRIM_400000_NS16block_radix_sortIjLj256ELj4ENS0_10empty_typeELj1ELj1ELj0ELNS0_26block_radix_rank_algorithmE1ELNS0_18block_padding_hintE2ELNS0_4arch9wavefront6targetE1EE19radix_bits_per_passE,@object
	.section	.rodata._ZN7rocprim17ROCPRIM_400000_NS16block_radix_sortIjLj256ELj4ENS0_10empty_typeELj1ELj1ELj0ELNS0_26block_radix_rank_algorithmE1ELNS0_18block_padding_hintE2ELNS0_4arch9wavefront6targetE1EE19radix_bits_per_passE,"aG",@progbits,_ZN7rocprim17ROCPRIM_400000_NS16block_radix_sortIjLj256ELj4ENS0_10empty_typeELj1ELj1ELj0ELNS0_26block_radix_rank_algorithmE1ELNS0_18block_padding_hintE2ELNS0_4arch9wavefront6targetE1EE19radix_bits_per_passE,comdat
	.weak	_ZN7rocprim17ROCPRIM_400000_NS16block_radix_sortIjLj256ELj4ENS0_10empty_typeELj1ELj1ELj0ELNS0_26block_radix_rank_algorithmE1ELNS0_18block_padding_hintE2ELNS0_4arch9wavefront6targetE1EE19radix_bits_per_passE
	.p2align	2, 0x0
_ZN7rocprim17ROCPRIM_400000_NS16block_radix_sortIjLj256ELj4ENS0_10empty_typeELj1ELj1ELj0ELNS0_26block_radix_rank_algorithmE1ELNS0_18block_padding_hintE2ELNS0_4arch9wavefront6targetE1EE19radix_bits_per_passE:
	.long	8                               ; 0x8
	.size	_ZN7rocprim17ROCPRIM_400000_NS16block_radix_sortIjLj256ELj4ENS0_10empty_typeELj1ELj1ELj0ELNS0_26block_radix_rank_algorithmE1ELNS0_18block_padding_hintE2ELNS0_4arch9wavefront6targetE1EE19radix_bits_per_passE, 4

	.protected	_ZN7rocprim17ROCPRIM_400000_NS16block_radix_sortItLj256ELj4ENS0_10empty_typeELj1ELj1ELj0ELNS0_26block_radix_rank_algorithmE1ELNS0_18block_padding_hintE2ELNS0_4arch9wavefront6targetE1EE19radix_bits_per_passE ; @_ZN7rocprim17ROCPRIM_400000_NS16block_radix_sortItLj256ELj4ENS0_10empty_typeELj1ELj1ELj0ELNS0_26block_radix_rank_algorithmE1ELNS0_18block_padding_hintE2ELNS0_4arch9wavefront6targetE1EE19radix_bits_per_passE
	.type	_ZN7rocprim17ROCPRIM_400000_NS16block_radix_sortItLj256ELj4ENS0_10empty_typeELj1ELj1ELj0ELNS0_26block_radix_rank_algorithmE1ELNS0_18block_padding_hintE2ELNS0_4arch9wavefront6targetE1EE19radix_bits_per_passE,@object
	.section	.rodata._ZN7rocprim17ROCPRIM_400000_NS16block_radix_sortItLj256ELj4ENS0_10empty_typeELj1ELj1ELj0ELNS0_26block_radix_rank_algorithmE1ELNS0_18block_padding_hintE2ELNS0_4arch9wavefront6targetE1EE19radix_bits_per_passE,"aG",@progbits,_ZN7rocprim17ROCPRIM_400000_NS16block_radix_sortItLj256ELj4ENS0_10empty_typeELj1ELj1ELj0ELNS0_26block_radix_rank_algorithmE1ELNS0_18block_padding_hintE2ELNS0_4arch9wavefront6targetE1EE19radix_bits_per_passE,comdat
	.weak	_ZN7rocprim17ROCPRIM_400000_NS16block_radix_sortItLj256ELj4ENS0_10empty_typeELj1ELj1ELj0ELNS0_26block_radix_rank_algorithmE1ELNS0_18block_padding_hintE2ELNS0_4arch9wavefront6targetE1EE19radix_bits_per_passE
	.p2align	2, 0x0
_ZN7rocprim17ROCPRIM_400000_NS16block_radix_sortItLj256ELj4ENS0_10empty_typeELj1ELj1ELj0ELNS0_26block_radix_rank_algorithmE1ELNS0_18block_padding_hintE2ELNS0_4arch9wavefront6targetE1EE19radix_bits_per_passE:
	.long	8                               ; 0x8
	.size	_ZN7rocprim17ROCPRIM_400000_NS16block_radix_sortItLj256ELj4ENS0_10empty_typeELj1ELj1ELj0ELNS0_26block_radix_rank_algorithmE1ELNS0_18block_padding_hintE2ELNS0_4arch9wavefront6targetE1EE19radix_bits_per_passE, 4

	.protected	_ZN7rocprim17ROCPRIM_400000_NS16block_radix_sortIxLj256ELj4ENS0_10empty_typeELj1ELj1ELj0ELNS0_26block_radix_rank_algorithmE1ELNS0_18block_padding_hintE2ELNS0_4arch9wavefront6targetE1EE19radix_bits_per_passE ; @_ZN7rocprim17ROCPRIM_400000_NS16block_radix_sortIxLj256ELj4ENS0_10empty_typeELj1ELj1ELj0ELNS0_26block_radix_rank_algorithmE1ELNS0_18block_padding_hintE2ELNS0_4arch9wavefront6targetE1EE19radix_bits_per_passE
	.type	_ZN7rocprim17ROCPRIM_400000_NS16block_radix_sortIxLj256ELj4ENS0_10empty_typeELj1ELj1ELj0ELNS0_26block_radix_rank_algorithmE1ELNS0_18block_padding_hintE2ELNS0_4arch9wavefront6targetE1EE19radix_bits_per_passE,@object
	.section	.rodata._ZN7rocprim17ROCPRIM_400000_NS16block_radix_sortIxLj256ELj4ENS0_10empty_typeELj1ELj1ELj0ELNS0_26block_radix_rank_algorithmE1ELNS0_18block_padding_hintE2ELNS0_4arch9wavefront6targetE1EE19radix_bits_per_passE,"aG",@progbits,_ZN7rocprim17ROCPRIM_400000_NS16block_radix_sortIxLj256ELj4ENS0_10empty_typeELj1ELj1ELj0ELNS0_26block_radix_rank_algorithmE1ELNS0_18block_padding_hintE2ELNS0_4arch9wavefront6targetE1EE19radix_bits_per_passE,comdat
	.weak	_ZN7rocprim17ROCPRIM_400000_NS16block_radix_sortIxLj256ELj4ENS0_10empty_typeELj1ELj1ELj0ELNS0_26block_radix_rank_algorithmE1ELNS0_18block_padding_hintE2ELNS0_4arch9wavefront6targetE1EE19radix_bits_per_passE
	.p2align	2, 0x0
_ZN7rocprim17ROCPRIM_400000_NS16block_radix_sortIxLj256ELj4ENS0_10empty_typeELj1ELj1ELj0ELNS0_26block_radix_rank_algorithmE1ELNS0_18block_padding_hintE2ELNS0_4arch9wavefront6targetE1EE19radix_bits_per_passE:
	.long	8                               ; 0x8
	.size	_ZN7rocprim17ROCPRIM_400000_NS16block_radix_sortIxLj256ELj4ENS0_10empty_typeELj1ELj1ELj0ELNS0_26block_radix_rank_algorithmE1ELNS0_18block_padding_hintE2ELNS0_4arch9wavefront6targetE1EE19radix_bits_per_passE, 4

	.protected	_ZN7rocprim17ROCPRIM_400000_NS16block_radix_sortIiLj256ELj4ENS0_10empty_typeELj1ELj1ELj0ELNS0_26block_radix_rank_algorithmE1ELNS0_18block_padding_hintE2ELNS0_4arch9wavefront6targetE1EE19radix_bits_per_passE ; @_ZN7rocprim17ROCPRIM_400000_NS16block_radix_sortIiLj256ELj4ENS0_10empty_typeELj1ELj1ELj0ELNS0_26block_radix_rank_algorithmE1ELNS0_18block_padding_hintE2ELNS0_4arch9wavefront6targetE1EE19radix_bits_per_passE
	.type	_ZN7rocprim17ROCPRIM_400000_NS16block_radix_sortIiLj256ELj4ENS0_10empty_typeELj1ELj1ELj0ELNS0_26block_radix_rank_algorithmE1ELNS0_18block_padding_hintE2ELNS0_4arch9wavefront6targetE1EE19radix_bits_per_passE,@object
	.section	.rodata._ZN7rocprim17ROCPRIM_400000_NS16block_radix_sortIiLj256ELj4ENS0_10empty_typeELj1ELj1ELj0ELNS0_26block_radix_rank_algorithmE1ELNS0_18block_padding_hintE2ELNS0_4arch9wavefront6targetE1EE19radix_bits_per_passE,"aG",@progbits,_ZN7rocprim17ROCPRIM_400000_NS16block_radix_sortIiLj256ELj4ENS0_10empty_typeELj1ELj1ELj0ELNS0_26block_radix_rank_algorithmE1ELNS0_18block_padding_hintE2ELNS0_4arch9wavefront6targetE1EE19radix_bits_per_passE,comdat
	.weak	_ZN7rocprim17ROCPRIM_400000_NS16block_radix_sortIiLj256ELj4ENS0_10empty_typeELj1ELj1ELj0ELNS0_26block_radix_rank_algorithmE1ELNS0_18block_padding_hintE2ELNS0_4arch9wavefront6targetE1EE19radix_bits_per_passE
	.p2align	2, 0x0
_ZN7rocprim17ROCPRIM_400000_NS16block_radix_sortIiLj256ELj4ENS0_10empty_typeELj1ELj1ELj0ELNS0_26block_radix_rank_algorithmE1ELNS0_18block_padding_hintE2ELNS0_4arch9wavefront6targetE1EE19radix_bits_per_passE:
	.long	8                               ; 0x8
	.size	_ZN7rocprim17ROCPRIM_400000_NS16block_radix_sortIiLj256ELj4ENS0_10empty_typeELj1ELj1ELj0ELNS0_26block_radix_rank_algorithmE1ELNS0_18block_padding_hintE2ELNS0_4arch9wavefront6targetE1EE19radix_bits_per_passE, 4

	.protected	_ZN7rocprim17ROCPRIM_400000_NS16block_radix_sortIsLj256ELj4ENS0_10empty_typeELj1ELj1ELj0ELNS0_26block_radix_rank_algorithmE1ELNS0_18block_padding_hintE2ELNS0_4arch9wavefront6targetE1EE19radix_bits_per_passE ; @_ZN7rocprim17ROCPRIM_400000_NS16block_radix_sortIsLj256ELj4ENS0_10empty_typeELj1ELj1ELj0ELNS0_26block_radix_rank_algorithmE1ELNS0_18block_padding_hintE2ELNS0_4arch9wavefront6targetE1EE19radix_bits_per_passE
	.type	_ZN7rocprim17ROCPRIM_400000_NS16block_radix_sortIsLj256ELj4ENS0_10empty_typeELj1ELj1ELj0ELNS0_26block_radix_rank_algorithmE1ELNS0_18block_padding_hintE2ELNS0_4arch9wavefront6targetE1EE19radix_bits_per_passE,@object
	.section	.rodata._ZN7rocprim17ROCPRIM_400000_NS16block_radix_sortIsLj256ELj4ENS0_10empty_typeELj1ELj1ELj0ELNS0_26block_radix_rank_algorithmE1ELNS0_18block_padding_hintE2ELNS0_4arch9wavefront6targetE1EE19radix_bits_per_passE,"aG",@progbits,_ZN7rocprim17ROCPRIM_400000_NS16block_radix_sortIsLj256ELj4ENS0_10empty_typeELj1ELj1ELj0ELNS0_26block_radix_rank_algorithmE1ELNS0_18block_padding_hintE2ELNS0_4arch9wavefront6targetE1EE19radix_bits_per_passE,comdat
	.weak	_ZN7rocprim17ROCPRIM_400000_NS16block_radix_sortIsLj256ELj4ENS0_10empty_typeELj1ELj1ELj0ELNS0_26block_radix_rank_algorithmE1ELNS0_18block_padding_hintE2ELNS0_4arch9wavefront6targetE1EE19radix_bits_per_passE
	.p2align	2, 0x0
_ZN7rocprim17ROCPRIM_400000_NS16block_radix_sortIsLj256ELj4ENS0_10empty_typeELj1ELj1ELj0ELNS0_26block_radix_rank_algorithmE1ELNS0_18block_padding_hintE2ELNS0_4arch9wavefront6targetE1EE19radix_bits_per_passE:
	.long	8                               ; 0x8
	.size	_ZN7rocprim17ROCPRIM_400000_NS16block_radix_sortIsLj256ELj4ENS0_10empty_typeELj1ELj1ELj0ELNS0_26block_radix_rank_algorithmE1ELNS0_18block_padding_hintE2ELNS0_4arch9wavefront6targetE1EE19radix_bits_per_passE, 4

	.type	__hip_cuid_2396c11aeec3aa00,@object ; @__hip_cuid_2396c11aeec3aa00
	.section	.bss,"aw",@nobits
	.globl	__hip_cuid_2396c11aeec3aa00
__hip_cuid_2396c11aeec3aa00:
	.byte	0                               ; 0x0
	.size	__hip_cuid_2396c11aeec3aa00, 1

	.ident	"AMD clang version 19.0.0git (https://github.com/RadeonOpenCompute/llvm-project roc-6.4.0 25133 c7fe45cf4b819c5991fe208aaa96edf142730f1d)"
	.section	".note.GNU-stack","",@progbits
	.addrsig
	.addrsig_sym __hip_cuid_2396c11aeec3aa00
	.amdgpu_metadata
---
amdhsa.kernels:
  - .agpr_count:     0
    .args:
      - .offset:         0
        .size:           4
        .value_kind:     by_value
      - .address_space:  global
        .offset:         8
        .size:           8
        .value_kind:     global_buffer
    .group_segment_fixed_size: 0
    .kernarg_segment_align: 8
    .kernarg_segment_size: 16
    .language:       OpenCL C
    .language_version:
      - 2
      - 0
    .max_flat_workgroup_size: 256
    .name:           _Z15PartitionKerneliPi
    .private_segment_fixed_size: 0
    .sgpr_count:     16
    .sgpr_spill_count: 0
    .symbol:         _Z15PartitionKerneliPi.kd
    .uniform_work_group_size: 1
    .uses_dynamic_stack: false
    .vgpr_count:     3
    .vgpr_spill_count: 0
    .wavefront_size: 64
  - .agpr_count:     0
    .args:
      - .offset:         0
        .size:           4
        .value_kind:     by_value
      - .address_space:  global
        .offset:         8
        .size:           8
        .value_kind:     global_buffer
      - .address_space:  global
        .offset:         16
        .size:           8
        .value_kind:     global_buffer
      - .address_space:  global
        .offset:         24
        .size:           8
        .value_kind:     global_buffer
      - .address_space:  global
        .offset:         32
        .size:           8
        .value_kind:     global_buffer
    .group_segment_fixed_size: 0
    .kernarg_segment_align: 8
    .kernarg_segment_size: 40
    .language:       OpenCL C
    .language_version:
      - 2
      - 0
    .max_flat_workgroup_size: 256
    .name:           _Z19PartitionCopyKerneliPiS_S_S_
    .private_segment_fixed_size: 0
    .sgpr_count:     28
    .sgpr_spill_count: 0
    .symbol:         _Z19PartitionCopyKerneliPiS_S_S_.kd
    .uniform_work_group_size: 1
    .uses_dynamic_stack: false
    .vgpr_count:     4
    .vgpr_spill_count: 0
    .wavefront_size: 64
  - .agpr_count:     0
    .args:
      - .offset:         0
        .size:           16
        .value_kind:     by_value
      - .offset:         16
        .size:           8
        .value_kind:     by_value
      - .offset:         24
        .size:           8
        .value_kind:     by_value
    .group_segment_fixed_size: 0
    .kernarg_segment_align: 8
    .kernarg_segment_size: 32
    .language:       OpenCL C
    .language_version:
      - 2
      - 0
    .max_flat_workgroup_size: 256
    .name:           _ZN6thrust23THRUST_200600_302600_NS11hip_rocprim14__parallel_for6kernelILj256ENS1_20__uninitialized_fill7functorINS0_10device_ptrIxEExEEmLj1EEEvT0_T1_SA_
    .private_segment_fixed_size: 0
    .sgpr_count:     20
    .sgpr_spill_count: 0
    .symbol:         _ZN6thrust23THRUST_200600_302600_NS11hip_rocprim14__parallel_for6kernelILj256ENS1_20__uninitialized_fill7functorINS0_10device_ptrIxEExEEmLj1EEEvT0_T1_SA_.kd
    .uniform_work_group_size: 1
    .uses_dynamic_stack: false
    .vgpr_count:     5
    .vgpr_spill_count: 0
    .wavefront_size: 64
  - .agpr_count:     0
    .args:
      - .offset:         0
        .size:           16
        .value_kind:     by_value
      - .offset:         16
        .size:           8
        .value_kind:     by_value
      - .offset:         24
        .size:           8
        .value_kind:     by_value
    .group_segment_fixed_size: 0
    .kernarg_segment_align: 8
    .kernarg_segment_size: 32
    .language:       OpenCL C
    .language_version:
      - 2
      - 0
    .max_flat_workgroup_size: 256
    .name:           _ZN6thrust23THRUST_200600_302600_NS11hip_rocprim14__parallel_for6kernelILj256ENS1_20__uninitialized_copy7functorINS0_6detail15normal_iteratorINS0_10device_ptrIxEEEENS7_INS0_7pointerIxNS1_3tagENS0_11use_defaultESD_EEEEEElLj1EEEvT0_T1_SI_
    .private_segment_fixed_size: 0
    .sgpr_count:     20
    .sgpr_spill_count: 0
    .symbol:         _ZN6thrust23THRUST_200600_302600_NS11hip_rocprim14__parallel_for6kernelILj256ENS1_20__uninitialized_copy7functorINS0_6detail15normal_iteratorINS0_10device_ptrIxEEEENS7_INS0_7pointerIxNS1_3tagENS0_11use_defaultESD_EEEEEElLj1EEEvT0_T1_SI_.kd
    .uniform_work_group_size: 1
    .uses_dynamic_stack: false
    .vgpr_count:     6
    .vgpr_spill_count: 0
    .wavefront_size: 64
  - .agpr_count:     0
    .args:
      - .address_space:  global
        .offset:         0
        .size:           8
        .value_kind:     global_buffer
      - .offset:         8
        .size:           4
        .value_kind:     by_value
      - .offset:         12
        .size:           1
        .value_kind:     by_value
      - .offset:         16
        .size:           4
        .value_kind:     by_value
      - .address_space:  global
        .offset:         24
        .size:           8
        .value_kind:     global_buffer
      - .offset:         32
        .size:           4
        .value_kind:     hidden_block_count_x
      - .offset:         36
        .size:           4
        .value_kind:     hidden_block_count_y
      - .offset:         40
        .size:           4
        .value_kind:     hidden_block_count_z
      - .offset:         44
        .size:           2
        .value_kind:     hidden_group_size_x
      - .offset:         46
        .size:           2
        .value_kind:     hidden_group_size_y
      - .offset:         48
        .size:           2
        .value_kind:     hidden_group_size_z
      - .offset:         50
        .size:           2
        .value_kind:     hidden_remainder_x
      - .offset:         52
        .size:           2
        .value_kind:     hidden_remainder_y
      - .offset:         54
        .size:           2
        .value_kind:     hidden_remainder_z
      - .offset:         72
        .size:           8
        .value_kind:     hidden_global_offset_x
      - .offset:         80
        .size:           8
        .value_kind:     hidden_global_offset_y
      - .offset:         88
        .size:           8
        .value_kind:     hidden_global_offset_z
      - .offset:         96
        .size:           2
        .value_kind:     hidden_grid_dims
    .group_segment_fixed_size: 0
    .kernarg_segment_align: 8
    .kernarg_segment_size: 288
    .language:       OpenCL C
    .language_version:
      - 2
      - 0
    .max_flat_workgroup_size: 256
    .name:           _ZN7rocprim17ROCPRIM_400000_NS6detail31init_lookback_scan_state_kernelINS1_19lookback_scan_stateIjLb0ELb1EEENS1_16block_id_wrapperIjLb0EEEEEvT_jT0_jPNS7_10value_typeE
    .private_segment_fixed_size: 0
    .sgpr_count:     13
    .sgpr_spill_count: 0
    .symbol:         _ZN7rocprim17ROCPRIM_400000_NS6detail31init_lookback_scan_state_kernelINS1_19lookback_scan_stateIjLb0ELb1EEENS1_16block_id_wrapperIjLb0EEEEEvT_jT0_jPNS7_10value_typeE.kd
    .uniform_work_group_size: 1
    .uses_dynamic_stack: false
    .vgpr_count:     6
    .vgpr_spill_count: 0
    .wavefront_size: 64
  - .agpr_count:     0
    .args:
      - .offset:         0
        .size:           120
        .value_kind:     by_value
    .group_segment_fixed_size: 0
    .kernarg_segment_align: 8
    .kernarg_segment_size: 120
    .language:       OpenCL C
    .language_version:
      - 2
      - 0
    .max_flat_workgroup_size: 192
    .name:           _ZN7rocprim17ROCPRIM_400000_NS6detail17trampoline_kernelINS0_14default_configENS1_25partition_config_selectorILNS1_17partition_subalgoE3ExNS0_10empty_typeEbEEZZNS1_14partition_implILS5_3ELb0ES3_jN6thrust23THRUST_200600_302600_NS6detail15normal_iteratorINSA_7pointerIxNSA_11hip_rocprim3tagENSA_11use_defaultESG_EEEEPS6_SJ_NS0_5tupleIJPxSJ_EEENSK_IJSJ_SJ_EEES6_PlJ7is_evenIxEEEE10hipError_tPvRmT3_T4_T5_T6_T7_T9_mT8_P12ihipStream_tbDpT10_ENKUlT_T0_E_clISt17integral_constantIbLb0EES1A_EEDaS15_S16_EUlS15_E_NS1_11comp_targetILNS1_3genE0ELNS1_11target_archE4294967295ELNS1_3gpuE0ELNS1_3repE0EEENS1_30default_config_static_selectorELNS0_4arch9wavefront6targetE1EEEvT1_
    .private_segment_fixed_size: 0
    .sgpr_count:     4
    .sgpr_spill_count: 0
    .symbol:         _ZN7rocprim17ROCPRIM_400000_NS6detail17trampoline_kernelINS0_14default_configENS1_25partition_config_selectorILNS1_17partition_subalgoE3ExNS0_10empty_typeEbEEZZNS1_14partition_implILS5_3ELb0ES3_jN6thrust23THRUST_200600_302600_NS6detail15normal_iteratorINSA_7pointerIxNSA_11hip_rocprim3tagENSA_11use_defaultESG_EEEEPS6_SJ_NS0_5tupleIJPxSJ_EEENSK_IJSJ_SJ_EEES6_PlJ7is_evenIxEEEE10hipError_tPvRmT3_T4_T5_T6_T7_T9_mT8_P12ihipStream_tbDpT10_ENKUlT_T0_E_clISt17integral_constantIbLb0EES1A_EEDaS15_S16_EUlS15_E_NS1_11comp_targetILNS1_3genE0ELNS1_11target_archE4294967295ELNS1_3gpuE0ELNS1_3repE0EEENS1_30default_config_static_selectorELNS0_4arch9wavefront6targetE1EEEvT1_.kd
    .uniform_work_group_size: 1
    .uses_dynamic_stack: false
    .vgpr_count:     0
    .vgpr_spill_count: 0
    .wavefront_size: 64
  - .agpr_count:     0
    .args:
      - .offset:         0
        .size:           120
        .value_kind:     by_value
    .group_segment_fixed_size: 0
    .kernarg_segment_align: 8
    .kernarg_segment_size: 120
    .language:       OpenCL C
    .language_version:
      - 2
      - 0
    .max_flat_workgroup_size: 512
    .name:           _ZN7rocprim17ROCPRIM_400000_NS6detail17trampoline_kernelINS0_14default_configENS1_25partition_config_selectorILNS1_17partition_subalgoE3ExNS0_10empty_typeEbEEZZNS1_14partition_implILS5_3ELb0ES3_jN6thrust23THRUST_200600_302600_NS6detail15normal_iteratorINSA_7pointerIxNSA_11hip_rocprim3tagENSA_11use_defaultESG_EEEEPS6_SJ_NS0_5tupleIJPxSJ_EEENSK_IJSJ_SJ_EEES6_PlJ7is_evenIxEEEE10hipError_tPvRmT3_T4_T5_T6_T7_T9_mT8_P12ihipStream_tbDpT10_ENKUlT_T0_E_clISt17integral_constantIbLb0EES1A_EEDaS15_S16_EUlS15_E_NS1_11comp_targetILNS1_3genE5ELNS1_11target_archE942ELNS1_3gpuE9ELNS1_3repE0EEENS1_30default_config_static_selectorELNS0_4arch9wavefront6targetE1EEEvT1_
    .private_segment_fixed_size: 0
    .sgpr_count:     4
    .sgpr_spill_count: 0
    .symbol:         _ZN7rocprim17ROCPRIM_400000_NS6detail17trampoline_kernelINS0_14default_configENS1_25partition_config_selectorILNS1_17partition_subalgoE3ExNS0_10empty_typeEbEEZZNS1_14partition_implILS5_3ELb0ES3_jN6thrust23THRUST_200600_302600_NS6detail15normal_iteratorINSA_7pointerIxNSA_11hip_rocprim3tagENSA_11use_defaultESG_EEEEPS6_SJ_NS0_5tupleIJPxSJ_EEENSK_IJSJ_SJ_EEES6_PlJ7is_evenIxEEEE10hipError_tPvRmT3_T4_T5_T6_T7_T9_mT8_P12ihipStream_tbDpT10_ENKUlT_T0_E_clISt17integral_constantIbLb0EES1A_EEDaS15_S16_EUlS15_E_NS1_11comp_targetILNS1_3genE5ELNS1_11target_archE942ELNS1_3gpuE9ELNS1_3repE0EEENS1_30default_config_static_selectorELNS0_4arch9wavefront6targetE1EEEvT1_.kd
    .uniform_work_group_size: 1
    .uses_dynamic_stack: false
    .vgpr_count:     0
    .vgpr_spill_count: 0
    .wavefront_size: 64
  - .agpr_count:     0
    .args:
      - .offset:         0
        .size:           120
        .value_kind:     by_value
    .group_segment_fixed_size: 6344
    .kernarg_segment_align: 8
    .kernarg_segment_size: 120
    .language:       OpenCL C
    .language_version:
      - 2
      - 0
    .max_flat_workgroup_size: 192
    .name:           _ZN7rocprim17ROCPRIM_400000_NS6detail17trampoline_kernelINS0_14default_configENS1_25partition_config_selectorILNS1_17partition_subalgoE3ExNS0_10empty_typeEbEEZZNS1_14partition_implILS5_3ELb0ES3_jN6thrust23THRUST_200600_302600_NS6detail15normal_iteratorINSA_7pointerIxNSA_11hip_rocprim3tagENSA_11use_defaultESG_EEEEPS6_SJ_NS0_5tupleIJPxSJ_EEENSK_IJSJ_SJ_EEES6_PlJ7is_evenIxEEEE10hipError_tPvRmT3_T4_T5_T6_T7_T9_mT8_P12ihipStream_tbDpT10_ENKUlT_T0_E_clISt17integral_constantIbLb0EES1A_EEDaS15_S16_EUlS15_E_NS1_11comp_targetILNS1_3genE4ELNS1_11target_archE910ELNS1_3gpuE8ELNS1_3repE0EEENS1_30default_config_static_selectorELNS0_4arch9wavefront6targetE1EEEvT1_
    .private_segment_fixed_size: 0
    .sgpr_count:     50
    .sgpr_spill_count: 0
    .symbol:         _ZN7rocprim17ROCPRIM_400000_NS6detail17trampoline_kernelINS0_14default_configENS1_25partition_config_selectorILNS1_17partition_subalgoE3ExNS0_10empty_typeEbEEZZNS1_14partition_implILS5_3ELb0ES3_jN6thrust23THRUST_200600_302600_NS6detail15normal_iteratorINSA_7pointerIxNSA_11hip_rocprim3tagENSA_11use_defaultESG_EEEEPS6_SJ_NS0_5tupleIJPxSJ_EEENSK_IJSJ_SJ_EEES6_PlJ7is_evenIxEEEE10hipError_tPvRmT3_T4_T5_T6_T7_T9_mT8_P12ihipStream_tbDpT10_ENKUlT_T0_E_clISt17integral_constantIbLb0EES1A_EEDaS15_S16_EUlS15_E_NS1_11comp_targetILNS1_3genE4ELNS1_11target_archE910ELNS1_3gpuE8ELNS1_3repE0EEENS1_30default_config_static_selectorELNS0_4arch9wavefront6targetE1EEEvT1_.kd
    .uniform_work_group_size: 1
    .uses_dynamic_stack: false
    .vgpr_count:     43
    .vgpr_spill_count: 0
    .wavefront_size: 64
  - .agpr_count:     0
    .args:
      - .offset:         0
        .size:           120
        .value_kind:     by_value
    .group_segment_fixed_size: 0
    .kernarg_segment_align: 8
    .kernarg_segment_size: 120
    .language:       OpenCL C
    .language_version:
      - 2
      - 0
    .max_flat_workgroup_size: 192
    .name:           _ZN7rocprim17ROCPRIM_400000_NS6detail17trampoline_kernelINS0_14default_configENS1_25partition_config_selectorILNS1_17partition_subalgoE3ExNS0_10empty_typeEbEEZZNS1_14partition_implILS5_3ELb0ES3_jN6thrust23THRUST_200600_302600_NS6detail15normal_iteratorINSA_7pointerIxNSA_11hip_rocprim3tagENSA_11use_defaultESG_EEEEPS6_SJ_NS0_5tupleIJPxSJ_EEENSK_IJSJ_SJ_EEES6_PlJ7is_evenIxEEEE10hipError_tPvRmT3_T4_T5_T6_T7_T9_mT8_P12ihipStream_tbDpT10_ENKUlT_T0_E_clISt17integral_constantIbLb0EES1A_EEDaS15_S16_EUlS15_E_NS1_11comp_targetILNS1_3genE3ELNS1_11target_archE908ELNS1_3gpuE7ELNS1_3repE0EEENS1_30default_config_static_selectorELNS0_4arch9wavefront6targetE1EEEvT1_
    .private_segment_fixed_size: 0
    .sgpr_count:     4
    .sgpr_spill_count: 0
    .symbol:         _ZN7rocprim17ROCPRIM_400000_NS6detail17trampoline_kernelINS0_14default_configENS1_25partition_config_selectorILNS1_17partition_subalgoE3ExNS0_10empty_typeEbEEZZNS1_14partition_implILS5_3ELb0ES3_jN6thrust23THRUST_200600_302600_NS6detail15normal_iteratorINSA_7pointerIxNSA_11hip_rocprim3tagENSA_11use_defaultESG_EEEEPS6_SJ_NS0_5tupleIJPxSJ_EEENSK_IJSJ_SJ_EEES6_PlJ7is_evenIxEEEE10hipError_tPvRmT3_T4_T5_T6_T7_T9_mT8_P12ihipStream_tbDpT10_ENKUlT_T0_E_clISt17integral_constantIbLb0EES1A_EEDaS15_S16_EUlS15_E_NS1_11comp_targetILNS1_3genE3ELNS1_11target_archE908ELNS1_3gpuE7ELNS1_3repE0EEENS1_30default_config_static_selectorELNS0_4arch9wavefront6targetE1EEEvT1_.kd
    .uniform_work_group_size: 1
    .uses_dynamic_stack: false
    .vgpr_count:     0
    .vgpr_spill_count: 0
    .wavefront_size: 64
  - .agpr_count:     0
    .args:
      - .offset:         0
        .size:           120
        .value_kind:     by_value
    .group_segment_fixed_size: 0
    .kernarg_segment_align: 8
    .kernarg_segment_size: 120
    .language:       OpenCL C
    .language_version:
      - 2
      - 0
    .max_flat_workgroup_size: 256
    .name:           _ZN7rocprim17ROCPRIM_400000_NS6detail17trampoline_kernelINS0_14default_configENS1_25partition_config_selectorILNS1_17partition_subalgoE3ExNS0_10empty_typeEbEEZZNS1_14partition_implILS5_3ELb0ES3_jN6thrust23THRUST_200600_302600_NS6detail15normal_iteratorINSA_7pointerIxNSA_11hip_rocprim3tagENSA_11use_defaultESG_EEEEPS6_SJ_NS0_5tupleIJPxSJ_EEENSK_IJSJ_SJ_EEES6_PlJ7is_evenIxEEEE10hipError_tPvRmT3_T4_T5_T6_T7_T9_mT8_P12ihipStream_tbDpT10_ENKUlT_T0_E_clISt17integral_constantIbLb0EES1A_EEDaS15_S16_EUlS15_E_NS1_11comp_targetILNS1_3genE2ELNS1_11target_archE906ELNS1_3gpuE6ELNS1_3repE0EEENS1_30default_config_static_selectorELNS0_4arch9wavefront6targetE1EEEvT1_
    .private_segment_fixed_size: 0
    .sgpr_count:     4
    .sgpr_spill_count: 0
    .symbol:         _ZN7rocprim17ROCPRIM_400000_NS6detail17trampoline_kernelINS0_14default_configENS1_25partition_config_selectorILNS1_17partition_subalgoE3ExNS0_10empty_typeEbEEZZNS1_14partition_implILS5_3ELb0ES3_jN6thrust23THRUST_200600_302600_NS6detail15normal_iteratorINSA_7pointerIxNSA_11hip_rocprim3tagENSA_11use_defaultESG_EEEEPS6_SJ_NS0_5tupleIJPxSJ_EEENSK_IJSJ_SJ_EEES6_PlJ7is_evenIxEEEE10hipError_tPvRmT3_T4_T5_T6_T7_T9_mT8_P12ihipStream_tbDpT10_ENKUlT_T0_E_clISt17integral_constantIbLb0EES1A_EEDaS15_S16_EUlS15_E_NS1_11comp_targetILNS1_3genE2ELNS1_11target_archE906ELNS1_3gpuE6ELNS1_3repE0EEENS1_30default_config_static_selectorELNS0_4arch9wavefront6targetE1EEEvT1_.kd
    .uniform_work_group_size: 1
    .uses_dynamic_stack: false
    .vgpr_count:     0
    .vgpr_spill_count: 0
    .wavefront_size: 64
  - .agpr_count:     0
    .args:
      - .offset:         0
        .size:           120
        .value_kind:     by_value
    .group_segment_fixed_size: 0
    .kernarg_segment_align: 8
    .kernarg_segment_size: 120
    .language:       OpenCL C
    .language_version:
      - 2
      - 0
    .max_flat_workgroup_size: 512
    .name:           _ZN7rocprim17ROCPRIM_400000_NS6detail17trampoline_kernelINS0_14default_configENS1_25partition_config_selectorILNS1_17partition_subalgoE3ExNS0_10empty_typeEbEEZZNS1_14partition_implILS5_3ELb0ES3_jN6thrust23THRUST_200600_302600_NS6detail15normal_iteratorINSA_7pointerIxNSA_11hip_rocprim3tagENSA_11use_defaultESG_EEEEPS6_SJ_NS0_5tupleIJPxSJ_EEENSK_IJSJ_SJ_EEES6_PlJ7is_evenIxEEEE10hipError_tPvRmT3_T4_T5_T6_T7_T9_mT8_P12ihipStream_tbDpT10_ENKUlT_T0_E_clISt17integral_constantIbLb0EES1A_EEDaS15_S16_EUlS15_E_NS1_11comp_targetILNS1_3genE10ELNS1_11target_archE1200ELNS1_3gpuE4ELNS1_3repE0EEENS1_30default_config_static_selectorELNS0_4arch9wavefront6targetE1EEEvT1_
    .private_segment_fixed_size: 0
    .sgpr_count:     4
    .sgpr_spill_count: 0
    .symbol:         _ZN7rocprim17ROCPRIM_400000_NS6detail17trampoline_kernelINS0_14default_configENS1_25partition_config_selectorILNS1_17partition_subalgoE3ExNS0_10empty_typeEbEEZZNS1_14partition_implILS5_3ELb0ES3_jN6thrust23THRUST_200600_302600_NS6detail15normal_iteratorINSA_7pointerIxNSA_11hip_rocprim3tagENSA_11use_defaultESG_EEEEPS6_SJ_NS0_5tupleIJPxSJ_EEENSK_IJSJ_SJ_EEES6_PlJ7is_evenIxEEEE10hipError_tPvRmT3_T4_T5_T6_T7_T9_mT8_P12ihipStream_tbDpT10_ENKUlT_T0_E_clISt17integral_constantIbLb0EES1A_EEDaS15_S16_EUlS15_E_NS1_11comp_targetILNS1_3genE10ELNS1_11target_archE1200ELNS1_3gpuE4ELNS1_3repE0EEENS1_30default_config_static_selectorELNS0_4arch9wavefront6targetE1EEEvT1_.kd
    .uniform_work_group_size: 1
    .uses_dynamic_stack: false
    .vgpr_count:     0
    .vgpr_spill_count: 0
    .wavefront_size: 64
  - .agpr_count:     0
    .args:
      - .offset:         0
        .size:           120
        .value_kind:     by_value
    .group_segment_fixed_size: 0
    .kernarg_segment_align: 8
    .kernarg_segment_size: 120
    .language:       OpenCL C
    .language_version:
      - 2
      - 0
    .max_flat_workgroup_size: 512
    .name:           _ZN7rocprim17ROCPRIM_400000_NS6detail17trampoline_kernelINS0_14default_configENS1_25partition_config_selectorILNS1_17partition_subalgoE3ExNS0_10empty_typeEbEEZZNS1_14partition_implILS5_3ELb0ES3_jN6thrust23THRUST_200600_302600_NS6detail15normal_iteratorINSA_7pointerIxNSA_11hip_rocprim3tagENSA_11use_defaultESG_EEEEPS6_SJ_NS0_5tupleIJPxSJ_EEENSK_IJSJ_SJ_EEES6_PlJ7is_evenIxEEEE10hipError_tPvRmT3_T4_T5_T6_T7_T9_mT8_P12ihipStream_tbDpT10_ENKUlT_T0_E_clISt17integral_constantIbLb0EES1A_EEDaS15_S16_EUlS15_E_NS1_11comp_targetILNS1_3genE9ELNS1_11target_archE1100ELNS1_3gpuE3ELNS1_3repE0EEENS1_30default_config_static_selectorELNS0_4arch9wavefront6targetE1EEEvT1_
    .private_segment_fixed_size: 0
    .sgpr_count:     4
    .sgpr_spill_count: 0
    .symbol:         _ZN7rocprim17ROCPRIM_400000_NS6detail17trampoline_kernelINS0_14default_configENS1_25partition_config_selectorILNS1_17partition_subalgoE3ExNS0_10empty_typeEbEEZZNS1_14partition_implILS5_3ELb0ES3_jN6thrust23THRUST_200600_302600_NS6detail15normal_iteratorINSA_7pointerIxNSA_11hip_rocprim3tagENSA_11use_defaultESG_EEEEPS6_SJ_NS0_5tupleIJPxSJ_EEENSK_IJSJ_SJ_EEES6_PlJ7is_evenIxEEEE10hipError_tPvRmT3_T4_T5_T6_T7_T9_mT8_P12ihipStream_tbDpT10_ENKUlT_T0_E_clISt17integral_constantIbLb0EES1A_EEDaS15_S16_EUlS15_E_NS1_11comp_targetILNS1_3genE9ELNS1_11target_archE1100ELNS1_3gpuE3ELNS1_3repE0EEENS1_30default_config_static_selectorELNS0_4arch9wavefront6targetE1EEEvT1_.kd
    .uniform_work_group_size: 1
    .uses_dynamic_stack: false
    .vgpr_count:     0
    .vgpr_spill_count: 0
    .wavefront_size: 64
  - .agpr_count:     0
    .args:
      - .offset:         0
        .size:           120
        .value_kind:     by_value
    .group_segment_fixed_size: 0
    .kernarg_segment_align: 8
    .kernarg_segment_size: 120
    .language:       OpenCL C
    .language_version:
      - 2
      - 0
    .max_flat_workgroup_size: 512
    .name:           _ZN7rocprim17ROCPRIM_400000_NS6detail17trampoline_kernelINS0_14default_configENS1_25partition_config_selectorILNS1_17partition_subalgoE3ExNS0_10empty_typeEbEEZZNS1_14partition_implILS5_3ELb0ES3_jN6thrust23THRUST_200600_302600_NS6detail15normal_iteratorINSA_7pointerIxNSA_11hip_rocprim3tagENSA_11use_defaultESG_EEEEPS6_SJ_NS0_5tupleIJPxSJ_EEENSK_IJSJ_SJ_EEES6_PlJ7is_evenIxEEEE10hipError_tPvRmT3_T4_T5_T6_T7_T9_mT8_P12ihipStream_tbDpT10_ENKUlT_T0_E_clISt17integral_constantIbLb0EES1A_EEDaS15_S16_EUlS15_E_NS1_11comp_targetILNS1_3genE8ELNS1_11target_archE1030ELNS1_3gpuE2ELNS1_3repE0EEENS1_30default_config_static_selectorELNS0_4arch9wavefront6targetE1EEEvT1_
    .private_segment_fixed_size: 0
    .sgpr_count:     4
    .sgpr_spill_count: 0
    .symbol:         _ZN7rocprim17ROCPRIM_400000_NS6detail17trampoline_kernelINS0_14default_configENS1_25partition_config_selectorILNS1_17partition_subalgoE3ExNS0_10empty_typeEbEEZZNS1_14partition_implILS5_3ELb0ES3_jN6thrust23THRUST_200600_302600_NS6detail15normal_iteratorINSA_7pointerIxNSA_11hip_rocprim3tagENSA_11use_defaultESG_EEEEPS6_SJ_NS0_5tupleIJPxSJ_EEENSK_IJSJ_SJ_EEES6_PlJ7is_evenIxEEEE10hipError_tPvRmT3_T4_T5_T6_T7_T9_mT8_P12ihipStream_tbDpT10_ENKUlT_T0_E_clISt17integral_constantIbLb0EES1A_EEDaS15_S16_EUlS15_E_NS1_11comp_targetILNS1_3genE8ELNS1_11target_archE1030ELNS1_3gpuE2ELNS1_3repE0EEENS1_30default_config_static_selectorELNS0_4arch9wavefront6targetE1EEEvT1_.kd
    .uniform_work_group_size: 1
    .uses_dynamic_stack: false
    .vgpr_count:     0
    .vgpr_spill_count: 0
    .wavefront_size: 64
  - .agpr_count:     0
    .args:
      - .offset:         0
        .size:           40
        .value_kind:     by_value
    .group_segment_fixed_size: 0
    .kernarg_segment_align: 8
    .kernarg_segment_size: 40
    .language:       OpenCL C
    .language_version:
      - 2
      - 0
    .max_flat_workgroup_size: 128
    .name:           _ZN7rocprim17ROCPRIM_400000_NS6detail17trampoline_kernelINS0_14default_configENS1_25transform_config_selectorImLb1EEEZNS1_14transform_implILb1ES3_S5_PmPlNS0_8identityIvEEEE10hipError_tT2_T3_mT4_P12ihipStream_tbEUlT_E_NS1_11comp_targetILNS1_3genE0ELNS1_11target_archE4294967295ELNS1_3gpuE0ELNS1_3repE0EEENS1_30default_config_static_selectorELNS0_4arch9wavefront6targetE1EEEvT1_
    .private_segment_fixed_size: 0
    .sgpr_count:     4
    .sgpr_spill_count: 0
    .symbol:         _ZN7rocprim17ROCPRIM_400000_NS6detail17trampoline_kernelINS0_14default_configENS1_25transform_config_selectorImLb1EEEZNS1_14transform_implILb1ES3_S5_PmPlNS0_8identityIvEEEE10hipError_tT2_T3_mT4_P12ihipStream_tbEUlT_E_NS1_11comp_targetILNS1_3genE0ELNS1_11target_archE4294967295ELNS1_3gpuE0ELNS1_3repE0EEENS1_30default_config_static_selectorELNS0_4arch9wavefront6targetE1EEEvT1_.kd
    .uniform_work_group_size: 1
    .uses_dynamic_stack: false
    .vgpr_count:     0
    .vgpr_spill_count: 0
    .wavefront_size: 64
  - .agpr_count:     0
    .args:
      - .offset:         0
        .size:           40
        .value_kind:     by_value
    .group_segment_fixed_size: 0
    .kernarg_segment_align: 8
    .kernarg_segment_size: 40
    .language:       OpenCL C
    .language_version:
      - 2
      - 0
    .max_flat_workgroup_size: 1024
    .name:           _ZN7rocprim17ROCPRIM_400000_NS6detail17trampoline_kernelINS0_14default_configENS1_25transform_config_selectorImLb1EEEZNS1_14transform_implILb1ES3_S5_PmPlNS0_8identityIvEEEE10hipError_tT2_T3_mT4_P12ihipStream_tbEUlT_E_NS1_11comp_targetILNS1_3genE10ELNS1_11target_archE1201ELNS1_3gpuE5ELNS1_3repE0EEENS1_30default_config_static_selectorELNS0_4arch9wavefront6targetE1EEEvT1_
    .private_segment_fixed_size: 0
    .sgpr_count:     4
    .sgpr_spill_count: 0
    .symbol:         _ZN7rocprim17ROCPRIM_400000_NS6detail17trampoline_kernelINS0_14default_configENS1_25transform_config_selectorImLb1EEEZNS1_14transform_implILb1ES3_S5_PmPlNS0_8identityIvEEEE10hipError_tT2_T3_mT4_P12ihipStream_tbEUlT_E_NS1_11comp_targetILNS1_3genE10ELNS1_11target_archE1201ELNS1_3gpuE5ELNS1_3repE0EEENS1_30default_config_static_selectorELNS0_4arch9wavefront6targetE1EEEvT1_.kd
    .uniform_work_group_size: 1
    .uses_dynamic_stack: false
    .vgpr_count:     0
    .vgpr_spill_count: 0
    .wavefront_size: 64
  - .agpr_count:     0
    .args:
      - .offset:         0
        .size:           40
        .value_kind:     by_value
    .group_segment_fixed_size: 0
    .kernarg_segment_align: 8
    .kernarg_segment_size: 40
    .language:       OpenCL C
    .language_version:
      - 2
      - 0
    .max_flat_workgroup_size: 512
    .name:           _ZN7rocprim17ROCPRIM_400000_NS6detail17trampoline_kernelINS0_14default_configENS1_25transform_config_selectorImLb1EEEZNS1_14transform_implILb1ES3_S5_PmPlNS0_8identityIvEEEE10hipError_tT2_T3_mT4_P12ihipStream_tbEUlT_E_NS1_11comp_targetILNS1_3genE5ELNS1_11target_archE942ELNS1_3gpuE9ELNS1_3repE0EEENS1_30default_config_static_selectorELNS0_4arch9wavefront6targetE1EEEvT1_
    .private_segment_fixed_size: 0
    .sgpr_count:     4
    .sgpr_spill_count: 0
    .symbol:         _ZN7rocprim17ROCPRIM_400000_NS6detail17trampoline_kernelINS0_14default_configENS1_25transform_config_selectorImLb1EEEZNS1_14transform_implILb1ES3_S5_PmPlNS0_8identityIvEEEE10hipError_tT2_T3_mT4_P12ihipStream_tbEUlT_E_NS1_11comp_targetILNS1_3genE5ELNS1_11target_archE942ELNS1_3gpuE9ELNS1_3repE0EEENS1_30default_config_static_selectorELNS0_4arch9wavefront6targetE1EEEvT1_.kd
    .uniform_work_group_size: 1
    .uses_dynamic_stack: false
    .vgpr_count:     0
    .vgpr_spill_count: 0
    .wavefront_size: 64
  - .agpr_count:     0
    .args:
      - .offset:         0
        .size:           40
        .value_kind:     by_value
      - .offset:         40
        .size:           4
        .value_kind:     hidden_block_count_x
      - .offset:         44
        .size:           4
        .value_kind:     hidden_block_count_y
      - .offset:         48
        .size:           4
        .value_kind:     hidden_block_count_z
      - .offset:         52
        .size:           2
        .value_kind:     hidden_group_size_x
      - .offset:         54
        .size:           2
        .value_kind:     hidden_group_size_y
      - .offset:         56
        .size:           2
        .value_kind:     hidden_group_size_z
      - .offset:         58
        .size:           2
        .value_kind:     hidden_remainder_x
      - .offset:         60
        .size:           2
        .value_kind:     hidden_remainder_y
      - .offset:         62
        .size:           2
        .value_kind:     hidden_remainder_z
      - .offset:         80
        .size:           8
        .value_kind:     hidden_global_offset_x
      - .offset:         88
        .size:           8
        .value_kind:     hidden_global_offset_y
      - .offset:         96
        .size:           8
        .value_kind:     hidden_global_offset_z
      - .offset:         104
        .size:           2
        .value_kind:     hidden_grid_dims
    .group_segment_fixed_size: 0
    .kernarg_segment_align: 8
    .kernarg_segment_size: 296
    .language:       OpenCL C
    .language_version:
      - 2
      - 0
    .max_flat_workgroup_size: 1024
    .name:           _ZN7rocprim17ROCPRIM_400000_NS6detail17trampoline_kernelINS0_14default_configENS1_25transform_config_selectorImLb1EEEZNS1_14transform_implILb1ES3_S5_PmPlNS0_8identityIvEEEE10hipError_tT2_T3_mT4_P12ihipStream_tbEUlT_E_NS1_11comp_targetILNS1_3genE4ELNS1_11target_archE910ELNS1_3gpuE8ELNS1_3repE0EEENS1_30default_config_static_selectorELNS0_4arch9wavefront6targetE1EEEvT1_
    .private_segment_fixed_size: 0
    .sgpr_count:     20
    .sgpr_spill_count: 0
    .symbol:         _ZN7rocprim17ROCPRIM_400000_NS6detail17trampoline_kernelINS0_14default_configENS1_25transform_config_selectorImLb1EEEZNS1_14transform_implILb1ES3_S5_PmPlNS0_8identityIvEEEE10hipError_tT2_T3_mT4_P12ihipStream_tbEUlT_E_NS1_11comp_targetILNS1_3genE4ELNS1_11target_archE910ELNS1_3gpuE8ELNS1_3repE0EEENS1_30default_config_static_selectorELNS0_4arch9wavefront6targetE1EEEvT1_.kd
    .uniform_work_group_size: 1
    .uses_dynamic_stack: false
    .vgpr_count:     7
    .vgpr_spill_count: 0
    .wavefront_size: 64
  - .agpr_count:     0
    .args:
      - .offset:         0
        .size:           40
        .value_kind:     by_value
    .group_segment_fixed_size: 0
    .kernarg_segment_align: 8
    .kernarg_segment_size: 40
    .language:       OpenCL C
    .language_version:
      - 2
      - 0
    .max_flat_workgroup_size: 128
    .name:           _ZN7rocprim17ROCPRIM_400000_NS6detail17trampoline_kernelINS0_14default_configENS1_25transform_config_selectorImLb1EEEZNS1_14transform_implILb1ES3_S5_PmPlNS0_8identityIvEEEE10hipError_tT2_T3_mT4_P12ihipStream_tbEUlT_E_NS1_11comp_targetILNS1_3genE3ELNS1_11target_archE908ELNS1_3gpuE7ELNS1_3repE0EEENS1_30default_config_static_selectorELNS0_4arch9wavefront6targetE1EEEvT1_
    .private_segment_fixed_size: 0
    .sgpr_count:     4
    .sgpr_spill_count: 0
    .symbol:         _ZN7rocprim17ROCPRIM_400000_NS6detail17trampoline_kernelINS0_14default_configENS1_25transform_config_selectorImLb1EEEZNS1_14transform_implILb1ES3_S5_PmPlNS0_8identityIvEEEE10hipError_tT2_T3_mT4_P12ihipStream_tbEUlT_E_NS1_11comp_targetILNS1_3genE3ELNS1_11target_archE908ELNS1_3gpuE7ELNS1_3repE0EEENS1_30default_config_static_selectorELNS0_4arch9wavefront6targetE1EEEvT1_.kd
    .uniform_work_group_size: 1
    .uses_dynamic_stack: false
    .vgpr_count:     0
    .vgpr_spill_count: 0
    .wavefront_size: 64
  - .agpr_count:     0
    .args:
      - .offset:         0
        .size:           40
        .value_kind:     by_value
    .group_segment_fixed_size: 0
    .kernarg_segment_align: 8
    .kernarg_segment_size: 40
    .language:       OpenCL C
    .language_version:
      - 2
      - 0
    .max_flat_workgroup_size: 512
    .name:           _ZN7rocprim17ROCPRIM_400000_NS6detail17trampoline_kernelINS0_14default_configENS1_25transform_config_selectorImLb1EEEZNS1_14transform_implILb1ES3_S5_PmPlNS0_8identityIvEEEE10hipError_tT2_T3_mT4_P12ihipStream_tbEUlT_E_NS1_11comp_targetILNS1_3genE2ELNS1_11target_archE906ELNS1_3gpuE6ELNS1_3repE0EEENS1_30default_config_static_selectorELNS0_4arch9wavefront6targetE1EEEvT1_
    .private_segment_fixed_size: 0
    .sgpr_count:     4
    .sgpr_spill_count: 0
    .symbol:         _ZN7rocprim17ROCPRIM_400000_NS6detail17trampoline_kernelINS0_14default_configENS1_25transform_config_selectorImLb1EEEZNS1_14transform_implILb1ES3_S5_PmPlNS0_8identityIvEEEE10hipError_tT2_T3_mT4_P12ihipStream_tbEUlT_E_NS1_11comp_targetILNS1_3genE2ELNS1_11target_archE906ELNS1_3gpuE6ELNS1_3repE0EEENS1_30default_config_static_selectorELNS0_4arch9wavefront6targetE1EEEvT1_.kd
    .uniform_work_group_size: 1
    .uses_dynamic_stack: false
    .vgpr_count:     0
    .vgpr_spill_count: 0
    .wavefront_size: 64
  - .agpr_count:     0
    .args:
      - .offset:         0
        .size:           40
        .value_kind:     by_value
    .group_segment_fixed_size: 0
    .kernarg_segment_align: 8
    .kernarg_segment_size: 40
    .language:       OpenCL C
    .language_version:
      - 2
      - 0
    .max_flat_workgroup_size: 1024
    .name:           _ZN7rocprim17ROCPRIM_400000_NS6detail17trampoline_kernelINS0_14default_configENS1_25transform_config_selectorImLb1EEEZNS1_14transform_implILb1ES3_S5_PmPlNS0_8identityIvEEEE10hipError_tT2_T3_mT4_P12ihipStream_tbEUlT_E_NS1_11comp_targetILNS1_3genE9ELNS1_11target_archE1100ELNS1_3gpuE3ELNS1_3repE0EEENS1_30default_config_static_selectorELNS0_4arch9wavefront6targetE1EEEvT1_
    .private_segment_fixed_size: 0
    .sgpr_count:     4
    .sgpr_spill_count: 0
    .symbol:         _ZN7rocprim17ROCPRIM_400000_NS6detail17trampoline_kernelINS0_14default_configENS1_25transform_config_selectorImLb1EEEZNS1_14transform_implILb1ES3_S5_PmPlNS0_8identityIvEEEE10hipError_tT2_T3_mT4_P12ihipStream_tbEUlT_E_NS1_11comp_targetILNS1_3genE9ELNS1_11target_archE1100ELNS1_3gpuE3ELNS1_3repE0EEENS1_30default_config_static_selectorELNS0_4arch9wavefront6targetE1EEEvT1_.kd
    .uniform_work_group_size: 1
    .uses_dynamic_stack: false
    .vgpr_count:     0
    .vgpr_spill_count: 0
    .wavefront_size: 64
  - .agpr_count:     0
    .args:
      - .offset:         0
        .size:           40
        .value_kind:     by_value
    .group_segment_fixed_size: 0
    .kernarg_segment_align: 8
    .kernarg_segment_size: 40
    .language:       OpenCL C
    .language_version:
      - 2
      - 0
    .max_flat_workgroup_size: 1024
    .name:           _ZN7rocprim17ROCPRIM_400000_NS6detail17trampoline_kernelINS0_14default_configENS1_25transform_config_selectorImLb1EEEZNS1_14transform_implILb1ES3_S5_PmPlNS0_8identityIvEEEE10hipError_tT2_T3_mT4_P12ihipStream_tbEUlT_E_NS1_11comp_targetILNS1_3genE8ELNS1_11target_archE1030ELNS1_3gpuE2ELNS1_3repE0EEENS1_30default_config_static_selectorELNS0_4arch9wavefront6targetE1EEEvT1_
    .private_segment_fixed_size: 0
    .sgpr_count:     4
    .sgpr_spill_count: 0
    .symbol:         _ZN7rocprim17ROCPRIM_400000_NS6detail17trampoline_kernelINS0_14default_configENS1_25transform_config_selectorImLb1EEEZNS1_14transform_implILb1ES3_S5_PmPlNS0_8identityIvEEEE10hipError_tT2_T3_mT4_P12ihipStream_tbEUlT_E_NS1_11comp_targetILNS1_3genE8ELNS1_11target_archE1030ELNS1_3gpuE2ELNS1_3repE0EEENS1_30default_config_static_selectorELNS0_4arch9wavefront6targetE1EEEvT1_.kd
    .uniform_work_group_size: 1
    .uses_dynamic_stack: false
    .vgpr_count:     0
    .vgpr_spill_count: 0
    .wavefront_size: 64
  - .agpr_count:     0
    .args:
      - .address_space:  global
        .offset:         0
        .size:           8
        .value_kind:     global_buffer
      - .offset:         8
        .size:           4
        .value_kind:     by_value
      - .address_space:  global
        .offset:         16
        .size:           8
        .value_kind:     global_buffer
      - .offset:         24
        .size:           4
        .value_kind:     by_value
      - .address_space:  global
        .offset:         32
        .size:           8
        .value_kind:     global_buffer
      - .offset:         40
        .size:           4
        .value_kind:     hidden_block_count_x
      - .offset:         44
        .size:           4
        .value_kind:     hidden_block_count_y
      - .offset:         48
        .size:           4
        .value_kind:     hidden_block_count_z
      - .offset:         52
        .size:           2
        .value_kind:     hidden_group_size_x
      - .offset:         54
        .size:           2
        .value_kind:     hidden_group_size_y
      - .offset:         56
        .size:           2
        .value_kind:     hidden_group_size_z
      - .offset:         58
        .size:           2
        .value_kind:     hidden_remainder_x
      - .offset:         60
        .size:           2
        .value_kind:     hidden_remainder_y
      - .offset:         62
        .size:           2
        .value_kind:     hidden_remainder_z
      - .offset:         80
        .size:           8
        .value_kind:     hidden_global_offset_x
      - .offset:         88
        .size:           8
        .value_kind:     hidden_global_offset_y
      - .offset:         96
        .size:           8
        .value_kind:     hidden_global_offset_z
      - .offset:         104
        .size:           2
        .value_kind:     hidden_grid_dims
    .group_segment_fixed_size: 0
    .kernarg_segment_align: 8
    .kernarg_segment_size: 296
    .language:       OpenCL C
    .language_version:
      - 2
      - 0
    .max_flat_workgroup_size: 256
    .name:           _ZN7rocprim17ROCPRIM_400000_NS6detail31init_lookback_scan_state_kernelINS1_19lookback_scan_stateIjLb1ELb1EEENS1_16block_id_wrapperIjLb1EEEEEvT_jT0_jPNS7_10value_typeE
    .private_segment_fixed_size: 0
    .sgpr_count:     18
    .sgpr_spill_count: 0
    .symbol:         _ZN7rocprim17ROCPRIM_400000_NS6detail31init_lookback_scan_state_kernelINS1_19lookback_scan_stateIjLb1ELb1EEENS1_16block_id_wrapperIjLb1EEEEEvT_jT0_jPNS7_10value_typeE.kd
    .uniform_work_group_size: 1
    .uses_dynamic_stack: false
    .vgpr_count:     6
    .vgpr_spill_count: 0
    .wavefront_size: 64
  - .agpr_count:     0
    .args:
      - .offset:         0
        .size:           136
        .value_kind:     by_value
    .group_segment_fixed_size: 0
    .kernarg_segment_align: 8
    .kernarg_segment_size: 136
    .language:       OpenCL C
    .language_version:
      - 2
      - 0
    .max_flat_workgroup_size: 192
    .name:           _ZN7rocprim17ROCPRIM_400000_NS6detail17trampoline_kernelINS0_14default_configENS1_25partition_config_selectorILNS1_17partition_subalgoE3ExNS0_10empty_typeEbEEZZNS1_14partition_implILS5_3ELb0ES3_jN6thrust23THRUST_200600_302600_NS6detail15normal_iteratorINSA_7pointerIxNSA_11hip_rocprim3tagENSA_11use_defaultESG_EEEEPS6_SJ_NS0_5tupleIJPxSJ_EEENSK_IJSJ_SJ_EEES6_PlJ7is_evenIxEEEE10hipError_tPvRmT3_T4_T5_T6_T7_T9_mT8_P12ihipStream_tbDpT10_ENKUlT_T0_E_clISt17integral_constantIbLb1EES1A_EEDaS15_S16_EUlS15_E_NS1_11comp_targetILNS1_3genE0ELNS1_11target_archE4294967295ELNS1_3gpuE0ELNS1_3repE0EEENS1_30default_config_static_selectorELNS0_4arch9wavefront6targetE1EEEvT1_
    .private_segment_fixed_size: 0
    .sgpr_count:     4
    .sgpr_spill_count: 0
    .symbol:         _ZN7rocprim17ROCPRIM_400000_NS6detail17trampoline_kernelINS0_14default_configENS1_25partition_config_selectorILNS1_17partition_subalgoE3ExNS0_10empty_typeEbEEZZNS1_14partition_implILS5_3ELb0ES3_jN6thrust23THRUST_200600_302600_NS6detail15normal_iteratorINSA_7pointerIxNSA_11hip_rocprim3tagENSA_11use_defaultESG_EEEEPS6_SJ_NS0_5tupleIJPxSJ_EEENSK_IJSJ_SJ_EEES6_PlJ7is_evenIxEEEE10hipError_tPvRmT3_T4_T5_T6_T7_T9_mT8_P12ihipStream_tbDpT10_ENKUlT_T0_E_clISt17integral_constantIbLb1EES1A_EEDaS15_S16_EUlS15_E_NS1_11comp_targetILNS1_3genE0ELNS1_11target_archE4294967295ELNS1_3gpuE0ELNS1_3repE0EEENS1_30default_config_static_selectorELNS0_4arch9wavefront6targetE1EEEvT1_.kd
    .uniform_work_group_size: 1
    .uses_dynamic_stack: false
    .vgpr_count:     0
    .vgpr_spill_count: 0
    .wavefront_size: 64
  - .agpr_count:     0
    .args:
      - .offset:         0
        .size:           136
        .value_kind:     by_value
    .group_segment_fixed_size: 0
    .kernarg_segment_align: 8
    .kernarg_segment_size: 136
    .language:       OpenCL C
    .language_version:
      - 2
      - 0
    .max_flat_workgroup_size: 512
    .name:           _ZN7rocprim17ROCPRIM_400000_NS6detail17trampoline_kernelINS0_14default_configENS1_25partition_config_selectorILNS1_17partition_subalgoE3ExNS0_10empty_typeEbEEZZNS1_14partition_implILS5_3ELb0ES3_jN6thrust23THRUST_200600_302600_NS6detail15normal_iteratorINSA_7pointerIxNSA_11hip_rocprim3tagENSA_11use_defaultESG_EEEEPS6_SJ_NS0_5tupleIJPxSJ_EEENSK_IJSJ_SJ_EEES6_PlJ7is_evenIxEEEE10hipError_tPvRmT3_T4_T5_T6_T7_T9_mT8_P12ihipStream_tbDpT10_ENKUlT_T0_E_clISt17integral_constantIbLb1EES1A_EEDaS15_S16_EUlS15_E_NS1_11comp_targetILNS1_3genE5ELNS1_11target_archE942ELNS1_3gpuE9ELNS1_3repE0EEENS1_30default_config_static_selectorELNS0_4arch9wavefront6targetE1EEEvT1_
    .private_segment_fixed_size: 0
    .sgpr_count:     4
    .sgpr_spill_count: 0
    .symbol:         _ZN7rocprim17ROCPRIM_400000_NS6detail17trampoline_kernelINS0_14default_configENS1_25partition_config_selectorILNS1_17partition_subalgoE3ExNS0_10empty_typeEbEEZZNS1_14partition_implILS5_3ELb0ES3_jN6thrust23THRUST_200600_302600_NS6detail15normal_iteratorINSA_7pointerIxNSA_11hip_rocprim3tagENSA_11use_defaultESG_EEEEPS6_SJ_NS0_5tupleIJPxSJ_EEENSK_IJSJ_SJ_EEES6_PlJ7is_evenIxEEEE10hipError_tPvRmT3_T4_T5_T6_T7_T9_mT8_P12ihipStream_tbDpT10_ENKUlT_T0_E_clISt17integral_constantIbLb1EES1A_EEDaS15_S16_EUlS15_E_NS1_11comp_targetILNS1_3genE5ELNS1_11target_archE942ELNS1_3gpuE9ELNS1_3repE0EEENS1_30default_config_static_selectorELNS0_4arch9wavefront6targetE1EEEvT1_.kd
    .uniform_work_group_size: 1
    .uses_dynamic_stack: false
    .vgpr_count:     0
    .vgpr_spill_count: 0
    .wavefront_size: 64
  - .agpr_count:     0
    .args:
      - .offset:         0
        .size:           136
        .value_kind:     by_value
    .group_segment_fixed_size: 6344
    .kernarg_segment_align: 8
    .kernarg_segment_size: 136
    .language:       OpenCL C
    .language_version:
      - 2
      - 0
    .max_flat_workgroup_size: 192
    .name:           _ZN7rocprim17ROCPRIM_400000_NS6detail17trampoline_kernelINS0_14default_configENS1_25partition_config_selectorILNS1_17partition_subalgoE3ExNS0_10empty_typeEbEEZZNS1_14partition_implILS5_3ELb0ES3_jN6thrust23THRUST_200600_302600_NS6detail15normal_iteratorINSA_7pointerIxNSA_11hip_rocprim3tagENSA_11use_defaultESG_EEEEPS6_SJ_NS0_5tupleIJPxSJ_EEENSK_IJSJ_SJ_EEES6_PlJ7is_evenIxEEEE10hipError_tPvRmT3_T4_T5_T6_T7_T9_mT8_P12ihipStream_tbDpT10_ENKUlT_T0_E_clISt17integral_constantIbLb1EES1A_EEDaS15_S16_EUlS15_E_NS1_11comp_targetILNS1_3genE4ELNS1_11target_archE910ELNS1_3gpuE8ELNS1_3repE0EEENS1_30default_config_static_selectorELNS0_4arch9wavefront6targetE1EEEvT1_
    .private_segment_fixed_size: 0
    .sgpr_count:     48
    .sgpr_spill_count: 0
    .symbol:         _ZN7rocprim17ROCPRIM_400000_NS6detail17trampoline_kernelINS0_14default_configENS1_25partition_config_selectorILNS1_17partition_subalgoE3ExNS0_10empty_typeEbEEZZNS1_14partition_implILS5_3ELb0ES3_jN6thrust23THRUST_200600_302600_NS6detail15normal_iteratorINSA_7pointerIxNSA_11hip_rocprim3tagENSA_11use_defaultESG_EEEEPS6_SJ_NS0_5tupleIJPxSJ_EEENSK_IJSJ_SJ_EEES6_PlJ7is_evenIxEEEE10hipError_tPvRmT3_T4_T5_T6_T7_T9_mT8_P12ihipStream_tbDpT10_ENKUlT_T0_E_clISt17integral_constantIbLb1EES1A_EEDaS15_S16_EUlS15_E_NS1_11comp_targetILNS1_3genE4ELNS1_11target_archE910ELNS1_3gpuE8ELNS1_3repE0EEENS1_30default_config_static_selectorELNS0_4arch9wavefront6targetE1EEEvT1_.kd
    .uniform_work_group_size: 1
    .uses_dynamic_stack: false
    .vgpr_count:     46
    .vgpr_spill_count: 0
    .wavefront_size: 64
  - .agpr_count:     0
    .args:
      - .offset:         0
        .size:           136
        .value_kind:     by_value
    .group_segment_fixed_size: 0
    .kernarg_segment_align: 8
    .kernarg_segment_size: 136
    .language:       OpenCL C
    .language_version:
      - 2
      - 0
    .max_flat_workgroup_size: 192
    .name:           _ZN7rocprim17ROCPRIM_400000_NS6detail17trampoline_kernelINS0_14default_configENS1_25partition_config_selectorILNS1_17partition_subalgoE3ExNS0_10empty_typeEbEEZZNS1_14partition_implILS5_3ELb0ES3_jN6thrust23THRUST_200600_302600_NS6detail15normal_iteratorINSA_7pointerIxNSA_11hip_rocprim3tagENSA_11use_defaultESG_EEEEPS6_SJ_NS0_5tupleIJPxSJ_EEENSK_IJSJ_SJ_EEES6_PlJ7is_evenIxEEEE10hipError_tPvRmT3_T4_T5_T6_T7_T9_mT8_P12ihipStream_tbDpT10_ENKUlT_T0_E_clISt17integral_constantIbLb1EES1A_EEDaS15_S16_EUlS15_E_NS1_11comp_targetILNS1_3genE3ELNS1_11target_archE908ELNS1_3gpuE7ELNS1_3repE0EEENS1_30default_config_static_selectorELNS0_4arch9wavefront6targetE1EEEvT1_
    .private_segment_fixed_size: 0
    .sgpr_count:     4
    .sgpr_spill_count: 0
    .symbol:         _ZN7rocprim17ROCPRIM_400000_NS6detail17trampoline_kernelINS0_14default_configENS1_25partition_config_selectorILNS1_17partition_subalgoE3ExNS0_10empty_typeEbEEZZNS1_14partition_implILS5_3ELb0ES3_jN6thrust23THRUST_200600_302600_NS6detail15normal_iteratorINSA_7pointerIxNSA_11hip_rocprim3tagENSA_11use_defaultESG_EEEEPS6_SJ_NS0_5tupleIJPxSJ_EEENSK_IJSJ_SJ_EEES6_PlJ7is_evenIxEEEE10hipError_tPvRmT3_T4_T5_T6_T7_T9_mT8_P12ihipStream_tbDpT10_ENKUlT_T0_E_clISt17integral_constantIbLb1EES1A_EEDaS15_S16_EUlS15_E_NS1_11comp_targetILNS1_3genE3ELNS1_11target_archE908ELNS1_3gpuE7ELNS1_3repE0EEENS1_30default_config_static_selectorELNS0_4arch9wavefront6targetE1EEEvT1_.kd
    .uniform_work_group_size: 1
    .uses_dynamic_stack: false
    .vgpr_count:     0
    .vgpr_spill_count: 0
    .wavefront_size: 64
  - .agpr_count:     0
    .args:
      - .offset:         0
        .size:           136
        .value_kind:     by_value
    .group_segment_fixed_size: 0
    .kernarg_segment_align: 8
    .kernarg_segment_size: 136
    .language:       OpenCL C
    .language_version:
      - 2
      - 0
    .max_flat_workgroup_size: 256
    .name:           _ZN7rocprim17ROCPRIM_400000_NS6detail17trampoline_kernelINS0_14default_configENS1_25partition_config_selectorILNS1_17partition_subalgoE3ExNS0_10empty_typeEbEEZZNS1_14partition_implILS5_3ELb0ES3_jN6thrust23THRUST_200600_302600_NS6detail15normal_iteratorINSA_7pointerIxNSA_11hip_rocprim3tagENSA_11use_defaultESG_EEEEPS6_SJ_NS0_5tupleIJPxSJ_EEENSK_IJSJ_SJ_EEES6_PlJ7is_evenIxEEEE10hipError_tPvRmT3_T4_T5_T6_T7_T9_mT8_P12ihipStream_tbDpT10_ENKUlT_T0_E_clISt17integral_constantIbLb1EES1A_EEDaS15_S16_EUlS15_E_NS1_11comp_targetILNS1_3genE2ELNS1_11target_archE906ELNS1_3gpuE6ELNS1_3repE0EEENS1_30default_config_static_selectorELNS0_4arch9wavefront6targetE1EEEvT1_
    .private_segment_fixed_size: 0
    .sgpr_count:     4
    .sgpr_spill_count: 0
    .symbol:         _ZN7rocprim17ROCPRIM_400000_NS6detail17trampoline_kernelINS0_14default_configENS1_25partition_config_selectorILNS1_17partition_subalgoE3ExNS0_10empty_typeEbEEZZNS1_14partition_implILS5_3ELb0ES3_jN6thrust23THRUST_200600_302600_NS6detail15normal_iteratorINSA_7pointerIxNSA_11hip_rocprim3tagENSA_11use_defaultESG_EEEEPS6_SJ_NS0_5tupleIJPxSJ_EEENSK_IJSJ_SJ_EEES6_PlJ7is_evenIxEEEE10hipError_tPvRmT3_T4_T5_T6_T7_T9_mT8_P12ihipStream_tbDpT10_ENKUlT_T0_E_clISt17integral_constantIbLb1EES1A_EEDaS15_S16_EUlS15_E_NS1_11comp_targetILNS1_3genE2ELNS1_11target_archE906ELNS1_3gpuE6ELNS1_3repE0EEENS1_30default_config_static_selectorELNS0_4arch9wavefront6targetE1EEEvT1_.kd
    .uniform_work_group_size: 1
    .uses_dynamic_stack: false
    .vgpr_count:     0
    .vgpr_spill_count: 0
    .wavefront_size: 64
  - .agpr_count:     0
    .args:
      - .offset:         0
        .size:           136
        .value_kind:     by_value
    .group_segment_fixed_size: 0
    .kernarg_segment_align: 8
    .kernarg_segment_size: 136
    .language:       OpenCL C
    .language_version:
      - 2
      - 0
    .max_flat_workgroup_size: 512
    .name:           _ZN7rocprim17ROCPRIM_400000_NS6detail17trampoline_kernelINS0_14default_configENS1_25partition_config_selectorILNS1_17partition_subalgoE3ExNS0_10empty_typeEbEEZZNS1_14partition_implILS5_3ELb0ES3_jN6thrust23THRUST_200600_302600_NS6detail15normal_iteratorINSA_7pointerIxNSA_11hip_rocprim3tagENSA_11use_defaultESG_EEEEPS6_SJ_NS0_5tupleIJPxSJ_EEENSK_IJSJ_SJ_EEES6_PlJ7is_evenIxEEEE10hipError_tPvRmT3_T4_T5_T6_T7_T9_mT8_P12ihipStream_tbDpT10_ENKUlT_T0_E_clISt17integral_constantIbLb1EES1A_EEDaS15_S16_EUlS15_E_NS1_11comp_targetILNS1_3genE10ELNS1_11target_archE1200ELNS1_3gpuE4ELNS1_3repE0EEENS1_30default_config_static_selectorELNS0_4arch9wavefront6targetE1EEEvT1_
    .private_segment_fixed_size: 0
    .sgpr_count:     4
    .sgpr_spill_count: 0
    .symbol:         _ZN7rocprim17ROCPRIM_400000_NS6detail17trampoline_kernelINS0_14default_configENS1_25partition_config_selectorILNS1_17partition_subalgoE3ExNS0_10empty_typeEbEEZZNS1_14partition_implILS5_3ELb0ES3_jN6thrust23THRUST_200600_302600_NS6detail15normal_iteratorINSA_7pointerIxNSA_11hip_rocprim3tagENSA_11use_defaultESG_EEEEPS6_SJ_NS0_5tupleIJPxSJ_EEENSK_IJSJ_SJ_EEES6_PlJ7is_evenIxEEEE10hipError_tPvRmT3_T4_T5_T6_T7_T9_mT8_P12ihipStream_tbDpT10_ENKUlT_T0_E_clISt17integral_constantIbLb1EES1A_EEDaS15_S16_EUlS15_E_NS1_11comp_targetILNS1_3genE10ELNS1_11target_archE1200ELNS1_3gpuE4ELNS1_3repE0EEENS1_30default_config_static_selectorELNS0_4arch9wavefront6targetE1EEEvT1_.kd
    .uniform_work_group_size: 1
    .uses_dynamic_stack: false
    .vgpr_count:     0
    .vgpr_spill_count: 0
    .wavefront_size: 64
  - .agpr_count:     0
    .args:
      - .offset:         0
        .size:           136
        .value_kind:     by_value
    .group_segment_fixed_size: 0
    .kernarg_segment_align: 8
    .kernarg_segment_size: 136
    .language:       OpenCL C
    .language_version:
      - 2
      - 0
    .max_flat_workgroup_size: 512
    .name:           _ZN7rocprim17ROCPRIM_400000_NS6detail17trampoline_kernelINS0_14default_configENS1_25partition_config_selectorILNS1_17partition_subalgoE3ExNS0_10empty_typeEbEEZZNS1_14partition_implILS5_3ELb0ES3_jN6thrust23THRUST_200600_302600_NS6detail15normal_iteratorINSA_7pointerIxNSA_11hip_rocprim3tagENSA_11use_defaultESG_EEEEPS6_SJ_NS0_5tupleIJPxSJ_EEENSK_IJSJ_SJ_EEES6_PlJ7is_evenIxEEEE10hipError_tPvRmT3_T4_T5_T6_T7_T9_mT8_P12ihipStream_tbDpT10_ENKUlT_T0_E_clISt17integral_constantIbLb1EES1A_EEDaS15_S16_EUlS15_E_NS1_11comp_targetILNS1_3genE9ELNS1_11target_archE1100ELNS1_3gpuE3ELNS1_3repE0EEENS1_30default_config_static_selectorELNS0_4arch9wavefront6targetE1EEEvT1_
    .private_segment_fixed_size: 0
    .sgpr_count:     4
    .sgpr_spill_count: 0
    .symbol:         _ZN7rocprim17ROCPRIM_400000_NS6detail17trampoline_kernelINS0_14default_configENS1_25partition_config_selectorILNS1_17partition_subalgoE3ExNS0_10empty_typeEbEEZZNS1_14partition_implILS5_3ELb0ES3_jN6thrust23THRUST_200600_302600_NS6detail15normal_iteratorINSA_7pointerIxNSA_11hip_rocprim3tagENSA_11use_defaultESG_EEEEPS6_SJ_NS0_5tupleIJPxSJ_EEENSK_IJSJ_SJ_EEES6_PlJ7is_evenIxEEEE10hipError_tPvRmT3_T4_T5_T6_T7_T9_mT8_P12ihipStream_tbDpT10_ENKUlT_T0_E_clISt17integral_constantIbLb1EES1A_EEDaS15_S16_EUlS15_E_NS1_11comp_targetILNS1_3genE9ELNS1_11target_archE1100ELNS1_3gpuE3ELNS1_3repE0EEENS1_30default_config_static_selectorELNS0_4arch9wavefront6targetE1EEEvT1_.kd
    .uniform_work_group_size: 1
    .uses_dynamic_stack: false
    .vgpr_count:     0
    .vgpr_spill_count: 0
    .wavefront_size: 64
  - .agpr_count:     0
    .args:
      - .offset:         0
        .size:           136
        .value_kind:     by_value
    .group_segment_fixed_size: 0
    .kernarg_segment_align: 8
    .kernarg_segment_size: 136
    .language:       OpenCL C
    .language_version:
      - 2
      - 0
    .max_flat_workgroup_size: 512
    .name:           _ZN7rocprim17ROCPRIM_400000_NS6detail17trampoline_kernelINS0_14default_configENS1_25partition_config_selectorILNS1_17partition_subalgoE3ExNS0_10empty_typeEbEEZZNS1_14partition_implILS5_3ELb0ES3_jN6thrust23THRUST_200600_302600_NS6detail15normal_iteratorINSA_7pointerIxNSA_11hip_rocprim3tagENSA_11use_defaultESG_EEEEPS6_SJ_NS0_5tupleIJPxSJ_EEENSK_IJSJ_SJ_EEES6_PlJ7is_evenIxEEEE10hipError_tPvRmT3_T4_T5_T6_T7_T9_mT8_P12ihipStream_tbDpT10_ENKUlT_T0_E_clISt17integral_constantIbLb1EES1A_EEDaS15_S16_EUlS15_E_NS1_11comp_targetILNS1_3genE8ELNS1_11target_archE1030ELNS1_3gpuE2ELNS1_3repE0EEENS1_30default_config_static_selectorELNS0_4arch9wavefront6targetE1EEEvT1_
    .private_segment_fixed_size: 0
    .sgpr_count:     4
    .sgpr_spill_count: 0
    .symbol:         _ZN7rocprim17ROCPRIM_400000_NS6detail17trampoline_kernelINS0_14default_configENS1_25partition_config_selectorILNS1_17partition_subalgoE3ExNS0_10empty_typeEbEEZZNS1_14partition_implILS5_3ELb0ES3_jN6thrust23THRUST_200600_302600_NS6detail15normal_iteratorINSA_7pointerIxNSA_11hip_rocprim3tagENSA_11use_defaultESG_EEEEPS6_SJ_NS0_5tupleIJPxSJ_EEENSK_IJSJ_SJ_EEES6_PlJ7is_evenIxEEEE10hipError_tPvRmT3_T4_T5_T6_T7_T9_mT8_P12ihipStream_tbDpT10_ENKUlT_T0_E_clISt17integral_constantIbLb1EES1A_EEDaS15_S16_EUlS15_E_NS1_11comp_targetILNS1_3genE8ELNS1_11target_archE1030ELNS1_3gpuE2ELNS1_3repE0EEENS1_30default_config_static_selectorELNS0_4arch9wavefront6targetE1EEEvT1_.kd
    .uniform_work_group_size: 1
    .uses_dynamic_stack: false
    .vgpr_count:     0
    .vgpr_spill_count: 0
    .wavefront_size: 64
  - .agpr_count:     0
    .args:
      - .address_space:  global
        .offset:         0
        .size:           8
        .value_kind:     global_buffer
      - .offset:         8
        .size:           4
        .value_kind:     by_value
      - .offset:         12
        .size:           1
        .value_kind:     by_value
      - .offset:         16
        .size:           4
        .value_kind:     by_value
      - .address_space:  global
        .offset:         24
        .size:           8
        .value_kind:     global_buffer
      - .offset:         32
        .size:           4
        .value_kind:     hidden_block_count_x
      - .offset:         36
        .size:           4
        .value_kind:     hidden_block_count_y
      - .offset:         40
        .size:           4
        .value_kind:     hidden_block_count_z
      - .offset:         44
        .size:           2
        .value_kind:     hidden_group_size_x
      - .offset:         46
        .size:           2
        .value_kind:     hidden_group_size_y
      - .offset:         48
        .size:           2
        .value_kind:     hidden_group_size_z
      - .offset:         50
        .size:           2
        .value_kind:     hidden_remainder_x
      - .offset:         52
        .size:           2
        .value_kind:     hidden_remainder_y
      - .offset:         54
        .size:           2
        .value_kind:     hidden_remainder_z
      - .offset:         72
        .size:           8
        .value_kind:     hidden_global_offset_x
      - .offset:         80
        .size:           8
        .value_kind:     hidden_global_offset_y
      - .offset:         88
        .size:           8
        .value_kind:     hidden_global_offset_z
      - .offset:         96
        .size:           2
        .value_kind:     hidden_grid_dims
    .group_segment_fixed_size: 0
    .kernarg_segment_align: 8
    .kernarg_segment_size: 288
    .language:       OpenCL C
    .language_version:
      - 2
      - 0
    .max_flat_workgroup_size: 256
    .name:           _ZN7rocprim17ROCPRIM_400000_NS6detail31init_lookback_scan_state_kernelINS1_19lookback_scan_stateIjLb1ELb1EEENS1_16block_id_wrapperIjLb0EEEEEvT_jT0_jPNS7_10value_typeE
    .private_segment_fixed_size: 0
    .sgpr_count:     16
    .sgpr_spill_count: 0
    .symbol:         _ZN7rocprim17ROCPRIM_400000_NS6detail31init_lookback_scan_state_kernelINS1_19lookback_scan_stateIjLb1ELb1EEENS1_16block_id_wrapperIjLb0EEEEEvT_jT0_jPNS7_10value_typeE.kd
    .uniform_work_group_size: 1
    .uses_dynamic_stack: false
    .vgpr_count:     6
    .vgpr_spill_count: 0
    .wavefront_size: 64
  - .agpr_count:     0
    .args:
      - .offset:         0
        .size:           120
        .value_kind:     by_value
    .group_segment_fixed_size: 0
    .kernarg_segment_align: 8
    .kernarg_segment_size: 120
    .language:       OpenCL C
    .language_version:
      - 2
      - 0
    .max_flat_workgroup_size: 192
    .name:           _ZN7rocprim17ROCPRIM_400000_NS6detail17trampoline_kernelINS0_14default_configENS1_25partition_config_selectorILNS1_17partition_subalgoE3ExNS0_10empty_typeEbEEZZNS1_14partition_implILS5_3ELb0ES3_jN6thrust23THRUST_200600_302600_NS6detail15normal_iteratorINSA_7pointerIxNSA_11hip_rocprim3tagENSA_11use_defaultESG_EEEEPS6_SJ_NS0_5tupleIJPxSJ_EEENSK_IJSJ_SJ_EEES6_PlJ7is_evenIxEEEE10hipError_tPvRmT3_T4_T5_T6_T7_T9_mT8_P12ihipStream_tbDpT10_ENKUlT_T0_E_clISt17integral_constantIbLb1EES19_IbLb0EEEEDaS15_S16_EUlS15_E_NS1_11comp_targetILNS1_3genE0ELNS1_11target_archE4294967295ELNS1_3gpuE0ELNS1_3repE0EEENS1_30default_config_static_selectorELNS0_4arch9wavefront6targetE1EEEvT1_
    .private_segment_fixed_size: 0
    .sgpr_count:     4
    .sgpr_spill_count: 0
    .symbol:         _ZN7rocprim17ROCPRIM_400000_NS6detail17trampoline_kernelINS0_14default_configENS1_25partition_config_selectorILNS1_17partition_subalgoE3ExNS0_10empty_typeEbEEZZNS1_14partition_implILS5_3ELb0ES3_jN6thrust23THRUST_200600_302600_NS6detail15normal_iteratorINSA_7pointerIxNSA_11hip_rocprim3tagENSA_11use_defaultESG_EEEEPS6_SJ_NS0_5tupleIJPxSJ_EEENSK_IJSJ_SJ_EEES6_PlJ7is_evenIxEEEE10hipError_tPvRmT3_T4_T5_T6_T7_T9_mT8_P12ihipStream_tbDpT10_ENKUlT_T0_E_clISt17integral_constantIbLb1EES19_IbLb0EEEEDaS15_S16_EUlS15_E_NS1_11comp_targetILNS1_3genE0ELNS1_11target_archE4294967295ELNS1_3gpuE0ELNS1_3repE0EEENS1_30default_config_static_selectorELNS0_4arch9wavefront6targetE1EEEvT1_.kd
    .uniform_work_group_size: 1
    .uses_dynamic_stack: false
    .vgpr_count:     0
    .vgpr_spill_count: 0
    .wavefront_size: 64
  - .agpr_count:     0
    .args:
      - .offset:         0
        .size:           120
        .value_kind:     by_value
    .group_segment_fixed_size: 0
    .kernarg_segment_align: 8
    .kernarg_segment_size: 120
    .language:       OpenCL C
    .language_version:
      - 2
      - 0
    .max_flat_workgroup_size: 512
    .name:           _ZN7rocprim17ROCPRIM_400000_NS6detail17trampoline_kernelINS0_14default_configENS1_25partition_config_selectorILNS1_17partition_subalgoE3ExNS0_10empty_typeEbEEZZNS1_14partition_implILS5_3ELb0ES3_jN6thrust23THRUST_200600_302600_NS6detail15normal_iteratorINSA_7pointerIxNSA_11hip_rocprim3tagENSA_11use_defaultESG_EEEEPS6_SJ_NS0_5tupleIJPxSJ_EEENSK_IJSJ_SJ_EEES6_PlJ7is_evenIxEEEE10hipError_tPvRmT3_T4_T5_T6_T7_T9_mT8_P12ihipStream_tbDpT10_ENKUlT_T0_E_clISt17integral_constantIbLb1EES19_IbLb0EEEEDaS15_S16_EUlS15_E_NS1_11comp_targetILNS1_3genE5ELNS1_11target_archE942ELNS1_3gpuE9ELNS1_3repE0EEENS1_30default_config_static_selectorELNS0_4arch9wavefront6targetE1EEEvT1_
    .private_segment_fixed_size: 0
    .sgpr_count:     4
    .sgpr_spill_count: 0
    .symbol:         _ZN7rocprim17ROCPRIM_400000_NS6detail17trampoline_kernelINS0_14default_configENS1_25partition_config_selectorILNS1_17partition_subalgoE3ExNS0_10empty_typeEbEEZZNS1_14partition_implILS5_3ELb0ES3_jN6thrust23THRUST_200600_302600_NS6detail15normal_iteratorINSA_7pointerIxNSA_11hip_rocprim3tagENSA_11use_defaultESG_EEEEPS6_SJ_NS0_5tupleIJPxSJ_EEENSK_IJSJ_SJ_EEES6_PlJ7is_evenIxEEEE10hipError_tPvRmT3_T4_T5_T6_T7_T9_mT8_P12ihipStream_tbDpT10_ENKUlT_T0_E_clISt17integral_constantIbLb1EES19_IbLb0EEEEDaS15_S16_EUlS15_E_NS1_11comp_targetILNS1_3genE5ELNS1_11target_archE942ELNS1_3gpuE9ELNS1_3repE0EEENS1_30default_config_static_selectorELNS0_4arch9wavefront6targetE1EEEvT1_.kd
    .uniform_work_group_size: 1
    .uses_dynamic_stack: false
    .vgpr_count:     0
    .vgpr_spill_count: 0
    .wavefront_size: 64
  - .agpr_count:     0
    .args:
      - .offset:         0
        .size:           120
        .value_kind:     by_value
    .group_segment_fixed_size: 6344
    .kernarg_segment_align: 8
    .kernarg_segment_size: 120
    .language:       OpenCL C
    .language_version:
      - 2
      - 0
    .max_flat_workgroup_size: 192
    .name:           _ZN7rocprim17ROCPRIM_400000_NS6detail17trampoline_kernelINS0_14default_configENS1_25partition_config_selectorILNS1_17partition_subalgoE3ExNS0_10empty_typeEbEEZZNS1_14partition_implILS5_3ELb0ES3_jN6thrust23THRUST_200600_302600_NS6detail15normal_iteratorINSA_7pointerIxNSA_11hip_rocprim3tagENSA_11use_defaultESG_EEEEPS6_SJ_NS0_5tupleIJPxSJ_EEENSK_IJSJ_SJ_EEES6_PlJ7is_evenIxEEEE10hipError_tPvRmT3_T4_T5_T6_T7_T9_mT8_P12ihipStream_tbDpT10_ENKUlT_T0_E_clISt17integral_constantIbLb1EES19_IbLb0EEEEDaS15_S16_EUlS15_E_NS1_11comp_targetILNS1_3genE4ELNS1_11target_archE910ELNS1_3gpuE8ELNS1_3repE0EEENS1_30default_config_static_selectorELNS0_4arch9wavefront6targetE1EEEvT1_
    .private_segment_fixed_size: 0
    .sgpr_count:     50
    .sgpr_spill_count: 0
    .symbol:         _ZN7rocprim17ROCPRIM_400000_NS6detail17trampoline_kernelINS0_14default_configENS1_25partition_config_selectorILNS1_17partition_subalgoE3ExNS0_10empty_typeEbEEZZNS1_14partition_implILS5_3ELb0ES3_jN6thrust23THRUST_200600_302600_NS6detail15normal_iteratorINSA_7pointerIxNSA_11hip_rocprim3tagENSA_11use_defaultESG_EEEEPS6_SJ_NS0_5tupleIJPxSJ_EEENSK_IJSJ_SJ_EEES6_PlJ7is_evenIxEEEE10hipError_tPvRmT3_T4_T5_T6_T7_T9_mT8_P12ihipStream_tbDpT10_ENKUlT_T0_E_clISt17integral_constantIbLb1EES19_IbLb0EEEEDaS15_S16_EUlS15_E_NS1_11comp_targetILNS1_3genE4ELNS1_11target_archE910ELNS1_3gpuE8ELNS1_3repE0EEENS1_30default_config_static_selectorELNS0_4arch9wavefront6targetE1EEEvT1_.kd
    .uniform_work_group_size: 1
    .uses_dynamic_stack: false
    .vgpr_count:     43
    .vgpr_spill_count: 0
    .wavefront_size: 64
  - .agpr_count:     0
    .args:
      - .offset:         0
        .size:           120
        .value_kind:     by_value
    .group_segment_fixed_size: 0
    .kernarg_segment_align: 8
    .kernarg_segment_size: 120
    .language:       OpenCL C
    .language_version:
      - 2
      - 0
    .max_flat_workgroup_size: 192
    .name:           _ZN7rocprim17ROCPRIM_400000_NS6detail17trampoline_kernelINS0_14default_configENS1_25partition_config_selectorILNS1_17partition_subalgoE3ExNS0_10empty_typeEbEEZZNS1_14partition_implILS5_3ELb0ES3_jN6thrust23THRUST_200600_302600_NS6detail15normal_iteratorINSA_7pointerIxNSA_11hip_rocprim3tagENSA_11use_defaultESG_EEEEPS6_SJ_NS0_5tupleIJPxSJ_EEENSK_IJSJ_SJ_EEES6_PlJ7is_evenIxEEEE10hipError_tPvRmT3_T4_T5_T6_T7_T9_mT8_P12ihipStream_tbDpT10_ENKUlT_T0_E_clISt17integral_constantIbLb1EES19_IbLb0EEEEDaS15_S16_EUlS15_E_NS1_11comp_targetILNS1_3genE3ELNS1_11target_archE908ELNS1_3gpuE7ELNS1_3repE0EEENS1_30default_config_static_selectorELNS0_4arch9wavefront6targetE1EEEvT1_
    .private_segment_fixed_size: 0
    .sgpr_count:     4
    .sgpr_spill_count: 0
    .symbol:         _ZN7rocprim17ROCPRIM_400000_NS6detail17trampoline_kernelINS0_14default_configENS1_25partition_config_selectorILNS1_17partition_subalgoE3ExNS0_10empty_typeEbEEZZNS1_14partition_implILS5_3ELb0ES3_jN6thrust23THRUST_200600_302600_NS6detail15normal_iteratorINSA_7pointerIxNSA_11hip_rocprim3tagENSA_11use_defaultESG_EEEEPS6_SJ_NS0_5tupleIJPxSJ_EEENSK_IJSJ_SJ_EEES6_PlJ7is_evenIxEEEE10hipError_tPvRmT3_T4_T5_T6_T7_T9_mT8_P12ihipStream_tbDpT10_ENKUlT_T0_E_clISt17integral_constantIbLb1EES19_IbLb0EEEEDaS15_S16_EUlS15_E_NS1_11comp_targetILNS1_3genE3ELNS1_11target_archE908ELNS1_3gpuE7ELNS1_3repE0EEENS1_30default_config_static_selectorELNS0_4arch9wavefront6targetE1EEEvT1_.kd
    .uniform_work_group_size: 1
    .uses_dynamic_stack: false
    .vgpr_count:     0
    .vgpr_spill_count: 0
    .wavefront_size: 64
  - .agpr_count:     0
    .args:
      - .offset:         0
        .size:           120
        .value_kind:     by_value
    .group_segment_fixed_size: 0
    .kernarg_segment_align: 8
    .kernarg_segment_size: 120
    .language:       OpenCL C
    .language_version:
      - 2
      - 0
    .max_flat_workgroup_size: 256
    .name:           _ZN7rocprim17ROCPRIM_400000_NS6detail17trampoline_kernelINS0_14default_configENS1_25partition_config_selectorILNS1_17partition_subalgoE3ExNS0_10empty_typeEbEEZZNS1_14partition_implILS5_3ELb0ES3_jN6thrust23THRUST_200600_302600_NS6detail15normal_iteratorINSA_7pointerIxNSA_11hip_rocprim3tagENSA_11use_defaultESG_EEEEPS6_SJ_NS0_5tupleIJPxSJ_EEENSK_IJSJ_SJ_EEES6_PlJ7is_evenIxEEEE10hipError_tPvRmT3_T4_T5_T6_T7_T9_mT8_P12ihipStream_tbDpT10_ENKUlT_T0_E_clISt17integral_constantIbLb1EES19_IbLb0EEEEDaS15_S16_EUlS15_E_NS1_11comp_targetILNS1_3genE2ELNS1_11target_archE906ELNS1_3gpuE6ELNS1_3repE0EEENS1_30default_config_static_selectorELNS0_4arch9wavefront6targetE1EEEvT1_
    .private_segment_fixed_size: 0
    .sgpr_count:     4
    .sgpr_spill_count: 0
    .symbol:         _ZN7rocprim17ROCPRIM_400000_NS6detail17trampoline_kernelINS0_14default_configENS1_25partition_config_selectorILNS1_17partition_subalgoE3ExNS0_10empty_typeEbEEZZNS1_14partition_implILS5_3ELb0ES3_jN6thrust23THRUST_200600_302600_NS6detail15normal_iteratorINSA_7pointerIxNSA_11hip_rocprim3tagENSA_11use_defaultESG_EEEEPS6_SJ_NS0_5tupleIJPxSJ_EEENSK_IJSJ_SJ_EEES6_PlJ7is_evenIxEEEE10hipError_tPvRmT3_T4_T5_T6_T7_T9_mT8_P12ihipStream_tbDpT10_ENKUlT_T0_E_clISt17integral_constantIbLb1EES19_IbLb0EEEEDaS15_S16_EUlS15_E_NS1_11comp_targetILNS1_3genE2ELNS1_11target_archE906ELNS1_3gpuE6ELNS1_3repE0EEENS1_30default_config_static_selectorELNS0_4arch9wavefront6targetE1EEEvT1_.kd
    .uniform_work_group_size: 1
    .uses_dynamic_stack: false
    .vgpr_count:     0
    .vgpr_spill_count: 0
    .wavefront_size: 64
  - .agpr_count:     0
    .args:
      - .offset:         0
        .size:           120
        .value_kind:     by_value
    .group_segment_fixed_size: 0
    .kernarg_segment_align: 8
    .kernarg_segment_size: 120
    .language:       OpenCL C
    .language_version:
      - 2
      - 0
    .max_flat_workgroup_size: 512
    .name:           _ZN7rocprim17ROCPRIM_400000_NS6detail17trampoline_kernelINS0_14default_configENS1_25partition_config_selectorILNS1_17partition_subalgoE3ExNS0_10empty_typeEbEEZZNS1_14partition_implILS5_3ELb0ES3_jN6thrust23THRUST_200600_302600_NS6detail15normal_iteratorINSA_7pointerIxNSA_11hip_rocprim3tagENSA_11use_defaultESG_EEEEPS6_SJ_NS0_5tupleIJPxSJ_EEENSK_IJSJ_SJ_EEES6_PlJ7is_evenIxEEEE10hipError_tPvRmT3_T4_T5_T6_T7_T9_mT8_P12ihipStream_tbDpT10_ENKUlT_T0_E_clISt17integral_constantIbLb1EES19_IbLb0EEEEDaS15_S16_EUlS15_E_NS1_11comp_targetILNS1_3genE10ELNS1_11target_archE1200ELNS1_3gpuE4ELNS1_3repE0EEENS1_30default_config_static_selectorELNS0_4arch9wavefront6targetE1EEEvT1_
    .private_segment_fixed_size: 0
    .sgpr_count:     4
    .sgpr_spill_count: 0
    .symbol:         _ZN7rocprim17ROCPRIM_400000_NS6detail17trampoline_kernelINS0_14default_configENS1_25partition_config_selectorILNS1_17partition_subalgoE3ExNS0_10empty_typeEbEEZZNS1_14partition_implILS5_3ELb0ES3_jN6thrust23THRUST_200600_302600_NS6detail15normal_iteratorINSA_7pointerIxNSA_11hip_rocprim3tagENSA_11use_defaultESG_EEEEPS6_SJ_NS0_5tupleIJPxSJ_EEENSK_IJSJ_SJ_EEES6_PlJ7is_evenIxEEEE10hipError_tPvRmT3_T4_T5_T6_T7_T9_mT8_P12ihipStream_tbDpT10_ENKUlT_T0_E_clISt17integral_constantIbLb1EES19_IbLb0EEEEDaS15_S16_EUlS15_E_NS1_11comp_targetILNS1_3genE10ELNS1_11target_archE1200ELNS1_3gpuE4ELNS1_3repE0EEENS1_30default_config_static_selectorELNS0_4arch9wavefront6targetE1EEEvT1_.kd
    .uniform_work_group_size: 1
    .uses_dynamic_stack: false
    .vgpr_count:     0
    .vgpr_spill_count: 0
    .wavefront_size: 64
  - .agpr_count:     0
    .args:
      - .offset:         0
        .size:           120
        .value_kind:     by_value
    .group_segment_fixed_size: 0
    .kernarg_segment_align: 8
    .kernarg_segment_size: 120
    .language:       OpenCL C
    .language_version:
      - 2
      - 0
    .max_flat_workgroup_size: 512
    .name:           _ZN7rocprim17ROCPRIM_400000_NS6detail17trampoline_kernelINS0_14default_configENS1_25partition_config_selectorILNS1_17partition_subalgoE3ExNS0_10empty_typeEbEEZZNS1_14partition_implILS5_3ELb0ES3_jN6thrust23THRUST_200600_302600_NS6detail15normal_iteratorINSA_7pointerIxNSA_11hip_rocprim3tagENSA_11use_defaultESG_EEEEPS6_SJ_NS0_5tupleIJPxSJ_EEENSK_IJSJ_SJ_EEES6_PlJ7is_evenIxEEEE10hipError_tPvRmT3_T4_T5_T6_T7_T9_mT8_P12ihipStream_tbDpT10_ENKUlT_T0_E_clISt17integral_constantIbLb1EES19_IbLb0EEEEDaS15_S16_EUlS15_E_NS1_11comp_targetILNS1_3genE9ELNS1_11target_archE1100ELNS1_3gpuE3ELNS1_3repE0EEENS1_30default_config_static_selectorELNS0_4arch9wavefront6targetE1EEEvT1_
    .private_segment_fixed_size: 0
    .sgpr_count:     4
    .sgpr_spill_count: 0
    .symbol:         _ZN7rocprim17ROCPRIM_400000_NS6detail17trampoline_kernelINS0_14default_configENS1_25partition_config_selectorILNS1_17partition_subalgoE3ExNS0_10empty_typeEbEEZZNS1_14partition_implILS5_3ELb0ES3_jN6thrust23THRUST_200600_302600_NS6detail15normal_iteratorINSA_7pointerIxNSA_11hip_rocprim3tagENSA_11use_defaultESG_EEEEPS6_SJ_NS0_5tupleIJPxSJ_EEENSK_IJSJ_SJ_EEES6_PlJ7is_evenIxEEEE10hipError_tPvRmT3_T4_T5_T6_T7_T9_mT8_P12ihipStream_tbDpT10_ENKUlT_T0_E_clISt17integral_constantIbLb1EES19_IbLb0EEEEDaS15_S16_EUlS15_E_NS1_11comp_targetILNS1_3genE9ELNS1_11target_archE1100ELNS1_3gpuE3ELNS1_3repE0EEENS1_30default_config_static_selectorELNS0_4arch9wavefront6targetE1EEEvT1_.kd
    .uniform_work_group_size: 1
    .uses_dynamic_stack: false
    .vgpr_count:     0
    .vgpr_spill_count: 0
    .wavefront_size: 64
  - .agpr_count:     0
    .args:
      - .offset:         0
        .size:           120
        .value_kind:     by_value
    .group_segment_fixed_size: 0
    .kernarg_segment_align: 8
    .kernarg_segment_size: 120
    .language:       OpenCL C
    .language_version:
      - 2
      - 0
    .max_flat_workgroup_size: 512
    .name:           _ZN7rocprim17ROCPRIM_400000_NS6detail17trampoline_kernelINS0_14default_configENS1_25partition_config_selectorILNS1_17partition_subalgoE3ExNS0_10empty_typeEbEEZZNS1_14partition_implILS5_3ELb0ES3_jN6thrust23THRUST_200600_302600_NS6detail15normal_iteratorINSA_7pointerIxNSA_11hip_rocprim3tagENSA_11use_defaultESG_EEEEPS6_SJ_NS0_5tupleIJPxSJ_EEENSK_IJSJ_SJ_EEES6_PlJ7is_evenIxEEEE10hipError_tPvRmT3_T4_T5_T6_T7_T9_mT8_P12ihipStream_tbDpT10_ENKUlT_T0_E_clISt17integral_constantIbLb1EES19_IbLb0EEEEDaS15_S16_EUlS15_E_NS1_11comp_targetILNS1_3genE8ELNS1_11target_archE1030ELNS1_3gpuE2ELNS1_3repE0EEENS1_30default_config_static_selectorELNS0_4arch9wavefront6targetE1EEEvT1_
    .private_segment_fixed_size: 0
    .sgpr_count:     4
    .sgpr_spill_count: 0
    .symbol:         _ZN7rocprim17ROCPRIM_400000_NS6detail17trampoline_kernelINS0_14default_configENS1_25partition_config_selectorILNS1_17partition_subalgoE3ExNS0_10empty_typeEbEEZZNS1_14partition_implILS5_3ELb0ES3_jN6thrust23THRUST_200600_302600_NS6detail15normal_iteratorINSA_7pointerIxNSA_11hip_rocprim3tagENSA_11use_defaultESG_EEEEPS6_SJ_NS0_5tupleIJPxSJ_EEENSK_IJSJ_SJ_EEES6_PlJ7is_evenIxEEEE10hipError_tPvRmT3_T4_T5_T6_T7_T9_mT8_P12ihipStream_tbDpT10_ENKUlT_T0_E_clISt17integral_constantIbLb1EES19_IbLb0EEEEDaS15_S16_EUlS15_E_NS1_11comp_targetILNS1_3genE8ELNS1_11target_archE1030ELNS1_3gpuE2ELNS1_3repE0EEENS1_30default_config_static_selectorELNS0_4arch9wavefront6targetE1EEEvT1_.kd
    .uniform_work_group_size: 1
    .uses_dynamic_stack: false
    .vgpr_count:     0
    .vgpr_spill_count: 0
    .wavefront_size: 64
  - .agpr_count:     0
    .args:
      - .address_space:  global
        .offset:         0
        .size:           8
        .value_kind:     global_buffer
      - .offset:         8
        .size:           4
        .value_kind:     by_value
      - .address_space:  global
        .offset:         16
        .size:           8
        .value_kind:     global_buffer
      - .offset:         24
        .size:           4
        .value_kind:     by_value
      - .address_space:  global
        .offset:         32
        .size:           8
        .value_kind:     global_buffer
      - .offset:         40
        .size:           4
        .value_kind:     hidden_block_count_x
      - .offset:         44
        .size:           4
        .value_kind:     hidden_block_count_y
      - .offset:         48
        .size:           4
        .value_kind:     hidden_block_count_z
      - .offset:         52
        .size:           2
        .value_kind:     hidden_group_size_x
      - .offset:         54
        .size:           2
        .value_kind:     hidden_group_size_y
      - .offset:         56
        .size:           2
        .value_kind:     hidden_group_size_z
      - .offset:         58
        .size:           2
        .value_kind:     hidden_remainder_x
      - .offset:         60
        .size:           2
        .value_kind:     hidden_remainder_y
      - .offset:         62
        .size:           2
        .value_kind:     hidden_remainder_z
      - .offset:         80
        .size:           8
        .value_kind:     hidden_global_offset_x
      - .offset:         88
        .size:           8
        .value_kind:     hidden_global_offset_y
      - .offset:         96
        .size:           8
        .value_kind:     hidden_global_offset_z
      - .offset:         104
        .size:           2
        .value_kind:     hidden_grid_dims
    .group_segment_fixed_size: 0
    .kernarg_segment_align: 8
    .kernarg_segment_size: 296
    .language:       OpenCL C
    .language_version:
      - 2
      - 0
    .max_flat_workgroup_size: 256
    .name:           _ZN7rocprim17ROCPRIM_400000_NS6detail31init_lookback_scan_state_kernelINS1_19lookback_scan_stateIjLb0ELb1EEENS1_16block_id_wrapperIjLb1EEEEEvT_jT0_jPNS7_10value_typeE
    .private_segment_fixed_size: 0
    .sgpr_count:     15
    .sgpr_spill_count: 0
    .symbol:         _ZN7rocprim17ROCPRIM_400000_NS6detail31init_lookback_scan_state_kernelINS1_19lookback_scan_stateIjLb0ELb1EEENS1_16block_id_wrapperIjLb1EEEEEvT_jT0_jPNS7_10value_typeE.kd
    .uniform_work_group_size: 1
    .uses_dynamic_stack: false
    .vgpr_count:     6
    .vgpr_spill_count: 0
    .wavefront_size: 64
  - .agpr_count:     0
    .args:
      - .offset:         0
        .size:           136
        .value_kind:     by_value
    .group_segment_fixed_size: 0
    .kernarg_segment_align: 8
    .kernarg_segment_size: 136
    .language:       OpenCL C
    .language_version:
      - 2
      - 0
    .max_flat_workgroup_size: 192
    .name:           _ZN7rocprim17ROCPRIM_400000_NS6detail17trampoline_kernelINS0_14default_configENS1_25partition_config_selectorILNS1_17partition_subalgoE3ExNS0_10empty_typeEbEEZZNS1_14partition_implILS5_3ELb0ES3_jN6thrust23THRUST_200600_302600_NS6detail15normal_iteratorINSA_7pointerIxNSA_11hip_rocprim3tagENSA_11use_defaultESG_EEEEPS6_SJ_NS0_5tupleIJPxSJ_EEENSK_IJSJ_SJ_EEES6_PlJ7is_evenIxEEEE10hipError_tPvRmT3_T4_T5_T6_T7_T9_mT8_P12ihipStream_tbDpT10_ENKUlT_T0_E_clISt17integral_constantIbLb0EES19_IbLb1EEEEDaS15_S16_EUlS15_E_NS1_11comp_targetILNS1_3genE0ELNS1_11target_archE4294967295ELNS1_3gpuE0ELNS1_3repE0EEENS1_30default_config_static_selectorELNS0_4arch9wavefront6targetE1EEEvT1_
    .private_segment_fixed_size: 0
    .sgpr_count:     4
    .sgpr_spill_count: 0
    .symbol:         _ZN7rocprim17ROCPRIM_400000_NS6detail17trampoline_kernelINS0_14default_configENS1_25partition_config_selectorILNS1_17partition_subalgoE3ExNS0_10empty_typeEbEEZZNS1_14partition_implILS5_3ELb0ES3_jN6thrust23THRUST_200600_302600_NS6detail15normal_iteratorINSA_7pointerIxNSA_11hip_rocprim3tagENSA_11use_defaultESG_EEEEPS6_SJ_NS0_5tupleIJPxSJ_EEENSK_IJSJ_SJ_EEES6_PlJ7is_evenIxEEEE10hipError_tPvRmT3_T4_T5_T6_T7_T9_mT8_P12ihipStream_tbDpT10_ENKUlT_T0_E_clISt17integral_constantIbLb0EES19_IbLb1EEEEDaS15_S16_EUlS15_E_NS1_11comp_targetILNS1_3genE0ELNS1_11target_archE4294967295ELNS1_3gpuE0ELNS1_3repE0EEENS1_30default_config_static_selectorELNS0_4arch9wavefront6targetE1EEEvT1_.kd
    .uniform_work_group_size: 1
    .uses_dynamic_stack: false
    .vgpr_count:     0
    .vgpr_spill_count: 0
    .wavefront_size: 64
  - .agpr_count:     0
    .args:
      - .offset:         0
        .size:           136
        .value_kind:     by_value
    .group_segment_fixed_size: 0
    .kernarg_segment_align: 8
    .kernarg_segment_size: 136
    .language:       OpenCL C
    .language_version:
      - 2
      - 0
    .max_flat_workgroup_size: 512
    .name:           _ZN7rocprim17ROCPRIM_400000_NS6detail17trampoline_kernelINS0_14default_configENS1_25partition_config_selectorILNS1_17partition_subalgoE3ExNS0_10empty_typeEbEEZZNS1_14partition_implILS5_3ELb0ES3_jN6thrust23THRUST_200600_302600_NS6detail15normal_iteratorINSA_7pointerIxNSA_11hip_rocprim3tagENSA_11use_defaultESG_EEEEPS6_SJ_NS0_5tupleIJPxSJ_EEENSK_IJSJ_SJ_EEES6_PlJ7is_evenIxEEEE10hipError_tPvRmT3_T4_T5_T6_T7_T9_mT8_P12ihipStream_tbDpT10_ENKUlT_T0_E_clISt17integral_constantIbLb0EES19_IbLb1EEEEDaS15_S16_EUlS15_E_NS1_11comp_targetILNS1_3genE5ELNS1_11target_archE942ELNS1_3gpuE9ELNS1_3repE0EEENS1_30default_config_static_selectorELNS0_4arch9wavefront6targetE1EEEvT1_
    .private_segment_fixed_size: 0
    .sgpr_count:     4
    .sgpr_spill_count: 0
    .symbol:         _ZN7rocprim17ROCPRIM_400000_NS6detail17trampoline_kernelINS0_14default_configENS1_25partition_config_selectorILNS1_17partition_subalgoE3ExNS0_10empty_typeEbEEZZNS1_14partition_implILS5_3ELb0ES3_jN6thrust23THRUST_200600_302600_NS6detail15normal_iteratorINSA_7pointerIxNSA_11hip_rocprim3tagENSA_11use_defaultESG_EEEEPS6_SJ_NS0_5tupleIJPxSJ_EEENSK_IJSJ_SJ_EEES6_PlJ7is_evenIxEEEE10hipError_tPvRmT3_T4_T5_T6_T7_T9_mT8_P12ihipStream_tbDpT10_ENKUlT_T0_E_clISt17integral_constantIbLb0EES19_IbLb1EEEEDaS15_S16_EUlS15_E_NS1_11comp_targetILNS1_3genE5ELNS1_11target_archE942ELNS1_3gpuE9ELNS1_3repE0EEENS1_30default_config_static_selectorELNS0_4arch9wavefront6targetE1EEEvT1_.kd
    .uniform_work_group_size: 1
    .uses_dynamic_stack: false
    .vgpr_count:     0
    .vgpr_spill_count: 0
    .wavefront_size: 64
  - .agpr_count:     0
    .args:
      - .offset:         0
        .size:           136
        .value_kind:     by_value
    .group_segment_fixed_size: 6344
    .kernarg_segment_align: 8
    .kernarg_segment_size: 136
    .language:       OpenCL C
    .language_version:
      - 2
      - 0
    .max_flat_workgroup_size: 192
    .name:           _ZN7rocprim17ROCPRIM_400000_NS6detail17trampoline_kernelINS0_14default_configENS1_25partition_config_selectorILNS1_17partition_subalgoE3ExNS0_10empty_typeEbEEZZNS1_14partition_implILS5_3ELb0ES3_jN6thrust23THRUST_200600_302600_NS6detail15normal_iteratorINSA_7pointerIxNSA_11hip_rocprim3tagENSA_11use_defaultESG_EEEEPS6_SJ_NS0_5tupleIJPxSJ_EEENSK_IJSJ_SJ_EEES6_PlJ7is_evenIxEEEE10hipError_tPvRmT3_T4_T5_T6_T7_T9_mT8_P12ihipStream_tbDpT10_ENKUlT_T0_E_clISt17integral_constantIbLb0EES19_IbLb1EEEEDaS15_S16_EUlS15_E_NS1_11comp_targetILNS1_3genE4ELNS1_11target_archE910ELNS1_3gpuE8ELNS1_3repE0EEENS1_30default_config_static_selectorELNS0_4arch9wavefront6targetE1EEEvT1_
    .private_segment_fixed_size: 0
    .sgpr_count:     48
    .sgpr_spill_count: 0
    .symbol:         _ZN7rocprim17ROCPRIM_400000_NS6detail17trampoline_kernelINS0_14default_configENS1_25partition_config_selectorILNS1_17partition_subalgoE3ExNS0_10empty_typeEbEEZZNS1_14partition_implILS5_3ELb0ES3_jN6thrust23THRUST_200600_302600_NS6detail15normal_iteratorINSA_7pointerIxNSA_11hip_rocprim3tagENSA_11use_defaultESG_EEEEPS6_SJ_NS0_5tupleIJPxSJ_EEENSK_IJSJ_SJ_EEES6_PlJ7is_evenIxEEEE10hipError_tPvRmT3_T4_T5_T6_T7_T9_mT8_P12ihipStream_tbDpT10_ENKUlT_T0_E_clISt17integral_constantIbLb0EES19_IbLb1EEEEDaS15_S16_EUlS15_E_NS1_11comp_targetILNS1_3genE4ELNS1_11target_archE910ELNS1_3gpuE8ELNS1_3repE0EEENS1_30default_config_static_selectorELNS0_4arch9wavefront6targetE1EEEvT1_.kd
    .uniform_work_group_size: 1
    .uses_dynamic_stack: false
    .vgpr_count:     46
    .vgpr_spill_count: 0
    .wavefront_size: 64
  - .agpr_count:     0
    .args:
      - .offset:         0
        .size:           136
        .value_kind:     by_value
    .group_segment_fixed_size: 0
    .kernarg_segment_align: 8
    .kernarg_segment_size: 136
    .language:       OpenCL C
    .language_version:
      - 2
      - 0
    .max_flat_workgroup_size: 192
    .name:           _ZN7rocprim17ROCPRIM_400000_NS6detail17trampoline_kernelINS0_14default_configENS1_25partition_config_selectorILNS1_17partition_subalgoE3ExNS0_10empty_typeEbEEZZNS1_14partition_implILS5_3ELb0ES3_jN6thrust23THRUST_200600_302600_NS6detail15normal_iteratorINSA_7pointerIxNSA_11hip_rocprim3tagENSA_11use_defaultESG_EEEEPS6_SJ_NS0_5tupleIJPxSJ_EEENSK_IJSJ_SJ_EEES6_PlJ7is_evenIxEEEE10hipError_tPvRmT3_T4_T5_T6_T7_T9_mT8_P12ihipStream_tbDpT10_ENKUlT_T0_E_clISt17integral_constantIbLb0EES19_IbLb1EEEEDaS15_S16_EUlS15_E_NS1_11comp_targetILNS1_3genE3ELNS1_11target_archE908ELNS1_3gpuE7ELNS1_3repE0EEENS1_30default_config_static_selectorELNS0_4arch9wavefront6targetE1EEEvT1_
    .private_segment_fixed_size: 0
    .sgpr_count:     4
    .sgpr_spill_count: 0
    .symbol:         _ZN7rocprim17ROCPRIM_400000_NS6detail17trampoline_kernelINS0_14default_configENS1_25partition_config_selectorILNS1_17partition_subalgoE3ExNS0_10empty_typeEbEEZZNS1_14partition_implILS5_3ELb0ES3_jN6thrust23THRUST_200600_302600_NS6detail15normal_iteratorINSA_7pointerIxNSA_11hip_rocprim3tagENSA_11use_defaultESG_EEEEPS6_SJ_NS0_5tupleIJPxSJ_EEENSK_IJSJ_SJ_EEES6_PlJ7is_evenIxEEEE10hipError_tPvRmT3_T4_T5_T6_T7_T9_mT8_P12ihipStream_tbDpT10_ENKUlT_T0_E_clISt17integral_constantIbLb0EES19_IbLb1EEEEDaS15_S16_EUlS15_E_NS1_11comp_targetILNS1_3genE3ELNS1_11target_archE908ELNS1_3gpuE7ELNS1_3repE0EEENS1_30default_config_static_selectorELNS0_4arch9wavefront6targetE1EEEvT1_.kd
    .uniform_work_group_size: 1
    .uses_dynamic_stack: false
    .vgpr_count:     0
    .vgpr_spill_count: 0
    .wavefront_size: 64
  - .agpr_count:     0
    .args:
      - .offset:         0
        .size:           136
        .value_kind:     by_value
    .group_segment_fixed_size: 0
    .kernarg_segment_align: 8
    .kernarg_segment_size: 136
    .language:       OpenCL C
    .language_version:
      - 2
      - 0
    .max_flat_workgroup_size: 256
    .name:           _ZN7rocprim17ROCPRIM_400000_NS6detail17trampoline_kernelINS0_14default_configENS1_25partition_config_selectorILNS1_17partition_subalgoE3ExNS0_10empty_typeEbEEZZNS1_14partition_implILS5_3ELb0ES3_jN6thrust23THRUST_200600_302600_NS6detail15normal_iteratorINSA_7pointerIxNSA_11hip_rocprim3tagENSA_11use_defaultESG_EEEEPS6_SJ_NS0_5tupleIJPxSJ_EEENSK_IJSJ_SJ_EEES6_PlJ7is_evenIxEEEE10hipError_tPvRmT3_T4_T5_T6_T7_T9_mT8_P12ihipStream_tbDpT10_ENKUlT_T0_E_clISt17integral_constantIbLb0EES19_IbLb1EEEEDaS15_S16_EUlS15_E_NS1_11comp_targetILNS1_3genE2ELNS1_11target_archE906ELNS1_3gpuE6ELNS1_3repE0EEENS1_30default_config_static_selectorELNS0_4arch9wavefront6targetE1EEEvT1_
    .private_segment_fixed_size: 0
    .sgpr_count:     4
    .sgpr_spill_count: 0
    .symbol:         _ZN7rocprim17ROCPRIM_400000_NS6detail17trampoline_kernelINS0_14default_configENS1_25partition_config_selectorILNS1_17partition_subalgoE3ExNS0_10empty_typeEbEEZZNS1_14partition_implILS5_3ELb0ES3_jN6thrust23THRUST_200600_302600_NS6detail15normal_iteratorINSA_7pointerIxNSA_11hip_rocprim3tagENSA_11use_defaultESG_EEEEPS6_SJ_NS0_5tupleIJPxSJ_EEENSK_IJSJ_SJ_EEES6_PlJ7is_evenIxEEEE10hipError_tPvRmT3_T4_T5_T6_T7_T9_mT8_P12ihipStream_tbDpT10_ENKUlT_T0_E_clISt17integral_constantIbLb0EES19_IbLb1EEEEDaS15_S16_EUlS15_E_NS1_11comp_targetILNS1_3genE2ELNS1_11target_archE906ELNS1_3gpuE6ELNS1_3repE0EEENS1_30default_config_static_selectorELNS0_4arch9wavefront6targetE1EEEvT1_.kd
    .uniform_work_group_size: 1
    .uses_dynamic_stack: false
    .vgpr_count:     0
    .vgpr_spill_count: 0
    .wavefront_size: 64
  - .agpr_count:     0
    .args:
      - .offset:         0
        .size:           136
        .value_kind:     by_value
    .group_segment_fixed_size: 0
    .kernarg_segment_align: 8
    .kernarg_segment_size: 136
    .language:       OpenCL C
    .language_version:
      - 2
      - 0
    .max_flat_workgroup_size: 512
    .name:           _ZN7rocprim17ROCPRIM_400000_NS6detail17trampoline_kernelINS0_14default_configENS1_25partition_config_selectorILNS1_17partition_subalgoE3ExNS0_10empty_typeEbEEZZNS1_14partition_implILS5_3ELb0ES3_jN6thrust23THRUST_200600_302600_NS6detail15normal_iteratorINSA_7pointerIxNSA_11hip_rocprim3tagENSA_11use_defaultESG_EEEEPS6_SJ_NS0_5tupleIJPxSJ_EEENSK_IJSJ_SJ_EEES6_PlJ7is_evenIxEEEE10hipError_tPvRmT3_T4_T5_T6_T7_T9_mT8_P12ihipStream_tbDpT10_ENKUlT_T0_E_clISt17integral_constantIbLb0EES19_IbLb1EEEEDaS15_S16_EUlS15_E_NS1_11comp_targetILNS1_3genE10ELNS1_11target_archE1200ELNS1_3gpuE4ELNS1_3repE0EEENS1_30default_config_static_selectorELNS0_4arch9wavefront6targetE1EEEvT1_
    .private_segment_fixed_size: 0
    .sgpr_count:     4
    .sgpr_spill_count: 0
    .symbol:         _ZN7rocprim17ROCPRIM_400000_NS6detail17trampoline_kernelINS0_14default_configENS1_25partition_config_selectorILNS1_17partition_subalgoE3ExNS0_10empty_typeEbEEZZNS1_14partition_implILS5_3ELb0ES3_jN6thrust23THRUST_200600_302600_NS6detail15normal_iteratorINSA_7pointerIxNSA_11hip_rocprim3tagENSA_11use_defaultESG_EEEEPS6_SJ_NS0_5tupleIJPxSJ_EEENSK_IJSJ_SJ_EEES6_PlJ7is_evenIxEEEE10hipError_tPvRmT3_T4_T5_T6_T7_T9_mT8_P12ihipStream_tbDpT10_ENKUlT_T0_E_clISt17integral_constantIbLb0EES19_IbLb1EEEEDaS15_S16_EUlS15_E_NS1_11comp_targetILNS1_3genE10ELNS1_11target_archE1200ELNS1_3gpuE4ELNS1_3repE0EEENS1_30default_config_static_selectorELNS0_4arch9wavefront6targetE1EEEvT1_.kd
    .uniform_work_group_size: 1
    .uses_dynamic_stack: false
    .vgpr_count:     0
    .vgpr_spill_count: 0
    .wavefront_size: 64
  - .agpr_count:     0
    .args:
      - .offset:         0
        .size:           136
        .value_kind:     by_value
    .group_segment_fixed_size: 0
    .kernarg_segment_align: 8
    .kernarg_segment_size: 136
    .language:       OpenCL C
    .language_version:
      - 2
      - 0
    .max_flat_workgroup_size: 512
    .name:           _ZN7rocprim17ROCPRIM_400000_NS6detail17trampoline_kernelINS0_14default_configENS1_25partition_config_selectorILNS1_17partition_subalgoE3ExNS0_10empty_typeEbEEZZNS1_14partition_implILS5_3ELb0ES3_jN6thrust23THRUST_200600_302600_NS6detail15normal_iteratorINSA_7pointerIxNSA_11hip_rocprim3tagENSA_11use_defaultESG_EEEEPS6_SJ_NS0_5tupleIJPxSJ_EEENSK_IJSJ_SJ_EEES6_PlJ7is_evenIxEEEE10hipError_tPvRmT3_T4_T5_T6_T7_T9_mT8_P12ihipStream_tbDpT10_ENKUlT_T0_E_clISt17integral_constantIbLb0EES19_IbLb1EEEEDaS15_S16_EUlS15_E_NS1_11comp_targetILNS1_3genE9ELNS1_11target_archE1100ELNS1_3gpuE3ELNS1_3repE0EEENS1_30default_config_static_selectorELNS0_4arch9wavefront6targetE1EEEvT1_
    .private_segment_fixed_size: 0
    .sgpr_count:     4
    .sgpr_spill_count: 0
    .symbol:         _ZN7rocprim17ROCPRIM_400000_NS6detail17trampoline_kernelINS0_14default_configENS1_25partition_config_selectorILNS1_17partition_subalgoE3ExNS0_10empty_typeEbEEZZNS1_14partition_implILS5_3ELb0ES3_jN6thrust23THRUST_200600_302600_NS6detail15normal_iteratorINSA_7pointerIxNSA_11hip_rocprim3tagENSA_11use_defaultESG_EEEEPS6_SJ_NS0_5tupleIJPxSJ_EEENSK_IJSJ_SJ_EEES6_PlJ7is_evenIxEEEE10hipError_tPvRmT3_T4_T5_T6_T7_T9_mT8_P12ihipStream_tbDpT10_ENKUlT_T0_E_clISt17integral_constantIbLb0EES19_IbLb1EEEEDaS15_S16_EUlS15_E_NS1_11comp_targetILNS1_3genE9ELNS1_11target_archE1100ELNS1_3gpuE3ELNS1_3repE0EEENS1_30default_config_static_selectorELNS0_4arch9wavefront6targetE1EEEvT1_.kd
    .uniform_work_group_size: 1
    .uses_dynamic_stack: false
    .vgpr_count:     0
    .vgpr_spill_count: 0
    .wavefront_size: 64
  - .agpr_count:     0
    .args:
      - .offset:         0
        .size:           136
        .value_kind:     by_value
    .group_segment_fixed_size: 0
    .kernarg_segment_align: 8
    .kernarg_segment_size: 136
    .language:       OpenCL C
    .language_version:
      - 2
      - 0
    .max_flat_workgroup_size: 512
    .name:           _ZN7rocprim17ROCPRIM_400000_NS6detail17trampoline_kernelINS0_14default_configENS1_25partition_config_selectorILNS1_17partition_subalgoE3ExNS0_10empty_typeEbEEZZNS1_14partition_implILS5_3ELb0ES3_jN6thrust23THRUST_200600_302600_NS6detail15normal_iteratorINSA_7pointerIxNSA_11hip_rocprim3tagENSA_11use_defaultESG_EEEEPS6_SJ_NS0_5tupleIJPxSJ_EEENSK_IJSJ_SJ_EEES6_PlJ7is_evenIxEEEE10hipError_tPvRmT3_T4_T5_T6_T7_T9_mT8_P12ihipStream_tbDpT10_ENKUlT_T0_E_clISt17integral_constantIbLb0EES19_IbLb1EEEEDaS15_S16_EUlS15_E_NS1_11comp_targetILNS1_3genE8ELNS1_11target_archE1030ELNS1_3gpuE2ELNS1_3repE0EEENS1_30default_config_static_selectorELNS0_4arch9wavefront6targetE1EEEvT1_
    .private_segment_fixed_size: 0
    .sgpr_count:     4
    .sgpr_spill_count: 0
    .symbol:         _ZN7rocprim17ROCPRIM_400000_NS6detail17trampoline_kernelINS0_14default_configENS1_25partition_config_selectorILNS1_17partition_subalgoE3ExNS0_10empty_typeEbEEZZNS1_14partition_implILS5_3ELb0ES3_jN6thrust23THRUST_200600_302600_NS6detail15normal_iteratorINSA_7pointerIxNSA_11hip_rocprim3tagENSA_11use_defaultESG_EEEEPS6_SJ_NS0_5tupleIJPxSJ_EEENSK_IJSJ_SJ_EEES6_PlJ7is_evenIxEEEE10hipError_tPvRmT3_T4_T5_T6_T7_T9_mT8_P12ihipStream_tbDpT10_ENKUlT_T0_E_clISt17integral_constantIbLb0EES19_IbLb1EEEEDaS15_S16_EUlS15_E_NS1_11comp_targetILNS1_3genE8ELNS1_11target_archE1030ELNS1_3gpuE2ELNS1_3repE0EEENS1_30default_config_static_selectorELNS0_4arch9wavefront6targetE1EEEvT1_.kd
    .uniform_work_group_size: 1
    .uses_dynamic_stack: false
    .vgpr_count:     0
    .vgpr_spill_count: 0
    .wavefront_size: 64
  - .agpr_count:     0
    .args:
      - .offset:         0
        .size:           72
        .value_kind:     by_value
    .group_segment_fixed_size: 0
    .kernarg_segment_align: 8
    .kernarg_segment_size: 72
    .language:       OpenCL C
    .language_version:
      - 2
      - 0
    .max_flat_workgroup_size: 128
    .name:           _ZN7rocprim17ROCPRIM_400000_NS6detail17trampoline_kernelINS0_14default_configENS1_22reduce_config_selectorIN6thrust23THRUST_200600_302600_NS5tupleIblNS6_9null_typeES8_S8_S8_S8_S8_S8_S8_EEEEZNS1_11reduce_implILb1ES3_PS9_SC_S9_NS6_11hip_rocprim9__find_if7functorIS9_EEEE10hipError_tPvRmT1_T2_T3_mT4_P12ihipStream_tbEUlT_E0_NS1_11comp_targetILNS1_3genE0ELNS1_11target_archE4294967295ELNS1_3gpuE0ELNS1_3repE0EEENS1_30default_config_static_selectorELNS0_4arch9wavefront6targetE1EEEvSK_
    .private_segment_fixed_size: 0
    .sgpr_count:     4
    .sgpr_spill_count: 0
    .symbol:         _ZN7rocprim17ROCPRIM_400000_NS6detail17trampoline_kernelINS0_14default_configENS1_22reduce_config_selectorIN6thrust23THRUST_200600_302600_NS5tupleIblNS6_9null_typeES8_S8_S8_S8_S8_S8_S8_EEEEZNS1_11reduce_implILb1ES3_PS9_SC_S9_NS6_11hip_rocprim9__find_if7functorIS9_EEEE10hipError_tPvRmT1_T2_T3_mT4_P12ihipStream_tbEUlT_E0_NS1_11comp_targetILNS1_3genE0ELNS1_11target_archE4294967295ELNS1_3gpuE0ELNS1_3repE0EEENS1_30default_config_static_selectorELNS0_4arch9wavefront6targetE1EEEvSK_.kd
    .uniform_work_group_size: 1
    .uses_dynamic_stack: false
    .vgpr_count:     0
    .vgpr_spill_count: 0
    .wavefront_size: 64
  - .agpr_count:     0
    .args:
      - .offset:         0
        .size:           72
        .value_kind:     by_value
    .group_segment_fixed_size: 0
    .kernarg_segment_align: 8
    .kernarg_segment_size: 72
    .language:       OpenCL C
    .language_version:
      - 2
      - 0
    .max_flat_workgroup_size: 256
    .name:           _ZN7rocprim17ROCPRIM_400000_NS6detail17trampoline_kernelINS0_14default_configENS1_22reduce_config_selectorIN6thrust23THRUST_200600_302600_NS5tupleIblNS6_9null_typeES8_S8_S8_S8_S8_S8_S8_EEEEZNS1_11reduce_implILb1ES3_PS9_SC_S9_NS6_11hip_rocprim9__find_if7functorIS9_EEEE10hipError_tPvRmT1_T2_T3_mT4_P12ihipStream_tbEUlT_E0_NS1_11comp_targetILNS1_3genE5ELNS1_11target_archE942ELNS1_3gpuE9ELNS1_3repE0EEENS1_30default_config_static_selectorELNS0_4arch9wavefront6targetE1EEEvSK_
    .private_segment_fixed_size: 0
    .sgpr_count:     4
    .sgpr_spill_count: 0
    .symbol:         _ZN7rocprim17ROCPRIM_400000_NS6detail17trampoline_kernelINS0_14default_configENS1_22reduce_config_selectorIN6thrust23THRUST_200600_302600_NS5tupleIblNS6_9null_typeES8_S8_S8_S8_S8_S8_S8_EEEEZNS1_11reduce_implILb1ES3_PS9_SC_S9_NS6_11hip_rocprim9__find_if7functorIS9_EEEE10hipError_tPvRmT1_T2_T3_mT4_P12ihipStream_tbEUlT_E0_NS1_11comp_targetILNS1_3genE5ELNS1_11target_archE942ELNS1_3gpuE9ELNS1_3repE0EEENS1_30default_config_static_selectorELNS0_4arch9wavefront6targetE1EEEvSK_.kd
    .uniform_work_group_size: 1
    .uses_dynamic_stack: false
    .vgpr_count:     0
    .vgpr_spill_count: 0
    .wavefront_size: 64
  - .agpr_count:     0
    .args:
      - .offset:         0
        .size:           72
        .value_kind:     by_value
    .group_segment_fixed_size: 128
    .kernarg_segment_align: 8
    .kernarg_segment_size: 72
    .language:       OpenCL C
    .language_version:
      - 2
      - 0
    .max_flat_workgroup_size: 256
    .name:           _ZN7rocprim17ROCPRIM_400000_NS6detail17trampoline_kernelINS0_14default_configENS1_22reduce_config_selectorIN6thrust23THRUST_200600_302600_NS5tupleIblNS6_9null_typeES8_S8_S8_S8_S8_S8_S8_EEEEZNS1_11reduce_implILb1ES3_PS9_SC_S9_NS6_11hip_rocprim9__find_if7functorIS9_EEEE10hipError_tPvRmT1_T2_T3_mT4_P12ihipStream_tbEUlT_E0_NS1_11comp_targetILNS1_3genE4ELNS1_11target_archE910ELNS1_3gpuE8ELNS1_3repE0EEENS1_30default_config_static_selectorELNS0_4arch9wavefront6targetE1EEEvSK_
    .private_segment_fixed_size: 0
    .sgpr_count:     26
    .sgpr_spill_count: 0
    .symbol:         _ZN7rocprim17ROCPRIM_400000_NS6detail17trampoline_kernelINS0_14default_configENS1_22reduce_config_selectorIN6thrust23THRUST_200600_302600_NS5tupleIblNS6_9null_typeES8_S8_S8_S8_S8_S8_S8_EEEEZNS1_11reduce_implILb1ES3_PS9_SC_S9_NS6_11hip_rocprim9__find_if7functorIS9_EEEE10hipError_tPvRmT1_T2_T3_mT4_P12ihipStream_tbEUlT_E0_NS1_11comp_targetILNS1_3genE4ELNS1_11target_archE910ELNS1_3gpuE8ELNS1_3repE0EEENS1_30default_config_static_selectorELNS0_4arch9wavefront6targetE1EEEvSK_.kd
    .uniform_work_group_size: 1
    .uses_dynamic_stack: false
    .vgpr_count:     12
    .vgpr_spill_count: 0
    .wavefront_size: 64
  - .agpr_count:     0
    .args:
      - .offset:         0
        .size:           72
        .value_kind:     by_value
    .group_segment_fixed_size: 0
    .kernarg_segment_align: 8
    .kernarg_segment_size: 72
    .language:       OpenCL C
    .language_version:
      - 2
      - 0
    .max_flat_workgroup_size: 128
    .name:           _ZN7rocprim17ROCPRIM_400000_NS6detail17trampoline_kernelINS0_14default_configENS1_22reduce_config_selectorIN6thrust23THRUST_200600_302600_NS5tupleIblNS6_9null_typeES8_S8_S8_S8_S8_S8_S8_EEEEZNS1_11reduce_implILb1ES3_PS9_SC_S9_NS6_11hip_rocprim9__find_if7functorIS9_EEEE10hipError_tPvRmT1_T2_T3_mT4_P12ihipStream_tbEUlT_E0_NS1_11comp_targetILNS1_3genE3ELNS1_11target_archE908ELNS1_3gpuE7ELNS1_3repE0EEENS1_30default_config_static_selectorELNS0_4arch9wavefront6targetE1EEEvSK_
    .private_segment_fixed_size: 0
    .sgpr_count:     4
    .sgpr_spill_count: 0
    .symbol:         _ZN7rocprim17ROCPRIM_400000_NS6detail17trampoline_kernelINS0_14default_configENS1_22reduce_config_selectorIN6thrust23THRUST_200600_302600_NS5tupleIblNS6_9null_typeES8_S8_S8_S8_S8_S8_S8_EEEEZNS1_11reduce_implILb1ES3_PS9_SC_S9_NS6_11hip_rocprim9__find_if7functorIS9_EEEE10hipError_tPvRmT1_T2_T3_mT4_P12ihipStream_tbEUlT_E0_NS1_11comp_targetILNS1_3genE3ELNS1_11target_archE908ELNS1_3gpuE7ELNS1_3repE0EEENS1_30default_config_static_selectorELNS0_4arch9wavefront6targetE1EEEvSK_.kd
    .uniform_work_group_size: 1
    .uses_dynamic_stack: false
    .vgpr_count:     0
    .vgpr_spill_count: 0
    .wavefront_size: 64
  - .agpr_count:     0
    .args:
      - .offset:         0
        .size:           72
        .value_kind:     by_value
    .group_segment_fixed_size: 0
    .kernarg_segment_align: 8
    .kernarg_segment_size: 72
    .language:       OpenCL C
    .language_version:
      - 2
      - 0
    .max_flat_workgroup_size: 128
    .name:           _ZN7rocprim17ROCPRIM_400000_NS6detail17trampoline_kernelINS0_14default_configENS1_22reduce_config_selectorIN6thrust23THRUST_200600_302600_NS5tupleIblNS6_9null_typeES8_S8_S8_S8_S8_S8_S8_EEEEZNS1_11reduce_implILb1ES3_PS9_SC_S9_NS6_11hip_rocprim9__find_if7functorIS9_EEEE10hipError_tPvRmT1_T2_T3_mT4_P12ihipStream_tbEUlT_E0_NS1_11comp_targetILNS1_3genE2ELNS1_11target_archE906ELNS1_3gpuE6ELNS1_3repE0EEENS1_30default_config_static_selectorELNS0_4arch9wavefront6targetE1EEEvSK_
    .private_segment_fixed_size: 0
    .sgpr_count:     4
    .sgpr_spill_count: 0
    .symbol:         _ZN7rocprim17ROCPRIM_400000_NS6detail17trampoline_kernelINS0_14default_configENS1_22reduce_config_selectorIN6thrust23THRUST_200600_302600_NS5tupleIblNS6_9null_typeES8_S8_S8_S8_S8_S8_S8_EEEEZNS1_11reduce_implILb1ES3_PS9_SC_S9_NS6_11hip_rocprim9__find_if7functorIS9_EEEE10hipError_tPvRmT1_T2_T3_mT4_P12ihipStream_tbEUlT_E0_NS1_11comp_targetILNS1_3genE2ELNS1_11target_archE906ELNS1_3gpuE6ELNS1_3repE0EEENS1_30default_config_static_selectorELNS0_4arch9wavefront6targetE1EEEvSK_.kd
    .uniform_work_group_size: 1
    .uses_dynamic_stack: false
    .vgpr_count:     0
    .vgpr_spill_count: 0
    .wavefront_size: 64
  - .agpr_count:     0
    .args:
      - .offset:         0
        .size:           72
        .value_kind:     by_value
    .group_segment_fixed_size: 0
    .kernarg_segment_align: 8
    .kernarg_segment_size: 72
    .language:       OpenCL C
    .language_version:
      - 2
      - 0
    .max_flat_workgroup_size: 256
    .name:           _ZN7rocprim17ROCPRIM_400000_NS6detail17trampoline_kernelINS0_14default_configENS1_22reduce_config_selectorIN6thrust23THRUST_200600_302600_NS5tupleIblNS6_9null_typeES8_S8_S8_S8_S8_S8_S8_EEEEZNS1_11reduce_implILb1ES3_PS9_SC_S9_NS6_11hip_rocprim9__find_if7functorIS9_EEEE10hipError_tPvRmT1_T2_T3_mT4_P12ihipStream_tbEUlT_E0_NS1_11comp_targetILNS1_3genE10ELNS1_11target_archE1201ELNS1_3gpuE5ELNS1_3repE0EEENS1_30default_config_static_selectorELNS0_4arch9wavefront6targetE1EEEvSK_
    .private_segment_fixed_size: 0
    .sgpr_count:     4
    .sgpr_spill_count: 0
    .symbol:         _ZN7rocprim17ROCPRIM_400000_NS6detail17trampoline_kernelINS0_14default_configENS1_22reduce_config_selectorIN6thrust23THRUST_200600_302600_NS5tupleIblNS6_9null_typeES8_S8_S8_S8_S8_S8_S8_EEEEZNS1_11reduce_implILb1ES3_PS9_SC_S9_NS6_11hip_rocprim9__find_if7functorIS9_EEEE10hipError_tPvRmT1_T2_T3_mT4_P12ihipStream_tbEUlT_E0_NS1_11comp_targetILNS1_3genE10ELNS1_11target_archE1201ELNS1_3gpuE5ELNS1_3repE0EEENS1_30default_config_static_selectorELNS0_4arch9wavefront6targetE1EEEvSK_.kd
    .uniform_work_group_size: 1
    .uses_dynamic_stack: false
    .vgpr_count:     0
    .vgpr_spill_count: 0
    .wavefront_size: 64
  - .agpr_count:     0
    .args:
      - .offset:         0
        .size:           72
        .value_kind:     by_value
    .group_segment_fixed_size: 0
    .kernarg_segment_align: 8
    .kernarg_segment_size: 72
    .language:       OpenCL C
    .language_version:
      - 2
      - 0
    .max_flat_workgroup_size: 256
    .name:           _ZN7rocprim17ROCPRIM_400000_NS6detail17trampoline_kernelINS0_14default_configENS1_22reduce_config_selectorIN6thrust23THRUST_200600_302600_NS5tupleIblNS6_9null_typeES8_S8_S8_S8_S8_S8_S8_EEEEZNS1_11reduce_implILb1ES3_PS9_SC_S9_NS6_11hip_rocprim9__find_if7functorIS9_EEEE10hipError_tPvRmT1_T2_T3_mT4_P12ihipStream_tbEUlT_E0_NS1_11comp_targetILNS1_3genE10ELNS1_11target_archE1200ELNS1_3gpuE4ELNS1_3repE0EEENS1_30default_config_static_selectorELNS0_4arch9wavefront6targetE1EEEvSK_
    .private_segment_fixed_size: 0
    .sgpr_count:     4
    .sgpr_spill_count: 0
    .symbol:         _ZN7rocprim17ROCPRIM_400000_NS6detail17trampoline_kernelINS0_14default_configENS1_22reduce_config_selectorIN6thrust23THRUST_200600_302600_NS5tupleIblNS6_9null_typeES8_S8_S8_S8_S8_S8_S8_EEEEZNS1_11reduce_implILb1ES3_PS9_SC_S9_NS6_11hip_rocprim9__find_if7functorIS9_EEEE10hipError_tPvRmT1_T2_T3_mT4_P12ihipStream_tbEUlT_E0_NS1_11comp_targetILNS1_3genE10ELNS1_11target_archE1200ELNS1_3gpuE4ELNS1_3repE0EEENS1_30default_config_static_selectorELNS0_4arch9wavefront6targetE1EEEvSK_.kd
    .uniform_work_group_size: 1
    .uses_dynamic_stack: false
    .vgpr_count:     0
    .vgpr_spill_count: 0
    .wavefront_size: 64
  - .agpr_count:     0
    .args:
      - .offset:         0
        .size:           72
        .value_kind:     by_value
    .group_segment_fixed_size: 0
    .kernarg_segment_align: 8
    .kernarg_segment_size: 72
    .language:       OpenCL C
    .language_version:
      - 2
      - 0
    .max_flat_workgroup_size: 256
    .name:           _ZN7rocprim17ROCPRIM_400000_NS6detail17trampoline_kernelINS0_14default_configENS1_22reduce_config_selectorIN6thrust23THRUST_200600_302600_NS5tupleIblNS6_9null_typeES8_S8_S8_S8_S8_S8_S8_EEEEZNS1_11reduce_implILb1ES3_PS9_SC_S9_NS6_11hip_rocprim9__find_if7functorIS9_EEEE10hipError_tPvRmT1_T2_T3_mT4_P12ihipStream_tbEUlT_E0_NS1_11comp_targetILNS1_3genE9ELNS1_11target_archE1100ELNS1_3gpuE3ELNS1_3repE0EEENS1_30default_config_static_selectorELNS0_4arch9wavefront6targetE1EEEvSK_
    .private_segment_fixed_size: 0
    .sgpr_count:     4
    .sgpr_spill_count: 0
    .symbol:         _ZN7rocprim17ROCPRIM_400000_NS6detail17trampoline_kernelINS0_14default_configENS1_22reduce_config_selectorIN6thrust23THRUST_200600_302600_NS5tupleIblNS6_9null_typeES8_S8_S8_S8_S8_S8_S8_EEEEZNS1_11reduce_implILb1ES3_PS9_SC_S9_NS6_11hip_rocprim9__find_if7functorIS9_EEEE10hipError_tPvRmT1_T2_T3_mT4_P12ihipStream_tbEUlT_E0_NS1_11comp_targetILNS1_3genE9ELNS1_11target_archE1100ELNS1_3gpuE3ELNS1_3repE0EEENS1_30default_config_static_selectorELNS0_4arch9wavefront6targetE1EEEvSK_.kd
    .uniform_work_group_size: 1
    .uses_dynamic_stack: false
    .vgpr_count:     0
    .vgpr_spill_count: 0
    .wavefront_size: 64
  - .agpr_count:     0
    .args:
      - .offset:         0
        .size:           72
        .value_kind:     by_value
    .group_segment_fixed_size: 0
    .kernarg_segment_align: 8
    .kernarg_segment_size: 72
    .language:       OpenCL C
    .language_version:
      - 2
      - 0
    .max_flat_workgroup_size: 256
    .name:           _ZN7rocprim17ROCPRIM_400000_NS6detail17trampoline_kernelINS0_14default_configENS1_22reduce_config_selectorIN6thrust23THRUST_200600_302600_NS5tupleIblNS6_9null_typeES8_S8_S8_S8_S8_S8_S8_EEEEZNS1_11reduce_implILb1ES3_PS9_SC_S9_NS6_11hip_rocprim9__find_if7functorIS9_EEEE10hipError_tPvRmT1_T2_T3_mT4_P12ihipStream_tbEUlT_E0_NS1_11comp_targetILNS1_3genE8ELNS1_11target_archE1030ELNS1_3gpuE2ELNS1_3repE0EEENS1_30default_config_static_selectorELNS0_4arch9wavefront6targetE1EEEvSK_
    .private_segment_fixed_size: 0
    .sgpr_count:     4
    .sgpr_spill_count: 0
    .symbol:         _ZN7rocprim17ROCPRIM_400000_NS6detail17trampoline_kernelINS0_14default_configENS1_22reduce_config_selectorIN6thrust23THRUST_200600_302600_NS5tupleIblNS6_9null_typeES8_S8_S8_S8_S8_S8_S8_EEEEZNS1_11reduce_implILb1ES3_PS9_SC_S9_NS6_11hip_rocprim9__find_if7functorIS9_EEEE10hipError_tPvRmT1_T2_T3_mT4_P12ihipStream_tbEUlT_E0_NS1_11comp_targetILNS1_3genE8ELNS1_11target_archE1030ELNS1_3gpuE2ELNS1_3repE0EEENS1_30default_config_static_selectorELNS0_4arch9wavefront6targetE1EEEvSK_.kd
    .uniform_work_group_size: 1
    .uses_dynamic_stack: false
    .vgpr_count:     0
    .vgpr_spill_count: 0
    .wavefront_size: 64
  - .agpr_count:     0
    .args:
      - .offset:         0
        .size:           56
        .value_kind:     by_value
    .group_segment_fixed_size: 0
    .kernarg_segment_align: 8
    .kernarg_segment_size: 56
    .language:       OpenCL C
    .language_version:
      - 2
      - 0
    .max_flat_workgroup_size: 128
    .name:           _ZN7rocprim17ROCPRIM_400000_NS6detail17trampoline_kernelINS0_14default_configENS1_22reduce_config_selectorIN6thrust23THRUST_200600_302600_NS5tupleIblNS6_9null_typeES8_S8_S8_S8_S8_S8_S8_EEEEZNS1_11reduce_implILb1ES3_PS9_SC_S9_NS6_11hip_rocprim9__find_if7functorIS9_EEEE10hipError_tPvRmT1_T2_T3_mT4_P12ihipStream_tbEUlT_E1_NS1_11comp_targetILNS1_3genE0ELNS1_11target_archE4294967295ELNS1_3gpuE0ELNS1_3repE0EEENS1_30default_config_static_selectorELNS0_4arch9wavefront6targetE1EEEvSK_
    .private_segment_fixed_size: 0
    .sgpr_count:     4
    .sgpr_spill_count: 0
    .symbol:         _ZN7rocprim17ROCPRIM_400000_NS6detail17trampoline_kernelINS0_14default_configENS1_22reduce_config_selectorIN6thrust23THRUST_200600_302600_NS5tupleIblNS6_9null_typeES8_S8_S8_S8_S8_S8_S8_EEEEZNS1_11reduce_implILb1ES3_PS9_SC_S9_NS6_11hip_rocprim9__find_if7functorIS9_EEEE10hipError_tPvRmT1_T2_T3_mT4_P12ihipStream_tbEUlT_E1_NS1_11comp_targetILNS1_3genE0ELNS1_11target_archE4294967295ELNS1_3gpuE0ELNS1_3repE0EEENS1_30default_config_static_selectorELNS0_4arch9wavefront6targetE1EEEvSK_.kd
    .uniform_work_group_size: 1
    .uses_dynamic_stack: false
    .vgpr_count:     0
    .vgpr_spill_count: 0
    .wavefront_size: 64
  - .agpr_count:     0
    .args:
      - .offset:         0
        .size:           56
        .value_kind:     by_value
    .group_segment_fixed_size: 0
    .kernarg_segment_align: 8
    .kernarg_segment_size: 56
    .language:       OpenCL C
    .language_version:
      - 2
      - 0
    .max_flat_workgroup_size: 256
    .name:           _ZN7rocprim17ROCPRIM_400000_NS6detail17trampoline_kernelINS0_14default_configENS1_22reduce_config_selectorIN6thrust23THRUST_200600_302600_NS5tupleIblNS6_9null_typeES8_S8_S8_S8_S8_S8_S8_EEEEZNS1_11reduce_implILb1ES3_PS9_SC_S9_NS6_11hip_rocprim9__find_if7functorIS9_EEEE10hipError_tPvRmT1_T2_T3_mT4_P12ihipStream_tbEUlT_E1_NS1_11comp_targetILNS1_3genE5ELNS1_11target_archE942ELNS1_3gpuE9ELNS1_3repE0EEENS1_30default_config_static_selectorELNS0_4arch9wavefront6targetE1EEEvSK_
    .private_segment_fixed_size: 0
    .sgpr_count:     4
    .sgpr_spill_count: 0
    .symbol:         _ZN7rocprim17ROCPRIM_400000_NS6detail17trampoline_kernelINS0_14default_configENS1_22reduce_config_selectorIN6thrust23THRUST_200600_302600_NS5tupleIblNS6_9null_typeES8_S8_S8_S8_S8_S8_S8_EEEEZNS1_11reduce_implILb1ES3_PS9_SC_S9_NS6_11hip_rocprim9__find_if7functorIS9_EEEE10hipError_tPvRmT1_T2_T3_mT4_P12ihipStream_tbEUlT_E1_NS1_11comp_targetILNS1_3genE5ELNS1_11target_archE942ELNS1_3gpuE9ELNS1_3repE0EEENS1_30default_config_static_selectorELNS0_4arch9wavefront6targetE1EEEvSK_.kd
    .uniform_work_group_size: 1
    .uses_dynamic_stack: false
    .vgpr_count:     0
    .vgpr_spill_count: 0
    .wavefront_size: 64
  - .agpr_count:     0
    .args:
      - .offset:         0
        .size:           56
        .value_kind:     by_value
    .group_segment_fixed_size: 320
    .kernarg_segment_align: 8
    .kernarg_segment_size: 56
    .language:       OpenCL C
    .language_version:
      - 2
      - 0
    .max_flat_workgroup_size: 256
    .name:           _ZN7rocprim17ROCPRIM_400000_NS6detail17trampoline_kernelINS0_14default_configENS1_22reduce_config_selectorIN6thrust23THRUST_200600_302600_NS5tupleIblNS6_9null_typeES8_S8_S8_S8_S8_S8_S8_EEEEZNS1_11reduce_implILb1ES3_PS9_SC_S9_NS6_11hip_rocprim9__find_if7functorIS9_EEEE10hipError_tPvRmT1_T2_T3_mT4_P12ihipStream_tbEUlT_E1_NS1_11comp_targetILNS1_3genE4ELNS1_11target_archE910ELNS1_3gpuE8ELNS1_3repE0EEENS1_30default_config_static_selectorELNS0_4arch9wavefront6targetE1EEEvSK_
    .private_segment_fixed_size: 0
    .sgpr_count:     35
    .sgpr_spill_count: 0
    .symbol:         _ZN7rocprim17ROCPRIM_400000_NS6detail17trampoline_kernelINS0_14default_configENS1_22reduce_config_selectorIN6thrust23THRUST_200600_302600_NS5tupleIblNS6_9null_typeES8_S8_S8_S8_S8_S8_S8_EEEEZNS1_11reduce_implILb1ES3_PS9_SC_S9_NS6_11hip_rocprim9__find_if7functorIS9_EEEE10hipError_tPvRmT1_T2_T3_mT4_P12ihipStream_tbEUlT_E1_NS1_11comp_targetILNS1_3genE4ELNS1_11target_archE910ELNS1_3gpuE8ELNS1_3repE0EEENS1_30default_config_static_selectorELNS0_4arch9wavefront6targetE1EEEvSK_.kd
    .uniform_work_group_size: 1
    .uses_dynamic_stack: false
    .vgpr_count:     30
    .vgpr_spill_count: 0
    .wavefront_size: 64
  - .agpr_count:     0
    .args:
      - .offset:         0
        .size:           56
        .value_kind:     by_value
    .group_segment_fixed_size: 0
    .kernarg_segment_align: 8
    .kernarg_segment_size: 56
    .language:       OpenCL C
    .language_version:
      - 2
      - 0
    .max_flat_workgroup_size: 128
    .name:           _ZN7rocprim17ROCPRIM_400000_NS6detail17trampoline_kernelINS0_14default_configENS1_22reduce_config_selectorIN6thrust23THRUST_200600_302600_NS5tupleIblNS6_9null_typeES8_S8_S8_S8_S8_S8_S8_EEEEZNS1_11reduce_implILb1ES3_PS9_SC_S9_NS6_11hip_rocprim9__find_if7functorIS9_EEEE10hipError_tPvRmT1_T2_T3_mT4_P12ihipStream_tbEUlT_E1_NS1_11comp_targetILNS1_3genE3ELNS1_11target_archE908ELNS1_3gpuE7ELNS1_3repE0EEENS1_30default_config_static_selectorELNS0_4arch9wavefront6targetE1EEEvSK_
    .private_segment_fixed_size: 0
    .sgpr_count:     4
    .sgpr_spill_count: 0
    .symbol:         _ZN7rocprim17ROCPRIM_400000_NS6detail17trampoline_kernelINS0_14default_configENS1_22reduce_config_selectorIN6thrust23THRUST_200600_302600_NS5tupleIblNS6_9null_typeES8_S8_S8_S8_S8_S8_S8_EEEEZNS1_11reduce_implILb1ES3_PS9_SC_S9_NS6_11hip_rocprim9__find_if7functorIS9_EEEE10hipError_tPvRmT1_T2_T3_mT4_P12ihipStream_tbEUlT_E1_NS1_11comp_targetILNS1_3genE3ELNS1_11target_archE908ELNS1_3gpuE7ELNS1_3repE0EEENS1_30default_config_static_selectorELNS0_4arch9wavefront6targetE1EEEvSK_.kd
    .uniform_work_group_size: 1
    .uses_dynamic_stack: false
    .vgpr_count:     0
    .vgpr_spill_count: 0
    .wavefront_size: 64
  - .agpr_count:     0
    .args:
      - .offset:         0
        .size:           56
        .value_kind:     by_value
    .group_segment_fixed_size: 0
    .kernarg_segment_align: 8
    .kernarg_segment_size: 56
    .language:       OpenCL C
    .language_version:
      - 2
      - 0
    .max_flat_workgroup_size: 128
    .name:           _ZN7rocprim17ROCPRIM_400000_NS6detail17trampoline_kernelINS0_14default_configENS1_22reduce_config_selectorIN6thrust23THRUST_200600_302600_NS5tupleIblNS6_9null_typeES8_S8_S8_S8_S8_S8_S8_EEEEZNS1_11reduce_implILb1ES3_PS9_SC_S9_NS6_11hip_rocprim9__find_if7functorIS9_EEEE10hipError_tPvRmT1_T2_T3_mT4_P12ihipStream_tbEUlT_E1_NS1_11comp_targetILNS1_3genE2ELNS1_11target_archE906ELNS1_3gpuE6ELNS1_3repE0EEENS1_30default_config_static_selectorELNS0_4arch9wavefront6targetE1EEEvSK_
    .private_segment_fixed_size: 0
    .sgpr_count:     4
    .sgpr_spill_count: 0
    .symbol:         _ZN7rocprim17ROCPRIM_400000_NS6detail17trampoline_kernelINS0_14default_configENS1_22reduce_config_selectorIN6thrust23THRUST_200600_302600_NS5tupleIblNS6_9null_typeES8_S8_S8_S8_S8_S8_S8_EEEEZNS1_11reduce_implILb1ES3_PS9_SC_S9_NS6_11hip_rocprim9__find_if7functorIS9_EEEE10hipError_tPvRmT1_T2_T3_mT4_P12ihipStream_tbEUlT_E1_NS1_11comp_targetILNS1_3genE2ELNS1_11target_archE906ELNS1_3gpuE6ELNS1_3repE0EEENS1_30default_config_static_selectorELNS0_4arch9wavefront6targetE1EEEvSK_.kd
    .uniform_work_group_size: 1
    .uses_dynamic_stack: false
    .vgpr_count:     0
    .vgpr_spill_count: 0
    .wavefront_size: 64
  - .agpr_count:     0
    .args:
      - .offset:         0
        .size:           56
        .value_kind:     by_value
    .group_segment_fixed_size: 0
    .kernarg_segment_align: 8
    .kernarg_segment_size: 56
    .language:       OpenCL C
    .language_version:
      - 2
      - 0
    .max_flat_workgroup_size: 256
    .name:           _ZN7rocprim17ROCPRIM_400000_NS6detail17trampoline_kernelINS0_14default_configENS1_22reduce_config_selectorIN6thrust23THRUST_200600_302600_NS5tupleIblNS6_9null_typeES8_S8_S8_S8_S8_S8_S8_EEEEZNS1_11reduce_implILb1ES3_PS9_SC_S9_NS6_11hip_rocprim9__find_if7functorIS9_EEEE10hipError_tPvRmT1_T2_T3_mT4_P12ihipStream_tbEUlT_E1_NS1_11comp_targetILNS1_3genE10ELNS1_11target_archE1201ELNS1_3gpuE5ELNS1_3repE0EEENS1_30default_config_static_selectorELNS0_4arch9wavefront6targetE1EEEvSK_
    .private_segment_fixed_size: 0
    .sgpr_count:     4
    .sgpr_spill_count: 0
    .symbol:         _ZN7rocprim17ROCPRIM_400000_NS6detail17trampoline_kernelINS0_14default_configENS1_22reduce_config_selectorIN6thrust23THRUST_200600_302600_NS5tupleIblNS6_9null_typeES8_S8_S8_S8_S8_S8_S8_EEEEZNS1_11reduce_implILb1ES3_PS9_SC_S9_NS6_11hip_rocprim9__find_if7functorIS9_EEEE10hipError_tPvRmT1_T2_T3_mT4_P12ihipStream_tbEUlT_E1_NS1_11comp_targetILNS1_3genE10ELNS1_11target_archE1201ELNS1_3gpuE5ELNS1_3repE0EEENS1_30default_config_static_selectorELNS0_4arch9wavefront6targetE1EEEvSK_.kd
    .uniform_work_group_size: 1
    .uses_dynamic_stack: false
    .vgpr_count:     0
    .vgpr_spill_count: 0
    .wavefront_size: 64
  - .agpr_count:     0
    .args:
      - .offset:         0
        .size:           56
        .value_kind:     by_value
    .group_segment_fixed_size: 0
    .kernarg_segment_align: 8
    .kernarg_segment_size: 56
    .language:       OpenCL C
    .language_version:
      - 2
      - 0
    .max_flat_workgroup_size: 256
    .name:           _ZN7rocprim17ROCPRIM_400000_NS6detail17trampoline_kernelINS0_14default_configENS1_22reduce_config_selectorIN6thrust23THRUST_200600_302600_NS5tupleIblNS6_9null_typeES8_S8_S8_S8_S8_S8_S8_EEEEZNS1_11reduce_implILb1ES3_PS9_SC_S9_NS6_11hip_rocprim9__find_if7functorIS9_EEEE10hipError_tPvRmT1_T2_T3_mT4_P12ihipStream_tbEUlT_E1_NS1_11comp_targetILNS1_3genE10ELNS1_11target_archE1200ELNS1_3gpuE4ELNS1_3repE0EEENS1_30default_config_static_selectorELNS0_4arch9wavefront6targetE1EEEvSK_
    .private_segment_fixed_size: 0
    .sgpr_count:     4
    .sgpr_spill_count: 0
    .symbol:         _ZN7rocprim17ROCPRIM_400000_NS6detail17trampoline_kernelINS0_14default_configENS1_22reduce_config_selectorIN6thrust23THRUST_200600_302600_NS5tupleIblNS6_9null_typeES8_S8_S8_S8_S8_S8_S8_EEEEZNS1_11reduce_implILb1ES3_PS9_SC_S9_NS6_11hip_rocprim9__find_if7functorIS9_EEEE10hipError_tPvRmT1_T2_T3_mT4_P12ihipStream_tbEUlT_E1_NS1_11comp_targetILNS1_3genE10ELNS1_11target_archE1200ELNS1_3gpuE4ELNS1_3repE0EEENS1_30default_config_static_selectorELNS0_4arch9wavefront6targetE1EEEvSK_.kd
    .uniform_work_group_size: 1
    .uses_dynamic_stack: false
    .vgpr_count:     0
    .vgpr_spill_count: 0
    .wavefront_size: 64
  - .agpr_count:     0
    .args:
      - .offset:         0
        .size:           56
        .value_kind:     by_value
    .group_segment_fixed_size: 0
    .kernarg_segment_align: 8
    .kernarg_segment_size: 56
    .language:       OpenCL C
    .language_version:
      - 2
      - 0
    .max_flat_workgroup_size: 256
    .name:           _ZN7rocprim17ROCPRIM_400000_NS6detail17trampoline_kernelINS0_14default_configENS1_22reduce_config_selectorIN6thrust23THRUST_200600_302600_NS5tupleIblNS6_9null_typeES8_S8_S8_S8_S8_S8_S8_EEEEZNS1_11reduce_implILb1ES3_PS9_SC_S9_NS6_11hip_rocprim9__find_if7functorIS9_EEEE10hipError_tPvRmT1_T2_T3_mT4_P12ihipStream_tbEUlT_E1_NS1_11comp_targetILNS1_3genE9ELNS1_11target_archE1100ELNS1_3gpuE3ELNS1_3repE0EEENS1_30default_config_static_selectorELNS0_4arch9wavefront6targetE1EEEvSK_
    .private_segment_fixed_size: 0
    .sgpr_count:     4
    .sgpr_spill_count: 0
    .symbol:         _ZN7rocprim17ROCPRIM_400000_NS6detail17trampoline_kernelINS0_14default_configENS1_22reduce_config_selectorIN6thrust23THRUST_200600_302600_NS5tupleIblNS6_9null_typeES8_S8_S8_S8_S8_S8_S8_EEEEZNS1_11reduce_implILb1ES3_PS9_SC_S9_NS6_11hip_rocprim9__find_if7functorIS9_EEEE10hipError_tPvRmT1_T2_T3_mT4_P12ihipStream_tbEUlT_E1_NS1_11comp_targetILNS1_3genE9ELNS1_11target_archE1100ELNS1_3gpuE3ELNS1_3repE0EEENS1_30default_config_static_selectorELNS0_4arch9wavefront6targetE1EEEvSK_.kd
    .uniform_work_group_size: 1
    .uses_dynamic_stack: false
    .vgpr_count:     0
    .vgpr_spill_count: 0
    .wavefront_size: 64
  - .agpr_count:     0
    .args:
      - .offset:         0
        .size:           56
        .value_kind:     by_value
    .group_segment_fixed_size: 0
    .kernarg_segment_align: 8
    .kernarg_segment_size: 56
    .language:       OpenCL C
    .language_version:
      - 2
      - 0
    .max_flat_workgroup_size: 256
    .name:           _ZN7rocprim17ROCPRIM_400000_NS6detail17trampoline_kernelINS0_14default_configENS1_22reduce_config_selectorIN6thrust23THRUST_200600_302600_NS5tupleIblNS6_9null_typeES8_S8_S8_S8_S8_S8_S8_EEEEZNS1_11reduce_implILb1ES3_PS9_SC_S9_NS6_11hip_rocprim9__find_if7functorIS9_EEEE10hipError_tPvRmT1_T2_T3_mT4_P12ihipStream_tbEUlT_E1_NS1_11comp_targetILNS1_3genE8ELNS1_11target_archE1030ELNS1_3gpuE2ELNS1_3repE0EEENS1_30default_config_static_selectorELNS0_4arch9wavefront6targetE1EEEvSK_
    .private_segment_fixed_size: 0
    .sgpr_count:     4
    .sgpr_spill_count: 0
    .symbol:         _ZN7rocprim17ROCPRIM_400000_NS6detail17trampoline_kernelINS0_14default_configENS1_22reduce_config_selectorIN6thrust23THRUST_200600_302600_NS5tupleIblNS6_9null_typeES8_S8_S8_S8_S8_S8_S8_EEEEZNS1_11reduce_implILb1ES3_PS9_SC_S9_NS6_11hip_rocprim9__find_if7functorIS9_EEEE10hipError_tPvRmT1_T2_T3_mT4_P12ihipStream_tbEUlT_E1_NS1_11comp_targetILNS1_3genE8ELNS1_11target_archE1030ELNS1_3gpuE2ELNS1_3repE0EEENS1_30default_config_static_selectorELNS0_4arch9wavefront6targetE1EEEvSK_.kd
    .uniform_work_group_size: 1
    .uses_dynamic_stack: false
    .vgpr_count:     0
    .vgpr_spill_count: 0
    .wavefront_size: 64
  - .agpr_count:     0
    .args:
      - .offset:         0
        .size:           104
        .value_kind:     by_value
    .group_segment_fixed_size: 0
    .kernarg_segment_align: 8
    .kernarg_segment_size: 104
    .language:       OpenCL C
    .language_version:
      - 2
      - 0
    .max_flat_workgroup_size: 128
    .name:           _ZN7rocprim17ROCPRIM_400000_NS6detail17trampoline_kernelINS0_14default_configENS1_22reduce_config_selectorIN6thrust23THRUST_200600_302600_NS5tupleIblNS6_9null_typeES8_S8_S8_S8_S8_S8_S8_EEEEZNS1_11reduce_implILb1ES3_NS6_12zip_iteratorINS7_INS6_11hip_rocprim26transform_input_iterator_tIbNSD_35transform_pair_of_input_iterators_tIbNS6_6detail15normal_iteratorINS6_10device_ptrIKxEEEESL_NS6_8equal_toIxEEEENSG_9not_fun_tINSD_8identityEEEEENSD_19counting_iterator_tIlEES8_S8_S8_S8_S8_S8_S8_S8_EEEEPS9_S9_NSD_9__find_if7functorIS9_EEEE10hipError_tPvRmT1_T2_T3_mT4_P12ihipStream_tbEUlT_E0_NS1_11comp_targetILNS1_3genE0ELNS1_11target_archE4294967295ELNS1_3gpuE0ELNS1_3repE0EEENS1_30default_config_static_selectorELNS0_4arch9wavefront6targetE1EEEvS14_
    .private_segment_fixed_size: 0
    .sgpr_count:     4
    .sgpr_spill_count: 0
    .symbol:         _ZN7rocprim17ROCPRIM_400000_NS6detail17trampoline_kernelINS0_14default_configENS1_22reduce_config_selectorIN6thrust23THRUST_200600_302600_NS5tupleIblNS6_9null_typeES8_S8_S8_S8_S8_S8_S8_EEEEZNS1_11reduce_implILb1ES3_NS6_12zip_iteratorINS7_INS6_11hip_rocprim26transform_input_iterator_tIbNSD_35transform_pair_of_input_iterators_tIbNS6_6detail15normal_iteratorINS6_10device_ptrIKxEEEESL_NS6_8equal_toIxEEEENSG_9not_fun_tINSD_8identityEEEEENSD_19counting_iterator_tIlEES8_S8_S8_S8_S8_S8_S8_S8_EEEEPS9_S9_NSD_9__find_if7functorIS9_EEEE10hipError_tPvRmT1_T2_T3_mT4_P12ihipStream_tbEUlT_E0_NS1_11comp_targetILNS1_3genE0ELNS1_11target_archE4294967295ELNS1_3gpuE0ELNS1_3repE0EEENS1_30default_config_static_selectorELNS0_4arch9wavefront6targetE1EEEvS14_.kd
    .uniform_work_group_size: 1
    .uses_dynamic_stack: false
    .vgpr_count:     0
    .vgpr_spill_count: 0
    .wavefront_size: 64
  - .agpr_count:     0
    .args:
      - .offset:         0
        .size:           104
        .value_kind:     by_value
    .group_segment_fixed_size: 0
    .kernarg_segment_align: 8
    .kernarg_segment_size: 104
    .language:       OpenCL C
    .language_version:
      - 2
      - 0
    .max_flat_workgroup_size: 256
    .name:           _ZN7rocprim17ROCPRIM_400000_NS6detail17trampoline_kernelINS0_14default_configENS1_22reduce_config_selectorIN6thrust23THRUST_200600_302600_NS5tupleIblNS6_9null_typeES8_S8_S8_S8_S8_S8_S8_EEEEZNS1_11reduce_implILb1ES3_NS6_12zip_iteratorINS7_INS6_11hip_rocprim26transform_input_iterator_tIbNSD_35transform_pair_of_input_iterators_tIbNS6_6detail15normal_iteratorINS6_10device_ptrIKxEEEESL_NS6_8equal_toIxEEEENSG_9not_fun_tINSD_8identityEEEEENSD_19counting_iterator_tIlEES8_S8_S8_S8_S8_S8_S8_S8_EEEEPS9_S9_NSD_9__find_if7functorIS9_EEEE10hipError_tPvRmT1_T2_T3_mT4_P12ihipStream_tbEUlT_E0_NS1_11comp_targetILNS1_3genE5ELNS1_11target_archE942ELNS1_3gpuE9ELNS1_3repE0EEENS1_30default_config_static_selectorELNS0_4arch9wavefront6targetE1EEEvS14_
    .private_segment_fixed_size: 0
    .sgpr_count:     4
    .sgpr_spill_count: 0
    .symbol:         _ZN7rocprim17ROCPRIM_400000_NS6detail17trampoline_kernelINS0_14default_configENS1_22reduce_config_selectorIN6thrust23THRUST_200600_302600_NS5tupleIblNS6_9null_typeES8_S8_S8_S8_S8_S8_S8_EEEEZNS1_11reduce_implILb1ES3_NS6_12zip_iteratorINS7_INS6_11hip_rocprim26transform_input_iterator_tIbNSD_35transform_pair_of_input_iterators_tIbNS6_6detail15normal_iteratorINS6_10device_ptrIKxEEEESL_NS6_8equal_toIxEEEENSG_9not_fun_tINSD_8identityEEEEENSD_19counting_iterator_tIlEES8_S8_S8_S8_S8_S8_S8_S8_EEEEPS9_S9_NSD_9__find_if7functorIS9_EEEE10hipError_tPvRmT1_T2_T3_mT4_P12ihipStream_tbEUlT_E0_NS1_11comp_targetILNS1_3genE5ELNS1_11target_archE942ELNS1_3gpuE9ELNS1_3repE0EEENS1_30default_config_static_selectorELNS0_4arch9wavefront6targetE1EEEvS14_.kd
    .uniform_work_group_size: 1
    .uses_dynamic_stack: false
    .vgpr_count:     0
    .vgpr_spill_count: 0
    .wavefront_size: 64
  - .agpr_count:     0
    .args:
      - .offset:         0
        .size:           104
        .value_kind:     by_value
    .group_segment_fixed_size: 128
    .kernarg_segment_align: 8
    .kernarg_segment_size: 104
    .language:       OpenCL C
    .language_version:
      - 2
      - 0
    .max_flat_workgroup_size: 256
    .name:           _ZN7rocprim17ROCPRIM_400000_NS6detail17trampoline_kernelINS0_14default_configENS1_22reduce_config_selectorIN6thrust23THRUST_200600_302600_NS5tupleIblNS6_9null_typeES8_S8_S8_S8_S8_S8_S8_EEEEZNS1_11reduce_implILb1ES3_NS6_12zip_iteratorINS7_INS6_11hip_rocprim26transform_input_iterator_tIbNSD_35transform_pair_of_input_iterators_tIbNS6_6detail15normal_iteratorINS6_10device_ptrIKxEEEESL_NS6_8equal_toIxEEEENSG_9not_fun_tINSD_8identityEEEEENSD_19counting_iterator_tIlEES8_S8_S8_S8_S8_S8_S8_S8_EEEEPS9_S9_NSD_9__find_if7functorIS9_EEEE10hipError_tPvRmT1_T2_T3_mT4_P12ihipStream_tbEUlT_E0_NS1_11comp_targetILNS1_3genE4ELNS1_11target_archE910ELNS1_3gpuE8ELNS1_3repE0EEENS1_30default_config_static_selectorELNS0_4arch9wavefront6targetE1EEEvS14_
    .private_segment_fixed_size: 0
    .sgpr_count:     32
    .sgpr_spill_count: 0
    .symbol:         _ZN7rocprim17ROCPRIM_400000_NS6detail17trampoline_kernelINS0_14default_configENS1_22reduce_config_selectorIN6thrust23THRUST_200600_302600_NS5tupleIblNS6_9null_typeES8_S8_S8_S8_S8_S8_S8_EEEEZNS1_11reduce_implILb1ES3_NS6_12zip_iteratorINS7_INS6_11hip_rocprim26transform_input_iterator_tIbNSD_35transform_pair_of_input_iterators_tIbNS6_6detail15normal_iteratorINS6_10device_ptrIKxEEEESL_NS6_8equal_toIxEEEENSG_9not_fun_tINSD_8identityEEEEENSD_19counting_iterator_tIlEES8_S8_S8_S8_S8_S8_S8_S8_EEEEPS9_S9_NSD_9__find_if7functorIS9_EEEE10hipError_tPvRmT1_T2_T3_mT4_P12ihipStream_tbEUlT_E0_NS1_11comp_targetILNS1_3genE4ELNS1_11target_archE910ELNS1_3gpuE8ELNS1_3repE0EEENS1_30default_config_static_selectorELNS0_4arch9wavefront6targetE1EEEvS14_.kd
    .uniform_work_group_size: 1
    .uses_dynamic_stack: false
    .vgpr_count:     14
    .vgpr_spill_count: 0
    .wavefront_size: 64
  - .agpr_count:     0
    .args:
      - .offset:         0
        .size:           104
        .value_kind:     by_value
    .group_segment_fixed_size: 0
    .kernarg_segment_align: 8
    .kernarg_segment_size: 104
    .language:       OpenCL C
    .language_version:
      - 2
      - 0
    .max_flat_workgroup_size: 128
    .name:           _ZN7rocprim17ROCPRIM_400000_NS6detail17trampoline_kernelINS0_14default_configENS1_22reduce_config_selectorIN6thrust23THRUST_200600_302600_NS5tupleIblNS6_9null_typeES8_S8_S8_S8_S8_S8_S8_EEEEZNS1_11reduce_implILb1ES3_NS6_12zip_iteratorINS7_INS6_11hip_rocprim26transform_input_iterator_tIbNSD_35transform_pair_of_input_iterators_tIbNS6_6detail15normal_iteratorINS6_10device_ptrIKxEEEESL_NS6_8equal_toIxEEEENSG_9not_fun_tINSD_8identityEEEEENSD_19counting_iterator_tIlEES8_S8_S8_S8_S8_S8_S8_S8_EEEEPS9_S9_NSD_9__find_if7functorIS9_EEEE10hipError_tPvRmT1_T2_T3_mT4_P12ihipStream_tbEUlT_E0_NS1_11comp_targetILNS1_3genE3ELNS1_11target_archE908ELNS1_3gpuE7ELNS1_3repE0EEENS1_30default_config_static_selectorELNS0_4arch9wavefront6targetE1EEEvS14_
    .private_segment_fixed_size: 0
    .sgpr_count:     4
    .sgpr_spill_count: 0
    .symbol:         _ZN7rocprim17ROCPRIM_400000_NS6detail17trampoline_kernelINS0_14default_configENS1_22reduce_config_selectorIN6thrust23THRUST_200600_302600_NS5tupleIblNS6_9null_typeES8_S8_S8_S8_S8_S8_S8_EEEEZNS1_11reduce_implILb1ES3_NS6_12zip_iteratorINS7_INS6_11hip_rocprim26transform_input_iterator_tIbNSD_35transform_pair_of_input_iterators_tIbNS6_6detail15normal_iteratorINS6_10device_ptrIKxEEEESL_NS6_8equal_toIxEEEENSG_9not_fun_tINSD_8identityEEEEENSD_19counting_iterator_tIlEES8_S8_S8_S8_S8_S8_S8_S8_EEEEPS9_S9_NSD_9__find_if7functorIS9_EEEE10hipError_tPvRmT1_T2_T3_mT4_P12ihipStream_tbEUlT_E0_NS1_11comp_targetILNS1_3genE3ELNS1_11target_archE908ELNS1_3gpuE7ELNS1_3repE0EEENS1_30default_config_static_selectorELNS0_4arch9wavefront6targetE1EEEvS14_.kd
    .uniform_work_group_size: 1
    .uses_dynamic_stack: false
    .vgpr_count:     0
    .vgpr_spill_count: 0
    .wavefront_size: 64
  - .agpr_count:     0
    .args:
      - .offset:         0
        .size:           104
        .value_kind:     by_value
    .group_segment_fixed_size: 0
    .kernarg_segment_align: 8
    .kernarg_segment_size: 104
    .language:       OpenCL C
    .language_version:
      - 2
      - 0
    .max_flat_workgroup_size: 128
    .name:           _ZN7rocprim17ROCPRIM_400000_NS6detail17trampoline_kernelINS0_14default_configENS1_22reduce_config_selectorIN6thrust23THRUST_200600_302600_NS5tupleIblNS6_9null_typeES8_S8_S8_S8_S8_S8_S8_EEEEZNS1_11reduce_implILb1ES3_NS6_12zip_iteratorINS7_INS6_11hip_rocprim26transform_input_iterator_tIbNSD_35transform_pair_of_input_iterators_tIbNS6_6detail15normal_iteratorINS6_10device_ptrIKxEEEESL_NS6_8equal_toIxEEEENSG_9not_fun_tINSD_8identityEEEEENSD_19counting_iterator_tIlEES8_S8_S8_S8_S8_S8_S8_S8_EEEEPS9_S9_NSD_9__find_if7functorIS9_EEEE10hipError_tPvRmT1_T2_T3_mT4_P12ihipStream_tbEUlT_E0_NS1_11comp_targetILNS1_3genE2ELNS1_11target_archE906ELNS1_3gpuE6ELNS1_3repE0EEENS1_30default_config_static_selectorELNS0_4arch9wavefront6targetE1EEEvS14_
    .private_segment_fixed_size: 0
    .sgpr_count:     4
    .sgpr_spill_count: 0
    .symbol:         _ZN7rocprim17ROCPRIM_400000_NS6detail17trampoline_kernelINS0_14default_configENS1_22reduce_config_selectorIN6thrust23THRUST_200600_302600_NS5tupleIblNS6_9null_typeES8_S8_S8_S8_S8_S8_S8_EEEEZNS1_11reduce_implILb1ES3_NS6_12zip_iteratorINS7_INS6_11hip_rocprim26transform_input_iterator_tIbNSD_35transform_pair_of_input_iterators_tIbNS6_6detail15normal_iteratorINS6_10device_ptrIKxEEEESL_NS6_8equal_toIxEEEENSG_9not_fun_tINSD_8identityEEEEENSD_19counting_iterator_tIlEES8_S8_S8_S8_S8_S8_S8_S8_EEEEPS9_S9_NSD_9__find_if7functorIS9_EEEE10hipError_tPvRmT1_T2_T3_mT4_P12ihipStream_tbEUlT_E0_NS1_11comp_targetILNS1_3genE2ELNS1_11target_archE906ELNS1_3gpuE6ELNS1_3repE0EEENS1_30default_config_static_selectorELNS0_4arch9wavefront6targetE1EEEvS14_.kd
    .uniform_work_group_size: 1
    .uses_dynamic_stack: false
    .vgpr_count:     0
    .vgpr_spill_count: 0
    .wavefront_size: 64
  - .agpr_count:     0
    .args:
      - .offset:         0
        .size:           104
        .value_kind:     by_value
    .group_segment_fixed_size: 0
    .kernarg_segment_align: 8
    .kernarg_segment_size: 104
    .language:       OpenCL C
    .language_version:
      - 2
      - 0
    .max_flat_workgroup_size: 256
    .name:           _ZN7rocprim17ROCPRIM_400000_NS6detail17trampoline_kernelINS0_14default_configENS1_22reduce_config_selectorIN6thrust23THRUST_200600_302600_NS5tupleIblNS6_9null_typeES8_S8_S8_S8_S8_S8_S8_EEEEZNS1_11reduce_implILb1ES3_NS6_12zip_iteratorINS7_INS6_11hip_rocprim26transform_input_iterator_tIbNSD_35transform_pair_of_input_iterators_tIbNS6_6detail15normal_iteratorINS6_10device_ptrIKxEEEESL_NS6_8equal_toIxEEEENSG_9not_fun_tINSD_8identityEEEEENSD_19counting_iterator_tIlEES8_S8_S8_S8_S8_S8_S8_S8_EEEEPS9_S9_NSD_9__find_if7functorIS9_EEEE10hipError_tPvRmT1_T2_T3_mT4_P12ihipStream_tbEUlT_E0_NS1_11comp_targetILNS1_3genE10ELNS1_11target_archE1201ELNS1_3gpuE5ELNS1_3repE0EEENS1_30default_config_static_selectorELNS0_4arch9wavefront6targetE1EEEvS14_
    .private_segment_fixed_size: 0
    .sgpr_count:     4
    .sgpr_spill_count: 0
    .symbol:         _ZN7rocprim17ROCPRIM_400000_NS6detail17trampoline_kernelINS0_14default_configENS1_22reduce_config_selectorIN6thrust23THRUST_200600_302600_NS5tupleIblNS6_9null_typeES8_S8_S8_S8_S8_S8_S8_EEEEZNS1_11reduce_implILb1ES3_NS6_12zip_iteratorINS7_INS6_11hip_rocprim26transform_input_iterator_tIbNSD_35transform_pair_of_input_iterators_tIbNS6_6detail15normal_iteratorINS6_10device_ptrIKxEEEESL_NS6_8equal_toIxEEEENSG_9not_fun_tINSD_8identityEEEEENSD_19counting_iterator_tIlEES8_S8_S8_S8_S8_S8_S8_S8_EEEEPS9_S9_NSD_9__find_if7functorIS9_EEEE10hipError_tPvRmT1_T2_T3_mT4_P12ihipStream_tbEUlT_E0_NS1_11comp_targetILNS1_3genE10ELNS1_11target_archE1201ELNS1_3gpuE5ELNS1_3repE0EEENS1_30default_config_static_selectorELNS0_4arch9wavefront6targetE1EEEvS14_.kd
    .uniform_work_group_size: 1
    .uses_dynamic_stack: false
    .vgpr_count:     0
    .vgpr_spill_count: 0
    .wavefront_size: 64
  - .agpr_count:     0
    .args:
      - .offset:         0
        .size:           104
        .value_kind:     by_value
    .group_segment_fixed_size: 0
    .kernarg_segment_align: 8
    .kernarg_segment_size: 104
    .language:       OpenCL C
    .language_version:
      - 2
      - 0
    .max_flat_workgroup_size: 256
    .name:           _ZN7rocprim17ROCPRIM_400000_NS6detail17trampoline_kernelINS0_14default_configENS1_22reduce_config_selectorIN6thrust23THRUST_200600_302600_NS5tupleIblNS6_9null_typeES8_S8_S8_S8_S8_S8_S8_EEEEZNS1_11reduce_implILb1ES3_NS6_12zip_iteratorINS7_INS6_11hip_rocprim26transform_input_iterator_tIbNSD_35transform_pair_of_input_iterators_tIbNS6_6detail15normal_iteratorINS6_10device_ptrIKxEEEESL_NS6_8equal_toIxEEEENSG_9not_fun_tINSD_8identityEEEEENSD_19counting_iterator_tIlEES8_S8_S8_S8_S8_S8_S8_S8_EEEEPS9_S9_NSD_9__find_if7functorIS9_EEEE10hipError_tPvRmT1_T2_T3_mT4_P12ihipStream_tbEUlT_E0_NS1_11comp_targetILNS1_3genE10ELNS1_11target_archE1200ELNS1_3gpuE4ELNS1_3repE0EEENS1_30default_config_static_selectorELNS0_4arch9wavefront6targetE1EEEvS14_
    .private_segment_fixed_size: 0
    .sgpr_count:     4
    .sgpr_spill_count: 0
    .symbol:         _ZN7rocprim17ROCPRIM_400000_NS6detail17trampoline_kernelINS0_14default_configENS1_22reduce_config_selectorIN6thrust23THRUST_200600_302600_NS5tupleIblNS6_9null_typeES8_S8_S8_S8_S8_S8_S8_EEEEZNS1_11reduce_implILb1ES3_NS6_12zip_iteratorINS7_INS6_11hip_rocprim26transform_input_iterator_tIbNSD_35transform_pair_of_input_iterators_tIbNS6_6detail15normal_iteratorINS6_10device_ptrIKxEEEESL_NS6_8equal_toIxEEEENSG_9not_fun_tINSD_8identityEEEEENSD_19counting_iterator_tIlEES8_S8_S8_S8_S8_S8_S8_S8_EEEEPS9_S9_NSD_9__find_if7functorIS9_EEEE10hipError_tPvRmT1_T2_T3_mT4_P12ihipStream_tbEUlT_E0_NS1_11comp_targetILNS1_3genE10ELNS1_11target_archE1200ELNS1_3gpuE4ELNS1_3repE0EEENS1_30default_config_static_selectorELNS0_4arch9wavefront6targetE1EEEvS14_.kd
    .uniform_work_group_size: 1
    .uses_dynamic_stack: false
    .vgpr_count:     0
    .vgpr_spill_count: 0
    .wavefront_size: 64
  - .agpr_count:     0
    .args:
      - .offset:         0
        .size:           104
        .value_kind:     by_value
    .group_segment_fixed_size: 0
    .kernarg_segment_align: 8
    .kernarg_segment_size: 104
    .language:       OpenCL C
    .language_version:
      - 2
      - 0
    .max_flat_workgroup_size: 256
    .name:           _ZN7rocprim17ROCPRIM_400000_NS6detail17trampoline_kernelINS0_14default_configENS1_22reduce_config_selectorIN6thrust23THRUST_200600_302600_NS5tupleIblNS6_9null_typeES8_S8_S8_S8_S8_S8_S8_EEEEZNS1_11reduce_implILb1ES3_NS6_12zip_iteratorINS7_INS6_11hip_rocprim26transform_input_iterator_tIbNSD_35transform_pair_of_input_iterators_tIbNS6_6detail15normal_iteratorINS6_10device_ptrIKxEEEESL_NS6_8equal_toIxEEEENSG_9not_fun_tINSD_8identityEEEEENSD_19counting_iterator_tIlEES8_S8_S8_S8_S8_S8_S8_S8_EEEEPS9_S9_NSD_9__find_if7functorIS9_EEEE10hipError_tPvRmT1_T2_T3_mT4_P12ihipStream_tbEUlT_E0_NS1_11comp_targetILNS1_3genE9ELNS1_11target_archE1100ELNS1_3gpuE3ELNS1_3repE0EEENS1_30default_config_static_selectorELNS0_4arch9wavefront6targetE1EEEvS14_
    .private_segment_fixed_size: 0
    .sgpr_count:     4
    .sgpr_spill_count: 0
    .symbol:         _ZN7rocprim17ROCPRIM_400000_NS6detail17trampoline_kernelINS0_14default_configENS1_22reduce_config_selectorIN6thrust23THRUST_200600_302600_NS5tupleIblNS6_9null_typeES8_S8_S8_S8_S8_S8_S8_EEEEZNS1_11reduce_implILb1ES3_NS6_12zip_iteratorINS7_INS6_11hip_rocprim26transform_input_iterator_tIbNSD_35transform_pair_of_input_iterators_tIbNS6_6detail15normal_iteratorINS6_10device_ptrIKxEEEESL_NS6_8equal_toIxEEEENSG_9not_fun_tINSD_8identityEEEEENSD_19counting_iterator_tIlEES8_S8_S8_S8_S8_S8_S8_S8_EEEEPS9_S9_NSD_9__find_if7functorIS9_EEEE10hipError_tPvRmT1_T2_T3_mT4_P12ihipStream_tbEUlT_E0_NS1_11comp_targetILNS1_3genE9ELNS1_11target_archE1100ELNS1_3gpuE3ELNS1_3repE0EEENS1_30default_config_static_selectorELNS0_4arch9wavefront6targetE1EEEvS14_.kd
    .uniform_work_group_size: 1
    .uses_dynamic_stack: false
    .vgpr_count:     0
    .vgpr_spill_count: 0
    .wavefront_size: 64
  - .agpr_count:     0
    .args:
      - .offset:         0
        .size:           104
        .value_kind:     by_value
    .group_segment_fixed_size: 0
    .kernarg_segment_align: 8
    .kernarg_segment_size: 104
    .language:       OpenCL C
    .language_version:
      - 2
      - 0
    .max_flat_workgroup_size: 256
    .name:           _ZN7rocprim17ROCPRIM_400000_NS6detail17trampoline_kernelINS0_14default_configENS1_22reduce_config_selectorIN6thrust23THRUST_200600_302600_NS5tupleIblNS6_9null_typeES8_S8_S8_S8_S8_S8_S8_EEEEZNS1_11reduce_implILb1ES3_NS6_12zip_iteratorINS7_INS6_11hip_rocprim26transform_input_iterator_tIbNSD_35transform_pair_of_input_iterators_tIbNS6_6detail15normal_iteratorINS6_10device_ptrIKxEEEESL_NS6_8equal_toIxEEEENSG_9not_fun_tINSD_8identityEEEEENSD_19counting_iterator_tIlEES8_S8_S8_S8_S8_S8_S8_S8_EEEEPS9_S9_NSD_9__find_if7functorIS9_EEEE10hipError_tPvRmT1_T2_T3_mT4_P12ihipStream_tbEUlT_E0_NS1_11comp_targetILNS1_3genE8ELNS1_11target_archE1030ELNS1_3gpuE2ELNS1_3repE0EEENS1_30default_config_static_selectorELNS0_4arch9wavefront6targetE1EEEvS14_
    .private_segment_fixed_size: 0
    .sgpr_count:     4
    .sgpr_spill_count: 0
    .symbol:         _ZN7rocprim17ROCPRIM_400000_NS6detail17trampoline_kernelINS0_14default_configENS1_22reduce_config_selectorIN6thrust23THRUST_200600_302600_NS5tupleIblNS6_9null_typeES8_S8_S8_S8_S8_S8_S8_EEEEZNS1_11reduce_implILb1ES3_NS6_12zip_iteratorINS7_INS6_11hip_rocprim26transform_input_iterator_tIbNSD_35transform_pair_of_input_iterators_tIbNS6_6detail15normal_iteratorINS6_10device_ptrIKxEEEESL_NS6_8equal_toIxEEEENSG_9not_fun_tINSD_8identityEEEEENSD_19counting_iterator_tIlEES8_S8_S8_S8_S8_S8_S8_S8_EEEEPS9_S9_NSD_9__find_if7functorIS9_EEEE10hipError_tPvRmT1_T2_T3_mT4_P12ihipStream_tbEUlT_E0_NS1_11comp_targetILNS1_3genE8ELNS1_11target_archE1030ELNS1_3gpuE2ELNS1_3repE0EEENS1_30default_config_static_selectorELNS0_4arch9wavefront6targetE1EEEvS14_.kd
    .uniform_work_group_size: 1
    .uses_dynamic_stack: false
    .vgpr_count:     0
    .vgpr_spill_count: 0
    .wavefront_size: 64
  - .agpr_count:     0
    .args:
      - .offset:         0
        .size:           88
        .value_kind:     by_value
    .group_segment_fixed_size: 0
    .kernarg_segment_align: 8
    .kernarg_segment_size: 88
    .language:       OpenCL C
    .language_version:
      - 2
      - 0
    .max_flat_workgroup_size: 128
    .name:           _ZN7rocprim17ROCPRIM_400000_NS6detail17trampoline_kernelINS0_14default_configENS1_22reduce_config_selectorIN6thrust23THRUST_200600_302600_NS5tupleIblNS6_9null_typeES8_S8_S8_S8_S8_S8_S8_EEEEZNS1_11reduce_implILb1ES3_NS6_12zip_iteratorINS7_INS6_11hip_rocprim26transform_input_iterator_tIbNSD_35transform_pair_of_input_iterators_tIbNS6_6detail15normal_iteratorINS6_10device_ptrIKxEEEESL_NS6_8equal_toIxEEEENSG_9not_fun_tINSD_8identityEEEEENSD_19counting_iterator_tIlEES8_S8_S8_S8_S8_S8_S8_S8_EEEEPS9_S9_NSD_9__find_if7functorIS9_EEEE10hipError_tPvRmT1_T2_T3_mT4_P12ihipStream_tbEUlT_E1_NS1_11comp_targetILNS1_3genE0ELNS1_11target_archE4294967295ELNS1_3gpuE0ELNS1_3repE0EEENS1_30default_config_static_selectorELNS0_4arch9wavefront6targetE1EEEvS14_
    .private_segment_fixed_size: 0
    .sgpr_count:     4
    .sgpr_spill_count: 0
    .symbol:         _ZN7rocprim17ROCPRIM_400000_NS6detail17trampoline_kernelINS0_14default_configENS1_22reduce_config_selectorIN6thrust23THRUST_200600_302600_NS5tupleIblNS6_9null_typeES8_S8_S8_S8_S8_S8_S8_EEEEZNS1_11reduce_implILb1ES3_NS6_12zip_iteratorINS7_INS6_11hip_rocprim26transform_input_iterator_tIbNSD_35transform_pair_of_input_iterators_tIbNS6_6detail15normal_iteratorINS6_10device_ptrIKxEEEESL_NS6_8equal_toIxEEEENSG_9not_fun_tINSD_8identityEEEEENSD_19counting_iterator_tIlEES8_S8_S8_S8_S8_S8_S8_S8_EEEEPS9_S9_NSD_9__find_if7functorIS9_EEEE10hipError_tPvRmT1_T2_T3_mT4_P12ihipStream_tbEUlT_E1_NS1_11comp_targetILNS1_3genE0ELNS1_11target_archE4294967295ELNS1_3gpuE0ELNS1_3repE0EEENS1_30default_config_static_selectorELNS0_4arch9wavefront6targetE1EEEvS14_.kd
    .uniform_work_group_size: 1
    .uses_dynamic_stack: false
    .vgpr_count:     0
    .vgpr_spill_count: 0
    .wavefront_size: 64
  - .agpr_count:     0
    .args:
      - .offset:         0
        .size:           88
        .value_kind:     by_value
    .group_segment_fixed_size: 0
    .kernarg_segment_align: 8
    .kernarg_segment_size: 88
    .language:       OpenCL C
    .language_version:
      - 2
      - 0
    .max_flat_workgroup_size: 256
    .name:           _ZN7rocprim17ROCPRIM_400000_NS6detail17trampoline_kernelINS0_14default_configENS1_22reduce_config_selectorIN6thrust23THRUST_200600_302600_NS5tupleIblNS6_9null_typeES8_S8_S8_S8_S8_S8_S8_EEEEZNS1_11reduce_implILb1ES3_NS6_12zip_iteratorINS7_INS6_11hip_rocprim26transform_input_iterator_tIbNSD_35transform_pair_of_input_iterators_tIbNS6_6detail15normal_iteratorINS6_10device_ptrIKxEEEESL_NS6_8equal_toIxEEEENSG_9not_fun_tINSD_8identityEEEEENSD_19counting_iterator_tIlEES8_S8_S8_S8_S8_S8_S8_S8_EEEEPS9_S9_NSD_9__find_if7functorIS9_EEEE10hipError_tPvRmT1_T2_T3_mT4_P12ihipStream_tbEUlT_E1_NS1_11comp_targetILNS1_3genE5ELNS1_11target_archE942ELNS1_3gpuE9ELNS1_3repE0EEENS1_30default_config_static_selectorELNS0_4arch9wavefront6targetE1EEEvS14_
    .private_segment_fixed_size: 0
    .sgpr_count:     4
    .sgpr_spill_count: 0
    .symbol:         _ZN7rocprim17ROCPRIM_400000_NS6detail17trampoline_kernelINS0_14default_configENS1_22reduce_config_selectorIN6thrust23THRUST_200600_302600_NS5tupleIblNS6_9null_typeES8_S8_S8_S8_S8_S8_S8_EEEEZNS1_11reduce_implILb1ES3_NS6_12zip_iteratorINS7_INS6_11hip_rocprim26transform_input_iterator_tIbNSD_35transform_pair_of_input_iterators_tIbNS6_6detail15normal_iteratorINS6_10device_ptrIKxEEEESL_NS6_8equal_toIxEEEENSG_9not_fun_tINSD_8identityEEEEENSD_19counting_iterator_tIlEES8_S8_S8_S8_S8_S8_S8_S8_EEEEPS9_S9_NSD_9__find_if7functorIS9_EEEE10hipError_tPvRmT1_T2_T3_mT4_P12ihipStream_tbEUlT_E1_NS1_11comp_targetILNS1_3genE5ELNS1_11target_archE942ELNS1_3gpuE9ELNS1_3repE0EEENS1_30default_config_static_selectorELNS0_4arch9wavefront6targetE1EEEvS14_.kd
    .uniform_work_group_size: 1
    .uses_dynamic_stack: false
    .vgpr_count:     0
    .vgpr_spill_count: 0
    .wavefront_size: 64
  - .agpr_count:     0
    .args:
      - .offset:         0
        .size:           88
        .value_kind:     by_value
    .group_segment_fixed_size: 320
    .kernarg_segment_align: 8
    .kernarg_segment_size: 88
    .language:       OpenCL C
    .language_version:
      - 2
      - 0
    .max_flat_workgroup_size: 256
    .name:           _ZN7rocprim17ROCPRIM_400000_NS6detail17trampoline_kernelINS0_14default_configENS1_22reduce_config_selectorIN6thrust23THRUST_200600_302600_NS5tupleIblNS6_9null_typeES8_S8_S8_S8_S8_S8_S8_EEEEZNS1_11reduce_implILb1ES3_NS6_12zip_iteratorINS7_INS6_11hip_rocprim26transform_input_iterator_tIbNSD_35transform_pair_of_input_iterators_tIbNS6_6detail15normal_iteratorINS6_10device_ptrIKxEEEESL_NS6_8equal_toIxEEEENSG_9not_fun_tINSD_8identityEEEEENSD_19counting_iterator_tIlEES8_S8_S8_S8_S8_S8_S8_S8_EEEEPS9_S9_NSD_9__find_if7functorIS9_EEEE10hipError_tPvRmT1_T2_T3_mT4_P12ihipStream_tbEUlT_E1_NS1_11comp_targetILNS1_3genE4ELNS1_11target_archE910ELNS1_3gpuE8ELNS1_3repE0EEENS1_30default_config_static_selectorELNS0_4arch9wavefront6targetE1EEEvS14_
    .private_segment_fixed_size: 0
    .sgpr_count:     44
    .sgpr_spill_count: 0
    .symbol:         _ZN7rocprim17ROCPRIM_400000_NS6detail17trampoline_kernelINS0_14default_configENS1_22reduce_config_selectorIN6thrust23THRUST_200600_302600_NS5tupleIblNS6_9null_typeES8_S8_S8_S8_S8_S8_S8_EEEEZNS1_11reduce_implILb1ES3_NS6_12zip_iteratorINS7_INS6_11hip_rocprim26transform_input_iterator_tIbNSD_35transform_pair_of_input_iterators_tIbNS6_6detail15normal_iteratorINS6_10device_ptrIKxEEEESL_NS6_8equal_toIxEEEENSG_9not_fun_tINSD_8identityEEEEENSD_19counting_iterator_tIlEES8_S8_S8_S8_S8_S8_S8_S8_EEEEPS9_S9_NSD_9__find_if7functorIS9_EEEE10hipError_tPvRmT1_T2_T3_mT4_P12ihipStream_tbEUlT_E1_NS1_11comp_targetILNS1_3genE4ELNS1_11target_archE910ELNS1_3gpuE8ELNS1_3repE0EEENS1_30default_config_static_selectorELNS0_4arch9wavefront6targetE1EEEvS14_.kd
    .uniform_work_group_size: 1
    .uses_dynamic_stack: false
    .vgpr_count:     44
    .vgpr_spill_count: 0
    .wavefront_size: 64
  - .agpr_count:     0
    .args:
      - .offset:         0
        .size:           88
        .value_kind:     by_value
    .group_segment_fixed_size: 0
    .kernarg_segment_align: 8
    .kernarg_segment_size: 88
    .language:       OpenCL C
    .language_version:
      - 2
      - 0
    .max_flat_workgroup_size: 128
    .name:           _ZN7rocprim17ROCPRIM_400000_NS6detail17trampoline_kernelINS0_14default_configENS1_22reduce_config_selectorIN6thrust23THRUST_200600_302600_NS5tupleIblNS6_9null_typeES8_S8_S8_S8_S8_S8_S8_EEEEZNS1_11reduce_implILb1ES3_NS6_12zip_iteratorINS7_INS6_11hip_rocprim26transform_input_iterator_tIbNSD_35transform_pair_of_input_iterators_tIbNS6_6detail15normal_iteratorINS6_10device_ptrIKxEEEESL_NS6_8equal_toIxEEEENSG_9not_fun_tINSD_8identityEEEEENSD_19counting_iterator_tIlEES8_S8_S8_S8_S8_S8_S8_S8_EEEEPS9_S9_NSD_9__find_if7functorIS9_EEEE10hipError_tPvRmT1_T2_T3_mT4_P12ihipStream_tbEUlT_E1_NS1_11comp_targetILNS1_3genE3ELNS1_11target_archE908ELNS1_3gpuE7ELNS1_3repE0EEENS1_30default_config_static_selectorELNS0_4arch9wavefront6targetE1EEEvS14_
    .private_segment_fixed_size: 0
    .sgpr_count:     4
    .sgpr_spill_count: 0
    .symbol:         _ZN7rocprim17ROCPRIM_400000_NS6detail17trampoline_kernelINS0_14default_configENS1_22reduce_config_selectorIN6thrust23THRUST_200600_302600_NS5tupleIblNS6_9null_typeES8_S8_S8_S8_S8_S8_S8_EEEEZNS1_11reduce_implILb1ES3_NS6_12zip_iteratorINS7_INS6_11hip_rocprim26transform_input_iterator_tIbNSD_35transform_pair_of_input_iterators_tIbNS6_6detail15normal_iteratorINS6_10device_ptrIKxEEEESL_NS6_8equal_toIxEEEENSG_9not_fun_tINSD_8identityEEEEENSD_19counting_iterator_tIlEES8_S8_S8_S8_S8_S8_S8_S8_EEEEPS9_S9_NSD_9__find_if7functorIS9_EEEE10hipError_tPvRmT1_T2_T3_mT4_P12ihipStream_tbEUlT_E1_NS1_11comp_targetILNS1_3genE3ELNS1_11target_archE908ELNS1_3gpuE7ELNS1_3repE0EEENS1_30default_config_static_selectorELNS0_4arch9wavefront6targetE1EEEvS14_.kd
    .uniform_work_group_size: 1
    .uses_dynamic_stack: false
    .vgpr_count:     0
    .vgpr_spill_count: 0
    .wavefront_size: 64
  - .agpr_count:     0
    .args:
      - .offset:         0
        .size:           88
        .value_kind:     by_value
    .group_segment_fixed_size: 0
    .kernarg_segment_align: 8
    .kernarg_segment_size: 88
    .language:       OpenCL C
    .language_version:
      - 2
      - 0
    .max_flat_workgroup_size: 128
    .name:           _ZN7rocprim17ROCPRIM_400000_NS6detail17trampoline_kernelINS0_14default_configENS1_22reduce_config_selectorIN6thrust23THRUST_200600_302600_NS5tupleIblNS6_9null_typeES8_S8_S8_S8_S8_S8_S8_EEEEZNS1_11reduce_implILb1ES3_NS6_12zip_iteratorINS7_INS6_11hip_rocprim26transform_input_iterator_tIbNSD_35transform_pair_of_input_iterators_tIbNS6_6detail15normal_iteratorINS6_10device_ptrIKxEEEESL_NS6_8equal_toIxEEEENSG_9not_fun_tINSD_8identityEEEEENSD_19counting_iterator_tIlEES8_S8_S8_S8_S8_S8_S8_S8_EEEEPS9_S9_NSD_9__find_if7functorIS9_EEEE10hipError_tPvRmT1_T2_T3_mT4_P12ihipStream_tbEUlT_E1_NS1_11comp_targetILNS1_3genE2ELNS1_11target_archE906ELNS1_3gpuE6ELNS1_3repE0EEENS1_30default_config_static_selectorELNS0_4arch9wavefront6targetE1EEEvS14_
    .private_segment_fixed_size: 0
    .sgpr_count:     4
    .sgpr_spill_count: 0
    .symbol:         _ZN7rocprim17ROCPRIM_400000_NS6detail17trampoline_kernelINS0_14default_configENS1_22reduce_config_selectorIN6thrust23THRUST_200600_302600_NS5tupleIblNS6_9null_typeES8_S8_S8_S8_S8_S8_S8_EEEEZNS1_11reduce_implILb1ES3_NS6_12zip_iteratorINS7_INS6_11hip_rocprim26transform_input_iterator_tIbNSD_35transform_pair_of_input_iterators_tIbNS6_6detail15normal_iteratorINS6_10device_ptrIKxEEEESL_NS6_8equal_toIxEEEENSG_9not_fun_tINSD_8identityEEEEENSD_19counting_iterator_tIlEES8_S8_S8_S8_S8_S8_S8_S8_EEEEPS9_S9_NSD_9__find_if7functorIS9_EEEE10hipError_tPvRmT1_T2_T3_mT4_P12ihipStream_tbEUlT_E1_NS1_11comp_targetILNS1_3genE2ELNS1_11target_archE906ELNS1_3gpuE6ELNS1_3repE0EEENS1_30default_config_static_selectorELNS0_4arch9wavefront6targetE1EEEvS14_.kd
    .uniform_work_group_size: 1
    .uses_dynamic_stack: false
    .vgpr_count:     0
    .vgpr_spill_count: 0
    .wavefront_size: 64
  - .agpr_count:     0
    .args:
      - .offset:         0
        .size:           88
        .value_kind:     by_value
    .group_segment_fixed_size: 0
    .kernarg_segment_align: 8
    .kernarg_segment_size: 88
    .language:       OpenCL C
    .language_version:
      - 2
      - 0
    .max_flat_workgroup_size: 256
    .name:           _ZN7rocprim17ROCPRIM_400000_NS6detail17trampoline_kernelINS0_14default_configENS1_22reduce_config_selectorIN6thrust23THRUST_200600_302600_NS5tupleIblNS6_9null_typeES8_S8_S8_S8_S8_S8_S8_EEEEZNS1_11reduce_implILb1ES3_NS6_12zip_iteratorINS7_INS6_11hip_rocprim26transform_input_iterator_tIbNSD_35transform_pair_of_input_iterators_tIbNS6_6detail15normal_iteratorINS6_10device_ptrIKxEEEESL_NS6_8equal_toIxEEEENSG_9not_fun_tINSD_8identityEEEEENSD_19counting_iterator_tIlEES8_S8_S8_S8_S8_S8_S8_S8_EEEEPS9_S9_NSD_9__find_if7functorIS9_EEEE10hipError_tPvRmT1_T2_T3_mT4_P12ihipStream_tbEUlT_E1_NS1_11comp_targetILNS1_3genE10ELNS1_11target_archE1201ELNS1_3gpuE5ELNS1_3repE0EEENS1_30default_config_static_selectorELNS0_4arch9wavefront6targetE1EEEvS14_
    .private_segment_fixed_size: 0
    .sgpr_count:     4
    .sgpr_spill_count: 0
    .symbol:         _ZN7rocprim17ROCPRIM_400000_NS6detail17trampoline_kernelINS0_14default_configENS1_22reduce_config_selectorIN6thrust23THRUST_200600_302600_NS5tupleIblNS6_9null_typeES8_S8_S8_S8_S8_S8_S8_EEEEZNS1_11reduce_implILb1ES3_NS6_12zip_iteratorINS7_INS6_11hip_rocprim26transform_input_iterator_tIbNSD_35transform_pair_of_input_iterators_tIbNS6_6detail15normal_iteratorINS6_10device_ptrIKxEEEESL_NS6_8equal_toIxEEEENSG_9not_fun_tINSD_8identityEEEEENSD_19counting_iterator_tIlEES8_S8_S8_S8_S8_S8_S8_S8_EEEEPS9_S9_NSD_9__find_if7functorIS9_EEEE10hipError_tPvRmT1_T2_T3_mT4_P12ihipStream_tbEUlT_E1_NS1_11comp_targetILNS1_3genE10ELNS1_11target_archE1201ELNS1_3gpuE5ELNS1_3repE0EEENS1_30default_config_static_selectorELNS0_4arch9wavefront6targetE1EEEvS14_.kd
    .uniform_work_group_size: 1
    .uses_dynamic_stack: false
    .vgpr_count:     0
    .vgpr_spill_count: 0
    .wavefront_size: 64
  - .agpr_count:     0
    .args:
      - .offset:         0
        .size:           88
        .value_kind:     by_value
    .group_segment_fixed_size: 0
    .kernarg_segment_align: 8
    .kernarg_segment_size: 88
    .language:       OpenCL C
    .language_version:
      - 2
      - 0
    .max_flat_workgroup_size: 256
    .name:           _ZN7rocprim17ROCPRIM_400000_NS6detail17trampoline_kernelINS0_14default_configENS1_22reduce_config_selectorIN6thrust23THRUST_200600_302600_NS5tupleIblNS6_9null_typeES8_S8_S8_S8_S8_S8_S8_EEEEZNS1_11reduce_implILb1ES3_NS6_12zip_iteratorINS7_INS6_11hip_rocprim26transform_input_iterator_tIbNSD_35transform_pair_of_input_iterators_tIbNS6_6detail15normal_iteratorINS6_10device_ptrIKxEEEESL_NS6_8equal_toIxEEEENSG_9not_fun_tINSD_8identityEEEEENSD_19counting_iterator_tIlEES8_S8_S8_S8_S8_S8_S8_S8_EEEEPS9_S9_NSD_9__find_if7functorIS9_EEEE10hipError_tPvRmT1_T2_T3_mT4_P12ihipStream_tbEUlT_E1_NS1_11comp_targetILNS1_3genE10ELNS1_11target_archE1200ELNS1_3gpuE4ELNS1_3repE0EEENS1_30default_config_static_selectorELNS0_4arch9wavefront6targetE1EEEvS14_
    .private_segment_fixed_size: 0
    .sgpr_count:     4
    .sgpr_spill_count: 0
    .symbol:         _ZN7rocprim17ROCPRIM_400000_NS6detail17trampoline_kernelINS0_14default_configENS1_22reduce_config_selectorIN6thrust23THRUST_200600_302600_NS5tupleIblNS6_9null_typeES8_S8_S8_S8_S8_S8_S8_EEEEZNS1_11reduce_implILb1ES3_NS6_12zip_iteratorINS7_INS6_11hip_rocprim26transform_input_iterator_tIbNSD_35transform_pair_of_input_iterators_tIbNS6_6detail15normal_iteratorINS6_10device_ptrIKxEEEESL_NS6_8equal_toIxEEEENSG_9not_fun_tINSD_8identityEEEEENSD_19counting_iterator_tIlEES8_S8_S8_S8_S8_S8_S8_S8_EEEEPS9_S9_NSD_9__find_if7functorIS9_EEEE10hipError_tPvRmT1_T2_T3_mT4_P12ihipStream_tbEUlT_E1_NS1_11comp_targetILNS1_3genE10ELNS1_11target_archE1200ELNS1_3gpuE4ELNS1_3repE0EEENS1_30default_config_static_selectorELNS0_4arch9wavefront6targetE1EEEvS14_.kd
    .uniform_work_group_size: 1
    .uses_dynamic_stack: false
    .vgpr_count:     0
    .vgpr_spill_count: 0
    .wavefront_size: 64
  - .agpr_count:     0
    .args:
      - .offset:         0
        .size:           88
        .value_kind:     by_value
    .group_segment_fixed_size: 0
    .kernarg_segment_align: 8
    .kernarg_segment_size: 88
    .language:       OpenCL C
    .language_version:
      - 2
      - 0
    .max_flat_workgroup_size: 256
    .name:           _ZN7rocprim17ROCPRIM_400000_NS6detail17trampoline_kernelINS0_14default_configENS1_22reduce_config_selectorIN6thrust23THRUST_200600_302600_NS5tupleIblNS6_9null_typeES8_S8_S8_S8_S8_S8_S8_EEEEZNS1_11reduce_implILb1ES3_NS6_12zip_iteratorINS7_INS6_11hip_rocprim26transform_input_iterator_tIbNSD_35transform_pair_of_input_iterators_tIbNS6_6detail15normal_iteratorINS6_10device_ptrIKxEEEESL_NS6_8equal_toIxEEEENSG_9not_fun_tINSD_8identityEEEEENSD_19counting_iterator_tIlEES8_S8_S8_S8_S8_S8_S8_S8_EEEEPS9_S9_NSD_9__find_if7functorIS9_EEEE10hipError_tPvRmT1_T2_T3_mT4_P12ihipStream_tbEUlT_E1_NS1_11comp_targetILNS1_3genE9ELNS1_11target_archE1100ELNS1_3gpuE3ELNS1_3repE0EEENS1_30default_config_static_selectorELNS0_4arch9wavefront6targetE1EEEvS14_
    .private_segment_fixed_size: 0
    .sgpr_count:     4
    .sgpr_spill_count: 0
    .symbol:         _ZN7rocprim17ROCPRIM_400000_NS6detail17trampoline_kernelINS0_14default_configENS1_22reduce_config_selectorIN6thrust23THRUST_200600_302600_NS5tupleIblNS6_9null_typeES8_S8_S8_S8_S8_S8_S8_EEEEZNS1_11reduce_implILb1ES3_NS6_12zip_iteratorINS7_INS6_11hip_rocprim26transform_input_iterator_tIbNSD_35transform_pair_of_input_iterators_tIbNS6_6detail15normal_iteratorINS6_10device_ptrIKxEEEESL_NS6_8equal_toIxEEEENSG_9not_fun_tINSD_8identityEEEEENSD_19counting_iterator_tIlEES8_S8_S8_S8_S8_S8_S8_S8_EEEEPS9_S9_NSD_9__find_if7functorIS9_EEEE10hipError_tPvRmT1_T2_T3_mT4_P12ihipStream_tbEUlT_E1_NS1_11comp_targetILNS1_3genE9ELNS1_11target_archE1100ELNS1_3gpuE3ELNS1_3repE0EEENS1_30default_config_static_selectorELNS0_4arch9wavefront6targetE1EEEvS14_.kd
    .uniform_work_group_size: 1
    .uses_dynamic_stack: false
    .vgpr_count:     0
    .vgpr_spill_count: 0
    .wavefront_size: 64
  - .agpr_count:     0
    .args:
      - .offset:         0
        .size:           88
        .value_kind:     by_value
    .group_segment_fixed_size: 0
    .kernarg_segment_align: 8
    .kernarg_segment_size: 88
    .language:       OpenCL C
    .language_version:
      - 2
      - 0
    .max_flat_workgroup_size: 256
    .name:           _ZN7rocprim17ROCPRIM_400000_NS6detail17trampoline_kernelINS0_14default_configENS1_22reduce_config_selectorIN6thrust23THRUST_200600_302600_NS5tupleIblNS6_9null_typeES8_S8_S8_S8_S8_S8_S8_EEEEZNS1_11reduce_implILb1ES3_NS6_12zip_iteratorINS7_INS6_11hip_rocprim26transform_input_iterator_tIbNSD_35transform_pair_of_input_iterators_tIbNS6_6detail15normal_iteratorINS6_10device_ptrIKxEEEESL_NS6_8equal_toIxEEEENSG_9not_fun_tINSD_8identityEEEEENSD_19counting_iterator_tIlEES8_S8_S8_S8_S8_S8_S8_S8_EEEEPS9_S9_NSD_9__find_if7functorIS9_EEEE10hipError_tPvRmT1_T2_T3_mT4_P12ihipStream_tbEUlT_E1_NS1_11comp_targetILNS1_3genE8ELNS1_11target_archE1030ELNS1_3gpuE2ELNS1_3repE0EEENS1_30default_config_static_selectorELNS0_4arch9wavefront6targetE1EEEvS14_
    .private_segment_fixed_size: 0
    .sgpr_count:     4
    .sgpr_spill_count: 0
    .symbol:         _ZN7rocprim17ROCPRIM_400000_NS6detail17trampoline_kernelINS0_14default_configENS1_22reduce_config_selectorIN6thrust23THRUST_200600_302600_NS5tupleIblNS6_9null_typeES8_S8_S8_S8_S8_S8_S8_EEEEZNS1_11reduce_implILb1ES3_NS6_12zip_iteratorINS7_INS6_11hip_rocprim26transform_input_iterator_tIbNSD_35transform_pair_of_input_iterators_tIbNS6_6detail15normal_iteratorINS6_10device_ptrIKxEEEESL_NS6_8equal_toIxEEEENSG_9not_fun_tINSD_8identityEEEEENSD_19counting_iterator_tIlEES8_S8_S8_S8_S8_S8_S8_S8_EEEEPS9_S9_NSD_9__find_if7functorIS9_EEEE10hipError_tPvRmT1_T2_T3_mT4_P12ihipStream_tbEUlT_E1_NS1_11comp_targetILNS1_3genE8ELNS1_11target_archE1030ELNS1_3gpuE2ELNS1_3repE0EEENS1_30default_config_static_selectorELNS0_4arch9wavefront6targetE1EEEvS14_.kd
    .uniform_work_group_size: 1
    .uses_dynamic_stack: false
    .vgpr_count:     0
    .vgpr_spill_count: 0
    .wavefront_size: 64
  - .agpr_count:     0
    .args:
      - .offset:         0
        .size:           16
        .value_kind:     by_value
      - .offset:         16
        .size:           8
        .value_kind:     by_value
      - .offset:         24
        .size:           8
        .value_kind:     by_value
    .group_segment_fixed_size: 0
    .kernarg_segment_align: 8
    .kernarg_segment_size: 32
    .language:       OpenCL C
    .language_version:
      - 2
      - 0
    .max_flat_workgroup_size: 256
    .name:           _ZN6thrust23THRUST_200600_302600_NS11hip_rocprim14__parallel_for6kernelILj256ENS1_10for_each_fINS0_7pointerINS0_5tupleIblNS0_9null_typeES7_S7_S7_S7_S7_S7_S7_EENS1_3tagENS0_11use_defaultESA_EENS0_6detail16wrapped_functionINSC_23allocator_traits_detail24construct1_via_allocatorINSC_18no_throw_allocatorINSC_19temporary_allocatorIS8_S9_EEEEEEvEEEEmLj1EEEvT0_T1_SO_
    .private_segment_fixed_size: 0
    .sgpr_count:     16
    .sgpr_spill_count: 0
    .symbol:         _ZN6thrust23THRUST_200600_302600_NS11hip_rocprim14__parallel_for6kernelILj256ENS1_10for_each_fINS0_7pointerINS0_5tupleIblNS0_9null_typeES7_S7_S7_S7_S7_S7_S7_EENS1_3tagENS0_11use_defaultESA_EENS0_6detail16wrapped_functionINSC_23allocator_traits_detail24construct1_via_allocatorINSC_18no_throw_allocatorINSC_19temporary_allocatorIS8_S9_EEEEEEvEEEEmLj1EEEvT0_T1_SO_.kd
    .uniform_work_group_size: 1
    .uses_dynamic_stack: false
    .vgpr_count:     4
    .vgpr_spill_count: 0
    .wavefront_size: 64
  - .agpr_count:     0
    .args:
      - .offset:         0
        .size:           16
        .value_kind:     by_value
      - .offset:         16
        .size:           8
        .value_kind:     by_value
      - .offset:         24
        .size:           8
        .value_kind:     by_value
    .group_segment_fixed_size: 0
    .kernarg_segment_align: 8
    .kernarg_segment_size: 32
    .language:       OpenCL C
    .language_version:
      - 2
      - 0
    .max_flat_workgroup_size: 256
    .name:           _ZN6thrust23THRUST_200600_302600_NS11hip_rocprim14__parallel_for6kernelILj256ENS1_10for_each_fINS0_7pointerINS0_5tupleIblNS0_9null_typeES7_S7_S7_S7_S7_S7_S7_EENS1_3tagENS0_11use_defaultESA_EENS0_6detail16wrapped_functionINSC_23allocator_traits_detail5gozerEvEEEElLj1EEEvT0_T1_SJ_
    .private_segment_fixed_size: 0
    .sgpr_count:     4
    .sgpr_spill_count: 0
    .symbol:         _ZN6thrust23THRUST_200600_302600_NS11hip_rocprim14__parallel_for6kernelILj256ENS1_10for_each_fINS0_7pointerINS0_5tupleIblNS0_9null_typeES7_S7_S7_S7_S7_S7_S7_EENS1_3tagENS0_11use_defaultESA_EENS0_6detail16wrapped_functionINSC_23allocator_traits_detail5gozerEvEEEElLj1EEEvT0_T1_SJ_.kd
    .uniform_work_group_size: 1
    .uses_dynamic_stack: false
    .vgpr_count:     0
    .vgpr_spill_count: 0
    .wavefront_size: 64
  - .agpr_count:     0
    .args:
      - .offset:         0
        .size:           16
        .value_kind:     by_value
      - .offset:         16
        .size:           8
        .value_kind:     by_value
      - .offset:         24
        .size:           8
        .value_kind:     by_value
    .group_segment_fixed_size: 0
    .kernarg_segment_align: 8
    .kernarg_segment_size: 32
    .language:       OpenCL C
    .language_version:
      - 2
      - 0
    .max_flat_workgroup_size: 256
    .name:           _ZN6thrust23THRUST_200600_302600_NS11hip_rocprim14__parallel_for6kernelILj256ENS1_20__uninitialized_copy7functorIPNS0_5tupleIblNS0_9null_typeES7_S7_S7_S7_S7_S7_S7_EENS0_7pointerIS8_NS1_3tagENS0_11use_defaultESC_EEEEmLj1EEEvT0_T1_SG_
    .private_segment_fixed_size: 0
    .sgpr_count:     20
    .sgpr_spill_count: 0
    .symbol:         _ZN6thrust23THRUST_200600_302600_NS11hip_rocprim14__parallel_for6kernelILj256ENS1_20__uninitialized_copy7functorIPNS0_5tupleIblNS0_9null_typeES7_S7_S7_S7_S7_S7_S7_EENS0_7pointerIS8_NS1_3tagENS0_11use_defaultESC_EEEEmLj1EEEvT0_T1_SG_.kd
    .uniform_work_group_size: 1
    .uses_dynamic_stack: false
    .vgpr_count:     8
    .vgpr_spill_count: 0
    .wavefront_size: 64
  - .agpr_count:     0
    .args:
      - .offset:         0
        .size:           16
        .value_kind:     by_value
      - .offset:         16
        .size:           8
        .value_kind:     by_value
      - .offset:         24
        .size:           8
        .value_kind:     by_value
    .group_segment_fixed_size: 0
    .kernarg_segment_align: 8
    .kernarg_segment_size: 32
    .language:       OpenCL C
    .language_version:
      - 2
      - 0
    .max_flat_workgroup_size: 256
    .name:           _ZN6thrust23THRUST_200600_302600_NS11hip_rocprim14__parallel_for6kernelILj256ENS1_20__uninitialized_copy7functorINS0_6detail15normal_iteratorINS0_10device_ptrIiEEEENS7_INS0_7pointerIiNS1_3tagENS0_11use_defaultESD_EEEEEElLj1EEEvT0_T1_SI_
    .private_segment_fixed_size: 0
    .sgpr_count:     20
    .sgpr_spill_count: 0
    .symbol:         _ZN6thrust23THRUST_200600_302600_NS11hip_rocprim14__parallel_for6kernelILj256ENS1_20__uninitialized_copy7functorINS0_6detail15normal_iteratorINS0_10device_ptrIiEEEENS7_INS0_7pointerIiNS1_3tagENS0_11use_defaultESD_EEEEEElLj1EEEvT0_T1_SI_.kd
    .uniform_work_group_size: 1
    .uses_dynamic_stack: false
    .vgpr_count:     6
    .vgpr_spill_count: 0
    .wavefront_size: 64
  - .agpr_count:     0
    .args:
      - .offset:         0
        .size:           120
        .value_kind:     by_value
    .group_segment_fixed_size: 0
    .kernarg_segment_align: 8
    .kernarg_segment_size: 120
    .language:       OpenCL C
    .language_version:
      - 2
      - 0
    .max_flat_workgroup_size: 256
    .name:           _ZN7rocprim17ROCPRIM_400000_NS6detail17trampoline_kernelINS0_14default_configENS1_25partition_config_selectorILNS1_17partition_subalgoE3EiNS0_10empty_typeEbEEZZNS1_14partition_implILS5_3ELb0ES3_jN6thrust23THRUST_200600_302600_NS6detail15normal_iteratorINSA_7pointerIiNSA_11hip_rocprim3tagENSA_11use_defaultESG_EEEEPS6_SJ_NS0_5tupleIJPiSJ_EEENSK_IJSJ_SJ_EEES6_PlJ7is_evenIiEEEE10hipError_tPvRmT3_T4_T5_T6_T7_T9_mT8_P12ihipStream_tbDpT10_ENKUlT_T0_E_clISt17integral_constantIbLb0EES1A_EEDaS15_S16_EUlS15_E_NS1_11comp_targetILNS1_3genE0ELNS1_11target_archE4294967295ELNS1_3gpuE0ELNS1_3repE0EEENS1_30default_config_static_selectorELNS0_4arch9wavefront6targetE1EEEvT1_
    .private_segment_fixed_size: 0
    .sgpr_count:     4
    .sgpr_spill_count: 0
    .symbol:         _ZN7rocprim17ROCPRIM_400000_NS6detail17trampoline_kernelINS0_14default_configENS1_25partition_config_selectorILNS1_17partition_subalgoE3EiNS0_10empty_typeEbEEZZNS1_14partition_implILS5_3ELb0ES3_jN6thrust23THRUST_200600_302600_NS6detail15normal_iteratorINSA_7pointerIiNSA_11hip_rocprim3tagENSA_11use_defaultESG_EEEEPS6_SJ_NS0_5tupleIJPiSJ_EEENSK_IJSJ_SJ_EEES6_PlJ7is_evenIiEEEE10hipError_tPvRmT3_T4_T5_T6_T7_T9_mT8_P12ihipStream_tbDpT10_ENKUlT_T0_E_clISt17integral_constantIbLb0EES1A_EEDaS15_S16_EUlS15_E_NS1_11comp_targetILNS1_3genE0ELNS1_11target_archE4294967295ELNS1_3gpuE0ELNS1_3repE0EEENS1_30default_config_static_selectorELNS0_4arch9wavefront6targetE1EEEvT1_.kd
    .uniform_work_group_size: 1
    .uses_dynamic_stack: false
    .vgpr_count:     0
    .vgpr_spill_count: 0
    .wavefront_size: 64
  - .agpr_count:     0
    .args:
      - .offset:         0
        .size:           120
        .value_kind:     by_value
    .group_segment_fixed_size: 0
    .kernarg_segment_align: 8
    .kernarg_segment_size: 120
    .language:       OpenCL C
    .language_version:
      - 2
      - 0
    .max_flat_workgroup_size: 512
    .name:           _ZN7rocprim17ROCPRIM_400000_NS6detail17trampoline_kernelINS0_14default_configENS1_25partition_config_selectorILNS1_17partition_subalgoE3EiNS0_10empty_typeEbEEZZNS1_14partition_implILS5_3ELb0ES3_jN6thrust23THRUST_200600_302600_NS6detail15normal_iteratorINSA_7pointerIiNSA_11hip_rocprim3tagENSA_11use_defaultESG_EEEEPS6_SJ_NS0_5tupleIJPiSJ_EEENSK_IJSJ_SJ_EEES6_PlJ7is_evenIiEEEE10hipError_tPvRmT3_T4_T5_T6_T7_T9_mT8_P12ihipStream_tbDpT10_ENKUlT_T0_E_clISt17integral_constantIbLb0EES1A_EEDaS15_S16_EUlS15_E_NS1_11comp_targetILNS1_3genE5ELNS1_11target_archE942ELNS1_3gpuE9ELNS1_3repE0EEENS1_30default_config_static_selectorELNS0_4arch9wavefront6targetE1EEEvT1_
    .private_segment_fixed_size: 0
    .sgpr_count:     4
    .sgpr_spill_count: 0
    .symbol:         _ZN7rocprim17ROCPRIM_400000_NS6detail17trampoline_kernelINS0_14default_configENS1_25partition_config_selectorILNS1_17partition_subalgoE3EiNS0_10empty_typeEbEEZZNS1_14partition_implILS5_3ELb0ES3_jN6thrust23THRUST_200600_302600_NS6detail15normal_iteratorINSA_7pointerIiNSA_11hip_rocprim3tagENSA_11use_defaultESG_EEEEPS6_SJ_NS0_5tupleIJPiSJ_EEENSK_IJSJ_SJ_EEES6_PlJ7is_evenIiEEEE10hipError_tPvRmT3_T4_T5_T6_T7_T9_mT8_P12ihipStream_tbDpT10_ENKUlT_T0_E_clISt17integral_constantIbLb0EES1A_EEDaS15_S16_EUlS15_E_NS1_11comp_targetILNS1_3genE5ELNS1_11target_archE942ELNS1_3gpuE9ELNS1_3repE0EEENS1_30default_config_static_selectorELNS0_4arch9wavefront6targetE1EEEvT1_.kd
    .uniform_work_group_size: 1
    .uses_dynamic_stack: false
    .vgpr_count:     0
    .vgpr_spill_count: 0
    .wavefront_size: 64
  - .agpr_count:     0
    .args:
      - .offset:         0
        .size:           120
        .value_kind:     by_value
    .group_segment_fixed_size: 10248
    .kernarg_segment_align: 8
    .kernarg_segment_size: 120
    .language:       OpenCL C
    .language_version:
      - 2
      - 0
    .max_flat_workgroup_size: 256
    .name:           _ZN7rocprim17ROCPRIM_400000_NS6detail17trampoline_kernelINS0_14default_configENS1_25partition_config_selectorILNS1_17partition_subalgoE3EiNS0_10empty_typeEbEEZZNS1_14partition_implILS5_3ELb0ES3_jN6thrust23THRUST_200600_302600_NS6detail15normal_iteratorINSA_7pointerIiNSA_11hip_rocprim3tagENSA_11use_defaultESG_EEEEPS6_SJ_NS0_5tupleIJPiSJ_EEENSK_IJSJ_SJ_EEES6_PlJ7is_evenIiEEEE10hipError_tPvRmT3_T4_T5_T6_T7_T9_mT8_P12ihipStream_tbDpT10_ENKUlT_T0_E_clISt17integral_constantIbLb0EES1A_EEDaS15_S16_EUlS15_E_NS1_11comp_targetILNS1_3genE4ELNS1_11target_archE910ELNS1_3gpuE8ELNS1_3repE0EEENS1_30default_config_static_selectorELNS0_4arch9wavefront6targetE1EEEvT1_
    .private_segment_fixed_size: 0
    .sgpr_count:     50
    .sgpr_spill_count: 0
    .symbol:         _ZN7rocprim17ROCPRIM_400000_NS6detail17trampoline_kernelINS0_14default_configENS1_25partition_config_selectorILNS1_17partition_subalgoE3EiNS0_10empty_typeEbEEZZNS1_14partition_implILS5_3ELb0ES3_jN6thrust23THRUST_200600_302600_NS6detail15normal_iteratorINSA_7pointerIiNSA_11hip_rocprim3tagENSA_11use_defaultESG_EEEEPS6_SJ_NS0_5tupleIJPiSJ_EEENSK_IJSJ_SJ_EEES6_PlJ7is_evenIiEEEE10hipError_tPvRmT3_T4_T5_T6_T7_T9_mT8_P12ihipStream_tbDpT10_ENKUlT_T0_E_clISt17integral_constantIbLb0EES1A_EEDaS15_S16_EUlS15_E_NS1_11comp_targetILNS1_3genE4ELNS1_11target_archE910ELNS1_3gpuE8ELNS1_3repE0EEENS1_30default_config_static_selectorELNS0_4arch9wavefront6targetE1EEEvT1_.kd
    .uniform_work_group_size: 1
    .uses_dynamic_stack: false
    .vgpr_count:     54
    .vgpr_spill_count: 0
    .wavefront_size: 64
  - .agpr_count:     0
    .args:
      - .offset:         0
        .size:           120
        .value_kind:     by_value
    .group_segment_fixed_size: 0
    .kernarg_segment_align: 8
    .kernarg_segment_size: 120
    .language:       OpenCL C
    .language_version:
      - 2
      - 0
    .max_flat_workgroup_size: 256
    .name:           _ZN7rocprim17ROCPRIM_400000_NS6detail17trampoline_kernelINS0_14default_configENS1_25partition_config_selectorILNS1_17partition_subalgoE3EiNS0_10empty_typeEbEEZZNS1_14partition_implILS5_3ELb0ES3_jN6thrust23THRUST_200600_302600_NS6detail15normal_iteratorINSA_7pointerIiNSA_11hip_rocprim3tagENSA_11use_defaultESG_EEEEPS6_SJ_NS0_5tupleIJPiSJ_EEENSK_IJSJ_SJ_EEES6_PlJ7is_evenIiEEEE10hipError_tPvRmT3_T4_T5_T6_T7_T9_mT8_P12ihipStream_tbDpT10_ENKUlT_T0_E_clISt17integral_constantIbLb0EES1A_EEDaS15_S16_EUlS15_E_NS1_11comp_targetILNS1_3genE3ELNS1_11target_archE908ELNS1_3gpuE7ELNS1_3repE0EEENS1_30default_config_static_selectorELNS0_4arch9wavefront6targetE1EEEvT1_
    .private_segment_fixed_size: 0
    .sgpr_count:     4
    .sgpr_spill_count: 0
    .symbol:         _ZN7rocprim17ROCPRIM_400000_NS6detail17trampoline_kernelINS0_14default_configENS1_25partition_config_selectorILNS1_17partition_subalgoE3EiNS0_10empty_typeEbEEZZNS1_14partition_implILS5_3ELb0ES3_jN6thrust23THRUST_200600_302600_NS6detail15normal_iteratorINSA_7pointerIiNSA_11hip_rocprim3tagENSA_11use_defaultESG_EEEEPS6_SJ_NS0_5tupleIJPiSJ_EEENSK_IJSJ_SJ_EEES6_PlJ7is_evenIiEEEE10hipError_tPvRmT3_T4_T5_T6_T7_T9_mT8_P12ihipStream_tbDpT10_ENKUlT_T0_E_clISt17integral_constantIbLb0EES1A_EEDaS15_S16_EUlS15_E_NS1_11comp_targetILNS1_3genE3ELNS1_11target_archE908ELNS1_3gpuE7ELNS1_3repE0EEENS1_30default_config_static_selectorELNS0_4arch9wavefront6targetE1EEEvT1_.kd
    .uniform_work_group_size: 1
    .uses_dynamic_stack: false
    .vgpr_count:     0
    .vgpr_spill_count: 0
    .wavefront_size: 64
  - .agpr_count:     0
    .args:
      - .offset:         0
        .size:           120
        .value_kind:     by_value
    .group_segment_fixed_size: 0
    .kernarg_segment_align: 8
    .kernarg_segment_size: 120
    .language:       OpenCL C
    .language_version:
      - 2
      - 0
    .max_flat_workgroup_size: 192
    .name:           _ZN7rocprim17ROCPRIM_400000_NS6detail17trampoline_kernelINS0_14default_configENS1_25partition_config_selectorILNS1_17partition_subalgoE3EiNS0_10empty_typeEbEEZZNS1_14partition_implILS5_3ELb0ES3_jN6thrust23THRUST_200600_302600_NS6detail15normal_iteratorINSA_7pointerIiNSA_11hip_rocprim3tagENSA_11use_defaultESG_EEEEPS6_SJ_NS0_5tupleIJPiSJ_EEENSK_IJSJ_SJ_EEES6_PlJ7is_evenIiEEEE10hipError_tPvRmT3_T4_T5_T6_T7_T9_mT8_P12ihipStream_tbDpT10_ENKUlT_T0_E_clISt17integral_constantIbLb0EES1A_EEDaS15_S16_EUlS15_E_NS1_11comp_targetILNS1_3genE2ELNS1_11target_archE906ELNS1_3gpuE6ELNS1_3repE0EEENS1_30default_config_static_selectorELNS0_4arch9wavefront6targetE1EEEvT1_
    .private_segment_fixed_size: 0
    .sgpr_count:     4
    .sgpr_spill_count: 0
    .symbol:         _ZN7rocprim17ROCPRIM_400000_NS6detail17trampoline_kernelINS0_14default_configENS1_25partition_config_selectorILNS1_17partition_subalgoE3EiNS0_10empty_typeEbEEZZNS1_14partition_implILS5_3ELb0ES3_jN6thrust23THRUST_200600_302600_NS6detail15normal_iteratorINSA_7pointerIiNSA_11hip_rocprim3tagENSA_11use_defaultESG_EEEEPS6_SJ_NS0_5tupleIJPiSJ_EEENSK_IJSJ_SJ_EEES6_PlJ7is_evenIiEEEE10hipError_tPvRmT3_T4_T5_T6_T7_T9_mT8_P12ihipStream_tbDpT10_ENKUlT_T0_E_clISt17integral_constantIbLb0EES1A_EEDaS15_S16_EUlS15_E_NS1_11comp_targetILNS1_3genE2ELNS1_11target_archE906ELNS1_3gpuE6ELNS1_3repE0EEENS1_30default_config_static_selectorELNS0_4arch9wavefront6targetE1EEEvT1_.kd
    .uniform_work_group_size: 1
    .uses_dynamic_stack: false
    .vgpr_count:     0
    .vgpr_spill_count: 0
    .wavefront_size: 64
  - .agpr_count:     0
    .args:
      - .offset:         0
        .size:           120
        .value_kind:     by_value
    .group_segment_fixed_size: 0
    .kernarg_segment_align: 8
    .kernarg_segment_size: 120
    .language:       OpenCL C
    .language_version:
      - 2
      - 0
    .max_flat_workgroup_size: 384
    .name:           _ZN7rocprim17ROCPRIM_400000_NS6detail17trampoline_kernelINS0_14default_configENS1_25partition_config_selectorILNS1_17partition_subalgoE3EiNS0_10empty_typeEbEEZZNS1_14partition_implILS5_3ELb0ES3_jN6thrust23THRUST_200600_302600_NS6detail15normal_iteratorINSA_7pointerIiNSA_11hip_rocprim3tagENSA_11use_defaultESG_EEEEPS6_SJ_NS0_5tupleIJPiSJ_EEENSK_IJSJ_SJ_EEES6_PlJ7is_evenIiEEEE10hipError_tPvRmT3_T4_T5_T6_T7_T9_mT8_P12ihipStream_tbDpT10_ENKUlT_T0_E_clISt17integral_constantIbLb0EES1A_EEDaS15_S16_EUlS15_E_NS1_11comp_targetILNS1_3genE10ELNS1_11target_archE1200ELNS1_3gpuE4ELNS1_3repE0EEENS1_30default_config_static_selectorELNS0_4arch9wavefront6targetE1EEEvT1_
    .private_segment_fixed_size: 0
    .sgpr_count:     4
    .sgpr_spill_count: 0
    .symbol:         _ZN7rocprim17ROCPRIM_400000_NS6detail17trampoline_kernelINS0_14default_configENS1_25partition_config_selectorILNS1_17partition_subalgoE3EiNS0_10empty_typeEbEEZZNS1_14partition_implILS5_3ELb0ES3_jN6thrust23THRUST_200600_302600_NS6detail15normal_iteratorINSA_7pointerIiNSA_11hip_rocprim3tagENSA_11use_defaultESG_EEEEPS6_SJ_NS0_5tupleIJPiSJ_EEENSK_IJSJ_SJ_EEES6_PlJ7is_evenIiEEEE10hipError_tPvRmT3_T4_T5_T6_T7_T9_mT8_P12ihipStream_tbDpT10_ENKUlT_T0_E_clISt17integral_constantIbLb0EES1A_EEDaS15_S16_EUlS15_E_NS1_11comp_targetILNS1_3genE10ELNS1_11target_archE1200ELNS1_3gpuE4ELNS1_3repE0EEENS1_30default_config_static_selectorELNS0_4arch9wavefront6targetE1EEEvT1_.kd
    .uniform_work_group_size: 1
    .uses_dynamic_stack: false
    .vgpr_count:     0
    .vgpr_spill_count: 0
    .wavefront_size: 64
  - .agpr_count:     0
    .args:
      - .offset:         0
        .size:           120
        .value_kind:     by_value
    .group_segment_fixed_size: 0
    .kernarg_segment_align: 8
    .kernarg_segment_size: 120
    .language:       OpenCL C
    .language_version:
      - 2
      - 0
    .max_flat_workgroup_size: 384
    .name:           _ZN7rocprim17ROCPRIM_400000_NS6detail17trampoline_kernelINS0_14default_configENS1_25partition_config_selectorILNS1_17partition_subalgoE3EiNS0_10empty_typeEbEEZZNS1_14partition_implILS5_3ELb0ES3_jN6thrust23THRUST_200600_302600_NS6detail15normal_iteratorINSA_7pointerIiNSA_11hip_rocprim3tagENSA_11use_defaultESG_EEEEPS6_SJ_NS0_5tupleIJPiSJ_EEENSK_IJSJ_SJ_EEES6_PlJ7is_evenIiEEEE10hipError_tPvRmT3_T4_T5_T6_T7_T9_mT8_P12ihipStream_tbDpT10_ENKUlT_T0_E_clISt17integral_constantIbLb0EES1A_EEDaS15_S16_EUlS15_E_NS1_11comp_targetILNS1_3genE9ELNS1_11target_archE1100ELNS1_3gpuE3ELNS1_3repE0EEENS1_30default_config_static_selectorELNS0_4arch9wavefront6targetE1EEEvT1_
    .private_segment_fixed_size: 0
    .sgpr_count:     4
    .sgpr_spill_count: 0
    .symbol:         _ZN7rocprim17ROCPRIM_400000_NS6detail17trampoline_kernelINS0_14default_configENS1_25partition_config_selectorILNS1_17partition_subalgoE3EiNS0_10empty_typeEbEEZZNS1_14partition_implILS5_3ELb0ES3_jN6thrust23THRUST_200600_302600_NS6detail15normal_iteratorINSA_7pointerIiNSA_11hip_rocprim3tagENSA_11use_defaultESG_EEEEPS6_SJ_NS0_5tupleIJPiSJ_EEENSK_IJSJ_SJ_EEES6_PlJ7is_evenIiEEEE10hipError_tPvRmT3_T4_T5_T6_T7_T9_mT8_P12ihipStream_tbDpT10_ENKUlT_T0_E_clISt17integral_constantIbLb0EES1A_EEDaS15_S16_EUlS15_E_NS1_11comp_targetILNS1_3genE9ELNS1_11target_archE1100ELNS1_3gpuE3ELNS1_3repE0EEENS1_30default_config_static_selectorELNS0_4arch9wavefront6targetE1EEEvT1_.kd
    .uniform_work_group_size: 1
    .uses_dynamic_stack: false
    .vgpr_count:     0
    .vgpr_spill_count: 0
    .wavefront_size: 64
  - .agpr_count:     0
    .args:
      - .offset:         0
        .size:           120
        .value_kind:     by_value
    .group_segment_fixed_size: 0
    .kernarg_segment_align: 8
    .kernarg_segment_size: 120
    .language:       OpenCL C
    .language_version:
      - 2
      - 0
    .max_flat_workgroup_size: 512
    .name:           _ZN7rocprim17ROCPRIM_400000_NS6detail17trampoline_kernelINS0_14default_configENS1_25partition_config_selectorILNS1_17partition_subalgoE3EiNS0_10empty_typeEbEEZZNS1_14partition_implILS5_3ELb0ES3_jN6thrust23THRUST_200600_302600_NS6detail15normal_iteratorINSA_7pointerIiNSA_11hip_rocprim3tagENSA_11use_defaultESG_EEEEPS6_SJ_NS0_5tupleIJPiSJ_EEENSK_IJSJ_SJ_EEES6_PlJ7is_evenIiEEEE10hipError_tPvRmT3_T4_T5_T6_T7_T9_mT8_P12ihipStream_tbDpT10_ENKUlT_T0_E_clISt17integral_constantIbLb0EES1A_EEDaS15_S16_EUlS15_E_NS1_11comp_targetILNS1_3genE8ELNS1_11target_archE1030ELNS1_3gpuE2ELNS1_3repE0EEENS1_30default_config_static_selectorELNS0_4arch9wavefront6targetE1EEEvT1_
    .private_segment_fixed_size: 0
    .sgpr_count:     4
    .sgpr_spill_count: 0
    .symbol:         _ZN7rocprim17ROCPRIM_400000_NS6detail17trampoline_kernelINS0_14default_configENS1_25partition_config_selectorILNS1_17partition_subalgoE3EiNS0_10empty_typeEbEEZZNS1_14partition_implILS5_3ELb0ES3_jN6thrust23THRUST_200600_302600_NS6detail15normal_iteratorINSA_7pointerIiNSA_11hip_rocprim3tagENSA_11use_defaultESG_EEEEPS6_SJ_NS0_5tupleIJPiSJ_EEENSK_IJSJ_SJ_EEES6_PlJ7is_evenIiEEEE10hipError_tPvRmT3_T4_T5_T6_T7_T9_mT8_P12ihipStream_tbDpT10_ENKUlT_T0_E_clISt17integral_constantIbLb0EES1A_EEDaS15_S16_EUlS15_E_NS1_11comp_targetILNS1_3genE8ELNS1_11target_archE1030ELNS1_3gpuE2ELNS1_3repE0EEENS1_30default_config_static_selectorELNS0_4arch9wavefront6targetE1EEEvT1_.kd
    .uniform_work_group_size: 1
    .uses_dynamic_stack: false
    .vgpr_count:     0
    .vgpr_spill_count: 0
    .wavefront_size: 64
  - .agpr_count:     0
    .args:
      - .offset:         0
        .size:           136
        .value_kind:     by_value
    .group_segment_fixed_size: 0
    .kernarg_segment_align: 8
    .kernarg_segment_size: 136
    .language:       OpenCL C
    .language_version:
      - 2
      - 0
    .max_flat_workgroup_size: 256
    .name:           _ZN7rocprim17ROCPRIM_400000_NS6detail17trampoline_kernelINS0_14default_configENS1_25partition_config_selectorILNS1_17partition_subalgoE3EiNS0_10empty_typeEbEEZZNS1_14partition_implILS5_3ELb0ES3_jN6thrust23THRUST_200600_302600_NS6detail15normal_iteratorINSA_7pointerIiNSA_11hip_rocprim3tagENSA_11use_defaultESG_EEEEPS6_SJ_NS0_5tupleIJPiSJ_EEENSK_IJSJ_SJ_EEES6_PlJ7is_evenIiEEEE10hipError_tPvRmT3_T4_T5_T6_T7_T9_mT8_P12ihipStream_tbDpT10_ENKUlT_T0_E_clISt17integral_constantIbLb1EES1A_EEDaS15_S16_EUlS15_E_NS1_11comp_targetILNS1_3genE0ELNS1_11target_archE4294967295ELNS1_3gpuE0ELNS1_3repE0EEENS1_30default_config_static_selectorELNS0_4arch9wavefront6targetE1EEEvT1_
    .private_segment_fixed_size: 0
    .sgpr_count:     4
    .sgpr_spill_count: 0
    .symbol:         _ZN7rocprim17ROCPRIM_400000_NS6detail17trampoline_kernelINS0_14default_configENS1_25partition_config_selectorILNS1_17partition_subalgoE3EiNS0_10empty_typeEbEEZZNS1_14partition_implILS5_3ELb0ES3_jN6thrust23THRUST_200600_302600_NS6detail15normal_iteratorINSA_7pointerIiNSA_11hip_rocprim3tagENSA_11use_defaultESG_EEEEPS6_SJ_NS0_5tupleIJPiSJ_EEENSK_IJSJ_SJ_EEES6_PlJ7is_evenIiEEEE10hipError_tPvRmT3_T4_T5_T6_T7_T9_mT8_P12ihipStream_tbDpT10_ENKUlT_T0_E_clISt17integral_constantIbLb1EES1A_EEDaS15_S16_EUlS15_E_NS1_11comp_targetILNS1_3genE0ELNS1_11target_archE4294967295ELNS1_3gpuE0ELNS1_3repE0EEENS1_30default_config_static_selectorELNS0_4arch9wavefront6targetE1EEEvT1_.kd
    .uniform_work_group_size: 1
    .uses_dynamic_stack: false
    .vgpr_count:     0
    .vgpr_spill_count: 0
    .wavefront_size: 64
  - .agpr_count:     0
    .args:
      - .offset:         0
        .size:           136
        .value_kind:     by_value
    .group_segment_fixed_size: 0
    .kernarg_segment_align: 8
    .kernarg_segment_size: 136
    .language:       OpenCL C
    .language_version:
      - 2
      - 0
    .max_flat_workgroup_size: 512
    .name:           _ZN7rocprim17ROCPRIM_400000_NS6detail17trampoline_kernelINS0_14default_configENS1_25partition_config_selectorILNS1_17partition_subalgoE3EiNS0_10empty_typeEbEEZZNS1_14partition_implILS5_3ELb0ES3_jN6thrust23THRUST_200600_302600_NS6detail15normal_iteratorINSA_7pointerIiNSA_11hip_rocprim3tagENSA_11use_defaultESG_EEEEPS6_SJ_NS0_5tupleIJPiSJ_EEENSK_IJSJ_SJ_EEES6_PlJ7is_evenIiEEEE10hipError_tPvRmT3_T4_T5_T6_T7_T9_mT8_P12ihipStream_tbDpT10_ENKUlT_T0_E_clISt17integral_constantIbLb1EES1A_EEDaS15_S16_EUlS15_E_NS1_11comp_targetILNS1_3genE5ELNS1_11target_archE942ELNS1_3gpuE9ELNS1_3repE0EEENS1_30default_config_static_selectorELNS0_4arch9wavefront6targetE1EEEvT1_
    .private_segment_fixed_size: 0
    .sgpr_count:     4
    .sgpr_spill_count: 0
    .symbol:         _ZN7rocprim17ROCPRIM_400000_NS6detail17trampoline_kernelINS0_14default_configENS1_25partition_config_selectorILNS1_17partition_subalgoE3EiNS0_10empty_typeEbEEZZNS1_14partition_implILS5_3ELb0ES3_jN6thrust23THRUST_200600_302600_NS6detail15normal_iteratorINSA_7pointerIiNSA_11hip_rocprim3tagENSA_11use_defaultESG_EEEEPS6_SJ_NS0_5tupleIJPiSJ_EEENSK_IJSJ_SJ_EEES6_PlJ7is_evenIiEEEE10hipError_tPvRmT3_T4_T5_T6_T7_T9_mT8_P12ihipStream_tbDpT10_ENKUlT_T0_E_clISt17integral_constantIbLb1EES1A_EEDaS15_S16_EUlS15_E_NS1_11comp_targetILNS1_3genE5ELNS1_11target_archE942ELNS1_3gpuE9ELNS1_3repE0EEENS1_30default_config_static_selectorELNS0_4arch9wavefront6targetE1EEEvT1_.kd
    .uniform_work_group_size: 1
    .uses_dynamic_stack: false
    .vgpr_count:     0
    .vgpr_spill_count: 0
    .wavefront_size: 64
  - .agpr_count:     0
    .args:
      - .offset:         0
        .size:           136
        .value_kind:     by_value
    .group_segment_fixed_size: 10248
    .kernarg_segment_align: 8
    .kernarg_segment_size: 136
    .language:       OpenCL C
    .language_version:
      - 2
      - 0
    .max_flat_workgroup_size: 256
    .name:           _ZN7rocprim17ROCPRIM_400000_NS6detail17trampoline_kernelINS0_14default_configENS1_25partition_config_selectorILNS1_17partition_subalgoE3EiNS0_10empty_typeEbEEZZNS1_14partition_implILS5_3ELb0ES3_jN6thrust23THRUST_200600_302600_NS6detail15normal_iteratorINSA_7pointerIiNSA_11hip_rocprim3tagENSA_11use_defaultESG_EEEEPS6_SJ_NS0_5tupleIJPiSJ_EEENSK_IJSJ_SJ_EEES6_PlJ7is_evenIiEEEE10hipError_tPvRmT3_T4_T5_T6_T7_T9_mT8_P12ihipStream_tbDpT10_ENKUlT_T0_E_clISt17integral_constantIbLb1EES1A_EEDaS15_S16_EUlS15_E_NS1_11comp_targetILNS1_3genE4ELNS1_11target_archE910ELNS1_3gpuE8ELNS1_3repE0EEENS1_30default_config_static_selectorELNS0_4arch9wavefront6targetE1EEEvT1_
    .private_segment_fixed_size: 0
    .sgpr_count:     48
    .sgpr_spill_count: 0
    .symbol:         _ZN7rocprim17ROCPRIM_400000_NS6detail17trampoline_kernelINS0_14default_configENS1_25partition_config_selectorILNS1_17partition_subalgoE3EiNS0_10empty_typeEbEEZZNS1_14partition_implILS5_3ELb0ES3_jN6thrust23THRUST_200600_302600_NS6detail15normal_iteratorINSA_7pointerIiNSA_11hip_rocprim3tagENSA_11use_defaultESG_EEEEPS6_SJ_NS0_5tupleIJPiSJ_EEENSK_IJSJ_SJ_EEES6_PlJ7is_evenIiEEEE10hipError_tPvRmT3_T4_T5_T6_T7_T9_mT8_P12ihipStream_tbDpT10_ENKUlT_T0_E_clISt17integral_constantIbLb1EES1A_EEDaS15_S16_EUlS15_E_NS1_11comp_targetILNS1_3genE4ELNS1_11target_archE910ELNS1_3gpuE8ELNS1_3repE0EEENS1_30default_config_static_selectorELNS0_4arch9wavefront6targetE1EEEvT1_.kd
    .uniform_work_group_size: 1
    .uses_dynamic_stack: false
    .vgpr_count:     57
    .vgpr_spill_count: 0
    .wavefront_size: 64
  - .agpr_count:     0
    .args:
      - .offset:         0
        .size:           136
        .value_kind:     by_value
    .group_segment_fixed_size: 0
    .kernarg_segment_align: 8
    .kernarg_segment_size: 136
    .language:       OpenCL C
    .language_version:
      - 2
      - 0
    .max_flat_workgroup_size: 256
    .name:           _ZN7rocprim17ROCPRIM_400000_NS6detail17trampoline_kernelINS0_14default_configENS1_25partition_config_selectorILNS1_17partition_subalgoE3EiNS0_10empty_typeEbEEZZNS1_14partition_implILS5_3ELb0ES3_jN6thrust23THRUST_200600_302600_NS6detail15normal_iteratorINSA_7pointerIiNSA_11hip_rocprim3tagENSA_11use_defaultESG_EEEEPS6_SJ_NS0_5tupleIJPiSJ_EEENSK_IJSJ_SJ_EEES6_PlJ7is_evenIiEEEE10hipError_tPvRmT3_T4_T5_T6_T7_T9_mT8_P12ihipStream_tbDpT10_ENKUlT_T0_E_clISt17integral_constantIbLb1EES1A_EEDaS15_S16_EUlS15_E_NS1_11comp_targetILNS1_3genE3ELNS1_11target_archE908ELNS1_3gpuE7ELNS1_3repE0EEENS1_30default_config_static_selectorELNS0_4arch9wavefront6targetE1EEEvT1_
    .private_segment_fixed_size: 0
    .sgpr_count:     4
    .sgpr_spill_count: 0
    .symbol:         _ZN7rocprim17ROCPRIM_400000_NS6detail17trampoline_kernelINS0_14default_configENS1_25partition_config_selectorILNS1_17partition_subalgoE3EiNS0_10empty_typeEbEEZZNS1_14partition_implILS5_3ELb0ES3_jN6thrust23THRUST_200600_302600_NS6detail15normal_iteratorINSA_7pointerIiNSA_11hip_rocprim3tagENSA_11use_defaultESG_EEEEPS6_SJ_NS0_5tupleIJPiSJ_EEENSK_IJSJ_SJ_EEES6_PlJ7is_evenIiEEEE10hipError_tPvRmT3_T4_T5_T6_T7_T9_mT8_P12ihipStream_tbDpT10_ENKUlT_T0_E_clISt17integral_constantIbLb1EES1A_EEDaS15_S16_EUlS15_E_NS1_11comp_targetILNS1_3genE3ELNS1_11target_archE908ELNS1_3gpuE7ELNS1_3repE0EEENS1_30default_config_static_selectorELNS0_4arch9wavefront6targetE1EEEvT1_.kd
    .uniform_work_group_size: 1
    .uses_dynamic_stack: false
    .vgpr_count:     0
    .vgpr_spill_count: 0
    .wavefront_size: 64
  - .agpr_count:     0
    .args:
      - .offset:         0
        .size:           136
        .value_kind:     by_value
    .group_segment_fixed_size: 0
    .kernarg_segment_align: 8
    .kernarg_segment_size: 136
    .language:       OpenCL C
    .language_version:
      - 2
      - 0
    .max_flat_workgroup_size: 192
    .name:           _ZN7rocprim17ROCPRIM_400000_NS6detail17trampoline_kernelINS0_14default_configENS1_25partition_config_selectorILNS1_17partition_subalgoE3EiNS0_10empty_typeEbEEZZNS1_14partition_implILS5_3ELb0ES3_jN6thrust23THRUST_200600_302600_NS6detail15normal_iteratorINSA_7pointerIiNSA_11hip_rocprim3tagENSA_11use_defaultESG_EEEEPS6_SJ_NS0_5tupleIJPiSJ_EEENSK_IJSJ_SJ_EEES6_PlJ7is_evenIiEEEE10hipError_tPvRmT3_T4_T5_T6_T7_T9_mT8_P12ihipStream_tbDpT10_ENKUlT_T0_E_clISt17integral_constantIbLb1EES1A_EEDaS15_S16_EUlS15_E_NS1_11comp_targetILNS1_3genE2ELNS1_11target_archE906ELNS1_3gpuE6ELNS1_3repE0EEENS1_30default_config_static_selectorELNS0_4arch9wavefront6targetE1EEEvT1_
    .private_segment_fixed_size: 0
    .sgpr_count:     4
    .sgpr_spill_count: 0
    .symbol:         _ZN7rocprim17ROCPRIM_400000_NS6detail17trampoline_kernelINS0_14default_configENS1_25partition_config_selectorILNS1_17partition_subalgoE3EiNS0_10empty_typeEbEEZZNS1_14partition_implILS5_3ELb0ES3_jN6thrust23THRUST_200600_302600_NS6detail15normal_iteratorINSA_7pointerIiNSA_11hip_rocprim3tagENSA_11use_defaultESG_EEEEPS6_SJ_NS0_5tupleIJPiSJ_EEENSK_IJSJ_SJ_EEES6_PlJ7is_evenIiEEEE10hipError_tPvRmT3_T4_T5_T6_T7_T9_mT8_P12ihipStream_tbDpT10_ENKUlT_T0_E_clISt17integral_constantIbLb1EES1A_EEDaS15_S16_EUlS15_E_NS1_11comp_targetILNS1_3genE2ELNS1_11target_archE906ELNS1_3gpuE6ELNS1_3repE0EEENS1_30default_config_static_selectorELNS0_4arch9wavefront6targetE1EEEvT1_.kd
    .uniform_work_group_size: 1
    .uses_dynamic_stack: false
    .vgpr_count:     0
    .vgpr_spill_count: 0
    .wavefront_size: 64
  - .agpr_count:     0
    .args:
      - .offset:         0
        .size:           136
        .value_kind:     by_value
    .group_segment_fixed_size: 0
    .kernarg_segment_align: 8
    .kernarg_segment_size: 136
    .language:       OpenCL C
    .language_version:
      - 2
      - 0
    .max_flat_workgroup_size: 384
    .name:           _ZN7rocprim17ROCPRIM_400000_NS6detail17trampoline_kernelINS0_14default_configENS1_25partition_config_selectorILNS1_17partition_subalgoE3EiNS0_10empty_typeEbEEZZNS1_14partition_implILS5_3ELb0ES3_jN6thrust23THRUST_200600_302600_NS6detail15normal_iteratorINSA_7pointerIiNSA_11hip_rocprim3tagENSA_11use_defaultESG_EEEEPS6_SJ_NS0_5tupleIJPiSJ_EEENSK_IJSJ_SJ_EEES6_PlJ7is_evenIiEEEE10hipError_tPvRmT3_T4_T5_T6_T7_T9_mT8_P12ihipStream_tbDpT10_ENKUlT_T0_E_clISt17integral_constantIbLb1EES1A_EEDaS15_S16_EUlS15_E_NS1_11comp_targetILNS1_3genE10ELNS1_11target_archE1200ELNS1_3gpuE4ELNS1_3repE0EEENS1_30default_config_static_selectorELNS0_4arch9wavefront6targetE1EEEvT1_
    .private_segment_fixed_size: 0
    .sgpr_count:     4
    .sgpr_spill_count: 0
    .symbol:         _ZN7rocprim17ROCPRIM_400000_NS6detail17trampoline_kernelINS0_14default_configENS1_25partition_config_selectorILNS1_17partition_subalgoE3EiNS0_10empty_typeEbEEZZNS1_14partition_implILS5_3ELb0ES3_jN6thrust23THRUST_200600_302600_NS6detail15normal_iteratorINSA_7pointerIiNSA_11hip_rocprim3tagENSA_11use_defaultESG_EEEEPS6_SJ_NS0_5tupleIJPiSJ_EEENSK_IJSJ_SJ_EEES6_PlJ7is_evenIiEEEE10hipError_tPvRmT3_T4_T5_T6_T7_T9_mT8_P12ihipStream_tbDpT10_ENKUlT_T0_E_clISt17integral_constantIbLb1EES1A_EEDaS15_S16_EUlS15_E_NS1_11comp_targetILNS1_3genE10ELNS1_11target_archE1200ELNS1_3gpuE4ELNS1_3repE0EEENS1_30default_config_static_selectorELNS0_4arch9wavefront6targetE1EEEvT1_.kd
    .uniform_work_group_size: 1
    .uses_dynamic_stack: false
    .vgpr_count:     0
    .vgpr_spill_count: 0
    .wavefront_size: 64
  - .agpr_count:     0
    .args:
      - .offset:         0
        .size:           136
        .value_kind:     by_value
    .group_segment_fixed_size: 0
    .kernarg_segment_align: 8
    .kernarg_segment_size: 136
    .language:       OpenCL C
    .language_version:
      - 2
      - 0
    .max_flat_workgroup_size: 384
    .name:           _ZN7rocprim17ROCPRIM_400000_NS6detail17trampoline_kernelINS0_14default_configENS1_25partition_config_selectorILNS1_17partition_subalgoE3EiNS0_10empty_typeEbEEZZNS1_14partition_implILS5_3ELb0ES3_jN6thrust23THRUST_200600_302600_NS6detail15normal_iteratorINSA_7pointerIiNSA_11hip_rocprim3tagENSA_11use_defaultESG_EEEEPS6_SJ_NS0_5tupleIJPiSJ_EEENSK_IJSJ_SJ_EEES6_PlJ7is_evenIiEEEE10hipError_tPvRmT3_T4_T5_T6_T7_T9_mT8_P12ihipStream_tbDpT10_ENKUlT_T0_E_clISt17integral_constantIbLb1EES1A_EEDaS15_S16_EUlS15_E_NS1_11comp_targetILNS1_3genE9ELNS1_11target_archE1100ELNS1_3gpuE3ELNS1_3repE0EEENS1_30default_config_static_selectorELNS0_4arch9wavefront6targetE1EEEvT1_
    .private_segment_fixed_size: 0
    .sgpr_count:     4
    .sgpr_spill_count: 0
    .symbol:         _ZN7rocprim17ROCPRIM_400000_NS6detail17trampoline_kernelINS0_14default_configENS1_25partition_config_selectorILNS1_17partition_subalgoE3EiNS0_10empty_typeEbEEZZNS1_14partition_implILS5_3ELb0ES3_jN6thrust23THRUST_200600_302600_NS6detail15normal_iteratorINSA_7pointerIiNSA_11hip_rocprim3tagENSA_11use_defaultESG_EEEEPS6_SJ_NS0_5tupleIJPiSJ_EEENSK_IJSJ_SJ_EEES6_PlJ7is_evenIiEEEE10hipError_tPvRmT3_T4_T5_T6_T7_T9_mT8_P12ihipStream_tbDpT10_ENKUlT_T0_E_clISt17integral_constantIbLb1EES1A_EEDaS15_S16_EUlS15_E_NS1_11comp_targetILNS1_3genE9ELNS1_11target_archE1100ELNS1_3gpuE3ELNS1_3repE0EEENS1_30default_config_static_selectorELNS0_4arch9wavefront6targetE1EEEvT1_.kd
    .uniform_work_group_size: 1
    .uses_dynamic_stack: false
    .vgpr_count:     0
    .vgpr_spill_count: 0
    .wavefront_size: 64
  - .agpr_count:     0
    .args:
      - .offset:         0
        .size:           136
        .value_kind:     by_value
    .group_segment_fixed_size: 0
    .kernarg_segment_align: 8
    .kernarg_segment_size: 136
    .language:       OpenCL C
    .language_version:
      - 2
      - 0
    .max_flat_workgroup_size: 512
    .name:           _ZN7rocprim17ROCPRIM_400000_NS6detail17trampoline_kernelINS0_14default_configENS1_25partition_config_selectorILNS1_17partition_subalgoE3EiNS0_10empty_typeEbEEZZNS1_14partition_implILS5_3ELb0ES3_jN6thrust23THRUST_200600_302600_NS6detail15normal_iteratorINSA_7pointerIiNSA_11hip_rocprim3tagENSA_11use_defaultESG_EEEEPS6_SJ_NS0_5tupleIJPiSJ_EEENSK_IJSJ_SJ_EEES6_PlJ7is_evenIiEEEE10hipError_tPvRmT3_T4_T5_T6_T7_T9_mT8_P12ihipStream_tbDpT10_ENKUlT_T0_E_clISt17integral_constantIbLb1EES1A_EEDaS15_S16_EUlS15_E_NS1_11comp_targetILNS1_3genE8ELNS1_11target_archE1030ELNS1_3gpuE2ELNS1_3repE0EEENS1_30default_config_static_selectorELNS0_4arch9wavefront6targetE1EEEvT1_
    .private_segment_fixed_size: 0
    .sgpr_count:     4
    .sgpr_spill_count: 0
    .symbol:         _ZN7rocprim17ROCPRIM_400000_NS6detail17trampoline_kernelINS0_14default_configENS1_25partition_config_selectorILNS1_17partition_subalgoE3EiNS0_10empty_typeEbEEZZNS1_14partition_implILS5_3ELb0ES3_jN6thrust23THRUST_200600_302600_NS6detail15normal_iteratorINSA_7pointerIiNSA_11hip_rocprim3tagENSA_11use_defaultESG_EEEEPS6_SJ_NS0_5tupleIJPiSJ_EEENSK_IJSJ_SJ_EEES6_PlJ7is_evenIiEEEE10hipError_tPvRmT3_T4_T5_T6_T7_T9_mT8_P12ihipStream_tbDpT10_ENKUlT_T0_E_clISt17integral_constantIbLb1EES1A_EEDaS15_S16_EUlS15_E_NS1_11comp_targetILNS1_3genE8ELNS1_11target_archE1030ELNS1_3gpuE2ELNS1_3repE0EEENS1_30default_config_static_selectorELNS0_4arch9wavefront6targetE1EEEvT1_.kd
    .uniform_work_group_size: 1
    .uses_dynamic_stack: false
    .vgpr_count:     0
    .vgpr_spill_count: 0
    .wavefront_size: 64
  - .agpr_count:     0
    .args:
      - .offset:         0
        .size:           120
        .value_kind:     by_value
    .group_segment_fixed_size: 0
    .kernarg_segment_align: 8
    .kernarg_segment_size: 120
    .language:       OpenCL C
    .language_version:
      - 2
      - 0
    .max_flat_workgroup_size: 256
    .name:           _ZN7rocprim17ROCPRIM_400000_NS6detail17trampoline_kernelINS0_14default_configENS1_25partition_config_selectorILNS1_17partition_subalgoE3EiNS0_10empty_typeEbEEZZNS1_14partition_implILS5_3ELb0ES3_jN6thrust23THRUST_200600_302600_NS6detail15normal_iteratorINSA_7pointerIiNSA_11hip_rocprim3tagENSA_11use_defaultESG_EEEEPS6_SJ_NS0_5tupleIJPiSJ_EEENSK_IJSJ_SJ_EEES6_PlJ7is_evenIiEEEE10hipError_tPvRmT3_T4_T5_T6_T7_T9_mT8_P12ihipStream_tbDpT10_ENKUlT_T0_E_clISt17integral_constantIbLb1EES19_IbLb0EEEEDaS15_S16_EUlS15_E_NS1_11comp_targetILNS1_3genE0ELNS1_11target_archE4294967295ELNS1_3gpuE0ELNS1_3repE0EEENS1_30default_config_static_selectorELNS0_4arch9wavefront6targetE1EEEvT1_
    .private_segment_fixed_size: 0
    .sgpr_count:     4
    .sgpr_spill_count: 0
    .symbol:         _ZN7rocprim17ROCPRIM_400000_NS6detail17trampoline_kernelINS0_14default_configENS1_25partition_config_selectorILNS1_17partition_subalgoE3EiNS0_10empty_typeEbEEZZNS1_14partition_implILS5_3ELb0ES3_jN6thrust23THRUST_200600_302600_NS6detail15normal_iteratorINSA_7pointerIiNSA_11hip_rocprim3tagENSA_11use_defaultESG_EEEEPS6_SJ_NS0_5tupleIJPiSJ_EEENSK_IJSJ_SJ_EEES6_PlJ7is_evenIiEEEE10hipError_tPvRmT3_T4_T5_T6_T7_T9_mT8_P12ihipStream_tbDpT10_ENKUlT_T0_E_clISt17integral_constantIbLb1EES19_IbLb0EEEEDaS15_S16_EUlS15_E_NS1_11comp_targetILNS1_3genE0ELNS1_11target_archE4294967295ELNS1_3gpuE0ELNS1_3repE0EEENS1_30default_config_static_selectorELNS0_4arch9wavefront6targetE1EEEvT1_.kd
    .uniform_work_group_size: 1
    .uses_dynamic_stack: false
    .vgpr_count:     0
    .vgpr_spill_count: 0
    .wavefront_size: 64
  - .agpr_count:     0
    .args:
      - .offset:         0
        .size:           120
        .value_kind:     by_value
    .group_segment_fixed_size: 0
    .kernarg_segment_align: 8
    .kernarg_segment_size: 120
    .language:       OpenCL C
    .language_version:
      - 2
      - 0
    .max_flat_workgroup_size: 512
    .name:           _ZN7rocprim17ROCPRIM_400000_NS6detail17trampoline_kernelINS0_14default_configENS1_25partition_config_selectorILNS1_17partition_subalgoE3EiNS0_10empty_typeEbEEZZNS1_14partition_implILS5_3ELb0ES3_jN6thrust23THRUST_200600_302600_NS6detail15normal_iteratorINSA_7pointerIiNSA_11hip_rocprim3tagENSA_11use_defaultESG_EEEEPS6_SJ_NS0_5tupleIJPiSJ_EEENSK_IJSJ_SJ_EEES6_PlJ7is_evenIiEEEE10hipError_tPvRmT3_T4_T5_T6_T7_T9_mT8_P12ihipStream_tbDpT10_ENKUlT_T0_E_clISt17integral_constantIbLb1EES19_IbLb0EEEEDaS15_S16_EUlS15_E_NS1_11comp_targetILNS1_3genE5ELNS1_11target_archE942ELNS1_3gpuE9ELNS1_3repE0EEENS1_30default_config_static_selectorELNS0_4arch9wavefront6targetE1EEEvT1_
    .private_segment_fixed_size: 0
    .sgpr_count:     4
    .sgpr_spill_count: 0
    .symbol:         _ZN7rocprim17ROCPRIM_400000_NS6detail17trampoline_kernelINS0_14default_configENS1_25partition_config_selectorILNS1_17partition_subalgoE3EiNS0_10empty_typeEbEEZZNS1_14partition_implILS5_3ELb0ES3_jN6thrust23THRUST_200600_302600_NS6detail15normal_iteratorINSA_7pointerIiNSA_11hip_rocprim3tagENSA_11use_defaultESG_EEEEPS6_SJ_NS0_5tupleIJPiSJ_EEENSK_IJSJ_SJ_EEES6_PlJ7is_evenIiEEEE10hipError_tPvRmT3_T4_T5_T6_T7_T9_mT8_P12ihipStream_tbDpT10_ENKUlT_T0_E_clISt17integral_constantIbLb1EES19_IbLb0EEEEDaS15_S16_EUlS15_E_NS1_11comp_targetILNS1_3genE5ELNS1_11target_archE942ELNS1_3gpuE9ELNS1_3repE0EEENS1_30default_config_static_selectorELNS0_4arch9wavefront6targetE1EEEvT1_.kd
    .uniform_work_group_size: 1
    .uses_dynamic_stack: false
    .vgpr_count:     0
    .vgpr_spill_count: 0
    .wavefront_size: 64
  - .agpr_count:     0
    .args:
      - .offset:         0
        .size:           120
        .value_kind:     by_value
    .group_segment_fixed_size: 10248
    .kernarg_segment_align: 8
    .kernarg_segment_size: 120
    .language:       OpenCL C
    .language_version:
      - 2
      - 0
    .max_flat_workgroup_size: 256
    .name:           _ZN7rocprim17ROCPRIM_400000_NS6detail17trampoline_kernelINS0_14default_configENS1_25partition_config_selectorILNS1_17partition_subalgoE3EiNS0_10empty_typeEbEEZZNS1_14partition_implILS5_3ELb0ES3_jN6thrust23THRUST_200600_302600_NS6detail15normal_iteratorINSA_7pointerIiNSA_11hip_rocprim3tagENSA_11use_defaultESG_EEEEPS6_SJ_NS0_5tupleIJPiSJ_EEENSK_IJSJ_SJ_EEES6_PlJ7is_evenIiEEEE10hipError_tPvRmT3_T4_T5_T6_T7_T9_mT8_P12ihipStream_tbDpT10_ENKUlT_T0_E_clISt17integral_constantIbLb1EES19_IbLb0EEEEDaS15_S16_EUlS15_E_NS1_11comp_targetILNS1_3genE4ELNS1_11target_archE910ELNS1_3gpuE8ELNS1_3repE0EEENS1_30default_config_static_selectorELNS0_4arch9wavefront6targetE1EEEvT1_
    .private_segment_fixed_size: 0
    .sgpr_count:     50
    .sgpr_spill_count: 0
    .symbol:         _ZN7rocprim17ROCPRIM_400000_NS6detail17trampoline_kernelINS0_14default_configENS1_25partition_config_selectorILNS1_17partition_subalgoE3EiNS0_10empty_typeEbEEZZNS1_14partition_implILS5_3ELb0ES3_jN6thrust23THRUST_200600_302600_NS6detail15normal_iteratorINSA_7pointerIiNSA_11hip_rocprim3tagENSA_11use_defaultESG_EEEEPS6_SJ_NS0_5tupleIJPiSJ_EEENSK_IJSJ_SJ_EEES6_PlJ7is_evenIiEEEE10hipError_tPvRmT3_T4_T5_T6_T7_T9_mT8_P12ihipStream_tbDpT10_ENKUlT_T0_E_clISt17integral_constantIbLb1EES19_IbLb0EEEEDaS15_S16_EUlS15_E_NS1_11comp_targetILNS1_3genE4ELNS1_11target_archE910ELNS1_3gpuE8ELNS1_3repE0EEENS1_30default_config_static_selectorELNS0_4arch9wavefront6targetE1EEEvT1_.kd
    .uniform_work_group_size: 1
    .uses_dynamic_stack: false
    .vgpr_count:     54
    .vgpr_spill_count: 0
    .wavefront_size: 64
  - .agpr_count:     0
    .args:
      - .offset:         0
        .size:           120
        .value_kind:     by_value
    .group_segment_fixed_size: 0
    .kernarg_segment_align: 8
    .kernarg_segment_size: 120
    .language:       OpenCL C
    .language_version:
      - 2
      - 0
    .max_flat_workgroup_size: 256
    .name:           _ZN7rocprim17ROCPRIM_400000_NS6detail17trampoline_kernelINS0_14default_configENS1_25partition_config_selectorILNS1_17partition_subalgoE3EiNS0_10empty_typeEbEEZZNS1_14partition_implILS5_3ELb0ES3_jN6thrust23THRUST_200600_302600_NS6detail15normal_iteratorINSA_7pointerIiNSA_11hip_rocprim3tagENSA_11use_defaultESG_EEEEPS6_SJ_NS0_5tupleIJPiSJ_EEENSK_IJSJ_SJ_EEES6_PlJ7is_evenIiEEEE10hipError_tPvRmT3_T4_T5_T6_T7_T9_mT8_P12ihipStream_tbDpT10_ENKUlT_T0_E_clISt17integral_constantIbLb1EES19_IbLb0EEEEDaS15_S16_EUlS15_E_NS1_11comp_targetILNS1_3genE3ELNS1_11target_archE908ELNS1_3gpuE7ELNS1_3repE0EEENS1_30default_config_static_selectorELNS0_4arch9wavefront6targetE1EEEvT1_
    .private_segment_fixed_size: 0
    .sgpr_count:     4
    .sgpr_spill_count: 0
    .symbol:         _ZN7rocprim17ROCPRIM_400000_NS6detail17trampoline_kernelINS0_14default_configENS1_25partition_config_selectorILNS1_17partition_subalgoE3EiNS0_10empty_typeEbEEZZNS1_14partition_implILS5_3ELb0ES3_jN6thrust23THRUST_200600_302600_NS6detail15normal_iteratorINSA_7pointerIiNSA_11hip_rocprim3tagENSA_11use_defaultESG_EEEEPS6_SJ_NS0_5tupleIJPiSJ_EEENSK_IJSJ_SJ_EEES6_PlJ7is_evenIiEEEE10hipError_tPvRmT3_T4_T5_T6_T7_T9_mT8_P12ihipStream_tbDpT10_ENKUlT_T0_E_clISt17integral_constantIbLb1EES19_IbLb0EEEEDaS15_S16_EUlS15_E_NS1_11comp_targetILNS1_3genE3ELNS1_11target_archE908ELNS1_3gpuE7ELNS1_3repE0EEENS1_30default_config_static_selectorELNS0_4arch9wavefront6targetE1EEEvT1_.kd
    .uniform_work_group_size: 1
    .uses_dynamic_stack: false
    .vgpr_count:     0
    .vgpr_spill_count: 0
    .wavefront_size: 64
  - .agpr_count:     0
    .args:
      - .offset:         0
        .size:           120
        .value_kind:     by_value
    .group_segment_fixed_size: 0
    .kernarg_segment_align: 8
    .kernarg_segment_size: 120
    .language:       OpenCL C
    .language_version:
      - 2
      - 0
    .max_flat_workgroup_size: 192
    .name:           _ZN7rocprim17ROCPRIM_400000_NS6detail17trampoline_kernelINS0_14default_configENS1_25partition_config_selectorILNS1_17partition_subalgoE3EiNS0_10empty_typeEbEEZZNS1_14partition_implILS5_3ELb0ES3_jN6thrust23THRUST_200600_302600_NS6detail15normal_iteratorINSA_7pointerIiNSA_11hip_rocprim3tagENSA_11use_defaultESG_EEEEPS6_SJ_NS0_5tupleIJPiSJ_EEENSK_IJSJ_SJ_EEES6_PlJ7is_evenIiEEEE10hipError_tPvRmT3_T4_T5_T6_T7_T9_mT8_P12ihipStream_tbDpT10_ENKUlT_T0_E_clISt17integral_constantIbLb1EES19_IbLb0EEEEDaS15_S16_EUlS15_E_NS1_11comp_targetILNS1_3genE2ELNS1_11target_archE906ELNS1_3gpuE6ELNS1_3repE0EEENS1_30default_config_static_selectorELNS0_4arch9wavefront6targetE1EEEvT1_
    .private_segment_fixed_size: 0
    .sgpr_count:     4
    .sgpr_spill_count: 0
    .symbol:         _ZN7rocprim17ROCPRIM_400000_NS6detail17trampoline_kernelINS0_14default_configENS1_25partition_config_selectorILNS1_17partition_subalgoE3EiNS0_10empty_typeEbEEZZNS1_14partition_implILS5_3ELb0ES3_jN6thrust23THRUST_200600_302600_NS6detail15normal_iteratorINSA_7pointerIiNSA_11hip_rocprim3tagENSA_11use_defaultESG_EEEEPS6_SJ_NS0_5tupleIJPiSJ_EEENSK_IJSJ_SJ_EEES6_PlJ7is_evenIiEEEE10hipError_tPvRmT3_T4_T5_T6_T7_T9_mT8_P12ihipStream_tbDpT10_ENKUlT_T0_E_clISt17integral_constantIbLb1EES19_IbLb0EEEEDaS15_S16_EUlS15_E_NS1_11comp_targetILNS1_3genE2ELNS1_11target_archE906ELNS1_3gpuE6ELNS1_3repE0EEENS1_30default_config_static_selectorELNS0_4arch9wavefront6targetE1EEEvT1_.kd
    .uniform_work_group_size: 1
    .uses_dynamic_stack: false
    .vgpr_count:     0
    .vgpr_spill_count: 0
    .wavefront_size: 64
  - .agpr_count:     0
    .args:
      - .offset:         0
        .size:           120
        .value_kind:     by_value
    .group_segment_fixed_size: 0
    .kernarg_segment_align: 8
    .kernarg_segment_size: 120
    .language:       OpenCL C
    .language_version:
      - 2
      - 0
    .max_flat_workgroup_size: 384
    .name:           _ZN7rocprim17ROCPRIM_400000_NS6detail17trampoline_kernelINS0_14default_configENS1_25partition_config_selectorILNS1_17partition_subalgoE3EiNS0_10empty_typeEbEEZZNS1_14partition_implILS5_3ELb0ES3_jN6thrust23THRUST_200600_302600_NS6detail15normal_iteratorINSA_7pointerIiNSA_11hip_rocprim3tagENSA_11use_defaultESG_EEEEPS6_SJ_NS0_5tupleIJPiSJ_EEENSK_IJSJ_SJ_EEES6_PlJ7is_evenIiEEEE10hipError_tPvRmT3_T4_T5_T6_T7_T9_mT8_P12ihipStream_tbDpT10_ENKUlT_T0_E_clISt17integral_constantIbLb1EES19_IbLb0EEEEDaS15_S16_EUlS15_E_NS1_11comp_targetILNS1_3genE10ELNS1_11target_archE1200ELNS1_3gpuE4ELNS1_3repE0EEENS1_30default_config_static_selectorELNS0_4arch9wavefront6targetE1EEEvT1_
    .private_segment_fixed_size: 0
    .sgpr_count:     4
    .sgpr_spill_count: 0
    .symbol:         _ZN7rocprim17ROCPRIM_400000_NS6detail17trampoline_kernelINS0_14default_configENS1_25partition_config_selectorILNS1_17partition_subalgoE3EiNS0_10empty_typeEbEEZZNS1_14partition_implILS5_3ELb0ES3_jN6thrust23THRUST_200600_302600_NS6detail15normal_iteratorINSA_7pointerIiNSA_11hip_rocprim3tagENSA_11use_defaultESG_EEEEPS6_SJ_NS0_5tupleIJPiSJ_EEENSK_IJSJ_SJ_EEES6_PlJ7is_evenIiEEEE10hipError_tPvRmT3_T4_T5_T6_T7_T9_mT8_P12ihipStream_tbDpT10_ENKUlT_T0_E_clISt17integral_constantIbLb1EES19_IbLb0EEEEDaS15_S16_EUlS15_E_NS1_11comp_targetILNS1_3genE10ELNS1_11target_archE1200ELNS1_3gpuE4ELNS1_3repE0EEENS1_30default_config_static_selectorELNS0_4arch9wavefront6targetE1EEEvT1_.kd
    .uniform_work_group_size: 1
    .uses_dynamic_stack: false
    .vgpr_count:     0
    .vgpr_spill_count: 0
    .wavefront_size: 64
  - .agpr_count:     0
    .args:
      - .offset:         0
        .size:           120
        .value_kind:     by_value
    .group_segment_fixed_size: 0
    .kernarg_segment_align: 8
    .kernarg_segment_size: 120
    .language:       OpenCL C
    .language_version:
      - 2
      - 0
    .max_flat_workgroup_size: 384
    .name:           _ZN7rocprim17ROCPRIM_400000_NS6detail17trampoline_kernelINS0_14default_configENS1_25partition_config_selectorILNS1_17partition_subalgoE3EiNS0_10empty_typeEbEEZZNS1_14partition_implILS5_3ELb0ES3_jN6thrust23THRUST_200600_302600_NS6detail15normal_iteratorINSA_7pointerIiNSA_11hip_rocprim3tagENSA_11use_defaultESG_EEEEPS6_SJ_NS0_5tupleIJPiSJ_EEENSK_IJSJ_SJ_EEES6_PlJ7is_evenIiEEEE10hipError_tPvRmT3_T4_T5_T6_T7_T9_mT8_P12ihipStream_tbDpT10_ENKUlT_T0_E_clISt17integral_constantIbLb1EES19_IbLb0EEEEDaS15_S16_EUlS15_E_NS1_11comp_targetILNS1_3genE9ELNS1_11target_archE1100ELNS1_3gpuE3ELNS1_3repE0EEENS1_30default_config_static_selectorELNS0_4arch9wavefront6targetE1EEEvT1_
    .private_segment_fixed_size: 0
    .sgpr_count:     4
    .sgpr_spill_count: 0
    .symbol:         _ZN7rocprim17ROCPRIM_400000_NS6detail17trampoline_kernelINS0_14default_configENS1_25partition_config_selectorILNS1_17partition_subalgoE3EiNS0_10empty_typeEbEEZZNS1_14partition_implILS5_3ELb0ES3_jN6thrust23THRUST_200600_302600_NS6detail15normal_iteratorINSA_7pointerIiNSA_11hip_rocprim3tagENSA_11use_defaultESG_EEEEPS6_SJ_NS0_5tupleIJPiSJ_EEENSK_IJSJ_SJ_EEES6_PlJ7is_evenIiEEEE10hipError_tPvRmT3_T4_T5_T6_T7_T9_mT8_P12ihipStream_tbDpT10_ENKUlT_T0_E_clISt17integral_constantIbLb1EES19_IbLb0EEEEDaS15_S16_EUlS15_E_NS1_11comp_targetILNS1_3genE9ELNS1_11target_archE1100ELNS1_3gpuE3ELNS1_3repE0EEENS1_30default_config_static_selectorELNS0_4arch9wavefront6targetE1EEEvT1_.kd
    .uniform_work_group_size: 1
    .uses_dynamic_stack: false
    .vgpr_count:     0
    .vgpr_spill_count: 0
    .wavefront_size: 64
  - .agpr_count:     0
    .args:
      - .offset:         0
        .size:           120
        .value_kind:     by_value
    .group_segment_fixed_size: 0
    .kernarg_segment_align: 8
    .kernarg_segment_size: 120
    .language:       OpenCL C
    .language_version:
      - 2
      - 0
    .max_flat_workgroup_size: 512
    .name:           _ZN7rocprim17ROCPRIM_400000_NS6detail17trampoline_kernelINS0_14default_configENS1_25partition_config_selectorILNS1_17partition_subalgoE3EiNS0_10empty_typeEbEEZZNS1_14partition_implILS5_3ELb0ES3_jN6thrust23THRUST_200600_302600_NS6detail15normal_iteratorINSA_7pointerIiNSA_11hip_rocprim3tagENSA_11use_defaultESG_EEEEPS6_SJ_NS0_5tupleIJPiSJ_EEENSK_IJSJ_SJ_EEES6_PlJ7is_evenIiEEEE10hipError_tPvRmT3_T4_T5_T6_T7_T9_mT8_P12ihipStream_tbDpT10_ENKUlT_T0_E_clISt17integral_constantIbLb1EES19_IbLb0EEEEDaS15_S16_EUlS15_E_NS1_11comp_targetILNS1_3genE8ELNS1_11target_archE1030ELNS1_3gpuE2ELNS1_3repE0EEENS1_30default_config_static_selectorELNS0_4arch9wavefront6targetE1EEEvT1_
    .private_segment_fixed_size: 0
    .sgpr_count:     4
    .sgpr_spill_count: 0
    .symbol:         _ZN7rocprim17ROCPRIM_400000_NS6detail17trampoline_kernelINS0_14default_configENS1_25partition_config_selectorILNS1_17partition_subalgoE3EiNS0_10empty_typeEbEEZZNS1_14partition_implILS5_3ELb0ES3_jN6thrust23THRUST_200600_302600_NS6detail15normal_iteratorINSA_7pointerIiNSA_11hip_rocprim3tagENSA_11use_defaultESG_EEEEPS6_SJ_NS0_5tupleIJPiSJ_EEENSK_IJSJ_SJ_EEES6_PlJ7is_evenIiEEEE10hipError_tPvRmT3_T4_T5_T6_T7_T9_mT8_P12ihipStream_tbDpT10_ENKUlT_T0_E_clISt17integral_constantIbLb1EES19_IbLb0EEEEDaS15_S16_EUlS15_E_NS1_11comp_targetILNS1_3genE8ELNS1_11target_archE1030ELNS1_3gpuE2ELNS1_3repE0EEENS1_30default_config_static_selectorELNS0_4arch9wavefront6targetE1EEEvT1_.kd
    .uniform_work_group_size: 1
    .uses_dynamic_stack: false
    .vgpr_count:     0
    .vgpr_spill_count: 0
    .wavefront_size: 64
  - .agpr_count:     0
    .args:
      - .offset:         0
        .size:           136
        .value_kind:     by_value
    .group_segment_fixed_size: 0
    .kernarg_segment_align: 8
    .kernarg_segment_size: 136
    .language:       OpenCL C
    .language_version:
      - 2
      - 0
    .max_flat_workgroup_size: 256
    .name:           _ZN7rocprim17ROCPRIM_400000_NS6detail17trampoline_kernelINS0_14default_configENS1_25partition_config_selectorILNS1_17partition_subalgoE3EiNS0_10empty_typeEbEEZZNS1_14partition_implILS5_3ELb0ES3_jN6thrust23THRUST_200600_302600_NS6detail15normal_iteratorINSA_7pointerIiNSA_11hip_rocprim3tagENSA_11use_defaultESG_EEEEPS6_SJ_NS0_5tupleIJPiSJ_EEENSK_IJSJ_SJ_EEES6_PlJ7is_evenIiEEEE10hipError_tPvRmT3_T4_T5_T6_T7_T9_mT8_P12ihipStream_tbDpT10_ENKUlT_T0_E_clISt17integral_constantIbLb0EES19_IbLb1EEEEDaS15_S16_EUlS15_E_NS1_11comp_targetILNS1_3genE0ELNS1_11target_archE4294967295ELNS1_3gpuE0ELNS1_3repE0EEENS1_30default_config_static_selectorELNS0_4arch9wavefront6targetE1EEEvT1_
    .private_segment_fixed_size: 0
    .sgpr_count:     4
    .sgpr_spill_count: 0
    .symbol:         _ZN7rocprim17ROCPRIM_400000_NS6detail17trampoline_kernelINS0_14default_configENS1_25partition_config_selectorILNS1_17partition_subalgoE3EiNS0_10empty_typeEbEEZZNS1_14partition_implILS5_3ELb0ES3_jN6thrust23THRUST_200600_302600_NS6detail15normal_iteratorINSA_7pointerIiNSA_11hip_rocprim3tagENSA_11use_defaultESG_EEEEPS6_SJ_NS0_5tupleIJPiSJ_EEENSK_IJSJ_SJ_EEES6_PlJ7is_evenIiEEEE10hipError_tPvRmT3_T4_T5_T6_T7_T9_mT8_P12ihipStream_tbDpT10_ENKUlT_T0_E_clISt17integral_constantIbLb0EES19_IbLb1EEEEDaS15_S16_EUlS15_E_NS1_11comp_targetILNS1_3genE0ELNS1_11target_archE4294967295ELNS1_3gpuE0ELNS1_3repE0EEENS1_30default_config_static_selectorELNS0_4arch9wavefront6targetE1EEEvT1_.kd
    .uniform_work_group_size: 1
    .uses_dynamic_stack: false
    .vgpr_count:     0
    .vgpr_spill_count: 0
    .wavefront_size: 64
  - .agpr_count:     0
    .args:
      - .offset:         0
        .size:           136
        .value_kind:     by_value
    .group_segment_fixed_size: 0
    .kernarg_segment_align: 8
    .kernarg_segment_size: 136
    .language:       OpenCL C
    .language_version:
      - 2
      - 0
    .max_flat_workgroup_size: 512
    .name:           _ZN7rocprim17ROCPRIM_400000_NS6detail17trampoline_kernelINS0_14default_configENS1_25partition_config_selectorILNS1_17partition_subalgoE3EiNS0_10empty_typeEbEEZZNS1_14partition_implILS5_3ELb0ES3_jN6thrust23THRUST_200600_302600_NS6detail15normal_iteratorINSA_7pointerIiNSA_11hip_rocprim3tagENSA_11use_defaultESG_EEEEPS6_SJ_NS0_5tupleIJPiSJ_EEENSK_IJSJ_SJ_EEES6_PlJ7is_evenIiEEEE10hipError_tPvRmT3_T4_T5_T6_T7_T9_mT8_P12ihipStream_tbDpT10_ENKUlT_T0_E_clISt17integral_constantIbLb0EES19_IbLb1EEEEDaS15_S16_EUlS15_E_NS1_11comp_targetILNS1_3genE5ELNS1_11target_archE942ELNS1_3gpuE9ELNS1_3repE0EEENS1_30default_config_static_selectorELNS0_4arch9wavefront6targetE1EEEvT1_
    .private_segment_fixed_size: 0
    .sgpr_count:     4
    .sgpr_spill_count: 0
    .symbol:         _ZN7rocprim17ROCPRIM_400000_NS6detail17trampoline_kernelINS0_14default_configENS1_25partition_config_selectorILNS1_17partition_subalgoE3EiNS0_10empty_typeEbEEZZNS1_14partition_implILS5_3ELb0ES3_jN6thrust23THRUST_200600_302600_NS6detail15normal_iteratorINSA_7pointerIiNSA_11hip_rocprim3tagENSA_11use_defaultESG_EEEEPS6_SJ_NS0_5tupleIJPiSJ_EEENSK_IJSJ_SJ_EEES6_PlJ7is_evenIiEEEE10hipError_tPvRmT3_T4_T5_T6_T7_T9_mT8_P12ihipStream_tbDpT10_ENKUlT_T0_E_clISt17integral_constantIbLb0EES19_IbLb1EEEEDaS15_S16_EUlS15_E_NS1_11comp_targetILNS1_3genE5ELNS1_11target_archE942ELNS1_3gpuE9ELNS1_3repE0EEENS1_30default_config_static_selectorELNS0_4arch9wavefront6targetE1EEEvT1_.kd
    .uniform_work_group_size: 1
    .uses_dynamic_stack: false
    .vgpr_count:     0
    .vgpr_spill_count: 0
    .wavefront_size: 64
  - .agpr_count:     0
    .args:
      - .offset:         0
        .size:           136
        .value_kind:     by_value
    .group_segment_fixed_size: 10248
    .kernarg_segment_align: 8
    .kernarg_segment_size: 136
    .language:       OpenCL C
    .language_version:
      - 2
      - 0
    .max_flat_workgroup_size: 256
    .name:           _ZN7rocprim17ROCPRIM_400000_NS6detail17trampoline_kernelINS0_14default_configENS1_25partition_config_selectorILNS1_17partition_subalgoE3EiNS0_10empty_typeEbEEZZNS1_14partition_implILS5_3ELb0ES3_jN6thrust23THRUST_200600_302600_NS6detail15normal_iteratorINSA_7pointerIiNSA_11hip_rocprim3tagENSA_11use_defaultESG_EEEEPS6_SJ_NS0_5tupleIJPiSJ_EEENSK_IJSJ_SJ_EEES6_PlJ7is_evenIiEEEE10hipError_tPvRmT3_T4_T5_T6_T7_T9_mT8_P12ihipStream_tbDpT10_ENKUlT_T0_E_clISt17integral_constantIbLb0EES19_IbLb1EEEEDaS15_S16_EUlS15_E_NS1_11comp_targetILNS1_3genE4ELNS1_11target_archE910ELNS1_3gpuE8ELNS1_3repE0EEENS1_30default_config_static_selectorELNS0_4arch9wavefront6targetE1EEEvT1_
    .private_segment_fixed_size: 0
    .sgpr_count:     48
    .sgpr_spill_count: 0
    .symbol:         _ZN7rocprim17ROCPRIM_400000_NS6detail17trampoline_kernelINS0_14default_configENS1_25partition_config_selectorILNS1_17partition_subalgoE3EiNS0_10empty_typeEbEEZZNS1_14partition_implILS5_3ELb0ES3_jN6thrust23THRUST_200600_302600_NS6detail15normal_iteratorINSA_7pointerIiNSA_11hip_rocprim3tagENSA_11use_defaultESG_EEEEPS6_SJ_NS0_5tupleIJPiSJ_EEENSK_IJSJ_SJ_EEES6_PlJ7is_evenIiEEEE10hipError_tPvRmT3_T4_T5_T6_T7_T9_mT8_P12ihipStream_tbDpT10_ENKUlT_T0_E_clISt17integral_constantIbLb0EES19_IbLb1EEEEDaS15_S16_EUlS15_E_NS1_11comp_targetILNS1_3genE4ELNS1_11target_archE910ELNS1_3gpuE8ELNS1_3repE0EEENS1_30default_config_static_selectorELNS0_4arch9wavefront6targetE1EEEvT1_.kd
    .uniform_work_group_size: 1
    .uses_dynamic_stack: false
    .vgpr_count:     57
    .vgpr_spill_count: 0
    .wavefront_size: 64
  - .agpr_count:     0
    .args:
      - .offset:         0
        .size:           136
        .value_kind:     by_value
    .group_segment_fixed_size: 0
    .kernarg_segment_align: 8
    .kernarg_segment_size: 136
    .language:       OpenCL C
    .language_version:
      - 2
      - 0
    .max_flat_workgroup_size: 256
    .name:           _ZN7rocprim17ROCPRIM_400000_NS6detail17trampoline_kernelINS0_14default_configENS1_25partition_config_selectorILNS1_17partition_subalgoE3EiNS0_10empty_typeEbEEZZNS1_14partition_implILS5_3ELb0ES3_jN6thrust23THRUST_200600_302600_NS6detail15normal_iteratorINSA_7pointerIiNSA_11hip_rocprim3tagENSA_11use_defaultESG_EEEEPS6_SJ_NS0_5tupleIJPiSJ_EEENSK_IJSJ_SJ_EEES6_PlJ7is_evenIiEEEE10hipError_tPvRmT3_T4_T5_T6_T7_T9_mT8_P12ihipStream_tbDpT10_ENKUlT_T0_E_clISt17integral_constantIbLb0EES19_IbLb1EEEEDaS15_S16_EUlS15_E_NS1_11comp_targetILNS1_3genE3ELNS1_11target_archE908ELNS1_3gpuE7ELNS1_3repE0EEENS1_30default_config_static_selectorELNS0_4arch9wavefront6targetE1EEEvT1_
    .private_segment_fixed_size: 0
    .sgpr_count:     4
    .sgpr_spill_count: 0
    .symbol:         _ZN7rocprim17ROCPRIM_400000_NS6detail17trampoline_kernelINS0_14default_configENS1_25partition_config_selectorILNS1_17partition_subalgoE3EiNS0_10empty_typeEbEEZZNS1_14partition_implILS5_3ELb0ES3_jN6thrust23THRUST_200600_302600_NS6detail15normal_iteratorINSA_7pointerIiNSA_11hip_rocprim3tagENSA_11use_defaultESG_EEEEPS6_SJ_NS0_5tupleIJPiSJ_EEENSK_IJSJ_SJ_EEES6_PlJ7is_evenIiEEEE10hipError_tPvRmT3_T4_T5_T6_T7_T9_mT8_P12ihipStream_tbDpT10_ENKUlT_T0_E_clISt17integral_constantIbLb0EES19_IbLb1EEEEDaS15_S16_EUlS15_E_NS1_11comp_targetILNS1_3genE3ELNS1_11target_archE908ELNS1_3gpuE7ELNS1_3repE0EEENS1_30default_config_static_selectorELNS0_4arch9wavefront6targetE1EEEvT1_.kd
    .uniform_work_group_size: 1
    .uses_dynamic_stack: false
    .vgpr_count:     0
    .vgpr_spill_count: 0
    .wavefront_size: 64
  - .agpr_count:     0
    .args:
      - .offset:         0
        .size:           136
        .value_kind:     by_value
    .group_segment_fixed_size: 0
    .kernarg_segment_align: 8
    .kernarg_segment_size: 136
    .language:       OpenCL C
    .language_version:
      - 2
      - 0
    .max_flat_workgroup_size: 192
    .name:           _ZN7rocprim17ROCPRIM_400000_NS6detail17trampoline_kernelINS0_14default_configENS1_25partition_config_selectorILNS1_17partition_subalgoE3EiNS0_10empty_typeEbEEZZNS1_14partition_implILS5_3ELb0ES3_jN6thrust23THRUST_200600_302600_NS6detail15normal_iteratorINSA_7pointerIiNSA_11hip_rocprim3tagENSA_11use_defaultESG_EEEEPS6_SJ_NS0_5tupleIJPiSJ_EEENSK_IJSJ_SJ_EEES6_PlJ7is_evenIiEEEE10hipError_tPvRmT3_T4_T5_T6_T7_T9_mT8_P12ihipStream_tbDpT10_ENKUlT_T0_E_clISt17integral_constantIbLb0EES19_IbLb1EEEEDaS15_S16_EUlS15_E_NS1_11comp_targetILNS1_3genE2ELNS1_11target_archE906ELNS1_3gpuE6ELNS1_3repE0EEENS1_30default_config_static_selectorELNS0_4arch9wavefront6targetE1EEEvT1_
    .private_segment_fixed_size: 0
    .sgpr_count:     4
    .sgpr_spill_count: 0
    .symbol:         _ZN7rocprim17ROCPRIM_400000_NS6detail17trampoline_kernelINS0_14default_configENS1_25partition_config_selectorILNS1_17partition_subalgoE3EiNS0_10empty_typeEbEEZZNS1_14partition_implILS5_3ELb0ES3_jN6thrust23THRUST_200600_302600_NS6detail15normal_iteratorINSA_7pointerIiNSA_11hip_rocprim3tagENSA_11use_defaultESG_EEEEPS6_SJ_NS0_5tupleIJPiSJ_EEENSK_IJSJ_SJ_EEES6_PlJ7is_evenIiEEEE10hipError_tPvRmT3_T4_T5_T6_T7_T9_mT8_P12ihipStream_tbDpT10_ENKUlT_T0_E_clISt17integral_constantIbLb0EES19_IbLb1EEEEDaS15_S16_EUlS15_E_NS1_11comp_targetILNS1_3genE2ELNS1_11target_archE906ELNS1_3gpuE6ELNS1_3repE0EEENS1_30default_config_static_selectorELNS0_4arch9wavefront6targetE1EEEvT1_.kd
    .uniform_work_group_size: 1
    .uses_dynamic_stack: false
    .vgpr_count:     0
    .vgpr_spill_count: 0
    .wavefront_size: 64
  - .agpr_count:     0
    .args:
      - .offset:         0
        .size:           136
        .value_kind:     by_value
    .group_segment_fixed_size: 0
    .kernarg_segment_align: 8
    .kernarg_segment_size: 136
    .language:       OpenCL C
    .language_version:
      - 2
      - 0
    .max_flat_workgroup_size: 384
    .name:           _ZN7rocprim17ROCPRIM_400000_NS6detail17trampoline_kernelINS0_14default_configENS1_25partition_config_selectorILNS1_17partition_subalgoE3EiNS0_10empty_typeEbEEZZNS1_14partition_implILS5_3ELb0ES3_jN6thrust23THRUST_200600_302600_NS6detail15normal_iteratorINSA_7pointerIiNSA_11hip_rocprim3tagENSA_11use_defaultESG_EEEEPS6_SJ_NS0_5tupleIJPiSJ_EEENSK_IJSJ_SJ_EEES6_PlJ7is_evenIiEEEE10hipError_tPvRmT3_T4_T5_T6_T7_T9_mT8_P12ihipStream_tbDpT10_ENKUlT_T0_E_clISt17integral_constantIbLb0EES19_IbLb1EEEEDaS15_S16_EUlS15_E_NS1_11comp_targetILNS1_3genE10ELNS1_11target_archE1200ELNS1_3gpuE4ELNS1_3repE0EEENS1_30default_config_static_selectorELNS0_4arch9wavefront6targetE1EEEvT1_
    .private_segment_fixed_size: 0
    .sgpr_count:     4
    .sgpr_spill_count: 0
    .symbol:         _ZN7rocprim17ROCPRIM_400000_NS6detail17trampoline_kernelINS0_14default_configENS1_25partition_config_selectorILNS1_17partition_subalgoE3EiNS0_10empty_typeEbEEZZNS1_14partition_implILS5_3ELb0ES3_jN6thrust23THRUST_200600_302600_NS6detail15normal_iteratorINSA_7pointerIiNSA_11hip_rocprim3tagENSA_11use_defaultESG_EEEEPS6_SJ_NS0_5tupleIJPiSJ_EEENSK_IJSJ_SJ_EEES6_PlJ7is_evenIiEEEE10hipError_tPvRmT3_T4_T5_T6_T7_T9_mT8_P12ihipStream_tbDpT10_ENKUlT_T0_E_clISt17integral_constantIbLb0EES19_IbLb1EEEEDaS15_S16_EUlS15_E_NS1_11comp_targetILNS1_3genE10ELNS1_11target_archE1200ELNS1_3gpuE4ELNS1_3repE0EEENS1_30default_config_static_selectorELNS0_4arch9wavefront6targetE1EEEvT1_.kd
    .uniform_work_group_size: 1
    .uses_dynamic_stack: false
    .vgpr_count:     0
    .vgpr_spill_count: 0
    .wavefront_size: 64
  - .agpr_count:     0
    .args:
      - .offset:         0
        .size:           136
        .value_kind:     by_value
    .group_segment_fixed_size: 0
    .kernarg_segment_align: 8
    .kernarg_segment_size: 136
    .language:       OpenCL C
    .language_version:
      - 2
      - 0
    .max_flat_workgroup_size: 384
    .name:           _ZN7rocprim17ROCPRIM_400000_NS6detail17trampoline_kernelINS0_14default_configENS1_25partition_config_selectorILNS1_17partition_subalgoE3EiNS0_10empty_typeEbEEZZNS1_14partition_implILS5_3ELb0ES3_jN6thrust23THRUST_200600_302600_NS6detail15normal_iteratorINSA_7pointerIiNSA_11hip_rocprim3tagENSA_11use_defaultESG_EEEEPS6_SJ_NS0_5tupleIJPiSJ_EEENSK_IJSJ_SJ_EEES6_PlJ7is_evenIiEEEE10hipError_tPvRmT3_T4_T5_T6_T7_T9_mT8_P12ihipStream_tbDpT10_ENKUlT_T0_E_clISt17integral_constantIbLb0EES19_IbLb1EEEEDaS15_S16_EUlS15_E_NS1_11comp_targetILNS1_3genE9ELNS1_11target_archE1100ELNS1_3gpuE3ELNS1_3repE0EEENS1_30default_config_static_selectorELNS0_4arch9wavefront6targetE1EEEvT1_
    .private_segment_fixed_size: 0
    .sgpr_count:     4
    .sgpr_spill_count: 0
    .symbol:         _ZN7rocprim17ROCPRIM_400000_NS6detail17trampoline_kernelINS0_14default_configENS1_25partition_config_selectorILNS1_17partition_subalgoE3EiNS0_10empty_typeEbEEZZNS1_14partition_implILS5_3ELb0ES3_jN6thrust23THRUST_200600_302600_NS6detail15normal_iteratorINSA_7pointerIiNSA_11hip_rocprim3tagENSA_11use_defaultESG_EEEEPS6_SJ_NS0_5tupleIJPiSJ_EEENSK_IJSJ_SJ_EEES6_PlJ7is_evenIiEEEE10hipError_tPvRmT3_T4_T5_T6_T7_T9_mT8_P12ihipStream_tbDpT10_ENKUlT_T0_E_clISt17integral_constantIbLb0EES19_IbLb1EEEEDaS15_S16_EUlS15_E_NS1_11comp_targetILNS1_3genE9ELNS1_11target_archE1100ELNS1_3gpuE3ELNS1_3repE0EEENS1_30default_config_static_selectorELNS0_4arch9wavefront6targetE1EEEvT1_.kd
    .uniform_work_group_size: 1
    .uses_dynamic_stack: false
    .vgpr_count:     0
    .vgpr_spill_count: 0
    .wavefront_size: 64
  - .agpr_count:     0
    .args:
      - .offset:         0
        .size:           136
        .value_kind:     by_value
    .group_segment_fixed_size: 0
    .kernarg_segment_align: 8
    .kernarg_segment_size: 136
    .language:       OpenCL C
    .language_version:
      - 2
      - 0
    .max_flat_workgroup_size: 512
    .name:           _ZN7rocprim17ROCPRIM_400000_NS6detail17trampoline_kernelINS0_14default_configENS1_25partition_config_selectorILNS1_17partition_subalgoE3EiNS0_10empty_typeEbEEZZNS1_14partition_implILS5_3ELb0ES3_jN6thrust23THRUST_200600_302600_NS6detail15normal_iteratorINSA_7pointerIiNSA_11hip_rocprim3tagENSA_11use_defaultESG_EEEEPS6_SJ_NS0_5tupleIJPiSJ_EEENSK_IJSJ_SJ_EEES6_PlJ7is_evenIiEEEE10hipError_tPvRmT3_T4_T5_T6_T7_T9_mT8_P12ihipStream_tbDpT10_ENKUlT_T0_E_clISt17integral_constantIbLb0EES19_IbLb1EEEEDaS15_S16_EUlS15_E_NS1_11comp_targetILNS1_3genE8ELNS1_11target_archE1030ELNS1_3gpuE2ELNS1_3repE0EEENS1_30default_config_static_selectorELNS0_4arch9wavefront6targetE1EEEvT1_
    .private_segment_fixed_size: 0
    .sgpr_count:     4
    .sgpr_spill_count: 0
    .symbol:         _ZN7rocprim17ROCPRIM_400000_NS6detail17trampoline_kernelINS0_14default_configENS1_25partition_config_selectorILNS1_17partition_subalgoE3EiNS0_10empty_typeEbEEZZNS1_14partition_implILS5_3ELb0ES3_jN6thrust23THRUST_200600_302600_NS6detail15normal_iteratorINSA_7pointerIiNSA_11hip_rocprim3tagENSA_11use_defaultESG_EEEEPS6_SJ_NS0_5tupleIJPiSJ_EEENSK_IJSJ_SJ_EEES6_PlJ7is_evenIiEEEE10hipError_tPvRmT3_T4_T5_T6_T7_T9_mT8_P12ihipStream_tbDpT10_ENKUlT_T0_E_clISt17integral_constantIbLb0EES19_IbLb1EEEEDaS15_S16_EUlS15_E_NS1_11comp_targetILNS1_3genE8ELNS1_11target_archE1030ELNS1_3gpuE2ELNS1_3repE0EEENS1_30default_config_static_selectorELNS0_4arch9wavefront6targetE1EEEvT1_.kd
    .uniform_work_group_size: 1
    .uses_dynamic_stack: false
    .vgpr_count:     0
    .vgpr_spill_count: 0
    .wavefront_size: 64
  - .agpr_count:     0
    .args:
      - .offset:         0
        .size:           104
        .value_kind:     by_value
    .group_segment_fixed_size: 0
    .kernarg_segment_align: 8
    .kernarg_segment_size: 104
    .language:       OpenCL C
    .language_version:
      - 2
      - 0
    .max_flat_workgroup_size: 128
    .name:           _ZN7rocprim17ROCPRIM_400000_NS6detail17trampoline_kernelINS0_14default_configENS1_22reduce_config_selectorIN6thrust23THRUST_200600_302600_NS5tupleIblNS6_9null_typeES8_S8_S8_S8_S8_S8_S8_EEEEZNS1_11reduce_implILb1ES3_NS6_12zip_iteratorINS7_INS6_11hip_rocprim26transform_input_iterator_tIbNSD_35transform_pair_of_input_iterators_tIbNS6_6detail15normal_iteratorINS6_10device_ptrIKiEEEESL_NS6_8equal_toIiEEEENSG_9not_fun_tINSD_8identityEEEEENSD_19counting_iterator_tIlEES8_S8_S8_S8_S8_S8_S8_S8_EEEEPS9_S9_NSD_9__find_if7functorIS9_EEEE10hipError_tPvRmT1_T2_T3_mT4_P12ihipStream_tbEUlT_E0_NS1_11comp_targetILNS1_3genE0ELNS1_11target_archE4294967295ELNS1_3gpuE0ELNS1_3repE0EEENS1_30default_config_static_selectorELNS0_4arch9wavefront6targetE1EEEvS14_
    .private_segment_fixed_size: 0
    .sgpr_count:     4
    .sgpr_spill_count: 0
    .symbol:         _ZN7rocprim17ROCPRIM_400000_NS6detail17trampoline_kernelINS0_14default_configENS1_22reduce_config_selectorIN6thrust23THRUST_200600_302600_NS5tupleIblNS6_9null_typeES8_S8_S8_S8_S8_S8_S8_EEEEZNS1_11reduce_implILb1ES3_NS6_12zip_iteratorINS7_INS6_11hip_rocprim26transform_input_iterator_tIbNSD_35transform_pair_of_input_iterators_tIbNS6_6detail15normal_iteratorINS6_10device_ptrIKiEEEESL_NS6_8equal_toIiEEEENSG_9not_fun_tINSD_8identityEEEEENSD_19counting_iterator_tIlEES8_S8_S8_S8_S8_S8_S8_S8_EEEEPS9_S9_NSD_9__find_if7functorIS9_EEEE10hipError_tPvRmT1_T2_T3_mT4_P12ihipStream_tbEUlT_E0_NS1_11comp_targetILNS1_3genE0ELNS1_11target_archE4294967295ELNS1_3gpuE0ELNS1_3repE0EEENS1_30default_config_static_selectorELNS0_4arch9wavefront6targetE1EEEvS14_.kd
    .uniform_work_group_size: 1
    .uses_dynamic_stack: false
    .vgpr_count:     0
    .vgpr_spill_count: 0
    .wavefront_size: 64
  - .agpr_count:     0
    .args:
      - .offset:         0
        .size:           104
        .value_kind:     by_value
    .group_segment_fixed_size: 0
    .kernarg_segment_align: 8
    .kernarg_segment_size: 104
    .language:       OpenCL C
    .language_version:
      - 2
      - 0
    .max_flat_workgroup_size: 256
    .name:           _ZN7rocprim17ROCPRIM_400000_NS6detail17trampoline_kernelINS0_14default_configENS1_22reduce_config_selectorIN6thrust23THRUST_200600_302600_NS5tupleIblNS6_9null_typeES8_S8_S8_S8_S8_S8_S8_EEEEZNS1_11reduce_implILb1ES3_NS6_12zip_iteratorINS7_INS6_11hip_rocprim26transform_input_iterator_tIbNSD_35transform_pair_of_input_iterators_tIbNS6_6detail15normal_iteratorINS6_10device_ptrIKiEEEESL_NS6_8equal_toIiEEEENSG_9not_fun_tINSD_8identityEEEEENSD_19counting_iterator_tIlEES8_S8_S8_S8_S8_S8_S8_S8_EEEEPS9_S9_NSD_9__find_if7functorIS9_EEEE10hipError_tPvRmT1_T2_T3_mT4_P12ihipStream_tbEUlT_E0_NS1_11comp_targetILNS1_3genE5ELNS1_11target_archE942ELNS1_3gpuE9ELNS1_3repE0EEENS1_30default_config_static_selectorELNS0_4arch9wavefront6targetE1EEEvS14_
    .private_segment_fixed_size: 0
    .sgpr_count:     4
    .sgpr_spill_count: 0
    .symbol:         _ZN7rocprim17ROCPRIM_400000_NS6detail17trampoline_kernelINS0_14default_configENS1_22reduce_config_selectorIN6thrust23THRUST_200600_302600_NS5tupleIblNS6_9null_typeES8_S8_S8_S8_S8_S8_S8_EEEEZNS1_11reduce_implILb1ES3_NS6_12zip_iteratorINS7_INS6_11hip_rocprim26transform_input_iterator_tIbNSD_35transform_pair_of_input_iterators_tIbNS6_6detail15normal_iteratorINS6_10device_ptrIKiEEEESL_NS6_8equal_toIiEEEENSG_9not_fun_tINSD_8identityEEEEENSD_19counting_iterator_tIlEES8_S8_S8_S8_S8_S8_S8_S8_EEEEPS9_S9_NSD_9__find_if7functorIS9_EEEE10hipError_tPvRmT1_T2_T3_mT4_P12ihipStream_tbEUlT_E0_NS1_11comp_targetILNS1_3genE5ELNS1_11target_archE942ELNS1_3gpuE9ELNS1_3repE0EEENS1_30default_config_static_selectorELNS0_4arch9wavefront6targetE1EEEvS14_.kd
    .uniform_work_group_size: 1
    .uses_dynamic_stack: false
    .vgpr_count:     0
    .vgpr_spill_count: 0
    .wavefront_size: 64
  - .agpr_count:     0
    .args:
      - .offset:         0
        .size:           104
        .value_kind:     by_value
    .group_segment_fixed_size: 128
    .kernarg_segment_align: 8
    .kernarg_segment_size: 104
    .language:       OpenCL C
    .language_version:
      - 2
      - 0
    .max_flat_workgroup_size: 256
    .name:           _ZN7rocprim17ROCPRIM_400000_NS6detail17trampoline_kernelINS0_14default_configENS1_22reduce_config_selectorIN6thrust23THRUST_200600_302600_NS5tupleIblNS6_9null_typeES8_S8_S8_S8_S8_S8_S8_EEEEZNS1_11reduce_implILb1ES3_NS6_12zip_iteratorINS7_INS6_11hip_rocprim26transform_input_iterator_tIbNSD_35transform_pair_of_input_iterators_tIbNS6_6detail15normal_iteratorINS6_10device_ptrIKiEEEESL_NS6_8equal_toIiEEEENSG_9not_fun_tINSD_8identityEEEEENSD_19counting_iterator_tIlEES8_S8_S8_S8_S8_S8_S8_S8_EEEEPS9_S9_NSD_9__find_if7functorIS9_EEEE10hipError_tPvRmT1_T2_T3_mT4_P12ihipStream_tbEUlT_E0_NS1_11comp_targetILNS1_3genE4ELNS1_11target_archE910ELNS1_3gpuE8ELNS1_3repE0EEENS1_30default_config_static_selectorELNS0_4arch9wavefront6targetE1EEEvS14_
    .private_segment_fixed_size: 0
    .sgpr_count:     32
    .sgpr_spill_count: 0
    .symbol:         _ZN7rocprim17ROCPRIM_400000_NS6detail17trampoline_kernelINS0_14default_configENS1_22reduce_config_selectorIN6thrust23THRUST_200600_302600_NS5tupleIblNS6_9null_typeES8_S8_S8_S8_S8_S8_S8_EEEEZNS1_11reduce_implILb1ES3_NS6_12zip_iteratorINS7_INS6_11hip_rocprim26transform_input_iterator_tIbNSD_35transform_pair_of_input_iterators_tIbNS6_6detail15normal_iteratorINS6_10device_ptrIKiEEEESL_NS6_8equal_toIiEEEENSG_9not_fun_tINSD_8identityEEEEENSD_19counting_iterator_tIlEES8_S8_S8_S8_S8_S8_S8_S8_EEEEPS9_S9_NSD_9__find_if7functorIS9_EEEE10hipError_tPvRmT1_T2_T3_mT4_P12ihipStream_tbEUlT_E0_NS1_11comp_targetILNS1_3genE4ELNS1_11target_archE910ELNS1_3gpuE8ELNS1_3repE0EEENS1_30default_config_static_selectorELNS0_4arch9wavefront6targetE1EEEvS14_.kd
    .uniform_work_group_size: 1
    .uses_dynamic_stack: false
    .vgpr_count:     12
    .vgpr_spill_count: 0
    .wavefront_size: 64
  - .agpr_count:     0
    .args:
      - .offset:         0
        .size:           104
        .value_kind:     by_value
    .group_segment_fixed_size: 0
    .kernarg_segment_align: 8
    .kernarg_segment_size: 104
    .language:       OpenCL C
    .language_version:
      - 2
      - 0
    .max_flat_workgroup_size: 128
    .name:           _ZN7rocprim17ROCPRIM_400000_NS6detail17trampoline_kernelINS0_14default_configENS1_22reduce_config_selectorIN6thrust23THRUST_200600_302600_NS5tupleIblNS6_9null_typeES8_S8_S8_S8_S8_S8_S8_EEEEZNS1_11reduce_implILb1ES3_NS6_12zip_iteratorINS7_INS6_11hip_rocprim26transform_input_iterator_tIbNSD_35transform_pair_of_input_iterators_tIbNS6_6detail15normal_iteratorINS6_10device_ptrIKiEEEESL_NS6_8equal_toIiEEEENSG_9not_fun_tINSD_8identityEEEEENSD_19counting_iterator_tIlEES8_S8_S8_S8_S8_S8_S8_S8_EEEEPS9_S9_NSD_9__find_if7functorIS9_EEEE10hipError_tPvRmT1_T2_T3_mT4_P12ihipStream_tbEUlT_E0_NS1_11comp_targetILNS1_3genE3ELNS1_11target_archE908ELNS1_3gpuE7ELNS1_3repE0EEENS1_30default_config_static_selectorELNS0_4arch9wavefront6targetE1EEEvS14_
    .private_segment_fixed_size: 0
    .sgpr_count:     4
    .sgpr_spill_count: 0
    .symbol:         _ZN7rocprim17ROCPRIM_400000_NS6detail17trampoline_kernelINS0_14default_configENS1_22reduce_config_selectorIN6thrust23THRUST_200600_302600_NS5tupleIblNS6_9null_typeES8_S8_S8_S8_S8_S8_S8_EEEEZNS1_11reduce_implILb1ES3_NS6_12zip_iteratorINS7_INS6_11hip_rocprim26transform_input_iterator_tIbNSD_35transform_pair_of_input_iterators_tIbNS6_6detail15normal_iteratorINS6_10device_ptrIKiEEEESL_NS6_8equal_toIiEEEENSG_9not_fun_tINSD_8identityEEEEENSD_19counting_iterator_tIlEES8_S8_S8_S8_S8_S8_S8_S8_EEEEPS9_S9_NSD_9__find_if7functorIS9_EEEE10hipError_tPvRmT1_T2_T3_mT4_P12ihipStream_tbEUlT_E0_NS1_11comp_targetILNS1_3genE3ELNS1_11target_archE908ELNS1_3gpuE7ELNS1_3repE0EEENS1_30default_config_static_selectorELNS0_4arch9wavefront6targetE1EEEvS14_.kd
    .uniform_work_group_size: 1
    .uses_dynamic_stack: false
    .vgpr_count:     0
    .vgpr_spill_count: 0
    .wavefront_size: 64
  - .agpr_count:     0
    .args:
      - .offset:         0
        .size:           104
        .value_kind:     by_value
    .group_segment_fixed_size: 0
    .kernarg_segment_align: 8
    .kernarg_segment_size: 104
    .language:       OpenCL C
    .language_version:
      - 2
      - 0
    .max_flat_workgroup_size: 128
    .name:           _ZN7rocprim17ROCPRIM_400000_NS6detail17trampoline_kernelINS0_14default_configENS1_22reduce_config_selectorIN6thrust23THRUST_200600_302600_NS5tupleIblNS6_9null_typeES8_S8_S8_S8_S8_S8_S8_EEEEZNS1_11reduce_implILb1ES3_NS6_12zip_iteratorINS7_INS6_11hip_rocprim26transform_input_iterator_tIbNSD_35transform_pair_of_input_iterators_tIbNS6_6detail15normal_iteratorINS6_10device_ptrIKiEEEESL_NS6_8equal_toIiEEEENSG_9not_fun_tINSD_8identityEEEEENSD_19counting_iterator_tIlEES8_S8_S8_S8_S8_S8_S8_S8_EEEEPS9_S9_NSD_9__find_if7functorIS9_EEEE10hipError_tPvRmT1_T2_T3_mT4_P12ihipStream_tbEUlT_E0_NS1_11comp_targetILNS1_3genE2ELNS1_11target_archE906ELNS1_3gpuE6ELNS1_3repE0EEENS1_30default_config_static_selectorELNS0_4arch9wavefront6targetE1EEEvS14_
    .private_segment_fixed_size: 0
    .sgpr_count:     4
    .sgpr_spill_count: 0
    .symbol:         _ZN7rocprim17ROCPRIM_400000_NS6detail17trampoline_kernelINS0_14default_configENS1_22reduce_config_selectorIN6thrust23THRUST_200600_302600_NS5tupleIblNS6_9null_typeES8_S8_S8_S8_S8_S8_S8_EEEEZNS1_11reduce_implILb1ES3_NS6_12zip_iteratorINS7_INS6_11hip_rocprim26transform_input_iterator_tIbNSD_35transform_pair_of_input_iterators_tIbNS6_6detail15normal_iteratorINS6_10device_ptrIKiEEEESL_NS6_8equal_toIiEEEENSG_9not_fun_tINSD_8identityEEEEENSD_19counting_iterator_tIlEES8_S8_S8_S8_S8_S8_S8_S8_EEEEPS9_S9_NSD_9__find_if7functorIS9_EEEE10hipError_tPvRmT1_T2_T3_mT4_P12ihipStream_tbEUlT_E0_NS1_11comp_targetILNS1_3genE2ELNS1_11target_archE906ELNS1_3gpuE6ELNS1_3repE0EEENS1_30default_config_static_selectorELNS0_4arch9wavefront6targetE1EEEvS14_.kd
    .uniform_work_group_size: 1
    .uses_dynamic_stack: false
    .vgpr_count:     0
    .vgpr_spill_count: 0
    .wavefront_size: 64
  - .agpr_count:     0
    .args:
      - .offset:         0
        .size:           104
        .value_kind:     by_value
    .group_segment_fixed_size: 0
    .kernarg_segment_align: 8
    .kernarg_segment_size: 104
    .language:       OpenCL C
    .language_version:
      - 2
      - 0
    .max_flat_workgroup_size: 256
    .name:           _ZN7rocprim17ROCPRIM_400000_NS6detail17trampoline_kernelINS0_14default_configENS1_22reduce_config_selectorIN6thrust23THRUST_200600_302600_NS5tupleIblNS6_9null_typeES8_S8_S8_S8_S8_S8_S8_EEEEZNS1_11reduce_implILb1ES3_NS6_12zip_iteratorINS7_INS6_11hip_rocprim26transform_input_iterator_tIbNSD_35transform_pair_of_input_iterators_tIbNS6_6detail15normal_iteratorINS6_10device_ptrIKiEEEESL_NS6_8equal_toIiEEEENSG_9not_fun_tINSD_8identityEEEEENSD_19counting_iterator_tIlEES8_S8_S8_S8_S8_S8_S8_S8_EEEEPS9_S9_NSD_9__find_if7functorIS9_EEEE10hipError_tPvRmT1_T2_T3_mT4_P12ihipStream_tbEUlT_E0_NS1_11comp_targetILNS1_3genE10ELNS1_11target_archE1201ELNS1_3gpuE5ELNS1_3repE0EEENS1_30default_config_static_selectorELNS0_4arch9wavefront6targetE1EEEvS14_
    .private_segment_fixed_size: 0
    .sgpr_count:     4
    .sgpr_spill_count: 0
    .symbol:         _ZN7rocprim17ROCPRIM_400000_NS6detail17trampoline_kernelINS0_14default_configENS1_22reduce_config_selectorIN6thrust23THRUST_200600_302600_NS5tupleIblNS6_9null_typeES8_S8_S8_S8_S8_S8_S8_EEEEZNS1_11reduce_implILb1ES3_NS6_12zip_iteratorINS7_INS6_11hip_rocprim26transform_input_iterator_tIbNSD_35transform_pair_of_input_iterators_tIbNS6_6detail15normal_iteratorINS6_10device_ptrIKiEEEESL_NS6_8equal_toIiEEEENSG_9not_fun_tINSD_8identityEEEEENSD_19counting_iterator_tIlEES8_S8_S8_S8_S8_S8_S8_S8_EEEEPS9_S9_NSD_9__find_if7functorIS9_EEEE10hipError_tPvRmT1_T2_T3_mT4_P12ihipStream_tbEUlT_E0_NS1_11comp_targetILNS1_3genE10ELNS1_11target_archE1201ELNS1_3gpuE5ELNS1_3repE0EEENS1_30default_config_static_selectorELNS0_4arch9wavefront6targetE1EEEvS14_.kd
    .uniform_work_group_size: 1
    .uses_dynamic_stack: false
    .vgpr_count:     0
    .vgpr_spill_count: 0
    .wavefront_size: 64
  - .agpr_count:     0
    .args:
      - .offset:         0
        .size:           104
        .value_kind:     by_value
    .group_segment_fixed_size: 0
    .kernarg_segment_align: 8
    .kernarg_segment_size: 104
    .language:       OpenCL C
    .language_version:
      - 2
      - 0
    .max_flat_workgroup_size: 256
    .name:           _ZN7rocprim17ROCPRIM_400000_NS6detail17trampoline_kernelINS0_14default_configENS1_22reduce_config_selectorIN6thrust23THRUST_200600_302600_NS5tupleIblNS6_9null_typeES8_S8_S8_S8_S8_S8_S8_EEEEZNS1_11reduce_implILb1ES3_NS6_12zip_iteratorINS7_INS6_11hip_rocprim26transform_input_iterator_tIbNSD_35transform_pair_of_input_iterators_tIbNS6_6detail15normal_iteratorINS6_10device_ptrIKiEEEESL_NS6_8equal_toIiEEEENSG_9not_fun_tINSD_8identityEEEEENSD_19counting_iterator_tIlEES8_S8_S8_S8_S8_S8_S8_S8_EEEEPS9_S9_NSD_9__find_if7functorIS9_EEEE10hipError_tPvRmT1_T2_T3_mT4_P12ihipStream_tbEUlT_E0_NS1_11comp_targetILNS1_3genE10ELNS1_11target_archE1200ELNS1_3gpuE4ELNS1_3repE0EEENS1_30default_config_static_selectorELNS0_4arch9wavefront6targetE1EEEvS14_
    .private_segment_fixed_size: 0
    .sgpr_count:     4
    .sgpr_spill_count: 0
    .symbol:         _ZN7rocprim17ROCPRIM_400000_NS6detail17trampoline_kernelINS0_14default_configENS1_22reduce_config_selectorIN6thrust23THRUST_200600_302600_NS5tupleIblNS6_9null_typeES8_S8_S8_S8_S8_S8_S8_EEEEZNS1_11reduce_implILb1ES3_NS6_12zip_iteratorINS7_INS6_11hip_rocprim26transform_input_iterator_tIbNSD_35transform_pair_of_input_iterators_tIbNS6_6detail15normal_iteratorINS6_10device_ptrIKiEEEESL_NS6_8equal_toIiEEEENSG_9not_fun_tINSD_8identityEEEEENSD_19counting_iterator_tIlEES8_S8_S8_S8_S8_S8_S8_S8_EEEEPS9_S9_NSD_9__find_if7functorIS9_EEEE10hipError_tPvRmT1_T2_T3_mT4_P12ihipStream_tbEUlT_E0_NS1_11comp_targetILNS1_3genE10ELNS1_11target_archE1200ELNS1_3gpuE4ELNS1_3repE0EEENS1_30default_config_static_selectorELNS0_4arch9wavefront6targetE1EEEvS14_.kd
    .uniform_work_group_size: 1
    .uses_dynamic_stack: false
    .vgpr_count:     0
    .vgpr_spill_count: 0
    .wavefront_size: 64
  - .agpr_count:     0
    .args:
      - .offset:         0
        .size:           104
        .value_kind:     by_value
    .group_segment_fixed_size: 0
    .kernarg_segment_align: 8
    .kernarg_segment_size: 104
    .language:       OpenCL C
    .language_version:
      - 2
      - 0
    .max_flat_workgroup_size: 256
    .name:           _ZN7rocprim17ROCPRIM_400000_NS6detail17trampoline_kernelINS0_14default_configENS1_22reduce_config_selectorIN6thrust23THRUST_200600_302600_NS5tupleIblNS6_9null_typeES8_S8_S8_S8_S8_S8_S8_EEEEZNS1_11reduce_implILb1ES3_NS6_12zip_iteratorINS7_INS6_11hip_rocprim26transform_input_iterator_tIbNSD_35transform_pair_of_input_iterators_tIbNS6_6detail15normal_iteratorINS6_10device_ptrIKiEEEESL_NS6_8equal_toIiEEEENSG_9not_fun_tINSD_8identityEEEEENSD_19counting_iterator_tIlEES8_S8_S8_S8_S8_S8_S8_S8_EEEEPS9_S9_NSD_9__find_if7functorIS9_EEEE10hipError_tPvRmT1_T2_T3_mT4_P12ihipStream_tbEUlT_E0_NS1_11comp_targetILNS1_3genE9ELNS1_11target_archE1100ELNS1_3gpuE3ELNS1_3repE0EEENS1_30default_config_static_selectorELNS0_4arch9wavefront6targetE1EEEvS14_
    .private_segment_fixed_size: 0
    .sgpr_count:     4
    .sgpr_spill_count: 0
    .symbol:         _ZN7rocprim17ROCPRIM_400000_NS6detail17trampoline_kernelINS0_14default_configENS1_22reduce_config_selectorIN6thrust23THRUST_200600_302600_NS5tupleIblNS6_9null_typeES8_S8_S8_S8_S8_S8_S8_EEEEZNS1_11reduce_implILb1ES3_NS6_12zip_iteratorINS7_INS6_11hip_rocprim26transform_input_iterator_tIbNSD_35transform_pair_of_input_iterators_tIbNS6_6detail15normal_iteratorINS6_10device_ptrIKiEEEESL_NS6_8equal_toIiEEEENSG_9not_fun_tINSD_8identityEEEEENSD_19counting_iterator_tIlEES8_S8_S8_S8_S8_S8_S8_S8_EEEEPS9_S9_NSD_9__find_if7functorIS9_EEEE10hipError_tPvRmT1_T2_T3_mT4_P12ihipStream_tbEUlT_E0_NS1_11comp_targetILNS1_3genE9ELNS1_11target_archE1100ELNS1_3gpuE3ELNS1_3repE0EEENS1_30default_config_static_selectorELNS0_4arch9wavefront6targetE1EEEvS14_.kd
    .uniform_work_group_size: 1
    .uses_dynamic_stack: false
    .vgpr_count:     0
    .vgpr_spill_count: 0
    .wavefront_size: 64
  - .agpr_count:     0
    .args:
      - .offset:         0
        .size:           104
        .value_kind:     by_value
    .group_segment_fixed_size: 0
    .kernarg_segment_align: 8
    .kernarg_segment_size: 104
    .language:       OpenCL C
    .language_version:
      - 2
      - 0
    .max_flat_workgroup_size: 256
    .name:           _ZN7rocprim17ROCPRIM_400000_NS6detail17trampoline_kernelINS0_14default_configENS1_22reduce_config_selectorIN6thrust23THRUST_200600_302600_NS5tupleIblNS6_9null_typeES8_S8_S8_S8_S8_S8_S8_EEEEZNS1_11reduce_implILb1ES3_NS6_12zip_iteratorINS7_INS6_11hip_rocprim26transform_input_iterator_tIbNSD_35transform_pair_of_input_iterators_tIbNS6_6detail15normal_iteratorINS6_10device_ptrIKiEEEESL_NS6_8equal_toIiEEEENSG_9not_fun_tINSD_8identityEEEEENSD_19counting_iterator_tIlEES8_S8_S8_S8_S8_S8_S8_S8_EEEEPS9_S9_NSD_9__find_if7functorIS9_EEEE10hipError_tPvRmT1_T2_T3_mT4_P12ihipStream_tbEUlT_E0_NS1_11comp_targetILNS1_3genE8ELNS1_11target_archE1030ELNS1_3gpuE2ELNS1_3repE0EEENS1_30default_config_static_selectorELNS0_4arch9wavefront6targetE1EEEvS14_
    .private_segment_fixed_size: 0
    .sgpr_count:     4
    .sgpr_spill_count: 0
    .symbol:         _ZN7rocprim17ROCPRIM_400000_NS6detail17trampoline_kernelINS0_14default_configENS1_22reduce_config_selectorIN6thrust23THRUST_200600_302600_NS5tupleIblNS6_9null_typeES8_S8_S8_S8_S8_S8_S8_EEEEZNS1_11reduce_implILb1ES3_NS6_12zip_iteratorINS7_INS6_11hip_rocprim26transform_input_iterator_tIbNSD_35transform_pair_of_input_iterators_tIbNS6_6detail15normal_iteratorINS6_10device_ptrIKiEEEESL_NS6_8equal_toIiEEEENSG_9not_fun_tINSD_8identityEEEEENSD_19counting_iterator_tIlEES8_S8_S8_S8_S8_S8_S8_S8_EEEEPS9_S9_NSD_9__find_if7functorIS9_EEEE10hipError_tPvRmT1_T2_T3_mT4_P12ihipStream_tbEUlT_E0_NS1_11comp_targetILNS1_3genE8ELNS1_11target_archE1030ELNS1_3gpuE2ELNS1_3repE0EEENS1_30default_config_static_selectorELNS0_4arch9wavefront6targetE1EEEvS14_.kd
    .uniform_work_group_size: 1
    .uses_dynamic_stack: false
    .vgpr_count:     0
    .vgpr_spill_count: 0
    .wavefront_size: 64
  - .agpr_count:     0
    .args:
      - .offset:         0
        .size:           88
        .value_kind:     by_value
    .group_segment_fixed_size: 0
    .kernarg_segment_align: 8
    .kernarg_segment_size: 88
    .language:       OpenCL C
    .language_version:
      - 2
      - 0
    .max_flat_workgroup_size: 128
    .name:           _ZN7rocprim17ROCPRIM_400000_NS6detail17trampoline_kernelINS0_14default_configENS1_22reduce_config_selectorIN6thrust23THRUST_200600_302600_NS5tupleIblNS6_9null_typeES8_S8_S8_S8_S8_S8_S8_EEEEZNS1_11reduce_implILb1ES3_NS6_12zip_iteratorINS7_INS6_11hip_rocprim26transform_input_iterator_tIbNSD_35transform_pair_of_input_iterators_tIbNS6_6detail15normal_iteratorINS6_10device_ptrIKiEEEESL_NS6_8equal_toIiEEEENSG_9not_fun_tINSD_8identityEEEEENSD_19counting_iterator_tIlEES8_S8_S8_S8_S8_S8_S8_S8_EEEEPS9_S9_NSD_9__find_if7functorIS9_EEEE10hipError_tPvRmT1_T2_T3_mT4_P12ihipStream_tbEUlT_E1_NS1_11comp_targetILNS1_3genE0ELNS1_11target_archE4294967295ELNS1_3gpuE0ELNS1_3repE0EEENS1_30default_config_static_selectorELNS0_4arch9wavefront6targetE1EEEvS14_
    .private_segment_fixed_size: 0
    .sgpr_count:     4
    .sgpr_spill_count: 0
    .symbol:         _ZN7rocprim17ROCPRIM_400000_NS6detail17trampoline_kernelINS0_14default_configENS1_22reduce_config_selectorIN6thrust23THRUST_200600_302600_NS5tupleIblNS6_9null_typeES8_S8_S8_S8_S8_S8_S8_EEEEZNS1_11reduce_implILb1ES3_NS6_12zip_iteratorINS7_INS6_11hip_rocprim26transform_input_iterator_tIbNSD_35transform_pair_of_input_iterators_tIbNS6_6detail15normal_iteratorINS6_10device_ptrIKiEEEESL_NS6_8equal_toIiEEEENSG_9not_fun_tINSD_8identityEEEEENSD_19counting_iterator_tIlEES8_S8_S8_S8_S8_S8_S8_S8_EEEEPS9_S9_NSD_9__find_if7functorIS9_EEEE10hipError_tPvRmT1_T2_T3_mT4_P12ihipStream_tbEUlT_E1_NS1_11comp_targetILNS1_3genE0ELNS1_11target_archE4294967295ELNS1_3gpuE0ELNS1_3repE0EEENS1_30default_config_static_selectorELNS0_4arch9wavefront6targetE1EEEvS14_.kd
    .uniform_work_group_size: 1
    .uses_dynamic_stack: false
    .vgpr_count:     0
    .vgpr_spill_count: 0
    .wavefront_size: 64
  - .agpr_count:     0
    .args:
      - .offset:         0
        .size:           88
        .value_kind:     by_value
    .group_segment_fixed_size: 0
    .kernarg_segment_align: 8
    .kernarg_segment_size: 88
    .language:       OpenCL C
    .language_version:
      - 2
      - 0
    .max_flat_workgroup_size: 256
    .name:           _ZN7rocprim17ROCPRIM_400000_NS6detail17trampoline_kernelINS0_14default_configENS1_22reduce_config_selectorIN6thrust23THRUST_200600_302600_NS5tupleIblNS6_9null_typeES8_S8_S8_S8_S8_S8_S8_EEEEZNS1_11reduce_implILb1ES3_NS6_12zip_iteratorINS7_INS6_11hip_rocprim26transform_input_iterator_tIbNSD_35transform_pair_of_input_iterators_tIbNS6_6detail15normal_iteratorINS6_10device_ptrIKiEEEESL_NS6_8equal_toIiEEEENSG_9not_fun_tINSD_8identityEEEEENSD_19counting_iterator_tIlEES8_S8_S8_S8_S8_S8_S8_S8_EEEEPS9_S9_NSD_9__find_if7functorIS9_EEEE10hipError_tPvRmT1_T2_T3_mT4_P12ihipStream_tbEUlT_E1_NS1_11comp_targetILNS1_3genE5ELNS1_11target_archE942ELNS1_3gpuE9ELNS1_3repE0EEENS1_30default_config_static_selectorELNS0_4arch9wavefront6targetE1EEEvS14_
    .private_segment_fixed_size: 0
    .sgpr_count:     4
    .sgpr_spill_count: 0
    .symbol:         _ZN7rocprim17ROCPRIM_400000_NS6detail17trampoline_kernelINS0_14default_configENS1_22reduce_config_selectorIN6thrust23THRUST_200600_302600_NS5tupleIblNS6_9null_typeES8_S8_S8_S8_S8_S8_S8_EEEEZNS1_11reduce_implILb1ES3_NS6_12zip_iteratorINS7_INS6_11hip_rocprim26transform_input_iterator_tIbNSD_35transform_pair_of_input_iterators_tIbNS6_6detail15normal_iteratorINS6_10device_ptrIKiEEEESL_NS6_8equal_toIiEEEENSG_9not_fun_tINSD_8identityEEEEENSD_19counting_iterator_tIlEES8_S8_S8_S8_S8_S8_S8_S8_EEEEPS9_S9_NSD_9__find_if7functorIS9_EEEE10hipError_tPvRmT1_T2_T3_mT4_P12ihipStream_tbEUlT_E1_NS1_11comp_targetILNS1_3genE5ELNS1_11target_archE942ELNS1_3gpuE9ELNS1_3repE0EEENS1_30default_config_static_selectorELNS0_4arch9wavefront6targetE1EEEvS14_.kd
    .uniform_work_group_size: 1
    .uses_dynamic_stack: false
    .vgpr_count:     0
    .vgpr_spill_count: 0
    .wavefront_size: 64
  - .agpr_count:     0
    .args:
      - .offset:         0
        .size:           88
        .value_kind:     by_value
    .group_segment_fixed_size: 320
    .kernarg_segment_align: 8
    .kernarg_segment_size: 88
    .language:       OpenCL C
    .language_version:
      - 2
      - 0
    .max_flat_workgroup_size: 256
    .name:           _ZN7rocprim17ROCPRIM_400000_NS6detail17trampoline_kernelINS0_14default_configENS1_22reduce_config_selectorIN6thrust23THRUST_200600_302600_NS5tupleIblNS6_9null_typeES8_S8_S8_S8_S8_S8_S8_EEEEZNS1_11reduce_implILb1ES3_NS6_12zip_iteratorINS7_INS6_11hip_rocprim26transform_input_iterator_tIbNSD_35transform_pair_of_input_iterators_tIbNS6_6detail15normal_iteratorINS6_10device_ptrIKiEEEESL_NS6_8equal_toIiEEEENSG_9not_fun_tINSD_8identityEEEEENSD_19counting_iterator_tIlEES8_S8_S8_S8_S8_S8_S8_S8_EEEEPS9_S9_NSD_9__find_if7functorIS9_EEEE10hipError_tPvRmT1_T2_T3_mT4_P12ihipStream_tbEUlT_E1_NS1_11comp_targetILNS1_3genE4ELNS1_11target_archE910ELNS1_3gpuE8ELNS1_3repE0EEENS1_30default_config_static_selectorELNS0_4arch9wavefront6targetE1EEEvS14_
    .private_segment_fixed_size: 0
    .sgpr_count:     44
    .sgpr_spill_count: 0
    .symbol:         _ZN7rocprim17ROCPRIM_400000_NS6detail17trampoline_kernelINS0_14default_configENS1_22reduce_config_selectorIN6thrust23THRUST_200600_302600_NS5tupleIblNS6_9null_typeES8_S8_S8_S8_S8_S8_S8_EEEEZNS1_11reduce_implILb1ES3_NS6_12zip_iteratorINS7_INS6_11hip_rocprim26transform_input_iterator_tIbNSD_35transform_pair_of_input_iterators_tIbNS6_6detail15normal_iteratorINS6_10device_ptrIKiEEEESL_NS6_8equal_toIiEEEENSG_9not_fun_tINSD_8identityEEEEENSD_19counting_iterator_tIlEES8_S8_S8_S8_S8_S8_S8_S8_EEEEPS9_S9_NSD_9__find_if7functorIS9_EEEE10hipError_tPvRmT1_T2_T3_mT4_P12ihipStream_tbEUlT_E1_NS1_11comp_targetILNS1_3genE4ELNS1_11target_archE910ELNS1_3gpuE8ELNS1_3repE0EEENS1_30default_config_static_selectorELNS0_4arch9wavefront6targetE1EEEvS14_.kd
    .uniform_work_group_size: 1
    .uses_dynamic_stack: false
    .vgpr_count:     27
    .vgpr_spill_count: 0
    .wavefront_size: 64
  - .agpr_count:     0
    .args:
      - .offset:         0
        .size:           88
        .value_kind:     by_value
    .group_segment_fixed_size: 0
    .kernarg_segment_align: 8
    .kernarg_segment_size: 88
    .language:       OpenCL C
    .language_version:
      - 2
      - 0
    .max_flat_workgroup_size: 128
    .name:           _ZN7rocprim17ROCPRIM_400000_NS6detail17trampoline_kernelINS0_14default_configENS1_22reduce_config_selectorIN6thrust23THRUST_200600_302600_NS5tupleIblNS6_9null_typeES8_S8_S8_S8_S8_S8_S8_EEEEZNS1_11reduce_implILb1ES3_NS6_12zip_iteratorINS7_INS6_11hip_rocprim26transform_input_iterator_tIbNSD_35transform_pair_of_input_iterators_tIbNS6_6detail15normal_iteratorINS6_10device_ptrIKiEEEESL_NS6_8equal_toIiEEEENSG_9not_fun_tINSD_8identityEEEEENSD_19counting_iterator_tIlEES8_S8_S8_S8_S8_S8_S8_S8_EEEEPS9_S9_NSD_9__find_if7functorIS9_EEEE10hipError_tPvRmT1_T2_T3_mT4_P12ihipStream_tbEUlT_E1_NS1_11comp_targetILNS1_3genE3ELNS1_11target_archE908ELNS1_3gpuE7ELNS1_3repE0EEENS1_30default_config_static_selectorELNS0_4arch9wavefront6targetE1EEEvS14_
    .private_segment_fixed_size: 0
    .sgpr_count:     4
    .sgpr_spill_count: 0
    .symbol:         _ZN7rocprim17ROCPRIM_400000_NS6detail17trampoline_kernelINS0_14default_configENS1_22reduce_config_selectorIN6thrust23THRUST_200600_302600_NS5tupleIblNS6_9null_typeES8_S8_S8_S8_S8_S8_S8_EEEEZNS1_11reduce_implILb1ES3_NS6_12zip_iteratorINS7_INS6_11hip_rocprim26transform_input_iterator_tIbNSD_35transform_pair_of_input_iterators_tIbNS6_6detail15normal_iteratorINS6_10device_ptrIKiEEEESL_NS6_8equal_toIiEEEENSG_9not_fun_tINSD_8identityEEEEENSD_19counting_iterator_tIlEES8_S8_S8_S8_S8_S8_S8_S8_EEEEPS9_S9_NSD_9__find_if7functorIS9_EEEE10hipError_tPvRmT1_T2_T3_mT4_P12ihipStream_tbEUlT_E1_NS1_11comp_targetILNS1_3genE3ELNS1_11target_archE908ELNS1_3gpuE7ELNS1_3repE0EEENS1_30default_config_static_selectorELNS0_4arch9wavefront6targetE1EEEvS14_.kd
    .uniform_work_group_size: 1
    .uses_dynamic_stack: false
    .vgpr_count:     0
    .vgpr_spill_count: 0
    .wavefront_size: 64
  - .agpr_count:     0
    .args:
      - .offset:         0
        .size:           88
        .value_kind:     by_value
    .group_segment_fixed_size: 0
    .kernarg_segment_align: 8
    .kernarg_segment_size: 88
    .language:       OpenCL C
    .language_version:
      - 2
      - 0
    .max_flat_workgroup_size: 128
    .name:           _ZN7rocprim17ROCPRIM_400000_NS6detail17trampoline_kernelINS0_14default_configENS1_22reduce_config_selectorIN6thrust23THRUST_200600_302600_NS5tupleIblNS6_9null_typeES8_S8_S8_S8_S8_S8_S8_EEEEZNS1_11reduce_implILb1ES3_NS6_12zip_iteratorINS7_INS6_11hip_rocprim26transform_input_iterator_tIbNSD_35transform_pair_of_input_iterators_tIbNS6_6detail15normal_iteratorINS6_10device_ptrIKiEEEESL_NS6_8equal_toIiEEEENSG_9not_fun_tINSD_8identityEEEEENSD_19counting_iterator_tIlEES8_S8_S8_S8_S8_S8_S8_S8_EEEEPS9_S9_NSD_9__find_if7functorIS9_EEEE10hipError_tPvRmT1_T2_T3_mT4_P12ihipStream_tbEUlT_E1_NS1_11comp_targetILNS1_3genE2ELNS1_11target_archE906ELNS1_3gpuE6ELNS1_3repE0EEENS1_30default_config_static_selectorELNS0_4arch9wavefront6targetE1EEEvS14_
    .private_segment_fixed_size: 0
    .sgpr_count:     4
    .sgpr_spill_count: 0
    .symbol:         _ZN7rocprim17ROCPRIM_400000_NS6detail17trampoline_kernelINS0_14default_configENS1_22reduce_config_selectorIN6thrust23THRUST_200600_302600_NS5tupleIblNS6_9null_typeES8_S8_S8_S8_S8_S8_S8_EEEEZNS1_11reduce_implILb1ES3_NS6_12zip_iteratorINS7_INS6_11hip_rocprim26transform_input_iterator_tIbNSD_35transform_pair_of_input_iterators_tIbNS6_6detail15normal_iteratorINS6_10device_ptrIKiEEEESL_NS6_8equal_toIiEEEENSG_9not_fun_tINSD_8identityEEEEENSD_19counting_iterator_tIlEES8_S8_S8_S8_S8_S8_S8_S8_EEEEPS9_S9_NSD_9__find_if7functorIS9_EEEE10hipError_tPvRmT1_T2_T3_mT4_P12ihipStream_tbEUlT_E1_NS1_11comp_targetILNS1_3genE2ELNS1_11target_archE906ELNS1_3gpuE6ELNS1_3repE0EEENS1_30default_config_static_selectorELNS0_4arch9wavefront6targetE1EEEvS14_.kd
    .uniform_work_group_size: 1
    .uses_dynamic_stack: false
    .vgpr_count:     0
    .vgpr_spill_count: 0
    .wavefront_size: 64
  - .agpr_count:     0
    .args:
      - .offset:         0
        .size:           88
        .value_kind:     by_value
    .group_segment_fixed_size: 0
    .kernarg_segment_align: 8
    .kernarg_segment_size: 88
    .language:       OpenCL C
    .language_version:
      - 2
      - 0
    .max_flat_workgroup_size: 256
    .name:           _ZN7rocprim17ROCPRIM_400000_NS6detail17trampoline_kernelINS0_14default_configENS1_22reduce_config_selectorIN6thrust23THRUST_200600_302600_NS5tupleIblNS6_9null_typeES8_S8_S8_S8_S8_S8_S8_EEEEZNS1_11reduce_implILb1ES3_NS6_12zip_iteratorINS7_INS6_11hip_rocprim26transform_input_iterator_tIbNSD_35transform_pair_of_input_iterators_tIbNS6_6detail15normal_iteratorINS6_10device_ptrIKiEEEESL_NS6_8equal_toIiEEEENSG_9not_fun_tINSD_8identityEEEEENSD_19counting_iterator_tIlEES8_S8_S8_S8_S8_S8_S8_S8_EEEEPS9_S9_NSD_9__find_if7functorIS9_EEEE10hipError_tPvRmT1_T2_T3_mT4_P12ihipStream_tbEUlT_E1_NS1_11comp_targetILNS1_3genE10ELNS1_11target_archE1201ELNS1_3gpuE5ELNS1_3repE0EEENS1_30default_config_static_selectorELNS0_4arch9wavefront6targetE1EEEvS14_
    .private_segment_fixed_size: 0
    .sgpr_count:     4
    .sgpr_spill_count: 0
    .symbol:         _ZN7rocprim17ROCPRIM_400000_NS6detail17trampoline_kernelINS0_14default_configENS1_22reduce_config_selectorIN6thrust23THRUST_200600_302600_NS5tupleIblNS6_9null_typeES8_S8_S8_S8_S8_S8_S8_EEEEZNS1_11reduce_implILb1ES3_NS6_12zip_iteratorINS7_INS6_11hip_rocprim26transform_input_iterator_tIbNSD_35transform_pair_of_input_iterators_tIbNS6_6detail15normal_iteratorINS6_10device_ptrIKiEEEESL_NS6_8equal_toIiEEEENSG_9not_fun_tINSD_8identityEEEEENSD_19counting_iterator_tIlEES8_S8_S8_S8_S8_S8_S8_S8_EEEEPS9_S9_NSD_9__find_if7functorIS9_EEEE10hipError_tPvRmT1_T2_T3_mT4_P12ihipStream_tbEUlT_E1_NS1_11comp_targetILNS1_3genE10ELNS1_11target_archE1201ELNS1_3gpuE5ELNS1_3repE0EEENS1_30default_config_static_selectorELNS0_4arch9wavefront6targetE1EEEvS14_.kd
    .uniform_work_group_size: 1
    .uses_dynamic_stack: false
    .vgpr_count:     0
    .vgpr_spill_count: 0
    .wavefront_size: 64
  - .agpr_count:     0
    .args:
      - .offset:         0
        .size:           88
        .value_kind:     by_value
    .group_segment_fixed_size: 0
    .kernarg_segment_align: 8
    .kernarg_segment_size: 88
    .language:       OpenCL C
    .language_version:
      - 2
      - 0
    .max_flat_workgroup_size: 256
    .name:           _ZN7rocprim17ROCPRIM_400000_NS6detail17trampoline_kernelINS0_14default_configENS1_22reduce_config_selectorIN6thrust23THRUST_200600_302600_NS5tupleIblNS6_9null_typeES8_S8_S8_S8_S8_S8_S8_EEEEZNS1_11reduce_implILb1ES3_NS6_12zip_iteratorINS7_INS6_11hip_rocprim26transform_input_iterator_tIbNSD_35transform_pair_of_input_iterators_tIbNS6_6detail15normal_iteratorINS6_10device_ptrIKiEEEESL_NS6_8equal_toIiEEEENSG_9not_fun_tINSD_8identityEEEEENSD_19counting_iterator_tIlEES8_S8_S8_S8_S8_S8_S8_S8_EEEEPS9_S9_NSD_9__find_if7functorIS9_EEEE10hipError_tPvRmT1_T2_T3_mT4_P12ihipStream_tbEUlT_E1_NS1_11comp_targetILNS1_3genE10ELNS1_11target_archE1200ELNS1_3gpuE4ELNS1_3repE0EEENS1_30default_config_static_selectorELNS0_4arch9wavefront6targetE1EEEvS14_
    .private_segment_fixed_size: 0
    .sgpr_count:     4
    .sgpr_spill_count: 0
    .symbol:         _ZN7rocprim17ROCPRIM_400000_NS6detail17trampoline_kernelINS0_14default_configENS1_22reduce_config_selectorIN6thrust23THRUST_200600_302600_NS5tupleIblNS6_9null_typeES8_S8_S8_S8_S8_S8_S8_EEEEZNS1_11reduce_implILb1ES3_NS6_12zip_iteratorINS7_INS6_11hip_rocprim26transform_input_iterator_tIbNSD_35transform_pair_of_input_iterators_tIbNS6_6detail15normal_iteratorINS6_10device_ptrIKiEEEESL_NS6_8equal_toIiEEEENSG_9not_fun_tINSD_8identityEEEEENSD_19counting_iterator_tIlEES8_S8_S8_S8_S8_S8_S8_S8_EEEEPS9_S9_NSD_9__find_if7functorIS9_EEEE10hipError_tPvRmT1_T2_T3_mT4_P12ihipStream_tbEUlT_E1_NS1_11comp_targetILNS1_3genE10ELNS1_11target_archE1200ELNS1_3gpuE4ELNS1_3repE0EEENS1_30default_config_static_selectorELNS0_4arch9wavefront6targetE1EEEvS14_.kd
    .uniform_work_group_size: 1
    .uses_dynamic_stack: false
    .vgpr_count:     0
    .vgpr_spill_count: 0
    .wavefront_size: 64
  - .agpr_count:     0
    .args:
      - .offset:         0
        .size:           88
        .value_kind:     by_value
    .group_segment_fixed_size: 0
    .kernarg_segment_align: 8
    .kernarg_segment_size: 88
    .language:       OpenCL C
    .language_version:
      - 2
      - 0
    .max_flat_workgroup_size: 256
    .name:           _ZN7rocprim17ROCPRIM_400000_NS6detail17trampoline_kernelINS0_14default_configENS1_22reduce_config_selectorIN6thrust23THRUST_200600_302600_NS5tupleIblNS6_9null_typeES8_S8_S8_S8_S8_S8_S8_EEEEZNS1_11reduce_implILb1ES3_NS6_12zip_iteratorINS7_INS6_11hip_rocprim26transform_input_iterator_tIbNSD_35transform_pair_of_input_iterators_tIbNS6_6detail15normal_iteratorINS6_10device_ptrIKiEEEESL_NS6_8equal_toIiEEEENSG_9not_fun_tINSD_8identityEEEEENSD_19counting_iterator_tIlEES8_S8_S8_S8_S8_S8_S8_S8_EEEEPS9_S9_NSD_9__find_if7functorIS9_EEEE10hipError_tPvRmT1_T2_T3_mT4_P12ihipStream_tbEUlT_E1_NS1_11comp_targetILNS1_3genE9ELNS1_11target_archE1100ELNS1_3gpuE3ELNS1_3repE0EEENS1_30default_config_static_selectorELNS0_4arch9wavefront6targetE1EEEvS14_
    .private_segment_fixed_size: 0
    .sgpr_count:     4
    .sgpr_spill_count: 0
    .symbol:         _ZN7rocprim17ROCPRIM_400000_NS6detail17trampoline_kernelINS0_14default_configENS1_22reduce_config_selectorIN6thrust23THRUST_200600_302600_NS5tupleIblNS6_9null_typeES8_S8_S8_S8_S8_S8_S8_EEEEZNS1_11reduce_implILb1ES3_NS6_12zip_iteratorINS7_INS6_11hip_rocprim26transform_input_iterator_tIbNSD_35transform_pair_of_input_iterators_tIbNS6_6detail15normal_iteratorINS6_10device_ptrIKiEEEESL_NS6_8equal_toIiEEEENSG_9not_fun_tINSD_8identityEEEEENSD_19counting_iterator_tIlEES8_S8_S8_S8_S8_S8_S8_S8_EEEEPS9_S9_NSD_9__find_if7functorIS9_EEEE10hipError_tPvRmT1_T2_T3_mT4_P12ihipStream_tbEUlT_E1_NS1_11comp_targetILNS1_3genE9ELNS1_11target_archE1100ELNS1_3gpuE3ELNS1_3repE0EEENS1_30default_config_static_selectorELNS0_4arch9wavefront6targetE1EEEvS14_.kd
    .uniform_work_group_size: 1
    .uses_dynamic_stack: false
    .vgpr_count:     0
    .vgpr_spill_count: 0
    .wavefront_size: 64
  - .agpr_count:     0
    .args:
      - .offset:         0
        .size:           88
        .value_kind:     by_value
    .group_segment_fixed_size: 0
    .kernarg_segment_align: 8
    .kernarg_segment_size: 88
    .language:       OpenCL C
    .language_version:
      - 2
      - 0
    .max_flat_workgroup_size: 256
    .name:           _ZN7rocprim17ROCPRIM_400000_NS6detail17trampoline_kernelINS0_14default_configENS1_22reduce_config_selectorIN6thrust23THRUST_200600_302600_NS5tupleIblNS6_9null_typeES8_S8_S8_S8_S8_S8_S8_EEEEZNS1_11reduce_implILb1ES3_NS6_12zip_iteratorINS7_INS6_11hip_rocprim26transform_input_iterator_tIbNSD_35transform_pair_of_input_iterators_tIbNS6_6detail15normal_iteratorINS6_10device_ptrIKiEEEESL_NS6_8equal_toIiEEEENSG_9not_fun_tINSD_8identityEEEEENSD_19counting_iterator_tIlEES8_S8_S8_S8_S8_S8_S8_S8_EEEEPS9_S9_NSD_9__find_if7functorIS9_EEEE10hipError_tPvRmT1_T2_T3_mT4_P12ihipStream_tbEUlT_E1_NS1_11comp_targetILNS1_3genE8ELNS1_11target_archE1030ELNS1_3gpuE2ELNS1_3repE0EEENS1_30default_config_static_selectorELNS0_4arch9wavefront6targetE1EEEvS14_
    .private_segment_fixed_size: 0
    .sgpr_count:     4
    .sgpr_spill_count: 0
    .symbol:         _ZN7rocprim17ROCPRIM_400000_NS6detail17trampoline_kernelINS0_14default_configENS1_22reduce_config_selectorIN6thrust23THRUST_200600_302600_NS5tupleIblNS6_9null_typeES8_S8_S8_S8_S8_S8_S8_EEEEZNS1_11reduce_implILb1ES3_NS6_12zip_iteratorINS7_INS6_11hip_rocprim26transform_input_iterator_tIbNSD_35transform_pair_of_input_iterators_tIbNS6_6detail15normal_iteratorINS6_10device_ptrIKiEEEESL_NS6_8equal_toIiEEEENSG_9not_fun_tINSD_8identityEEEEENSD_19counting_iterator_tIlEES8_S8_S8_S8_S8_S8_S8_S8_EEEEPS9_S9_NSD_9__find_if7functorIS9_EEEE10hipError_tPvRmT1_T2_T3_mT4_P12ihipStream_tbEUlT_E1_NS1_11comp_targetILNS1_3genE8ELNS1_11target_archE1030ELNS1_3gpuE2ELNS1_3repE0EEENS1_30default_config_static_selectorELNS0_4arch9wavefront6targetE1EEEvS14_.kd
    .uniform_work_group_size: 1
    .uses_dynamic_stack: false
    .vgpr_count:     0
    .vgpr_spill_count: 0
    .wavefront_size: 64
  - .agpr_count:     0
    .args:
      - .offset:         0
        .size:           16
        .value_kind:     by_value
      - .offset:         16
        .size:           8
        .value_kind:     by_value
      - .offset:         24
        .size:           8
        .value_kind:     by_value
    .group_segment_fixed_size: 0
    .kernarg_segment_align: 8
    .kernarg_segment_size: 32
    .language:       OpenCL C
    .language_version:
      - 2
      - 0
    .max_flat_workgroup_size: 256
    .name:           _ZN6thrust23THRUST_200600_302600_NS11hip_rocprim14__parallel_for6kernelILj256ENS1_20__uninitialized_fill7functorINS0_10device_ptrIsEEsEEmLj1EEEvT0_T1_SA_
    .private_segment_fixed_size: 0
    .sgpr_count:     16
    .sgpr_spill_count: 0
    .symbol:         _ZN6thrust23THRUST_200600_302600_NS11hip_rocprim14__parallel_for6kernelILj256ENS1_20__uninitialized_fill7functorINS0_10device_ptrIsEEsEEmLj1EEEvT0_T1_SA_.kd
    .uniform_work_group_size: 1
    .uses_dynamic_stack: false
    .vgpr_count:     4
    .vgpr_spill_count: 0
    .wavefront_size: 64
  - .agpr_count:     0
    .args:
      - .offset:         0
        .size:           16
        .value_kind:     by_value
      - .offset:         16
        .size:           8
        .value_kind:     by_value
      - .offset:         24
        .size:           8
        .value_kind:     by_value
    .group_segment_fixed_size: 0
    .kernarg_segment_align: 8
    .kernarg_segment_size: 32
    .language:       OpenCL C
    .language_version:
      - 2
      - 0
    .max_flat_workgroup_size: 256
    .name:           _ZN6thrust23THRUST_200600_302600_NS11hip_rocprim14__parallel_for6kernelILj256ENS1_20__uninitialized_copy7functorINS0_6detail15normal_iteratorINS0_10device_ptrIsEEEENS7_INS0_7pointerIsNS1_3tagENS0_11use_defaultESD_EEEEEElLj1EEEvT0_T1_SI_
    .private_segment_fixed_size: 0
    .sgpr_count:     20
    .sgpr_spill_count: 0
    .symbol:         _ZN6thrust23THRUST_200600_302600_NS11hip_rocprim14__parallel_for6kernelILj256ENS1_20__uninitialized_copy7functorINS0_6detail15normal_iteratorINS0_10device_ptrIsEEEENS7_INS0_7pointerIsNS1_3tagENS0_11use_defaultESD_EEEEEElLj1EEEvT0_T1_SI_.kd
    .uniform_work_group_size: 1
    .uses_dynamic_stack: false
    .vgpr_count:     6
    .vgpr_spill_count: 0
    .wavefront_size: 64
  - .agpr_count:     0
    .args:
      - .offset:         0
        .size:           120
        .value_kind:     by_value
    .group_segment_fixed_size: 0
    .kernarg_segment_align: 8
    .kernarg_segment_size: 120
    .language:       OpenCL C
    .language_version:
      - 2
      - 0
    .max_flat_workgroup_size: 256
    .name:           _ZN7rocprim17ROCPRIM_400000_NS6detail17trampoline_kernelINS0_14default_configENS1_25partition_config_selectorILNS1_17partition_subalgoE3EsNS0_10empty_typeEbEEZZNS1_14partition_implILS5_3ELb0ES3_jN6thrust23THRUST_200600_302600_NS6detail15normal_iteratorINSA_7pointerIsNSA_11hip_rocprim3tagENSA_11use_defaultESG_EEEEPS6_SJ_NS0_5tupleIJPsSJ_EEENSK_IJSJ_SJ_EEES6_PlJ7is_evenIsEEEE10hipError_tPvRmT3_T4_T5_T6_T7_T9_mT8_P12ihipStream_tbDpT10_ENKUlT_T0_E_clISt17integral_constantIbLb0EES1A_EEDaS15_S16_EUlS15_E_NS1_11comp_targetILNS1_3genE0ELNS1_11target_archE4294967295ELNS1_3gpuE0ELNS1_3repE0EEENS1_30default_config_static_selectorELNS0_4arch9wavefront6targetE1EEEvT1_
    .private_segment_fixed_size: 0
    .sgpr_count:     4
    .sgpr_spill_count: 0
    .symbol:         _ZN7rocprim17ROCPRIM_400000_NS6detail17trampoline_kernelINS0_14default_configENS1_25partition_config_selectorILNS1_17partition_subalgoE3EsNS0_10empty_typeEbEEZZNS1_14partition_implILS5_3ELb0ES3_jN6thrust23THRUST_200600_302600_NS6detail15normal_iteratorINSA_7pointerIsNSA_11hip_rocprim3tagENSA_11use_defaultESG_EEEEPS6_SJ_NS0_5tupleIJPsSJ_EEENSK_IJSJ_SJ_EEES6_PlJ7is_evenIsEEEE10hipError_tPvRmT3_T4_T5_T6_T7_T9_mT8_P12ihipStream_tbDpT10_ENKUlT_T0_E_clISt17integral_constantIbLb0EES1A_EEDaS15_S16_EUlS15_E_NS1_11comp_targetILNS1_3genE0ELNS1_11target_archE4294967295ELNS1_3gpuE0ELNS1_3repE0EEENS1_30default_config_static_selectorELNS0_4arch9wavefront6targetE1EEEvT1_.kd
    .uniform_work_group_size: 1
    .uses_dynamic_stack: false
    .vgpr_count:     0
    .vgpr_spill_count: 0
    .wavefront_size: 64
  - .agpr_count:     0
    .args:
      - .offset:         0
        .size:           120
        .value_kind:     by_value
    .group_segment_fixed_size: 0
    .kernarg_segment_align: 8
    .kernarg_segment_size: 120
    .language:       OpenCL C
    .language_version:
      - 2
      - 0
    .max_flat_workgroup_size: 512
    .name:           _ZN7rocprim17ROCPRIM_400000_NS6detail17trampoline_kernelINS0_14default_configENS1_25partition_config_selectorILNS1_17partition_subalgoE3EsNS0_10empty_typeEbEEZZNS1_14partition_implILS5_3ELb0ES3_jN6thrust23THRUST_200600_302600_NS6detail15normal_iteratorINSA_7pointerIsNSA_11hip_rocprim3tagENSA_11use_defaultESG_EEEEPS6_SJ_NS0_5tupleIJPsSJ_EEENSK_IJSJ_SJ_EEES6_PlJ7is_evenIsEEEE10hipError_tPvRmT3_T4_T5_T6_T7_T9_mT8_P12ihipStream_tbDpT10_ENKUlT_T0_E_clISt17integral_constantIbLb0EES1A_EEDaS15_S16_EUlS15_E_NS1_11comp_targetILNS1_3genE5ELNS1_11target_archE942ELNS1_3gpuE9ELNS1_3repE0EEENS1_30default_config_static_selectorELNS0_4arch9wavefront6targetE1EEEvT1_
    .private_segment_fixed_size: 0
    .sgpr_count:     4
    .sgpr_spill_count: 0
    .symbol:         _ZN7rocprim17ROCPRIM_400000_NS6detail17trampoline_kernelINS0_14default_configENS1_25partition_config_selectorILNS1_17partition_subalgoE3EsNS0_10empty_typeEbEEZZNS1_14partition_implILS5_3ELb0ES3_jN6thrust23THRUST_200600_302600_NS6detail15normal_iteratorINSA_7pointerIsNSA_11hip_rocprim3tagENSA_11use_defaultESG_EEEEPS6_SJ_NS0_5tupleIJPsSJ_EEENSK_IJSJ_SJ_EEES6_PlJ7is_evenIsEEEE10hipError_tPvRmT3_T4_T5_T6_T7_T9_mT8_P12ihipStream_tbDpT10_ENKUlT_T0_E_clISt17integral_constantIbLb0EES1A_EEDaS15_S16_EUlS15_E_NS1_11comp_targetILNS1_3genE5ELNS1_11target_archE942ELNS1_3gpuE9ELNS1_3repE0EEENS1_30default_config_static_selectorELNS0_4arch9wavefront6targetE1EEEvT1_.kd
    .uniform_work_group_size: 1
    .uses_dynamic_stack: false
    .vgpr_count:     0
    .vgpr_spill_count: 0
    .wavefront_size: 64
  - .agpr_count:     0
    .args:
      - .offset:         0
        .size:           120
        .value_kind:     by_value
    .group_segment_fixed_size: 10248
    .kernarg_segment_align: 8
    .kernarg_segment_size: 120
    .language:       OpenCL C
    .language_version:
      - 2
      - 0
    .max_flat_workgroup_size: 256
    .name:           _ZN7rocprim17ROCPRIM_400000_NS6detail17trampoline_kernelINS0_14default_configENS1_25partition_config_selectorILNS1_17partition_subalgoE3EsNS0_10empty_typeEbEEZZNS1_14partition_implILS5_3ELb0ES3_jN6thrust23THRUST_200600_302600_NS6detail15normal_iteratorINSA_7pointerIsNSA_11hip_rocprim3tagENSA_11use_defaultESG_EEEEPS6_SJ_NS0_5tupleIJPsSJ_EEENSK_IJSJ_SJ_EEES6_PlJ7is_evenIsEEEE10hipError_tPvRmT3_T4_T5_T6_T7_T9_mT8_P12ihipStream_tbDpT10_ENKUlT_T0_E_clISt17integral_constantIbLb0EES1A_EEDaS15_S16_EUlS15_E_NS1_11comp_targetILNS1_3genE4ELNS1_11target_archE910ELNS1_3gpuE8ELNS1_3repE0EEENS1_30default_config_static_selectorELNS0_4arch9wavefront6targetE1EEEvT1_
    .private_segment_fixed_size: 0
    .sgpr_count:     50
    .sgpr_spill_count: 0
    .symbol:         _ZN7rocprim17ROCPRIM_400000_NS6detail17trampoline_kernelINS0_14default_configENS1_25partition_config_selectorILNS1_17partition_subalgoE3EsNS0_10empty_typeEbEEZZNS1_14partition_implILS5_3ELb0ES3_jN6thrust23THRUST_200600_302600_NS6detail15normal_iteratorINSA_7pointerIsNSA_11hip_rocprim3tagENSA_11use_defaultESG_EEEEPS6_SJ_NS0_5tupleIJPsSJ_EEENSK_IJSJ_SJ_EEES6_PlJ7is_evenIsEEEE10hipError_tPvRmT3_T4_T5_T6_T7_T9_mT8_P12ihipStream_tbDpT10_ENKUlT_T0_E_clISt17integral_constantIbLb0EES1A_EEDaS15_S16_EUlS15_E_NS1_11comp_targetILNS1_3genE4ELNS1_11target_archE910ELNS1_3gpuE8ELNS1_3repE0EEENS1_30default_config_static_selectorELNS0_4arch9wavefront6targetE1EEEvT1_.kd
    .uniform_work_group_size: 1
    .uses_dynamic_stack: false
    .vgpr_count:     90
    .vgpr_spill_count: 0
    .wavefront_size: 64
  - .agpr_count:     0
    .args:
      - .offset:         0
        .size:           120
        .value_kind:     by_value
    .group_segment_fixed_size: 0
    .kernarg_segment_align: 8
    .kernarg_segment_size: 120
    .language:       OpenCL C
    .language_version:
      - 2
      - 0
    .max_flat_workgroup_size: 256
    .name:           _ZN7rocprim17ROCPRIM_400000_NS6detail17trampoline_kernelINS0_14default_configENS1_25partition_config_selectorILNS1_17partition_subalgoE3EsNS0_10empty_typeEbEEZZNS1_14partition_implILS5_3ELb0ES3_jN6thrust23THRUST_200600_302600_NS6detail15normal_iteratorINSA_7pointerIsNSA_11hip_rocprim3tagENSA_11use_defaultESG_EEEEPS6_SJ_NS0_5tupleIJPsSJ_EEENSK_IJSJ_SJ_EEES6_PlJ7is_evenIsEEEE10hipError_tPvRmT3_T4_T5_T6_T7_T9_mT8_P12ihipStream_tbDpT10_ENKUlT_T0_E_clISt17integral_constantIbLb0EES1A_EEDaS15_S16_EUlS15_E_NS1_11comp_targetILNS1_3genE3ELNS1_11target_archE908ELNS1_3gpuE7ELNS1_3repE0EEENS1_30default_config_static_selectorELNS0_4arch9wavefront6targetE1EEEvT1_
    .private_segment_fixed_size: 0
    .sgpr_count:     4
    .sgpr_spill_count: 0
    .symbol:         _ZN7rocprim17ROCPRIM_400000_NS6detail17trampoline_kernelINS0_14default_configENS1_25partition_config_selectorILNS1_17partition_subalgoE3EsNS0_10empty_typeEbEEZZNS1_14partition_implILS5_3ELb0ES3_jN6thrust23THRUST_200600_302600_NS6detail15normal_iteratorINSA_7pointerIsNSA_11hip_rocprim3tagENSA_11use_defaultESG_EEEEPS6_SJ_NS0_5tupleIJPsSJ_EEENSK_IJSJ_SJ_EEES6_PlJ7is_evenIsEEEE10hipError_tPvRmT3_T4_T5_T6_T7_T9_mT8_P12ihipStream_tbDpT10_ENKUlT_T0_E_clISt17integral_constantIbLb0EES1A_EEDaS15_S16_EUlS15_E_NS1_11comp_targetILNS1_3genE3ELNS1_11target_archE908ELNS1_3gpuE7ELNS1_3repE0EEENS1_30default_config_static_selectorELNS0_4arch9wavefront6targetE1EEEvT1_.kd
    .uniform_work_group_size: 1
    .uses_dynamic_stack: false
    .vgpr_count:     0
    .vgpr_spill_count: 0
    .wavefront_size: 64
  - .agpr_count:     0
    .args:
      - .offset:         0
        .size:           120
        .value_kind:     by_value
    .group_segment_fixed_size: 0
    .kernarg_segment_align: 8
    .kernarg_segment_size: 120
    .language:       OpenCL C
    .language_version:
      - 2
      - 0
    .max_flat_workgroup_size: 256
    .name:           _ZN7rocprim17ROCPRIM_400000_NS6detail17trampoline_kernelINS0_14default_configENS1_25partition_config_selectorILNS1_17partition_subalgoE3EsNS0_10empty_typeEbEEZZNS1_14partition_implILS5_3ELb0ES3_jN6thrust23THRUST_200600_302600_NS6detail15normal_iteratorINSA_7pointerIsNSA_11hip_rocprim3tagENSA_11use_defaultESG_EEEEPS6_SJ_NS0_5tupleIJPsSJ_EEENSK_IJSJ_SJ_EEES6_PlJ7is_evenIsEEEE10hipError_tPvRmT3_T4_T5_T6_T7_T9_mT8_P12ihipStream_tbDpT10_ENKUlT_T0_E_clISt17integral_constantIbLb0EES1A_EEDaS15_S16_EUlS15_E_NS1_11comp_targetILNS1_3genE2ELNS1_11target_archE906ELNS1_3gpuE6ELNS1_3repE0EEENS1_30default_config_static_selectorELNS0_4arch9wavefront6targetE1EEEvT1_
    .private_segment_fixed_size: 0
    .sgpr_count:     4
    .sgpr_spill_count: 0
    .symbol:         _ZN7rocprim17ROCPRIM_400000_NS6detail17trampoline_kernelINS0_14default_configENS1_25partition_config_selectorILNS1_17partition_subalgoE3EsNS0_10empty_typeEbEEZZNS1_14partition_implILS5_3ELb0ES3_jN6thrust23THRUST_200600_302600_NS6detail15normal_iteratorINSA_7pointerIsNSA_11hip_rocprim3tagENSA_11use_defaultESG_EEEEPS6_SJ_NS0_5tupleIJPsSJ_EEENSK_IJSJ_SJ_EEES6_PlJ7is_evenIsEEEE10hipError_tPvRmT3_T4_T5_T6_T7_T9_mT8_P12ihipStream_tbDpT10_ENKUlT_T0_E_clISt17integral_constantIbLb0EES1A_EEDaS15_S16_EUlS15_E_NS1_11comp_targetILNS1_3genE2ELNS1_11target_archE906ELNS1_3gpuE6ELNS1_3repE0EEENS1_30default_config_static_selectorELNS0_4arch9wavefront6targetE1EEEvT1_.kd
    .uniform_work_group_size: 1
    .uses_dynamic_stack: false
    .vgpr_count:     0
    .vgpr_spill_count: 0
    .wavefront_size: 64
  - .agpr_count:     0
    .args:
      - .offset:         0
        .size:           120
        .value_kind:     by_value
    .group_segment_fixed_size: 0
    .kernarg_segment_align: 8
    .kernarg_segment_size: 120
    .language:       OpenCL C
    .language_version:
      - 2
      - 0
    .max_flat_workgroup_size: 512
    .name:           _ZN7rocprim17ROCPRIM_400000_NS6detail17trampoline_kernelINS0_14default_configENS1_25partition_config_selectorILNS1_17partition_subalgoE3EsNS0_10empty_typeEbEEZZNS1_14partition_implILS5_3ELb0ES3_jN6thrust23THRUST_200600_302600_NS6detail15normal_iteratorINSA_7pointerIsNSA_11hip_rocprim3tagENSA_11use_defaultESG_EEEEPS6_SJ_NS0_5tupleIJPsSJ_EEENSK_IJSJ_SJ_EEES6_PlJ7is_evenIsEEEE10hipError_tPvRmT3_T4_T5_T6_T7_T9_mT8_P12ihipStream_tbDpT10_ENKUlT_T0_E_clISt17integral_constantIbLb0EES1A_EEDaS15_S16_EUlS15_E_NS1_11comp_targetILNS1_3genE10ELNS1_11target_archE1200ELNS1_3gpuE4ELNS1_3repE0EEENS1_30default_config_static_selectorELNS0_4arch9wavefront6targetE1EEEvT1_
    .private_segment_fixed_size: 0
    .sgpr_count:     4
    .sgpr_spill_count: 0
    .symbol:         _ZN7rocprim17ROCPRIM_400000_NS6detail17trampoline_kernelINS0_14default_configENS1_25partition_config_selectorILNS1_17partition_subalgoE3EsNS0_10empty_typeEbEEZZNS1_14partition_implILS5_3ELb0ES3_jN6thrust23THRUST_200600_302600_NS6detail15normal_iteratorINSA_7pointerIsNSA_11hip_rocprim3tagENSA_11use_defaultESG_EEEEPS6_SJ_NS0_5tupleIJPsSJ_EEENSK_IJSJ_SJ_EEES6_PlJ7is_evenIsEEEE10hipError_tPvRmT3_T4_T5_T6_T7_T9_mT8_P12ihipStream_tbDpT10_ENKUlT_T0_E_clISt17integral_constantIbLb0EES1A_EEDaS15_S16_EUlS15_E_NS1_11comp_targetILNS1_3genE10ELNS1_11target_archE1200ELNS1_3gpuE4ELNS1_3repE0EEENS1_30default_config_static_selectorELNS0_4arch9wavefront6targetE1EEEvT1_.kd
    .uniform_work_group_size: 1
    .uses_dynamic_stack: false
    .vgpr_count:     0
    .vgpr_spill_count: 0
    .wavefront_size: 64
  - .agpr_count:     0
    .args:
      - .offset:         0
        .size:           120
        .value_kind:     by_value
    .group_segment_fixed_size: 0
    .kernarg_segment_align: 8
    .kernarg_segment_size: 120
    .language:       OpenCL C
    .language_version:
      - 2
      - 0
    .max_flat_workgroup_size: 128
    .name:           _ZN7rocprim17ROCPRIM_400000_NS6detail17trampoline_kernelINS0_14default_configENS1_25partition_config_selectorILNS1_17partition_subalgoE3EsNS0_10empty_typeEbEEZZNS1_14partition_implILS5_3ELb0ES3_jN6thrust23THRUST_200600_302600_NS6detail15normal_iteratorINSA_7pointerIsNSA_11hip_rocprim3tagENSA_11use_defaultESG_EEEEPS6_SJ_NS0_5tupleIJPsSJ_EEENSK_IJSJ_SJ_EEES6_PlJ7is_evenIsEEEE10hipError_tPvRmT3_T4_T5_T6_T7_T9_mT8_P12ihipStream_tbDpT10_ENKUlT_T0_E_clISt17integral_constantIbLb0EES1A_EEDaS15_S16_EUlS15_E_NS1_11comp_targetILNS1_3genE9ELNS1_11target_archE1100ELNS1_3gpuE3ELNS1_3repE0EEENS1_30default_config_static_selectorELNS0_4arch9wavefront6targetE1EEEvT1_
    .private_segment_fixed_size: 0
    .sgpr_count:     4
    .sgpr_spill_count: 0
    .symbol:         _ZN7rocprim17ROCPRIM_400000_NS6detail17trampoline_kernelINS0_14default_configENS1_25partition_config_selectorILNS1_17partition_subalgoE3EsNS0_10empty_typeEbEEZZNS1_14partition_implILS5_3ELb0ES3_jN6thrust23THRUST_200600_302600_NS6detail15normal_iteratorINSA_7pointerIsNSA_11hip_rocprim3tagENSA_11use_defaultESG_EEEEPS6_SJ_NS0_5tupleIJPsSJ_EEENSK_IJSJ_SJ_EEES6_PlJ7is_evenIsEEEE10hipError_tPvRmT3_T4_T5_T6_T7_T9_mT8_P12ihipStream_tbDpT10_ENKUlT_T0_E_clISt17integral_constantIbLb0EES1A_EEDaS15_S16_EUlS15_E_NS1_11comp_targetILNS1_3genE9ELNS1_11target_archE1100ELNS1_3gpuE3ELNS1_3repE0EEENS1_30default_config_static_selectorELNS0_4arch9wavefront6targetE1EEEvT1_.kd
    .uniform_work_group_size: 1
    .uses_dynamic_stack: false
    .vgpr_count:     0
    .vgpr_spill_count: 0
    .wavefront_size: 64
  - .agpr_count:     0
    .args:
      - .offset:         0
        .size:           120
        .value_kind:     by_value
    .group_segment_fixed_size: 0
    .kernarg_segment_align: 8
    .kernarg_segment_size: 120
    .language:       OpenCL C
    .language_version:
      - 2
      - 0
    .max_flat_workgroup_size: 256
    .name:           _ZN7rocprim17ROCPRIM_400000_NS6detail17trampoline_kernelINS0_14default_configENS1_25partition_config_selectorILNS1_17partition_subalgoE3EsNS0_10empty_typeEbEEZZNS1_14partition_implILS5_3ELb0ES3_jN6thrust23THRUST_200600_302600_NS6detail15normal_iteratorINSA_7pointerIsNSA_11hip_rocprim3tagENSA_11use_defaultESG_EEEEPS6_SJ_NS0_5tupleIJPsSJ_EEENSK_IJSJ_SJ_EEES6_PlJ7is_evenIsEEEE10hipError_tPvRmT3_T4_T5_T6_T7_T9_mT8_P12ihipStream_tbDpT10_ENKUlT_T0_E_clISt17integral_constantIbLb0EES1A_EEDaS15_S16_EUlS15_E_NS1_11comp_targetILNS1_3genE8ELNS1_11target_archE1030ELNS1_3gpuE2ELNS1_3repE0EEENS1_30default_config_static_selectorELNS0_4arch9wavefront6targetE1EEEvT1_
    .private_segment_fixed_size: 0
    .sgpr_count:     4
    .sgpr_spill_count: 0
    .symbol:         _ZN7rocprim17ROCPRIM_400000_NS6detail17trampoline_kernelINS0_14default_configENS1_25partition_config_selectorILNS1_17partition_subalgoE3EsNS0_10empty_typeEbEEZZNS1_14partition_implILS5_3ELb0ES3_jN6thrust23THRUST_200600_302600_NS6detail15normal_iteratorINSA_7pointerIsNSA_11hip_rocprim3tagENSA_11use_defaultESG_EEEEPS6_SJ_NS0_5tupleIJPsSJ_EEENSK_IJSJ_SJ_EEES6_PlJ7is_evenIsEEEE10hipError_tPvRmT3_T4_T5_T6_T7_T9_mT8_P12ihipStream_tbDpT10_ENKUlT_T0_E_clISt17integral_constantIbLb0EES1A_EEDaS15_S16_EUlS15_E_NS1_11comp_targetILNS1_3genE8ELNS1_11target_archE1030ELNS1_3gpuE2ELNS1_3repE0EEENS1_30default_config_static_selectorELNS0_4arch9wavefront6targetE1EEEvT1_.kd
    .uniform_work_group_size: 1
    .uses_dynamic_stack: false
    .vgpr_count:     0
    .vgpr_spill_count: 0
    .wavefront_size: 64
  - .agpr_count:     0
    .args:
      - .offset:         0
        .size:           136
        .value_kind:     by_value
    .group_segment_fixed_size: 0
    .kernarg_segment_align: 8
    .kernarg_segment_size: 136
    .language:       OpenCL C
    .language_version:
      - 2
      - 0
    .max_flat_workgroup_size: 256
    .name:           _ZN7rocprim17ROCPRIM_400000_NS6detail17trampoline_kernelINS0_14default_configENS1_25partition_config_selectorILNS1_17partition_subalgoE3EsNS0_10empty_typeEbEEZZNS1_14partition_implILS5_3ELb0ES3_jN6thrust23THRUST_200600_302600_NS6detail15normal_iteratorINSA_7pointerIsNSA_11hip_rocprim3tagENSA_11use_defaultESG_EEEEPS6_SJ_NS0_5tupleIJPsSJ_EEENSK_IJSJ_SJ_EEES6_PlJ7is_evenIsEEEE10hipError_tPvRmT3_T4_T5_T6_T7_T9_mT8_P12ihipStream_tbDpT10_ENKUlT_T0_E_clISt17integral_constantIbLb1EES1A_EEDaS15_S16_EUlS15_E_NS1_11comp_targetILNS1_3genE0ELNS1_11target_archE4294967295ELNS1_3gpuE0ELNS1_3repE0EEENS1_30default_config_static_selectorELNS0_4arch9wavefront6targetE1EEEvT1_
    .private_segment_fixed_size: 0
    .sgpr_count:     4
    .sgpr_spill_count: 0
    .symbol:         _ZN7rocprim17ROCPRIM_400000_NS6detail17trampoline_kernelINS0_14default_configENS1_25partition_config_selectorILNS1_17partition_subalgoE3EsNS0_10empty_typeEbEEZZNS1_14partition_implILS5_3ELb0ES3_jN6thrust23THRUST_200600_302600_NS6detail15normal_iteratorINSA_7pointerIsNSA_11hip_rocprim3tagENSA_11use_defaultESG_EEEEPS6_SJ_NS0_5tupleIJPsSJ_EEENSK_IJSJ_SJ_EEES6_PlJ7is_evenIsEEEE10hipError_tPvRmT3_T4_T5_T6_T7_T9_mT8_P12ihipStream_tbDpT10_ENKUlT_T0_E_clISt17integral_constantIbLb1EES1A_EEDaS15_S16_EUlS15_E_NS1_11comp_targetILNS1_3genE0ELNS1_11target_archE4294967295ELNS1_3gpuE0ELNS1_3repE0EEENS1_30default_config_static_selectorELNS0_4arch9wavefront6targetE1EEEvT1_.kd
    .uniform_work_group_size: 1
    .uses_dynamic_stack: false
    .vgpr_count:     0
    .vgpr_spill_count: 0
    .wavefront_size: 64
  - .agpr_count:     0
    .args:
      - .offset:         0
        .size:           136
        .value_kind:     by_value
    .group_segment_fixed_size: 0
    .kernarg_segment_align: 8
    .kernarg_segment_size: 136
    .language:       OpenCL C
    .language_version:
      - 2
      - 0
    .max_flat_workgroup_size: 512
    .name:           _ZN7rocprim17ROCPRIM_400000_NS6detail17trampoline_kernelINS0_14default_configENS1_25partition_config_selectorILNS1_17partition_subalgoE3EsNS0_10empty_typeEbEEZZNS1_14partition_implILS5_3ELb0ES3_jN6thrust23THRUST_200600_302600_NS6detail15normal_iteratorINSA_7pointerIsNSA_11hip_rocprim3tagENSA_11use_defaultESG_EEEEPS6_SJ_NS0_5tupleIJPsSJ_EEENSK_IJSJ_SJ_EEES6_PlJ7is_evenIsEEEE10hipError_tPvRmT3_T4_T5_T6_T7_T9_mT8_P12ihipStream_tbDpT10_ENKUlT_T0_E_clISt17integral_constantIbLb1EES1A_EEDaS15_S16_EUlS15_E_NS1_11comp_targetILNS1_3genE5ELNS1_11target_archE942ELNS1_3gpuE9ELNS1_3repE0EEENS1_30default_config_static_selectorELNS0_4arch9wavefront6targetE1EEEvT1_
    .private_segment_fixed_size: 0
    .sgpr_count:     4
    .sgpr_spill_count: 0
    .symbol:         _ZN7rocprim17ROCPRIM_400000_NS6detail17trampoline_kernelINS0_14default_configENS1_25partition_config_selectorILNS1_17partition_subalgoE3EsNS0_10empty_typeEbEEZZNS1_14partition_implILS5_3ELb0ES3_jN6thrust23THRUST_200600_302600_NS6detail15normal_iteratorINSA_7pointerIsNSA_11hip_rocprim3tagENSA_11use_defaultESG_EEEEPS6_SJ_NS0_5tupleIJPsSJ_EEENSK_IJSJ_SJ_EEES6_PlJ7is_evenIsEEEE10hipError_tPvRmT3_T4_T5_T6_T7_T9_mT8_P12ihipStream_tbDpT10_ENKUlT_T0_E_clISt17integral_constantIbLb1EES1A_EEDaS15_S16_EUlS15_E_NS1_11comp_targetILNS1_3genE5ELNS1_11target_archE942ELNS1_3gpuE9ELNS1_3repE0EEENS1_30default_config_static_selectorELNS0_4arch9wavefront6targetE1EEEvT1_.kd
    .uniform_work_group_size: 1
    .uses_dynamic_stack: false
    .vgpr_count:     0
    .vgpr_spill_count: 0
    .wavefront_size: 64
  - .agpr_count:     0
    .args:
      - .offset:         0
        .size:           136
        .value_kind:     by_value
    .group_segment_fixed_size: 10248
    .kernarg_segment_align: 8
    .kernarg_segment_size: 136
    .language:       OpenCL C
    .language_version:
      - 2
      - 0
    .max_flat_workgroup_size: 256
    .name:           _ZN7rocprim17ROCPRIM_400000_NS6detail17trampoline_kernelINS0_14default_configENS1_25partition_config_selectorILNS1_17partition_subalgoE3EsNS0_10empty_typeEbEEZZNS1_14partition_implILS5_3ELb0ES3_jN6thrust23THRUST_200600_302600_NS6detail15normal_iteratorINSA_7pointerIsNSA_11hip_rocprim3tagENSA_11use_defaultESG_EEEEPS6_SJ_NS0_5tupleIJPsSJ_EEENSK_IJSJ_SJ_EEES6_PlJ7is_evenIsEEEE10hipError_tPvRmT3_T4_T5_T6_T7_T9_mT8_P12ihipStream_tbDpT10_ENKUlT_T0_E_clISt17integral_constantIbLb1EES1A_EEDaS15_S16_EUlS15_E_NS1_11comp_targetILNS1_3genE4ELNS1_11target_archE910ELNS1_3gpuE8ELNS1_3repE0EEENS1_30default_config_static_selectorELNS0_4arch9wavefront6targetE1EEEvT1_
    .private_segment_fixed_size: 0
    .sgpr_count:     48
    .sgpr_spill_count: 0
    .symbol:         _ZN7rocprim17ROCPRIM_400000_NS6detail17trampoline_kernelINS0_14default_configENS1_25partition_config_selectorILNS1_17partition_subalgoE3EsNS0_10empty_typeEbEEZZNS1_14partition_implILS5_3ELb0ES3_jN6thrust23THRUST_200600_302600_NS6detail15normal_iteratorINSA_7pointerIsNSA_11hip_rocprim3tagENSA_11use_defaultESG_EEEEPS6_SJ_NS0_5tupleIJPsSJ_EEENSK_IJSJ_SJ_EEES6_PlJ7is_evenIsEEEE10hipError_tPvRmT3_T4_T5_T6_T7_T9_mT8_P12ihipStream_tbDpT10_ENKUlT_T0_E_clISt17integral_constantIbLb1EES1A_EEDaS15_S16_EUlS15_E_NS1_11comp_targetILNS1_3genE4ELNS1_11target_archE910ELNS1_3gpuE8ELNS1_3repE0EEENS1_30default_config_static_selectorELNS0_4arch9wavefront6targetE1EEEvT1_.kd
    .uniform_work_group_size: 1
    .uses_dynamic_stack: false
    .vgpr_count:     93
    .vgpr_spill_count: 0
    .wavefront_size: 64
  - .agpr_count:     0
    .args:
      - .offset:         0
        .size:           136
        .value_kind:     by_value
    .group_segment_fixed_size: 0
    .kernarg_segment_align: 8
    .kernarg_segment_size: 136
    .language:       OpenCL C
    .language_version:
      - 2
      - 0
    .max_flat_workgroup_size: 256
    .name:           _ZN7rocprim17ROCPRIM_400000_NS6detail17trampoline_kernelINS0_14default_configENS1_25partition_config_selectorILNS1_17partition_subalgoE3EsNS0_10empty_typeEbEEZZNS1_14partition_implILS5_3ELb0ES3_jN6thrust23THRUST_200600_302600_NS6detail15normal_iteratorINSA_7pointerIsNSA_11hip_rocprim3tagENSA_11use_defaultESG_EEEEPS6_SJ_NS0_5tupleIJPsSJ_EEENSK_IJSJ_SJ_EEES6_PlJ7is_evenIsEEEE10hipError_tPvRmT3_T4_T5_T6_T7_T9_mT8_P12ihipStream_tbDpT10_ENKUlT_T0_E_clISt17integral_constantIbLb1EES1A_EEDaS15_S16_EUlS15_E_NS1_11comp_targetILNS1_3genE3ELNS1_11target_archE908ELNS1_3gpuE7ELNS1_3repE0EEENS1_30default_config_static_selectorELNS0_4arch9wavefront6targetE1EEEvT1_
    .private_segment_fixed_size: 0
    .sgpr_count:     4
    .sgpr_spill_count: 0
    .symbol:         _ZN7rocprim17ROCPRIM_400000_NS6detail17trampoline_kernelINS0_14default_configENS1_25partition_config_selectorILNS1_17partition_subalgoE3EsNS0_10empty_typeEbEEZZNS1_14partition_implILS5_3ELb0ES3_jN6thrust23THRUST_200600_302600_NS6detail15normal_iteratorINSA_7pointerIsNSA_11hip_rocprim3tagENSA_11use_defaultESG_EEEEPS6_SJ_NS0_5tupleIJPsSJ_EEENSK_IJSJ_SJ_EEES6_PlJ7is_evenIsEEEE10hipError_tPvRmT3_T4_T5_T6_T7_T9_mT8_P12ihipStream_tbDpT10_ENKUlT_T0_E_clISt17integral_constantIbLb1EES1A_EEDaS15_S16_EUlS15_E_NS1_11comp_targetILNS1_3genE3ELNS1_11target_archE908ELNS1_3gpuE7ELNS1_3repE0EEENS1_30default_config_static_selectorELNS0_4arch9wavefront6targetE1EEEvT1_.kd
    .uniform_work_group_size: 1
    .uses_dynamic_stack: false
    .vgpr_count:     0
    .vgpr_spill_count: 0
    .wavefront_size: 64
  - .agpr_count:     0
    .args:
      - .offset:         0
        .size:           136
        .value_kind:     by_value
    .group_segment_fixed_size: 0
    .kernarg_segment_align: 8
    .kernarg_segment_size: 136
    .language:       OpenCL C
    .language_version:
      - 2
      - 0
    .max_flat_workgroup_size: 256
    .name:           _ZN7rocprim17ROCPRIM_400000_NS6detail17trampoline_kernelINS0_14default_configENS1_25partition_config_selectorILNS1_17partition_subalgoE3EsNS0_10empty_typeEbEEZZNS1_14partition_implILS5_3ELb0ES3_jN6thrust23THRUST_200600_302600_NS6detail15normal_iteratorINSA_7pointerIsNSA_11hip_rocprim3tagENSA_11use_defaultESG_EEEEPS6_SJ_NS0_5tupleIJPsSJ_EEENSK_IJSJ_SJ_EEES6_PlJ7is_evenIsEEEE10hipError_tPvRmT3_T4_T5_T6_T7_T9_mT8_P12ihipStream_tbDpT10_ENKUlT_T0_E_clISt17integral_constantIbLb1EES1A_EEDaS15_S16_EUlS15_E_NS1_11comp_targetILNS1_3genE2ELNS1_11target_archE906ELNS1_3gpuE6ELNS1_3repE0EEENS1_30default_config_static_selectorELNS0_4arch9wavefront6targetE1EEEvT1_
    .private_segment_fixed_size: 0
    .sgpr_count:     4
    .sgpr_spill_count: 0
    .symbol:         _ZN7rocprim17ROCPRIM_400000_NS6detail17trampoline_kernelINS0_14default_configENS1_25partition_config_selectorILNS1_17partition_subalgoE3EsNS0_10empty_typeEbEEZZNS1_14partition_implILS5_3ELb0ES3_jN6thrust23THRUST_200600_302600_NS6detail15normal_iteratorINSA_7pointerIsNSA_11hip_rocprim3tagENSA_11use_defaultESG_EEEEPS6_SJ_NS0_5tupleIJPsSJ_EEENSK_IJSJ_SJ_EEES6_PlJ7is_evenIsEEEE10hipError_tPvRmT3_T4_T5_T6_T7_T9_mT8_P12ihipStream_tbDpT10_ENKUlT_T0_E_clISt17integral_constantIbLb1EES1A_EEDaS15_S16_EUlS15_E_NS1_11comp_targetILNS1_3genE2ELNS1_11target_archE906ELNS1_3gpuE6ELNS1_3repE0EEENS1_30default_config_static_selectorELNS0_4arch9wavefront6targetE1EEEvT1_.kd
    .uniform_work_group_size: 1
    .uses_dynamic_stack: false
    .vgpr_count:     0
    .vgpr_spill_count: 0
    .wavefront_size: 64
  - .agpr_count:     0
    .args:
      - .offset:         0
        .size:           136
        .value_kind:     by_value
    .group_segment_fixed_size: 0
    .kernarg_segment_align: 8
    .kernarg_segment_size: 136
    .language:       OpenCL C
    .language_version:
      - 2
      - 0
    .max_flat_workgroup_size: 512
    .name:           _ZN7rocprim17ROCPRIM_400000_NS6detail17trampoline_kernelINS0_14default_configENS1_25partition_config_selectorILNS1_17partition_subalgoE3EsNS0_10empty_typeEbEEZZNS1_14partition_implILS5_3ELb0ES3_jN6thrust23THRUST_200600_302600_NS6detail15normal_iteratorINSA_7pointerIsNSA_11hip_rocprim3tagENSA_11use_defaultESG_EEEEPS6_SJ_NS0_5tupleIJPsSJ_EEENSK_IJSJ_SJ_EEES6_PlJ7is_evenIsEEEE10hipError_tPvRmT3_T4_T5_T6_T7_T9_mT8_P12ihipStream_tbDpT10_ENKUlT_T0_E_clISt17integral_constantIbLb1EES1A_EEDaS15_S16_EUlS15_E_NS1_11comp_targetILNS1_3genE10ELNS1_11target_archE1200ELNS1_3gpuE4ELNS1_3repE0EEENS1_30default_config_static_selectorELNS0_4arch9wavefront6targetE1EEEvT1_
    .private_segment_fixed_size: 0
    .sgpr_count:     4
    .sgpr_spill_count: 0
    .symbol:         _ZN7rocprim17ROCPRIM_400000_NS6detail17trampoline_kernelINS0_14default_configENS1_25partition_config_selectorILNS1_17partition_subalgoE3EsNS0_10empty_typeEbEEZZNS1_14partition_implILS5_3ELb0ES3_jN6thrust23THRUST_200600_302600_NS6detail15normal_iteratorINSA_7pointerIsNSA_11hip_rocprim3tagENSA_11use_defaultESG_EEEEPS6_SJ_NS0_5tupleIJPsSJ_EEENSK_IJSJ_SJ_EEES6_PlJ7is_evenIsEEEE10hipError_tPvRmT3_T4_T5_T6_T7_T9_mT8_P12ihipStream_tbDpT10_ENKUlT_T0_E_clISt17integral_constantIbLb1EES1A_EEDaS15_S16_EUlS15_E_NS1_11comp_targetILNS1_3genE10ELNS1_11target_archE1200ELNS1_3gpuE4ELNS1_3repE0EEENS1_30default_config_static_selectorELNS0_4arch9wavefront6targetE1EEEvT1_.kd
    .uniform_work_group_size: 1
    .uses_dynamic_stack: false
    .vgpr_count:     0
    .vgpr_spill_count: 0
    .wavefront_size: 64
  - .agpr_count:     0
    .args:
      - .offset:         0
        .size:           136
        .value_kind:     by_value
    .group_segment_fixed_size: 0
    .kernarg_segment_align: 8
    .kernarg_segment_size: 136
    .language:       OpenCL C
    .language_version:
      - 2
      - 0
    .max_flat_workgroup_size: 128
    .name:           _ZN7rocprim17ROCPRIM_400000_NS6detail17trampoline_kernelINS0_14default_configENS1_25partition_config_selectorILNS1_17partition_subalgoE3EsNS0_10empty_typeEbEEZZNS1_14partition_implILS5_3ELb0ES3_jN6thrust23THRUST_200600_302600_NS6detail15normal_iteratorINSA_7pointerIsNSA_11hip_rocprim3tagENSA_11use_defaultESG_EEEEPS6_SJ_NS0_5tupleIJPsSJ_EEENSK_IJSJ_SJ_EEES6_PlJ7is_evenIsEEEE10hipError_tPvRmT3_T4_T5_T6_T7_T9_mT8_P12ihipStream_tbDpT10_ENKUlT_T0_E_clISt17integral_constantIbLb1EES1A_EEDaS15_S16_EUlS15_E_NS1_11comp_targetILNS1_3genE9ELNS1_11target_archE1100ELNS1_3gpuE3ELNS1_3repE0EEENS1_30default_config_static_selectorELNS0_4arch9wavefront6targetE1EEEvT1_
    .private_segment_fixed_size: 0
    .sgpr_count:     4
    .sgpr_spill_count: 0
    .symbol:         _ZN7rocprim17ROCPRIM_400000_NS6detail17trampoline_kernelINS0_14default_configENS1_25partition_config_selectorILNS1_17partition_subalgoE3EsNS0_10empty_typeEbEEZZNS1_14partition_implILS5_3ELb0ES3_jN6thrust23THRUST_200600_302600_NS6detail15normal_iteratorINSA_7pointerIsNSA_11hip_rocprim3tagENSA_11use_defaultESG_EEEEPS6_SJ_NS0_5tupleIJPsSJ_EEENSK_IJSJ_SJ_EEES6_PlJ7is_evenIsEEEE10hipError_tPvRmT3_T4_T5_T6_T7_T9_mT8_P12ihipStream_tbDpT10_ENKUlT_T0_E_clISt17integral_constantIbLb1EES1A_EEDaS15_S16_EUlS15_E_NS1_11comp_targetILNS1_3genE9ELNS1_11target_archE1100ELNS1_3gpuE3ELNS1_3repE0EEENS1_30default_config_static_selectorELNS0_4arch9wavefront6targetE1EEEvT1_.kd
    .uniform_work_group_size: 1
    .uses_dynamic_stack: false
    .vgpr_count:     0
    .vgpr_spill_count: 0
    .wavefront_size: 64
  - .agpr_count:     0
    .args:
      - .offset:         0
        .size:           136
        .value_kind:     by_value
    .group_segment_fixed_size: 0
    .kernarg_segment_align: 8
    .kernarg_segment_size: 136
    .language:       OpenCL C
    .language_version:
      - 2
      - 0
    .max_flat_workgroup_size: 256
    .name:           _ZN7rocprim17ROCPRIM_400000_NS6detail17trampoline_kernelINS0_14default_configENS1_25partition_config_selectorILNS1_17partition_subalgoE3EsNS0_10empty_typeEbEEZZNS1_14partition_implILS5_3ELb0ES3_jN6thrust23THRUST_200600_302600_NS6detail15normal_iteratorINSA_7pointerIsNSA_11hip_rocprim3tagENSA_11use_defaultESG_EEEEPS6_SJ_NS0_5tupleIJPsSJ_EEENSK_IJSJ_SJ_EEES6_PlJ7is_evenIsEEEE10hipError_tPvRmT3_T4_T5_T6_T7_T9_mT8_P12ihipStream_tbDpT10_ENKUlT_T0_E_clISt17integral_constantIbLb1EES1A_EEDaS15_S16_EUlS15_E_NS1_11comp_targetILNS1_3genE8ELNS1_11target_archE1030ELNS1_3gpuE2ELNS1_3repE0EEENS1_30default_config_static_selectorELNS0_4arch9wavefront6targetE1EEEvT1_
    .private_segment_fixed_size: 0
    .sgpr_count:     4
    .sgpr_spill_count: 0
    .symbol:         _ZN7rocprim17ROCPRIM_400000_NS6detail17trampoline_kernelINS0_14default_configENS1_25partition_config_selectorILNS1_17partition_subalgoE3EsNS0_10empty_typeEbEEZZNS1_14partition_implILS5_3ELb0ES3_jN6thrust23THRUST_200600_302600_NS6detail15normal_iteratorINSA_7pointerIsNSA_11hip_rocprim3tagENSA_11use_defaultESG_EEEEPS6_SJ_NS0_5tupleIJPsSJ_EEENSK_IJSJ_SJ_EEES6_PlJ7is_evenIsEEEE10hipError_tPvRmT3_T4_T5_T6_T7_T9_mT8_P12ihipStream_tbDpT10_ENKUlT_T0_E_clISt17integral_constantIbLb1EES1A_EEDaS15_S16_EUlS15_E_NS1_11comp_targetILNS1_3genE8ELNS1_11target_archE1030ELNS1_3gpuE2ELNS1_3repE0EEENS1_30default_config_static_selectorELNS0_4arch9wavefront6targetE1EEEvT1_.kd
    .uniform_work_group_size: 1
    .uses_dynamic_stack: false
    .vgpr_count:     0
    .vgpr_spill_count: 0
    .wavefront_size: 64
  - .agpr_count:     0
    .args:
      - .offset:         0
        .size:           120
        .value_kind:     by_value
    .group_segment_fixed_size: 0
    .kernarg_segment_align: 8
    .kernarg_segment_size: 120
    .language:       OpenCL C
    .language_version:
      - 2
      - 0
    .max_flat_workgroup_size: 256
    .name:           _ZN7rocprim17ROCPRIM_400000_NS6detail17trampoline_kernelINS0_14default_configENS1_25partition_config_selectorILNS1_17partition_subalgoE3EsNS0_10empty_typeEbEEZZNS1_14partition_implILS5_3ELb0ES3_jN6thrust23THRUST_200600_302600_NS6detail15normal_iteratorINSA_7pointerIsNSA_11hip_rocprim3tagENSA_11use_defaultESG_EEEEPS6_SJ_NS0_5tupleIJPsSJ_EEENSK_IJSJ_SJ_EEES6_PlJ7is_evenIsEEEE10hipError_tPvRmT3_T4_T5_T6_T7_T9_mT8_P12ihipStream_tbDpT10_ENKUlT_T0_E_clISt17integral_constantIbLb1EES19_IbLb0EEEEDaS15_S16_EUlS15_E_NS1_11comp_targetILNS1_3genE0ELNS1_11target_archE4294967295ELNS1_3gpuE0ELNS1_3repE0EEENS1_30default_config_static_selectorELNS0_4arch9wavefront6targetE1EEEvT1_
    .private_segment_fixed_size: 0
    .sgpr_count:     4
    .sgpr_spill_count: 0
    .symbol:         _ZN7rocprim17ROCPRIM_400000_NS6detail17trampoline_kernelINS0_14default_configENS1_25partition_config_selectorILNS1_17partition_subalgoE3EsNS0_10empty_typeEbEEZZNS1_14partition_implILS5_3ELb0ES3_jN6thrust23THRUST_200600_302600_NS6detail15normal_iteratorINSA_7pointerIsNSA_11hip_rocprim3tagENSA_11use_defaultESG_EEEEPS6_SJ_NS0_5tupleIJPsSJ_EEENSK_IJSJ_SJ_EEES6_PlJ7is_evenIsEEEE10hipError_tPvRmT3_T4_T5_T6_T7_T9_mT8_P12ihipStream_tbDpT10_ENKUlT_T0_E_clISt17integral_constantIbLb1EES19_IbLb0EEEEDaS15_S16_EUlS15_E_NS1_11comp_targetILNS1_3genE0ELNS1_11target_archE4294967295ELNS1_3gpuE0ELNS1_3repE0EEENS1_30default_config_static_selectorELNS0_4arch9wavefront6targetE1EEEvT1_.kd
    .uniform_work_group_size: 1
    .uses_dynamic_stack: false
    .vgpr_count:     0
    .vgpr_spill_count: 0
    .wavefront_size: 64
  - .agpr_count:     0
    .args:
      - .offset:         0
        .size:           120
        .value_kind:     by_value
    .group_segment_fixed_size: 0
    .kernarg_segment_align: 8
    .kernarg_segment_size: 120
    .language:       OpenCL C
    .language_version:
      - 2
      - 0
    .max_flat_workgroup_size: 512
    .name:           _ZN7rocprim17ROCPRIM_400000_NS6detail17trampoline_kernelINS0_14default_configENS1_25partition_config_selectorILNS1_17partition_subalgoE3EsNS0_10empty_typeEbEEZZNS1_14partition_implILS5_3ELb0ES3_jN6thrust23THRUST_200600_302600_NS6detail15normal_iteratorINSA_7pointerIsNSA_11hip_rocprim3tagENSA_11use_defaultESG_EEEEPS6_SJ_NS0_5tupleIJPsSJ_EEENSK_IJSJ_SJ_EEES6_PlJ7is_evenIsEEEE10hipError_tPvRmT3_T4_T5_T6_T7_T9_mT8_P12ihipStream_tbDpT10_ENKUlT_T0_E_clISt17integral_constantIbLb1EES19_IbLb0EEEEDaS15_S16_EUlS15_E_NS1_11comp_targetILNS1_3genE5ELNS1_11target_archE942ELNS1_3gpuE9ELNS1_3repE0EEENS1_30default_config_static_selectorELNS0_4arch9wavefront6targetE1EEEvT1_
    .private_segment_fixed_size: 0
    .sgpr_count:     4
    .sgpr_spill_count: 0
    .symbol:         _ZN7rocprim17ROCPRIM_400000_NS6detail17trampoline_kernelINS0_14default_configENS1_25partition_config_selectorILNS1_17partition_subalgoE3EsNS0_10empty_typeEbEEZZNS1_14partition_implILS5_3ELb0ES3_jN6thrust23THRUST_200600_302600_NS6detail15normal_iteratorINSA_7pointerIsNSA_11hip_rocprim3tagENSA_11use_defaultESG_EEEEPS6_SJ_NS0_5tupleIJPsSJ_EEENSK_IJSJ_SJ_EEES6_PlJ7is_evenIsEEEE10hipError_tPvRmT3_T4_T5_T6_T7_T9_mT8_P12ihipStream_tbDpT10_ENKUlT_T0_E_clISt17integral_constantIbLb1EES19_IbLb0EEEEDaS15_S16_EUlS15_E_NS1_11comp_targetILNS1_3genE5ELNS1_11target_archE942ELNS1_3gpuE9ELNS1_3repE0EEENS1_30default_config_static_selectorELNS0_4arch9wavefront6targetE1EEEvT1_.kd
    .uniform_work_group_size: 1
    .uses_dynamic_stack: false
    .vgpr_count:     0
    .vgpr_spill_count: 0
    .wavefront_size: 64
  - .agpr_count:     0
    .args:
      - .offset:         0
        .size:           120
        .value_kind:     by_value
    .group_segment_fixed_size: 10248
    .kernarg_segment_align: 8
    .kernarg_segment_size: 120
    .language:       OpenCL C
    .language_version:
      - 2
      - 0
    .max_flat_workgroup_size: 256
    .name:           _ZN7rocprim17ROCPRIM_400000_NS6detail17trampoline_kernelINS0_14default_configENS1_25partition_config_selectorILNS1_17partition_subalgoE3EsNS0_10empty_typeEbEEZZNS1_14partition_implILS5_3ELb0ES3_jN6thrust23THRUST_200600_302600_NS6detail15normal_iteratorINSA_7pointerIsNSA_11hip_rocprim3tagENSA_11use_defaultESG_EEEEPS6_SJ_NS0_5tupleIJPsSJ_EEENSK_IJSJ_SJ_EEES6_PlJ7is_evenIsEEEE10hipError_tPvRmT3_T4_T5_T6_T7_T9_mT8_P12ihipStream_tbDpT10_ENKUlT_T0_E_clISt17integral_constantIbLb1EES19_IbLb0EEEEDaS15_S16_EUlS15_E_NS1_11comp_targetILNS1_3genE4ELNS1_11target_archE910ELNS1_3gpuE8ELNS1_3repE0EEENS1_30default_config_static_selectorELNS0_4arch9wavefront6targetE1EEEvT1_
    .private_segment_fixed_size: 0
    .sgpr_count:     50
    .sgpr_spill_count: 0
    .symbol:         _ZN7rocprim17ROCPRIM_400000_NS6detail17trampoline_kernelINS0_14default_configENS1_25partition_config_selectorILNS1_17partition_subalgoE3EsNS0_10empty_typeEbEEZZNS1_14partition_implILS5_3ELb0ES3_jN6thrust23THRUST_200600_302600_NS6detail15normal_iteratorINSA_7pointerIsNSA_11hip_rocprim3tagENSA_11use_defaultESG_EEEEPS6_SJ_NS0_5tupleIJPsSJ_EEENSK_IJSJ_SJ_EEES6_PlJ7is_evenIsEEEE10hipError_tPvRmT3_T4_T5_T6_T7_T9_mT8_P12ihipStream_tbDpT10_ENKUlT_T0_E_clISt17integral_constantIbLb1EES19_IbLb0EEEEDaS15_S16_EUlS15_E_NS1_11comp_targetILNS1_3genE4ELNS1_11target_archE910ELNS1_3gpuE8ELNS1_3repE0EEENS1_30default_config_static_selectorELNS0_4arch9wavefront6targetE1EEEvT1_.kd
    .uniform_work_group_size: 1
    .uses_dynamic_stack: false
    .vgpr_count:     90
    .vgpr_spill_count: 0
    .wavefront_size: 64
  - .agpr_count:     0
    .args:
      - .offset:         0
        .size:           120
        .value_kind:     by_value
    .group_segment_fixed_size: 0
    .kernarg_segment_align: 8
    .kernarg_segment_size: 120
    .language:       OpenCL C
    .language_version:
      - 2
      - 0
    .max_flat_workgroup_size: 256
    .name:           _ZN7rocprim17ROCPRIM_400000_NS6detail17trampoline_kernelINS0_14default_configENS1_25partition_config_selectorILNS1_17partition_subalgoE3EsNS0_10empty_typeEbEEZZNS1_14partition_implILS5_3ELb0ES3_jN6thrust23THRUST_200600_302600_NS6detail15normal_iteratorINSA_7pointerIsNSA_11hip_rocprim3tagENSA_11use_defaultESG_EEEEPS6_SJ_NS0_5tupleIJPsSJ_EEENSK_IJSJ_SJ_EEES6_PlJ7is_evenIsEEEE10hipError_tPvRmT3_T4_T5_T6_T7_T9_mT8_P12ihipStream_tbDpT10_ENKUlT_T0_E_clISt17integral_constantIbLb1EES19_IbLb0EEEEDaS15_S16_EUlS15_E_NS1_11comp_targetILNS1_3genE3ELNS1_11target_archE908ELNS1_3gpuE7ELNS1_3repE0EEENS1_30default_config_static_selectorELNS0_4arch9wavefront6targetE1EEEvT1_
    .private_segment_fixed_size: 0
    .sgpr_count:     4
    .sgpr_spill_count: 0
    .symbol:         _ZN7rocprim17ROCPRIM_400000_NS6detail17trampoline_kernelINS0_14default_configENS1_25partition_config_selectorILNS1_17partition_subalgoE3EsNS0_10empty_typeEbEEZZNS1_14partition_implILS5_3ELb0ES3_jN6thrust23THRUST_200600_302600_NS6detail15normal_iteratorINSA_7pointerIsNSA_11hip_rocprim3tagENSA_11use_defaultESG_EEEEPS6_SJ_NS0_5tupleIJPsSJ_EEENSK_IJSJ_SJ_EEES6_PlJ7is_evenIsEEEE10hipError_tPvRmT3_T4_T5_T6_T7_T9_mT8_P12ihipStream_tbDpT10_ENKUlT_T0_E_clISt17integral_constantIbLb1EES19_IbLb0EEEEDaS15_S16_EUlS15_E_NS1_11comp_targetILNS1_3genE3ELNS1_11target_archE908ELNS1_3gpuE7ELNS1_3repE0EEENS1_30default_config_static_selectorELNS0_4arch9wavefront6targetE1EEEvT1_.kd
    .uniform_work_group_size: 1
    .uses_dynamic_stack: false
    .vgpr_count:     0
    .vgpr_spill_count: 0
    .wavefront_size: 64
  - .agpr_count:     0
    .args:
      - .offset:         0
        .size:           120
        .value_kind:     by_value
    .group_segment_fixed_size: 0
    .kernarg_segment_align: 8
    .kernarg_segment_size: 120
    .language:       OpenCL C
    .language_version:
      - 2
      - 0
    .max_flat_workgroup_size: 256
    .name:           _ZN7rocprim17ROCPRIM_400000_NS6detail17trampoline_kernelINS0_14default_configENS1_25partition_config_selectorILNS1_17partition_subalgoE3EsNS0_10empty_typeEbEEZZNS1_14partition_implILS5_3ELb0ES3_jN6thrust23THRUST_200600_302600_NS6detail15normal_iteratorINSA_7pointerIsNSA_11hip_rocprim3tagENSA_11use_defaultESG_EEEEPS6_SJ_NS0_5tupleIJPsSJ_EEENSK_IJSJ_SJ_EEES6_PlJ7is_evenIsEEEE10hipError_tPvRmT3_T4_T5_T6_T7_T9_mT8_P12ihipStream_tbDpT10_ENKUlT_T0_E_clISt17integral_constantIbLb1EES19_IbLb0EEEEDaS15_S16_EUlS15_E_NS1_11comp_targetILNS1_3genE2ELNS1_11target_archE906ELNS1_3gpuE6ELNS1_3repE0EEENS1_30default_config_static_selectorELNS0_4arch9wavefront6targetE1EEEvT1_
    .private_segment_fixed_size: 0
    .sgpr_count:     4
    .sgpr_spill_count: 0
    .symbol:         _ZN7rocprim17ROCPRIM_400000_NS6detail17trampoline_kernelINS0_14default_configENS1_25partition_config_selectorILNS1_17partition_subalgoE3EsNS0_10empty_typeEbEEZZNS1_14partition_implILS5_3ELb0ES3_jN6thrust23THRUST_200600_302600_NS6detail15normal_iteratorINSA_7pointerIsNSA_11hip_rocprim3tagENSA_11use_defaultESG_EEEEPS6_SJ_NS0_5tupleIJPsSJ_EEENSK_IJSJ_SJ_EEES6_PlJ7is_evenIsEEEE10hipError_tPvRmT3_T4_T5_T6_T7_T9_mT8_P12ihipStream_tbDpT10_ENKUlT_T0_E_clISt17integral_constantIbLb1EES19_IbLb0EEEEDaS15_S16_EUlS15_E_NS1_11comp_targetILNS1_3genE2ELNS1_11target_archE906ELNS1_3gpuE6ELNS1_3repE0EEENS1_30default_config_static_selectorELNS0_4arch9wavefront6targetE1EEEvT1_.kd
    .uniform_work_group_size: 1
    .uses_dynamic_stack: false
    .vgpr_count:     0
    .vgpr_spill_count: 0
    .wavefront_size: 64
  - .agpr_count:     0
    .args:
      - .offset:         0
        .size:           120
        .value_kind:     by_value
    .group_segment_fixed_size: 0
    .kernarg_segment_align: 8
    .kernarg_segment_size: 120
    .language:       OpenCL C
    .language_version:
      - 2
      - 0
    .max_flat_workgroup_size: 512
    .name:           _ZN7rocprim17ROCPRIM_400000_NS6detail17trampoline_kernelINS0_14default_configENS1_25partition_config_selectorILNS1_17partition_subalgoE3EsNS0_10empty_typeEbEEZZNS1_14partition_implILS5_3ELb0ES3_jN6thrust23THRUST_200600_302600_NS6detail15normal_iteratorINSA_7pointerIsNSA_11hip_rocprim3tagENSA_11use_defaultESG_EEEEPS6_SJ_NS0_5tupleIJPsSJ_EEENSK_IJSJ_SJ_EEES6_PlJ7is_evenIsEEEE10hipError_tPvRmT3_T4_T5_T6_T7_T9_mT8_P12ihipStream_tbDpT10_ENKUlT_T0_E_clISt17integral_constantIbLb1EES19_IbLb0EEEEDaS15_S16_EUlS15_E_NS1_11comp_targetILNS1_3genE10ELNS1_11target_archE1200ELNS1_3gpuE4ELNS1_3repE0EEENS1_30default_config_static_selectorELNS0_4arch9wavefront6targetE1EEEvT1_
    .private_segment_fixed_size: 0
    .sgpr_count:     4
    .sgpr_spill_count: 0
    .symbol:         _ZN7rocprim17ROCPRIM_400000_NS6detail17trampoline_kernelINS0_14default_configENS1_25partition_config_selectorILNS1_17partition_subalgoE3EsNS0_10empty_typeEbEEZZNS1_14partition_implILS5_3ELb0ES3_jN6thrust23THRUST_200600_302600_NS6detail15normal_iteratorINSA_7pointerIsNSA_11hip_rocprim3tagENSA_11use_defaultESG_EEEEPS6_SJ_NS0_5tupleIJPsSJ_EEENSK_IJSJ_SJ_EEES6_PlJ7is_evenIsEEEE10hipError_tPvRmT3_T4_T5_T6_T7_T9_mT8_P12ihipStream_tbDpT10_ENKUlT_T0_E_clISt17integral_constantIbLb1EES19_IbLb0EEEEDaS15_S16_EUlS15_E_NS1_11comp_targetILNS1_3genE10ELNS1_11target_archE1200ELNS1_3gpuE4ELNS1_3repE0EEENS1_30default_config_static_selectorELNS0_4arch9wavefront6targetE1EEEvT1_.kd
    .uniform_work_group_size: 1
    .uses_dynamic_stack: false
    .vgpr_count:     0
    .vgpr_spill_count: 0
    .wavefront_size: 64
  - .agpr_count:     0
    .args:
      - .offset:         0
        .size:           120
        .value_kind:     by_value
    .group_segment_fixed_size: 0
    .kernarg_segment_align: 8
    .kernarg_segment_size: 120
    .language:       OpenCL C
    .language_version:
      - 2
      - 0
    .max_flat_workgroup_size: 128
    .name:           _ZN7rocprim17ROCPRIM_400000_NS6detail17trampoline_kernelINS0_14default_configENS1_25partition_config_selectorILNS1_17partition_subalgoE3EsNS0_10empty_typeEbEEZZNS1_14partition_implILS5_3ELb0ES3_jN6thrust23THRUST_200600_302600_NS6detail15normal_iteratorINSA_7pointerIsNSA_11hip_rocprim3tagENSA_11use_defaultESG_EEEEPS6_SJ_NS0_5tupleIJPsSJ_EEENSK_IJSJ_SJ_EEES6_PlJ7is_evenIsEEEE10hipError_tPvRmT3_T4_T5_T6_T7_T9_mT8_P12ihipStream_tbDpT10_ENKUlT_T0_E_clISt17integral_constantIbLb1EES19_IbLb0EEEEDaS15_S16_EUlS15_E_NS1_11comp_targetILNS1_3genE9ELNS1_11target_archE1100ELNS1_3gpuE3ELNS1_3repE0EEENS1_30default_config_static_selectorELNS0_4arch9wavefront6targetE1EEEvT1_
    .private_segment_fixed_size: 0
    .sgpr_count:     4
    .sgpr_spill_count: 0
    .symbol:         _ZN7rocprim17ROCPRIM_400000_NS6detail17trampoline_kernelINS0_14default_configENS1_25partition_config_selectorILNS1_17partition_subalgoE3EsNS0_10empty_typeEbEEZZNS1_14partition_implILS5_3ELb0ES3_jN6thrust23THRUST_200600_302600_NS6detail15normal_iteratorINSA_7pointerIsNSA_11hip_rocprim3tagENSA_11use_defaultESG_EEEEPS6_SJ_NS0_5tupleIJPsSJ_EEENSK_IJSJ_SJ_EEES6_PlJ7is_evenIsEEEE10hipError_tPvRmT3_T4_T5_T6_T7_T9_mT8_P12ihipStream_tbDpT10_ENKUlT_T0_E_clISt17integral_constantIbLb1EES19_IbLb0EEEEDaS15_S16_EUlS15_E_NS1_11comp_targetILNS1_3genE9ELNS1_11target_archE1100ELNS1_3gpuE3ELNS1_3repE0EEENS1_30default_config_static_selectorELNS0_4arch9wavefront6targetE1EEEvT1_.kd
    .uniform_work_group_size: 1
    .uses_dynamic_stack: false
    .vgpr_count:     0
    .vgpr_spill_count: 0
    .wavefront_size: 64
  - .agpr_count:     0
    .args:
      - .offset:         0
        .size:           120
        .value_kind:     by_value
    .group_segment_fixed_size: 0
    .kernarg_segment_align: 8
    .kernarg_segment_size: 120
    .language:       OpenCL C
    .language_version:
      - 2
      - 0
    .max_flat_workgroup_size: 256
    .name:           _ZN7rocprim17ROCPRIM_400000_NS6detail17trampoline_kernelINS0_14default_configENS1_25partition_config_selectorILNS1_17partition_subalgoE3EsNS0_10empty_typeEbEEZZNS1_14partition_implILS5_3ELb0ES3_jN6thrust23THRUST_200600_302600_NS6detail15normal_iteratorINSA_7pointerIsNSA_11hip_rocprim3tagENSA_11use_defaultESG_EEEEPS6_SJ_NS0_5tupleIJPsSJ_EEENSK_IJSJ_SJ_EEES6_PlJ7is_evenIsEEEE10hipError_tPvRmT3_T4_T5_T6_T7_T9_mT8_P12ihipStream_tbDpT10_ENKUlT_T0_E_clISt17integral_constantIbLb1EES19_IbLb0EEEEDaS15_S16_EUlS15_E_NS1_11comp_targetILNS1_3genE8ELNS1_11target_archE1030ELNS1_3gpuE2ELNS1_3repE0EEENS1_30default_config_static_selectorELNS0_4arch9wavefront6targetE1EEEvT1_
    .private_segment_fixed_size: 0
    .sgpr_count:     4
    .sgpr_spill_count: 0
    .symbol:         _ZN7rocprim17ROCPRIM_400000_NS6detail17trampoline_kernelINS0_14default_configENS1_25partition_config_selectorILNS1_17partition_subalgoE3EsNS0_10empty_typeEbEEZZNS1_14partition_implILS5_3ELb0ES3_jN6thrust23THRUST_200600_302600_NS6detail15normal_iteratorINSA_7pointerIsNSA_11hip_rocprim3tagENSA_11use_defaultESG_EEEEPS6_SJ_NS0_5tupleIJPsSJ_EEENSK_IJSJ_SJ_EEES6_PlJ7is_evenIsEEEE10hipError_tPvRmT3_T4_T5_T6_T7_T9_mT8_P12ihipStream_tbDpT10_ENKUlT_T0_E_clISt17integral_constantIbLb1EES19_IbLb0EEEEDaS15_S16_EUlS15_E_NS1_11comp_targetILNS1_3genE8ELNS1_11target_archE1030ELNS1_3gpuE2ELNS1_3repE0EEENS1_30default_config_static_selectorELNS0_4arch9wavefront6targetE1EEEvT1_.kd
    .uniform_work_group_size: 1
    .uses_dynamic_stack: false
    .vgpr_count:     0
    .vgpr_spill_count: 0
    .wavefront_size: 64
  - .agpr_count:     0
    .args:
      - .offset:         0
        .size:           136
        .value_kind:     by_value
    .group_segment_fixed_size: 0
    .kernarg_segment_align: 8
    .kernarg_segment_size: 136
    .language:       OpenCL C
    .language_version:
      - 2
      - 0
    .max_flat_workgroup_size: 256
    .name:           _ZN7rocprim17ROCPRIM_400000_NS6detail17trampoline_kernelINS0_14default_configENS1_25partition_config_selectorILNS1_17partition_subalgoE3EsNS0_10empty_typeEbEEZZNS1_14partition_implILS5_3ELb0ES3_jN6thrust23THRUST_200600_302600_NS6detail15normal_iteratorINSA_7pointerIsNSA_11hip_rocprim3tagENSA_11use_defaultESG_EEEEPS6_SJ_NS0_5tupleIJPsSJ_EEENSK_IJSJ_SJ_EEES6_PlJ7is_evenIsEEEE10hipError_tPvRmT3_T4_T5_T6_T7_T9_mT8_P12ihipStream_tbDpT10_ENKUlT_T0_E_clISt17integral_constantIbLb0EES19_IbLb1EEEEDaS15_S16_EUlS15_E_NS1_11comp_targetILNS1_3genE0ELNS1_11target_archE4294967295ELNS1_3gpuE0ELNS1_3repE0EEENS1_30default_config_static_selectorELNS0_4arch9wavefront6targetE1EEEvT1_
    .private_segment_fixed_size: 0
    .sgpr_count:     4
    .sgpr_spill_count: 0
    .symbol:         _ZN7rocprim17ROCPRIM_400000_NS6detail17trampoline_kernelINS0_14default_configENS1_25partition_config_selectorILNS1_17partition_subalgoE3EsNS0_10empty_typeEbEEZZNS1_14partition_implILS5_3ELb0ES3_jN6thrust23THRUST_200600_302600_NS6detail15normal_iteratorINSA_7pointerIsNSA_11hip_rocprim3tagENSA_11use_defaultESG_EEEEPS6_SJ_NS0_5tupleIJPsSJ_EEENSK_IJSJ_SJ_EEES6_PlJ7is_evenIsEEEE10hipError_tPvRmT3_T4_T5_T6_T7_T9_mT8_P12ihipStream_tbDpT10_ENKUlT_T0_E_clISt17integral_constantIbLb0EES19_IbLb1EEEEDaS15_S16_EUlS15_E_NS1_11comp_targetILNS1_3genE0ELNS1_11target_archE4294967295ELNS1_3gpuE0ELNS1_3repE0EEENS1_30default_config_static_selectorELNS0_4arch9wavefront6targetE1EEEvT1_.kd
    .uniform_work_group_size: 1
    .uses_dynamic_stack: false
    .vgpr_count:     0
    .vgpr_spill_count: 0
    .wavefront_size: 64
  - .agpr_count:     0
    .args:
      - .offset:         0
        .size:           136
        .value_kind:     by_value
    .group_segment_fixed_size: 0
    .kernarg_segment_align: 8
    .kernarg_segment_size: 136
    .language:       OpenCL C
    .language_version:
      - 2
      - 0
    .max_flat_workgroup_size: 512
    .name:           _ZN7rocprim17ROCPRIM_400000_NS6detail17trampoline_kernelINS0_14default_configENS1_25partition_config_selectorILNS1_17partition_subalgoE3EsNS0_10empty_typeEbEEZZNS1_14partition_implILS5_3ELb0ES3_jN6thrust23THRUST_200600_302600_NS6detail15normal_iteratorINSA_7pointerIsNSA_11hip_rocprim3tagENSA_11use_defaultESG_EEEEPS6_SJ_NS0_5tupleIJPsSJ_EEENSK_IJSJ_SJ_EEES6_PlJ7is_evenIsEEEE10hipError_tPvRmT3_T4_T5_T6_T7_T9_mT8_P12ihipStream_tbDpT10_ENKUlT_T0_E_clISt17integral_constantIbLb0EES19_IbLb1EEEEDaS15_S16_EUlS15_E_NS1_11comp_targetILNS1_3genE5ELNS1_11target_archE942ELNS1_3gpuE9ELNS1_3repE0EEENS1_30default_config_static_selectorELNS0_4arch9wavefront6targetE1EEEvT1_
    .private_segment_fixed_size: 0
    .sgpr_count:     4
    .sgpr_spill_count: 0
    .symbol:         _ZN7rocprim17ROCPRIM_400000_NS6detail17trampoline_kernelINS0_14default_configENS1_25partition_config_selectorILNS1_17partition_subalgoE3EsNS0_10empty_typeEbEEZZNS1_14partition_implILS5_3ELb0ES3_jN6thrust23THRUST_200600_302600_NS6detail15normal_iteratorINSA_7pointerIsNSA_11hip_rocprim3tagENSA_11use_defaultESG_EEEEPS6_SJ_NS0_5tupleIJPsSJ_EEENSK_IJSJ_SJ_EEES6_PlJ7is_evenIsEEEE10hipError_tPvRmT3_T4_T5_T6_T7_T9_mT8_P12ihipStream_tbDpT10_ENKUlT_T0_E_clISt17integral_constantIbLb0EES19_IbLb1EEEEDaS15_S16_EUlS15_E_NS1_11comp_targetILNS1_3genE5ELNS1_11target_archE942ELNS1_3gpuE9ELNS1_3repE0EEENS1_30default_config_static_selectorELNS0_4arch9wavefront6targetE1EEEvT1_.kd
    .uniform_work_group_size: 1
    .uses_dynamic_stack: false
    .vgpr_count:     0
    .vgpr_spill_count: 0
    .wavefront_size: 64
  - .agpr_count:     0
    .args:
      - .offset:         0
        .size:           136
        .value_kind:     by_value
    .group_segment_fixed_size: 10248
    .kernarg_segment_align: 8
    .kernarg_segment_size: 136
    .language:       OpenCL C
    .language_version:
      - 2
      - 0
    .max_flat_workgroup_size: 256
    .name:           _ZN7rocprim17ROCPRIM_400000_NS6detail17trampoline_kernelINS0_14default_configENS1_25partition_config_selectorILNS1_17partition_subalgoE3EsNS0_10empty_typeEbEEZZNS1_14partition_implILS5_3ELb0ES3_jN6thrust23THRUST_200600_302600_NS6detail15normal_iteratorINSA_7pointerIsNSA_11hip_rocprim3tagENSA_11use_defaultESG_EEEEPS6_SJ_NS0_5tupleIJPsSJ_EEENSK_IJSJ_SJ_EEES6_PlJ7is_evenIsEEEE10hipError_tPvRmT3_T4_T5_T6_T7_T9_mT8_P12ihipStream_tbDpT10_ENKUlT_T0_E_clISt17integral_constantIbLb0EES19_IbLb1EEEEDaS15_S16_EUlS15_E_NS1_11comp_targetILNS1_3genE4ELNS1_11target_archE910ELNS1_3gpuE8ELNS1_3repE0EEENS1_30default_config_static_selectorELNS0_4arch9wavefront6targetE1EEEvT1_
    .private_segment_fixed_size: 0
    .sgpr_count:     48
    .sgpr_spill_count: 0
    .symbol:         _ZN7rocprim17ROCPRIM_400000_NS6detail17trampoline_kernelINS0_14default_configENS1_25partition_config_selectorILNS1_17partition_subalgoE3EsNS0_10empty_typeEbEEZZNS1_14partition_implILS5_3ELb0ES3_jN6thrust23THRUST_200600_302600_NS6detail15normal_iteratorINSA_7pointerIsNSA_11hip_rocprim3tagENSA_11use_defaultESG_EEEEPS6_SJ_NS0_5tupleIJPsSJ_EEENSK_IJSJ_SJ_EEES6_PlJ7is_evenIsEEEE10hipError_tPvRmT3_T4_T5_T6_T7_T9_mT8_P12ihipStream_tbDpT10_ENKUlT_T0_E_clISt17integral_constantIbLb0EES19_IbLb1EEEEDaS15_S16_EUlS15_E_NS1_11comp_targetILNS1_3genE4ELNS1_11target_archE910ELNS1_3gpuE8ELNS1_3repE0EEENS1_30default_config_static_selectorELNS0_4arch9wavefront6targetE1EEEvT1_.kd
    .uniform_work_group_size: 1
    .uses_dynamic_stack: false
    .vgpr_count:     93
    .vgpr_spill_count: 0
    .wavefront_size: 64
  - .agpr_count:     0
    .args:
      - .offset:         0
        .size:           136
        .value_kind:     by_value
    .group_segment_fixed_size: 0
    .kernarg_segment_align: 8
    .kernarg_segment_size: 136
    .language:       OpenCL C
    .language_version:
      - 2
      - 0
    .max_flat_workgroup_size: 256
    .name:           _ZN7rocprim17ROCPRIM_400000_NS6detail17trampoline_kernelINS0_14default_configENS1_25partition_config_selectorILNS1_17partition_subalgoE3EsNS0_10empty_typeEbEEZZNS1_14partition_implILS5_3ELb0ES3_jN6thrust23THRUST_200600_302600_NS6detail15normal_iteratorINSA_7pointerIsNSA_11hip_rocprim3tagENSA_11use_defaultESG_EEEEPS6_SJ_NS0_5tupleIJPsSJ_EEENSK_IJSJ_SJ_EEES6_PlJ7is_evenIsEEEE10hipError_tPvRmT3_T4_T5_T6_T7_T9_mT8_P12ihipStream_tbDpT10_ENKUlT_T0_E_clISt17integral_constantIbLb0EES19_IbLb1EEEEDaS15_S16_EUlS15_E_NS1_11comp_targetILNS1_3genE3ELNS1_11target_archE908ELNS1_3gpuE7ELNS1_3repE0EEENS1_30default_config_static_selectorELNS0_4arch9wavefront6targetE1EEEvT1_
    .private_segment_fixed_size: 0
    .sgpr_count:     4
    .sgpr_spill_count: 0
    .symbol:         _ZN7rocprim17ROCPRIM_400000_NS6detail17trampoline_kernelINS0_14default_configENS1_25partition_config_selectorILNS1_17partition_subalgoE3EsNS0_10empty_typeEbEEZZNS1_14partition_implILS5_3ELb0ES3_jN6thrust23THRUST_200600_302600_NS6detail15normal_iteratorINSA_7pointerIsNSA_11hip_rocprim3tagENSA_11use_defaultESG_EEEEPS6_SJ_NS0_5tupleIJPsSJ_EEENSK_IJSJ_SJ_EEES6_PlJ7is_evenIsEEEE10hipError_tPvRmT3_T4_T5_T6_T7_T9_mT8_P12ihipStream_tbDpT10_ENKUlT_T0_E_clISt17integral_constantIbLb0EES19_IbLb1EEEEDaS15_S16_EUlS15_E_NS1_11comp_targetILNS1_3genE3ELNS1_11target_archE908ELNS1_3gpuE7ELNS1_3repE0EEENS1_30default_config_static_selectorELNS0_4arch9wavefront6targetE1EEEvT1_.kd
    .uniform_work_group_size: 1
    .uses_dynamic_stack: false
    .vgpr_count:     0
    .vgpr_spill_count: 0
    .wavefront_size: 64
  - .agpr_count:     0
    .args:
      - .offset:         0
        .size:           136
        .value_kind:     by_value
    .group_segment_fixed_size: 0
    .kernarg_segment_align: 8
    .kernarg_segment_size: 136
    .language:       OpenCL C
    .language_version:
      - 2
      - 0
    .max_flat_workgroup_size: 256
    .name:           _ZN7rocprim17ROCPRIM_400000_NS6detail17trampoline_kernelINS0_14default_configENS1_25partition_config_selectorILNS1_17partition_subalgoE3EsNS0_10empty_typeEbEEZZNS1_14partition_implILS5_3ELb0ES3_jN6thrust23THRUST_200600_302600_NS6detail15normal_iteratorINSA_7pointerIsNSA_11hip_rocprim3tagENSA_11use_defaultESG_EEEEPS6_SJ_NS0_5tupleIJPsSJ_EEENSK_IJSJ_SJ_EEES6_PlJ7is_evenIsEEEE10hipError_tPvRmT3_T4_T5_T6_T7_T9_mT8_P12ihipStream_tbDpT10_ENKUlT_T0_E_clISt17integral_constantIbLb0EES19_IbLb1EEEEDaS15_S16_EUlS15_E_NS1_11comp_targetILNS1_3genE2ELNS1_11target_archE906ELNS1_3gpuE6ELNS1_3repE0EEENS1_30default_config_static_selectorELNS0_4arch9wavefront6targetE1EEEvT1_
    .private_segment_fixed_size: 0
    .sgpr_count:     4
    .sgpr_spill_count: 0
    .symbol:         _ZN7rocprim17ROCPRIM_400000_NS6detail17trampoline_kernelINS0_14default_configENS1_25partition_config_selectorILNS1_17partition_subalgoE3EsNS0_10empty_typeEbEEZZNS1_14partition_implILS5_3ELb0ES3_jN6thrust23THRUST_200600_302600_NS6detail15normal_iteratorINSA_7pointerIsNSA_11hip_rocprim3tagENSA_11use_defaultESG_EEEEPS6_SJ_NS0_5tupleIJPsSJ_EEENSK_IJSJ_SJ_EEES6_PlJ7is_evenIsEEEE10hipError_tPvRmT3_T4_T5_T6_T7_T9_mT8_P12ihipStream_tbDpT10_ENKUlT_T0_E_clISt17integral_constantIbLb0EES19_IbLb1EEEEDaS15_S16_EUlS15_E_NS1_11comp_targetILNS1_3genE2ELNS1_11target_archE906ELNS1_3gpuE6ELNS1_3repE0EEENS1_30default_config_static_selectorELNS0_4arch9wavefront6targetE1EEEvT1_.kd
    .uniform_work_group_size: 1
    .uses_dynamic_stack: false
    .vgpr_count:     0
    .vgpr_spill_count: 0
    .wavefront_size: 64
  - .agpr_count:     0
    .args:
      - .offset:         0
        .size:           136
        .value_kind:     by_value
    .group_segment_fixed_size: 0
    .kernarg_segment_align: 8
    .kernarg_segment_size: 136
    .language:       OpenCL C
    .language_version:
      - 2
      - 0
    .max_flat_workgroup_size: 512
    .name:           _ZN7rocprim17ROCPRIM_400000_NS6detail17trampoline_kernelINS0_14default_configENS1_25partition_config_selectorILNS1_17partition_subalgoE3EsNS0_10empty_typeEbEEZZNS1_14partition_implILS5_3ELb0ES3_jN6thrust23THRUST_200600_302600_NS6detail15normal_iteratorINSA_7pointerIsNSA_11hip_rocprim3tagENSA_11use_defaultESG_EEEEPS6_SJ_NS0_5tupleIJPsSJ_EEENSK_IJSJ_SJ_EEES6_PlJ7is_evenIsEEEE10hipError_tPvRmT3_T4_T5_T6_T7_T9_mT8_P12ihipStream_tbDpT10_ENKUlT_T0_E_clISt17integral_constantIbLb0EES19_IbLb1EEEEDaS15_S16_EUlS15_E_NS1_11comp_targetILNS1_3genE10ELNS1_11target_archE1200ELNS1_3gpuE4ELNS1_3repE0EEENS1_30default_config_static_selectorELNS0_4arch9wavefront6targetE1EEEvT1_
    .private_segment_fixed_size: 0
    .sgpr_count:     4
    .sgpr_spill_count: 0
    .symbol:         _ZN7rocprim17ROCPRIM_400000_NS6detail17trampoline_kernelINS0_14default_configENS1_25partition_config_selectorILNS1_17partition_subalgoE3EsNS0_10empty_typeEbEEZZNS1_14partition_implILS5_3ELb0ES3_jN6thrust23THRUST_200600_302600_NS6detail15normal_iteratorINSA_7pointerIsNSA_11hip_rocprim3tagENSA_11use_defaultESG_EEEEPS6_SJ_NS0_5tupleIJPsSJ_EEENSK_IJSJ_SJ_EEES6_PlJ7is_evenIsEEEE10hipError_tPvRmT3_T4_T5_T6_T7_T9_mT8_P12ihipStream_tbDpT10_ENKUlT_T0_E_clISt17integral_constantIbLb0EES19_IbLb1EEEEDaS15_S16_EUlS15_E_NS1_11comp_targetILNS1_3genE10ELNS1_11target_archE1200ELNS1_3gpuE4ELNS1_3repE0EEENS1_30default_config_static_selectorELNS0_4arch9wavefront6targetE1EEEvT1_.kd
    .uniform_work_group_size: 1
    .uses_dynamic_stack: false
    .vgpr_count:     0
    .vgpr_spill_count: 0
    .wavefront_size: 64
  - .agpr_count:     0
    .args:
      - .offset:         0
        .size:           136
        .value_kind:     by_value
    .group_segment_fixed_size: 0
    .kernarg_segment_align: 8
    .kernarg_segment_size: 136
    .language:       OpenCL C
    .language_version:
      - 2
      - 0
    .max_flat_workgroup_size: 128
    .name:           _ZN7rocprim17ROCPRIM_400000_NS6detail17trampoline_kernelINS0_14default_configENS1_25partition_config_selectorILNS1_17partition_subalgoE3EsNS0_10empty_typeEbEEZZNS1_14partition_implILS5_3ELb0ES3_jN6thrust23THRUST_200600_302600_NS6detail15normal_iteratorINSA_7pointerIsNSA_11hip_rocprim3tagENSA_11use_defaultESG_EEEEPS6_SJ_NS0_5tupleIJPsSJ_EEENSK_IJSJ_SJ_EEES6_PlJ7is_evenIsEEEE10hipError_tPvRmT3_T4_T5_T6_T7_T9_mT8_P12ihipStream_tbDpT10_ENKUlT_T0_E_clISt17integral_constantIbLb0EES19_IbLb1EEEEDaS15_S16_EUlS15_E_NS1_11comp_targetILNS1_3genE9ELNS1_11target_archE1100ELNS1_3gpuE3ELNS1_3repE0EEENS1_30default_config_static_selectorELNS0_4arch9wavefront6targetE1EEEvT1_
    .private_segment_fixed_size: 0
    .sgpr_count:     4
    .sgpr_spill_count: 0
    .symbol:         _ZN7rocprim17ROCPRIM_400000_NS6detail17trampoline_kernelINS0_14default_configENS1_25partition_config_selectorILNS1_17partition_subalgoE3EsNS0_10empty_typeEbEEZZNS1_14partition_implILS5_3ELb0ES3_jN6thrust23THRUST_200600_302600_NS6detail15normal_iteratorINSA_7pointerIsNSA_11hip_rocprim3tagENSA_11use_defaultESG_EEEEPS6_SJ_NS0_5tupleIJPsSJ_EEENSK_IJSJ_SJ_EEES6_PlJ7is_evenIsEEEE10hipError_tPvRmT3_T4_T5_T6_T7_T9_mT8_P12ihipStream_tbDpT10_ENKUlT_T0_E_clISt17integral_constantIbLb0EES19_IbLb1EEEEDaS15_S16_EUlS15_E_NS1_11comp_targetILNS1_3genE9ELNS1_11target_archE1100ELNS1_3gpuE3ELNS1_3repE0EEENS1_30default_config_static_selectorELNS0_4arch9wavefront6targetE1EEEvT1_.kd
    .uniform_work_group_size: 1
    .uses_dynamic_stack: false
    .vgpr_count:     0
    .vgpr_spill_count: 0
    .wavefront_size: 64
  - .agpr_count:     0
    .args:
      - .offset:         0
        .size:           136
        .value_kind:     by_value
    .group_segment_fixed_size: 0
    .kernarg_segment_align: 8
    .kernarg_segment_size: 136
    .language:       OpenCL C
    .language_version:
      - 2
      - 0
    .max_flat_workgroup_size: 256
    .name:           _ZN7rocprim17ROCPRIM_400000_NS6detail17trampoline_kernelINS0_14default_configENS1_25partition_config_selectorILNS1_17partition_subalgoE3EsNS0_10empty_typeEbEEZZNS1_14partition_implILS5_3ELb0ES3_jN6thrust23THRUST_200600_302600_NS6detail15normal_iteratorINSA_7pointerIsNSA_11hip_rocprim3tagENSA_11use_defaultESG_EEEEPS6_SJ_NS0_5tupleIJPsSJ_EEENSK_IJSJ_SJ_EEES6_PlJ7is_evenIsEEEE10hipError_tPvRmT3_T4_T5_T6_T7_T9_mT8_P12ihipStream_tbDpT10_ENKUlT_T0_E_clISt17integral_constantIbLb0EES19_IbLb1EEEEDaS15_S16_EUlS15_E_NS1_11comp_targetILNS1_3genE8ELNS1_11target_archE1030ELNS1_3gpuE2ELNS1_3repE0EEENS1_30default_config_static_selectorELNS0_4arch9wavefront6targetE1EEEvT1_
    .private_segment_fixed_size: 0
    .sgpr_count:     4
    .sgpr_spill_count: 0
    .symbol:         _ZN7rocprim17ROCPRIM_400000_NS6detail17trampoline_kernelINS0_14default_configENS1_25partition_config_selectorILNS1_17partition_subalgoE3EsNS0_10empty_typeEbEEZZNS1_14partition_implILS5_3ELb0ES3_jN6thrust23THRUST_200600_302600_NS6detail15normal_iteratorINSA_7pointerIsNSA_11hip_rocprim3tagENSA_11use_defaultESG_EEEEPS6_SJ_NS0_5tupleIJPsSJ_EEENSK_IJSJ_SJ_EEES6_PlJ7is_evenIsEEEE10hipError_tPvRmT3_T4_T5_T6_T7_T9_mT8_P12ihipStream_tbDpT10_ENKUlT_T0_E_clISt17integral_constantIbLb0EES19_IbLb1EEEEDaS15_S16_EUlS15_E_NS1_11comp_targetILNS1_3genE8ELNS1_11target_archE1030ELNS1_3gpuE2ELNS1_3repE0EEENS1_30default_config_static_selectorELNS0_4arch9wavefront6targetE1EEEvT1_.kd
    .uniform_work_group_size: 1
    .uses_dynamic_stack: false
    .vgpr_count:     0
    .vgpr_spill_count: 0
    .wavefront_size: 64
  - .agpr_count:     0
    .args:
      - .offset:         0
        .size:           104
        .value_kind:     by_value
    .group_segment_fixed_size: 0
    .kernarg_segment_align: 8
    .kernarg_segment_size: 104
    .language:       OpenCL C
    .language_version:
      - 2
      - 0
    .max_flat_workgroup_size: 128
    .name:           _ZN7rocprim17ROCPRIM_400000_NS6detail17trampoline_kernelINS0_14default_configENS1_22reduce_config_selectorIN6thrust23THRUST_200600_302600_NS5tupleIblNS6_9null_typeES8_S8_S8_S8_S8_S8_S8_EEEEZNS1_11reduce_implILb1ES3_NS6_12zip_iteratorINS7_INS6_11hip_rocprim26transform_input_iterator_tIbNSD_35transform_pair_of_input_iterators_tIbNS6_6detail15normal_iteratorINS6_10device_ptrIKsEEEESL_NS6_8equal_toIsEEEENSG_9not_fun_tINSD_8identityEEEEENSD_19counting_iterator_tIlEES8_S8_S8_S8_S8_S8_S8_S8_EEEEPS9_S9_NSD_9__find_if7functorIS9_EEEE10hipError_tPvRmT1_T2_T3_mT4_P12ihipStream_tbEUlT_E0_NS1_11comp_targetILNS1_3genE0ELNS1_11target_archE4294967295ELNS1_3gpuE0ELNS1_3repE0EEENS1_30default_config_static_selectorELNS0_4arch9wavefront6targetE1EEEvS14_
    .private_segment_fixed_size: 0
    .sgpr_count:     4
    .sgpr_spill_count: 0
    .symbol:         _ZN7rocprim17ROCPRIM_400000_NS6detail17trampoline_kernelINS0_14default_configENS1_22reduce_config_selectorIN6thrust23THRUST_200600_302600_NS5tupleIblNS6_9null_typeES8_S8_S8_S8_S8_S8_S8_EEEEZNS1_11reduce_implILb1ES3_NS6_12zip_iteratorINS7_INS6_11hip_rocprim26transform_input_iterator_tIbNSD_35transform_pair_of_input_iterators_tIbNS6_6detail15normal_iteratorINS6_10device_ptrIKsEEEESL_NS6_8equal_toIsEEEENSG_9not_fun_tINSD_8identityEEEEENSD_19counting_iterator_tIlEES8_S8_S8_S8_S8_S8_S8_S8_EEEEPS9_S9_NSD_9__find_if7functorIS9_EEEE10hipError_tPvRmT1_T2_T3_mT4_P12ihipStream_tbEUlT_E0_NS1_11comp_targetILNS1_3genE0ELNS1_11target_archE4294967295ELNS1_3gpuE0ELNS1_3repE0EEENS1_30default_config_static_selectorELNS0_4arch9wavefront6targetE1EEEvS14_.kd
    .uniform_work_group_size: 1
    .uses_dynamic_stack: false
    .vgpr_count:     0
    .vgpr_spill_count: 0
    .wavefront_size: 64
  - .agpr_count:     0
    .args:
      - .offset:         0
        .size:           104
        .value_kind:     by_value
    .group_segment_fixed_size: 0
    .kernarg_segment_align: 8
    .kernarg_segment_size: 104
    .language:       OpenCL C
    .language_version:
      - 2
      - 0
    .max_flat_workgroup_size: 256
    .name:           _ZN7rocprim17ROCPRIM_400000_NS6detail17trampoline_kernelINS0_14default_configENS1_22reduce_config_selectorIN6thrust23THRUST_200600_302600_NS5tupleIblNS6_9null_typeES8_S8_S8_S8_S8_S8_S8_EEEEZNS1_11reduce_implILb1ES3_NS6_12zip_iteratorINS7_INS6_11hip_rocprim26transform_input_iterator_tIbNSD_35transform_pair_of_input_iterators_tIbNS6_6detail15normal_iteratorINS6_10device_ptrIKsEEEESL_NS6_8equal_toIsEEEENSG_9not_fun_tINSD_8identityEEEEENSD_19counting_iterator_tIlEES8_S8_S8_S8_S8_S8_S8_S8_EEEEPS9_S9_NSD_9__find_if7functorIS9_EEEE10hipError_tPvRmT1_T2_T3_mT4_P12ihipStream_tbEUlT_E0_NS1_11comp_targetILNS1_3genE5ELNS1_11target_archE942ELNS1_3gpuE9ELNS1_3repE0EEENS1_30default_config_static_selectorELNS0_4arch9wavefront6targetE1EEEvS14_
    .private_segment_fixed_size: 0
    .sgpr_count:     4
    .sgpr_spill_count: 0
    .symbol:         _ZN7rocprim17ROCPRIM_400000_NS6detail17trampoline_kernelINS0_14default_configENS1_22reduce_config_selectorIN6thrust23THRUST_200600_302600_NS5tupleIblNS6_9null_typeES8_S8_S8_S8_S8_S8_S8_EEEEZNS1_11reduce_implILb1ES3_NS6_12zip_iteratorINS7_INS6_11hip_rocprim26transform_input_iterator_tIbNSD_35transform_pair_of_input_iterators_tIbNS6_6detail15normal_iteratorINS6_10device_ptrIKsEEEESL_NS6_8equal_toIsEEEENSG_9not_fun_tINSD_8identityEEEEENSD_19counting_iterator_tIlEES8_S8_S8_S8_S8_S8_S8_S8_EEEEPS9_S9_NSD_9__find_if7functorIS9_EEEE10hipError_tPvRmT1_T2_T3_mT4_P12ihipStream_tbEUlT_E0_NS1_11comp_targetILNS1_3genE5ELNS1_11target_archE942ELNS1_3gpuE9ELNS1_3repE0EEENS1_30default_config_static_selectorELNS0_4arch9wavefront6targetE1EEEvS14_.kd
    .uniform_work_group_size: 1
    .uses_dynamic_stack: false
    .vgpr_count:     0
    .vgpr_spill_count: 0
    .wavefront_size: 64
  - .agpr_count:     0
    .args:
      - .offset:         0
        .size:           104
        .value_kind:     by_value
    .group_segment_fixed_size: 128
    .kernarg_segment_align: 8
    .kernarg_segment_size: 104
    .language:       OpenCL C
    .language_version:
      - 2
      - 0
    .max_flat_workgroup_size: 256
    .name:           _ZN7rocprim17ROCPRIM_400000_NS6detail17trampoline_kernelINS0_14default_configENS1_22reduce_config_selectorIN6thrust23THRUST_200600_302600_NS5tupleIblNS6_9null_typeES8_S8_S8_S8_S8_S8_S8_EEEEZNS1_11reduce_implILb1ES3_NS6_12zip_iteratorINS7_INS6_11hip_rocprim26transform_input_iterator_tIbNSD_35transform_pair_of_input_iterators_tIbNS6_6detail15normal_iteratorINS6_10device_ptrIKsEEEESL_NS6_8equal_toIsEEEENSG_9not_fun_tINSD_8identityEEEEENSD_19counting_iterator_tIlEES8_S8_S8_S8_S8_S8_S8_S8_EEEEPS9_S9_NSD_9__find_if7functorIS9_EEEE10hipError_tPvRmT1_T2_T3_mT4_P12ihipStream_tbEUlT_E0_NS1_11comp_targetILNS1_3genE4ELNS1_11target_archE910ELNS1_3gpuE8ELNS1_3repE0EEENS1_30default_config_static_selectorELNS0_4arch9wavefront6targetE1EEEvS14_
    .private_segment_fixed_size: 0
    .sgpr_count:     32
    .sgpr_spill_count: 0
    .symbol:         _ZN7rocprim17ROCPRIM_400000_NS6detail17trampoline_kernelINS0_14default_configENS1_22reduce_config_selectorIN6thrust23THRUST_200600_302600_NS5tupleIblNS6_9null_typeES8_S8_S8_S8_S8_S8_S8_EEEEZNS1_11reduce_implILb1ES3_NS6_12zip_iteratorINS7_INS6_11hip_rocprim26transform_input_iterator_tIbNSD_35transform_pair_of_input_iterators_tIbNS6_6detail15normal_iteratorINS6_10device_ptrIKsEEEESL_NS6_8equal_toIsEEEENSG_9not_fun_tINSD_8identityEEEEENSD_19counting_iterator_tIlEES8_S8_S8_S8_S8_S8_S8_S8_EEEEPS9_S9_NSD_9__find_if7functorIS9_EEEE10hipError_tPvRmT1_T2_T3_mT4_P12ihipStream_tbEUlT_E0_NS1_11comp_targetILNS1_3genE4ELNS1_11target_archE910ELNS1_3gpuE8ELNS1_3repE0EEENS1_30default_config_static_selectorELNS0_4arch9wavefront6targetE1EEEvS14_.kd
    .uniform_work_group_size: 1
    .uses_dynamic_stack: false
    .vgpr_count:     12
    .vgpr_spill_count: 0
    .wavefront_size: 64
  - .agpr_count:     0
    .args:
      - .offset:         0
        .size:           104
        .value_kind:     by_value
    .group_segment_fixed_size: 0
    .kernarg_segment_align: 8
    .kernarg_segment_size: 104
    .language:       OpenCL C
    .language_version:
      - 2
      - 0
    .max_flat_workgroup_size: 128
    .name:           _ZN7rocprim17ROCPRIM_400000_NS6detail17trampoline_kernelINS0_14default_configENS1_22reduce_config_selectorIN6thrust23THRUST_200600_302600_NS5tupleIblNS6_9null_typeES8_S8_S8_S8_S8_S8_S8_EEEEZNS1_11reduce_implILb1ES3_NS6_12zip_iteratorINS7_INS6_11hip_rocprim26transform_input_iterator_tIbNSD_35transform_pair_of_input_iterators_tIbNS6_6detail15normal_iteratorINS6_10device_ptrIKsEEEESL_NS6_8equal_toIsEEEENSG_9not_fun_tINSD_8identityEEEEENSD_19counting_iterator_tIlEES8_S8_S8_S8_S8_S8_S8_S8_EEEEPS9_S9_NSD_9__find_if7functorIS9_EEEE10hipError_tPvRmT1_T2_T3_mT4_P12ihipStream_tbEUlT_E0_NS1_11comp_targetILNS1_3genE3ELNS1_11target_archE908ELNS1_3gpuE7ELNS1_3repE0EEENS1_30default_config_static_selectorELNS0_4arch9wavefront6targetE1EEEvS14_
    .private_segment_fixed_size: 0
    .sgpr_count:     4
    .sgpr_spill_count: 0
    .symbol:         _ZN7rocprim17ROCPRIM_400000_NS6detail17trampoline_kernelINS0_14default_configENS1_22reduce_config_selectorIN6thrust23THRUST_200600_302600_NS5tupleIblNS6_9null_typeES8_S8_S8_S8_S8_S8_S8_EEEEZNS1_11reduce_implILb1ES3_NS6_12zip_iteratorINS7_INS6_11hip_rocprim26transform_input_iterator_tIbNSD_35transform_pair_of_input_iterators_tIbNS6_6detail15normal_iteratorINS6_10device_ptrIKsEEEESL_NS6_8equal_toIsEEEENSG_9not_fun_tINSD_8identityEEEEENSD_19counting_iterator_tIlEES8_S8_S8_S8_S8_S8_S8_S8_EEEEPS9_S9_NSD_9__find_if7functorIS9_EEEE10hipError_tPvRmT1_T2_T3_mT4_P12ihipStream_tbEUlT_E0_NS1_11comp_targetILNS1_3genE3ELNS1_11target_archE908ELNS1_3gpuE7ELNS1_3repE0EEENS1_30default_config_static_selectorELNS0_4arch9wavefront6targetE1EEEvS14_.kd
    .uniform_work_group_size: 1
    .uses_dynamic_stack: false
    .vgpr_count:     0
    .vgpr_spill_count: 0
    .wavefront_size: 64
  - .agpr_count:     0
    .args:
      - .offset:         0
        .size:           104
        .value_kind:     by_value
    .group_segment_fixed_size: 0
    .kernarg_segment_align: 8
    .kernarg_segment_size: 104
    .language:       OpenCL C
    .language_version:
      - 2
      - 0
    .max_flat_workgroup_size: 128
    .name:           _ZN7rocprim17ROCPRIM_400000_NS6detail17trampoline_kernelINS0_14default_configENS1_22reduce_config_selectorIN6thrust23THRUST_200600_302600_NS5tupleIblNS6_9null_typeES8_S8_S8_S8_S8_S8_S8_EEEEZNS1_11reduce_implILb1ES3_NS6_12zip_iteratorINS7_INS6_11hip_rocprim26transform_input_iterator_tIbNSD_35transform_pair_of_input_iterators_tIbNS6_6detail15normal_iteratorINS6_10device_ptrIKsEEEESL_NS6_8equal_toIsEEEENSG_9not_fun_tINSD_8identityEEEEENSD_19counting_iterator_tIlEES8_S8_S8_S8_S8_S8_S8_S8_EEEEPS9_S9_NSD_9__find_if7functorIS9_EEEE10hipError_tPvRmT1_T2_T3_mT4_P12ihipStream_tbEUlT_E0_NS1_11comp_targetILNS1_3genE2ELNS1_11target_archE906ELNS1_3gpuE6ELNS1_3repE0EEENS1_30default_config_static_selectorELNS0_4arch9wavefront6targetE1EEEvS14_
    .private_segment_fixed_size: 0
    .sgpr_count:     4
    .sgpr_spill_count: 0
    .symbol:         _ZN7rocprim17ROCPRIM_400000_NS6detail17trampoline_kernelINS0_14default_configENS1_22reduce_config_selectorIN6thrust23THRUST_200600_302600_NS5tupleIblNS6_9null_typeES8_S8_S8_S8_S8_S8_S8_EEEEZNS1_11reduce_implILb1ES3_NS6_12zip_iteratorINS7_INS6_11hip_rocprim26transform_input_iterator_tIbNSD_35transform_pair_of_input_iterators_tIbNS6_6detail15normal_iteratorINS6_10device_ptrIKsEEEESL_NS6_8equal_toIsEEEENSG_9not_fun_tINSD_8identityEEEEENSD_19counting_iterator_tIlEES8_S8_S8_S8_S8_S8_S8_S8_EEEEPS9_S9_NSD_9__find_if7functorIS9_EEEE10hipError_tPvRmT1_T2_T3_mT4_P12ihipStream_tbEUlT_E0_NS1_11comp_targetILNS1_3genE2ELNS1_11target_archE906ELNS1_3gpuE6ELNS1_3repE0EEENS1_30default_config_static_selectorELNS0_4arch9wavefront6targetE1EEEvS14_.kd
    .uniform_work_group_size: 1
    .uses_dynamic_stack: false
    .vgpr_count:     0
    .vgpr_spill_count: 0
    .wavefront_size: 64
  - .agpr_count:     0
    .args:
      - .offset:         0
        .size:           104
        .value_kind:     by_value
    .group_segment_fixed_size: 0
    .kernarg_segment_align: 8
    .kernarg_segment_size: 104
    .language:       OpenCL C
    .language_version:
      - 2
      - 0
    .max_flat_workgroup_size: 256
    .name:           _ZN7rocprim17ROCPRIM_400000_NS6detail17trampoline_kernelINS0_14default_configENS1_22reduce_config_selectorIN6thrust23THRUST_200600_302600_NS5tupleIblNS6_9null_typeES8_S8_S8_S8_S8_S8_S8_EEEEZNS1_11reduce_implILb1ES3_NS6_12zip_iteratorINS7_INS6_11hip_rocprim26transform_input_iterator_tIbNSD_35transform_pair_of_input_iterators_tIbNS6_6detail15normal_iteratorINS6_10device_ptrIKsEEEESL_NS6_8equal_toIsEEEENSG_9not_fun_tINSD_8identityEEEEENSD_19counting_iterator_tIlEES8_S8_S8_S8_S8_S8_S8_S8_EEEEPS9_S9_NSD_9__find_if7functorIS9_EEEE10hipError_tPvRmT1_T2_T3_mT4_P12ihipStream_tbEUlT_E0_NS1_11comp_targetILNS1_3genE10ELNS1_11target_archE1201ELNS1_3gpuE5ELNS1_3repE0EEENS1_30default_config_static_selectorELNS0_4arch9wavefront6targetE1EEEvS14_
    .private_segment_fixed_size: 0
    .sgpr_count:     4
    .sgpr_spill_count: 0
    .symbol:         _ZN7rocprim17ROCPRIM_400000_NS6detail17trampoline_kernelINS0_14default_configENS1_22reduce_config_selectorIN6thrust23THRUST_200600_302600_NS5tupleIblNS6_9null_typeES8_S8_S8_S8_S8_S8_S8_EEEEZNS1_11reduce_implILb1ES3_NS6_12zip_iteratorINS7_INS6_11hip_rocprim26transform_input_iterator_tIbNSD_35transform_pair_of_input_iterators_tIbNS6_6detail15normal_iteratorINS6_10device_ptrIKsEEEESL_NS6_8equal_toIsEEEENSG_9not_fun_tINSD_8identityEEEEENSD_19counting_iterator_tIlEES8_S8_S8_S8_S8_S8_S8_S8_EEEEPS9_S9_NSD_9__find_if7functorIS9_EEEE10hipError_tPvRmT1_T2_T3_mT4_P12ihipStream_tbEUlT_E0_NS1_11comp_targetILNS1_3genE10ELNS1_11target_archE1201ELNS1_3gpuE5ELNS1_3repE0EEENS1_30default_config_static_selectorELNS0_4arch9wavefront6targetE1EEEvS14_.kd
    .uniform_work_group_size: 1
    .uses_dynamic_stack: false
    .vgpr_count:     0
    .vgpr_spill_count: 0
    .wavefront_size: 64
  - .agpr_count:     0
    .args:
      - .offset:         0
        .size:           104
        .value_kind:     by_value
    .group_segment_fixed_size: 0
    .kernarg_segment_align: 8
    .kernarg_segment_size: 104
    .language:       OpenCL C
    .language_version:
      - 2
      - 0
    .max_flat_workgroup_size: 256
    .name:           _ZN7rocprim17ROCPRIM_400000_NS6detail17trampoline_kernelINS0_14default_configENS1_22reduce_config_selectorIN6thrust23THRUST_200600_302600_NS5tupleIblNS6_9null_typeES8_S8_S8_S8_S8_S8_S8_EEEEZNS1_11reduce_implILb1ES3_NS6_12zip_iteratorINS7_INS6_11hip_rocprim26transform_input_iterator_tIbNSD_35transform_pair_of_input_iterators_tIbNS6_6detail15normal_iteratorINS6_10device_ptrIKsEEEESL_NS6_8equal_toIsEEEENSG_9not_fun_tINSD_8identityEEEEENSD_19counting_iterator_tIlEES8_S8_S8_S8_S8_S8_S8_S8_EEEEPS9_S9_NSD_9__find_if7functorIS9_EEEE10hipError_tPvRmT1_T2_T3_mT4_P12ihipStream_tbEUlT_E0_NS1_11comp_targetILNS1_3genE10ELNS1_11target_archE1200ELNS1_3gpuE4ELNS1_3repE0EEENS1_30default_config_static_selectorELNS0_4arch9wavefront6targetE1EEEvS14_
    .private_segment_fixed_size: 0
    .sgpr_count:     4
    .sgpr_spill_count: 0
    .symbol:         _ZN7rocprim17ROCPRIM_400000_NS6detail17trampoline_kernelINS0_14default_configENS1_22reduce_config_selectorIN6thrust23THRUST_200600_302600_NS5tupleIblNS6_9null_typeES8_S8_S8_S8_S8_S8_S8_EEEEZNS1_11reduce_implILb1ES3_NS6_12zip_iteratorINS7_INS6_11hip_rocprim26transform_input_iterator_tIbNSD_35transform_pair_of_input_iterators_tIbNS6_6detail15normal_iteratorINS6_10device_ptrIKsEEEESL_NS6_8equal_toIsEEEENSG_9not_fun_tINSD_8identityEEEEENSD_19counting_iterator_tIlEES8_S8_S8_S8_S8_S8_S8_S8_EEEEPS9_S9_NSD_9__find_if7functorIS9_EEEE10hipError_tPvRmT1_T2_T3_mT4_P12ihipStream_tbEUlT_E0_NS1_11comp_targetILNS1_3genE10ELNS1_11target_archE1200ELNS1_3gpuE4ELNS1_3repE0EEENS1_30default_config_static_selectorELNS0_4arch9wavefront6targetE1EEEvS14_.kd
    .uniform_work_group_size: 1
    .uses_dynamic_stack: false
    .vgpr_count:     0
    .vgpr_spill_count: 0
    .wavefront_size: 64
  - .agpr_count:     0
    .args:
      - .offset:         0
        .size:           104
        .value_kind:     by_value
    .group_segment_fixed_size: 0
    .kernarg_segment_align: 8
    .kernarg_segment_size: 104
    .language:       OpenCL C
    .language_version:
      - 2
      - 0
    .max_flat_workgroup_size: 256
    .name:           _ZN7rocprim17ROCPRIM_400000_NS6detail17trampoline_kernelINS0_14default_configENS1_22reduce_config_selectorIN6thrust23THRUST_200600_302600_NS5tupleIblNS6_9null_typeES8_S8_S8_S8_S8_S8_S8_EEEEZNS1_11reduce_implILb1ES3_NS6_12zip_iteratorINS7_INS6_11hip_rocprim26transform_input_iterator_tIbNSD_35transform_pair_of_input_iterators_tIbNS6_6detail15normal_iteratorINS6_10device_ptrIKsEEEESL_NS6_8equal_toIsEEEENSG_9not_fun_tINSD_8identityEEEEENSD_19counting_iterator_tIlEES8_S8_S8_S8_S8_S8_S8_S8_EEEEPS9_S9_NSD_9__find_if7functorIS9_EEEE10hipError_tPvRmT1_T2_T3_mT4_P12ihipStream_tbEUlT_E0_NS1_11comp_targetILNS1_3genE9ELNS1_11target_archE1100ELNS1_3gpuE3ELNS1_3repE0EEENS1_30default_config_static_selectorELNS0_4arch9wavefront6targetE1EEEvS14_
    .private_segment_fixed_size: 0
    .sgpr_count:     4
    .sgpr_spill_count: 0
    .symbol:         _ZN7rocprim17ROCPRIM_400000_NS6detail17trampoline_kernelINS0_14default_configENS1_22reduce_config_selectorIN6thrust23THRUST_200600_302600_NS5tupleIblNS6_9null_typeES8_S8_S8_S8_S8_S8_S8_EEEEZNS1_11reduce_implILb1ES3_NS6_12zip_iteratorINS7_INS6_11hip_rocprim26transform_input_iterator_tIbNSD_35transform_pair_of_input_iterators_tIbNS6_6detail15normal_iteratorINS6_10device_ptrIKsEEEESL_NS6_8equal_toIsEEEENSG_9not_fun_tINSD_8identityEEEEENSD_19counting_iterator_tIlEES8_S8_S8_S8_S8_S8_S8_S8_EEEEPS9_S9_NSD_9__find_if7functorIS9_EEEE10hipError_tPvRmT1_T2_T3_mT4_P12ihipStream_tbEUlT_E0_NS1_11comp_targetILNS1_3genE9ELNS1_11target_archE1100ELNS1_3gpuE3ELNS1_3repE0EEENS1_30default_config_static_selectorELNS0_4arch9wavefront6targetE1EEEvS14_.kd
    .uniform_work_group_size: 1
    .uses_dynamic_stack: false
    .vgpr_count:     0
    .vgpr_spill_count: 0
    .wavefront_size: 64
  - .agpr_count:     0
    .args:
      - .offset:         0
        .size:           104
        .value_kind:     by_value
    .group_segment_fixed_size: 0
    .kernarg_segment_align: 8
    .kernarg_segment_size: 104
    .language:       OpenCL C
    .language_version:
      - 2
      - 0
    .max_flat_workgroup_size: 256
    .name:           _ZN7rocprim17ROCPRIM_400000_NS6detail17trampoline_kernelINS0_14default_configENS1_22reduce_config_selectorIN6thrust23THRUST_200600_302600_NS5tupleIblNS6_9null_typeES8_S8_S8_S8_S8_S8_S8_EEEEZNS1_11reduce_implILb1ES3_NS6_12zip_iteratorINS7_INS6_11hip_rocprim26transform_input_iterator_tIbNSD_35transform_pair_of_input_iterators_tIbNS6_6detail15normal_iteratorINS6_10device_ptrIKsEEEESL_NS6_8equal_toIsEEEENSG_9not_fun_tINSD_8identityEEEEENSD_19counting_iterator_tIlEES8_S8_S8_S8_S8_S8_S8_S8_EEEEPS9_S9_NSD_9__find_if7functorIS9_EEEE10hipError_tPvRmT1_T2_T3_mT4_P12ihipStream_tbEUlT_E0_NS1_11comp_targetILNS1_3genE8ELNS1_11target_archE1030ELNS1_3gpuE2ELNS1_3repE0EEENS1_30default_config_static_selectorELNS0_4arch9wavefront6targetE1EEEvS14_
    .private_segment_fixed_size: 0
    .sgpr_count:     4
    .sgpr_spill_count: 0
    .symbol:         _ZN7rocprim17ROCPRIM_400000_NS6detail17trampoline_kernelINS0_14default_configENS1_22reduce_config_selectorIN6thrust23THRUST_200600_302600_NS5tupleIblNS6_9null_typeES8_S8_S8_S8_S8_S8_S8_EEEEZNS1_11reduce_implILb1ES3_NS6_12zip_iteratorINS7_INS6_11hip_rocprim26transform_input_iterator_tIbNSD_35transform_pair_of_input_iterators_tIbNS6_6detail15normal_iteratorINS6_10device_ptrIKsEEEESL_NS6_8equal_toIsEEEENSG_9not_fun_tINSD_8identityEEEEENSD_19counting_iterator_tIlEES8_S8_S8_S8_S8_S8_S8_S8_EEEEPS9_S9_NSD_9__find_if7functorIS9_EEEE10hipError_tPvRmT1_T2_T3_mT4_P12ihipStream_tbEUlT_E0_NS1_11comp_targetILNS1_3genE8ELNS1_11target_archE1030ELNS1_3gpuE2ELNS1_3repE0EEENS1_30default_config_static_selectorELNS0_4arch9wavefront6targetE1EEEvS14_.kd
    .uniform_work_group_size: 1
    .uses_dynamic_stack: false
    .vgpr_count:     0
    .vgpr_spill_count: 0
    .wavefront_size: 64
  - .agpr_count:     0
    .args:
      - .offset:         0
        .size:           88
        .value_kind:     by_value
    .group_segment_fixed_size: 0
    .kernarg_segment_align: 8
    .kernarg_segment_size: 88
    .language:       OpenCL C
    .language_version:
      - 2
      - 0
    .max_flat_workgroup_size: 128
    .name:           _ZN7rocprim17ROCPRIM_400000_NS6detail17trampoline_kernelINS0_14default_configENS1_22reduce_config_selectorIN6thrust23THRUST_200600_302600_NS5tupleIblNS6_9null_typeES8_S8_S8_S8_S8_S8_S8_EEEEZNS1_11reduce_implILb1ES3_NS6_12zip_iteratorINS7_INS6_11hip_rocprim26transform_input_iterator_tIbNSD_35transform_pair_of_input_iterators_tIbNS6_6detail15normal_iteratorINS6_10device_ptrIKsEEEESL_NS6_8equal_toIsEEEENSG_9not_fun_tINSD_8identityEEEEENSD_19counting_iterator_tIlEES8_S8_S8_S8_S8_S8_S8_S8_EEEEPS9_S9_NSD_9__find_if7functorIS9_EEEE10hipError_tPvRmT1_T2_T3_mT4_P12ihipStream_tbEUlT_E1_NS1_11comp_targetILNS1_3genE0ELNS1_11target_archE4294967295ELNS1_3gpuE0ELNS1_3repE0EEENS1_30default_config_static_selectorELNS0_4arch9wavefront6targetE1EEEvS14_
    .private_segment_fixed_size: 0
    .sgpr_count:     4
    .sgpr_spill_count: 0
    .symbol:         _ZN7rocprim17ROCPRIM_400000_NS6detail17trampoline_kernelINS0_14default_configENS1_22reduce_config_selectorIN6thrust23THRUST_200600_302600_NS5tupleIblNS6_9null_typeES8_S8_S8_S8_S8_S8_S8_EEEEZNS1_11reduce_implILb1ES3_NS6_12zip_iteratorINS7_INS6_11hip_rocprim26transform_input_iterator_tIbNSD_35transform_pair_of_input_iterators_tIbNS6_6detail15normal_iteratorINS6_10device_ptrIKsEEEESL_NS6_8equal_toIsEEEENSG_9not_fun_tINSD_8identityEEEEENSD_19counting_iterator_tIlEES8_S8_S8_S8_S8_S8_S8_S8_EEEEPS9_S9_NSD_9__find_if7functorIS9_EEEE10hipError_tPvRmT1_T2_T3_mT4_P12ihipStream_tbEUlT_E1_NS1_11comp_targetILNS1_3genE0ELNS1_11target_archE4294967295ELNS1_3gpuE0ELNS1_3repE0EEENS1_30default_config_static_selectorELNS0_4arch9wavefront6targetE1EEEvS14_.kd
    .uniform_work_group_size: 1
    .uses_dynamic_stack: false
    .vgpr_count:     0
    .vgpr_spill_count: 0
    .wavefront_size: 64
  - .agpr_count:     0
    .args:
      - .offset:         0
        .size:           88
        .value_kind:     by_value
    .group_segment_fixed_size: 0
    .kernarg_segment_align: 8
    .kernarg_segment_size: 88
    .language:       OpenCL C
    .language_version:
      - 2
      - 0
    .max_flat_workgroup_size: 256
    .name:           _ZN7rocprim17ROCPRIM_400000_NS6detail17trampoline_kernelINS0_14default_configENS1_22reduce_config_selectorIN6thrust23THRUST_200600_302600_NS5tupleIblNS6_9null_typeES8_S8_S8_S8_S8_S8_S8_EEEEZNS1_11reduce_implILb1ES3_NS6_12zip_iteratorINS7_INS6_11hip_rocprim26transform_input_iterator_tIbNSD_35transform_pair_of_input_iterators_tIbNS6_6detail15normal_iteratorINS6_10device_ptrIKsEEEESL_NS6_8equal_toIsEEEENSG_9not_fun_tINSD_8identityEEEEENSD_19counting_iterator_tIlEES8_S8_S8_S8_S8_S8_S8_S8_EEEEPS9_S9_NSD_9__find_if7functorIS9_EEEE10hipError_tPvRmT1_T2_T3_mT4_P12ihipStream_tbEUlT_E1_NS1_11comp_targetILNS1_3genE5ELNS1_11target_archE942ELNS1_3gpuE9ELNS1_3repE0EEENS1_30default_config_static_selectorELNS0_4arch9wavefront6targetE1EEEvS14_
    .private_segment_fixed_size: 0
    .sgpr_count:     4
    .sgpr_spill_count: 0
    .symbol:         _ZN7rocprim17ROCPRIM_400000_NS6detail17trampoline_kernelINS0_14default_configENS1_22reduce_config_selectorIN6thrust23THRUST_200600_302600_NS5tupleIblNS6_9null_typeES8_S8_S8_S8_S8_S8_S8_EEEEZNS1_11reduce_implILb1ES3_NS6_12zip_iteratorINS7_INS6_11hip_rocprim26transform_input_iterator_tIbNSD_35transform_pair_of_input_iterators_tIbNS6_6detail15normal_iteratorINS6_10device_ptrIKsEEEESL_NS6_8equal_toIsEEEENSG_9not_fun_tINSD_8identityEEEEENSD_19counting_iterator_tIlEES8_S8_S8_S8_S8_S8_S8_S8_EEEEPS9_S9_NSD_9__find_if7functorIS9_EEEE10hipError_tPvRmT1_T2_T3_mT4_P12ihipStream_tbEUlT_E1_NS1_11comp_targetILNS1_3genE5ELNS1_11target_archE942ELNS1_3gpuE9ELNS1_3repE0EEENS1_30default_config_static_selectorELNS0_4arch9wavefront6targetE1EEEvS14_.kd
    .uniform_work_group_size: 1
    .uses_dynamic_stack: false
    .vgpr_count:     0
    .vgpr_spill_count: 0
    .wavefront_size: 64
  - .agpr_count:     0
    .args:
      - .offset:         0
        .size:           88
        .value_kind:     by_value
    .group_segment_fixed_size: 320
    .kernarg_segment_align: 8
    .kernarg_segment_size: 88
    .language:       OpenCL C
    .language_version:
      - 2
      - 0
    .max_flat_workgroup_size: 256
    .name:           _ZN7rocprim17ROCPRIM_400000_NS6detail17trampoline_kernelINS0_14default_configENS1_22reduce_config_selectorIN6thrust23THRUST_200600_302600_NS5tupleIblNS6_9null_typeES8_S8_S8_S8_S8_S8_S8_EEEEZNS1_11reduce_implILb1ES3_NS6_12zip_iteratorINS7_INS6_11hip_rocprim26transform_input_iterator_tIbNSD_35transform_pair_of_input_iterators_tIbNS6_6detail15normal_iteratorINS6_10device_ptrIKsEEEESL_NS6_8equal_toIsEEEENSG_9not_fun_tINSD_8identityEEEEENSD_19counting_iterator_tIlEES8_S8_S8_S8_S8_S8_S8_S8_EEEEPS9_S9_NSD_9__find_if7functorIS9_EEEE10hipError_tPvRmT1_T2_T3_mT4_P12ihipStream_tbEUlT_E1_NS1_11comp_targetILNS1_3genE4ELNS1_11target_archE910ELNS1_3gpuE8ELNS1_3repE0EEENS1_30default_config_static_selectorELNS0_4arch9wavefront6targetE1EEEvS14_
    .private_segment_fixed_size: 0
    .sgpr_count:     46
    .sgpr_spill_count: 0
    .symbol:         _ZN7rocprim17ROCPRIM_400000_NS6detail17trampoline_kernelINS0_14default_configENS1_22reduce_config_selectorIN6thrust23THRUST_200600_302600_NS5tupleIblNS6_9null_typeES8_S8_S8_S8_S8_S8_S8_EEEEZNS1_11reduce_implILb1ES3_NS6_12zip_iteratorINS7_INS6_11hip_rocprim26transform_input_iterator_tIbNSD_35transform_pair_of_input_iterators_tIbNS6_6detail15normal_iteratorINS6_10device_ptrIKsEEEESL_NS6_8equal_toIsEEEENSG_9not_fun_tINSD_8identityEEEEENSD_19counting_iterator_tIlEES8_S8_S8_S8_S8_S8_S8_S8_EEEEPS9_S9_NSD_9__find_if7functorIS9_EEEE10hipError_tPvRmT1_T2_T3_mT4_P12ihipStream_tbEUlT_E1_NS1_11comp_targetILNS1_3genE4ELNS1_11target_archE910ELNS1_3gpuE8ELNS1_3repE0EEENS1_30default_config_static_selectorELNS0_4arch9wavefront6targetE1EEEvS14_.kd
    .uniform_work_group_size: 1
    .uses_dynamic_stack: false
    .vgpr_count:     27
    .vgpr_spill_count: 0
    .wavefront_size: 64
  - .agpr_count:     0
    .args:
      - .offset:         0
        .size:           88
        .value_kind:     by_value
    .group_segment_fixed_size: 0
    .kernarg_segment_align: 8
    .kernarg_segment_size: 88
    .language:       OpenCL C
    .language_version:
      - 2
      - 0
    .max_flat_workgroup_size: 128
    .name:           _ZN7rocprim17ROCPRIM_400000_NS6detail17trampoline_kernelINS0_14default_configENS1_22reduce_config_selectorIN6thrust23THRUST_200600_302600_NS5tupleIblNS6_9null_typeES8_S8_S8_S8_S8_S8_S8_EEEEZNS1_11reduce_implILb1ES3_NS6_12zip_iteratorINS7_INS6_11hip_rocprim26transform_input_iterator_tIbNSD_35transform_pair_of_input_iterators_tIbNS6_6detail15normal_iteratorINS6_10device_ptrIKsEEEESL_NS6_8equal_toIsEEEENSG_9not_fun_tINSD_8identityEEEEENSD_19counting_iterator_tIlEES8_S8_S8_S8_S8_S8_S8_S8_EEEEPS9_S9_NSD_9__find_if7functorIS9_EEEE10hipError_tPvRmT1_T2_T3_mT4_P12ihipStream_tbEUlT_E1_NS1_11comp_targetILNS1_3genE3ELNS1_11target_archE908ELNS1_3gpuE7ELNS1_3repE0EEENS1_30default_config_static_selectorELNS0_4arch9wavefront6targetE1EEEvS14_
    .private_segment_fixed_size: 0
    .sgpr_count:     4
    .sgpr_spill_count: 0
    .symbol:         _ZN7rocprim17ROCPRIM_400000_NS6detail17trampoline_kernelINS0_14default_configENS1_22reduce_config_selectorIN6thrust23THRUST_200600_302600_NS5tupleIblNS6_9null_typeES8_S8_S8_S8_S8_S8_S8_EEEEZNS1_11reduce_implILb1ES3_NS6_12zip_iteratorINS7_INS6_11hip_rocprim26transform_input_iterator_tIbNSD_35transform_pair_of_input_iterators_tIbNS6_6detail15normal_iteratorINS6_10device_ptrIKsEEEESL_NS6_8equal_toIsEEEENSG_9not_fun_tINSD_8identityEEEEENSD_19counting_iterator_tIlEES8_S8_S8_S8_S8_S8_S8_S8_EEEEPS9_S9_NSD_9__find_if7functorIS9_EEEE10hipError_tPvRmT1_T2_T3_mT4_P12ihipStream_tbEUlT_E1_NS1_11comp_targetILNS1_3genE3ELNS1_11target_archE908ELNS1_3gpuE7ELNS1_3repE0EEENS1_30default_config_static_selectorELNS0_4arch9wavefront6targetE1EEEvS14_.kd
    .uniform_work_group_size: 1
    .uses_dynamic_stack: false
    .vgpr_count:     0
    .vgpr_spill_count: 0
    .wavefront_size: 64
  - .agpr_count:     0
    .args:
      - .offset:         0
        .size:           88
        .value_kind:     by_value
    .group_segment_fixed_size: 0
    .kernarg_segment_align: 8
    .kernarg_segment_size: 88
    .language:       OpenCL C
    .language_version:
      - 2
      - 0
    .max_flat_workgroup_size: 128
    .name:           _ZN7rocprim17ROCPRIM_400000_NS6detail17trampoline_kernelINS0_14default_configENS1_22reduce_config_selectorIN6thrust23THRUST_200600_302600_NS5tupleIblNS6_9null_typeES8_S8_S8_S8_S8_S8_S8_EEEEZNS1_11reduce_implILb1ES3_NS6_12zip_iteratorINS7_INS6_11hip_rocprim26transform_input_iterator_tIbNSD_35transform_pair_of_input_iterators_tIbNS6_6detail15normal_iteratorINS6_10device_ptrIKsEEEESL_NS6_8equal_toIsEEEENSG_9not_fun_tINSD_8identityEEEEENSD_19counting_iterator_tIlEES8_S8_S8_S8_S8_S8_S8_S8_EEEEPS9_S9_NSD_9__find_if7functorIS9_EEEE10hipError_tPvRmT1_T2_T3_mT4_P12ihipStream_tbEUlT_E1_NS1_11comp_targetILNS1_3genE2ELNS1_11target_archE906ELNS1_3gpuE6ELNS1_3repE0EEENS1_30default_config_static_selectorELNS0_4arch9wavefront6targetE1EEEvS14_
    .private_segment_fixed_size: 0
    .sgpr_count:     4
    .sgpr_spill_count: 0
    .symbol:         _ZN7rocprim17ROCPRIM_400000_NS6detail17trampoline_kernelINS0_14default_configENS1_22reduce_config_selectorIN6thrust23THRUST_200600_302600_NS5tupleIblNS6_9null_typeES8_S8_S8_S8_S8_S8_S8_EEEEZNS1_11reduce_implILb1ES3_NS6_12zip_iteratorINS7_INS6_11hip_rocprim26transform_input_iterator_tIbNSD_35transform_pair_of_input_iterators_tIbNS6_6detail15normal_iteratorINS6_10device_ptrIKsEEEESL_NS6_8equal_toIsEEEENSG_9not_fun_tINSD_8identityEEEEENSD_19counting_iterator_tIlEES8_S8_S8_S8_S8_S8_S8_S8_EEEEPS9_S9_NSD_9__find_if7functorIS9_EEEE10hipError_tPvRmT1_T2_T3_mT4_P12ihipStream_tbEUlT_E1_NS1_11comp_targetILNS1_3genE2ELNS1_11target_archE906ELNS1_3gpuE6ELNS1_3repE0EEENS1_30default_config_static_selectorELNS0_4arch9wavefront6targetE1EEEvS14_.kd
    .uniform_work_group_size: 1
    .uses_dynamic_stack: false
    .vgpr_count:     0
    .vgpr_spill_count: 0
    .wavefront_size: 64
  - .agpr_count:     0
    .args:
      - .offset:         0
        .size:           88
        .value_kind:     by_value
    .group_segment_fixed_size: 0
    .kernarg_segment_align: 8
    .kernarg_segment_size: 88
    .language:       OpenCL C
    .language_version:
      - 2
      - 0
    .max_flat_workgroup_size: 256
    .name:           _ZN7rocprim17ROCPRIM_400000_NS6detail17trampoline_kernelINS0_14default_configENS1_22reduce_config_selectorIN6thrust23THRUST_200600_302600_NS5tupleIblNS6_9null_typeES8_S8_S8_S8_S8_S8_S8_EEEEZNS1_11reduce_implILb1ES3_NS6_12zip_iteratorINS7_INS6_11hip_rocprim26transform_input_iterator_tIbNSD_35transform_pair_of_input_iterators_tIbNS6_6detail15normal_iteratorINS6_10device_ptrIKsEEEESL_NS6_8equal_toIsEEEENSG_9not_fun_tINSD_8identityEEEEENSD_19counting_iterator_tIlEES8_S8_S8_S8_S8_S8_S8_S8_EEEEPS9_S9_NSD_9__find_if7functorIS9_EEEE10hipError_tPvRmT1_T2_T3_mT4_P12ihipStream_tbEUlT_E1_NS1_11comp_targetILNS1_3genE10ELNS1_11target_archE1201ELNS1_3gpuE5ELNS1_3repE0EEENS1_30default_config_static_selectorELNS0_4arch9wavefront6targetE1EEEvS14_
    .private_segment_fixed_size: 0
    .sgpr_count:     4
    .sgpr_spill_count: 0
    .symbol:         _ZN7rocprim17ROCPRIM_400000_NS6detail17trampoline_kernelINS0_14default_configENS1_22reduce_config_selectorIN6thrust23THRUST_200600_302600_NS5tupleIblNS6_9null_typeES8_S8_S8_S8_S8_S8_S8_EEEEZNS1_11reduce_implILb1ES3_NS6_12zip_iteratorINS7_INS6_11hip_rocprim26transform_input_iterator_tIbNSD_35transform_pair_of_input_iterators_tIbNS6_6detail15normal_iteratorINS6_10device_ptrIKsEEEESL_NS6_8equal_toIsEEEENSG_9not_fun_tINSD_8identityEEEEENSD_19counting_iterator_tIlEES8_S8_S8_S8_S8_S8_S8_S8_EEEEPS9_S9_NSD_9__find_if7functorIS9_EEEE10hipError_tPvRmT1_T2_T3_mT4_P12ihipStream_tbEUlT_E1_NS1_11comp_targetILNS1_3genE10ELNS1_11target_archE1201ELNS1_3gpuE5ELNS1_3repE0EEENS1_30default_config_static_selectorELNS0_4arch9wavefront6targetE1EEEvS14_.kd
    .uniform_work_group_size: 1
    .uses_dynamic_stack: false
    .vgpr_count:     0
    .vgpr_spill_count: 0
    .wavefront_size: 64
  - .agpr_count:     0
    .args:
      - .offset:         0
        .size:           88
        .value_kind:     by_value
    .group_segment_fixed_size: 0
    .kernarg_segment_align: 8
    .kernarg_segment_size: 88
    .language:       OpenCL C
    .language_version:
      - 2
      - 0
    .max_flat_workgroup_size: 256
    .name:           _ZN7rocprim17ROCPRIM_400000_NS6detail17trampoline_kernelINS0_14default_configENS1_22reduce_config_selectorIN6thrust23THRUST_200600_302600_NS5tupleIblNS6_9null_typeES8_S8_S8_S8_S8_S8_S8_EEEEZNS1_11reduce_implILb1ES3_NS6_12zip_iteratorINS7_INS6_11hip_rocprim26transform_input_iterator_tIbNSD_35transform_pair_of_input_iterators_tIbNS6_6detail15normal_iteratorINS6_10device_ptrIKsEEEESL_NS6_8equal_toIsEEEENSG_9not_fun_tINSD_8identityEEEEENSD_19counting_iterator_tIlEES8_S8_S8_S8_S8_S8_S8_S8_EEEEPS9_S9_NSD_9__find_if7functorIS9_EEEE10hipError_tPvRmT1_T2_T3_mT4_P12ihipStream_tbEUlT_E1_NS1_11comp_targetILNS1_3genE10ELNS1_11target_archE1200ELNS1_3gpuE4ELNS1_3repE0EEENS1_30default_config_static_selectorELNS0_4arch9wavefront6targetE1EEEvS14_
    .private_segment_fixed_size: 0
    .sgpr_count:     4
    .sgpr_spill_count: 0
    .symbol:         _ZN7rocprim17ROCPRIM_400000_NS6detail17trampoline_kernelINS0_14default_configENS1_22reduce_config_selectorIN6thrust23THRUST_200600_302600_NS5tupleIblNS6_9null_typeES8_S8_S8_S8_S8_S8_S8_EEEEZNS1_11reduce_implILb1ES3_NS6_12zip_iteratorINS7_INS6_11hip_rocprim26transform_input_iterator_tIbNSD_35transform_pair_of_input_iterators_tIbNS6_6detail15normal_iteratorINS6_10device_ptrIKsEEEESL_NS6_8equal_toIsEEEENSG_9not_fun_tINSD_8identityEEEEENSD_19counting_iterator_tIlEES8_S8_S8_S8_S8_S8_S8_S8_EEEEPS9_S9_NSD_9__find_if7functorIS9_EEEE10hipError_tPvRmT1_T2_T3_mT4_P12ihipStream_tbEUlT_E1_NS1_11comp_targetILNS1_3genE10ELNS1_11target_archE1200ELNS1_3gpuE4ELNS1_3repE0EEENS1_30default_config_static_selectorELNS0_4arch9wavefront6targetE1EEEvS14_.kd
    .uniform_work_group_size: 1
    .uses_dynamic_stack: false
    .vgpr_count:     0
    .vgpr_spill_count: 0
    .wavefront_size: 64
  - .agpr_count:     0
    .args:
      - .offset:         0
        .size:           88
        .value_kind:     by_value
    .group_segment_fixed_size: 0
    .kernarg_segment_align: 8
    .kernarg_segment_size: 88
    .language:       OpenCL C
    .language_version:
      - 2
      - 0
    .max_flat_workgroup_size: 256
    .name:           _ZN7rocprim17ROCPRIM_400000_NS6detail17trampoline_kernelINS0_14default_configENS1_22reduce_config_selectorIN6thrust23THRUST_200600_302600_NS5tupleIblNS6_9null_typeES8_S8_S8_S8_S8_S8_S8_EEEEZNS1_11reduce_implILb1ES3_NS6_12zip_iteratorINS7_INS6_11hip_rocprim26transform_input_iterator_tIbNSD_35transform_pair_of_input_iterators_tIbNS6_6detail15normal_iteratorINS6_10device_ptrIKsEEEESL_NS6_8equal_toIsEEEENSG_9not_fun_tINSD_8identityEEEEENSD_19counting_iterator_tIlEES8_S8_S8_S8_S8_S8_S8_S8_EEEEPS9_S9_NSD_9__find_if7functorIS9_EEEE10hipError_tPvRmT1_T2_T3_mT4_P12ihipStream_tbEUlT_E1_NS1_11comp_targetILNS1_3genE9ELNS1_11target_archE1100ELNS1_3gpuE3ELNS1_3repE0EEENS1_30default_config_static_selectorELNS0_4arch9wavefront6targetE1EEEvS14_
    .private_segment_fixed_size: 0
    .sgpr_count:     4
    .sgpr_spill_count: 0
    .symbol:         _ZN7rocprim17ROCPRIM_400000_NS6detail17trampoline_kernelINS0_14default_configENS1_22reduce_config_selectorIN6thrust23THRUST_200600_302600_NS5tupleIblNS6_9null_typeES8_S8_S8_S8_S8_S8_S8_EEEEZNS1_11reduce_implILb1ES3_NS6_12zip_iteratorINS7_INS6_11hip_rocprim26transform_input_iterator_tIbNSD_35transform_pair_of_input_iterators_tIbNS6_6detail15normal_iteratorINS6_10device_ptrIKsEEEESL_NS6_8equal_toIsEEEENSG_9not_fun_tINSD_8identityEEEEENSD_19counting_iterator_tIlEES8_S8_S8_S8_S8_S8_S8_S8_EEEEPS9_S9_NSD_9__find_if7functorIS9_EEEE10hipError_tPvRmT1_T2_T3_mT4_P12ihipStream_tbEUlT_E1_NS1_11comp_targetILNS1_3genE9ELNS1_11target_archE1100ELNS1_3gpuE3ELNS1_3repE0EEENS1_30default_config_static_selectorELNS0_4arch9wavefront6targetE1EEEvS14_.kd
    .uniform_work_group_size: 1
    .uses_dynamic_stack: false
    .vgpr_count:     0
    .vgpr_spill_count: 0
    .wavefront_size: 64
  - .agpr_count:     0
    .args:
      - .offset:         0
        .size:           88
        .value_kind:     by_value
    .group_segment_fixed_size: 0
    .kernarg_segment_align: 8
    .kernarg_segment_size: 88
    .language:       OpenCL C
    .language_version:
      - 2
      - 0
    .max_flat_workgroup_size: 256
    .name:           _ZN7rocprim17ROCPRIM_400000_NS6detail17trampoline_kernelINS0_14default_configENS1_22reduce_config_selectorIN6thrust23THRUST_200600_302600_NS5tupleIblNS6_9null_typeES8_S8_S8_S8_S8_S8_S8_EEEEZNS1_11reduce_implILb1ES3_NS6_12zip_iteratorINS7_INS6_11hip_rocprim26transform_input_iterator_tIbNSD_35transform_pair_of_input_iterators_tIbNS6_6detail15normal_iteratorINS6_10device_ptrIKsEEEESL_NS6_8equal_toIsEEEENSG_9not_fun_tINSD_8identityEEEEENSD_19counting_iterator_tIlEES8_S8_S8_S8_S8_S8_S8_S8_EEEEPS9_S9_NSD_9__find_if7functorIS9_EEEE10hipError_tPvRmT1_T2_T3_mT4_P12ihipStream_tbEUlT_E1_NS1_11comp_targetILNS1_3genE8ELNS1_11target_archE1030ELNS1_3gpuE2ELNS1_3repE0EEENS1_30default_config_static_selectorELNS0_4arch9wavefront6targetE1EEEvS14_
    .private_segment_fixed_size: 0
    .sgpr_count:     4
    .sgpr_spill_count: 0
    .symbol:         _ZN7rocprim17ROCPRIM_400000_NS6detail17trampoline_kernelINS0_14default_configENS1_22reduce_config_selectorIN6thrust23THRUST_200600_302600_NS5tupleIblNS6_9null_typeES8_S8_S8_S8_S8_S8_S8_EEEEZNS1_11reduce_implILb1ES3_NS6_12zip_iteratorINS7_INS6_11hip_rocprim26transform_input_iterator_tIbNSD_35transform_pair_of_input_iterators_tIbNS6_6detail15normal_iteratorINS6_10device_ptrIKsEEEESL_NS6_8equal_toIsEEEENSG_9not_fun_tINSD_8identityEEEEENSD_19counting_iterator_tIlEES8_S8_S8_S8_S8_S8_S8_S8_EEEEPS9_S9_NSD_9__find_if7functorIS9_EEEE10hipError_tPvRmT1_T2_T3_mT4_P12ihipStream_tbEUlT_E1_NS1_11comp_targetILNS1_3genE8ELNS1_11target_archE1030ELNS1_3gpuE2ELNS1_3repE0EEENS1_30default_config_static_selectorELNS0_4arch9wavefront6targetE1EEEvS14_.kd
    .uniform_work_group_size: 1
    .uses_dynamic_stack: false
    .vgpr_count:     0
    .vgpr_spill_count: 0
    .wavefront_size: 64
  - .agpr_count:     0
    .args:
      - .offset:         0
        .size:           128
        .value_kind:     by_value
    .group_segment_fixed_size: 0
    .kernarg_segment_align: 8
    .kernarg_segment_size: 128
    .language:       OpenCL C
    .language_version:
      - 2
      - 0
    .max_flat_workgroup_size: 128
    .name:           _ZN7rocprim17ROCPRIM_400000_NS6detail17trampoline_kernelINS0_14default_configENS1_25partition_config_selectorILNS1_17partition_subalgoE2ExNS0_10empty_typeEbEEZZNS1_14partition_implILS5_2ELb0ES3_jN6thrust23THRUST_200600_302600_NS6detail15normal_iteratorINSA_7pointerIxNSA_11hip_rocprim3tagENSA_11use_defaultESG_EEEEPS6_NSA_18transform_iteratorI7is_evenIxENSC_INSA_10device_ptrIxEEEESG_SG_EENS0_5tupleIJPxSJ_EEENSR_IJSJ_SJ_EEES6_PlJS6_EEE10hipError_tPvRmT3_T4_T5_T6_T7_T9_mT8_P12ihipStream_tbDpT10_ENKUlT_T0_E_clISt17integral_constantIbLb0EES1F_EEDaS1A_S1B_EUlS1A_E_NS1_11comp_targetILNS1_3genE0ELNS1_11target_archE4294967295ELNS1_3gpuE0ELNS1_3repE0EEENS1_30default_config_static_selectorELNS0_4arch9wavefront6targetE1EEEvT1_
    .private_segment_fixed_size: 0
    .sgpr_count:     4
    .sgpr_spill_count: 0
    .symbol:         _ZN7rocprim17ROCPRIM_400000_NS6detail17trampoline_kernelINS0_14default_configENS1_25partition_config_selectorILNS1_17partition_subalgoE2ExNS0_10empty_typeEbEEZZNS1_14partition_implILS5_2ELb0ES3_jN6thrust23THRUST_200600_302600_NS6detail15normal_iteratorINSA_7pointerIxNSA_11hip_rocprim3tagENSA_11use_defaultESG_EEEEPS6_NSA_18transform_iteratorI7is_evenIxENSC_INSA_10device_ptrIxEEEESG_SG_EENS0_5tupleIJPxSJ_EEENSR_IJSJ_SJ_EEES6_PlJS6_EEE10hipError_tPvRmT3_T4_T5_T6_T7_T9_mT8_P12ihipStream_tbDpT10_ENKUlT_T0_E_clISt17integral_constantIbLb0EES1F_EEDaS1A_S1B_EUlS1A_E_NS1_11comp_targetILNS1_3genE0ELNS1_11target_archE4294967295ELNS1_3gpuE0ELNS1_3repE0EEENS1_30default_config_static_selectorELNS0_4arch9wavefront6targetE1EEEvT1_.kd
    .uniform_work_group_size: 1
    .uses_dynamic_stack: false
    .vgpr_count:     0
    .vgpr_spill_count: 0
    .wavefront_size: 64
  - .agpr_count:     0
    .args:
      - .offset:         0
        .size:           128
        .value_kind:     by_value
    .group_segment_fixed_size: 0
    .kernarg_segment_align: 8
    .kernarg_segment_size: 128
    .language:       OpenCL C
    .language_version:
      - 2
      - 0
    .max_flat_workgroup_size: 512
    .name:           _ZN7rocprim17ROCPRIM_400000_NS6detail17trampoline_kernelINS0_14default_configENS1_25partition_config_selectorILNS1_17partition_subalgoE2ExNS0_10empty_typeEbEEZZNS1_14partition_implILS5_2ELb0ES3_jN6thrust23THRUST_200600_302600_NS6detail15normal_iteratorINSA_7pointerIxNSA_11hip_rocprim3tagENSA_11use_defaultESG_EEEEPS6_NSA_18transform_iteratorI7is_evenIxENSC_INSA_10device_ptrIxEEEESG_SG_EENS0_5tupleIJPxSJ_EEENSR_IJSJ_SJ_EEES6_PlJS6_EEE10hipError_tPvRmT3_T4_T5_T6_T7_T9_mT8_P12ihipStream_tbDpT10_ENKUlT_T0_E_clISt17integral_constantIbLb0EES1F_EEDaS1A_S1B_EUlS1A_E_NS1_11comp_targetILNS1_3genE5ELNS1_11target_archE942ELNS1_3gpuE9ELNS1_3repE0EEENS1_30default_config_static_selectorELNS0_4arch9wavefront6targetE1EEEvT1_
    .private_segment_fixed_size: 0
    .sgpr_count:     4
    .sgpr_spill_count: 0
    .symbol:         _ZN7rocprim17ROCPRIM_400000_NS6detail17trampoline_kernelINS0_14default_configENS1_25partition_config_selectorILNS1_17partition_subalgoE2ExNS0_10empty_typeEbEEZZNS1_14partition_implILS5_2ELb0ES3_jN6thrust23THRUST_200600_302600_NS6detail15normal_iteratorINSA_7pointerIxNSA_11hip_rocprim3tagENSA_11use_defaultESG_EEEEPS6_NSA_18transform_iteratorI7is_evenIxENSC_INSA_10device_ptrIxEEEESG_SG_EENS0_5tupleIJPxSJ_EEENSR_IJSJ_SJ_EEES6_PlJS6_EEE10hipError_tPvRmT3_T4_T5_T6_T7_T9_mT8_P12ihipStream_tbDpT10_ENKUlT_T0_E_clISt17integral_constantIbLb0EES1F_EEDaS1A_S1B_EUlS1A_E_NS1_11comp_targetILNS1_3genE5ELNS1_11target_archE942ELNS1_3gpuE9ELNS1_3repE0EEENS1_30default_config_static_selectorELNS0_4arch9wavefront6targetE1EEEvT1_.kd
    .uniform_work_group_size: 1
    .uses_dynamic_stack: false
    .vgpr_count:     0
    .vgpr_spill_count: 0
    .wavefront_size: 64
  - .agpr_count:     0
    .args:
      - .offset:         0
        .size:           128
        .value_kind:     by_value
    .group_segment_fixed_size: 6344
    .kernarg_segment_align: 8
    .kernarg_segment_size: 128
    .language:       OpenCL C
    .language_version:
      - 2
      - 0
    .max_flat_workgroup_size: 192
    .name:           _ZN7rocprim17ROCPRIM_400000_NS6detail17trampoline_kernelINS0_14default_configENS1_25partition_config_selectorILNS1_17partition_subalgoE2ExNS0_10empty_typeEbEEZZNS1_14partition_implILS5_2ELb0ES3_jN6thrust23THRUST_200600_302600_NS6detail15normal_iteratorINSA_7pointerIxNSA_11hip_rocprim3tagENSA_11use_defaultESG_EEEEPS6_NSA_18transform_iteratorI7is_evenIxENSC_INSA_10device_ptrIxEEEESG_SG_EENS0_5tupleIJPxSJ_EEENSR_IJSJ_SJ_EEES6_PlJS6_EEE10hipError_tPvRmT3_T4_T5_T6_T7_T9_mT8_P12ihipStream_tbDpT10_ENKUlT_T0_E_clISt17integral_constantIbLb0EES1F_EEDaS1A_S1B_EUlS1A_E_NS1_11comp_targetILNS1_3genE4ELNS1_11target_archE910ELNS1_3gpuE8ELNS1_3repE0EEENS1_30default_config_static_selectorELNS0_4arch9wavefront6targetE1EEEvT1_
    .private_segment_fixed_size: 0
    .sgpr_count:     50
    .sgpr_spill_count: 0
    .symbol:         _ZN7rocprim17ROCPRIM_400000_NS6detail17trampoline_kernelINS0_14default_configENS1_25partition_config_selectorILNS1_17partition_subalgoE2ExNS0_10empty_typeEbEEZZNS1_14partition_implILS5_2ELb0ES3_jN6thrust23THRUST_200600_302600_NS6detail15normal_iteratorINSA_7pointerIxNSA_11hip_rocprim3tagENSA_11use_defaultESG_EEEEPS6_NSA_18transform_iteratorI7is_evenIxENSC_INSA_10device_ptrIxEEEESG_SG_EENS0_5tupleIJPxSJ_EEENSR_IJSJ_SJ_EEES6_PlJS6_EEE10hipError_tPvRmT3_T4_T5_T6_T7_T9_mT8_P12ihipStream_tbDpT10_ENKUlT_T0_E_clISt17integral_constantIbLb0EES1F_EEDaS1A_S1B_EUlS1A_E_NS1_11comp_targetILNS1_3genE4ELNS1_11target_archE910ELNS1_3gpuE8ELNS1_3repE0EEENS1_30default_config_static_selectorELNS0_4arch9wavefront6targetE1EEEvT1_.kd
    .uniform_work_group_size: 1
    .uses_dynamic_stack: false
    .vgpr_count:     43
    .vgpr_spill_count: 0
    .wavefront_size: 64
  - .agpr_count:     0
    .args:
      - .offset:         0
        .size:           128
        .value_kind:     by_value
    .group_segment_fixed_size: 0
    .kernarg_segment_align: 8
    .kernarg_segment_size: 128
    .language:       OpenCL C
    .language_version:
      - 2
      - 0
    .max_flat_workgroup_size: 128
    .name:           _ZN7rocprim17ROCPRIM_400000_NS6detail17trampoline_kernelINS0_14default_configENS1_25partition_config_selectorILNS1_17partition_subalgoE2ExNS0_10empty_typeEbEEZZNS1_14partition_implILS5_2ELb0ES3_jN6thrust23THRUST_200600_302600_NS6detail15normal_iteratorINSA_7pointerIxNSA_11hip_rocprim3tagENSA_11use_defaultESG_EEEEPS6_NSA_18transform_iteratorI7is_evenIxENSC_INSA_10device_ptrIxEEEESG_SG_EENS0_5tupleIJPxSJ_EEENSR_IJSJ_SJ_EEES6_PlJS6_EEE10hipError_tPvRmT3_T4_T5_T6_T7_T9_mT8_P12ihipStream_tbDpT10_ENKUlT_T0_E_clISt17integral_constantIbLb0EES1F_EEDaS1A_S1B_EUlS1A_E_NS1_11comp_targetILNS1_3genE3ELNS1_11target_archE908ELNS1_3gpuE7ELNS1_3repE0EEENS1_30default_config_static_selectorELNS0_4arch9wavefront6targetE1EEEvT1_
    .private_segment_fixed_size: 0
    .sgpr_count:     4
    .sgpr_spill_count: 0
    .symbol:         _ZN7rocprim17ROCPRIM_400000_NS6detail17trampoline_kernelINS0_14default_configENS1_25partition_config_selectorILNS1_17partition_subalgoE2ExNS0_10empty_typeEbEEZZNS1_14partition_implILS5_2ELb0ES3_jN6thrust23THRUST_200600_302600_NS6detail15normal_iteratorINSA_7pointerIxNSA_11hip_rocprim3tagENSA_11use_defaultESG_EEEEPS6_NSA_18transform_iteratorI7is_evenIxENSC_INSA_10device_ptrIxEEEESG_SG_EENS0_5tupleIJPxSJ_EEENSR_IJSJ_SJ_EEES6_PlJS6_EEE10hipError_tPvRmT3_T4_T5_T6_T7_T9_mT8_P12ihipStream_tbDpT10_ENKUlT_T0_E_clISt17integral_constantIbLb0EES1F_EEDaS1A_S1B_EUlS1A_E_NS1_11comp_targetILNS1_3genE3ELNS1_11target_archE908ELNS1_3gpuE7ELNS1_3repE0EEENS1_30default_config_static_selectorELNS0_4arch9wavefront6targetE1EEEvT1_.kd
    .uniform_work_group_size: 1
    .uses_dynamic_stack: false
    .vgpr_count:     0
    .vgpr_spill_count: 0
    .wavefront_size: 64
  - .agpr_count:     0
    .args:
      - .offset:         0
        .size:           128
        .value_kind:     by_value
    .group_segment_fixed_size: 0
    .kernarg_segment_align: 8
    .kernarg_segment_size: 128
    .language:       OpenCL C
    .language_version:
      - 2
      - 0
    .max_flat_workgroup_size: 256
    .name:           _ZN7rocprim17ROCPRIM_400000_NS6detail17trampoline_kernelINS0_14default_configENS1_25partition_config_selectorILNS1_17partition_subalgoE2ExNS0_10empty_typeEbEEZZNS1_14partition_implILS5_2ELb0ES3_jN6thrust23THRUST_200600_302600_NS6detail15normal_iteratorINSA_7pointerIxNSA_11hip_rocprim3tagENSA_11use_defaultESG_EEEEPS6_NSA_18transform_iteratorI7is_evenIxENSC_INSA_10device_ptrIxEEEESG_SG_EENS0_5tupleIJPxSJ_EEENSR_IJSJ_SJ_EEES6_PlJS6_EEE10hipError_tPvRmT3_T4_T5_T6_T7_T9_mT8_P12ihipStream_tbDpT10_ENKUlT_T0_E_clISt17integral_constantIbLb0EES1F_EEDaS1A_S1B_EUlS1A_E_NS1_11comp_targetILNS1_3genE2ELNS1_11target_archE906ELNS1_3gpuE6ELNS1_3repE0EEENS1_30default_config_static_selectorELNS0_4arch9wavefront6targetE1EEEvT1_
    .private_segment_fixed_size: 0
    .sgpr_count:     4
    .sgpr_spill_count: 0
    .symbol:         _ZN7rocprim17ROCPRIM_400000_NS6detail17trampoline_kernelINS0_14default_configENS1_25partition_config_selectorILNS1_17partition_subalgoE2ExNS0_10empty_typeEbEEZZNS1_14partition_implILS5_2ELb0ES3_jN6thrust23THRUST_200600_302600_NS6detail15normal_iteratorINSA_7pointerIxNSA_11hip_rocprim3tagENSA_11use_defaultESG_EEEEPS6_NSA_18transform_iteratorI7is_evenIxENSC_INSA_10device_ptrIxEEEESG_SG_EENS0_5tupleIJPxSJ_EEENSR_IJSJ_SJ_EEES6_PlJS6_EEE10hipError_tPvRmT3_T4_T5_T6_T7_T9_mT8_P12ihipStream_tbDpT10_ENKUlT_T0_E_clISt17integral_constantIbLb0EES1F_EEDaS1A_S1B_EUlS1A_E_NS1_11comp_targetILNS1_3genE2ELNS1_11target_archE906ELNS1_3gpuE6ELNS1_3repE0EEENS1_30default_config_static_selectorELNS0_4arch9wavefront6targetE1EEEvT1_.kd
    .uniform_work_group_size: 1
    .uses_dynamic_stack: false
    .vgpr_count:     0
    .vgpr_spill_count: 0
    .wavefront_size: 64
  - .agpr_count:     0
    .args:
      - .offset:         0
        .size:           128
        .value_kind:     by_value
    .group_segment_fixed_size: 0
    .kernarg_segment_align: 8
    .kernarg_segment_size: 128
    .language:       OpenCL C
    .language_version:
      - 2
      - 0
    .max_flat_workgroup_size: 256
    .name:           _ZN7rocprim17ROCPRIM_400000_NS6detail17trampoline_kernelINS0_14default_configENS1_25partition_config_selectorILNS1_17partition_subalgoE2ExNS0_10empty_typeEbEEZZNS1_14partition_implILS5_2ELb0ES3_jN6thrust23THRUST_200600_302600_NS6detail15normal_iteratorINSA_7pointerIxNSA_11hip_rocprim3tagENSA_11use_defaultESG_EEEEPS6_NSA_18transform_iteratorI7is_evenIxENSC_INSA_10device_ptrIxEEEESG_SG_EENS0_5tupleIJPxSJ_EEENSR_IJSJ_SJ_EEES6_PlJS6_EEE10hipError_tPvRmT3_T4_T5_T6_T7_T9_mT8_P12ihipStream_tbDpT10_ENKUlT_T0_E_clISt17integral_constantIbLb0EES1F_EEDaS1A_S1B_EUlS1A_E_NS1_11comp_targetILNS1_3genE10ELNS1_11target_archE1200ELNS1_3gpuE4ELNS1_3repE0EEENS1_30default_config_static_selectorELNS0_4arch9wavefront6targetE1EEEvT1_
    .private_segment_fixed_size: 0
    .sgpr_count:     4
    .sgpr_spill_count: 0
    .symbol:         _ZN7rocprim17ROCPRIM_400000_NS6detail17trampoline_kernelINS0_14default_configENS1_25partition_config_selectorILNS1_17partition_subalgoE2ExNS0_10empty_typeEbEEZZNS1_14partition_implILS5_2ELb0ES3_jN6thrust23THRUST_200600_302600_NS6detail15normal_iteratorINSA_7pointerIxNSA_11hip_rocprim3tagENSA_11use_defaultESG_EEEEPS6_NSA_18transform_iteratorI7is_evenIxENSC_INSA_10device_ptrIxEEEESG_SG_EENS0_5tupleIJPxSJ_EEENSR_IJSJ_SJ_EEES6_PlJS6_EEE10hipError_tPvRmT3_T4_T5_T6_T7_T9_mT8_P12ihipStream_tbDpT10_ENKUlT_T0_E_clISt17integral_constantIbLb0EES1F_EEDaS1A_S1B_EUlS1A_E_NS1_11comp_targetILNS1_3genE10ELNS1_11target_archE1200ELNS1_3gpuE4ELNS1_3repE0EEENS1_30default_config_static_selectorELNS0_4arch9wavefront6targetE1EEEvT1_.kd
    .uniform_work_group_size: 1
    .uses_dynamic_stack: false
    .vgpr_count:     0
    .vgpr_spill_count: 0
    .wavefront_size: 64
  - .agpr_count:     0
    .args:
      - .offset:         0
        .size:           128
        .value_kind:     by_value
    .group_segment_fixed_size: 0
    .kernarg_segment_align: 8
    .kernarg_segment_size: 128
    .language:       OpenCL C
    .language_version:
      - 2
      - 0
    .max_flat_workgroup_size: 512
    .name:           _ZN7rocprim17ROCPRIM_400000_NS6detail17trampoline_kernelINS0_14default_configENS1_25partition_config_selectorILNS1_17partition_subalgoE2ExNS0_10empty_typeEbEEZZNS1_14partition_implILS5_2ELb0ES3_jN6thrust23THRUST_200600_302600_NS6detail15normal_iteratorINSA_7pointerIxNSA_11hip_rocprim3tagENSA_11use_defaultESG_EEEEPS6_NSA_18transform_iteratorI7is_evenIxENSC_INSA_10device_ptrIxEEEESG_SG_EENS0_5tupleIJPxSJ_EEENSR_IJSJ_SJ_EEES6_PlJS6_EEE10hipError_tPvRmT3_T4_T5_T6_T7_T9_mT8_P12ihipStream_tbDpT10_ENKUlT_T0_E_clISt17integral_constantIbLb0EES1F_EEDaS1A_S1B_EUlS1A_E_NS1_11comp_targetILNS1_3genE9ELNS1_11target_archE1100ELNS1_3gpuE3ELNS1_3repE0EEENS1_30default_config_static_selectorELNS0_4arch9wavefront6targetE1EEEvT1_
    .private_segment_fixed_size: 0
    .sgpr_count:     4
    .sgpr_spill_count: 0
    .symbol:         _ZN7rocprim17ROCPRIM_400000_NS6detail17trampoline_kernelINS0_14default_configENS1_25partition_config_selectorILNS1_17partition_subalgoE2ExNS0_10empty_typeEbEEZZNS1_14partition_implILS5_2ELb0ES3_jN6thrust23THRUST_200600_302600_NS6detail15normal_iteratorINSA_7pointerIxNSA_11hip_rocprim3tagENSA_11use_defaultESG_EEEEPS6_NSA_18transform_iteratorI7is_evenIxENSC_INSA_10device_ptrIxEEEESG_SG_EENS0_5tupleIJPxSJ_EEENSR_IJSJ_SJ_EEES6_PlJS6_EEE10hipError_tPvRmT3_T4_T5_T6_T7_T9_mT8_P12ihipStream_tbDpT10_ENKUlT_T0_E_clISt17integral_constantIbLb0EES1F_EEDaS1A_S1B_EUlS1A_E_NS1_11comp_targetILNS1_3genE9ELNS1_11target_archE1100ELNS1_3gpuE3ELNS1_3repE0EEENS1_30default_config_static_selectorELNS0_4arch9wavefront6targetE1EEEvT1_.kd
    .uniform_work_group_size: 1
    .uses_dynamic_stack: false
    .vgpr_count:     0
    .vgpr_spill_count: 0
    .wavefront_size: 64
  - .agpr_count:     0
    .args:
      - .offset:         0
        .size:           128
        .value_kind:     by_value
    .group_segment_fixed_size: 0
    .kernarg_segment_align: 8
    .kernarg_segment_size: 128
    .language:       OpenCL C
    .language_version:
      - 2
      - 0
    .max_flat_workgroup_size: 512
    .name:           _ZN7rocprim17ROCPRIM_400000_NS6detail17trampoline_kernelINS0_14default_configENS1_25partition_config_selectorILNS1_17partition_subalgoE2ExNS0_10empty_typeEbEEZZNS1_14partition_implILS5_2ELb0ES3_jN6thrust23THRUST_200600_302600_NS6detail15normal_iteratorINSA_7pointerIxNSA_11hip_rocprim3tagENSA_11use_defaultESG_EEEEPS6_NSA_18transform_iteratorI7is_evenIxENSC_INSA_10device_ptrIxEEEESG_SG_EENS0_5tupleIJPxSJ_EEENSR_IJSJ_SJ_EEES6_PlJS6_EEE10hipError_tPvRmT3_T4_T5_T6_T7_T9_mT8_P12ihipStream_tbDpT10_ENKUlT_T0_E_clISt17integral_constantIbLb0EES1F_EEDaS1A_S1B_EUlS1A_E_NS1_11comp_targetILNS1_3genE8ELNS1_11target_archE1030ELNS1_3gpuE2ELNS1_3repE0EEENS1_30default_config_static_selectorELNS0_4arch9wavefront6targetE1EEEvT1_
    .private_segment_fixed_size: 0
    .sgpr_count:     4
    .sgpr_spill_count: 0
    .symbol:         _ZN7rocprim17ROCPRIM_400000_NS6detail17trampoline_kernelINS0_14default_configENS1_25partition_config_selectorILNS1_17partition_subalgoE2ExNS0_10empty_typeEbEEZZNS1_14partition_implILS5_2ELb0ES3_jN6thrust23THRUST_200600_302600_NS6detail15normal_iteratorINSA_7pointerIxNSA_11hip_rocprim3tagENSA_11use_defaultESG_EEEEPS6_NSA_18transform_iteratorI7is_evenIxENSC_INSA_10device_ptrIxEEEESG_SG_EENS0_5tupleIJPxSJ_EEENSR_IJSJ_SJ_EEES6_PlJS6_EEE10hipError_tPvRmT3_T4_T5_T6_T7_T9_mT8_P12ihipStream_tbDpT10_ENKUlT_T0_E_clISt17integral_constantIbLb0EES1F_EEDaS1A_S1B_EUlS1A_E_NS1_11comp_targetILNS1_3genE8ELNS1_11target_archE1030ELNS1_3gpuE2ELNS1_3repE0EEENS1_30default_config_static_selectorELNS0_4arch9wavefront6targetE1EEEvT1_.kd
    .uniform_work_group_size: 1
    .uses_dynamic_stack: false
    .vgpr_count:     0
    .vgpr_spill_count: 0
    .wavefront_size: 64
  - .agpr_count:     0
    .args:
      - .offset:         0
        .size:           144
        .value_kind:     by_value
    .group_segment_fixed_size: 0
    .kernarg_segment_align: 8
    .kernarg_segment_size: 144
    .language:       OpenCL C
    .language_version:
      - 2
      - 0
    .max_flat_workgroup_size: 128
    .name:           _ZN7rocprim17ROCPRIM_400000_NS6detail17trampoline_kernelINS0_14default_configENS1_25partition_config_selectorILNS1_17partition_subalgoE2ExNS0_10empty_typeEbEEZZNS1_14partition_implILS5_2ELb0ES3_jN6thrust23THRUST_200600_302600_NS6detail15normal_iteratorINSA_7pointerIxNSA_11hip_rocprim3tagENSA_11use_defaultESG_EEEEPS6_NSA_18transform_iteratorI7is_evenIxENSC_INSA_10device_ptrIxEEEESG_SG_EENS0_5tupleIJPxSJ_EEENSR_IJSJ_SJ_EEES6_PlJS6_EEE10hipError_tPvRmT3_T4_T5_T6_T7_T9_mT8_P12ihipStream_tbDpT10_ENKUlT_T0_E_clISt17integral_constantIbLb1EES1F_EEDaS1A_S1B_EUlS1A_E_NS1_11comp_targetILNS1_3genE0ELNS1_11target_archE4294967295ELNS1_3gpuE0ELNS1_3repE0EEENS1_30default_config_static_selectorELNS0_4arch9wavefront6targetE1EEEvT1_
    .private_segment_fixed_size: 0
    .sgpr_count:     4
    .sgpr_spill_count: 0
    .symbol:         _ZN7rocprim17ROCPRIM_400000_NS6detail17trampoline_kernelINS0_14default_configENS1_25partition_config_selectorILNS1_17partition_subalgoE2ExNS0_10empty_typeEbEEZZNS1_14partition_implILS5_2ELb0ES3_jN6thrust23THRUST_200600_302600_NS6detail15normal_iteratorINSA_7pointerIxNSA_11hip_rocprim3tagENSA_11use_defaultESG_EEEEPS6_NSA_18transform_iteratorI7is_evenIxENSC_INSA_10device_ptrIxEEEESG_SG_EENS0_5tupleIJPxSJ_EEENSR_IJSJ_SJ_EEES6_PlJS6_EEE10hipError_tPvRmT3_T4_T5_T6_T7_T9_mT8_P12ihipStream_tbDpT10_ENKUlT_T0_E_clISt17integral_constantIbLb1EES1F_EEDaS1A_S1B_EUlS1A_E_NS1_11comp_targetILNS1_3genE0ELNS1_11target_archE4294967295ELNS1_3gpuE0ELNS1_3repE0EEENS1_30default_config_static_selectorELNS0_4arch9wavefront6targetE1EEEvT1_.kd
    .uniform_work_group_size: 1
    .uses_dynamic_stack: false
    .vgpr_count:     0
    .vgpr_spill_count: 0
    .wavefront_size: 64
  - .agpr_count:     0
    .args:
      - .offset:         0
        .size:           144
        .value_kind:     by_value
    .group_segment_fixed_size: 0
    .kernarg_segment_align: 8
    .kernarg_segment_size: 144
    .language:       OpenCL C
    .language_version:
      - 2
      - 0
    .max_flat_workgroup_size: 512
    .name:           _ZN7rocprim17ROCPRIM_400000_NS6detail17trampoline_kernelINS0_14default_configENS1_25partition_config_selectorILNS1_17partition_subalgoE2ExNS0_10empty_typeEbEEZZNS1_14partition_implILS5_2ELb0ES3_jN6thrust23THRUST_200600_302600_NS6detail15normal_iteratorINSA_7pointerIxNSA_11hip_rocprim3tagENSA_11use_defaultESG_EEEEPS6_NSA_18transform_iteratorI7is_evenIxENSC_INSA_10device_ptrIxEEEESG_SG_EENS0_5tupleIJPxSJ_EEENSR_IJSJ_SJ_EEES6_PlJS6_EEE10hipError_tPvRmT3_T4_T5_T6_T7_T9_mT8_P12ihipStream_tbDpT10_ENKUlT_T0_E_clISt17integral_constantIbLb1EES1F_EEDaS1A_S1B_EUlS1A_E_NS1_11comp_targetILNS1_3genE5ELNS1_11target_archE942ELNS1_3gpuE9ELNS1_3repE0EEENS1_30default_config_static_selectorELNS0_4arch9wavefront6targetE1EEEvT1_
    .private_segment_fixed_size: 0
    .sgpr_count:     4
    .sgpr_spill_count: 0
    .symbol:         _ZN7rocprim17ROCPRIM_400000_NS6detail17trampoline_kernelINS0_14default_configENS1_25partition_config_selectorILNS1_17partition_subalgoE2ExNS0_10empty_typeEbEEZZNS1_14partition_implILS5_2ELb0ES3_jN6thrust23THRUST_200600_302600_NS6detail15normal_iteratorINSA_7pointerIxNSA_11hip_rocprim3tagENSA_11use_defaultESG_EEEEPS6_NSA_18transform_iteratorI7is_evenIxENSC_INSA_10device_ptrIxEEEESG_SG_EENS0_5tupleIJPxSJ_EEENSR_IJSJ_SJ_EEES6_PlJS6_EEE10hipError_tPvRmT3_T4_T5_T6_T7_T9_mT8_P12ihipStream_tbDpT10_ENKUlT_T0_E_clISt17integral_constantIbLb1EES1F_EEDaS1A_S1B_EUlS1A_E_NS1_11comp_targetILNS1_3genE5ELNS1_11target_archE942ELNS1_3gpuE9ELNS1_3repE0EEENS1_30default_config_static_selectorELNS0_4arch9wavefront6targetE1EEEvT1_.kd
    .uniform_work_group_size: 1
    .uses_dynamic_stack: false
    .vgpr_count:     0
    .vgpr_spill_count: 0
    .wavefront_size: 64
  - .agpr_count:     0
    .args:
      - .offset:         0
        .size:           144
        .value_kind:     by_value
    .group_segment_fixed_size: 6344
    .kernarg_segment_align: 8
    .kernarg_segment_size: 144
    .language:       OpenCL C
    .language_version:
      - 2
      - 0
    .max_flat_workgroup_size: 192
    .name:           _ZN7rocprim17ROCPRIM_400000_NS6detail17trampoline_kernelINS0_14default_configENS1_25partition_config_selectorILNS1_17partition_subalgoE2ExNS0_10empty_typeEbEEZZNS1_14partition_implILS5_2ELb0ES3_jN6thrust23THRUST_200600_302600_NS6detail15normal_iteratorINSA_7pointerIxNSA_11hip_rocprim3tagENSA_11use_defaultESG_EEEEPS6_NSA_18transform_iteratorI7is_evenIxENSC_INSA_10device_ptrIxEEEESG_SG_EENS0_5tupleIJPxSJ_EEENSR_IJSJ_SJ_EEES6_PlJS6_EEE10hipError_tPvRmT3_T4_T5_T6_T7_T9_mT8_P12ihipStream_tbDpT10_ENKUlT_T0_E_clISt17integral_constantIbLb1EES1F_EEDaS1A_S1B_EUlS1A_E_NS1_11comp_targetILNS1_3genE4ELNS1_11target_archE910ELNS1_3gpuE8ELNS1_3repE0EEENS1_30default_config_static_selectorELNS0_4arch9wavefront6targetE1EEEvT1_
    .private_segment_fixed_size: 0
    .sgpr_count:     50
    .sgpr_spill_count: 0
    .symbol:         _ZN7rocprim17ROCPRIM_400000_NS6detail17trampoline_kernelINS0_14default_configENS1_25partition_config_selectorILNS1_17partition_subalgoE2ExNS0_10empty_typeEbEEZZNS1_14partition_implILS5_2ELb0ES3_jN6thrust23THRUST_200600_302600_NS6detail15normal_iteratorINSA_7pointerIxNSA_11hip_rocprim3tagENSA_11use_defaultESG_EEEEPS6_NSA_18transform_iteratorI7is_evenIxENSC_INSA_10device_ptrIxEEEESG_SG_EENS0_5tupleIJPxSJ_EEENSR_IJSJ_SJ_EEES6_PlJS6_EEE10hipError_tPvRmT3_T4_T5_T6_T7_T9_mT8_P12ihipStream_tbDpT10_ENKUlT_T0_E_clISt17integral_constantIbLb1EES1F_EEDaS1A_S1B_EUlS1A_E_NS1_11comp_targetILNS1_3genE4ELNS1_11target_archE910ELNS1_3gpuE8ELNS1_3repE0EEENS1_30default_config_static_selectorELNS0_4arch9wavefront6targetE1EEEvT1_.kd
    .uniform_work_group_size: 1
    .uses_dynamic_stack: false
    .vgpr_count:     45
    .vgpr_spill_count: 0
    .wavefront_size: 64
  - .agpr_count:     0
    .args:
      - .offset:         0
        .size:           144
        .value_kind:     by_value
    .group_segment_fixed_size: 0
    .kernarg_segment_align: 8
    .kernarg_segment_size: 144
    .language:       OpenCL C
    .language_version:
      - 2
      - 0
    .max_flat_workgroup_size: 128
    .name:           _ZN7rocprim17ROCPRIM_400000_NS6detail17trampoline_kernelINS0_14default_configENS1_25partition_config_selectorILNS1_17partition_subalgoE2ExNS0_10empty_typeEbEEZZNS1_14partition_implILS5_2ELb0ES3_jN6thrust23THRUST_200600_302600_NS6detail15normal_iteratorINSA_7pointerIxNSA_11hip_rocprim3tagENSA_11use_defaultESG_EEEEPS6_NSA_18transform_iteratorI7is_evenIxENSC_INSA_10device_ptrIxEEEESG_SG_EENS0_5tupleIJPxSJ_EEENSR_IJSJ_SJ_EEES6_PlJS6_EEE10hipError_tPvRmT3_T4_T5_T6_T7_T9_mT8_P12ihipStream_tbDpT10_ENKUlT_T0_E_clISt17integral_constantIbLb1EES1F_EEDaS1A_S1B_EUlS1A_E_NS1_11comp_targetILNS1_3genE3ELNS1_11target_archE908ELNS1_3gpuE7ELNS1_3repE0EEENS1_30default_config_static_selectorELNS0_4arch9wavefront6targetE1EEEvT1_
    .private_segment_fixed_size: 0
    .sgpr_count:     4
    .sgpr_spill_count: 0
    .symbol:         _ZN7rocprim17ROCPRIM_400000_NS6detail17trampoline_kernelINS0_14default_configENS1_25partition_config_selectorILNS1_17partition_subalgoE2ExNS0_10empty_typeEbEEZZNS1_14partition_implILS5_2ELb0ES3_jN6thrust23THRUST_200600_302600_NS6detail15normal_iteratorINSA_7pointerIxNSA_11hip_rocprim3tagENSA_11use_defaultESG_EEEEPS6_NSA_18transform_iteratorI7is_evenIxENSC_INSA_10device_ptrIxEEEESG_SG_EENS0_5tupleIJPxSJ_EEENSR_IJSJ_SJ_EEES6_PlJS6_EEE10hipError_tPvRmT3_T4_T5_T6_T7_T9_mT8_P12ihipStream_tbDpT10_ENKUlT_T0_E_clISt17integral_constantIbLb1EES1F_EEDaS1A_S1B_EUlS1A_E_NS1_11comp_targetILNS1_3genE3ELNS1_11target_archE908ELNS1_3gpuE7ELNS1_3repE0EEENS1_30default_config_static_selectorELNS0_4arch9wavefront6targetE1EEEvT1_.kd
    .uniform_work_group_size: 1
    .uses_dynamic_stack: false
    .vgpr_count:     0
    .vgpr_spill_count: 0
    .wavefront_size: 64
  - .agpr_count:     0
    .args:
      - .offset:         0
        .size:           144
        .value_kind:     by_value
    .group_segment_fixed_size: 0
    .kernarg_segment_align: 8
    .kernarg_segment_size: 144
    .language:       OpenCL C
    .language_version:
      - 2
      - 0
    .max_flat_workgroup_size: 256
    .name:           _ZN7rocprim17ROCPRIM_400000_NS6detail17trampoline_kernelINS0_14default_configENS1_25partition_config_selectorILNS1_17partition_subalgoE2ExNS0_10empty_typeEbEEZZNS1_14partition_implILS5_2ELb0ES3_jN6thrust23THRUST_200600_302600_NS6detail15normal_iteratorINSA_7pointerIxNSA_11hip_rocprim3tagENSA_11use_defaultESG_EEEEPS6_NSA_18transform_iteratorI7is_evenIxENSC_INSA_10device_ptrIxEEEESG_SG_EENS0_5tupleIJPxSJ_EEENSR_IJSJ_SJ_EEES6_PlJS6_EEE10hipError_tPvRmT3_T4_T5_T6_T7_T9_mT8_P12ihipStream_tbDpT10_ENKUlT_T0_E_clISt17integral_constantIbLb1EES1F_EEDaS1A_S1B_EUlS1A_E_NS1_11comp_targetILNS1_3genE2ELNS1_11target_archE906ELNS1_3gpuE6ELNS1_3repE0EEENS1_30default_config_static_selectorELNS0_4arch9wavefront6targetE1EEEvT1_
    .private_segment_fixed_size: 0
    .sgpr_count:     4
    .sgpr_spill_count: 0
    .symbol:         _ZN7rocprim17ROCPRIM_400000_NS6detail17trampoline_kernelINS0_14default_configENS1_25partition_config_selectorILNS1_17partition_subalgoE2ExNS0_10empty_typeEbEEZZNS1_14partition_implILS5_2ELb0ES3_jN6thrust23THRUST_200600_302600_NS6detail15normal_iteratorINSA_7pointerIxNSA_11hip_rocprim3tagENSA_11use_defaultESG_EEEEPS6_NSA_18transform_iteratorI7is_evenIxENSC_INSA_10device_ptrIxEEEESG_SG_EENS0_5tupleIJPxSJ_EEENSR_IJSJ_SJ_EEES6_PlJS6_EEE10hipError_tPvRmT3_T4_T5_T6_T7_T9_mT8_P12ihipStream_tbDpT10_ENKUlT_T0_E_clISt17integral_constantIbLb1EES1F_EEDaS1A_S1B_EUlS1A_E_NS1_11comp_targetILNS1_3genE2ELNS1_11target_archE906ELNS1_3gpuE6ELNS1_3repE0EEENS1_30default_config_static_selectorELNS0_4arch9wavefront6targetE1EEEvT1_.kd
    .uniform_work_group_size: 1
    .uses_dynamic_stack: false
    .vgpr_count:     0
    .vgpr_spill_count: 0
    .wavefront_size: 64
  - .agpr_count:     0
    .args:
      - .offset:         0
        .size:           144
        .value_kind:     by_value
    .group_segment_fixed_size: 0
    .kernarg_segment_align: 8
    .kernarg_segment_size: 144
    .language:       OpenCL C
    .language_version:
      - 2
      - 0
    .max_flat_workgroup_size: 256
    .name:           _ZN7rocprim17ROCPRIM_400000_NS6detail17trampoline_kernelINS0_14default_configENS1_25partition_config_selectorILNS1_17partition_subalgoE2ExNS0_10empty_typeEbEEZZNS1_14partition_implILS5_2ELb0ES3_jN6thrust23THRUST_200600_302600_NS6detail15normal_iteratorINSA_7pointerIxNSA_11hip_rocprim3tagENSA_11use_defaultESG_EEEEPS6_NSA_18transform_iteratorI7is_evenIxENSC_INSA_10device_ptrIxEEEESG_SG_EENS0_5tupleIJPxSJ_EEENSR_IJSJ_SJ_EEES6_PlJS6_EEE10hipError_tPvRmT3_T4_T5_T6_T7_T9_mT8_P12ihipStream_tbDpT10_ENKUlT_T0_E_clISt17integral_constantIbLb1EES1F_EEDaS1A_S1B_EUlS1A_E_NS1_11comp_targetILNS1_3genE10ELNS1_11target_archE1200ELNS1_3gpuE4ELNS1_3repE0EEENS1_30default_config_static_selectorELNS0_4arch9wavefront6targetE1EEEvT1_
    .private_segment_fixed_size: 0
    .sgpr_count:     4
    .sgpr_spill_count: 0
    .symbol:         _ZN7rocprim17ROCPRIM_400000_NS6detail17trampoline_kernelINS0_14default_configENS1_25partition_config_selectorILNS1_17partition_subalgoE2ExNS0_10empty_typeEbEEZZNS1_14partition_implILS5_2ELb0ES3_jN6thrust23THRUST_200600_302600_NS6detail15normal_iteratorINSA_7pointerIxNSA_11hip_rocprim3tagENSA_11use_defaultESG_EEEEPS6_NSA_18transform_iteratorI7is_evenIxENSC_INSA_10device_ptrIxEEEESG_SG_EENS0_5tupleIJPxSJ_EEENSR_IJSJ_SJ_EEES6_PlJS6_EEE10hipError_tPvRmT3_T4_T5_T6_T7_T9_mT8_P12ihipStream_tbDpT10_ENKUlT_T0_E_clISt17integral_constantIbLb1EES1F_EEDaS1A_S1B_EUlS1A_E_NS1_11comp_targetILNS1_3genE10ELNS1_11target_archE1200ELNS1_3gpuE4ELNS1_3repE0EEENS1_30default_config_static_selectorELNS0_4arch9wavefront6targetE1EEEvT1_.kd
    .uniform_work_group_size: 1
    .uses_dynamic_stack: false
    .vgpr_count:     0
    .vgpr_spill_count: 0
    .wavefront_size: 64
  - .agpr_count:     0
    .args:
      - .offset:         0
        .size:           144
        .value_kind:     by_value
    .group_segment_fixed_size: 0
    .kernarg_segment_align: 8
    .kernarg_segment_size: 144
    .language:       OpenCL C
    .language_version:
      - 2
      - 0
    .max_flat_workgroup_size: 512
    .name:           _ZN7rocprim17ROCPRIM_400000_NS6detail17trampoline_kernelINS0_14default_configENS1_25partition_config_selectorILNS1_17partition_subalgoE2ExNS0_10empty_typeEbEEZZNS1_14partition_implILS5_2ELb0ES3_jN6thrust23THRUST_200600_302600_NS6detail15normal_iteratorINSA_7pointerIxNSA_11hip_rocprim3tagENSA_11use_defaultESG_EEEEPS6_NSA_18transform_iteratorI7is_evenIxENSC_INSA_10device_ptrIxEEEESG_SG_EENS0_5tupleIJPxSJ_EEENSR_IJSJ_SJ_EEES6_PlJS6_EEE10hipError_tPvRmT3_T4_T5_T6_T7_T9_mT8_P12ihipStream_tbDpT10_ENKUlT_T0_E_clISt17integral_constantIbLb1EES1F_EEDaS1A_S1B_EUlS1A_E_NS1_11comp_targetILNS1_3genE9ELNS1_11target_archE1100ELNS1_3gpuE3ELNS1_3repE0EEENS1_30default_config_static_selectorELNS0_4arch9wavefront6targetE1EEEvT1_
    .private_segment_fixed_size: 0
    .sgpr_count:     4
    .sgpr_spill_count: 0
    .symbol:         _ZN7rocprim17ROCPRIM_400000_NS6detail17trampoline_kernelINS0_14default_configENS1_25partition_config_selectorILNS1_17partition_subalgoE2ExNS0_10empty_typeEbEEZZNS1_14partition_implILS5_2ELb0ES3_jN6thrust23THRUST_200600_302600_NS6detail15normal_iteratorINSA_7pointerIxNSA_11hip_rocprim3tagENSA_11use_defaultESG_EEEEPS6_NSA_18transform_iteratorI7is_evenIxENSC_INSA_10device_ptrIxEEEESG_SG_EENS0_5tupleIJPxSJ_EEENSR_IJSJ_SJ_EEES6_PlJS6_EEE10hipError_tPvRmT3_T4_T5_T6_T7_T9_mT8_P12ihipStream_tbDpT10_ENKUlT_T0_E_clISt17integral_constantIbLb1EES1F_EEDaS1A_S1B_EUlS1A_E_NS1_11comp_targetILNS1_3genE9ELNS1_11target_archE1100ELNS1_3gpuE3ELNS1_3repE0EEENS1_30default_config_static_selectorELNS0_4arch9wavefront6targetE1EEEvT1_.kd
    .uniform_work_group_size: 1
    .uses_dynamic_stack: false
    .vgpr_count:     0
    .vgpr_spill_count: 0
    .wavefront_size: 64
  - .agpr_count:     0
    .args:
      - .offset:         0
        .size:           144
        .value_kind:     by_value
    .group_segment_fixed_size: 0
    .kernarg_segment_align: 8
    .kernarg_segment_size: 144
    .language:       OpenCL C
    .language_version:
      - 2
      - 0
    .max_flat_workgroup_size: 512
    .name:           _ZN7rocprim17ROCPRIM_400000_NS6detail17trampoline_kernelINS0_14default_configENS1_25partition_config_selectorILNS1_17partition_subalgoE2ExNS0_10empty_typeEbEEZZNS1_14partition_implILS5_2ELb0ES3_jN6thrust23THRUST_200600_302600_NS6detail15normal_iteratorINSA_7pointerIxNSA_11hip_rocprim3tagENSA_11use_defaultESG_EEEEPS6_NSA_18transform_iteratorI7is_evenIxENSC_INSA_10device_ptrIxEEEESG_SG_EENS0_5tupleIJPxSJ_EEENSR_IJSJ_SJ_EEES6_PlJS6_EEE10hipError_tPvRmT3_T4_T5_T6_T7_T9_mT8_P12ihipStream_tbDpT10_ENKUlT_T0_E_clISt17integral_constantIbLb1EES1F_EEDaS1A_S1B_EUlS1A_E_NS1_11comp_targetILNS1_3genE8ELNS1_11target_archE1030ELNS1_3gpuE2ELNS1_3repE0EEENS1_30default_config_static_selectorELNS0_4arch9wavefront6targetE1EEEvT1_
    .private_segment_fixed_size: 0
    .sgpr_count:     4
    .sgpr_spill_count: 0
    .symbol:         _ZN7rocprim17ROCPRIM_400000_NS6detail17trampoline_kernelINS0_14default_configENS1_25partition_config_selectorILNS1_17partition_subalgoE2ExNS0_10empty_typeEbEEZZNS1_14partition_implILS5_2ELb0ES3_jN6thrust23THRUST_200600_302600_NS6detail15normal_iteratorINSA_7pointerIxNSA_11hip_rocprim3tagENSA_11use_defaultESG_EEEEPS6_NSA_18transform_iteratorI7is_evenIxENSC_INSA_10device_ptrIxEEEESG_SG_EENS0_5tupleIJPxSJ_EEENSR_IJSJ_SJ_EEES6_PlJS6_EEE10hipError_tPvRmT3_T4_T5_T6_T7_T9_mT8_P12ihipStream_tbDpT10_ENKUlT_T0_E_clISt17integral_constantIbLb1EES1F_EEDaS1A_S1B_EUlS1A_E_NS1_11comp_targetILNS1_3genE8ELNS1_11target_archE1030ELNS1_3gpuE2ELNS1_3repE0EEENS1_30default_config_static_selectorELNS0_4arch9wavefront6targetE1EEEvT1_.kd
    .uniform_work_group_size: 1
    .uses_dynamic_stack: false
    .vgpr_count:     0
    .vgpr_spill_count: 0
    .wavefront_size: 64
  - .agpr_count:     0
    .args:
      - .offset:         0
        .size:           128
        .value_kind:     by_value
    .group_segment_fixed_size: 0
    .kernarg_segment_align: 8
    .kernarg_segment_size: 128
    .language:       OpenCL C
    .language_version:
      - 2
      - 0
    .max_flat_workgroup_size: 128
    .name:           _ZN7rocprim17ROCPRIM_400000_NS6detail17trampoline_kernelINS0_14default_configENS1_25partition_config_selectorILNS1_17partition_subalgoE2ExNS0_10empty_typeEbEEZZNS1_14partition_implILS5_2ELb0ES3_jN6thrust23THRUST_200600_302600_NS6detail15normal_iteratorINSA_7pointerIxNSA_11hip_rocprim3tagENSA_11use_defaultESG_EEEEPS6_NSA_18transform_iteratorI7is_evenIxENSC_INSA_10device_ptrIxEEEESG_SG_EENS0_5tupleIJPxSJ_EEENSR_IJSJ_SJ_EEES6_PlJS6_EEE10hipError_tPvRmT3_T4_T5_T6_T7_T9_mT8_P12ihipStream_tbDpT10_ENKUlT_T0_E_clISt17integral_constantIbLb1EES1E_IbLb0EEEEDaS1A_S1B_EUlS1A_E_NS1_11comp_targetILNS1_3genE0ELNS1_11target_archE4294967295ELNS1_3gpuE0ELNS1_3repE0EEENS1_30default_config_static_selectorELNS0_4arch9wavefront6targetE1EEEvT1_
    .private_segment_fixed_size: 0
    .sgpr_count:     4
    .sgpr_spill_count: 0
    .symbol:         _ZN7rocprim17ROCPRIM_400000_NS6detail17trampoline_kernelINS0_14default_configENS1_25partition_config_selectorILNS1_17partition_subalgoE2ExNS0_10empty_typeEbEEZZNS1_14partition_implILS5_2ELb0ES3_jN6thrust23THRUST_200600_302600_NS6detail15normal_iteratorINSA_7pointerIxNSA_11hip_rocprim3tagENSA_11use_defaultESG_EEEEPS6_NSA_18transform_iteratorI7is_evenIxENSC_INSA_10device_ptrIxEEEESG_SG_EENS0_5tupleIJPxSJ_EEENSR_IJSJ_SJ_EEES6_PlJS6_EEE10hipError_tPvRmT3_T4_T5_T6_T7_T9_mT8_P12ihipStream_tbDpT10_ENKUlT_T0_E_clISt17integral_constantIbLb1EES1E_IbLb0EEEEDaS1A_S1B_EUlS1A_E_NS1_11comp_targetILNS1_3genE0ELNS1_11target_archE4294967295ELNS1_3gpuE0ELNS1_3repE0EEENS1_30default_config_static_selectorELNS0_4arch9wavefront6targetE1EEEvT1_.kd
    .uniform_work_group_size: 1
    .uses_dynamic_stack: false
    .vgpr_count:     0
    .vgpr_spill_count: 0
    .wavefront_size: 64
  - .agpr_count:     0
    .args:
      - .offset:         0
        .size:           128
        .value_kind:     by_value
    .group_segment_fixed_size: 0
    .kernarg_segment_align: 8
    .kernarg_segment_size: 128
    .language:       OpenCL C
    .language_version:
      - 2
      - 0
    .max_flat_workgroup_size: 512
    .name:           _ZN7rocprim17ROCPRIM_400000_NS6detail17trampoline_kernelINS0_14default_configENS1_25partition_config_selectorILNS1_17partition_subalgoE2ExNS0_10empty_typeEbEEZZNS1_14partition_implILS5_2ELb0ES3_jN6thrust23THRUST_200600_302600_NS6detail15normal_iteratorINSA_7pointerIxNSA_11hip_rocprim3tagENSA_11use_defaultESG_EEEEPS6_NSA_18transform_iteratorI7is_evenIxENSC_INSA_10device_ptrIxEEEESG_SG_EENS0_5tupleIJPxSJ_EEENSR_IJSJ_SJ_EEES6_PlJS6_EEE10hipError_tPvRmT3_T4_T5_T6_T7_T9_mT8_P12ihipStream_tbDpT10_ENKUlT_T0_E_clISt17integral_constantIbLb1EES1E_IbLb0EEEEDaS1A_S1B_EUlS1A_E_NS1_11comp_targetILNS1_3genE5ELNS1_11target_archE942ELNS1_3gpuE9ELNS1_3repE0EEENS1_30default_config_static_selectorELNS0_4arch9wavefront6targetE1EEEvT1_
    .private_segment_fixed_size: 0
    .sgpr_count:     4
    .sgpr_spill_count: 0
    .symbol:         _ZN7rocprim17ROCPRIM_400000_NS6detail17trampoline_kernelINS0_14default_configENS1_25partition_config_selectorILNS1_17partition_subalgoE2ExNS0_10empty_typeEbEEZZNS1_14partition_implILS5_2ELb0ES3_jN6thrust23THRUST_200600_302600_NS6detail15normal_iteratorINSA_7pointerIxNSA_11hip_rocprim3tagENSA_11use_defaultESG_EEEEPS6_NSA_18transform_iteratorI7is_evenIxENSC_INSA_10device_ptrIxEEEESG_SG_EENS0_5tupleIJPxSJ_EEENSR_IJSJ_SJ_EEES6_PlJS6_EEE10hipError_tPvRmT3_T4_T5_T6_T7_T9_mT8_P12ihipStream_tbDpT10_ENKUlT_T0_E_clISt17integral_constantIbLb1EES1E_IbLb0EEEEDaS1A_S1B_EUlS1A_E_NS1_11comp_targetILNS1_3genE5ELNS1_11target_archE942ELNS1_3gpuE9ELNS1_3repE0EEENS1_30default_config_static_selectorELNS0_4arch9wavefront6targetE1EEEvT1_.kd
    .uniform_work_group_size: 1
    .uses_dynamic_stack: false
    .vgpr_count:     0
    .vgpr_spill_count: 0
    .wavefront_size: 64
  - .agpr_count:     0
    .args:
      - .offset:         0
        .size:           128
        .value_kind:     by_value
    .group_segment_fixed_size: 6344
    .kernarg_segment_align: 8
    .kernarg_segment_size: 128
    .language:       OpenCL C
    .language_version:
      - 2
      - 0
    .max_flat_workgroup_size: 192
    .name:           _ZN7rocprim17ROCPRIM_400000_NS6detail17trampoline_kernelINS0_14default_configENS1_25partition_config_selectorILNS1_17partition_subalgoE2ExNS0_10empty_typeEbEEZZNS1_14partition_implILS5_2ELb0ES3_jN6thrust23THRUST_200600_302600_NS6detail15normal_iteratorINSA_7pointerIxNSA_11hip_rocprim3tagENSA_11use_defaultESG_EEEEPS6_NSA_18transform_iteratorI7is_evenIxENSC_INSA_10device_ptrIxEEEESG_SG_EENS0_5tupleIJPxSJ_EEENSR_IJSJ_SJ_EEES6_PlJS6_EEE10hipError_tPvRmT3_T4_T5_T6_T7_T9_mT8_P12ihipStream_tbDpT10_ENKUlT_T0_E_clISt17integral_constantIbLb1EES1E_IbLb0EEEEDaS1A_S1B_EUlS1A_E_NS1_11comp_targetILNS1_3genE4ELNS1_11target_archE910ELNS1_3gpuE8ELNS1_3repE0EEENS1_30default_config_static_selectorELNS0_4arch9wavefront6targetE1EEEvT1_
    .private_segment_fixed_size: 0
    .sgpr_count:     50
    .sgpr_spill_count: 0
    .symbol:         _ZN7rocprim17ROCPRIM_400000_NS6detail17trampoline_kernelINS0_14default_configENS1_25partition_config_selectorILNS1_17partition_subalgoE2ExNS0_10empty_typeEbEEZZNS1_14partition_implILS5_2ELb0ES3_jN6thrust23THRUST_200600_302600_NS6detail15normal_iteratorINSA_7pointerIxNSA_11hip_rocprim3tagENSA_11use_defaultESG_EEEEPS6_NSA_18transform_iteratorI7is_evenIxENSC_INSA_10device_ptrIxEEEESG_SG_EENS0_5tupleIJPxSJ_EEENSR_IJSJ_SJ_EEES6_PlJS6_EEE10hipError_tPvRmT3_T4_T5_T6_T7_T9_mT8_P12ihipStream_tbDpT10_ENKUlT_T0_E_clISt17integral_constantIbLb1EES1E_IbLb0EEEEDaS1A_S1B_EUlS1A_E_NS1_11comp_targetILNS1_3genE4ELNS1_11target_archE910ELNS1_3gpuE8ELNS1_3repE0EEENS1_30default_config_static_selectorELNS0_4arch9wavefront6targetE1EEEvT1_.kd
    .uniform_work_group_size: 1
    .uses_dynamic_stack: false
    .vgpr_count:     43
    .vgpr_spill_count: 0
    .wavefront_size: 64
  - .agpr_count:     0
    .args:
      - .offset:         0
        .size:           128
        .value_kind:     by_value
    .group_segment_fixed_size: 0
    .kernarg_segment_align: 8
    .kernarg_segment_size: 128
    .language:       OpenCL C
    .language_version:
      - 2
      - 0
    .max_flat_workgroup_size: 128
    .name:           _ZN7rocprim17ROCPRIM_400000_NS6detail17trampoline_kernelINS0_14default_configENS1_25partition_config_selectorILNS1_17partition_subalgoE2ExNS0_10empty_typeEbEEZZNS1_14partition_implILS5_2ELb0ES3_jN6thrust23THRUST_200600_302600_NS6detail15normal_iteratorINSA_7pointerIxNSA_11hip_rocprim3tagENSA_11use_defaultESG_EEEEPS6_NSA_18transform_iteratorI7is_evenIxENSC_INSA_10device_ptrIxEEEESG_SG_EENS0_5tupleIJPxSJ_EEENSR_IJSJ_SJ_EEES6_PlJS6_EEE10hipError_tPvRmT3_T4_T5_T6_T7_T9_mT8_P12ihipStream_tbDpT10_ENKUlT_T0_E_clISt17integral_constantIbLb1EES1E_IbLb0EEEEDaS1A_S1B_EUlS1A_E_NS1_11comp_targetILNS1_3genE3ELNS1_11target_archE908ELNS1_3gpuE7ELNS1_3repE0EEENS1_30default_config_static_selectorELNS0_4arch9wavefront6targetE1EEEvT1_
    .private_segment_fixed_size: 0
    .sgpr_count:     4
    .sgpr_spill_count: 0
    .symbol:         _ZN7rocprim17ROCPRIM_400000_NS6detail17trampoline_kernelINS0_14default_configENS1_25partition_config_selectorILNS1_17partition_subalgoE2ExNS0_10empty_typeEbEEZZNS1_14partition_implILS5_2ELb0ES3_jN6thrust23THRUST_200600_302600_NS6detail15normal_iteratorINSA_7pointerIxNSA_11hip_rocprim3tagENSA_11use_defaultESG_EEEEPS6_NSA_18transform_iteratorI7is_evenIxENSC_INSA_10device_ptrIxEEEESG_SG_EENS0_5tupleIJPxSJ_EEENSR_IJSJ_SJ_EEES6_PlJS6_EEE10hipError_tPvRmT3_T4_T5_T6_T7_T9_mT8_P12ihipStream_tbDpT10_ENKUlT_T0_E_clISt17integral_constantIbLb1EES1E_IbLb0EEEEDaS1A_S1B_EUlS1A_E_NS1_11comp_targetILNS1_3genE3ELNS1_11target_archE908ELNS1_3gpuE7ELNS1_3repE0EEENS1_30default_config_static_selectorELNS0_4arch9wavefront6targetE1EEEvT1_.kd
    .uniform_work_group_size: 1
    .uses_dynamic_stack: false
    .vgpr_count:     0
    .vgpr_spill_count: 0
    .wavefront_size: 64
  - .agpr_count:     0
    .args:
      - .offset:         0
        .size:           128
        .value_kind:     by_value
    .group_segment_fixed_size: 0
    .kernarg_segment_align: 8
    .kernarg_segment_size: 128
    .language:       OpenCL C
    .language_version:
      - 2
      - 0
    .max_flat_workgroup_size: 256
    .name:           _ZN7rocprim17ROCPRIM_400000_NS6detail17trampoline_kernelINS0_14default_configENS1_25partition_config_selectorILNS1_17partition_subalgoE2ExNS0_10empty_typeEbEEZZNS1_14partition_implILS5_2ELb0ES3_jN6thrust23THRUST_200600_302600_NS6detail15normal_iteratorINSA_7pointerIxNSA_11hip_rocprim3tagENSA_11use_defaultESG_EEEEPS6_NSA_18transform_iteratorI7is_evenIxENSC_INSA_10device_ptrIxEEEESG_SG_EENS0_5tupleIJPxSJ_EEENSR_IJSJ_SJ_EEES6_PlJS6_EEE10hipError_tPvRmT3_T4_T5_T6_T7_T9_mT8_P12ihipStream_tbDpT10_ENKUlT_T0_E_clISt17integral_constantIbLb1EES1E_IbLb0EEEEDaS1A_S1B_EUlS1A_E_NS1_11comp_targetILNS1_3genE2ELNS1_11target_archE906ELNS1_3gpuE6ELNS1_3repE0EEENS1_30default_config_static_selectorELNS0_4arch9wavefront6targetE1EEEvT1_
    .private_segment_fixed_size: 0
    .sgpr_count:     4
    .sgpr_spill_count: 0
    .symbol:         _ZN7rocprim17ROCPRIM_400000_NS6detail17trampoline_kernelINS0_14default_configENS1_25partition_config_selectorILNS1_17partition_subalgoE2ExNS0_10empty_typeEbEEZZNS1_14partition_implILS5_2ELb0ES3_jN6thrust23THRUST_200600_302600_NS6detail15normal_iteratorINSA_7pointerIxNSA_11hip_rocprim3tagENSA_11use_defaultESG_EEEEPS6_NSA_18transform_iteratorI7is_evenIxENSC_INSA_10device_ptrIxEEEESG_SG_EENS0_5tupleIJPxSJ_EEENSR_IJSJ_SJ_EEES6_PlJS6_EEE10hipError_tPvRmT3_T4_T5_T6_T7_T9_mT8_P12ihipStream_tbDpT10_ENKUlT_T0_E_clISt17integral_constantIbLb1EES1E_IbLb0EEEEDaS1A_S1B_EUlS1A_E_NS1_11comp_targetILNS1_3genE2ELNS1_11target_archE906ELNS1_3gpuE6ELNS1_3repE0EEENS1_30default_config_static_selectorELNS0_4arch9wavefront6targetE1EEEvT1_.kd
    .uniform_work_group_size: 1
    .uses_dynamic_stack: false
    .vgpr_count:     0
    .vgpr_spill_count: 0
    .wavefront_size: 64
  - .agpr_count:     0
    .args:
      - .offset:         0
        .size:           128
        .value_kind:     by_value
    .group_segment_fixed_size: 0
    .kernarg_segment_align: 8
    .kernarg_segment_size: 128
    .language:       OpenCL C
    .language_version:
      - 2
      - 0
    .max_flat_workgroup_size: 256
    .name:           _ZN7rocprim17ROCPRIM_400000_NS6detail17trampoline_kernelINS0_14default_configENS1_25partition_config_selectorILNS1_17partition_subalgoE2ExNS0_10empty_typeEbEEZZNS1_14partition_implILS5_2ELb0ES3_jN6thrust23THRUST_200600_302600_NS6detail15normal_iteratorINSA_7pointerIxNSA_11hip_rocprim3tagENSA_11use_defaultESG_EEEEPS6_NSA_18transform_iteratorI7is_evenIxENSC_INSA_10device_ptrIxEEEESG_SG_EENS0_5tupleIJPxSJ_EEENSR_IJSJ_SJ_EEES6_PlJS6_EEE10hipError_tPvRmT3_T4_T5_T6_T7_T9_mT8_P12ihipStream_tbDpT10_ENKUlT_T0_E_clISt17integral_constantIbLb1EES1E_IbLb0EEEEDaS1A_S1B_EUlS1A_E_NS1_11comp_targetILNS1_3genE10ELNS1_11target_archE1200ELNS1_3gpuE4ELNS1_3repE0EEENS1_30default_config_static_selectorELNS0_4arch9wavefront6targetE1EEEvT1_
    .private_segment_fixed_size: 0
    .sgpr_count:     4
    .sgpr_spill_count: 0
    .symbol:         _ZN7rocprim17ROCPRIM_400000_NS6detail17trampoline_kernelINS0_14default_configENS1_25partition_config_selectorILNS1_17partition_subalgoE2ExNS0_10empty_typeEbEEZZNS1_14partition_implILS5_2ELb0ES3_jN6thrust23THRUST_200600_302600_NS6detail15normal_iteratorINSA_7pointerIxNSA_11hip_rocprim3tagENSA_11use_defaultESG_EEEEPS6_NSA_18transform_iteratorI7is_evenIxENSC_INSA_10device_ptrIxEEEESG_SG_EENS0_5tupleIJPxSJ_EEENSR_IJSJ_SJ_EEES6_PlJS6_EEE10hipError_tPvRmT3_T4_T5_T6_T7_T9_mT8_P12ihipStream_tbDpT10_ENKUlT_T0_E_clISt17integral_constantIbLb1EES1E_IbLb0EEEEDaS1A_S1B_EUlS1A_E_NS1_11comp_targetILNS1_3genE10ELNS1_11target_archE1200ELNS1_3gpuE4ELNS1_3repE0EEENS1_30default_config_static_selectorELNS0_4arch9wavefront6targetE1EEEvT1_.kd
    .uniform_work_group_size: 1
    .uses_dynamic_stack: false
    .vgpr_count:     0
    .vgpr_spill_count: 0
    .wavefront_size: 64
  - .agpr_count:     0
    .args:
      - .offset:         0
        .size:           128
        .value_kind:     by_value
    .group_segment_fixed_size: 0
    .kernarg_segment_align: 8
    .kernarg_segment_size: 128
    .language:       OpenCL C
    .language_version:
      - 2
      - 0
    .max_flat_workgroup_size: 512
    .name:           _ZN7rocprim17ROCPRIM_400000_NS6detail17trampoline_kernelINS0_14default_configENS1_25partition_config_selectorILNS1_17partition_subalgoE2ExNS0_10empty_typeEbEEZZNS1_14partition_implILS5_2ELb0ES3_jN6thrust23THRUST_200600_302600_NS6detail15normal_iteratorINSA_7pointerIxNSA_11hip_rocprim3tagENSA_11use_defaultESG_EEEEPS6_NSA_18transform_iteratorI7is_evenIxENSC_INSA_10device_ptrIxEEEESG_SG_EENS0_5tupleIJPxSJ_EEENSR_IJSJ_SJ_EEES6_PlJS6_EEE10hipError_tPvRmT3_T4_T5_T6_T7_T9_mT8_P12ihipStream_tbDpT10_ENKUlT_T0_E_clISt17integral_constantIbLb1EES1E_IbLb0EEEEDaS1A_S1B_EUlS1A_E_NS1_11comp_targetILNS1_3genE9ELNS1_11target_archE1100ELNS1_3gpuE3ELNS1_3repE0EEENS1_30default_config_static_selectorELNS0_4arch9wavefront6targetE1EEEvT1_
    .private_segment_fixed_size: 0
    .sgpr_count:     4
    .sgpr_spill_count: 0
    .symbol:         _ZN7rocprim17ROCPRIM_400000_NS6detail17trampoline_kernelINS0_14default_configENS1_25partition_config_selectorILNS1_17partition_subalgoE2ExNS0_10empty_typeEbEEZZNS1_14partition_implILS5_2ELb0ES3_jN6thrust23THRUST_200600_302600_NS6detail15normal_iteratorINSA_7pointerIxNSA_11hip_rocprim3tagENSA_11use_defaultESG_EEEEPS6_NSA_18transform_iteratorI7is_evenIxENSC_INSA_10device_ptrIxEEEESG_SG_EENS0_5tupleIJPxSJ_EEENSR_IJSJ_SJ_EEES6_PlJS6_EEE10hipError_tPvRmT3_T4_T5_T6_T7_T9_mT8_P12ihipStream_tbDpT10_ENKUlT_T0_E_clISt17integral_constantIbLb1EES1E_IbLb0EEEEDaS1A_S1B_EUlS1A_E_NS1_11comp_targetILNS1_3genE9ELNS1_11target_archE1100ELNS1_3gpuE3ELNS1_3repE0EEENS1_30default_config_static_selectorELNS0_4arch9wavefront6targetE1EEEvT1_.kd
    .uniform_work_group_size: 1
    .uses_dynamic_stack: false
    .vgpr_count:     0
    .vgpr_spill_count: 0
    .wavefront_size: 64
  - .agpr_count:     0
    .args:
      - .offset:         0
        .size:           128
        .value_kind:     by_value
    .group_segment_fixed_size: 0
    .kernarg_segment_align: 8
    .kernarg_segment_size: 128
    .language:       OpenCL C
    .language_version:
      - 2
      - 0
    .max_flat_workgroup_size: 512
    .name:           _ZN7rocprim17ROCPRIM_400000_NS6detail17trampoline_kernelINS0_14default_configENS1_25partition_config_selectorILNS1_17partition_subalgoE2ExNS0_10empty_typeEbEEZZNS1_14partition_implILS5_2ELb0ES3_jN6thrust23THRUST_200600_302600_NS6detail15normal_iteratorINSA_7pointerIxNSA_11hip_rocprim3tagENSA_11use_defaultESG_EEEEPS6_NSA_18transform_iteratorI7is_evenIxENSC_INSA_10device_ptrIxEEEESG_SG_EENS0_5tupleIJPxSJ_EEENSR_IJSJ_SJ_EEES6_PlJS6_EEE10hipError_tPvRmT3_T4_T5_T6_T7_T9_mT8_P12ihipStream_tbDpT10_ENKUlT_T0_E_clISt17integral_constantIbLb1EES1E_IbLb0EEEEDaS1A_S1B_EUlS1A_E_NS1_11comp_targetILNS1_3genE8ELNS1_11target_archE1030ELNS1_3gpuE2ELNS1_3repE0EEENS1_30default_config_static_selectorELNS0_4arch9wavefront6targetE1EEEvT1_
    .private_segment_fixed_size: 0
    .sgpr_count:     4
    .sgpr_spill_count: 0
    .symbol:         _ZN7rocprim17ROCPRIM_400000_NS6detail17trampoline_kernelINS0_14default_configENS1_25partition_config_selectorILNS1_17partition_subalgoE2ExNS0_10empty_typeEbEEZZNS1_14partition_implILS5_2ELb0ES3_jN6thrust23THRUST_200600_302600_NS6detail15normal_iteratorINSA_7pointerIxNSA_11hip_rocprim3tagENSA_11use_defaultESG_EEEEPS6_NSA_18transform_iteratorI7is_evenIxENSC_INSA_10device_ptrIxEEEESG_SG_EENS0_5tupleIJPxSJ_EEENSR_IJSJ_SJ_EEES6_PlJS6_EEE10hipError_tPvRmT3_T4_T5_T6_T7_T9_mT8_P12ihipStream_tbDpT10_ENKUlT_T0_E_clISt17integral_constantIbLb1EES1E_IbLb0EEEEDaS1A_S1B_EUlS1A_E_NS1_11comp_targetILNS1_3genE8ELNS1_11target_archE1030ELNS1_3gpuE2ELNS1_3repE0EEENS1_30default_config_static_selectorELNS0_4arch9wavefront6targetE1EEEvT1_.kd
    .uniform_work_group_size: 1
    .uses_dynamic_stack: false
    .vgpr_count:     0
    .vgpr_spill_count: 0
    .wavefront_size: 64
  - .agpr_count:     0
    .args:
      - .offset:         0
        .size:           144
        .value_kind:     by_value
    .group_segment_fixed_size: 0
    .kernarg_segment_align: 8
    .kernarg_segment_size: 144
    .language:       OpenCL C
    .language_version:
      - 2
      - 0
    .max_flat_workgroup_size: 128
    .name:           _ZN7rocprim17ROCPRIM_400000_NS6detail17trampoline_kernelINS0_14default_configENS1_25partition_config_selectorILNS1_17partition_subalgoE2ExNS0_10empty_typeEbEEZZNS1_14partition_implILS5_2ELb0ES3_jN6thrust23THRUST_200600_302600_NS6detail15normal_iteratorINSA_7pointerIxNSA_11hip_rocprim3tagENSA_11use_defaultESG_EEEEPS6_NSA_18transform_iteratorI7is_evenIxENSC_INSA_10device_ptrIxEEEESG_SG_EENS0_5tupleIJPxSJ_EEENSR_IJSJ_SJ_EEES6_PlJS6_EEE10hipError_tPvRmT3_T4_T5_T6_T7_T9_mT8_P12ihipStream_tbDpT10_ENKUlT_T0_E_clISt17integral_constantIbLb0EES1E_IbLb1EEEEDaS1A_S1B_EUlS1A_E_NS1_11comp_targetILNS1_3genE0ELNS1_11target_archE4294967295ELNS1_3gpuE0ELNS1_3repE0EEENS1_30default_config_static_selectorELNS0_4arch9wavefront6targetE1EEEvT1_
    .private_segment_fixed_size: 0
    .sgpr_count:     4
    .sgpr_spill_count: 0
    .symbol:         _ZN7rocprim17ROCPRIM_400000_NS6detail17trampoline_kernelINS0_14default_configENS1_25partition_config_selectorILNS1_17partition_subalgoE2ExNS0_10empty_typeEbEEZZNS1_14partition_implILS5_2ELb0ES3_jN6thrust23THRUST_200600_302600_NS6detail15normal_iteratorINSA_7pointerIxNSA_11hip_rocprim3tagENSA_11use_defaultESG_EEEEPS6_NSA_18transform_iteratorI7is_evenIxENSC_INSA_10device_ptrIxEEEESG_SG_EENS0_5tupleIJPxSJ_EEENSR_IJSJ_SJ_EEES6_PlJS6_EEE10hipError_tPvRmT3_T4_T5_T6_T7_T9_mT8_P12ihipStream_tbDpT10_ENKUlT_T0_E_clISt17integral_constantIbLb0EES1E_IbLb1EEEEDaS1A_S1B_EUlS1A_E_NS1_11comp_targetILNS1_3genE0ELNS1_11target_archE4294967295ELNS1_3gpuE0ELNS1_3repE0EEENS1_30default_config_static_selectorELNS0_4arch9wavefront6targetE1EEEvT1_.kd
    .uniform_work_group_size: 1
    .uses_dynamic_stack: false
    .vgpr_count:     0
    .vgpr_spill_count: 0
    .wavefront_size: 64
  - .agpr_count:     0
    .args:
      - .offset:         0
        .size:           144
        .value_kind:     by_value
    .group_segment_fixed_size: 0
    .kernarg_segment_align: 8
    .kernarg_segment_size: 144
    .language:       OpenCL C
    .language_version:
      - 2
      - 0
    .max_flat_workgroup_size: 512
    .name:           _ZN7rocprim17ROCPRIM_400000_NS6detail17trampoline_kernelINS0_14default_configENS1_25partition_config_selectorILNS1_17partition_subalgoE2ExNS0_10empty_typeEbEEZZNS1_14partition_implILS5_2ELb0ES3_jN6thrust23THRUST_200600_302600_NS6detail15normal_iteratorINSA_7pointerIxNSA_11hip_rocprim3tagENSA_11use_defaultESG_EEEEPS6_NSA_18transform_iteratorI7is_evenIxENSC_INSA_10device_ptrIxEEEESG_SG_EENS0_5tupleIJPxSJ_EEENSR_IJSJ_SJ_EEES6_PlJS6_EEE10hipError_tPvRmT3_T4_T5_T6_T7_T9_mT8_P12ihipStream_tbDpT10_ENKUlT_T0_E_clISt17integral_constantIbLb0EES1E_IbLb1EEEEDaS1A_S1B_EUlS1A_E_NS1_11comp_targetILNS1_3genE5ELNS1_11target_archE942ELNS1_3gpuE9ELNS1_3repE0EEENS1_30default_config_static_selectorELNS0_4arch9wavefront6targetE1EEEvT1_
    .private_segment_fixed_size: 0
    .sgpr_count:     4
    .sgpr_spill_count: 0
    .symbol:         _ZN7rocprim17ROCPRIM_400000_NS6detail17trampoline_kernelINS0_14default_configENS1_25partition_config_selectorILNS1_17partition_subalgoE2ExNS0_10empty_typeEbEEZZNS1_14partition_implILS5_2ELb0ES3_jN6thrust23THRUST_200600_302600_NS6detail15normal_iteratorINSA_7pointerIxNSA_11hip_rocprim3tagENSA_11use_defaultESG_EEEEPS6_NSA_18transform_iteratorI7is_evenIxENSC_INSA_10device_ptrIxEEEESG_SG_EENS0_5tupleIJPxSJ_EEENSR_IJSJ_SJ_EEES6_PlJS6_EEE10hipError_tPvRmT3_T4_T5_T6_T7_T9_mT8_P12ihipStream_tbDpT10_ENKUlT_T0_E_clISt17integral_constantIbLb0EES1E_IbLb1EEEEDaS1A_S1B_EUlS1A_E_NS1_11comp_targetILNS1_3genE5ELNS1_11target_archE942ELNS1_3gpuE9ELNS1_3repE0EEENS1_30default_config_static_selectorELNS0_4arch9wavefront6targetE1EEEvT1_.kd
    .uniform_work_group_size: 1
    .uses_dynamic_stack: false
    .vgpr_count:     0
    .vgpr_spill_count: 0
    .wavefront_size: 64
  - .agpr_count:     0
    .args:
      - .offset:         0
        .size:           144
        .value_kind:     by_value
    .group_segment_fixed_size: 6344
    .kernarg_segment_align: 8
    .kernarg_segment_size: 144
    .language:       OpenCL C
    .language_version:
      - 2
      - 0
    .max_flat_workgroup_size: 192
    .name:           _ZN7rocprim17ROCPRIM_400000_NS6detail17trampoline_kernelINS0_14default_configENS1_25partition_config_selectorILNS1_17partition_subalgoE2ExNS0_10empty_typeEbEEZZNS1_14partition_implILS5_2ELb0ES3_jN6thrust23THRUST_200600_302600_NS6detail15normal_iteratorINSA_7pointerIxNSA_11hip_rocprim3tagENSA_11use_defaultESG_EEEEPS6_NSA_18transform_iteratorI7is_evenIxENSC_INSA_10device_ptrIxEEEESG_SG_EENS0_5tupleIJPxSJ_EEENSR_IJSJ_SJ_EEES6_PlJS6_EEE10hipError_tPvRmT3_T4_T5_T6_T7_T9_mT8_P12ihipStream_tbDpT10_ENKUlT_T0_E_clISt17integral_constantIbLb0EES1E_IbLb1EEEEDaS1A_S1B_EUlS1A_E_NS1_11comp_targetILNS1_3genE4ELNS1_11target_archE910ELNS1_3gpuE8ELNS1_3repE0EEENS1_30default_config_static_selectorELNS0_4arch9wavefront6targetE1EEEvT1_
    .private_segment_fixed_size: 0
    .sgpr_count:     50
    .sgpr_spill_count: 0
    .symbol:         _ZN7rocprim17ROCPRIM_400000_NS6detail17trampoline_kernelINS0_14default_configENS1_25partition_config_selectorILNS1_17partition_subalgoE2ExNS0_10empty_typeEbEEZZNS1_14partition_implILS5_2ELb0ES3_jN6thrust23THRUST_200600_302600_NS6detail15normal_iteratorINSA_7pointerIxNSA_11hip_rocprim3tagENSA_11use_defaultESG_EEEEPS6_NSA_18transform_iteratorI7is_evenIxENSC_INSA_10device_ptrIxEEEESG_SG_EENS0_5tupleIJPxSJ_EEENSR_IJSJ_SJ_EEES6_PlJS6_EEE10hipError_tPvRmT3_T4_T5_T6_T7_T9_mT8_P12ihipStream_tbDpT10_ENKUlT_T0_E_clISt17integral_constantIbLb0EES1E_IbLb1EEEEDaS1A_S1B_EUlS1A_E_NS1_11comp_targetILNS1_3genE4ELNS1_11target_archE910ELNS1_3gpuE8ELNS1_3repE0EEENS1_30default_config_static_selectorELNS0_4arch9wavefront6targetE1EEEvT1_.kd
    .uniform_work_group_size: 1
    .uses_dynamic_stack: false
    .vgpr_count:     45
    .vgpr_spill_count: 0
    .wavefront_size: 64
  - .agpr_count:     0
    .args:
      - .offset:         0
        .size:           144
        .value_kind:     by_value
    .group_segment_fixed_size: 0
    .kernarg_segment_align: 8
    .kernarg_segment_size: 144
    .language:       OpenCL C
    .language_version:
      - 2
      - 0
    .max_flat_workgroup_size: 128
    .name:           _ZN7rocprim17ROCPRIM_400000_NS6detail17trampoline_kernelINS0_14default_configENS1_25partition_config_selectorILNS1_17partition_subalgoE2ExNS0_10empty_typeEbEEZZNS1_14partition_implILS5_2ELb0ES3_jN6thrust23THRUST_200600_302600_NS6detail15normal_iteratorINSA_7pointerIxNSA_11hip_rocprim3tagENSA_11use_defaultESG_EEEEPS6_NSA_18transform_iteratorI7is_evenIxENSC_INSA_10device_ptrIxEEEESG_SG_EENS0_5tupleIJPxSJ_EEENSR_IJSJ_SJ_EEES6_PlJS6_EEE10hipError_tPvRmT3_T4_T5_T6_T7_T9_mT8_P12ihipStream_tbDpT10_ENKUlT_T0_E_clISt17integral_constantIbLb0EES1E_IbLb1EEEEDaS1A_S1B_EUlS1A_E_NS1_11comp_targetILNS1_3genE3ELNS1_11target_archE908ELNS1_3gpuE7ELNS1_3repE0EEENS1_30default_config_static_selectorELNS0_4arch9wavefront6targetE1EEEvT1_
    .private_segment_fixed_size: 0
    .sgpr_count:     4
    .sgpr_spill_count: 0
    .symbol:         _ZN7rocprim17ROCPRIM_400000_NS6detail17trampoline_kernelINS0_14default_configENS1_25partition_config_selectorILNS1_17partition_subalgoE2ExNS0_10empty_typeEbEEZZNS1_14partition_implILS5_2ELb0ES3_jN6thrust23THRUST_200600_302600_NS6detail15normal_iteratorINSA_7pointerIxNSA_11hip_rocprim3tagENSA_11use_defaultESG_EEEEPS6_NSA_18transform_iteratorI7is_evenIxENSC_INSA_10device_ptrIxEEEESG_SG_EENS0_5tupleIJPxSJ_EEENSR_IJSJ_SJ_EEES6_PlJS6_EEE10hipError_tPvRmT3_T4_T5_T6_T7_T9_mT8_P12ihipStream_tbDpT10_ENKUlT_T0_E_clISt17integral_constantIbLb0EES1E_IbLb1EEEEDaS1A_S1B_EUlS1A_E_NS1_11comp_targetILNS1_3genE3ELNS1_11target_archE908ELNS1_3gpuE7ELNS1_3repE0EEENS1_30default_config_static_selectorELNS0_4arch9wavefront6targetE1EEEvT1_.kd
    .uniform_work_group_size: 1
    .uses_dynamic_stack: false
    .vgpr_count:     0
    .vgpr_spill_count: 0
    .wavefront_size: 64
  - .agpr_count:     0
    .args:
      - .offset:         0
        .size:           144
        .value_kind:     by_value
    .group_segment_fixed_size: 0
    .kernarg_segment_align: 8
    .kernarg_segment_size: 144
    .language:       OpenCL C
    .language_version:
      - 2
      - 0
    .max_flat_workgroup_size: 256
    .name:           _ZN7rocprim17ROCPRIM_400000_NS6detail17trampoline_kernelINS0_14default_configENS1_25partition_config_selectorILNS1_17partition_subalgoE2ExNS0_10empty_typeEbEEZZNS1_14partition_implILS5_2ELb0ES3_jN6thrust23THRUST_200600_302600_NS6detail15normal_iteratorINSA_7pointerIxNSA_11hip_rocprim3tagENSA_11use_defaultESG_EEEEPS6_NSA_18transform_iteratorI7is_evenIxENSC_INSA_10device_ptrIxEEEESG_SG_EENS0_5tupleIJPxSJ_EEENSR_IJSJ_SJ_EEES6_PlJS6_EEE10hipError_tPvRmT3_T4_T5_T6_T7_T9_mT8_P12ihipStream_tbDpT10_ENKUlT_T0_E_clISt17integral_constantIbLb0EES1E_IbLb1EEEEDaS1A_S1B_EUlS1A_E_NS1_11comp_targetILNS1_3genE2ELNS1_11target_archE906ELNS1_3gpuE6ELNS1_3repE0EEENS1_30default_config_static_selectorELNS0_4arch9wavefront6targetE1EEEvT1_
    .private_segment_fixed_size: 0
    .sgpr_count:     4
    .sgpr_spill_count: 0
    .symbol:         _ZN7rocprim17ROCPRIM_400000_NS6detail17trampoline_kernelINS0_14default_configENS1_25partition_config_selectorILNS1_17partition_subalgoE2ExNS0_10empty_typeEbEEZZNS1_14partition_implILS5_2ELb0ES3_jN6thrust23THRUST_200600_302600_NS6detail15normal_iteratorINSA_7pointerIxNSA_11hip_rocprim3tagENSA_11use_defaultESG_EEEEPS6_NSA_18transform_iteratorI7is_evenIxENSC_INSA_10device_ptrIxEEEESG_SG_EENS0_5tupleIJPxSJ_EEENSR_IJSJ_SJ_EEES6_PlJS6_EEE10hipError_tPvRmT3_T4_T5_T6_T7_T9_mT8_P12ihipStream_tbDpT10_ENKUlT_T0_E_clISt17integral_constantIbLb0EES1E_IbLb1EEEEDaS1A_S1B_EUlS1A_E_NS1_11comp_targetILNS1_3genE2ELNS1_11target_archE906ELNS1_3gpuE6ELNS1_3repE0EEENS1_30default_config_static_selectorELNS0_4arch9wavefront6targetE1EEEvT1_.kd
    .uniform_work_group_size: 1
    .uses_dynamic_stack: false
    .vgpr_count:     0
    .vgpr_spill_count: 0
    .wavefront_size: 64
  - .agpr_count:     0
    .args:
      - .offset:         0
        .size:           144
        .value_kind:     by_value
    .group_segment_fixed_size: 0
    .kernarg_segment_align: 8
    .kernarg_segment_size: 144
    .language:       OpenCL C
    .language_version:
      - 2
      - 0
    .max_flat_workgroup_size: 256
    .name:           _ZN7rocprim17ROCPRIM_400000_NS6detail17trampoline_kernelINS0_14default_configENS1_25partition_config_selectorILNS1_17partition_subalgoE2ExNS0_10empty_typeEbEEZZNS1_14partition_implILS5_2ELb0ES3_jN6thrust23THRUST_200600_302600_NS6detail15normal_iteratorINSA_7pointerIxNSA_11hip_rocprim3tagENSA_11use_defaultESG_EEEEPS6_NSA_18transform_iteratorI7is_evenIxENSC_INSA_10device_ptrIxEEEESG_SG_EENS0_5tupleIJPxSJ_EEENSR_IJSJ_SJ_EEES6_PlJS6_EEE10hipError_tPvRmT3_T4_T5_T6_T7_T9_mT8_P12ihipStream_tbDpT10_ENKUlT_T0_E_clISt17integral_constantIbLb0EES1E_IbLb1EEEEDaS1A_S1B_EUlS1A_E_NS1_11comp_targetILNS1_3genE10ELNS1_11target_archE1200ELNS1_3gpuE4ELNS1_3repE0EEENS1_30default_config_static_selectorELNS0_4arch9wavefront6targetE1EEEvT1_
    .private_segment_fixed_size: 0
    .sgpr_count:     4
    .sgpr_spill_count: 0
    .symbol:         _ZN7rocprim17ROCPRIM_400000_NS6detail17trampoline_kernelINS0_14default_configENS1_25partition_config_selectorILNS1_17partition_subalgoE2ExNS0_10empty_typeEbEEZZNS1_14partition_implILS5_2ELb0ES3_jN6thrust23THRUST_200600_302600_NS6detail15normal_iteratorINSA_7pointerIxNSA_11hip_rocprim3tagENSA_11use_defaultESG_EEEEPS6_NSA_18transform_iteratorI7is_evenIxENSC_INSA_10device_ptrIxEEEESG_SG_EENS0_5tupleIJPxSJ_EEENSR_IJSJ_SJ_EEES6_PlJS6_EEE10hipError_tPvRmT3_T4_T5_T6_T7_T9_mT8_P12ihipStream_tbDpT10_ENKUlT_T0_E_clISt17integral_constantIbLb0EES1E_IbLb1EEEEDaS1A_S1B_EUlS1A_E_NS1_11comp_targetILNS1_3genE10ELNS1_11target_archE1200ELNS1_3gpuE4ELNS1_3repE0EEENS1_30default_config_static_selectorELNS0_4arch9wavefront6targetE1EEEvT1_.kd
    .uniform_work_group_size: 1
    .uses_dynamic_stack: false
    .vgpr_count:     0
    .vgpr_spill_count: 0
    .wavefront_size: 64
  - .agpr_count:     0
    .args:
      - .offset:         0
        .size:           144
        .value_kind:     by_value
    .group_segment_fixed_size: 0
    .kernarg_segment_align: 8
    .kernarg_segment_size: 144
    .language:       OpenCL C
    .language_version:
      - 2
      - 0
    .max_flat_workgroup_size: 512
    .name:           _ZN7rocprim17ROCPRIM_400000_NS6detail17trampoline_kernelINS0_14default_configENS1_25partition_config_selectorILNS1_17partition_subalgoE2ExNS0_10empty_typeEbEEZZNS1_14partition_implILS5_2ELb0ES3_jN6thrust23THRUST_200600_302600_NS6detail15normal_iteratorINSA_7pointerIxNSA_11hip_rocprim3tagENSA_11use_defaultESG_EEEEPS6_NSA_18transform_iteratorI7is_evenIxENSC_INSA_10device_ptrIxEEEESG_SG_EENS0_5tupleIJPxSJ_EEENSR_IJSJ_SJ_EEES6_PlJS6_EEE10hipError_tPvRmT3_T4_T5_T6_T7_T9_mT8_P12ihipStream_tbDpT10_ENKUlT_T0_E_clISt17integral_constantIbLb0EES1E_IbLb1EEEEDaS1A_S1B_EUlS1A_E_NS1_11comp_targetILNS1_3genE9ELNS1_11target_archE1100ELNS1_3gpuE3ELNS1_3repE0EEENS1_30default_config_static_selectorELNS0_4arch9wavefront6targetE1EEEvT1_
    .private_segment_fixed_size: 0
    .sgpr_count:     4
    .sgpr_spill_count: 0
    .symbol:         _ZN7rocprim17ROCPRIM_400000_NS6detail17trampoline_kernelINS0_14default_configENS1_25partition_config_selectorILNS1_17partition_subalgoE2ExNS0_10empty_typeEbEEZZNS1_14partition_implILS5_2ELb0ES3_jN6thrust23THRUST_200600_302600_NS6detail15normal_iteratorINSA_7pointerIxNSA_11hip_rocprim3tagENSA_11use_defaultESG_EEEEPS6_NSA_18transform_iteratorI7is_evenIxENSC_INSA_10device_ptrIxEEEESG_SG_EENS0_5tupleIJPxSJ_EEENSR_IJSJ_SJ_EEES6_PlJS6_EEE10hipError_tPvRmT3_T4_T5_T6_T7_T9_mT8_P12ihipStream_tbDpT10_ENKUlT_T0_E_clISt17integral_constantIbLb0EES1E_IbLb1EEEEDaS1A_S1B_EUlS1A_E_NS1_11comp_targetILNS1_3genE9ELNS1_11target_archE1100ELNS1_3gpuE3ELNS1_3repE0EEENS1_30default_config_static_selectorELNS0_4arch9wavefront6targetE1EEEvT1_.kd
    .uniform_work_group_size: 1
    .uses_dynamic_stack: false
    .vgpr_count:     0
    .vgpr_spill_count: 0
    .wavefront_size: 64
  - .agpr_count:     0
    .args:
      - .offset:         0
        .size:           144
        .value_kind:     by_value
    .group_segment_fixed_size: 0
    .kernarg_segment_align: 8
    .kernarg_segment_size: 144
    .language:       OpenCL C
    .language_version:
      - 2
      - 0
    .max_flat_workgroup_size: 512
    .name:           _ZN7rocprim17ROCPRIM_400000_NS6detail17trampoline_kernelINS0_14default_configENS1_25partition_config_selectorILNS1_17partition_subalgoE2ExNS0_10empty_typeEbEEZZNS1_14partition_implILS5_2ELb0ES3_jN6thrust23THRUST_200600_302600_NS6detail15normal_iteratorINSA_7pointerIxNSA_11hip_rocprim3tagENSA_11use_defaultESG_EEEEPS6_NSA_18transform_iteratorI7is_evenIxENSC_INSA_10device_ptrIxEEEESG_SG_EENS0_5tupleIJPxSJ_EEENSR_IJSJ_SJ_EEES6_PlJS6_EEE10hipError_tPvRmT3_T4_T5_T6_T7_T9_mT8_P12ihipStream_tbDpT10_ENKUlT_T0_E_clISt17integral_constantIbLb0EES1E_IbLb1EEEEDaS1A_S1B_EUlS1A_E_NS1_11comp_targetILNS1_3genE8ELNS1_11target_archE1030ELNS1_3gpuE2ELNS1_3repE0EEENS1_30default_config_static_selectorELNS0_4arch9wavefront6targetE1EEEvT1_
    .private_segment_fixed_size: 0
    .sgpr_count:     4
    .sgpr_spill_count: 0
    .symbol:         _ZN7rocprim17ROCPRIM_400000_NS6detail17trampoline_kernelINS0_14default_configENS1_25partition_config_selectorILNS1_17partition_subalgoE2ExNS0_10empty_typeEbEEZZNS1_14partition_implILS5_2ELb0ES3_jN6thrust23THRUST_200600_302600_NS6detail15normal_iteratorINSA_7pointerIxNSA_11hip_rocprim3tagENSA_11use_defaultESG_EEEEPS6_NSA_18transform_iteratorI7is_evenIxENSC_INSA_10device_ptrIxEEEESG_SG_EENS0_5tupleIJPxSJ_EEENSR_IJSJ_SJ_EEES6_PlJS6_EEE10hipError_tPvRmT3_T4_T5_T6_T7_T9_mT8_P12ihipStream_tbDpT10_ENKUlT_T0_E_clISt17integral_constantIbLb0EES1E_IbLb1EEEEDaS1A_S1B_EUlS1A_E_NS1_11comp_targetILNS1_3genE8ELNS1_11target_archE1030ELNS1_3gpuE2ELNS1_3repE0EEENS1_30default_config_static_selectorELNS0_4arch9wavefront6targetE1EEEvT1_.kd
    .uniform_work_group_size: 1
    .uses_dynamic_stack: false
    .vgpr_count:     0
    .vgpr_spill_count: 0
    .wavefront_size: 64
  - .agpr_count:     0
    .args:
      - .offset:         0
        .size:           16
        .value_kind:     by_value
      - .offset:         16
        .size:           8
        .value_kind:     by_value
      - .offset:         24
        .size:           8
        .value_kind:     by_value
    .group_segment_fixed_size: 0
    .kernarg_segment_align: 8
    .kernarg_segment_size: 32
    .language:       OpenCL C
    .language_version:
      - 2
      - 0
    .max_flat_workgroup_size: 256
    .name:           _ZN6thrust23THRUST_200600_302600_NS11hip_rocprim14__parallel_for6kernelILj256ENS1_13__swap_ranges6swap_fINS0_6detail15normal_iteratorINS0_10device_ptrIxEEEENS0_16reverse_iteratorISA_EEEElLj1EEEvT0_T1_SF_
    .private_segment_fixed_size: 0
    .sgpr_count:     20
    .sgpr_spill_count: 0
    .symbol:         _ZN6thrust23THRUST_200600_302600_NS11hip_rocprim14__parallel_for6kernelILj256ENS1_13__swap_ranges6swap_fINS0_6detail15normal_iteratorINS0_10device_ptrIxEEEENS0_16reverse_iteratorISA_EEEElLj1EEEvT0_T1_SF_.kd
    .uniform_work_group_size: 1
    .uses_dynamic_stack: false
    .vgpr_count:     10
    .vgpr_spill_count: 0
    .wavefront_size: 64
  - .agpr_count:     0
    .args:
      - .offset:         0
        .size:           128
        .value_kind:     by_value
    .group_segment_fixed_size: 0
    .kernarg_segment_align: 8
    .kernarg_segment_size: 128
    .language:       OpenCL C
    .language_version:
      - 2
      - 0
    .max_flat_workgroup_size: 128
    .name:           _ZN7rocprim17ROCPRIM_400000_NS6detail17trampoline_kernelINS0_14default_configENS1_25partition_config_selectorILNS1_17partition_subalgoE2EiNS0_10empty_typeEbEEZZNS1_14partition_implILS5_2ELb0ES3_jN6thrust23THRUST_200600_302600_NS6detail15normal_iteratorINSA_7pointerIiNSA_11hip_rocprim3tagENSA_11use_defaultESG_EEEEPS6_NSA_18transform_iteratorI7is_evenIiENSC_INSA_10device_ptrIiEEEESG_SG_EENS0_5tupleIJPiSJ_EEENSR_IJSJ_SJ_EEES6_PlJS6_EEE10hipError_tPvRmT3_T4_T5_T6_T7_T9_mT8_P12ihipStream_tbDpT10_ENKUlT_T0_E_clISt17integral_constantIbLb0EES1F_EEDaS1A_S1B_EUlS1A_E_NS1_11comp_targetILNS1_3genE0ELNS1_11target_archE4294967295ELNS1_3gpuE0ELNS1_3repE0EEENS1_30default_config_static_selectorELNS0_4arch9wavefront6targetE1EEEvT1_
    .private_segment_fixed_size: 0
    .sgpr_count:     4
    .sgpr_spill_count: 0
    .symbol:         _ZN7rocprim17ROCPRIM_400000_NS6detail17trampoline_kernelINS0_14default_configENS1_25partition_config_selectorILNS1_17partition_subalgoE2EiNS0_10empty_typeEbEEZZNS1_14partition_implILS5_2ELb0ES3_jN6thrust23THRUST_200600_302600_NS6detail15normal_iteratorINSA_7pointerIiNSA_11hip_rocprim3tagENSA_11use_defaultESG_EEEEPS6_NSA_18transform_iteratorI7is_evenIiENSC_INSA_10device_ptrIiEEEESG_SG_EENS0_5tupleIJPiSJ_EEENSR_IJSJ_SJ_EEES6_PlJS6_EEE10hipError_tPvRmT3_T4_T5_T6_T7_T9_mT8_P12ihipStream_tbDpT10_ENKUlT_T0_E_clISt17integral_constantIbLb0EES1F_EEDaS1A_S1B_EUlS1A_E_NS1_11comp_targetILNS1_3genE0ELNS1_11target_archE4294967295ELNS1_3gpuE0ELNS1_3repE0EEENS1_30default_config_static_selectorELNS0_4arch9wavefront6targetE1EEEvT1_.kd
    .uniform_work_group_size: 1
    .uses_dynamic_stack: false
    .vgpr_count:     0
    .vgpr_spill_count: 0
    .wavefront_size: 64
  - .agpr_count:     0
    .args:
      - .offset:         0
        .size:           128
        .value_kind:     by_value
    .group_segment_fixed_size: 0
    .kernarg_segment_align: 8
    .kernarg_segment_size: 128
    .language:       OpenCL C
    .language_version:
      - 2
      - 0
    .max_flat_workgroup_size: 512
    .name:           _ZN7rocprim17ROCPRIM_400000_NS6detail17trampoline_kernelINS0_14default_configENS1_25partition_config_selectorILNS1_17partition_subalgoE2EiNS0_10empty_typeEbEEZZNS1_14partition_implILS5_2ELb0ES3_jN6thrust23THRUST_200600_302600_NS6detail15normal_iteratorINSA_7pointerIiNSA_11hip_rocprim3tagENSA_11use_defaultESG_EEEEPS6_NSA_18transform_iteratorI7is_evenIiENSC_INSA_10device_ptrIiEEEESG_SG_EENS0_5tupleIJPiSJ_EEENSR_IJSJ_SJ_EEES6_PlJS6_EEE10hipError_tPvRmT3_T4_T5_T6_T7_T9_mT8_P12ihipStream_tbDpT10_ENKUlT_T0_E_clISt17integral_constantIbLb0EES1F_EEDaS1A_S1B_EUlS1A_E_NS1_11comp_targetILNS1_3genE5ELNS1_11target_archE942ELNS1_3gpuE9ELNS1_3repE0EEENS1_30default_config_static_selectorELNS0_4arch9wavefront6targetE1EEEvT1_
    .private_segment_fixed_size: 0
    .sgpr_count:     4
    .sgpr_spill_count: 0
    .symbol:         _ZN7rocprim17ROCPRIM_400000_NS6detail17trampoline_kernelINS0_14default_configENS1_25partition_config_selectorILNS1_17partition_subalgoE2EiNS0_10empty_typeEbEEZZNS1_14partition_implILS5_2ELb0ES3_jN6thrust23THRUST_200600_302600_NS6detail15normal_iteratorINSA_7pointerIiNSA_11hip_rocprim3tagENSA_11use_defaultESG_EEEEPS6_NSA_18transform_iteratorI7is_evenIiENSC_INSA_10device_ptrIiEEEESG_SG_EENS0_5tupleIJPiSJ_EEENSR_IJSJ_SJ_EEES6_PlJS6_EEE10hipError_tPvRmT3_T4_T5_T6_T7_T9_mT8_P12ihipStream_tbDpT10_ENKUlT_T0_E_clISt17integral_constantIbLb0EES1F_EEDaS1A_S1B_EUlS1A_E_NS1_11comp_targetILNS1_3genE5ELNS1_11target_archE942ELNS1_3gpuE9ELNS1_3repE0EEENS1_30default_config_static_selectorELNS0_4arch9wavefront6targetE1EEEvT1_.kd
    .uniform_work_group_size: 1
    .uses_dynamic_stack: false
    .vgpr_count:     0
    .vgpr_spill_count: 0
    .wavefront_size: 64
  - .agpr_count:     0
    .args:
      - .offset:         0
        .size:           128
        .value_kind:     by_value
    .group_segment_fixed_size: 10248
    .kernarg_segment_align: 8
    .kernarg_segment_size: 128
    .language:       OpenCL C
    .language_version:
      - 2
      - 0
    .max_flat_workgroup_size: 256
    .name:           _ZN7rocprim17ROCPRIM_400000_NS6detail17trampoline_kernelINS0_14default_configENS1_25partition_config_selectorILNS1_17partition_subalgoE2EiNS0_10empty_typeEbEEZZNS1_14partition_implILS5_2ELb0ES3_jN6thrust23THRUST_200600_302600_NS6detail15normal_iteratorINSA_7pointerIiNSA_11hip_rocprim3tagENSA_11use_defaultESG_EEEEPS6_NSA_18transform_iteratorI7is_evenIiENSC_INSA_10device_ptrIiEEEESG_SG_EENS0_5tupleIJPiSJ_EEENSR_IJSJ_SJ_EEES6_PlJS6_EEE10hipError_tPvRmT3_T4_T5_T6_T7_T9_mT8_P12ihipStream_tbDpT10_ENKUlT_T0_E_clISt17integral_constantIbLb0EES1F_EEDaS1A_S1B_EUlS1A_E_NS1_11comp_targetILNS1_3genE4ELNS1_11target_archE910ELNS1_3gpuE8ELNS1_3repE0EEENS1_30default_config_static_selectorELNS0_4arch9wavefront6targetE1EEEvT1_
    .private_segment_fixed_size: 0
    .sgpr_count:     50
    .sgpr_spill_count: 0
    .symbol:         _ZN7rocprim17ROCPRIM_400000_NS6detail17trampoline_kernelINS0_14default_configENS1_25partition_config_selectorILNS1_17partition_subalgoE2EiNS0_10empty_typeEbEEZZNS1_14partition_implILS5_2ELb0ES3_jN6thrust23THRUST_200600_302600_NS6detail15normal_iteratorINSA_7pointerIiNSA_11hip_rocprim3tagENSA_11use_defaultESG_EEEEPS6_NSA_18transform_iteratorI7is_evenIiENSC_INSA_10device_ptrIiEEEESG_SG_EENS0_5tupleIJPiSJ_EEENSR_IJSJ_SJ_EEES6_PlJS6_EEE10hipError_tPvRmT3_T4_T5_T6_T7_T9_mT8_P12ihipStream_tbDpT10_ENKUlT_T0_E_clISt17integral_constantIbLb0EES1F_EEDaS1A_S1B_EUlS1A_E_NS1_11comp_targetILNS1_3genE4ELNS1_11target_archE910ELNS1_3gpuE8ELNS1_3repE0EEENS1_30default_config_static_selectorELNS0_4arch9wavefront6targetE1EEEvT1_.kd
    .uniform_work_group_size: 1
    .uses_dynamic_stack: false
    .vgpr_count:     54
    .vgpr_spill_count: 0
    .wavefront_size: 64
  - .agpr_count:     0
    .args:
      - .offset:         0
        .size:           128
        .value_kind:     by_value
    .group_segment_fixed_size: 0
    .kernarg_segment_align: 8
    .kernarg_segment_size: 128
    .language:       OpenCL C
    .language_version:
      - 2
      - 0
    .max_flat_workgroup_size: 128
    .name:           _ZN7rocprim17ROCPRIM_400000_NS6detail17trampoline_kernelINS0_14default_configENS1_25partition_config_selectorILNS1_17partition_subalgoE2EiNS0_10empty_typeEbEEZZNS1_14partition_implILS5_2ELb0ES3_jN6thrust23THRUST_200600_302600_NS6detail15normal_iteratorINSA_7pointerIiNSA_11hip_rocprim3tagENSA_11use_defaultESG_EEEEPS6_NSA_18transform_iteratorI7is_evenIiENSC_INSA_10device_ptrIiEEEESG_SG_EENS0_5tupleIJPiSJ_EEENSR_IJSJ_SJ_EEES6_PlJS6_EEE10hipError_tPvRmT3_T4_T5_T6_T7_T9_mT8_P12ihipStream_tbDpT10_ENKUlT_T0_E_clISt17integral_constantIbLb0EES1F_EEDaS1A_S1B_EUlS1A_E_NS1_11comp_targetILNS1_3genE3ELNS1_11target_archE908ELNS1_3gpuE7ELNS1_3repE0EEENS1_30default_config_static_selectorELNS0_4arch9wavefront6targetE1EEEvT1_
    .private_segment_fixed_size: 0
    .sgpr_count:     4
    .sgpr_spill_count: 0
    .symbol:         _ZN7rocprim17ROCPRIM_400000_NS6detail17trampoline_kernelINS0_14default_configENS1_25partition_config_selectorILNS1_17partition_subalgoE2EiNS0_10empty_typeEbEEZZNS1_14partition_implILS5_2ELb0ES3_jN6thrust23THRUST_200600_302600_NS6detail15normal_iteratorINSA_7pointerIiNSA_11hip_rocprim3tagENSA_11use_defaultESG_EEEEPS6_NSA_18transform_iteratorI7is_evenIiENSC_INSA_10device_ptrIiEEEESG_SG_EENS0_5tupleIJPiSJ_EEENSR_IJSJ_SJ_EEES6_PlJS6_EEE10hipError_tPvRmT3_T4_T5_T6_T7_T9_mT8_P12ihipStream_tbDpT10_ENKUlT_T0_E_clISt17integral_constantIbLb0EES1F_EEDaS1A_S1B_EUlS1A_E_NS1_11comp_targetILNS1_3genE3ELNS1_11target_archE908ELNS1_3gpuE7ELNS1_3repE0EEENS1_30default_config_static_selectorELNS0_4arch9wavefront6targetE1EEEvT1_.kd
    .uniform_work_group_size: 1
    .uses_dynamic_stack: false
    .vgpr_count:     0
    .vgpr_spill_count: 0
    .wavefront_size: 64
  - .agpr_count:     0
    .args:
      - .offset:         0
        .size:           128
        .value_kind:     by_value
    .group_segment_fixed_size: 0
    .kernarg_segment_align: 8
    .kernarg_segment_size: 128
    .language:       OpenCL C
    .language_version:
      - 2
      - 0
    .max_flat_workgroup_size: 256
    .name:           _ZN7rocprim17ROCPRIM_400000_NS6detail17trampoline_kernelINS0_14default_configENS1_25partition_config_selectorILNS1_17partition_subalgoE2EiNS0_10empty_typeEbEEZZNS1_14partition_implILS5_2ELb0ES3_jN6thrust23THRUST_200600_302600_NS6detail15normal_iteratorINSA_7pointerIiNSA_11hip_rocprim3tagENSA_11use_defaultESG_EEEEPS6_NSA_18transform_iteratorI7is_evenIiENSC_INSA_10device_ptrIiEEEESG_SG_EENS0_5tupleIJPiSJ_EEENSR_IJSJ_SJ_EEES6_PlJS6_EEE10hipError_tPvRmT3_T4_T5_T6_T7_T9_mT8_P12ihipStream_tbDpT10_ENKUlT_T0_E_clISt17integral_constantIbLb0EES1F_EEDaS1A_S1B_EUlS1A_E_NS1_11comp_targetILNS1_3genE2ELNS1_11target_archE906ELNS1_3gpuE6ELNS1_3repE0EEENS1_30default_config_static_selectorELNS0_4arch9wavefront6targetE1EEEvT1_
    .private_segment_fixed_size: 0
    .sgpr_count:     4
    .sgpr_spill_count: 0
    .symbol:         _ZN7rocprim17ROCPRIM_400000_NS6detail17trampoline_kernelINS0_14default_configENS1_25partition_config_selectorILNS1_17partition_subalgoE2EiNS0_10empty_typeEbEEZZNS1_14partition_implILS5_2ELb0ES3_jN6thrust23THRUST_200600_302600_NS6detail15normal_iteratorINSA_7pointerIiNSA_11hip_rocprim3tagENSA_11use_defaultESG_EEEEPS6_NSA_18transform_iteratorI7is_evenIiENSC_INSA_10device_ptrIiEEEESG_SG_EENS0_5tupleIJPiSJ_EEENSR_IJSJ_SJ_EEES6_PlJS6_EEE10hipError_tPvRmT3_T4_T5_T6_T7_T9_mT8_P12ihipStream_tbDpT10_ENKUlT_T0_E_clISt17integral_constantIbLb0EES1F_EEDaS1A_S1B_EUlS1A_E_NS1_11comp_targetILNS1_3genE2ELNS1_11target_archE906ELNS1_3gpuE6ELNS1_3repE0EEENS1_30default_config_static_selectorELNS0_4arch9wavefront6targetE1EEEvT1_.kd
    .uniform_work_group_size: 1
    .uses_dynamic_stack: false
    .vgpr_count:     0
    .vgpr_spill_count: 0
    .wavefront_size: 64
  - .agpr_count:     0
    .args:
      - .offset:         0
        .size:           128
        .value_kind:     by_value
    .group_segment_fixed_size: 0
    .kernarg_segment_align: 8
    .kernarg_segment_size: 128
    .language:       OpenCL C
    .language_version:
      - 2
      - 0
    .max_flat_workgroup_size: 384
    .name:           _ZN7rocprim17ROCPRIM_400000_NS6detail17trampoline_kernelINS0_14default_configENS1_25partition_config_selectorILNS1_17partition_subalgoE2EiNS0_10empty_typeEbEEZZNS1_14partition_implILS5_2ELb0ES3_jN6thrust23THRUST_200600_302600_NS6detail15normal_iteratorINSA_7pointerIiNSA_11hip_rocprim3tagENSA_11use_defaultESG_EEEEPS6_NSA_18transform_iteratorI7is_evenIiENSC_INSA_10device_ptrIiEEEESG_SG_EENS0_5tupleIJPiSJ_EEENSR_IJSJ_SJ_EEES6_PlJS6_EEE10hipError_tPvRmT3_T4_T5_T6_T7_T9_mT8_P12ihipStream_tbDpT10_ENKUlT_T0_E_clISt17integral_constantIbLb0EES1F_EEDaS1A_S1B_EUlS1A_E_NS1_11comp_targetILNS1_3genE10ELNS1_11target_archE1200ELNS1_3gpuE4ELNS1_3repE0EEENS1_30default_config_static_selectorELNS0_4arch9wavefront6targetE1EEEvT1_
    .private_segment_fixed_size: 0
    .sgpr_count:     4
    .sgpr_spill_count: 0
    .symbol:         _ZN7rocprim17ROCPRIM_400000_NS6detail17trampoline_kernelINS0_14default_configENS1_25partition_config_selectorILNS1_17partition_subalgoE2EiNS0_10empty_typeEbEEZZNS1_14partition_implILS5_2ELb0ES3_jN6thrust23THRUST_200600_302600_NS6detail15normal_iteratorINSA_7pointerIiNSA_11hip_rocprim3tagENSA_11use_defaultESG_EEEEPS6_NSA_18transform_iteratorI7is_evenIiENSC_INSA_10device_ptrIiEEEESG_SG_EENS0_5tupleIJPiSJ_EEENSR_IJSJ_SJ_EEES6_PlJS6_EEE10hipError_tPvRmT3_T4_T5_T6_T7_T9_mT8_P12ihipStream_tbDpT10_ENKUlT_T0_E_clISt17integral_constantIbLb0EES1F_EEDaS1A_S1B_EUlS1A_E_NS1_11comp_targetILNS1_3genE10ELNS1_11target_archE1200ELNS1_3gpuE4ELNS1_3repE0EEENS1_30default_config_static_selectorELNS0_4arch9wavefront6targetE1EEEvT1_.kd
    .uniform_work_group_size: 1
    .uses_dynamic_stack: false
    .vgpr_count:     0
    .vgpr_spill_count: 0
    .wavefront_size: 64
  - .agpr_count:     0
    .args:
      - .offset:         0
        .size:           128
        .value_kind:     by_value
    .group_segment_fixed_size: 0
    .kernarg_segment_align: 8
    .kernarg_segment_size: 128
    .language:       OpenCL C
    .language_version:
      - 2
      - 0
    .max_flat_workgroup_size: 128
    .name:           _ZN7rocprim17ROCPRIM_400000_NS6detail17trampoline_kernelINS0_14default_configENS1_25partition_config_selectorILNS1_17partition_subalgoE2EiNS0_10empty_typeEbEEZZNS1_14partition_implILS5_2ELb0ES3_jN6thrust23THRUST_200600_302600_NS6detail15normal_iteratorINSA_7pointerIiNSA_11hip_rocprim3tagENSA_11use_defaultESG_EEEEPS6_NSA_18transform_iteratorI7is_evenIiENSC_INSA_10device_ptrIiEEEESG_SG_EENS0_5tupleIJPiSJ_EEENSR_IJSJ_SJ_EEES6_PlJS6_EEE10hipError_tPvRmT3_T4_T5_T6_T7_T9_mT8_P12ihipStream_tbDpT10_ENKUlT_T0_E_clISt17integral_constantIbLb0EES1F_EEDaS1A_S1B_EUlS1A_E_NS1_11comp_targetILNS1_3genE9ELNS1_11target_archE1100ELNS1_3gpuE3ELNS1_3repE0EEENS1_30default_config_static_selectorELNS0_4arch9wavefront6targetE1EEEvT1_
    .private_segment_fixed_size: 0
    .sgpr_count:     4
    .sgpr_spill_count: 0
    .symbol:         _ZN7rocprim17ROCPRIM_400000_NS6detail17trampoline_kernelINS0_14default_configENS1_25partition_config_selectorILNS1_17partition_subalgoE2EiNS0_10empty_typeEbEEZZNS1_14partition_implILS5_2ELb0ES3_jN6thrust23THRUST_200600_302600_NS6detail15normal_iteratorINSA_7pointerIiNSA_11hip_rocprim3tagENSA_11use_defaultESG_EEEEPS6_NSA_18transform_iteratorI7is_evenIiENSC_INSA_10device_ptrIiEEEESG_SG_EENS0_5tupleIJPiSJ_EEENSR_IJSJ_SJ_EEES6_PlJS6_EEE10hipError_tPvRmT3_T4_T5_T6_T7_T9_mT8_P12ihipStream_tbDpT10_ENKUlT_T0_E_clISt17integral_constantIbLb0EES1F_EEDaS1A_S1B_EUlS1A_E_NS1_11comp_targetILNS1_3genE9ELNS1_11target_archE1100ELNS1_3gpuE3ELNS1_3repE0EEENS1_30default_config_static_selectorELNS0_4arch9wavefront6targetE1EEEvT1_.kd
    .uniform_work_group_size: 1
    .uses_dynamic_stack: false
    .vgpr_count:     0
    .vgpr_spill_count: 0
    .wavefront_size: 64
  - .agpr_count:     0
    .args:
      - .offset:         0
        .size:           128
        .value_kind:     by_value
    .group_segment_fixed_size: 0
    .kernarg_segment_align: 8
    .kernarg_segment_size: 128
    .language:       OpenCL C
    .language_version:
      - 2
      - 0
    .max_flat_workgroup_size: 512
    .name:           _ZN7rocprim17ROCPRIM_400000_NS6detail17trampoline_kernelINS0_14default_configENS1_25partition_config_selectorILNS1_17partition_subalgoE2EiNS0_10empty_typeEbEEZZNS1_14partition_implILS5_2ELb0ES3_jN6thrust23THRUST_200600_302600_NS6detail15normal_iteratorINSA_7pointerIiNSA_11hip_rocprim3tagENSA_11use_defaultESG_EEEEPS6_NSA_18transform_iteratorI7is_evenIiENSC_INSA_10device_ptrIiEEEESG_SG_EENS0_5tupleIJPiSJ_EEENSR_IJSJ_SJ_EEES6_PlJS6_EEE10hipError_tPvRmT3_T4_T5_T6_T7_T9_mT8_P12ihipStream_tbDpT10_ENKUlT_T0_E_clISt17integral_constantIbLb0EES1F_EEDaS1A_S1B_EUlS1A_E_NS1_11comp_targetILNS1_3genE8ELNS1_11target_archE1030ELNS1_3gpuE2ELNS1_3repE0EEENS1_30default_config_static_selectorELNS0_4arch9wavefront6targetE1EEEvT1_
    .private_segment_fixed_size: 0
    .sgpr_count:     4
    .sgpr_spill_count: 0
    .symbol:         _ZN7rocprim17ROCPRIM_400000_NS6detail17trampoline_kernelINS0_14default_configENS1_25partition_config_selectorILNS1_17partition_subalgoE2EiNS0_10empty_typeEbEEZZNS1_14partition_implILS5_2ELb0ES3_jN6thrust23THRUST_200600_302600_NS6detail15normal_iteratorINSA_7pointerIiNSA_11hip_rocprim3tagENSA_11use_defaultESG_EEEEPS6_NSA_18transform_iteratorI7is_evenIiENSC_INSA_10device_ptrIiEEEESG_SG_EENS0_5tupleIJPiSJ_EEENSR_IJSJ_SJ_EEES6_PlJS6_EEE10hipError_tPvRmT3_T4_T5_T6_T7_T9_mT8_P12ihipStream_tbDpT10_ENKUlT_T0_E_clISt17integral_constantIbLb0EES1F_EEDaS1A_S1B_EUlS1A_E_NS1_11comp_targetILNS1_3genE8ELNS1_11target_archE1030ELNS1_3gpuE2ELNS1_3repE0EEENS1_30default_config_static_selectorELNS0_4arch9wavefront6targetE1EEEvT1_.kd
    .uniform_work_group_size: 1
    .uses_dynamic_stack: false
    .vgpr_count:     0
    .vgpr_spill_count: 0
    .wavefront_size: 64
  - .agpr_count:     0
    .args:
      - .offset:         0
        .size:           144
        .value_kind:     by_value
    .group_segment_fixed_size: 0
    .kernarg_segment_align: 8
    .kernarg_segment_size: 144
    .language:       OpenCL C
    .language_version:
      - 2
      - 0
    .max_flat_workgroup_size: 128
    .name:           _ZN7rocprim17ROCPRIM_400000_NS6detail17trampoline_kernelINS0_14default_configENS1_25partition_config_selectorILNS1_17partition_subalgoE2EiNS0_10empty_typeEbEEZZNS1_14partition_implILS5_2ELb0ES3_jN6thrust23THRUST_200600_302600_NS6detail15normal_iteratorINSA_7pointerIiNSA_11hip_rocprim3tagENSA_11use_defaultESG_EEEEPS6_NSA_18transform_iteratorI7is_evenIiENSC_INSA_10device_ptrIiEEEESG_SG_EENS0_5tupleIJPiSJ_EEENSR_IJSJ_SJ_EEES6_PlJS6_EEE10hipError_tPvRmT3_T4_T5_T6_T7_T9_mT8_P12ihipStream_tbDpT10_ENKUlT_T0_E_clISt17integral_constantIbLb1EES1F_EEDaS1A_S1B_EUlS1A_E_NS1_11comp_targetILNS1_3genE0ELNS1_11target_archE4294967295ELNS1_3gpuE0ELNS1_3repE0EEENS1_30default_config_static_selectorELNS0_4arch9wavefront6targetE1EEEvT1_
    .private_segment_fixed_size: 0
    .sgpr_count:     4
    .sgpr_spill_count: 0
    .symbol:         _ZN7rocprim17ROCPRIM_400000_NS6detail17trampoline_kernelINS0_14default_configENS1_25partition_config_selectorILNS1_17partition_subalgoE2EiNS0_10empty_typeEbEEZZNS1_14partition_implILS5_2ELb0ES3_jN6thrust23THRUST_200600_302600_NS6detail15normal_iteratorINSA_7pointerIiNSA_11hip_rocprim3tagENSA_11use_defaultESG_EEEEPS6_NSA_18transform_iteratorI7is_evenIiENSC_INSA_10device_ptrIiEEEESG_SG_EENS0_5tupleIJPiSJ_EEENSR_IJSJ_SJ_EEES6_PlJS6_EEE10hipError_tPvRmT3_T4_T5_T6_T7_T9_mT8_P12ihipStream_tbDpT10_ENKUlT_T0_E_clISt17integral_constantIbLb1EES1F_EEDaS1A_S1B_EUlS1A_E_NS1_11comp_targetILNS1_3genE0ELNS1_11target_archE4294967295ELNS1_3gpuE0ELNS1_3repE0EEENS1_30default_config_static_selectorELNS0_4arch9wavefront6targetE1EEEvT1_.kd
    .uniform_work_group_size: 1
    .uses_dynamic_stack: false
    .vgpr_count:     0
    .vgpr_spill_count: 0
    .wavefront_size: 64
  - .agpr_count:     0
    .args:
      - .offset:         0
        .size:           144
        .value_kind:     by_value
    .group_segment_fixed_size: 0
    .kernarg_segment_align: 8
    .kernarg_segment_size: 144
    .language:       OpenCL C
    .language_version:
      - 2
      - 0
    .max_flat_workgroup_size: 512
    .name:           _ZN7rocprim17ROCPRIM_400000_NS6detail17trampoline_kernelINS0_14default_configENS1_25partition_config_selectorILNS1_17partition_subalgoE2EiNS0_10empty_typeEbEEZZNS1_14partition_implILS5_2ELb0ES3_jN6thrust23THRUST_200600_302600_NS6detail15normal_iteratorINSA_7pointerIiNSA_11hip_rocprim3tagENSA_11use_defaultESG_EEEEPS6_NSA_18transform_iteratorI7is_evenIiENSC_INSA_10device_ptrIiEEEESG_SG_EENS0_5tupleIJPiSJ_EEENSR_IJSJ_SJ_EEES6_PlJS6_EEE10hipError_tPvRmT3_T4_T5_T6_T7_T9_mT8_P12ihipStream_tbDpT10_ENKUlT_T0_E_clISt17integral_constantIbLb1EES1F_EEDaS1A_S1B_EUlS1A_E_NS1_11comp_targetILNS1_3genE5ELNS1_11target_archE942ELNS1_3gpuE9ELNS1_3repE0EEENS1_30default_config_static_selectorELNS0_4arch9wavefront6targetE1EEEvT1_
    .private_segment_fixed_size: 0
    .sgpr_count:     4
    .sgpr_spill_count: 0
    .symbol:         _ZN7rocprim17ROCPRIM_400000_NS6detail17trampoline_kernelINS0_14default_configENS1_25partition_config_selectorILNS1_17partition_subalgoE2EiNS0_10empty_typeEbEEZZNS1_14partition_implILS5_2ELb0ES3_jN6thrust23THRUST_200600_302600_NS6detail15normal_iteratorINSA_7pointerIiNSA_11hip_rocprim3tagENSA_11use_defaultESG_EEEEPS6_NSA_18transform_iteratorI7is_evenIiENSC_INSA_10device_ptrIiEEEESG_SG_EENS0_5tupleIJPiSJ_EEENSR_IJSJ_SJ_EEES6_PlJS6_EEE10hipError_tPvRmT3_T4_T5_T6_T7_T9_mT8_P12ihipStream_tbDpT10_ENKUlT_T0_E_clISt17integral_constantIbLb1EES1F_EEDaS1A_S1B_EUlS1A_E_NS1_11comp_targetILNS1_3genE5ELNS1_11target_archE942ELNS1_3gpuE9ELNS1_3repE0EEENS1_30default_config_static_selectorELNS0_4arch9wavefront6targetE1EEEvT1_.kd
    .uniform_work_group_size: 1
    .uses_dynamic_stack: false
    .vgpr_count:     0
    .vgpr_spill_count: 0
    .wavefront_size: 64
  - .agpr_count:     0
    .args:
      - .offset:         0
        .size:           144
        .value_kind:     by_value
    .group_segment_fixed_size: 10248
    .kernarg_segment_align: 8
    .kernarg_segment_size: 144
    .language:       OpenCL C
    .language_version:
      - 2
      - 0
    .max_flat_workgroup_size: 256
    .name:           _ZN7rocprim17ROCPRIM_400000_NS6detail17trampoline_kernelINS0_14default_configENS1_25partition_config_selectorILNS1_17partition_subalgoE2EiNS0_10empty_typeEbEEZZNS1_14partition_implILS5_2ELb0ES3_jN6thrust23THRUST_200600_302600_NS6detail15normal_iteratorINSA_7pointerIiNSA_11hip_rocprim3tagENSA_11use_defaultESG_EEEEPS6_NSA_18transform_iteratorI7is_evenIiENSC_INSA_10device_ptrIiEEEESG_SG_EENS0_5tupleIJPiSJ_EEENSR_IJSJ_SJ_EEES6_PlJS6_EEE10hipError_tPvRmT3_T4_T5_T6_T7_T9_mT8_P12ihipStream_tbDpT10_ENKUlT_T0_E_clISt17integral_constantIbLb1EES1F_EEDaS1A_S1B_EUlS1A_E_NS1_11comp_targetILNS1_3genE4ELNS1_11target_archE910ELNS1_3gpuE8ELNS1_3repE0EEENS1_30default_config_static_selectorELNS0_4arch9wavefront6targetE1EEEvT1_
    .private_segment_fixed_size: 0
    .sgpr_count:     50
    .sgpr_spill_count: 0
    .symbol:         _ZN7rocprim17ROCPRIM_400000_NS6detail17trampoline_kernelINS0_14default_configENS1_25partition_config_selectorILNS1_17partition_subalgoE2EiNS0_10empty_typeEbEEZZNS1_14partition_implILS5_2ELb0ES3_jN6thrust23THRUST_200600_302600_NS6detail15normal_iteratorINSA_7pointerIiNSA_11hip_rocprim3tagENSA_11use_defaultESG_EEEEPS6_NSA_18transform_iteratorI7is_evenIiENSC_INSA_10device_ptrIiEEEESG_SG_EENS0_5tupleIJPiSJ_EEENSR_IJSJ_SJ_EEES6_PlJS6_EEE10hipError_tPvRmT3_T4_T5_T6_T7_T9_mT8_P12ihipStream_tbDpT10_ENKUlT_T0_E_clISt17integral_constantIbLb1EES1F_EEDaS1A_S1B_EUlS1A_E_NS1_11comp_targetILNS1_3genE4ELNS1_11target_archE910ELNS1_3gpuE8ELNS1_3repE0EEENS1_30default_config_static_selectorELNS0_4arch9wavefront6targetE1EEEvT1_.kd
    .uniform_work_group_size: 1
    .uses_dynamic_stack: false
    .vgpr_count:     56
    .vgpr_spill_count: 0
    .wavefront_size: 64
  - .agpr_count:     0
    .args:
      - .offset:         0
        .size:           144
        .value_kind:     by_value
    .group_segment_fixed_size: 0
    .kernarg_segment_align: 8
    .kernarg_segment_size: 144
    .language:       OpenCL C
    .language_version:
      - 2
      - 0
    .max_flat_workgroup_size: 128
    .name:           _ZN7rocprim17ROCPRIM_400000_NS6detail17trampoline_kernelINS0_14default_configENS1_25partition_config_selectorILNS1_17partition_subalgoE2EiNS0_10empty_typeEbEEZZNS1_14partition_implILS5_2ELb0ES3_jN6thrust23THRUST_200600_302600_NS6detail15normal_iteratorINSA_7pointerIiNSA_11hip_rocprim3tagENSA_11use_defaultESG_EEEEPS6_NSA_18transform_iteratorI7is_evenIiENSC_INSA_10device_ptrIiEEEESG_SG_EENS0_5tupleIJPiSJ_EEENSR_IJSJ_SJ_EEES6_PlJS6_EEE10hipError_tPvRmT3_T4_T5_T6_T7_T9_mT8_P12ihipStream_tbDpT10_ENKUlT_T0_E_clISt17integral_constantIbLb1EES1F_EEDaS1A_S1B_EUlS1A_E_NS1_11comp_targetILNS1_3genE3ELNS1_11target_archE908ELNS1_3gpuE7ELNS1_3repE0EEENS1_30default_config_static_selectorELNS0_4arch9wavefront6targetE1EEEvT1_
    .private_segment_fixed_size: 0
    .sgpr_count:     4
    .sgpr_spill_count: 0
    .symbol:         _ZN7rocprim17ROCPRIM_400000_NS6detail17trampoline_kernelINS0_14default_configENS1_25partition_config_selectorILNS1_17partition_subalgoE2EiNS0_10empty_typeEbEEZZNS1_14partition_implILS5_2ELb0ES3_jN6thrust23THRUST_200600_302600_NS6detail15normal_iteratorINSA_7pointerIiNSA_11hip_rocprim3tagENSA_11use_defaultESG_EEEEPS6_NSA_18transform_iteratorI7is_evenIiENSC_INSA_10device_ptrIiEEEESG_SG_EENS0_5tupleIJPiSJ_EEENSR_IJSJ_SJ_EEES6_PlJS6_EEE10hipError_tPvRmT3_T4_T5_T6_T7_T9_mT8_P12ihipStream_tbDpT10_ENKUlT_T0_E_clISt17integral_constantIbLb1EES1F_EEDaS1A_S1B_EUlS1A_E_NS1_11comp_targetILNS1_3genE3ELNS1_11target_archE908ELNS1_3gpuE7ELNS1_3repE0EEENS1_30default_config_static_selectorELNS0_4arch9wavefront6targetE1EEEvT1_.kd
    .uniform_work_group_size: 1
    .uses_dynamic_stack: false
    .vgpr_count:     0
    .vgpr_spill_count: 0
    .wavefront_size: 64
  - .agpr_count:     0
    .args:
      - .offset:         0
        .size:           144
        .value_kind:     by_value
    .group_segment_fixed_size: 0
    .kernarg_segment_align: 8
    .kernarg_segment_size: 144
    .language:       OpenCL C
    .language_version:
      - 2
      - 0
    .max_flat_workgroup_size: 256
    .name:           _ZN7rocprim17ROCPRIM_400000_NS6detail17trampoline_kernelINS0_14default_configENS1_25partition_config_selectorILNS1_17partition_subalgoE2EiNS0_10empty_typeEbEEZZNS1_14partition_implILS5_2ELb0ES3_jN6thrust23THRUST_200600_302600_NS6detail15normal_iteratorINSA_7pointerIiNSA_11hip_rocprim3tagENSA_11use_defaultESG_EEEEPS6_NSA_18transform_iteratorI7is_evenIiENSC_INSA_10device_ptrIiEEEESG_SG_EENS0_5tupleIJPiSJ_EEENSR_IJSJ_SJ_EEES6_PlJS6_EEE10hipError_tPvRmT3_T4_T5_T6_T7_T9_mT8_P12ihipStream_tbDpT10_ENKUlT_T0_E_clISt17integral_constantIbLb1EES1F_EEDaS1A_S1B_EUlS1A_E_NS1_11comp_targetILNS1_3genE2ELNS1_11target_archE906ELNS1_3gpuE6ELNS1_3repE0EEENS1_30default_config_static_selectorELNS0_4arch9wavefront6targetE1EEEvT1_
    .private_segment_fixed_size: 0
    .sgpr_count:     4
    .sgpr_spill_count: 0
    .symbol:         _ZN7rocprim17ROCPRIM_400000_NS6detail17trampoline_kernelINS0_14default_configENS1_25partition_config_selectorILNS1_17partition_subalgoE2EiNS0_10empty_typeEbEEZZNS1_14partition_implILS5_2ELb0ES3_jN6thrust23THRUST_200600_302600_NS6detail15normal_iteratorINSA_7pointerIiNSA_11hip_rocprim3tagENSA_11use_defaultESG_EEEEPS6_NSA_18transform_iteratorI7is_evenIiENSC_INSA_10device_ptrIiEEEESG_SG_EENS0_5tupleIJPiSJ_EEENSR_IJSJ_SJ_EEES6_PlJS6_EEE10hipError_tPvRmT3_T4_T5_T6_T7_T9_mT8_P12ihipStream_tbDpT10_ENKUlT_T0_E_clISt17integral_constantIbLb1EES1F_EEDaS1A_S1B_EUlS1A_E_NS1_11comp_targetILNS1_3genE2ELNS1_11target_archE906ELNS1_3gpuE6ELNS1_3repE0EEENS1_30default_config_static_selectorELNS0_4arch9wavefront6targetE1EEEvT1_.kd
    .uniform_work_group_size: 1
    .uses_dynamic_stack: false
    .vgpr_count:     0
    .vgpr_spill_count: 0
    .wavefront_size: 64
  - .agpr_count:     0
    .args:
      - .offset:         0
        .size:           144
        .value_kind:     by_value
    .group_segment_fixed_size: 0
    .kernarg_segment_align: 8
    .kernarg_segment_size: 144
    .language:       OpenCL C
    .language_version:
      - 2
      - 0
    .max_flat_workgroup_size: 384
    .name:           _ZN7rocprim17ROCPRIM_400000_NS6detail17trampoline_kernelINS0_14default_configENS1_25partition_config_selectorILNS1_17partition_subalgoE2EiNS0_10empty_typeEbEEZZNS1_14partition_implILS5_2ELb0ES3_jN6thrust23THRUST_200600_302600_NS6detail15normal_iteratorINSA_7pointerIiNSA_11hip_rocprim3tagENSA_11use_defaultESG_EEEEPS6_NSA_18transform_iteratorI7is_evenIiENSC_INSA_10device_ptrIiEEEESG_SG_EENS0_5tupleIJPiSJ_EEENSR_IJSJ_SJ_EEES6_PlJS6_EEE10hipError_tPvRmT3_T4_T5_T6_T7_T9_mT8_P12ihipStream_tbDpT10_ENKUlT_T0_E_clISt17integral_constantIbLb1EES1F_EEDaS1A_S1B_EUlS1A_E_NS1_11comp_targetILNS1_3genE10ELNS1_11target_archE1200ELNS1_3gpuE4ELNS1_3repE0EEENS1_30default_config_static_selectorELNS0_4arch9wavefront6targetE1EEEvT1_
    .private_segment_fixed_size: 0
    .sgpr_count:     4
    .sgpr_spill_count: 0
    .symbol:         _ZN7rocprim17ROCPRIM_400000_NS6detail17trampoline_kernelINS0_14default_configENS1_25partition_config_selectorILNS1_17partition_subalgoE2EiNS0_10empty_typeEbEEZZNS1_14partition_implILS5_2ELb0ES3_jN6thrust23THRUST_200600_302600_NS6detail15normal_iteratorINSA_7pointerIiNSA_11hip_rocprim3tagENSA_11use_defaultESG_EEEEPS6_NSA_18transform_iteratorI7is_evenIiENSC_INSA_10device_ptrIiEEEESG_SG_EENS0_5tupleIJPiSJ_EEENSR_IJSJ_SJ_EEES6_PlJS6_EEE10hipError_tPvRmT3_T4_T5_T6_T7_T9_mT8_P12ihipStream_tbDpT10_ENKUlT_T0_E_clISt17integral_constantIbLb1EES1F_EEDaS1A_S1B_EUlS1A_E_NS1_11comp_targetILNS1_3genE10ELNS1_11target_archE1200ELNS1_3gpuE4ELNS1_3repE0EEENS1_30default_config_static_selectorELNS0_4arch9wavefront6targetE1EEEvT1_.kd
    .uniform_work_group_size: 1
    .uses_dynamic_stack: false
    .vgpr_count:     0
    .vgpr_spill_count: 0
    .wavefront_size: 64
  - .agpr_count:     0
    .args:
      - .offset:         0
        .size:           144
        .value_kind:     by_value
    .group_segment_fixed_size: 0
    .kernarg_segment_align: 8
    .kernarg_segment_size: 144
    .language:       OpenCL C
    .language_version:
      - 2
      - 0
    .max_flat_workgroup_size: 128
    .name:           _ZN7rocprim17ROCPRIM_400000_NS6detail17trampoline_kernelINS0_14default_configENS1_25partition_config_selectorILNS1_17partition_subalgoE2EiNS0_10empty_typeEbEEZZNS1_14partition_implILS5_2ELb0ES3_jN6thrust23THRUST_200600_302600_NS6detail15normal_iteratorINSA_7pointerIiNSA_11hip_rocprim3tagENSA_11use_defaultESG_EEEEPS6_NSA_18transform_iteratorI7is_evenIiENSC_INSA_10device_ptrIiEEEESG_SG_EENS0_5tupleIJPiSJ_EEENSR_IJSJ_SJ_EEES6_PlJS6_EEE10hipError_tPvRmT3_T4_T5_T6_T7_T9_mT8_P12ihipStream_tbDpT10_ENKUlT_T0_E_clISt17integral_constantIbLb1EES1F_EEDaS1A_S1B_EUlS1A_E_NS1_11comp_targetILNS1_3genE9ELNS1_11target_archE1100ELNS1_3gpuE3ELNS1_3repE0EEENS1_30default_config_static_selectorELNS0_4arch9wavefront6targetE1EEEvT1_
    .private_segment_fixed_size: 0
    .sgpr_count:     4
    .sgpr_spill_count: 0
    .symbol:         _ZN7rocprim17ROCPRIM_400000_NS6detail17trampoline_kernelINS0_14default_configENS1_25partition_config_selectorILNS1_17partition_subalgoE2EiNS0_10empty_typeEbEEZZNS1_14partition_implILS5_2ELb0ES3_jN6thrust23THRUST_200600_302600_NS6detail15normal_iteratorINSA_7pointerIiNSA_11hip_rocprim3tagENSA_11use_defaultESG_EEEEPS6_NSA_18transform_iteratorI7is_evenIiENSC_INSA_10device_ptrIiEEEESG_SG_EENS0_5tupleIJPiSJ_EEENSR_IJSJ_SJ_EEES6_PlJS6_EEE10hipError_tPvRmT3_T4_T5_T6_T7_T9_mT8_P12ihipStream_tbDpT10_ENKUlT_T0_E_clISt17integral_constantIbLb1EES1F_EEDaS1A_S1B_EUlS1A_E_NS1_11comp_targetILNS1_3genE9ELNS1_11target_archE1100ELNS1_3gpuE3ELNS1_3repE0EEENS1_30default_config_static_selectorELNS0_4arch9wavefront6targetE1EEEvT1_.kd
    .uniform_work_group_size: 1
    .uses_dynamic_stack: false
    .vgpr_count:     0
    .vgpr_spill_count: 0
    .wavefront_size: 64
  - .agpr_count:     0
    .args:
      - .offset:         0
        .size:           144
        .value_kind:     by_value
    .group_segment_fixed_size: 0
    .kernarg_segment_align: 8
    .kernarg_segment_size: 144
    .language:       OpenCL C
    .language_version:
      - 2
      - 0
    .max_flat_workgroup_size: 512
    .name:           _ZN7rocprim17ROCPRIM_400000_NS6detail17trampoline_kernelINS0_14default_configENS1_25partition_config_selectorILNS1_17partition_subalgoE2EiNS0_10empty_typeEbEEZZNS1_14partition_implILS5_2ELb0ES3_jN6thrust23THRUST_200600_302600_NS6detail15normal_iteratorINSA_7pointerIiNSA_11hip_rocprim3tagENSA_11use_defaultESG_EEEEPS6_NSA_18transform_iteratorI7is_evenIiENSC_INSA_10device_ptrIiEEEESG_SG_EENS0_5tupleIJPiSJ_EEENSR_IJSJ_SJ_EEES6_PlJS6_EEE10hipError_tPvRmT3_T4_T5_T6_T7_T9_mT8_P12ihipStream_tbDpT10_ENKUlT_T0_E_clISt17integral_constantIbLb1EES1F_EEDaS1A_S1B_EUlS1A_E_NS1_11comp_targetILNS1_3genE8ELNS1_11target_archE1030ELNS1_3gpuE2ELNS1_3repE0EEENS1_30default_config_static_selectorELNS0_4arch9wavefront6targetE1EEEvT1_
    .private_segment_fixed_size: 0
    .sgpr_count:     4
    .sgpr_spill_count: 0
    .symbol:         _ZN7rocprim17ROCPRIM_400000_NS6detail17trampoline_kernelINS0_14default_configENS1_25partition_config_selectorILNS1_17partition_subalgoE2EiNS0_10empty_typeEbEEZZNS1_14partition_implILS5_2ELb0ES3_jN6thrust23THRUST_200600_302600_NS6detail15normal_iteratorINSA_7pointerIiNSA_11hip_rocprim3tagENSA_11use_defaultESG_EEEEPS6_NSA_18transform_iteratorI7is_evenIiENSC_INSA_10device_ptrIiEEEESG_SG_EENS0_5tupleIJPiSJ_EEENSR_IJSJ_SJ_EEES6_PlJS6_EEE10hipError_tPvRmT3_T4_T5_T6_T7_T9_mT8_P12ihipStream_tbDpT10_ENKUlT_T0_E_clISt17integral_constantIbLb1EES1F_EEDaS1A_S1B_EUlS1A_E_NS1_11comp_targetILNS1_3genE8ELNS1_11target_archE1030ELNS1_3gpuE2ELNS1_3repE0EEENS1_30default_config_static_selectorELNS0_4arch9wavefront6targetE1EEEvT1_.kd
    .uniform_work_group_size: 1
    .uses_dynamic_stack: false
    .vgpr_count:     0
    .vgpr_spill_count: 0
    .wavefront_size: 64
  - .agpr_count:     0
    .args:
      - .offset:         0
        .size:           128
        .value_kind:     by_value
    .group_segment_fixed_size: 0
    .kernarg_segment_align: 8
    .kernarg_segment_size: 128
    .language:       OpenCL C
    .language_version:
      - 2
      - 0
    .max_flat_workgroup_size: 128
    .name:           _ZN7rocprim17ROCPRIM_400000_NS6detail17trampoline_kernelINS0_14default_configENS1_25partition_config_selectorILNS1_17partition_subalgoE2EiNS0_10empty_typeEbEEZZNS1_14partition_implILS5_2ELb0ES3_jN6thrust23THRUST_200600_302600_NS6detail15normal_iteratorINSA_7pointerIiNSA_11hip_rocprim3tagENSA_11use_defaultESG_EEEEPS6_NSA_18transform_iteratorI7is_evenIiENSC_INSA_10device_ptrIiEEEESG_SG_EENS0_5tupleIJPiSJ_EEENSR_IJSJ_SJ_EEES6_PlJS6_EEE10hipError_tPvRmT3_T4_T5_T6_T7_T9_mT8_P12ihipStream_tbDpT10_ENKUlT_T0_E_clISt17integral_constantIbLb1EES1E_IbLb0EEEEDaS1A_S1B_EUlS1A_E_NS1_11comp_targetILNS1_3genE0ELNS1_11target_archE4294967295ELNS1_3gpuE0ELNS1_3repE0EEENS1_30default_config_static_selectorELNS0_4arch9wavefront6targetE1EEEvT1_
    .private_segment_fixed_size: 0
    .sgpr_count:     4
    .sgpr_spill_count: 0
    .symbol:         _ZN7rocprim17ROCPRIM_400000_NS6detail17trampoline_kernelINS0_14default_configENS1_25partition_config_selectorILNS1_17partition_subalgoE2EiNS0_10empty_typeEbEEZZNS1_14partition_implILS5_2ELb0ES3_jN6thrust23THRUST_200600_302600_NS6detail15normal_iteratorINSA_7pointerIiNSA_11hip_rocprim3tagENSA_11use_defaultESG_EEEEPS6_NSA_18transform_iteratorI7is_evenIiENSC_INSA_10device_ptrIiEEEESG_SG_EENS0_5tupleIJPiSJ_EEENSR_IJSJ_SJ_EEES6_PlJS6_EEE10hipError_tPvRmT3_T4_T5_T6_T7_T9_mT8_P12ihipStream_tbDpT10_ENKUlT_T0_E_clISt17integral_constantIbLb1EES1E_IbLb0EEEEDaS1A_S1B_EUlS1A_E_NS1_11comp_targetILNS1_3genE0ELNS1_11target_archE4294967295ELNS1_3gpuE0ELNS1_3repE0EEENS1_30default_config_static_selectorELNS0_4arch9wavefront6targetE1EEEvT1_.kd
    .uniform_work_group_size: 1
    .uses_dynamic_stack: false
    .vgpr_count:     0
    .vgpr_spill_count: 0
    .wavefront_size: 64
  - .agpr_count:     0
    .args:
      - .offset:         0
        .size:           128
        .value_kind:     by_value
    .group_segment_fixed_size: 0
    .kernarg_segment_align: 8
    .kernarg_segment_size: 128
    .language:       OpenCL C
    .language_version:
      - 2
      - 0
    .max_flat_workgroup_size: 512
    .name:           _ZN7rocprim17ROCPRIM_400000_NS6detail17trampoline_kernelINS0_14default_configENS1_25partition_config_selectorILNS1_17partition_subalgoE2EiNS0_10empty_typeEbEEZZNS1_14partition_implILS5_2ELb0ES3_jN6thrust23THRUST_200600_302600_NS6detail15normal_iteratorINSA_7pointerIiNSA_11hip_rocprim3tagENSA_11use_defaultESG_EEEEPS6_NSA_18transform_iteratorI7is_evenIiENSC_INSA_10device_ptrIiEEEESG_SG_EENS0_5tupleIJPiSJ_EEENSR_IJSJ_SJ_EEES6_PlJS6_EEE10hipError_tPvRmT3_T4_T5_T6_T7_T9_mT8_P12ihipStream_tbDpT10_ENKUlT_T0_E_clISt17integral_constantIbLb1EES1E_IbLb0EEEEDaS1A_S1B_EUlS1A_E_NS1_11comp_targetILNS1_3genE5ELNS1_11target_archE942ELNS1_3gpuE9ELNS1_3repE0EEENS1_30default_config_static_selectorELNS0_4arch9wavefront6targetE1EEEvT1_
    .private_segment_fixed_size: 0
    .sgpr_count:     4
    .sgpr_spill_count: 0
    .symbol:         _ZN7rocprim17ROCPRIM_400000_NS6detail17trampoline_kernelINS0_14default_configENS1_25partition_config_selectorILNS1_17partition_subalgoE2EiNS0_10empty_typeEbEEZZNS1_14partition_implILS5_2ELb0ES3_jN6thrust23THRUST_200600_302600_NS6detail15normal_iteratorINSA_7pointerIiNSA_11hip_rocprim3tagENSA_11use_defaultESG_EEEEPS6_NSA_18transform_iteratorI7is_evenIiENSC_INSA_10device_ptrIiEEEESG_SG_EENS0_5tupleIJPiSJ_EEENSR_IJSJ_SJ_EEES6_PlJS6_EEE10hipError_tPvRmT3_T4_T5_T6_T7_T9_mT8_P12ihipStream_tbDpT10_ENKUlT_T0_E_clISt17integral_constantIbLb1EES1E_IbLb0EEEEDaS1A_S1B_EUlS1A_E_NS1_11comp_targetILNS1_3genE5ELNS1_11target_archE942ELNS1_3gpuE9ELNS1_3repE0EEENS1_30default_config_static_selectorELNS0_4arch9wavefront6targetE1EEEvT1_.kd
    .uniform_work_group_size: 1
    .uses_dynamic_stack: false
    .vgpr_count:     0
    .vgpr_spill_count: 0
    .wavefront_size: 64
  - .agpr_count:     0
    .args:
      - .offset:         0
        .size:           128
        .value_kind:     by_value
    .group_segment_fixed_size: 10248
    .kernarg_segment_align: 8
    .kernarg_segment_size: 128
    .language:       OpenCL C
    .language_version:
      - 2
      - 0
    .max_flat_workgroup_size: 256
    .name:           _ZN7rocprim17ROCPRIM_400000_NS6detail17trampoline_kernelINS0_14default_configENS1_25partition_config_selectorILNS1_17partition_subalgoE2EiNS0_10empty_typeEbEEZZNS1_14partition_implILS5_2ELb0ES3_jN6thrust23THRUST_200600_302600_NS6detail15normal_iteratorINSA_7pointerIiNSA_11hip_rocprim3tagENSA_11use_defaultESG_EEEEPS6_NSA_18transform_iteratorI7is_evenIiENSC_INSA_10device_ptrIiEEEESG_SG_EENS0_5tupleIJPiSJ_EEENSR_IJSJ_SJ_EEES6_PlJS6_EEE10hipError_tPvRmT3_T4_T5_T6_T7_T9_mT8_P12ihipStream_tbDpT10_ENKUlT_T0_E_clISt17integral_constantIbLb1EES1E_IbLb0EEEEDaS1A_S1B_EUlS1A_E_NS1_11comp_targetILNS1_3genE4ELNS1_11target_archE910ELNS1_3gpuE8ELNS1_3repE0EEENS1_30default_config_static_selectorELNS0_4arch9wavefront6targetE1EEEvT1_
    .private_segment_fixed_size: 0
    .sgpr_count:     50
    .sgpr_spill_count: 0
    .symbol:         _ZN7rocprim17ROCPRIM_400000_NS6detail17trampoline_kernelINS0_14default_configENS1_25partition_config_selectorILNS1_17partition_subalgoE2EiNS0_10empty_typeEbEEZZNS1_14partition_implILS5_2ELb0ES3_jN6thrust23THRUST_200600_302600_NS6detail15normal_iteratorINSA_7pointerIiNSA_11hip_rocprim3tagENSA_11use_defaultESG_EEEEPS6_NSA_18transform_iteratorI7is_evenIiENSC_INSA_10device_ptrIiEEEESG_SG_EENS0_5tupleIJPiSJ_EEENSR_IJSJ_SJ_EEES6_PlJS6_EEE10hipError_tPvRmT3_T4_T5_T6_T7_T9_mT8_P12ihipStream_tbDpT10_ENKUlT_T0_E_clISt17integral_constantIbLb1EES1E_IbLb0EEEEDaS1A_S1B_EUlS1A_E_NS1_11comp_targetILNS1_3genE4ELNS1_11target_archE910ELNS1_3gpuE8ELNS1_3repE0EEENS1_30default_config_static_selectorELNS0_4arch9wavefront6targetE1EEEvT1_.kd
    .uniform_work_group_size: 1
    .uses_dynamic_stack: false
    .vgpr_count:     54
    .vgpr_spill_count: 0
    .wavefront_size: 64
  - .agpr_count:     0
    .args:
      - .offset:         0
        .size:           128
        .value_kind:     by_value
    .group_segment_fixed_size: 0
    .kernarg_segment_align: 8
    .kernarg_segment_size: 128
    .language:       OpenCL C
    .language_version:
      - 2
      - 0
    .max_flat_workgroup_size: 128
    .name:           _ZN7rocprim17ROCPRIM_400000_NS6detail17trampoline_kernelINS0_14default_configENS1_25partition_config_selectorILNS1_17partition_subalgoE2EiNS0_10empty_typeEbEEZZNS1_14partition_implILS5_2ELb0ES3_jN6thrust23THRUST_200600_302600_NS6detail15normal_iteratorINSA_7pointerIiNSA_11hip_rocprim3tagENSA_11use_defaultESG_EEEEPS6_NSA_18transform_iteratorI7is_evenIiENSC_INSA_10device_ptrIiEEEESG_SG_EENS0_5tupleIJPiSJ_EEENSR_IJSJ_SJ_EEES6_PlJS6_EEE10hipError_tPvRmT3_T4_T5_T6_T7_T9_mT8_P12ihipStream_tbDpT10_ENKUlT_T0_E_clISt17integral_constantIbLb1EES1E_IbLb0EEEEDaS1A_S1B_EUlS1A_E_NS1_11comp_targetILNS1_3genE3ELNS1_11target_archE908ELNS1_3gpuE7ELNS1_3repE0EEENS1_30default_config_static_selectorELNS0_4arch9wavefront6targetE1EEEvT1_
    .private_segment_fixed_size: 0
    .sgpr_count:     4
    .sgpr_spill_count: 0
    .symbol:         _ZN7rocprim17ROCPRIM_400000_NS6detail17trampoline_kernelINS0_14default_configENS1_25partition_config_selectorILNS1_17partition_subalgoE2EiNS0_10empty_typeEbEEZZNS1_14partition_implILS5_2ELb0ES3_jN6thrust23THRUST_200600_302600_NS6detail15normal_iteratorINSA_7pointerIiNSA_11hip_rocprim3tagENSA_11use_defaultESG_EEEEPS6_NSA_18transform_iteratorI7is_evenIiENSC_INSA_10device_ptrIiEEEESG_SG_EENS0_5tupleIJPiSJ_EEENSR_IJSJ_SJ_EEES6_PlJS6_EEE10hipError_tPvRmT3_T4_T5_T6_T7_T9_mT8_P12ihipStream_tbDpT10_ENKUlT_T0_E_clISt17integral_constantIbLb1EES1E_IbLb0EEEEDaS1A_S1B_EUlS1A_E_NS1_11comp_targetILNS1_3genE3ELNS1_11target_archE908ELNS1_3gpuE7ELNS1_3repE0EEENS1_30default_config_static_selectorELNS0_4arch9wavefront6targetE1EEEvT1_.kd
    .uniform_work_group_size: 1
    .uses_dynamic_stack: false
    .vgpr_count:     0
    .vgpr_spill_count: 0
    .wavefront_size: 64
  - .agpr_count:     0
    .args:
      - .offset:         0
        .size:           128
        .value_kind:     by_value
    .group_segment_fixed_size: 0
    .kernarg_segment_align: 8
    .kernarg_segment_size: 128
    .language:       OpenCL C
    .language_version:
      - 2
      - 0
    .max_flat_workgroup_size: 256
    .name:           _ZN7rocprim17ROCPRIM_400000_NS6detail17trampoline_kernelINS0_14default_configENS1_25partition_config_selectorILNS1_17partition_subalgoE2EiNS0_10empty_typeEbEEZZNS1_14partition_implILS5_2ELb0ES3_jN6thrust23THRUST_200600_302600_NS6detail15normal_iteratorINSA_7pointerIiNSA_11hip_rocprim3tagENSA_11use_defaultESG_EEEEPS6_NSA_18transform_iteratorI7is_evenIiENSC_INSA_10device_ptrIiEEEESG_SG_EENS0_5tupleIJPiSJ_EEENSR_IJSJ_SJ_EEES6_PlJS6_EEE10hipError_tPvRmT3_T4_T5_T6_T7_T9_mT8_P12ihipStream_tbDpT10_ENKUlT_T0_E_clISt17integral_constantIbLb1EES1E_IbLb0EEEEDaS1A_S1B_EUlS1A_E_NS1_11comp_targetILNS1_3genE2ELNS1_11target_archE906ELNS1_3gpuE6ELNS1_3repE0EEENS1_30default_config_static_selectorELNS0_4arch9wavefront6targetE1EEEvT1_
    .private_segment_fixed_size: 0
    .sgpr_count:     4
    .sgpr_spill_count: 0
    .symbol:         _ZN7rocprim17ROCPRIM_400000_NS6detail17trampoline_kernelINS0_14default_configENS1_25partition_config_selectorILNS1_17partition_subalgoE2EiNS0_10empty_typeEbEEZZNS1_14partition_implILS5_2ELb0ES3_jN6thrust23THRUST_200600_302600_NS6detail15normal_iteratorINSA_7pointerIiNSA_11hip_rocprim3tagENSA_11use_defaultESG_EEEEPS6_NSA_18transform_iteratorI7is_evenIiENSC_INSA_10device_ptrIiEEEESG_SG_EENS0_5tupleIJPiSJ_EEENSR_IJSJ_SJ_EEES6_PlJS6_EEE10hipError_tPvRmT3_T4_T5_T6_T7_T9_mT8_P12ihipStream_tbDpT10_ENKUlT_T0_E_clISt17integral_constantIbLb1EES1E_IbLb0EEEEDaS1A_S1B_EUlS1A_E_NS1_11comp_targetILNS1_3genE2ELNS1_11target_archE906ELNS1_3gpuE6ELNS1_3repE0EEENS1_30default_config_static_selectorELNS0_4arch9wavefront6targetE1EEEvT1_.kd
    .uniform_work_group_size: 1
    .uses_dynamic_stack: false
    .vgpr_count:     0
    .vgpr_spill_count: 0
    .wavefront_size: 64
  - .agpr_count:     0
    .args:
      - .offset:         0
        .size:           128
        .value_kind:     by_value
    .group_segment_fixed_size: 0
    .kernarg_segment_align: 8
    .kernarg_segment_size: 128
    .language:       OpenCL C
    .language_version:
      - 2
      - 0
    .max_flat_workgroup_size: 384
    .name:           _ZN7rocprim17ROCPRIM_400000_NS6detail17trampoline_kernelINS0_14default_configENS1_25partition_config_selectorILNS1_17partition_subalgoE2EiNS0_10empty_typeEbEEZZNS1_14partition_implILS5_2ELb0ES3_jN6thrust23THRUST_200600_302600_NS6detail15normal_iteratorINSA_7pointerIiNSA_11hip_rocprim3tagENSA_11use_defaultESG_EEEEPS6_NSA_18transform_iteratorI7is_evenIiENSC_INSA_10device_ptrIiEEEESG_SG_EENS0_5tupleIJPiSJ_EEENSR_IJSJ_SJ_EEES6_PlJS6_EEE10hipError_tPvRmT3_T4_T5_T6_T7_T9_mT8_P12ihipStream_tbDpT10_ENKUlT_T0_E_clISt17integral_constantIbLb1EES1E_IbLb0EEEEDaS1A_S1B_EUlS1A_E_NS1_11comp_targetILNS1_3genE10ELNS1_11target_archE1200ELNS1_3gpuE4ELNS1_3repE0EEENS1_30default_config_static_selectorELNS0_4arch9wavefront6targetE1EEEvT1_
    .private_segment_fixed_size: 0
    .sgpr_count:     4
    .sgpr_spill_count: 0
    .symbol:         _ZN7rocprim17ROCPRIM_400000_NS6detail17trampoline_kernelINS0_14default_configENS1_25partition_config_selectorILNS1_17partition_subalgoE2EiNS0_10empty_typeEbEEZZNS1_14partition_implILS5_2ELb0ES3_jN6thrust23THRUST_200600_302600_NS6detail15normal_iteratorINSA_7pointerIiNSA_11hip_rocprim3tagENSA_11use_defaultESG_EEEEPS6_NSA_18transform_iteratorI7is_evenIiENSC_INSA_10device_ptrIiEEEESG_SG_EENS0_5tupleIJPiSJ_EEENSR_IJSJ_SJ_EEES6_PlJS6_EEE10hipError_tPvRmT3_T4_T5_T6_T7_T9_mT8_P12ihipStream_tbDpT10_ENKUlT_T0_E_clISt17integral_constantIbLb1EES1E_IbLb0EEEEDaS1A_S1B_EUlS1A_E_NS1_11comp_targetILNS1_3genE10ELNS1_11target_archE1200ELNS1_3gpuE4ELNS1_3repE0EEENS1_30default_config_static_selectorELNS0_4arch9wavefront6targetE1EEEvT1_.kd
    .uniform_work_group_size: 1
    .uses_dynamic_stack: false
    .vgpr_count:     0
    .vgpr_spill_count: 0
    .wavefront_size: 64
  - .agpr_count:     0
    .args:
      - .offset:         0
        .size:           128
        .value_kind:     by_value
    .group_segment_fixed_size: 0
    .kernarg_segment_align: 8
    .kernarg_segment_size: 128
    .language:       OpenCL C
    .language_version:
      - 2
      - 0
    .max_flat_workgroup_size: 128
    .name:           _ZN7rocprim17ROCPRIM_400000_NS6detail17trampoline_kernelINS0_14default_configENS1_25partition_config_selectorILNS1_17partition_subalgoE2EiNS0_10empty_typeEbEEZZNS1_14partition_implILS5_2ELb0ES3_jN6thrust23THRUST_200600_302600_NS6detail15normal_iteratorINSA_7pointerIiNSA_11hip_rocprim3tagENSA_11use_defaultESG_EEEEPS6_NSA_18transform_iteratorI7is_evenIiENSC_INSA_10device_ptrIiEEEESG_SG_EENS0_5tupleIJPiSJ_EEENSR_IJSJ_SJ_EEES6_PlJS6_EEE10hipError_tPvRmT3_T4_T5_T6_T7_T9_mT8_P12ihipStream_tbDpT10_ENKUlT_T0_E_clISt17integral_constantIbLb1EES1E_IbLb0EEEEDaS1A_S1B_EUlS1A_E_NS1_11comp_targetILNS1_3genE9ELNS1_11target_archE1100ELNS1_3gpuE3ELNS1_3repE0EEENS1_30default_config_static_selectorELNS0_4arch9wavefront6targetE1EEEvT1_
    .private_segment_fixed_size: 0
    .sgpr_count:     4
    .sgpr_spill_count: 0
    .symbol:         _ZN7rocprim17ROCPRIM_400000_NS6detail17trampoline_kernelINS0_14default_configENS1_25partition_config_selectorILNS1_17partition_subalgoE2EiNS0_10empty_typeEbEEZZNS1_14partition_implILS5_2ELb0ES3_jN6thrust23THRUST_200600_302600_NS6detail15normal_iteratorINSA_7pointerIiNSA_11hip_rocprim3tagENSA_11use_defaultESG_EEEEPS6_NSA_18transform_iteratorI7is_evenIiENSC_INSA_10device_ptrIiEEEESG_SG_EENS0_5tupleIJPiSJ_EEENSR_IJSJ_SJ_EEES6_PlJS6_EEE10hipError_tPvRmT3_T4_T5_T6_T7_T9_mT8_P12ihipStream_tbDpT10_ENKUlT_T0_E_clISt17integral_constantIbLb1EES1E_IbLb0EEEEDaS1A_S1B_EUlS1A_E_NS1_11comp_targetILNS1_3genE9ELNS1_11target_archE1100ELNS1_3gpuE3ELNS1_3repE0EEENS1_30default_config_static_selectorELNS0_4arch9wavefront6targetE1EEEvT1_.kd
    .uniform_work_group_size: 1
    .uses_dynamic_stack: false
    .vgpr_count:     0
    .vgpr_spill_count: 0
    .wavefront_size: 64
  - .agpr_count:     0
    .args:
      - .offset:         0
        .size:           128
        .value_kind:     by_value
    .group_segment_fixed_size: 0
    .kernarg_segment_align: 8
    .kernarg_segment_size: 128
    .language:       OpenCL C
    .language_version:
      - 2
      - 0
    .max_flat_workgroup_size: 512
    .name:           _ZN7rocprim17ROCPRIM_400000_NS6detail17trampoline_kernelINS0_14default_configENS1_25partition_config_selectorILNS1_17partition_subalgoE2EiNS0_10empty_typeEbEEZZNS1_14partition_implILS5_2ELb0ES3_jN6thrust23THRUST_200600_302600_NS6detail15normal_iteratorINSA_7pointerIiNSA_11hip_rocprim3tagENSA_11use_defaultESG_EEEEPS6_NSA_18transform_iteratorI7is_evenIiENSC_INSA_10device_ptrIiEEEESG_SG_EENS0_5tupleIJPiSJ_EEENSR_IJSJ_SJ_EEES6_PlJS6_EEE10hipError_tPvRmT3_T4_T5_T6_T7_T9_mT8_P12ihipStream_tbDpT10_ENKUlT_T0_E_clISt17integral_constantIbLb1EES1E_IbLb0EEEEDaS1A_S1B_EUlS1A_E_NS1_11comp_targetILNS1_3genE8ELNS1_11target_archE1030ELNS1_3gpuE2ELNS1_3repE0EEENS1_30default_config_static_selectorELNS0_4arch9wavefront6targetE1EEEvT1_
    .private_segment_fixed_size: 0
    .sgpr_count:     4
    .sgpr_spill_count: 0
    .symbol:         _ZN7rocprim17ROCPRIM_400000_NS6detail17trampoline_kernelINS0_14default_configENS1_25partition_config_selectorILNS1_17partition_subalgoE2EiNS0_10empty_typeEbEEZZNS1_14partition_implILS5_2ELb0ES3_jN6thrust23THRUST_200600_302600_NS6detail15normal_iteratorINSA_7pointerIiNSA_11hip_rocprim3tagENSA_11use_defaultESG_EEEEPS6_NSA_18transform_iteratorI7is_evenIiENSC_INSA_10device_ptrIiEEEESG_SG_EENS0_5tupleIJPiSJ_EEENSR_IJSJ_SJ_EEES6_PlJS6_EEE10hipError_tPvRmT3_T4_T5_T6_T7_T9_mT8_P12ihipStream_tbDpT10_ENKUlT_T0_E_clISt17integral_constantIbLb1EES1E_IbLb0EEEEDaS1A_S1B_EUlS1A_E_NS1_11comp_targetILNS1_3genE8ELNS1_11target_archE1030ELNS1_3gpuE2ELNS1_3repE0EEENS1_30default_config_static_selectorELNS0_4arch9wavefront6targetE1EEEvT1_.kd
    .uniform_work_group_size: 1
    .uses_dynamic_stack: false
    .vgpr_count:     0
    .vgpr_spill_count: 0
    .wavefront_size: 64
  - .agpr_count:     0
    .args:
      - .offset:         0
        .size:           144
        .value_kind:     by_value
    .group_segment_fixed_size: 0
    .kernarg_segment_align: 8
    .kernarg_segment_size: 144
    .language:       OpenCL C
    .language_version:
      - 2
      - 0
    .max_flat_workgroup_size: 128
    .name:           _ZN7rocprim17ROCPRIM_400000_NS6detail17trampoline_kernelINS0_14default_configENS1_25partition_config_selectorILNS1_17partition_subalgoE2EiNS0_10empty_typeEbEEZZNS1_14partition_implILS5_2ELb0ES3_jN6thrust23THRUST_200600_302600_NS6detail15normal_iteratorINSA_7pointerIiNSA_11hip_rocprim3tagENSA_11use_defaultESG_EEEEPS6_NSA_18transform_iteratorI7is_evenIiENSC_INSA_10device_ptrIiEEEESG_SG_EENS0_5tupleIJPiSJ_EEENSR_IJSJ_SJ_EEES6_PlJS6_EEE10hipError_tPvRmT3_T4_T5_T6_T7_T9_mT8_P12ihipStream_tbDpT10_ENKUlT_T0_E_clISt17integral_constantIbLb0EES1E_IbLb1EEEEDaS1A_S1B_EUlS1A_E_NS1_11comp_targetILNS1_3genE0ELNS1_11target_archE4294967295ELNS1_3gpuE0ELNS1_3repE0EEENS1_30default_config_static_selectorELNS0_4arch9wavefront6targetE1EEEvT1_
    .private_segment_fixed_size: 0
    .sgpr_count:     4
    .sgpr_spill_count: 0
    .symbol:         _ZN7rocprim17ROCPRIM_400000_NS6detail17trampoline_kernelINS0_14default_configENS1_25partition_config_selectorILNS1_17partition_subalgoE2EiNS0_10empty_typeEbEEZZNS1_14partition_implILS5_2ELb0ES3_jN6thrust23THRUST_200600_302600_NS6detail15normal_iteratorINSA_7pointerIiNSA_11hip_rocprim3tagENSA_11use_defaultESG_EEEEPS6_NSA_18transform_iteratorI7is_evenIiENSC_INSA_10device_ptrIiEEEESG_SG_EENS0_5tupleIJPiSJ_EEENSR_IJSJ_SJ_EEES6_PlJS6_EEE10hipError_tPvRmT3_T4_T5_T6_T7_T9_mT8_P12ihipStream_tbDpT10_ENKUlT_T0_E_clISt17integral_constantIbLb0EES1E_IbLb1EEEEDaS1A_S1B_EUlS1A_E_NS1_11comp_targetILNS1_3genE0ELNS1_11target_archE4294967295ELNS1_3gpuE0ELNS1_3repE0EEENS1_30default_config_static_selectorELNS0_4arch9wavefront6targetE1EEEvT1_.kd
    .uniform_work_group_size: 1
    .uses_dynamic_stack: false
    .vgpr_count:     0
    .vgpr_spill_count: 0
    .wavefront_size: 64
  - .agpr_count:     0
    .args:
      - .offset:         0
        .size:           144
        .value_kind:     by_value
    .group_segment_fixed_size: 0
    .kernarg_segment_align: 8
    .kernarg_segment_size: 144
    .language:       OpenCL C
    .language_version:
      - 2
      - 0
    .max_flat_workgroup_size: 512
    .name:           _ZN7rocprim17ROCPRIM_400000_NS6detail17trampoline_kernelINS0_14default_configENS1_25partition_config_selectorILNS1_17partition_subalgoE2EiNS0_10empty_typeEbEEZZNS1_14partition_implILS5_2ELb0ES3_jN6thrust23THRUST_200600_302600_NS6detail15normal_iteratorINSA_7pointerIiNSA_11hip_rocprim3tagENSA_11use_defaultESG_EEEEPS6_NSA_18transform_iteratorI7is_evenIiENSC_INSA_10device_ptrIiEEEESG_SG_EENS0_5tupleIJPiSJ_EEENSR_IJSJ_SJ_EEES6_PlJS6_EEE10hipError_tPvRmT3_T4_T5_T6_T7_T9_mT8_P12ihipStream_tbDpT10_ENKUlT_T0_E_clISt17integral_constantIbLb0EES1E_IbLb1EEEEDaS1A_S1B_EUlS1A_E_NS1_11comp_targetILNS1_3genE5ELNS1_11target_archE942ELNS1_3gpuE9ELNS1_3repE0EEENS1_30default_config_static_selectorELNS0_4arch9wavefront6targetE1EEEvT1_
    .private_segment_fixed_size: 0
    .sgpr_count:     4
    .sgpr_spill_count: 0
    .symbol:         _ZN7rocprim17ROCPRIM_400000_NS6detail17trampoline_kernelINS0_14default_configENS1_25partition_config_selectorILNS1_17partition_subalgoE2EiNS0_10empty_typeEbEEZZNS1_14partition_implILS5_2ELb0ES3_jN6thrust23THRUST_200600_302600_NS6detail15normal_iteratorINSA_7pointerIiNSA_11hip_rocprim3tagENSA_11use_defaultESG_EEEEPS6_NSA_18transform_iteratorI7is_evenIiENSC_INSA_10device_ptrIiEEEESG_SG_EENS0_5tupleIJPiSJ_EEENSR_IJSJ_SJ_EEES6_PlJS6_EEE10hipError_tPvRmT3_T4_T5_T6_T7_T9_mT8_P12ihipStream_tbDpT10_ENKUlT_T0_E_clISt17integral_constantIbLb0EES1E_IbLb1EEEEDaS1A_S1B_EUlS1A_E_NS1_11comp_targetILNS1_3genE5ELNS1_11target_archE942ELNS1_3gpuE9ELNS1_3repE0EEENS1_30default_config_static_selectorELNS0_4arch9wavefront6targetE1EEEvT1_.kd
    .uniform_work_group_size: 1
    .uses_dynamic_stack: false
    .vgpr_count:     0
    .vgpr_spill_count: 0
    .wavefront_size: 64
  - .agpr_count:     0
    .args:
      - .offset:         0
        .size:           144
        .value_kind:     by_value
    .group_segment_fixed_size: 10248
    .kernarg_segment_align: 8
    .kernarg_segment_size: 144
    .language:       OpenCL C
    .language_version:
      - 2
      - 0
    .max_flat_workgroup_size: 256
    .name:           _ZN7rocprim17ROCPRIM_400000_NS6detail17trampoline_kernelINS0_14default_configENS1_25partition_config_selectorILNS1_17partition_subalgoE2EiNS0_10empty_typeEbEEZZNS1_14partition_implILS5_2ELb0ES3_jN6thrust23THRUST_200600_302600_NS6detail15normal_iteratorINSA_7pointerIiNSA_11hip_rocprim3tagENSA_11use_defaultESG_EEEEPS6_NSA_18transform_iteratorI7is_evenIiENSC_INSA_10device_ptrIiEEEESG_SG_EENS0_5tupleIJPiSJ_EEENSR_IJSJ_SJ_EEES6_PlJS6_EEE10hipError_tPvRmT3_T4_T5_T6_T7_T9_mT8_P12ihipStream_tbDpT10_ENKUlT_T0_E_clISt17integral_constantIbLb0EES1E_IbLb1EEEEDaS1A_S1B_EUlS1A_E_NS1_11comp_targetILNS1_3genE4ELNS1_11target_archE910ELNS1_3gpuE8ELNS1_3repE0EEENS1_30default_config_static_selectorELNS0_4arch9wavefront6targetE1EEEvT1_
    .private_segment_fixed_size: 0
    .sgpr_count:     50
    .sgpr_spill_count: 0
    .symbol:         _ZN7rocprim17ROCPRIM_400000_NS6detail17trampoline_kernelINS0_14default_configENS1_25partition_config_selectorILNS1_17partition_subalgoE2EiNS0_10empty_typeEbEEZZNS1_14partition_implILS5_2ELb0ES3_jN6thrust23THRUST_200600_302600_NS6detail15normal_iteratorINSA_7pointerIiNSA_11hip_rocprim3tagENSA_11use_defaultESG_EEEEPS6_NSA_18transform_iteratorI7is_evenIiENSC_INSA_10device_ptrIiEEEESG_SG_EENS0_5tupleIJPiSJ_EEENSR_IJSJ_SJ_EEES6_PlJS6_EEE10hipError_tPvRmT3_T4_T5_T6_T7_T9_mT8_P12ihipStream_tbDpT10_ENKUlT_T0_E_clISt17integral_constantIbLb0EES1E_IbLb1EEEEDaS1A_S1B_EUlS1A_E_NS1_11comp_targetILNS1_3genE4ELNS1_11target_archE910ELNS1_3gpuE8ELNS1_3repE0EEENS1_30default_config_static_selectorELNS0_4arch9wavefront6targetE1EEEvT1_.kd
    .uniform_work_group_size: 1
    .uses_dynamic_stack: false
    .vgpr_count:     56
    .vgpr_spill_count: 0
    .wavefront_size: 64
  - .agpr_count:     0
    .args:
      - .offset:         0
        .size:           144
        .value_kind:     by_value
    .group_segment_fixed_size: 0
    .kernarg_segment_align: 8
    .kernarg_segment_size: 144
    .language:       OpenCL C
    .language_version:
      - 2
      - 0
    .max_flat_workgroup_size: 128
    .name:           _ZN7rocprim17ROCPRIM_400000_NS6detail17trampoline_kernelINS0_14default_configENS1_25partition_config_selectorILNS1_17partition_subalgoE2EiNS0_10empty_typeEbEEZZNS1_14partition_implILS5_2ELb0ES3_jN6thrust23THRUST_200600_302600_NS6detail15normal_iteratorINSA_7pointerIiNSA_11hip_rocprim3tagENSA_11use_defaultESG_EEEEPS6_NSA_18transform_iteratorI7is_evenIiENSC_INSA_10device_ptrIiEEEESG_SG_EENS0_5tupleIJPiSJ_EEENSR_IJSJ_SJ_EEES6_PlJS6_EEE10hipError_tPvRmT3_T4_T5_T6_T7_T9_mT8_P12ihipStream_tbDpT10_ENKUlT_T0_E_clISt17integral_constantIbLb0EES1E_IbLb1EEEEDaS1A_S1B_EUlS1A_E_NS1_11comp_targetILNS1_3genE3ELNS1_11target_archE908ELNS1_3gpuE7ELNS1_3repE0EEENS1_30default_config_static_selectorELNS0_4arch9wavefront6targetE1EEEvT1_
    .private_segment_fixed_size: 0
    .sgpr_count:     4
    .sgpr_spill_count: 0
    .symbol:         _ZN7rocprim17ROCPRIM_400000_NS6detail17trampoline_kernelINS0_14default_configENS1_25partition_config_selectorILNS1_17partition_subalgoE2EiNS0_10empty_typeEbEEZZNS1_14partition_implILS5_2ELb0ES3_jN6thrust23THRUST_200600_302600_NS6detail15normal_iteratorINSA_7pointerIiNSA_11hip_rocprim3tagENSA_11use_defaultESG_EEEEPS6_NSA_18transform_iteratorI7is_evenIiENSC_INSA_10device_ptrIiEEEESG_SG_EENS0_5tupleIJPiSJ_EEENSR_IJSJ_SJ_EEES6_PlJS6_EEE10hipError_tPvRmT3_T4_T5_T6_T7_T9_mT8_P12ihipStream_tbDpT10_ENKUlT_T0_E_clISt17integral_constantIbLb0EES1E_IbLb1EEEEDaS1A_S1B_EUlS1A_E_NS1_11comp_targetILNS1_3genE3ELNS1_11target_archE908ELNS1_3gpuE7ELNS1_3repE0EEENS1_30default_config_static_selectorELNS0_4arch9wavefront6targetE1EEEvT1_.kd
    .uniform_work_group_size: 1
    .uses_dynamic_stack: false
    .vgpr_count:     0
    .vgpr_spill_count: 0
    .wavefront_size: 64
  - .agpr_count:     0
    .args:
      - .offset:         0
        .size:           144
        .value_kind:     by_value
    .group_segment_fixed_size: 0
    .kernarg_segment_align: 8
    .kernarg_segment_size: 144
    .language:       OpenCL C
    .language_version:
      - 2
      - 0
    .max_flat_workgroup_size: 256
    .name:           _ZN7rocprim17ROCPRIM_400000_NS6detail17trampoline_kernelINS0_14default_configENS1_25partition_config_selectorILNS1_17partition_subalgoE2EiNS0_10empty_typeEbEEZZNS1_14partition_implILS5_2ELb0ES3_jN6thrust23THRUST_200600_302600_NS6detail15normal_iteratorINSA_7pointerIiNSA_11hip_rocprim3tagENSA_11use_defaultESG_EEEEPS6_NSA_18transform_iteratorI7is_evenIiENSC_INSA_10device_ptrIiEEEESG_SG_EENS0_5tupleIJPiSJ_EEENSR_IJSJ_SJ_EEES6_PlJS6_EEE10hipError_tPvRmT3_T4_T5_T6_T7_T9_mT8_P12ihipStream_tbDpT10_ENKUlT_T0_E_clISt17integral_constantIbLb0EES1E_IbLb1EEEEDaS1A_S1B_EUlS1A_E_NS1_11comp_targetILNS1_3genE2ELNS1_11target_archE906ELNS1_3gpuE6ELNS1_3repE0EEENS1_30default_config_static_selectorELNS0_4arch9wavefront6targetE1EEEvT1_
    .private_segment_fixed_size: 0
    .sgpr_count:     4
    .sgpr_spill_count: 0
    .symbol:         _ZN7rocprim17ROCPRIM_400000_NS6detail17trampoline_kernelINS0_14default_configENS1_25partition_config_selectorILNS1_17partition_subalgoE2EiNS0_10empty_typeEbEEZZNS1_14partition_implILS5_2ELb0ES3_jN6thrust23THRUST_200600_302600_NS6detail15normal_iteratorINSA_7pointerIiNSA_11hip_rocprim3tagENSA_11use_defaultESG_EEEEPS6_NSA_18transform_iteratorI7is_evenIiENSC_INSA_10device_ptrIiEEEESG_SG_EENS0_5tupleIJPiSJ_EEENSR_IJSJ_SJ_EEES6_PlJS6_EEE10hipError_tPvRmT3_T4_T5_T6_T7_T9_mT8_P12ihipStream_tbDpT10_ENKUlT_T0_E_clISt17integral_constantIbLb0EES1E_IbLb1EEEEDaS1A_S1B_EUlS1A_E_NS1_11comp_targetILNS1_3genE2ELNS1_11target_archE906ELNS1_3gpuE6ELNS1_3repE0EEENS1_30default_config_static_selectorELNS0_4arch9wavefront6targetE1EEEvT1_.kd
    .uniform_work_group_size: 1
    .uses_dynamic_stack: false
    .vgpr_count:     0
    .vgpr_spill_count: 0
    .wavefront_size: 64
  - .agpr_count:     0
    .args:
      - .offset:         0
        .size:           144
        .value_kind:     by_value
    .group_segment_fixed_size: 0
    .kernarg_segment_align: 8
    .kernarg_segment_size: 144
    .language:       OpenCL C
    .language_version:
      - 2
      - 0
    .max_flat_workgroup_size: 384
    .name:           _ZN7rocprim17ROCPRIM_400000_NS6detail17trampoline_kernelINS0_14default_configENS1_25partition_config_selectorILNS1_17partition_subalgoE2EiNS0_10empty_typeEbEEZZNS1_14partition_implILS5_2ELb0ES3_jN6thrust23THRUST_200600_302600_NS6detail15normal_iteratorINSA_7pointerIiNSA_11hip_rocprim3tagENSA_11use_defaultESG_EEEEPS6_NSA_18transform_iteratorI7is_evenIiENSC_INSA_10device_ptrIiEEEESG_SG_EENS0_5tupleIJPiSJ_EEENSR_IJSJ_SJ_EEES6_PlJS6_EEE10hipError_tPvRmT3_T4_T5_T6_T7_T9_mT8_P12ihipStream_tbDpT10_ENKUlT_T0_E_clISt17integral_constantIbLb0EES1E_IbLb1EEEEDaS1A_S1B_EUlS1A_E_NS1_11comp_targetILNS1_3genE10ELNS1_11target_archE1200ELNS1_3gpuE4ELNS1_3repE0EEENS1_30default_config_static_selectorELNS0_4arch9wavefront6targetE1EEEvT1_
    .private_segment_fixed_size: 0
    .sgpr_count:     4
    .sgpr_spill_count: 0
    .symbol:         _ZN7rocprim17ROCPRIM_400000_NS6detail17trampoline_kernelINS0_14default_configENS1_25partition_config_selectorILNS1_17partition_subalgoE2EiNS0_10empty_typeEbEEZZNS1_14partition_implILS5_2ELb0ES3_jN6thrust23THRUST_200600_302600_NS6detail15normal_iteratorINSA_7pointerIiNSA_11hip_rocprim3tagENSA_11use_defaultESG_EEEEPS6_NSA_18transform_iteratorI7is_evenIiENSC_INSA_10device_ptrIiEEEESG_SG_EENS0_5tupleIJPiSJ_EEENSR_IJSJ_SJ_EEES6_PlJS6_EEE10hipError_tPvRmT3_T4_T5_T6_T7_T9_mT8_P12ihipStream_tbDpT10_ENKUlT_T0_E_clISt17integral_constantIbLb0EES1E_IbLb1EEEEDaS1A_S1B_EUlS1A_E_NS1_11comp_targetILNS1_3genE10ELNS1_11target_archE1200ELNS1_3gpuE4ELNS1_3repE0EEENS1_30default_config_static_selectorELNS0_4arch9wavefront6targetE1EEEvT1_.kd
    .uniform_work_group_size: 1
    .uses_dynamic_stack: false
    .vgpr_count:     0
    .vgpr_spill_count: 0
    .wavefront_size: 64
  - .agpr_count:     0
    .args:
      - .offset:         0
        .size:           144
        .value_kind:     by_value
    .group_segment_fixed_size: 0
    .kernarg_segment_align: 8
    .kernarg_segment_size: 144
    .language:       OpenCL C
    .language_version:
      - 2
      - 0
    .max_flat_workgroup_size: 128
    .name:           _ZN7rocprim17ROCPRIM_400000_NS6detail17trampoline_kernelINS0_14default_configENS1_25partition_config_selectorILNS1_17partition_subalgoE2EiNS0_10empty_typeEbEEZZNS1_14partition_implILS5_2ELb0ES3_jN6thrust23THRUST_200600_302600_NS6detail15normal_iteratorINSA_7pointerIiNSA_11hip_rocprim3tagENSA_11use_defaultESG_EEEEPS6_NSA_18transform_iteratorI7is_evenIiENSC_INSA_10device_ptrIiEEEESG_SG_EENS0_5tupleIJPiSJ_EEENSR_IJSJ_SJ_EEES6_PlJS6_EEE10hipError_tPvRmT3_T4_T5_T6_T7_T9_mT8_P12ihipStream_tbDpT10_ENKUlT_T0_E_clISt17integral_constantIbLb0EES1E_IbLb1EEEEDaS1A_S1B_EUlS1A_E_NS1_11comp_targetILNS1_3genE9ELNS1_11target_archE1100ELNS1_3gpuE3ELNS1_3repE0EEENS1_30default_config_static_selectorELNS0_4arch9wavefront6targetE1EEEvT1_
    .private_segment_fixed_size: 0
    .sgpr_count:     4
    .sgpr_spill_count: 0
    .symbol:         _ZN7rocprim17ROCPRIM_400000_NS6detail17trampoline_kernelINS0_14default_configENS1_25partition_config_selectorILNS1_17partition_subalgoE2EiNS0_10empty_typeEbEEZZNS1_14partition_implILS5_2ELb0ES3_jN6thrust23THRUST_200600_302600_NS6detail15normal_iteratorINSA_7pointerIiNSA_11hip_rocprim3tagENSA_11use_defaultESG_EEEEPS6_NSA_18transform_iteratorI7is_evenIiENSC_INSA_10device_ptrIiEEEESG_SG_EENS0_5tupleIJPiSJ_EEENSR_IJSJ_SJ_EEES6_PlJS6_EEE10hipError_tPvRmT3_T4_T5_T6_T7_T9_mT8_P12ihipStream_tbDpT10_ENKUlT_T0_E_clISt17integral_constantIbLb0EES1E_IbLb1EEEEDaS1A_S1B_EUlS1A_E_NS1_11comp_targetILNS1_3genE9ELNS1_11target_archE1100ELNS1_3gpuE3ELNS1_3repE0EEENS1_30default_config_static_selectorELNS0_4arch9wavefront6targetE1EEEvT1_.kd
    .uniform_work_group_size: 1
    .uses_dynamic_stack: false
    .vgpr_count:     0
    .vgpr_spill_count: 0
    .wavefront_size: 64
  - .agpr_count:     0
    .args:
      - .offset:         0
        .size:           144
        .value_kind:     by_value
    .group_segment_fixed_size: 0
    .kernarg_segment_align: 8
    .kernarg_segment_size: 144
    .language:       OpenCL C
    .language_version:
      - 2
      - 0
    .max_flat_workgroup_size: 512
    .name:           _ZN7rocprim17ROCPRIM_400000_NS6detail17trampoline_kernelINS0_14default_configENS1_25partition_config_selectorILNS1_17partition_subalgoE2EiNS0_10empty_typeEbEEZZNS1_14partition_implILS5_2ELb0ES3_jN6thrust23THRUST_200600_302600_NS6detail15normal_iteratorINSA_7pointerIiNSA_11hip_rocprim3tagENSA_11use_defaultESG_EEEEPS6_NSA_18transform_iteratorI7is_evenIiENSC_INSA_10device_ptrIiEEEESG_SG_EENS0_5tupleIJPiSJ_EEENSR_IJSJ_SJ_EEES6_PlJS6_EEE10hipError_tPvRmT3_T4_T5_T6_T7_T9_mT8_P12ihipStream_tbDpT10_ENKUlT_T0_E_clISt17integral_constantIbLb0EES1E_IbLb1EEEEDaS1A_S1B_EUlS1A_E_NS1_11comp_targetILNS1_3genE8ELNS1_11target_archE1030ELNS1_3gpuE2ELNS1_3repE0EEENS1_30default_config_static_selectorELNS0_4arch9wavefront6targetE1EEEvT1_
    .private_segment_fixed_size: 0
    .sgpr_count:     4
    .sgpr_spill_count: 0
    .symbol:         _ZN7rocprim17ROCPRIM_400000_NS6detail17trampoline_kernelINS0_14default_configENS1_25partition_config_selectorILNS1_17partition_subalgoE2EiNS0_10empty_typeEbEEZZNS1_14partition_implILS5_2ELb0ES3_jN6thrust23THRUST_200600_302600_NS6detail15normal_iteratorINSA_7pointerIiNSA_11hip_rocprim3tagENSA_11use_defaultESG_EEEEPS6_NSA_18transform_iteratorI7is_evenIiENSC_INSA_10device_ptrIiEEEESG_SG_EENS0_5tupleIJPiSJ_EEENSR_IJSJ_SJ_EEES6_PlJS6_EEE10hipError_tPvRmT3_T4_T5_T6_T7_T9_mT8_P12ihipStream_tbDpT10_ENKUlT_T0_E_clISt17integral_constantIbLb0EES1E_IbLb1EEEEDaS1A_S1B_EUlS1A_E_NS1_11comp_targetILNS1_3genE8ELNS1_11target_archE1030ELNS1_3gpuE2ELNS1_3repE0EEENS1_30default_config_static_selectorELNS0_4arch9wavefront6targetE1EEEvT1_.kd
    .uniform_work_group_size: 1
    .uses_dynamic_stack: false
    .vgpr_count:     0
    .vgpr_spill_count: 0
    .wavefront_size: 64
  - .agpr_count:     0
    .args:
      - .offset:         0
        .size:           16
        .value_kind:     by_value
      - .offset:         16
        .size:           8
        .value_kind:     by_value
      - .offset:         24
        .size:           8
        .value_kind:     by_value
    .group_segment_fixed_size: 0
    .kernarg_segment_align: 8
    .kernarg_segment_size: 32
    .language:       OpenCL C
    .language_version:
      - 2
      - 0
    .max_flat_workgroup_size: 256
    .name:           _ZN6thrust23THRUST_200600_302600_NS11hip_rocprim14__parallel_for6kernelILj256ENS1_13__swap_ranges6swap_fINS0_6detail15normal_iteratorINS0_10device_ptrIiEEEENS0_16reverse_iteratorISA_EEEElLj1EEEvT0_T1_SF_
    .private_segment_fixed_size: 0
    .sgpr_count:     20
    .sgpr_spill_count: 0
    .symbol:         _ZN6thrust23THRUST_200600_302600_NS11hip_rocprim14__parallel_for6kernelILj256ENS1_13__swap_ranges6swap_fINS0_6detail15normal_iteratorINS0_10device_ptrIiEEEENS0_16reverse_iteratorISA_EEEElLj1EEEvT0_T1_SF_.kd
    .uniform_work_group_size: 1
    .uses_dynamic_stack: false
    .vgpr_count:     7
    .vgpr_spill_count: 0
    .wavefront_size: 64
  - .agpr_count:     0
    .args:
      - .offset:         0
        .size:           128
        .value_kind:     by_value
    .group_segment_fixed_size: 0
    .kernarg_segment_align: 8
    .kernarg_segment_size: 128
    .language:       OpenCL C
    .language_version:
      - 2
      - 0
    .max_flat_workgroup_size: 256
    .name:           _ZN7rocprim17ROCPRIM_400000_NS6detail17trampoline_kernelINS0_14default_configENS1_25partition_config_selectorILNS1_17partition_subalgoE2EsNS0_10empty_typeEbEEZZNS1_14partition_implILS5_2ELb0ES3_jN6thrust23THRUST_200600_302600_NS6detail15normal_iteratorINSA_7pointerIsNSA_11hip_rocprim3tagENSA_11use_defaultESG_EEEEPS6_NSA_18transform_iteratorI7is_evenIsENSC_INSA_10device_ptrIsEEEESG_SG_EENS0_5tupleIJPsSJ_EEENSR_IJSJ_SJ_EEES6_PlJS6_EEE10hipError_tPvRmT3_T4_T5_T6_T7_T9_mT8_P12ihipStream_tbDpT10_ENKUlT_T0_E_clISt17integral_constantIbLb0EES1F_EEDaS1A_S1B_EUlS1A_E_NS1_11comp_targetILNS1_3genE0ELNS1_11target_archE4294967295ELNS1_3gpuE0ELNS1_3repE0EEENS1_30default_config_static_selectorELNS0_4arch9wavefront6targetE1EEEvT1_
    .private_segment_fixed_size: 0
    .sgpr_count:     4
    .sgpr_spill_count: 0
    .symbol:         _ZN7rocprim17ROCPRIM_400000_NS6detail17trampoline_kernelINS0_14default_configENS1_25partition_config_selectorILNS1_17partition_subalgoE2EsNS0_10empty_typeEbEEZZNS1_14partition_implILS5_2ELb0ES3_jN6thrust23THRUST_200600_302600_NS6detail15normal_iteratorINSA_7pointerIsNSA_11hip_rocprim3tagENSA_11use_defaultESG_EEEEPS6_NSA_18transform_iteratorI7is_evenIsENSC_INSA_10device_ptrIsEEEESG_SG_EENS0_5tupleIJPsSJ_EEENSR_IJSJ_SJ_EEES6_PlJS6_EEE10hipError_tPvRmT3_T4_T5_T6_T7_T9_mT8_P12ihipStream_tbDpT10_ENKUlT_T0_E_clISt17integral_constantIbLb0EES1F_EEDaS1A_S1B_EUlS1A_E_NS1_11comp_targetILNS1_3genE0ELNS1_11target_archE4294967295ELNS1_3gpuE0ELNS1_3repE0EEENS1_30default_config_static_selectorELNS0_4arch9wavefront6targetE1EEEvT1_.kd
    .uniform_work_group_size: 1
    .uses_dynamic_stack: false
    .vgpr_count:     0
    .vgpr_spill_count: 0
    .wavefront_size: 64
  - .agpr_count:     0
    .args:
      - .offset:         0
        .size:           128
        .value_kind:     by_value
    .group_segment_fixed_size: 0
    .kernarg_segment_align: 8
    .kernarg_segment_size: 128
    .language:       OpenCL C
    .language_version:
      - 2
      - 0
    .max_flat_workgroup_size: 512
    .name:           _ZN7rocprim17ROCPRIM_400000_NS6detail17trampoline_kernelINS0_14default_configENS1_25partition_config_selectorILNS1_17partition_subalgoE2EsNS0_10empty_typeEbEEZZNS1_14partition_implILS5_2ELb0ES3_jN6thrust23THRUST_200600_302600_NS6detail15normal_iteratorINSA_7pointerIsNSA_11hip_rocprim3tagENSA_11use_defaultESG_EEEEPS6_NSA_18transform_iteratorI7is_evenIsENSC_INSA_10device_ptrIsEEEESG_SG_EENS0_5tupleIJPsSJ_EEENSR_IJSJ_SJ_EEES6_PlJS6_EEE10hipError_tPvRmT3_T4_T5_T6_T7_T9_mT8_P12ihipStream_tbDpT10_ENKUlT_T0_E_clISt17integral_constantIbLb0EES1F_EEDaS1A_S1B_EUlS1A_E_NS1_11comp_targetILNS1_3genE5ELNS1_11target_archE942ELNS1_3gpuE9ELNS1_3repE0EEENS1_30default_config_static_selectorELNS0_4arch9wavefront6targetE1EEEvT1_
    .private_segment_fixed_size: 0
    .sgpr_count:     4
    .sgpr_spill_count: 0
    .symbol:         _ZN7rocprim17ROCPRIM_400000_NS6detail17trampoline_kernelINS0_14default_configENS1_25partition_config_selectorILNS1_17partition_subalgoE2EsNS0_10empty_typeEbEEZZNS1_14partition_implILS5_2ELb0ES3_jN6thrust23THRUST_200600_302600_NS6detail15normal_iteratorINSA_7pointerIsNSA_11hip_rocprim3tagENSA_11use_defaultESG_EEEEPS6_NSA_18transform_iteratorI7is_evenIsENSC_INSA_10device_ptrIsEEEESG_SG_EENS0_5tupleIJPsSJ_EEENSR_IJSJ_SJ_EEES6_PlJS6_EEE10hipError_tPvRmT3_T4_T5_T6_T7_T9_mT8_P12ihipStream_tbDpT10_ENKUlT_T0_E_clISt17integral_constantIbLb0EES1F_EEDaS1A_S1B_EUlS1A_E_NS1_11comp_targetILNS1_3genE5ELNS1_11target_archE942ELNS1_3gpuE9ELNS1_3repE0EEENS1_30default_config_static_selectorELNS0_4arch9wavefront6targetE1EEEvT1_.kd
    .uniform_work_group_size: 1
    .uses_dynamic_stack: false
    .vgpr_count:     0
    .vgpr_spill_count: 0
    .wavefront_size: 64
  - .agpr_count:     0
    .args:
      - .offset:         0
        .size:           128
        .value_kind:     by_value
    .group_segment_fixed_size: 10248
    .kernarg_segment_align: 8
    .kernarg_segment_size: 128
    .language:       OpenCL C
    .language_version:
      - 2
      - 0
    .max_flat_workgroup_size: 256
    .name:           _ZN7rocprim17ROCPRIM_400000_NS6detail17trampoline_kernelINS0_14default_configENS1_25partition_config_selectorILNS1_17partition_subalgoE2EsNS0_10empty_typeEbEEZZNS1_14partition_implILS5_2ELb0ES3_jN6thrust23THRUST_200600_302600_NS6detail15normal_iteratorINSA_7pointerIsNSA_11hip_rocprim3tagENSA_11use_defaultESG_EEEEPS6_NSA_18transform_iteratorI7is_evenIsENSC_INSA_10device_ptrIsEEEESG_SG_EENS0_5tupleIJPsSJ_EEENSR_IJSJ_SJ_EEES6_PlJS6_EEE10hipError_tPvRmT3_T4_T5_T6_T7_T9_mT8_P12ihipStream_tbDpT10_ENKUlT_T0_E_clISt17integral_constantIbLb0EES1F_EEDaS1A_S1B_EUlS1A_E_NS1_11comp_targetILNS1_3genE4ELNS1_11target_archE910ELNS1_3gpuE8ELNS1_3repE0EEENS1_30default_config_static_selectorELNS0_4arch9wavefront6targetE1EEEvT1_
    .private_segment_fixed_size: 0
    .sgpr_count:     50
    .sgpr_spill_count: 0
    .symbol:         _ZN7rocprim17ROCPRIM_400000_NS6detail17trampoline_kernelINS0_14default_configENS1_25partition_config_selectorILNS1_17partition_subalgoE2EsNS0_10empty_typeEbEEZZNS1_14partition_implILS5_2ELb0ES3_jN6thrust23THRUST_200600_302600_NS6detail15normal_iteratorINSA_7pointerIsNSA_11hip_rocprim3tagENSA_11use_defaultESG_EEEEPS6_NSA_18transform_iteratorI7is_evenIsENSC_INSA_10device_ptrIsEEEESG_SG_EENS0_5tupleIJPsSJ_EEENSR_IJSJ_SJ_EEES6_PlJS6_EEE10hipError_tPvRmT3_T4_T5_T6_T7_T9_mT8_P12ihipStream_tbDpT10_ENKUlT_T0_E_clISt17integral_constantIbLb0EES1F_EEDaS1A_S1B_EUlS1A_E_NS1_11comp_targetILNS1_3genE4ELNS1_11target_archE910ELNS1_3gpuE8ELNS1_3repE0EEENS1_30default_config_static_selectorELNS0_4arch9wavefront6targetE1EEEvT1_.kd
    .uniform_work_group_size: 1
    .uses_dynamic_stack: false
    .vgpr_count:     65
    .vgpr_spill_count: 0
    .wavefront_size: 64
  - .agpr_count:     0
    .args:
      - .offset:         0
        .size:           128
        .value_kind:     by_value
    .group_segment_fixed_size: 0
    .kernarg_segment_align: 8
    .kernarg_segment_size: 128
    .language:       OpenCL C
    .language_version:
      - 2
      - 0
    .max_flat_workgroup_size: 256
    .name:           _ZN7rocprim17ROCPRIM_400000_NS6detail17trampoline_kernelINS0_14default_configENS1_25partition_config_selectorILNS1_17partition_subalgoE2EsNS0_10empty_typeEbEEZZNS1_14partition_implILS5_2ELb0ES3_jN6thrust23THRUST_200600_302600_NS6detail15normal_iteratorINSA_7pointerIsNSA_11hip_rocprim3tagENSA_11use_defaultESG_EEEEPS6_NSA_18transform_iteratorI7is_evenIsENSC_INSA_10device_ptrIsEEEESG_SG_EENS0_5tupleIJPsSJ_EEENSR_IJSJ_SJ_EEES6_PlJS6_EEE10hipError_tPvRmT3_T4_T5_T6_T7_T9_mT8_P12ihipStream_tbDpT10_ENKUlT_T0_E_clISt17integral_constantIbLb0EES1F_EEDaS1A_S1B_EUlS1A_E_NS1_11comp_targetILNS1_3genE3ELNS1_11target_archE908ELNS1_3gpuE7ELNS1_3repE0EEENS1_30default_config_static_selectorELNS0_4arch9wavefront6targetE1EEEvT1_
    .private_segment_fixed_size: 0
    .sgpr_count:     4
    .sgpr_spill_count: 0
    .symbol:         _ZN7rocprim17ROCPRIM_400000_NS6detail17trampoline_kernelINS0_14default_configENS1_25partition_config_selectorILNS1_17partition_subalgoE2EsNS0_10empty_typeEbEEZZNS1_14partition_implILS5_2ELb0ES3_jN6thrust23THRUST_200600_302600_NS6detail15normal_iteratorINSA_7pointerIsNSA_11hip_rocprim3tagENSA_11use_defaultESG_EEEEPS6_NSA_18transform_iteratorI7is_evenIsENSC_INSA_10device_ptrIsEEEESG_SG_EENS0_5tupleIJPsSJ_EEENSR_IJSJ_SJ_EEES6_PlJS6_EEE10hipError_tPvRmT3_T4_T5_T6_T7_T9_mT8_P12ihipStream_tbDpT10_ENKUlT_T0_E_clISt17integral_constantIbLb0EES1F_EEDaS1A_S1B_EUlS1A_E_NS1_11comp_targetILNS1_3genE3ELNS1_11target_archE908ELNS1_3gpuE7ELNS1_3repE0EEENS1_30default_config_static_selectorELNS0_4arch9wavefront6targetE1EEEvT1_.kd
    .uniform_work_group_size: 1
    .uses_dynamic_stack: false
    .vgpr_count:     0
    .vgpr_spill_count: 0
    .wavefront_size: 64
  - .agpr_count:     0
    .args:
      - .offset:         0
        .size:           128
        .value_kind:     by_value
    .group_segment_fixed_size: 0
    .kernarg_segment_align: 8
    .kernarg_segment_size: 128
    .language:       OpenCL C
    .language_version:
      - 2
      - 0
    .max_flat_workgroup_size: 256
    .name:           _ZN7rocprim17ROCPRIM_400000_NS6detail17trampoline_kernelINS0_14default_configENS1_25partition_config_selectorILNS1_17partition_subalgoE2EsNS0_10empty_typeEbEEZZNS1_14partition_implILS5_2ELb0ES3_jN6thrust23THRUST_200600_302600_NS6detail15normal_iteratorINSA_7pointerIsNSA_11hip_rocprim3tagENSA_11use_defaultESG_EEEEPS6_NSA_18transform_iteratorI7is_evenIsENSC_INSA_10device_ptrIsEEEESG_SG_EENS0_5tupleIJPsSJ_EEENSR_IJSJ_SJ_EEES6_PlJS6_EEE10hipError_tPvRmT3_T4_T5_T6_T7_T9_mT8_P12ihipStream_tbDpT10_ENKUlT_T0_E_clISt17integral_constantIbLb0EES1F_EEDaS1A_S1B_EUlS1A_E_NS1_11comp_targetILNS1_3genE2ELNS1_11target_archE906ELNS1_3gpuE6ELNS1_3repE0EEENS1_30default_config_static_selectorELNS0_4arch9wavefront6targetE1EEEvT1_
    .private_segment_fixed_size: 0
    .sgpr_count:     4
    .sgpr_spill_count: 0
    .symbol:         _ZN7rocprim17ROCPRIM_400000_NS6detail17trampoline_kernelINS0_14default_configENS1_25partition_config_selectorILNS1_17partition_subalgoE2EsNS0_10empty_typeEbEEZZNS1_14partition_implILS5_2ELb0ES3_jN6thrust23THRUST_200600_302600_NS6detail15normal_iteratorINSA_7pointerIsNSA_11hip_rocprim3tagENSA_11use_defaultESG_EEEEPS6_NSA_18transform_iteratorI7is_evenIsENSC_INSA_10device_ptrIsEEEESG_SG_EENS0_5tupleIJPsSJ_EEENSR_IJSJ_SJ_EEES6_PlJS6_EEE10hipError_tPvRmT3_T4_T5_T6_T7_T9_mT8_P12ihipStream_tbDpT10_ENKUlT_T0_E_clISt17integral_constantIbLb0EES1F_EEDaS1A_S1B_EUlS1A_E_NS1_11comp_targetILNS1_3genE2ELNS1_11target_archE906ELNS1_3gpuE6ELNS1_3repE0EEENS1_30default_config_static_selectorELNS0_4arch9wavefront6targetE1EEEvT1_.kd
    .uniform_work_group_size: 1
    .uses_dynamic_stack: false
    .vgpr_count:     0
    .vgpr_spill_count: 0
    .wavefront_size: 64
  - .agpr_count:     0
    .args:
      - .offset:         0
        .size:           128
        .value_kind:     by_value
    .group_segment_fixed_size: 0
    .kernarg_segment_align: 8
    .kernarg_segment_size: 128
    .language:       OpenCL C
    .language_version:
      - 2
      - 0
    .max_flat_workgroup_size: 256
    .name:           _ZN7rocprim17ROCPRIM_400000_NS6detail17trampoline_kernelINS0_14default_configENS1_25partition_config_selectorILNS1_17partition_subalgoE2EsNS0_10empty_typeEbEEZZNS1_14partition_implILS5_2ELb0ES3_jN6thrust23THRUST_200600_302600_NS6detail15normal_iteratorINSA_7pointerIsNSA_11hip_rocprim3tagENSA_11use_defaultESG_EEEEPS6_NSA_18transform_iteratorI7is_evenIsENSC_INSA_10device_ptrIsEEEESG_SG_EENS0_5tupleIJPsSJ_EEENSR_IJSJ_SJ_EEES6_PlJS6_EEE10hipError_tPvRmT3_T4_T5_T6_T7_T9_mT8_P12ihipStream_tbDpT10_ENKUlT_T0_E_clISt17integral_constantIbLb0EES1F_EEDaS1A_S1B_EUlS1A_E_NS1_11comp_targetILNS1_3genE10ELNS1_11target_archE1200ELNS1_3gpuE4ELNS1_3repE0EEENS1_30default_config_static_selectorELNS0_4arch9wavefront6targetE1EEEvT1_
    .private_segment_fixed_size: 0
    .sgpr_count:     4
    .sgpr_spill_count: 0
    .symbol:         _ZN7rocprim17ROCPRIM_400000_NS6detail17trampoline_kernelINS0_14default_configENS1_25partition_config_selectorILNS1_17partition_subalgoE2EsNS0_10empty_typeEbEEZZNS1_14partition_implILS5_2ELb0ES3_jN6thrust23THRUST_200600_302600_NS6detail15normal_iteratorINSA_7pointerIsNSA_11hip_rocprim3tagENSA_11use_defaultESG_EEEEPS6_NSA_18transform_iteratorI7is_evenIsENSC_INSA_10device_ptrIsEEEESG_SG_EENS0_5tupleIJPsSJ_EEENSR_IJSJ_SJ_EEES6_PlJS6_EEE10hipError_tPvRmT3_T4_T5_T6_T7_T9_mT8_P12ihipStream_tbDpT10_ENKUlT_T0_E_clISt17integral_constantIbLb0EES1F_EEDaS1A_S1B_EUlS1A_E_NS1_11comp_targetILNS1_3genE10ELNS1_11target_archE1200ELNS1_3gpuE4ELNS1_3repE0EEENS1_30default_config_static_selectorELNS0_4arch9wavefront6targetE1EEEvT1_.kd
    .uniform_work_group_size: 1
    .uses_dynamic_stack: false
    .vgpr_count:     0
    .vgpr_spill_count: 0
    .wavefront_size: 64
  - .agpr_count:     0
    .args:
      - .offset:         0
        .size:           128
        .value_kind:     by_value
    .group_segment_fixed_size: 0
    .kernarg_segment_align: 8
    .kernarg_segment_size: 128
    .language:       OpenCL C
    .language_version:
      - 2
      - 0
    .max_flat_workgroup_size: 128
    .name:           _ZN7rocprim17ROCPRIM_400000_NS6detail17trampoline_kernelINS0_14default_configENS1_25partition_config_selectorILNS1_17partition_subalgoE2EsNS0_10empty_typeEbEEZZNS1_14partition_implILS5_2ELb0ES3_jN6thrust23THRUST_200600_302600_NS6detail15normal_iteratorINSA_7pointerIsNSA_11hip_rocprim3tagENSA_11use_defaultESG_EEEEPS6_NSA_18transform_iteratorI7is_evenIsENSC_INSA_10device_ptrIsEEEESG_SG_EENS0_5tupleIJPsSJ_EEENSR_IJSJ_SJ_EEES6_PlJS6_EEE10hipError_tPvRmT3_T4_T5_T6_T7_T9_mT8_P12ihipStream_tbDpT10_ENKUlT_T0_E_clISt17integral_constantIbLb0EES1F_EEDaS1A_S1B_EUlS1A_E_NS1_11comp_targetILNS1_3genE9ELNS1_11target_archE1100ELNS1_3gpuE3ELNS1_3repE0EEENS1_30default_config_static_selectorELNS0_4arch9wavefront6targetE1EEEvT1_
    .private_segment_fixed_size: 0
    .sgpr_count:     4
    .sgpr_spill_count: 0
    .symbol:         _ZN7rocprim17ROCPRIM_400000_NS6detail17trampoline_kernelINS0_14default_configENS1_25partition_config_selectorILNS1_17partition_subalgoE2EsNS0_10empty_typeEbEEZZNS1_14partition_implILS5_2ELb0ES3_jN6thrust23THRUST_200600_302600_NS6detail15normal_iteratorINSA_7pointerIsNSA_11hip_rocprim3tagENSA_11use_defaultESG_EEEEPS6_NSA_18transform_iteratorI7is_evenIsENSC_INSA_10device_ptrIsEEEESG_SG_EENS0_5tupleIJPsSJ_EEENSR_IJSJ_SJ_EEES6_PlJS6_EEE10hipError_tPvRmT3_T4_T5_T6_T7_T9_mT8_P12ihipStream_tbDpT10_ENKUlT_T0_E_clISt17integral_constantIbLb0EES1F_EEDaS1A_S1B_EUlS1A_E_NS1_11comp_targetILNS1_3genE9ELNS1_11target_archE1100ELNS1_3gpuE3ELNS1_3repE0EEENS1_30default_config_static_selectorELNS0_4arch9wavefront6targetE1EEEvT1_.kd
    .uniform_work_group_size: 1
    .uses_dynamic_stack: false
    .vgpr_count:     0
    .vgpr_spill_count: 0
    .wavefront_size: 64
  - .agpr_count:     0
    .args:
      - .offset:         0
        .size:           128
        .value_kind:     by_value
    .group_segment_fixed_size: 0
    .kernarg_segment_align: 8
    .kernarg_segment_size: 128
    .language:       OpenCL C
    .language_version:
      - 2
      - 0
    .max_flat_workgroup_size: 512
    .name:           _ZN7rocprim17ROCPRIM_400000_NS6detail17trampoline_kernelINS0_14default_configENS1_25partition_config_selectorILNS1_17partition_subalgoE2EsNS0_10empty_typeEbEEZZNS1_14partition_implILS5_2ELb0ES3_jN6thrust23THRUST_200600_302600_NS6detail15normal_iteratorINSA_7pointerIsNSA_11hip_rocprim3tagENSA_11use_defaultESG_EEEEPS6_NSA_18transform_iteratorI7is_evenIsENSC_INSA_10device_ptrIsEEEESG_SG_EENS0_5tupleIJPsSJ_EEENSR_IJSJ_SJ_EEES6_PlJS6_EEE10hipError_tPvRmT3_T4_T5_T6_T7_T9_mT8_P12ihipStream_tbDpT10_ENKUlT_T0_E_clISt17integral_constantIbLb0EES1F_EEDaS1A_S1B_EUlS1A_E_NS1_11comp_targetILNS1_3genE8ELNS1_11target_archE1030ELNS1_3gpuE2ELNS1_3repE0EEENS1_30default_config_static_selectorELNS0_4arch9wavefront6targetE1EEEvT1_
    .private_segment_fixed_size: 0
    .sgpr_count:     4
    .sgpr_spill_count: 0
    .symbol:         _ZN7rocprim17ROCPRIM_400000_NS6detail17trampoline_kernelINS0_14default_configENS1_25partition_config_selectorILNS1_17partition_subalgoE2EsNS0_10empty_typeEbEEZZNS1_14partition_implILS5_2ELb0ES3_jN6thrust23THRUST_200600_302600_NS6detail15normal_iteratorINSA_7pointerIsNSA_11hip_rocprim3tagENSA_11use_defaultESG_EEEEPS6_NSA_18transform_iteratorI7is_evenIsENSC_INSA_10device_ptrIsEEEESG_SG_EENS0_5tupleIJPsSJ_EEENSR_IJSJ_SJ_EEES6_PlJS6_EEE10hipError_tPvRmT3_T4_T5_T6_T7_T9_mT8_P12ihipStream_tbDpT10_ENKUlT_T0_E_clISt17integral_constantIbLb0EES1F_EEDaS1A_S1B_EUlS1A_E_NS1_11comp_targetILNS1_3genE8ELNS1_11target_archE1030ELNS1_3gpuE2ELNS1_3repE0EEENS1_30default_config_static_selectorELNS0_4arch9wavefront6targetE1EEEvT1_.kd
    .uniform_work_group_size: 1
    .uses_dynamic_stack: false
    .vgpr_count:     0
    .vgpr_spill_count: 0
    .wavefront_size: 64
  - .agpr_count:     0
    .args:
      - .offset:         0
        .size:           144
        .value_kind:     by_value
    .group_segment_fixed_size: 0
    .kernarg_segment_align: 8
    .kernarg_segment_size: 144
    .language:       OpenCL C
    .language_version:
      - 2
      - 0
    .max_flat_workgroup_size: 256
    .name:           _ZN7rocprim17ROCPRIM_400000_NS6detail17trampoline_kernelINS0_14default_configENS1_25partition_config_selectorILNS1_17partition_subalgoE2EsNS0_10empty_typeEbEEZZNS1_14partition_implILS5_2ELb0ES3_jN6thrust23THRUST_200600_302600_NS6detail15normal_iteratorINSA_7pointerIsNSA_11hip_rocprim3tagENSA_11use_defaultESG_EEEEPS6_NSA_18transform_iteratorI7is_evenIsENSC_INSA_10device_ptrIsEEEESG_SG_EENS0_5tupleIJPsSJ_EEENSR_IJSJ_SJ_EEES6_PlJS6_EEE10hipError_tPvRmT3_T4_T5_T6_T7_T9_mT8_P12ihipStream_tbDpT10_ENKUlT_T0_E_clISt17integral_constantIbLb1EES1F_EEDaS1A_S1B_EUlS1A_E_NS1_11comp_targetILNS1_3genE0ELNS1_11target_archE4294967295ELNS1_3gpuE0ELNS1_3repE0EEENS1_30default_config_static_selectorELNS0_4arch9wavefront6targetE1EEEvT1_
    .private_segment_fixed_size: 0
    .sgpr_count:     4
    .sgpr_spill_count: 0
    .symbol:         _ZN7rocprim17ROCPRIM_400000_NS6detail17trampoline_kernelINS0_14default_configENS1_25partition_config_selectorILNS1_17partition_subalgoE2EsNS0_10empty_typeEbEEZZNS1_14partition_implILS5_2ELb0ES3_jN6thrust23THRUST_200600_302600_NS6detail15normal_iteratorINSA_7pointerIsNSA_11hip_rocprim3tagENSA_11use_defaultESG_EEEEPS6_NSA_18transform_iteratorI7is_evenIsENSC_INSA_10device_ptrIsEEEESG_SG_EENS0_5tupleIJPsSJ_EEENSR_IJSJ_SJ_EEES6_PlJS6_EEE10hipError_tPvRmT3_T4_T5_T6_T7_T9_mT8_P12ihipStream_tbDpT10_ENKUlT_T0_E_clISt17integral_constantIbLb1EES1F_EEDaS1A_S1B_EUlS1A_E_NS1_11comp_targetILNS1_3genE0ELNS1_11target_archE4294967295ELNS1_3gpuE0ELNS1_3repE0EEENS1_30default_config_static_selectorELNS0_4arch9wavefront6targetE1EEEvT1_.kd
    .uniform_work_group_size: 1
    .uses_dynamic_stack: false
    .vgpr_count:     0
    .vgpr_spill_count: 0
    .wavefront_size: 64
  - .agpr_count:     0
    .args:
      - .offset:         0
        .size:           144
        .value_kind:     by_value
    .group_segment_fixed_size: 0
    .kernarg_segment_align: 8
    .kernarg_segment_size: 144
    .language:       OpenCL C
    .language_version:
      - 2
      - 0
    .max_flat_workgroup_size: 512
    .name:           _ZN7rocprim17ROCPRIM_400000_NS6detail17trampoline_kernelINS0_14default_configENS1_25partition_config_selectorILNS1_17partition_subalgoE2EsNS0_10empty_typeEbEEZZNS1_14partition_implILS5_2ELb0ES3_jN6thrust23THRUST_200600_302600_NS6detail15normal_iteratorINSA_7pointerIsNSA_11hip_rocprim3tagENSA_11use_defaultESG_EEEEPS6_NSA_18transform_iteratorI7is_evenIsENSC_INSA_10device_ptrIsEEEESG_SG_EENS0_5tupleIJPsSJ_EEENSR_IJSJ_SJ_EEES6_PlJS6_EEE10hipError_tPvRmT3_T4_T5_T6_T7_T9_mT8_P12ihipStream_tbDpT10_ENKUlT_T0_E_clISt17integral_constantIbLb1EES1F_EEDaS1A_S1B_EUlS1A_E_NS1_11comp_targetILNS1_3genE5ELNS1_11target_archE942ELNS1_3gpuE9ELNS1_3repE0EEENS1_30default_config_static_selectorELNS0_4arch9wavefront6targetE1EEEvT1_
    .private_segment_fixed_size: 0
    .sgpr_count:     4
    .sgpr_spill_count: 0
    .symbol:         _ZN7rocprim17ROCPRIM_400000_NS6detail17trampoline_kernelINS0_14default_configENS1_25partition_config_selectorILNS1_17partition_subalgoE2EsNS0_10empty_typeEbEEZZNS1_14partition_implILS5_2ELb0ES3_jN6thrust23THRUST_200600_302600_NS6detail15normal_iteratorINSA_7pointerIsNSA_11hip_rocprim3tagENSA_11use_defaultESG_EEEEPS6_NSA_18transform_iteratorI7is_evenIsENSC_INSA_10device_ptrIsEEEESG_SG_EENS0_5tupleIJPsSJ_EEENSR_IJSJ_SJ_EEES6_PlJS6_EEE10hipError_tPvRmT3_T4_T5_T6_T7_T9_mT8_P12ihipStream_tbDpT10_ENKUlT_T0_E_clISt17integral_constantIbLb1EES1F_EEDaS1A_S1B_EUlS1A_E_NS1_11comp_targetILNS1_3genE5ELNS1_11target_archE942ELNS1_3gpuE9ELNS1_3repE0EEENS1_30default_config_static_selectorELNS0_4arch9wavefront6targetE1EEEvT1_.kd
    .uniform_work_group_size: 1
    .uses_dynamic_stack: false
    .vgpr_count:     0
    .vgpr_spill_count: 0
    .wavefront_size: 64
  - .agpr_count:     0
    .args:
      - .offset:         0
        .size:           144
        .value_kind:     by_value
    .group_segment_fixed_size: 10248
    .kernarg_segment_align: 8
    .kernarg_segment_size: 144
    .language:       OpenCL C
    .language_version:
      - 2
      - 0
    .max_flat_workgroup_size: 256
    .name:           _ZN7rocprim17ROCPRIM_400000_NS6detail17trampoline_kernelINS0_14default_configENS1_25partition_config_selectorILNS1_17partition_subalgoE2EsNS0_10empty_typeEbEEZZNS1_14partition_implILS5_2ELb0ES3_jN6thrust23THRUST_200600_302600_NS6detail15normal_iteratorINSA_7pointerIsNSA_11hip_rocprim3tagENSA_11use_defaultESG_EEEEPS6_NSA_18transform_iteratorI7is_evenIsENSC_INSA_10device_ptrIsEEEESG_SG_EENS0_5tupleIJPsSJ_EEENSR_IJSJ_SJ_EEES6_PlJS6_EEE10hipError_tPvRmT3_T4_T5_T6_T7_T9_mT8_P12ihipStream_tbDpT10_ENKUlT_T0_E_clISt17integral_constantIbLb1EES1F_EEDaS1A_S1B_EUlS1A_E_NS1_11comp_targetILNS1_3genE4ELNS1_11target_archE910ELNS1_3gpuE8ELNS1_3repE0EEENS1_30default_config_static_selectorELNS0_4arch9wavefront6targetE1EEEvT1_
    .private_segment_fixed_size: 0
    .sgpr_count:     50
    .sgpr_spill_count: 0
    .symbol:         _ZN7rocprim17ROCPRIM_400000_NS6detail17trampoline_kernelINS0_14default_configENS1_25partition_config_selectorILNS1_17partition_subalgoE2EsNS0_10empty_typeEbEEZZNS1_14partition_implILS5_2ELb0ES3_jN6thrust23THRUST_200600_302600_NS6detail15normal_iteratorINSA_7pointerIsNSA_11hip_rocprim3tagENSA_11use_defaultESG_EEEEPS6_NSA_18transform_iteratorI7is_evenIsENSC_INSA_10device_ptrIsEEEESG_SG_EENS0_5tupleIJPsSJ_EEENSR_IJSJ_SJ_EEES6_PlJS6_EEE10hipError_tPvRmT3_T4_T5_T6_T7_T9_mT8_P12ihipStream_tbDpT10_ENKUlT_T0_E_clISt17integral_constantIbLb1EES1F_EEDaS1A_S1B_EUlS1A_E_NS1_11comp_targetILNS1_3genE4ELNS1_11target_archE910ELNS1_3gpuE8ELNS1_3repE0EEENS1_30default_config_static_selectorELNS0_4arch9wavefront6targetE1EEEvT1_.kd
    .uniform_work_group_size: 1
    .uses_dynamic_stack: false
    .vgpr_count:     67
    .vgpr_spill_count: 0
    .wavefront_size: 64
  - .agpr_count:     0
    .args:
      - .offset:         0
        .size:           144
        .value_kind:     by_value
    .group_segment_fixed_size: 0
    .kernarg_segment_align: 8
    .kernarg_segment_size: 144
    .language:       OpenCL C
    .language_version:
      - 2
      - 0
    .max_flat_workgroup_size: 256
    .name:           _ZN7rocprim17ROCPRIM_400000_NS6detail17trampoline_kernelINS0_14default_configENS1_25partition_config_selectorILNS1_17partition_subalgoE2EsNS0_10empty_typeEbEEZZNS1_14partition_implILS5_2ELb0ES3_jN6thrust23THRUST_200600_302600_NS6detail15normal_iteratorINSA_7pointerIsNSA_11hip_rocprim3tagENSA_11use_defaultESG_EEEEPS6_NSA_18transform_iteratorI7is_evenIsENSC_INSA_10device_ptrIsEEEESG_SG_EENS0_5tupleIJPsSJ_EEENSR_IJSJ_SJ_EEES6_PlJS6_EEE10hipError_tPvRmT3_T4_T5_T6_T7_T9_mT8_P12ihipStream_tbDpT10_ENKUlT_T0_E_clISt17integral_constantIbLb1EES1F_EEDaS1A_S1B_EUlS1A_E_NS1_11comp_targetILNS1_3genE3ELNS1_11target_archE908ELNS1_3gpuE7ELNS1_3repE0EEENS1_30default_config_static_selectorELNS0_4arch9wavefront6targetE1EEEvT1_
    .private_segment_fixed_size: 0
    .sgpr_count:     4
    .sgpr_spill_count: 0
    .symbol:         _ZN7rocprim17ROCPRIM_400000_NS6detail17trampoline_kernelINS0_14default_configENS1_25partition_config_selectorILNS1_17partition_subalgoE2EsNS0_10empty_typeEbEEZZNS1_14partition_implILS5_2ELb0ES3_jN6thrust23THRUST_200600_302600_NS6detail15normal_iteratorINSA_7pointerIsNSA_11hip_rocprim3tagENSA_11use_defaultESG_EEEEPS6_NSA_18transform_iteratorI7is_evenIsENSC_INSA_10device_ptrIsEEEESG_SG_EENS0_5tupleIJPsSJ_EEENSR_IJSJ_SJ_EEES6_PlJS6_EEE10hipError_tPvRmT3_T4_T5_T6_T7_T9_mT8_P12ihipStream_tbDpT10_ENKUlT_T0_E_clISt17integral_constantIbLb1EES1F_EEDaS1A_S1B_EUlS1A_E_NS1_11comp_targetILNS1_3genE3ELNS1_11target_archE908ELNS1_3gpuE7ELNS1_3repE0EEENS1_30default_config_static_selectorELNS0_4arch9wavefront6targetE1EEEvT1_.kd
    .uniform_work_group_size: 1
    .uses_dynamic_stack: false
    .vgpr_count:     0
    .vgpr_spill_count: 0
    .wavefront_size: 64
  - .agpr_count:     0
    .args:
      - .offset:         0
        .size:           144
        .value_kind:     by_value
    .group_segment_fixed_size: 0
    .kernarg_segment_align: 8
    .kernarg_segment_size: 144
    .language:       OpenCL C
    .language_version:
      - 2
      - 0
    .max_flat_workgroup_size: 256
    .name:           _ZN7rocprim17ROCPRIM_400000_NS6detail17trampoline_kernelINS0_14default_configENS1_25partition_config_selectorILNS1_17partition_subalgoE2EsNS0_10empty_typeEbEEZZNS1_14partition_implILS5_2ELb0ES3_jN6thrust23THRUST_200600_302600_NS6detail15normal_iteratorINSA_7pointerIsNSA_11hip_rocprim3tagENSA_11use_defaultESG_EEEEPS6_NSA_18transform_iteratorI7is_evenIsENSC_INSA_10device_ptrIsEEEESG_SG_EENS0_5tupleIJPsSJ_EEENSR_IJSJ_SJ_EEES6_PlJS6_EEE10hipError_tPvRmT3_T4_T5_T6_T7_T9_mT8_P12ihipStream_tbDpT10_ENKUlT_T0_E_clISt17integral_constantIbLb1EES1F_EEDaS1A_S1B_EUlS1A_E_NS1_11comp_targetILNS1_3genE2ELNS1_11target_archE906ELNS1_3gpuE6ELNS1_3repE0EEENS1_30default_config_static_selectorELNS0_4arch9wavefront6targetE1EEEvT1_
    .private_segment_fixed_size: 0
    .sgpr_count:     4
    .sgpr_spill_count: 0
    .symbol:         _ZN7rocprim17ROCPRIM_400000_NS6detail17trampoline_kernelINS0_14default_configENS1_25partition_config_selectorILNS1_17partition_subalgoE2EsNS0_10empty_typeEbEEZZNS1_14partition_implILS5_2ELb0ES3_jN6thrust23THRUST_200600_302600_NS6detail15normal_iteratorINSA_7pointerIsNSA_11hip_rocprim3tagENSA_11use_defaultESG_EEEEPS6_NSA_18transform_iteratorI7is_evenIsENSC_INSA_10device_ptrIsEEEESG_SG_EENS0_5tupleIJPsSJ_EEENSR_IJSJ_SJ_EEES6_PlJS6_EEE10hipError_tPvRmT3_T4_T5_T6_T7_T9_mT8_P12ihipStream_tbDpT10_ENKUlT_T0_E_clISt17integral_constantIbLb1EES1F_EEDaS1A_S1B_EUlS1A_E_NS1_11comp_targetILNS1_3genE2ELNS1_11target_archE906ELNS1_3gpuE6ELNS1_3repE0EEENS1_30default_config_static_selectorELNS0_4arch9wavefront6targetE1EEEvT1_.kd
    .uniform_work_group_size: 1
    .uses_dynamic_stack: false
    .vgpr_count:     0
    .vgpr_spill_count: 0
    .wavefront_size: 64
  - .agpr_count:     0
    .args:
      - .offset:         0
        .size:           144
        .value_kind:     by_value
    .group_segment_fixed_size: 0
    .kernarg_segment_align: 8
    .kernarg_segment_size: 144
    .language:       OpenCL C
    .language_version:
      - 2
      - 0
    .max_flat_workgroup_size: 256
    .name:           _ZN7rocprim17ROCPRIM_400000_NS6detail17trampoline_kernelINS0_14default_configENS1_25partition_config_selectorILNS1_17partition_subalgoE2EsNS0_10empty_typeEbEEZZNS1_14partition_implILS5_2ELb0ES3_jN6thrust23THRUST_200600_302600_NS6detail15normal_iteratorINSA_7pointerIsNSA_11hip_rocprim3tagENSA_11use_defaultESG_EEEEPS6_NSA_18transform_iteratorI7is_evenIsENSC_INSA_10device_ptrIsEEEESG_SG_EENS0_5tupleIJPsSJ_EEENSR_IJSJ_SJ_EEES6_PlJS6_EEE10hipError_tPvRmT3_T4_T5_T6_T7_T9_mT8_P12ihipStream_tbDpT10_ENKUlT_T0_E_clISt17integral_constantIbLb1EES1F_EEDaS1A_S1B_EUlS1A_E_NS1_11comp_targetILNS1_3genE10ELNS1_11target_archE1200ELNS1_3gpuE4ELNS1_3repE0EEENS1_30default_config_static_selectorELNS0_4arch9wavefront6targetE1EEEvT1_
    .private_segment_fixed_size: 0
    .sgpr_count:     4
    .sgpr_spill_count: 0
    .symbol:         _ZN7rocprim17ROCPRIM_400000_NS6detail17trampoline_kernelINS0_14default_configENS1_25partition_config_selectorILNS1_17partition_subalgoE2EsNS0_10empty_typeEbEEZZNS1_14partition_implILS5_2ELb0ES3_jN6thrust23THRUST_200600_302600_NS6detail15normal_iteratorINSA_7pointerIsNSA_11hip_rocprim3tagENSA_11use_defaultESG_EEEEPS6_NSA_18transform_iteratorI7is_evenIsENSC_INSA_10device_ptrIsEEEESG_SG_EENS0_5tupleIJPsSJ_EEENSR_IJSJ_SJ_EEES6_PlJS6_EEE10hipError_tPvRmT3_T4_T5_T6_T7_T9_mT8_P12ihipStream_tbDpT10_ENKUlT_T0_E_clISt17integral_constantIbLb1EES1F_EEDaS1A_S1B_EUlS1A_E_NS1_11comp_targetILNS1_3genE10ELNS1_11target_archE1200ELNS1_3gpuE4ELNS1_3repE0EEENS1_30default_config_static_selectorELNS0_4arch9wavefront6targetE1EEEvT1_.kd
    .uniform_work_group_size: 1
    .uses_dynamic_stack: false
    .vgpr_count:     0
    .vgpr_spill_count: 0
    .wavefront_size: 64
  - .agpr_count:     0
    .args:
      - .offset:         0
        .size:           144
        .value_kind:     by_value
    .group_segment_fixed_size: 0
    .kernarg_segment_align: 8
    .kernarg_segment_size: 144
    .language:       OpenCL C
    .language_version:
      - 2
      - 0
    .max_flat_workgroup_size: 128
    .name:           _ZN7rocprim17ROCPRIM_400000_NS6detail17trampoline_kernelINS0_14default_configENS1_25partition_config_selectorILNS1_17partition_subalgoE2EsNS0_10empty_typeEbEEZZNS1_14partition_implILS5_2ELb0ES3_jN6thrust23THRUST_200600_302600_NS6detail15normal_iteratorINSA_7pointerIsNSA_11hip_rocprim3tagENSA_11use_defaultESG_EEEEPS6_NSA_18transform_iteratorI7is_evenIsENSC_INSA_10device_ptrIsEEEESG_SG_EENS0_5tupleIJPsSJ_EEENSR_IJSJ_SJ_EEES6_PlJS6_EEE10hipError_tPvRmT3_T4_T5_T6_T7_T9_mT8_P12ihipStream_tbDpT10_ENKUlT_T0_E_clISt17integral_constantIbLb1EES1F_EEDaS1A_S1B_EUlS1A_E_NS1_11comp_targetILNS1_3genE9ELNS1_11target_archE1100ELNS1_3gpuE3ELNS1_3repE0EEENS1_30default_config_static_selectorELNS0_4arch9wavefront6targetE1EEEvT1_
    .private_segment_fixed_size: 0
    .sgpr_count:     4
    .sgpr_spill_count: 0
    .symbol:         _ZN7rocprim17ROCPRIM_400000_NS6detail17trampoline_kernelINS0_14default_configENS1_25partition_config_selectorILNS1_17partition_subalgoE2EsNS0_10empty_typeEbEEZZNS1_14partition_implILS5_2ELb0ES3_jN6thrust23THRUST_200600_302600_NS6detail15normal_iteratorINSA_7pointerIsNSA_11hip_rocprim3tagENSA_11use_defaultESG_EEEEPS6_NSA_18transform_iteratorI7is_evenIsENSC_INSA_10device_ptrIsEEEESG_SG_EENS0_5tupleIJPsSJ_EEENSR_IJSJ_SJ_EEES6_PlJS6_EEE10hipError_tPvRmT3_T4_T5_T6_T7_T9_mT8_P12ihipStream_tbDpT10_ENKUlT_T0_E_clISt17integral_constantIbLb1EES1F_EEDaS1A_S1B_EUlS1A_E_NS1_11comp_targetILNS1_3genE9ELNS1_11target_archE1100ELNS1_3gpuE3ELNS1_3repE0EEENS1_30default_config_static_selectorELNS0_4arch9wavefront6targetE1EEEvT1_.kd
    .uniform_work_group_size: 1
    .uses_dynamic_stack: false
    .vgpr_count:     0
    .vgpr_spill_count: 0
    .wavefront_size: 64
  - .agpr_count:     0
    .args:
      - .offset:         0
        .size:           144
        .value_kind:     by_value
    .group_segment_fixed_size: 0
    .kernarg_segment_align: 8
    .kernarg_segment_size: 144
    .language:       OpenCL C
    .language_version:
      - 2
      - 0
    .max_flat_workgroup_size: 512
    .name:           _ZN7rocprim17ROCPRIM_400000_NS6detail17trampoline_kernelINS0_14default_configENS1_25partition_config_selectorILNS1_17partition_subalgoE2EsNS0_10empty_typeEbEEZZNS1_14partition_implILS5_2ELb0ES3_jN6thrust23THRUST_200600_302600_NS6detail15normal_iteratorINSA_7pointerIsNSA_11hip_rocprim3tagENSA_11use_defaultESG_EEEEPS6_NSA_18transform_iteratorI7is_evenIsENSC_INSA_10device_ptrIsEEEESG_SG_EENS0_5tupleIJPsSJ_EEENSR_IJSJ_SJ_EEES6_PlJS6_EEE10hipError_tPvRmT3_T4_T5_T6_T7_T9_mT8_P12ihipStream_tbDpT10_ENKUlT_T0_E_clISt17integral_constantIbLb1EES1F_EEDaS1A_S1B_EUlS1A_E_NS1_11comp_targetILNS1_3genE8ELNS1_11target_archE1030ELNS1_3gpuE2ELNS1_3repE0EEENS1_30default_config_static_selectorELNS0_4arch9wavefront6targetE1EEEvT1_
    .private_segment_fixed_size: 0
    .sgpr_count:     4
    .sgpr_spill_count: 0
    .symbol:         _ZN7rocprim17ROCPRIM_400000_NS6detail17trampoline_kernelINS0_14default_configENS1_25partition_config_selectorILNS1_17partition_subalgoE2EsNS0_10empty_typeEbEEZZNS1_14partition_implILS5_2ELb0ES3_jN6thrust23THRUST_200600_302600_NS6detail15normal_iteratorINSA_7pointerIsNSA_11hip_rocprim3tagENSA_11use_defaultESG_EEEEPS6_NSA_18transform_iteratorI7is_evenIsENSC_INSA_10device_ptrIsEEEESG_SG_EENS0_5tupleIJPsSJ_EEENSR_IJSJ_SJ_EEES6_PlJS6_EEE10hipError_tPvRmT3_T4_T5_T6_T7_T9_mT8_P12ihipStream_tbDpT10_ENKUlT_T0_E_clISt17integral_constantIbLb1EES1F_EEDaS1A_S1B_EUlS1A_E_NS1_11comp_targetILNS1_3genE8ELNS1_11target_archE1030ELNS1_3gpuE2ELNS1_3repE0EEENS1_30default_config_static_selectorELNS0_4arch9wavefront6targetE1EEEvT1_.kd
    .uniform_work_group_size: 1
    .uses_dynamic_stack: false
    .vgpr_count:     0
    .vgpr_spill_count: 0
    .wavefront_size: 64
  - .agpr_count:     0
    .args:
      - .offset:         0
        .size:           128
        .value_kind:     by_value
    .group_segment_fixed_size: 0
    .kernarg_segment_align: 8
    .kernarg_segment_size: 128
    .language:       OpenCL C
    .language_version:
      - 2
      - 0
    .max_flat_workgroup_size: 256
    .name:           _ZN7rocprim17ROCPRIM_400000_NS6detail17trampoline_kernelINS0_14default_configENS1_25partition_config_selectorILNS1_17partition_subalgoE2EsNS0_10empty_typeEbEEZZNS1_14partition_implILS5_2ELb0ES3_jN6thrust23THRUST_200600_302600_NS6detail15normal_iteratorINSA_7pointerIsNSA_11hip_rocprim3tagENSA_11use_defaultESG_EEEEPS6_NSA_18transform_iteratorI7is_evenIsENSC_INSA_10device_ptrIsEEEESG_SG_EENS0_5tupleIJPsSJ_EEENSR_IJSJ_SJ_EEES6_PlJS6_EEE10hipError_tPvRmT3_T4_T5_T6_T7_T9_mT8_P12ihipStream_tbDpT10_ENKUlT_T0_E_clISt17integral_constantIbLb1EES1E_IbLb0EEEEDaS1A_S1B_EUlS1A_E_NS1_11comp_targetILNS1_3genE0ELNS1_11target_archE4294967295ELNS1_3gpuE0ELNS1_3repE0EEENS1_30default_config_static_selectorELNS0_4arch9wavefront6targetE1EEEvT1_
    .private_segment_fixed_size: 0
    .sgpr_count:     4
    .sgpr_spill_count: 0
    .symbol:         _ZN7rocprim17ROCPRIM_400000_NS6detail17trampoline_kernelINS0_14default_configENS1_25partition_config_selectorILNS1_17partition_subalgoE2EsNS0_10empty_typeEbEEZZNS1_14partition_implILS5_2ELb0ES3_jN6thrust23THRUST_200600_302600_NS6detail15normal_iteratorINSA_7pointerIsNSA_11hip_rocprim3tagENSA_11use_defaultESG_EEEEPS6_NSA_18transform_iteratorI7is_evenIsENSC_INSA_10device_ptrIsEEEESG_SG_EENS0_5tupleIJPsSJ_EEENSR_IJSJ_SJ_EEES6_PlJS6_EEE10hipError_tPvRmT3_T4_T5_T6_T7_T9_mT8_P12ihipStream_tbDpT10_ENKUlT_T0_E_clISt17integral_constantIbLb1EES1E_IbLb0EEEEDaS1A_S1B_EUlS1A_E_NS1_11comp_targetILNS1_3genE0ELNS1_11target_archE4294967295ELNS1_3gpuE0ELNS1_3repE0EEENS1_30default_config_static_selectorELNS0_4arch9wavefront6targetE1EEEvT1_.kd
    .uniform_work_group_size: 1
    .uses_dynamic_stack: false
    .vgpr_count:     0
    .vgpr_spill_count: 0
    .wavefront_size: 64
  - .agpr_count:     0
    .args:
      - .offset:         0
        .size:           128
        .value_kind:     by_value
    .group_segment_fixed_size: 0
    .kernarg_segment_align: 8
    .kernarg_segment_size: 128
    .language:       OpenCL C
    .language_version:
      - 2
      - 0
    .max_flat_workgroup_size: 512
    .name:           _ZN7rocprim17ROCPRIM_400000_NS6detail17trampoline_kernelINS0_14default_configENS1_25partition_config_selectorILNS1_17partition_subalgoE2EsNS0_10empty_typeEbEEZZNS1_14partition_implILS5_2ELb0ES3_jN6thrust23THRUST_200600_302600_NS6detail15normal_iteratorINSA_7pointerIsNSA_11hip_rocprim3tagENSA_11use_defaultESG_EEEEPS6_NSA_18transform_iteratorI7is_evenIsENSC_INSA_10device_ptrIsEEEESG_SG_EENS0_5tupleIJPsSJ_EEENSR_IJSJ_SJ_EEES6_PlJS6_EEE10hipError_tPvRmT3_T4_T5_T6_T7_T9_mT8_P12ihipStream_tbDpT10_ENKUlT_T0_E_clISt17integral_constantIbLb1EES1E_IbLb0EEEEDaS1A_S1B_EUlS1A_E_NS1_11comp_targetILNS1_3genE5ELNS1_11target_archE942ELNS1_3gpuE9ELNS1_3repE0EEENS1_30default_config_static_selectorELNS0_4arch9wavefront6targetE1EEEvT1_
    .private_segment_fixed_size: 0
    .sgpr_count:     4
    .sgpr_spill_count: 0
    .symbol:         _ZN7rocprim17ROCPRIM_400000_NS6detail17trampoline_kernelINS0_14default_configENS1_25partition_config_selectorILNS1_17partition_subalgoE2EsNS0_10empty_typeEbEEZZNS1_14partition_implILS5_2ELb0ES3_jN6thrust23THRUST_200600_302600_NS6detail15normal_iteratorINSA_7pointerIsNSA_11hip_rocprim3tagENSA_11use_defaultESG_EEEEPS6_NSA_18transform_iteratorI7is_evenIsENSC_INSA_10device_ptrIsEEEESG_SG_EENS0_5tupleIJPsSJ_EEENSR_IJSJ_SJ_EEES6_PlJS6_EEE10hipError_tPvRmT3_T4_T5_T6_T7_T9_mT8_P12ihipStream_tbDpT10_ENKUlT_T0_E_clISt17integral_constantIbLb1EES1E_IbLb0EEEEDaS1A_S1B_EUlS1A_E_NS1_11comp_targetILNS1_3genE5ELNS1_11target_archE942ELNS1_3gpuE9ELNS1_3repE0EEENS1_30default_config_static_selectorELNS0_4arch9wavefront6targetE1EEEvT1_.kd
    .uniform_work_group_size: 1
    .uses_dynamic_stack: false
    .vgpr_count:     0
    .vgpr_spill_count: 0
    .wavefront_size: 64
  - .agpr_count:     0
    .args:
      - .offset:         0
        .size:           128
        .value_kind:     by_value
    .group_segment_fixed_size: 10248
    .kernarg_segment_align: 8
    .kernarg_segment_size: 128
    .language:       OpenCL C
    .language_version:
      - 2
      - 0
    .max_flat_workgroup_size: 256
    .name:           _ZN7rocprim17ROCPRIM_400000_NS6detail17trampoline_kernelINS0_14default_configENS1_25partition_config_selectorILNS1_17partition_subalgoE2EsNS0_10empty_typeEbEEZZNS1_14partition_implILS5_2ELb0ES3_jN6thrust23THRUST_200600_302600_NS6detail15normal_iteratorINSA_7pointerIsNSA_11hip_rocprim3tagENSA_11use_defaultESG_EEEEPS6_NSA_18transform_iteratorI7is_evenIsENSC_INSA_10device_ptrIsEEEESG_SG_EENS0_5tupleIJPsSJ_EEENSR_IJSJ_SJ_EEES6_PlJS6_EEE10hipError_tPvRmT3_T4_T5_T6_T7_T9_mT8_P12ihipStream_tbDpT10_ENKUlT_T0_E_clISt17integral_constantIbLb1EES1E_IbLb0EEEEDaS1A_S1B_EUlS1A_E_NS1_11comp_targetILNS1_3genE4ELNS1_11target_archE910ELNS1_3gpuE8ELNS1_3repE0EEENS1_30default_config_static_selectorELNS0_4arch9wavefront6targetE1EEEvT1_
    .private_segment_fixed_size: 0
    .sgpr_count:     50
    .sgpr_spill_count: 0
    .symbol:         _ZN7rocprim17ROCPRIM_400000_NS6detail17trampoline_kernelINS0_14default_configENS1_25partition_config_selectorILNS1_17partition_subalgoE2EsNS0_10empty_typeEbEEZZNS1_14partition_implILS5_2ELb0ES3_jN6thrust23THRUST_200600_302600_NS6detail15normal_iteratorINSA_7pointerIsNSA_11hip_rocprim3tagENSA_11use_defaultESG_EEEEPS6_NSA_18transform_iteratorI7is_evenIsENSC_INSA_10device_ptrIsEEEESG_SG_EENS0_5tupleIJPsSJ_EEENSR_IJSJ_SJ_EEES6_PlJS6_EEE10hipError_tPvRmT3_T4_T5_T6_T7_T9_mT8_P12ihipStream_tbDpT10_ENKUlT_T0_E_clISt17integral_constantIbLb1EES1E_IbLb0EEEEDaS1A_S1B_EUlS1A_E_NS1_11comp_targetILNS1_3genE4ELNS1_11target_archE910ELNS1_3gpuE8ELNS1_3repE0EEENS1_30default_config_static_selectorELNS0_4arch9wavefront6targetE1EEEvT1_.kd
    .uniform_work_group_size: 1
    .uses_dynamic_stack: false
    .vgpr_count:     65
    .vgpr_spill_count: 0
    .wavefront_size: 64
  - .agpr_count:     0
    .args:
      - .offset:         0
        .size:           128
        .value_kind:     by_value
    .group_segment_fixed_size: 0
    .kernarg_segment_align: 8
    .kernarg_segment_size: 128
    .language:       OpenCL C
    .language_version:
      - 2
      - 0
    .max_flat_workgroup_size: 256
    .name:           _ZN7rocprim17ROCPRIM_400000_NS6detail17trampoline_kernelINS0_14default_configENS1_25partition_config_selectorILNS1_17partition_subalgoE2EsNS0_10empty_typeEbEEZZNS1_14partition_implILS5_2ELb0ES3_jN6thrust23THRUST_200600_302600_NS6detail15normal_iteratorINSA_7pointerIsNSA_11hip_rocprim3tagENSA_11use_defaultESG_EEEEPS6_NSA_18transform_iteratorI7is_evenIsENSC_INSA_10device_ptrIsEEEESG_SG_EENS0_5tupleIJPsSJ_EEENSR_IJSJ_SJ_EEES6_PlJS6_EEE10hipError_tPvRmT3_T4_T5_T6_T7_T9_mT8_P12ihipStream_tbDpT10_ENKUlT_T0_E_clISt17integral_constantIbLb1EES1E_IbLb0EEEEDaS1A_S1B_EUlS1A_E_NS1_11comp_targetILNS1_3genE3ELNS1_11target_archE908ELNS1_3gpuE7ELNS1_3repE0EEENS1_30default_config_static_selectorELNS0_4arch9wavefront6targetE1EEEvT1_
    .private_segment_fixed_size: 0
    .sgpr_count:     4
    .sgpr_spill_count: 0
    .symbol:         _ZN7rocprim17ROCPRIM_400000_NS6detail17trampoline_kernelINS0_14default_configENS1_25partition_config_selectorILNS1_17partition_subalgoE2EsNS0_10empty_typeEbEEZZNS1_14partition_implILS5_2ELb0ES3_jN6thrust23THRUST_200600_302600_NS6detail15normal_iteratorINSA_7pointerIsNSA_11hip_rocprim3tagENSA_11use_defaultESG_EEEEPS6_NSA_18transform_iteratorI7is_evenIsENSC_INSA_10device_ptrIsEEEESG_SG_EENS0_5tupleIJPsSJ_EEENSR_IJSJ_SJ_EEES6_PlJS6_EEE10hipError_tPvRmT3_T4_T5_T6_T7_T9_mT8_P12ihipStream_tbDpT10_ENKUlT_T0_E_clISt17integral_constantIbLb1EES1E_IbLb0EEEEDaS1A_S1B_EUlS1A_E_NS1_11comp_targetILNS1_3genE3ELNS1_11target_archE908ELNS1_3gpuE7ELNS1_3repE0EEENS1_30default_config_static_selectorELNS0_4arch9wavefront6targetE1EEEvT1_.kd
    .uniform_work_group_size: 1
    .uses_dynamic_stack: false
    .vgpr_count:     0
    .vgpr_spill_count: 0
    .wavefront_size: 64
  - .agpr_count:     0
    .args:
      - .offset:         0
        .size:           128
        .value_kind:     by_value
    .group_segment_fixed_size: 0
    .kernarg_segment_align: 8
    .kernarg_segment_size: 128
    .language:       OpenCL C
    .language_version:
      - 2
      - 0
    .max_flat_workgroup_size: 256
    .name:           _ZN7rocprim17ROCPRIM_400000_NS6detail17trampoline_kernelINS0_14default_configENS1_25partition_config_selectorILNS1_17partition_subalgoE2EsNS0_10empty_typeEbEEZZNS1_14partition_implILS5_2ELb0ES3_jN6thrust23THRUST_200600_302600_NS6detail15normal_iteratorINSA_7pointerIsNSA_11hip_rocprim3tagENSA_11use_defaultESG_EEEEPS6_NSA_18transform_iteratorI7is_evenIsENSC_INSA_10device_ptrIsEEEESG_SG_EENS0_5tupleIJPsSJ_EEENSR_IJSJ_SJ_EEES6_PlJS6_EEE10hipError_tPvRmT3_T4_T5_T6_T7_T9_mT8_P12ihipStream_tbDpT10_ENKUlT_T0_E_clISt17integral_constantIbLb1EES1E_IbLb0EEEEDaS1A_S1B_EUlS1A_E_NS1_11comp_targetILNS1_3genE2ELNS1_11target_archE906ELNS1_3gpuE6ELNS1_3repE0EEENS1_30default_config_static_selectorELNS0_4arch9wavefront6targetE1EEEvT1_
    .private_segment_fixed_size: 0
    .sgpr_count:     4
    .sgpr_spill_count: 0
    .symbol:         _ZN7rocprim17ROCPRIM_400000_NS6detail17trampoline_kernelINS0_14default_configENS1_25partition_config_selectorILNS1_17partition_subalgoE2EsNS0_10empty_typeEbEEZZNS1_14partition_implILS5_2ELb0ES3_jN6thrust23THRUST_200600_302600_NS6detail15normal_iteratorINSA_7pointerIsNSA_11hip_rocprim3tagENSA_11use_defaultESG_EEEEPS6_NSA_18transform_iteratorI7is_evenIsENSC_INSA_10device_ptrIsEEEESG_SG_EENS0_5tupleIJPsSJ_EEENSR_IJSJ_SJ_EEES6_PlJS6_EEE10hipError_tPvRmT3_T4_T5_T6_T7_T9_mT8_P12ihipStream_tbDpT10_ENKUlT_T0_E_clISt17integral_constantIbLb1EES1E_IbLb0EEEEDaS1A_S1B_EUlS1A_E_NS1_11comp_targetILNS1_3genE2ELNS1_11target_archE906ELNS1_3gpuE6ELNS1_3repE0EEENS1_30default_config_static_selectorELNS0_4arch9wavefront6targetE1EEEvT1_.kd
    .uniform_work_group_size: 1
    .uses_dynamic_stack: false
    .vgpr_count:     0
    .vgpr_spill_count: 0
    .wavefront_size: 64
  - .agpr_count:     0
    .args:
      - .offset:         0
        .size:           128
        .value_kind:     by_value
    .group_segment_fixed_size: 0
    .kernarg_segment_align: 8
    .kernarg_segment_size: 128
    .language:       OpenCL C
    .language_version:
      - 2
      - 0
    .max_flat_workgroup_size: 256
    .name:           _ZN7rocprim17ROCPRIM_400000_NS6detail17trampoline_kernelINS0_14default_configENS1_25partition_config_selectorILNS1_17partition_subalgoE2EsNS0_10empty_typeEbEEZZNS1_14partition_implILS5_2ELb0ES3_jN6thrust23THRUST_200600_302600_NS6detail15normal_iteratorINSA_7pointerIsNSA_11hip_rocprim3tagENSA_11use_defaultESG_EEEEPS6_NSA_18transform_iteratorI7is_evenIsENSC_INSA_10device_ptrIsEEEESG_SG_EENS0_5tupleIJPsSJ_EEENSR_IJSJ_SJ_EEES6_PlJS6_EEE10hipError_tPvRmT3_T4_T5_T6_T7_T9_mT8_P12ihipStream_tbDpT10_ENKUlT_T0_E_clISt17integral_constantIbLb1EES1E_IbLb0EEEEDaS1A_S1B_EUlS1A_E_NS1_11comp_targetILNS1_3genE10ELNS1_11target_archE1200ELNS1_3gpuE4ELNS1_3repE0EEENS1_30default_config_static_selectorELNS0_4arch9wavefront6targetE1EEEvT1_
    .private_segment_fixed_size: 0
    .sgpr_count:     4
    .sgpr_spill_count: 0
    .symbol:         _ZN7rocprim17ROCPRIM_400000_NS6detail17trampoline_kernelINS0_14default_configENS1_25partition_config_selectorILNS1_17partition_subalgoE2EsNS0_10empty_typeEbEEZZNS1_14partition_implILS5_2ELb0ES3_jN6thrust23THRUST_200600_302600_NS6detail15normal_iteratorINSA_7pointerIsNSA_11hip_rocprim3tagENSA_11use_defaultESG_EEEEPS6_NSA_18transform_iteratorI7is_evenIsENSC_INSA_10device_ptrIsEEEESG_SG_EENS0_5tupleIJPsSJ_EEENSR_IJSJ_SJ_EEES6_PlJS6_EEE10hipError_tPvRmT3_T4_T5_T6_T7_T9_mT8_P12ihipStream_tbDpT10_ENKUlT_T0_E_clISt17integral_constantIbLb1EES1E_IbLb0EEEEDaS1A_S1B_EUlS1A_E_NS1_11comp_targetILNS1_3genE10ELNS1_11target_archE1200ELNS1_3gpuE4ELNS1_3repE0EEENS1_30default_config_static_selectorELNS0_4arch9wavefront6targetE1EEEvT1_.kd
    .uniform_work_group_size: 1
    .uses_dynamic_stack: false
    .vgpr_count:     0
    .vgpr_spill_count: 0
    .wavefront_size: 64
  - .agpr_count:     0
    .args:
      - .offset:         0
        .size:           128
        .value_kind:     by_value
    .group_segment_fixed_size: 0
    .kernarg_segment_align: 8
    .kernarg_segment_size: 128
    .language:       OpenCL C
    .language_version:
      - 2
      - 0
    .max_flat_workgroup_size: 128
    .name:           _ZN7rocprim17ROCPRIM_400000_NS6detail17trampoline_kernelINS0_14default_configENS1_25partition_config_selectorILNS1_17partition_subalgoE2EsNS0_10empty_typeEbEEZZNS1_14partition_implILS5_2ELb0ES3_jN6thrust23THRUST_200600_302600_NS6detail15normal_iteratorINSA_7pointerIsNSA_11hip_rocprim3tagENSA_11use_defaultESG_EEEEPS6_NSA_18transform_iteratorI7is_evenIsENSC_INSA_10device_ptrIsEEEESG_SG_EENS0_5tupleIJPsSJ_EEENSR_IJSJ_SJ_EEES6_PlJS6_EEE10hipError_tPvRmT3_T4_T5_T6_T7_T9_mT8_P12ihipStream_tbDpT10_ENKUlT_T0_E_clISt17integral_constantIbLb1EES1E_IbLb0EEEEDaS1A_S1B_EUlS1A_E_NS1_11comp_targetILNS1_3genE9ELNS1_11target_archE1100ELNS1_3gpuE3ELNS1_3repE0EEENS1_30default_config_static_selectorELNS0_4arch9wavefront6targetE1EEEvT1_
    .private_segment_fixed_size: 0
    .sgpr_count:     4
    .sgpr_spill_count: 0
    .symbol:         _ZN7rocprim17ROCPRIM_400000_NS6detail17trampoline_kernelINS0_14default_configENS1_25partition_config_selectorILNS1_17partition_subalgoE2EsNS0_10empty_typeEbEEZZNS1_14partition_implILS5_2ELb0ES3_jN6thrust23THRUST_200600_302600_NS6detail15normal_iteratorINSA_7pointerIsNSA_11hip_rocprim3tagENSA_11use_defaultESG_EEEEPS6_NSA_18transform_iteratorI7is_evenIsENSC_INSA_10device_ptrIsEEEESG_SG_EENS0_5tupleIJPsSJ_EEENSR_IJSJ_SJ_EEES6_PlJS6_EEE10hipError_tPvRmT3_T4_T5_T6_T7_T9_mT8_P12ihipStream_tbDpT10_ENKUlT_T0_E_clISt17integral_constantIbLb1EES1E_IbLb0EEEEDaS1A_S1B_EUlS1A_E_NS1_11comp_targetILNS1_3genE9ELNS1_11target_archE1100ELNS1_3gpuE3ELNS1_3repE0EEENS1_30default_config_static_selectorELNS0_4arch9wavefront6targetE1EEEvT1_.kd
    .uniform_work_group_size: 1
    .uses_dynamic_stack: false
    .vgpr_count:     0
    .vgpr_spill_count: 0
    .wavefront_size: 64
  - .agpr_count:     0
    .args:
      - .offset:         0
        .size:           128
        .value_kind:     by_value
    .group_segment_fixed_size: 0
    .kernarg_segment_align: 8
    .kernarg_segment_size: 128
    .language:       OpenCL C
    .language_version:
      - 2
      - 0
    .max_flat_workgroup_size: 512
    .name:           _ZN7rocprim17ROCPRIM_400000_NS6detail17trampoline_kernelINS0_14default_configENS1_25partition_config_selectorILNS1_17partition_subalgoE2EsNS0_10empty_typeEbEEZZNS1_14partition_implILS5_2ELb0ES3_jN6thrust23THRUST_200600_302600_NS6detail15normal_iteratorINSA_7pointerIsNSA_11hip_rocprim3tagENSA_11use_defaultESG_EEEEPS6_NSA_18transform_iteratorI7is_evenIsENSC_INSA_10device_ptrIsEEEESG_SG_EENS0_5tupleIJPsSJ_EEENSR_IJSJ_SJ_EEES6_PlJS6_EEE10hipError_tPvRmT3_T4_T5_T6_T7_T9_mT8_P12ihipStream_tbDpT10_ENKUlT_T0_E_clISt17integral_constantIbLb1EES1E_IbLb0EEEEDaS1A_S1B_EUlS1A_E_NS1_11comp_targetILNS1_3genE8ELNS1_11target_archE1030ELNS1_3gpuE2ELNS1_3repE0EEENS1_30default_config_static_selectorELNS0_4arch9wavefront6targetE1EEEvT1_
    .private_segment_fixed_size: 0
    .sgpr_count:     4
    .sgpr_spill_count: 0
    .symbol:         _ZN7rocprim17ROCPRIM_400000_NS6detail17trampoline_kernelINS0_14default_configENS1_25partition_config_selectorILNS1_17partition_subalgoE2EsNS0_10empty_typeEbEEZZNS1_14partition_implILS5_2ELb0ES3_jN6thrust23THRUST_200600_302600_NS6detail15normal_iteratorINSA_7pointerIsNSA_11hip_rocprim3tagENSA_11use_defaultESG_EEEEPS6_NSA_18transform_iteratorI7is_evenIsENSC_INSA_10device_ptrIsEEEESG_SG_EENS0_5tupleIJPsSJ_EEENSR_IJSJ_SJ_EEES6_PlJS6_EEE10hipError_tPvRmT3_T4_T5_T6_T7_T9_mT8_P12ihipStream_tbDpT10_ENKUlT_T0_E_clISt17integral_constantIbLb1EES1E_IbLb0EEEEDaS1A_S1B_EUlS1A_E_NS1_11comp_targetILNS1_3genE8ELNS1_11target_archE1030ELNS1_3gpuE2ELNS1_3repE0EEENS1_30default_config_static_selectorELNS0_4arch9wavefront6targetE1EEEvT1_.kd
    .uniform_work_group_size: 1
    .uses_dynamic_stack: false
    .vgpr_count:     0
    .vgpr_spill_count: 0
    .wavefront_size: 64
  - .agpr_count:     0
    .args:
      - .offset:         0
        .size:           144
        .value_kind:     by_value
    .group_segment_fixed_size: 0
    .kernarg_segment_align: 8
    .kernarg_segment_size: 144
    .language:       OpenCL C
    .language_version:
      - 2
      - 0
    .max_flat_workgroup_size: 256
    .name:           _ZN7rocprim17ROCPRIM_400000_NS6detail17trampoline_kernelINS0_14default_configENS1_25partition_config_selectorILNS1_17partition_subalgoE2EsNS0_10empty_typeEbEEZZNS1_14partition_implILS5_2ELb0ES3_jN6thrust23THRUST_200600_302600_NS6detail15normal_iteratorINSA_7pointerIsNSA_11hip_rocprim3tagENSA_11use_defaultESG_EEEEPS6_NSA_18transform_iteratorI7is_evenIsENSC_INSA_10device_ptrIsEEEESG_SG_EENS0_5tupleIJPsSJ_EEENSR_IJSJ_SJ_EEES6_PlJS6_EEE10hipError_tPvRmT3_T4_T5_T6_T7_T9_mT8_P12ihipStream_tbDpT10_ENKUlT_T0_E_clISt17integral_constantIbLb0EES1E_IbLb1EEEEDaS1A_S1B_EUlS1A_E_NS1_11comp_targetILNS1_3genE0ELNS1_11target_archE4294967295ELNS1_3gpuE0ELNS1_3repE0EEENS1_30default_config_static_selectorELNS0_4arch9wavefront6targetE1EEEvT1_
    .private_segment_fixed_size: 0
    .sgpr_count:     4
    .sgpr_spill_count: 0
    .symbol:         _ZN7rocprim17ROCPRIM_400000_NS6detail17trampoline_kernelINS0_14default_configENS1_25partition_config_selectorILNS1_17partition_subalgoE2EsNS0_10empty_typeEbEEZZNS1_14partition_implILS5_2ELb0ES3_jN6thrust23THRUST_200600_302600_NS6detail15normal_iteratorINSA_7pointerIsNSA_11hip_rocprim3tagENSA_11use_defaultESG_EEEEPS6_NSA_18transform_iteratorI7is_evenIsENSC_INSA_10device_ptrIsEEEESG_SG_EENS0_5tupleIJPsSJ_EEENSR_IJSJ_SJ_EEES6_PlJS6_EEE10hipError_tPvRmT3_T4_T5_T6_T7_T9_mT8_P12ihipStream_tbDpT10_ENKUlT_T0_E_clISt17integral_constantIbLb0EES1E_IbLb1EEEEDaS1A_S1B_EUlS1A_E_NS1_11comp_targetILNS1_3genE0ELNS1_11target_archE4294967295ELNS1_3gpuE0ELNS1_3repE0EEENS1_30default_config_static_selectorELNS0_4arch9wavefront6targetE1EEEvT1_.kd
    .uniform_work_group_size: 1
    .uses_dynamic_stack: false
    .vgpr_count:     0
    .vgpr_spill_count: 0
    .wavefront_size: 64
  - .agpr_count:     0
    .args:
      - .offset:         0
        .size:           144
        .value_kind:     by_value
    .group_segment_fixed_size: 0
    .kernarg_segment_align: 8
    .kernarg_segment_size: 144
    .language:       OpenCL C
    .language_version:
      - 2
      - 0
    .max_flat_workgroup_size: 512
    .name:           _ZN7rocprim17ROCPRIM_400000_NS6detail17trampoline_kernelINS0_14default_configENS1_25partition_config_selectorILNS1_17partition_subalgoE2EsNS0_10empty_typeEbEEZZNS1_14partition_implILS5_2ELb0ES3_jN6thrust23THRUST_200600_302600_NS6detail15normal_iteratorINSA_7pointerIsNSA_11hip_rocprim3tagENSA_11use_defaultESG_EEEEPS6_NSA_18transform_iteratorI7is_evenIsENSC_INSA_10device_ptrIsEEEESG_SG_EENS0_5tupleIJPsSJ_EEENSR_IJSJ_SJ_EEES6_PlJS6_EEE10hipError_tPvRmT3_T4_T5_T6_T7_T9_mT8_P12ihipStream_tbDpT10_ENKUlT_T0_E_clISt17integral_constantIbLb0EES1E_IbLb1EEEEDaS1A_S1B_EUlS1A_E_NS1_11comp_targetILNS1_3genE5ELNS1_11target_archE942ELNS1_3gpuE9ELNS1_3repE0EEENS1_30default_config_static_selectorELNS0_4arch9wavefront6targetE1EEEvT1_
    .private_segment_fixed_size: 0
    .sgpr_count:     4
    .sgpr_spill_count: 0
    .symbol:         _ZN7rocprim17ROCPRIM_400000_NS6detail17trampoline_kernelINS0_14default_configENS1_25partition_config_selectorILNS1_17partition_subalgoE2EsNS0_10empty_typeEbEEZZNS1_14partition_implILS5_2ELb0ES3_jN6thrust23THRUST_200600_302600_NS6detail15normal_iteratorINSA_7pointerIsNSA_11hip_rocprim3tagENSA_11use_defaultESG_EEEEPS6_NSA_18transform_iteratorI7is_evenIsENSC_INSA_10device_ptrIsEEEESG_SG_EENS0_5tupleIJPsSJ_EEENSR_IJSJ_SJ_EEES6_PlJS6_EEE10hipError_tPvRmT3_T4_T5_T6_T7_T9_mT8_P12ihipStream_tbDpT10_ENKUlT_T0_E_clISt17integral_constantIbLb0EES1E_IbLb1EEEEDaS1A_S1B_EUlS1A_E_NS1_11comp_targetILNS1_3genE5ELNS1_11target_archE942ELNS1_3gpuE9ELNS1_3repE0EEENS1_30default_config_static_selectorELNS0_4arch9wavefront6targetE1EEEvT1_.kd
    .uniform_work_group_size: 1
    .uses_dynamic_stack: false
    .vgpr_count:     0
    .vgpr_spill_count: 0
    .wavefront_size: 64
  - .agpr_count:     0
    .args:
      - .offset:         0
        .size:           144
        .value_kind:     by_value
    .group_segment_fixed_size: 10248
    .kernarg_segment_align: 8
    .kernarg_segment_size: 144
    .language:       OpenCL C
    .language_version:
      - 2
      - 0
    .max_flat_workgroup_size: 256
    .name:           _ZN7rocprim17ROCPRIM_400000_NS6detail17trampoline_kernelINS0_14default_configENS1_25partition_config_selectorILNS1_17partition_subalgoE2EsNS0_10empty_typeEbEEZZNS1_14partition_implILS5_2ELb0ES3_jN6thrust23THRUST_200600_302600_NS6detail15normal_iteratorINSA_7pointerIsNSA_11hip_rocprim3tagENSA_11use_defaultESG_EEEEPS6_NSA_18transform_iteratorI7is_evenIsENSC_INSA_10device_ptrIsEEEESG_SG_EENS0_5tupleIJPsSJ_EEENSR_IJSJ_SJ_EEES6_PlJS6_EEE10hipError_tPvRmT3_T4_T5_T6_T7_T9_mT8_P12ihipStream_tbDpT10_ENKUlT_T0_E_clISt17integral_constantIbLb0EES1E_IbLb1EEEEDaS1A_S1B_EUlS1A_E_NS1_11comp_targetILNS1_3genE4ELNS1_11target_archE910ELNS1_3gpuE8ELNS1_3repE0EEENS1_30default_config_static_selectorELNS0_4arch9wavefront6targetE1EEEvT1_
    .private_segment_fixed_size: 0
    .sgpr_count:     50
    .sgpr_spill_count: 0
    .symbol:         _ZN7rocprim17ROCPRIM_400000_NS6detail17trampoline_kernelINS0_14default_configENS1_25partition_config_selectorILNS1_17partition_subalgoE2EsNS0_10empty_typeEbEEZZNS1_14partition_implILS5_2ELb0ES3_jN6thrust23THRUST_200600_302600_NS6detail15normal_iteratorINSA_7pointerIsNSA_11hip_rocprim3tagENSA_11use_defaultESG_EEEEPS6_NSA_18transform_iteratorI7is_evenIsENSC_INSA_10device_ptrIsEEEESG_SG_EENS0_5tupleIJPsSJ_EEENSR_IJSJ_SJ_EEES6_PlJS6_EEE10hipError_tPvRmT3_T4_T5_T6_T7_T9_mT8_P12ihipStream_tbDpT10_ENKUlT_T0_E_clISt17integral_constantIbLb0EES1E_IbLb1EEEEDaS1A_S1B_EUlS1A_E_NS1_11comp_targetILNS1_3genE4ELNS1_11target_archE910ELNS1_3gpuE8ELNS1_3repE0EEENS1_30default_config_static_selectorELNS0_4arch9wavefront6targetE1EEEvT1_.kd
    .uniform_work_group_size: 1
    .uses_dynamic_stack: false
    .vgpr_count:     67
    .vgpr_spill_count: 0
    .wavefront_size: 64
  - .agpr_count:     0
    .args:
      - .offset:         0
        .size:           144
        .value_kind:     by_value
    .group_segment_fixed_size: 0
    .kernarg_segment_align: 8
    .kernarg_segment_size: 144
    .language:       OpenCL C
    .language_version:
      - 2
      - 0
    .max_flat_workgroup_size: 256
    .name:           _ZN7rocprim17ROCPRIM_400000_NS6detail17trampoline_kernelINS0_14default_configENS1_25partition_config_selectorILNS1_17partition_subalgoE2EsNS0_10empty_typeEbEEZZNS1_14partition_implILS5_2ELb0ES3_jN6thrust23THRUST_200600_302600_NS6detail15normal_iteratorINSA_7pointerIsNSA_11hip_rocprim3tagENSA_11use_defaultESG_EEEEPS6_NSA_18transform_iteratorI7is_evenIsENSC_INSA_10device_ptrIsEEEESG_SG_EENS0_5tupleIJPsSJ_EEENSR_IJSJ_SJ_EEES6_PlJS6_EEE10hipError_tPvRmT3_T4_T5_T6_T7_T9_mT8_P12ihipStream_tbDpT10_ENKUlT_T0_E_clISt17integral_constantIbLb0EES1E_IbLb1EEEEDaS1A_S1B_EUlS1A_E_NS1_11comp_targetILNS1_3genE3ELNS1_11target_archE908ELNS1_3gpuE7ELNS1_3repE0EEENS1_30default_config_static_selectorELNS0_4arch9wavefront6targetE1EEEvT1_
    .private_segment_fixed_size: 0
    .sgpr_count:     4
    .sgpr_spill_count: 0
    .symbol:         _ZN7rocprim17ROCPRIM_400000_NS6detail17trampoline_kernelINS0_14default_configENS1_25partition_config_selectorILNS1_17partition_subalgoE2EsNS0_10empty_typeEbEEZZNS1_14partition_implILS5_2ELb0ES3_jN6thrust23THRUST_200600_302600_NS6detail15normal_iteratorINSA_7pointerIsNSA_11hip_rocprim3tagENSA_11use_defaultESG_EEEEPS6_NSA_18transform_iteratorI7is_evenIsENSC_INSA_10device_ptrIsEEEESG_SG_EENS0_5tupleIJPsSJ_EEENSR_IJSJ_SJ_EEES6_PlJS6_EEE10hipError_tPvRmT3_T4_T5_T6_T7_T9_mT8_P12ihipStream_tbDpT10_ENKUlT_T0_E_clISt17integral_constantIbLb0EES1E_IbLb1EEEEDaS1A_S1B_EUlS1A_E_NS1_11comp_targetILNS1_3genE3ELNS1_11target_archE908ELNS1_3gpuE7ELNS1_3repE0EEENS1_30default_config_static_selectorELNS0_4arch9wavefront6targetE1EEEvT1_.kd
    .uniform_work_group_size: 1
    .uses_dynamic_stack: false
    .vgpr_count:     0
    .vgpr_spill_count: 0
    .wavefront_size: 64
  - .agpr_count:     0
    .args:
      - .offset:         0
        .size:           144
        .value_kind:     by_value
    .group_segment_fixed_size: 0
    .kernarg_segment_align: 8
    .kernarg_segment_size: 144
    .language:       OpenCL C
    .language_version:
      - 2
      - 0
    .max_flat_workgroup_size: 256
    .name:           _ZN7rocprim17ROCPRIM_400000_NS6detail17trampoline_kernelINS0_14default_configENS1_25partition_config_selectorILNS1_17partition_subalgoE2EsNS0_10empty_typeEbEEZZNS1_14partition_implILS5_2ELb0ES3_jN6thrust23THRUST_200600_302600_NS6detail15normal_iteratorINSA_7pointerIsNSA_11hip_rocprim3tagENSA_11use_defaultESG_EEEEPS6_NSA_18transform_iteratorI7is_evenIsENSC_INSA_10device_ptrIsEEEESG_SG_EENS0_5tupleIJPsSJ_EEENSR_IJSJ_SJ_EEES6_PlJS6_EEE10hipError_tPvRmT3_T4_T5_T6_T7_T9_mT8_P12ihipStream_tbDpT10_ENKUlT_T0_E_clISt17integral_constantIbLb0EES1E_IbLb1EEEEDaS1A_S1B_EUlS1A_E_NS1_11comp_targetILNS1_3genE2ELNS1_11target_archE906ELNS1_3gpuE6ELNS1_3repE0EEENS1_30default_config_static_selectorELNS0_4arch9wavefront6targetE1EEEvT1_
    .private_segment_fixed_size: 0
    .sgpr_count:     4
    .sgpr_spill_count: 0
    .symbol:         _ZN7rocprim17ROCPRIM_400000_NS6detail17trampoline_kernelINS0_14default_configENS1_25partition_config_selectorILNS1_17partition_subalgoE2EsNS0_10empty_typeEbEEZZNS1_14partition_implILS5_2ELb0ES3_jN6thrust23THRUST_200600_302600_NS6detail15normal_iteratorINSA_7pointerIsNSA_11hip_rocprim3tagENSA_11use_defaultESG_EEEEPS6_NSA_18transform_iteratorI7is_evenIsENSC_INSA_10device_ptrIsEEEESG_SG_EENS0_5tupleIJPsSJ_EEENSR_IJSJ_SJ_EEES6_PlJS6_EEE10hipError_tPvRmT3_T4_T5_T6_T7_T9_mT8_P12ihipStream_tbDpT10_ENKUlT_T0_E_clISt17integral_constantIbLb0EES1E_IbLb1EEEEDaS1A_S1B_EUlS1A_E_NS1_11comp_targetILNS1_3genE2ELNS1_11target_archE906ELNS1_3gpuE6ELNS1_3repE0EEENS1_30default_config_static_selectorELNS0_4arch9wavefront6targetE1EEEvT1_.kd
    .uniform_work_group_size: 1
    .uses_dynamic_stack: false
    .vgpr_count:     0
    .vgpr_spill_count: 0
    .wavefront_size: 64
  - .agpr_count:     0
    .args:
      - .offset:         0
        .size:           144
        .value_kind:     by_value
    .group_segment_fixed_size: 0
    .kernarg_segment_align: 8
    .kernarg_segment_size: 144
    .language:       OpenCL C
    .language_version:
      - 2
      - 0
    .max_flat_workgroup_size: 256
    .name:           _ZN7rocprim17ROCPRIM_400000_NS6detail17trampoline_kernelINS0_14default_configENS1_25partition_config_selectorILNS1_17partition_subalgoE2EsNS0_10empty_typeEbEEZZNS1_14partition_implILS5_2ELb0ES3_jN6thrust23THRUST_200600_302600_NS6detail15normal_iteratorINSA_7pointerIsNSA_11hip_rocprim3tagENSA_11use_defaultESG_EEEEPS6_NSA_18transform_iteratorI7is_evenIsENSC_INSA_10device_ptrIsEEEESG_SG_EENS0_5tupleIJPsSJ_EEENSR_IJSJ_SJ_EEES6_PlJS6_EEE10hipError_tPvRmT3_T4_T5_T6_T7_T9_mT8_P12ihipStream_tbDpT10_ENKUlT_T0_E_clISt17integral_constantIbLb0EES1E_IbLb1EEEEDaS1A_S1B_EUlS1A_E_NS1_11comp_targetILNS1_3genE10ELNS1_11target_archE1200ELNS1_3gpuE4ELNS1_3repE0EEENS1_30default_config_static_selectorELNS0_4arch9wavefront6targetE1EEEvT1_
    .private_segment_fixed_size: 0
    .sgpr_count:     4
    .sgpr_spill_count: 0
    .symbol:         _ZN7rocprim17ROCPRIM_400000_NS6detail17trampoline_kernelINS0_14default_configENS1_25partition_config_selectorILNS1_17partition_subalgoE2EsNS0_10empty_typeEbEEZZNS1_14partition_implILS5_2ELb0ES3_jN6thrust23THRUST_200600_302600_NS6detail15normal_iteratorINSA_7pointerIsNSA_11hip_rocprim3tagENSA_11use_defaultESG_EEEEPS6_NSA_18transform_iteratorI7is_evenIsENSC_INSA_10device_ptrIsEEEESG_SG_EENS0_5tupleIJPsSJ_EEENSR_IJSJ_SJ_EEES6_PlJS6_EEE10hipError_tPvRmT3_T4_T5_T6_T7_T9_mT8_P12ihipStream_tbDpT10_ENKUlT_T0_E_clISt17integral_constantIbLb0EES1E_IbLb1EEEEDaS1A_S1B_EUlS1A_E_NS1_11comp_targetILNS1_3genE10ELNS1_11target_archE1200ELNS1_3gpuE4ELNS1_3repE0EEENS1_30default_config_static_selectorELNS0_4arch9wavefront6targetE1EEEvT1_.kd
    .uniform_work_group_size: 1
    .uses_dynamic_stack: false
    .vgpr_count:     0
    .vgpr_spill_count: 0
    .wavefront_size: 64
  - .agpr_count:     0
    .args:
      - .offset:         0
        .size:           144
        .value_kind:     by_value
    .group_segment_fixed_size: 0
    .kernarg_segment_align: 8
    .kernarg_segment_size: 144
    .language:       OpenCL C
    .language_version:
      - 2
      - 0
    .max_flat_workgroup_size: 128
    .name:           _ZN7rocprim17ROCPRIM_400000_NS6detail17trampoline_kernelINS0_14default_configENS1_25partition_config_selectorILNS1_17partition_subalgoE2EsNS0_10empty_typeEbEEZZNS1_14partition_implILS5_2ELb0ES3_jN6thrust23THRUST_200600_302600_NS6detail15normal_iteratorINSA_7pointerIsNSA_11hip_rocprim3tagENSA_11use_defaultESG_EEEEPS6_NSA_18transform_iteratorI7is_evenIsENSC_INSA_10device_ptrIsEEEESG_SG_EENS0_5tupleIJPsSJ_EEENSR_IJSJ_SJ_EEES6_PlJS6_EEE10hipError_tPvRmT3_T4_T5_T6_T7_T9_mT8_P12ihipStream_tbDpT10_ENKUlT_T0_E_clISt17integral_constantIbLb0EES1E_IbLb1EEEEDaS1A_S1B_EUlS1A_E_NS1_11comp_targetILNS1_3genE9ELNS1_11target_archE1100ELNS1_3gpuE3ELNS1_3repE0EEENS1_30default_config_static_selectorELNS0_4arch9wavefront6targetE1EEEvT1_
    .private_segment_fixed_size: 0
    .sgpr_count:     4
    .sgpr_spill_count: 0
    .symbol:         _ZN7rocprim17ROCPRIM_400000_NS6detail17trampoline_kernelINS0_14default_configENS1_25partition_config_selectorILNS1_17partition_subalgoE2EsNS0_10empty_typeEbEEZZNS1_14partition_implILS5_2ELb0ES3_jN6thrust23THRUST_200600_302600_NS6detail15normal_iteratorINSA_7pointerIsNSA_11hip_rocprim3tagENSA_11use_defaultESG_EEEEPS6_NSA_18transform_iteratorI7is_evenIsENSC_INSA_10device_ptrIsEEEESG_SG_EENS0_5tupleIJPsSJ_EEENSR_IJSJ_SJ_EEES6_PlJS6_EEE10hipError_tPvRmT3_T4_T5_T6_T7_T9_mT8_P12ihipStream_tbDpT10_ENKUlT_T0_E_clISt17integral_constantIbLb0EES1E_IbLb1EEEEDaS1A_S1B_EUlS1A_E_NS1_11comp_targetILNS1_3genE9ELNS1_11target_archE1100ELNS1_3gpuE3ELNS1_3repE0EEENS1_30default_config_static_selectorELNS0_4arch9wavefront6targetE1EEEvT1_.kd
    .uniform_work_group_size: 1
    .uses_dynamic_stack: false
    .vgpr_count:     0
    .vgpr_spill_count: 0
    .wavefront_size: 64
  - .agpr_count:     0
    .args:
      - .offset:         0
        .size:           144
        .value_kind:     by_value
    .group_segment_fixed_size: 0
    .kernarg_segment_align: 8
    .kernarg_segment_size: 144
    .language:       OpenCL C
    .language_version:
      - 2
      - 0
    .max_flat_workgroup_size: 512
    .name:           _ZN7rocprim17ROCPRIM_400000_NS6detail17trampoline_kernelINS0_14default_configENS1_25partition_config_selectorILNS1_17partition_subalgoE2EsNS0_10empty_typeEbEEZZNS1_14partition_implILS5_2ELb0ES3_jN6thrust23THRUST_200600_302600_NS6detail15normal_iteratorINSA_7pointerIsNSA_11hip_rocprim3tagENSA_11use_defaultESG_EEEEPS6_NSA_18transform_iteratorI7is_evenIsENSC_INSA_10device_ptrIsEEEESG_SG_EENS0_5tupleIJPsSJ_EEENSR_IJSJ_SJ_EEES6_PlJS6_EEE10hipError_tPvRmT3_T4_T5_T6_T7_T9_mT8_P12ihipStream_tbDpT10_ENKUlT_T0_E_clISt17integral_constantIbLb0EES1E_IbLb1EEEEDaS1A_S1B_EUlS1A_E_NS1_11comp_targetILNS1_3genE8ELNS1_11target_archE1030ELNS1_3gpuE2ELNS1_3repE0EEENS1_30default_config_static_selectorELNS0_4arch9wavefront6targetE1EEEvT1_
    .private_segment_fixed_size: 0
    .sgpr_count:     4
    .sgpr_spill_count: 0
    .symbol:         _ZN7rocprim17ROCPRIM_400000_NS6detail17trampoline_kernelINS0_14default_configENS1_25partition_config_selectorILNS1_17partition_subalgoE2EsNS0_10empty_typeEbEEZZNS1_14partition_implILS5_2ELb0ES3_jN6thrust23THRUST_200600_302600_NS6detail15normal_iteratorINSA_7pointerIsNSA_11hip_rocprim3tagENSA_11use_defaultESG_EEEEPS6_NSA_18transform_iteratorI7is_evenIsENSC_INSA_10device_ptrIsEEEESG_SG_EENS0_5tupleIJPsSJ_EEENSR_IJSJ_SJ_EEES6_PlJS6_EEE10hipError_tPvRmT3_T4_T5_T6_T7_T9_mT8_P12ihipStream_tbDpT10_ENKUlT_T0_E_clISt17integral_constantIbLb0EES1E_IbLb1EEEEDaS1A_S1B_EUlS1A_E_NS1_11comp_targetILNS1_3genE8ELNS1_11target_archE1030ELNS1_3gpuE2ELNS1_3repE0EEENS1_30default_config_static_selectorELNS0_4arch9wavefront6targetE1EEEvT1_.kd
    .uniform_work_group_size: 1
    .uses_dynamic_stack: false
    .vgpr_count:     0
    .vgpr_spill_count: 0
    .wavefront_size: 64
  - .agpr_count:     0
    .args:
      - .offset:         0
        .size:           16
        .value_kind:     by_value
      - .offset:         16
        .size:           8
        .value_kind:     by_value
      - .offset:         24
        .size:           8
        .value_kind:     by_value
    .group_segment_fixed_size: 0
    .kernarg_segment_align: 8
    .kernarg_segment_size: 32
    .language:       OpenCL C
    .language_version:
      - 2
      - 0
    .max_flat_workgroup_size: 256
    .name:           _ZN6thrust23THRUST_200600_302600_NS11hip_rocprim14__parallel_for6kernelILj256ENS1_13__swap_ranges6swap_fINS0_6detail15normal_iteratorINS0_10device_ptrIsEEEENS0_16reverse_iteratorISA_EEEElLj1EEEvT0_T1_SF_
    .private_segment_fixed_size: 0
    .sgpr_count:     20
    .sgpr_spill_count: 0
    .symbol:         _ZN6thrust23THRUST_200600_302600_NS11hip_rocprim14__parallel_for6kernelILj256ENS1_13__swap_ranges6swap_fINS0_6detail15normal_iteratorINS0_10device_ptrIsEEEENS0_16reverse_iteratorISA_EEEElLj1EEEvT0_T1_SF_.kd
    .uniform_work_group_size: 1
    .uses_dynamic_stack: false
    .vgpr_count:     7
    .vgpr_spill_count: 0
    .wavefront_size: 64
  - .agpr_count:     0
    .args:
      - .offset:         0
        .size:           120
        .value_kind:     by_value
    .group_segment_fixed_size: 0
    .kernarg_segment_align: 8
    .kernarg_segment_size: 120
    .language:       OpenCL C
    .language_version:
      - 2
      - 0
    .max_flat_workgroup_size: 128
    .name:           _ZN7rocprim17ROCPRIM_400000_NS6detail17trampoline_kernelINS0_14default_configENS1_25partition_config_selectorILNS1_17partition_subalgoE0ExNS0_10empty_typeEbEEZZNS1_14partition_implILS5_0ELb0ES3_jN6thrust23THRUST_200600_302600_NS6detail15normal_iteratorINSA_10device_ptrIxEEEEPS6_SG_NS0_5tupleIJSF_SF_EEENSH_IJSG_SG_EEES6_PlJ7is_evenIxEEEE10hipError_tPvRmT3_T4_T5_T6_T7_T9_mT8_P12ihipStream_tbDpT10_ENKUlT_T0_E_clISt17integral_constantIbLb0EES16_EEDaS11_S12_EUlS11_E_NS1_11comp_targetILNS1_3genE0ELNS1_11target_archE4294967295ELNS1_3gpuE0ELNS1_3repE0EEENS1_30default_config_static_selectorELNS0_4arch9wavefront6targetE1EEEvT1_
    .private_segment_fixed_size: 0
    .sgpr_count:     4
    .sgpr_spill_count: 0
    .symbol:         _ZN7rocprim17ROCPRIM_400000_NS6detail17trampoline_kernelINS0_14default_configENS1_25partition_config_selectorILNS1_17partition_subalgoE0ExNS0_10empty_typeEbEEZZNS1_14partition_implILS5_0ELb0ES3_jN6thrust23THRUST_200600_302600_NS6detail15normal_iteratorINSA_10device_ptrIxEEEEPS6_SG_NS0_5tupleIJSF_SF_EEENSH_IJSG_SG_EEES6_PlJ7is_evenIxEEEE10hipError_tPvRmT3_T4_T5_T6_T7_T9_mT8_P12ihipStream_tbDpT10_ENKUlT_T0_E_clISt17integral_constantIbLb0EES16_EEDaS11_S12_EUlS11_E_NS1_11comp_targetILNS1_3genE0ELNS1_11target_archE4294967295ELNS1_3gpuE0ELNS1_3repE0EEENS1_30default_config_static_selectorELNS0_4arch9wavefront6targetE1EEEvT1_.kd
    .uniform_work_group_size: 1
    .uses_dynamic_stack: false
    .vgpr_count:     0
    .vgpr_spill_count: 0
    .wavefront_size: 64
  - .agpr_count:     0
    .args:
      - .offset:         0
        .size:           120
        .value_kind:     by_value
    .group_segment_fixed_size: 0
    .kernarg_segment_align: 8
    .kernarg_segment_size: 120
    .language:       OpenCL C
    .language_version:
      - 2
      - 0
    .max_flat_workgroup_size: 512
    .name:           _ZN7rocprim17ROCPRIM_400000_NS6detail17trampoline_kernelINS0_14default_configENS1_25partition_config_selectorILNS1_17partition_subalgoE0ExNS0_10empty_typeEbEEZZNS1_14partition_implILS5_0ELb0ES3_jN6thrust23THRUST_200600_302600_NS6detail15normal_iteratorINSA_10device_ptrIxEEEEPS6_SG_NS0_5tupleIJSF_SF_EEENSH_IJSG_SG_EEES6_PlJ7is_evenIxEEEE10hipError_tPvRmT3_T4_T5_T6_T7_T9_mT8_P12ihipStream_tbDpT10_ENKUlT_T0_E_clISt17integral_constantIbLb0EES16_EEDaS11_S12_EUlS11_E_NS1_11comp_targetILNS1_3genE5ELNS1_11target_archE942ELNS1_3gpuE9ELNS1_3repE0EEENS1_30default_config_static_selectorELNS0_4arch9wavefront6targetE1EEEvT1_
    .private_segment_fixed_size: 0
    .sgpr_count:     4
    .sgpr_spill_count: 0
    .symbol:         _ZN7rocprim17ROCPRIM_400000_NS6detail17trampoline_kernelINS0_14default_configENS1_25partition_config_selectorILNS1_17partition_subalgoE0ExNS0_10empty_typeEbEEZZNS1_14partition_implILS5_0ELb0ES3_jN6thrust23THRUST_200600_302600_NS6detail15normal_iteratorINSA_10device_ptrIxEEEEPS6_SG_NS0_5tupleIJSF_SF_EEENSH_IJSG_SG_EEES6_PlJ7is_evenIxEEEE10hipError_tPvRmT3_T4_T5_T6_T7_T9_mT8_P12ihipStream_tbDpT10_ENKUlT_T0_E_clISt17integral_constantIbLb0EES16_EEDaS11_S12_EUlS11_E_NS1_11comp_targetILNS1_3genE5ELNS1_11target_archE942ELNS1_3gpuE9ELNS1_3repE0EEENS1_30default_config_static_selectorELNS0_4arch9wavefront6targetE1EEEvT1_.kd
    .uniform_work_group_size: 1
    .uses_dynamic_stack: false
    .vgpr_count:     0
    .vgpr_spill_count: 0
    .wavefront_size: 64
  - .agpr_count:     0
    .args:
      - .offset:         0
        .size:           120
        .value_kind:     by_value
    .group_segment_fixed_size: 6344
    .kernarg_segment_align: 8
    .kernarg_segment_size: 120
    .language:       OpenCL C
    .language_version:
      - 2
      - 0
    .max_flat_workgroup_size: 192
    .name:           _ZN7rocprim17ROCPRIM_400000_NS6detail17trampoline_kernelINS0_14default_configENS1_25partition_config_selectorILNS1_17partition_subalgoE0ExNS0_10empty_typeEbEEZZNS1_14partition_implILS5_0ELb0ES3_jN6thrust23THRUST_200600_302600_NS6detail15normal_iteratorINSA_10device_ptrIxEEEEPS6_SG_NS0_5tupleIJSF_SF_EEENSH_IJSG_SG_EEES6_PlJ7is_evenIxEEEE10hipError_tPvRmT3_T4_T5_T6_T7_T9_mT8_P12ihipStream_tbDpT10_ENKUlT_T0_E_clISt17integral_constantIbLb0EES16_EEDaS11_S12_EUlS11_E_NS1_11comp_targetILNS1_3genE4ELNS1_11target_archE910ELNS1_3gpuE8ELNS1_3repE0EEENS1_30default_config_static_selectorELNS0_4arch9wavefront6targetE1EEEvT1_
    .private_segment_fixed_size: 0
    .sgpr_count:     48
    .sgpr_spill_count: 0
    .symbol:         _ZN7rocprim17ROCPRIM_400000_NS6detail17trampoline_kernelINS0_14default_configENS1_25partition_config_selectorILNS1_17partition_subalgoE0ExNS0_10empty_typeEbEEZZNS1_14partition_implILS5_0ELb0ES3_jN6thrust23THRUST_200600_302600_NS6detail15normal_iteratorINSA_10device_ptrIxEEEEPS6_SG_NS0_5tupleIJSF_SF_EEENSH_IJSG_SG_EEES6_PlJ7is_evenIxEEEE10hipError_tPvRmT3_T4_T5_T6_T7_T9_mT8_P12ihipStream_tbDpT10_ENKUlT_T0_E_clISt17integral_constantIbLb0EES16_EEDaS11_S12_EUlS11_E_NS1_11comp_targetILNS1_3genE4ELNS1_11target_archE910ELNS1_3gpuE8ELNS1_3repE0EEENS1_30default_config_static_selectorELNS0_4arch9wavefront6targetE1EEEvT1_.kd
    .uniform_work_group_size: 1
    .uses_dynamic_stack: false
    .vgpr_count:     43
    .vgpr_spill_count: 0
    .wavefront_size: 64
  - .agpr_count:     0
    .args:
      - .offset:         0
        .size:           120
        .value_kind:     by_value
    .group_segment_fixed_size: 0
    .kernarg_segment_align: 8
    .kernarg_segment_size: 120
    .language:       OpenCL C
    .language_version:
      - 2
      - 0
    .max_flat_workgroup_size: 128
    .name:           _ZN7rocprim17ROCPRIM_400000_NS6detail17trampoline_kernelINS0_14default_configENS1_25partition_config_selectorILNS1_17partition_subalgoE0ExNS0_10empty_typeEbEEZZNS1_14partition_implILS5_0ELb0ES3_jN6thrust23THRUST_200600_302600_NS6detail15normal_iteratorINSA_10device_ptrIxEEEEPS6_SG_NS0_5tupleIJSF_SF_EEENSH_IJSG_SG_EEES6_PlJ7is_evenIxEEEE10hipError_tPvRmT3_T4_T5_T6_T7_T9_mT8_P12ihipStream_tbDpT10_ENKUlT_T0_E_clISt17integral_constantIbLb0EES16_EEDaS11_S12_EUlS11_E_NS1_11comp_targetILNS1_3genE3ELNS1_11target_archE908ELNS1_3gpuE7ELNS1_3repE0EEENS1_30default_config_static_selectorELNS0_4arch9wavefront6targetE1EEEvT1_
    .private_segment_fixed_size: 0
    .sgpr_count:     4
    .sgpr_spill_count: 0
    .symbol:         _ZN7rocprim17ROCPRIM_400000_NS6detail17trampoline_kernelINS0_14default_configENS1_25partition_config_selectorILNS1_17partition_subalgoE0ExNS0_10empty_typeEbEEZZNS1_14partition_implILS5_0ELb0ES3_jN6thrust23THRUST_200600_302600_NS6detail15normal_iteratorINSA_10device_ptrIxEEEEPS6_SG_NS0_5tupleIJSF_SF_EEENSH_IJSG_SG_EEES6_PlJ7is_evenIxEEEE10hipError_tPvRmT3_T4_T5_T6_T7_T9_mT8_P12ihipStream_tbDpT10_ENKUlT_T0_E_clISt17integral_constantIbLb0EES16_EEDaS11_S12_EUlS11_E_NS1_11comp_targetILNS1_3genE3ELNS1_11target_archE908ELNS1_3gpuE7ELNS1_3repE0EEENS1_30default_config_static_selectorELNS0_4arch9wavefront6targetE1EEEvT1_.kd
    .uniform_work_group_size: 1
    .uses_dynamic_stack: false
    .vgpr_count:     0
    .vgpr_spill_count: 0
    .wavefront_size: 64
  - .agpr_count:     0
    .args:
      - .offset:         0
        .size:           120
        .value_kind:     by_value
    .group_segment_fixed_size: 0
    .kernarg_segment_align: 8
    .kernarg_segment_size: 120
    .language:       OpenCL C
    .language_version:
      - 2
      - 0
    .max_flat_workgroup_size: 256
    .name:           _ZN7rocprim17ROCPRIM_400000_NS6detail17trampoline_kernelINS0_14default_configENS1_25partition_config_selectorILNS1_17partition_subalgoE0ExNS0_10empty_typeEbEEZZNS1_14partition_implILS5_0ELb0ES3_jN6thrust23THRUST_200600_302600_NS6detail15normal_iteratorINSA_10device_ptrIxEEEEPS6_SG_NS0_5tupleIJSF_SF_EEENSH_IJSG_SG_EEES6_PlJ7is_evenIxEEEE10hipError_tPvRmT3_T4_T5_T6_T7_T9_mT8_P12ihipStream_tbDpT10_ENKUlT_T0_E_clISt17integral_constantIbLb0EES16_EEDaS11_S12_EUlS11_E_NS1_11comp_targetILNS1_3genE2ELNS1_11target_archE906ELNS1_3gpuE6ELNS1_3repE0EEENS1_30default_config_static_selectorELNS0_4arch9wavefront6targetE1EEEvT1_
    .private_segment_fixed_size: 0
    .sgpr_count:     4
    .sgpr_spill_count: 0
    .symbol:         _ZN7rocprim17ROCPRIM_400000_NS6detail17trampoline_kernelINS0_14default_configENS1_25partition_config_selectorILNS1_17partition_subalgoE0ExNS0_10empty_typeEbEEZZNS1_14partition_implILS5_0ELb0ES3_jN6thrust23THRUST_200600_302600_NS6detail15normal_iteratorINSA_10device_ptrIxEEEEPS6_SG_NS0_5tupleIJSF_SF_EEENSH_IJSG_SG_EEES6_PlJ7is_evenIxEEEE10hipError_tPvRmT3_T4_T5_T6_T7_T9_mT8_P12ihipStream_tbDpT10_ENKUlT_T0_E_clISt17integral_constantIbLb0EES16_EEDaS11_S12_EUlS11_E_NS1_11comp_targetILNS1_3genE2ELNS1_11target_archE906ELNS1_3gpuE6ELNS1_3repE0EEENS1_30default_config_static_selectorELNS0_4arch9wavefront6targetE1EEEvT1_.kd
    .uniform_work_group_size: 1
    .uses_dynamic_stack: false
    .vgpr_count:     0
    .vgpr_spill_count: 0
    .wavefront_size: 64
  - .agpr_count:     0
    .args:
      - .offset:         0
        .size:           120
        .value_kind:     by_value
    .group_segment_fixed_size: 0
    .kernarg_segment_align: 8
    .kernarg_segment_size: 120
    .language:       OpenCL C
    .language_version:
      - 2
      - 0
    .max_flat_workgroup_size: 512
    .name:           _ZN7rocprim17ROCPRIM_400000_NS6detail17trampoline_kernelINS0_14default_configENS1_25partition_config_selectorILNS1_17partition_subalgoE0ExNS0_10empty_typeEbEEZZNS1_14partition_implILS5_0ELb0ES3_jN6thrust23THRUST_200600_302600_NS6detail15normal_iteratorINSA_10device_ptrIxEEEEPS6_SG_NS0_5tupleIJSF_SF_EEENSH_IJSG_SG_EEES6_PlJ7is_evenIxEEEE10hipError_tPvRmT3_T4_T5_T6_T7_T9_mT8_P12ihipStream_tbDpT10_ENKUlT_T0_E_clISt17integral_constantIbLb0EES16_EEDaS11_S12_EUlS11_E_NS1_11comp_targetILNS1_3genE10ELNS1_11target_archE1200ELNS1_3gpuE4ELNS1_3repE0EEENS1_30default_config_static_selectorELNS0_4arch9wavefront6targetE1EEEvT1_
    .private_segment_fixed_size: 0
    .sgpr_count:     4
    .sgpr_spill_count: 0
    .symbol:         _ZN7rocprim17ROCPRIM_400000_NS6detail17trampoline_kernelINS0_14default_configENS1_25partition_config_selectorILNS1_17partition_subalgoE0ExNS0_10empty_typeEbEEZZNS1_14partition_implILS5_0ELb0ES3_jN6thrust23THRUST_200600_302600_NS6detail15normal_iteratorINSA_10device_ptrIxEEEEPS6_SG_NS0_5tupleIJSF_SF_EEENSH_IJSG_SG_EEES6_PlJ7is_evenIxEEEE10hipError_tPvRmT3_T4_T5_T6_T7_T9_mT8_P12ihipStream_tbDpT10_ENKUlT_T0_E_clISt17integral_constantIbLb0EES16_EEDaS11_S12_EUlS11_E_NS1_11comp_targetILNS1_3genE10ELNS1_11target_archE1200ELNS1_3gpuE4ELNS1_3repE0EEENS1_30default_config_static_selectorELNS0_4arch9wavefront6targetE1EEEvT1_.kd
    .uniform_work_group_size: 1
    .uses_dynamic_stack: false
    .vgpr_count:     0
    .vgpr_spill_count: 0
    .wavefront_size: 64
  - .agpr_count:     0
    .args:
      - .offset:         0
        .size:           120
        .value_kind:     by_value
    .group_segment_fixed_size: 0
    .kernarg_segment_align: 8
    .kernarg_segment_size: 120
    .language:       OpenCL C
    .language_version:
      - 2
      - 0
    .max_flat_workgroup_size: 512
    .name:           _ZN7rocprim17ROCPRIM_400000_NS6detail17trampoline_kernelINS0_14default_configENS1_25partition_config_selectorILNS1_17partition_subalgoE0ExNS0_10empty_typeEbEEZZNS1_14partition_implILS5_0ELb0ES3_jN6thrust23THRUST_200600_302600_NS6detail15normal_iteratorINSA_10device_ptrIxEEEEPS6_SG_NS0_5tupleIJSF_SF_EEENSH_IJSG_SG_EEES6_PlJ7is_evenIxEEEE10hipError_tPvRmT3_T4_T5_T6_T7_T9_mT8_P12ihipStream_tbDpT10_ENKUlT_T0_E_clISt17integral_constantIbLb0EES16_EEDaS11_S12_EUlS11_E_NS1_11comp_targetILNS1_3genE9ELNS1_11target_archE1100ELNS1_3gpuE3ELNS1_3repE0EEENS1_30default_config_static_selectorELNS0_4arch9wavefront6targetE1EEEvT1_
    .private_segment_fixed_size: 0
    .sgpr_count:     4
    .sgpr_spill_count: 0
    .symbol:         _ZN7rocprim17ROCPRIM_400000_NS6detail17trampoline_kernelINS0_14default_configENS1_25partition_config_selectorILNS1_17partition_subalgoE0ExNS0_10empty_typeEbEEZZNS1_14partition_implILS5_0ELb0ES3_jN6thrust23THRUST_200600_302600_NS6detail15normal_iteratorINSA_10device_ptrIxEEEEPS6_SG_NS0_5tupleIJSF_SF_EEENSH_IJSG_SG_EEES6_PlJ7is_evenIxEEEE10hipError_tPvRmT3_T4_T5_T6_T7_T9_mT8_P12ihipStream_tbDpT10_ENKUlT_T0_E_clISt17integral_constantIbLb0EES16_EEDaS11_S12_EUlS11_E_NS1_11comp_targetILNS1_3genE9ELNS1_11target_archE1100ELNS1_3gpuE3ELNS1_3repE0EEENS1_30default_config_static_selectorELNS0_4arch9wavefront6targetE1EEEvT1_.kd
    .uniform_work_group_size: 1
    .uses_dynamic_stack: false
    .vgpr_count:     0
    .vgpr_spill_count: 0
    .wavefront_size: 64
  - .agpr_count:     0
    .args:
      - .offset:         0
        .size:           120
        .value_kind:     by_value
    .group_segment_fixed_size: 0
    .kernarg_segment_align: 8
    .kernarg_segment_size: 120
    .language:       OpenCL C
    .language_version:
      - 2
      - 0
    .max_flat_workgroup_size: 512
    .name:           _ZN7rocprim17ROCPRIM_400000_NS6detail17trampoline_kernelINS0_14default_configENS1_25partition_config_selectorILNS1_17partition_subalgoE0ExNS0_10empty_typeEbEEZZNS1_14partition_implILS5_0ELb0ES3_jN6thrust23THRUST_200600_302600_NS6detail15normal_iteratorINSA_10device_ptrIxEEEEPS6_SG_NS0_5tupleIJSF_SF_EEENSH_IJSG_SG_EEES6_PlJ7is_evenIxEEEE10hipError_tPvRmT3_T4_T5_T6_T7_T9_mT8_P12ihipStream_tbDpT10_ENKUlT_T0_E_clISt17integral_constantIbLb0EES16_EEDaS11_S12_EUlS11_E_NS1_11comp_targetILNS1_3genE8ELNS1_11target_archE1030ELNS1_3gpuE2ELNS1_3repE0EEENS1_30default_config_static_selectorELNS0_4arch9wavefront6targetE1EEEvT1_
    .private_segment_fixed_size: 0
    .sgpr_count:     4
    .sgpr_spill_count: 0
    .symbol:         _ZN7rocprim17ROCPRIM_400000_NS6detail17trampoline_kernelINS0_14default_configENS1_25partition_config_selectorILNS1_17partition_subalgoE0ExNS0_10empty_typeEbEEZZNS1_14partition_implILS5_0ELb0ES3_jN6thrust23THRUST_200600_302600_NS6detail15normal_iteratorINSA_10device_ptrIxEEEEPS6_SG_NS0_5tupleIJSF_SF_EEENSH_IJSG_SG_EEES6_PlJ7is_evenIxEEEE10hipError_tPvRmT3_T4_T5_T6_T7_T9_mT8_P12ihipStream_tbDpT10_ENKUlT_T0_E_clISt17integral_constantIbLb0EES16_EEDaS11_S12_EUlS11_E_NS1_11comp_targetILNS1_3genE8ELNS1_11target_archE1030ELNS1_3gpuE2ELNS1_3repE0EEENS1_30default_config_static_selectorELNS0_4arch9wavefront6targetE1EEEvT1_.kd
    .uniform_work_group_size: 1
    .uses_dynamic_stack: false
    .vgpr_count:     0
    .vgpr_spill_count: 0
    .wavefront_size: 64
  - .agpr_count:     0
    .args:
      - .offset:         0
        .size:           136
        .value_kind:     by_value
    .group_segment_fixed_size: 0
    .kernarg_segment_align: 8
    .kernarg_segment_size: 136
    .language:       OpenCL C
    .language_version:
      - 2
      - 0
    .max_flat_workgroup_size: 128
    .name:           _ZN7rocprim17ROCPRIM_400000_NS6detail17trampoline_kernelINS0_14default_configENS1_25partition_config_selectorILNS1_17partition_subalgoE0ExNS0_10empty_typeEbEEZZNS1_14partition_implILS5_0ELb0ES3_jN6thrust23THRUST_200600_302600_NS6detail15normal_iteratorINSA_10device_ptrIxEEEEPS6_SG_NS0_5tupleIJSF_SF_EEENSH_IJSG_SG_EEES6_PlJ7is_evenIxEEEE10hipError_tPvRmT3_T4_T5_T6_T7_T9_mT8_P12ihipStream_tbDpT10_ENKUlT_T0_E_clISt17integral_constantIbLb1EES16_EEDaS11_S12_EUlS11_E_NS1_11comp_targetILNS1_3genE0ELNS1_11target_archE4294967295ELNS1_3gpuE0ELNS1_3repE0EEENS1_30default_config_static_selectorELNS0_4arch9wavefront6targetE1EEEvT1_
    .private_segment_fixed_size: 0
    .sgpr_count:     4
    .sgpr_spill_count: 0
    .symbol:         _ZN7rocprim17ROCPRIM_400000_NS6detail17trampoline_kernelINS0_14default_configENS1_25partition_config_selectorILNS1_17partition_subalgoE0ExNS0_10empty_typeEbEEZZNS1_14partition_implILS5_0ELb0ES3_jN6thrust23THRUST_200600_302600_NS6detail15normal_iteratorINSA_10device_ptrIxEEEEPS6_SG_NS0_5tupleIJSF_SF_EEENSH_IJSG_SG_EEES6_PlJ7is_evenIxEEEE10hipError_tPvRmT3_T4_T5_T6_T7_T9_mT8_P12ihipStream_tbDpT10_ENKUlT_T0_E_clISt17integral_constantIbLb1EES16_EEDaS11_S12_EUlS11_E_NS1_11comp_targetILNS1_3genE0ELNS1_11target_archE4294967295ELNS1_3gpuE0ELNS1_3repE0EEENS1_30default_config_static_selectorELNS0_4arch9wavefront6targetE1EEEvT1_.kd
    .uniform_work_group_size: 1
    .uses_dynamic_stack: false
    .vgpr_count:     0
    .vgpr_spill_count: 0
    .wavefront_size: 64
  - .agpr_count:     0
    .args:
      - .offset:         0
        .size:           136
        .value_kind:     by_value
    .group_segment_fixed_size: 0
    .kernarg_segment_align: 8
    .kernarg_segment_size: 136
    .language:       OpenCL C
    .language_version:
      - 2
      - 0
    .max_flat_workgroup_size: 512
    .name:           _ZN7rocprim17ROCPRIM_400000_NS6detail17trampoline_kernelINS0_14default_configENS1_25partition_config_selectorILNS1_17partition_subalgoE0ExNS0_10empty_typeEbEEZZNS1_14partition_implILS5_0ELb0ES3_jN6thrust23THRUST_200600_302600_NS6detail15normal_iteratorINSA_10device_ptrIxEEEEPS6_SG_NS0_5tupleIJSF_SF_EEENSH_IJSG_SG_EEES6_PlJ7is_evenIxEEEE10hipError_tPvRmT3_T4_T5_T6_T7_T9_mT8_P12ihipStream_tbDpT10_ENKUlT_T0_E_clISt17integral_constantIbLb1EES16_EEDaS11_S12_EUlS11_E_NS1_11comp_targetILNS1_3genE5ELNS1_11target_archE942ELNS1_3gpuE9ELNS1_3repE0EEENS1_30default_config_static_selectorELNS0_4arch9wavefront6targetE1EEEvT1_
    .private_segment_fixed_size: 0
    .sgpr_count:     4
    .sgpr_spill_count: 0
    .symbol:         _ZN7rocprim17ROCPRIM_400000_NS6detail17trampoline_kernelINS0_14default_configENS1_25partition_config_selectorILNS1_17partition_subalgoE0ExNS0_10empty_typeEbEEZZNS1_14partition_implILS5_0ELb0ES3_jN6thrust23THRUST_200600_302600_NS6detail15normal_iteratorINSA_10device_ptrIxEEEEPS6_SG_NS0_5tupleIJSF_SF_EEENSH_IJSG_SG_EEES6_PlJ7is_evenIxEEEE10hipError_tPvRmT3_T4_T5_T6_T7_T9_mT8_P12ihipStream_tbDpT10_ENKUlT_T0_E_clISt17integral_constantIbLb1EES16_EEDaS11_S12_EUlS11_E_NS1_11comp_targetILNS1_3genE5ELNS1_11target_archE942ELNS1_3gpuE9ELNS1_3repE0EEENS1_30default_config_static_selectorELNS0_4arch9wavefront6targetE1EEEvT1_.kd
    .uniform_work_group_size: 1
    .uses_dynamic_stack: false
    .vgpr_count:     0
    .vgpr_spill_count: 0
    .wavefront_size: 64
  - .agpr_count:     0
    .args:
      - .offset:         0
        .size:           136
        .value_kind:     by_value
    .group_segment_fixed_size: 6344
    .kernarg_segment_align: 8
    .kernarg_segment_size: 136
    .language:       OpenCL C
    .language_version:
      - 2
      - 0
    .max_flat_workgroup_size: 192
    .name:           _ZN7rocprim17ROCPRIM_400000_NS6detail17trampoline_kernelINS0_14default_configENS1_25partition_config_selectorILNS1_17partition_subalgoE0ExNS0_10empty_typeEbEEZZNS1_14partition_implILS5_0ELb0ES3_jN6thrust23THRUST_200600_302600_NS6detail15normal_iteratorINSA_10device_ptrIxEEEEPS6_SG_NS0_5tupleIJSF_SF_EEENSH_IJSG_SG_EEES6_PlJ7is_evenIxEEEE10hipError_tPvRmT3_T4_T5_T6_T7_T9_mT8_P12ihipStream_tbDpT10_ENKUlT_T0_E_clISt17integral_constantIbLb1EES16_EEDaS11_S12_EUlS11_E_NS1_11comp_targetILNS1_3genE4ELNS1_11target_archE910ELNS1_3gpuE8ELNS1_3repE0EEENS1_30default_config_static_selectorELNS0_4arch9wavefront6targetE1EEEvT1_
    .private_segment_fixed_size: 0
    .sgpr_count:     48
    .sgpr_spill_count: 0
    .symbol:         _ZN7rocprim17ROCPRIM_400000_NS6detail17trampoline_kernelINS0_14default_configENS1_25partition_config_selectorILNS1_17partition_subalgoE0ExNS0_10empty_typeEbEEZZNS1_14partition_implILS5_0ELb0ES3_jN6thrust23THRUST_200600_302600_NS6detail15normal_iteratorINSA_10device_ptrIxEEEEPS6_SG_NS0_5tupleIJSF_SF_EEENSH_IJSG_SG_EEES6_PlJ7is_evenIxEEEE10hipError_tPvRmT3_T4_T5_T6_T7_T9_mT8_P12ihipStream_tbDpT10_ENKUlT_T0_E_clISt17integral_constantIbLb1EES16_EEDaS11_S12_EUlS11_E_NS1_11comp_targetILNS1_3genE4ELNS1_11target_archE910ELNS1_3gpuE8ELNS1_3repE0EEENS1_30default_config_static_selectorELNS0_4arch9wavefront6targetE1EEEvT1_.kd
    .uniform_work_group_size: 1
    .uses_dynamic_stack: false
    .vgpr_count:     47
    .vgpr_spill_count: 0
    .wavefront_size: 64
  - .agpr_count:     0
    .args:
      - .offset:         0
        .size:           136
        .value_kind:     by_value
    .group_segment_fixed_size: 0
    .kernarg_segment_align: 8
    .kernarg_segment_size: 136
    .language:       OpenCL C
    .language_version:
      - 2
      - 0
    .max_flat_workgroup_size: 128
    .name:           _ZN7rocprim17ROCPRIM_400000_NS6detail17trampoline_kernelINS0_14default_configENS1_25partition_config_selectorILNS1_17partition_subalgoE0ExNS0_10empty_typeEbEEZZNS1_14partition_implILS5_0ELb0ES3_jN6thrust23THRUST_200600_302600_NS6detail15normal_iteratorINSA_10device_ptrIxEEEEPS6_SG_NS0_5tupleIJSF_SF_EEENSH_IJSG_SG_EEES6_PlJ7is_evenIxEEEE10hipError_tPvRmT3_T4_T5_T6_T7_T9_mT8_P12ihipStream_tbDpT10_ENKUlT_T0_E_clISt17integral_constantIbLb1EES16_EEDaS11_S12_EUlS11_E_NS1_11comp_targetILNS1_3genE3ELNS1_11target_archE908ELNS1_3gpuE7ELNS1_3repE0EEENS1_30default_config_static_selectorELNS0_4arch9wavefront6targetE1EEEvT1_
    .private_segment_fixed_size: 0
    .sgpr_count:     4
    .sgpr_spill_count: 0
    .symbol:         _ZN7rocprim17ROCPRIM_400000_NS6detail17trampoline_kernelINS0_14default_configENS1_25partition_config_selectorILNS1_17partition_subalgoE0ExNS0_10empty_typeEbEEZZNS1_14partition_implILS5_0ELb0ES3_jN6thrust23THRUST_200600_302600_NS6detail15normal_iteratorINSA_10device_ptrIxEEEEPS6_SG_NS0_5tupleIJSF_SF_EEENSH_IJSG_SG_EEES6_PlJ7is_evenIxEEEE10hipError_tPvRmT3_T4_T5_T6_T7_T9_mT8_P12ihipStream_tbDpT10_ENKUlT_T0_E_clISt17integral_constantIbLb1EES16_EEDaS11_S12_EUlS11_E_NS1_11comp_targetILNS1_3genE3ELNS1_11target_archE908ELNS1_3gpuE7ELNS1_3repE0EEENS1_30default_config_static_selectorELNS0_4arch9wavefront6targetE1EEEvT1_.kd
    .uniform_work_group_size: 1
    .uses_dynamic_stack: false
    .vgpr_count:     0
    .vgpr_spill_count: 0
    .wavefront_size: 64
  - .agpr_count:     0
    .args:
      - .offset:         0
        .size:           136
        .value_kind:     by_value
    .group_segment_fixed_size: 0
    .kernarg_segment_align: 8
    .kernarg_segment_size: 136
    .language:       OpenCL C
    .language_version:
      - 2
      - 0
    .max_flat_workgroup_size: 256
    .name:           _ZN7rocprim17ROCPRIM_400000_NS6detail17trampoline_kernelINS0_14default_configENS1_25partition_config_selectorILNS1_17partition_subalgoE0ExNS0_10empty_typeEbEEZZNS1_14partition_implILS5_0ELb0ES3_jN6thrust23THRUST_200600_302600_NS6detail15normal_iteratorINSA_10device_ptrIxEEEEPS6_SG_NS0_5tupleIJSF_SF_EEENSH_IJSG_SG_EEES6_PlJ7is_evenIxEEEE10hipError_tPvRmT3_T4_T5_T6_T7_T9_mT8_P12ihipStream_tbDpT10_ENKUlT_T0_E_clISt17integral_constantIbLb1EES16_EEDaS11_S12_EUlS11_E_NS1_11comp_targetILNS1_3genE2ELNS1_11target_archE906ELNS1_3gpuE6ELNS1_3repE0EEENS1_30default_config_static_selectorELNS0_4arch9wavefront6targetE1EEEvT1_
    .private_segment_fixed_size: 0
    .sgpr_count:     4
    .sgpr_spill_count: 0
    .symbol:         _ZN7rocprim17ROCPRIM_400000_NS6detail17trampoline_kernelINS0_14default_configENS1_25partition_config_selectorILNS1_17partition_subalgoE0ExNS0_10empty_typeEbEEZZNS1_14partition_implILS5_0ELb0ES3_jN6thrust23THRUST_200600_302600_NS6detail15normal_iteratorINSA_10device_ptrIxEEEEPS6_SG_NS0_5tupleIJSF_SF_EEENSH_IJSG_SG_EEES6_PlJ7is_evenIxEEEE10hipError_tPvRmT3_T4_T5_T6_T7_T9_mT8_P12ihipStream_tbDpT10_ENKUlT_T0_E_clISt17integral_constantIbLb1EES16_EEDaS11_S12_EUlS11_E_NS1_11comp_targetILNS1_3genE2ELNS1_11target_archE906ELNS1_3gpuE6ELNS1_3repE0EEENS1_30default_config_static_selectorELNS0_4arch9wavefront6targetE1EEEvT1_.kd
    .uniform_work_group_size: 1
    .uses_dynamic_stack: false
    .vgpr_count:     0
    .vgpr_spill_count: 0
    .wavefront_size: 64
  - .agpr_count:     0
    .args:
      - .offset:         0
        .size:           136
        .value_kind:     by_value
    .group_segment_fixed_size: 0
    .kernarg_segment_align: 8
    .kernarg_segment_size: 136
    .language:       OpenCL C
    .language_version:
      - 2
      - 0
    .max_flat_workgroup_size: 512
    .name:           _ZN7rocprim17ROCPRIM_400000_NS6detail17trampoline_kernelINS0_14default_configENS1_25partition_config_selectorILNS1_17partition_subalgoE0ExNS0_10empty_typeEbEEZZNS1_14partition_implILS5_0ELb0ES3_jN6thrust23THRUST_200600_302600_NS6detail15normal_iteratorINSA_10device_ptrIxEEEEPS6_SG_NS0_5tupleIJSF_SF_EEENSH_IJSG_SG_EEES6_PlJ7is_evenIxEEEE10hipError_tPvRmT3_T4_T5_T6_T7_T9_mT8_P12ihipStream_tbDpT10_ENKUlT_T0_E_clISt17integral_constantIbLb1EES16_EEDaS11_S12_EUlS11_E_NS1_11comp_targetILNS1_3genE10ELNS1_11target_archE1200ELNS1_3gpuE4ELNS1_3repE0EEENS1_30default_config_static_selectorELNS0_4arch9wavefront6targetE1EEEvT1_
    .private_segment_fixed_size: 0
    .sgpr_count:     4
    .sgpr_spill_count: 0
    .symbol:         _ZN7rocprim17ROCPRIM_400000_NS6detail17trampoline_kernelINS0_14default_configENS1_25partition_config_selectorILNS1_17partition_subalgoE0ExNS0_10empty_typeEbEEZZNS1_14partition_implILS5_0ELb0ES3_jN6thrust23THRUST_200600_302600_NS6detail15normal_iteratorINSA_10device_ptrIxEEEEPS6_SG_NS0_5tupleIJSF_SF_EEENSH_IJSG_SG_EEES6_PlJ7is_evenIxEEEE10hipError_tPvRmT3_T4_T5_T6_T7_T9_mT8_P12ihipStream_tbDpT10_ENKUlT_T0_E_clISt17integral_constantIbLb1EES16_EEDaS11_S12_EUlS11_E_NS1_11comp_targetILNS1_3genE10ELNS1_11target_archE1200ELNS1_3gpuE4ELNS1_3repE0EEENS1_30default_config_static_selectorELNS0_4arch9wavefront6targetE1EEEvT1_.kd
    .uniform_work_group_size: 1
    .uses_dynamic_stack: false
    .vgpr_count:     0
    .vgpr_spill_count: 0
    .wavefront_size: 64
  - .agpr_count:     0
    .args:
      - .offset:         0
        .size:           136
        .value_kind:     by_value
    .group_segment_fixed_size: 0
    .kernarg_segment_align: 8
    .kernarg_segment_size: 136
    .language:       OpenCL C
    .language_version:
      - 2
      - 0
    .max_flat_workgroup_size: 512
    .name:           _ZN7rocprim17ROCPRIM_400000_NS6detail17trampoline_kernelINS0_14default_configENS1_25partition_config_selectorILNS1_17partition_subalgoE0ExNS0_10empty_typeEbEEZZNS1_14partition_implILS5_0ELb0ES3_jN6thrust23THRUST_200600_302600_NS6detail15normal_iteratorINSA_10device_ptrIxEEEEPS6_SG_NS0_5tupleIJSF_SF_EEENSH_IJSG_SG_EEES6_PlJ7is_evenIxEEEE10hipError_tPvRmT3_T4_T5_T6_T7_T9_mT8_P12ihipStream_tbDpT10_ENKUlT_T0_E_clISt17integral_constantIbLb1EES16_EEDaS11_S12_EUlS11_E_NS1_11comp_targetILNS1_3genE9ELNS1_11target_archE1100ELNS1_3gpuE3ELNS1_3repE0EEENS1_30default_config_static_selectorELNS0_4arch9wavefront6targetE1EEEvT1_
    .private_segment_fixed_size: 0
    .sgpr_count:     4
    .sgpr_spill_count: 0
    .symbol:         _ZN7rocprim17ROCPRIM_400000_NS6detail17trampoline_kernelINS0_14default_configENS1_25partition_config_selectorILNS1_17partition_subalgoE0ExNS0_10empty_typeEbEEZZNS1_14partition_implILS5_0ELb0ES3_jN6thrust23THRUST_200600_302600_NS6detail15normal_iteratorINSA_10device_ptrIxEEEEPS6_SG_NS0_5tupleIJSF_SF_EEENSH_IJSG_SG_EEES6_PlJ7is_evenIxEEEE10hipError_tPvRmT3_T4_T5_T6_T7_T9_mT8_P12ihipStream_tbDpT10_ENKUlT_T0_E_clISt17integral_constantIbLb1EES16_EEDaS11_S12_EUlS11_E_NS1_11comp_targetILNS1_3genE9ELNS1_11target_archE1100ELNS1_3gpuE3ELNS1_3repE0EEENS1_30default_config_static_selectorELNS0_4arch9wavefront6targetE1EEEvT1_.kd
    .uniform_work_group_size: 1
    .uses_dynamic_stack: false
    .vgpr_count:     0
    .vgpr_spill_count: 0
    .wavefront_size: 64
  - .agpr_count:     0
    .args:
      - .offset:         0
        .size:           136
        .value_kind:     by_value
    .group_segment_fixed_size: 0
    .kernarg_segment_align: 8
    .kernarg_segment_size: 136
    .language:       OpenCL C
    .language_version:
      - 2
      - 0
    .max_flat_workgroup_size: 512
    .name:           _ZN7rocprim17ROCPRIM_400000_NS6detail17trampoline_kernelINS0_14default_configENS1_25partition_config_selectorILNS1_17partition_subalgoE0ExNS0_10empty_typeEbEEZZNS1_14partition_implILS5_0ELb0ES3_jN6thrust23THRUST_200600_302600_NS6detail15normal_iteratorINSA_10device_ptrIxEEEEPS6_SG_NS0_5tupleIJSF_SF_EEENSH_IJSG_SG_EEES6_PlJ7is_evenIxEEEE10hipError_tPvRmT3_T4_T5_T6_T7_T9_mT8_P12ihipStream_tbDpT10_ENKUlT_T0_E_clISt17integral_constantIbLb1EES16_EEDaS11_S12_EUlS11_E_NS1_11comp_targetILNS1_3genE8ELNS1_11target_archE1030ELNS1_3gpuE2ELNS1_3repE0EEENS1_30default_config_static_selectorELNS0_4arch9wavefront6targetE1EEEvT1_
    .private_segment_fixed_size: 0
    .sgpr_count:     4
    .sgpr_spill_count: 0
    .symbol:         _ZN7rocprim17ROCPRIM_400000_NS6detail17trampoline_kernelINS0_14default_configENS1_25partition_config_selectorILNS1_17partition_subalgoE0ExNS0_10empty_typeEbEEZZNS1_14partition_implILS5_0ELb0ES3_jN6thrust23THRUST_200600_302600_NS6detail15normal_iteratorINSA_10device_ptrIxEEEEPS6_SG_NS0_5tupleIJSF_SF_EEENSH_IJSG_SG_EEES6_PlJ7is_evenIxEEEE10hipError_tPvRmT3_T4_T5_T6_T7_T9_mT8_P12ihipStream_tbDpT10_ENKUlT_T0_E_clISt17integral_constantIbLb1EES16_EEDaS11_S12_EUlS11_E_NS1_11comp_targetILNS1_3genE8ELNS1_11target_archE1030ELNS1_3gpuE2ELNS1_3repE0EEENS1_30default_config_static_selectorELNS0_4arch9wavefront6targetE1EEEvT1_.kd
    .uniform_work_group_size: 1
    .uses_dynamic_stack: false
    .vgpr_count:     0
    .vgpr_spill_count: 0
    .wavefront_size: 64
  - .agpr_count:     0
    .args:
      - .offset:         0
        .size:           120
        .value_kind:     by_value
    .group_segment_fixed_size: 0
    .kernarg_segment_align: 8
    .kernarg_segment_size: 120
    .language:       OpenCL C
    .language_version:
      - 2
      - 0
    .max_flat_workgroup_size: 128
    .name:           _ZN7rocprim17ROCPRIM_400000_NS6detail17trampoline_kernelINS0_14default_configENS1_25partition_config_selectorILNS1_17partition_subalgoE0ExNS0_10empty_typeEbEEZZNS1_14partition_implILS5_0ELb0ES3_jN6thrust23THRUST_200600_302600_NS6detail15normal_iteratorINSA_10device_ptrIxEEEEPS6_SG_NS0_5tupleIJSF_SF_EEENSH_IJSG_SG_EEES6_PlJ7is_evenIxEEEE10hipError_tPvRmT3_T4_T5_T6_T7_T9_mT8_P12ihipStream_tbDpT10_ENKUlT_T0_E_clISt17integral_constantIbLb1EES15_IbLb0EEEEDaS11_S12_EUlS11_E_NS1_11comp_targetILNS1_3genE0ELNS1_11target_archE4294967295ELNS1_3gpuE0ELNS1_3repE0EEENS1_30default_config_static_selectorELNS0_4arch9wavefront6targetE1EEEvT1_
    .private_segment_fixed_size: 0
    .sgpr_count:     4
    .sgpr_spill_count: 0
    .symbol:         _ZN7rocprim17ROCPRIM_400000_NS6detail17trampoline_kernelINS0_14default_configENS1_25partition_config_selectorILNS1_17partition_subalgoE0ExNS0_10empty_typeEbEEZZNS1_14partition_implILS5_0ELb0ES3_jN6thrust23THRUST_200600_302600_NS6detail15normal_iteratorINSA_10device_ptrIxEEEEPS6_SG_NS0_5tupleIJSF_SF_EEENSH_IJSG_SG_EEES6_PlJ7is_evenIxEEEE10hipError_tPvRmT3_T4_T5_T6_T7_T9_mT8_P12ihipStream_tbDpT10_ENKUlT_T0_E_clISt17integral_constantIbLb1EES15_IbLb0EEEEDaS11_S12_EUlS11_E_NS1_11comp_targetILNS1_3genE0ELNS1_11target_archE4294967295ELNS1_3gpuE0ELNS1_3repE0EEENS1_30default_config_static_selectorELNS0_4arch9wavefront6targetE1EEEvT1_.kd
    .uniform_work_group_size: 1
    .uses_dynamic_stack: false
    .vgpr_count:     0
    .vgpr_spill_count: 0
    .wavefront_size: 64
  - .agpr_count:     0
    .args:
      - .offset:         0
        .size:           120
        .value_kind:     by_value
    .group_segment_fixed_size: 0
    .kernarg_segment_align: 8
    .kernarg_segment_size: 120
    .language:       OpenCL C
    .language_version:
      - 2
      - 0
    .max_flat_workgroup_size: 512
    .name:           _ZN7rocprim17ROCPRIM_400000_NS6detail17trampoline_kernelINS0_14default_configENS1_25partition_config_selectorILNS1_17partition_subalgoE0ExNS0_10empty_typeEbEEZZNS1_14partition_implILS5_0ELb0ES3_jN6thrust23THRUST_200600_302600_NS6detail15normal_iteratorINSA_10device_ptrIxEEEEPS6_SG_NS0_5tupleIJSF_SF_EEENSH_IJSG_SG_EEES6_PlJ7is_evenIxEEEE10hipError_tPvRmT3_T4_T5_T6_T7_T9_mT8_P12ihipStream_tbDpT10_ENKUlT_T0_E_clISt17integral_constantIbLb1EES15_IbLb0EEEEDaS11_S12_EUlS11_E_NS1_11comp_targetILNS1_3genE5ELNS1_11target_archE942ELNS1_3gpuE9ELNS1_3repE0EEENS1_30default_config_static_selectorELNS0_4arch9wavefront6targetE1EEEvT1_
    .private_segment_fixed_size: 0
    .sgpr_count:     4
    .sgpr_spill_count: 0
    .symbol:         _ZN7rocprim17ROCPRIM_400000_NS6detail17trampoline_kernelINS0_14default_configENS1_25partition_config_selectorILNS1_17partition_subalgoE0ExNS0_10empty_typeEbEEZZNS1_14partition_implILS5_0ELb0ES3_jN6thrust23THRUST_200600_302600_NS6detail15normal_iteratorINSA_10device_ptrIxEEEEPS6_SG_NS0_5tupleIJSF_SF_EEENSH_IJSG_SG_EEES6_PlJ7is_evenIxEEEE10hipError_tPvRmT3_T4_T5_T6_T7_T9_mT8_P12ihipStream_tbDpT10_ENKUlT_T0_E_clISt17integral_constantIbLb1EES15_IbLb0EEEEDaS11_S12_EUlS11_E_NS1_11comp_targetILNS1_3genE5ELNS1_11target_archE942ELNS1_3gpuE9ELNS1_3repE0EEENS1_30default_config_static_selectorELNS0_4arch9wavefront6targetE1EEEvT1_.kd
    .uniform_work_group_size: 1
    .uses_dynamic_stack: false
    .vgpr_count:     0
    .vgpr_spill_count: 0
    .wavefront_size: 64
  - .agpr_count:     0
    .args:
      - .offset:         0
        .size:           120
        .value_kind:     by_value
    .group_segment_fixed_size: 6344
    .kernarg_segment_align: 8
    .kernarg_segment_size: 120
    .language:       OpenCL C
    .language_version:
      - 2
      - 0
    .max_flat_workgroup_size: 192
    .name:           _ZN7rocprim17ROCPRIM_400000_NS6detail17trampoline_kernelINS0_14default_configENS1_25partition_config_selectorILNS1_17partition_subalgoE0ExNS0_10empty_typeEbEEZZNS1_14partition_implILS5_0ELb0ES3_jN6thrust23THRUST_200600_302600_NS6detail15normal_iteratorINSA_10device_ptrIxEEEEPS6_SG_NS0_5tupleIJSF_SF_EEENSH_IJSG_SG_EEES6_PlJ7is_evenIxEEEE10hipError_tPvRmT3_T4_T5_T6_T7_T9_mT8_P12ihipStream_tbDpT10_ENKUlT_T0_E_clISt17integral_constantIbLb1EES15_IbLb0EEEEDaS11_S12_EUlS11_E_NS1_11comp_targetILNS1_3genE4ELNS1_11target_archE910ELNS1_3gpuE8ELNS1_3repE0EEENS1_30default_config_static_selectorELNS0_4arch9wavefront6targetE1EEEvT1_
    .private_segment_fixed_size: 0
    .sgpr_count:     48
    .sgpr_spill_count: 0
    .symbol:         _ZN7rocprim17ROCPRIM_400000_NS6detail17trampoline_kernelINS0_14default_configENS1_25partition_config_selectorILNS1_17partition_subalgoE0ExNS0_10empty_typeEbEEZZNS1_14partition_implILS5_0ELb0ES3_jN6thrust23THRUST_200600_302600_NS6detail15normal_iteratorINSA_10device_ptrIxEEEEPS6_SG_NS0_5tupleIJSF_SF_EEENSH_IJSG_SG_EEES6_PlJ7is_evenIxEEEE10hipError_tPvRmT3_T4_T5_T6_T7_T9_mT8_P12ihipStream_tbDpT10_ENKUlT_T0_E_clISt17integral_constantIbLb1EES15_IbLb0EEEEDaS11_S12_EUlS11_E_NS1_11comp_targetILNS1_3genE4ELNS1_11target_archE910ELNS1_3gpuE8ELNS1_3repE0EEENS1_30default_config_static_selectorELNS0_4arch9wavefront6targetE1EEEvT1_.kd
    .uniform_work_group_size: 1
    .uses_dynamic_stack: false
    .vgpr_count:     43
    .vgpr_spill_count: 0
    .wavefront_size: 64
  - .agpr_count:     0
    .args:
      - .offset:         0
        .size:           120
        .value_kind:     by_value
    .group_segment_fixed_size: 0
    .kernarg_segment_align: 8
    .kernarg_segment_size: 120
    .language:       OpenCL C
    .language_version:
      - 2
      - 0
    .max_flat_workgroup_size: 128
    .name:           _ZN7rocprim17ROCPRIM_400000_NS6detail17trampoline_kernelINS0_14default_configENS1_25partition_config_selectorILNS1_17partition_subalgoE0ExNS0_10empty_typeEbEEZZNS1_14partition_implILS5_0ELb0ES3_jN6thrust23THRUST_200600_302600_NS6detail15normal_iteratorINSA_10device_ptrIxEEEEPS6_SG_NS0_5tupleIJSF_SF_EEENSH_IJSG_SG_EEES6_PlJ7is_evenIxEEEE10hipError_tPvRmT3_T4_T5_T6_T7_T9_mT8_P12ihipStream_tbDpT10_ENKUlT_T0_E_clISt17integral_constantIbLb1EES15_IbLb0EEEEDaS11_S12_EUlS11_E_NS1_11comp_targetILNS1_3genE3ELNS1_11target_archE908ELNS1_3gpuE7ELNS1_3repE0EEENS1_30default_config_static_selectorELNS0_4arch9wavefront6targetE1EEEvT1_
    .private_segment_fixed_size: 0
    .sgpr_count:     4
    .sgpr_spill_count: 0
    .symbol:         _ZN7rocprim17ROCPRIM_400000_NS6detail17trampoline_kernelINS0_14default_configENS1_25partition_config_selectorILNS1_17partition_subalgoE0ExNS0_10empty_typeEbEEZZNS1_14partition_implILS5_0ELb0ES3_jN6thrust23THRUST_200600_302600_NS6detail15normal_iteratorINSA_10device_ptrIxEEEEPS6_SG_NS0_5tupleIJSF_SF_EEENSH_IJSG_SG_EEES6_PlJ7is_evenIxEEEE10hipError_tPvRmT3_T4_T5_T6_T7_T9_mT8_P12ihipStream_tbDpT10_ENKUlT_T0_E_clISt17integral_constantIbLb1EES15_IbLb0EEEEDaS11_S12_EUlS11_E_NS1_11comp_targetILNS1_3genE3ELNS1_11target_archE908ELNS1_3gpuE7ELNS1_3repE0EEENS1_30default_config_static_selectorELNS0_4arch9wavefront6targetE1EEEvT1_.kd
    .uniform_work_group_size: 1
    .uses_dynamic_stack: false
    .vgpr_count:     0
    .vgpr_spill_count: 0
    .wavefront_size: 64
  - .agpr_count:     0
    .args:
      - .offset:         0
        .size:           120
        .value_kind:     by_value
    .group_segment_fixed_size: 0
    .kernarg_segment_align: 8
    .kernarg_segment_size: 120
    .language:       OpenCL C
    .language_version:
      - 2
      - 0
    .max_flat_workgroup_size: 256
    .name:           _ZN7rocprim17ROCPRIM_400000_NS6detail17trampoline_kernelINS0_14default_configENS1_25partition_config_selectorILNS1_17partition_subalgoE0ExNS0_10empty_typeEbEEZZNS1_14partition_implILS5_0ELb0ES3_jN6thrust23THRUST_200600_302600_NS6detail15normal_iteratorINSA_10device_ptrIxEEEEPS6_SG_NS0_5tupleIJSF_SF_EEENSH_IJSG_SG_EEES6_PlJ7is_evenIxEEEE10hipError_tPvRmT3_T4_T5_T6_T7_T9_mT8_P12ihipStream_tbDpT10_ENKUlT_T0_E_clISt17integral_constantIbLb1EES15_IbLb0EEEEDaS11_S12_EUlS11_E_NS1_11comp_targetILNS1_3genE2ELNS1_11target_archE906ELNS1_3gpuE6ELNS1_3repE0EEENS1_30default_config_static_selectorELNS0_4arch9wavefront6targetE1EEEvT1_
    .private_segment_fixed_size: 0
    .sgpr_count:     4
    .sgpr_spill_count: 0
    .symbol:         _ZN7rocprim17ROCPRIM_400000_NS6detail17trampoline_kernelINS0_14default_configENS1_25partition_config_selectorILNS1_17partition_subalgoE0ExNS0_10empty_typeEbEEZZNS1_14partition_implILS5_0ELb0ES3_jN6thrust23THRUST_200600_302600_NS6detail15normal_iteratorINSA_10device_ptrIxEEEEPS6_SG_NS0_5tupleIJSF_SF_EEENSH_IJSG_SG_EEES6_PlJ7is_evenIxEEEE10hipError_tPvRmT3_T4_T5_T6_T7_T9_mT8_P12ihipStream_tbDpT10_ENKUlT_T0_E_clISt17integral_constantIbLb1EES15_IbLb0EEEEDaS11_S12_EUlS11_E_NS1_11comp_targetILNS1_3genE2ELNS1_11target_archE906ELNS1_3gpuE6ELNS1_3repE0EEENS1_30default_config_static_selectorELNS0_4arch9wavefront6targetE1EEEvT1_.kd
    .uniform_work_group_size: 1
    .uses_dynamic_stack: false
    .vgpr_count:     0
    .vgpr_spill_count: 0
    .wavefront_size: 64
  - .agpr_count:     0
    .args:
      - .offset:         0
        .size:           120
        .value_kind:     by_value
    .group_segment_fixed_size: 0
    .kernarg_segment_align: 8
    .kernarg_segment_size: 120
    .language:       OpenCL C
    .language_version:
      - 2
      - 0
    .max_flat_workgroup_size: 512
    .name:           _ZN7rocprim17ROCPRIM_400000_NS6detail17trampoline_kernelINS0_14default_configENS1_25partition_config_selectorILNS1_17partition_subalgoE0ExNS0_10empty_typeEbEEZZNS1_14partition_implILS5_0ELb0ES3_jN6thrust23THRUST_200600_302600_NS6detail15normal_iteratorINSA_10device_ptrIxEEEEPS6_SG_NS0_5tupleIJSF_SF_EEENSH_IJSG_SG_EEES6_PlJ7is_evenIxEEEE10hipError_tPvRmT3_T4_T5_T6_T7_T9_mT8_P12ihipStream_tbDpT10_ENKUlT_T0_E_clISt17integral_constantIbLb1EES15_IbLb0EEEEDaS11_S12_EUlS11_E_NS1_11comp_targetILNS1_3genE10ELNS1_11target_archE1200ELNS1_3gpuE4ELNS1_3repE0EEENS1_30default_config_static_selectorELNS0_4arch9wavefront6targetE1EEEvT1_
    .private_segment_fixed_size: 0
    .sgpr_count:     4
    .sgpr_spill_count: 0
    .symbol:         _ZN7rocprim17ROCPRIM_400000_NS6detail17trampoline_kernelINS0_14default_configENS1_25partition_config_selectorILNS1_17partition_subalgoE0ExNS0_10empty_typeEbEEZZNS1_14partition_implILS5_0ELb0ES3_jN6thrust23THRUST_200600_302600_NS6detail15normal_iteratorINSA_10device_ptrIxEEEEPS6_SG_NS0_5tupleIJSF_SF_EEENSH_IJSG_SG_EEES6_PlJ7is_evenIxEEEE10hipError_tPvRmT3_T4_T5_T6_T7_T9_mT8_P12ihipStream_tbDpT10_ENKUlT_T0_E_clISt17integral_constantIbLb1EES15_IbLb0EEEEDaS11_S12_EUlS11_E_NS1_11comp_targetILNS1_3genE10ELNS1_11target_archE1200ELNS1_3gpuE4ELNS1_3repE0EEENS1_30default_config_static_selectorELNS0_4arch9wavefront6targetE1EEEvT1_.kd
    .uniform_work_group_size: 1
    .uses_dynamic_stack: false
    .vgpr_count:     0
    .vgpr_spill_count: 0
    .wavefront_size: 64
  - .agpr_count:     0
    .args:
      - .offset:         0
        .size:           120
        .value_kind:     by_value
    .group_segment_fixed_size: 0
    .kernarg_segment_align: 8
    .kernarg_segment_size: 120
    .language:       OpenCL C
    .language_version:
      - 2
      - 0
    .max_flat_workgroup_size: 512
    .name:           _ZN7rocprim17ROCPRIM_400000_NS6detail17trampoline_kernelINS0_14default_configENS1_25partition_config_selectorILNS1_17partition_subalgoE0ExNS0_10empty_typeEbEEZZNS1_14partition_implILS5_0ELb0ES3_jN6thrust23THRUST_200600_302600_NS6detail15normal_iteratorINSA_10device_ptrIxEEEEPS6_SG_NS0_5tupleIJSF_SF_EEENSH_IJSG_SG_EEES6_PlJ7is_evenIxEEEE10hipError_tPvRmT3_T4_T5_T6_T7_T9_mT8_P12ihipStream_tbDpT10_ENKUlT_T0_E_clISt17integral_constantIbLb1EES15_IbLb0EEEEDaS11_S12_EUlS11_E_NS1_11comp_targetILNS1_3genE9ELNS1_11target_archE1100ELNS1_3gpuE3ELNS1_3repE0EEENS1_30default_config_static_selectorELNS0_4arch9wavefront6targetE1EEEvT1_
    .private_segment_fixed_size: 0
    .sgpr_count:     4
    .sgpr_spill_count: 0
    .symbol:         _ZN7rocprim17ROCPRIM_400000_NS6detail17trampoline_kernelINS0_14default_configENS1_25partition_config_selectorILNS1_17partition_subalgoE0ExNS0_10empty_typeEbEEZZNS1_14partition_implILS5_0ELb0ES3_jN6thrust23THRUST_200600_302600_NS6detail15normal_iteratorINSA_10device_ptrIxEEEEPS6_SG_NS0_5tupleIJSF_SF_EEENSH_IJSG_SG_EEES6_PlJ7is_evenIxEEEE10hipError_tPvRmT3_T4_T5_T6_T7_T9_mT8_P12ihipStream_tbDpT10_ENKUlT_T0_E_clISt17integral_constantIbLb1EES15_IbLb0EEEEDaS11_S12_EUlS11_E_NS1_11comp_targetILNS1_3genE9ELNS1_11target_archE1100ELNS1_3gpuE3ELNS1_3repE0EEENS1_30default_config_static_selectorELNS0_4arch9wavefront6targetE1EEEvT1_.kd
    .uniform_work_group_size: 1
    .uses_dynamic_stack: false
    .vgpr_count:     0
    .vgpr_spill_count: 0
    .wavefront_size: 64
  - .agpr_count:     0
    .args:
      - .offset:         0
        .size:           120
        .value_kind:     by_value
    .group_segment_fixed_size: 0
    .kernarg_segment_align: 8
    .kernarg_segment_size: 120
    .language:       OpenCL C
    .language_version:
      - 2
      - 0
    .max_flat_workgroup_size: 512
    .name:           _ZN7rocprim17ROCPRIM_400000_NS6detail17trampoline_kernelINS0_14default_configENS1_25partition_config_selectorILNS1_17partition_subalgoE0ExNS0_10empty_typeEbEEZZNS1_14partition_implILS5_0ELb0ES3_jN6thrust23THRUST_200600_302600_NS6detail15normal_iteratorINSA_10device_ptrIxEEEEPS6_SG_NS0_5tupleIJSF_SF_EEENSH_IJSG_SG_EEES6_PlJ7is_evenIxEEEE10hipError_tPvRmT3_T4_T5_T6_T7_T9_mT8_P12ihipStream_tbDpT10_ENKUlT_T0_E_clISt17integral_constantIbLb1EES15_IbLb0EEEEDaS11_S12_EUlS11_E_NS1_11comp_targetILNS1_3genE8ELNS1_11target_archE1030ELNS1_3gpuE2ELNS1_3repE0EEENS1_30default_config_static_selectorELNS0_4arch9wavefront6targetE1EEEvT1_
    .private_segment_fixed_size: 0
    .sgpr_count:     4
    .sgpr_spill_count: 0
    .symbol:         _ZN7rocprim17ROCPRIM_400000_NS6detail17trampoline_kernelINS0_14default_configENS1_25partition_config_selectorILNS1_17partition_subalgoE0ExNS0_10empty_typeEbEEZZNS1_14partition_implILS5_0ELb0ES3_jN6thrust23THRUST_200600_302600_NS6detail15normal_iteratorINSA_10device_ptrIxEEEEPS6_SG_NS0_5tupleIJSF_SF_EEENSH_IJSG_SG_EEES6_PlJ7is_evenIxEEEE10hipError_tPvRmT3_T4_T5_T6_T7_T9_mT8_P12ihipStream_tbDpT10_ENKUlT_T0_E_clISt17integral_constantIbLb1EES15_IbLb0EEEEDaS11_S12_EUlS11_E_NS1_11comp_targetILNS1_3genE8ELNS1_11target_archE1030ELNS1_3gpuE2ELNS1_3repE0EEENS1_30default_config_static_selectorELNS0_4arch9wavefront6targetE1EEEvT1_.kd
    .uniform_work_group_size: 1
    .uses_dynamic_stack: false
    .vgpr_count:     0
    .vgpr_spill_count: 0
    .wavefront_size: 64
  - .agpr_count:     0
    .args:
      - .offset:         0
        .size:           136
        .value_kind:     by_value
    .group_segment_fixed_size: 0
    .kernarg_segment_align: 8
    .kernarg_segment_size: 136
    .language:       OpenCL C
    .language_version:
      - 2
      - 0
    .max_flat_workgroup_size: 128
    .name:           _ZN7rocprim17ROCPRIM_400000_NS6detail17trampoline_kernelINS0_14default_configENS1_25partition_config_selectorILNS1_17partition_subalgoE0ExNS0_10empty_typeEbEEZZNS1_14partition_implILS5_0ELb0ES3_jN6thrust23THRUST_200600_302600_NS6detail15normal_iteratorINSA_10device_ptrIxEEEEPS6_SG_NS0_5tupleIJSF_SF_EEENSH_IJSG_SG_EEES6_PlJ7is_evenIxEEEE10hipError_tPvRmT3_T4_T5_T6_T7_T9_mT8_P12ihipStream_tbDpT10_ENKUlT_T0_E_clISt17integral_constantIbLb0EES15_IbLb1EEEEDaS11_S12_EUlS11_E_NS1_11comp_targetILNS1_3genE0ELNS1_11target_archE4294967295ELNS1_3gpuE0ELNS1_3repE0EEENS1_30default_config_static_selectorELNS0_4arch9wavefront6targetE1EEEvT1_
    .private_segment_fixed_size: 0
    .sgpr_count:     4
    .sgpr_spill_count: 0
    .symbol:         _ZN7rocprim17ROCPRIM_400000_NS6detail17trampoline_kernelINS0_14default_configENS1_25partition_config_selectorILNS1_17partition_subalgoE0ExNS0_10empty_typeEbEEZZNS1_14partition_implILS5_0ELb0ES3_jN6thrust23THRUST_200600_302600_NS6detail15normal_iteratorINSA_10device_ptrIxEEEEPS6_SG_NS0_5tupleIJSF_SF_EEENSH_IJSG_SG_EEES6_PlJ7is_evenIxEEEE10hipError_tPvRmT3_T4_T5_T6_T7_T9_mT8_P12ihipStream_tbDpT10_ENKUlT_T0_E_clISt17integral_constantIbLb0EES15_IbLb1EEEEDaS11_S12_EUlS11_E_NS1_11comp_targetILNS1_3genE0ELNS1_11target_archE4294967295ELNS1_3gpuE0ELNS1_3repE0EEENS1_30default_config_static_selectorELNS0_4arch9wavefront6targetE1EEEvT1_.kd
    .uniform_work_group_size: 1
    .uses_dynamic_stack: false
    .vgpr_count:     0
    .vgpr_spill_count: 0
    .wavefront_size: 64
  - .agpr_count:     0
    .args:
      - .offset:         0
        .size:           136
        .value_kind:     by_value
    .group_segment_fixed_size: 0
    .kernarg_segment_align: 8
    .kernarg_segment_size: 136
    .language:       OpenCL C
    .language_version:
      - 2
      - 0
    .max_flat_workgroup_size: 512
    .name:           _ZN7rocprim17ROCPRIM_400000_NS6detail17trampoline_kernelINS0_14default_configENS1_25partition_config_selectorILNS1_17partition_subalgoE0ExNS0_10empty_typeEbEEZZNS1_14partition_implILS5_0ELb0ES3_jN6thrust23THRUST_200600_302600_NS6detail15normal_iteratorINSA_10device_ptrIxEEEEPS6_SG_NS0_5tupleIJSF_SF_EEENSH_IJSG_SG_EEES6_PlJ7is_evenIxEEEE10hipError_tPvRmT3_T4_T5_T6_T7_T9_mT8_P12ihipStream_tbDpT10_ENKUlT_T0_E_clISt17integral_constantIbLb0EES15_IbLb1EEEEDaS11_S12_EUlS11_E_NS1_11comp_targetILNS1_3genE5ELNS1_11target_archE942ELNS1_3gpuE9ELNS1_3repE0EEENS1_30default_config_static_selectorELNS0_4arch9wavefront6targetE1EEEvT1_
    .private_segment_fixed_size: 0
    .sgpr_count:     4
    .sgpr_spill_count: 0
    .symbol:         _ZN7rocprim17ROCPRIM_400000_NS6detail17trampoline_kernelINS0_14default_configENS1_25partition_config_selectorILNS1_17partition_subalgoE0ExNS0_10empty_typeEbEEZZNS1_14partition_implILS5_0ELb0ES3_jN6thrust23THRUST_200600_302600_NS6detail15normal_iteratorINSA_10device_ptrIxEEEEPS6_SG_NS0_5tupleIJSF_SF_EEENSH_IJSG_SG_EEES6_PlJ7is_evenIxEEEE10hipError_tPvRmT3_T4_T5_T6_T7_T9_mT8_P12ihipStream_tbDpT10_ENKUlT_T0_E_clISt17integral_constantIbLb0EES15_IbLb1EEEEDaS11_S12_EUlS11_E_NS1_11comp_targetILNS1_3genE5ELNS1_11target_archE942ELNS1_3gpuE9ELNS1_3repE0EEENS1_30default_config_static_selectorELNS0_4arch9wavefront6targetE1EEEvT1_.kd
    .uniform_work_group_size: 1
    .uses_dynamic_stack: false
    .vgpr_count:     0
    .vgpr_spill_count: 0
    .wavefront_size: 64
  - .agpr_count:     0
    .args:
      - .offset:         0
        .size:           136
        .value_kind:     by_value
    .group_segment_fixed_size: 6344
    .kernarg_segment_align: 8
    .kernarg_segment_size: 136
    .language:       OpenCL C
    .language_version:
      - 2
      - 0
    .max_flat_workgroup_size: 192
    .name:           _ZN7rocprim17ROCPRIM_400000_NS6detail17trampoline_kernelINS0_14default_configENS1_25partition_config_selectorILNS1_17partition_subalgoE0ExNS0_10empty_typeEbEEZZNS1_14partition_implILS5_0ELb0ES3_jN6thrust23THRUST_200600_302600_NS6detail15normal_iteratorINSA_10device_ptrIxEEEEPS6_SG_NS0_5tupleIJSF_SF_EEENSH_IJSG_SG_EEES6_PlJ7is_evenIxEEEE10hipError_tPvRmT3_T4_T5_T6_T7_T9_mT8_P12ihipStream_tbDpT10_ENKUlT_T0_E_clISt17integral_constantIbLb0EES15_IbLb1EEEEDaS11_S12_EUlS11_E_NS1_11comp_targetILNS1_3genE4ELNS1_11target_archE910ELNS1_3gpuE8ELNS1_3repE0EEENS1_30default_config_static_selectorELNS0_4arch9wavefront6targetE1EEEvT1_
    .private_segment_fixed_size: 0
    .sgpr_count:     48
    .sgpr_spill_count: 0
    .symbol:         _ZN7rocprim17ROCPRIM_400000_NS6detail17trampoline_kernelINS0_14default_configENS1_25partition_config_selectorILNS1_17partition_subalgoE0ExNS0_10empty_typeEbEEZZNS1_14partition_implILS5_0ELb0ES3_jN6thrust23THRUST_200600_302600_NS6detail15normal_iteratorINSA_10device_ptrIxEEEEPS6_SG_NS0_5tupleIJSF_SF_EEENSH_IJSG_SG_EEES6_PlJ7is_evenIxEEEE10hipError_tPvRmT3_T4_T5_T6_T7_T9_mT8_P12ihipStream_tbDpT10_ENKUlT_T0_E_clISt17integral_constantIbLb0EES15_IbLb1EEEEDaS11_S12_EUlS11_E_NS1_11comp_targetILNS1_3genE4ELNS1_11target_archE910ELNS1_3gpuE8ELNS1_3repE0EEENS1_30default_config_static_selectorELNS0_4arch9wavefront6targetE1EEEvT1_.kd
    .uniform_work_group_size: 1
    .uses_dynamic_stack: false
    .vgpr_count:     47
    .vgpr_spill_count: 0
    .wavefront_size: 64
  - .agpr_count:     0
    .args:
      - .offset:         0
        .size:           136
        .value_kind:     by_value
    .group_segment_fixed_size: 0
    .kernarg_segment_align: 8
    .kernarg_segment_size: 136
    .language:       OpenCL C
    .language_version:
      - 2
      - 0
    .max_flat_workgroup_size: 128
    .name:           _ZN7rocprim17ROCPRIM_400000_NS6detail17trampoline_kernelINS0_14default_configENS1_25partition_config_selectorILNS1_17partition_subalgoE0ExNS0_10empty_typeEbEEZZNS1_14partition_implILS5_0ELb0ES3_jN6thrust23THRUST_200600_302600_NS6detail15normal_iteratorINSA_10device_ptrIxEEEEPS6_SG_NS0_5tupleIJSF_SF_EEENSH_IJSG_SG_EEES6_PlJ7is_evenIxEEEE10hipError_tPvRmT3_T4_T5_T6_T7_T9_mT8_P12ihipStream_tbDpT10_ENKUlT_T0_E_clISt17integral_constantIbLb0EES15_IbLb1EEEEDaS11_S12_EUlS11_E_NS1_11comp_targetILNS1_3genE3ELNS1_11target_archE908ELNS1_3gpuE7ELNS1_3repE0EEENS1_30default_config_static_selectorELNS0_4arch9wavefront6targetE1EEEvT1_
    .private_segment_fixed_size: 0
    .sgpr_count:     4
    .sgpr_spill_count: 0
    .symbol:         _ZN7rocprim17ROCPRIM_400000_NS6detail17trampoline_kernelINS0_14default_configENS1_25partition_config_selectorILNS1_17partition_subalgoE0ExNS0_10empty_typeEbEEZZNS1_14partition_implILS5_0ELb0ES3_jN6thrust23THRUST_200600_302600_NS6detail15normal_iteratorINSA_10device_ptrIxEEEEPS6_SG_NS0_5tupleIJSF_SF_EEENSH_IJSG_SG_EEES6_PlJ7is_evenIxEEEE10hipError_tPvRmT3_T4_T5_T6_T7_T9_mT8_P12ihipStream_tbDpT10_ENKUlT_T0_E_clISt17integral_constantIbLb0EES15_IbLb1EEEEDaS11_S12_EUlS11_E_NS1_11comp_targetILNS1_3genE3ELNS1_11target_archE908ELNS1_3gpuE7ELNS1_3repE0EEENS1_30default_config_static_selectorELNS0_4arch9wavefront6targetE1EEEvT1_.kd
    .uniform_work_group_size: 1
    .uses_dynamic_stack: false
    .vgpr_count:     0
    .vgpr_spill_count: 0
    .wavefront_size: 64
  - .agpr_count:     0
    .args:
      - .offset:         0
        .size:           136
        .value_kind:     by_value
    .group_segment_fixed_size: 0
    .kernarg_segment_align: 8
    .kernarg_segment_size: 136
    .language:       OpenCL C
    .language_version:
      - 2
      - 0
    .max_flat_workgroup_size: 256
    .name:           _ZN7rocprim17ROCPRIM_400000_NS6detail17trampoline_kernelINS0_14default_configENS1_25partition_config_selectorILNS1_17partition_subalgoE0ExNS0_10empty_typeEbEEZZNS1_14partition_implILS5_0ELb0ES3_jN6thrust23THRUST_200600_302600_NS6detail15normal_iteratorINSA_10device_ptrIxEEEEPS6_SG_NS0_5tupleIJSF_SF_EEENSH_IJSG_SG_EEES6_PlJ7is_evenIxEEEE10hipError_tPvRmT3_T4_T5_T6_T7_T9_mT8_P12ihipStream_tbDpT10_ENKUlT_T0_E_clISt17integral_constantIbLb0EES15_IbLb1EEEEDaS11_S12_EUlS11_E_NS1_11comp_targetILNS1_3genE2ELNS1_11target_archE906ELNS1_3gpuE6ELNS1_3repE0EEENS1_30default_config_static_selectorELNS0_4arch9wavefront6targetE1EEEvT1_
    .private_segment_fixed_size: 0
    .sgpr_count:     4
    .sgpr_spill_count: 0
    .symbol:         _ZN7rocprim17ROCPRIM_400000_NS6detail17trampoline_kernelINS0_14default_configENS1_25partition_config_selectorILNS1_17partition_subalgoE0ExNS0_10empty_typeEbEEZZNS1_14partition_implILS5_0ELb0ES3_jN6thrust23THRUST_200600_302600_NS6detail15normal_iteratorINSA_10device_ptrIxEEEEPS6_SG_NS0_5tupleIJSF_SF_EEENSH_IJSG_SG_EEES6_PlJ7is_evenIxEEEE10hipError_tPvRmT3_T4_T5_T6_T7_T9_mT8_P12ihipStream_tbDpT10_ENKUlT_T0_E_clISt17integral_constantIbLb0EES15_IbLb1EEEEDaS11_S12_EUlS11_E_NS1_11comp_targetILNS1_3genE2ELNS1_11target_archE906ELNS1_3gpuE6ELNS1_3repE0EEENS1_30default_config_static_selectorELNS0_4arch9wavefront6targetE1EEEvT1_.kd
    .uniform_work_group_size: 1
    .uses_dynamic_stack: false
    .vgpr_count:     0
    .vgpr_spill_count: 0
    .wavefront_size: 64
  - .agpr_count:     0
    .args:
      - .offset:         0
        .size:           136
        .value_kind:     by_value
    .group_segment_fixed_size: 0
    .kernarg_segment_align: 8
    .kernarg_segment_size: 136
    .language:       OpenCL C
    .language_version:
      - 2
      - 0
    .max_flat_workgroup_size: 512
    .name:           _ZN7rocprim17ROCPRIM_400000_NS6detail17trampoline_kernelINS0_14default_configENS1_25partition_config_selectorILNS1_17partition_subalgoE0ExNS0_10empty_typeEbEEZZNS1_14partition_implILS5_0ELb0ES3_jN6thrust23THRUST_200600_302600_NS6detail15normal_iteratorINSA_10device_ptrIxEEEEPS6_SG_NS0_5tupleIJSF_SF_EEENSH_IJSG_SG_EEES6_PlJ7is_evenIxEEEE10hipError_tPvRmT3_T4_T5_T6_T7_T9_mT8_P12ihipStream_tbDpT10_ENKUlT_T0_E_clISt17integral_constantIbLb0EES15_IbLb1EEEEDaS11_S12_EUlS11_E_NS1_11comp_targetILNS1_3genE10ELNS1_11target_archE1200ELNS1_3gpuE4ELNS1_3repE0EEENS1_30default_config_static_selectorELNS0_4arch9wavefront6targetE1EEEvT1_
    .private_segment_fixed_size: 0
    .sgpr_count:     4
    .sgpr_spill_count: 0
    .symbol:         _ZN7rocprim17ROCPRIM_400000_NS6detail17trampoline_kernelINS0_14default_configENS1_25partition_config_selectorILNS1_17partition_subalgoE0ExNS0_10empty_typeEbEEZZNS1_14partition_implILS5_0ELb0ES3_jN6thrust23THRUST_200600_302600_NS6detail15normal_iteratorINSA_10device_ptrIxEEEEPS6_SG_NS0_5tupleIJSF_SF_EEENSH_IJSG_SG_EEES6_PlJ7is_evenIxEEEE10hipError_tPvRmT3_T4_T5_T6_T7_T9_mT8_P12ihipStream_tbDpT10_ENKUlT_T0_E_clISt17integral_constantIbLb0EES15_IbLb1EEEEDaS11_S12_EUlS11_E_NS1_11comp_targetILNS1_3genE10ELNS1_11target_archE1200ELNS1_3gpuE4ELNS1_3repE0EEENS1_30default_config_static_selectorELNS0_4arch9wavefront6targetE1EEEvT1_.kd
    .uniform_work_group_size: 1
    .uses_dynamic_stack: false
    .vgpr_count:     0
    .vgpr_spill_count: 0
    .wavefront_size: 64
  - .agpr_count:     0
    .args:
      - .offset:         0
        .size:           136
        .value_kind:     by_value
    .group_segment_fixed_size: 0
    .kernarg_segment_align: 8
    .kernarg_segment_size: 136
    .language:       OpenCL C
    .language_version:
      - 2
      - 0
    .max_flat_workgroup_size: 512
    .name:           _ZN7rocprim17ROCPRIM_400000_NS6detail17trampoline_kernelINS0_14default_configENS1_25partition_config_selectorILNS1_17partition_subalgoE0ExNS0_10empty_typeEbEEZZNS1_14partition_implILS5_0ELb0ES3_jN6thrust23THRUST_200600_302600_NS6detail15normal_iteratorINSA_10device_ptrIxEEEEPS6_SG_NS0_5tupleIJSF_SF_EEENSH_IJSG_SG_EEES6_PlJ7is_evenIxEEEE10hipError_tPvRmT3_T4_T5_T6_T7_T9_mT8_P12ihipStream_tbDpT10_ENKUlT_T0_E_clISt17integral_constantIbLb0EES15_IbLb1EEEEDaS11_S12_EUlS11_E_NS1_11comp_targetILNS1_3genE9ELNS1_11target_archE1100ELNS1_3gpuE3ELNS1_3repE0EEENS1_30default_config_static_selectorELNS0_4arch9wavefront6targetE1EEEvT1_
    .private_segment_fixed_size: 0
    .sgpr_count:     4
    .sgpr_spill_count: 0
    .symbol:         _ZN7rocprim17ROCPRIM_400000_NS6detail17trampoline_kernelINS0_14default_configENS1_25partition_config_selectorILNS1_17partition_subalgoE0ExNS0_10empty_typeEbEEZZNS1_14partition_implILS5_0ELb0ES3_jN6thrust23THRUST_200600_302600_NS6detail15normal_iteratorINSA_10device_ptrIxEEEEPS6_SG_NS0_5tupleIJSF_SF_EEENSH_IJSG_SG_EEES6_PlJ7is_evenIxEEEE10hipError_tPvRmT3_T4_T5_T6_T7_T9_mT8_P12ihipStream_tbDpT10_ENKUlT_T0_E_clISt17integral_constantIbLb0EES15_IbLb1EEEEDaS11_S12_EUlS11_E_NS1_11comp_targetILNS1_3genE9ELNS1_11target_archE1100ELNS1_3gpuE3ELNS1_3repE0EEENS1_30default_config_static_selectorELNS0_4arch9wavefront6targetE1EEEvT1_.kd
    .uniform_work_group_size: 1
    .uses_dynamic_stack: false
    .vgpr_count:     0
    .vgpr_spill_count: 0
    .wavefront_size: 64
  - .agpr_count:     0
    .args:
      - .offset:         0
        .size:           136
        .value_kind:     by_value
    .group_segment_fixed_size: 0
    .kernarg_segment_align: 8
    .kernarg_segment_size: 136
    .language:       OpenCL C
    .language_version:
      - 2
      - 0
    .max_flat_workgroup_size: 512
    .name:           _ZN7rocprim17ROCPRIM_400000_NS6detail17trampoline_kernelINS0_14default_configENS1_25partition_config_selectorILNS1_17partition_subalgoE0ExNS0_10empty_typeEbEEZZNS1_14partition_implILS5_0ELb0ES3_jN6thrust23THRUST_200600_302600_NS6detail15normal_iteratorINSA_10device_ptrIxEEEEPS6_SG_NS0_5tupleIJSF_SF_EEENSH_IJSG_SG_EEES6_PlJ7is_evenIxEEEE10hipError_tPvRmT3_T4_T5_T6_T7_T9_mT8_P12ihipStream_tbDpT10_ENKUlT_T0_E_clISt17integral_constantIbLb0EES15_IbLb1EEEEDaS11_S12_EUlS11_E_NS1_11comp_targetILNS1_3genE8ELNS1_11target_archE1030ELNS1_3gpuE2ELNS1_3repE0EEENS1_30default_config_static_selectorELNS0_4arch9wavefront6targetE1EEEvT1_
    .private_segment_fixed_size: 0
    .sgpr_count:     4
    .sgpr_spill_count: 0
    .symbol:         _ZN7rocprim17ROCPRIM_400000_NS6detail17trampoline_kernelINS0_14default_configENS1_25partition_config_selectorILNS1_17partition_subalgoE0ExNS0_10empty_typeEbEEZZNS1_14partition_implILS5_0ELb0ES3_jN6thrust23THRUST_200600_302600_NS6detail15normal_iteratorINSA_10device_ptrIxEEEEPS6_SG_NS0_5tupleIJSF_SF_EEENSH_IJSG_SG_EEES6_PlJ7is_evenIxEEEE10hipError_tPvRmT3_T4_T5_T6_T7_T9_mT8_P12ihipStream_tbDpT10_ENKUlT_T0_E_clISt17integral_constantIbLb0EES15_IbLb1EEEEDaS11_S12_EUlS11_E_NS1_11comp_targetILNS1_3genE8ELNS1_11target_archE1030ELNS1_3gpuE2ELNS1_3repE0EEENS1_30default_config_static_selectorELNS0_4arch9wavefront6targetE1EEEvT1_.kd
    .uniform_work_group_size: 1
    .uses_dynamic_stack: false
    .vgpr_count:     0
    .vgpr_spill_count: 0
    .wavefront_size: 64
  - .agpr_count:     0
    .args:
      - .offset:         0
        .size:           120
        .value_kind:     by_value
    .group_segment_fixed_size: 0
    .kernarg_segment_align: 8
    .kernarg_segment_size: 120
    .language:       OpenCL C
    .language_version:
      - 2
      - 0
    .max_flat_workgroup_size: 256
    .name:           _ZN7rocprim17ROCPRIM_400000_NS6detail17trampoline_kernelINS0_14default_configENS1_25partition_config_selectorILNS1_17partition_subalgoE0EiNS0_10empty_typeEbEEZZNS1_14partition_implILS5_0ELb0ES3_jN6thrust23THRUST_200600_302600_NS6detail15normal_iteratorINSA_10device_ptrIiEEEEPS6_SG_NS0_5tupleIJSF_SF_EEENSH_IJSG_SG_EEES6_PlJ7is_evenIiEEEE10hipError_tPvRmT3_T4_T5_T6_T7_T9_mT8_P12ihipStream_tbDpT10_ENKUlT_T0_E_clISt17integral_constantIbLb0EES16_EEDaS11_S12_EUlS11_E_NS1_11comp_targetILNS1_3genE0ELNS1_11target_archE4294967295ELNS1_3gpuE0ELNS1_3repE0EEENS1_30default_config_static_selectorELNS0_4arch9wavefront6targetE1EEEvT1_
    .private_segment_fixed_size: 0
    .sgpr_count:     4
    .sgpr_spill_count: 0
    .symbol:         _ZN7rocprim17ROCPRIM_400000_NS6detail17trampoline_kernelINS0_14default_configENS1_25partition_config_selectorILNS1_17partition_subalgoE0EiNS0_10empty_typeEbEEZZNS1_14partition_implILS5_0ELb0ES3_jN6thrust23THRUST_200600_302600_NS6detail15normal_iteratorINSA_10device_ptrIiEEEEPS6_SG_NS0_5tupleIJSF_SF_EEENSH_IJSG_SG_EEES6_PlJ7is_evenIiEEEE10hipError_tPvRmT3_T4_T5_T6_T7_T9_mT8_P12ihipStream_tbDpT10_ENKUlT_T0_E_clISt17integral_constantIbLb0EES16_EEDaS11_S12_EUlS11_E_NS1_11comp_targetILNS1_3genE0ELNS1_11target_archE4294967295ELNS1_3gpuE0ELNS1_3repE0EEENS1_30default_config_static_selectorELNS0_4arch9wavefront6targetE1EEEvT1_.kd
    .uniform_work_group_size: 1
    .uses_dynamic_stack: false
    .vgpr_count:     0
    .vgpr_spill_count: 0
    .wavefront_size: 64
  - .agpr_count:     0
    .args:
      - .offset:         0
        .size:           120
        .value_kind:     by_value
    .group_segment_fixed_size: 0
    .kernarg_segment_align: 8
    .kernarg_segment_size: 120
    .language:       OpenCL C
    .language_version:
      - 2
      - 0
    .max_flat_workgroup_size: 512
    .name:           _ZN7rocprim17ROCPRIM_400000_NS6detail17trampoline_kernelINS0_14default_configENS1_25partition_config_selectorILNS1_17partition_subalgoE0EiNS0_10empty_typeEbEEZZNS1_14partition_implILS5_0ELb0ES3_jN6thrust23THRUST_200600_302600_NS6detail15normal_iteratorINSA_10device_ptrIiEEEEPS6_SG_NS0_5tupleIJSF_SF_EEENSH_IJSG_SG_EEES6_PlJ7is_evenIiEEEE10hipError_tPvRmT3_T4_T5_T6_T7_T9_mT8_P12ihipStream_tbDpT10_ENKUlT_T0_E_clISt17integral_constantIbLb0EES16_EEDaS11_S12_EUlS11_E_NS1_11comp_targetILNS1_3genE5ELNS1_11target_archE942ELNS1_3gpuE9ELNS1_3repE0EEENS1_30default_config_static_selectorELNS0_4arch9wavefront6targetE1EEEvT1_
    .private_segment_fixed_size: 0
    .sgpr_count:     4
    .sgpr_spill_count: 0
    .symbol:         _ZN7rocprim17ROCPRIM_400000_NS6detail17trampoline_kernelINS0_14default_configENS1_25partition_config_selectorILNS1_17partition_subalgoE0EiNS0_10empty_typeEbEEZZNS1_14partition_implILS5_0ELb0ES3_jN6thrust23THRUST_200600_302600_NS6detail15normal_iteratorINSA_10device_ptrIiEEEEPS6_SG_NS0_5tupleIJSF_SF_EEENSH_IJSG_SG_EEES6_PlJ7is_evenIiEEEE10hipError_tPvRmT3_T4_T5_T6_T7_T9_mT8_P12ihipStream_tbDpT10_ENKUlT_T0_E_clISt17integral_constantIbLb0EES16_EEDaS11_S12_EUlS11_E_NS1_11comp_targetILNS1_3genE5ELNS1_11target_archE942ELNS1_3gpuE9ELNS1_3repE0EEENS1_30default_config_static_selectorELNS0_4arch9wavefront6targetE1EEEvT1_.kd
    .uniform_work_group_size: 1
    .uses_dynamic_stack: false
    .vgpr_count:     0
    .vgpr_spill_count: 0
    .wavefront_size: 64
  - .agpr_count:     0
    .args:
      - .offset:         0
        .size:           120
        .value_kind:     by_value
    .group_segment_fixed_size: 10248
    .kernarg_segment_align: 8
    .kernarg_segment_size: 120
    .language:       OpenCL C
    .language_version:
      - 2
      - 0
    .max_flat_workgroup_size: 256
    .name:           _ZN7rocprim17ROCPRIM_400000_NS6detail17trampoline_kernelINS0_14default_configENS1_25partition_config_selectorILNS1_17partition_subalgoE0EiNS0_10empty_typeEbEEZZNS1_14partition_implILS5_0ELb0ES3_jN6thrust23THRUST_200600_302600_NS6detail15normal_iteratorINSA_10device_ptrIiEEEEPS6_SG_NS0_5tupleIJSF_SF_EEENSH_IJSG_SG_EEES6_PlJ7is_evenIiEEEE10hipError_tPvRmT3_T4_T5_T6_T7_T9_mT8_P12ihipStream_tbDpT10_ENKUlT_T0_E_clISt17integral_constantIbLb0EES16_EEDaS11_S12_EUlS11_E_NS1_11comp_targetILNS1_3genE4ELNS1_11target_archE910ELNS1_3gpuE8ELNS1_3repE0EEENS1_30default_config_static_selectorELNS0_4arch9wavefront6targetE1EEEvT1_
    .private_segment_fixed_size: 0
    .sgpr_count:     48
    .sgpr_spill_count: 0
    .symbol:         _ZN7rocprim17ROCPRIM_400000_NS6detail17trampoline_kernelINS0_14default_configENS1_25partition_config_selectorILNS1_17partition_subalgoE0EiNS0_10empty_typeEbEEZZNS1_14partition_implILS5_0ELb0ES3_jN6thrust23THRUST_200600_302600_NS6detail15normal_iteratorINSA_10device_ptrIiEEEEPS6_SG_NS0_5tupleIJSF_SF_EEENSH_IJSG_SG_EEES6_PlJ7is_evenIiEEEE10hipError_tPvRmT3_T4_T5_T6_T7_T9_mT8_P12ihipStream_tbDpT10_ENKUlT_T0_E_clISt17integral_constantIbLb0EES16_EEDaS11_S12_EUlS11_E_NS1_11comp_targetILNS1_3genE4ELNS1_11target_archE910ELNS1_3gpuE8ELNS1_3repE0EEENS1_30default_config_static_selectorELNS0_4arch9wavefront6targetE1EEEvT1_.kd
    .uniform_work_group_size: 1
    .uses_dynamic_stack: false
    .vgpr_count:     54
    .vgpr_spill_count: 0
    .wavefront_size: 64
  - .agpr_count:     0
    .args:
      - .offset:         0
        .size:           120
        .value_kind:     by_value
    .group_segment_fixed_size: 0
    .kernarg_segment_align: 8
    .kernarg_segment_size: 120
    .language:       OpenCL C
    .language_version:
      - 2
      - 0
    .max_flat_workgroup_size: 256
    .name:           _ZN7rocprim17ROCPRIM_400000_NS6detail17trampoline_kernelINS0_14default_configENS1_25partition_config_selectorILNS1_17partition_subalgoE0EiNS0_10empty_typeEbEEZZNS1_14partition_implILS5_0ELb0ES3_jN6thrust23THRUST_200600_302600_NS6detail15normal_iteratorINSA_10device_ptrIiEEEEPS6_SG_NS0_5tupleIJSF_SF_EEENSH_IJSG_SG_EEES6_PlJ7is_evenIiEEEE10hipError_tPvRmT3_T4_T5_T6_T7_T9_mT8_P12ihipStream_tbDpT10_ENKUlT_T0_E_clISt17integral_constantIbLb0EES16_EEDaS11_S12_EUlS11_E_NS1_11comp_targetILNS1_3genE3ELNS1_11target_archE908ELNS1_3gpuE7ELNS1_3repE0EEENS1_30default_config_static_selectorELNS0_4arch9wavefront6targetE1EEEvT1_
    .private_segment_fixed_size: 0
    .sgpr_count:     4
    .sgpr_spill_count: 0
    .symbol:         _ZN7rocprim17ROCPRIM_400000_NS6detail17trampoline_kernelINS0_14default_configENS1_25partition_config_selectorILNS1_17partition_subalgoE0EiNS0_10empty_typeEbEEZZNS1_14partition_implILS5_0ELb0ES3_jN6thrust23THRUST_200600_302600_NS6detail15normal_iteratorINSA_10device_ptrIiEEEEPS6_SG_NS0_5tupleIJSF_SF_EEENSH_IJSG_SG_EEES6_PlJ7is_evenIiEEEE10hipError_tPvRmT3_T4_T5_T6_T7_T9_mT8_P12ihipStream_tbDpT10_ENKUlT_T0_E_clISt17integral_constantIbLb0EES16_EEDaS11_S12_EUlS11_E_NS1_11comp_targetILNS1_3genE3ELNS1_11target_archE908ELNS1_3gpuE7ELNS1_3repE0EEENS1_30default_config_static_selectorELNS0_4arch9wavefront6targetE1EEEvT1_.kd
    .uniform_work_group_size: 1
    .uses_dynamic_stack: false
    .vgpr_count:     0
    .vgpr_spill_count: 0
    .wavefront_size: 64
  - .agpr_count:     0
    .args:
      - .offset:         0
        .size:           120
        .value_kind:     by_value
    .group_segment_fixed_size: 0
    .kernarg_segment_align: 8
    .kernarg_segment_size: 120
    .language:       OpenCL C
    .language_version:
      - 2
      - 0
    .max_flat_workgroup_size: 192
    .name:           _ZN7rocprim17ROCPRIM_400000_NS6detail17trampoline_kernelINS0_14default_configENS1_25partition_config_selectorILNS1_17partition_subalgoE0EiNS0_10empty_typeEbEEZZNS1_14partition_implILS5_0ELb0ES3_jN6thrust23THRUST_200600_302600_NS6detail15normal_iteratorINSA_10device_ptrIiEEEEPS6_SG_NS0_5tupleIJSF_SF_EEENSH_IJSG_SG_EEES6_PlJ7is_evenIiEEEE10hipError_tPvRmT3_T4_T5_T6_T7_T9_mT8_P12ihipStream_tbDpT10_ENKUlT_T0_E_clISt17integral_constantIbLb0EES16_EEDaS11_S12_EUlS11_E_NS1_11comp_targetILNS1_3genE2ELNS1_11target_archE906ELNS1_3gpuE6ELNS1_3repE0EEENS1_30default_config_static_selectorELNS0_4arch9wavefront6targetE1EEEvT1_
    .private_segment_fixed_size: 0
    .sgpr_count:     4
    .sgpr_spill_count: 0
    .symbol:         _ZN7rocprim17ROCPRIM_400000_NS6detail17trampoline_kernelINS0_14default_configENS1_25partition_config_selectorILNS1_17partition_subalgoE0EiNS0_10empty_typeEbEEZZNS1_14partition_implILS5_0ELb0ES3_jN6thrust23THRUST_200600_302600_NS6detail15normal_iteratorINSA_10device_ptrIiEEEEPS6_SG_NS0_5tupleIJSF_SF_EEENSH_IJSG_SG_EEES6_PlJ7is_evenIiEEEE10hipError_tPvRmT3_T4_T5_T6_T7_T9_mT8_P12ihipStream_tbDpT10_ENKUlT_T0_E_clISt17integral_constantIbLb0EES16_EEDaS11_S12_EUlS11_E_NS1_11comp_targetILNS1_3genE2ELNS1_11target_archE906ELNS1_3gpuE6ELNS1_3repE0EEENS1_30default_config_static_selectorELNS0_4arch9wavefront6targetE1EEEvT1_.kd
    .uniform_work_group_size: 1
    .uses_dynamic_stack: false
    .vgpr_count:     0
    .vgpr_spill_count: 0
    .wavefront_size: 64
  - .agpr_count:     0
    .args:
      - .offset:         0
        .size:           120
        .value_kind:     by_value
    .group_segment_fixed_size: 0
    .kernarg_segment_align: 8
    .kernarg_segment_size: 120
    .language:       OpenCL C
    .language_version:
      - 2
      - 0
    .max_flat_workgroup_size: 512
    .name:           _ZN7rocprim17ROCPRIM_400000_NS6detail17trampoline_kernelINS0_14default_configENS1_25partition_config_selectorILNS1_17partition_subalgoE0EiNS0_10empty_typeEbEEZZNS1_14partition_implILS5_0ELb0ES3_jN6thrust23THRUST_200600_302600_NS6detail15normal_iteratorINSA_10device_ptrIiEEEEPS6_SG_NS0_5tupleIJSF_SF_EEENSH_IJSG_SG_EEES6_PlJ7is_evenIiEEEE10hipError_tPvRmT3_T4_T5_T6_T7_T9_mT8_P12ihipStream_tbDpT10_ENKUlT_T0_E_clISt17integral_constantIbLb0EES16_EEDaS11_S12_EUlS11_E_NS1_11comp_targetILNS1_3genE10ELNS1_11target_archE1200ELNS1_3gpuE4ELNS1_3repE0EEENS1_30default_config_static_selectorELNS0_4arch9wavefront6targetE1EEEvT1_
    .private_segment_fixed_size: 0
    .sgpr_count:     4
    .sgpr_spill_count: 0
    .symbol:         _ZN7rocprim17ROCPRIM_400000_NS6detail17trampoline_kernelINS0_14default_configENS1_25partition_config_selectorILNS1_17partition_subalgoE0EiNS0_10empty_typeEbEEZZNS1_14partition_implILS5_0ELb0ES3_jN6thrust23THRUST_200600_302600_NS6detail15normal_iteratorINSA_10device_ptrIiEEEEPS6_SG_NS0_5tupleIJSF_SF_EEENSH_IJSG_SG_EEES6_PlJ7is_evenIiEEEE10hipError_tPvRmT3_T4_T5_T6_T7_T9_mT8_P12ihipStream_tbDpT10_ENKUlT_T0_E_clISt17integral_constantIbLb0EES16_EEDaS11_S12_EUlS11_E_NS1_11comp_targetILNS1_3genE10ELNS1_11target_archE1200ELNS1_3gpuE4ELNS1_3repE0EEENS1_30default_config_static_selectorELNS0_4arch9wavefront6targetE1EEEvT1_.kd
    .uniform_work_group_size: 1
    .uses_dynamic_stack: false
    .vgpr_count:     0
    .vgpr_spill_count: 0
    .wavefront_size: 64
  - .agpr_count:     0
    .args:
      - .offset:         0
        .size:           120
        .value_kind:     by_value
    .group_segment_fixed_size: 0
    .kernarg_segment_align: 8
    .kernarg_segment_size: 120
    .language:       OpenCL C
    .language_version:
      - 2
      - 0
    .max_flat_workgroup_size: 128
    .name:           _ZN7rocprim17ROCPRIM_400000_NS6detail17trampoline_kernelINS0_14default_configENS1_25partition_config_selectorILNS1_17partition_subalgoE0EiNS0_10empty_typeEbEEZZNS1_14partition_implILS5_0ELb0ES3_jN6thrust23THRUST_200600_302600_NS6detail15normal_iteratorINSA_10device_ptrIiEEEEPS6_SG_NS0_5tupleIJSF_SF_EEENSH_IJSG_SG_EEES6_PlJ7is_evenIiEEEE10hipError_tPvRmT3_T4_T5_T6_T7_T9_mT8_P12ihipStream_tbDpT10_ENKUlT_T0_E_clISt17integral_constantIbLb0EES16_EEDaS11_S12_EUlS11_E_NS1_11comp_targetILNS1_3genE9ELNS1_11target_archE1100ELNS1_3gpuE3ELNS1_3repE0EEENS1_30default_config_static_selectorELNS0_4arch9wavefront6targetE1EEEvT1_
    .private_segment_fixed_size: 0
    .sgpr_count:     4
    .sgpr_spill_count: 0
    .symbol:         _ZN7rocprim17ROCPRIM_400000_NS6detail17trampoline_kernelINS0_14default_configENS1_25partition_config_selectorILNS1_17partition_subalgoE0EiNS0_10empty_typeEbEEZZNS1_14partition_implILS5_0ELb0ES3_jN6thrust23THRUST_200600_302600_NS6detail15normal_iteratorINSA_10device_ptrIiEEEEPS6_SG_NS0_5tupleIJSF_SF_EEENSH_IJSG_SG_EEES6_PlJ7is_evenIiEEEE10hipError_tPvRmT3_T4_T5_T6_T7_T9_mT8_P12ihipStream_tbDpT10_ENKUlT_T0_E_clISt17integral_constantIbLb0EES16_EEDaS11_S12_EUlS11_E_NS1_11comp_targetILNS1_3genE9ELNS1_11target_archE1100ELNS1_3gpuE3ELNS1_3repE0EEENS1_30default_config_static_selectorELNS0_4arch9wavefront6targetE1EEEvT1_.kd
    .uniform_work_group_size: 1
    .uses_dynamic_stack: false
    .vgpr_count:     0
    .vgpr_spill_count: 0
    .wavefront_size: 64
  - .agpr_count:     0
    .args:
      - .offset:         0
        .size:           120
        .value_kind:     by_value
    .group_segment_fixed_size: 0
    .kernarg_segment_align: 8
    .kernarg_segment_size: 120
    .language:       OpenCL C
    .language_version:
      - 2
      - 0
    .max_flat_workgroup_size: 512
    .name:           _ZN7rocprim17ROCPRIM_400000_NS6detail17trampoline_kernelINS0_14default_configENS1_25partition_config_selectorILNS1_17partition_subalgoE0EiNS0_10empty_typeEbEEZZNS1_14partition_implILS5_0ELb0ES3_jN6thrust23THRUST_200600_302600_NS6detail15normal_iteratorINSA_10device_ptrIiEEEEPS6_SG_NS0_5tupleIJSF_SF_EEENSH_IJSG_SG_EEES6_PlJ7is_evenIiEEEE10hipError_tPvRmT3_T4_T5_T6_T7_T9_mT8_P12ihipStream_tbDpT10_ENKUlT_T0_E_clISt17integral_constantIbLb0EES16_EEDaS11_S12_EUlS11_E_NS1_11comp_targetILNS1_3genE8ELNS1_11target_archE1030ELNS1_3gpuE2ELNS1_3repE0EEENS1_30default_config_static_selectorELNS0_4arch9wavefront6targetE1EEEvT1_
    .private_segment_fixed_size: 0
    .sgpr_count:     4
    .sgpr_spill_count: 0
    .symbol:         _ZN7rocprim17ROCPRIM_400000_NS6detail17trampoline_kernelINS0_14default_configENS1_25partition_config_selectorILNS1_17partition_subalgoE0EiNS0_10empty_typeEbEEZZNS1_14partition_implILS5_0ELb0ES3_jN6thrust23THRUST_200600_302600_NS6detail15normal_iteratorINSA_10device_ptrIiEEEEPS6_SG_NS0_5tupleIJSF_SF_EEENSH_IJSG_SG_EEES6_PlJ7is_evenIiEEEE10hipError_tPvRmT3_T4_T5_T6_T7_T9_mT8_P12ihipStream_tbDpT10_ENKUlT_T0_E_clISt17integral_constantIbLb0EES16_EEDaS11_S12_EUlS11_E_NS1_11comp_targetILNS1_3genE8ELNS1_11target_archE1030ELNS1_3gpuE2ELNS1_3repE0EEENS1_30default_config_static_selectorELNS0_4arch9wavefront6targetE1EEEvT1_.kd
    .uniform_work_group_size: 1
    .uses_dynamic_stack: false
    .vgpr_count:     0
    .vgpr_spill_count: 0
    .wavefront_size: 64
  - .agpr_count:     0
    .args:
      - .offset:         0
        .size:           136
        .value_kind:     by_value
    .group_segment_fixed_size: 0
    .kernarg_segment_align: 8
    .kernarg_segment_size: 136
    .language:       OpenCL C
    .language_version:
      - 2
      - 0
    .max_flat_workgroup_size: 256
    .name:           _ZN7rocprim17ROCPRIM_400000_NS6detail17trampoline_kernelINS0_14default_configENS1_25partition_config_selectorILNS1_17partition_subalgoE0EiNS0_10empty_typeEbEEZZNS1_14partition_implILS5_0ELb0ES3_jN6thrust23THRUST_200600_302600_NS6detail15normal_iteratorINSA_10device_ptrIiEEEEPS6_SG_NS0_5tupleIJSF_SF_EEENSH_IJSG_SG_EEES6_PlJ7is_evenIiEEEE10hipError_tPvRmT3_T4_T5_T6_T7_T9_mT8_P12ihipStream_tbDpT10_ENKUlT_T0_E_clISt17integral_constantIbLb1EES16_EEDaS11_S12_EUlS11_E_NS1_11comp_targetILNS1_3genE0ELNS1_11target_archE4294967295ELNS1_3gpuE0ELNS1_3repE0EEENS1_30default_config_static_selectorELNS0_4arch9wavefront6targetE1EEEvT1_
    .private_segment_fixed_size: 0
    .sgpr_count:     4
    .sgpr_spill_count: 0
    .symbol:         _ZN7rocprim17ROCPRIM_400000_NS6detail17trampoline_kernelINS0_14default_configENS1_25partition_config_selectorILNS1_17partition_subalgoE0EiNS0_10empty_typeEbEEZZNS1_14partition_implILS5_0ELb0ES3_jN6thrust23THRUST_200600_302600_NS6detail15normal_iteratorINSA_10device_ptrIiEEEEPS6_SG_NS0_5tupleIJSF_SF_EEENSH_IJSG_SG_EEES6_PlJ7is_evenIiEEEE10hipError_tPvRmT3_T4_T5_T6_T7_T9_mT8_P12ihipStream_tbDpT10_ENKUlT_T0_E_clISt17integral_constantIbLb1EES16_EEDaS11_S12_EUlS11_E_NS1_11comp_targetILNS1_3genE0ELNS1_11target_archE4294967295ELNS1_3gpuE0ELNS1_3repE0EEENS1_30default_config_static_selectorELNS0_4arch9wavefront6targetE1EEEvT1_.kd
    .uniform_work_group_size: 1
    .uses_dynamic_stack: false
    .vgpr_count:     0
    .vgpr_spill_count: 0
    .wavefront_size: 64
  - .agpr_count:     0
    .args:
      - .offset:         0
        .size:           136
        .value_kind:     by_value
    .group_segment_fixed_size: 0
    .kernarg_segment_align: 8
    .kernarg_segment_size: 136
    .language:       OpenCL C
    .language_version:
      - 2
      - 0
    .max_flat_workgroup_size: 512
    .name:           _ZN7rocprim17ROCPRIM_400000_NS6detail17trampoline_kernelINS0_14default_configENS1_25partition_config_selectorILNS1_17partition_subalgoE0EiNS0_10empty_typeEbEEZZNS1_14partition_implILS5_0ELb0ES3_jN6thrust23THRUST_200600_302600_NS6detail15normal_iteratorINSA_10device_ptrIiEEEEPS6_SG_NS0_5tupleIJSF_SF_EEENSH_IJSG_SG_EEES6_PlJ7is_evenIiEEEE10hipError_tPvRmT3_T4_T5_T6_T7_T9_mT8_P12ihipStream_tbDpT10_ENKUlT_T0_E_clISt17integral_constantIbLb1EES16_EEDaS11_S12_EUlS11_E_NS1_11comp_targetILNS1_3genE5ELNS1_11target_archE942ELNS1_3gpuE9ELNS1_3repE0EEENS1_30default_config_static_selectorELNS0_4arch9wavefront6targetE1EEEvT1_
    .private_segment_fixed_size: 0
    .sgpr_count:     4
    .sgpr_spill_count: 0
    .symbol:         _ZN7rocprim17ROCPRIM_400000_NS6detail17trampoline_kernelINS0_14default_configENS1_25partition_config_selectorILNS1_17partition_subalgoE0EiNS0_10empty_typeEbEEZZNS1_14partition_implILS5_0ELb0ES3_jN6thrust23THRUST_200600_302600_NS6detail15normal_iteratorINSA_10device_ptrIiEEEEPS6_SG_NS0_5tupleIJSF_SF_EEENSH_IJSG_SG_EEES6_PlJ7is_evenIiEEEE10hipError_tPvRmT3_T4_T5_T6_T7_T9_mT8_P12ihipStream_tbDpT10_ENKUlT_T0_E_clISt17integral_constantIbLb1EES16_EEDaS11_S12_EUlS11_E_NS1_11comp_targetILNS1_3genE5ELNS1_11target_archE942ELNS1_3gpuE9ELNS1_3repE0EEENS1_30default_config_static_selectorELNS0_4arch9wavefront6targetE1EEEvT1_.kd
    .uniform_work_group_size: 1
    .uses_dynamic_stack: false
    .vgpr_count:     0
    .vgpr_spill_count: 0
    .wavefront_size: 64
  - .agpr_count:     0
    .args:
      - .offset:         0
        .size:           136
        .value_kind:     by_value
    .group_segment_fixed_size: 10248
    .kernarg_segment_align: 8
    .kernarg_segment_size: 136
    .language:       OpenCL C
    .language_version:
      - 2
      - 0
    .max_flat_workgroup_size: 256
    .name:           _ZN7rocprim17ROCPRIM_400000_NS6detail17trampoline_kernelINS0_14default_configENS1_25partition_config_selectorILNS1_17partition_subalgoE0EiNS0_10empty_typeEbEEZZNS1_14partition_implILS5_0ELb0ES3_jN6thrust23THRUST_200600_302600_NS6detail15normal_iteratorINSA_10device_ptrIiEEEEPS6_SG_NS0_5tupleIJSF_SF_EEENSH_IJSG_SG_EEES6_PlJ7is_evenIiEEEE10hipError_tPvRmT3_T4_T5_T6_T7_T9_mT8_P12ihipStream_tbDpT10_ENKUlT_T0_E_clISt17integral_constantIbLb1EES16_EEDaS11_S12_EUlS11_E_NS1_11comp_targetILNS1_3genE4ELNS1_11target_archE910ELNS1_3gpuE8ELNS1_3repE0EEENS1_30default_config_static_selectorELNS0_4arch9wavefront6targetE1EEEvT1_
    .private_segment_fixed_size: 0
    .sgpr_count:     48
    .sgpr_spill_count: 0
    .symbol:         _ZN7rocprim17ROCPRIM_400000_NS6detail17trampoline_kernelINS0_14default_configENS1_25partition_config_selectorILNS1_17partition_subalgoE0EiNS0_10empty_typeEbEEZZNS1_14partition_implILS5_0ELb0ES3_jN6thrust23THRUST_200600_302600_NS6detail15normal_iteratorINSA_10device_ptrIiEEEEPS6_SG_NS0_5tupleIJSF_SF_EEENSH_IJSG_SG_EEES6_PlJ7is_evenIiEEEE10hipError_tPvRmT3_T4_T5_T6_T7_T9_mT8_P12ihipStream_tbDpT10_ENKUlT_T0_E_clISt17integral_constantIbLb1EES16_EEDaS11_S12_EUlS11_E_NS1_11comp_targetILNS1_3genE4ELNS1_11target_archE910ELNS1_3gpuE8ELNS1_3repE0EEENS1_30default_config_static_selectorELNS0_4arch9wavefront6targetE1EEEvT1_.kd
    .uniform_work_group_size: 1
    .uses_dynamic_stack: false
    .vgpr_count:     58
    .vgpr_spill_count: 0
    .wavefront_size: 64
  - .agpr_count:     0
    .args:
      - .offset:         0
        .size:           136
        .value_kind:     by_value
    .group_segment_fixed_size: 0
    .kernarg_segment_align: 8
    .kernarg_segment_size: 136
    .language:       OpenCL C
    .language_version:
      - 2
      - 0
    .max_flat_workgroup_size: 256
    .name:           _ZN7rocprim17ROCPRIM_400000_NS6detail17trampoline_kernelINS0_14default_configENS1_25partition_config_selectorILNS1_17partition_subalgoE0EiNS0_10empty_typeEbEEZZNS1_14partition_implILS5_0ELb0ES3_jN6thrust23THRUST_200600_302600_NS6detail15normal_iteratorINSA_10device_ptrIiEEEEPS6_SG_NS0_5tupleIJSF_SF_EEENSH_IJSG_SG_EEES6_PlJ7is_evenIiEEEE10hipError_tPvRmT3_T4_T5_T6_T7_T9_mT8_P12ihipStream_tbDpT10_ENKUlT_T0_E_clISt17integral_constantIbLb1EES16_EEDaS11_S12_EUlS11_E_NS1_11comp_targetILNS1_3genE3ELNS1_11target_archE908ELNS1_3gpuE7ELNS1_3repE0EEENS1_30default_config_static_selectorELNS0_4arch9wavefront6targetE1EEEvT1_
    .private_segment_fixed_size: 0
    .sgpr_count:     4
    .sgpr_spill_count: 0
    .symbol:         _ZN7rocprim17ROCPRIM_400000_NS6detail17trampoline_kernelINS0_14default_configENS1_25partition_config_selectorILNS1_17partition_subalgoE0EiNS0_10empty_typeEbEEZZNS1_14partition_implILS5_0ELb0ES3_jN6thrust23THRUST_200600_302600_NS6detail15normal_iteratorINSA_10device_ptrIiEEEEPS6_SG_NS0_5tupleIJSF_SF_EEENSH_IJSG_SG_EEES6_PlJ7is_evenIiEEEE10hipError_tPvRmT3_T4_T5_T6_T7_T9_mT8_P12ihipStream_tbDpT10_ENKUlT_T0_E_clISt17integral_constantIbLb1EES16_EEDaS11_S12_EUlS11_E_NS1_11comp_targetILNS1_3genE3ELNS1_11target_archE908ELNS1_3gpuE7ELNS1_3repE0EEENS1_30default_config_static_selectorELNS0_4arch9wavefront6targetE1EEEvT1_.kd
    .uniform_work_group_size: 1
    .uses_dynamic_stack: false
    .vgpr_count:     0
    .vgpr_spill_count: 0
    .wavefront_size: 64
  - .agpr_count:     0
    .args:
      - .offset:         0
        .size:           136
        .value_kind:     by_value
    .group_segment_fixed_size: 0
    .kernarg_segment_align: 8
    .kernarg_segment_size: 136
    .language:       OpenCL C
    .language_version:
      - 2
      - 0
    .max_flat_workgroup_size: 192
    .name:           _ZN7rocprim17ROCPRIM_400000_NS6detail17trampoline_kernelINS0_14default_configENS1_25partition_config_selectorILNS1_17partition_subalgoE0EiNS0_10empty_typeEbEEZZNS1_14partition_implILS5_0ELb0ES3_jN6thrust23THRUST_200600_302600_NS6detail15normal_iteratorINSA_10device_ptrIiEEEEPS6_SG_NS0_5tupleIJSF_SF_EEENSH_IJSG_SG_EEES6_PlJ7is_evenIiEEEE10hipError_tPvRmT3_T4_T5_T6_T7_T9_mT8_P12ihipStream_tbDpT10_ENKUlT_T0_E_clISt17integral_constantIbLb1EES16_EEDaS11_S12_EUlS11_E_NS1_11comp_targetILNS1_3genE2ELNS1_11target_archE906ELNS1_3gpuE6ELNS1_3repE0EEENS1_30default_config_static_selectorELNS0_4arch9wavefront6targetE1EEEvT1_
    .private_segment_fixed_size: 0
    .sgpr_count:     4
    .sgpr_spill_count: 0
    .symbol:         _ZN7rocprim17ROCPRIM_400000_NS6detail17trampoline_kernelINS0_14default_configENS1_25partition_config_selectorILNS1_17partition_subalgoE0EiNS0_10empty_typeEbEEZZNS1_14partition_implILS5_0ELb0ES3_jN6thrust23THRUST_200600_302600_NS6detail15normal_iteratorINSA_10device_ptrIiEEEEPS6_SG_NS0_5tupleIJSF_SF_EEENSH_IJSG_SG_EEES6_PlJ7is_evenIiEEEE10hipError_tPvRmT3_T4_T5_T6_T7_T9_mT8_P12ihipStream_tbDpT10_ENKUlT_T0_E_clISt17integral_constantIbLb1EES16_EEDaS11_S12_EUlS11_E_NS1_11comp_targetILNS1_3genE2ELNS1_11target_archE906ELNS1_3gpuE6ELNS1_3repE0EEENS1_30default_config_static_selectorELNS0_4arch9wavefront6targetE1EEEvT1_.kd
    .uniform_work_group_size: 1
    .uses_dynamic_stack: false
    .vgpr_count:     0
    .vgpr_spill_count: 0
    .wavefront_size: 64
  - .agpr_count:     0
    .args:
      - .offset:         0
        .size:           136
        .value_kind:     by_value
    .group_segment_fixed_size: 0
    .kernarg_segment_align: 8
    .kernarg_segment_size: 136
    .language:       OpenCL C
    .language_version:
      - 2
      - 0
    .max_flat_workgroup_size: 512
    .name:           _ZN7rocprim17ROCPRIM_400000_NS6detail17trampoline_kernelINS0_14default_configENS1_25partition_config_selectorILNS1_17partition_subalgoE0EiNS0_10empty_typeEbEEZZNS1_14partition_implILS5_0ELb0ES3_jN6thrust23THRUST_200600_302600_NS6detail15normal_iteratorINSA_10device_ptrIiEEEEPS6_SG_NS0_5tupleIJSF_SF_EEENSH_IJSG_SG_EEES6_PlJ7is_evenIiEEEE10hipError_tPvRmT3_T4_T5_T6_T7_T9_mT8_P12ihipStream_tbDpT10_ENKUlT_T0_E_clISt17integral_constantIbLb1EES16_EEDaS11_S12_EUlS11_E_NS1_11comp_targetILNS1_3genE10ELNS1_11target_archE1200ELNS1_3gpuE4ELNS1_3repE0EEENS1_30default_config_static_selectorELNS0_4arch9wavefront6targetE1EEEvT1_
    .private_segment_fixed_size: 0
    .sgpr_count:     4
    .sgpr_spill_count: 0
    .symbol:         _ZN7rocprim17ROCPRIM_400000_NS6detail17trampoline_kernelINS0_14default_configENS1_25partition_config_selectorILNS1_17partition_subalgoE0EiNS0_10empty_typeEbEEZZNS1_14partition_implILS5_0ELb0ES3_jN6thrust23THRUST_200600_302600_NS6detail15normal_iteratorINSA_10device_ptrIiEEEEPS6_SG_NS0_5tupleIJSF_SF_EEENSH_IJSG_SG_EEES6_PlJ7is_evenIiEEEE10hipError_tPvRmT3_T4_T5_T6_T7_T9_mT8_P12ihipStream_tbDpT10_ENKUlT_T0_E_clISt17integral_constantIbLb1EES16_EEDaS11_S12_EUlS11_E_NS1_11comp_targetILNS1_3genE10ELNS1_11target_archE1200ELNS1_3gpuE4ELNS1_3repE0EEENS1_30default_config_static_selectorELNS0_4arch9wavefront6targetE1EEEvT1_.kd
    .uniform_work_group_size: 1
    .uses_dynamic_stack: false
    .vgpr_count:     0
    .vgpr_spill_count: 0
    .wavefront_size: 64
  - .agpr_count:     0
    .args:
      - .offset:         0
        .size:           136
        .value_kind:     by_value
    .group_segment_fixed_size: 0
    .kernarg_segment_align: 8
    .kernarg_segment_size: 136
    .language:       OpenCL C
    .language_version:
      - 2
      - 0
    .max_flat_workgroup_size: 128
    .name:           _ZN7rocprim17ROCPRIM_400000_NS6detail17trampoline_kernelINS0_14default_configENS1_25partition_config_selectorILNS1_17partition_subalgoE0EiNS0_10empty_typeEbEEZZNS1_14partition_implILS5_0ELb0ES3_jN6thrust23THRUST_200600_302600_NS6detail15normal_iteratorINSA_10device_ptrIiEEEEPS6_SG_NS0_5tupleIJSF_SF_EEENSH_IJSG_SG_EEES6_PlJ7is_evenIiEEEE10hipError_tPvRmT3_T4_T5_T6_T7_T9_mT8_P12ihipStream_tbDpT10_ENKUlT_T0_E_clISt17integral_constantIbLb1EES16_EEDaS11_S12_EUlS11_E_NS1_11comp_targetILNS1_3genE9ELNS1_11target_archE1100ELNS1_3gpuE3ELNS1_3repE0EEENS1_30default_config_static_selectorELNS0_4arch9wavefront6targetE1EEEvT1_
    .private_segment_fixed_size: 0
    .sgpr_count:     4
    .sgpr_spill_count: 0
    .symbol:         _ZN7rocprim17ROCPRIM_400000_NS6detail17trampoline_kernelINS0_14default_configENS1_25partition_config_selectorILNS1_17partition_subalgoE0EiNS0_10empty_typeEbEEZZNS1_14partition_implILS5_0ELb0ES3_jN6thrust23THRUST_200600_302600_NS6detail15normal_iteratorINSA_10device_ptrIiEEEEPS6_SG_NS0_5tupleIJSF_SF_EEENSH_IJSG_SG_EEES6_PlJ7is_evenIiEEEE10hipError_tPvRmT3_T4_T5_T6_T7_T9_mT8_P12ihipStream_tbDpT10_ENKUlT_T0_E_clISt17integral_constantIbLb1EES16_EEDaS11_S12_EUlS11_E_NS1_11comp_targetILNS1_3genE9ELNS1_11target_archE1100ELNS1_3gpuE3ELNS1_3repE0EEENS1_30default_config_static_selectorELNS0_4arch9wavefront6targetE1EEEvT1_.kd
    .uniform_work_group_size: 1
    .uses_dynamic_stack: false
    .vgpr_count:     0
    .vgpr_spill_count: 0
    .wavefront_size: 64
  - .agpr_count:     0
    .args:
      - .offset:         0
        .size:           136
        .value_kind:     by_value
    .group_segment_fixed_size: 0
    .kernarg_segment_align: 8
    .kernarg_segment_size: 136
    .language:       OpenCL C
    .language_version:
      - 2
      - 0
    .max_flat_workgroup_size: 512
    .name:           _ZN7rocprim17ROCPRIM_400000_NS6detail17trampoline_kernelINS0_14default_configENS1_25partition_config_selectorILNS1_17partition_subalgoE0EiNS0_10empty_typeEbEEZZNS1_14partition_implILS5_0ELb0ES3_jN6thrust23THRUST_200600_302600_NS6detail15normal_iteratorINSA_10device_ptrIiEEEEPS6_SG_NS0_5tupleIJSF_SF_EEENSH_IJSG_SG_EEES6_PlJ7is_evenIiEEEE10hipError_tPvRmT3_T4_T5_T6_T7_T9_mT8_P12ihipStream_tbDpT10_ENKUlT_T0_E_clISt17integral_constantIbLb1EES16_EEDaS11_S12_EUlS11_E_NS1_11comp_targetILNS1_3genE8ELNS1_11target_archE1030ELNS1_3gpuE2ELNS1_3repE0EEENS1_30default_config_static_selectorELNS0_4arch9wavefront6targetE1EEEvT1_
    .private_segment_fixed_size: 0
    .sgpr_count:     4
    .sgpr_spill_count: 0
    .symbol:         _ZN7rocprim17ROCPRIM_400000_NS6detail17trampoline_kernelINS0_14default_configENS1_25partition_config_selectorILNS1_17partition_subalgoE0EiNS0_10empty_typeEbEEZZNS1_14partition_implILS5_0ELb0ES3_jN6thrust23THRUST_200600_302600_NS6detail15normal_iteratorINSA_10device_ptrIiEEEEPS6_SG_NS0_5tupleIJSF_SF_EEENSH_IJSG_SG_EEES6_PlJ7is_evenIiEEEE10hipError_tPvRmT3_T4_T5_T6_T7_T9_mT8_P12ihipStream_tbDpT10_ENKUlT_T0_E_clISt17integral_constantIbLb1EES16_EEDaS11_S12_EUlS11_E_NS1_11comp_targetILNS1_3genE8ELNS1_11target_archE1030ELNS1_3gpuE2ELNS1_3repE0EEENS1_30default_config_static_selectorELNS0_4arch9wavefront6targetE1EEEvT1_.kd
    .uniform_work_group_size: 1
    .uses_dynamic_stack: false
    .vgpr_count:     0
    .vgpr_spill_count: 0
    .wavefront_size: 64
  - .agpr_count:     0
    .args:
      - .offset:         0
        .size:           120
        .value_kind:     by_value
    .group_segment_fixed_size: 0
    .kernarg_segment_align: 8
    .kernarg_segment_size: 120
    .language:       OpenCL C
    .language_version:
      - 2
      - 0
    .max_flat_workgroup_size: 256
    .name:           _ZN7rocprim17ROCPRIM_400000_NS6detail17trampoline_kernelINS0_14default_configENS1_25partition_config_selectorILNS1_17partition_subalgoE0EiNS0_10empty_typeEbEEZZNS1_14partition_implILS5_0ELb0ES3_jN6thrust23THRUST_200600_302600_NS6detail15normal_iteratorINSA_10device_ptrIiEEEEPS6_SG_NS0_5tupleIJSF_SF_EEENSH_IJSG_SG_EEES6_PlJ7is_evenIiEEEE10hipError_tPvRmT3_T4_T5_T6_T7_T9_mT8_P12ihipStream_tbDpT10_ENKUlT_T0_E_clISt17integral_constantIbLb1EES15_IbLb0EEEEDaS11_S12_EUlS11_E_NS1_11comp_targetILNS1_3genE0ELNS1_11target_archE4294967295ELNS1_3gpuE0ELNS1_3repE0EEENS1_30default_config_static_selectorELNS0_4arch9wavefront6targetE1EEEvT1_
    .private_segment_fixed_size: 0
    .sgpr_count:     4
    .sgpr_spill_count: 0
    .symbol:         _ZN7rocprim17ROCPRIM_400000_NS6detail17trampoline_kernelINS0_14default_configENS1_25partition_config_selectorILNS1_17partition_subalgoE0EiNS0_10empty_typeEbEEZZNS1_14partition_implILS5_0ELb0ES3_jN6thrust23THRUST_200600_302600_NS6detail15normal_iteratorINSA_10device_ptrIiEEEEPS6_SG_NS0_5tupleIJSF_SF_EEENSH_IJSG_SG_EEES6_PlJ7is_evenIiEEEE10hipError_tPvRmT3_T4_T5_T6_T7_T9_mT8_P12ihipStream_tbDpT10_ENKUlT_T0_E_clISt17integral_constantIbLb1EES15_IbLb0EEEEDaS11_S12_EUlS11_E_NS1_11comp_targetILNS1_3genE0ELNS1_11target_archE4294967295ELNS1_3gpuE0ELNS1_3repE0EEENS1_30default_config_static_selectorELNS0_4arch9wavefront6targetE1EEEvT1_.kd
    .uniform_work_group_size: 1
    .uses_dynamic_stack: false
    .vgpr_count:     0
    .vgpr_spill_count: 0
    .wavefront_size: 64
  - .agpr_count:     0
    .args:
      - .offset:         0
        .size:           120
        .value_kind:     by_value
    .group_segment_fixed_size: 0
    .kernarg_segment_align: 8
    .kernarg_segment_size: 120
    .language:       OpenCL C
    .language_version:
      - 2
      - 0
    .max_flat_workgroup_size: 512
    .name:           _ZN7rocprim17ROCPRIM_400000_NS6detail17trampoline_kernelINS0_14default_configENS1_25partition_config_selectorILNS1_17partition_subalgoE0EiNS0_10empty_typeEbEEZZNS1_14partition_implILS5_0ELb0ES3_jN6thrust23THRUST_200600_302600_NS6detail15normal_iteratorINSA_10device_ptrIiEEEEPS6_SG_NS0_5tupleIJSF_SF_EEENSH_IJSG_SG_EEES6_PlJ7is_evenIiEEEE10hipError_tPvRmT3_T4_T5_T6_T7_T9_mT8_P12ihipStream_tbDpT10_ENKUlT_T0_E_clISt17integral_constantIbLb1EES15_IbLb0EEEEDaS11_S12_EUlS11_E_NS1_11comp_targetILNS1_3genE5ELNS1_11target_archE942ELNS1_3gpuE9ELNS1_3repE0EEENS1_30default_config_static_selectorELNS0_4arch9wavefront6targetE1EEEvT1_
    .private_segment_fixed_size: 0
    .sgpr_count:     4
    .sgpr_spill_count: 0
    .symbol:         _ZN7rocprim17ROCPRIM_400000_NS6detail17trampoline_kernelINS0_14default_configENS1_25partition_config_selectorILNS1_17partition_subalgoE0EiNS0_10empty_typeEbEEZZNS1_14partition_implILS5_0ELb0ES3_jN6thrust23THRUST_200600_302600_NS6detail15normal_iteratorINSA_10device_ptrIiEEEEPS6_SG_NS0_5tupleIJSF_SF_EEENSH_IJSG_SG_EEES6_PlJ7is_evenIiEEEE10hipError_tPvRmT3_T4_T5_T6_T7_T9_mT8_P12ihipStream_tbDpT10_ENKUlT_T0_E_clISt17integral_constantIbLb1EES15_IbLb0EEEEDaS11_S12_EUlS11_E_NS1_11comp_targetILNS1_3genE5ELNS1_11target_archE942ELNS1_3gpuE9ELNS1_3repE0EEENS1_30default_config_static_selectorELNS0_4arch9wavefront6targetE1EEEvT1_.kd
    .uniform_work_group_size: 1
    .uses_dynamic_stack: false
    .vgpr_count:     0
    .vgpr_spill_count: 0
    .wavefront_size: 64
  - .agpr_count:     0
    .args:
      - .offset:         0
        .size:           120
        .value_kind:     by_value
    .group_segment_fixed_size: 10248
    .kernarg_segment_align: 8
    .kernarg_segment_size: 120
    .language:       OpenCL C
    .language_version:
      - 2
      - 0
    .max_flat_workgroup_size: 256
    .name:           _ZN7rocprim17ROCPRIM_400000_NS6detail17trampoline_kernelINS0_14default_configENS1_25partition_config_selectorILNS1_17partition_subalgoE0EiNS0_10empty_typeEbEEZZNS1_14partition_implILS5_0ELb0ES3_jN6thrust23THRUST_200600_302600_NS6detail15normal_iteratorINSA_10device_ptrIiEEEEPS6_SG_NS0_5tupleIJSF_SF_EEENSH_IJSG_SG_EEES6_PlJ7is_evenIiEEEE10hipError_tPvRmT3_T4_T5_T6_T7_T9_mT8_P12ihipStream_tbDpT10_ENKUlT_T0_E_clISt17integral_constantIbLb1EES15_IbLb0EEEEDaS11_S12_EUlS11_E_NS1_11comp_targetILNS1_3genE4ELNS1_11target_archE910ELNS1_3gpuE8ELNS1_3repE0EEENS1_30default_config_static_selectorELNS0_4arch9wavefront6targetE1EEEvT1_
    .private_segment_fixed_size: 0
    .sgpr_count:     48
    .sgpr_spill_count: 0
    .symbol:         _ZN7rocprim17ROCPRIM_400000_NS6detail17trampoline_kernelINS0_14default_configENS1_25partition_config_selectorILNS1_17partition_subalgoE0EiNS0_10empty_typeEbEEZZNS1_14partition_implILS5_0ELb0ES3_jN6thrust23THRUST_200600_302600_NS6detail15normal_iteratorINSA_10device_ptrIiEEEEPS6_SG_NS0_5tupleIJSF_SF_EEENSH_IJSG_SG_EEES6_PlJ7is_evenIiEEEE10hipError_tPvRmT3_T4_T5_T6_T7_T9_mT8_P12ihipStream_tbDpT10_ENKUlT_T0_E_clISt17integral_constantIbLb1EES15_IbLb0EEEEDaS11_S12_EUlS11_E_NS1_11comp_targetILNS1_3genE4ELNS1_11target_archE910ELNS1_3gpuE8ELNS1_3repE0EEENS1_30default_config_static_selectorELNS0_4arch9wavefront6targetE1EEEvT1_.kd
    .uniform_work_group_size: 1
    .uses_dynamic_stack: false
    .vgpr_count:     54
    .vgpr_spill_count: 0
    .wavefront_size: 64
  - .agpr_count:     0
    .args:
      - .offset:         0
        .size:           120
        .value_kind:     by_value
    .group_segment_fixed_size: 0
    .kernarg_segment_align: 8
    .kernarg_segment_size: 120
    .language:       OpenCL C
    .language_version:
      - 2
      - 0
    .max_flat_workgroup_size: 256
    .name:           _ZN7rocprim17ROCPRIM_400000_NS6detail17trampoline_kernelINS0_14default_configENS1_25partition_config_selectorILNS1_17partition_subalgoE0EiNS0_10empty_typeEbEEZZNS1_14partition_implILS5_0ELb0ES3_jN6thrust23THRUST_200600_302600_NS6detail15normal_iteratorINSA_10device_ptrIiEEEEPS6_SG_NS0_5tupleIJSF_SF_EEENSH_IJSG_SG_EEES6_PlJ7is_evenIiEEEE10hipError_tPvRmT3_T4_T5_T6_T7_T9_mT8_P12ihipStream_tbDpT10_ENKUlT_T0_E_clISt17integral_constantIbLb1EES15_IbLb0EEEEDaS11_S12_EUlS11_E_NS1_11comp_targetILNS1_3genE3ELNS1_11target_archE908ELNS1_3gpuE7ELNS1_3repE0EEENS1_30default_config_static_selectorELNS0_4arch9wavefront6targetE1EEEvT1_
    .private_segment_fixed_size: 0
    .sgpr_count:     4
    .sgpr_spill_count: 0
    .symbol:         _ZN7rocprim17ROCPRIM_400000_NS6detail17trampoline_kernelINS0_14default_configENS1_25partition_config_selectorILNS1_17partition_subalgoE0EiNS0_10empty_typeEbEEZZNS1_14partition_implILS5_0ELb0ES3_jN6thrust23THRUST_200600_302600_NS6detail15normal_iteratorINSA_10device_ptrIiEEEEPS6_SG_NS0_5tupleIJSF_SF_EEENSH_IJSG_SG_EEES6_PlJ7is_evenIiEEEE10hipError_tPvRmT3_T4_T5_T6_T7_T9_mT8_P12ihipStream_tbDpT10_ENKUlT_T0_E_clISt17integral_constantIbLb1EES15_IbLb0EEEEDaS11_S12_EUlS11_E_NS1_11comp_targetILNS1_3genE3ELNS1_11target_archE908ELNS1_3gpuE7ELNS1_3repE0EEENS1_30default_config_static_selectorELNS0_4arch9wavefront6targetE1EEEvT1_.kd
    .uniform_work_group_size: 1
    .uses_dynamic_stack: false
    .vgpr_count:     0
    .vgpr_spill_count: 0
    .wavefront_size: 64
  - .agpr_count:     0
    .args:
      - .offset:         0
        .size:           120
        .value_kind:     by_value
    .group_segment_fixed_size: 0
    .kernarg_segment_align: 8
    .kernarg_segment_size: 120
    .language:       OpenCL C
    .language_version:
      - 2
      - 0
    .max_flat_workgroup_size: 192
    .name:           _ZN7rocprim17ROCPRIM_400000_NS6detail17trampoline_kernelINS0_14default_configENS1_25partition_config_selectorILNS1_17partition_subalgoE0EiNS0_10empty_typeEbEEZZNS1_14partition_implILS5_0ELb0ES3_jN6thrust23THRUST_200600_302600_NS6detail15normal_iteratorINSA_10device_ptrIiEEEEPS6_SG_NS0_5tupleIJSF_SF_EEENSH_IJSG_SG_EEES6_PlJ7is_evenIiEEEE10hipError_tPvRmT3_T4_T5_T6_T7_T9_mT8_P12ihipStream_tbDpT10_ENKUlT_T0_E_clISt17integral_constantIbLb1EES15_IbLb0EEEEDaS11_S12_EUlS11_E_NS1_11comp_targetILNS1_3genE2ELNS1_11target_archE906ELNS1_3gpuE6ELNS1_3repE0EEENS1_30default_config_static_selectorELNS0_4arch9wavefront6targetE1EEEvT1_
    .private_segment_fixed_size: 0
    .sgpr_count:     4
    .sgpr_spill_count: 0
    .symbol:         _ZN7rocprim17ROCPRIM_400000_NS6detail17trampoline_kernelINS0_14default_configENS1_25partition_config_selectorILNS1_17partition_subalgoE0EiNS0_10empty_typeEbEEZZNS1_14partition_implILS5_0ELb0ES3_jN6thrust23THRUST_200600_302600_NS6detail15normal_iteratorINSA_10device_ptrIiEEEEPS6_SG_NS0_5tupleIJSF_SF_EEENSH_IJSG_SG_EEES6_PlJ7is_evenIiEEEE10hipError_tPvRmT3_T4_T5_T6_T7_T9_mT8_P12ihipStream_tbDpT10_ENKUlT_T0_E_clISt17integral_constantIbLb1EES15_IbLb0EEEEDaS11_S12_EUlS11_E_NS1_11comp_targetILNS1_3genE2ELNS1_11target_archE906ELNS1_3gpuE6ELNS1_3repE0EEENS1_30default_config_static_selectorELNS0_4arch9wavefront6targetE1EEEvT1_.kd
    .uniform_work_group_size: 1
    .uses_dynamic_stack: false
    .vgpr_count:     0
    .vgpr_spill_count: 0
    .wavefront_size: 64
  - .agpr_count:     0
    .args:
      - .offset:         0
        .size:           120
        .value_kind:     by_value
    .group_segment_fixed_size: 0
    .kernarg_segment_align: 8
    .kernarg_segment_size: 120
    .language:       OpenCL C
    .language_version:
      - 2
      - 0
    .max_flat_workgroup_size: 512
    .name:           _ZN7rocprim17ROCPRIM_400000_NS6detail17trampoline_kernelINS0_14default_configENS1_25partition_config_selectorILNS1_17partition_subalgoE0EiNS0_10empty_typeEbEEZZNS1_14partition_implILS5_0ELb0ES3_jN6thrust23THRUST_200600_302600_NS6detail15normal_iteratorINSA_10device_ptrIiEEEEPS6_SG_NS0_5tupleIJSF_SF_EEENSH_IJSG_SG_EEES6_PlJ7is_evenIiEEEE10hipError_tPvRmT3_T4_T5_T6_T7_T9_mT8_P12ihipStream_tbDpT10_ENKUlT_T0_E_clISt17integral_constantIbLb1EES15_IbLb0EEEEDaS11_S12_EUlS11_E_NS1_11comp_targetILNS1_3genE10ELNS1_11target_archE1200ELNS1_3gpuE4ELNS1_3repE0EEENS1_30default_config_static_selectorELNS0_4arch9wavefront6targetE1EEEvT1_
    .private_segment_fixed_size: 0
    .sgpr_count:     4
    .sgpr_spill_count: 0
    .symbol:         _ZN7rocprim17ROCPRIM_400000_NS6detail17trampoline_kernelINS0_14default_configENS1_25partition_config_selectorILNS1_17partition_subalgoE0EiNS0_10empty_typeEbEEZZNS1_14partition_implILS5_0ELb0ES3_jN6thrust23THRUST_200600_302600_NS6detail15normal_iteratorINSA_10device_ptrIiEEEEPS6_SG_NS0_5tupleIJSF_SF_EEENSH_IJSG_SG_EEES6_PlJ7is_evenIiEEEE10hipError_tPvRmT3_T4_T5_T6_T7_T9_mT8_P12ihipStream_tbDpT10_ENKUlT_T0_E_clISt17integral_constantIbLb1EES15_IbLb0EEEEDaS11_S12_EUlS11_E_NS1_11comp_targetILNS1_3genE10ELNS1_11target_archE1200ELNS1_3gpuE4ELNS1_3repE0EEENS1_30default_config_static_selectorELNS0_4arch9wavefront6targetE1EEEvT1_.kd
    .uniform_work_group_size: 1
    .uses_dynamic_stack: false
    .vgpr_count:     0
    .vgpr_spill_count: 0
    .wavefront_size: 64
  - .agpr_count:     0
    .args:
      - .offset:         0
        .size:           120
        .value_kind:     by_value
    .group_segment_fixed_size: 0
    .kernarg_segment_align: 8
    .kernarg_segment_size: 120
    .language:       OpenCL C
    .language_version:
      - 2
      - 0
    .max_flat_workgroup_size: 128
    .name:           _ZN7rocprim17ROCPRIM_400000_NS6detail17trampoline_kernelINS0_14default_configENS1_25partition_config_selectorILNS1_17partition_subalgoE0EiNS0_10empty_typeEbEEZZNS1_14partition_implILS5_0ELb0ES3_jN6thrust23THRUST_200600_302600_NS6detail15normal_iteratorINSA_10device_ptrIiEEEEPS6_SG_NS0_5tupleIJSF_SF_EEENSH_IJSG_SG_EEES6_PlJ7is_evenIiEEEE10hipError_tPvRmT3_T4_T5_T6_T7_T9_mT8_P12ihipStream_tbDpT10_ENKUlT_T0_E_clISt17integral_constantIbLb1EES15_IbLb0EEEEDaS11_S12_EUlS11_E_NS1_11comp_targetILNS1_3genE9ELNS1_11target_archE1100ELNS1_3gpuE3ELNS1_3repE0EEENS1_30default_config_static_selectorELNS0_4arch9wavefront6targetE1EEEvT1_
    .private_segment_fixed_size: 0
    .sgpr_count:     4
    .sgpr_spill_count: 0
    .symbol:         _ZN7rocprim17ROCPRIM_400000_NS6detail17trampoline_kernelINS0_14default_configENS1_25partition_config_selectorILNS1_17partition_subalgoE0EiNS0_10empty_typeEbEEZZNS1_14partition_implILS5_0ELb0ES3_jN6thrust23THRUST_200600_302600_NS6detail15normal_iteratorINSA_10device_ptrIiEEEEPS6_SG_NS0_5tupleIJSF_SF_EEENSH_IJSG_SG_EEES6_PlJ7is_evenIiEEEE10hipError_tPvRmT3_T4_T5_T6_T7_T9_mT8_P12ihipStream_tbDpT10_ENKUlT_T0_E_clISt17integral_constantIbLb1EES15_IbLb0EEEEDaS11_S12_EUlS11_E_NS1_11comp_targetILNS1_3genE9ELNS1_11target_archE1100ELNS1_3gpuE3ELNS1_3repE0EEENS1_30default_config_static_selectorELNS0_4arch9wavefront6targetE1EEEvT1_.kd
    .uniform_work_group_size: 1
    .uses_dynamic_stack: false
    .vgpr_count:     0
    .vgpr_spill_count: 0
    .wavefront_size: 64
  - .agpr_count:     0
    .args:
      - .offset:         0
        .size:           120
        .value_kind:     by_value
    .group_segment_fixed_size: 0
    .kernarg_segment_align: 8
    .kernarg_segment_size: 120
    .language:       OpenCL C
    .language_version:
      - 2
      - 0
    .max_flat_workgroup_size: 512
    .name:           _ZN7rocprim17ROCPRIM_400000_NS6detail17trampoline_kernelINS0_14default_configENS1_25partition_config_selectorILNS1_17partition_subalgoE0EiNS0_10empty_typeEbEEZZNS1_14partition_implILS5_0ELb0ES3_jN6thrust23THRUST_200600_302600_NS6detail15normal_iteratorINSA_10device_ptrIiEEEEPS6_SG_NS0_5tupleIJSF_SF_EEENSH_IJSG_SG_EEES6_PlJ7is_evenIiEEEE10hipError_tPvRmT3_T4_T5_T6_T7_T9_mT8_P12ihipStream_tbDpT10_ENKUlT_T0_E_clISt17integral_constantIbLb1EES15_IbLb0EEEEDaS11_S12_EUlS11_E_NS1_11comp_targetILNS1_3genE8ELNS1_11target_archE1030ELNS1_3gpuE2ELNS1_3repE0EEENS1_30default_config_static_selectorELNS0_4arch9wavefront6targetE1EEEvT1_
    .private_segment_fixed_size: 0
    .sgpr_count:     4
    .sgpr_spill_count: 0
    .symbol:         _ZN7rocprim17ROCPRIM_400000_NS6detail17trampoline_kernelINS0_14default_configENS1_25partition_config_selectorILNS1_17partition_subalgoE0EiNS0_10empty_typeEbEEZZNS1_14partition_implILS5_0ELb0ES3_jN6thrust23THRUST_200600_302600_NS6detail15normal_iteratorINSA_10device_ptrIiEEEEPS6_SG_NS0_5tupleIJSF_SF_EEENSH_IJSG_SG_EEES6_PlJ7is_evenIiEEEE10hipError_tPvRmT3_T4_T5_T6_T7_T9_mT8_P12ihipStream_tbDpT10_ENKUlT_T0_E_clISt17integral_constantIbLb1EES15_IbLb0EEEEDaS11_S12_EUlS11_E_NS1_11comp_targetILNS1_3genE8ELNS1_11target_archE1030ELNS1_3gpuE2ELNS1_3repE0EEENS1_30default_config_static_selectorELNS0_4arch9wavefront6targetE1EEEvT1_.kd
    .uniform_work_group_size: 1
    .uses_dynamic_stack: false
    .vgpr_count:     0
    .vgpr_spill_count: 0
    .wavefront_size: 64
  - .agpr_count:     0
    .args:
      - .offset:         0
        .size:           136
        .value_kind:     by_value
    .group_segment_fixed_size: 0
    .kernarg_segment_align: 8
    .kernarg_segment_size: 136
    .language:       OpenCL C
    .language_version:
      - 2
      - 0
    .max_flat_workgroup_size: 256
    .name:           _ZN7rocprim17ROCPRIM_400000_NS6detail17trampoline_kernelINS0_14default_configENS1_25partition_config_selectorILNS1_17partition_subalgoE0EiNS0_10empty_typeEbEEZZNS1_14partition_implILS5_0ELb0ES3_jN6thrust23THRUST_200600_302600_NS6detail15normal_iteratorINSA_10device_ptrIiEEEEPS6_SG_NS0_5tupleIJSF_SF_EEENSH_IJSG_SG_EEES6_PlJ7is_evenIiEEEE10hipError_tPvRmT3_T4_T5_T6_T7_T9_mT8_P12ihipStream_tbDpT10_ENKUlT_T0_E_clISt17integral_constantIbLb0EES15_IbLb1EEEEDaS11_S12_EUlS11_E_NS1_11comp_targetILNS1_3genE0ELNS1_11target_archE4294967295ELNS1_3gpuE0ELNS1_3repE0EEENS1_30default_config_static_selectorELNS0_4arch9wavefront6targetE1EEEvT1_
    .private_segment_fixed_size: 0
    .sgpr_count:     4
    .sgpr_spill_count: 0
    .symbol:         _ZN7rocprim17ROCPRIM_400000_NS6detail17trampoline_kernelINS0_14default_configENS1_25partition_config_selectorILNS1_17partition_subalgoE0EiNS0_10empty_typeEbEEZZNS1_14partition_implILS5_0ELb0ES3_jN6thrust23THRUST_200600_302600_NS6detail15normal_iteratorINSA_10device_ptrIiEEEEPS6_SG_NS0_5tupleIJSF_SF_EEENSH_IJSG_SG_EEES6_PlJ7is_evenIiEEEE10hipError_tPvRmT3_T4_T5_T6_T7_T9_mT8_P12ihipStream_tbDpT10_ENKUlT_T0_E_clISt17integral_constantIbLb0EES15_IbLb1EEEEDaS11_S12_EUlS11_E_NS1_11comp_targetILNS1_3genE0ELNS1_11target_archE4294967295ELNS1_3gpuE0ELNS1_3repE0EEENS1_30default_config_static_selectorELNS0_4arch9wavefront6targetE1EEEvT1_.kd
    .uniform_work_group_size: 1
    .uses_dynamic_stack: false
    .vgpr_count:     0
    .vgpr_spill_count: 0
    .wavefront_size: 64
  - .agpr_count:     0
    .args:
      - .offset:         0
        .size:           136
        .value_kind:     by_value
    .group_segment_fixed_size: 0
    .kernarg_segment_align: 8
    .kernarg_segment_size: 136
    .language:       OpenCL C
    .language_version:
      - 2
      - 0
    .max_flat_workgroup_size: 512
    .name:           _ZN7rocprim17ROCPRIM_400000_NS6detail17trampoline_kernelINS0_14default_configENS1_25partition_config_selectorILNS1_17partition_subalgoE0EiNS0_10empty_typeEbEEZZNS1_14partition_implILS5_0ELb0ES3_jN6thrust23THRUST_200600_302600_NS6detail15normal_iteratorINSA_10device_ptrIiEEEEPS6_SG_NS0_5tupleIJSF_SF_EEENSH_IJSG_SG_EEES6_PlJ7is_evenIiEEEE10hipError_tPvRmT3_T4_T5_T6_T7_T9_mT8_P12ihipStream_tbDpT10_ENKUlT_T0_E_clISt17integral_constantIbLb0EES15_IbLb1EEEEDaS11_S12_EUlS11_E_NS1_11comp_targetILNS1_3genE5ELNS1_11target_archE942ELNS1_3gpuE9ELNS1_3repE0EEENS1_30default_config_static_selectorELNS0_4arch9wavefront6targetE1EEEvT1_
    .private_segment_fixed_size: 0
    .sgpr_count:     4
    .sgpr_spill_count: 0
    .symbol:         _ZN7rocprim17ROCPRIM_400000_NS6detail17trampoline_kernelINS0_14default_configENS1_25partition_config_selectorILNS1_17partition_subalgoE0EiNS0_10empty_typeEbEEZZNS1_14partition_implILS5_0ELb0ES3_jN6thrust23THRUST_200600_302600_NS6detail15normal_iteratorINSA_10device_ptrIiEEEEPS6_SG_NS0_5tupleIJSF_SF_EEENSH_IJSG_SG_EEES6_PlJ7is_evenIiEEEE10hipError_tPvRmT3_T4_T5_T6_T7_T9_mT8_P12ihipStream_tbDpT10_ENKUlT_T0_E_clISt17integral_constantIbLb0EES15_IbLb1EEEEDaS11_S12_EUlS11_E_NS1_11comp_targetILNS1_3genE5ELNS1_11target_archE942ELNS1_3gpuE9ELNS1_3repE0EEENS1_30default_config_static_selectorELNS0_4arch9wavefront6targetE1EEEvT1_.kd
    .uniform_work_group_size: 1
    .uses_dynamic_stack: false
    .vgpr_count:     0
    .vgpr_spill_count: 0
    .wavefront_size: 64
  - .agpr_count:     0
    .args:
      - .offset:         0
        .size:           136
        .value_kind:     by_value
    .group_segment_fixed_size: 10248
    .kernarg_segment_align: 8
    .kernarg_segment_size: 136
    .language:       OpenCL C
    .language_version:
      - 2
      - 0
    .max_flat_workgroup_size: 256
    .name:           _ZN7rocprim17ROCPRIM_400000_NS6detail17trampoline_kernelINS0_14default_configENS1_25partition_config_selectorILNS1_17partition_subalgoE0EiNS0_10empty_typeEbEEZZNS1_14partition_implILS5_0ELb0ES3_jN6thrust23THRUST_200600_302600_NS6detail15normal_iteratorINSA_10device_ptrIiEEEEPS6_SG_NS0_5tupleIJSF_SF_EEENSH_IJSG_SG_EEES6_PlJ7is_evenIiEEEE10hipError_tPvRmT3_T4_T5_T6_T7_T9_mT8_P12ihipStream_tbDpT10_ENKUlT_T0_E_clISt17integral_constantIbLb0EES15_IbLb1EEEEDaS11_S12_EUlS11_E_NS1_11comp_targetILNS1_3genE4ELNS1_11target_archE910ELNS1_3gpuE8ELNS1_3repE0EEENS1_30default_config_static_selectorELNS0_4arch9wavefront6targetE1EEEvT1_
    .private_segment_fixed_size: 0
    .sgpr_count:     48
    .sgpr_spill_count: 0
    .symbol:         _ZN7rocprim17ROCPRIM_400000_NS6detail17trampoline_kernelINS0_14default_configENS1_25partition_config_selectorILNS1_17partition_subalgoE0EiNS0_10empty_typeEbEEZZNS1_14partition_implILS5_0ELb0ES3_jN6thrust23THRUST_200600_302600_NS6detail15normal_iteratorINSA_10device_ptrIiEEEEPS6_SG_NS0_5tupleIJSF_SF_EEENSH_IJSG_SG_EEES6_PlJ7is_evenIiEEEE10hipError_tPvRmT3_T4_T5_T6_T7_T9_mT8_P12ihipStream_tbDpT10_ENKUlT_T0_E_clISt17integral_constantIbLb0EES15_IbLb1EEEEDaS11_S12_EUlS11_E_NS1_11comp_targetILNS1_3genE4ELNS1_11target_archE910ELNS1_3gpuE8ELNS1_3repE0EEENS1_30default_config_static_selectorELNS0_4arch9wavefront6targetE1EEEvT1_.kd
    .uniform_work_group_size: 1
    .uses_dynamic_stack: false
    .vgpr_count:     58
    .vgpr_spill_count: 0
    .wavefront_size: 64
  - .agpr_count:     0
    .args:
      - .offset:         0
        .size:           136
        .value_kind:     by_value
    .group_segment_fixed_size: 0
    .kernarg_segment_align: 8
    .kernarg_segment_size: 136
    .language:       OpenCL C
    .language_version:
      - 2
      - 0
    .max_flat_workgroup_size: 256
    .name:           _ZN7rocprim17ROCPRIM_400000_NS6detail17trampoline_kernelINS0_14default_configENS1_25partition_config_selectorILNS1_17partition_subalgoE0EiNS0_10empty_typeEbEEZZNS1_14partition_implILS5_0ELb0ES3_jN6thrust23THRUST_200600_302600_NS6detail15normal_iteratorINSA_10device_ptrIiEEEEPS6_SG_NS0_5tupleIJSF_SF_EEENSH_IJSG_SG_EEES6_PlJ7is_evenIiEEEE10hipError_tPvRmT3_T4_T5_T6_T7_T9_mT8_P12ihipStream_tbDpT10_ENKUlT_T0_E_clISt17integral_constantIbLb0EES15_IbLb1EEEEDaS11_S12_EUlS11_E_NS1_11comp_targetILNS1_3genE3ELNS1_11target_archE908ELNS1_3gpuE7ELNS1_3repE0EEENS1_30default_config_static_selectorELNS0_4arch9wavefront6targetE1EEEvT1_
    .private_segment_fixed_size: 0
    .sgpr_count:     4
    .sgpr_spill_count: 0
    .symbol:         _ZN7rocprim17ROCPRIM_400000_NS6detail17trampoline_kernelINS0_14default_configENS1_25partition_config_selectorILNS1_17partition_subalgoE0EiNS0_10empty_typeEbEEZZNS1_14partition_implILS5_0ELb0ES3_jN6thrust23THRUST_200600_302600_NS6detail15normal_iteratorINSA_10device_ptrIiEEEEPS6_SG_NS0_5tupleIJSF_SF_EEENSH_IJSG_SG_EEES6_PlJ7is_evenIiEEEE10hipError_tPvRmT3_T4_T5_T6_T7_T9_mT8_P12ihipStream_tbDpT10_ENKUlT_T0_E_clISt17integral_constantIbLb0EES15_IbLb1EEEEDaS11_S12_EUlS11_E_NS1_11comp_targetILNS1_3genE3ELNS1_11target_archE908ELNS1_3gpuE7ELNS1_3repE0EEENS1_30default_config_static_selectorELNS0_4arch9wavefront6targetE1EEEvT1_.kd
    .uniform_work_group_size: 1
    .uses_dynamic_stack: false
    .vgpr_count:     0
    .vgpr_spill_count: 0
    .wavefront_size: 64
  - .agpr_count:     0
    .args:
      - .offset:         0
        .size:           136
        .value_kind:     by_value
    .group_segment_fixed_size: 0
    .kernarg_segment_align: 8
    .kernarg_segment_size: 136
    .language:       OpenCL C
    .language_version:
      - 2
      - 0
    .max_flat_workgroup_size: 192
    .name:           _ZN7rocprim17ROCPRIM_400000_NS6detail17trampoline_kernelINS0_14default_configENS1_25partition_config_selectorILNS1_17partition_subalgoE0EiNS0_10empty_typeEbEEZZNS1_14partition_implILS5_0ELb0ES3_jN6thrust23THRUST_200600_302600_NS6detail15normal_iteratorINSA_10device_ptrIiEEEEPS6_SG_NS0_5tupleIJSF_SF_EEENSH_IJSG_SG_EEES6_PlJ7is_evenIiEEEE10hipError_tPvRmT3_T4_T5_T6_T7_T9_mT8_P12ihipStream_tbDpT10_ENKUlT_T0_E_clISt17integral_constantIbLb0EES15_IbLb1EEEEDaS11_S12_EUlS11_E_NS1_11comp_targetILNS1_3genE2ELNS1_11target_archE906ELNS1_3gpuE6ELNS1_3repE0EEENS1_30default_config_static_selectorELNS0_4arch9wavefront6targetE1EEEvT1_
    .private_segment_fixed_size: 0
    .sgpr_count:     4
    .sgpr_spill_count: 0
    .symbol:         _ZN7rocprim17ROCPRIM_400000_NS6detail17trampoline_kernelINS0_14default_configENS1_25partition_config_selectorILNS1_17partition_subalgoE0EiNS0_10empty_typeEbEEZZNS1_14partition_implILS5_0ELb0ES3_jN6thrust23THRUST_200600_302600_NS6detail15normal_iteratorINSA_10device_ptrIiEEEEPS6_SG_NS0_5tupleIJSF_SF_EEENSH_IJSG_SG_EEES6_PlJ7is_evenIiEEEE10hipError_tPvRmT3_T4_T5_T6_T7_T9_mT8_P12ihipStream_tbDpT10_ENKUlT_T0_E_clISt17integral_constantIbLb0EES15_IbLb1EEEEDaS11_S12_EUlS11_E_NS1_11comp_targetILNS1_3genE2ELNS1_11target_archE906ELNS1_3gpuE6ELNS1_3repE0EEENS1_30default_config_static_selectorELNS0_4arch9wavefront6targetE1EEEvT1_.kd
    .uniform_work_group_size: 1
    .uses_dynamic_stack: false
    .vgpr_count:     0
    .vgpr_spill_count: 0
    .wavefront_size: 64
  - .agpr_count:     0
    .args:
      - .offset:         0
        .size:           136
        .value_kind:     by_value
    .group_segment_fixed_size: 0
    .kernarg_segment_align: 8
    .kernarg_segment_size: 136
    .language:       OpenCL C
    .language_version:
      - 2
      - 0
    .max_flat_workgroup_size: 512
    .name:           _ZN7rocprim17ROCPRIM_400000_NS6detail17trampoline_kernelINS0_14default_configENS1_25partition_config_selectorILNS1_17partition_subalgoE0EiNS0_10empty_typeEbEEZZNS1_14partition_implILS5_0ELb0ES3_jN6thrust23THRUST_200600_302600_NS6detail15normal_iteratorINSA_10device_ptrIiEEEEPS6_SG_NS0_5tupleIJSF_SF_EEENSH_IJSG_SG_EEES6_PlJ7is_evenIiEEEE10hipError_tPvRmT3_T4_T5_T6_T7_T9_mT8_P12ihipStream_tbDpT10_ENKUlT_T0_E_clISt17integral_constantIbLb0EES15_IbLb1EEEEDaS11_S12_EUlS11_E_NS1_11comp_targetILNS1_3genE10ELNS1_11target_archE1200ELNS1_3gpuE4ELNS1_3repE0EEENS1_30default_config_static_selectorELNS0_4arch9wavefront6targetE1EEEvT1_
    .private_segment_fixed_size: 0
    .sgpr_count:     4
    .sgpr_spill_count: 0
    .symbol:         _ZN7rocprim17ROCPRIM_400000_NS6detail17trampoline_kernelINS0_14default_configENS1_25partition_config_selectorILNS1_17partition_subalgoE0EiNS0_10empty_typeEbEEZZNS1_14partition_implILS5_0ELb0ES3_jN6thrust23THRUST_200600_302600_NS6detail15normal_iteratorINSA_10device_ptrIiEEEEPS6_SG_NS0_5tupleIJSF_SF_EEENSH_IJSG_SG_EEES6_PlJ7is_evenIiEEEE10hipError_tPvRmT3_T4_T5_T6_T7_T9_mT8_P12ihipStream_tbDpT10_ENKUlT_T0_E_clISt17integral_constantIbLb0EES15_IbLb1EEEEDaS11_S12_EUlS11_E_NS1_11comp_targetILNS1_3genE10ELNS1_11target_archE1200ELNS1_3gpuE4ELNS1_3repE0EEENS1_30default_config_static_selectorELNS0_4arch9wavefront6targetE1EEEvT1_.kd
    .uniform_work_group_size: 1
    .uses_dynamic_stack: false
    .vgpr_count:     0
    .vgpr_spill_count: 0
    .wavefront_size: 64
  - .agpr_count:     0
    .args:
      - .offset:         0
        .size:           136
        .value_kind:     by_value
    .group_segment_fixed_size: 0
    .kernarg_segment_align: 8
    .kernarg_segment_size: 136
    .language:       OpenCL C
    .language_version:
      - 2
      - 0
    .max_flat_workgroup_size: 128
    .name:           _ZN7rocprim17ROCPRIM_400000_NS6detail17trampoline_kernelINS0_14default_configENS1_25partition_config_selectorILNS1_17partition_subalgoE0EiNS0_10empty_typeEbEEZZNS1_14partition_implILS5_0ELb0ES3_jN6thrust23THRUST_200600_302600_NS6detail15normal_iteratorINSA_10device_ptrIiEEEEPS6_SG_NS0_5tupleIJSF_SF_EEENSH_IJSG_SG_EEES6_PlJ7is_evenIiEEEE10hipError_tPvRmT3_T4_T5_T6_T7_T9_mT8_P12ihipStream_tbDpT10_ENKUlT_T0_E_clISt17integral_constantIbLb0EES15_IbLb1EEEEDaS11_S12_EUlS11_E_NS1_11comp_targetILNS1_3genE9ELNS1_11target_archE1100ELNS1_3gpuE3ELNS1_3repE0EEENS1_30default_config_static_selectorELNS0_4arch9wavefront6targetE1EEEvT1_
    .private_segment_fixed_size: 0
    .sgpr_count:     4
    .sgpr_spill_count: 0
    .symbol:         _ZN7rocprim17ROCPRIM_400000_NS6detail17trampoline_kernelINS0_14default_configENS1_25partition_config_selectorILNS1_17partition_subalgoE0EiNS0_10empty_typeEbEEZZNS1_14partition_implILS5_0ELb0ES3_jN6thrust23THRUST_200600_302600_NS6detail15normal_iteratorINSA_10device_ptrIiEEEEPS6_SG_NS0_5tupleIJSF_SF_EEENSH_IJSG_SG_EEES6_PlJ7is_evenIiEEEE10hipError_tPvRmT3_T4_T5_T6_T7_T9_mT8_P12ihipStream_tbDpT10_ENKUlT_T0_E_clISt17integral_constantIbLb0EES15_IbLb1EEEEDaS11_S12_EUlS11_E_NS1_11comp_targetILNS1_3genE9ELNS1_11target_archE1100ELNS1_3gpuE3ELNS1_3repE0EEENS1_30default_config_static_selectorELNS0_4arch9wavefront6targetE1EEEvT1_.kd
    .uniform_work_group_size: 1
    .uses_dynamic_stack: false
    .vgpr_count:     0
    .vgpr_spill_count: 0
    .wavefront_size: 64
  - .agpr_count:     0
    .args:
      - .offset:         0
        .size:           136
        .value_kind:     by_value
    .group_segment_fixed_size: 0
    .kernarg_segment_align: 8
    .kernarg_segment_size: 136
    .language:       OpenCL C
    .language_version:
      - 2
      - 0
    .max_flat_workgroup_size: 512
    .name:           _ZN7rocprim17ROCPRIM_400000_NS6detail17trampoline_kernelINS0_14default_configENS1_25partition_config_selectorILNS1_17partition_subalgoE0EiNS0_10empty_typeEbEEZZNS1_14partition_implILS5_0ELb0ES3_jN6thrust23THRUST_200600_302600_NS6detail15normal_iteratorINSA_10device_ptrIiEEEEPS6_SG_NS0_5tupleIJSF_SF_EEENSH_IJSG_SG_EEES6_PlJ7is_evenIiEEEE10hipError_tPvRmT3_T4_T5_T6_T7_T9_mT8_P12ihipStream_tbDpT10_ENKUlT_T0_E_clISt17integral_constantIbLb0EES15_IbLb1EEEEDaS11_S12_EUlS11_E_NS1_11comp_targetILNS1_3genE8ELNS1_11target_archE1030ELNS1_3gpuE2ELNS1_3repE0EEENS1_30default_config_static_selectorELNS0_4arch9wavefront6targetE1EEEvT1_
    .private_segment_fixed_size: 0
    .sgpr_count:     4
    .sgpr_spill_count: 0
    .symbol:         _ZN7rocprim17ROCPRIM_400000_NS6detail17trampoline_kernelINS0_14default_configENS1_25partition_config_selectorILNS1_17partition_subalgoE0EiNS0_10empty_typeEbEEZZNS1_14partition_implILS5_0ELb0ES3_jN6thrust23THRUST_200600_302600_NS6detail15normal_iteratorINSA_10device_ptrIiEEEEPS6_SG_NS0_5tupleIJSF_SF_EEENSH_IJSG_SG_EEES6_PlJ7is_evenIiEEEE10hipError_tPvRmT3_T4_T5_T6_T7_T9_mT8_P12ihipStream_tbDpT10_ENKUlT_T0_E_clISt17integral_constantIbLb0EES15_IbLb1EEEEDaS11_S12_EUlS11_E_NS1_11comp_targetILNS1_3genE8ELNS1_11target_archE1030ELNS1_3gpuE2ELNS1_3repE0EEENS1_30default_config_static_selectorELNS0_4arch9wavefront6targetE1EEEvT1_.kd
    .uniform_work_group_size: 1
    .uses_dynamic_stack: false
    .vgpr_count:     0
    .vgpr_spill_count: 0
    .wavefront_size: 64
  - .agpr_count:     0
    .args:
      - .offset:         0
        .size:           120
        .value_kind:     by_value
    .group_segment_fixed_size: 0
    .kernarg_segment_align: 8
    .kernarg_segment_size: 120
    .language:       OpenCL C
    .language_version:
      - 2
      - 0
    .max_flat_workgroup_size: 256
    .name:           _ZN7rocprim17ROCPRIM_400000_NS6detail17trampoline_kernelINS0_14default_configENS1_25partition_config_selectorILNS1_17partition_subalgoE0EsNS0_10empty_typeEbEEZZNS1_14partition_implILS5_0ELb0ES3_jN6thrust23THRUST_200600_302600_NS6detail15normal_iteratorINSA_10device_ptrIsEEEEPS6_SG_NS0_5tupleIJSF_SF_EEENSH_IJSG_SG_EEES6_PlJ7is_evenIsEEEE10hipError_tPvRmT3_T4_T5_T6_T7_T9_mT8_P12ihipStream_tbDpT10_ENKUlT_T0_E_clISt17integral_constantIbLb0EES16_EEDaS11_S12_EUlS11_E_NS1_11comp_targetILNS1_3genE0ELNS1_11target_archE4294967295ELNS1_3gpuE0ELNS1_3repE0EEENS1_30default_config_static_selectorELNS0_4arch9wavefront6targetE1EEEvT1_
    .private_segment_fixed_size: 0
    .sgpr_count:     4
    .sgpr_spill_count: 0
    .symbol:         _ZN7rocprim17ROCPRIM_400000_NS6detail17trampoline_kernelINS0_14default_configENS1_25partition_config_selectorILNS1_17partition_subalgoE0EsNS0_10empty_typeEbEEZZNS1_14partition_implILS5_0ELb0ES3_jN6thrust23THRUST_200600_302600_NS6detail15normal_iteratorINSA_10device_ptrIsEEEEPS6_SG_NS0_5tupleIJSF_SF_EEENSH_IJSG_SG_EEES6_PlJ7is_evenIsEEEE10hipError_tPvRmT3_T4_T5_T6_T7_T9_mT8_P12ihipStream_tbDpT10_ENKUlT_T0_E_clISt17integral_constantIbLb0EES16_EEDaS11_S12_EUlS11_E_NS1_11comp_targetILNS1_3genE0ELNS1_11target_archE4294967295ELNS1_3gpuE0ELNS1_3repE0EEENS1_30default_config_static_selectorELNS0_4arch9wavefront6targetE1EEEvT1_.kd
    .uniform_work_group_size: 1
    .uses_dynamic_stack: false
    .vgpr_count:     0
    .vgpr_spill_count: 0
    .wavefront_size: 64
  - .agpr_count:     0
    .args:
      - .offset:         0
        .size:           120
        .value_kind:     by_value
    .group_segment_fixed_size: 0
    .kernarg_segment_align: 8
    .kernarg_segment_size: 120
    .language:       OpenCL C
    .language_version:
      - 2
      - 0
    .max_flat_workgroup_size: 512
    .name:           _ZN7rocprim17ROCPRIM_400000_NS6detail17trampoline_kernelINS0_14default_configENS1_25partition_config_selectorILNS1_17partition_subalgoE0EsNS0_10empty_typeEbEEZZNS1_14partition_implILS5_0ELb0ES3_jN6thrust23THRUST_200600_302600_NS6detail15normal_iteratorINSA_10device_ptrIsEEEEPS6_SG_NS0_5tupleIJSF_SF_EEENSH_IJSG_SG_EEES6_PlJ7is_evenIsEEEE10hipError_tPvRmT3_T4_T5_T6_T7_T9_mT8_P12ihipStream_tbDpT10_ENKUlT_T0_E_clISt17integral_constantIbLb0EES16_EEDaS11_S12_EUlS11_E_NS1_11comp_targetILNS1_3genE5ELNS1_11target_archE942ELNS1_3gpuE9ELNS1_3repE0EEENS1_30default_config_static_selectorELNS0_4arch9wavefront6targetE1EEEvT1_
    .private_segment_fixed_size: 0
    .sgpr_count:     4
    .sgpr_spill_count: 0
    .symbol:         _ZN7rocprim17ROCPRIM_400000_NS6detail17trampoline_kernelINS0_14default_configENS1_25partition_config_selectorILNS1_17partition_subalgoE0EsNS0_10empty_typeEbEEZZNS1_14partition_implILS5_0ELb0ES3_jN6thrust23THRUST_200600_302600_NS6detail15normal_iteratorINSA_10device_ptrIsEEEEPS6_SG_NS0_5tupleIJSF_SF_EEENSH_IJSG_SG_EEES6_PlJ7is_evenIsEEEE10hipError_tPvRmT3_T4_T5_T6_T7_T9_mT8_P12ihipStream_tbDpT10_ENKUlT_T0_E_clISt17integral_constantIbLb0EES16_EEDaS11_S12_EUlS11_E_NS1_11comp_targetILNS1_3genE5ELNS1_11target_archE942ELNS1_3gpuE9ELNS1_3repE0EEENS1_30default_config_static_selectorELNS0_4arch9wavefront6targetE1EEEvT1_.kd
    .uniform_work_group_size: 1
    .uses_dynamic_stack: false
    .vgpr_count:     0
    .vgpr_spill_count: 0
    .wavefront_size: 64
  - .agpr_count:     0
    .args:
      - .offset:         0
        .size:           120
        .value_kind:     by_value
    .group_segment_fixed_size: 14344
    .kernarg_segment_align: 8
    .kernarg_segment_size: 120
    .language:       OpenCL C
    .language_version:
      - 2
      - 0
    .max_flat_workgroup_size: 256
    .name:           _ZN7rocprim17ROCPRIM_400000_NS6detail17trampoline_kernelINS0_14default_configENS1_25partition_config_selectorILNS1_17partition_subalgoE0EsNS0_10empty_typeEbEEZZNS1_14partition_implILS5_0ELb0ES3_jN6thrust23THRUST_200600_302600_NS6detail15normal_iteratorINSA_10device_ptrIsEEEEPS6_SG_NS0_5tupleIJSF_SF_EEENSH_IJSG_SG_EEES6_PlJ7is_evenIsEEEE10hipError_tPvRmT3_T4_T5_T6_T7_T9_mT8_P12ihipStream_tbDpT10_ENKUlT_T0_E_clISt17integral_constantIbLb0EES16_EEDaS11_S12_EUlS11_E_NS1_11comp_targetILNS1_3genE4ELNS1_11target_archE910ELNS1_3gpuE8ELNS1_3repE0EEENS1_30default_config_static_selectorELNS0_4arch9wavefront6targetE1EEEvT1_
    .private_segment_fixed_size: 0
    .sgpr_count:     48
    .sgpr_spill_count: 0
    .symbol:         _ZN7rocprim17ROCPRIM_400000_NS6detail17trampoline_kernelINS0_14default_configENS1_25partition_config_selectorILNS1_17partition_subalgoE0EsNS0_10empty_typeEbEEZZNS1_14partition_implILS5_0ELb0ES3_jN6thrust23THRUST_200600_302600_NS6detail15normal_iteratorINSA_10device_ptrIsEEEEPS6_SG_NS0_5tupleIJSF_SF_EEENSH_IJSG_SG_EEES6_PlJ7is_evenIsEEEE10hipError_tPvRmT3_T4_T5_T6_T7_T9_mT8_P12ihipStream_tbDpT10_ENKUlT_T0_E_clISt17integral_constantIbLb0EES16_EEDaS11_S12_EUlS11_E_NS1_11comp_targetILNS1_3genE4ELNS1_11target_archE910ELNS1_3gpuE8ELNS1_3repE0EEENS1_30default_config_static_selectorELNS0_4arch9wavefront6targetE1EEEvT1_.kd
    .uniform_work_group_size: 1
    .uses_dynamic_stack: false
    .vgpr_count:     114
    .vgpr_spill_count: 0
    .wavefront_size: 64
  - .agpr_count:     0
    .args:
      - .offset:         0
        .size:           120
        .value_kind:     by_value
    .group_segment_fixed_size: 0
    .kernarg_segment_align: 8
    .kernarg_segment_size: 120
    .language:       OpenCL C
    .language_version:
      - 2
      - 0
    .max_flat_workgroup_size: 256
    .name:           _ZN7rocprim17ROCPRIM_400000_NS6detail17trampoline_kernelINS0_14default_configENS1_25partition_config_selectorILNS1_17partition_subalgoE0EsNS0_10empty_typeEbEEZZNS1_14partition_implILS5_0ELb0ES3_jN6thrust23THRUST_200600_302600_NS6detail15normal_iteratorINSA_10device_ptrIsEEEEPS6_SG_NS0_5tupleIJSF_SF_EEENSH_IJSG_SG_EEES6_PlJ7is_evenIsEEEE10hipError_tPvRmT3_T4_T5_T6_T7_T9_mT8_P12ihipStream_tbDpT10_ENKUlT_T0_E_clISt17integral_constantIbLb0EES16_EEDaS11_S12_EUlS11_E_NS1_11comp_targetILNS1_3genE3ELNS1_11target_archE908ELNS1_3gpuE7ELNS1_3repE0EEENS1_30default_config_static_selectorELNS0_4arch9wavefront6targetE1EEEvT1_
    .private_segment_fixed_size: 0
    .sgpr_count:     4
    .sgpr_spill_count: 0
    .symbol:         _ZN7rocprim17ROCPRIM_400000_NS6detail17trampoline_kernelINS0_14default_configENS1_25partition_config_selectorILNS1_17partition_subalgoE0EsNS0_10empty_typeEbEEZZNS1_14partition_implILS5_0ELb0ES3_jN6thrust23THRUST_200600_302600_NS6detail15normal_iteratorINSA_10device_ptrIsEEEEPS6_SG_NS0_5tupleIJSF_SF_EEENSH_IJSG_SG_EEES6_PlJ7is_evenIsEEEE10hipError_tPvRmT3_T4_T5_T6_T7_T9_mT8_P12ihipStream_tbDpT10_ENKUlT_T0_E_clISt17integral_constantIbLb0EES16_EEDaS11_S12_EUlS11_E_NS1_11comp_targetILNS1_3genE3ELNS1_11target_archE908ELNS1_3gpuE7ELNS1_3repE0EEENS1_30default_config_static_selectorELNS0_4arch9wavefront6targetE1EEEvT1_.kd
    .uniform_work_group_size: 1
    .uses_dynamic_stack: false
    .vgpr_count:     0
    .vgpr_spill_count: 0
    .wavefront_size: 64
  - .agpr_count:     0
    .args:
      - .offset:         0
        .size:           120
        .value_kind:     by_value
    .group_segment_fixed_size: 0
    .kernarg_segment_align: 8
    .kernarg_segment_size: 120
    .language:       OpenCL C
    .language_version:
      - 2
      - 0
    .max_flat_workgroup_size: 256
    .name:           _ZN7rocprim17ROCPRIM_400000_NS6detail17trampoline_kernelINS0_14default_configENS1_25partition_config_selectorILNS1_17partition_subalgoE0EsNS0_10empty_typeEbEEZZNS1_14partition_implILS5_0ELb0ES3_jN6thrust23THRUST_200600_302600_NS6detail15normal_iteratorINSA_10device_ptrIsEEEEPS6_SG_NS0_5tupleIJSF_SF_EEENSH_IJSG_SG_EEES6_PlJ7is_evenIsEEEE10hipError_tPvRmT3_T4_T5_T6_T7_T9_mT8_P12ihipStream_tbDpT10_ENKUlT_T0_E_clISt17integral_constantIbLb0EES16_EEDaS11_S12_EUlS11_E_NS1_11comp_targetILNS1_3genE2ELNS1_11target_archE906ELNS1_3gpuE6ELNS1_3repE0EEENS1_30default_config_static_selectorELNS0_4arch9wavefront6targetE1EEEvT1_
    .private_segment_fixed_size: 0
    .sgpr_count:     4
    .sgpr_spill_count: 0
    .symbol:         _ZN7rocprim17ROCPRIM_400000_NS6detail17trampoline_kernelINS0_14default_configENS1_25partition_config_selectorILNS1_17partition_subalgoE0EsNS0_10empty_typeEbEEZZNS1_14partition_implILS5_0ELb0ES3_jN6thrust23THRUST_200600_302600_NS6detail15normal_iteratorINSA_10device_ptrIsEEEEPS6_SG_NS0_5tupleIJSF_SF_EEENSH_IJSG_SG_EEES6_PlJ7is_evenIsEEEE10hipError_tPvRmT3_T4_T5_T6_T7_T9_mT8_P12ihipStream_tbDpT10_ENKUlT_T0_E_clISt17integral_constantIbLb0EES16_EEDaS11_S12_EUlS11_E_NS1_11comp_targetILNS1_3genE2ELNS1_11target_archE906ELNS1_3gpuE6ELNS1_3repE0EEENS1_30default_config_static_selectorELNS0_4arch9wavefront6targetE1EEEvT1_.kd
    .uniform_work_group_size: 1
    .uses_dynamic_stack: false
    .vgpr_count:     0
    .vgpr_spill_count: 0
    .wavefront_size: 64
  - .agpr_count:     0
    .args:
      - .offset:         0
        .size:           120
        .value_kind:     by_value
    .group_segment_fixed_size: 0
    .kernarg_segment_align: 8
    .kernarg_segment_size: 120
    .language:       OpenCL C
    .language_version:
      - 2
      - 0
    .max_flat_workgroup_size: 384
    .name:           _ZN7rocprim17ROCPRIM_400000_NS6detail17trampoline_kernelINS0_14default_configENS1_25partition_config_selectorILNS1_17partition_subalgoE0EsNS0_10empty_typeEbEEZZNS1_14partition_implILS5_0ELb0ES3_jN6thrust23THRUST_200600_302600_NS6detail15normal_iteratorINSA_10device_ptrIsEEEEPS6_SG_NS0_5tupleIJSF_SF_EEENSH_IJSG_SG_EEES6_PlJ7is_evenIsEEEE10hipError_tPvRmT3_T4_T5_T6_T7_T9_mT8_P12ihipStream_tbDpT10_ENKUlT_T0_E_clISt17integral_constantIbLb0EES16_EEDaS11_S12_EUlS11_E_NS1_11comp_targetILNS1_3genE10ELNS1_11target_archE1200ELNS1_3gpuE4ELNS1_3repE0EEENS1_30default_config_static_selectorELNS0_4arch9wavefront6targetE1EEEvT1_
    .private_segment_fixed_size: 0
    .sgpr_count:     4
    .sgpr_spill_count: 0
    .symbol:         _ZN7rocprim17ROCPRIM_400000_NS6detail17trampoline_kernelINS0_14default_configENS1_25partition_config_selectorILNS1_17partition_subalgoE0EsNS0_10empty_typeEbEEZZNS1_14partition_implILS5_0ELb0ES3_jN6thrust23THRUST_200600_302600_NS6detail15normal_iteratorINSA_10device_ptrIsEEEEPS6_SG_NS0_5tupleIJSF_SF_EEENSH_IJSG_SG_EEES6_PlJ7is_evenIsEEEE10hipError_tPvRmT3_T4_T5_T6_T7_T9_mT8_P12ihipStream_tbDpT10_ENKUlT_T0_E_clISt17integral_constantIbLb0EES16_EEDaS11_S12_EUlS11_E_NS1_11comp_targetILNS1_3genE10ELNS1_11target_archE1200ELNS1_3gpuE4ELNS1_3repE0EEENS1_30default_config_static_selectorELNS0_4arch9wavefront6targetE1EEEvT1_.kd
    .uniform_work_group_size: 1
    .uses_dynamic_stack: false
    .vgpr_count:     0
    .vgpr_spill_count: 0
    .wavefront_size: 64
  - .agpr_count:     0
    .args:
      - .offset:         0
        .size:           120
        .value_kind:     by_value
    .group_segment_fixed_size: 0
    .kernarg_segment_align: 8
    .kernarg_segment_size: 120
    .language:       OpenCL C
    .language_version:
      - 2
      - 0
    .max_flat_workgroup_size: 128
    .name:           _ZN7rocprim17ROCPRIM_400000_NS6detail17trampoline_kernelINS0_14default_configENS1_25partition_config_selectorILNS1_17partition_subalgoE0EsNS0_10empty_typeEbEEZZNS1_14partition_implILS5_0ELb0ES3_jN6thrust23THRUST_200600_302600_NS6detail15normal_iteratorINSA_10device_ptrIsEEEEPS6_SG_NS0_5tupleIJSF_SF_EEENSH_IJSG_SG_EEES6_PlJ7is_evenIsEEEE10hipError_tPvRmT3_T4_T5_T6_T7_T9_mT8_P12ihipStream_tbDpT10_ENKUlT_T0_E_clISt17integral_constantIbLb0EES16_EEDaS11_S12_EUlS11_E_NS1_11comp_targetILNS1_3genE9ELNS1_11target_archE1100ELNS1_3gpuE3ELNS1_3repE0EEENS1_30default_config_static_selectorELNS0_4arch9wavefront6targetE1EEEvT1_
    .private_segment_fixed_size: 0
    .sgpr_count:     4
    .sgpr_spill_count: 0
    .symbol:         _ZN7rocprim17ROCPRIM_400000_NS6detail17trampoline_kernelINS0_14default_configENS1_25partition_config_selectorILNS1_17partition_subalgoE0EsNS0_10empty_typeEbEEZZNS1_14partition_implILS5_0ELb0ES3_jN6thrust23THRUST_200600_302600_NS6detail15normal_iteratorINSA_10device_ptrIsEEEEPS6_SG_NS0_5tupleIJSF_SF_EEENSH_IJSG_SG_EEES6_PlJ7is_evenIsEEEE10hipError_tPvRmT3_T4_T5_T6_T7_T9_mT8_P12ihipStream_tbDpT10_ENKUlT_T0_E_clISt17integral_constantIbLb0EES16_EEDaS11_S12_EUlS11_E_NS1_11comp_targetILNS1_3genE9ELNS1_11target_archE1100ELNS1_3gpuE3ELNS1_3repE0EEENS1_30default_config_static_selectorELNS0_4arch9wavefront6targetE1EEEvT1_.kd
    .uniform_work_group_size: 1
    .uses_dynamic_stack: false
    .vgpr_count:     0
    .vgpr_spill_count: 0
    .wavefront_size: 64
  - .agpr_count:     0
    .args:
      - .offset:         0
        .size:           120
        .value_kind:     by_value
    .group_segment_fixed_size: 0
    .kernarg_segment_align: 8
    .kernarg_segment_size: 120
    .language:       OpenCL C
    .language_version:
      - 2
      - 0
    .max_flat_workgroup_size: 128
    .name:           _ZN7rocprim17ROCPRIM_400000_NS6detail17trampoline_kernelINS0_14default_configENS1_25partition_config_selectorILNS1_17partition_subalgoE0EsNS0_10empty_typeEbEEZZNS1_14partition_implILS5_0ELb0ES3_jN6thrust23THRUST_200600_302600_NS6detail15normal_iteratorINSA_10device_ptrIsEEEEPS6_SG_NS0_5tupleIJSF_SF_EEENSH_IJSG_SG_EEES6_PlJ7is_evenIsEEEE10hipError_tPvRmT3_T4_T5_T6_T7_T9_mT8_P12ihipStream_tbDpT10_ENKUlT_T0_E_clISt17integral_constantIbLb0EES16_EEDaS11_S12_EUlS11_E_NS1_11comp_targetILNS1_3genE8ELNS1_11target_archE1030ELNS1_3gpuE2ELNS1_3repE0EEENS1_30default_config_static_selectorELNS0_4arch9wavefront6targetE1EEEvT1_
    .private_segment_fixed_size: 0
    .sgpr_count:     4
    .sgpr_spill_count: 0
    .symbol:         _ZN7rocprim17ROCPRIM_400000_NS6detail17trampoline_kernelINS0_14default_configENS1_25partition_config_selectorILNS1_17partition_subalgoE0EsNS0_10empty_typeEbEEZZNS1_14partition_implILS5_0ELb0ES3_jN6thrust23THRUST_200600_302600_NS6detail15normal_iteratorINSA_10device_ptrIsEEEEPS6_SG_NS0_5tupleIJSF_SF_EEENSH_IJSG_SG_EEES6_PlJ7is_evenIsEEEE10hipError_tPvRmT3_T4_T5_T6_T7_T9_mT8_P12ihipStream_tbDpT10_ENKUlT_T0_E_clISt17integral_constantIbLb0EES16_EEDaS11_S12_EUlS11_E_NS1_11comp_targetILNS1_3genE8ELNS1_11target_archE1030ELNS1_3gpuE2ELNS1_3repE0EEENS1_30default_config_static_selectorELNS0_4arch9wavefront6targetE1EEEvT1_.kd
    .uniform_work_group_size: 1
    .uses_dynamic_stack: false
    .vgpr_count:     0
    .vgpr_spill_count: 0
    .wavefront_size: 64
  - .agpr_count:     0
    .args:
      - .offset:         0
        .size:           136
        .value_kind:     by_value
    .group_segment_fixed_size: 0
    .kernarg_segment_align: 8
    .kernarg_segment_size: 136
    .language:       OpenCL C
    .language_version:
      - 2
      - 0
    .max_flat_workgroup_size: 256
    .name:           _ZN7rocprim17ROCPRIM_400000_NS6detail17trampoline_kernelINS0_14default_configENS1_25partition_config_selectorILNS1_17partition_subalgoE0EsNS0_10empty_typeEbEEZZNS1_14partition_implILS5_0ELb0ES3_jN6thrust23THRUST_200600_302600_NS6detail15normal_iteratorINSA_10device_ptrIsEEEEPS6_SG_NS0_5tupleIJSF_SF_EEENSH_IJSG_SG_EEES6_PlJ7is_evenIsEEEE10hipError_tPvRmT3_T4_T5_T6_T7_T9_mT8_P12ihipStream_tbDpT10_ENKUlT_T0_E_clISt17integral_constantIbLb1EES16_EEDaS11_S12_EUlS11_E_NS1_11comp_targetILNS1_3genE0ELNS1_11target_archE4294967295ELNS1_3gpuE0ELNS1_3repE0EEENS1_30default_config_static_selectorELNS0_4arch9wavefront6targetE1EEEvT1_
    .private_segment_fixed_size: 0
    .sgpr_count:     4
    .sgpr_spill_count: 0
    .symbol:         _ZN7rocprim17ROCPRIM_400000_NS6detail17trampoline_kernelINS0_14default_configENS1_25partition_config_selectorILNS1_17partition_subalgoE0EsNS0_10empty_typeEbEEZZNS1_14partition_implILS5_0ELb0ES3_jN6thrust23THRUST_200600_302600_NS6detail15normal_iteratorINSA_10device_ptrIsEEEEPS6_SG_NS0_5tupleIJSF_SF_EEENSH_IJSG_SG_EEES6_PlJ7is_evenIsEEEE10hipError_tPvRmT3_T4_T5_T6_T7_T9_mT8_P12ihipStream_tbDpT10_ENKUlT_T0_E_clISt17integral_constantIbLb1EES16_EEDaS11_S12_EUlS11_E_NS1_11comp_targetILNS1_3genE0ELNS1_11target_archE4294967295ELNS1_3gpuE0ELNS1_3repE0EEENS1_30default_config_static_selectorELNS0_4arch9wavefront6targetE1EEEvT1_.kd
    .uniform_work_group_size: 1
    .uses_dynamic_stack: false
    .vgpr_count:     0
    .vgpr_spill_count: 0
    .wavefront_size: 64
  - .agpr_count:     0
    .args:
      - .offset:         0
        .size:           136
        .value_kind:     by_value
    .group_segment_fixed_size: 0
    .kernarg_segment_align: 8
    .kernarg_segment_size: 136
    .language:       OpenCL C
    .language_version:
      - 2
      - 0
    .max_flat_workgroup_size: 512
    .name:           _ZN7rocprim17ROCPRIM_400000_NS6detail17trampoline_kernelINS0_14default_configENS1_25partition_config_selectorILNS1_17partition_subalgoE0EsNS0_10empty_typeEbEEZZNS1_14partition_implILS5_0ELb0ES3_jN6thrust23THRUST_200600_302600_NS6detail15normal_iteratorINSA_10device_ptrIsEEEEPS6_SG_NS0_5tupleIJSF_SF_EEENSH_IJSG_SG_EEES6_PlJ7is_evenIsEEEE10hipError_tPvRmT3_T4_T5_T6_T7_T9_mT8_P12ihipStream_tbDpT10_ENKUlT_T0_E_clISt17integral_constantIbLb1EES16_EEDaS11_S12_EUlS11_E_NS1_11comp_targetILNS1_3genE5ELNS1_11target_archE942ELNS1_3gpuE9ELNS1_3repE0EEENS1_30default_config_static_selectorELNS0_4arch9wavefront6targetE1EEEvT1_
    .private_segment_fixed_size: 0
    .sgpr_count:     4
    .sgpr_spill_count: 0
    .symbol:         _ZN7rocprim17ROCPRIM_400000_NS6detail17trampoline_kernelINS0_14default_configENS1_25partition_config_selectorILNS1_17partition_subalgoE0EsNS0_10empty_typeEbEEZZNS1_14partition_implILS5_0ELb0ES3_jN6thrust23THRUST_200600_302600_NS6detail15normal_iteratorINSA_10device_ptrIsEEEEPS6_SG_NS0_5tupleIJSF_SF_EEENSH_IJSG_SG_EEES6_PlJ7is_evenIsEEEE10hipError_tPvRmT3_T4_T5_T6_T7_T9_mT8_P12ihipStream_tbDpT10_ENKUlT_T0_E_clISt17integral_constantIbLb1EES16_EEDaS11_S12_EUlS11_E_NS1_11comp_targetILNS1_3genE5ELNS1_11target_archE942ELNS1_3gpuE9ELNS1_3repE0EEENS1_30default_config_static_selectorELNS0_4arch9wavefront6targetE1EEEvT1_.kd
    .uniform_work_group_size: 1
    .uses_dynamic_stack: false
    .vgpr_count:     0
    .vgpr_spill_count: 0
    .wavefront_size: 64
  - .agpr_count:     0
    .args:
      - .offset:         0
        .size:           136
        .value_kind:     by_value
    .group_segment_fixed_size: 14344
    .kernarg_segment_align: 8
    .kernarg_segment_size: 136
    .language:       OpenCL C
    .language_version:
      - 2
      - 0
    .max_flat_workgroup_size: 256
    .name:           _ZN7rocprim17ROCPRIM_400000_NS6detail17trampoline_kernelINS0_14default_configENS1_25partition_config_selectorILNS1_17partition_subalgoE0EsNS0_10empty_typeEbEEZZNS1_14partition_implILS5_0ELb0ES3_jN6thrust23THRUST_200600_302600_NS6detail15normal_iteratorINSA_10device_ptrIsEEEEPS6_SG_NS0_5tupleIJSF_SF_EEENSH_IJSG_SG_EEES6_PlJ7is_evenIsEEEE10hipError_tPvRmT3_T4_T5_T6_T7_T9_mT8_P12ihipStream_tbDpT10_ENKUlT_T0_E_clISt17integral_constantIbLb1EES16_EEDaS11_S12_EUlS11_E_NS1_11comp_targetILNS1_3genE4ELNS1_11target_archE910ELNS1_3gpuE8ELNS1_3repE0EEENS1_30default_config_static_selectorELNS0_4arch9wavefront6targetE1EEEvT1_
    .private_segment_fixed_size: 0
    .sgpr_count:     48
    .sgpr_spill_count: 0
    .symbol:         _ZN7rocprim17ROCPRIM_400000_NS6detail17trampoline_kernelINS0_14default_configENS1_25partition_config_selectorILNS1_17partition_subalgoE0EsNS0_10empty_typeEbEEZZNS1_14partition_implILS5_0ELb0ES3_jN6thrust23THRUST_200600_302600_NS6detail15normal_iteratorINSA_10device_ptrIsEEEEPS6_SG_NS0_5tupleIJSF_SF_EEENSH_IJSG_SG_EEES6_PlJ7is_evenIsEEEE10hipError_tPvRmT3_T4_T5_T6_T7_T9_mT8_P12ihipStream_tbDpT10_ENKUlT_T0_E_clISt17integral_constantIbLb1EES16_EEDaS11_S12_EUlS11_E_NS1_11comp_targetILNS1_3genE4ELNS1_11target_archE910ELNS1_3gpuE8ELNS1_3repE0EEENS1_30default_config_static_selectorELNS0_4arch9wavefront6targetE1EEEvT1_.kd
    .uniform_work_group_size: 1
    .uses_dynamic_stack: false
    .vgpr_count:     118
    .vgpr_spill_count: 0
    .wavefront_size: 64
  - .agpr_count:     0
    .args:
      - .offset:         0
        .size:           136
        .value_kind:     by_value
    .group_segment_fixed_size: 0
    .kernarg_segment_align: 8
    .kernarg_segment_size: 136
    .language:       OpenCL C
    .language_version:
      - 2
      - 0
    .max_flat_workgroup_size: 256
    .name:           _ZN7rocprim17ROCPRIM_400000_NS6detail17trampoline_kernelINS0_14default_configENS1_25partition_config_selectorILNS1_17partition_subalgoE0EsNS0_10empty_typeEbEEZZNS1_14partition_implILS5_0ELb0ES3_jN6thrust23THRUST_200600_302600_NS6detail15normal_iteratorINSA_10device_ptrIsEEEEPS6_SG_NS0_5tupleIJSF_SF_EEENSH_IJSG_SG_EEES6_PlJ7is_evenIsEEEE10hipError_tPvRmT3_T4_T5_T6_T7_T9_mT8_P12ihipStream_tbDpT10_ENKUlT_T0_E_clISt17integral_constantIbLb1EES16_EEDaS11_S12_EUlS11_E_NS1_11comp_targetILNS1_3genE3ELNS1_11target_archE908ELNS1_3gpuE7ELNS1_3repE0EEENS1_30default_config_static_selectorELNS0_4arch9wavefront6targetE1EEEvT1_
    .private_segment_fixed_size: 0
    .sgpr_count:     4
    .sgpr_spill_count: 0
    .symbol:         _ZN7rocprim17ROCPRIM_400000_NS6detail17trampoline_kernelINS0_14default_configENS1_25partition_config_selectorILNS1_17partition_subalgoE0EsNS0_10empty_typeEbEEZZNS1_14partition_implILS5_0ELb0ES3_jN6thrust23THRUST_200600_302600_NS6detail15normal_iteratorINSA_10device_ptrIsEEEEPS6_SG_NS0_5tupleIJSF_SF_EEENSH_IJSG_SG_EEES6_PlJ7is_evenIsEEEE10hipError_tPvRmT3_T4_T5_T6_T7_T9_mT8_P12ihipStream_tbDpT10_ENKUlT_T0_E_clISt17integral_constantIbLb1EES16_EEDaS11_S12_EUlS11_E_NS1_11comp_targetILNS1_3genE3ELNS1_11target_archE908ELNS1_3gpuE7ELNS1_3repE0EEENS1_30default_config_static_selectorELNS0_4arch9wavefront6targetE1EEEvT1_.kd
    .uniform_work_group_size: 1
    .uses_dynamic_stack: false
    .vgpr_count:     0
    .vgpr_spill_count: 0
    .wavefront_size: 64
  - .agpr_count:     0
    .args:
      - .offset:         0
        .size:           136
        .value_kind:     by_value
    .group_segment_fixed_size: 0
    .kernarg_segment_align: 8
    .kernarg_segment_size: 136
    .language:       OpenCL C
    .language_version:
      - 2
      - 0
    .max_flat_workgroup_size: 256
    .name:           _ZN7rocprim17ROCPRIM_400000_NS6detail17trampoline_kernelINS0_14default_configENS1_25partition_config_selectorILNS1_17partition_subalgoE0EsNS0_10empty_typeEbEEZZNS1_14partition_implILS5_0ELb0ES3_jN6thrust23THRUST_200600_302600_NS6detail15normal_iteratorINSA_10device_ptrIsEEEEPS6_SG_NS0_5tupleIJSF_SF_EEENSH_IJSG_SG_EEES6_PlJ7is_evenIsEEEE10hipError_tPvRmT3_T4_T5_T6_T7_T9_mT8_P12ihipStream_tbDpT10_ENKUlT_T0_E_clISt17integral_constantIbLb1EES16_EEDaS11_S12_EUlS11_E_NS1_11comp_targetILNS1_3genE2ELNS1_11target_archE906ELNS1_3gpuE6ELNS1_3repE0EEENS1_30default_config_static_selectorELNS0_4arch9wavefront6targetE1EEEvT1_
    .private_segment_fixed_size: 0
    .sgpr_count:     4
    .sgpr_spill_count: 0
    .symbol:         _ZN7rocprim17ROCPRIM_400000_NS6detail17trampoline_kernelINS0_14default_configENS1_25partition_config_selectorILNS1_17partition_subalgoE0EsNS0_10empty_typeEbEEZZNS1_14partition_implILS5_0ELb0ES3_jN6thrust23THRUST_200600_302600_NS6detail15normal_iteratorINSA_10device_ptrIsEEEEPS6_SG_NS0_5tupleIJSF_SF_EEENSH_IJSG_SG_EEES6_PlJ7is_evenIsEEEE10hipError_tPvRmT3_T4_T5_T6_T7_T9_mT8_P12ihipStream_tbDpT10_ENKUlT_T0_E_clISt17integral_constantIbLb1EES16_EEDaS11_S12_EUlS11_E_NS1_11comp_targetILNS1_3genE2ELNS1_11target_archE906ELNS1_3gpuE6ELNS1_3repE0EEENS1_30default_config_static_selectorELNS0_4arch9wavefront6targetE1EEEvT1_.kd
    .uniform_work_group_size: 1
    .uses_dynamic_stack: false
    .vgpr_count:     0
    .vgpr_spill_count: 0
    .wavefront_size: 64
  - .agpr_count:     0
    .args:
      - .offset:         0
        .size:           136
        .value_kind:     by_value
    .group_segment_fixed_size: 0
    .kernarg_segment_align: 8
    .kernarg_segment_size: 136
    .language:       OpenCL C
    .language_version:
      - 2
      - 0
    .max_flat_workgroup_size: 384
    .name:           _ZN7rocprim17ROCPRIM_400000_NS6detail17trampoline_kernelINS0_14default_configENS1_25partition_config_selectorILNS1_17partition_subalgoE0EsNS0_10empty_typeEbEEZZNS1_14partition_implILS5_0ELb0ES3_jN6thrust23THRUST_200600_302600_NS6detail15normal_iteratorINSA_10device_ptrIsEEEEPS6_SG_NS0_5tupleIJSF_SF_EEENSH_IJSG_SG_EEES6_PlJ7is_evenIsEEEE10hipError_tPvRmT3_T4_T5_T6_T7_T9_mT8_P12ihipStream_tbDpT10_ENKUlT_T0_E_clISt17integral_constantIbLb1EES16_EEDaS11_S12_EUlS11_E_NS1_11comp_targetILNS1_3genE10ELNS1_11target_archE1200ELNS1_3gpuE4ELNS1_3repE0EEENS1_30default_config_static_selectorELNS0_4arch9wavefront6targetE1EEEvT1_
    .private_segment_fixed_size: 0
    .sgpr_count:     4
    .sgpr_spill_count: 0
    .symbol:         _ZN7rocprim17ROCPRIM_400000_NS6detail17trampoline_kernelINS0_14default_configENS1_25partition_config_selectorILNS1_17partition_subalgoE0EsNS0_10empty_typeEbEEZZNS1_14partition_implILS5_0ELb0ES3_jN6thrust23THRUST_200600_302600_NS6detail15normal_iteratorINSA_10device_ptrIsEEEEPS6_SG_NS0_5tupleIJSF_SF_EEENSH_IJSG_SG_EEES6_PlJ7is_evenIsEEEE10hipError_tPvRmT3_T4_T5_T6_T7_T9_mT8_P12ihipStream_tbDpT10_ENKUlT_T0_E_clISt17integral_constantIbLb1EES16_EEDaS11_S12_EUlS11_E_NS1_11comp_targetILNS1_3genE10ELNS1_11target_archE1200ELNS1_3gpuE4ELNS1_3repE0EEENS1_30default_config_static_selectorELNS0_4arch9wavefront6targetE1EEEvT1_.kd
    .uniform_work_group_size: 1
    .uses_dynamic_stack: false
    .vgpr_count:     0
    .vgpr_spill_count: 0
    .wavefront_size: 64
  - .agpr_count:     0
    .args:
      - .offset:         0
        .size:           136
        .value_kind:     by_value
    .group_segment_fixed_size: 0
    .kernarg_segment_align: 8
    .kernarg_segment_size: 136
    .language:       OpenCL C
    .language_version:
      - 2
      - 0
    .max_flat_workgroup_size: 128
    .name:           _ZN7rocprim17ROCPRIM_400000_NS6detail17trampoline_kernelINS0_14default_configENS1_25partition_config_selectorILNS1_17partition_subalgoE0EsNS0_10empty_typeEbEEZZNS1_14partition_implILS5_0ELb0ES3_jN6thrust23THRUST_200600_302600_NS6detail15normal_iteratorINSA_10device_ptrIsEEEEPS6_SG_NS0_5tupleIJSF_SF_EEENSH_IJSG_SG_EEES6_PlJ7is_evenIsEEEE10hipError_tPvRmT3_T4_T5_T6_T7_T9_mT8_P12ihipStream_tbDpT10_ENKUlT_T0_E_clISt17integral_constantIbLb1EES16_EEDaS11_S12_EUlS11_E_NS1_11comp_targetILNS1_3genE9ELNS1_11target_archE1100ELNS1_3gpuE3ELNS1_3repE0EEENS1_30default_config_static_selectorELNS0_4arch9wavefront6targetE1EEEvT1_
    .private_segment_fixed_size: 0
    .sgpr_count:     4
    .sgpr_spill_count: 0
    .symbol:         _ZN7rocprim17ROCPRIM_400000_NS6detail17trampoline_kernelINS0_14default_configENS1_25partition_config_selectorILNS1_17partition_subalgoE0EsNS0_10empty_typeEbEEZZNS1_14partition_implILS5_0ELb0ES3_jN6thrust23THRUST_200600_302600_NS6detail15normal_iteratorINSA_10device_ptrIsEEEEPS6_SG_NS0_5tupleIJSF_SF_EEENSH_IJSG_SG_EEES6_PlJ7is_evenIsEEEE10hipError_tPvRmT3_T4_T5_T6_T7_T9_mT8_P12ihipStream_tbDpT10_ENKUlT_T0_E_clISt17integral_constantIbLb1EES16_EEDaS11_S12_EUlS11_E_NS1_11comp_targetILNS1_3genE9ELNS1_11target_archE1100ELNS1_3gpuE3ELNS1_3repE0EEENS1_30default_config_static_selectorELNS0_4arch9wavefront6targetE1EEEvT1_.kd
    .uniform_work_group_size: 1
    .uses_dynamic_stack: false
    .vgpr_count:     0
    .vgpr_spill_count: 0
    .wavefront_size: 64
  - .agpr_count:     0
    .args:
      - .offset:         0
        .size:           136
        .value_kind:     by_value
    .group_segment_fixed_size: 0
    .kernarg_segment_align: 8
    .kernarg_segment_size: 136
    .language:       OpenCL C
    .language_version:
      - 2
      - 0
    .max_flat_workgroup_size: 128
    .name:           _ZN7rocprim17ROCPRIM_400000_NS6detail17trampoline_kernelINS0_14default_configENS1_25partition_config_selectorILNS1_17partition_subalgoE0EsNS0_10empty_typeEbEEZZNS1_14partition_implILS5_0ELb0ES3_jN6thrust23THRUST_200600_302600_NS6detail15normal_iteratorINSA_10device_ptrIsEEEEPS6_SG_NS0_5tupleIJSF_SF_EEENSH_IJSG_SG_EEES6_PlJ7is_evenIsEEEE10hipError_tPvRmT3_T4_T5_T6_T7_T9_mT8_P12ihipStream_tbDpT10_ENKUlT_T0_E_clISt17integral_constantIbLb1EES16_EEDaS11_S12_EUlS11_E_NS1_11comp_targetILNS1_3genE8ELNS1_11target_archE1030ELNS1_3gpuE2ELNS1_3repE0EEENS1_30default_config_static_selectorELNS0_4arch9wavefront6targetE1EEEvT1_
    .private_segment_fixed_size: 0
    .sgpr_count:     4
    .sgpr_spill_count: 0
    .symbol:         _ZN7rocprim17ROCPRIM_400000_NS6detail17trampoline_kernelINS0_14default_configENS1_25partition_config_selectorILNS1_17partition_subalgoE0EsNS0_10empty_typeEbEEZZNS1_14partition_implILS5_0ELb0ES3_jN6thrust23THRUST_200600_302600_NS6detail15normal_iteratorINSA_10device_ptrIsEEEEPS6_SG_NS0_5tupleIJSF_SF_EEENSH_IJSG_SG_EEES6_PlJ7is_evenIsEEEE10hipError_tPvRmT3_T4_T5_T6_T7_T9_mT8_P12ihipStream_tbDpT10_ENKUlT_T0_E_clISt17integral_constantIbLb1EES16_EEDaS11_S12_EUlS11_E_NS1_11comp_targetILNS1_3genE8ELNS1_11target_archE1030ELNS1_3gpuE2ELNS1_3repE0EEENS1_30default_config_static_selectorELNS0_4arch9wavefront6targetE1EEEvT1_.kd
    .uniform_work_group_size: 1
    .uses_dynamic_stack: false
    .vgpr_count:     0
    .vgpr_spill_count: 0
    .wavefront_size: 64
  - .agpr_count:     0
    .args:
      - .offset:         0
        .size:           120
        .value_kind:     by_value
    .group_segment_fixed_size: 0
    .kernarg_segment_align: 8
    .kernarg_segment_size: 120
    .language:       OpenCL C
    .language_version:
      - 2
      - 0
    .max_flat_workgroup_size: 256
    .name:           _ZN7rocprim17ROCPRIM_400000_NS6detail17trampoline_kernelINS0_14default_configENS1_25partition_config_selectorILNS1_17partition_subalgoE0EsNS0_10empty_typeEbEEZZNS1_14partition_implILS5_0ELb0ES3_jN6thrust23THRUST_200600_302600_NS6detail15normal_iteratorINSA_10device_ptrIsEEEEPS6_SG_NS0_5tupleIJSF_SF_EEENSH_IJSG_SG_EEES6_PlJ7is_evenIsEEEE10hipError_tPvRmT3_T4_T5_T6_T7_T9_mT8_P12ihipStream_tbDpT10_ENKUlT_T0_E_clISt17integral_constantIbLb1EES15_IbLb0EEEEDaS11_S12_EUlS11_E_NS1_11comp_targetILNS1_3genE0ELNS1_11target_archE4294967295ELNS1_3gpuE0ELNS1_3repE0EEENS1_30default_config_static_selectorELNS0_4arch9wavefront6targetE1EEEvT1_
    .private_segment_fixed_size: 0
    .sgpr_count:     4
    .sgpr_spill_count: 0
    .symbol:         _ZN7rocprim17ROCPRIM_400000_NS6detail17trampoline_kernelINS0_14default_configENS1_25partition_config_selectorILNS1_17partition_subalgoE0EsNS0_10empty_typeEbEEZZNS1_14partition_implILS5_0ELb0ES3_jN6thrust23THRUST_200600_302600_NS6detail15normal_iteratorINSA_10device_ptrIsEEEEPS6_SG_NS0_5tupleIJSF_SF_EEENSH_IJSG_SG_EEES6_PlJ7is_evenIsEEEE10hipError_tPvRmT3_T4_T5_T6_T7_T9_mT8_P12ihipStream_tbDpT10_ENKUlT_T0_E_clISt17integral_constantIbLb1EES15_IbLb0EEEEDaS11_S12_EUlS11_E_NS1_11comp_targetILNS1_3genE0ELNS1_11target_archE4294967295ELNS1_3gpuE0ELNS1_3repE0EEENS1_30default_config_static_selectorELNS0_4arch9wavefront6targetE1EEEvT1_.kd
    .uniform_work_group_size: 1
    .uses_dynamic_stack: false
    .vgpr_count:     0
    .vgpr_spill_count: 0
    .wavefront_size: 64
  - .agpr_count:     0
    .args:
      - .offset:         0
        .size:           120
        .value_kind:     by_value
    .group_segment_fixed_size: 0
    .kernarg_segment_align: 8
    .kernarg_segment_size: 120
    .language:       OpenCL C
    .language_version:
      - 2
      - 0
    .max_flat_workgroup_size: 512
    .name:           _ZN7rocprim17ROCPRIM_400000_NS6detail17trampoline_kernelINS0_14default_configENS1_25partition_config_selectorILNS1_17partition_subalgoE0EsNS0_10empty_typeEbEEZZNS1_14partition_implILS5_0ELb0ES3_jN6thrust23THRUST_200600_302600_NS6detail15normal_iteratorINSA_10device_ptrIsEEEEPS6_SG_NS0_5tupleIJSF_SF_EEENSH_IJSG_SG_EEES6_PlJ7is_evenIsEEEE10hipError_tPvRmT3_T4_T5_T6_T7_T9_mT8_P12ihipStream_tbDpT10_ENKUlT_T0_E_clISt17integral_constantIbLb1EES15_IbLb0EEEEDaS11_S12_EUlS11_E_NS1_11comp_targetILNS1_3genE5ELNS1_11target_archE942ELNS1_3gpuE9ELNS1_3repE0EEENS1_30default_config_static_selectorELNS0_4arch9wavefront6targetE1EEEvT1_
    .private_segment_fixed_size: 0
    .sgpr_count:     4
    .sgpr_spill_count: 0
    .symbol:         _ZN7rocprim17ROCPRIM_400000_NS6detail17trampoline_kernelINS0_14default_configENS1_25partition_config_selectorILNS1_17partition_subalgoE0EsNS0_10empty_typeEbEEZZNS1_14partition_implILS5_0ELb0ES3_jN6thrust23THRUST_200600_302600_NS6detail15normal_iteratorINSA_10device_ptrIsEEEEPS6_SG_NS0_5tupleIJSF_SF_EEENSH_IJSG_SG_EEES6_PlJ7is_evenIsEEEE10hipError_tPvRmT3_T4_T5_T6_T7_T9_mT8_P12ihipStream_tbDpT10_ENKUlT_T0_E_clISt17integral_constantIbLb1EES15_IbLb0EEEEDaS11_S12_EUlS11_E_NS1_11comp_targetILNS1_3genE5ELNS1_11target_archE942ELNS1_3gpuE9ELNS1_3repE0EEENS1_30default_config_static_selectorELNS0_4arch9wavefront6targetE1EEEvT1_.kd
    .uniform_work_group_size: 1
    .uses_dynamic_stack: false
    .vgpr_count:     0
    .vgpr_spill_count: 0
    .wavefront_size: 64
  - .agpr_count:     0
    .args:
      - .offset:         0
        .size:           120
        .value_kind:     by_value
    .group_segment_fixed_size: 14344
    .kernarg_segment_align: 8
    .kernarg_segment_size: 120
    .language:       OpenCL C
    .language_version:
      - 2
      - 0
    .max_flat_workgroup_size: 256
    .name:           _ZN7rocprim17ROCPRIM_400000_NS6detail17trampoline_kernelINS0_14default_configENS1_25partition_config_selectorILNS1_17partition_subalgoE0EsNS0_10empty_typeEbEEZZNS1_14partition_implILS5_0ELb0ES3_jN6thrust23THRUST_200600_302600_NS6detail15normal_iteratorINSA_10device_ptrIsEEEEPS6_SG_NS0_5tupleIJSF_SF_EEENSH_IJSG_SG_EEES6_PlJ7is_evenIsEEEE10hipError_tPvRmT3_T4_T5_T6_T7_T9_mT8_P12ihipStream_tbDpT10_ENKUlT_T0_E_clISt17integral_constantIbLb1EES15_IbLb0EEEEDaS11_S12_EUlS11_E_NS1_11comp_targetILNS1_3genE4ELNS1_11target_archE910ELNS1_3gpuE8ELNS1_3repE0EEENS1_30default_config_static_selectorELNS0_4arch9wavefront6targetE1EEEvT1_
    .private_segment_fixed_size: 0
    .sgpr_count:     48
    .sgpr_spill_count: 0
    .symbol:         _ZN7rocprim17ROCPRIM_400000_NS6detail17trampoline_kernelINS0_14default_configENS1_25partition_config_selectorILNS1_17partition_subalgoE0EsNS0_10empty_typeEbEEZZNS1_14partition_implILS5_0ELb0ES3_jN6thrust23THRUST_200600_302600_NS6detail15normal_iteratorINSA_10device_ptrIsEEEEPS6_SG_NS0_5tupleIJSF_SF_EEENSH_IJSG_SG_EEES6_PlJ7is_evenIsEEEE10hipError_tPvRmT3_T4_T5_T6_T7_T9_mT8_P12ihipStream_tbDpT10_ENKUlT_T0_E_clISt17integral_constantIbLb1EES15_IbLb0EEEEDaS11_S12_EUlS11_E_NS1_11comp_targetILNS1_3genE4ELNS1_11target_archE910ELNS1_3gpuE8ELNS1_3repE0EEENS1_30default_config_static_selectorELNS0_4arch9wavefront6targetE1EEEvT1_.kd
    .uniform_work_group_size: 1
    .uses_dynamic_stack: false
    .vgpr_count:     114
    .vgpr_spill_count: 0
    .wavefront_size: 64
  - .agpr_count:     0
    .args:
      - .offset:         0
        .size:           120
        .value_kind:     by_value
    .group_segment_fixed_size: 0
    .kernarg_segment_align: 8
    .kernarg_segment_size: 120
    .language:       OpenCL C
    .language_version:
      - 2
      - 0
    .max_flat_workgroup_size: 256
    .name:           _ZN7rocprim17ROCPRIM_400000_NS6detail17trampoline_kernelINS0_14default_configENS1_25partition_config_selectorILNS1_17partition_subalgoE0EsNS0_10empty_typeEbEEZZNS1_14partition_implILS5_0ELb0ES3_jN6thrust23THRUST_200600_302600_NS6detail15normal_iteratorINSA_10device_ptrIsEEEEPS6_SG_NS0_5tupleIJSF_SF_EEENSH_IJSG_SG_EEES6_PlJ7is_evenIsEEEE10hipError_tPvRmT3_T4_T5_T6_T7_T9_mT8_P12ihipStream_tbDpT10_ENKUlT_T0_E_clISt17integral_constantIbLb1EES15_IbLb0EEEEDaS11_S12_EUlS11_E_NS1_11comp_targetILNS1_3genE3ELNS1_11target_archE908ELNS1_3gpuE7ELNS1_3repE0EEENS1_30default_config_static_selectorELNS0_4arch9wavefront6targetE1EEEvT1_
    .private_segment_fixed_size: 0
    .sgpr_count:     4
    .sgpr_spill_count: 0
    .symbol:         _ZN7rocprim17ROCPRIM_400000_NS6detail17trampoline_kernelINS0_14default_configENS1_25partition_config_selectorILNS1_17partition_subalgoE0EsNS0_10empty_typeEbEEZZNS1_14partition_implILS5_0ELb0ES3_jN6thrust23THRUST_200600_302600_NS6detail15normal_iteratorINSA_10device_ptrIsEEEEPS6_SG_NS0_5tupleIJSF_SF_EEENSH_IJSG_SG_EEES6_PlJ7is_evenIsEEEE10hipError_tPvRmT3_T4_T5_T6_T7_T9_mT8_P12ihipStream_tbDpT10_ENKUlT_T0_E_clISt17integral_constantIbLb1EES15_IbLb0EEEEDaS11_S12_EUlS11_E_NS1_11comp_targetILNS1_3genE3ELNS1_11target_archE908ELNS1_3gpuE7ELNS1_3repE0EEENS1_30default_config_static_selectorELNS0_4arch9wavefront6targetE1EEEvT1_.kd
    .uniform_work_group_size: 1
    .uses_dynamic_stack: false
    .vgpr_count:     0
    .vgpr_spill_count: 0
    .wavefront_size: 64
  - .agpr_count:     0
    .args:
      - .offset:         0
        .size:           120
        .value_kind:     by_value
    .group_segment_fixed_size: 0
    .kernarg_segment_align: 8
    .kernarg_segment_size: 120
    .language:       OpenCL C
    .language_version:
      - 2
      - 0
    .max_flat_workgroup_size: 256
    .name:           _ZN7rocprim17ROCPRIM_400000_NS6detail17trampoline_kernelINS0_14default_configENS1_25partition_config_selectorILNS1_17partition_subalgoE0EsNS0_10empty_typeEbEEZZNS1_14partition_implILS5_0ELb0ES3_jN6thrust23THRUST_200600_302600_NS6detail15normal_iteratorINSA_10device_ptrIsEEEEPS6_SG_NS0_5tupleIJSF_SF_EEENSH_IJSG_SG_EEES6_PlJ7is_evenIsEEEE10hipError_tPvRmT3_T4_T5_T6_T7_T9_mT8_P12ihipStream_tbDpT10_ENKUlT_T0_E_clISt17integral_constantIbLb1EES15_IbLb0EEEEDaS11_S12_EUlS11_E_NS1_11comp_targetILNS1_3genE2ELNS1_11target_archE906ELNS1_3gpuE6ELNS1_3repE0EEENS1_30default_config_static_selectorELNS0_4arch9wavefront6targetE1EEEvT1_
    .private_segment_fixed_size: 0
    .sgpr_count:     4
    .sgpr_spill_count: 0
    .symbol:         _ZN7rocprim17ROCPRIM_400000_NS6detail17trampoline_kernelINS0_14default_configENS1_25partition_config_selectorILNS1_17partition_subalgoE0EsNS0_10empty_typeEbEEZZNS1_14partition_implILS5_0ELb0ES3_jN6thrust23THRUST_200600_302600_NS6detail15normal_iteratorINSA_10device_ptrIsEEEEPS6_SG_NS0_5tupleIJSF_SF_EEENSH_IJSG_SG_EEES6_PlJ7is_evenIsEEEE10hipError_tPvRmT3_T4_T5_T6_T7_T9_mT8_P12ihipStream_tbDpT10_ENKUlT_T0_E_clISt17integral_constantIbLb1EES15_IbLb0EEEEDaS11_S12_EUlS11_E_NS1_11comp_targetILNS1_3genE2ELNS1_11target_archE906ELNS1_3gpuE6ELNS1_3repE0EEENS1_30default_config_static_selectorELNS0_4arch9wavefront6targetE1EEEvT1_.kd
    .uniform_work_group_size: 1
    .uses_dynamic_stack: false
    .vgpr_count:     0
    .vgpr_spill_count: 0
    .wavefront_size: 64
  - .agpr_count:     0
    .args:
      - .offset:         0
        .size:           120
        .value_kind:     by_value
    .group_segment_fixed_size: 0
    .kernarg_segment_align: 8
    .kernarg_segment_size: 120
    .language:       OpenCL C
    .language_version:
      - 2
      - 0
    .max_flat_workgroup_size: 384
    .name:           _ZN7rocprim17ROCPRIM_400000_NS6detail17trampoline_kernelINS0_14default_configENS1_25partition_config_selectorILNS1_17partition_subalgoE0EsNS0_10empty_typeEbEEZZNS1_14partition_implILS5_0ELb0ES3_jN6thrust23THRUST_200600_302600_NS6detail15normal_iteratorINSA_10device_ptrIsEEEEPS6_SG_NS0_5tupleIJSF_SF_EEENSH_IJSG_SG_EEES6_PlJ7is_evenIsEEEE10hipError_tPvRmT3_T4_T5_T6_T7_T9_mT8_P12ihipStream_tbDpT10_ENKUlT_T0_E_clISt17integral_constantIbLb1EES15_IbLb0EEEEDaS11_S12_EUlS11_E_NS1_11comp_targetILNS1_3genE10ELNS1_11target_archE1200ELNS1_3gpuE4ELNS1_3repE0EEENS1_30default_config_static_selectorELNS0_4arch9wavefront6targetE1EEEvT1_
    .private_segment_fixed_size: 0
    .sgpr_count:     4
    .sgpr_spill_count: 0
    .symbol:         _ZN7rocprim17ROCPRIM_400000_NS6detail17trampoline_kernelINS0_14default_configENS1_25partition_config_selectorILNS1_17partition_subalgoE0EsNS0_10empty_typeEbEEZZNS1_14partition_implILS5_0ELb0ES3_jN6thrust23THRUST_200600_302600_NS6detail15normal_iteratorINSA_10device_ptrIsEEEEPS6_SG_NS0_5tupleIJSF_SF_EEENSH_IJSG_SG_EEES6_PlJ7is_evenIsEEEE10hipError_tPvRmT3_T4_T5_T6_T7_T9_mT8_P12ihipStream_tbDpT10_ENKUlT_T0_E_clISt17integral_constantIbLb1EES15_IbLb0EEEEDaS11_S12_EUlS11_E_NS1_11comp_targetILNS1_3genE10ELNS1_11target_archE1200ELNS1_3gpuE4ELNS1_3repE0EEENS1_30default_config_static_selectorELNS0_4arch9wavefront6targetE1EEEvT1_.kd
    .uniform_work_group_size: 1
    .uses_dynamic_stack: false
    .vgpr_count:     0
    .vgpr_spill_count: 0
    .wavefront_size: 64
  - .agpr_count:     0
    .args:
      - .offset:         0
        .size:           120
        .value_kind:     by_value
    .group_segment_fixed_size: 0
    .kernarg_segment_align: 8
    .kernarg_segment_size: 120
    .language:       OpenCL C
    .language_version:
      - 2
      - 0
    .max_flat_workgroup_size: 128
    .name:           _ZN7rocprim17ROCPRIM_400000_NS6detail17trampoline_kernelINS0_14default_configENS1_25partition_config_selectorILNS1_17partition_subalgoE0EsNS0_10empty_typeEbEEZZNS1_14partition_implILS5_0ELb0ES3_jN6thrust23THRUST_200600_302600_NS6detail15normal_iteratorINSA_10device_ptrIsEEEEPS6_SG_NS0_5tupleIJSF_SF_EEENSH_IJSG_SG_EEES6_PlJ7is_evenIsEEEE10hipError_tPvRmT3_T4_T5_T6_T7_T9_mT8_P12ihipStream_tbDpT10_ENKUlT_T0_E_clISt17integral_constantIbLb1EES15_IbLb0EEEEDaS11_S12_EUlS11_E_NS1_11comp_targetILNS1_3genE9ELNS1_11target_archE1100ELNS1_3gpuE3ELNS1_3repE0EEENS1_30default_config_static_selectorELNS0_4arch9wavefront6targetE1EEEvT1_
    .private_segment_fixed_size: 0
    .sgpr_count:     4
    .sgpr_spill_count: 0
    .symbol:         _ZN7rocprim17ROCPRIM_400000_NS6detail17trampoline_kernelINS0_14default_configENS1_25partition_config_selectorILNS1_17partition_subalgoE0EsNS0_10empty_typeEbEEZZNS1_14partition_implILS5_0ELb0ES3_jN6thrust23THRUST_200600_302600_NS6detail15normal_iteratorINSA_10device_ptrIsEEEEPS6_SG_NS0_5tupleIJSF_SF_EEENSH_IJSG_SG_EEES6_PlJ7is_evenIsEEEE10hipError_tPvRmT3_T4_T5_T6_T7_T9_mT8_P12ihipStream_tbDpT10_ENKUlT_T0_E_clISt17integral_constantIbLb1EES15_IbLb0EEEEDaS11_S12_EUlS11_E_NS1_11comp_targetILNS1_3genE9ELNS1_11target_archE1100ELNS1_3gpuE3ELNS1_3repE0EEENS1_30default_config_static_selectorELNS0_4arch9wavefront6targetE1EEEvT1_.kd
    .uniform_work_group_size: 1
    .uses_dynamic_stack: false
    .vgpr_count:     0
    .vgpr_spill_count: 0
    .wavefront_size: 64
  - .agpr_count:     0
    .args:
      - .offset:         0
        .size:           120
        .value_kind:     by_value
    .group_segment_fixed_size: 0
    .kernarg_segment_align: 8
    .kernarg_segment_size: 120
    .language:       OpenCL C
    .language_version:
      - 2
      - 0
    .max_flat_workgroup_size: 128
    .name:           _ZN7rocprim17ROCPRIM_400000_NS6detail17trampoline_kernelINS0_14default_configENS1_25partition_config_selectorILNS1_17partition_subalgoE0EsNS0_10empty_typeEbEEZZNS1_14partition_implILS5_0ELb0ES3_jN6thrust23THRUST_200600_302600_NS6detail15normal_iteratorINSA_10device_ptrIsEEEEPS6_SG_NS0_5tupleIJSF_SF_EEENSH_IJSG_SG_EEES6_PlJ7is_evenIsEEEE10hipError_tPvRmT3_T4_T5_T6_T7_T9_mT8_P12ihipStream_tbDpT10_ENKUlT_T0_E_clISt17integral_constantIbLb1EES15_IbLb0EEEEDaS11_S12_EUlS11_E_NS1_11comp_targetILNS1_3genE8ELNS1_11target_archE1030ELNS1_3gpuE2ELNS1_3repE0EEENS1_30default_config_static_selectorELNS0_4arch9wavefront6targetE1EEEvT1_
    .private_segment_fixed_size: 0
    .sgpr_count:     4
    .sgpr_spill_count: 0
    .symbol:         _ZN7rocprim17ROCPRIM_400000_NS6detail17trampoline_kernelINS0_14default_configENS1_25partition_config_selectorILNS1_17partition_subalgoE0EsNS0_10empty_typeEbEEZZNS1_14partition_implILS5_0ELb0ES3_jN6thrust23THRUST_200600_302600_NS6detail15normal_iteratorINSA_10device_ptrIsEEEEPS6_SG_NS0_5tupleIJSF_SF_EEENSH_IJSG_SG_EEES6_PlJ7is_evenIsEEEE10hipError_tPvRmT3_T4_T5_T6_T7_T9_mT8_P12ihipStream_tbDpT10_ENKUlT_T0_E_clISt17integral_constantIbLb1EES15_IbLb0EEEEDaS11_S12_EUlS11_E_NS1_11comp_targetILNS1_3genE8ELNS1_11target_archE1030ELNS1_3gpuE2ELNS1_3repE0EEENS1_30default_config_static_selectorELNS0_4arch9wavefront6targetE1EEEvT1_.kd
    .uniform_work_group_size: 1
    .uses_dynamic_stack: false
    .vgpr_count:     0
    .vgpr_spill_count: 0
    .wavefront_size: 64
  - .agpr_count:     0
    .args:
      - .offset:         0
        .size:           136
        .value_kind:     by_value
    .group_segment_fixed_size: 0
    .kernarg_segment_align: 8
    .kernarg_segment_size: 136
    .language:       OpenCL C
    .language_version:
      - 2
      - 0
    .max_flat_workgroup_size: 256
    .name:           _ZN7rocprim17ROCPRIM_400000_NS6detail17trampoline_kernelINS0_14default_configENS1_25partition_config_selectorILNS1_17partition_subalgoE0EsNS0_10empty_typeEbEEZZNS1_14partition_implILS5_0ELb0ES3_jN6thrust23THRUST_200600_302600_NS6detail15normal_iteratorINSA_10device_ptrIsEEEEPS6_SG_NS0_5tupleIJSF_SF_EEENSH_IJSG_SG_EEES6_PlJ7is_evenIsEEEE10hipError_tPvRmT3_T4_T5_T6_T7_T9_mT8_P12ihipStream_tbDpT10_ENKUlT_T0_E_clISt17integral_constantIbLb0EES15_IbLb1EEEEDaS11_S12_EUlS11_E_NS1_11comp_targetILNS1_3genE0ELNS1_11target_archE4294967295ELNS1_3gpuE0ELNS1_3repE0EEENS1_30default_config_static_selectorELNS0_4arch9wavefront6targetE1EEEvT1_
    .private_segment_fixed_size: 0
    .sgpr_count:     4
    .sgpr_spill_count: 0
    .symbol:         _ZN7rocprim17ROCPRIM_400000_NS6detail17trampoline_kernelINS0_14default_configENS1_25partition_config_selectorILNS1_17partition_subalgoE0EsNS0_10empty_typeEbEEZZNS1_14partition_implILS5_0ELb0ES3_jN6thrust23THRUST_200600_302600_NS6detail15normal_iteratorINSA_10device_ptrIsEEEEPS6_SG_NS0_5tupleIJSF_SF_EEENSH_IJSG_SG_EEES6_PlJ7is_evenIsEEEE10hipError_tPvRmT3_T4_T5_T6_T7_T9_mT8_P12ihipStream_tbDpT10_ENKUlT_T0_E_clISt17integral_constantIbLb0EES15_IbLb1EEEEDaS11_S12_EUlS11_E_NS1_11comp_targetILNS1_3genE0ELNS1_11target_archE4294967295ELNS1_3gpuE0ELNS1_3repE0EEENS1_30default_config_static_selectorELNS0_4arch9wavefront6targetE1EEEvT1_.kd
    .uniform_work_group_size: 1
    .uses_dynamic_stack: false
    .vgpr_count:     0
    .vgpr_spill_count: 0
    .wavefront_size: 64
  - .agpr_count:     0
    .args:
      - .offset:         0
        .size:           136
        .value_kind:     by_value
    .group_segment_fixed_size: 0
    .kernarg_segment_align: 8
    .kernarg_segment_size: 136
    .language:       OpenCL C
    .language_version:
      - 2
      - 0
    .max_flat_workgroup_size: 512
    .name:           _ZN7rocprim17ROCPRIM_400000_NS6detail17trampoline_kernelINS0_14default_configENS1_25partition_config_selectorILNS1_17partition_subalgoE0EsNS0_10empty_typeEbEEZZNS1_14partition_implILS5_0ELb0ES3_jN6thrust23THRUST_200600_302600_NS6detail15normal_iteratorINSA_10device_ptrIsEEEEPS6_SG_NS0_5tupleIJSF_SF_EEENSH_IJSG_SG_EEES6_PlJ7is_evenIsEEEE10hipError_tPvRmT3_T4_T5_T6_T7_T9_mT8_P12ihipStream_tbDpT10_ENKUlT_T0_E_clISt17integral_constantIbLb0EES15_IbLb1EEEEDaS11_S12_EUlS11_E_NS1_11comp_targetILNS1_3genE5ELNS1_11target_archE942ELNS1_3gpuE9ELNS1_3repE0EEENS1_30default_config_static_selectorELNS0_4arch9wavefront6targetE1EEEvT1_
    .private_segment_fixed_size: 0
    .sgpr_count:     4
    .sgpr_spill_count: 0
    .symbol:         _ZN7rocprim17ROCPRIM_400000_NS6detail17trampoline_kernelINS0_14default_configENS1_25partition_config_selectorILNS1_17partition_subalgoE0EsNS0_10empty_typeEbEEZZNS1_14partition_implILS5_0ELb0ES3_jN6thrust23THRUST_200600_302600_NS6detail15normal_iteratorINSA_10device_ptrIsEEEEPS6_SG_NS0_5tupleIJSF_SF_EEENSH_IJSG_SG_EEES6_PlJ7is_evenIsEEEE10hipError_tPvRmT3_T4_T5_T6_T7_T9_mT8_P12ihipStream_tbDpT10_ENKUlT_T0_E_clISt17integral_constantIbLb0EES15_IbLb1EEEEDaS11_S12_EUlS11_E_NS1_11comp_targetILNS1_3genE5ELNS1_11target_archE942ELNS1_3gpuE9ELNS1_3repE0EEENS1_30default_config_static_selectorELNS0_4arch9wavefront6targetE1EEEvT1_.kd
    .uniform_work_group_size: 1
    .uses_dynamic_stack: false
    .vgpr_count:     0
    .vgpr_spill_count: 0
    .wavefront_size: 64
  - .agpr_count:     0
    .args:
      - .offset:         0
        .size:           136
        .value_kind:     by_value
    .group_segment_fixed_size: 14344
    .kernarg_segment_align: 8
    .kernarg_segment_size: 136
    .language:       OpenCL C
    .language_version:
      - 2
      - 0
    .max_flat_workgroup_size: 256
    .name:           _ZN7rocprim17ROCPRIM_400000_NS6detail17trampoline_kernelINS0_14default_configENS1_25partition_config_selectorILNS1_17partition_subalgoE0EsNS0_10empty_typeEbEEZZNS1_14partition_implILS5_0ELb0ES3_jN6thrust23THRUST_200600_302600_NS6detail15normal_iteratorINSA_10device_ptrIsEEEEPS6_SG_NS0_5tupleIJSF_SF_EEENSH_IJSG_SG_EEES6_PlJ7is_evenIsEEEE10hipError_tPvRmT3_T4_T5_T6_T7_T9_mT8_P12ihipStream_tbDpT10_ENKUlT_T0_E_clISt17integral_constantIbLb0EES15_IbLb1EEEEDaS11_S12_EUlS11_E_NS1_11comp_targetILNS1_3genE4ELNS1_11target_archE910ELNS1_3gpuE8ELNS1_3repE0EEENS1_30default_config_static_selectorELNS0_4arch9wavefront6targetE1EEEvT1_
    .private_segment_fixed_size: 0
    .sgpr_count:     48
    .sgpr_spill_count: 0
    .symbol:         _ZN7rocprim17ROCPRIM_400000_NS6detail17trampoline_kernelINS0_14default_configENS1_25partition_config_selectorILNS1_17partition_subalgoE0EsNS0_10empty_typeEbEEZZNS1_14partition_implILS5_0ELb0ES3_jN6thrust23THRUST_200600_302600_NS6detail15normal_iteratorINSA_10device_ptrIsEEEEPS6_SG_NS0_5tupleIJSF_SF_EEENSH_IJSG_SG_EEES6_PlJ7is_evenIsEEEE10hipError_tPvRmT3_T4_T5_T6_T7_T9_mT8_P12ihipStream_tbDpT10_ENKUlT_T0_E_clISt17integral_constantIbLb0EES15_IbLb1EEEEDaS11_S12_EUlS11_E_NS1_11comp_targetILNS1_3genE4ELNS1_11target_archE910ELNS1_3gpuE8ELNS1_3repE0EEENS1_30default_config_static_selectorELNS0_4arch9wavefront6targetE1EEEvT1_.kd
    .uniform_work_group_size: 1
    .uses_dynamic_stack: false
    .vgpr_count:     118
    .vgpr_spill_count: 0
    .wavefront_size: 64
  - .agpr_count:     0
    .args:
      - .offset:         0
        .size:           136
        .value_kind:     by_value
    .group_segment_fixed_size: 0
    .kernarg_segment_align: 8
    .kernarg_segment_size: 136
    .language:       OpenCL C
    .language_version:
      - 2
      - 0
    .max_flat_workgroup_size: 256
    .name:           _ZN7rocprim17ROCPRIM_400000_NS6detail17trampoline_kernelINS0_14default_configENS1_25partition_config_selectorILNS1_17partition_subalgoE0EsNS0_10empty_typeEbEEZZNS1_14partition_implILS5_0ELb0ES3_jN6thrust23THRUST_200600_302600_NS6detail15normal_iteratorINSA_10device_ptrIsEEEEPS6_SG_NS0_5tupleIJSF_SF_EEENSH_IJSG_SG_EEES6_PlJ7is_evenIsEEEE10hipError_tPvRmT3_T4_T5_T6_T7_T9_mT8_P12ihipStream_tbDpT10_ENKUlT_T0_E_clISt17integral_constantIbLb0EES15_IbLb1EEEEDaS11_S12_EUlS11_E_NS1_11comp_targetILNS1_3genE3ELNS1_11target_archE908ELNS1_3gpuE7ELNS1_3repE0EEENS1_30default_config_static_selectorELNS0_4arch9wavefront6targetE1EEEvT1_
    .private_segment_fixed_size: 0
    .sgpr_count:     4
    .sgpr_spill_count: 0
    .symbol:         _ZN7rocprim17ROCPRIM_400000_NS6detail17trampoline_kernelINS0_14default_configENS1_25partition_config_selectorILNS1_17partition_subalgoE0EsNS0_10empty_typeEbEEZZNS1_14partition_implILS5_0ELb0ES3_jN6thrust23THRUST_200600_302600_NS6detail15normal_iteratorINSA_10device_ptrIsEEEEPS6_SG_NS0_5tupleIJSF_SF_EEENSH_IJSG_SG_EEES6_PlJ7is_evenIsEEEE10hipError_tPvRmT3_T4_T5_T6_T7_T9_mT8_P12ihipStream_tbDpT10_ENKUlT_T0_E_clISt17integral_constantIbLb0EES15_IbLb1EEEEDaS11_S12_EUlS11_E_NS1_11comp_targetILNS1_3genE3ELNS1_11target_archE908ELNS1_3gpuE7ELNS1_3repE0EEENS1_30default_config_static_selectorELNS0_4arch9wavefront6targetE1EEEvT1_.kd
    .uniform_work_group_size: 1
    .uses_dynamic_stack: false
    .vgpr_count:     0
    .vgpr_spill_count: 0
    .wavefront_size: 64
  - .agpr_count:     0
    .args:
      - .offset:         0
        .size:           136
        .value_kind:     by_value
    .group_segment_fixed_size: 0
    .kernarg_segment_align: 8
    .kernarg_segment_size: 136
    .language:       OpenCL C
    .language_version:
      - 2
      - 0
    .max_flat_workgroup_size: 256
    .name:           _ZN7rocprim17ROCPRIM_400000_NS6detail17trampoline_kernelINS0_14default_configENS1_25partition_config_selectorILNS1_17partition_subalgoE0EsNS0_10empty_typeEbEEZZNS1_14partition_implILS5_0ELb0ES3_jN6thrust23THRUST_200600_302600_NS6detail15normal_iteratorINSA_10device_ptrIsEEEEPS6_SG_NS0_5tupleIJSF_SF_EEENSH_IJSG_SG_EEES6_PlJ7is_evenIsEEEE10hipError_tPvRmT3_T4_T5_T6_T7_T9_mT8_P12ihipStream_tbDpT10_ENKUlT_T0_E_clISt17integral_constantIbLb0EES15_IbLb1EEEEDaS11_S12_EUlS11_E_NS1_11comp_targetILNS1_3genE2ELNS1_11target_archE906ELNS1_3gpuE6ELNS1_3repE0EEENS1_30default_config_static_selectorELNS0_4arch9wavefront6targetE1EEEvT1_
    .private_segment_fixed_size: 0
    .sgpr_count:     4
    .sgpr_spill_count: 0
    .symbol:         _ZN7rocprim17ROCPRIM_400000_NS6detail17trampoline_kernelINS0_14default_configENS1_25partition_config_selectorILNS1_17partition_subalgoE0EsNS0_10empty_typeEbEEZZNS1_14partition_implILS5_0ELb0ES3_jN6thrust23THRUST_200600_302600_NS6detail15normal_iteratorINSA_10device_ptrIsEEEEPS6_SG_NS0_5tupleIJSF_SF_EEENSH_IJSG_SG_EEES6_PlJ7is_evenIsEEEE10hipError_tPvRmT3_T4_T5_T6_T7_T9_mT8_P12ihipStream_tbDpT10_ENKUlT_T0_E_clISt17integral_constantIbLb0EES15_IbLb1EEEEDaS11_S12_EUlS11_E_NS1_11comp_targetILNS1_3genE2ELNS1_11target_archE906ELNS1_3gpuE6ELNS1_3repE0EEENS1_30default_config_static_selectorELNS0_4arch9wavefront6targetE1EEEvT1_.kd
    .uniform_work_group_size: 1
    .uses_dynamic_stack: false
    .vgpr_count:     0
    .vgpr_spill_count: 0
    .wavefront_size: 64
  - .agpr_count:     0
    .args:
      - .offset:         0
        .size:           136
        .value_kind:     by_value
    .group_segment_fixed_size: 0
    .kernarg_segment_align: 8
    .kernarg_segment_size: 136
    .language:       OpenCL C
    .language_version:
      - 2
      - 0
    .max_flat_workgroup_size: 384
    .name:           _ZN7rocprim17ROCPRIM_400000_NS6detail17trampoline_kernelINS0_14default_configENS1_25partition_config_selectorILNS1_17partition_subalgoE0EsNS0_10empty_typeEbEEZZNS1_14partition_implILS5_0ELb0ES3_jN6thrust23THRUST_200600_302600_NS6detail15normal_iteratorINSA_10device_ptrIsEEEEPS6_SG_NS0_5tupleIJSF_SF_EEENSH_IJSG_SG_EEES6_PlJ7is_evenIsEEEE10hipError_tPvRmT3_T4_T5_T6_T7_T9_mT8_P12ihipStream_tbDpT10_ENKUlT_T0_E_clISt17integral_constantIbLb0EES15_IbLb1EEEEDaS11_S12_EUlS11_E_NS1_11comp_targetILNS1_3genE10ELNS1_11target_archE1200ELNS1_3gpuE4ELNS1_3repE0EEENS1_30default_config_static_selectorELNS0_4arch9wavefront6targetE1EEEvT1_
    .private_segment_fixed_size: 0
    .sgpr_count:     4
    .sgpr_spill_count: 0
    .symbol:         _ZN7rocprim17ROCPRIM_400000_NS6detail17trampoline_kernelINS0_14default_configENS1_25partition_config_selectorILNS1_17partition_subalgoE0EsNS0_10empty_typeEbEEZZNS1_14partition_implILS5_0ELb0ES3_jN6thrust23THRUST_200600_302600_NS6detail15normal_iteratorINSA_10device_ptrIsEEEEPS6_SG_NS0_5tupleIJSF_SF_EEENSH_IJSG_SG_EEES6_PlJ7is_evenIsEEEE10hipError_tPvRmT3_T4_T5_T6_T7_T9_mT8_P12ihipStream_tbDpT10_ENKUlT_T0_E_clISt17integral_constantIbLb0EES15_IbLb1EEEEDaS11_S12_EUlS11_E_NS1_11comp_targetILNS1_3genE10ELNS1_11target_archE1200ELNS1_3gpuE4ELNS1_3repE0EEENS1_30default_config_static_selectorELNS0_4arch9wavefront6targetE1EEEvT1_.kd
    .uniform_work_group_size: 1
    .uses_dynamic_stack: false
    .vgpr_count:     0
    .vgpr_spill_count: 0
    .wavefront_size: 64
  - .agpr_count:     0
    .args:
      - .offset:         0
        .size:           136
        .value_kind:     by_value
    .group_segment_fixed_size: 0
    .kernarg_segment_align: 8
    .kernarg_segment_size: 136
    .language:       OpenCL C
    .language_version:
      - 2
      - 0
    .max_flat_workgroup_size: 128
    .name:           _ZN7rocprim17ROCPRIM_400000_NS6detail17trampoline_kernelINS0_14default_configENS1_25partition_config_selectorILNS1_17partition_subalgoE0EsNS0_10empty_typeEbEEZZNS1_14partition_implILS5_0ELb0ES3_jN6thrust23THRUST_200600_302600_NS6detail15normal_iteratorINSA_10device_ptrIsEEEEPS6_SG_NS0_5tupleIJSF_SF_EEENSH_IJSG_SG_EEES6_PlJ7is_evenIsEEEE10hipError_tPvRmT3_T4_T5_T6_T7_T9_mT8_P12ihipStream_tbDpT10_ENKUlT_T0_E_clISt17integral_constantIbLb0EES15_IbLb1EEEEDaS11_S12_EUlS11_E_NS1_11comp_targetILNS1_3genE9ELNS1_11target_archE1100ELNS1_3gpuE3ELNS1_3repE0EEENS1_30default_config_static_selectorELNS0_4arch9wavefront6targetE1EEEvT1_
    .private_segment_fixed_size: 0
    .sgpr_count:     4
    .sgpr_spill_count: 0
    .symbol:         _ZN7rocprim17ROCPRIM_400000_NS6detail17trampoline_kernelINS0_14default_configENS1_25partition_config_selectorILNS1_17partition_subalgoE0EsNS0_10empty_typeEbEEZZNS1_14partition_implILS5_0ELb0ES3_jN6thrust23THRUST_200600_302600_NS6detail15normal_iteratorINSA_10device_ptrIsEEEEPS6_SG_NS0_5tupleIJSF_SF_EEENSH_IJSG_SG_EEES6_PlJ7is_evenIsEEEE10hipError_tPvRmT3_T4_T5_T6_T7_T9_mT8_P12ihipStream_tbDpT10_ENKUlT_T0_E_clISt17integral_constantIbLb0EES15_IbLb1EEEEDaS11_S12_EUlS11_E_NS1_11comp_targetILNS1_3genE9ELNS1_11target_archE1100ELNS1_3gpuE3ELNS1_3repE0EEENS1_30default_config_static_selectorELNS0_4arch9wavefront6targetE1EEEvT1_.kd
    .uniform_work_group_size: 1
    .uses_dynamic_stack: false
    .vgpr_count:     0
    .vgpr_spill_count: 0
    .wavefront_size: 64
  - .agpr_count:     0
    .args:
      - .offset:         0
        .size:           136
        .value_kind:     by_value
    .group_segment_fixed_size: 0
    .kernarg_segment_align: 8
    .kernarg_segment_size: 136
    .language:       OpenCL C
    .language_version:
      - 2
      - 0
    .max_flat_workgroup_size: 128
    .name:           _ZN7rocprim17ROCPRIM_400000_NS6detail17trampoline_kernelINS0_14default_configENS1_25partition_config_selectorILNS1_17partition_subalgoE0EsNS0_10empty_typeEbEEZZNS1_14partition_implILS5_0ELb0ES3_jN6thrust23THRUST_200600_302600_NS6detail15normal_iteratorINSA_10device_ptrIsEEEEPS6_SG_NS0_5tupleIJSF_SF_EEENSH_IJSG_SG_EEES6_PlJ7is_evenIsEEEE10hipError_tPvRmT3_T4_T5_T6_T7_T9_mT8_P12ihipStream_tbDpT10_ENKUlT_T0_E_clISt17integral_constantIbLb0EES15_IbLb1EEEEDaS11_S12_EUlS11_E_NS1_11comp_targetILNS1_3genE8ELNS1_11target_archE1030ELNS1_3gpuE2ELNS1_3repE0EEENS1_30default_config_static_selectorELNS0_4arch9wavefront6targetE1EEEvT1_
    .private_segment_fixed_size: 0
    .sgpr_count:     4
    .sgpr_spill_count: 0
    .symbol:         _ZN7rocprim17ROCPRIM_400000_NS6detail17trampoline_kernelINS0_14default_configENS1_25partition_config_selectorILNS1_17partition_subalgoE0EsNS0_10empty_typeEbEEZZNS1_14partition_implILS5_0ELb0ES3_jN6thrust23THRUST_200600_302600_NS6detail15normal_iteratorINSA_10device_ptrIsEEEEPS6_SG_NS0_5tupleIJSF_SF_EEENSH_IJSG_SG_EEES6_PlJ7is_evenIsEEEE10hipError_tPvRmT3_T4_T5_T6_T7_T9_mT8_P12ihipStream_tbDpT10_ENKUlT_T0_E_clISt17integral_constantIbLb0EES15_IbLb1EEEEDaS11_S12_EUlS11_E_NS1_11comp_targetILNS1_3genE8ELNS1_11target_archE1030ELNS1_3gpuE2ELNS1_3repE0EEENS1_30default_config_static_selectorELNS0_4arch9wavefront6targetE1EEEvT1_.kd
    .uniform_work_group_size: 1
    .uses_dynamic_stack: false
    .vgpr_count:     0
    .vgpr_spill_count: 0
    .wavefront_size: 64
  - .agpr_count:     0
    .args:
      - .offset:         0
        .size:           128
        .value_kind:     by_value
    .group_segment_fixed_size: 0
    .kernarg_segment_align: 8
    .kernarg_segment_size: 128
    .language:       OpenCL C
    .language_version:
      - 2
      - 0
    .max_flat_workgroup_size: 128
    .name:           _ZN7rocprim17ROCPRIM_400000_NS6detail17trampoline_kernelINS0_14default_configENS1_25partition_config_selectorILNS1_17partition_subalgoE1ExNS0_10empty_typeEbEEZZNS1_14partition_implILS5_1ELb0ES3_jN6thrust23THRUST_200600_302600_NS6detail15normal_iteratorINSA_10device_ptrIxEEEEPS6_NSA_18transform_iteratorI7is_evenIxESF_NSA_11use_defaultESK_EENS0_5tupleIJSF_SF_EEENSM_IJSG_SG_EEES6_PlJS6_EEE10hipError_tPvRmT3_T4_T5_T6_T7_T9_mT8_P12ihipStream_tbDpT10_ENKUlT_T0_E_clISt17integral_constantIbLb0EES19_EEDaS14_S15_EUlS14_E_NS1_11comp_targetILNS1_3genE0ELNS1_11target_archE4294967295ELNS1_3gpuE0ELNS1_3repE0EEENS1_30default_config_static_selectorELNS0_4arch9wavefront6targetE1EEEvT1_
    .private_segment_fixed_size: 0
    .sgpr_count:     4
    .sgpr_spill_count: 0
    .symbol:         _ZN7rocprim17ROCPRIM_400000_NS6detail17trampoline_kernelINS0_14default_configENS1_25partition_config_selectorILNS1_17partition_subalgoE1ExNS0_10empty_typeEbEEZZNS1_14partition_implILS5_1ELb0ES3_jN6thrust23THRUST_200600_302600_NS6detail15normal_iteratorINSA_10device_ptrIxEEEEPS6_NSA_18transform_iteratorI7is_evenIxESF_NSA_11use_defaultESK_EENS0_5tupleIJSF_SF_EEENSM_IJSG_SG_EEES6_PlJS6_EEE10hipError_tPvRmT3_T4_T5_T6_T7_T9_mT8_P12ihipStream_tbDpT10_ENKUlT_T0_E_clISt17integral_constantIbLb0EES19_EEDaS14_S15_EUlS14_E_NS1_11comp_targetILNS1_3genE0ELNS1_11target_archE4294967295ELNS1_3gpuE0ELNS1_3repE0EEENS1_30default_config_static_selectorELNS0_4arch9wavefront6targetE1EEEvT1_.kd
    .uniform_work_group_size: 1
    .uses_dynamic_stack: false
    .vgpr_count:     0
    .vgpr_spill_count: 0
    .wavefront_size: 64
  - .agpr_count:     0
    .args:
      - .offset:         0
        .size:           128
        .value_kind:     by_value
    .group_segment_fixed_size: 0
    .kernarg_segment_align: 8
    .kernarg_segment_size: 128
    .language:       OpenCL C
    .language_version:
      - 2
      - 0
    .max_flat_workgroup_size: 512
    .name:           _ZN7rocprim17ROCPRIM_400000_NS6detail17trampoline_kernelINS0_14default_configENS1_25partition_config_selectorILNS1_17partition_subalgoE1ExNS0_10empty_typeEbEEZZNS1_14partition_implILS5_1ELb0ES3_jN6thrust23THRUST_200600_302600_NS6detail15normal_iteratorINSA_10device_ptrIxEEEEPS6_NSA_18transform_iteratorI7is_evenIxESF_NSA_11use_defaultESK_EENS0_5tupleIJSF_SF_EEENSM_IJSG_SG_EEES6_PlJS6_EEE10hipError_tPvRmT3_T4_T5_T6_T7_T9_mT8_P12ihipStream_tbDpT10_ENKUlT_T0_E_clISt17integral_constantIbLb0EES19_EEDaS14_S15_EUlS14_E_NS1_11comp_targetILNS1_3genE5ELNS1_11target_archE942ELNS1_3gpuE9ELNS1_3repE0EEENS1_30default_config_static_selectorELNS0_4arch9wavefront6targetE1EEEvT1_
    .private_segment_fixed_size: 0
    .sgpr_count:     4
    .sgpr_spill_count: 0
    .symbol:         _ZN7rocprim17ROCPRIM_400000_NS6detail17trampoline_kernelINS0_14default_configENS1_25partition_config_selectorILNS1_17partition_subalgoE1ExNS0_10empty_typeEbEEZZNS1_14partition_implILS5_1ELb0ES3_jN6thrust23THRUST_200600_302600_NS6detail15normal_iteratorINSA_10device_ptrIxEEEEPS6_NSA_18transform_iteratorI7is_evenIxESF_NSA_11use_defaultESK_EENS0_5tupleIJSF_SF_EEENSM_IJSG_SG_EEES6_PlJS6_EEE10hipError_tPvRmT3_T4_T5_T6_T7_T9_mT8_P12ihipStream_tbDpT10_ENKUlT_T0_E_clISt17integral_constantIbLb0EES19_EEDaS14_S15_EUlS14_E_NS1_11comp_targetILNS1_3genE5ELNS1_11target_archE942ELNS1_3gpuE9ELNS1_3repE0EEENS1_30default_config_static_selectorELNS0_4arch9wavefront6targetE1EEEvT1_.kd
    .uniform_work_group_size: 1
    .uses_dynamic_stack: false
    .vgpr_count:     0
    .vgpr_spill_count: 0
    .wavefront_size: 64
  - .agpr_count:     0
    .args:
      - .offset:         0
        .size:           128
        .value_kind:     by_value
    .group_segment_fixed_size: 6344
    .kernarg_segment_align: 8
    .kernarg_segment_size: 128
    .language:       OpenCL C
    .language_version:
      - 2
      - 0
    .max_flat_workgroup_size: 192
    .name:           _ZN7rocprim17ROCPRIM_400000_NS6detail17trampoline_kernelINS0_14default_configENS1_25partition_config_selectorILNS1_17partition_subalgoE1ExNS0_10empty_typeEbEEZZNS1_14partition_implILS5_1ELb0ES3_jN6thrust23THRUST_200600_302600_NS6detail15normal_iteratorINSA_10device_ptrIxEEEEPS6_NSA_18transform_iteratorI7is_evenIxESF_NSA_11use_defaultESK_EENS0_5tupleIJSF_SF_EEENSM_IJSG_SG_EEES6_PlJS6_EEE10hipError_tPvRmT3_T4_T5_T6_T7_T9_mT8_P12ihipStream_tbDpT10_ENKUlT_T0_E_clISt17integral_constantIbLb0EES19_EEDaS14_S15_EUlS14_E_NS1_11comp_targetILNS1_3genE4ELNS1_11target_archE910ELNS1_3gpuE8ELNS1_3repE0EEENS1_30default_config_static_selectorELNS0_4arch9wavefront6targetE1EEEvT1_
    .private_segment_fixed_size: 0
    .sgpr_count:     48
    .sgpr_spill_count: 0
    .symbol:         _ZN7rocprim17ROCPRIM_400000_NS6detail17trampoline_kernelINS0_14default_configENS1_25partition_config_selectorILNS1_17partition_subalgoE1ExNS0_10empty_typeEbEEZZNS1_14partition_implILS5_1ELb0ES3_jN6thrust23THRUST_200600_302600_NS6detail15normal_iteratorINSA_10device_ptrIxEEEEPS6_NSA_18transform_iteratorI7is_evenIxESF_NSA_11use_defaultESK_EENS0_5tupleIJSF_SF_EEENSM_IJSG_SG_EEES6_PlJS6_EEE10hipError_tPvRmT3_T4_T5_T6_T7_T9_mT8_P12ihipStream_tbDpT10_ENKUlT_T0_E_clISt17integral_constantIbLb0EES19_EEDaS14_S15_EUlS14_E_NS1_11comp_targetILNS1_3genE4ELNS1_11target_archE910ELNS1_3gpuE8ELNS1_3repE0EEENS1_30default_config_static_selectorELNS0_4arch9wavefront6targetE1EEEvT1_.kd
    .uniform_work_group_size: 1
    .uses_dynamic_stack: false
    .vgpr_count:     43
    .vgpr_spill_count: 0
    .wavefront_size: 64
  - .agpr_count:     0
    .args:
      - .offset:         0
        .size:           128
        .value_kind:     by_value
    .group_segment_fixed_size: 0
    .kernarg_segment_align: 8
    .kernarg_segment_size: 128
    .language:       OpenCL C
    .language_version:
      - 2
      - 0
    .max_flat_workgroup_size: 128
    .name:           _ZN7rocprim17ROCPRIM_400000_NS6detail17trampoline_kernelINS0_14default_configENS1_25partition_config_selectorILNS1_17partition_subalgoE1ExNS0_10empty_typeEbEEZZNS1_14partition_implILS5_1ELb0ES3_jN6thrust23THRUST_200600_302600_NS6detail15normal_iteratorINSA_10device_ptrIxEEEEPS6_NSA_18transform_iteratorI7is_evenIxESF_NSA_11use_defaultESK_EENS0_5tupleIJSF_SF_EEENSM_IJSG_SG_EEES6_PlJS6_EEE10hipError_tPvRmT3_T4_T5_T6_T7_T9_mT8_P12ihipStream_tbDpT10_ENKUlT_T0_E_clISt17integral_constantIbLb0EES19_EEDaS14_S15_EUlS14_E_NS1_11comp_targetILNS1_3genE3ELNS1_11target_archE908ELNS1_3gpuE7ELNS1_3repE0EEENS1_30default_config_static_selectorELNS0_4arch9wavefront6targetE1EEEvT1_
    .private_segment_fixed_size: 0
    .sgpr_count:     4
    .sgpr_spill_count: 0
    .symbol:         _ZN7rocprim17ROCPRIM_400000_NS6detail17trampoline_kernelINS0_14default_configENS1_25partition_config_selectorILNS1_17partition_subalgoE1ExNS0_10empty_typeEbEEZZNS1_14partition_implILS5_1ELb0ES3_jN6thrust23THRUST_200600_302600_NS6detail15normal_iteratorINSA_10device_ptrIxEEEEPS6_NSA_18transform_iteratorI7is_evenIxESF_NSA_11use_defaultESK_EENS0_5tupleIJSF_SF_EEENSM_IJSG_SG_EEES6_PlJS6_EEE10hipError_tPvRmT3_T4_T5_T6_T7_T9_mT8_P12ihipStream_tbDpT10_ENKUlT_T0_E_clISt17integral_constantIbLb0EES19_EEDaS14_S15_EUlS14_E_NS1_11comp_targetILNS1_3genE3ELNS1_11target_archE908ELNS1_3gpuE7ELNS1_3repE0EEENS1_30default_config_static_selectorELNS0_4arch9wavefront6targetE1EEEvT1_.kd
    .uniform_work_group_size: 1
    .uses_dynamic_stack: false
    .vgpr_count:     0
    .vgpr_spill_count: 0
    .wavefront_size: 64
  - .agpr_count:     0
    .args:
      - .offset:         0
        .size:           128
        .value_kind:     by_value
    .group_segment_fixed_size: 0
    .kernarg_segment_align: 8
    .kernarg_segment_size: 128
    .language:       OpenCL C
    .language_version:
      - 2
      - 0
    .max_flat_workgroup_size: 256
    .name:           _ZN7rocprim17ROCPRIM_400000_NS6detail17trampoline_kernelINS0_14default_configENS1_25partition_config_selectorILNS1_17partition_subalgoE1ExNS0_10empty_typeEbEEZZNS1_14partition_implILS5_1ELb0ES3_jN6thrust23THRUST_200600_302600_NS6detail15normal_iteratorINSA_10device_ptrIxEEEEPS6_NSA_18transform_iteratorI7is_evenIxESF_NSA_11use_defaultESK_EENS0_5tupleIJSF_SF_EEENSM_IJSG_SG_EEES6_PlJS6_EEE10hipError_tPvRmT3_T4_T5_T6_T7_T9_mT8_P12ihipStream_tbDpT10_ENKUlT_T0_E_clISt17integral_constantIbLb0EES19_EEDaS14_S15_EUlS14_E_NS1_11comp_targetILNS1_3genE2ELNS1_11target_archE906ELNS1_3gpuE6ELNS1_3repE0EEENS1_30default_config_static_selectorELNS0_4arch9wavefront6targetE1EEEvT1_
    .private_segment_fixed_size: 0
    .sgpr_count:     4
    .sgpr_spill_count: 0
    .symbol:         _ZN7rocprim17ROCPRIM_400000_NS6detail17trampoline_kernelINS0_14default_configENS1_25partition_config_selectorILNS1_17partition_subalgoE1ExNS0_10empty_typeEbEEZZNS1_14partition_implILS5_1ELb0ES3_jN6thrust23THRUST_200600_302600_NS6detail15normal_iteratorINSA_10device_ptrIxEEEEPS6_NSA_18transform_iteratorI7is_evenIxESF_NSA_11use_defaultESK_EENS0_5tupleIJSF_SF_EEENSM_IJSG_SG_EEES6_PlJS6_EEE10hipError_tPvRmT3_T4_T5_T6_T7_T9_mT8_P12ihipStream_tbDpT10_ENKUlT_T0_E_clISt17integral_constantIbLb0EES19_EEDaS14_S15_EUlS14_E_NS1_11comp_targetILNS1_3genE2ELNS1_11target_archE906ELNS1_3gpuE6ELNS1_3repE0EEENS1_30default_config_static_selectorELNS0_4arch9wavefront6targetE1EEEvT1_.kd
    .uniform_work_group_size: 1
    .uses_dynamic_stack: false
    .vgpr_count:     0
    .vgpr_spill_count: 0
    .wavefront_size: 64
  - .agpr_count:     0
    .args:
      - .offset:         0
        .size:           128
        .value_kind:     by_value
    .group_segment_fixed_size: 0
    .kernarg_segment_align: 8
    .kernarg_segment_size: 128
    .language:       OpenCL C
    .language_version:
      - 2
      - 0
    .max_flat_workgroup_size: 256
    .name:           _ZN7rocprim17ROCPRIM_400000_NS6detail17trampoline_kernelINS0_14default_configENS1_25partition_config_selectorILNS1_17partition_subalgoE1ExNS0_10empty_typeEbEEZZNS1_14partition_implILS5_1ELb0ES3_jN6thrust23THRUST_200600_302600_NS6detail15normal_iteratorINSA_10device_ptrIxEEEEPS6_NSA_18transform_iteratorI7is_evenIxESF_NSA_11use_defaultESK_EENS0_5tupleIJSF_SF_EEENSM_IJSG_SG_EEES6_PlJS6_EEE10hipError_tPvRmT3_T4_T5_T6_T7_T9_mT8_P12ihipStream_tbDpT10_ENKUlT_T0_E_clISt17integral_constantIbLb0EES19_EEDaS14_S15_EUlS14_E_NS1_11comp_targetILNS1_3genE10ELNS1_11target_archE1200ELNS1_3gpuE4ELNS1_3repE0EEENS1_30default_config_static_selectorELNS0_4arch9wavefront6targetE1EEEvT1_
    .private_segment_fixed_size: 0
    .sgpr_count:     4
    .sgpr_spill_count: 0
    .symbol:         _ZN7rocprim17ROCPRIM_400000_NS6detail17trampoline_kernelINS0_14default_configENS1_25partition_config_selectorILNS1_17partition_subalgoE1ExNS0_10empty_typeEbEEZZNS1_14partition_implILS5_1ELb0ES3_jN6thrust23THRUST_200600_302600_NS6detail15normal_iteratorINSA_10device_ptrIxEEEEPS6_NSA_18transform_iteratorI7is_evenIxESF_NSA_11use_defaultESK_EENS0_5tupleIJSF_SF_EEENSM_IJSG_SG_EEES6_PlJS6_EEE10hipError_tPvRmT3_T4_T5_T6_T7_T9_mT8_P12ihipStream_tbDpT10_ENKUlT_T0_E_clISt17integral_constantIbLb0EES19_EEDaS14_S15_EUlS14_E_NS1_11comp_targetILNS1_3genE10ELNS1_11target_archE1200ELNS1_3gpuE4ELNS1_3repE0EEENS1_30default_config_static_selectorELNS0_4arch9wavefront6targetE1EEEvT1_.kd
    .uniform_work_group_size: 1
    .uses_dynamic_stack: false
    .vgpr_count:     0
    .vgpr_spill_count: 0
    .wavefront_size: 64
  - .agpr_count:     0
    .args:
      - .offset:         0
        .size:           128
        .value_kind:     by_value
    .group_segment_fixed_size: 0
    .kernarg_segment_align: 8
    .kernarg_segment_size: 128
    .language:       OpenCL C
    .language_version:
      - 2
      - 0
    .max_flat_workgroup_size: 128
    .name:           _ZN7rocprim17ROCPRIM_400000_NS6detail17trampoline_kernelINS0_14default_configENS1_25partition_config_selectorILNS1_17partition_subalgoE1ExNS0_10empty_typeEbEEZZNS1_14partition_implILS5_1ELb0ES3_jN6thrust23THRUST_200600_302600_NS6detail15normal_iteratorINSA_10device_ptrIxEEEEPS6_NSA_18transform_iteratorI7is_evenIxESF_NSA_11use_defaultESK_EENS0_5tupleIJSF_SF_EEENSM_IJSG_SG_EEES6_PlJS6_EEE10hipError_tPvRmT3_T4_T5_T6_T7_T9_mT8_P12ihipStream_tbDpT10_ENKUlT_T0_E_clISt17integral_constantIbLb0EES19_EEDaS14_S15_EUlS14_E_NS1_11comp_targetILNS1_3genE9ELNS1_11target_archE1100ELNS1_3gpuE3ELNS1_3repE0EEENS1_30default_config_static_selectorELNS0_4arch9wavefront6targetE1EEEvT1_
    .private_segment_fixed_size: 0
    .sgpr_count:     4
    .sgpr_spill_count: 0
    .symbol:         _ZN7rocprim17ROCPRIM_400000_NS6detail17trampoline_kernelINS0_14default_configENS1_25partition_config_selectorILNS1_17partition_subalgoE1ExNS0_10empty_typeEbEEZZNS1_14partition_implILS5_1ELb0ES3_jN6thrust23THRUST_200600_302600_NS6detail15normal_iteratorINSA_10device_ptrIxEEEEPS6_NSA_18transform_iteratorI7is_evenIxESF_NSA_11use_defaultESK_EENS0_5tupleIJSF_SF_EEENSM_IJSG_SG_EEES6_PlJS6_EEE10hipError_tPvRmT3_T4_T5_T6_T7_T9_mT8_P12ihipStream_tbDpT10_ENKUlT_T0_E_clISt17integral_constantIbLb0EES19_EEDaS14_S15_EUlS14_E_NS1_11comp_targetILNS1_3genE9ELNS1_11target_archE1100ELNS1_3gpuE3ELNS1_3repE0EEENS1_30default_config_static_selectorELNS0_4arch9wavefront6targetE1EEEvT1_.kd
    .uniform_work_group_size: 1
    .uses_dynamic_stack: false
    .vgpr_count:     0
    .vgpr_spill_count: 0
    .wavefront_size: 64
  - .agpr_count:     0
    .args:
      - .offset:         0
        .size:           128
        .value_kind:     by_value
    .group_segment_fixed_size: 0
    .kernarg_segment_align: 8
    .kernarg_segment_size: 128
    .language:       OpenCL C
    .language_version:
      - 2
      - 0
    .max_flat_workgroup_size: 512
    .name:           _ZN7rocprim17ROCPRIM_400000_NS6detail17trampoline_kernelINS0_14default_configENS1_25partition_config_selectorILNS1_17partition_subalgoE1ExNS0_10empty_typeEbEEZZNS1_14partition_implILS5_1ELb0ES3_jN6thrust23THRUST_200600_302600_NS6detail15normal_iteratorINSA_10device_ptrIxEEEEPS6_NSA_18transform_iteratorI7is_evenIxESF_NSA_11use_defaultESK_EENS0_5tupleIJSF_SF_EEENSM_IJSG_SG_EEES6_PlJS6_EEE10hipError_tPvRmT3_T4_T5_T6_T7_T9_mT8_P12ihipStream_tbDpT10_ENKUlT_T0_E_clISt17integral_constantIbLb0EES19_EEDaS14_S15_EUlS14_E_NS1_11comp_targetILNS1_3genE8ELNS1_11target_archE1030ELNS1_3gpuE2ELNS1_3repE0EEENS1_30default_config_static_selectorELNS0_4arch9wavefront6targetE1EEEvT1_
    .private_segment_fixed_size: 0
    .sgpr_count:     4
    .sgpr_spill_count: 0
    .symbol:         _ZN7rocprim17ROCPRIM_400000_NS6detail17trampoline_kernelINS0_14default_configENS1_25partition_config_selectorILNS1_17partition_subalgoE1ExNS0_10empty_typeEbEEZZNS1_14partition_implILS5_1ELb0ES3_jN6thrust23THRUST_200600_302600_NS6detail15normal_iteratorINSA_10device_ptrIxEEEEPS6_NSA_18transform_iteratorI7is_evenIxESF_NSA_11use_defaultESK_EENS0_5tupleIJSF_SF_EEENSM_IJSG_SG_EEES6_PlJS6_EEE10hipError_tPvRmT3_T4_T5_T6_T7_T9_mT8_P12ihipStream_tbDpT10_ENKUlT_T0_E_clISt17integral_constantIbLb0EES19_EEDaS14_S15_EUlS14_E_NS1_11comp_targetILNS1_3genE8ELNS1_11target_archE1030ELNS1_3gpuE2ELNS1_3repE0EEENS1_30default_config_static_selectorELNS0_4arch9wavefront6targetE1EEEvT1_.kd
    .uniform_work_group_size: 1
    .uses_dynamic_stack: false
    .vgpr_count:     0
    .vgpr_spill_count: 0
    .wavefront_size: 64
  - .agpr_count:     0
    .args:
      - .offset:         0
        .size:           144
        .value_kind:     by_value
    .group_segment_fixed_size: 0
    .kernarg_segment_align: 8
    .kernarg_segment_size: 144
    .language:       OpenCL C
    .language_version:
      - 2
      - 0
    .max_flat_workgroup_size: 128
    .name:           _ZN7rocprim17ROCPRIM_400000_NS6detail17trampoline_kernelINS0_14default_configENS1_25partition_config_selectorILNS1_17partition_subalgoE1ExNS0_10empty_typeEbEEZZNS1_14partition_implILS5_1ELb0ES3_jN6thrust23THRUST_200600_302600_NS6detail15normal_iteratorINSA_10device_ptrIxEEEEPS6_NSA_18transform_iteratorI7is_evenIxESF_NSA_11use_defaultESK_EENS0_5tupleIJSF_SF_EEENSM_IJSG_SG_EEES6_PlJS6_EEE10hipError_tPvRmT3_T4_T5_T6_T7_T9_mT8_P12ihipStream_tbDpT10_ENKUlT_T0_E_clISt17integral_constantIbLb1EES19_EEDaS14_S15_EUlS14_E_NS1_11comp_targetILNS1_3genE0ELNS1_11target_archE4294967295ELNS1_3gpuE0ELNS1_3repE0EEENS1_30default_config_static_selectorELNS0_4arch9wavefront6targetE1EEEvT1_
    .private_segment_fixed_size: 0
    .sgpr_count:     4
    .sgpr_spill_count: 0
    .symbol:         _ZN7rocprim17ROCPRIM_400000_NS6detail17trampoline_kernelINS0_14default_configENS1_25partition_config_selectorILNS1_17partition_subalgoE1ExNS0_10empty_typeEbEEZZNS1_14partition_implILS5_1ELb0ES3_jN6thrust23THRUST_200600_302600_NS6detail15normal_iteratorINSA_10device_ptrIxEEEEPS6_NSA_18transform_iteratorI7is_evenIxESF_NSA_11use_defaultESK_EENS0_5tupleIJSF_SF_EEENSM_IJSG_SG_EEES6_PlJS6_EEE10hipError_tPvRmT3_T4_T5_T6_T7_T9_mT8_P12ihipStream_tbDpT10_ENKUlT_T0_E_clISt17integral_constantIbLb1EES19_EEDaS14_S15_EUlS14_E_NS1_11comp_targetILNS1_3genE0ELNS1_11target_archE4294967295ELNS1_3gpuE0ELNS1_3repE0EEENS1_30default_config_static_selectorELNS0_4arch9wavefront6targetE1EEEvT1_.kd
    .uniform_work_group_size: 1
    .uses_dynamic_stack: false
    .vgpr_count:     0
    .vgpr_spill_count: 0
    .wavefront_size: 64
  - .agpr_count:     0
    .args:
      - .offset:         0
        .size:           144
        .value_kind:     by_value
    .group_segment_fixed_size: 0
    .kernarg_segment_align: 8
    .kernarg_segment_size: 144
    .language:       OpenCL C
    .language_version:
      - 2
      - 0
    .max_flat_workgroup_size: 512
    .name:           _ZN7rocprim17ROCPRIM_400000_NS6detail17trampoline_kernelINS0_14default_configENS1_25partition_config_selectorILNS1_17partition_subalgoE1ExNS0_10empty_typeEbEEZZNS1_14partition_implILS5_1ELb0ES3_jN6thrust23THRUST_200600_302600_NS6detail15normal_iteratorINSA_10device_ptrIxEEEEPS6_NSA_18transform_iteratorI7is_evenIxESF_NSA_11use_defaultESK_EENS0_5tupleIJSF_SF_EEENSM_IJSG_SG_EEES6_PlJS6_EEE10hipError_tPvRmT3_T4_T5_T6_T7_T9_mT8_P12ihipStream_tbDpT10_ENKUlT_T0_E_clISt17integral_constantIbLb1EES19_EEDaS14_S15_EUlS14_E_NS1_11comp_targetILNS1_3genE5ELNS1_11target_archE942ELNS1_3gpuE9ELNS1_3repE0EEENS1_30default_config_static_selectorELNS0_4arch9wavefront6targetE1EEEvT1_
    .private_segment_fixed_size: 0
    .sgpr_count:     4
    .sgpr_spill_count: 0
    .symbol:         _ZN7rocprim17ROCPRIM_400000_NS6detail17trampoline_kernelINS0_14default_configENS1_25partition_config_selectorILNS1_17partition_subalgoE1ExNS0_10empty_typeEbEEZZNS1_14partition_implILS5_1ELb0ES3_jN6thrust23THRUST_200600_302600_NS6detail15normal_iteratorINSA_10device_ptrIxEEEEPS6_NSA_18transform_iteratorI7is_evenIxESF_NSA_11use_defaultESK_EENS0_5tupleIJSF_SF_EEENSM_IJSG_SG_EEES6_PlJS6_EEE10hipError_tPvRmT3_T4_T5_T6_T7_T9_mT8_P12ihipStream_tbDpT10_ENKUlT_T0_E_clISt17integral_constantIbLb1EES19_EEDaS14_S15_EUlS14_E_NS1_11comp_targetILNS1_3genE5ELNS1_11target_archE942ELNS1_3gpuE9ELNS1_3repE0EEENS1_30default_config_static_selectorELNS0_4arch9wavefront6targetE1EEEvT1_.kd
    .uniform_work_group_size: 1
    .uses_dynamic_stack: false
    .vgpr_count:     0
    .vgpr_spill_count: 0
    .wavefront_size: 64
  - .agpr_count:     0
    .args:
      - .offset:         0
        .size:           144
        .value_kind:     by_value
    .group_segment_fixed_size: 6344
    .kernarg_segment_align: 8
    .kernarg_segment_size: 144
    .language:       OpenCL C
    .language_version:
      - 2
      - 0
    .max_flat_workgroup_size: 192
    .name:           _ZN7rocprim17ROCPRIM_400000_NS6detail17trampoline_kernelINS0_14default_configENS1_25partition_config_selectorILNS1_17partition_subalgoE1ExNS0_10empty_typeEbEEZZNS1_14partition_implILS5_1ELb0ES3_jN6thrust23THRUST_200600_302600_NS6detail15normal_iteratorINSA_10device_ptrIxEEEEPS6_NSA_18transform_iteratorI7is_evenIxESF_NSA_11use_defaultESK_EENS0_5tupleIJSF_SF_EEENSM_IJSG_SG_EEES6_PlJS6_EEE10hipError_tPvRmT3_T4_T5_T6_T7_T9_mT8_P12ihipStream_tbDpT10_ENKUlT_T0_E_clISt17integral_constantIbLb1EES19_EEDaS14_S15_EUlS14_E_NS1_11comp_targetILNS1_3genE4ELNS1_11target_archE910ELNS1_3gpuE8ELNS1_3repE0EEENS1_30default_config_static_selectorELNS0_4arch9wavefront6targetE1EEEvT1_
    .private_segment_fixed_size: 0
    .sgpr_count:     48
    .sgpr_spill_count: 0
    .symbol:         _ZN7rocprim17ROCPRIM_400000_NS6detail17trampoline_kernelINS0_14default_configENS1_25partition_config_selectorILNS1_17partition_subalgoE1ExNS0_10empty_typeEbEEZZNS1_14partition_implILS5_1ELb0ES3_jN6thrust23THRUST_200600_302600_NS6detail15normal_iteratorINSA_10device_ptrIxEEEEPS6_NSA_18transform_iteratorI7is_evenIxESF_NSA_11use_defaultESK_EENS0_5tupleIJSF_SF_EEENSM_IJSG_SG_EEES6_PlJS6_EEE10hipError_tPvRmT3_T4_T5_T6_T7_T9_mT8_P12ihipStream_tbDpT10_ENKUlT_T0_E_clISt17integral_constantIbLb1EES19_EEDaS14_S15_EUlS14_E_NS1_11comp_targetILNS1_3genE4ELNS1_11target_archE910ELNS1_3gpuE8ELNS1_3repE0EEENS1_30default_config_static_selectorELNS0_4arch9wavefront6targetE1EEEvT1_.kd
    .uniform_work_group_size: 1
    .uses_dynamic_stack: false
    .vgpr_count:     47
    .vgpr_spill_count: 0
    .wavefront_size: 64
  - .agpr_count:     0
    .args:
      - .offset:         0
        .size:           144
        .value_kind:     by_value
    .group_segment_fixed_size: 0
    .kernarg_segment_align: 8
    .kernarg_segment_size: 144
    .language:       OpenCL C
    .language_version:
      - 2
      - 0
    .max_flat_workgroup_size: 128
    .name:           _ZN7rocprim17ROCPRIM_400000_NS6detail17trampoline_kernelINS0_14default_configENS1_25partition_config_selectorILNS1_17partition_subalgoE1ExNS0_10empty_typeEbEEZZNS1_14partition_implILS5_1ELb0ES3_jN6thrust23THRUST_200600_302600_NS6detail15normal_iteratorINSA_10device_ptrIxEEEEPS6_NSA_18transform_iteratorI7is_evenIxESF_NSA_11use_defaultESK_EENS0_5tupleIJSF_SF_EEENSM_IJSG_SG_EEES6_PlJS6_EEE10hipError_tPvRmT3_T4_T5_T6_T7_T9_mT8_P12ihipStream_tbDpT10_ENKUlT_T0_E_clISt17integral_constantIbLb1EES19_EEDaS14_S15_EUlS14_E_NS1_11comp_targetILNS1_3genE3ELNS1_11target_archE908ELNS1_3gpuE7ELNS1_3repE0EEENS1_30default_config_static_selectorELNS0_4arch9wavefront6targetE1EEEvT1_
    .private_segment_fixed_size: 0
    .sgpr_count:     4
    .sgpr_spill_count: 0
    .symbol:         _ZN7rocprim17ROCPRIM_400000_NS6detail17trampoline_kernelINS0_14default_configENS1_25partition_config_selectorILNS1_17partition_subalgoE1ExNS0_10empty_typeEbEEZZNS1_14partition_implILS5_1ELb0ES3_jN6thrust23THRUST_200600_302600_NS6detail15normal_iteratorINSA_10device_ptrIxEEEEPS6_NSA_18transform_iteratorI7is_evenIxESF_NSA_11use_defaultESK_EENS0_5tupleIJSF_SF_EEENSM_IJSG_SG_EEES6_PlJS6_EEE10hipError_tPvRmT3_T4_T5_T6_T7_T9_mT8_P12ihipStream_tbDpT10_ENKUlT_T0_E_clISt17integral_constantIbLb1EES19_EEDaS14_S15_EUlS14_E_NS1_11comp_targetILNS1_3genE3ELNS1_11target_archE908ELNS1_3gpuE7ELNS1_3repE0EEENS1_30default_config_static_selectorELNS0_4arch9wavefront6targetE1EEEvT1_.kd
    .uniform_work_group_size: 1
    .uses_dynamic_stack: false
    .vgpr_count:     0
    .vgpr_spill_count: 0
    .wavefront_size: 64
  - .agpr_count:     0
    .args:
      - .offset:         0
        .size:           144
        .value_kind:     by_value
    .group_segment_fixed_size: 0
    .kernarg_segment_align: 8
    .kernarg_segment_size: 144
    .language:       OpenCL C
    .language_version:
      - 2
      - 0
    .max_flat_workgroup_size: 256
    .name:           _ZN7rocprim17ROCPRIM_400000_NS6detail17trampoline_kernelINS0_14default_configENS1_25partition_config_selectorILNS1_17partition_subalgoE1ExNS0_10empty_typeEbEEZZNS1_14partition_implILS5_1ELb0ES3_jN6thrust23THRUST_200600_302600_NS6detail15normal_iteratorINSA_10device_ptrIxEEEEPS6_NSA_18transform_iteratorI7is_evenIxESF_NSA_11use_defaultESK_EENS0_5tupleIJSF_SF_EEENSM_IJSG_SG_EEES6_PlJS6_EEE10hipError_tPvRmT3_T4_T5_T6_T7_T9_mT8_P12ihipStream_tbDpT10_ENKUlT_T0_E_clISt17integral_constantIbLb1EES19_EEDaS14_S15_EUlS14_E_NS1_11comp_targetILNS1_3genE2ELNS1_11target_archE906ELNS1_3gpuE6ELNS1_3repE0EEENS1_30default_config_static_selectorELNS0_4arch9wavefront6targetE1EEEvT1_
    .private_segment_fixed_size: 0
    .sgpr_count:     4
    .sgpr_spill_count: 0
    .symbol:         _ZN7rocprim17ROCPRIM_400000_NS6detail17trampoline_kernelINS0_14default_configENS1_25partition_config_selectorILNS1_17partition_subalgoE1ExNS0_10empty_typeEbEEZZNS1_14partition_implILS5_1ELb0ES3_jN6thrust23THRUST_200600_302600_NS6detail15normal_iteratorINSA_10device_ptrIxEEEEPS6_NSA_18transform_iteratorI7is_evenIxESF_NSA_11use_defaultESK_EENS0_5tupleIJSF_SF_EEENSM_IJSG_SG_EEES6_PlJS6_EEE10hipError_tPvRmT3_T4_T5_T6_T7_T9_mT8_P12ihipStream_tbDpT10_ENKUlT_T0_E_clISt17integral_constantIbLb1EES19_EEDaS14_S15_EUlS14_E_NS1_11comp_targetILNS1_3genE2ELNS1_11target_archE906ELNS1_3gpuE6ELNS1_3repE0EEENS1_30default_config_static_selectorELNS0_4arch9wavefront6targetE1EEEvT1_.kd
    .uniform_work_group_size: 1
    .uses_dynamic_stack: false
    .vgpr_count:     0
    .vgpr_spill_count: 0
    .wavefront_size: 64
  - .agpr_count:     0
    .args:
      - .offset:         0
        .size:           144
        .value_kind:     by_value
    .group_segment_fixed_size: 0
    .kernarg_segment_align: 8
    .kernarg_segment_size: 144
    .language:       OpenCL C
    .language_version:
      - 2
      - 0
    .max_flat_workgroup_size: 256
    .name:           _ZN7rocprim17ROCPRIM_400000_NS6detail17trampoline_kernelINS0_14default_configENS1_25partition_config_selectorILNS1_17partition_subalgoE1ExNS0_10empty_typeEbEEZZNS1_14partition_implILS5_1ELb0ES3_jN6thrust23THRUST_200600_302600_NS6detail15normal_iteratorINSA_10device_ptrIxEEEEPS6_NSA_18transform_iteratorI7is_evenIxESF_NSA_11use_defaultESK_EENS0_5tupleIJSF_SF_EEENSM_IJSG_SG_EEES6_PlJS6_EEE10hipError_tPvRmT3_T4_T5_T6_T7_T9_mT8_P12ihipStream_tbDpT10_ENKUlT_T0_E_clISt17integral_constantIbLb1EES19_EEDaS14_S15_EUlS14_E_NS1_11comp_targetILNS1_3genE10ELNS1_11target_archE1200ELNS1_3gpuE4ELNS1_3repE0EEENS1_30default_config_static_selectorELNS0_4arch9wavefront6targetE1EEEvT1_
    .private_segment_fixed_size: 0
    .sgpr_count:     4
    .sgpr_spill_count: 0
    .symbol:         _ZN7rocprim17ROCPRIM_400000_NS6detail17trampoline_kernelINS0_14default_configENS1_25partition_config_selectorILNS1_17partition_subalgoE1ExNS0_10empty_typeEbEEZZNS1_14partition_implILS5_1ELb0ES3_jN6thrust23THRUST_200600_302600_NS6detail15normal_iteratorINSA_10device_ptrIxEEEEPS6_NSA_18transform_iteratorI7is_evenIxESF_NSA_11use_defaultESK_EENS0_5tupleIJSF_SF_EEENSM_IJSG_SG_EEES6_PlJS6_EEE10hipError_tPvRmT3_T4_T5_T6_T7_T9_mT8_P12ihipStream_tbDpT10_ENKUlT_T0_E_clISt17integral_constantIbLb1EES19_EEDaS14_S15_EUlS14_E_NS1_11comp_targetILNS1_3genE10ELNS1_11target_archE1200ELNS1_3gpuE4ELNS1_3repE0EEENS1_30default_config_static_selectorELNS0_4arch9wavefront6targetE1EEEvT1_.kd
    .uniform_work_group_size: 1
    .uses_dynamic_stack: false
    .vgpr_count:     0
    .vgpr_spill_count: 0
    .wavefront_size: 64
  - .agpr_count:     0
    .args:
      - .offset:         0
        .size:           144
        .value_kind:     by_value
    .group_segment_fixed_size: 0
    .kernarg_segment_align: 8
    .kernarg_segment_size: 144
    .language:       OpenCL C
    .language_version:
      - 2
      - 0
    .max_flat_workgroup_size: 128
    .name:           _ZN7rocprim17ROCPRIM_400000_NS6detail17trampoline_kernelINS0_14default_configENS1_25partition_config_selectorILNS1_17partition_subalgoE1ExNS0_10empty_typeEbEEZZNS1_14partition_implILS5_1ELb0ES3_jN6thrust23THRUST_200600_302600_NS6detail15normal_iteratorINSA_10device_ptrIxEEEEPS6_NSA_18transform_iteratorI7is_evenIxESF_NSA_11use_defaultESK_EENS0_5tupleIJSF_SF_EEENSM_IJSG_SG_EEES6_PlJS6_EEE10hipError_tPvRmT3_T4_T5_T6_T7_T9_mT8_P12ihipStream_tbDpT10_ENKUlT_T0_E_clISt17integral_constantIbLb1EES19_EEDaS14_S15_EUlS14_E_NS1_11comp_targetILNS1_3genE9ELNS1_11target_archE1100ELNS1_3gpuE3ELNS1_3repE0EEENS1_30default_config_static_selectorELNS0_4arch9wavefront6targetE1EEEvT1_
    .private_segment_fixed_size: 0
    .sgpr_count:     4
    .sgpr_spill_count: 0
    .symbol:         _ZN7rocprim17ROCPRIM_400000_NS6detail17trampoline_kernelINS0_14default_configENS1_25partition_config_selectorILNS1_17partition_subalgoE1ExNS0_10empty_typeEbEEZZNS1_14partition_implILS5_1ELb0ES3_jN6thrust23THRUST_200600_302600_NS6detail15normal_iteratorINSA_10device_ptrIxEEEEPS6_NSA_18transform_iteratorI7is_evenIxESF_NSA_11use_defaultESK_EENS0_5tupleIJSF_SF_EEENSM_IJSG_SG_EEES6_PlJS6_EEE10hipError_tPvRmT3_T4_T5_T6_T7_T9_mT8_P12ihipStream_tbDpT10_ENKUlT_T0_E_clISt17integral_constantIbLb1EES19_EEDaS14_S15_EUlS14_E_NS1_11comp_targetILNS1_3genE9ELNS1_11target_archE1100ELNS1_3gpuE3ELNS1_3repE0EEENS1_30default_config_static_selectorELNS0_4arch9wavefront6targetE1EEEvT1_.kd
    .uniform_work_group_size: 1
    .uses_dynamic_stack: false
    .vgpr_count:     0
    .vgpr_spill_count: 0
    .wavefront_size: 64
  - .agpr_count:     0
    .args:
      - .offset:         0
        .size:           144
        .value_kind:     by_value
    .group_segment_fixed_size: 0
    .kernarg_segment_align: 8
    .kernarg_segment_size: 144
    .language:       OpenCL C
    .language_version:
      - 2
      - 0
    .max_flat_workgroup_size: 512
    .name:           _ZN7rocprim17ROCPRIM_400000_NS6detail17trampoline_kernelINS0_14default_configENS1_25partition_config_selectorILNS1_17partition_subalgoE1ExNS0_10empty_typeEbEEZZNS1_14partition_implILS5_1ELb0ES3_jN6thrust23THRUST_200600_302600_NS6detail15normal_iteratorINSA_10device_ptrIxEEEEPS6_NSA_18transform_iteratorI7is_evenIxESF_NSA_11use_defaultESK_EENS0_5tupleIJSF_SF_EEENSM_IJSG_SG_EEES6_PlJS6_EEE10hipError_tPvRmT3_T4_T5_T6_T7_T9_mT8_P12ihipStream_tbDpT10_ENKUlT_T0_E_clISt17integral_constantIbLb1EES19_EEDaS14_S15_EUlS14_E_NS1_11comp_targetILNS1_3genE8ELNS1_11target_archE1030ELNS1_3gpuE2ELNS1_3repE0EEENS1_30default_config_static_selectorELNS0_4arch9wavefront6targetE1EEEvT1_
    .private_segment_fixed_size: 0
    .sgpr_count:     4
    .sgpr_spill_count: 0
    .symbol:         _ZN7rocprim17ROCPRIM_400000_NS6detail17trampoline_kernelINS0_14default_configENS1_25partition_config_selectorILNS1_17partition_subalgoE1ExNS0_10empty_typeEbEEZZNS1_14partition_implILS5_1ELb0ES3_jN6thrust23THRUST_200600_302600_NS6detail15normal_iteratorINSA_10device_ptrIxEEEEPS6_NSA_18transform_iteratorI7is_evenIxESF_NSA_11use_defaultESK_EENS0_5tupleIJSF_SF_EEENSM_IJSG_SG_EEES6_PlJS6_EEE10hipError_tPvRmT3_T4_T5_T6_T7_T9_mT8_P12ihipStream_tbDpT10_ENKUlT_T0_E_clISt17integral_constantIbLb1EES19_EEDaS14_S15_EUlS14_E_NS1_11comp_targetILNS1_3genE8ELNS1_11target_archE1030ELNS1_3gpuE2ELNS1_3repE0EEENS1_30default_config_static_selectorELNS0_4arch9wavefront6targetE1EEEvT1_.kd
    .uniform_work_group_size: 1
    .uses_dynamic_stack: false
    .vgpr_count:     0
    .vgpr_spill_count: 0
    .wavefront_size: 64
  - .agpr_count:     0
    .args:
      - .offset:         0
        .size:           128
        .value_kind:     by_value
    .group_segment_fixed_size: 0
    .kernarg_segment_align: 8
    .kernarg_segment_size: 128
    .language:       OpenCL C
    .language_version:
      - 2
      - 0
    .max_flat_workgroup_size: 128
    .name:           _ZN7rocprim17ROCPRIM_400000_NS6detail17trampoline_kernelINS0_14default_configENS1_25partition_config_selectorILNS1_17partition_subalgoE1ExNS0_10empty_typeEbEEZZNS1_14partition_implILS5_1ELb0ES3_jN6thrust23THRUST_200600_302600_NS6detail15normal_iteratorINSA_10device_ptrIxEEEEPS6_NSA_18transform_iteratorI7is_evenIxESF_NSA_11use_defaultESK_EENS0_5tupleIJSF_SF_EEENSM_IJSG_SG_EEES6_PlJS6_EEE10hipError_tPvRmT3_T4_T5_T6_T7_T9_mT8_P12ihipStream_tbDpT10_ENKUlT_T0_E_clISt17integral_constantIbLb1EES18_IbLb0EEEEDaS14_S15_EUlS14_E_NS1_11comp_targetILNS1_3genE0ELNS1_11target_archE4294967295ELNS1_3gpuE0ELNS1_3repE0EEENS1_30default_config_static_selectorELNS0_4arch9wavefront6targetE1EEEvT1_
    .private_segment_fixed_size: 0
    .sgpr_count:     4
    .sgpr_spill_count: 0
    .symbol:         _ZN7rocprim17ROCPRIM_400000_NS6detail17trampoline_kernelINS0_14default_configENS1_25partition_config_selectorILNS1_17partition_subalgoE1ExNS0_10empty_typeEbEEZZNS1_14partition_implILS5_1ELb0ES3_jN6thrust23THRUST_200600_302600_NS6detail15normal_iteratorINSA_10device_ptrIxEEEEPS6_NSA_18transform_iteratorI7is_evenIxESF_NSA_11use_defaultESK_EENS0_5tupleIJSF_SF_EEENSM_IJSG_SG_EEES6_PlJS6_EEE10hipError_tPvRmT3_T4_T5_T6_T7_T9_mT8_P12ihipStream_tbDpT10_ENKUlT_T0_E_clISt17integral_constantIbLb1EES18_IbLb0EEEEDaS14_S15_EUlS14_E_NS1_11comp_targetILNS1_3genE0ELNS1_11target_archE4294967295ELNS1_3gpuE0ELNS1_3repE0EEENS1_30default_config_static_selectorELNS0_4arch9wavefront6targetE1EEEvT1_.kd
    .uniform_work_group_size: 1
    .uses_dynamic_stack: false
    .vgpr_count:     0
    .vgpr_spill_count: 0
    .wavefront_size: 64
  - .agpr_count:     0
    .args:
      - .offset:         0
        .size:           128
        .value_kind:     by_value
    .group_segment_fixed_size: 0
    .kernarg_segment_align: 8
    .kernarg_segment_size: 128
    .language:       OpenCL C
    .language_version:
      - 2
      - 0
    .max_flat_workgroup_size: 512
    .name:           _ZN7rocprim17ROCPRIM_400000_NS6detail17trampoline_kernelINS0_14default_configENS1_25partition_config_selectorILNS1_17partition_subalgoE1ExNS0_10empty_typeEbEEZZNS1_14partition_implILS5_1ELb0ES3_jN6thrust23THRUST_200600_302600_NS6detail15normal_iteratorINSA_10device_ptrIxEEEEPS6_NSA_18transform_iteratorI7is_evenIxESF_NSA_11use_defaultESK_EENS0_5tupleIJSF_SF_EEENSM_IJSG_SG_EEES6_PlJS6_EEE10hipError_tPvRmT3_T4_T5_T6_T7_T9_mT8_P12ihipStream_tbDpT10_ENKUlT_T0_E_clISt17integral_constantIbLb1EES18_IbLb0EEEEDaS14_S15_EUlS14_E_NS1_11comp_targetILNS1_3genE5ELNS1_11target_archE942ELNS1_3gpuE9ELNS1_3repE0EEENS1_30default_config_static_selectorELNS0_4arch9wavefront6targetE1EEEvT1_
    .private_segment_fixed_size: 0
    .sgpr_count:     4
    .sgpr_spill_count: 0
    .symbol:         _ZN7rocprim17ROCPRIM_400000_NS6detail17trampoline_kernelINS0_14default_configENS1_25partition_config_selectorILNS1_17partition_subalgoE1ExNS0_10empty_typeEbEEZZNS1_14partition_implILS5_1ELb0ES3_jN6thrust23THRUST_200600_302600_NS6detail15normal_iteratorINSA_10device_ptrIxEEEEPS6_NSA_18transform_iteratorI7is_evenIxESF_NSA_11use_defaultESK_EENS0_5tupleIJSF_SF_EEENSM_IJSG_SG_EEES6_PlJS6_EEE10hipError_tPvRmT3_T4_T5_T6_T7_T9_mT8_P12ihipStream_tbDpT10_ENKUlT_T0_E_clISt17integral_constantIbLb1EES18_IbLb0EEEEDaS14_S15_EUlS14_E_NS1_11comp_targetILNS1_3genE5ELNS1_11target_archE942ELNS1_3gpuE9ELNS1_3repE0EEENS1_30default_config_static_selectorELNS0_4arch9wavefront6targetE1EEEvT1_.kd
    .uniform_work_group_size: 1
    .uses_dynamic_stack: false
    .vgpr_count:     0
    .vgpr_spill_count: 0
    .wavefront_size: 64
  - .agpr_count:     0
    .args:
      - .offset:         0
        .size:           128
        .value_kind:     by_value
    .group_segment_fixed_size: 6344
    .kernarg_segment_align: 8
    .kernarg_segment_size: 128
    .language:       OpenCL C
    .language_version:
      - 2
      - 0
    .max_flat_workgroup_size: 192
    .name:           _ZN7rocprim17ROCPRIM_400000_NS6detail17trampoline_kernelINS0_14default_configENS1_25partition_config_selectorILNS1_17partition_subalgoE1ExNS0_10empty_typeEbEEZZNS1_14partition_implILS5_1ELb0ES3_jN6thrust23THRUST_200600_302600_NS6detail15normal_iteratorINSA_10device_ptrIxEEEEPS6_NSA_18transform_iteratorI7is_evenIxESF_NSA_11use_defaultESK_EENS0_5tupleIJSF_SF_EEENSM_IJSG_SG_EEES6_PlJS6_EEE10hipError_tPvRmT3_T4_T5_T6_T7_T9_mT8_P12ihipStream_tbDpT10_ENKUlT_T0_E_clISt17integral_constantIbLb1EES18_IbLb0EEEEDaS14_S15_EUlS14_E_NS1_11comp_targetILNS1_3genE4ELNS1_11target_archE910ELNS1_3gpuE8ELNS1_3repE0EEENS1_30default_config_static_selectorELNS0_4arch9wavefront6targetE1EEEvT1_
    .private_segment_fixed_size: 0
    .sgpr_count:     48
    .sgpr_spill_count: 0
    .symbol:         _ZN7rocprim17ROCPRIM_400000_NS6detail17trampoline_kernelINS0_14default_configENS1_25partition_config_selectorILNS1_17partition_subalgoE1ExNS0_10empty_typeEbEEZZNS1_14partition_implILS5_1ELb0ES3_jN6thrust23THRUST_200600_302600_NS6detail15normal_iteratorINSA_10device_ptrIxEEEEPS6_NSA_18transform_iteratorI7is_evenIxESF_NSA_11use_defaultESK_EENS0_5tupleIJSF_SF_EEENSM_IJSG_SG_EEES6_PlJS6_EEE10hipError_tPvRmT3_T4_T5_T6_T7_T9_mT8_P12ihipStream_tbDpT10_ENKUlT_T0_E_clISt17integral_constantIbLb1EES18_IbLb0EEEEDaS14_S15_EUlS14_E_NS1_11comp_targetILNS1_3genE4ELNS1_11target_archE910ELNS1_3gpuE8ELNS1_3repE0EEENS1_30default_config_static_selectorELNS0_4arch9wavefront6targetE1EEEvT1_.kd
    .uniform_work_group_size: 1
    .uses_dynamic_stack: false
    .vgpr_count:     43
    .vgpr_spill_count: 0
    .wavefront_size: 64
  - .agpr_count:     0
    .args:
      - .offset:         0
        .size:           128
        .value_kind:     by_value
    .group_segment_fixed_size: 0
    .kernarg_segment_align: 8
    .kernarg_segment_size: 128
    .language:       OpenCL C
    .language_version:
      - 2
      - 0
    .max_flat_workgroup_size: 128
    .name:           _ZN7rocprim17ROCPRIM_400000_NS6detail17trampoline_kernelINS0_14default_configENS1_25partition_config_selectorILNS1_17partition_subalgoE1ExNS0_10empty_typeEbEEZZNS1_14partition_implILS5_1ELb0ES3_jN6thrust23THRUST_200600_302600_NS6detail15normal_iteratorINSA_10device_ptrIxEEEEPS6_NSA_18transform_iteratorI7is_evenIxESF_NSA_11use_defaultESK_EENS0_5tupleIJSF_SF_EEENSM_IJSG_SG_EEES6_PlJS6_EEE10hipError_tPvRmT3_T4_T5_T6_T7_T9_mT8_P12ihipStream_tbDpT10_ENKUlT_T0_E_clISt17integral_constantIbLb1EES18_IbLb0EEEEDaS14_S15_EUlS14_E_NS1_11comp_targetILNS1_3genE3ELNS1_11target_archE908ELNS1_3gpuE7ELNS1_3repE0EEENS1_30default_config_static_selectorELNS0_4arch9wavefront6targetE1EEEvT1_
    .private_segment_fixed_size: 0
    .sgpr_count:     4
    .sgpr_spill_count: 0
    .symbol:         _ZN7rocprim17ROCPRIM_400000_NS6detail17trampoline_kernelINS0_14default_configENS1_25partition_config_selectorILNS1_17partition_subalgoE1ExNS0_10empty_typeEbEEZZNS1_14partition_implILS5_1ELb0ES3_jN6thrust23THRUST_200600_302600_NS6detail15normal_iteratorINSA_10device_ptrIxEEEEPS6_NSA_18transform_iteratorI7is_evenIxESF_NSA_11use_defaultESK_EENS0_5tupleIJSF_SF_EEENSM_IJSG_SG_EEES6_PlJS6_EEE10hipError_tPvRmT3_T4_T5_T6_T7_T9_mT8_P12ihipStream_tbDpT10_ENKUlT_T0_E_clISt17integral_constantIbLb1EES18_IbLb0EEEEDaS14_S15_EUlS14_E_NS1_11comp_targetILNS1_3genE3ELNS1_11target_archE908ELNS1_3gpuE7ELNS1_3repE0EEENS1_30default_config_static_selectorELNS0_4arch9wavefront6targetE1EEEvT1_.kd
    .uniform_work_group_size: 1
    .uses_dynamic_stack: false
    .vgpr_count:     0
    .vgpr_spill_count: 0
    .wavefront_size: 64
  - .agpr_count:     0
    .args:
      - .offset:         0
        .size:           128
        .value_kind:     by_value
    .group_segment_fixed_size: 0
    .kernarg_segment_align: 8
    .kernarg_segment_size: 128
    .language:       OpenCL C
    .language_version:
      - 2
      - 0
    .max_flat_workgroup_size: 256
    .name:           _ZN7rocprim17ROCPRIM_400000_NS6detail17trampoline_kernelINS0_14default_configENS1_25partition_config_selectorILNS1_17partition_subalgoE1ExNS0_10empty_typeEbEEZZNS1_14partition_implILS5_1ELb0ES3_jN6thrust23THRUST_200600_302600_NS6detail15normal_iteratorINSA_10device_ptrIxEEEEPS6_NSA_18transform_iteratorI7is_evenIxESF_NSA_11use_defaultESK_EENS0_5tupleIJSF_SF_EEENSM_IJSG_SG_EEES6_PlJS6_EEE10hipError_tPvRmT3_T4_T5_T6_T7_T9_mT8_P12ihipStream_tbDpT10_ENKUlT_T0_E_clISt17integral_constantIbLb1EES18_IbLb0EEEEDaS14_S15_EUlS14_E_NS1_11comp_targetILNS1_3genE2ELNS1_11target_archE906ELNS1_3gpuE6ELNS1_3repE0EEENS1_30default_config_static_selectorELNS0_4arch9wavefront6targetE1EEEvT1_
    .private_segment_fixed_size: 0
    .sgpr_count:     4
    .sgpr_spill_count: 0
    .symbol:         _ZN7rocprim17ROCPRIM_400000_NS6detail17trampoline_kernelINS0_14default_configENS1_25partition_config_selectorILNS1_17partition_subalgoE1ExNS0_10empty_typeEbEEZZNS1_14partition_implILS5_1ELb0ES3_jN6thrust23THRUST_200600_302600_NS6detail15normal_iteratorINSA_10device_ptrIxEEEEPS6_NSA_18transform_iteratorI7is_evenIxESF_NSA_11use_defaultESK_EENS0_5tupleIJSF_SF_EEENSM_IJSG_SG_EEES6_PlJS6_EEE10hipError_tPvRmT3_T4_T5_T6_T7_T9_mT8_P12ihipStream_tbDpT10_ENKUlT_T0_E_clISt17integral_constantIbLb1EES18_IbLb0EEEEDaS14_S15_EUlS14_E_NS1_11comp_targetILNS1_3genE2ELNS1_11target_archE906ELNS1_3gpuE6ELNS1_3repE0EEENS1_30default_config_static_selectorELNS0_4arch9wavefront6targetE1EEEvT1_.kd
    .uniform_work_group_size: 1
    .uses_dynamic_stack: false
    .vgpr_count:     0
    .vgpr_spill_count: 0
    .wavefront_size: 64
  - .agpr_count:     0
    .args:
      - .offset:         0
        .size:           128
        .value_kind:     by_value
    .group_segment_fixed_size: 0
    .kernarg_segment_align: 8
    .kernarg_segment_size: 128
    .language:       OpenCL C
    .language_version:
      - 2
      - 0
    .max_flat_workgroup_size: 256
    .name:           _ZN7rocprim17ROCPRIM_400000_NS6detail17trampoline_kernelINS0_14default_configENS1_25partition_config_selectorILNS1_17partition_subalgoE1ExNS0_10empty_typeEbEEZZNS1_14partition_implILS5_1ELb0ES3_jN6thrust23THRUST_200600_302600_NS6detail15normal_iteratorINSA_10device_ptrIxEEEEPS6_NSA_18transform_iteratorI7is_evenIxESF_NSA_11use_defaultESK_EENS0_5tupleIJSF_SF_EEENSM_IJSG_SG_EEES6_PlJS6_EEE10hipError_tPvRmT3_T4_T5_T6_T7_T9_mT8_P12ihipStream_tbDpT10_ENKUlT_T0_E_clISt17integral_constantIbLb1EES18_IbLb0EEEEDaS14_S15_EUlS14_E_NS1_11comp_targetILNS1_3genE10ELNS1_11target_archE1200ELNS1_3gpuE4ELNS1_3repE0EEENS1_30default_config_static_selectorELNS0_4arch9wavefront6targetE1EEEvT1_
    .private_segment_fixed_size: 0
    .sgpr_count:     4
    .sgpr_spill_count: 0
    .symbol:         _ZN7rocprim17ROCPRIM_400000_NS6detail17trampoline_kernelINS0_14default_configENS1_25partition_config_selectorILNS1_17partition_subalgoE1ExNS0_10empty_typeEbEEZZNS1_14partition_implILS5_1ELb0ES3_jN6thrust23THRUST_200600_302600_NS6detail15normal_iteratorINSA_10device_ptrIxEEEEPS6_NSA_18transform_iteratorI7is_evenIxESF_NSA_11use_defaultESK_EENS0_5tupleIJSF_SF_EEENSM_IJSG_SG_EEES6_PlJS6_EEE10hipError_tPvRmT3_T4_T5_T6_T7_T9_mT8_P12ihipStream_tbDpT10_ENKUlT_T0_E_clISt17integral_constantIbLb1EES18_IbLb0EEEEDaS14_S15_EUlS14_E_NS1_11comp_targetILNS1_3genE10ELNS1_11target_archE1200ELNS1_3gpuE4ELNS1_3repE0EEENS1_30default_config_static_selectorELNS0_4arch9wavefront6targetE1EEEvT1_.kd
    .uniform_work_group_size: 1
    .uses_dynamic_stack: false
    .vgpr_count:     0
    .vgpr_spill_count: 0
    .wavefront_size: 64
  - .agpr_count:     0
    .args:
      - .offset:         0
        .size:           128
        .value_kind:     by_value
    .group_segment_fixed_size: 0
    .kernarg_segment_align: 8
    .kernarg_segment_size: 128
    .language:       OpenCL C
    .language_version:
      - 2
      - 0
    .max_flat_workgroup_size: 128
    .name:           _ZN7rocprim17ROCPRIM_400000_NS6detail17trampoline_kernelINS0_14default_configENS1_25partition_config_selectorILNS1_17partition_subalgoE1ExNS0_10empty_typeEbEEZZNS1_14partition_implILS5_1ELb0ES3_jN6thrust23THRUST_200600_302600_NS6detail15normal_iteratorINSA_10device_ptrIxEEEEPS6_NSA_18transform_iteratorI7is_evenIxESF_NSA_11use_defaultESK_EENS0_5tupleIJSF_SF_EEENSM_IJSG_SG_EEES6_PlJS6_EEE10hipError_tPvRmT3_T4_T5_T6_T7_T9_mT8_P12ihipStream_tbDpT10_ENKUlT_T0_E_clISt17integral_constantIbLb1EES18_IbLb0EEEEDaS14_S15_EUlS14_E_NS1_11comp_targetILNS1_3genE9ELNS1_11target_archE1100ELNS1_3gpuE3ELNS1_3repE0EEENS1_30default_config_static_selectorELNS0_4arch9wavefront6targetE1EEEvT1_
    .private_segment_fixed_size: 0
    .sgpr_count:     4
    .sgpr_spill_count: 0
    .symbol:         _ZN7rocprim17ROCPRIM_400000_NS6detail17trampoline_kernelINS0_14default_configENS1_25partition_config_selectorILNS1_17partition_subalgoE1ExNS0_10empty_typeEbEEZZNS1_14partition_implILS5_1ELb0ES3_jN6thrust23THRUST_200600_302600_NS6detail15normal_iteratorINSA_10device_ptrIxEEEEPS6_NSA_18transform_iteratorI7is_evenIxESF_NSA_11use_defaultESK_EENS0_5tupleIJSF_SF_EEENSM_IJSG_SG_EEES6_PlJS6_EEE10hipError_tPvRmT3_T4_T5_T6_T7_T9_mT8_P12ihipStream_tbDpT10_ENKUlT_T0_E_clISt17integral_constantIbLb1EES18_IbLb0EEEEDaS14_S15_EUlS14_E_NS1_11comp_targetILNS1_3genE9ELNS1_11target_archE1100ELNS1_3gpuE3ELNS1_3repE0EEENS1_30default_config_static_selectorELNS0_4arch9wavefront6targetE1EEEvT1_.kd
    .uniform_work_group_size: 1
    .uses_dynamic_stack: false
    .vgpr_count:     0
    .vgpr_spill_count: 0
    .wavefront_size: 64
  - .agpr_count:     0
    .args:
      - .offset:         0
        .size:           128
        .value_kind:     by_value
    .group_segment_fixed_size: 0
    .kernarg_segment_align: 8
    .kernarg_segment_size: 128
    .language:       OpenCL C
    .language_version:
      - 2
      - 0
    .max_flat_workgroup_size: 512
    .name:           _ZN7rocprim17ROCPRIM_400000_NS6detail17trampoline_kernelINS0_14default_configENS1_25partition_config_selectorILNS1_17partition_subalgoE1ExNS0_10empty_typeEbEEZZNS1_14partition_implILS5_1ELb0ES3_jN6thrust23THRUST_200600_302600_NS6detail15normal_iteratorINSA_10device_ptrIxEEEEPS6_NSA_18transform_iteratorI7is_evenIxESF_NSA_11use_defaultESK_EENS0_5tupleIJSF_SF_EEENSM_IJSG_SG_EEES6_PlJS6_EEE10hipError_tPvRmT3_T4_T5_T6_T7_T9_mT8_P12ihipStream_tbDpT10_ENKUlT_T0_E_clISt17integral_constantIbLb1EES18_IbLb0EEEEDaS14_S15_EUlS14_E_NS1_11comp_targetILNS1_3genE8ELNS1_11target_archE1030ELNS1_3gpuE2ELNS1_3repE0EEENS1_30default_config_static_selectorELNS0_4arch9wavefront6targetE1EEEvT1_
    .private_segment_fixed_size: 0
    .sgpr_count:     4
    .sgpr_spill_count: 0
    .symbol:         _ZN7rocprim17ROCPRIM_400000_NS6detail17trampoline_kernelINS0_14default_configENS1_25partition_config_selectorILNS1_17partition_subalgoE1ExNS0_10empty_typeEbEEZZNS1_14partition_implILS5_1ELb0ES3_jN6thrust23THRUST_200600_302600_NS6detail15normal_iteratorINSA_10device_ptrIxEEEEPS6_NSA_18transform_iteratorI7is_evenIxESF_NSA_11use_defaultESK_EENS0_5tupleIJSF_SF_EEENSM_IJSG_SG_EEES6_PlJS6_EEE10hipError_tPvRmT3_T4_T5_T6_T7_T9_mT8_P12ihipStream_tbDpT10_ENKUlT_T0_E_clISt17integral_constantIbLb1EES18_IbLb0EEEEDaS14_S15_EUlS14_E_NS1_11comp_targetILNS1_3genE8ELNS1_11target_archE1030ELNS1_3gpuE2ELNS1_3repE0EEENS1_30default_config_static_selectorELNS0_4arch9wavefront6targetE1EEEvT1_.kd
    .uniform_work_group_size: 1
    .uses_dynamic_stack: false
    .vgpr_count:     0
    .vgpr_spill_count: 0
    .wavefront_size: 64
  - .agpr_count:     0
    .args:
      - .offset:         0
        .size:           144
        .value_kind:     by_value
    .group_segment_fixed_size: 0
    .kernarg_segment_align: 8
    .kernarg_segment_size: 144
    .language:       OpenCL C
    .language_version:
      - 2
      - 0
    .max_flat_workgroup_size: 128
    .name:           _ZN7rocprim17ROCPRIM_400000_NS6detail17trampoline_kernelINS0_14default_configENS1_25partition_config_selectorILNS1_17partition_subalgoE1ExNS0_10empty_typeEbEEZZNS1_14partition_implILS5_1ELb0ES3_jN6thrust23THRUST_200600_302600_NS6detail15normal_iteratorINSA_10device_ptrIxEEEEPS6_NSA_18transform_iteratorI7is_evenIxESF_NSA_11use_defaultESK_EENS0_5tupleIJSF_SF_EEENSM_IJSG_SG_EEES6_PlJS6_EEE10hipError_tPvRmT3_T4_T5_T6_T7_T9_mT8_P12ihipStream_tbDpT10_ENKUlT_T0_E_clISt17integral_constantIbLb0EES18_IbLb1EEEEDaS14_S15_EUlS14_E_NS1_11comp_targetILNS1_3genE0ELNS1_11target_archE4294967295ELNS1_3gpuE0ELNS1_3repE0EEENS1_30default_config_static_selectorELNS0_4arch9wavefront6targetE1EEEvT1_
    .private_segment_fixed_size: 0
    .sgpr_count:     4
    .sgpr_spill_count: 0
    .symbol:         _ZN7rocprim17ROCPRIM_400000_NS6detail17trampoline_kernelINS0_14default_configENS1_25partition_config_selectorILNS1_17partition_subalgoE1ExNS0_10empty_typeEbEEZZNS1_14partition_implILS5_1ELb0ES3_jN6thrust23THRUST_200600_302600_NS6detail15normal_iteratorINSA_10device_ptrIxEEEEPS6_NSA_18transform_iteratorI7is_evenIxESF_NSA_11use_defaultESK_EENS0_5tupleIJSF_SF_EEENSM_IJSG_SG_EEES6_PlJS6_EEE10hipError_tPvRmT3_T4_T5_T6_T7_T9_mT8_P12ihipStream_tbDpT10_ENKUlT_T0_E_clISt17integral_constantIbLb0EES18_IbLb1EEEEDaS14_S15_EUlS14_E_NS1_11comp_targetILNS1_3genE0ELNS1_11target_archE4294967295ELNS1_3gpuE0ELNS1_3repE0EEENS1_30default_config_static_selectorELNS0_4arch9wavefront6targetE1EEEvT1_.kd
    .uniform_work_group_size: 1
    .uses_dynamic_stack: false
    .vgpr_count:     0
    .vgpr_spill_count: 0
    .wavefront_size: 64
  - .agpr_count:     0
    .args:
      - .offset:         0
        .size:           144
        .value_kind:     by_value
    .group_segment_fixed_size: 0
    .kernarg_segment_align: 8
    .kernarg_segment_size: 144
    .language:       OpenCL C
    .language_version:
      - 2
      - 0
    .max_flat_workgroup_size: 512
    .name:           _ZN7rocprim17ROCPRIM_400000_NS6detail17trampoline_kernelINS0_14default_configENS1_25partition_config_selectorILNS1_17partition_subalgoE1ExNS0_10empty_typeEbEEZZNS1_14partition_implILS5_1ELb0ES3_jN6thrust23THRUST_200600_302600_NS6detail15normal_iteratorINSA_10device_ptrIxEEEEPS6_NSA_18transform_iteratorI7is_evenIxESF_NSA_11use_defaultESK_EENS0_5tupleIJSF_SF_EEENSM_IJSG_SG_EEES6_PlJS6_EEE10hipError_tPvRmT3_T4_T5_T6_T7_T9_mT8_P12ihipStream_tbDpT10_ENKUlT_T0_E_clISt17integral_constantIbLb0EES18_IbLb1EEEEDaS14_S15_EUlS14_E_NS1_11comp_targetILNS1_3genE5ELNS1_11target_archE942ELNS1_3gpuE9ELNS1_3repE0EEENS1_30default_config_static_selectorELNS0_4arch9wavefront6targetE1EEEvT1_
    .private_segment_fixed_size: 0
    .sgpr_count:     4
    .sgpr_spill_count: 0
    .symbol:         _ZN7rocprim17ROCPRIM_400000_NS6detail17trampoline_kernelINS0_14default_configENS1_25partition_config_selectorILNS1_17partition_subalgoE1ExNS0_10empty_typeEbEEZZNS1_14partition_implILS5_1ELb0ES3_jN6thrust23THRUST_200600_302600_NS6detail15normal_iteratorINSA_10device_ptrIxEEEEPS6_NSA_18transform_iteratorI7is_evenIxESF_NSA_11use_defaultESK_EENS0_5tupleIJSF_SF_EEENSM_IJSG_SG_EEES6_PlJS6_EEE10hipError_tPvRmT3_T4_T5_T6_T7_T9_mT8_P12ihipStream_tbDpT10_ENKUlT_T0_E_clISt17integral_constantIbLb0EES18_IbLb1EEEEDaS14_S15_EUlS14_E_NS1_11comp_targetILNS1_3genE5ELNS1_11target_archE942ELNS1_3gpuE9ELNS1_3repE0EEENS1_30default_config_static_selectorELNS0_4arch9wavefront6targetE1EEEvT1_.kd
    .uniform_work_group_size: 1
    .uses_dynamic_stack: false
    .vgpr_count:     0
    .vgpr_spill_count: 0
    .wavefront_size: 64
  - .agpr_count:     0
    .args:
      - .offset:         0
        .size:           144
        .value_kind:     by_value
    .group_segment_fixed_size: 6344
    .kernarg_segment_align: 8
    .kernarg_segment_size: 144
    .language:       OpenCL C
    .language_version:
      - 2
      - 0
    .max_flat_workgroup_size: 192
    .name:           _ZN7rocprim17ROCPRIM_400000_NS6detail17trampoline_kernelINS0_14default_configENS1_25partition_config_selectorILNS1_17partition_subalgoE1ExNS0_10empty_typeEbEEZZNS1_14partition_implILS5_1ELb0ES3_jN6thrust23THRUST_200600_302600_NS6detail15normal_iteratorINSA_10device_ptrIxEEEEPS6_NSA_18transform_iteratorI7is_evenIxESF_NSA_11use_defaultESK_EENS0_5tupleIJSF_SF_EEENSM_IJSG_SG_EEES6_PlJS6_EEE10hipError_tPvRmT3_T4_T5_T6_T7_T9_mT8_P12ihipStream_tbDpT10_ENKUlT_T0_E_clISt17integral_constantIbLb0EES18_IbLb1EEEEDaS14_S15_EUlS14_E_NS1_11comp_targetILNS1_3genE4ELNS1_11target_archE910ELNS1_3gpuE8ELNS1_3repE0EEENS1_30default_config_static_selectorELNS0_4arch9wavefront6targetE1EEEvT1_
    .private_segment_fixed_size: 0
    .sgpr_count:     48
    .sgpr_spill_count: 0
    .symbol:         _ZN7rocprim17ROCPRIM_400000_NS6detail17trampoline_kernelINS0_14default_configENS1_25partition_config_selectorILNS1_17partition_subalgoE1ExNS0_10empty_typeEbEEZZNS1_14partition_implILS5_1ELb0ES3_jN6thrust23THRUST_200600_302600_NS6detail15normal_iteratorINSA_10device_ptrIxEEEEPS6_NSA_18transform_iteratorI7is_evenIxESF_NSA_11use_defaultESK_EENS0_5tupleIJSF_SF_EEENSM_IJSG_SG_EEES6_PlJS6_EEE10hipError_tPvRmT3_T4_T5_T6_T7_T9_mT8_P12ihipStream_tbDpT10_ENKUlT_T0_E_clISt17integral_constantIbLb0EES18_IbLb1EEEEDaS14_S15_EUlS14_E_NS1_11comp_targetILNS1_3genE4ELNS1_11target_archE910ELNS1_3gpuE8ELNS1_3repE0EEENS1_30default_config_static_selectorELNS0_4arch9wavefront6targetE1EEEvT1_.kd
    .uniform_work_group_size: 1
    .uses_dynamic_stack: false
    .vgpr_count:     47
    .vgpr_spill_count: 0
    .wavefront_size: 64
  - .agpr_count:     0
    .args:
      - .offset:         0
        .size:           144
        .value_kind:     by_value
    .group_segment_fixed_size: 0
    .kernarg_segment_align: 8
    .kernarg_segment_size: 144
    .language:       OpenCL C
    .language_version:
      - 2
      - 0
    .max_flat_workgroup_size: 128
    .name:           _ZN7rocprim17ROCPRIM_400000_NS6detail17trampoline_kernelINS0_14default_configENS1_25partition_config_selectorILNS1_17partition_subalgoE1ExNS0_10empty_typeEbEEZZNS1_14partition_implILS5_1ELb0ES3_jN6thrust23THRUST_200600_302600_NS6detail15normal_iteratorINSA_10device_ptrIxEEEEPS6_NSA_18transform_iteratorI7is_evenIxESF_NSA_11use_defaultESK_EENS0_5tupleIJSF_SF_EEENSM_IJSG_SG_EEES6_PlJS6_EEE10hipError_tPvRmT3_T4_T5_T6_T7_T9_mT8_P12ihipStream_tbDpT10_ENKUlT_T0_E_clISt17integral_constantIbLb0EES18_IbLb1EEEEDaS14_S15_EUlS14_E_NS1_11comp_targetILNS1_3genE3ELNS1_11target_archE908ELNS1_3gpuE7ELNS1_3repE0EEENS1_30default_config_static_selectorELNS0_4arch9wavefront6targetE1EEEvT1_
    .private_segment_fixed_size: 0
    .sgpr_count:     4
    .sgpr_spill_count: 0
    .symbol:         _ZN7rocprim17ROCPRIM_400000_NS6detail17trampoline_kernelINS0_14default_configENS1_25partition_config_selectorILNS1_17partition_subalgoE1ExNS0_10empty_typeEbEEZZNS1_14partition_implILS5_1ELb0ES3_jN6thrust23THRUST_200600_302600_NS6detail15normal_iteratorINSA_10device_ptrIxEEEEPS6_NSA_18transform_iteratorI7is_evenIxESF_NSA_11use_defaultESK_EENS0_5tupleIJSF_SF_EEENSM_IJSG_SG_EEES6_PlJS6_EEE10hipError_tPvRmT3_T4_T5_T6_T7_T9_mT8_P12ihipStream_tbDpT10_ENKUlT_T0_E_clISt17integral_constantIbLb0EES18_IbLb1EEEEDaS14_S15_EUlS14_E_NS1_11comp_targetILNS1_3genE3ELNS1_11target_archE908ELNS1_3gpuE7ELNS1_3repE0EEENS1_30default_config_static_selectorELNS0_4arch9wavefront6targetE1EEEvT1_.kd
    .uniform_work_group_size: 1
    .uses_dynamic_stack: false
    .vgpr_count:     0
    .vgpr_spill_count: 0
    .wavefront_size: 64
  - .agpr_count:     0
    .args:
      - .offset:         0
        .size:           144
        .value_kind:     by_value
    .group_segment_fixed_size: 0
    .kernarg_segment_align: 8
    .kernarg_segment_size: 144
    .language:       OpenCL C
    .language_version:
      - 2
      - 0
    .max_flat_workgroup_size: 256
    .name:           _ZN7rocprim17ROCPRIM_400000_NS6detail17trampoline_kernelINS0_14default_configENS1_25partition_config_selectorILNS1_17partition_subalgoE1ExNS0_10empty_typeEbEEZZNS1_14partition_implILS5_1ELb0ES3_jN6thrust23THRUST_200600_302600_NS6detail15normal_iteratorINSA_10device_ptrIxEEEEPS6_NSA_18transform_iteratorI7is_evenIxESF_NSA_11use_defaultESK_EENS0_5tupleIJSF_SF_EEENSM_IJSG_SG_EEES6_PlJS6_EEE10hipError_tPvRmT3_T4_T5_T6_T7_T9_mT8_P12ihipStream_tbDpT10_ENKUlT_T0_E_clISt17integral_constantIbLb0EES18_IbLb1EEEEDaS14_S15_EUlS14_E_NS1_11comp_targetILNS1_3genE2ELNS1_11target_archE906ELNS1_3gpuE6ELNS1_3repE0EEENS1_30default_config_static_selectorELNS0_4arch9wavefront6targetE1EEEvT1_
    .private_segment_fixed_size: 0
    .sgpr_count:     4
    .sgpr_spill_count: 0
    .symbol:         _ZN7rocprim17ROCPRIM_400000_NS6detail17trampoline_kernelINS0_14default_configENS1_25partition_config_selectorILNS1_17partition_subalgoE1ExNS0_10empty_typeEbEEZZNS1_14partition_implILS5_1ELb0ES3_jN6thrust23THRUST_200600_302600_NS6detail15normal_iteratorINSA_10device_ptrIxEEEEPS6_NSA_18transform_iteratorI7is_evenIxESF_NSA_11use_defaultESK_EENS0_5tupleIJSF_SF_EEENSM_IJSG_SG_EEES6_PlJS6_EEE10hipError_tPvRmT3_T4_T5_T6_T7_T9_mT8_P12ihipStream_tbDpT10_ENKUlT_T0_E_clISt17integral_constantIbLb0EES18_IbLb1EEEEDaS14_S15_EUlS14_E_NS1_11comp_targetILNS1_3genE2ELNS1_11target_archE906ELNS1_3gpuE6ELNS1_3repE0EEENS1_30default_config_static_selectorELNS0_4arch9wavefront6targetE1EEEvT1_.kd
    .uniform_work_group_size: 1
    .uses_dynamic_stack: false
    .vgpr_count:     0
    .vgpr_spill_count: 0
    .wavefront_size: 64
  - .agpr_count:     0
    .args:
      - .offset:         0
        .size:           144
        .value_kind:     by_value
    .group_segment_fixed_size: 0
    .kernarg_segment_align: 8
    .kernarg_segment_size: 144
    .language:       OpenCL C
    .language_version:
      - 2
      - 0
    .max_flat_workgroup_size: 256
    .name:           _ZN7rocprim17ROCPRIM_400000_NS6detail17trampoline_kernelINS0_14default_configENS1_25partition_config_selectorILNS1_17partition_subalgoE1ExNS0_10empty_typeEbEEZZNS1_14partition_implILS5_1ELb0ES3_jN6thrust23THRUST_200600_302600_NS6detail15normal_iteratorINSA_10device_ptrIxEEEEPS6_NSA_18transform_iteratorI7is_evenIxESF_NSA_11use_defaultESK_EENS0_5tupleIJSF_SF_EEENSM_IJSG_SG_EEES6_PlJS6_EEE10hipError_tPvRmT3_T4_T5_T6_T7_T9_mT8_P12ihipStream_tbDpT10_ENKUlT_T0_E_clISt17integral_constantIbLb0EES18_IbLb1EEEEDaS14_S15_EUlS14_E_NS1_11comp_targetILNS1_3genE10ELNS1_11target_archE1200ELNS1_3gpuE4ELNS1_3repE0EEENS1_30default_config_static_selectorELNS0_4arch9wavefront6targetE1EEEvT1_
    .private_segment_fixed_size: 0
    .sgpr_count:     4
    .sgpr_spill_count: 0
    .symbol:         _ZN7rocprim17ROCPRIM_400000_NS6detail17trampoline_kernelINS0_14default_configENS1_25partition_config_selectorILNS1_17partition_subalgoE1ExNS0_10empty_typeEbEEZZNS1_14partition_implILS5_1ELb0ES3_jN6thrust23THRUST_200600_302600_NS6detail15normal_iteratorINSA_10device_ptrIxEEEEPS6_NSA_18transform_iteratorI7is_evenIxESF_NSA_11use_defaultESK_EENS0_5tupleIJSF_SF_EEENSM_IJSG_SG_EEES6_PlJS6_EEE10hipError_tPvRmT3_T4_T5_T6_T7_T9_mT8_P12ihipStream_tbDpT10_ENKUlT_T0_E_clISt17integral_constantIbLb0EES18_IbLb1EEEEDaS14_S15_EUlS14_E_NS1_11comp_targetILNS1_3genE10ELNS1_11target_archE1200ELNS1_3gpuE4ELNS1_3repE0EEENS1_30default_config_static_selectorELNS0_4arch9wavefront6targetE1EEEvT1_.kd
    .uniform_work_group_size: 1
    .uses_dynamic_stack: false
    .vgpr_count:     0
    .vgpr_spill_count: 0
    .wavefront_size: 64
  - .agpr_count:     0
    .args:
      - .offset:         0
        .size:           144
        .value_kind:     by_value
    .group_segment_fixed_size: 0
    .kernarg_segment_align: 8
    .kernarg_segment_size: 144
    .language:       OpenCL C
    .language_version:
      - 2
      - 0
    .max_flat_workgroup_size: 128
    .name:           _ZN7rocprim17ROCPRIM_400000_NS6detail17trampoline_kernelINS0_14default_configENS1_25partition_config_selectorILNS1_17partition_subalgoE1ExNS0_10empty_typeEbEEZZNS1_14partition_implILS5_1ELb0ES3_jN6thrust23THRUST_200600_302600_NS6detail15normal_iteratorINSA_10device_ptrIxEEEEPS6_NSA_18transform_iteratorI7is_evenIxESF_NSA_11use_defaultESK_EENS0_5tupleIJSF_SF_EEENSM_IJSG_SG_EEES6_PlJS6_EEE10hipError_tPvRmT3_T4_T5_T6_T7_T9_mT8_P12ihipStream_tbDpT10_ENKUlT_T0_E_clISt17integral_constantIbLb0EES18_IbLb1EEEEDaS14_S15_EUlS14_E_NS1_11comp_targetILNS1_3genE9ELNS1_11target_archE1100ELNS1_3gpuE3ELNS1_3repE0EEENS1_30default_config_static_selectorELNS0_4arch9wavefront6targetE1EEEvT1_
    .private_segment_fixed_size: 0
    .sgpr_count:     4
    .sgpr_spill_count: 0
    .symbol:         _ZN7rocprim17ROCPRIM_400000_NS6detail17trampoline_kernelINS0_14default_configENS1_25partition_config_selectorILNS1_17partition_subalgoE1ExNS0_10empty_typeEbEEZZNS1_14partition_implILS5_1ELb0ES3_jN6thrust23THRUST_200600_302600_NS6detail15normal_iteratorINSA_10device_ptrIxEEEEPS6_NSA_18transform_iteratorI7is_evenIxESF_NSA_11use_defaultESK_EENS0_5tupleIJSF_SF_EEENSM_IJSG_SG_EEES6_PlJS6_EEE10hipError_tPvRmT3_T4_T5_T6_T7_T9_mT8_P12ihipStream_tbDpT10_ENKUlT_T0_E_clISt17integral_constantIbLb0EES18_IbLb1EEEEDaS14_S15_EUlS14_E_NS1_11comp_targetILNS1_3genE9ELNS1_11target_archE1100ELNS1_3gpuE3ELNS1_3repE0EEENS1_30default_config_static_selectorELNS0_4arch9wavefront6targetE1EEEvT1_.kd
    .uniform_work_group_size: 1
    .uses_dynamic_stack: false
    .vgpr_count:     0
    .vgpr_spill_count: 0
    .wavefront_size: 64
  - .agpr_count:     0
    .args:
      - .offset:         0
        .size:           144
        .value_kind:     by_value
    .group_segment_fixed_size: 0
    .kernarg_segment_align: 8
    .kernarg_segment_size: 144
    .language:       OpenCL C
    .language_version:
      - 2
      - 0
    .max_flat_workgroup_size: 512
    .name:           _ZN7rocprim17ROCPRIM_400000_NS6detail17trampoline_kernelINS0_14default_configENS1_25partition_config_selectorILNS1_17partition_subalgoE1ExNS0_10empty_typeEbEEZZNS1_14partition_implILS5_1ELb0ES3_jN6thrust23THRUST_200600_302600_NS6detail15normal_iteratorINSA_10device_ptrIxEEEEPS6_NSA_18transform_iteratorI7is_evenIxESF_NSA_11use_defaultESK_EENS0_5tupleIJSF_SF_EEENSM_IJSG_SG_EEES6_PlJS6_EEE10hipError_tPvRmT3_T4_T5_T6_T7_T9_mT8_P12ihipStream_tbDpT10_ENKUlT_T0_E_clISt17integral_constantIbLb0EES18_IbLb1EEEEDaS14_S15_EUlS14_E_NS1_11comp_targetILNS1_3genE8ELNS1_11target_archE1030ELNS1_3gpuE2ELNS1_3repE0EEENS1_30default_config_static_selectorELNS0_4arch9wavefront6targetE1EEEvT1_
    .private_segment_fixed_size: 0
    .sgpr_count:     4
    .sgpr_spill_count: 0
    .symbol:         _ZN7rocprim17ROCPRIM_400000_NS6detail17trampoline_kernelINS0_14default_configENS1_25partition_config_selectorILNS1_17partition_subalgoE1ExNS0_10empty_typeEbEEZZNS1_14partition_implILS5_1ELb0ES3_jN6thrust23THRUST_200600_302600_NS6detail15normal_iteratorINSA_10device_ptrIxEEEEPS6_NSA_18transform_iteratorI7is_evenIxESF_NSA_11use_defaultESK_EENS0_5tupleIJSF_SF_EEENSM_IJSG_SG_EEES6_PlJS6_EEE10hipError_tPvRmT3_T4_T5_T6_T7_T9_mT8_P12ihipStream_tbDpT10_ENKUlT_T0_E_clISt17integral_constantIbLb0EES18_IbLb1EEEEDaS14_S15_EUlS14_E_NS1_11comp_targetILNS1_3genE8ELNS1_11target_archE1030ELNS1_3gpuE2ELNS1_3repE0EEENS1_30default_config_static_selectorELNS0_4arch9wavefront6targetE1EEEvT1_.kd
    .uniform_work_group_size: 1
    .uses_dynamic_stack: false
    .vgpr_count:     0
    .vgpr_spill_count: 0
    .wavefront_size: 64
  - .agpr_count:     0
    .args:
      - .offset:         0
        .size:           128
        .value_kind:     by_value
    .group_segment_fixed_size: 0
    .kernarg_segment_align: 8
    .kernarg_segment_size: 128
    .language:       OpenCL C
    .language_version:
      - 2
      - 0
    .max_flat_workgroup_size: 256
    .name:           _ZN7rocprim17ROCPRIM_400000_NS6detail17trampoline_kernelINS0_14default_configENS1_25partition_config_selectorILNS1_17partition_subalgoE1EiNS0_10empty_typeEbEEZZNS1_14partition_implILS5_1ELb0ES3_jN6thrust23THRUST_200600_302600_NS6detail15normal_iteratorINSA_10device_ptrIiEEEEPS6_NSA_18transform_iteratorI7is_evenIiESF_NSA_11use_defaultESK_EENS0_5tupleIJSF_SF_EEENSM_IJSG_SG_EEES6_PlJS6_EEE10hipError_tPvRmT3_T4_T5_T6_T7_T9_mT8_P12ihipStream_tbDpT10_ENKUlT_T0_E_clISt17integral_constantIbLb0EES19_EEDaS14_S15_EUlS14_E_NS1_11comp_targetILNS1_3genE0ELNS1_11target_archE4294967295ELNS1_3gpuE0ELNS1_3repE0EEENS1_30default_config_static_selectorELNS0_4arch9wavefront6targetE1EEEvT1_
    .private_segment_fixed_size: 0
    .sgpr_count:     4
    .sgpr_spill_count: 0
    .symbol:         _ZN7rocprim17ROCPRIM_400000_NS6detail17trampoline_kernelINS0_14default_configENS1_25partition_config_selectorILNS1_17partition_subalgoE1EiNS0_10empty_typeEbEEZZNS1_14partition_implILS5_1ELb0ES3_jN6thrust23THRUST_200600_302600_NS6detail15normal_iteratorINSA_10device_ptrIiEEEEPS6_NSA_18transform_iteratorI7is_evenIiESF_NSA_11use_defaultESK_EENS0_5tupleIJSF_SF_EEENSM_IJSG_SG_EEES6_PlJS6_EEE10hipError_tPvRmT3_T4_T5_T6_T7_T9_mT8_P12ihipStream_tbDpT10_ENKUlT_T0_E_clISt17integral_constantIbLb0EES19_EEDaS14_S15_EUlS14_E_NS1_11comp_targetILNS1_3genE0ELNS1_11target_archE4294967295ELNS1_3gpuE0ELNS1_3repE0EEENS1_30default_config_static_selectorELNS0_4arch9wavefront6targetE1EEEvT1_.kd
    .uniform_work_group_size: 1
    .uses_dynamic_stack: false
    .vgpr_count:     0
    .vgpr_spill_count: 0
    .wavefront_size: 64
  - .agpr_count:     0
    .args:
      - .offset:         0
        .size:           128
        .value_kind:     by_value
    .group_segment_fixed_size: 0
    .kernarg_segment_align: 8
    .kernarg_segment_size: 128
    .language:       OpenCL C
    .language_version:
      - 2
      - 0
    .max_flat_workgroup_size: 512
    .name:           _ZN7rocprim17ROCPRIM_400000_NS6detail17trampoline_kernelINS0_14default_configENS1_25partition_config_selectorILNS1_17partition_subalgoE1EiNS0_10empty_typeEbEEZZNS1_14partition_implILS5_1ELb0ES3_jN6thrust23THRUST_200600_302600_NS6detail15normal_iteratorINSA_10device_ptrIiEEEEPS6_NSA_18transform_iteratorI7is_evenIiESF_NSA_11use_defaultESK_EENS0_5tupleIJSF_SF_EEENSM_IJSG_SG_EEES6_PlJS6_EEE10hipError_tPvRmT3_T4_T5_T6_T7_T9_mT8_P12ihipStream_tbDpT10_ENKUlT_T0_E_clISt17integral_constantIbLb0EES19_EEDaS14_S15_EUlS14_E_NS1_11comp_targetILNS1_3genE5ELNS1_11target_archE942ELNS1_3gpuE9ELNS1_3repE0EEENS1_30default_config_static_selectorELNS0_4arch9wavefront6targetE1EEEvT1_
    .private_segment_fixed_size: 0
    .sgpr_count:     4
    .sgpr_spill_count: 0
    .symbol:         _ZN7rocprim17ROCPRIM_400000_NS6detail17trampoline_kernelINS0_14default_configENS1_25partition_config_selectorILNS1_17partition_subalgoE1EiNS0_10empty_typeEbEEZZNS1_14partition_implILS5_1ELb0ES3_jN6thrust23THRUST_200600_302600_NS6detail15normal_iteratorINSA_10device_ptrIiEEEEPS6_NSA_18transform_iteratorI7is_evenIiESF_NSA_11use_defaultESK_EENS0_5tupleIJSF_SF_EEENSM_IJSG_SG_EEES6_PlJS6_EEE10hipError_tPvRmT3_T4_T5_T6_T7_T9_mT8_P12ihipStream_tbDpT10_ENKUlT_T0_E_clISt17integral_constantIbLb0EES19_EEDaS14_S15_EUlS14_E_NS1_11comp_targetILNS1_3genE5ELNS1_11target_archE942ELNS1_3gpuE9ELNS1_3repE0EEENS1_30default_config_static_selectorELNS0_4arch9wavefront6targetE1EEEvT1_.kd
    .uniform_work_group_size: 1
    .uses_dynamic_stack: false
    .vgpr_count:     0
    .vgpr_spill_count: 0
    .wavefront_size: 64
  - .agpr_count:     0
    .args:
      - .offset:         0
        .size:           128
        .value_kind:     by_value
    .group_segment_fixed_size: 7176
    .kernarg_segment_align: 8
    .kernarg_segment_size: 128
    .language:       OpenCL C
    .language_version:
      - 2
      - 0
    .max_flat_workgroup_size: 256
    .name:           _ZN7rocprim17ROCPRIM_400000_NS6detail17trampoline_kernelINS0_14default_configENS1_25partition_config_selectorILNS1_17partition_subalgoE1EiNS0_10empty_typeEbEEZZNS1_14partition_implILS5_1ELb0ES3_jN6thrust23THRUST_200600_302600_NS6detail15normal_iteratorINSA_10device_ptrIiEEEEPS6_NSA_18transform_iteratorI7is_evenIiESF_NSA_11use_defaultESK_EENS0_5tupleIJSF_SF_EEENSM_IJSG_SG_EEES6_PlJS6_EEE10hipError_tPvRmT3_T4_T5_T6_T7_T9_mT8_P12ihipStream_tbDpT10_ENKUlT_T0_E_clISt17integral_constantIbLb0EES19_EEDaS14_S15_EUlS14_E_NS1_11comp_targetILNS1_3genE4ELNS1_11target_archE910ELNS1_3gpuE8ELNS1_3repE0EEENS1_30default_config_static_selectorELNS0_4arch9wavefront6targetE1EEEvT1_
    .private_segment_fixed_size: 0
    .sgpr_count:     48
    .sgpr_spill_count: 0
    .symbol:         _ZN7rocprim17ROCPRIM_400000_NS6detail17trampoline_kernelINS0_14default_configENS1_25partition_config_selectorILNS1_17partition_subalgoE1EiNS0_10empty_typeEbEEZZNS1_14partition_implILS5_1ELb0ES3_jN6thrust23THRUST_200600_302600_NS6detail15normal_iteratorINSA_10device_ptrIiEEEEPS6_NSA_18transform_iteratorI7is_evenIiESF_NSA_11use_defaultESK_EENS0_5tupleIJSF_SF_EEENSM_IJSG_SG_EEES6_PlJS6_EEE10hipError_tPvRmT3_T4_T5_T6_T7_T9_mT8_P12ihipStream_tbDpT10_ENKUlT_T0_E_clISt17integral_constantIbLb0EES19_EEDaS14_S15_EUlS14_E_NS1_11comp_targetILNS1_3genE4ELNS1_11target_archE910ELNS1_3gpuE8ELNS1_3repE0EEENS1_30default_config_static_selectorELNS0_4arch9wavefront6targetE1EEEvT1_.kd
    .uniform_work_group_size: 1
    .uses_dynamic_stack: false
    .vgpr_count:     47
    .vgpr_spill_count: 0
    .wavefront_size: 64
  - .agpr_count:     0
    .args:
      - .offset:         0
        .size:           128
        .value_kind:     by_value
    .group_segment_fixed_size: 0
    .kernarg_segment_align: 8
    .kernarg_segment_size: 128
    .language:       OpenCL C
    .language_version:
      - 2
      - 0
    .max_flat_workgroup_size: 256
    .name:           _ZN7rocprim17ROCPRIM_400000_NS6detail17trampoline_kernelINS0_14default_configENS1_25partition_config_selectorILNS1_17partition_subalgoE1EiNS0_10empty_typeEbEEZZNS1_14partition_implILS5_1ELb0ES3_jN6thrust23THRUST_200600_302600_NS6detail15normal_iteratorINSA_10device_ptrIiEEEEPS6_NSA_18transform_iteratorI7is_evenIiESF_NSA_11use_defaultESK_EENS0_5tupleIJSF_SF_EEENSM_IJSG_SG_EEES6_PlJS6_EEE10hipError_tPvRmT3_T4_T5_T6_T7_T9_mT8_P12ihipStream_tbDpT10_ENKUlT_T0_E_clISt17integral_constantIbLb0EES19_EEDaS14_S15_EUlS14_E_NS1_11comp_targetILNS1_3genE3ELNS1_11target_archE908ELNS1_3gpuE7ELNS1_3repE0EEENS1_30default_config_static_selectorELNS0_4arch9wavefront6targetE1EEEvT1_
    .private_segment_fixed_size: 0
    .sgpr_count:     4
    .sgpr_spill_count: 0
    .symbol:         _ZN7rocprim17ROCPRIM_400000_NS6detail17trampoline_kernelINS0_14default_configENS1_25partition_config_selectorILNS1_17partition_subalgoE1EiNS0_10empty_typeEbEEZZNS1_14partition_implILS5_1ELb0ES3_jN6thrust23THRUST_200600_302600_NS6detail15normal_iteratorINSA_10device_ptrIiEEEEPS6_NSA_18transform_iteratorI7is_evenIiESF_NSA_11use_defaultESK_EENS0_5tupleIJSF_SF_EEENSM_IJSG_SG_EEES6_PlJS6_EEE10hipError_tPvRmT3_T4_T5_T6_T7_T9_mT8_P12ihipStream_tbDpT10_ENKUlT_T0_E_clISt17integral_constantIbLb0EES19_EEDaS14_S15_EUlS14_E_NS1_11comp_targetILNS1_3genE3ELNS1_11target_archE908ELNS1_3gpuE7ELNS1_3repE0EEENS1_30default_config_static_selectorELNS0_4arch9wavefront6targetE1EEEvT1_.kd
    .uniform_work_group_size: 1
    .uses_dynamic_stack: false
    .vgpr_count:     0
    .vgpr_spill_count: 0
    .wavefront_size: 64
  - .agpr_count:     0
    .args:
      - .offset:         0
        .size:           128
        .value_kind:     by_value
    .group_segment_fixed_size: 0
    .kernarg_segment_align: 8
    .kernarg_segment_size: 128
    .language:       OpenCL C
    .language_version:
      - 2
      - 0
    .max_flat_workgroup_size: 256
    .name:           _ZN7rocprim17ROCPRIM_400000_NS6detail17trampoline_kernelINS0_14default_configENS1_25partition_config_selectorILNS1_17partition_subalgoE1EiNS0_10empty_typeEbEEZZNS1_14partition_implILS5_1ELb0ES3_jN6thrust23THRUST_200600_302600_NS6detail15normal_iteratorINSA_10device_ptrIiEEEEPS6_NSA_18transform_iteratorI7is_evenIiESF_NSA_11use_defaultESK_EENS0_5tupleIJSF_SF_EEENSM_IJSG_SG_EEES6_PlJS6_EEE10hipError_tPvRmT3_T4_T5_T6_T7_T9_mT8_P12ihipStream_tbDpT10_ENKUlT_T0_E_clISt17integral_constantIbLb0EES19_EEDaS14_S15_EUlS14_E_NS1_11comp_targetILNS1_3genE2ELNS1_11target_archE906ELNS1_3gpuE6ELNS1_3repE0EEENS1_30default_config_static_selectorELNS0_4arch9wavefront6targetE1EEEvT1_
    .private_segment_fixed_size: 0
    .sgpr_count:     4
    .sgpr_spill_count: 0
    .symbol:         _ZN7rocprim17ROCPRIM_400000_NS6detail17trampoline_kernelINS0_14default_configENS1_25partition_config_selectorILNS1_17partition_subalgoE1EiNS0_10empty_typeEbEEZZNS1_14partition_implILS5_1ELb0ES3_jN6thrust23THRUST_200600_302600_NS6detail15normal_iteratorINSA_10device_ptrIiEEEEPS6_NSA_18transform_iteratorI7is_evenIiESF_NSA_11use_defaultESK_EENS0_5tupleIJSF_SF_EEENSM_IJSG_SG_EEES6_PlJS6_EEE10hipError_tPvRmT3_T4_T5_T6_T7_T9_mT8_P12ihipStream_tbDpT10_ENKUlT_T0_E_clISt17integral_constantIbLb0EES19_EEDaS14_S15_EUlS14_E_NS1_11comp_targetILNS1_3genE2ELNS1_11target_archE906ELNS1_3gpuE6ELNS1_3repE0EEENS1_30default_config_static_selectorELNS0_4arch9wavefront6targetE1EEEvT1_.kd
    .uniform_work_group_size: 1
    .uses_dynamic_stack: false
    .vgpr_count:     0
    .vgpr_spill_count: 0
    .wavefront_size: 64
  - .agpr_count:     0
    .args:
      - .offset:         0
        .size:           128
        .value_kind:     by_value
    .group_segment_fixed_size: 0
    .kernarg_segment_align: 8
    .kernarg_segment_size: 128
    .language:       OpenCL C
    .language_version:
      - 2
      - 0
    .max_flat_workgroup_size: 256
    .name:           _ZN7rocprim17ROCPRIM_400000_NS6detail17trampoline_kernelINS0_14default_configENS1_25partition_config_selectorILNS1_17partition_subalgoE1EiNS0_10empty_typeEbEEZZNS1_14partition_implILS5_1ELb0ES3_jN6thrust23THRUST_200600_302600_NS6detail15normal_iteratorINSA_10device_ptrIiEEEEPS6_NSA_18transform_iteratorI7is_evenIiESF_NSA_11use_defaultESK_EENS0_5tupleIJSF_SF_EEENSM_IJSG_SG_EEES6_PlJS6_EEE10hipError_tPvRmT3_T4_T5_T6_T7_T9_mT8_P12ihipStream_tbDpT10_ENKUlT_T0_E_clISt17integral_constantIbLb0EES19_EEDaS14_S15_EUlS14_E_NS1_11comp_targetILNS1_3genE10ELNS1_11target_archE1200ELNS1_3gpuE4ELNS1_3repE0EEENS1_30default_config_static_selectorELNS0_4arch9wavefront6targetE1EEEvT1_
    .private_segment_fixed_size: 0
    .sgpr_count:     4
    .sgpr_spill_count: 0
    .symbol:         _ZN7rocprim17ROCPRIM_400000_NS6detail17trampoline_kernelINS0_14default_configENS1_25partition_config_selectorILNS1_17partition_subalgoE1EiNS0_10empty_typeEbEEZZNS1_14partition_implILS5_1ELb0ES3_jN6thrust23THRUST_200600_302600_NS6detail15normal_iteratorINSA_10device_ptrIiEEEEPS6_NSA_18transform_iteratorI7is_evenIiESF_NSA_11use_defaultESK_EENS0_5tupleIJSF_SF_EEENSM_IJSG_SG_EEES6_PlJS6_EEE10hipError_tPvRmT3_T4_T5_T6_T7_T9_mT8_P12ihipStream_tbDpT10_ENKUlT_T0_E_clISt17integral_constantIbLb0EES19_EEDaS14_S15_EUlS14_E_NS1_11comp_targetILNS1_3genE10ELNS1_11target_archE1200ELNS1_3gpuE4ELNS1_3repE0EEENS1_30default_config_static_selectorELNS0_4arch9wavefront6targetE1EEEvT1_.kd
    .uniform_work_group_size: 1
    .uses_dynamic_stack: false
    .vgpr_count:     0
    .vgpr_spill_count: 0
    .wavefront_size: 64
  - .agpr_count:     0
    .args:
      - .offset:         0
        .size:           128
        .value_kind:     by_value
    .group_segment_fixed_size: 0
    .kernarg_segment_align: 8
    .kernarg_segment_size: 128
    .language:       OpenCL C
    .language_version:
      - 2
      - 0
    .max_flat_workgroup_size: 128
    .name:           _ZN7rocprim17ROCPRIM_400000_NS6detail17trampoline_kernelINS0_14default_configENS1_25partition_config_selectorILNS1_17partition_subalgoE1EiNS0_10empty_typeEbEEZZNS1_14partition_implILS5_1ELb0ES3_jN6thrust23THRUST_200600_302600_NS6detail15normal_iteratorINSA_10device_ptrIiEEEEPS6_NSA_18transform_iteratorI7is_evenIiESF_NSA_11use_defaultESK_EENS0_5tupleIJSF_SF_EEENSM_IJSG_SG_EEES6_PlJS6_EEE10hipError_tPvRmT3_T4_T5_T6_T7_T9_mT8_P12ihipStream_tbDpT10_ENKUlT_T0_E_clISt17integral_constantIbLb0EES19_EEDaS14_S15_EUlS14_E_NS1_11comp_targetILNS1_3genE9ELNS1_11target_archE1100ELNS1_3gpuE3ELNS1_3repE0EEENS1_30default_config_static_selectorELNS0_4arch9wavefront6targetE1EEEvT1_
    .private_segment_fixed_size: 0
    .sgpr_count:     4
    .sgpr_spill_count: 0
    .symbol:         _ZN7rocprim17ROCPRIM_400000_NS6detail17trampoline_kernelINS0_14default_configENS1_25partition_config_selectorILNS1_17partition_subalgoE1EiNS0_10empty_typeEbEEZZNS1_14partition_implILS5_1ELb0ES3_jN6thrust23THRUST_200600_302600_NS6detail15normal_iteratorINSA_10device_ptrIiEEEEPS6_NSA_18transform_iteratorI7is_evenIiESF_NSA_11use_defaultESK_EENS0_5tupleIJSF_SF_EEENSM_IJSG_SG_EEES6_PlJS6_EEE10hipError_tPvRmT3_T4_T5_T6_T7_T9_mT8_P12ihipStream_tbDpT10_ENKUlT_T0_E_clISt17integral_constantIbLb0EES19_EEDaS14_S15_EUlS14_E_NS1_11comp_targetILNS1_3genE9ELNS1_11target_archE1100ELNS1_3gpuE3ELNS1_3repE0EEENS1_30default_config_static_selectorELNS0_4arch9wavefront6targetE1EEEvT1_.kd
    .uniform_work_group_size: 1
    .uses_dynamic_stack: false
    .vgpr_count:     0
    .vgpr_spill_count: 0
    .wavefront_size: 64
  - .agpr_count:     0
    .args:
      - .offset:         0
        .size:           128
        .value_kind:     by_value
    .group_segment_fixed_size: 0
    .kernarg_segment_align: 8
    .kernarg_segment_size: 128
    .language:       OpenCL C
    .language_version:
      - 2
      - 0
    .max_flat_workgroup_size: 512
    .name:           _ZN7rocprim17ROCPRIM_400000_NS6detail17trampoline_kernelINS0_14default_configENS1_25partition_config_selectorILNS1_17partition_subalgoE1EiNS0_10empty_typeEbEEZZNS1_14partition_implILS5_1ELb0ES3_jN6thrust23THRUST_200600_302600_NS6detail15normal_iteratorINSA_10device_ptrIiEEEEPS6_NSA_18transform_iteratorI7is_evenIiESF_NSA_11use_defaultESK_EENS0_5tupleIJSF_SF_EEENSM_IJSG_SG_EEES6_PlJS6_EEE10hipError_tPvRmT3_T4_T5_T6_T7_T9_mT8_P12ihipStream_tbDpT10_ENKUlT_T0_E_clISt17integral_constantIbLb0EES19_EEDaS14_S15_EUlS14_E_NS1_11comp_targetILNS1_3genE8ELNS1_11target_archE1030ELNS1_3gpuE2ELNS1_3repE0EEENS1_30default_config_static_selectorELNS0_4arch9wavefront6targetE1EEEvT1_
    .private_segment_fixed_size: 0
    .sgpr_count:     4
    .sgpr_spill_count: 0
    .symbol:         _ZN7rocprim17ROCPRIM_400000_NS6detail17trampoline_kernelINS0_14default_configENS1_25partition_config_selectorILNS1_17partition_subalgoE1EiNS0_10empty_typeEbEEZZNS1_14partition_implILS5_1ELb0ES3_jN6thrust23THRUST_200600_302600_NS6detail15normal_iteratorINSA_10device_ptrIiEEEEPS6_NSA_18transform_iteratorI7is_evenIiESF_NSA_11use_defaultESK_EENS0_5tupleIJSF_SF_EEENSM_IJSG_SG_EEES6_PlJS6_EEE10hipError_tPvRmT3_T4_T5_T6_T7_T9_mT8_P12ihipStream_tbDpT10_ENKUlT_T0_E_clISt17integral_constantIbLb0EES19_EEDaS14_S15_EUlS14_E_NS1_11comp_targetILNS1_3genE8ELNS1_11target_archE1030ELNS1_3gpuE2ELNS1_3repE0EEENS1_30default_config_static_selectorELNS0_4arch9wavefront6targetE1EEEvT1_.kd
    .uniform_work_group_size: 1
    .uses_dynamic_stack: false
    .vgpr_count:     0
    .vgpr_spill_count: 0
    .wavefront_size: 64
  - .agpr_count:     0
    .args:
      - .offset:         0
        .size:           144
        .value_kind:     by_value
    .group_segment_fixed_size: 0
    .kernarg_segment_align: 8
    .kernarg_segment_size: 144
    .language:       OpenCL C
    .language_version:
      - 2
      - 0
    .max_flat_workgroup_size: 256
    .name:           _ZN7rocprim17ROCPRIM_400000_NS6detail17trampoline_kernelINS0_14default_configENS1_25partition_config_selectorILNS1_17partition_subalgoE1EiNS0_10empty_typeEbEEZZNS1_14partition_implILS5_1ELb0ES3_jN6thrust23THRUST_200600_302600_NS6detail15normal_iteratorINSA_10device_ptrIiEEEEPS6_NSA_18transform_iteratorI7is_evenIiESF_NSA_11use_defaultESK_EENS0_5tupleIJSF_SF_EEENSM_IJSG_SG_EEES6_PlJS6_EEE10hipError_tPvRmT3_T4_T5_T6_T7_T9_mT8_P12ihipStream_tbDpT10_ENKUlT_T0_E_clISt17integral_constantIbLb1EES19_EEDaS14_S15_EUlS14_E_NS1_11comp_targetILNS1_3genE0ELNS1_11target_archE4294967295ELNS1_3gpuE0ELNS1_3repE0EEENS1_30default_config_static_selectorELNS0_4arch9wavefront6targetE1EEEvT1_
    .private_segment_fixed_size: 0
    .sgpr_count:     4
    .sgpr_spill_count: 0
    .symbol:         _ZN7rocprim17ROCPRIM_400000_NS6detail17trampoline_kernelINS0_14default_configENS1_25partition_config_selectorILNS1_17partition_subalgoE1EiNS0_10empty_typeEbEEZZNS1_14partition_implILS5_1ELb0ES3_jN6thrust23THRUST_200600_302600_NS6detail15normal_iteratorINSA_10device_ptrIiEEEEPS6_NSA_18transform_iteratorI7is_evenIiESF_NSA_11use_defaultESK_EENS0_5tupleIJSF_SF_EEENSM_IJSG_SG_EEES6_PlJS6_EEE10hipError_tPvRmT3_T4_T5_T6_T7_T9_mT8_P12ihipStream_tbDpT10_ENKUlT_T0_E_clISt17integral_constantIbLb1EES19_EEDaS14_S15_EUlS14_E_NS1_11comp_targetILNS1_3genE0ELNS1_11target_archE4294967295ELNS1_3gpuE0ELNS1_3repE0EEENS1_30default_config_static_selectorELNS0_4arch9wavefront6targetE1EEEvT1_.kd
    .uniform_work_group_size: 1
    .uses_dynamic_stack: false
    .vgpr_count:     0
    .vgpr_spill_count: 0
    .wavefront_size: 64
  - .agpr_count:     0
    .args:
      - .offset:         0
        .size:           144
        .value_kind:     by_value
    .group_segment_fixed_size: 0
    .kernarg_segment_align: 8
    .kernarg_segment_size: 144
    .language:       OpenCL C
    .language_version:
      - 2
      - 0
    .max_flat_workgroup_size: 512
    .name:           _ZN7rocprim17ROCPRIM_400000_NS6detail17trampoline_kernelINS0_14default_configENS1_25partition_config_selectorILNS1_17partition_subalgoE1EiNS0_10empty_typeEbEEZZNS1_14partition_implILS5_1ELb0ES3_jN6thrust23THRUST_200600_302600_NS6detail15normal_iteratorINSA_10device_ptrIiEEEEPS6_NSA_18transform_iteratorI7is_evenIiESF_NSA_11use_defaultESK_EENS0_5tupleIJSF_SF_EEENSM_IJSG_SG_EEES6_PlJS6_EEE10hipError_tPvRmT3_T4_T5_T6_T7_T9_mT8_P12ihipStream_tbDpT10_ENKUlT_T0_E_clISt17integral_constantIbLb1EES19_EEDaS14_S15_EUlS14_E_NS1_11comp_targetILNS1_3genE5ELNS1_11target_archE942ELNS1_3gpuE9ELNS1_3repE0EEENS1_30default_config_static_selectorELNS0_4arch9wavefront6targetE1EEEvT1_
    .private_segment_fixed_size: 0
    .sgpr_count:     4
    .sgpr_spill_count: 0
    .symbol:         _ZN7rocprim17ROCPRIM_400000_NS6detail17trampoline_kernelINS0_14default_configENS1_25partition_config_selectorILNS1_17partition_subalgoE1EiNS0_10empty_typeEbEEZZNS1_14partition_implILS5_1ELb0ES3_jN6thrust23THRUST_200600_302600_NS6detail15normal_iteratorINSA_10device_ptrIiEEEEPS6_NSA_18transform_iteratorI7is_evenIiESF_NSA_11use_defaultESK_EENS0_5tupleIJSF_SF_EEENSM_IJSG_SG_EEES6_PlJS6_EEE10hipError_tPvRmT3_T4_T5_T6_T7_T9_mT8_P12ihipStream_tbDpT10_ENKUlT_T0_E_clISt17integral_constantIbLb1EES19_EEDaS14_S15_EUlS14_E_NS1_11comp_targetILNS1_3genE5ELNS1_11target_archE942ELNS1_3gpuE9ELNS1_3repE0EEENS1_30default_config_static_selectorELNS0_4arch9wavefront6targetE1EEEvT1_.kd
    .uniform_work_group_size: 1
    .uses_dynamic_stack: false
    .vgpr_count:     0
    .vgpr_spill_count: 0
    .wavefront_size: 64
  - .agpr_count:     0
    .args:
      - .offset:         0
        .size:           144
        .value_kind:     by_value
    .group_segment_fixed_size: 7176
    .kernarg_segment_align: 8
    .kernarg_segment_size: 144
    .language:       OpenCL C
    .language_version:
      - 2
      - 0
    .max_flat_workgroup_size: 256
    .name:           _ZN7rocprim17ROCPRIM_400000_NS6detail17trampoline_kernelINS0_14default_configENS1_25partition_config_selectorILNS1_17partition_subalgoE1EiNS0_10empty_typeEbEEZZNS1_14partition_implILS5_1ELb0ES3_jN6thrust23THRUST_200600_302600_NS6detail15normal_iteratorINSA_10device_ptrIiEEEEPS6_NSA_18transform_iteratorI7is_evenIiESF_NSA_11use_defaultESK_EENS0_5tupleIJSF_SF_EEENSM_IJSG_SG_EEES6_PlJS6_EEE10hipError_tPvRmT3_T4_T5_T6_T7_T9_mT8_P12ihipStream_tbDpT10_ENKUlT_T0_E_clISt17integral_constantIbLb1EES19_EEDaS14_S15_EUlS14_E_NS1_11comp_targetILNS1_3genE4ELNS1_11target_archE910ELNS1_3gpuE8ELNS1_3repE0EEENS1_30default_config_static_selectorELNS0_4arch9wavefront6targetE1EEEvT1_
    .private_segment_fixed_size: 0
    .sgpr_count:     48
    .sgpr_spill_count: 0
    .symbol:         _ZN7rocprim17ROCPRIM_400000_NS6detail17trampoline_kernelINS0_14default_configENS1_25partition_config_selectorILNS1_17partition_subalgoE1EiNS0_10empty_typeEbEEZZNS1_14partition_implILS5_1ELb0ES3_jN6thrust23THRUST_200600_302600_NS6detail15normal_iteratorINSA_10device_ptrIiEEEEPS6_NSA_18transform_iteratorI7is_evenIiESF_NSA_11use_defaultESK_EENS0_5tupleIJSF_SF_EEENSM_IJSG_SG_EEES6_PlJS6_EEE10hipError_tPvRmT3_T4_T5_T6_T7_T9_mT8_P12ihipStream_tbDpT10_ENKUlT_T0_E_clISt17integral_constantIbLb1EES19_EEDaS14_S15_EUlS14_E_NS1_11comp_targetILNS1_3genE4ELNS1_11target_archE910ELNS1_3gpuE8ELNS1_3repE0EEENS1_30default_config_static_selectorELNS0_4arch9wavefront6targetE1EEEvT1_.kd
    .uniform_work_group_size: 1
    .uses_dynamic_stack: false
    .vgpr_count:     51
    .vgpr_spill_count: 0
    .wavefront_size: 64
  - .agpr_count:     0
    .args:
      - .offset:         0
        .size:           144
        .value_kind:     by_value
    .group_segment_fixed_size: 0
    .kernarg_segment_align: 8
    .kernarg_segment_size: 144
    .language:       OpenCL C
    .language_version:
      - 2
      - 0
    .max_flat_workgroup_size: 256
    .name:           _ZN7rocprim17ROCPRIM_400000_NS6detail17trampoline_kernelINS0_14default_configENS1_25partition_config_selectorILNS1_17partition_subalgoE1EiNS0_10empty_typeEbEEZZNS1_14partition_implILS5_1ELb0ES3_jN6thrust23THRUST_200600_302600_NS6detail15normal_iteratorINSA_10device_ptrIiEEEEPS6_NSA_18transform_iteratorI7is_evenIiESF_NSA_11use_defaultESK_EENS0_5tupleIJSF_SF_EEENSM_IJSG_SG_EEES6_PlJS6_EEE10hipError_tPvRmT3_T4_T5_T6_T7_T9_mT8_P12ihipStream_tbDpT10_ENKUlT_T0_E_clISt17integral_constantIbLb1EES19_EEDaS14_S15_EUlS14_E_NS1_11comp_targetILNS1_3genE3ELNS1_11target_archE908ELNS1_3gpuE7ELNS1_3repE0EEENS1_30default_config_static_selectorELNS0_4arch9wavefront6targetE1EEEvT1_
    .private_segment_fixed_size: 0
    .sgpr_count:     4
    .sgpr_spill_count: 0
    .symbol:         _ZN7rocprim17ROCPRIM_400000_NS6detail17trampoline_kernelINS0_14default_configENS1_25partition_config_selectorILNS1_17partition_subalgoE1EiNS0_10empty_typeEbEEZZNS1_14partition_implILS5_1ELb0ES3_jN6thrust23THRUST_200600_302600_NS6detail15normal_iteratorINSA_10device_ptrIiEEEEPS6_NSA_18transform_iteratorI7is_evenIiESF_NSA_11use_defaultESK_EENS0_5tupleIJSF_SF_EEENSM_IJSG_SG_EEES6_PlJS6_EEE10hipError_tPvRmT3_T4_T5_T6_T7_T9_mT8_P12ihipStream_tbDpT10_ENKUlT_T0_E_clISt17integral_constantIbLb1EES19_EEDaS14_S15_EUlS14_E_NS1_11comp_targetILNS1_3genE3ELNS1_11target_archE908ELNS1_3gpuE7ELNS1_3repE0EEENS1_30default_config_static_selectorELNS0_4arch9wavefront6targetE1EEEvT1_.kd
    .uniform_work_group_size: 1
    .uses_dynamic_stack: false
    .vgpr_count:     0
    .vgpr_spill_count: 0
    .wavefront_size: 64
  - .agpr_count:     0
    .args:
      - .offset:         0
        .size:           144
        .value_kind:     by_value
    .group_segment_fixed_size: 0
    .kernarg_segment_align: 8
    .kernarg_segment_size: 144
    .language:       OpenCL C
    .language_version:
      - 2
      - 0
    .max_flat_workgroup_size: 256
    .name:           _ZN7rocprim17ROCPRIM_400000_NS6detail17trampoline_kernelINS0_14default_configENS1_25partition_config_selectorILNS1_17partition_subalgoE1EiNS0_10empty_typeEbEEZZNS1_14partition_implILS5_1ELb0ES3_jN6thrust23THRUST_200600_302600_NS6detail15normal_iteratorINSA_10device_ptrIiEEEEPS6_NSA_18transform_iteratorI7is_evenIiESF_NSA_11use_defaultESK_EENS0_5tupleIJSF_SF_EEENSM_IJSG_SG_EEES6_PlJS6_EEE10hipError_tPvRmT3_T4_T5_T6_T7_T9_mT8_P12ihipStream_tbDpT10_ENKUlT_T0_E_clISt17integral_constantIbLb1EES19_EEDaS14_S15_EUlS14_E_NS1_11comp_targetILNS1_3genE2ELNS1_11target_archE906ELNS1_3gpuE6ELNS1_3repE0EEENS1_30default_config_static_selectorELNS0_4arch9wavefront6targetE1EEEvT1_
    .private_segment_fixed_size: 0
    .sgpr_count:     4
    .sgpr_spill_count: 0
    .symbol:         _ZN7rocprim17ROCPRIM_400000_NS6detail17trampoline_kernelINS0_14default_configENS1_25partition_config_selectorILNS1_17partition_subalgoE1EiNS0_10empty_typeEbEEZZNS1_14partition_implILS5_1ELb0ES3_jN6thrust23THRUST_200600_302600_NS6detail15normal_iteratorINSA_10device_ptrIiEEEEPS6_NSA_18transform_iteratorI7is_evenIiESF_NSA_11use_defaultESK_EENS0_5tupleIJSF_SF_EEENSM_IJSG_SG_EEES6_PlJS6_EEE10hipError_tPvRmT3_T4_T5_T6_T7_T9_mT8_P12ihipStream_tbDpT10_ENKUlT_T0_E_clISt17integral_constantIbLb1EES19_EEDaS14_S15_EUlS14_E_NS1_11comp_targetILNS1_3genE2ELNS1_11target_archE906ELNS1_3gpuE6ELNS1_3repE0EEENS1_30default_config_static_selectorELNS0_4arch9wavefront6targetE1EEEvT1_.kd
    .uniform_work_group_size: 1
    .uses_dynamic_stack: false
    .vgpr_count:     0
    .vgpr_spill_count: 0
    .wavefront_size: 64
  - .agpr_count:     0
    .args:
      - .offset:         0
        .size:           144
        .value_kind:     by_value
    .group_segment_fixed_size: 0
    .kernarg_segment_align: 8
    .kernarg_segment_size: 144
    .language:       OpenCL C
    .language_version:
      - 2
      - 0
    .max_flat_workgroup_size: 256
    .name:           _ZN7rocprim17ROCPRIM_400000_NS6detail17trampoline_kernelINS0_14default_configENS1_25partition_config_selectorILNS1_17partition_subalgoE1EiNS0_10empty_typeEbEEZZNS1_14partition_implILS5_1ELb0ES3_jN6thrust23THRUST_200600_302600_NS6detail15normal_iteratorINSA_10device_ptrIiEEEEPS6_NSA_18transform_iteratorI7is_evenIiESF_NSA_11use_defaultESK_EENS0_5tupleIJSF_SF_EEENSM_IJSG_SG_EEES6_PlJS6_EEE10hipError_tPvRmT3_T4_T5_T6_T7_T9_mT8_P12ihipStream_tbDpT10_ENKUlT_T0_E_clISt17integral_constantIbLb1EES19_EEDaS14_S15_EUlS14_E_NS1_11comp_targetILNS1_3genE10ELNS1_11target_archE1200ELNS1_3gpuE4ELNS1_3repE0EEENS1_30default_config_static_selectorELNS0_4arch9wavefront6targetE1EEEvT1_
    .private_segment_fixed_size: 0
    .sgpr_count:     4
    .sgpr_spill_count: 0
    .symbol:         _ZN7rocprim17ROCPRIM_400000_NS6detail17trampoline_kernelINS0_14default_configENS1_25partition_config_selectorILNS1_17partition_subalgoE1EiNS0_10empty_typeEbEEZZNS1_14partition_implILS5_1ELb0ES3_jN6thrust23THRUST_200600_302600_NS6detail15normal_iteratorINSA_10device_ptrIiEEEEPS6_NSA_18transform_iteratorI7is_evenIiESF_NSA_11use_defaultESK_EENS0_5tupleIJSF_SF_EEENSM_IJSG_SG_EEES6_PlJS6_EEE10hipError_tPvRmT3_T4_T5_T6_T7_T9_mT8_P12ihipStream_tbDpT10_ENKUlT_T0_E_clISt17integral_constantIbLb1EES19_EEDaS14_S15_EUlS14_E_NS1_11comp_targetILNS1_3genE10ELNS1_11target_archE1200ELNS1_3gpuE4ELNS1_3repE0EEENS1_30default_config_static_selectorELNS0_4arch9wavefront6targetE1EEEvT1_.kd
    .uniform_work_group_size: 1
    .uses_dynamic_stack: false
    .vgpr_count:     0
    .vgpr_spill_count: 0
    .wavefront_size: 64
  - .agpr_count:     0
    .args:
      - .offset:         0
        .size:           144
        .value_kind:     by_value
    .group_segment_fixed_size: 0
    .kernarg_segment_align: 8
    .kernarg_segment_size: 144
    .language:       OpenCL C
    .language_version:
      - 2
      - 0
    .max_flat_workgroup_size: 128
    .name:           _ZN7rocprim17ROCPRIM_400000_NS6detail17trampoline_kernelINS0_14default_configENS1_25partition_config_selectorILNS1_17partition_subalgoE1EiNS0_10empty_typeEbEEZZNS1_14partition_implILS5_1ELb0ES3_jN6thrust23THRUST_200600_302600_NS6detail15normal_iteratorINSA_10device_ptrIiEEEEPS6_NSA_18transform_iteratorI7is_evenIiESF_NSA_11use_defaultESK_EENS0_5tupleIJSF_SF_EEENSM_IJSG_SG_EEES6_PlJS6_EEE10hipError_tPvRmT3_T4_T5_T6_T7_T9_mT8_P12ihipStream_tbDpT10_ENKUlT_T0_E_clISt17integral_constantIbLb1EES19_EEDaS14_S15_EUlS14_E_NS1_11comp_targetILNS1_3genE9ELNS1_11target_archE1100ELNS1_3gpuE3ELNS1_3repE0EEENS1_30default_config_static_selectorELNS0_4arch9wavefront6targetE1EEEvT1_
    .private_segment_fixed_size: 0
    .sgpr_count:     4
    .sgpr_spill_count: 0
    .symbol:         _ZN7rocprim17ROCPRIM_400000_NS6detail17trampoline_kernelINS0_14default_configENS1_25partition_config_selectorILNS1_17partition_subalgoE1EiNS0_10empty_typeEbEEZZNS1_14partition_implILS5_1ELb0ES3_jN6thrust23THRUST_200600_302600_NS6detail15normal_iteratorINSA_10device_ptrIiEEEEPS6_NSA_18transform_iteratorI7is_evenIiESF_NSA_11use_defaultESK_EENS0_5tupleIJSF_SF_EEENSM_IJSG_SG_EEES6_PlJS6_EEE10hipError_tPvRmT3_T4_T5_T6_T7_T9_mT8_P12ihipStream_tbDpT10_ENKUlT_T0_E_clISt17integral_constantIbLb1EES19_EEDaS14_S15_EUlS14_E_NS1_11comp_targetILNS1_3genE9ELNS1_11target_archE1100ELNS1_3gpuE3ELNS1_3repE0EEENS1_30default_config_static_selectorELNS0_4arch9wavefront6targetE1EEEvT1_.kd
    .uniform_work_group_size: 1
    .uses_dynamic_stack: false
    .vgpr_count:     0
    .vgpr_spill_count: 0
    .wavefront_size: 64
  - .agpr_count:     0
    .args:
      - .offset:         0
        .size:           144
        .value_kind:     by_value
    .group_segment_fixed_size: 0
    .kernarg_segment_align: 8
    .kernarg_segment_size: 144
    .language:       OpenCL C
    .language_version:
      - 2
      - 0
    .max_flat_workgroup_size: 512
    .name:           _ZN7rocprim17ROCPRIM_400000_NS6detail17trampoline_kernelINS0_14default_configENS1_25partition_config_selectorILNS1_17partition_subalgoE1EiNS0_10empty_typeEbEEZZNS1_14partition_implILS5_1ELb0ES3_jN6thrust23THRUST_200600_302600_NS6detail15normal_iteratorINSA_10device_ptrIiEEEEPS6_NSA_18transform_iteratorI7is_evenIiESF_NSA_11use_defaultESK_EENS0_5tupleIJSF_SF_EEENSM_IJSG_SG_EEES6_PlJS6_EEE10hipError_tPvRmT3_T4_T5_T6_T7_T9_mT8_P12ihipStream_tbDpT10_ENKUlT_T0_E_clISt17integral_constantIbLb1EES19_EEDaS14_S15_EUlS14_E_NS1_11comp_targetILNS1_3genE8ELNS1_11target_archE1030ELNS1_3gpuE2ELNS1_3repE0EEENS1_30default_config_static_selectorELNS0_4arch9wavefront6targetE1EEEvT1_
    .private_segment_fixed_size: 0
    .sgpr_count:     4
    .sgpr_spill_count: 0
    .symbol:         _ZN7rocprim17ROCPRIM_400000_NS6detail17trampoline_kernelINS0_14default_configENS1_25partition_config_selectorILNS1_17partition_subalgoE1EiNS0_10empty_typeEbEEZZNS1_14partition_implILS5_1ELb0ES3_jN6thrust23THRUST_200600_302600_NS6detail15normal_iteratorINSA_10device_ptrIiEEEEPS6_NSA_18transform_iteratorI7is_evenIiESF_NSA_11use_defaultESK_EENS0_5tupleIJSF_SF_EEENSM_IJSG_SG_EEES6_PlJS6_EEE10hipError_tPvRmT3_T4_T5_T6_T7_T9_mT8_P12ihipStream_tbDpT10_ENKUlT_T0_E_clISt17integral_constantIbLb1EES19_EEDaS14_S15_EUlS14_E_NS1_11comp_targetILNS1_3genE8ELNS1_11target_archE1030ELNS1_3gpuE2ELNS1_3repE0EEENS1_30default_config_static_selectorELNS0_4arch9wavefront6targetE1EEEvT1_.kd
    .uniform_work_group_size: 1
    .uses_dynamic_stack: false
    .vgpr_count:     0
    .vgpr_spill_count: 0
    .wavefront_size: 64
  - .agpr_count:     0
    .args:
      - .offset:         0
        .size:           128
        .value_kind:     by_value
    .group_segment_fixed_size: 0
    .kernarg_segment_align: 8
    .kernarg_segment_size: 128
    .language:       OpenCL C
    .language_version:
      - 2
      - 0
    .max_flat_workgroup_size: 256
    .name:           _ZN7rocprim17ROCPRIM_400000_NS6detail17trampoline_kernelINS0_14default_configENS1_25partition_config_selectorILNS1_17partition_subalgoE1EiNS0_10empty_typeEbEEZZNS1_14partition_implILS5_1ELb0ES3_jN6thrust23THRUST_200600_302600_NS6detail15normal_iteratorINSA_10device_ptrIiEEEEPS6_NSA_18transform_iteratorI7is_evenIiESF_NSA_11use_defaultESK_EENS0_5tupleIJSF_SF_EEENSM_IJSG_SG_EEES6_PlJS6_EEE10hipError_tPvRmT3_T4_T5_T6_T7_T9_mT8_P12ihipStream_tbDpT10_ENKUlT_T0_E_clISt17integral_constantIbLb1EES18_IbLb0EEEEDaS14_S15_EUlS14_E_NS1_11comp_targetILNS1_3genE0ELNS1_11target_archE4294967295ELNS1_3gpuE0ELNS1_3repE0EEENS1_30default_config_static_selectorELNS0_4arch9wavefront6targetE1EEEvT1_
    .private_segment_fixed_size: 0
    .sgpr_count:     4
    .sgpr_spill_count: 0
    .symbol:         _ZN7rocprim17ROCPRIM_400000_NS6detail17trampoline_kernelINS0_14default_configENS1_25partition_config_selectorILNS1_17partition_subalgoE1EiNS0_10empty_typeEbEEZZNS1_14partition_implILS5_1ELb0ES3_jN6thrust23THRUST_200600_302600_NS6detail15normal_iteratorINSA_10device_ptrIiEEEEPS6_NSA_18transform_iteratorI7is_evenIiESF_NSA_11use_defaultESK_EENS0_5tupleIJSF_SF_EEENSM_IJSG_SG_EEES6_PlJS6_EEE10hipError_tPvRmT3_T4_T5_T6_T7_T9_mT8_P12ihipStream_tbDpT10_ENKUlT_T0_E_clISt17integral_constantIbLb1EES18_IbLb0EEEEDaS14_S15_EUlS14_E_NS1_11comp_targetILNS1_3genE0ELNS1_11target_archE4294967295ELNS1_3gpuE0ELNS1_3repE0EEENS1_30default_config_static_selectorELNS0_4arch9wavefront6targetE1EEEvT1_.kd
    .uniform_work_group_size: 1
    .uses_dynamic_stack: false
    .vgpr_count:     0
    .vgpr_spill_count: 0
    .wavefront_size: 64
  - .agpr_count:     0
    .args:
      - .offset:         0
        .size:           128
        .value_kind:     by_value
    .group_segment_fixed_size: 0
    .kernarg_segment_align: 8
    .kernarg_segment_size: 128
    .language:       OpenCL C
    .language_version:
      - 2
      - 0
    .max_flat_workgroup_size: 512
    .name:           _ZN7rocprim17ROCPRIM_400000_NS6detail17trampoline_kernelINS0_14default_configENS1_25partition_config_selectorILNS1_17partition_subalgoE1EiNS0_10empty_typeEbEEZZNS1_14partition_implILS5_1ELb0ES3_jN6thrust23THRUST_200600_302600_NS6detail15normal_iteratorINSA_10device_ptrIiEEEEPS6_NSA_18transform_iteratorI7is_evenIiESF_NSA_11use_defaultESK_EENS0_5tupleIJSF_SF_EEENSM_IJSG_SG_EEES6_PlJS6_EEE10hipError_tPvRmT3_T4_T5_T6_T7_T9_mT8_P12ihipStream_tbDpT10_ENKUlT_T0_E_clISt17integral_constantIbLb1EES18_IbLb0EEEEDaS14_S15_EUlS14_E_NS1_11comp_targetILNS1_3genE5ELNS1_11target_archE942ELNS1_3gpuE9ELNS1_3repE0EEENS1_30default_config_static_selectorELNS0_4arch9wavefront6targetE1EEEvT1_
    .private_segment_fixed_size: 0
    .sgpr_count:     4
    .sgpr_spill_count: 0
    .symbol:         _ZN7rocprim17ROCPRIM_400000_NS6detail17trampoline_kernelINS0_14default_configENS1_25partition_config_selectorILNS1_17partition_subalgoE1EiNS0_10empty_typeEbEEZZNS1_14partition_implILS5_1ELb0ES3_jN6thrust23THRUST_200600_302600_NS6detail15normal_iteratorINSA_10device_ptrIiEEEEPS6_NSA_18transform_iteratorI7is_evenIiESF_NSA_11use_defaultESK_EENS0_5tupleIJSF_SF_EEENSM_IJSG_SG_EEES6_PlJS6_EEE10hipError_tPvRmT3_T4_T5_T6_T7_T9_mT8_P12ihipStream_tbDpT10_ENKUlT_T0_E_clISt17integral_constantIbLb1EES18_IbLb0EEEEDaS14_S15_EUlS14_E_NS1_11comp_targetILNS1_3genE5ELNS1_11target_archE942ELNS1_3gpuE9ELNS1_3repE0EEENS1_30default_config_static_selectorELNS0_4arch9wavefront6targetE1EEEvT1_.kd
    .uniform_work_group_size: 1
    .uses_dynamic_stack: false
    .vgpr_count:     0
    .vgpr_spill_count: 0
    .wavefront_size: 64
  - .agpr_count:     0
    .args:
      - .offset:         0
        .size:           128
        .value_kind:     by_value
    .group_segment_fixed_size: 7176
    .kernarg_segment_align: 8
    .kernarg_segment_size: 128
    .language:       OpenCL C
    .language_version:
      - 2
      - 0
    .max_flat_workgroup_size: 256
    .name:           _ZN7rocprim17ROCPRIM_400000_NS6detail17trampoline_kernelINS0_14default_configENS1_25partition_config_selectorILNS1_17partition_subalgoE1EiNS0_10empty_typeEbEEZZNS1_14partition_implILS5_1ELb0ES3_jN6thrust23THRUST_200600_302600_NS6detail15normal_iteratorINSA_10device_ptrIiEEEEPS6_NSA_18transform_iteratorI7is_evenIiESF_NSA_11use_defaultESK_EENS0_5tupleIJSF_SF_EEENSM_IJSG_SG_EEES6_PlJS6_EEE10hipError_tPvRmT3_T4_T5_T6_T7_T9_mT8_P12ihipStream_tbDpT10_ENKUlT_T0_E_clISt17integral_constantIbLb1EES18_IbLb0EEEEDaS14_S15_EUlS14_E_NS1_11comp_targetILNS1_3genE4ELNS1_11target_archE910ELNS1_3gpuE8ELNS1_3repE0EEENS1_30default_config_static_selectorELNS0_4arch9wavefront6targetE1EEEvT1_
    .private_segment_fixed_size: 0
    .sgpr_count:     48
    .sgpr_spill_count: 0
    .symbol:         _ZN7rocprim17ROCPRIM_400000_NS6detail17trampoline_kernelINS0_14default_configENS1_25partition_config_selectorILNS1_17partition_subalgoE1EiNS0_10empty_typeEbEEZZNS1_14partition_implILS5_1ELb0ES3_jN6thrust23THRUST_200600_302600_NS6detail15normal_iteratorINSA_10device_ptrIiEEEEPS6_NSA_18transform_iteratorI7is_evenIiESF_NSA_11use_defaultESK_EENS0_5tupleIJSF_SF_EEENSM_IJSG_SG_EEES6_PlJS6_EEE10hipError_tPvRmT3_T4_T5_T6_T7_T9_mT8_P12ihipStream_tbDpT10_ENKUlT_T0_E_clISt17integral_constantIbLb1EES18_IbLb0EEEEDaS14_S15_EUlS14_E_NS1_11comp_targetILNS1_3genE4ELNS1_11target_archE910ELNS1_3gpuE8ELNS1_3repE0EEENS1_30default_config_static_selectorELNS0_4arch9wavefront6targetE1EEEvT1_.kd
    .uniform_work_group_size: 1
    .uses_dynamic_stack: false
    .vgpr_count:     47
    .vgpr_spill_count: 0
    .wavefront_size: 64
  - .agpr_count:     0
    .args:
      - .offset:         0
        .size:           128
        .value_kind:     by_value
    .group_segment_fixed_size: 0
    .kernarg_segment_align: 8
    .kernarg_segment_size: 128
    .language:       OpenCL C
    .language_version:
      - 2
      - 0
    .max_flat_workgroup_size: 256
    .name:           _ZN7rocprim17ROCPRIM_400000_NS6detail17trampoline_kernelINS0_14default_configENS1_25partition_config_selectorILNS1_17partition_subalgoE1EiNS0_10empty_typeEbEEZZNS1_14partition_implILS5_1ELb0ES3_jN6thrust23THRUST_200600_302600_NS6detail15normal_iteratorINSA_10device_ptrIiEEEEPS6_NSA_18transform_iteratorI7is_evenIiESF_NSA_11use_defaultESK_EENS0_5tupleIJSF_SF_EEENSM_IJSG_SG_EEES6_PlJS6_EEE10hipError_tPvRmT3_T4_T5_T6_T7_T9_mT8_P12ihipStream_tbDpT10_ENKUlT_T0_E_clISt17integral_constantIbLb1EES18_IbLb0EEEEDaS14_S15_EUlS14_E_NS1_11comp_targetILNS1_3genE3ELNS1_11target_archE908ELNS1_3gpuE7ELNS1_3repE0EEENS1_30default_config_static_selectorELNS0_4arch9wavefront6targetE1EEEvT1_
    .private_segment_fixed_size: 0
    .sgpr_count:     4
    .sgpr_spill_count: 0
    .symbol:         _ZN7rocprim17ROCPRIM_400000_NS6detail17trampoline_kernelINS0_14default_configENS1_25partition_config_selectorILNS1_17partition_subalgoE1EiNS0_10empty_typeEbEEZZNS1_14partition_implILS5_1ELb0ES3_jN6thrust23THRUST_200600_302600_NS6detail15normal_iteratorINSA_10device_ptrIiEEEEPS6_NSA_18transform_iteratorI7is_evenIiESF_NSA_11use_defaultESK_EENS0_5tupleIJSF_SF_EEENSM_IJSG_SG_EEES6_PlJS6_EEE10hipError_tPvRmT3_T4_T5_T6_T7_T9_mT8_P12ihipStream_tbDpT10_ENKUlT_T0_E_clISt17integral_constantIbLb1EES18_IbLb0EEEEDaS14_S15_EUlS14_E_NS1_11comp_targetILNS1_3genE3ELNS1_11target_archE908ELNS1_3gpuE7ELNS1_3repE0EEENS1_30default_config_static_selectorELNS0_4arch9wavefront6targetE1EEEvT1_.kd
    .uniform_work_group_size: 1
    .uses_dynamic_stack: false
    .vgpr_count:     0
    .vgpr_spill_count: 0
    .wavefront_size: 64
  - .agpr_count:     0
    .args:
      - .offset:         0
        .size:           128
        .value_kind:     by_value
    .group_segment_fixed_size: 0
    .kernarg_segment_align: 8
    .kernarg_segment_size: 128
    .language:       OpenCL C
    .language_version:
      - 2
      - 0
    .max_flat_workgroup_size: 256
    .name:           _ZN7rocprim17ROCPRIM_400000_NS6detail17trampoline_kernelINS0_14default_configENS1_25partition_config_selectorILNS1_17partition_subalgoE1EiNS0_10empty_typeEbEEZZNS1_14partition_implILS5_1ELb0ES3_jN6thrust23THRUST_200600_302600_NS6detail15normal_iteratorINSA_10device_ptrIiEEEEPS6_NSA_18transform_iteratorI7is_evenIiESF_NSA_11use_defaultESK_EENS0_5tupleIJSF_SF_EEENSM_IJSG_SG_EEES6_PlJS6_EEE10hipError_tPvRmT3_T4_T5_T6_T7_T9_mT8_P12ihipStream_tbDpT10_ENKUlT_T0_E_clISt17integral_constantIbLb1EES18_IbLb0EEEEDaS14_S15_EUlS14_E_NS1_11comp_targetILNS1_3genE2ELNS1_11target_archE906ELNS1_3gpuE6ELNS1_3repE0EEENS1_30default_config_static_selectorELNS0_4arch9wavefront6targetE1EEEvT1_
    .private_segment_fixed_size: 0
    .sgpr_count:     4
    .sgpr_spill_count: 0
    .symbol:         _ZN7rocprim17ROCPRIM_400000_NS6detail17trampoline_kernelINS0_14default_configENS1_25partition_config_selectorILNS1_17partition_subalgoE1EiNS0_10empty_typeEbEEZZNS1_14partition_implILS5_1ELb0ES3_jN6thrust23THRUST_200600_302600_NS6detail15normal_iteratorINSA_10device_ptrIiEEEEPS6_NSA_18transform_iteratorI7is_evenIiESF_NSA_11use_defaultESK_EENS0_5tupleIJSF_SF_EEENSM_IJSG_SG_EEES6_PlJS6_EEE10hipError_tPvRmT3_T4_T5_T6_T7_T9_mT8_P12ihipStream_tbDpT10_ENKUlT_T0_E_clISt17integral_constantIbLb1EES18_IbLb0EEEEDaS14_S15_EUlS14_E_NS1_11comp_targetILNS1_3genE2ELNS1_11target_archE906ELNS1_3gpuE6ELNS1_3repE0EEENS1_30default_config_static_selectorELNS0_4arch9wavefront6targetE1EEEvT1_.kd
    .uniform_work_group_size: 1
    .uses_dynamic_stack: false
    .vgpr_count:     0
    .vgpr_spill_count: 0
    .wavefront_size: 64
  - .agpr_count:     0
    .args:
      - .offset:         0
        .size:           128
        .value_kind:     by_value
    .group_segment_fixed_size: 0
    .kernarg_segment_align: 8
    .kernarg_segment_size: 128
    .language:       OpenCL C
    .language_version:
      - 2
      - 0
    .max_flat_workgroup_size: 256
    .name:           _ZN7rocprim17ROCPRIM_400000_NS6detail17trampoline_kernelINS0_14default_configENS1_25partition_config_selectorILNS1_17partition_subalgoE1EiNS0_10empty_typeEbEEZZNS1_14partition_implILS5_1ELb0ES3_jN6thrust23THRUST_200600_302600_NS6detail15normal_iteratorINSA_10device_ptrIiEEEEPS6_NSA_18transform_iteratorI7is_evenIiESF_NSA_11use_defaultESK_EENS0_5tupleIJSF_SF_EEENSM_IJSG_SG_EEES6_PlJS6_EEE10hipError_tPvRmT3_T4_T5_T6_T7_T9_mT8_P12ihipStream_tbDpT10_ENKUlT_T0_E_clISt17integral_constantIbLb1EES18_IbLb0EEEEDaS14_S15_EUlS14_E_NS1_11comp_targetILNS1_3genE10ELNS1_11target_archE1200ELNS1_3gpuE4ELNS1_3repE0EEENS1_30default_config_static_selectorELNS0_4arch9wavefront6targetE1EEEvT1_
    .private_segment_fixed_size: 0
    .sgpr_count:     4
    .sgpr_spill_count: 0
    .symbol:         _ZN7rocprim17ROCPRIM_400000_NS6detail17trampoline_kernelINS0_14default_configENS1_25partition_config_selectorILNS1_17partition_subalgoE1EiNS0_10empty_typeEbEEZZNS1_14partition_implILS5_1ELb0ES3_jN6thrust23THRUST_200600_302600_NS6detail15normal_iteratorINSA_10device_ptrIiEEEEPS6_NSA_18transform_iteratorI7is_evenIiESF_NSA_11use_defaultESK_EENS0_5tupleIJSF_SF_EEENSM_IJSG_SG_EEES6_PlJS6_EEE10hipError_tPvRmT3_T4_T5_T6_T7_T9_mT8_P12ihipStream_tbDpT10_ENKUlT_T0_E_clISt17integral_constantIbLb1EES18_IbLb0EEEEDaS14_S15_EUlS14_E_NS1_11comp_targetILNS1_3genE10ELNS1_11target_archE1200ELNS1_3gpuE4ELNS1_3repE0EEENS1_30default_config_static_selectorELNS0_4arch9wavefront6targetE1EEEvT1_.kd
    .uniform_work_group_size: 1
    .uses_dynamic_stack: false
    .vgpr_count:     0
    .vgpr_spill_count: 0
    .wavefront_size: 64
  - .agpr_count:     0
    .args:
      - .offset:         0
        .size:           128
        .value_kind:     by_value
    .group_segment_fixed_size: 0
    .kernarg_segment_align: 8
    .kernarg_segment_size: 128
    .language:       OpenCL C
    .language_version:
      - 2
      - 0
    .max_flat_workgroup_size: 128
    .name:           _ZN7rocprim17ROCPRIM_400000_NS6detail17trampoline_kernelINS0_14default_configENS1_25partition_config_selectorILNS1_17partition_subalgoE1EiNS0_10empty_typeEbEEZZNS1_14partition_implILS5_1ELb0ES3_jN6thrust23THRUST_200600_302600_NS6detail15normal_iteratorINSA_10device_ptrIiEEEEPS6_NSA_18transform_iteratorI7is_evenIiESF_NSA_11use_defaultESK_EENS0_5tupleIJSF_SF_EEENSM_IJSG_SG_EEES6_PlJS6_EEE10hipError_tPvRmT3_T4_T5_T6_T7_T9_mT8_P12ihipStream_tbDpT10_ENKUlT_T0_E_clISt17integral_constantIbLb1EES18_IbLb0EEEEDaS14_S15_EUlS14_E_NS1_11comp_targetILNS1_3genE9ELNS1_11target_archE1100ELNS1_3gpuE3ELNS1_3repE0EEENS1_30default_config_static_selectorELNS0_4arch9wavefront6targetE1EEEvT1_
    .private_segment_fixed_size: 0
    .sgpr_count:     4
    .sgpr_spill_count: 0
    .symbol:         _ZN7rocprim17ROCPRIM_400000_NS6detail17trampoline_kernelINS0_14default_configENS1_25partition_config_selectorILNS1_17partition_subalgoE1EiNS0_10empty_typeEbEEZZNS1_14partition_implILS5_1ELb0ES3_jN6thrust23THRUST_200600_302600_NS6detail15normal_iteratorINSA_10device_ptrIiEEEEPS6_NSA_18transform_iteratorI7is_evenIiESF_NSA_11use_defaultESK_EENS0_5tupleIJSF_SF_EEENSM_IJSG_SG_EEES6_PlJS6_EEE10hipError_tPvRmT3_T4_T5_T6_T7_T9_mT8_P12ihipStream_tbDpT10_ENKUlT_T0_E_clISt17integral_constantIbLb1EES18_IbLb0EEEEDaS14_S15_EUlS14_E_NS1_11comp_targetILNS1_3genE9ELNS1_11target_archE1100ELNS1_3gpuE3ELNS1_3repE0EEENS1_30default_config_static_selectorELNS0_4arch9wavefront6targetE1EEEvT1_.kd
    .uniform_work_group_size: 1
    .uses_dynamic_stack: false
    .vgpr_count:     0
    .vgpr_spill_count: 0
    .wavefront_size: 64
  - .agpr_count:     0
    .args:
      - .offset:         0
        .size:           128
        .value_kind:     by_value
    .group_segment_fixed_size: 0
    .kernarg_segment_align: 8
    .kernarg_segment_size: 128
    .language:       OpenCL C
    .language_version:
      - 2
      - 0
    .max_flat_workgroup_size: 512
    .name:           _ZN7rocprim17ROCPRIM_400000_NS6detail17trampoline_kernelINS0_14default_configENS1_25partition_config_selectorILNS1_17partition_subalgoE1EiNS0_10empty_typeEbEEZZNS1_14partition_implILS5_1ELb0ES3_jN6thrust23THRUST_200600_302600_NS6detail15normal_iteratorINSA_10device_ptrIiEEEEPS6_NSA_18transform_iteratorI7is_evenIiESF_NSA_11use_defaultESK_EENS0_5tupleIJSF_SF_EEENSM_IJSG_SG_EEES6_PlJS6_EEE10hipError_tPvRmT3_T4_T5_T6_T7_T9_mT8_P12ihipStream_tbDpT10_ENKUlT_T0_E_clISt17integral_constantIbLb1EES18_IbLb0EEEEDaS14_S15_EUlS14_E_NS1_11comp_targetILNS1_3genE8ELNS1_11target_archE1030ELNS1_3gpuE2ELNS1_3repE0EEENS1_30default_config_static_selectorELNS0_4arch9wavefront6targetE1EEEvT1_
    .private_segment_fixed_size: 0
    .sgpr_count:     4
    .sgpr_spill_count: 0
    .symbol:         _ZN7rocprim17ROCPRIM_400000_NS6detail17trampoline_kernelINS0_14default_configENS1_25partition_config_selectorILNS1_17partition_subalgoE1EiNS0_10empty_typeEbEEZZNS1_14partition_implILS5_1ELb0ES3_jN6thrust23THRUST_200600_302600_NS6detail15normal_iteratorINSA_10device_ptrIiEEEEPS6_NSA_18transform_iteratorI7is_evenIiESF_NSA_11use_defaultESK_EENS0_5tupleIJSF_SF_EEENSM_IJSG_SG_EEES6_PlJS6_EEE10hipError_tPvRmT3_T4_T5_T6_T7_T9_mT8_P12ihipStream_tbDpT10_ENKUlT_T0_E_clISt17integral_constantIbLb1EES18_IbLb0EEEEDaS14_S15_EUlS14_E_NS1_11comp_targetILNS1_3genE8ELNS1_11target_archE1030ELNS1_3gpuE2ELNS1_3repE0EEENS1_30default_config_static_selectorELNS0_4arch9wavefront6targetE1EEEvT1_.kd
    .uniform_work_group_size: 1
    .uses_dynamic_stack: false
    .vgpr_count:     0
    .vgpr_spill_count: 0
    .wavefront_size: 64
  - .agpr_count:     0
    .args:
      - .offset:         0
        .size:           144
        .value_kind:     by_value
    .group_segment_fixed_size: 0
    .kernarg_segment_align: 8
    .kernarg_segment_size: 144
    .language:       OpenCL C
    .language_version:
      - 2
      - 0
    .max_flat_workgroup_size: 256
    .name:           _ZN7rocprim17ROCPRIM_400000_NS6detail17trampoline_kernelINS0_14default_configENS1_25partition_config_selectorILNS1_17partition_subalgoE1EiNS0_10empty_typeEbEEZZNS1_14partition_implILS5_1ELb0ES3_jN6thrust23THRUST_200600_302600_NS6detail15normal_iteratorINSA_10device_ptrIiEEEEPS6_NSA_18transform_iteratorI7is_evenIiESF_NSA_11use_defaultESK_EENS0_5tupleIJSF_SF_EEENSM_IJSG_SG_EEES6_PlJS6_EEE10hipError_tPvRmT3_T4_T5_T6_T7_T9_mT8_P12ihipStream_tbDpT10_ENKUlT_T0_E_clISt17integral_constantIbLb0EES18_IbLb1EEEEDaS14_S15_EUlS14_E_NS1_11comp_targetILNS1_3genE0ELNS1_11target_archE4294967295ELNS1_3gpuE0ELNS1_3repE0EEENS1_30default_config_static_selectorELNS0_4arch9wavefront6targetE1EEEvT1_
    .private_segment_fixed_size: 0
    .sgpr_count:     4
    .sgpr_spill_count: 0
    .symbol:         _ZN7rocprim17ROCPRIM_400000_NS6detail17trampoline_kernelINS0_14default_configENS1_25partition_config_selectorILNS1_17partition_subalgoE1EiNS0_10empty_typeEbEEZZNS1_14partition_implILS5_1ELb0ES3_jN6thrust23THRUST_200600_302600_NS6detail15normal_iteratorINSA_10device_ptrIiEEEEPS6_NSA_18transform_iteratorI7is_evenIiESF_NSA_11use_defaultESK_EENS0_5tupleIJSF_SF_EEENSM_IJSG_SG_EEES6_PlJS6_EEE10hipError_tPvRmT3_T4_T5_T6_T7_T9_mT8_P12ihipStream_tbDpT10_ENKUlT_T0_E_clISt17integral_constantIbLb0EES18_IbLb1EEEEDaS14_S15_EUlS14_E_NS1_11comp_targetILNS1_3genE0ELNS1_11target_archE4294967295ELNS1_3gpuE0ELNS1_3repE0EEENS1_30default_config_static_selectorELNS0_4arch9wavefront6targetE1EEEvT1_.kd
    .uniform_work_group_size: 1
    .uses_dynamic_stack: false
    .vgpr_count:     0
    .vgpr_spill_count: 0
    .wavefront_size: 64
  - .agpr_count:     0
    .args:
      - .offset:         0
        .size:           144
        .value_kind:     by_value
    .group_segment_fixed_size: 0
    .kernarg_segment_align: 8
    .kernarg_segment_size: 144
    .language:       OpenCL C
    .language_version:
      - 2
      - 0
    .max_flat_workgroup_size: 512
    .name:           _ZN7rocprim17ROCPRIM_400000_NS6detail17trampoline_kernelINS0_14default_configENS1_25partition_config_selectorILNS1_17partition_subalgoE1EiNS0_10empty_typeEbEEZZNS1_14partition_implILS5_1ELb0ES3_jN6thrust23THRUST_200600_302600_NS6detail15normal_iteratorINSA_10device_ptrIiEEEEPS6_NSA_18transform_iteratorI7is_evenIiESF_NSA_11use_defaultESK_EENS0_5tupleIJSF_SF_EEENSM_IJSG_SG_EEES6_PlJS6_EEE10hipError_tPvRmT3_T4_T5_T6_T7_T9_mT8_P12ihipStream_tbDpT10_ENKUlT_T0_E_clISt17integral_constantIbLb0EES18_IbLb1EEEEDaS14_S15_EUlS14_E_NS1_11comp_targetILNS1_3genE5ELNS1_11target_archE942ELNS1_3gpuE9ELNS1_3repE0EEENS1_30default_config_static_selectorELNS0_4arch9wavefront6targetE1EEEvT1_
    .private_segment_fixed_size: 0
    .sgpr_count:     4
    .sgpr_spill_count: 0
    .symbol:         _ZN7rocprim17ROCPRIM_400000_NS6detail17trampoline_kernelINS0_14default_configENS1_25partition_config_selectorILNS1_17partition_subalgoE1EiNS0_10empty_typeEbEEZZNS1_14partition_implILS5_1ELb0ES3_jN6thrust23THRUST_200600_302600_NS6detail15normal_iteratorINSA_10device_ptrIiEEEEPS6_NSA_18transform_iteratorI7is_evenIiESF_NSA_11use_defaultESK_EENS0_5tupleIJSF_SF_EEENSM_IJSG_SG_EEES6_PlJS6_EEE10hipError_tPvRmT3_T4_T5_T6_T7_T9_mT8_P12ihipStream_tbDpT10_ENKUlT_T0_E_clISt17integral_constantIbLb0EES18_IbLb1EEEEDaS14_S15_EUlS14_E_NS1_11comp_targetILNS1_3genE5ELNS1_11target_archE942ELNS1_3gpuE9ELNS1_3repE0EEENS1_30default_config_static_selectorELNS0_4arch9wavefront6targetE1EEEvT1_.kd
    .uniform_work_group_size: 1
    .uses_dynamic_stack: false
    .vgpr_count:     0
    .vgpr_spill_count: 0
    .wavefront_size: 64
  - .agpr_count:     0
    .args:
      - .offset:         0
        .size:           144
        .value_kind:     by_value
    .group_segment_fixed_size: 7176
    .kernarg_segment_align: 8
    .kernarg_segment_size: 144
    .language:       OpenCL C
    .language_version:
      - 2
      - 0
    .max_flat_workgroup_size: 256
    .name:           _ZN7rocprim17ROCPRIM_400000_NS6detail17trampoline_kernelINS0_14default_configENS1_25partition_config_selectorILNS1_17partition_subalgoE1EiNS0_10empty_typeEbEEZZNS1_14partition_implILS5_1ELb0ES3_jN6thrust23THRUST_200600_302600_NS6detail15normal_iteratorINSA_10device_ptrIiEEEEPS6_NSA_18transform_iteratorI7is_evenIiESF_NSA_11use_defaultESK_EENS0_5tupleIJSF_SF_EEENSM_IJSG_SG_EEES6_PlJS6_EEE10hipError_tPvRmT3_T4_T5_T6_T7_T9_mT8_P12ihipStream_tbDpT10_ENKUlT_T0_E_clISt17integral_constantIbLb0EES18_IbLb1EEEEDaS14_S15_EUlS14_E_NS1_11comp_targetILNS1_3genE4ELNS1_11target_archE910ELNS1_3gpuE8ELNS1_3repE0EEENS1_30default_config_static_selectorELNS0_4arch9wavefront6targetE1EEEvT1_
    .private_segment_fixed_size: 0
    .sgpr_count:     48
    .sgpr_spill_count: 0
    .symbol:         _ZN7rocprim17ROCPRIM_400000_NS6detail17trampoline_kernelINS0_14default_configENS1_25partition_config_selectorILNS1_17partition_subalgoE1EiNS0_10empty_typeEbEEZZNS1_14partition_implILS5_1ELb0ES3_jN6thrust23THRUST_200600_302600_NS6detail15normal_iteratorINSA_10device_ptrIiEEEEPS6_NSA_18transform_iteratorI7is_evenIiESF_NSA_11use_defaultESK_EENS0_5tupleIJSF_SF_EEENSM_IJSG_SG_EEES6_PlJS6_EEE10hipError_tPvRmT3_T4_T5_T6_T7_T9_mT8_P12ihipStream_tbDpT10_ENKUlT_T0_E_clISt17integral_constantIbLb0EES18_IbLb1EEEEDaS14_S15_EUlS14_E_NS1_11comp_targetILNS1_3genE4ELNS1_11target_archE910ELNS1_3gpuE8ELNS1_3repE0EEENS1_30default_config_static_selectorELNS0_4arch9wavefront6targetE1EEEvT1_.kd
    .uniform_work_group_size: 1
    .uses_dynamic_stack: false
    .vgpr_count:     51
    .vgpr_spill_count: 0
    .wavefront_size: 64
  - .agpr_count:     0
    .args:
      - .offset:         0
        .size:           144
        .value_kind:     by_value
    .group_segment_fixed_size: 0
    .kernarg_segment_align: 8
    .kernarg_segment_size: 144
    .language:       OpenCL C
    .language_version:
      - 2
      - 0
    .max_flat_workgroup_size: 256
    .name:           _ZN7rocprim17ROCPRIM_400000_NS6detail17trampoline_kernelINS0_14default_configENS1_25partition_config_selectorILNS1_17partition_subalgoE1EiNS0_10empty_typeEbEEZZNS1_14partition_implILS5_1ELb0ES3_jN6thrust23THRUST_200600_302600_NS6detail15normal_iteratorINSA_10device_ptrIiEEEEPS6_NSA_18transform_iteratorI7is_evenIiESF_NSA_11use_defaultESK_EENS0_5tupleIJSF_SF_EEENSM_IJSG_SG_EEES6_PlJS6_EEE10hipError_tPvRmT3_T4_T5_T6_T7_T9_mT8_P12ihipStream_tbDpT10_ENKUlT_T0_E_clISt17integral_constantIbLb0EES18_IbLb1EEEEDaS14_S15_EUlS14_E_NS1_11comp_targetILNS1_3genE3ELNS1_11target_archE908ELNS1_3gpuE7ELNS1_3repE0EEENS1_30default_config_static_selectorELNS0_4arch9wavefront6targetE1EEEvT1_
    .private_segment_fixed_size: 0
    .sgpr_count:     4
    .sgpr_spill_count: 0
    .symbol:         _ZN7rocprim17ROCPRIM_400000_NS6detail17trampoline_kernelINS0_14default_configENS1_25partition_config_selectorILNS1_17partition_subalgoE1EiNS0_10empty_typeEbEEZZNS1_14partition_implILS5_1ELb0ES3_jN6thrust23THRUST_200600_302600_NS6detail15normal_iteratorINSA_10device_ptrIiEEEEPS6_NSA_18transform_iteratorI7is_evenIiESF_NSA_11use_defaultESK_EENS0_5tupleIJSF_SF_EEENSM_IJSG_SG_EEES6_PlJS6_EEE10hipError_tPvRmT3_T4_T5_T6_T7_T9_mT8_P12ihipStream_tbDpT10_ENKUlT_T0_E_clISt17integral_constantIbLb0EES18_IbLb1EEEEDaS14_S15_EUlS14_E_NS1_11comp_targetILNS1_3genE3ELNS1_11target_archE908ELNS1_3gpuE7ELNS1_3repE0EEENS1_30default_config_static_selectorELNS0_4arch9wavefront6targetE1EEEvT1_.kd
    .uniform_work_group_size: 1
    .uses_dynamic_stack: false
    .vgpr_count:     0
    .vgpr_spill_count: 0
    .wavefront_size: 64
  - .agpr_count:     0
    .args:
      - .offset:         0
        .size:           144
        .value_kind:     by_value
    .group_segment_fixed_size: 0
    .kernarg_segment_align: 8
    .kernarg_segment_size: 144
    .language:       OpenCL C
    .language_version:
      - 2
      - 0
    .max_flat_workgroup_size: 256
    .name:           _ZN7rocprim17ROCPRIM_400000_NS6detail17trampoline_kernelINS0_14default_configENS1_25partition_config_selectorILNS1_17partition_subalgoE1EiNS0_10empty_typeEbEEZZNS1_14partition_implILS5_1ELb0ES3_jN6thrust23THRUST_200600_302600_NS6detail15normal_iteratorINSA_10device_ptrIiEEEEPS6_NSA_18transform_iteratorI7is_evenIiESF_NSA_11use_defaultESK_EENS0_5tupleIJSF_SF_EEENSM_IJSG_SG_EEES6_PlJS6_EEE10hipError_tPvRmT3_T4_T5_T6_T7_T9_mT8_P12ihipStream_tbDpT10_ENKUlT_T0_E_clISt17integral_constantIbLb0EES18_IbLb1EEEEDaS14_S15_EUlS14_E_NS1_11comp_targetILNS1_3genE2ELNS1_11target_archE906ELNS1_3gpuE6ELNS1_3repE0EEENS1_30default_config_static_selectorELNS0_4arch9wavefront6targetE1EEEvT1_
    .private_segment_fixed_size: 0
    .sgpr_count:     4
    .sgpr_spill_count: 0
    .symbol:         _ZN7rocprim17ROCPRIM_400000_NS6detail17trampoline_kernelINS0_14default_configENS1_25partition_config_selectorILNS1_17partition_subalgoE1EiNS0_10empty_typeEbEEZZNS1_14partition_implILS5_1ELb0ES3_jN6thrust23THRUST_200600_302600_NS6detail15normal_iteratorINSA_10device_ptrIiEEEEPS6_NSA_18transform_iteratorI7is_evenIiESF_NSA_11use_defaultESK_EENS0_5tupleIJSF_SF_EEENSM_IJSG_SG_EEES6_PlJS6_EEE10hipError_tPvRmT3_T4_T5_T6_T7_T9_mT8_P12ihipStream_tbDpT10_ENKUlT_T0_E_clISt17integral_constantIbLb0EES18_IbLb1EEEEDaS14_S15_EUlS14_E_NS1_11comp_targetILNS1_3genE2ELNS1_11target_archE906ELNS1_3gpuE6ELNS1_3repE0EEENS1_30default_config_static_selectorELNS0_4arch9wavefront6targetE1EEEvT1_.kd
    .uniform_work_group_size: 1
    .uses_dynamic_stack: false
    .vgpr_count:     0
    .vgpr_spill_count: 0
    .wavefront_size: 64
  - .agpr_count:     0
    .args:
      - .offset:         0
        .size:           144
        .value_kind:     by_value
    .group_segment_fixed_size: 0
    .kernarg_segment_align: 8
    .kernarg_segment_size: 144
    .language:       OpenCL C
    .language_version:
      - 2
      - 0
    .max_flat_workgroup_size: 256
    .name:           _ZN7rocprim17ROCPRIM_400000_NS6detail17trampoline_kernelINS0_14default_configENS1_25partition_config_selectorILNS1_17partition_subalgoE1EiNS0_10empty_typeEbEEZZNS1_14partition_implILS5_1ELb0ES3_jN6thrust23THRUST_200600_302600_NS6detail15normal_iteratorINSA_10device_ptrIiEEEEPS6_NSA_18transform_iteratorI7is_evenIiESF_NSA_11use_defaultESK_EENS0_5tupleIJSF_SF_EEENSM_IJSG_SG_EEES6_PlJS6_EEE10hipError_tPvRmT3_T4_T5_T6_T7_T9_mT8_P12ihipStream_tbDpT10_ENKUlT_T0_E_clISt17integral_constantIbLb0EES18_IbLb1EEEEDaS14_S15_EUlS14_E_NS1_11comp_targetILNS1_3genE10ELNS1_11target_archE1200ELNS1_3gpuE4ELNS1_3repE0EEENS1_30default_config_static_selectorELNS0_4arch9wavefront6targetE1EEEvT1_
    .private_segment_fixed_size: 0
    .sgpr_count:     4
    .sgpr_spill_count: 0
    .symbol:         _ZN7rocprim17ROCPRIM_400000_NS6detail17trampoline_kernelINS0_14default_configENS1_25partition_config_selectorILNS1_17partition_subalgoE1EiNS0_10empty_typeEbEEZZNS1_14partition_implILS5_1ELb0ES3_jN6thrust23THRUST_200600_302600_NS6detail15normal_iteratorINSA_10device_ptrIiEEEEPS6_NSA_18transform_iteratorI7is_evenIiESF_NSA_11use_defaultESK_EENS0_5tupleIJSF_SF_EEENSM_IJSG_SG_EEES6_PlJS6_EEE10hipError_tPvRmT3_T4_T5_T6_T7_T9_mT8_P12ihipStream_tbDpT10_ENKUlT_T0_E_clISt17integral_constantIbLb0EES18_IbLb1EEEEDaS14_S15_EUlS14_E_NS1_11comp_targetILNS1_3genE10ELNS1_11target_archE1200ELNS1_3gpuE4ELNS1_3repE0EEENS1_30default_config_static_selectorELNS0_4arch9wavefront6targetE1EEEvT1_.kd
    .uniform_work_group_size: 1
    .uses_dynamic_stack: false
    .vgpr_count:     0
    .vgpr_spill_count: 0
    .wavefront_size: 64
  - .agpr_count:     0
    .args:
      - .offset:         0
        .size:           144
        .value_kind:     by_value
    .group_segment_fixed_size: 0
    .kernarg_segment_align: 8
    .kernarg_segment_size: 144
    .language:       OpenCL C
    .language_version:
      - 2
      - 0
    .max_flat_workgroup_size: 128
    .name:           _ZN7rocprim17ROCPRIM_400000_NS6detail17trampoline_kernelINS0_14default_configENS1_25partition_config_selectorILNS1_17partition_subalgoE1EiNS0_10empty_typeEbEEZZNS1_14partition_implILS5_1ELb0ES3_jN6thrust23THRUST_200600_302600_NS6detail15normal_iteratorINSA_10device_ptrIiEEEEPS6_NSA_18transform_iteratorI7is_evenIiESF_NSA_11use_defaultESK_EENS0_5tupleIJSF_SF_EEENSM_IJSG_SG_EEES6_PlJS6_EEE10hipError_tPvRmT3_T4_T5_T6_T7_T9_mT8_P12ihipStream_tbDpT10_ENKUlT_T0_E_clISt17integral_constantIbLb0EES18_IbLb1EEEEDaS14_S15_EUlS14_E_NS1_11comp_targetILNS1_3genE9ELNS1_11target_archE1100ELNS1_3gpuE3ELNS1_3repE0EEENS1_30default_config_static_selectorELNS0_4arch9wavefront6targetE1EEEvT1_
    .private_segment_fixed_size: 0
    .sgpr_count:     4
    .sgpr_spill_count: 0
    .symbol:         _ZN7rocprim17ROCPRIM_400000_NS6detail17trampoline_kernelINS0_14default_configENS1_25partition_config_selectorILNS1_17partition_subalgoE1EiNS0_10empty_typeEbEEZZNS1_14partition_implILS5_1ELb0ES3_jN6thrust23THRUST_200600_302600_NS6detail15normal_iteratorINSA_10device_ptrIiEEEEPS6_NSA_18transform_iteratorI7is_evenIiESF_NSA_11use_defaultESK_EENS0_5tupleIJSF_SF_EEENSM_IJSG_SG_EEES6_PlJS6_EEE10hipError_tPvRmT3_T4_T5_T6_T7_T9_mT8_P12ihipStream_tbDpT10_ENKUlT_T0_E_clISt17integral_constantIbLb0EES18_IbLb1EEEEDaS14_S15_EUlS14_E_NS1_11comp_targetILNS1_3genE9ELNS1_11target_archE1100ELNS1_3gpuE3ELNS1_3repE0EEENS1_30default_config_static_selectorELNS0_4arch9wavefront6targetE1EEEvT1_.kd
    .uniform_work_group_size: 1
    .uses_dynamic_stack: false
    .vgpr_count:     0
    .vgpr_spill_count: 0
    .wavefront_size: 64
  - .agpr_count:     0
    .args:
      - .offset:         0
        .size:           144
        .value_kind:     by_value
    .group_segment_fixed_size: 0
    .kernarg_segment_align: 8
    .kernarg_segment_size: 144
    .language:       OpenCL C
    .language_version:
      - 2
      - 0
    .max_flat_workgroup_size: 512
    .name:           _ZN7rocprim17ROCPRIM_400000_NS6detail17trampoline_kernelINS0_14default_configENS1_25partition_config_selectorILNS1_17partition_subalgoE1EiNS0_10empty_typeEbEEZZNS1_14partition_implILS5_1ELb0ES3_jN6thrust23THRUST_200600_302600_NS6detail15normal_iteratorINSA_10device_ptrIiEEEEPS6_NSA_18transform_iteratorI7is_evenIiESF_NSA_11use_defaultESK_EENS0_5tupleIJSF_SF_EEENSM_IJSG_SG_EEES6_PlJS6_EEE10hipError_tPvRmT3_T4_T5_T6_T7_T9_mT8_P12ihipStream_tbDpT10_ENKUlT_T0_E_clISt17integral_constantIbLb0EES18_IbLb1EEEEDaS14_S15_EUlS14_E_NS1_11comp_targetILNS1_3genE8ELNS1_11target_archE1030ELNS1_3gpuE2ELNS1_3repE0EEENS1_30default_config_static_selectorELNS0_4arch9wavefront6targetE1EEEvT1_
    .private_segment_fixed_size: 0
    .sgpr_count:     4
    .sgpr_spill_count: 0
    .symbol:         _ZN7rocprim17ROCPRIM_400000_NS6detail17trampoline_kernelINS0_14default_configENS1_25partition_config_selectorILNS1_17partition_subalgoE1EiNS0_10empty_typeEbEEZZNS1_14partition_implILS5_1ELb0ES3_jN6thrust23THRUST_200600_302600_NS6detail15normal_iteratorINSA_10device_ptrIiEEEEPS6_NSA_18transform_iteratorI7is_evenIiESF_NSA_11use_defaultESK_EENS0_5tupleIJSF_SF_EEENSM_IJSG_SG_EEES6_PlJS6_EEE10hipError_tPvRmT3_T4_T5_T6_T7_T9_mT8_P12ihipStream_tbDpT10_ENKUlT_T0_E_clISt17integral_constantIbLb0EES18_IbLb1EEEEDaS14_S15_EUlS14_E_NS1_11comp_targetILNS1_3genE8ELNS1_11target_archE1030ELNS1_3gpuE2ELNS1_3repE0EEENS1_30default_config_static_selectorELNS0_4arch9wavefront6targetE1EEEvT1_.kd
    .uniform_work_group_size: 1
    .uses_dynamic_stack: false
    .vgpr_count:     0
    .vgpr_spill_count: 0
    .wavefront_size: 64
  - .agpr_count:     0
    .args:
      - .offset:         0
        .size:           128
        .value_kind:     by_value
    .group_segment_fixed_size: 0
    .kernarg_segment_align: 8
    .kernarg_segment_size: 128
    .language:       OpenCL C
    .language_version:
      - 2
      - 0
    .max_flat_workgroup_size: 256
    .name:           _ZN7rocprim17ROCPRIM_400000_NS6detail17trampoline_kernelINS0_14default_configENS1_25partition_config_selectorILNS1_17partition_subalgoE1EsNS0_10empty_typeEbEEZZNS1_14partition_implILS5_1ELb0ES3_jN6thrust23THRUST_200600_302600_NS6detail15normal_iteratorINSA_10device_ptrIsEEEEPS6_NSA_18transform_iteratorI7is_evenIsESF_NSA_11use_defaultESK_EENS0_5tupleIJSF_SF_EEENSM_IJSG_SG_EEES6_PlJS6_EEE10hipError_tPvRmT3_T4_T5_T6_T7_T9_mT8_P12ihipStream_tbDpT10_ENKUlT_T0_E_clISt17integral_constantIbLb0EES19_EEDaS14_S15_EUlS14_E_NS1_11comp_targetILNS1_3genE0ELNS1_11target_archE4294967295ELNS1_3gpuE0ELNS1_3repE0EEENS1_30default_config_static_selectorELNS0_4arch9wavefront6targetE1EEEvT1_
    .private_segment_fixed_size: 0
    .sgpr_count:     4
    .sgpr_spill_count: 0
    .symbol:         _ZN7rocprim17ROCPRIM_400000_NS6detail17trampoline_kernelINS0_14default_configENS1_25partition_config_selectorILNS1_17partition_subalgoE1EsNS0_10empty_typeEbEEZZNS1_14partition_implILS5_1ELb0ES3_jN6thrust23THRUST_200600_302600_NS6detail15normal_iteratorINSA_10device_ptrIsEEEEPS6_NSA_18transform_iteratorI7is_evenIsESF_NSA_11use_defaultESK_EENS0_5tupleIJSF_SF_EEENSM_IJSG_SG_EEES6_PlJS6_EEE10hipError_tPvRmT3_T4_T5_T6_T7_T9_mT8_P12ihipStream_tbDpT10_ENKUlT_T0_E_clISt17integral_constantIbLb0EES19_EEDaS14_S15_EUlS14_E_NS1_11comp_targetILNS1_3genE0ELNS1_11target_archE4294967295ELNS1_3gpuE0ELNS1_3repE0EEENS1_30default_config_static_selectorELNS0_4arch9wavefront6targetE1EEEvT1_.kd
    .uniform_work_group_size: 1
    .uses_dynamic_stack: false
    .vgpr_count:     0
    .vgpr_spill_count: 0
    .wavefront_size: 64
  - .agpr_count:     0
    .args:
      - .offset:         0
        .size:           128
        .value_kind:     by_value
    .group_segment_fixed_size: 0
    .kernarg_segment_align: 8
    .kernarg_segment_size: 128
    .language:       OpenCL C
    .language_version:
      - 2
      - 0
    .max_flat_workgroup_size: 512
    .name:           _ZN7rocprim17ROCPRIM_400000_NS6detail17trampoline_kernelINS0_14default_configENS1_25partition_config_selectorILNS1_17partition_subalgoE1EsNS0_10empty_typeEbEEZZNS1_14partition_implILS5_1ELb0ES3_jN6thrust23THRUST_200600_302600_NS6detail15normal_iteratorINSA_10device_ptrIsEEEEPS6_NSA_18transform_iteratorI7is_evenIsESF_NSA_11use_defaultESK_EENS0_5tupleIJSF_SF_EEENSM_IJSG_SG_EEES6_PlJS6_EEE10hipError_tPvRmT3_T4_T5_T6_T7_T9_mT8_P12ihipStream_tbDpT10_ENKUlT_T0_E_clISt17integral_constantIbLb0EES19_EEDaS14_S15_EUlS14_E_NS1_11comp_targetILNS1_3genE5ELNS1_11target_archE942ELNS1_3gpuE9ELNS1_3repE0EEENS1_30default_config_static_selectorELNS0_4arch9wavefront6targetE1EEEvT1_
    .private_segment_fixed_size: 0
    .sgpr_count:     4
    .sgpr_spill_count: 0
    .symbol:         _ZN7rocprim17ROCPRIM_400000_NS6detail17trampoline_kernelINS0_14default_configENS1_25partition_config_selectorILNS1_17partition_subalgoE1EsNS0_10empty_typeEbEEZZNS1_14partition_implILS5_1ELb0ES3_jN6thrust23THRUST_200600_302600_NS6detail15normal_iteratorINSA_10device_ptrIsEEEEPS6_NSA_18transform_iteratorI7is_evenIsESF_NSA_11use_defaultESK_EENS0_5tupleIJSF_SF_EEENSM_IJSG_SG_EEES6_PlJS6_EEE10hipError_tPvRmT3_T4_T5_T6_T7_T9_mT8_P12ihipStream_tbDpT10_ENKUlT_T0_E_clISt17integral_constantIbLb0EES19_EEDaS14_S15_EUlS14_E_NS1_11comp_targetILNS1_3genE5ELNS1_11target_archE942ELNS1_3gpuE9ELNS1_3repE0EEENS1_30default_config_static_selectorELNS0_4arch9wavefront6targetE1EEEvT1_.kd
    .uniform_work_group_size: 1
    .uses_dynamic_stack: false
    .vgpr_count:     0
    .vgpr_spill_count: 0
    .wavefront_size: 64
  - .agpr_count:     0
    .args:
      - .offset:         0
        .size:           128
        .value_kind:     by_value
    .group_segment_fixed_size: 10248
    .kernarg_segment_align: 8
    .kernarg_segment_size: 128
    .language:       OpenCL C
    .language_version:
      - 2
      - 0
    .max_flat_workgroup_size: 256
    .name:           _ZN7rocprim17ROCPRIM_400000_NS6detail17trampoline_kernelINS0_14default_configENS1_25partition_config_selectorILNS1_17partition_subalgoE1EsNS0_10empty_typeEbEEZZNS1_14partition_implILS5_1ELb0ES3_jN6thrust23THRUST_200600_302600_NS6detail15normal_iteratorINSA_10device_ptrIsEEEEPS6_NSA_18transform_iteratorI7is_evenIsESF_NSA_11use_defaultESK_EENS0_5tupleIJSF_SF_EEENSM_IJSG_SG_EEES6_PlJS6_EEE10hipError_tPvRmT3_T4_T5_T6_T7_T9_mT8_P12ihipStream_tbDpT10_ENKUlT_T0_E_clISt17integral_constantIbLb0EES19_EEDaS14_S15_EUlS14_E_NS1_11comp_targetILNS1_3genE4ELNS1_11target_archE910ELNS1_3gpuE8ELNS1_3repE0EEENS1_30default_config_static_selectorELNS0_4arch9wavefront6targetE1EEEvT1_
    .private_segment_fixed_size: 0
    .sgpr_count:     48
    .sgpr_spill_count: 0
    .symbol:         _ZN7rocprim17ROCPRIM_400000_NS6detail17trampoline_kernelINS0_14default_configENS1_25partition_config_selectorILNS1_17partition_subalgoE1EsNS0_10empty_typeEbEEZZNS1_14partition_implILS5_1ELb0ES3_jN6thrust23THRUST_200600_302600_NS6detail15normal_iteratorINSA_10device_ptrIsEEEEPS6_NSA_18transform_iteratorI7is_evenIsESF_NSA_11use_defaultESK_EENS0_5tupleIJSF_SF_EEENSM_IJSG_SG_EEES6_PlJS6_EEE10hipError_tPvRmT3_T4_T5_T6_T7_T9_mT8_P12ihipStream_tbDpT10_ENKUlT_T0_E_clISt17integral_constantIbLb0EES19_EEDaS14_S15_EUlS14_E_NS1_11comp_targetILNS1_3genE4ELNS1_11target_archE910ELNS1_3gpuE8ELNS1_3repE0EEENS1_30default_config_static_selectorELNS0_4arch9wavefront6targetE1EEEvT1_.kd
    .uniform_work_group_size: 1
    .uses_dynamic_stack: false
    .vgpr_count:     65
    .vgpr_spill_count: 0
    .wavefront_size: 64
  - .agpr_count:     0
    .args:
      - .offset:         0
        .size:           128
        .value_kind:     by_value
    .group_segment_fixed_size: 0
    .kernarg_segment_align: 8
    .kernarg_segment_size: 128
    .language:       OpenCL C
    .language_version:
      - 2
      - 0
    .max_flat_workgroup_size: 256
    .name:           _ZN7rocprim17ROCPRIM_400000_NS6detail17trampoline_kernelINS0_14default_configENS1_25partition_config_selectorILNS1_17partition_subalgoE1EsNS0_10empty_typeEbEEZZNS1_14partition_implILS5_1ELb0ES3_jN6thrust23THRUST_200600_302600_NS6detail15normal_iteratorINSA_10device_ptrIsEEEEPS6_NSA_18transform_iteratorI7is_evenIsESF_NSA_11use_defaultESK_EENS0_5tupleIJSF_SF_EEENSM_IJSG_SG_EEES6_PlJS6_EEE10hipError_tPvRmT3_T4_T5_T6_T7_T9_mT8_P12ihipStream_tbDpT10_ENKUlT_T0_E_clISt17integral_constantIbLb0EES19_EEDaS14_S15_EUlS14_E_NS1_11comp_targetILNS1_3genE3ELNS1_11target_archE908ELNS1_3gpuE7ELNS1_3repE0EEENS1_30default_config_static_selectorELNS0_4arch9wavefront6targetE1EEEvT1_
    .private_segment_fixed_size: 0
    .sgpr_count:     4
    .sgpr_spill_count: 0
    .symbol:         _ZN7rocprim17ROCPRIM_400000_NS6detail17trampoline_kernelINS0_14default_configENS1_25partition_config_selectorILNS1_17partition_subalgoE1EsNS0_10empty_typeEbEEZZNS1_14partition_implILS5_1ELb0ES3_jN6thrust23THRUST_200600_302600_NS6detail15normal_iteratorINSA_10device_ptrIsEEEEPS6_NSA_18transform_iteratorI7is_evenIsESF_NSA_11use_defaultESK_EENS0_5tupleIJSF_SF_EEENSM_IJSG_SG_EEES6_PlJS6_EEE10hipError_tPvRmT3_T4_T5_T6_T7_T9_mT8_P12ihipStream_tbDpT10_ENKUlT_T0_E_clISt17integral_constantIbLb0EES19_EEDaS14_S15_EUlS14_E_NS1_11comp_targetILNS1_3genE3ELNS1_11target_archE908ELNS1_3gpuE7ELNS1_3repE0EEENS1_30default_config_static_selectorELNS0_4arch9wavefront6targetE1EEEvT1_.kd
    .uniform_work_group_size: 1
    .uses_dynamic_stack: false
    .vgpr_count:     0
    .vgpr_spill_count: 0
    .wavefront_size: 64
  - .agpr_count:     0
    .args:
      - .offset:         0
        .size:           128
        .value_kind:     by_value
    .group_segment_fixed_size: 0
    .kernarg_segment_align: 8
    .kernarg_segment_size: 128
    .language:       OpenCL C
    .language_version:
      - 2
      - 0
    .max_flat_workgroup_size: 256
    .name:           _ZN7rocprim17ROCPRIM_400000_NS6detail17trampoline_kernelINS0_14default_configENS1_25partition_config_selectorILNS1_17partition_subalgoE1EsNS0_10empty_typeEbEEZZNS1_14partition_implILS5_1ELb0ES3_jN6thrust23THRUST_200600_302600_NS6detail15normal_iteratorINSA_10device_ptrIsEEEEPS6_NSA_18transform_iteratorI7is_evenIsESF_NSA_11use_defaultESK_EENS0_5tupleIJSF_SF_EEENSM_IJSG_SG_EEES6_PlJS6_EEE10hipError_tPvRmT3_T4_T5_T6_T7_T9_mT8_P12ihipStream_tbDpT10_ENKUlT_T0_E_clISt17integral_constantIbLb0EES19_EEDaS14_S15_EUlS14_E_NS1_11comp_targetILNS1_3genE2ELNS1_11target_archE906ELNS1_3gpuE6ELNS1_3repE0EEENS1_30default_config_static_selectorELNS0_4arch9wavefront6targetE1EEEvT1_
    .private_segment_fixed_size: 0
    .sgpr_count:     4
    .sgpr_spill_count: 0
    .symbol:         _ZN7rocprim17ROCPRIM_400000_NS6detail17trampoline_kernelINS0_14default_configENS1_25partition_config_selectorILNS1_17partition_subalgoE1EsNS0_10empty_typeEbEEZZNS1_14partition_implILS5_1ELb0ES3_jN6thrust23THRUST_200600_302600_NS6detail15normal_iteratorINSA_10device_ptrIsEEEEPS6_NSA_18transform_iteratorI7is_evenIsESF_NSA_11use_defaultESK_EENS0_5tupleIJSF_SF_EEENSM_IJSG_SG_EEES6_PlJS6_EEE10hipError_tPvRmT3_T4_T5_T6_T7_T9_mT8_P12ihipStream_tbDpT10_ENKUlT_T0_E_clISt17integral_constantIbLb0EES19_EEDaS14_S15_EUlS14_E_NS1_11comp_targetILNS1_3genE2ELNS1_11target_archE906ELNS1_3gpuE6ELNS1_3repE0EEENS1_30default_config_static_selectorELNS0_4arch9wavefront6targetE1EEEvT1_.kd
    .uniform_work_group_size: 1
    .uses_dynamic_stack: false
    .vgpr_count:     0
    .vgpr_spill_count: 0
    .wavefront_size: 64
  - .agpr_count:     0
    .args:
      - .offset:         0
        .size:           128
        .value_kind:     by_value
    .group_segment_fixed_size: 0
    .kernarg_segment_align: 8
    .kernarg_segment_size: 128
    .language:       OpenCL C
    .language_version:
      - 2
      - 0
    .max_flat_workgroup_size: 384
    .name:           _ZN7rocprim17ROCPRIM_400000_NS6detail17trampoline_kernelINS0_14default_configENS1_25partition_config_selectorILNS1_17partition_subalgoE1EsNS0_10empty_typeEbEEZZNS1_14partition_implILS5_1ELb0ES3_jN6thrust23THRUST_200600_302600_NS6detail15normal_iteratorINSA_10device_ptrIsEEEEPS6_NSA_18transform_iteratorI7is_evenIsESF_NSA_11use_defaultESK_EENS0_5tupleIJSF_SF_EEENSM_IJSG_SG_EEES6_PlJS6_EEE10hipError_tPvRmT3_T4_T5_T6_T7_T9_mT8_P12ihipStream_tbDpT10_ENKUlT_T0_E_clISt17integral_constantIbLb0EES19_EEDaS14_S15_EUlS14_E_NS1_11comp_targetILNS1_3genE10ELNS1_11target_archE1200ELNS1_3gpuE4ELNS1_3repE0EEENS1_30default_config_static_selectorELNS0_4arch9wavefront6targetE1EEEvT1_
    .private_segment_fixed_size: 0
    .sgpr_count:     4
    .sgpr_spill_count: 0
    .symbol:         _ZN7rocprim17ROCPRIM_400000_NS6detail17trampoline_kernelINS0_14default_configENS1_25partition_config_selectorILNS1_17partition_subalgoE1EsNS0_10empty_typeEbEEZZNS1_14partition_implILS5_1ELb0ES3_jN6thrust23THRUST_200600_302600_NS6detail15normal_iteratorINSA_10device_ptrIsEEEEPS6_NSA_18transform_iteratorI7is_evenIsESF_NSA_11use_defaultESK_EENS0_5tupleIJSF_SF_EEENSM_IJSG_SG_EEES6_PlJS6_EEE10hipError_tPvRmT3_T4_T5_T6_T7_T9_mT8_P12ihipStream_tbDpT10_ENKUlT_T0_E_clISt17integral_constantIbLb0EES19_EEDaS14_S15_EUlS14_E_NS1_11comp_targetILNS1_3genE10ELNS1_11target_archE1200ELNS1_3gpuE4ELNS1_3repE0EEENS1_30default_config_static_selectorELNS0_4arch9wavefront6targetE1EEEvT1_.kd
    .uniform_work_group_size: 1
    .uses_dynamic_stack: false
    .vgpr_count:     0
    .vgpr_spill_count: 0
    .wavefront_size: 64
  - .agpr_count:     0
    .args:
      - .offset:         0
        .size:           128
        .value_kind:     by_value
    .group_segment_fixed_size: 0
    .kernarg_segment_align: 8
    .kernarg_segment_size: 128
    .language:       OpenCL C
    .language_version:
      - 2
      - 0
    .max_flat_workgroup_size: 128
    .name:           _ZN7rocprim17ROCPRIM_400000_NS6detail17trampoline_kernelINS0_14default_configENS1_25partition_config_selectorILNS1_17partition_subalgoE1EsNS0_10empty_typeEbEEZZNS1_14partition_implILS5_1ELb0ES3_jN6thrust23THRUST_200600_302600_NS6detail15normal_iteratorINSA_10device_ptrIsEEEEPS6_NSA_18transform_iteratorI7is_evenIsESF_NSA_11use_defaultESK_EENS0_5tupleIJSF_SF_EEENSM_IJSG_SG_EEES6_PlJS6_EEE10hipError_tPvRmT3_T4_T5_T6_T7_T9_mT8_P12ihipStream_tbDpT10_ENKUlT_T0_E_clISt17integral_constantIbLb0EES19_EEDaS14_S15_EUlS14_E_NS1_11comp_targetILNS1_3genE9ELNS1_11target_archE1100ELNS1_3gpuE3ELNS1_3repE0EEENS1_30default_config_static_selectorELNS0_4arch9wavefront6targetE1EEEvT1_
    .private_segment_fixed_size: 0
    .sgpr_count:     4
    .sgpr_spill_count: 0
    .symbol:         _ZN7rocprim17ROCPRIM_400000_NS6detail17trampoline_kernelINS0_14default_configENS1_25partition_config_selectorILNS1_17partition_subalgoE1EsNS0_10empty_typeEbEEZZNS1_14partition_implILS5_1ELb0ES3_jN6thrust23THRUST_200600_302600_NS6detail15normal_iteratorINSA_10device_ptrIsEEEEPS6_NSA_18transform_iteratorI7is_evenIsESF_NSA_11use_defaultESK_EENS0_5tupleIJSF_SF_EEENSM_IJSG_SG_EEES6_PlJS6_EEE10hipError_tPvRmT3_T4_T5_T6_T7_T9_mT8_P12ihipStream_tbDpT10_ENKUlT_T0_E_clISt17integral_constantIbLb0EES19_EEDaS14_S15_EUlS14_E_NS1_11comp_targetILNS1_3genE9ELNS1_11target_archE1100ELNS1_3gpuE3ELNS1_3repE0EEENS1_30default_config_static_selectorELNS0_4arch9wavefront6targetE1EEEvT1_.kd
    .uniform_work_group_size: 1
    .uses_dynamic_stack: false
    .vgpr_count:     0
    .vgpr_spill_count: 0
    .wavefront_size: 64
  - .agpr_count:     0
    .args:
      - .offset:         0
        .size:           128
        .value_kind:     by_value
    .group_segment_fixed_size: 0
    .kernarg_segment_align: 8
    .kernarg_segment_size: 128
    .language:       OpenCL C
    .language_version:
      - 2
      - 0
    .max_flat_workgroup_size: 512
    .name:           _ZN7rocprim17ROCPRIM_400000_NS6detail17trampoline_kernelINS0_14default_configENS1_25partition_config_selectorILNS1_17partition_subalgoE1EsNS0_10empty_typeEbEEZZNS1_14partition_implILS5_1ELb0ES3_jN6thrust23THRUST_200600_302600_NS6detail15normal_iteratorINSA_10device_ptrIsEEEEPS6_NSA_18transform_iteratorI7is_evenIsESF_NSA_11use_defaultESK_EENS0_5tupleIJSF_SF_EEENSM_IJSG_SG_EEES6_PlJS6_EEE10hipError_tPvRmT3_T4_T5_T6_T7_T9_mT8_P12ihipStream_tbDpT10_ENKUlT_T0_E_clISt17integral_constantIbLb0EES19_EEDaS14_S15_EUlS14_E_NS1_11comp_targetILNS1_3genE8ELNS1_11target_archE1030ELNS1_3gpuE2ELNS1_3repE0EEENS1_30default_config_static_selectorELNS0_4arch9wavefront6targetE1EEEvT1_
    .private_segment_fixed_size: 0
    .sgpr_count:     4
    .sgpr_spill_count: 0
    .symbol:         _ZN7rocprim17ROCPRIM_400000_NS6detail17trampoline_kernelINS0_14default_configENS1_25partition_config_selectorILNS1_17partition_subalgoE1EsNS0_10empty_typeEbEEZZNS1_14partition_implILS5_1ELb0ES3_jN6thrust23THRUST_200600_302600_NS6detail15normal_iteratorINSA_10device_ptrIsEEEEPS6_NSA_18transform_iteratorI7is_evenIsESF_NSA_11use_defaultESK_EENS0_5tupleIJSF_SF_EEENSM_IJSG_SG_EEES6_PlJS6_EEE10hipError_tPvRmT3_T4_T5_T6_T7_T9_mT8_P12ihipStream_tbDpT10_ENKUlT_T0_E_clISt17integral_constantIbLb0EES19_EEDaS14_S15_EUlS14_E_NS1_11comp_targetILNS1_3genE8ELNS1_11target_archE1030ELNS1_3gpuE2ELNS1_3repE0EEENS1_30default_config_static_selectorELNS0_4arch9wavefront6targetE1EEEvT1_.kd
    .uniform_work_group_size: 1
    .uses_dynamic_stack: false
    .vgpr_count:     0
    .vgpr_spill_count: 0
    .wavefront_size: 64
  - .agpr_count:     0
    .args:
      - .offset:         0
        .size:           144
        .value_kind:     by_value
    .group_segment_fixed_size: 0
    .kernarg_segment_align: 8
    .kernarg_segment_size: 144
    .language:       OpenCL C
    .language_version:
      - 2
      - 0
    .max_flat_workgroup_size: 256
    .name:           _ZN7rocprim17ROCPRIM_400000_NS6detail17trampoline_kernelINS0_14default_configENS1_25partition_config_selectorILNS1_17partition_subalgoE1EsNS0_10empty_typeEbEEZZNS1_14partition_implILS5_1ELb0ES3_jN6thrust23THRUST_200600_302600_NS6detail15normal_iteratorINSA_10device_ptrIsEEEEPS6_NSA_18transform_iteratorI7is_evenIsESF_NSA_11use_defaultESK_EENS0_5tupleIJSF_SF_EEENSM_IJSG_SG_EEES6_PlJS6_EEE10hipError_tPvRmT3_T4_T5_T6_T7_T9_mT8_P12ihipStream_tbDpT10_ENKUlT_T0_E_clISt17integral_constantIbLb1EES19_EEDaS14_S15_EUlS14_E_NS1_11comp_targetILNS1_3genE0ELNS1_11target_archE4294967295ELNS1_3gpuE0ELNS1_3repE0EEENS1_30default_config_static_selectorELNS0_4arch9wavefront6targetE1EEEvT1_
    .private_segment_fixed_size: 0
    .sgpr_count:     4
    .sgpr_spill_count: 0
    .symbol:         _ZN7rocprim17ROCPRIM_400000_NS6detail17trampoline_kernelINS0_14default_configENS1_25partition_config_selectorILNS1_17partition_subalgoE1EsNS0_10empty_typeEbEEZZNS1_14partition_implILS5_1ELb0ES3_jN6thrust23THRUST_200600_302600_NS6detail15normal_iteratorINSA_10device_ptrIsEEEEPS6_NSA_18transform_iteratorI7is_evenIsESF_NSA_11use_defaultESK_EENS0_5tupleIJSF_SF_EEENSM_IJSG_SG_EEES6_PlJS6_EEE10hipError_tPvRmT3_T4_T5_T6_T7_T9_mT8_P12ihipStream_tbDpT10_ENKUlT_T0_E_clISt17integral_constantIbLb1EES19_EEDaS14_S15_EUlS14_E_NS1_11comp_targetILNS1_3genE0ELNS1_11target_archE4294967295ELNS1_3gpuE0ELNS1_3repE0EEENS1_30default_config_static_selectorELNS0_4arch9wavefront6targetE1EEEvT1_.kd
    .uniform_work_group_size: 1
    .uses_dynamic_stack: false
    .vgpr_count:     0
    .vgpr_spill_count: 0
    .wavefront_size: 64
  - .agpr_count:     0
    .args:
      - .offset:         0
        .size:           144
        .value_kind:     by_value
    .group_segment_fixed_size: 0
    .kernarg_segment_align: 8
    .kernarg_segment_size: 144
    .language:       OpenCL C
    .language_version:
      - 2
      - 0
    .max_flat_workgroup_size: 512
    .name:           _ZN7rocprim17ROCPRIM_400000_NS6detail17trampoline_kernelINS0_14default_configENS1_25partition_config_selectorILNS1_17partition_subalgoE1EsNS0_10empty_typeEbEEZZNS1_14partition_implILS5_1ELb0ES3_jN6thrust23THRUST_200600_302600_NS6detail15normal_iteratorINSA_10device_ptrIsEEEEPS6_NSA_18transform_iteratorI7is_evenIsESF_NSA_11use_defaultESK_EENS0_5tupleIJSF_SF_EEENSM_IJSG_SG_EEES6_PlJS6_EEE10hipError_tPvRmT3_T4_T5_T6_T7_T9_mT8_P12ihipStream_tbDpT10_ENKUlT_T0_E_clISt17integral_constantIbLb1EES19_EEDaS14_S15_EUlS14_E_NS1_11comp_targetILNS1_3genE5ELNS1_11target_archE942ELNS1_3gpuE9ELNS1_3repE0EEENS1_30default_config_static_selectorELNS0_4arch9wavefront6targetE1EEEvT1_
    .private_segment_fixed_size: 0
    .sgpr_count:     4
    .sgpr_spill_count: 0
    .symbol:         _ZN7rocprim17ROCPRIM_400000_NS6detail17trampoline_kernelINS0_14default_configENS1_25partition_config_selectorILNS1_17partition_subalgoE1EsNS0_10empty_typeEbEEZZNS1_14partition_implILS5_1ELb0ES3_jN6thrust23THRUST_200600_302600_NS6detail15normal_iteratorINSA_10device_ptrIsEEEEPS6_NSA_18transform_iteratorI7is_evenIsESF_NSA_11use_defaultESK_EENS0_5tupleIJSF_SF_EEENSM_IJSG_SG_EEES6_PlJS6_EEE10hipError_tPvRmT3_T4_T5_T6_T7_T9_mT8_P12ihipStream_tbDpT10_ENKUlT_T0_E_clISt17integral_constantIbLb1EES19_EEDaS14_S15_EUlS14_E_NS1_11comp_targetILNS1_3genE5ELNS1_11target_archE942ELNS1_3gpuE9ELNS1_3repE0EEENS1_30default_config_static_selectorELNS0_4arch9wavefront6targetE1EEEvT1_.kd
    .uniform_work_group_size: 1
    .uses_dynamic_stack: false
    .vgpr_count:     0
    .vgpr_spill_count: 0
    .wavefront_size: 64
  - .agpr_count:     0
    .args:
      - .offset:         0
        .size:           144
        .value_kind:     by_value
    .group_segment_fixed_size: 10248
    .kernarg_segment_align: 8
    .kernarg_segment_size: 144
    .language:       OpenCL C
    .language_version:
      - 2
      - 0
    .max_flat_workgroup_size: 256
    .name:           _ZN7rocprim17ROCPRIM_400000_NS6detail17trampoline_kernelINS0_14default_configENS1_25partition_config_selectorILNS1_17partition_subalgoE1EsNS0_10empty_typeEbEEZZNS1_14partition_implILS5_1ELb0ES3_jN6thrust23THRUST_200600_302600_NS6detail15normal_iteratorINSA_10device_ptrIsEEEEPS6_NSA_18transform_iteratorI7is_evenIsESF_NSA_11use_defaultESK_EENS0_5tupleIJSF_SF_EEENSM_IJSG_SG_EEES6_PlJS6_EEE10hipError_tPvRmT3_T4_T5_T6_T7_T9_mT8_P12ihipStream_tbDpT10_ENKUlT_T0_E_clISt17integral_constantIbLb1EES19_EEDaS14_S15_EUlS14_E_NS1_11comp_targetILNS1_3genE4ELNS1_11target_archE910ELNS1_3gpuE8ELNS1_3repE0EEENS1_30default_config_static_selectorELNS0_4arch9wavefront6targetE1EEEvT1_
    .private_segment_fixed_size: 0
    .sgpr_count:     48
    .sgpr_spill_count: 0
    .symbol:         _ZN7rocprim17ROCPRIM_400000_NS6detail17trampoline_kernelINS0_14default_configENS1_25partition_config_selectorILNS1_17partition_subalgoE1EsNS0_10empty_typeEbEEZZNS1_14partition_implILS5_1ELb0ES3_jN6thrust23THRUST_200600_302600_NS6detail15normal_iteratorINSA_10device_ptrIsEEEEPS6_NSA_18transform_iteratorI7is_evenIsESF_NSA_11use_defaultESK_EENS0_5tupleIJSF_SF_EEENSM_IJSG_SG_EEES6_PlJS6_EEE10hipError_tPvRmT3_T4_T5_T6_T7_T9_mT8_P12ihipStream_tbDpT10_ENKUlT_T0_E_clISt17integral_constantIbLb1EES19_EEDaS14_S15_EUlS14_E_NS1_11comp_targetILNS1_3genE4ELNS1_11target_archE910ELNS1_3gpuE8ELNS1_3repE0EEENS1_30default_config_static_selectorELNS0_4arch9wavefront6targetE1EEEvT1_.kd
    .uniform_work_group_size: 1
    .uses_dynamic_stack: false
    .vgpr_count:     69
    .vgpr_spill_count: 0
    .wavefront_size: 64
  - .agpr_count:     0
    .args:
      - .offset:         0
        .size:           144
        .value_kind:     by_value
    .group_segment_fixed_size: 0
    .kernarg_segment_align: 8
    .kernarg_segment_size: 144
    .language:       OpenCL C
    .language_version:
      - 2
      - 0
    .max_flat_workgroup_size: 256
    .name:           _ZN7rocprim17ROCPRIM_400000_NS6detail17trampoline_kernelINS0_14default_configENS1_25partition_config_selectorILNS1_17partition_subalgoE1EsNS0_10empty_typeEbEEZZNS1_14partition_implILS5_1ELb0ES3_jN6thrust23THRUST_200600_302600_NS6detail15normal_iteratorINSA_10device_ptrIsEEEEPS6_NSA_18transform_iteratorI7is_evenIsESF_NSA_11use_defaultESK_EENS0_5tupleIJSF_SF_EEENSM_IJSG_SG_EEES6_PlJS6_EEE10hipError_tPvRmT3_T4_T5_T6_T7_T9_mT8_P12ihipStream_tbDpT10_ENKUlT_T0_E_clISt17integral_constantIbLb1EES19_EEDaS14_S15_EUlS14_E_NS1_11comp_targetILNS1_3genE3ELNS1_11target_archE908ELNS1_3gpuE7ELNS1_3repE0EEENS1_30default_config_static_selectorELNS0_4arch9wavefront6targetE1EEEvT1_
    .private_segment_fixed_size: 0
    .sgpr_count:     4
    .sgpr_spill_count: 0
    .symbol:         _ZN7rocprim17ROCPRIM_400000_NS6detail17trampoline_kernelINS0_14default_configENS1_25partition_config_selectorILNS1_17partition_subalgoE1EsNS0_10empty_typeEbEEZZNS1_14partition_implILS5_1ELb0ES3_jN6thrust23THRUST_200600_302600_NS6detail15normal_iteratorINSA_10device_ptrIsEEEEPS6_NSA_18transform_iteratorI7is_evenIsESF_NSA_11use_defaultESK_EENS0_5tupleIJSF_SF_EEENSM_IJSG_SG_EEES6_PlJS6_EEE10hipError_tPvRmT3_T4_T5_T6_T7_T9_mT8_P12ihipStream_tbDpT10_ENKUlT_T0_E_clISt17integral_constantIbLb1EES19_EEDaS14_S15_EUlS14_E_NS1_11comp_targetILNS1_3genE3ELNS1_11target_archE908ELNS1_3gpuE7ELNS1_3repE0EEENS1_30default_config_static_selectorELNS0_4arch9wavefront6targetE1EEEvT1_.kd
    .uniform_work_group_size: 1
    .uses_dynamic_stack: false
    .vgpr_count:     0
    .vgpr_spill_count: 0
    .wavefront_size: 64
  - .agpr_count:     0
    .args:
      - .offset:         0
        .size:           144
        .value_kind:     by_value
    .group_segment_fixed_size: 0
    .kernarg_segment_align: 8
    .kernarg_segment_size: 144
    .language:       OpenCL C
    .language_version:
      - 2
      - 0
    .max_flat_workgroup_size: 256
    .name:           _ZN7rocprim17ROCPRIM_400000_NS6detail17trampoline_kernelINS0_14default_configENS1_25partition_config_selectorILNS1_17partition_subalgoE1EsNS0_10empty_typeEbEEZZNS1_14partition_implILS5_1ELb0ES3_jN6thrust23THRUST_200600_302600_NS6detail15normal_iteratorINSA_10device_ptrIsEEEEPS6_NSA_18transform_iteratorI7is_evenIsESF_NSA_11use_defaultESK_EENS0_5tupleIJSF_SF_EEENSM_IJSG_SG_EEES6_PlJS6_EEE10hipError_tPvRmT3_T4_T5_T6_T7_T9_mT8_P12ihipStream_tbDpT10_ENKUlT_T0_E_clISt17integral_constantIbLb1EES19_EEDaS14_S15_EUlS14_E_NS1_11comp_targetILNS1_3genE2ELNS1_11target_archE906ELNS1_3gpuE6ELNS1_3repE0EEENS1_30default_config_static_selectorELNS0_4arch9wavefront6targetE1EEEvT1_
    .private_segment_fixed_size: 0
    .sgpr_count:     4
    .sgpr_spill_count: 0
    .symbol:         _ZN7rocprim17ROCPRIM_400000_NS6detail17trampoline_kernelINS0_14default_configENS1_25partition_config_selectorILNS1_17partition_subalgoE1EsNS0_10empty_typeEbEEZZNS1_14partition_implILS5_1ELb0ES3_jN6thrust23THRUST_200600_302600_NS6detail15normal_iteratorINSA_10device_ptrIsEEEEPS6_NSA_18transform_iteratorI7is_evenIsESF_NSA_11use_defaultESK_EENS0_5tupleIJSF_SF_EEENSM_IJSG_SG_EEES6_PlJS6_EEE10hipError_tPvRmT3_T4_T5_T6_T7_T9_mT8_P12ihipStream_tbDpT10_ENKUlT_T0_E_clISt17integral_constantIbLb1EES19_EEDaS14_S15_EUlS14_E_NS1_11comp_targetILNS1_3genE2ELNS1_11target_archE906ELNS1_3gpuE6ELNS1_3repE0EEENS1_30default_config_static_selectorELNS0_4arch9wavefront6targetE1EEEvT1_.kd
    .uniform_work_group_size: 1
    .uses_dynamic_stack: false
    .vgpr_count:     0
    .vgpr_spill_count: 0
    .wavefront_size: 64
  - .agpr_count:     0
    .args:
      - .offset:         0
        .size:           144
        .value_kind:     by_value
    .group_segment_fixed_size: 0
    .kernarg_segment_align: 8
    .kernarg_segment_size: 144
    .language:       OpenCL C
    .language_version:
      - 2
      - 0
    .max_flat_workgroup_size: 384
    .name:           _ZN7rocprim17ROCPRIM_400000_NS6detail17trampoline_kernelINS0_14default_configENS1_25partition_config_selectorILNS1_17partition_subalgoE1EsNS0_10empty_typeEbEEZZNS1_14partition_implILS5_1ELb0ES3_jN6thrust23THRUST_200600_302600_NS6detail15normal_iteratorINSA_10device_ptrIsEEEEPS6_NSA_18transform_iteratorI7is_evenIsESF_NSA_11use_defaultESK_EENS0_5tupleIJSF_SF_EEENSM_IJSG_SG_EEES6_PlJS6_EEE10hipError_tPvRmT3_T4_T5_T6_T7_T9_mT8_P12ihipStream_tbDpT10_ENKUlT_T0_E_clISt17integral_constantIbLb1EES19_EEDaS14_S15_EUlS14_E_NS1_11comp_targetILNS1_3genE10ELNS1_11target_archE1200ELNS1_3gpuE4ELNS1_3repE0EEENS1_30default_config_static_selectorELNS0_4arch9wavefront6targetE1EEEvT1_
    .private_segment_fixed_size: 0
    .sgpr_count:     4
    .sgpr_spill_count: 0
    .symbol:         _ZN7rocprim17ROCPRIM_400000_NS6detail17trampoline_kernelINS0_14default_configENS1_25partition_config_selectorILNS1_17partition_subalgoE1EsNS0_10empty_typeEbEEZZNS1_14partition_implILS5_1ELb0ES3_jN6thrust23THRUST_200600_302600_NS6detail15normal_iteratorINSA_10device_ptrIsEEEEPS6_NSA_18transform_iteratorI7is_evenIsESF_NSA_11use_defaultESK_EENS0_5tupleIJSF_SF_EEENSM_IJSG_SG_EEES6_PlJS6_EEE10hipError_tPvRmT3_T4_T5_T6_T7_T9_mT8_P12ihipStream_tbDpT10_ENKUlT_T0_E_clISt17integral_constantIbLb1EES19_EEDaS14_S15_EUlS14_E_NS1_11comp_targetILNS1_3genE10ELNS1_11target_archE1200ELNS1_3gpuE4ELNS1_3repE0EEENS1_30default_config_static_selectorELNS0_4arch9wavefront6targetE1EEEvT1_.kd
    .uniform_work_group_size: 1
    .uses_dynamic_stack: false
    .vgpr_count:     0
    .vgpr_spill_count: 0
    .wavefront_size: 64
  - .agpr_count:     0
    .args:
      - .offset:         0
        .size:           144
        .value_kind:     by_value
    .group_segment_fixed_size: 0
    .kernarg_segment_align: 8
    .kernarg_segment_size: 144
    .language:       OpenCL C
    .language_version:
      - 2
      - 0
    .max_flat_workgroup_size: 128
    .name:           _ZN7rocprim17ROCPRIM_400000_NS6detail17trampoline_kernelINS0_14default_configENS1_25partition_config_selectorILNS1_17partition_subalgoE1EsNS0_10empty_typeEbEEZZNS1_14partition_implILS5_1ELb0ES3_jN6thrust23THRUST_200600_302600_NS6detail15normal_iteratorINSA_10device_ptrIsEEEEPS6_NSA_18transform_iteratorI7is_evenIsESF_NSA_11use_defaultESK_EENS0_5tupleIJSF_SF_EEENSM_IJSG_SG_EEES6_PlJS6_EEE10hipError_tPvRmT3_T4_T5_T6_T7_T9_mT8_P12ihipStream_tbDpT10_ENKUlT_T0_E_clISt17integral_constantIbLb1EES19_EEDaS14_S15_EUlS14_E_NS1_11comp_targetILNS1_3genE9ELNS1_11target_archE1100ELNS1_3gpuE3ELNS1_3repE0EEENS1_30default_config_static_selectorELNS0_4arch9wavefront6targetE1EEEvT1_
    .private_segment_fixed_size: 0
    .sgpr_count:     4
    .sgpr_spill_count: 0
    .symbol:         _ZN7rocprim17ROCPRIM_400000_NS6detail17trampoline_kernelINS0_14default_configENS1_25partition_config_selectorILNS1_17partition_subalgoE1EsNS0_10empty_typeEbEEZZNS1_14partition_implILS5_1ELb0ES3_jN6thrust23THRUST_200600_302600_NS6detail15normal_iteratorINSA_10device_ptrIsEEEEPS6_NSA_18transform_iteratorI7is_evenIsESF_NSA_11use_defaultESK_EENS0_5tupleIJSF_SF_EEENSM_IJSG_SG_EEES6_PlJS6_EEE10hipError_tPvRmT3_T4_T5_T6_T7_T9_mT8_P12ihipStream_tbDpT10_ENKUlT_T0_E_clISt17integral_constantIbLb1EES19_EEDaS14_S15_EUlS14_E_NS1_11comp_targetILNS1_3genE9ELNS1_11target_archE1100ELNS1_3gpuE3ELNS1_3repE0EEENS1_30default_config_static_selectorELNS0_4arch9wavefront6targetE1EEEvT1_.kd
    .uniform_work_group_size: 1
    .uses_dynamic_stack: false
    .vgpr_count:     0
    .vgpr_spill_count: 0
    .wavefront_size: 64
  - .agpr_count:     0
    .args:
      - .offset:         0
        .size:           144
        .value_kind:     by_value
    .group_segment_fixed_size: 0
    .kernarg_segment_align: 8
    .kernarg_segment_size: 144
    .language:       OpenCL C
    .language_version:
      - 2
      - 0
    .max_flat_workgroup_size: 512
    .name:           _ZN7rocprim17ROCPRIM_400000_NS6detail17trampoline_kernelINS0_14default_configENS1_25partition_config_selectorILNS1_17partition_subalgoE1EsNS0_10empty_typeEbEEZZNS1_14partition_implILS5_1ELb0ES3_jN6thrust23THRUST_200600_302600_NS6detail15normal_iteratorINSA_10device_ptrIsEEEEPS6_NSA_18transform_iteratorI7is_evenIsESF_NSA_11use_defaultESK_EENS0_5tupleIJSF_SF_EEENSM_IJSG_SG_EEES6_PlJS6_EEE10hipError_tPvRmT3_T4_T5_T6_T7_T9_mT8_P12ihipStream_tbDpT10_ENKUlT_T0_E_clISt17integral_constantIbLb1EES19_EEDaS14_S15_EUlS14_E_NS1_11comp_targetILNS1_3genE8ELNS1_11target_archE1030ELNS1_3gpuE2ELNS1_3repE0EEENS1_30default_config_static_selectorELNS0_4arch9wavefront6targetE1EEEvT1_
    .private_segment_fixed_size: 0
    .sgpr_count:     4
    .sgpr_spill_count: 0
    .symbol:         _ZN7rocprim17ROCPRIM_400000_NS6detail17trampoline_kernelINS0_14default_configENS1_25partition_config_selectorILNS1_17partition_subalgoE1EsNS0_10empty_typeEbEEZZNS1_14partition_implILS5_1ELb0ES3_jN6thrust23THRUST_200600_302600_NS6detail15normal_iteratorINSA_10device_ptrIsEEEEPS6_NSA_18transform_iteratorI7is_evenIsESF_NSA_11use_defaultESK_EENS0_5tupleIJSF_SF_EEENSM_IJSG_SG_EEES6_PlJS6_EEE10hipError_tPvRmT3_T4_T5_T6_T7_T9_mT8_P12ihipStream_tbDpT10_ENKUlT_T0_E_clISt17integral_constantIbLb1EES19_EEDaS14_S15_EUlS14_E_NS1_11comp_targetILNS1_3genE8ELNS1_11target_archE1030ELNS1_3gpuE2ELNS1_3repE0EEENS1_30default_config_static_selectorELNS0_4arch9wavefront6targetE1EEEvT1_.kd
    .uniform_work_group_size: 1
    .uses_dynamic_stack: false
    .vgpr_count:     0
    .vgpr_spill_count: 0
    .wavefront_size: 64
  - .agpr_count:     0
    .args:
      - .offset:         0
        .size:           128
        .value_kind:     by_value
    .group_segment_fixed_size: 0
    .kernarg_segment_align: 8
    .kernarg_segment_size: 128
    .language:       OpenCL C
    .language_version:
      - 2
      - 0
    .max_flat_workgroup_size: 256
    .name:           _ZN7rocprim17ROCPRIM_400000_NS6detail17trampoline_kernelINS0_14default_configENS1_25partition_config_selectorILNS1_17partition_subalgoE1EsNS0_10empty_typeEbEEZZNS1_14partition_implILS5_1ELb0ES3_jN6thrust23THRUST_200600_302600_NS6detail15normal_iteratorINSA_10device_ptrIsEEEEPS6_NSA_18transform_iteratorI7is_evenIsESF_NSA_11use_defaultESK_EENS0_5tupleIJSF_SF_EEENSM_IJSG_SG_EEES6_PlJS6_EEE10hipError_tPvRmT3_T4_T5_T6_T7_T9_mT8_P12ihipStream_tbDpT10_ENKUlT_T0_E_clISt17integral_constantIbLb1EES18_IbLb0EEEEDaS14_S15_EUlS14_E_NS1_11comp_targetILNS1_3genE0ELNS1_11target_archE4294967295ELNS1_3gpuE0ELNS1_3repE0EEENS1_30default_config_static_selectorELNS0_4arch9wavefront6targetE1EEEvT1_
    .private_segment_fixed_size: 0
    .sgpr_count:     4
    .sgpr_spill_count: 0
    .symbol:         _ZN7rocprim17ROCPRIM_400000_NS6detail17trampoline_kernelINS0_14default_configENS1_25partition_config_selectorILNS1_17partition_subalgoE1EsNS0_10empty_typeEbEEZZNS1_14partition_implILS5_1ELb0ES3_jN6thrust23THRUST_200600_302600_NS6detail15normal_iteratorINSA_10device_ptrIsEEEEPS6_NSA_18transform_iteratorI7is_evenIsESF_NSA_11use_defaultESK_EENS0_5tupleIJSF_SF_EEENSM_IJSG_SG_EEES6_PlJS6_EEE10hipError_tPvRmT3_T4_T5_T6_T7_T9_mT8_P12ihipStream_tbDpT10_ENKUlT_T0_E_clISt17integral_constantIbLb1EES18_IbLb0EEEEDaS14_S15_EUlS14_E_NS1_11comp_targetILNS1_3genE0ELNS1_11target_archE4294967295ELNS1_3gpuE0ELNS1_3repE0EEENS1_30default_config_static_selectorELNS0_4arch9wavefront6targetE1EEEvT1_.kd
    .uniform_work_group_size: 1
    .uses_dynamic_stack: false
    .vgpr_count:     0
    .vgpr_spill_count: 0
    .wavefront_size: 64
  - .agpr_count:     0
    .args:
      - .offset:         0
        .size:           128
        .value_kind:     by_value
    .group_segment_fixed_size: 0
    .kernarg_segment_align: 8
    .kernarg_segment_size: 128
    .language:       OpenCL C
    .language_version:
      - 2
      - 0
    .max_flat_workgroup_size: 512
    .name:           _ZN7rocprim17ROCPRIM_400000_NS6detail17trampoline_kernelINS0_14default_configENS1_25partition_config_selectorILNS1_17partition_subalgoE1EsNS0_10empty_typeEbEEZZNS1_14partition_implILS5_1ELb0ES3_jN6thrust23THRUST_200600_302600_NS6detail15normal_iteratorINSA_10device_ptrIsEEEEPS6_NSA_18transform_iteratorI7is_evenIsESF_NSA_11use_defaultESK_EENS0_5tupleIJSF_SF_EEENSM_IJSG_SG_EEES6_PlJS6_EEE10hipError_tPvRmT3_T4_T5_T6_T7_T9_mT8_P12ihipStream_tbDpT10_ENKUlT_T0_E_clISt17integral_constantIbLb1EES18_IbLb0EEEEDaS14_S15_EUlS14_E_NS1_11comp_targetILNS1_3genE5ELNS1_11target_archE942ELNS1_3gpuE9ELNS1_3repE0EEENS1_30default_config_static_selectorELNS0_4arch9wavefront6targetE1EEEvT1_
    .private_segment_fixed_size: 0
    .sgpr_count:     4
    .sgpr_spill_count: 0
    .symbol:         _ZN7rocprim17ROCPRIM_400000_NS6detail17trampoline_kernelINS0_14default_configENS1_25partition_config_selectorILNS1_17partition_subalgoE1EsNS0_10empty_typeEbEEZZNS1_14partition_implILS5_1ELb0ES3_jN6thrust23THRUST_200600_302600_NS6detail15normal_iteratorINSA_10device_ptrIsEEEEPS6_NSA_18transform_iteratorI7is_evenIsESF_NSA_11use_defaultESK_EENS0_5tupleIJSF_SF_EEENSM_IJSG_SG_EEES6_PlJS6_EEE10hipError_tPvRmT3_T4_T5_T6_T7_T9_mT8_P12ihipStream_tbDpT10_ENKUlT_T0_E_clISt17integral_constantIbLb1EES18_IbLb0EEEEDaS14_S15_EUlS14_E_NS1_11comp_targetILNS1_3genE5ELNS1_11target_archE942ELNS1_3gpuE9ELNS1_3repE0EEENS1_30default_config_static_selectorELNS0_4arch9wavefront6targetE1EEEvT1_.kd
    .uniform_work_group_size: 1
    .uses_dynamic_stack: false
    .vgpr_count:     0
    .vgpr_spill_count: 0
    .wavefront_size: 64
  - .agpr_count:     0
    .args:
      - .offset:         0
        .size:           128
        .value_kind:     by_value
    .group_segment_fixed_size: 10248
    .kernarg_segment_align: 8
    .kernarg_segment_size: 128
    .language:       OpenCL C
    .language_version:
      - 2
      - 0
    .max_flat_workgroup_size: 256
    .name:           _ZN7rocprim17ROCPRIM_400000_NS6detail17trampoline_kernelINS0_14default_configENS1_25partition_config_selectorILNS1_17partition_subalgoE1EsNS0_10empty_typeEbEEZZNS1_14partition_implILS5_1ELb0ES3_jN6thrust23THRUST_200600_302600_NS6detail15normal_iteratorINSA_10device_ptrIsEEEEPS6_NSA_18transform_iteratorI7is_evenIsESF_NSA_11use_defaultESK_EENS0_5tupleIJSF_SF_EEENSM_IJSG_SG_EEES6_PlJS6_EEE10hipError_tPvRmT3_T4_T5_T6_T7_T9_mT8_P12ihipStream_tbDpT10_ENKUlT_T0_E_clISt17integral_constantIbLb1EES18_IbLb0EEEEDaS14_S15_EUlS14_E_NS1_11comp_targetILNS1_3genE4ELNS1_11target_archE910ELNS1_3gpuE8ELNS1_3repE0EEENS1_30default_config_static_selectorELNS0_4arch9wavefront6targetE1EEEvT1_
    .private_segment_fixed_size: 0
    .sgpr_count:     48
    .sgpr_spill_count: 0
    .symbol:         _ZN7rocprim17ROCPRIM_400000_NS6detail17trampoline_kernelINS0_14default_configENS1_25partition_config_selectorILNS1_17partition_subalgoE1EsNS0_10empty_typeEbEEZZNS1_14partition_implILS5_1ELb0ES3_jN6thrust23THRUST_200600_302600_NS6detail15normal_iteratorINSA_10device_ptrIsEEEEPS6_NSA_18transform_iteratorI7is_evenIsESF_NSA_11use_defaultESK_EENS0_5tupleIJSF_SF_EEENSM_IJSG_SG_EEES6_PlJS6_EEE10hipError_tPvRmT3_T4_T5_T6_T7_T9_mT8_P12ihipStream_tbDpT10_ENKUlT_T0_E_clISt17integral_constantIbLb1EES18_IbLb0EEEEDaS14_S15_EUlS14_E_NS1_11comp_targetILNS1_3genE4ELNS1_11target_archE910ELNS1_3gpuE8ELNS1_3repE0EEENS1_30default_config_static_selectorELNS0_4arch9wavefront6targetE1EEEvT1_.kd
    .uniform_work_group_size: 1
    .uses_dynamic_stack: false
    .vgpr_count:     65
    .vgpr_spill_count: 0
    .wavefront_size: 64
  - .agpr_count:     0
    .args:
      - .offset:         0
        .size:           128
        .value_kind:     by_value
    .group_segment_fixed_size: 0
    .kernarg_segment_align: 8
    .kernarg_segment_size: 128
    .language:       OpenCL C
    .language_version:
      - 2
      - 0
    .max_flat_workgroup_size: 256
    .name:           _ZN7rocprim17ROCPRIM_400000_NS6detail17trampoline_kernelINS0_14default_configENS1_25partition_config_selectorILNS1_17partition_subalgoE1EsNS0_10empty_typeEbEEZZNS1_14partition_implILS5_1ELb0ES3_jN6thrust23THRUST_200600_302600_NS6detail15normal_iteratorINSA_10device_ptrIsEEEEPS6_NSA_18transform_iteratorI7is_evenIsESF_NSA_11use_defaultESK_EENS0_5tupleIJSF_SF_EEENSM_IJSG_SG_EEES6_PlJS6_EEE10hipError_tPvRmT3_T4_T5_T6_T7_T9_mT8_P12ihipStream_tbDpT10_ENKUlT_T0_E_clISt17integral_constantIbLb1EES18_IbLb0EEEEDaS14_S15_EUlS14_E_NS1_11comp_targetILNS1_3genE3ELNS1_11target_archE908ELNS1_3gpuE7ELNS1_3repE0EEENS1_30default_config_static_selectorELNS0_4arch9wavefront6targetE1EEEvT1_
    .private_segment_fixed_size: 0
    .sgpr_count:     4
    .sgpr_spill_count: 0
    .symbol:         _ZN7rocprim17ROCPRIM_400000_NS6detail17trampoline_kernelINS0_14default_configENS1_25partition_config_selectorILNS1_17partition_subalgoE1EsNS0_10empty_typeEbEEZZNS1_14partition_implILS5_1ELb0ES3_jN6thrust23THRUST_200600_302600_NS6detail15normal_iteratorINSA_10device_ptrIsEEEEPS6_NSA_18transform_iteratorI7is_evenIsESF_NSA_11use_defaultESK_EENS0_5tupleIJSF_SF_EEENSM_IJSG_SG_EEES6_PlJS6_EEE10hipError_tPvRmT3_T4_T5_T6_T7_T9_mT8_P12ihipStream_tbDpT10_ENKUlT_T0_E_clISt17integral_constantIbLb1EES18_IbLb0EEEEDaS14_S15_EUlS14_E_NS1_11comp_targetILNS1_3genE3ELNS1_11target_archE908ELNS1_3gpuE7ELNS1_3repE0EEENS1_30default_config_static_selectorELNS0_4arch9wavefront6targetE1EEEvT1_.kd
    .uniform_work_group_size: 1
    .uses_dynamic_stack: false
    .vgpr_count:     0
    .vgpr_spill_count: 0
    .wavefront_size: 64
  - .agpr_count:     0
    .args:
      - .offset:         0
        .size:           128
        .value_kind:     by_value
    .group_segment_fixed_size: 0
    .kernarg_segment_align: 8
    .kernarg_segment_size: 128
    .language:       OpenCL C
    .language_version:
      - 2
      - 0
    .max_flat_workgroup_size: 256
    .name:           _ZN7rocprim17ROCPRIM_400000_NS6detail17trampoline_kernelINS0_14default_configENS1_25partition_config_selectorILNS1_17partition_subalgoE1EsNS0_10empty_typeEbEEZZNS1_14partition_implILS5_1ELb0ES3_jN6thrust23THRUST_200600_302600_NS6detail15normal_iteratorINSA_10device_ptrIsEEEEPS6_NSA_18transform_iteratorI7is_evenIsESF_NSA_11use_defaultESK_EENS0_5tupleIJSF_SF_EEENSM_IJSG_SG_EEES6_PlJS6_EEE10hipError_tPvRmT3_T4_T5_T6_T7_T9_mT8_P12ihipStream_tbDpT10_ENKUlT_T0_E_clISt17integral_constantIbLb1EES18_IbLb0EEEEDaS14_S15_EUlS14_E_NS1_11comp_targetILNS1_3genE2ELNS1_11target_archE906ELNS1_3gpuE6ELNS1_3repE0EEENS1_30default_config_static_selectorELNS0_4arch9wavefront6targetE1EEEvT1_
    .private_segment_fixed_size: 0
    .sgpr_count:     4
    .sgpr_spill_count: 0
    .symbol:         _ZN7rocprim17ROCPRIM_400000_NS6detail17trampoline_kernelINS0_14default_configENS1_25partition_config_selectorILNS1_17partition_subalgoE1EsNS0_10empty_typeEbEEZZNS1_14partition_implILS5_1ELb0ES3_jN6thrust23THRUST_200600_302600_NS6detail15normal_iteratorINSA_10device_ptrIsEEEEPS6_NSA_18transform_iteratorI7is_evenIsESF_NSA_11use_defaultESK_EENS0_5tupleIJSF_SF_EEENSM_IJSG_SG_EEES6_PlJS6_EEE10hipError_tPvRmT3_T4_T5_T6_T7_T9_mT8_P12ihipStream_tbDpT10_ENKUlT_T0_E_clISt17integral_constantIbLb1EES18_IbLb0EEEEDaS14_S15_EUlS14_E_NS1_11comp_targetILNS1_3genE2ELNS1_11target_archE906ELNS1_3gpuE6ELNS1_3repE0EEENS1_30default_config_static_selectorELNS0_4arch9wavefront6targetE1EEEvT1_.kd
    .uniform_work_group_size: 1
    .uses_dynamic_stack: false
    .vgpr_count:     0
    .vgpr_spill_count: 0
    .wavefront_size: 64
  - .agpr_count:     0
    .args:
      - .offset:         0
        .size:           128
        .value_kind:     by_value
    .group_segment_fixed_size: 0
    .kernarg_segment_align: 8
    .kernarg_segment_size: 128
    .language:       OpenCL C
    .language_version:
      - 2
      - 0
    .max_flat_workgroup_size: 384
    .name:           _ZN7rocprim17ROCPRIM_400000_NS6detail17trampoline_kernelINS0_14default_configENS1_25partition_config_selectorILNS1_17partition_subalgoE1EsNS0_10empty_typeEbEEZZNS1_14partition_implILS5_1ELb0ES3_jN6thrust23THRUST_200600_302600_NS6detail15normal_iteratorINSA_10device_ptrIsEEEEPS6_NSA_18transform_iteratorI7is_evenIsESF_NSA_11use_defaultESK_EENS0_5tupleIJSF_SF_EEENSM_IJSG_SG_EEES6_PlJS6_EEE10hipError_tPvRmT3_T4_T5_T6_T7_T9_mT8_P12ihipStream_tbDpT10_ENKUlT_T0_E_clISt17integral_constantIbLb1EES18_IbLb0EEEEDaS14_S15_EUlS14_E_NS1_11comp_targetILNS1_3genE10ELNS1_11target_archE1200ELNS1_3gpuE4ELNS1_3repE0EEENS1_30default_config_static_selectorELNS0_4arch9wavefront6targetE1EEEvT1_
    .private_segment_fixed_size: 0
    .sgpr_count:     4
    .sgpr_spill_count: 0
    .symbol:         _ZN7rocprim17ROCPRIM_400000_NS6detail17trampoline_kernelINS0_14default_configENS1_25partition_config_selectorILNS1_17partition_subalgoE1EsNS0_10empty_typeEbEEZZNS1_14partition_implILS5_1ELb0ES3_jN6thrust23THRUST_200600_302600_NS6detail15normal_iteratorINSA_10device_ptrIsEEEEPS6_NSA_18transform_iteratorI7is_evenIsESF_NSA_11use_defaultESK_EENS0_5tupleIJSF_SF_EEENSM_IJSG_SG_EEES6_PlJS6_EEE10hipError_tPvRmT3_T4_T5_T6_T7_T9_mT8_P12ihipStream_tbDpT10_ENKUlT_T0_E_clISt17integral_constantIbLb1EES18_IbLb0EEEEDaS14_S15_EUlS14_E_NS1_11comp_targetILNS1_3genE10ELNS1_11target_archE1200ELNS1_3gpuE4ELNS1_3repE0EEENS1_30default_config_static_selectorELNS0_4arch9wavefront6targetE1EEEvT1_.kd
    .uniform_work_group_size: 1
    .uses_dynamic_stack: false
    .vgpr_count:     0
    .vgpr_spill_count: 0
    .wavefront_size: 64
  - .agpr_count:     0
    .args:
      - .offset:         0
        .size:           128
        .value_kind:     by_value
    .group_segment_fixed_size: 0
    .kernarg_segment_align: 8
    .kernarg_segment_size: 128
    .language:       OpenCL C
    .language_version:
      - 2
      - 0
    .max_flat_workgroup_size: 128
    .name:           _ZN7rocprim17ROCPRIM_400000_NS6detail17trampoline_kernelINS0_14default_configENS1_25partition_config_selectorILNS1_17partition_subalgoE1EsNS0_10empty_typeEbEEZZNS1_14partition_implILS5_1ELb0ES3_jN6thrust23THRUST_200600_302600_NS6detail15normal_iteratorINSA_10device_ptrIsEEEEPS6_NSA_18transform_iteratorI7is_evenIsESF_NSA_11use_defaultESK_EENS0_5tupleIJSF_SF_EEENSM_IJSG_SG_EEES6_PlJS6_EEE10hipError_tPvRmT3_T4_T5_T6_T7_T9_mT8_P12ihipStream_tbDpT10_ENKUlT_T0_E_clISt17integral_constantIbLb1EES18_IbLb0EEEEDaS14_S15_EUlS14_E_NS1_11comp_targetILNS1_3genE9ELNS1_11target_archE1100ELNS1_3gpuE3ELNS1_3repE0EEENS1_30default_config_static_selectorELNS0_4arch9wavefront6targetE1EEEvT1_
    .private_segment_fixed_size: 0
    .sgpr_count:     4
    .sgpr_spill_count: 0
    .symbol:         _ZN7rocprim17ROCPRIM_400000_NS6detail17trampoline_kernelINS0_14default_configENS1_25partition_config_selectorILNS1_17partition_subalgoE1EsNS0_10empty_typeEbEEZZNS1_14partition_implILS5_1ELb0ES3_jN6thrust23THRUST_200600_302600_NS6detail15normal_iteratorINSA_10device_ptrIsEEEEPS6_NSA_18transform_iteratorI7is_evenIsESF_NSA_11use_defaultESK_EENS0_5tupleIJSF_SF_EEENSM_IJSG_SG_EEES6_PlJS6_EEE10hipError_tPvRmT3_T4_T5_T6_T7_T9_mT8_P12ihipStream_tbDpT10_ENKUlT_T0_E_clISt17integral_constantIbLb1EES18_IbLb0EEEEDaS14_S15_EUlS14_E_NS1_11comp_targetILNS1_3genE9ELNS1_11target_archE1100ELNS1_3gpuE3ELNS1_3repE0EEENS1_30default_config_static_selectorELNS0_4arch9wavefront6targetE1EEEvT1_.kd
    .uniform_work_group_size: 1
    .uses_dynamic_stack: false
    .vgpr_count:     0
    .vgpr_spill_count: 0
    .wavefront_size: 64
  - .agpr_count:     0
    .args:
      - .offset:         0
        .size:           128
        .value_kind:     by_value
    .group_segment_fixed_size: 0
    .kernarg_segment_align: 8
    .kernarg_segment_size: 128
    .language:       OpenCL C
    .language_version:
      - 2
      - 0
    .max_flat_workgroup_size: 512
    .name:           _ZN7rocprim17ROCPRIM_400000_NS6detail17trampoline_kernelINS0_14default_configENS1_25partition_config_selectorILNS1_17partition_subalgoE1EsNS0_10empty_typeEbEEZZNS1_14partition_implILS5_1ELb0ES3_jN6thrust23THRUST_200600_302600_NS6detail15normal_iteratorINSA_10device_ptrIsEEEEPS6_NSA_18transform_iteratorI7is_evenIsESF_NSA_11use_defaultESK_EENS0_5tupleIJSF_SF_EEENSM_IJSG_SG_EEES6_PlJS6_EEE10hipError_tPvRmT3_T4_T5_T6_T7_T9_mT8_P12ihipStream_tbDpT10_ENKUlT_T0_E_clISt17integral_constantIbLb1EES18_IbLb0EEEEDaS14_S15_EUlS14_E_NS1_11comp_targetILNS1_3genE8ELNS1_11target_archE1030ELNS1_3gpuE2ELNS1_3repE0EEENS1_30default_config_static_selectorELNS0_4arch9wavefront6targetE1EEEvT1_
    .private_segment_fixed_size: 0
    .sgpr_count:     4
    .sgpr_spill_count: 0
    .symbol:         _ZN7rocprim17ROCPRIM_400000_NS6detail17trampoline_kernelINS0_14default_configENS1_25partition_config_selectorILNS1_17partition_subalgoE1EsNS0_10empty_typeEbEEZZNS1_14partition_implILS5_1ELb0ES3_jN6thrust23THRUST_200600_302600_NS6detail15normal_iteratorINSA_10device_ptrIsEEEEPS6_NSA_18transform_iteratorI7is_evenIsESF_NSA_11use_defaultESK_EENS0_5tupleIJSF_SF_EEENSM_IJSG_SG_EEES6_PlJS6_EEE10hipError_tPvRmT3_T4_T5_T6_T7_T9_mT8_P12ihipStream_tbDpT10_ENKUlT_T0_E_clISt17integral_constantIbLb1EES18_IbLb0EEEEDaS14_S15_EUlS14_E_NS1_11comp_targetILNS1_3genE8ELNS1_11target_archE1030ELNS1_3gpuE2ELNS1_3repE0EEENS1_30default_config_static_selectorELNS0_4arch9wavefront6targetE1EEEvT1_.kd
    .uniform_work_group_size: 1
    .uses_dynamic_stack: false
    .vgpr_count:     0
    .vgpr_spill_count: 0
    .wavefront_size: 64
  - .agpr_count:     0
    .args:
      - .offset:         0
        .size:           144
        .value_kind:     by_value
    .group_segment_fixed_size: 0
    .kernarg_segment_align: 8
    .kernarg_segment_size: 144
    .language:       OpenCL C
    .language_version:
      - 2
      - 0
    .max_flat_workgroup_size: 256
    .name:           _ZN7rocprim17ROCPRIM_400000_NS6detail17trampoline_kernelINS0_14default_configENS1_25partition_config_selectorILNS1_17partition_subalgoE1EsNS0_10empty_typeEbEEZZNS1_14partition_implILS5_1ELb0ES3_jN6thrust23THRUST_200600_302600_NS6detail15normal_iteratorINSA_10device_ptrIsEEEEPS6_NSA_18transform_iteratorI7is_evenIsESF_NSA_11use_defaultESK_EENS0_5tupleIJSF_SF_EEENSM_IJSG_SG_EEES6_PlJS6_EEE10hipError_tPvRmT3_T4_T5_T6_T7_T9_mT8_P12ihipStream_tbDpT10_ENKUlT_T0_E_clISt17integral_constantIbLb0EES18_IbLb1EEEEDaS14_S15_EUlS14_E_NS1_11comp_targetILNS1_3genE0ELNS1_11target_archE4294967295ELNS1_3gpuE0ELNS1_3repE0EEENS1_30default_config_static_selectorELNS0_4arch9wavefront6targetE1EEEvT1_
    .private_segment_fixed_size: 0
    .sgpr_count:     4
    .sgpr_spill_count: 0
    .symbol:         _ZN7rocprim17ROCPRIM_400000_NS6detail17trampoline_kernelINS0_14default_configENS1_25partition_config_selectorILNS1_17partition_subalgoE1EsNS0_10empty_typeEbEEZZNS1_14partition_implILS5_1ELb0ES3_jN6thrust23THRUST_200600_302600_NS6detail15normal_iteratorINSA_10device_ptrIsEEEEPS6_NSA_18transform_iteratorI7is_evenIsESF_NSA_11use_defaultESK_EENS0_5tupleIJSF_SF_EEENSM_IJSG_SG_EEES6_PlJS6_EEE10hipError_tPvRmT3_T4_T5_T6_T7_T9_mT8_P12ihipStream_tbDpT10_ENKUlT_T0_E_clISt17integral_constantIbLb0EES18_IbLb1EEEEDaS14_S15_EUlS14_E_NS1_11comp_targetILNS1_3genE0ELNS1_11target_archE4294967295ELNS1_3gpuE0ELNS1_3repE0EEENS1_30default_config_static_selectorELNS0_4arch9wavefront6targetE1EEEvT1_.kd
    .uniform_work_group_size: 1
    .uses_dynamic_stack: false
    .vgpr_count:     0
    .vgpr_spill_count: 0
    .wavefront_size: 64
  - .agpr_count:     0
    .args:
      - .offset:         0
        .size:           144
        .value_kind:     by_value
    .group_segment_fixed_size: 0
    .kernarg_segment_align: 8
    .kernarg_segment_size: 144
    .language:       OpenCL C
    .language_version:
      - 2
      - 0
    .max_flat_workgroup_size: 512
    .name:           _ZN7rocprim17ROCPRIM_400000_NS6detail17trampoline_kernelINS0_14default_configENS1_25partition_config_selectorILNS1_17partition_subalgoE1EsNS0_10empty_typeEbEEZZNS1_14partition_implILS5_1ELb0ES3_jN6thrust23THRUST_200600_302600_NS6detail15normal_iteratorINSA_10device_ptrIsEEEEPS6_NSA_18transform_iteratorI7is_evenIsESF_NSA_11use_defaultESK_EENS0_5tupleIJSF_SF_EEENSM_IJSG_SG_EEES6_PlJS6_EEE10hipError_tPvRmT3_T4_T5_T6_T7_T9_mT8_P12ihipStream_tbDpT10_ENKUlT_T0_E_clISt17integral_constantIbLb0EES18_IbLb1EEEEDaS14_S15_EUlS14_E_NS1_11comp_targetILNS1_3genE5ELNS1_11target_archE942ELNS1_3gpuE9ELNS1_3repE0EEENS1_30default_config_static_selectorELNS0_4arch9wavefront6targetE1EEEvT1_
    .private_segment_fixed_size: 0
    .sgpr_count:     4
    .sgpr_spill_count: 0
    .symbol:         _ZN7rocprim17ROCPRIM_400000_NS6detail17trampoline_kernelINS0_14default_configENS1_25partition_config_selectorILNS1_17partition_subalgoE1EsNS0_10empty_typeEbEEZZNS1_14partition_implILS5_1ELb0ES3_jN6thrust23THRUST_200600_302600_NS6detail15normal_iteratorINSA_10device_ptrIsEEEEPS6_NSA_18transform_iteratorI7is_evenIsESF_NSA_11use_defaultESK_EENS0_5tupleIJSF_SF_EEENSM_IJSG_SG_EEES6_PlJS6_EEE10hipError_tPvRmT3_T4_T5_T6_T7_T9_mT8_P12ihipStream_tbDpT10_ENKUlT_T0_E_clISt17integral_constantIbLb0EES18_IbLb1EEEEDaS14_S15_EUlS14_E_NS1_11comp_targetILNS1_3genE5ELNS1_11target_archE942ELNS1_3gpuE9ELNS1_3repE0EEENS1_30default_config_static_selectorELNS0_4arch9wavefront6targetE1EEEvT1_.kd
    .uniform_work_group_size: 1
    .uses_dynamic_stack: false
    .vgpr_count:     0
    .vgpr_spill_count: 0
    .wavefront_size: 64
  - .agpr_count:     0
    .args:
      - .offset:         0
        .size:           144
        .value_kind:     by_value
    .group_segment_fixed_size: 10248
    .kernarg_segment_align: 8
    .kernarg_segment_size: 144
    .language:       OpenCL C
    .language_version:
      - 2
      - 0
    .max_flat_workgroup_size: 256
    .name:           _ZN7rocprim17ROCPRIM_400000_NS6detail17trampoline_kernelINS0_14default_configENS1_25partition_config_selectorILNS1_17partition_subalgoE1EsNS0_10empty_typeEbEEZZNS1_14partition_implILS5_1ELb0ES3_jN6thrust23THRUST_200600_302600_NS6detail15normal_iteratorINSA_10device_ptrIsEEEEPS6_NSA_18transform_iteratorI7is_evenIsESF_NSA_11use_defaultESK_EENS0_5tupleIJSF_SF_EEENSM_IJSG_SG_EEES6_PlJS6_EEE10hipError_tPvRmT3_T4_T5_T6_T7_T9_mT8_P12ihipStream_tbDpT10_ENKUlT_T0_E_clISt17integral_constantIbLb0EES18_IbLb1EEEEDaS14_S15_EUlS14_E_NS1_11comp_targetILNS1_3genE4ELNS1_11target_archE910ELNS1_3gpuE8ELNS1_3repE0EEENS1_30default_config_static_selectorELNS0_4arch9wavefront6targetE1EEEvT1_
    .private_segment_fixed_size: 0
    .sgpr_count:     48
    .sgpr_spill_count: 0
    .symbol:         _ZN7rocprim17ROCPRIM_400000_NS6detail17trampoline_kernelINS0_14default_configENS1_25partition_config_selectorILNS1_17partition_subalgoE1EsNS0_10empty_typeEbEEZZNS1_14partition_implILS5_1ELb0ES3_jN6thrust23THRUST_200600_302600_NS6detail15normal_iteratorINSA_10device_ptrIsEEEEPS6_NSA_18transform_iteratorI7is_evenIsESF_NSA_11use_defaultESK_EENS0_5tupleIJSF_SF_EEENSM_IJSG_SG_EEES6_PlJS6_EEE10hipError_tPvRmT3_T4_T5_T6_T7_T9_mT8_P12ihipStream_tbDpT10_ENKUlT_T0_E_clISt17integral_constantIbLb0EES18_IbLb1EEEEDaS14_S15_EUlS14_E_NS1_11comp_targetILNS1_3genE4ELNS1_11target_archE910ELNS1_3gpuE8ELNS1_3repE0EEENS1_30default_config_static_selectorELNS0_4arch9wavefront6targetE1EEEvT1_.kd
    .uniform_work_group_size: 1
    .uses_dynamic_stack: false
    .vgpr_count:     69
    .vgpr_spill_count: 0
    .wavefront_size: 64
  - .agpr_count:     0
    .args:
      - .offset:         0
        .size:           144
        .value_kind:     by_value
    .group_segment_fixed_size: 0
    .kernarg_segment_align: 8
    .kernarg_segment_size: 144
    .language:       OpenCL C
    .language_version:
      - 2
      - 0
    .max_flat_workgroup_size: 256
    .name:           _ZN7rocprim17ROCPRIM_400000_NS6detail17trampoline_kernelINS0_14default_configENS1_25partition_config_selectorILNS1_17partition_subalgoE1EsNS0_10empty_typeEbEEZZNS1_14partition_implILS5_1ELb0ES3_jN6thrust23THRUST_200600_302600_NS6detail15normal_iteratorINSA_10device_ptrIsEEEEPS6_NSA_18transform_iteratorI7is_evenIsESF_NSA_11use_defaultESK_EENS0_5tupleIJSF_SF_EEENSM_IJSG_SG_EEES6_PlJS6_EEE10hipError_tPvRmT3_T4_T5_T6_T7_T9_mT8_P12ihipStream_tbDpT10_ENKUlT_T0_E_clISt17integral_constantIbLb0EES18_IbLb1EEEEDaS14_S15_EUlS14_E_NS1_11comp_targetILNS1_3genE3ELNS1_11target_archE908ELNS1_3gpuE7ELNS1_3repE0EEENS1_30default_config_static_selectorELNS0_4arch9wavefront6targetE1EEEvT1_
    .private_segment_fixed_size: 0
    .sgpr_count:     4
    .sgpr_spill_count: 0
    .symbol:         _ZN7rocprim17ROCPRIM_400000_NS6detail17trampoline_kernelINS0_14default_configENS1_25partition_config_selectorILNS1_17partition_subalgoE1EsNS0_10empty_typeEbEEZZNS1_14partition_implILS5_1ELb0ES3_jN6thrust23THRUST_200600_302600_NS6detail15normal_iteratorINSA_10device_ptrIsEEEEPS6_NSA_18transform_iteratorI7is_evenIsESF_NSA_11use_defaultESK_EENS0_5tupleIJSF_SF_EEENSM_IJSG_SG_EEES6_PlJS6_EEE10hipError_tPvRmT3_T4_T5_T6_T7_T9_mT8_P12ihipStream_tbDpT10_ENKUlT_T0_E_clISt17integral_constantIbLb0EES18_IbLb1EEEEDaS14_S15_EUlS14_E_NS1_11comp_targetILNS1_3genE3ELNS1_11target_archE908ELNS1_3gpuE7ELNS1_3repE0EEENS1_30default_config_static_selectorELNS0_4arch9wavefront6targetE1EEEvT1_.kd
    .uniform_work_group_size: 1
    .uses_dynamic_stack: false
    .vgpr_count:     0
    .vgpr_spill_count: 0
    .wavefront_size: 64
  - .agpr_count:     0
    .args:
      - .offset:         0
        .size:           144
        .value_kind:     by_value
    .group_segment_fixed_size: 0
    .kernarg_segment_align: 8
    .kernarg_segment_size: 144
    .language:       OpenCL C
    .language_version:
      - 2
      - 0
    .max_flat_workgroup_size: 256
    .name:           _ZN7rocprim17ROCPRIM_400000_NS6detail17trampoline_kernelINS0_14default_configENS1_25partition_config_selectorILNS1_17partition_subalgoE1EsNS0_10empty_typeEbEEZZNS1_14partition_implILS5_1ELb0ES3_jN6thrust23THRUST_200600_302600_NS6detail15normal_iteratorINSA_10device_ptrIsEEEEPS6_NSA_18transform_iteratorI7is_evenIsESF_NSA_11use_defaultESK_EENS0_5tupleIJSF_SF_EEENSM_IJSG_SG_EEES6_PlJS6_EEE10hipError_tPvRmT3_T4_T5_T6_T7_T9_mT8_P12ihipStream_tbDpT10_ENKUlT_T0_E_clISt17integral_constantIbLb0EES18_IbLb1EEEEDaS14_S15_EUlS14_E_NS1_11comp_targetILNS1_3genE2ELNS1_11target_archE906ELNS1_3gpuE6ELNS1_3repE0EEENS1_30default_config_static_selectorELNS0_4arch9wavefront6targetE1EEEvT1_
    .private_segment_fixed_size: 0
    .sgpr_count:     4
    .sgpr_spill_count: 0
    .symbol:         _ZN7rocprim17ROCPRIM_400000_NS6detail17trampoline_kernelINS0_14default_configENS1_25partition_config_selectorILNS1_17partition_subalgoE1EsNS0_10empty_typeEbEEZZNS1_14partition_implILS5_1ELb0ES3_jN6thrust23THRUST_200600_302600_NS6detail15normal_iteratorINSA_10device_ptrIsEEEEPS6_NSA_18transform_iteratorI7is_evenIsESF_NSA_11use_defaultESK_EENS0_5tupleIJSF_SF_EEENSM_IJSG_SG_EEES6_PlJS6_EEE10hipError_tPvRmT3_T4_T5_T6_T7_T9_mT8_P12ihipStream_tbDpT10_ENKUlT_T0_E_clISt17integral_constantIbLb0EES18_IbLb1EEEEDaS14_S15_EUlS14_E_NS1_11comp_targetILNS1_3genE2ELNS1_11target_archE906ELNS1_3gpuE6ELNS1_3repE0EEENS1_30default_config_static_selectorELNS0_4arch9wavefront6targetE1EEEvT1_.kd
    .uniform_work_group_size: 1
    .uses_dynamic_stack: false
    .vgpr_count:     0
    .vgpr_spill_count: 0
    .wavefront_size: 64
  - .agpr_count:     0
    .args:
      - .offset:         0
        .size:           144
        .value_kind:     by_value
    .group_segment_fixed_size: 0
    .kernarg_segment_align: 8
    .kernarg_segment_size: 144
    .language:       OpenCL C
    .language_version:
      - 2
      - 0
    .max_flat_workgroup_size: 384
    .name:           _ZN7rocprim17ROCPRIM_400000_NS6detail17trampoline_kernelINS0_14default_configENS1_25partition_config_selectorILNS1_17partition_subalgoE1EsNS0_10empty_typeEbEEZZNS1_14partition_implILS5_1ELb0ES3_jN6thrust23THRUST_200600_302600_NS6detail15normal_iteratorINSA_10device_ptrIsEEEEPS6_NSA_18transform_iteratorI7is_evenIsESF_NSA_11use_defaultESK_EENS0_5tupleIJSF_SF_EEENSM_IJSG_SG_EEES6_PlJS6_EEE10hipError_tPvRmT3_T4_T5_T6_T7_T9_mT8_P12ihipStream_tbDpT10_ENKUlT_T0_E_clISt17integral_constantIbLb0EES18_IbLb1EEEEDaS14_S15_EUlS14_E_NS1_11comp_targetILNS1_3genE10ELNS1_11target_archE1200ELNS1_3gpuE4ELNS1_3repE0EEENS1_30default_config_static_selectorELNS0_4arch9wavefront6targetE1EEEvT1_
    .private_segment_fixed_size: 0
    .sgpr_count:     4
    .sgpr_spill_count: 0
    .symbol:         _ZN7rocprim17ROCPRIM_400000_NS6detail17trampoline_kernelINS0_14default_configENS1_25partition_config_selectorILNS1_17partition_subalgoE1EsNS0_10empty_typeEbEEZZNS1_14partition_implILS5_1ELb0ES3_jN6thrust23THRUST_200600_302600_NS6detail15normal_iteratorINSA_10device_ptrIsEEEEPS6_NSA_18transform_iteratorI7is_evenIsESF_NSA_11use_defaultESK_EENS0_5tupleIJSF_SF_EEENSM_IJSG_SG_EEES6_PlJS6_EEE10hipError_tPvRmT3_T4_T5_T6_T7_T9_mT8_P12ihipStream_tbDpT10_ENKUlT_T0_E_clISt17integral_constantIbLb0EES18_IbLb1EEEEDaS14_S15_EUlS14_E_NS1_11comp_targetILNS1_3genE10ELNS1_11target_archE1200ELNS1_3gpuE4ELNS1_3repE0EEENS1_30default_config_static_selectorELNS0_4arch9wavefront6targetE1EEEvT1_.kd
    .uniform_work_group_size: 1
    .uses_dynamic_stack: false
    .vgpr_count:     0
    .vgpr_spill_count: 0
    .wavefront_size: 64
  - .agpr_count:     0
    .args:
      - .offset:         0
        .size:           144
        .value_kind:     by_value
    .group_segment_fixed_size: 0
    .kernarg_segment_align: 8
    .kernarg_segment_size: 144
    .language:       OpenCL C
    .language_version:
      - 2
      - 0
    .max_flat_workgroup_size: 128
    .name:           _ZN7rocprim17ROCPRIM_400000_NS6detail17trampoline_kernelINS0_14default_configENS1_25partition_config_selectorILNS1_17partition_subalgoE1EsNS0_10empty_typeEbEEZZNS1_14partition_implILS5_1ELb0ES3_jN6thrust23THRUST_200600_302600_NS6detail15normal_iteratorINSA_10device_ptrIsEEEEPS6_NSA_18transform_iteratorI7is_evenIsESF_NSA_11use_defaultESK_EENS0_5tupleIJSF_SF_EEENSM_IJSG_SG_EEES6_PlJS6_EEE10hipError_tPvRmT3_T4_T5_T6_T7_T9_mT8_P12ihipStream_tbDpT10_ENKUlT_T0_E_clISt17integral_constantIbLb0EES18_IbLb1EEEEDaS14_S15_EUlS14_E_NS1_11comp_targetILNS1_3genE9ELNS1_11target_archE1100ELNS1_3gpuE3ELNS1_3repE0EEENS1_30default_config_static_selectorELNS0_4arch9wavefront6targetE1EEEvT1_
    .private_segment_fixed_size: 0
    .sgpr_count:     4
    .sgpr_spill_count: 0
    .symbol:         _ZN7rocprim17ROCPRIM_400000_NS6detail17trampoline_kernelINS0_14default_configENS1_25partition_config_selectorILNS1_17partition_subalgoE1EsNS0_10empty_typeEbEEZZNS1_14partition_implILS5_1ELb0ES3_jN6thrust23THRUST_200600_302600_NS6detail15normal_iteratorINSA_10device_ptrIsEEEEPS6_NSA_18transform_iteratorI7is_evenIsESF_NSA_11use_defaultESK_EENS0_5tupleIJSF_SF_EEENSM_IJSG_SG_EEES6_PlJS6_EEE10hipError_tPvRmT3_T4_T5_T6_T7_T9_mT8_P12ihipStream_tbDpT10_ENKUlT_T0_E_clISt17integral_constantIbLb0EES18_IbLb1EEEEDaS14_S15_EUlS14_E_NS1_11comp_targetILNS1_3genE9ELNS1_11target_archE1100ELNS1_3gpuE3ELNS1_3repE0EEENS1_30default_config_static_selectorELNS0_4arch9wavefront6targetE1EEEvT1_.kd
    .uniform_work_group_size: 1
    .uses_dynamic_stack: false
    .vgpr_count:     0
    .vgpr_spill_count: 0
    .wavefront_size: 64
  - .agpr_count:     0
    .args:
      - .offset:         0
        .size:           144
        .value_kind:     by_value
    .group_segment_fixed_size: 0
    .kernarg_segment_align: 8
    .kernarg_segment_size: 144
    .language:       OpenCL C
    .language_version:
      - 2
      - 0
    .max_flat_workgroup_size: 512
    .name:           _ZN7rocprim17ROCPRIM_400000_NS6detail17trampoline_kernelINS0_14default_configENS1_25partition_config_selectorILNS1_17partition_subalgoE1EsNS0_10empty_typeEbEEZZNS1_14partition_implILS5_1ELb0ES3_jN6thrust23THRUST_200600_302600_NS6detail15normal_iteratorINSA_10device_ptrIsEEEEPS6_NSA_18transform_iteratorI7is_evenIsESF_NSA_11use_defaultESK_EENS0_5tupleIJSF_SF_EEENSM_IJSG_SG_EEES6_PlJS6_EEE10hipError_tPvRmT3_T4_T5_T6_T7_T9_mT8_P12ihipStream_tbDpT10_ENKUlT_T0_E_clISt17integral_constantIbLb0EES18_IbLb1EEEEDaS14_S15_EUlS14_E_NS1_11comp_targetILNS1_3genE8ELNS1_11target_archE1030ELNS1_3gpuE2ELNS1_3repE0EEENS1_30default_config_static_selectorELNS0_4arch9wavefront6targetE1EEEvT1_
    .private_segment_fixed_size: 0
    .sgpr_count:     4
    .sgpr_spill_count: 0
    .symbol:         _ZN7rocprim17ROCPRIM_400000_NS6detail17trampoline_kernelINS0_14default_configENS1_25partition_config_selectorILNS1_17partition_subalgoE1EsNS0_10empty_typeEbEEZZNS1_14partition_implILS5_1ELb0ES3_jN6thrust23THRUST_200600_302600_NS6detail15normal_iteratorINSA_10device_ptrIsEEEEPS6_NSA_18transform_iteratorI7is_evenIsESF_NSA_11use_defaultESK_EENS0_5tupleIJSF_SF_EEENSM_IJSG_SG_EEES6_PlJS6_EEE10hipError_tPvRmT3_T4_T5_T6_T7_T9_mT8_P12ihipStream_tbDpT10_ENKUlT_T0_E_clISt17integral_constantIbLb0EES18_IbLb1EEEEDaS14_S15_EUlS14_E_NS1_11comp_targetILNS1_3genE8ELNS1_11target_archE1030ELNS1_3gpuE2ELNS1_3repE0EEENS1_30default_config_static_selectorELNS0_4arch9wavefront6targetE1EEEvT1_.kd
    .uniform_work_group_size: 1
    .uses_dynamic_stack: false
    .vgpr_count:     0
    .vgpr_spill_count: 0
    .wavefront_size: 64
  - .agpr_count:     0
    .args:
      - .offset:         0
        .size:           128
        .value_kind:     by_value
    .group_segment_fixed_size: 0
    .kernarg_segment_align: 8
    .kernarg_segment_size: 128
    .language:       OpenCL C
    .language_version:
      - 2
      - 0
    .max_flat_workgroup_size: 128
    .name:           _ZN7rocprim17ROCPRIM_400000_NS6detail17trampoline_kernelINS0_14default_configENS1_25partition_config_selectorILNS1_17partition_subalgoE2ExNS0_10empty_typeEbEEZZNS1_14partition_implILS5_2ELb0ES3_jN6thrust23THRUST_200600_302600_NS6detail15normal_iteratorINSA_7pointerIxNSA_11hip_rocprim3tagENSA_11use_defaultESG_EEEEPS6_NSA_18transform_iteratorINSA_8identityIxEENSC_INSA_10device_ptrIxEEEESG_SG_EENS0_5tupleIJPxSJ_EEENSR_IJSJ_SJ_EEES6_PlJS6_EEE10hipError_tPvRmT3_T4_T5_T6_T7_T9_mT8_P12ihipStream_tbDpT10_ENKUlT_T0_E_clISt17integral_constantIbLb0EES1F_EEDaS1A_S1B_EUlS1A_E_NS1_11comp_targetILNS1_3genE0ELNS1_11target_archE4294967295ELNS1_3gpuE0ELNS1_3repE0EEENS1_30default_config_static_selectorELNS0_4arch9wavefront6targetE1EEEvT1_
    .private_segment_fixed_size: 0
    .sgpr_count:     4
    .sgpr_spill_count: 0
    .symbol:         _ZN7rocprim17ROCPRIM_400000_NS6detail17trampoline_kernelINS0_14default_configENS1_25partition_config_selectorILNS1_17partition_subalgoE2ExNS0_10empty_typeEbEEZZNS1_14partition_implILS5_2ELb0ES3_jN6thrust23THRUST_200600_302600_NS6detail15normal_iteratorINSA_7pointerIxNSA_11hip_rocprim3tagENSA_11use_defaultESG_EEEEPS6_NSA_18transform_iteratorINSA_8identityIxEENSC_INSA_10device_ptrIxEEEESG_SG_EENS0_5tupleIJPxSJ_EEENSR_IJSJ_SJ_EEES6_PlJS6_EEE10hipError_tPvRmT3_T4_T5_T6_T7_T9_mT8_P12ihipStream_tbDpT10_ENKUlT_T0_E_clISt17integral_constantIbLb0EES1F_EEDaS1A_S1B_EUlS1A_E_NS1_11comp_targetILNS1_3genE0ELNS1_11target_archE4294967295ELNS1_3gpuE0ELNS1_3repE0EEENS1_30default_config_static_selectorELNS0_4arch9wavefront6targetE1EEEvT1_.kd
    .uniform_work_group_size: 1
    .uses_dynamic_stack: false
    .vgpr_count:     0
    .vgpr_spill_count: 0
    .wavefront_size: 64
  - .agpr_count:     0
    .args:
      - .offset:         0
        .size:           128
        .value_kind:     by_value
    .group_segment_fixed_size: 0
    .kernarg_segment_align: 8
    .kernarg_segment_size: 128
    .language:       OpenCL C
    .language_version:
      - 2
      - 0
    .max_flat_workgroup_size: 512
    .name:           _ZN7rocprim17ROCPRIM_400000_NS6detail17trampoline_kernelINS0_14default_configENS1_25partition_config_selectorILNS1_17partition_subalgoE2ExNS0_10empty_typeEbEEZZNS1_14partition_implILS5_2ELb0ES3_jN6thrust23THRUST_200600_302600_NS6detail15normal_iteratorINSA_7pointerIxNSA_11hip_rocprim3tagENSA_11use_defaultESG_EEEEPS6_NSA_18transform_iteratorINSA_8identityIxEENSC_INSA_10device_ptrIxEEEESG_SG_EENS0_5tupleIJPxSJ_EEENSR_IJSJ_SJ_EEES6_PlJS6_EEE10hipError_tPvRmT3_T4_T5_T6_T7_T9_mT8_P12ihipStream_tbDpT10_ENKUlT_T0_E_clISt17integral_constantIbLb0EES1F_EEDaS1A_S1B_EUlS1A_E_NS1_11comp_targetILNS1_3genE5ELNS1_11target_archE942ELNS1_3gpuE9ELNS1_3repE0EEENS1_30default_config_static_selectorELNS0_4arch9wavefront6targetE1EEEvT1_
    .private_segment_fixed_size: 0
    .sgpr_count:     4
    .sgpr_spill_count: 0
    .symbol:         _ZN7rocprim17ROCPRIM_400000_NS6detail17trampoline_kernelINS0_14default_configENS1_25partition_config_selectorILNS1_17partition_subalgoE2ExNS0_10empty_typeEbEEZZNS1_14partition_implILS5_2ELb0ES3_jN6thrust23THRUST_200600_302600_NS6detail15normal_iteratorINSA_7pointerIxNSA_11hip_rocprim3tagENSA_11use_defaultESG_EEEEPS6_NSA_18transform_iteratorINSA_8identityIxEENSC_INSA_10device_ptrIxEEEESG_SG_EENS0_5tupleIJPxSJ_EEENSR_IJSJ_SJ_EEES6_PlJS6_EEE10hipError_tPvRmT3_T4_T5_T6_T7_T9_mT8_P12ihipStream_tbDpT10_ENKUlT_T0_E_clISt17integral_constantIbLb0EES1F_EEDaS1A_S1B_EUlS1A_E_NS1_11comp_targetILNS1_3genE5ELNS1_11target_archE942ELNS1_3gpuE9ELNS1_3repE0EEENS1_30default_config_static_selectorELNS0_4arch9wavefront6targetE1EEEvT1_.kd
    .uniform_work_group_size: 1
    .uses_dynamic_stack: false
    .vgpr_count:     0
    .vgpr_spill_count: 0
    .wavefront_size: 64
  - .agpr_count:     0
    .args:
      - .offset:         0
        .size:           128
        .value_kind:     by_value
    .group_segment_fixed_size: 6344
    .kernarg_segment_align: 8
    .kernarg_segment_size: 128
    .language:       OpenCL C
    .language_version:
      - 2
      - 0
    .max_flat_workgroup_size: 192
    .name:           _ZN7rocprim17ROCPRIM_400000_NS6detail17trampoline_kernelINS0_14default_configENS1_25partition_config_selectorILNS1_17partition_subalgoE2ExNS0_10empty_typeEbEEZZNS1_14partition_implILS5_2ELb0ES3_jN6thrust23THRUST_200600_302600_NS6detail15normal_iteratorINSA_7pointerIxNSA_11hip_rocprim3tagENSA_11use_defaultESG_EEEEPS6_NSA_18transform_iteratorINSA_8identityIxEENSC_INSA_10device_ptrIxEEEESG_SG_EENS0_5tupleIJPxSJ_EEENSR_IJSJ_SJ_EEES6_PlJS6_EEE10hipError_tPvRmT3_T4_T5_T6_T7_T9_mT8_P12ihipStream_tbDpT10_ENKUlT_T0_E_clISt17integral_constantIbLb0EES1F_EEDaS1A_S1B_EUlS1A_E_NS1_11comp_targetILNS1_3genE4ELNS1_11target_archE910ELNS1_3gpuE8ELNS1_3repE0EEENS1_30default_config_static_selectorELNS0_4arch9wavefront6targetE1EEEvT1_
    .private_segment_fixed_size: 0
    .sgpr_count:     50
    .sgpr_spill_count: 0
    .symbol:         _ZN7rocprim17ROCPRIM_400000_NS6detail17trampoline_kernelINS0_14default_configENS1_25partition_config_selectorILNS1_17partition_subalgoE2ExNS0_10empty_typeEbEEZZNS1_14partition_implILS5_2ELb0ES3_jN6thrust23THRUST_200600_302600_NS6detail15normal_iteratorINSA_7pointerIxNSA_11hip_rocprim3tagENSA_11use_defaultESG_EEEEPS6_NSA_18transform_iteratorINSA_8identityIxEENSC_INSA_10device_ptrIxEEEESG_SG_EENS0_5tupleIJPxSJ_EEENSR_IJSJ_SJ_EEES6_PlJS6_EEE10hipError_tPvRmT3_T4_T5_T6_T7_T9_mT8_P12ihipStream_tbDpT10_ENKUlT_T0_E_clISt17integral_constantIbLb0EES1F_EEDaS1A_S1B_EUlS1A_E_NS1_11comp_targetILNS1_3genE4ELNS1_11target_archE910ELNS1_3gpuE8ELNS1_3repE0EEENS1_30default_config_static_selectorELNS0_4arch9wavefront6targetE1EEEvT1_.kd
    .uniform_work_group_size: 1
    .uses_dynamic_stack: false
    .vgpr_count:     43
    .vgpr_spill_count: 0
    .wavefront_size: 64
  - .agpr_count:     0
    .args:
      - .offset:         0
        .size:           128
        .value_kind:     by_value
    .group_segment_fixed_size: 0
    .kernarg_segment_align: 8
    .kernarg_segment_size: 128
    .language:       OpenCL C
    .language_version:
      - 2
      - 0
    .max_flat_workgroup_size: 128
    .name:           _ZN7rocprim17ROCPRIM_400000_NS6detail17trampoline_kernelINS0_14default_configENS1_25partition_config_selectorILNS1_17partition_subalgoE2ExNS0_10empty_typeEbEEZZNS1_14partition_implILS5_2ELb0ES3_jN6thrust23THRUST_200600_302600_NS6detail15normal_iteratorINSA_7pointerIxNSA_11hip_rocprim3tagENSA_11use_defaultESG_EEEEPS6_NSA_18transform_iteratorINSA_8identityIxEENSC_INSA_10device_ptrIxEEEESG_SG_EENS0_5tupleIJPxSJ_EEENSR_IJSJ_SJ_EEES6_PlJS6_EEE10hipError_tPvRmT3_T4_T5_T6_T7_T9_mT8_P12ihipStream_tbDpT10_ENKUlT_T0_E_clISt17integral_constantIbLb0EES1F_EEDaS1A_S1B_EUlS1A_E_NS1_11comp_targetILNS1_3genE3ELNS1_11target_archE908ELNS1_3gpuE7ELNS1_3repE0EEENS1_30default_config_static_selectorELNS0_4arch9wavefront6targetE1EEEvT1_
    .private_segment_fixed_size: 0
    .sgpr_count:     4
    .sgpr_spill_count: 0
    .symbol:         _ZN7rocprim17ROCPRIM_400000_NS6detail17trampoline_kernelINS0_14default_configENS1_25partition_config_selectorILNS1_17partition_subalgoE2ExNS0_10empty_typeEbEEZZNS1_14partition_implILS5_2ELb0ES3_jN6thrust23THRUST_200600_302600_NS6detail15normal_iteratorINSA_7pointerIxNSA_11hip_rocprim3tagENSA_11use_defaultESG_EEEEPS6_NSA_18transform_iteratorINSA_8identityIxEENSC_INSA_10device_ptrIxEEEESG_SG_EENS0_5tupleIJPxSJ_EEENSR_IJSJ_SJ_EEES6_PlJS6_EEE10hipError_tPvRmT3_T4_T5_T6_T7_T9_mT8_P12ihipStream_tbDpT10_ENKUlT_T0_E_clISt17integral_constantIbLb0EES1F_EEDaS1A_S1B_EUlS1A_E_NS1_11comp_targetILNS1_3genE3ELNS1_11target_archE908ELNS1_3gpuE7ELNS1_3repE0EEENS1_30default_config_static_selectorELNS0_4arch9wavefront6targetE1EEEvT1_.kd
    .uniform_work_group_size: 1
    .uses_dynamic_stack: false
    .vgpr_count:     0
    .vgpr_spill_count: 0
    .wavefront_size: 64
  - .agpr_count:     0
    .args:
      - .offset:         0
        .size:           128
        .value_kind:     by_value
    .group_segment_fixed_size: 0
    .kernarg_segment_align: 8
    .kernarg_segment_size: 128
    .language:       OpenCL C
    .language_version:
      - 2
      - 0
    .max_flat_workgroup_size: 256
    .name:           _ZN7rocprim17ROCPRIM_400000_NS6detail17trampoline_kernelINS0_14default_configENS1_25partition_config_selectorILNS1_17partition_subalgoE2ExNS0_10empty_typeEbEEZZNS1_14partition_implILS5_2ELb0ES3_jN6thrust23THRUST_200600_302600_NS6detail15normal_iteratorINSA_7pointerIxNSA_11hip_rocprim3tagENSA_11use_defaultESG_EEEEPS6_NSA_18transform_iteratorINSA_8identityIxEENSC_INSA_10device_ptrIxEEEESG_SG_EENS0_5tupleIJPxSJ_EEENSR_IJSJ_SJ_EEES6_PlJS6_EEE10hipError_tPvRmT3_T4_T5_T6_T7_T9_mT8_P12ihipStream_tbDpT10_ENKUlT_T0_E_clISt17integral_constantIbLb0EES1F_EEDaS1A_S1B_EUlS1A_E_NS1_11comp_targetILNS1_3genE2ELNS1_11target_archE906ELNS1_3gpuE6ELNS1_3repE0EEENS1_30default_config_static_selectorELNS0_4arch9wavefront6targetE1EEEvT1_
    .private_segment_fixed_size: 0
    .sgpr_count:     4
    .sgpr_spill_count: 0
    .symbol:         _ZN7rocprim17ROCPRIM_400000_NS6detail17trampoline_kernelINS0_14default_configENS1_25partition_config_selectorILNS1_17partition_subalgoE2ExNS0_10empty_typeEbEEZZNS1_14partition_implILS5_2ELb0ES3_jN6thrust23THRUST_200600_302600_NS6detail15normal_iteratorINSA_7pointerIxNSA_11hip_rocprim3tagENSA_11use_defaultESG_EEEEPS6_NSA_18transform_iteratorINSA_8identityIxEENSC_INSA_10device_ptrIxEEEESG_SG_EENS0_5tupleIJPxSJ_EEENSR_IJSJ_SJ_EEES6_PlJS6_EEE10hipError_tPvRmT3_T4_T5_T6_T7_T9_mT8_P12ihipStream_tbDpT10_ENKUlT_T0_E_clISt17integral_constantIbLb0EES1F_EEDaS1A_S1B_EUlS1A_E_NS1_11comp_targetILNS1_3genE2ELNS1_11target_archE906ELNS1_3gpuE6ELNS1_3repE0EEENS1_30default_config_static_selectorELNS0_4arch9wavefront6targetE1EEEvT1_.kd
    .uniform_work_group_size: 1
    .uses_dynamic_stack: false
    .vgpr_count:     0
    .vgpr_spill_count: 0
    .wavefront_size: 64
  - .agpr_count:     0
    .args:
      - .offset:         0
        .size:           128
        .value_kind:     by_value
    .group_segment_fixed_size: 0
    .kernarg_segment_align: 8
    .kernarg_segment_size: 128
    .language:       OpenCL C
    .language_version:
      - 2
      - 0
    .max_flat_workgroup_size: 256
    .name:           _ZN7rocprim17ROCPRIM_400000_NS6detail17trampoline_kernelINS0_14default_configENS1_25partition_config_selectorILNS1_17partition_subalgoE2ExNS0_10empty_typeEbEEZZNS1_14partition_implILS5_2ELb0ES3_jN6thrust23THRUST_200600_302600_NS6detail15normal_iteratorINSA_7pointerIxNSA_11hip_rocprim3tagENSA_11use_defaultESG_EEEEPS6_NSA_18transform_iteratorINSA_8identityIxEENSC_INSA_10device_ptrIxEEEESG_SG_EENS0_5tupleIJPxSJ_EEENSR_IJSJ_SJ_EEES6_PlJS6_EEE10hipError_tPvRmT3_T4_T5_T6_T7_T9_mT8_P12ihipStream_tbDpT10_ENKUlT_T0_E_clISt17integral_constantIbLb0EES1F_EEDaS1A_S1B_EUlS1A_E_NS1_11comp_targetILNS1_3genE10ELNS1_11target_archE1200ELNS1_3gpuE4ELNS1_3repE0EEENS1_30default_config_static_selectorELNS0_4arch9wavefront6targetE1EEEvT1_
    .private_segment_fixed_size: 0
    .sgpr_count:     4
    .sgpr_spill_count: 0
    .symbol:         _ZN7rocprim17ROCPRIM_400000_NS6detail17trampoline_kernelINS0_14default_configENS1_25partition_config_selectorILNS1_17partition_subalgoE2ExNS0_10empty_typeEbEEZZNS1_14partition_implILS5_2ELb0ES3_jN6thrust23THRUST_200600_302600_NS6detail15normal_iteratorINSA_7pointerIxNSA_11hip_rocprim3tagENSA_11use_defaultESG_EEEEPS6_NSA_18transform_iteratorINSA_8identityIxEENSC_INSA_10device_ptrIxEEEESG_SG_EENS0_5tupleIJPxSJ_EEENSR_IJSJ_SJ_EEES6_PlJS6_EEE10hipError_tPvRmT3_T4_T5_T6_T7_T9_mT8_P12ihipStream_tbDpT10_ENKUlT_T0_E_clISt17integral_constantIbLb0EES1F_EEDaS1A_S1B_EUlS1A_E_NS1_11comp_targetILNS1_3genE10ELNS1_11target_archE1200ELNS1_3gpuE4ELNS1_3repE0EEENS1_30default_config_static_selectorELNS0_4arch9wavefront6targetE1EEEvT1_.kd
    .uniform_work_group_size: 1
    .uses_dynamic_stack: false
    .vgpr_count:     0
    .vgpr_spill_count: 0
    .wavefront_size: 64
  - .agpr_count:     0
    .args:
      - .offset:         0
        .size:           128
        .value_kind:     by_value
    .group_segment_fixed_size: 0
    .kernarg_segment_align: 8
    .kernarg_segment_size: 128
    .language:       OpenCL C
    .language_version:
      - 2
      - 0
    .max_flat_workgroup_size: 512
    .name:           _ZN7rocprim17ROCPRIM_400000_NS6detail17trampoline_kernelINS0_14default_configENS1_25partition_config_selectorILNS1_17partition_subalgoE2ExNS0_10empty_typeEbEEZZNS1_14partition_implILS5_2ELb0ES3_jN6thrust23THRUST_200600_302600_NS6detail15normal_iteratorINSA_7pointerIxNSA_11hip_rocprim3tagENSA_11use_defaultESG_EEEEPS6_NSA_18transform_iteratorINSA_8identityIxEENSC_INSA_10device_ptrIxEEEESG_SG_EENS0_5tupleIJPxSJ_EEENSR_IJSJ_SJ_EEES6_PlJS6_EEE10hipError_tPvRmT3_T4_T5_T6_T7_T9_mT8_P12ihipStream_tbDpT10_ENKUlT_T0_E_clISt17integral_constantIbLb0EES1F_EEDaS1A_S1B_EUlS1A_E_NS1_11comp_targetILNS1_3genE9ELNS1_11target_archE1100ELNS1_3gpuE3ELNS1_3repE0EEENS1_30default_config_static_selectorELNS0_4arch9wavefront6targetE1EEEvT1_
    .private_segment_fixed_size: 0
    .sgpr_count:     4
    .sgpr_spill_count: 0
    .symbol:         _ZN7rocprim17ROCPRIM_400000_NS6detail17trampoline_kernelINS0_14default_configENS1_25partition_config_selectorILNS1_17partition_subalgoE2ExNS0_10empty_typeEbEEZZNS1_14partition_implILS5_2ELb0ES3_jN6thrust23THRUST_200600_302600_NS6detail15normal_iteratorINSA_7pointerIxNSA_11hip_rocprim3tagENSA_11use_defaultESG_EEEEPS6_NSA_18transform_iteratorINSA_8identityIxEENSC_INSA_10device_ptrIxEEEESG_SG_EENS0_5tupleIJPxSJ_EEENSR_IJSJ_SJ_EEES6_PlJS6_EEE10hipError_tPvRmT3_T4_T5_T6_T7_T9_mT8_P12ihipStream_tbDpT10_ENKUlT_T0_E_clISt17integral_constantIbLb0EES1F_EEDaS1A_S1B_EUlS1A_E_NS1_11comp_targetILNS1_3genE9ELNS1_11target_archE1100ELNS1_3gpuE3ELNS1_3repE0EEENS1_30default_config_static_selectorELNS0_4arch9wavefront6targetE1EEEvT1_.kd
    .uniform_work_group_size: 1
    .uses_dynamic_stack: false
    .vgpr_count:     0
    .vgpr_spill_count: 0
    .wavefront_size: 64
  - .agpr_count:     0
    .args:
      - .offset:         0
        .size:           128
        .value_kind:     by_value
    .group_segment_fixed_size: 0
    .kernarg_segment_align: 8
    .kernarg_segment_size: 128
    .language:       OpenCL C
    .language_version:
      - 2
      - 0
    .max_flat_workgroup_size: 512
    .name:           _ZN7rocprim17ROCPRIM_400000_NS6detail17trampoline_kernelINS0_14default_configENS1_25partition_config_selectorILNS1_17partition_subalgoE2ExNS0_10empty_typeEbEEZZNS1_14partition_implILS5_2ELb0ES3_jN6thrust23THRUST_200600_302600_NS6detail15normal_iteratorINSA_7pointerIxNSA_11hip_rocprim3tagENSA_11use_defaultESG_EEEEPS6_NSA_18transform_iteratorINSA_8identityIxEENSC_INSA_10device_ptrIxEEEESG_SG_EENS0_5tupleIJPxSJ_EEENSR_IJSJ_SJ_EEES6_PlJS6_EEE10hipError_tPvRmT3_T4_T5_T6_T7_T9_mT8_P12ihipStream_tbDpT10_ENKUlT_T0_E_clISt17integral_constantIbLb0EES1F_EEDaS1A_S1B_EUlS1A_E_NS1_11comp_targetILNS1_3genE8ELNS1_11target_archE1030ELNS1_3gpuE2ELNS1_3repE0EEENS1_30default_config_static_selectorELNS0_4arch9wavefront6targetE1EEEvT1_
    .private_segment_fixed_size: 0
    .sgpr_count:     4
    .sgpr_spill_count: 0
    .symbol:         _ZN7rocprim17ROCPRIM_400000_NS6detail17trampoline_kernelINS0_14default_configENS1_25partition_config_selectorILNS1_17partition_subalgoE2ExNS0_10empty_typeEbEEZZNS1_14partition_implILS5_2ELb0ES3_jN6thrust23THRUST_200600_302600_NS6detail15normal_iteratorINSA_7pointerIxNSA_11hip_rocprim3tagENSA_11use_defaultESG_EEEEPS6_NSA_18transform_iteratorINSA_8identityIxEENSC_INSA_10device_ptrIxEEEESG_SG_EENS0_5tupleIJPxSJ_EEENSR_IJSJ_SJ_EEES6_PlJS6_EEE10hipError_tPvRmT3_T4_T5_T6_T7_T9_mT8_P12ihipStream_tbDpT10_ENKUlT_T0_E_clISt17integral_constantIbLb0EES1F_EEDaS1A_S1B_EUlS1A_E_NS1_11comp_targetILNS1_3genE8ELNS1_11target_archE1030ELNS1_3gpuE2ELNS1_3repE0EEENS1_30default_config_static_selectorELNS0_4arch9wavefront6targetE1EEEvT1_.kd
    .uniform_work_group_size: 1
    .uses_dynamic_stack: false
    .vgpr_count:     0
    .vgpr_spill_count: 0
    .wavefront_size: 64
  - .agpr_count:     0
    .args:
      - .offset:         0
        .size:           144
        .value_kind:     by_value
    .group_segment_fixed_size: 0
    .kernarg_segment_align: 8
    .kernarg_segment_size: 144
    .language:       OpenCL C
    .language_version:
      - 2
      - 0
    .max_flat_workgroup_size: 128
    .name:           _ZN7rocprim17ROCPRIM_400000_NS6detail17trampoline_kernelINS0_14default_configENS1_25partition_config_selectorILNS1_17partition_subalgoE2ExNS0_10empty_typeEbEEZZNS1_14partition_implILS5_2ELb0ES3_jN6thrust23THRUST_200600_302600_NS6detail15normal_iteratorINSA_7pointerIxNSA_11hip_rocprim3tagENSA_11use_defaultESG_EEEEPS6_NSA_18transform_iteratorINSA_8identityIxEENSC_INSA_10device_ptrIxEEEESG_SG_EENS0_5tupleIJPxSJ_EEENSR_IJSJ_SJ_EEES6_PlJS6_EEE10hipError_tPvRmT3_T4_T5_T6_T7_T9_mT8_P12ihipStream_tbDpT10_ENKUlT_T0_E_clISt17integral_constantIbLb1EES1F_EEDaS1A_S1B_EUlS1A_E_NS1_11comp_targetILNS1_3genE0ELNS1_11target_archE4294967295ELNS1_3gpuE0ELNS1_3repE0EEENS1_30default_config_static_selectorELNS0_4arch9wavefront6targetE1EEEvT1_
    .private_segment_fixed_size: 0
    .sgpr_count:     4
    .sgpr_spill_count: 0
    .symbol:         _ZN7rocprim17ROCPRIM_400000_NS6detail17trampoline_kernelINS0_14default_configENS1_25partition_config_selectorILNS1_17partition_subalgoE2ExNS0_10empty_typeEbEEZZNS1_14partition_implILS5_2ELb0ES3_jN6thrust23THRUST_200600_302600_NS6detail15normal_iteratorINSA_7pointerIxNSA_11hip_rocprim3tagENSA_11use_defaultESG_EEEEPS6_NSA_18transform_iteratorINSA_8identityIxEENSC_INSA_10device_ptrIxEEEESG_SG_EENS0_5tupleIJPxSJ_EEENSR_IJSJ_SJ_EEES6_PlJS6_EEE10hipError_tPvRmT3_T4_T5_T6_T7_T9_mT8_P12ihipStream_tbDpT10_ENKUlT_T0_E_clISt17integral_constantIbLb1EES1F_EEDaS1A_S1B_EUlS1A_E_NS1_11comp_targetILNS1_3genE0ELNS1_11target_archE4294967295ELNS1_3gpuE0ELNS1_3repE0EEENS1_30default_config_static_selectorELNS0_4arch9wavefront6targetE1EEEvT1_.kd
    .uniform_work_group_size: 1
    .uses_dynamic_stack: false
    .vgpr_count:     0
    .vgpr_spill_count: 0
    .wavefront_size: 64
  - .agpr_count:     0
    .args:
      - .offset:         0
        .size:           144
        .value_kind:     by_value
    .group_segment_fixed_size: 0
    .kernarg_segment_align: 8
    .kernarg_segment_size: 144
    .language:       OpenCL C
    .language_version:
      - 2
      - 0
    .max_flat_workgroup_size: 512
    .name:           _ZN7rocprim17ROCPRIM_400000_NS6detail17trampoline_kernelINS0_14default_configENS1_25partition_config_selectorILNS1_17partition_subalgoE2ExNS0_10empty_typeEbEEZZNS1_14partition_implILS5_2ELb0ES3_jN6thrust23THRUST_200600_302600_NS6detail15normal_iteratorINSA_7pointerIxNSA_11hip_rocprim3tagENSA_11use_defaultESG_EEEEPS6_NSA_18transform_iteratorINSA_8identityIxEENSC_INSA_10device_ptrIxEEEESG_SG_EENS0_5tupleIJPxSJ_EEENSR_IJSJ_SJ_EEES6_PlJS6_EEE10hipError_tPvRmT3_T4_T5_T6_T7_T9_mT8_P12ihipStream_tbDpT10_ENKUlT_T0_E_clISt17integral_constantIbLb1EES1F_EEDaS1A_S1B_EUlS1A_E_NS1_11comp_targetILNS1_3genE5ELNS1_11target_archE942ELNS1_3gpuE9ELNS1_3repE0EEENS1_30default_config_static_selectorELNS0_4arch9wavefront6targetE1EEEvT1_
    .private_segment_fixed_size: 0
    .sgpr_count:     4
    .sgpr_spill_count: 0
    .symbol:         _ZN7rocprim17ROCPRIM_400000_NS6detail17trampoline_kernelINS0_14default_configENS1_25partition_config_selectorILNS1_17partition_subalgoE2ExNS0_10empty_typeEbEEZZNS1_14partition_implILS5_2ELb0ES3_jN6thrust23THRUST_200600_302600_NS6detail15normal_iteratorINSA_7pointerIxNSA_11hip_rocprim3tagENSA_11use_defaultESG_EEEEPS6_NSA_18transform_iteratorINSA_8identityIxEENSC_INSA_10device_ptrIxEEEESG_SG_EENS0_5tupleIJPxSJ_EEENSR_IJSJ_SJ_EEES6_PlJS6_EEE10hipError_tPvRmT3_T4_T5_T6_T7_T9_mT8_P12ihipStream_tbDpT10_ENKUlT_T0_E_clISt17integral_constantIbLb1EES1F_EEDaS1A_S1B_EUlS1A_E_NS1_11comp_targetILNS1_3genE5ELNS1_11target_archE942ELNS1_3gpuE9ELNS1_3repE0EEENS1_30default_config_static_selectorELNS0_4arch9wavefront6targetE1EEEvT1_.kd
    .uniform_work_group_size: 1
    .uses_dynamic_stack: false
    .vgpr_count:     0
    .vgpr_spill_count: 0
    .wavefront_size: 64
  - .agpr_count:     0
    .args:
      - .offset:         0
        .size:           144
        .value_kind:     by_value
    .group_segment_fixed_size: 6344
    .kernarg_segment_align: 8
    .kernarg_segment_size: 144
    .language:       OpenCL C
    .language_version:
      - 2
      - 0
    .max_flat_workgroup_size: 192
    .name:           _ZN7rocprim17ROCPRIM_400000_NS6detail17trampoline_kernelINS0_14default_configENS1_25partition_config_selectorILNS1_17partition_subalgoE2ExNS0_10empty_typeEbEEZZNS1_14partition_implILS5_2ELb0ES3_jN6thrust23THRUST_200600_302600_NS6detail15normal_iteratorINSA_7pointerIxNSA_11hip_rocprim3tagENSA_11use_defaultESG_EEEEPS6_NSA_18transform_iteratorINSA_8identityIxEENSC_INSA_10device_ptrIxEEEESG_SG_EENS0_5tupleIJPxSJ_EEENSR_IJSJ_SJ_EEES6_PlJS6_EEE10hipError_tPvRmT3_T4_T5_T6_T7_T9_mT8_P12ihipStream_tbDpT10_ENKUlT_T0_E_clISt17integral_constantIbLb1EES1F_EEDaS1A_S1B_EUlS1A_E_NS1_11comp_targetILNS1_3genE4ELNS1_11target_archE910ELNS1_3gpuE8ELNS1_3repE0EEENS1_30default_config_static_selectorELNS0_4arch9wavefront6targetE1EEEvT1_
    .private_segment_fixed_size: 0
    .sgpr_count:     50
    .sgpr_spill_count: 0
    .symbol:         _ZN7rocprim17ROCPRIM_400000_NS6detail17trampoline_kernelINS0_14default_configENS1_25partition_config_selectorILNS1_17partition_subalgoE2ExNS0_10empty_typeEbEEZZNS1_14partition_implILS5_2ELb0ES3_jN6thrust23THRUST_200600_302600_NS6detail15normal_iteratorINSA_7pointerIxNSA_11hip_rocprim3tagENSA_11use_defaultESG_EEEEPS6_NSA_18transform_iteratorINSA_8identityIxEENSC_INSA_10device_ptrIxEEEESG_SG_EENS0_5tupleIJPxSJ_EEENSR_IJSJ_SJ_EEES6_PlJS6_EEE10hipError_tPvRmT3_T4_T5_T6_T7_T9_mT8_P12ihipStream_tbDpT10_ENKUlT_T0_E_clISt17integral_constantIbLb1EES1F_EEDaS1A_S1B_EUlS1A_E_NS1_11comp_targetILNS1_3genE4ELNS1_11target_archE910ELNS1_3gpuE8ELNS1_3repE0EEENS1_30default_config_static_selectorELNS0_4arch9wavefront6targetE1EEEvT1_.kd
    .uniform_work_group_size: 1
    .uses_dynamic_stack: false
    .vgpr_count:     45
    .vgpr_spill_count: 0
    .wavefront_size: 64
  - .agpr_count:     0
    .args:
      - .offset:         0
        .size:           144
        .value_kind:     by_value
    .group_segment_fixed_size: 0
    .kernarg_segment_align: 8
    .kernarg_segment_size: 144
    .language:       OpenCL C
    .language_version:
      - 2
      - 0
    .max_flat_workgroup_size: 128
    .name:           _ZN7rocprim17ROCPRIM_400000_NS6detail17trampoline_kernelINS0_14default_configENS1_25partition_config_selectorILNS1_17partition_subalgoE2ExNS0_10empty_typeEbEEZZNS1_14partition_implILS5_2ELb0ES3_jN6thrust23THRUST_200600_302600_NS6detail15normal_iteratorINSA_7pointerIxNSA_11hip_rocprim3tagENSA_11use_defaultESG_EEEEPS6_NSA_18transform_iteratorINSA_8identityIxEENSC_INSA_10device_ptrIxEEEESG_SG_EENS0_5tupleIJPxSJ_EEENSR_IJSJ_SJ_EEES6_PlJS6_EEE10hipError_tPvRmT3_T4_T5_T6_T7_T9_mT8_P12ihipStream_tbDpT10_ENKUlT_T0_E_clISt17integral_constantIbLb1EES1F_EEDaS1A_S1B_EUlS1A_E_NS1_11comp_targetILNS1_3genE3ELNS1_11target_archE908ELNS1_3gpuE7ELNS1_3repE0EEENS1_30default_config_static_selectorELNS0_4arch9wavefront6targetE1EEEvT1_
    .private_segment_fixed_size: 0
    .sgpr_count:     4
    .sgpr_spill_count: 0
    .symbol:         _ZN7rocprim17ROCPRIM_400000_NS6detail17trampoline_kernelINS0_14default_configENS1_25partition_config_selectorILNS1_17partition_subalgoE2ExNS0_10empty_typeEbEEZZNS1_14partition_implILS5_2ELb0ES3_jN6thrust23THRUST_200600_302600_NS6detail15normal_iteratorINSA_7pointerIxNSA_11hip_rocprim3tagENSA_11use_defaultESG_EEEEPS6_NSA_18transform_iteratorINSA_8identityIxEENSC_INSA_10device_ptrIxEEEESG_SG_EENS0_5tupleIJPxSJ_EEENSR_IJSJ_SJ_EEES6_PlJS6_EEE10hipError_tPvRmT3_T4_T5_T6_T7_T9_mT8_P12ihipStream_tbDpT10_ENKUlT_T0_E_clISt17integral_constantIbLb1EES1F_EEDaS1A_S1B_EUlS1A_E_NS1_11comp_targetILNS1_3genE3ELNS1_11target_archE908ELNS1_3gpuE7ELNS1_3repE0EEENS1_30default_config_static_selectorELNS0_4arch9wavefront6targetE1EEEvT1_.kd
    .uniform_work_group_size: 1
    .uses_dynamic_stack: false
    .vgpr_count:     0
    .vgpr_spill_count: 0
    .wavefront_size: 64
  - .agpr_count:     0
    .args:
      - .offset:         0
        .size:           144
        .value_kind:     by_value
    .group_segment_fixed_size: 0
    .kernarg_segment_align: 8
    .kernarg_segment_size: 144
    .language:       OpenCL C
    .language_version:
      - 2
      - 0
    .max_flat_workgroup_size: 256
    .name:           _ZN7rocprim17ROCPRIM_400000_NS6detail17trampoline_kernelINS0_14default_configENS1_25partition_config_selectorILNS1_17partition_subalgoE2ExNS0_10empty_typeEbEEZZNS1_14partition_implILS5_2ELb0ES3_jN6thrust23THRUST_200600_302600_NS6detail15normal_iteratorINSA_7pointerIxNSA_11hip_rocprim3tagENSA_11use_defaultESG_EEEEPS6_NSA_18transform_iteratorINSA_8identityIxEENSC_INSA_10device_ptrIxEEEESG_SG_EENS0_5tupleIJPxSJ_EEENSR_IJSJ_SJ_EEES6_PlJS6_EEE10hipError_tPvRmT3_T4_T5_T6_T7_T9_mT8_P12ihipStream_tbDpT10_ENKUlT_T0_E_clISt17integral_constantIbLb1EES1F_EEDaS1A_S1B_EUlS1A_E_NS1_11comp_targetILNS1_3genE2ELNS1_11target_archE906ELNS1_3gpuE6ELNS1_3repE0EEENS1_30default_config_static_selectorELNS0_4arch9wavefront6targetE1EEEvT1_
    .private_segment_fixed_size: 0
    .sgpr_count:     4
    .sgpr_spill_count: 0
    .symbol:         _ZN7rocprim17ROCPRIM_400000_NS6detail17trampoline_kernelINS0_14default_configENS1_25partition_config_selectorILNS1_17partition_subalgoE2ExNS0_10empty_typeEbEEZZNS1_14partition_implILS5_2ELb0ES3_jN6thrust23THRUST_200600_302600_NS6detail15normal_iteratorINSA_7pointerIxNSA_11hip_rocprim3tagENSA_11use_defaultESG_EEEEPS6_NSA_18transform_iteratorINSA_8identityIxEENSC_INSA_10device_ptrIxEEEESG_SG_EENS0_5tupleIJPxSJ_EEENSR_IJSJ_SJ_EEES6_PlJS6_EEE10hipError_tPvRmT3_T4_T5_T6_T7_T9_mT8_P12ihipStream_tbDpT10_ENKUlT_T0_E_clISt17integral_constantIbLb1EES1F_EEDaS1A_S1B_EUlS1A_E_NS1_11comp_targetILNS1_3genE2ELNS1_11target_archE906ELNS1_3gpuE6ELNS1_3repE0EEENS1_30default_config_static_selectorELNS0_4arch9wavefront6targetE1EEEvT1_.kd
    .uniform_work_group_size: 1
    .uses_dynamic_stack: false
    .vgpr_count:     0
    .vgpr_spill_count: 0
    .wavefront_size: 64
  - .agpr_count:     0
    .args:
      - .offset:         0
        .size:           144
        .value_kind:     by_value
    .group_segment_fixed_size: 0
    .kernarg_segment_align: 8
    .kernarg_segment_size: 144
    .language:       OpenCL C
    .language_version:
      - 2
      - 0
    .max_flat_workgroup_size: 256
    .name:           _ZN7rocprim17ROCPRIM_400000_NS6detail17trampoline_kernelINS0_14default_configENS1_25partition_config_selectorILNS1_17partition_subalgoE2ExNS0_10empty_typeEbEEZZNS1_14partition_implILS5_2ELb0ES3_jN6thrust23THRUST_200600_302600_NS6detail15normal_iteratorINSA_7pointerIxNSA_11hip_rocprim3tagENSA_11use_defaultESG_EEEEPS6_NSA_18transform_iteratorINSA_8identityIxEENSC_INSA_10device_ptrIxEEEESG_SG_EENS0_5tupleIJPxSJ_EEENSR_IJSJ_SJ_EEES6_PlJS6_EEE10hipError_tPvRmT3_T4_T5_T6_T7_T9_mT8_P12ihipStream_tbDpT10_ENKUlT_T0_E_clISt17integral_constantIbLb1EES1F_EEDaS1A_S1B_EUlS1A_E_NS1_11comp_targetILNS1_3genE10ELNS1_11target_archE1200ELNS1_3gpuE4ELNS1_3repE0EEENS1_30default_config_static_selectorELNS0_4arch9wavefront6targetE1EEEvT1_
    .private_segment_fixed_size: 0
    .sgpr_count:     4
    .sgpr_spill_count: 0
    .symbol:         _ZN7rocprim17ROCPRIM_400000_NS6detail17trampoline_kernelINS0_14default_configENS1_25partition_config_selectorILNS1_17partition_subalgoE2ExNS0_10empty_typeEbEEZZNS1_14partition_implILS5_2ELb0ES3_jN6thrust23THRUST_200600_302600_NS6detail15normal_iteratorINSA_7pointerIxNSA_11hip_rocprim3tagENSA_11use_defaultESG_EEEEPS6_NSA_18transform_iteratorINSA_8identityIxEENSC_INSA_10device_ptrIxEEEESG_SG_EENS0_5tupleIJPxSJ_EEENSR_IJSJ_SJ_EEES6_PlJS6_EEE10hipError_tPvRmT3_T4_T5_T6_T7_T9_mT8_P12ihipStream_tbDpT10_ENKUlT_T0_E_clISt17integral_constantIbLb1EES1F_EEDaS1A_S1B_EUlS1A_E_NS1_11comp_targetILNS1_3genE10ELNS1_11target_archE1200ELNS1_3gpuE4ELNS1_3repE0EEENS1_30default_config_static_selectorELNS0_4arch9wavefront6targetE1EEEvT1_.kd
    .uniform_work_group_size: 1
    .uses_dynamic_stack: false
    .vgpr_count:     0
    .vgpr_spill_count: 0
    .wavefront_size: 64
  - .agpr_count:     0
    .args:
      - .offset:         0
        .size:           144
        .value_kind:     by_value
    .group_segment_fixed_size: 0
    .kernarg_segment_align: 8
    .kernarg_segment_size: 144
    .language:       OpenCL C
    .language_version:
      - 2
      - 0
    .max_flat_workgroup_size: 512
    .name:           _ZN7rocprim17ROCPRIM_400000_NS6detail17trampoline_kernelINS0_14default_configENS1_25partition_config_selectorILNS1_17partition_subalgoE2ExNS0_10empty_typeEbEEZZNS1_14partition_implILS5_2ELb0ES3_jN6thrust23THRUST_200600_302600_NS6detail15normal_iteratorINSA_7pointerIxNSA_11hip_rocprim3tagENSA_11use_defaultESG_EEEEPS6_NSA_18transform_iteratorINSA_8identityIxEENSC_INSA_10device_ptrIxEEEESG_SG_EENS0_5tupleIJPxSJ_EEENSR_IJSJ_SJ_EEES6_PlJS6_EEE10hipError_tPvRmT3_T4_T5_T6_T7_T9_mT8_P12ihipStream_tbDpT10_ENKUlT_T0_E_clISt17integral_constantIbLb1EES1F_EEDaS1A_S1B_EUlS1A_E_NS1_11comp_targetILNS1_3genE9ELNS1_11target_archE1100ELNS1_3gpuE3ELNS1_3repE0EEENS1_30default_config_static_selectorELNS0_4arch9wavefront6targetE1EEEvT1_
    .private_segment_fixed_size: 0
    .sgpr_count:     4
    .sgpr_spill_count: 0
    .symbol:         _ZN7rocprim17ROCPRIM_400000_NS6detail17trampoline_kernelINS0_14default_configENS1_25partition_config_selectorILNS1_17partition_subalgoE2ExNS0_10empty_typeEbEEZZNS1_14partition_implILS5_2ELb0ES3_jN6thrust23THRUST_200600_302600_NS6detail15normal_iteratorINSA_7pointerIxNSA_11hip_rocprim3tagENSA_11use_defaultESG_EEEEPS6_NSA_18transform_iteratorINSA_8identityIxEENSC_INSA_10device_ptrIxEEEESG_SG_EENS0_5tupleIJPxSJ_EEENSR_IJSJ_SJ_EEES6_PlJS6_EEE10hipError_tPvRmT3_T4_T5_T6_T7_T9_mT8_P12ihipStream_tbDpT10_ENKUlT_T0_E_clISt17integral_constantIbLb1EES1F_EEDaS1A_S1B_EUlS1A_E_NS1_11comp_targetILNS1_3genE9ELNS1_11target_archE1100ELNS1_3gpuE3ELNS1_3repE0EEENS1_30default_config_static_selectorELNS0_4arch9wavefront6targetE1EEEvT1_.kd
    .uniform_work_group_size: 1
    .uses_dynamic_stack: false
    .vgpr_count:     0
    .vgpr_spill_count: 0
    .wavefront_size: 64
  - .agpr_count:     0
    .args:
      - .offset:         0
        .size:           144
        .value_kind:     by_value
    .group_segment_fixed_size: 0
    .kernarg_segment_align: 8
    .kernarg_segment_size: 144
    .language:       OpenCL C
    .language_version:
      - 2
      - 0
    .max_flat_workgroup_size: 512
    .name:           _ZN7rocprim17ROCPRIM_400000_NS6detail17trampoline_kernelINS0_14default_configENS1_25partition_config_selectorILNS1_17partition_subalgoE2ExNS0_10empty_typeEbEEZZNS1_14partition_implILS5_2ELb0ES3_jN6thrust23THRUST_200600_302600_NS6detail15normal_iteratorINSA_7pointerIxNSA_11hip_rocprim3tagENSA_11use_defaultESG_EEEEPS6_NSA_18transform_iteratorINSA_8identityIxEENSC_INSA_10device_ptrIxEEEESG_SG_EENS0_5tupleIJPxSJ_EEENSR_IJSJ_SJ_EEES6_PlJS6_EEE10hipError_tPvRmT3_T4_T5_T6_T7_T9_mT8_P12ihipStream_tbDpT10_ENKUlT_T0_E_clISt17integral_constantIbLb1EES1F_EEDaS1A_S1B_EUlS1A_E_NS1_11comp_targetILNS1_3genE8ELNS1_11target_archE1030ELNS1_3gpuE2ELNS1_3repE0EEENS1_30default_config_static_selectorELNS0_4arch9wavefront6targetE1EEEvT1_
    .private_segment_fixed_size: 0
    .sgpr_count:     4
    .sgpr_spill_count: 0
    .symbol:         _ZN7rocprim17ROCPRIM_400000_NS6detail17trampoline_kernelINS0_14default_configENS1_25partition_config_selectorILNS1_17partition_subalgoE2ExNS0_10empty_typeEbEEZZNS1_14partition_implILS5_2ELb0ES3_jN6thrust23THRUST_200600_302600_NS6detail15normal_iteratorINSA_7pointerIxNSA_11hip_rocprim3tagENSA_11use_defaultESG_EEEEPS6_NSA_18transform_iteratorINSA_8identityIxEENSC_INSA_10device_ptrIxEEEESG_SG_EENS0_5tupleIJPxSJ_EEENSR_IJSJ_SJ_EEES6_PlJS6_EEE10hipError_tPvRmT3_T4_T5_T6_T7_T9_mT8_P12ihipStream_tbDpT10_ENKUlT_T0_E_clISt17integral_constantIbLb1EES1F_EEDaS1A_S1B_EUlS1A_E_NS1_11comp_targetILNS1_3genE8ELNS1_11target_archE1030ELNS1_3gpuE2ELNS1_3repE0EEENS1_30default_config_static_selectorELNS0_4arch9wavefront6targetE1EEEvT1_.kd
    .uniform_work_group_size: 1
    .uses_dynamic_stack: false
    .vgpr_count:     0
    .vgpr_spill_count: 0
    .wavefront_size: 64
  - .agpr_count:     0
    .args:
      - .offset:         0
        .size:           128
        .value_kind:     by_value
    .group_segment_fixed_size: 0
    .kernarg_segment_align: 8
    .kernarg_segment_size: 128
    .language:       OpenCL C
    .language_version:
      - 2
      - 0
    .max_flat_workgroup_size: 128
    .name:           _ZN7rocprim17ROCPRIM_400000_NS6detail17trampoline_kernelINS0_14default_configENS1_25partition_config_selectorILNS1_17partition_subalgoE2ExNS0_10empty_typeEbEEZZNS1_14partition_implILS5_2ELb0ES3_jN6thrust23THRUST_200600_302600_NS6detail15normal_iteratorINSA_7pointerIxNSA_11hip_rocprim3tagENSA_11use_defaultESG_EEEEPS6_NSA_18transform_iteratorINSA_8identityIxEENSC_INSA_10device_ptrIxEEEESG_SG_EENS0_5tupleIJPxSJ_EEENSR_IJSJ_SJ_EEES6_PlJS6_EEE10hipError_tPvRmT3_T4_T5_T6_T7_T9_mT8_P12ihipStream_tbDpT10_ENKUlT_T0_E_clISt17integral_constantIbLb1EES1E_IbLb0EEEEDaS1A_S1B_EUlS1A_E_NS1_11comp_targetILNS1_3genE0ELNS1_11target_archE4294967295ELNS1_3gpuE0ELNS1_3repE0EEENS1_30default_config_static_selectorELNS0_4arch9wavefront6targetE1EEEvT1_
    .private_segment_fixed_size: 0
    .sgpr_count:     4
    .sgpr_spill_count: 0
    .symbol:         _ZN7rocprim17ROCPRIM_400000_NS6detail17trampoline_kernelINS0_14default_configENS1_25partition_config_selectorILNS1_17partition_subalgoE2ExNS0_10empty_typeEbEEZZNS1_14partition_implILS5_2ELb0ES3_jN6thrust23THRUST_200600_302600_NS6detail15normal_iteratorINSA_7pointerIxNSA_11hip_rocprim3tagENSA_11use_defaultESG_EEEEPS6_NSA_18transform_iteratorINSA_8identityIxEENSC_INSA_10device_ptrIxEEEESG_SG_EENS0_5tupleIJPxSJ_EEENSR_IJSJ_SJ_EEES6_PlJS6_EEE10hipError_tPvRmT3_T4_T5_T6_T7_T9_mT8_P12ihipStream_tbDpT10_ENKUlT_T0_E_clISt17integral_constantIbLb1EES1E_IbLb0EEEEDaS1A_S1B_EUlS1A_E_NS1_11comp_targetILNS1_3genE0ELNS1_11target_archE4294967295ELNS1_3gpuE0ELNS1_3repE0EEENS1_30default_config_static_selectorELNS0_4arch9wavefront6targetE1EEEvT1_.kd
    .uniform_work_group_size: 1
    .uses_dynamic_stack: false
    .vgpr_count:     0
    .vgpr_spill_count: 0
    .wavefront_size: 64
  - .agpr_count:     0
    .args:
      - .offset:         0
        .size:           128
        .value_kind:     by_value
    .group_segment_fixed_size: 0
    .kernarg_segment_align: 8
    .kernarg_segment_size: 128
    .language:       OpenCL C
    .language_version:
      - 2
      - 0
    .max_flat_workgroup_size: 512
    .name:           _ZN7rocprim17ROCPRIM_400000_NS6detail17trampoline_kernelINS0_14default_configENS1_25partition_config_selectorILNS1_17partition_subalgoE2ExNS0_10empty_typeEbEEZZNS1_14partition_implILS5_2ELb0ES3_jN6thrust23THRUST_200600_302600_NS6detail15normal_iteratorINSA_7pointerIxNSA_11hip_rocprim3tagENSA_11use_defaultESG_EEEEPS6_NSA_18transform_iteratorINSA_8identityIxEENSC_INSA_10device_ptrIxEEEESG_SG_EENS0_5tupleIJPxSJ_EEENSR_IJSJ_SJ_EEES6_PlJS6_EEE10hipError_tPvRmT3_T4_T5_T6_T7_T9_mT8_P12ihipStream_tbDpT10_ENKUlT_T0_E_clISt17integral_constantIbLb1EES1E_IbLb0EEEEDaS1A_S1B_EUlS1A_E_NS1_11comp_targetILNS1_3genE5ELNS1_11target_archE942ELNS1_3gpuE9ELNS1_3repE0EEENS1_30default_config_static_selectorELNS0_4arch9wavefront6targetE1EEEvT1_
    .private_segment_fixed_size: 0
    .sgpr_count:     4
    .sgpr_spill_count: 0
    .symbol:         _ZN7rocprim17ROCPRIM_400000_NS6detail17trampoline_kernelINS0_14default_configENS1_25partition_config_selectorILNS1_17partition_subalgoE2ExNS0_10empty_typeEbEEZZNS1_14partition_implILS5_2ELb0ES3_jN6thrust23THRUST_200600_302600_NS6detail15normal_iteratorINSA_7pointerIxNSA_11hip_rocprim3tagENSA_11use_defaultESG_EEEEPS6_NSA_18transform_iteratorINSA_8identityIxEENSC_INSA_10device_ptrIxEEEESG_SG_EENS0_5tupleIJPxSJ_EEENSR_IJSJ_SJ_EEES6_PlJS6_EEE10hipError_tPvRmT3_T4_T5_T6_T7_T9_mT8_P12ihipStream_tbDpT10_ENKUlT_T0_E_clISt17integral_constantIbLb1EES1E_IbLb0EEEEDaS1A_S1B_EUlS1A_E_NS1_11comp_targetILNS1_3genE5ELNS1_11target_archE942ELNS1_3gpuE9ELNS1_3repE0EEENS1_30default_config_static_selectorELNS0_4arch9wavefront6targetE1EEEvT1_.kd
    .uniform_work_group_size: 1
    .uses_dynamic_stack: false
    .vgpr_count:     0
    .vgpr_spill_count: 0
    .wavefront_size: 64
  - .agpr_count:     0
    .args:
      - .offset:         0
        .size:           128
        .value_kind:     by_value
    .group_segment_fixed_size: 6344
    .kernarg_segment_align: 8
    .kernarg_segment_size: 128
    .language:       OpenCL C
    .language_version:
      - 2
      - 0
    .max_flat_workgroup_size: 192
    .name:           _ZN7rocprim17ROCPRIM_400000_NS6detail17trampoline_kernelINS0_14default_configENS1_25partition_config_selectorILNS1_17partition_subalgoE2ExNS0_10empty_typeEbEEZZNS1_14partition_implILS5_2ELb0ES3_jN6thrust23THRUST_200600_302600_NS6detail15normal_iteratorINSA_7pointerIxNSA_11hip_rocprim3tagENSA_11use_defaultESG_EEEEPS6_NSA_18transform_iteratorINSA_8identityIxEENSC_INSA_10device_ptrIxEEEESG_SG_EENS0_5tupleIJPxSJ_EEENSR_IJSJ_SJ_EEES6_PlJS6_EEE10hipError_tPvRmT3_T4_T5_T6_T7_T9_mT8_P12ihipStream_tbDpT10_ENKUlT_T0_E_clISt17integral_constantIbLb1EES1E_IbLb0EEEEDaS1A_S1B_EUlS1A_E_NS1_11comp_targetILNS1_3genE4ELNS1_11target_archE910ELNS1_3gpuE8ELNS1_3repE0EEENS1_30default_config_static_selectorELNS0_4arch9wavefront6targetE1EEEvT1_
    .private_segment_fixed_size: 0
    .sgpr_count:     50
    .sgpr_spill_count: 0
    .symbol:         _ZN7rocprim17ROCPRIM_400000_NS6detail17trampoline_kernelINS0_14default_configENS1_25partition_config_selectorILNS1_17partition_subalgoE2ExNS0_10empty_typeEbEEZZNS1_14partition_implILS5_2ELb0ES3_jN6thrust23THRUST_200600_302600_NS6detail15normal_iteratorINSA_7pointerIxNSA_11hip_rocprim3tagENSA_11use_defaultESG_EEEEPS6_NSA_18transform_iteratorINSA_8identityIxEENSC_INSA_10device_ptrIxEEEESG_SG_EENS0_5tupleIJPxSJ_EEENSR_IJSJ_SJ_EEES6_PlJS6_EEE10hipError_tPvRmT3_T4_T5_T6_T7_T9_mT8_P12ihipStream_tbDpT10_ENKUlT_T0_E_clISt17integral_constantIbLb1EES1E_IbLb0EEEEDaS1A_S1B_EUlS1A_E_NS1_11comp_targetILNS1_3genE4ELNS1_11target_archE910ELNS1_3gpuE8ELNS1_3repE0EEENS1_30default_config_static_selectorELNS0_4arch9wavefront6targetE1EEEvT1_.kd
    .uniform_work_group_size: 1
    .uses_dynamic_stack: false
    .vgpr_count:     43
    .vgpr_spill_count: 0
    .wavefront_size: 64
  - .agpr_count:     0
    .args:
      - .offset:         0
        .size:           128
        .value_kind:     by_value
    .group_segment_fixed_size: 0
    .kernarg_segment_align: 8
    .kernarg_segment_size: 128
    .language:       OpenCL C
    .language_version:
      - 2
      - 0
    .max_flat_workgroup_size: 128
    .name:           _ZN7rocprim17ROCPRIM_400000_NS6detail17trampoline_kernelINS0_14default_configENS1_25partition_config_selectorILNS1_17partition_subalgoE2ExNS0_10empty_typeEbEEZZNS1_14partition_implILS5_2ELb0ES3_jN6thrust23THRUST_200600_302600_NS6detail15normal_iteratorINSA_7pointerIxNSA_11hip_rocprim3tagENSA_11use_defaultESG_EEEEPS6_NSA_18transform_iteratorINSA_8identityIxEENSC_INSA_10device_ptrIxEEEESG_SG_EENS0_5tupleIJPxSJ_EEENSR_IJSJ_SJ_EEES6_PlJS6_EEE10hipError_tPvRmT3_T4_T5_T6_T7_T9_mT8_P12ihipStream_tbDpT10_ENKUlT_T0_E_clISt17integral_constantIbLb1EES1E_IbLb0EEEEDaS1A_S1B_EUlS1A_E_NS1_11comp_targetILNS1_3genE3ELNS1_11target_archE908ELNS1_3gpuE7ELNS1_3repE0EEENS1_30default_config_static_selectorELNS0_4arch9wavefront6targetE1EEEvT1_
    .private_segment_fixed_size: 0
    .sgpr_count:     4
    .sgpr_spill_count: 0
    .symbol:         _ZN7rocprim17ROCPRIM_400000_NS6detail17trampoline_kernelINS0_14default_configENS1_25partition_config_selectorILNS1_17partition_subalgoE2ExNS0_10empty_typeEbEEZZNS1_14partition_implILS5_2ELb0ES3_jN6thrust23THRUST_200600_302600_NS6detail15normal_iteratorINSA_7pointerIxNSA_11hip_rocprim3tagENSA_11use_defaultESG_EEEEPS6_NSA_18transform_iteratorINSA_8identityIxEENSC_INSA_10device_ptrIxEEEESG_SG_EENS0_5tupleIJPxSJ_EEENSR_IJSJ_SJ_EEES6_PlJS6_EEE10hipError_tPvRmT3_T4_T5_T6_T7_T9_mT8_P12ihipStream_tbDpT10_ENKUlT_T0_E_clISt17integral_constantIbLb1EES1E_IbLb0EEEEDaS1A_S1B_EUlS1A_E_NS1_11comp_targetILNS1_3genE3ELNS1_11target_archE908ELNS1_3gpuE7ELNS1_3repE0EEENS1_30default_config_static_selectorELNS0_4arch9wavefront6targetE1EEEvT1_.kd
    .uniform_work_group_size: 1
    .uses_dynamic_stack: false
    .vgpr_count:     0
    .vgpr_spill_count: 0
    .wavefront_size: 64
  - .agpr_count:     0
    .args:
      - .offset:         0
        .size:           128
        .value_kind:     by_value
    .group_segment_fixed_size: 0
    .kernarg_segment_align: 8
    .kernarg_segment_size: 128
    .language:       OpenCL C
    .language_version:
      - 2
      - 0
    .max_flat_workgroup_size: 256
    .name:           _ZN7rocprim17ROCPRIM_400000_NS6detail17trampoline_kernelINS0_14default_configENS1_25partition_config_selectorILNS1_17partition_subalgoE2ExNS0_10empty_typeEbEEZZNS1_14partition_implILS5_2ELb0ES3_jN6thrust23THRUST_200600_302600_NS6detail15normal_iteratorINSA_7pointerIxNSA_11hip_rocprim3tagENSA_11use_defaultESG_EEEEPS6_NSA_18transform_iteratorINSA_8identityIxEENSC_INSA_10device_ptrIxEEEESG_SG_EENS0_5tupleIJPxSJ_EEENSR_IJSJ_SJ_EEES6_PlJS6_EEE10hipError_tPvRmT3_T4_T5_T6_T7_T9_mT8_P12ihipStream_tbDpT10_ENKUlT_T0_E_clISt17integral_constantIbLb1EES1E_IbLb0EEEEDaS1A_S1B_EUlS1A_E_NS1_11comp_targetILNS1_3genE2ELNS1_11target_archE906ELNS1_3gpuE6ELNS1_3repE0EEENS1_30default_config_static_selectorELNS0_4arch9wavefront6targetE1EEEvT1_
    .private_segment_fixed_size: 0
    .sgpr_count:     4
    .sgpr_spill_count: 0
    .symbol:         _ZN7rocprim17ROCPRIM_400000_NS6detail17trampoline_kernelINS0_14default_configENS1_25partition_config_selectorILNS1_17partition_subalgoE2ExNS0_10empty_typeEbEEZZNS1_14partition_implILS5_2ELb0ES3_jN6thrust23THRUST_200600_302600_NS6detail15normal_iteratorINSA_7pointerIxNSA_11hip_rocprim3tagENSA_11use_defaultESG_EEEEPS6_NSA_18transform_iteratorINSA_8identityIxEENSC_INSA_10device_ptrIxEEEESG_SG_EENS0_5tupleIJPxSJ_EEENSR_IJSJ_SJ_EEES6_PlJS6_EEE10hipError_tPvRmT3_T4_T5_T6_T7_T9_mT8_P12ihipStream_tbDpT10_ENKUlT_T0_E_clISt17integral_constantIbLb1EES1E_IbLb0EEEEDaS1A_S1B_EUlS1A_E_NS1_11comp_targetILNS1_3genE2ELNS1_11target_archE906ELNS1_3gpuE6ELNS1_3repE0EEENS1_30default_config_static_selectorELNS0_4arch9wavefront6targetE1EEEvT1_.kd
    .uniform_work_group_size: 1
    .uses_dynamic_stack: false
    .vgpr_count:     0
    .vgpr_spill_count: 0
    .wavefront_size: 64
  - .agpr_count:     0
    .args:
      - .offset:         0
        .size:           128
        .value_kind:     by_value
    .group_segment_fixed_size: 0
    .kernarg_segment_align: 8
    .kernarg_segment_size: 128
    .language:       OpenCL C
    .language_version:
      - 2
      - 0
    .max_flat_workgroup_size: 256
    .name:           _ZN7rocprim17ROCPRIM_400000_NS6detail17trampoline_kernelINS0_14default_configENS1_25partition_config_selectorILNS1_17partition_subalgoE2ExNS0_10empty_typeEbEEZZNS1_14partition_implILS5_2ELb0ES3_jN6thrust23THRUST_200600_302600_NS6detail15normal_iteratorINSA_7pointerIxNSA_11hip_rocprim3tagENSA_11use_defaultESG_EEEEPS6_NSA_18transform_iteratorINSA_8identityIxEENSC_INSA_10device_ptrIxEEEESG_SG_EENS0_5tupleIJPxSJ_EEENSR_IJSJ_SJ_EEES6_PlJS6_EEE10hipError_tPvRmT3_T4_T5_T6_T7_T9_mT8_P12ihipStream_tbDpT10_ENKUlT_T0_E_clISt17integral_constantIbLb1EES1E_IbLb0EEEEDaS1A_S1B_EUlS1A_E_NS1_11comp_targetILNS1_3genE10ELNS1_11target_archE1200ELNS1_3gpuE4ELNS1_3repE0EEENS1_30default_config_static_selectorELNS0_4arch9wavefront6targetE1EEEvT1_
    .private_segment_fixed_size: 0
    .sgpr_count:     4
    .sgpr_spill_count: 0
    .symbol:         _ZN7rocprim17ROCPRIM_400000_NS6detail17trampoline_kernelINS0_14default_configENS1_25partition_config_selectorILNS1_17partition_subalgoE2ExNS0_10empty_typeEbEEZZNS1_14partition_implILS5_2ELb0ES3_jN6thrust23THRUST_200600_302600_NS6detail15normal_iteratorINSA_7pointerIxNSA_11hip_rocprim3tagENSA_11use_defaultESG_EEEEPS6_NSA_18transform_iteratorINSA_8identityIxEENSC_INSA_10device_ptrIxEEEESG_SG_EENS0_5tupleIJPxSJ_EEENSR_IJSJ_SJ_EEES6_PlJS6_EEE10hipError_tPvRmT3_T4_T5_T6_T7_T9_mT8_P12ihipStream_tbDpT10_ENKUlT_T0_E_clISt17integral_constantIbLb1EES1E_IbLb0EEEEDaS1A_S1B_EUlS1A_E_NS1_11comp_targetILNS1_3genE10ELNS1_11target_archE1200ELNS1_3gpuE4ELNS1_3repE0EEENS1_30default_config_static_selectorELNS0_4arch9wavefront6targetE1EEEvT1_.kd
    .uniform_work_group_size: 1
    .uses_dynamic_stack: false
    .vgpr_count:     0
    .vgpr_spill_count: 0
    .wavefront_size: 64
  - .agpr_count:     0
    .args:
      - .offset:         0
        .size:           128
        .value_kind:     by_value
    .group_segment_fixed_size: 0
    .kernarg_segment_align: 8
    .kernarg_segment_size: 128
    .language:       OpenCL C
    .language_version:
      - 2
      - 0
    .max_flat_workgroup_size: 512
    .name:           _ZN7rocprim17ROCPRIM_400000_NS6detail17trampoline_kernelINS0_14default_configENS1_25partition_config_selectorILNS1_17partition_subalgoE2ExNS0_10empty_typeEbEEZZNS1_14partition_implILS5_2ELb0ES3_jN6thrust23THRUST_200600_302600_NS6detail15normal_iteratorINSA_7pointerIxNSA_11hip_rocprim3tagENSA_11use_defaultESG_EEEEPS6_NSA_18transform_iteratorINSA_8identityIxEENSC_INSA_10device_ptrIxEEEESG_SG_EENS0_5tupleIJPxSJ_EEENSR_IJSJ_SJ_EEES6_PlJS6_EEE10hipError_tPvRmT3_T4_T5_T6_T7_T9_mT8_P12ihipStream_tbDpT10_ENKUlT_T0_E_clISt17integral_constantIbLb1EES1E_IbLb0EEEEDaS1A_S1B_EUlS1A_E_NS1_11comp_targetILNS1_3genE9ELNS1_11target_archE1100ELNS1_3gpuE3ELNS1_3repE0EEENS1_30default_config_static_selectorELNS0_4arch9wavefront6targetE1EEEvT1_
    .private_segment_fixed_size: 0
    .sgpr_count:     4
    .sgpr_spill_count: 0
    .symbol:         _ZN7rocprim17ROCPRIM_400000_NS6detail17trampoline_kernelINS0_14default_configENS1_25partition_config_selectorILNS1_17partition_subalgoE2ExNS0_10empty_typeEbEEZZNS1_14partition_implILS5_2ELb0ES3_jN6thrust23THRUST_200600_302600_NS6detail15normal_iteratorINSA_7pointerIxNSA_11hip_rocprim3tagENSA_11use_defaultESG_EEEEPS6_NSA_18transform_iteratorINSA_8identityIxEENSC_INSA_10device_ptrIxEEEESG_SG_EENS0_5tupleIJPxSJ_EEENSR_IJSJ_SJ_EEES6_PlJS6_EEE10hipError_tPvRmT3_T4_T5_T6_T7_T9_mT8_P12ihipStream_tbDpT10_ENKUlT_T0_E_clISt17integral_constantIbLb1EES1E_IbLb0EEEEDaS1A_S1B_EUlS1A_E_NS1_11comp_targetILNS1_3genE9ELNS1_11target_archE1100ELNS1_3gpuE3ELNS1_3repE0EEENS1_30default_config_static_selectorELNS0_4arch9wavefront6targetE1EEEvT1_.kd
    .uniform_work_group_size: 1
    .uses_dynamic_stack: false
    .vgpr_count:     0
    .vgpr_spill_count: 0
    .wavefront_size: 64
  - .agpr_count:     0
    .args:
      - .offset:         0
        .size:           128
        .value_kind:     by_value
    .group_segment_fixed_size: 0
    .kernarg_segment_align: 8
    .kernarg_segment_size: 128
    .language:       OpenCL C
    .language_version:
      - 2
      - 0
    .max_flat_workgroup_size: 512
    .name:           _ZN7rocprim17ROCPRIM_400000_NS6detail17trampoline_kernelINS0_14default_configENS1_25partition_config_selectorILNS1_17partition_subalgoE2ExNS0_10empty_typeEbEEZZNS1_14partition_implILS5_2ELb0ES3_jN6thrust23THRUST_200600_302600_NS6detail15normal_iteratorINSA_7pointerIxNSA_11hip_rocprim3tagENSA_11use_defaultESG_EEEEPS6_NSA_18transform_iteratorINSA_8identityIxEENSC_INSA_10device_ptrIxEEEESG_SG_EENS0_5tupleIJPxSJ_EEENSR_IJSJ_SJ_EEES6_PlJS6_EEE10hipError_tPvRmT3_T4_T5_T6_T7_T9_mT8_P12ihipStream_tbDpT10_ENKUlT_T0_E_clISt17integral_constantIbLb1EES1E_IbLb0EEEEDaS1A_S1B_EUlS1A_E_NS1_11comp_targetILNS1_3genE8ELNS1_11target_archE1030ELNS1_3gpuE2ELNS1_3repE0EEENS1_30default_config_static_selectorELNS0_4arch9wavefront6targetE1EEEvT1_
    .private_segment_fixed_size: 0
    .sgpr_count:     4
    .sgpr_spill_count: 0
    .symbol:         _ZN7rocprim17ROCPRIM_400000_NS6detail17trampoline_kernelINS0_14default_configENS1_25partition_config_selectorILNS1_17partition_subalgoE2ExNS0_10empty_typeEbEEZZNS1_14partition_implILS5_2ELb0ES3_jN6thrust23THRUST_200600_302600_NS6detail15normal_iteratorINSA_7pointerIxNSA_11hip_rocprim3tagENSA_11use_defaultESG_EEEEPS6_NSA_18transform_iteratorINSA_8identityIxEENSC_INSA_10device_ptrIxEEEESG_SG_EENS0_5tupleIJPxSJ_EEENSR_IJSJ_SJ_EEES6_PlJS6_EEE10hipError_tPvRmT3_T4_T5_T6_T7_T9_mT8_P12ihipStream_tbDpT10_ENKUlT_T0_E_clISt17integral_constantIbLb1EES1E_IbLb0EEEEDaS1A_S1B_EUlS1A_E_NS1_11comp_targetILNS1_3genE8ELNS1_11target_archE1030ELNS1_3gpuE2ELNS1_3repE0EEENS1_30default_config_static_selectorELNS0_4arch9wavefront6targetE1EEEvT1_.kd
    .uniform_work_group_size: 1
    .uses_dynamic_stack: false
    .vgpr_count:     0
    .vgpr_spill_count: 0
    .wavefront_size: 64
  - .agpr_count:     0
    .args:
      - .offset:         0
        .size:           144
        .value_kind:     by_value
    .group_segment_fixed_size: 0
    .kernarg_segment_align: 8
    .kernarg_segment_size: 144
    .language:       OpenCL C
    .language_version:
      - 2
      - 0
    .max_flat_workgroup_size: 128
    .name:           _ZN7rocprim17ROCPRIM_400000_NS6detail17trampoline_kernelINS0_14default_configENS1_25partition_config_selectorILNS1_17partition_subalgoE2ExNS0_10empty_typeEbEEZZNS1_14partition_implILS5_2ELb0ES3_jN6thrust23THRUST_200600_302600_NS6detail15normal_iteratorINSA_7pointerIxNSA_11hip_rocprim3tagENSA_11use_defaultESG_EEEEPS6_NSA_18transform_iteratorINSA_8identityIxEENSC_INSA_10device_ptrIxEEEESG_SG_EENS0_5tupleIJPxSJ_EEENSR_IJSJ_SJ_EEES6_PlJS6_EEE10hipError_tPvRmT3_T4_T5_T6_T7_T9_mT8_P12ihipStream_tbDpT10_ENKUlT_T0_E_clISt17integral_constantIbLb0EES1E_IbLb1EEEEDaS1A_S1B_EUlS1A_E_NS1_11comp_targetILNS1_3genE0ELNS1_11target_archE4294967295ELNS1_3gpuE0ELNS1_3repE0EEENS1_30default_config_static_selectorELNS0_4arch9wavefront6targetE1EEEvT1_
    .private_segment_fixed_size: 0
    .sgpr_count:     4
    .sgpr_spill_count: 0
    .symbol:         _ZN7rocprim17ROCPRIM_400000_NS6detail17trampoline_kernelINS0_14default_configENS1_25partition_config_selectorILNS1_17partition_subalgoE2ExNS0_10empty_typeEbEEZZNS1_14partition_implILS5_2ELb0ES3_jN6thrust23THRUST_200600_302600_NS6detail15normal_iteratorINSA_7pointerIxNSA_11hip_rocprim3tagENSA_11use_defaultESG_EEEEPS6_NSA_18transform_iteratorINSA_8identityIxEENSC_INSA_10device_ptrIxEEEESG_SG_EENS0_5tupleIJPxSJ_EEENSR_IJSJ_SJ_EEES6_PlJS6_EEE10hipError_tPvRmT3_T4_T5_T6_T7_T9_mT8_P12ihipStream_tbDpT10_ENKUlT_T0_E_clISt17integral_constantIbLb0EES1E_IbLb1EEEEDaS1A_S1B_EUlS1A_E_NS1_11comp_targetILNS1_3genE0ELNS1_11target_archE4294967295ELNS1_3gpuE0ELNS1_3repE0EEENS1_30default_config_static_selectorELNS0_4arch9wavefront6targetE1EEEvT1_.kd
    .uniform_work_group_size: 1
    .uses_dynamic_stack: false
    .vgpr_count:     0
    .vgpr_spill_count: 0
    .wavefront_size: 64
  - .agpr_count:     0
    .args:
      - .offset:         0
        .size:           144
        .value_kind:     by_value
    .group_segment_fixed_size: 0
    .kernarg_segment_align: 8
    .kernarg_segment_size: 144
    .language:       OpenCL C
    .language_version:
      - 2
      - 0
    .max_flat_workgroup_size: 512
    .name:           _ZN7rocprim17ROCPRIM_400000_NS6detail17trampoline_kernelINS0_14default_configENS1_25partition_config_selectorILNS1_17partition_subalgoE2ExNS0_10empty_typeEbEEZZNS1_14partition_implILS5_2ELb0ES3_jN6thrust23THRUST_200600_302600_NS6detail15normal_iteratorINSA_7pointerIxNSA_11hip_rocprim3tagENSA_11use_defaultESG_EEEEPS6_NSA_18transform_iteratorINSA_8identityIxEENSC_INSA_10device_ptrIxEEEESG_SG_EENS0_5tupleIJPxSJ_EEENSR_IJSJ_SJ_EEES6_PlJS6_EEE10hipError_tPvRmT3_T4_T5_T6_T7_T9_mT8_P12ihipStream_tbDpT10_ENKUlT_T0_E_clISt17integral_constantIbLb0EES1E_IbLb1EEEEDaS1A_S1B_EUlS1A_E_NS1_11comp_targetILNS1_3genE5ELNS1_11target_archE942ELNS1_3gpuE9ELNS1_3repE0EEENS1_30default_config_static_selectorELNS0_4arch9wavefront6targetE1EEEvT1_
    .private_segment_fixed_size: 0
    .sgpr_count:     4
    .sgpr_spill_count: 0
    .symbol:         _ZN7rocprim17ROCPRIM_400000_NS6detail17trampoline_kernelINS0_14default_configENS1_25partition_config_selectorILNS1_17partition_subalgoE2ExNS0_10empty_typeEbEEZZNS1_14partition_implILS5_2ELb0ES3_jN6thrust23THRUST_200600_302600_NS6detail15normal_iteratorINSA_7pointerIxNSA_11hip_rocprim3tagENSA_11use_defaultESG_EEEEPS6_NSA_18transform_iteratorINSA_8identityIxEENSC_INSA_10device_ptrIxEEEESG_SG_EENS0_5tupleIJPxSJ_EEENSR_IJSJ_SJ_EEES6_PlJS6_EEE10hipError_tPvRmT3_T4_T5_T6_T7_T9_mT8_P12ihipStream_tbDpT10_ENKUlT_T0_E_clISt17integral_constantIbLb0EES1E_IbLb1EEEEDaS1A_S1B_EUlS1A_E_NS1_11comp_targetILNS1_3genE5ELNS1_11target_archE942ELNS1_3gpuE9ELNS1_3repE0EEENS1_30default_config_static_selectorELNS0_4arch9wavefront6targetE1EEEvT1_.kd
    .uniform_work_group_size: 1
    .uses_dynamic_stack: false
    .vgpr_count:     0
    .vgpr_spill_count: 0
    .wavefront_size: 64
  - .agpr_count:     0
    .args:
      - .offset:         0
        .size:           144
        .value_kind:     by_value
    .group_segment_fixed_size: 6344
    .kernarg_segment_align: 8
    .kernarg_segment_size: 144
    .language:       OpenCL C
    .language_version:
      - 2
      - 0
    .max_flat_workgroup_size: 192
    .name:           _ZN7rocprim17ROCPRIM_400000_NS6detail17trampoline_kernelINS0_14default_configENS1_25partition_config_selectorILNS1_17partition_subalgoE2ExNS0_10empty_typeEbEEZZNS1_14partition_implILS5_2ELb0ES3_jN6thrust23THRUST_200600_302600_NS6detail15normal_iteratorINSA_7pointerIxNSA_11hip_rocprim3tagENSA_11use_defaultESG_EEEEPS6_NSA_18transform_iteratorINSA_8identityIxEENSC_INSA_10device_ptrIxEEEESG_SG_EENS0_5tupleIJPxSJ_EEENSR_IJSJ_SJ_EEES6_PlJS6_EEE10hipError_tPvRmT3_T4_T5_T6_T7_T9_mT8_P12ihipStream_tbDpT10_ENKUlT_T0_E_clISt17integral_constantIbLb0EES1E_IbLb1EEEEDaS1A_S1B_EUlS1A_E_NS1_11comp_targetILNS1_3genE4ELNS1_11target_archE910ELNS1_3gpuE8ELNS1_3repE0EEENS1_30default_config_static_selectorELNS0_4arch9wavefront6targetE1EEEvT1_
    .private_segment_fixed_size: 0
    .sgpr_count:     50
    .sgpr_spill_count: 0
    .symbol:         _ZN7rocprim17ROCPRIM_400000_NS6detail17trampoline_kernelINS0_14default_configENS1_25partition_config_selectorILNS1_17partition_subalgoE2ExNS0_10empty_typeEbEEZZNS1_14partition_implILS5_2ELb0ES3_jN6thrust23THRUST_200600_302600_NS6detail15normal_iteratorINSA_7pointerIxNSA_11hip_rocprim3tagENSA_11use_defaultESG_EEEEPS6_NSA_18transform_iteratorINSA_8identityIxEENSC_INSA_10device_ptrIxEEEESG_SG_EENS0_5tupleIJPxSJ_EEENSR_IJSJ_SJ_EEES6_PlJS6_EEE10hipError_tPvRmT3_T4_T5_T6_T7_T9_mT8_P12ihipStream_tbDpT10_ENKUlT_T0_E_clISt17integral_constantIbLb0EES1E_IbLb1EEEEDaS1A_S1B_EUlS1A_E_NS1_11comp_targetILNS1_3genE4ELNS1_11target_archE910ELNS1_3gpuE8ELNS1_3repE0EEENS1_30default_config_static_selectorELNS0_4arch9wavefront6targetE1EEEvT1_.kd
    .uniform_work_group_size: 1
    .uses_dynamic_stack: false
    .vgpr_count:     45
    .vgpr_spill_count: 0
    .wavefront_size: 64
  - .agpr_count:     0
    .args:
      - .offset:         0
        .size:           144
        .value_kind:     by_value
    .group_segment_fixed_size: 0
    .kernarg_segment_align: 8
    .kernarg_segment_size: 144
    .language:       OpenCL C
    .language_version:
      - 2
      - 0
    .max_flat_workgroup_size: 128
    .name:           _ZN7rocprim17ROCPRIM_400000_NS6detail17trampoline_kernelINS0_14default_configENS1_25partition_config_selectorILNS1_17partition_subalgoE2ExNS0_10empty_typeEbEEZZNS1_14partition_implILS5_2ELb0ES3_jN6thrust23THRUST_200600_302600_NS6detail15normal_iteratorINSA_7pointerIxNSA_11hip_rocprim3tagENSA_11use_defaultESG_EEEEPS6_NSA_18transform_iteratorINSA_8identityIxEENSC_INSA_10device_ptrIxEEEESG_SG_EENS0_5tupleIJPxSJ_EEENSR_IJSJ_SJ_EEES6_PlJS6_EEE10hipError_tPvRmT3_T4_T5_T6_T7_T9_mT8_P12ihipStream_tbDpT10_ENKUlT_T0_E_clISt17integral_constantIbLb0EES1E_IbLb1EEEEDaS1A_S1B_EUlS1A_E_NS1_11comp_targetILNS1_3genE3ELNS1_11target_archE908ELNS1_3gpuE7ELNS1_3repE0EEENS1_30default_config_static_selectorELNS0_4arch9wavefront6targetE1EEEvT1_
    .private_segment_fixed_size: 0
    .sgpr_count:     4
    .sgpr_spill_count: 0
    .symbol:         _ZN7rocprim17ROCPRIM_400000_NS6detail17trampoline_kernelINS0_14default_configENS1_25partition_config_selectorILNS1_17partition_subalgoE2ExNS0_10empty_typeEbEEZZNS1_14partition_implILS5_2ELb0ES3_jN6thrust23THRUST_200600_302600_NS6detail15normal_iteratorINSA_7pointerIxNSA_11hip_rocprim3tagENSA_11use_defaultESG_EEEEPS6_NSA_18transform_iteratorINSA_8identityIxEENSC_INSA_10device_ptrIxEEEESG_SG_EENS0_5tupleIJPxSJ_EEENSR_IJSJ_SJ_EEES6_PlJS6_EEE10hipError_tPvRmT3_T4_T5_T6_T7_T9_mT8_P12ihipStream_tbDpT10_ENKUlT_T0_E_clISt17integral_constantIbLb0EES1E_IbLb1EEEEDaS1A_S1B_EUlS1A_E_NS1_11comp_targetILNS1_3genE3ELNS1_11target_archE908ELNS1_3gpuE7ELNS1_3repE0EEENS1_30default_config_static_selectorELNS0_4arch9wavefront6targetE1EEEvT1_.kd
    .uniform_work_group_size: 1
    .uses_dynamic_stack: false
    .vgpr_count:     0
    .vgpr_spill_count: 0
    .wavefront_size: 64
  - .agpr_count:     0
    .args:
      - .offset:         0
        .size:           144
        .value_kind:     by_value
    .group_segment_fixed_size: 0
    .kernarg_segment_align: 8
    .kernarg_segment_size: 144
    .language:       OpenCL C
    .language_version:
      - 2
      - 0
    .max_flat_workgroup_size: 256
    .name:           _ZN7rocprim17ROCPRIM_400000_NS6detail17trampoline_kernelINS0_14default_configENS1_25partition_config_selectorILNS1_17partition_subalgoE2ExNS0_10empty_typeEbEEZZNS1_14partition_implILS5_2ELb0ES3_jN6thrust23THRUST_200600_302600_NS6detail15normal_iteratorINSA_7pointerIxNSA_11hip_rocprim3tagENSA_11use_defaultESG_EEEEPS6_NSA_18transform_iteratorINSA_8identityIxEENSC_INSA_10device_ptrIxEEEESG_SG_EENS0_5tupleIJPxSJ_EEENSR_IJSJ_SJ_EEES6_PlJS6_EEE10hipError_tPvRmT3_T4_T5_T6_T7_T9_mT8_P12ihipStream_tbDpT10_ENKUlT_T0_E_clISt17integral_constantIbLb0EES1E_IbLb1EEEEDaS1A_S1B_EUlS1A_E_NS1_11comp_targetILNS1_3genE2ELNS1_11target_archE906ELNS1_3gpuE6ELNS1_3repE0EEENS1_30default_config_static_selectorELNS0_4arch9wavefront6targetE1EEEvT1_
    .private_segment_fixed_size: 0
    .sgpr_count:     4
    .sgpr_spill_count: 0
    .symbol:         _ZN7rocprim17ROCPRIM_400000_NS6detail17trampoline_kernelINS0_14default_configENS1_25partition_config_selectorILNS1_17partition_subalgoE2ExNS0_10empty_typeEbEEZZNS1_14partition_implILS5_2ELb0ES3_jN6thrust23THRUST_200600_302600_NS6detail15normal_iteratorINSA_7pointerIxNSA_11hip_rocprim3tagENSA_11use_defaultESG_EEEEPS6_NSA_18transform_iteratorINSA_8identityIxEENSC_INSA_10device_ptrIxEEEESG_SG_EENS0_5tupleIJPxSJ_EEENSR_IJSJ_SJ_EEES6_PlJS6_EEE10hipError_tPvRmT3_T4_T5_T6_T7_T9_mT8_P12ihipStream_tbDpT10_ENKUlT_T0_E_clISt17integral_constantIbLb0EES1E_IbLb1EEEEDaS1A_S1B_EUlS1A_E_NS1_11comp_targetILNS1_3genE2ELNS1_11target_archE906ELNS1_3gpuE6ELNS1_3repE0EEENS1_30default_config_static_selectorELNS0_4arch9wavefront6targetE1EEEvT1_.kd
    .uniform_work_group_size: 1
    .uses_dynamic_stack: false
    .vgpr_count:     0
    .vgpr_spill_count: 0
    .wavefront_size: 64
  - .agpr_count:     0
    .args:
      - .offset:         0
        .size:           144
        .value_kind:     by_value
    .group_segment_fixed_size: 0
    .kernarg_segment_align: 8
    .kernarg_segment_size: 144
    .language:       OpenCL C
    .language_version:
      - 2
      - 0
    .max_flat_workgroup_size: 256
    .name:           _ZN7rocprim17ROCPRIM_400000_NS6detail17trampoline_kernelINS0_14default_configENS1_25partition_config_selectorILNS1_17partition_subalgoE2ExNS0_10empty_typeEbEEZZNS1_14partition_implILS5_2ELb0ES3_jN6thrust23THRUST_200600_302600_NS6detail15normal_iteratorINSA_7pointerIxNSA_11hip_rocprim3tagENSA_11use_defaultESG_EEEEPS6_NSA_18transform_iteratorINSA_8identityIxEENSC_INSA_10device_ptrIxEEEESG_SG_EENS0_5tupleIJPxSJ_EEENSR_IJSJ_SJ_EEES6_PlJS6_EEE10hipError_tPvRmT3_T4_T5_T6_T7_T9_mT8_P12ihipStream_tbDpT10_ENKUlT_T0_E_clISt17integral_constantIbLb0EES1E_IbLb1EEEEDaS1A_S1B_EUlS1A_E_NS1_11comp_targetILNS1_3genE10ELNS1_11target_archE1200ELNS1_3gpuE4ELNS1_3repE0EEENS1_30default_config_static_selectorELNS0_4arch9wavefront6targetE1EEEvT1_
    .private_segment_fixed_size: 0
    .sgpr_count:     4
    .sgpr_spill_count: 0
    .symbol:         _ZN7rocprim17ROCPRIM_400000_NS6detail17trampoline_kernelINS0_14default_configENS1_25partition_config_selectorILNS1_17partition_subalgoE2ExNS0_10empty_typeEbEEZZNS1_14partition_implILS5_2ELb0ES3_jN6thrust23THRUST_200600_302600_NS6detail15normal_iteratorINSA_7pointerIxNSA_11hip_rocprim3tagENSA_11use_defaultESG_EEEEPS6_NSA_18transform_iteratorINSA_8identityIxEENSC_INSA_10device_ptrIxEEEESG_SG_EENS0_5tupleIJPxSJ_EEENSR_IJSJ_SJ_EEES6_PlJS6_EEE10hipError_tPvRmT3_T4_T5_T6_T7_T9_mT8_P12ihipStream_tbDpT10_ENKUlT_T0_E_clISt17integral_constantIbLb0EES1E_IbLb1EEEEDaS1A_S1B_EUlS1A_E_NS1_11comp_targetILNS1_3genE10ELNS1_11target_archE1200ELNS1_3gpuE4ELNS1_3repE0EEENS1_30default_config_static_selectorELNS0_4arch9wavefront6targetE1EEEvT1_.kd
    .uniform_work_group_size: 1
    .uses_dynamic_stack: false
    .vgpr_count:     0
    .vgpr_spill_count: 0
    .wavefront_size: 64
  - .agpr_count:     0
    .args:
      - .offset:         0
        .size:           144
        .value_kind:     by_value
    .group_segment_fixed_size: 0
    .kernarg_segment_align: 8
    .kernarg_segment_size: 144
    .language:       OpenCL C
    .language_version:
      - 2
      - 0
    .max_flat_workgroup_size: 512
    .name:           _ZN7rocprim17ROCPRIM_400000_NS6detail17trampoline_kernelINS0_14default_configENS1_25partition_config_selectorILNS1_17partition_subalgoE2ExNS0_10empty_typeEbEEZZNS1_14partition_implILS5_2ELb0ES3_jN6thrust23THRUST_200600_302600_NS6detail15normal_iteratorINSA_7pointerIxNSA_11hip_rocprim3tagENSA_11use_defaultESG_EEEEPS6_NSA_18transform_iteratorINSA_8identityIxEENSC_INSA_10device_ptrIxEEEESG_SG_EENS0_5tupleIJPxSJ_EEENSR_IJSJ_SJ_EEES6_PlJS6_EEE10hipError_tPvRmT3_T4_T5_T6_T7_T9_mT8_P12ihipStream_tbDpT10_ENKUlT_T0_E_clISt17integral_constantIbLb0EES1E_IbLb1EEEEDaS1A_S1B_EUlS1A_E_NS1_11comp_targetILNS1_3genE9ELNS1_11target_archE1100ELNS1_3gpuE3ELNS1_3repE0EEENS1_30default_config_static_selectorELNS0_4arch9wavefront6targetE1EEEvT1_
    .private_segment_fixed_size: 0
    .sgpr_count:     4
    .sgpr_spill_count: 0
    .symbol:         _ZN7rocprim17ROCPRIM_400000_NS6detail17trampoline_kernelINS0_14default_configENS1_25partition_config_selectorILNS1_17partition_subalgoE2ExNS0_10empty_typeEbEEZZNS1_14partition_implILS5_2ELb0ES3_jN6thrust23THRUST_200600_302600_NS6detail15normal_iteratorINSA_7pointerIxNSA_11hip_rocprim3tagENSA_11use_defaultESG_EEEEPS6_NSA_18transform_iteratorINSA_8identityIxEENSC_INSA_10device_ptrIxEEEESG_SG_EENS0_5tupleIJPxSJ_EEENSR_IJSJ_SJ_EEES6_PlJS6_EEE10hipError_tPvRmT3_T4_T5_T6_T7_T9_mT8_P12ihipStream_tbDpT10_ENKUlT_T0_E_clISt17integral_constantIbLb0EES1E_IbLb1EEEEDaS1A_S1B_EUlS1A_E_NS1_11comp_targetILNS1_3genE9ELNS1_11target_archE1100ELNS1_3gpuE3ELNS1_3repE0EEENS1_30default_config_static_selectorELNS0_4arch9wavefront6targetE1EEEvT1_.kd
    .uniform_work_group_size: 1
    .uses_dynamic_stack: false
    .vgpr_count:     0
    .vgpr_spill_count: 0
    .wavefront_size: 64
  - .agpr_count:     0
    .args:
      - .offset:         0
        .size:           144
        .value_kind:     by_value
    .group_segment_fixed_size: 0
    .kernarg_segment_align: 8
    .kernarg_segment_size: 144
    .language:       OpenCL C
    .language_version:
      - 2
      - 0
    .max_flat_workgroup_size: 512
    .name:           _ZN7rocprim17ROCPRIM_400000_NS6detail17trampoline_kernelINS0_14default_configENS1_25partition_config_selectorILNS1_17partition_subalgoE2ExNS0_10empty_typeEbEEZZNS1_14partition_implILS5_2ELb0ES3_jN6thrust23THRUST_200600_302600_NS6detail15normal_iteratorINSA_7pointerIxNSA_11hip_rocprim3tagENSA_11use_defaultESG_EEEEPS6_NSA_18transform_iteratorINSA_8identityIxEENSC_INSA_10device_ptrIxEEEESG_SG_EENS0_5tupleIJPxSJ_EEENSR_IJSJ_SJ_EEES6_PlJS6_EEE10hipError_tPvRmT3_T4_T5_T6_T7_T9_mT8_P12ihipStream_tbDpT10_ENKUlT_T0_E_clISt17integral_constantIbLb0EES1E_IbLb1EEEEDaS1A_S1B_EUlS1A_E_NS1_11comp_targetILNS1_3genE8ELNS1_11target_archE1030ELNS1_3gpuE2ELNS1_3repE0EEENS1_30default_config_static_selectorELNS0_4arch9wavefront6targetE1EEEvT1_
    .private_segment_fixed_size: 0
    .sgpr_count:     4
    .sgpr_spill_count: 0
    .symbol:         _ZN7rocprim17ROCPRIM_400000_NS6detail17trampoline_kernelINS0_14default_configENS1_25partition_config_selectorILNS1_17partition_subalgoE2ExNS0_10empty_typeEbEEZZNS1_14partition_implILS5_2ELb0ES3_jN6thrust23THRUST_200600_302600_NS6detail15normal_iteratorINSA_7pointerIxNSA_11hip_rocprim3tagENSA_11use_defaultESG_EEEEPS6_NSA_18transform_iteratorINSA_8identityIxEENSC_INSA_10device_ptrIxEEEESG_SG_EENS0_5tupleIJPxSJ_EEENSR_IJSJ_SJ_EEES6_PlJS6_EEE10hipError_tPvRmT3_T4_T5_T6_T7_T9_mT8_P12ihipStream_tbDpT10_ENKUlT_T0_E_clISt17integral_constantIbLb0EES1E_IbLb1EEEEDaS1A_S1B_EUlS1A_E_NS1_11comp_targetILNS1_3genE8ELNS1_11target_archE1030ELNS1_3gpuE2ELNS1_3repE0EEENS1_30default_config_static_selectorELNS0_4arch9wavefront6targetE1EEEvT1_.kd
    .uniform_work_group_size: 1
    .uses_dynamic_stack: false
    .vgpr_count:     0
    .vgpr_spill_count: 0
    .wavefront_size: 64
  - .agpr_count:     0
    .args:
      - .offset:         0
        .size:           128
        .value_kind:     by_value
    .group_segment_fixed_size: 0
    .kernarg_segment_align: 8
    .kernarg_segment_size: 128
    .language:       OpenCL C
    .language_version:
      - 2
      - 0
    .max_flat_workgroup_size: 128
    .name:           _ZN7rocprim17ROCPRIM_400000_NS6detail17trampoline_kernelINS0_14default_configENS1_25partition_config_selectorILNS1_17partition_subalgoE2EiNS0_10empty_typeEbEEZZNS1_14partition_implILS5_2ELb0ES3_jN6thrust23THRUST_200600_302600_NS6detail15normal_iteratorINSA_7pointerIiNSA_11hip_rocprim3tagENSA_11use_defaultESG_EEEEPS6_NSA_18transform_iteratorINSA_8identityIiEENSC_INSA_10device_ptrIiEEEESG_SG_EENS0_5tupleIJPiSJ_EEENSR_IJSJ_SJ_EEES6_PlJS6_EEE10hipError_tPvRmT3_T4_T5_T6_T7_T9_mT8_P12ihipStream_tbDpT10_ENKUlT_T0_E_clISt17integral_constantIbLb0EES1F_EEDaS1A_S1B_EUlS1A_E_NS1_11comp_targetILNS1_3genE0ELNS1_11target_archE4294967295ELNS1_3gpuE0ELNS1_3repE0EEENS1_30default_config_static_selectorELNS0_4arch9wavefront6targetE1EEEvT1_
    .private_segment_fixed_size: 0
    .sgpr_count:     4
    .sgpr_spill_count: 0
    .symbol:         _ZN7rocprim17ROCPRIM_400000_NS6detail17trampoline_kernelINS0_14default_configENS1_25partition_config_selectorILNS1_17partition_subalgoE2EiNS0_10empty_typeEbEEZZNS1_14partition_implILS5_2ELb0ES3_jN6thrust23THRUST_200600_302600_NS6detail15normal_iteratorINSA_7pointerIiNSA_11hip_rocprim3tagENSA_11use_defaultESG_EEEEPS6_NSA_18transform_iteratorINSA_8identityIiEENSC_INSA_10device_ptrIiEEEESG_SG_EENS0_5tupleIJPiSJ_EEENSR_IJSJ_SJ_EEES6_PlJS6_EEE10hipError_tPvRmT3_T4_T5_T6_T7_T9_mT8_P12ihipStream_tbDpT10_ENKUlT_T0_E_clISt17integral_constantIbLb0EES1F_EEDaS1A_S1B_EUlS1A_E_NS1_11comp_targetILNS1_3genE0ELNS1_11target_archE4294967295ELNS1_3gpuE0ELNS1_3repE0EEENS1_30default_config_static_selectorELNS0_4arch9wavefront6targetE1EEEvT1_.kd
    .uniform_work_group_size: 1
    .uses_dynamic_stack: false
    .vgpr_count:     0
    .vgpr_spill_count: 0
    .wavefront_size: 64
  - .agpr_count:     0
    .args:
      - .offset:         0
        .size:           128
        .value_kind:     by_value
    .group_segment_fixed_size: 0
    .kernarg_segment_align: 8
    .kernarg_segment_size: 128
    .language:       OpenCL C
    .language_version:
      - 2
      - 0
    .max_flat_workgroup_size: 512
    .name:           _ZN7rocprim17ROCPRIM_400000_NS6detail17trampoline_kernelINS0_14default_configENS1_25partition_config_selectorILNS1_17partition_subalgoE2EiNS0_10empty_typeEbEEZZNS1_14partition_implILS5_2ELb0ES3_jN6thrust23THRUST_200600_302600_NS6detail15normal_iteratorINSA_7pointerIiNSA_11hip_rocprim3tagENSA_11use_defaultESG_EEEEPS6_NSA_18transform_iteratorINSA_8identityIiEENSC_INSA_10device_ptrIiEEEESG_SG_EENS0_5tupleIJPiSJ_EEENSR_IJSJ_SJ_EEES6_PlJS6_EEE10hipError_tPvRmT3_T4_T5_T6_T7_T9_mT8_P12ihipStream_tbDpT10_ENKUlT_T0_E_clISt17integral_constantIbLb0EES1F_EEDaS1A_S1B_EUlS1A_E_NS1_11comp_targetILNS1_3genE5ELNS1_11target_archE942ELNS1_3gpuE9ELNS1_3repE0EEENS1_30default_config_static_selectorELNS0_4arch9wavefront6targetE1EEEvT1_
    .private_segment_fixed_size: 0
    .sgpr_count:     4
    .sgpr_spill_count: 0
    .symbol:         _ZN7rocprim17ROCPRIM_400000_NS6detail17trampoline_kernelINS0_14default_configENS1_25partition_config_selectorILNS1_17partition_subalgoE2EiNS0_10empty_typeEbEEZZNS1_14partition_implILS5_2ELb0ES3_jN6thrust23THRUST_200600_302600_NS6detail15normal_iteratorINSA_7pointerIiNSA_11hip_rocprim3tagENSA_11use_defaultESG_EEEEPS6_NSA_18transform_iteratorINSA_8identityIiEENSC_INSA_10device_ptrIiEEEESG_SG_EENS0_5tupleIJPiSJ_EEENSR_IJSJ_SJ_EEES6_PlJS6_EEE10hipError_tPvRmT3_T4_T5_T6_T7_T9_mT8_P12ihipStream_tbDpT10_ENKUlT_T0_E_clISt17integral_constantIbLb0EES1F_EEDaS1A_S1B_EUlS1A_E_NS1_11comp_targetILNS1_3genE5ELNS1_11target_archE942ELNS1_3gpuE9ELNS1_3repE0EEENS1_30default_config_static_selectorELNS0_4arch9wavefront6targetE1EEEvT1_.kd
    .uniform_work_group_size: 1
    .uses_dynamic_stack: false
    .vgpr_count:     0
    .vgpr_spill_count: 0
    .wavefront_size: 64
  - .agpr_count:     0
    .args:
      - .offset:         0
        .size:           128
        .value_kind:     by_value
    .group_segment_fixed_size: 10248
    .kernarg_segment_align: 8
    .kernarg_segment_size: 128
    .language:       OpenCL C
    .language_version:
      - 2
      - 0
    .max_flat_workgroup_size: 256
    .name:           _ZN7rocprim17ROCPRIM_400000_NS6detail17trampoline_kernelINS0_14default_configENS1_25partition_config_selectorILNS1_17partition_subalgoE2EiNS0_10empty_typeEbEEZZNS1_14partition_implILS5_2ELb0ES3_jN6thrust23THRUST_200600_302600_NS6detail15normal_iteratorINSA_7pointerIiNSA_11hip_rocprim3tagENSA_11use_defaultESG_EEEEPS6_NSA_18transform_iteratorINSA_8identityIiEENSC_INSA_10device_ptrIiEEEESG_SG_EENS0_5tupleIJPiSJ_EEENSR_IJSJ_SJ_EEES6_PlJS6_EEE10hipError_tPvRmT3_T4_T5_T6_T7_T9_mT8_P12ihipStream_tbDpT10_ENKUlT_T0_E_clISt17integral_constantIbLb0EES1F_EEDaS1A_S1B_EUlS1A_E_NS1_11comp_targetILNS1_3genE4ELNS1_11target_archE910ELNS1_3gpuE8ELNS1_3repE0EEENS1_30default_config_static_selectorELNS0_4arch9wavefront6targetE1EEEvT1_
    .private_segment_fixed_size: 0
    .sgpr_count:     50
    .sgpr_spill_count: 0
    .symbol:         _ZN7rocprim17ROCPRIM_400000_NS6detail17trampoline_kernelINS0_14default_configENS1_25partition_config_selectorILNS1_17partition_subalgoE2EiNS0_10empty_typeEbEEZZNS1_14partition_implILS5_2ELb0ES3_jN6thrust23THRUST_200600_302600_NS6detail15normal_iteratorINSA_7pointerIiNSA_11hip_rocprim3tagENSA_11use_defaultESG_EEEEPS6_NSA_18transform_iteratorINSA_8identityIiEENSC_INSA_10device_ptrIiEEEESG_SG_EENS0_5tupleIJPiSJ_EEENSR_IJSJ_SJ_EEES6_PlJS6_EEE10hipError_tPvRmT3_T4_T5_T6_T7_T9_mT8_P12ihipStream_tbDpT10_ENKUlT_T0_E_clISt17integral_constantIbLb0EES1F_EEDaS1A_S1B_EUlS1A_E_NS1_11comp_targetILNS1_3genE4ELNS1_11target_archE910ELNS1_3gpuE8ELNS1_3repE0EEENS1_30default_config_static_selectorELNS0_4arch9wavefront6targetE1EEEvT1_.kd
    .uniform_work_group_size: 1
    .uses_dynamic_stack: false
    .vgpr_count:     54
    .vgpr_spill_count: 0
    .wavefront_size: 64
  - .agpr_count:     0
    .args:
      - .offset:         0
        .size:           128
        .value_kind:     by_value
    .group_segment_fixed_size: 0
    .kernarg_segment_align: 8
    .kernarg_segment_size: 128
    .language:       OpenCL C
    .language_version:
      - 2
      - 0
    .max_flat_workgroup_size: 128
    .name:           _ZN7rocprim17ROCPRIM_400000_NS6detail17trampoline_kernelINS0_14default_configENS1_25partition_config_selectorILNS1_17partition_subalgoE2EiNS0_10empty_typeEbEEZZNS1_14partition_implILS5_2ELb0ES3_jN6thrust23THRUST_200600_302600_NS6detail15normal_iteratorINSA_7pointerIiNSA_11hip_rocprim3tagENSA_11use_defaultESG_EEEEPS6_NSA_18transform_iteratorINSA_8identityIiEENSC_INSA_10device_ptrIiEEEESG_SG_EENS0_5tupleIJPiSJ_EEENSR_IJSJ_SJ_EEES6_PlJS6_EEE10hipError_tPvRmT3_T4_T5_T6_T7_T9_mT8_P12ihipStream_tbDpT10_ENKUlT_T0_E_clISt17integral_constantIbLb0EES1F_EEDaS1A_S1B_EUlS1A_E_NS1_11comp_targetILNS1_3genE3ELNS1_11target_archE908ELNS1_3gpuE7ELNS1_3repE0EEENS1_30default_config_static_selectorELNS0_4arch9wavefront6targetE1EEEvT1_
    .private_segment_fixed_size: 0
    .sgpr_count:     4
    .sgpr_spill_count: 0
    .symbol:         _ZN7rocprim17ROCPRIM_400000_NS6detail17trampoline_kernelINS0_14default_configENS1_25partition_config_selectorILNS1_17partition_subalgoE2EiNS0_10empty_typeEbEEZZNS1_14partition_implILS5_2ELb0ES3_jN6thrust23THRUST_200600_302600_NS6detail15normal_iteratorINSA_7pointerIiNSA_11hip_rocprim3tagENSA_11use_defaultESG_EEEEPS6_NSA_18transform_iteratorINSA_8identityIiEENSC_INSA_10device_ptrIiEEEESG_SG_EENS0_5tupleIJPiSJ_EEENSR_IJSJ_SJ_EEES6_PlJS6_EEE10hipError_tPvRmT3_T4_T5_T6_T7_T9_mT8_P12ihipStream_tbDpT10_ENKUlT_T0_E_clISt17integral_constantIbLb0EES1F_EEDaS1A_S1B_EUlS1A_E_NS1_11comp_targetILNS1_3genE3ELNS1_11target_archE908ELNS1_3gpuE7ELNS1_3repE0EEENS1_30default_config_static_selectorELNS0_4arch9wavefront6targetE1EEEvT1_.kd
    .uniform_work_group_size: 1
    .uses_dynamic_stack: false
    .vgpr_count:     0
    .vgpr_spill_count: 0
    .wavefront_size: 64
  - .agpr_count:     0
    .args:
      - .offset:         0
        .size:           128
        .value_kind:     by_value
    .group_segment_fixed_size: 0
    .kernarg_segment_align: 8
    .kernarg_segment_size: 128
    .language:       OpenCL C
    .language_version:
      - 2
      - 0
    .max_flat_workgroup_size: 256
    .name:           _ZN7rocprim17ROCPRIM_400000_NS6detail17trampoline_kernelINS0_14default_configENS1_25partition_config_selectorILNS1_17partition_subalgoE2EiNS0_10empty_typeEbEEZZNS1_14partition_implILS5_2ELb0ES3_jN6thrust23THRUST_200600_302600_NS6detail15normal_iteratorINSA_7pointerIiNSA_11hip_rocprim3tagENSA_11use_defaultESG_EEEEPS6_NSA_18transform_iteratorINSA_8identityIiEENSC_INSA_10device_ptrIiEEEESG_SG_EENS0_5tupleIJPiSJ_EEENSR_IJSJ_SJ_EEES6_PlJS6_EEE10hipError_tPvRmT3_T4_T5_T6_T7_T9_mT8_P12ihipStream_tbDpT10_ENKUlT_T0_E_clISt17integral_constantIbLb0EES1F_EEDaS1A_S1B_EUlS1A_E_NS1_11comp_targetILNS1_3genE2ELNS1_11target_archE906ELNS1_3gpuE6ELNS1_3repE0EEENS1_30default_config_static_selectorELNS0_4arch9wavefront6targetE1EEEvT1_
    .private_segment_fixed_size: 0
    .sgpr_count:     4
    .sgpr_spill_count: 0
    .symbol:         _ZN7rocprim17ROCPRIM_400000_NS6detail17trampoline_kernelINS0_14default_configENS1_25partition_config_selectorILNS1_17partition_subalgoE2EiNS0_10empty_typeEbEEZZNS1_14partition_implILS5_2ELb0ES3_jN6thrust23THRUST_200600_302600_NS6detail15normal_iteratorINSA_7pointerIiNSA_11hip_rocprim3tagENSA_11use_defaultESG_EEEEPS6_NSA_18transform_iteratorINSA_8identityIiEENSC_INSA_10device_ptrIiEEEESG_SG_EENS0_5tupleIJPiSJ_EEENSR_IJSJ_SJ_EEES6_PlJS6_EEE10hipError_tPvRmT3_T4_T5_T6_T7_T9_mT8_P12ihipStream_tbDpT10_ENKUlT_T0_E_clISt17integral_constantIbLb0EES1F_EEDaS1A_S1B_EUlS1A_E_NS1_11comp_targetILNS1_3genE2ELNS1_11target_archE906ELNS1_3gpuE6ELNS1_3repE0EEENS1_30default_config_static_selectorELNS0_4arch9wavefront6targetE1EEEvT1_.kd
    .uniform_work_group_size: 1
    .uses_dynamic_stack: false
    .vgpr_count:     0
    .vgpr_spill_count: 0
    .wavefront_size: 64
  - .agpr_count:     0
    .args:
      - .offset:         0
        .size:           128
        .value_kind:     by_value
    .group_segment_fixed_size: 0
    .kernarg_segment_align: 8
    .kernarg_segment_size: 128
    .language:       OpenCL C
    .language_version:
      - 2
      - 0
    .max_flat_workgroup_size: 384
    .name:           _ZN7rocprim17ROCPRIM_400000_NS6detail17trampoline_kernelINS0_14default_configENS1_25partition_config_selectorILNS1_17partition_subalgoE2EiNS0_10empty_typeEbEEZZNS1_14partition_implILS5_2ELb0ES3_jN6thrust23THRUST_200600_302600_NS6detail15normal_iteratorINSA_7pointerIiNSA_11hip_rocprim3tagENSA_11use_defaultESG_EEEEPS6_NSA_18transform_iteratorINSA_8identityIiEENSC_INSA_10device_ptrIiEEEESG_SG_EENS0_5tupleIJPiSJ_EEENSR_IJSJ_SJ_EEES6_PlJS6_EEE10hipError_tPvRmT3_T4_T5_T6_T7_T9_mT8_P12ihipStream_tbDpT10_ENKUlT_T0_E_clISt17integral_constantIbLb0EES1F_EEDaS1A_S1B_EUlS1A_E_NS1_11comp_targetILNS1_3genE10ELNS1_11target_archE1200ELNS1_3gpuE4ELNS1_3repE0EEENS1_30default_config_static_selectorELNS0_4arch9wavefront6targetE1EEEvT1_
    .private_segment_fixed_size: 0
    .sgpr_count:     4
    .sgpr_spill_count: 0
    .symbol:         _ZN7rocprim17ROCPRIM_400000_NS6detail17trampoline_kernelINS0_14default_configENS1_25partition_config_selectorILNS1_17partition_subalgoE2EiNS0_10empty_typeEbEEZZNS1_14partition_implILS5_2ELb0ES3_jN6thrust23THRUST_200600_302600_NS6detail15normal_iteratorINSA_7pointerIiNSA_11hip_rocprim3tagENSA_11use_defaultESG_EEEEPS6_NSA_18transform_iteratorINSA_8identityIiEENSC_INSA_10device_ptrIiEEEESG_SG_EENS0_5tupleIJPiSJ_EEENSR_IJSJ_SJ_EEES6_PlJS6_EEE10hipError_tPvRmT3_T4_T5_T6_T7_T9_mT8_P12ihipStream_tbDpT10_ENKUlT_T0_E_clISt17integral_constantIbLb0EES1F_EEDaS1A_S1B_EUlS1A_E_NS1_11comp_targetILNS1_3genE10ELNS1_11target_archE1200ELNS1_3gpuE4ELNS1_3repE0EEENS1_30default_config_static_selectorELNS0_4arch9wavefront6targetE1EEEvT1_.kd
    .uniform_work_group_size: 1
    .uses_dynamic_stack: false
    .vgpr_count:     0
    .vgpr_spill_count: 0
    .wavefront_size: 64
  - .agpr_count:     0
    .args:
      - .offset:         0
        .size:           128
        .value_kind:     by_value
    .group_segment_fixed_size: 0
    .kernarg_segment_align: 8
    .kernarg_segment_size: 128
    .language:       OpenCL C
    .language_version:
      - 2
      - 0
    .max_flat_workgroup_size: 128
    .name:           _ZN7rocprim17ROCPRIM_400000_NS6detail17trampoline_kernelINS0_14default_configENS1_25partition_config_selectorILNS1_17partition_subalgoE2EiNS0_10empty_typeEbEEZZNS1_14partition_implILS5_2ELb0ES3_jN6thrust23THRUST_200600_302600_NS6detail15normal_iteratorINSA_7pointerIiNSA_11hip_rocprim3tagENSA_11use_defaultESG_EEEEPS6_NSA_18transform_iteratorINSA_8identityIiEENSC_INSA_10device_ptrIiEEEESG_SG_EENS0_5tupleIJPiSJ_EEENSR_IJSJ_SJ_EEES6_PlJS6_EEE10hipError_tPvRmT3_T4_T5_T6_T7_T9_mT8_P12ihipStream_tbDpT10_ENKUlT_T0_E_clISt17integral_constantIbLb0EES1F_EEDaS1A_S1B_EUlS1A_E_NS1_11comp_targetILNS1_3genE9ELNS1_11target_archE1100ELNS1_3gpuE3ELNS1_3repE0EEENS1_30default_config_static_selectorELNS0_4arch9wavefront6targetE1EEEvT1_
    .private_segment_fixed_size: 0
    .sgpr_count:     4
    .sgpr_spill_count: 0
    .symbol:         _ZN7rocprim17ROCPRIM_400000_NS6detail17trampoline_kernelINS0_14default_configENS1_25partition_config_selectorILNS1_17partition_subalgoE2EiNS0_10empty_typeEbEEZZNS1_14partition_implILS5_2ELb0ES3_jN6thrust23THRUST_200600_302600_NS6detail15normal_iteratorINSA_7pointerIiNSA_11hip_rocprim3tagENSA_11use_defaultESG_EEEEPS6_NSA_18transform_iteratorINSA_8identityIiEENSC_INSA_10device_ptrIiEEEESG_SG_EENS0_5tupleIJPiSJ_EEENSR_IJSJ_SJ_EEES6_PlJS6_EEE10hipError_tPvRmT3_T4_T5_T6_T7_T9_mT8_P12ihipStream_tbDpT10_ENKUlT_T0_E_clISt17integral_constantIbLb0EES1F_EEDaS1A_S1B_EUlS1A_E_NS1_11comp_targetILNS1_3genE9ELNS1_11target_archE1100ELNS1_3gpuE3ELNS1_3repE0EEENS1_30default_config_static_selectorELNS0_4arch9wavefront6targetE1EEEvT1_.kd
    .uniform_work_group_size: 1
    .uses_dynamic_stack: false
    .vgpr_count:     0
    .vgpr_spill_count: 0
    .wavefront_size: 64
  - .agpr_count:     0
    .args:
      - .offset:         0
        .size:           128
        .value_kind:     by_value
    .group_segment_fixed_size: 0
    .kernarg_segment_align: 8
    .kernarg_segment_size: 128
    .language:       OpenCL C
    .language_version:
      - 2
      - 0
    .max_flat_workgroup_size: 512
    .name:           _ZN7rocprim17ROCPRIM_400000_NS6detail17trampoline_kernelINS0_14default_configENS1_25partition_config_selectorILNS1_17partition_subalgoE2EiNS0_10empty_typeEbEEZZNS1_14partition_implILS5_2ELb0ES3_jN6thrust23THRUST_200600_302600_NS6detail15normal_iteratorINSA_7pointerIiNSA_11hip_rocprim3tagENSA_11use_defaultESG_EEEEPS6_NSA_18transform_iteratorINSA_8identityIiEENSC_INSA_10device_ptrIiEEEESG_SG_EENS0_5tupleIJPiSJ_EEENSR_IJSJ_SJ_EEES6_PlJS6_EEE10hipError_tPvRmT3_T4_T5_T6_T7_T9_mT8_P12ihipStream_tbDpT10_ENKUlT_T0_E_clISt17integral_constantIbLb0EES1F_EEDaS1A_S1B_EUlS1A_E_NS1_11comp_targetILNS1_3genE8ELNS1_11target_archE1030ELNS1_3gpuE2ELNS1_3repE0EEENS1_30default_config_static_selectorELNS0_4arch9wavefront6targetE1EEEvT1_
    .private_segment_fixed_size: 0
    .sgpr_count:     4
    .sgpr_spill_count: 0
    .symbol:         _ZN7rocprim17ROCPRIM_400000_NS6detail17trampoline_kernelINS0_14default_configENS1_25partition_config_selectorILNS1_17partition_subalgoE2EiNS0_10empty_typeEbEEZZNS1_14partition_implILS5_2ELb0ES3_jN6thrust23THRUST_200600_302600_NS6detail15normal_iteratorINSA_7pointerIiNSA_11hip_rocprim3tagENSA_11use_defaultESG_EEEEPS6_NSA_18transform_iteratorINSA_8identityIiEENSC_INSA_10device_ptrIiEEEESG_SG_EENS0_5tupleIJPiSJ_EEENSR_IJSJ_SJ_EEES6_PlJS6_EEE10hipError_tPvRmT3_T4_T5_T6_T7_T9_mT8_P12ihipStream_tbDpT10_ENKUlT_T0_E_clISt17integral_constantIbLb0EES1F_EEDaS1A_S1B_EUlS1A_E_NS1_11comp_targetILNS1_3genE8ELNS1_11target_archE1030ELNS1_3gpuE2ELNS1_3repE0EEENS1_30default_config_static_selectorELNS0_4arch9wavefront6targetE1EEEvT1_.kd
    .uniform_work_group_size: 1
    .uses_dynamic_stack: false
    .vgpr_count:     0
    .vgpr_spill_count: 0
    .wavefront_size: 64
  - .agpr_count:     0
    .args:
      - .offset:         0
        .size:           144
        .value_kind:     by_value
    .group_segment_fixed_size: 0
    .kernarg_segment_align: 8
    .kernarg_segment_size: 144
    .language:       OpenCL C
    .language_version:
      - 2
      - 0
    .max_flat_workgroup_size: 128
    .name:           _ZN7rocprim17ROCPRIM_400000_NS6detail17trampoline_kernelINS0_14default_configENS1_25partition_config_selectorILNS1_17partition_subalgoE2EiNS0_10empty_typeEbEEZZNS1_14partition_implILS5_2ELb0ES3_jN6thrust23THRUST_200600_302600_NS6detail15normal_iteratorINSA_7pointerIiNSA_11hip_rocprim3tagENSA_11use_defaultESG_EEEEPS6_NSA_18transform_iteratorINSA_8identityIiEENSC_INSA_10device_ptrIiEEEESG_SG_EENS0_5tupleIJPiSJ_EEENSR_IJSJ_SJ_EEES6_PlJS6_EEE10hipError_tPvRmT3_T4_T5_T6_T7_T9_mT8_P12ihipStream_tbDpT10_ENKUlT_T0_E_clISt17integral_constantIbLb1EES1F_EEDaS1A_S1B_EUlS1A_E_NS1_11comp_targetILNS1_3genE0ELNS1_11target_archE4294967295ELNS1_3gpuE0ELNS1_3repE0EEENS1_30default_config_static_selectorELNS0_4arch9wavefront6targetE1EEEvT1_
    .private_segment_fixed_size: 0
    .sgpr_count:     4
    .sgpr_spill_count: 0
    .symbol:         _ZN7rocprim17ROCPRIM_400000_NS6detail17trampoline_kernelINS0_14default_configENS1_25partition_config_selectorILNS1_17partition_subalgoE2EiNS0_10empty_typeEbEEZZNS1_14partition_implILS5_2ELb0ES3_jN6thrust23THRUST_200600_302600_NS6detail15normal_iteratorINSA_7pointerIiNSA_11hip_rocprim3tagENSA_11use_defaultESG_EEEEPS6_NSA_18transform_iteratorINSA_8identityIiEENSC_INSA_10device_ptrIiEEEESG_SG_EENS0_5tupleIJPiSJ_EEENSR_IJSJ_SJ_EEES6_PlJS6_EEE10hipError_tPvRmT3_T4_T5_T6_T7_T9_mT8_P12ihipStream_tbDpT10_ENKUlT_T0_E_clISt17integral_constantIbLb1EES1F_EEDaS1A_S1B_EUlS1A_E_NS1_11comp_targetILNS1_3genE0ELNS1_11target_archE4294967295ELNS1_3gpuE0ELNS1_3repE0EEENS1_30default_config_static_selectorELNS0_4arch9wavefront6targetE1EEEvT1_.kd
    .uniform_work_group_size: 1
    .uses_dynamic_stack: false
    .vgpr_count:     0
    .vgpr_spill_count: 0
    .wavefront_size: 64
  - .agpr_count:     0
    .args:
      - .offset:         0
        .size:           144
        .value_kind:     by_value
    .group_segment_fixed_size: 0
    .kernarg_segment_align: 8
    .kernarg_segment_size: 144
    .language:       OpenCL C
    .language_version:
      - 2
      - 0
    .max_flat_workgroup_size: 512
    .name:           _ZN7rocprim17ROCPRIM_400000_NS6detail17trampoline_kernelINS0_14default_configENS1_25partition_config_selectorILNS1_17partition_subalgoE2EiNS0_10empty_typeEbEEZZNS1_14partition_implILS5_2ELb0ES3_jN6thrust23THRUST_200600_302600_NS6detail15normal_iteratorINSA_7pointerIiNSA_11hip_rocprim3tagENSA_11use_defaultESG_EEEEPS6_NSA_18transform_iteratorINSA_8identityIiEENSC_INSA_10device_ptrIiEEEESG_SG_EENS0_5tupleIJPiSJ_EEENSR_IJSJ_SJ_EEES6_PlJS6_EEE10hipError_tPvRmT3_T4_T5_T6_T7_T9_mT8_P12ihipStream_tbDpT10_ENKUlT_T0_E_clISt17integral_constantIbLb1EES1F_EEDaS1A_S1B_EUlS1A_E_NS1_11comp_targetILNS1_3genE5ELNS1_11target_archE942ELNS1_3gpuE9ELNS1_3repE0EEENS1_30default_config_static_selectorELNS0_4arch9wavefront6targetE1EEEvT1_
    .private_segment_fixed_size: 0
    .sgpr_count:     4
    .sgpr_spill_count: 0
    .symbol:         _ZN7rocprim17ROCPRIM_400000_NS6detail17trampoline_kernelINS0_14default_configENS1_25partition_config_selectorILNS1_17partition_subalgoE2EiNS0_10empty_typeEbEEZZNS1_14partition_implILS5_2ELb0ES3_jN6thrust23THRUST_200600_302600_NS6detail15normal_iteratorINSA_7pointerIiNSA_11hip_rocprim3tagENSA_11use_defaultESG_EEEEPS6_NSA_18transform_iteratorINSA_8identityIiEENSC_INSA_10device_ptrIiEEEESG_SG_EENS0_5tupleIJPiSJ_EEENSR_IJSJ_SJ_EEES6_PlJS6_EEE10hipError_tPvRmT3_T4_T5_T6_T7_T9_mT8_P12ihipStream_tbDpT10_ENKUlT_T0_E_clISt17integral_constantIbLb1EES1F_EEDaS1A_S1B_EUlS1A_E_NS1_11comp_targetILNS1_3genE5ELNS1_11target_archE942ELNS1_3gpuE9ELNS1_3repE0EEENS1_30default_config_static_selectorELNS0_4arch9wavefront6targetE1EEEvT1_.kd
    .uniform_work_group_size: 1
    .uses_dynamic_stack: false
    .vgpr_count:     0
    .vgpr_spill_count: 0
    .wavefront_size: 64
  - .agpr_count:     0
    .args:
      - .offset:         0
        .size:           144
        .value_kind:     by_value
    .group_segment_fixed_size: 10248
    .kernarg_segment_align: 8
    .kernarg_segment_size: 144
    .language:       OpenCL C
    .language_version:
      - 2
      - 0
    .max_flat_workgroup_size: 256
    .name:           _ZN7rocprim17ROCPRIM_400000_NS6detail17trampoline_kernelINS0_14default_configENS1_25partition_config_selectorILNS1_17partition_subalgoE2EiNS0_10empty_typeEbEEZZNS1_14partition_implILS5_2ELb0ES3_jN6thrust23THRUST_200600_302600_NS6detail15normal_iteratorINSA_7pointerIiNSA_11hip_rocprim3tagENSA_11use_defaultESG_EEEEPS6_NSA_18transform_iteratorINSA_8identityIiEENSC_INSA_10device_ptrIiEEEESG_SG_EENS0_5tupleIJPiSJ_EEENSR_IJSJ_SJ_EEES6_PlJS6_EEE10hipError_tPvRmT3_T4_T5_T6_T7_T9_mT8_P12ihipStream_tbDpT10_ENKUlT_T0_E_clISt17integral_constantIbLb1EES1F_EEDaS1A_S1B_EUlS1A_E_NS1_11comp_targetILNS1_3genE4ELNS1_11target_archE910ELNS1_3gpuE8ELNS1_3repE0EEENS1_30default_config_static_selectorELNS0_4arch9wavefront6targetE1EEEvT1_
    .private_segment_fixed_size: 0
    .sgpr_count:     50
    .sgpr_spill_count: 0
    .symbol:         _ZN7rocprim17ROCPRIM_400000_NS6detail17trampoline_kernelINS0_14default_configENS1_25partition_config_selectorILNS1_17partition_subalgoE2EiNS0_10empty_typeEbEEZZNS1_14partition_implILS5_2ELb0ES3_jN6thrust23THRUST_200600_302600_NS6detail15normal_iteratorINSA_7pointerIiNSA_11hip_rocprim3tagENSA_11use_defaultESG_EEEEPS6_NSA_18transform_iteratorINSA_8identityIiEENSC_INSA_10device_ptrIiEEEESG_SG_EENS0_5tupleIJPiSJ_EEENSR_IJSJ_SJ_EEES6_PlJS6_EEE10hipError_tPvRmT3_T4_T5_T6_T7_T9_mT8_P12ihipStream_tbDpT10_ENKUlT_T0_E_clISt17integral_constantIbLb1EES1F_EEDaS1A_S1B_EUlS1A_E_NS1_11comp_targetILNS1_3genE4ELNS1_11target_archE910ELNS1_3gpuE8ELNS1_3repE0EEENS1_30default_config_static_selectorELNS0_4arch9wavefront6targetE1EEEvT1_.kd
    .uniform_work_group_size: 1
    .uses_dynamic_stack: false
    .vgpr_count:     56
    .vgpr_spill_count: 0
    .wavefront_size: 64
  - .agpr_count:     0
    .args:
      - .offset:         0
        .size:           144
        .value_kind:     by_value
    .group_segment_fixed_size: 0
    .kernarg_segment_align: 8
    .kernarg_segment_size: 144
    .language:       OpenCL C
    .language_version:
      - 2
      - 0
    .max_flat_workgroup_size: 128
    .name:           _ZN7rocprim17ROCPRIM_400000_NS6detail17trampoline_kernelINS0_14default_configENS1_25partition_config_selectorILNS1_17partition_subalgoE2EiNS0_10empty_typeEbEEZZNS1_14partition_implILS5_2ELb0ES3_jN6thrust23THRUST_200600_302600_NS6detail15normal_iteratorINSA_7pointerIiNSA_11hip_rocprim3tagENSA_11use_defaultESG_EEEEPS6_NSA_18transform_iteratorINSA_8identityIiEENSC_INSA_10device_ptrIiEEEESG_SG_EENS0_5tupleIJPiSJ_EEENSR_IJSJ_SJ_EEES6_PlJS6_EEE10hipError_tPvRmT3_T4_T5_T6_T7_T9_mT8_P12ihipStream_tbDpT10_ENKUlT_T0_E_clISt17integral_constantIbLb1EES1F_EEDaS1A_S1B_EUlS1A_E_NS1_11comp_targetILNS1_3genE3ELNS1_11target_archE908ELNS1_3gpuE7ELNS1_3repE0EEENS1_30default_config_static_selectorELNS0_4arch9wavefront6targetE1EEEvT1_
    .private_segment_fixed_size: 0
    .sgpr_count:     4
    .sgpr_spill_count: 0
    .symbol:         _ZN7rocprim17ROCPRIM_400000_NS6detail17trampoline_kernelINS0_14default_configENS1_25partition_config_selectorILNS1_17partition_subalgoE2EiNS0_10empty_typeEbEEZZNS1_14partition_implILS5_2ELb0ES3_jN6thrust23THRUST_200600_302600_NS6detail15normal_iteratorINSA_7pointerIiNSA_11hip_rocprim3tagENSA_11use_defaultESG_EEEEPS6_NSA_18transform_iteratorINSA_8identityIiEENSC_INSA_10device_ptrIiEEEESG_SG_EENS0_5tupleIJPiSJ_EEENSR_IJSJ_SJ_EEES6_PlJS6_EEE10hipError_tPvRmT3_T4_T5_T6_T7_T9_mT8_P12ihipStream_tbDpT10_ENKUlT_T0_E_clISt17integral_constantIbLb1EES1F_EEDaS1A_S1B_EUlS1A_E_NS1_11comp_targetILNS1_3genE3ELNS1_11target_archE908ELNS1_3gpuE7ELNS1_3repE0EEENS1_30default_config_static_selectorELNS0_4arch9wavefront6targetE1EEEvT1_.kd
    .uniform_work_group_size: 1
    .uses_dynamic_stack: false
    .vgpr_count:     0
    .vgpr_spill_count: 0
    .wavefront_size: 64
  - .agpr_count:     0
    .args:
      - .offset:         0
        .size:           144
        .value_kind:     by_value
    .group_segment_fixed_size: 0
    .kernarg_segment_align: 8
    .kernarg_segment_size: 144
    .language:       OpenCL C
    .language_version:
      - 2
      - 0
    .max_flat_workgroup_size: 256
    .name:           _ZN7rocprim17ROCPRIM_400000_NS6detail17trampoline_kernelINS0_14default_configENS1_25partition_config_selectorILNS1_17partition_subalgoE2EiNS0_10empty_typeEbEEZZNS1_14partition_implILS5_2ELb0ES3_jN6thrust23THRUST_200600_302600_NS6detail15normal_iteratorINSA_7pointerIiNSA_11hip_rocprim3tagENSA_11use_defaultESG_EEEEPS6_NSA_18transform_iteratorINSA_8identityIiEENSC_INSA_10device_ptrIiEEEESG_SG_EENS0_5tupleIJPiSJ_EEENSR_IJSJ_SJ_EEES6_PlJS6_EEE10hipError_tPvRmT3_T4_T5_T6_T7_T9_mT8_P12ihipStream_tbDpT10_ENKUlT_T0_E_clISt17integral_constantIbLb1EES1F_EEDaS1A_S1B_EUlS1A_E_NS1_11comp_targetILNS1_3genE2ELNS1_11target_archE906ELNS1_3gpuE6ELNS1_3repE0EEENS1_30default_config_static_selectorELNS0_4arch9wavefront6targetE1EEEvT1_
    .private_segment_fixed_size: 0
    .sgpr_count:     4
    .sgpr_spill_count: 0
    .symbol:         _ZN7rocprim17ROCPRIM_400000_NS6detail17trampoline_kernelINS0_14default_configENS1_25partition_config_selectorILNS1_17partition_subalgoE2EiNS0_10empty_typeEbEEZZNS1_14partition_implILS5_2ELb0ES3_jN6thrust23THRUST_200600_302600_NS6detail15normal_iteratorINSA_7pointerIiNSA_11hip_rocprim3tagENSA_11use_defaultESG_EEEEPS6_NSA_18transform_iteratorINSA_8identityIiEENSC_INSA_10device_ptrIiEEEESG_SG_EENS0_5tupleIJPiSJ_EEENSR_IJSJ_SJ_EEES6_PlJS6_EEE10hipError_tPvRmT3_T4_T5_T6_T7_T9_mT8_P12ihipStream_tbDpT10_ENKUlT_T0_E_clISt17integral_constantIbLb1EES1F_EEDaS1A_S1B_EUlS1A_E_NS1_11comp_targetILNS1_3genE2ELNS1_11target_archE906ELNS1_3gpuE6ELNS1_3repE0EEENS1_30default_config_static_selectorELNS0_4arch9wavefront6targetE1EEEvT1_.kd
    .uniform_work_group_size: 1
    .uses_dynamic_stack: false
    .vgpr_count:     0
    .vgpr_spill_count: 0
    .wavefront_size: 64
  - .agpr_count:     0
    .args:
      - .offset:         0
        .size:           144
        .value_kind:     by_value
    .group_segment_fixed_size: 0
    .kernarg_segment_align: 8
    .kernarg_segment_size: 144
    .language:       OpenCL C
    .language_version:
      - 2
      - 0
    .max_flat_workgroup_size: 384
    .name:           _ZN7rocprim17ROCPRIM_400000_NS6detail17trampoline_kernelINS0_14default_configENS1_25partition_config_selectorILNS1_17partition_subalgoE2EiNS0_10empty_typeEbEEZZNS1_14partition_implILS5_2ELb0ES3_jN6thrust23THRUST_200600_302600_NS6detail15normal_iteratorINSA_7pointerIiNSA_11hip_rocprim3tagENSA_11use_defaultESG_EEEEPS6_NSA_18transform_iteratorINSA_8identityIiEENSC_INSA_10device_ptrIiEEEESG_SG_EENS0_5tupleIJPiSJ_EEENSR_IJSJ_SJ_EEES6_PlJS6_EEE10hipError_tPvRmT3_T4_T5_T6_T7_T9_mT8_P12ihipStream_tbDpT10_ENKUlT_T0_E_clISt17integral_constantIbLb1EES1F_EEDaS1A_S1B_EUlS1A_E_NS1_11comp_targetILNS1_3genE10ELNS1_11target_archE1200ELNS1_3gpuE4ELNS1_3repE0EEENS1_30default_config_static_selectorELNS0_4arch9wavefront6targetE1EEEvT1_
    .private_segment_fixed_size: 0
    .sgpr_count:     4
    .sgpr_spill_count: 0
    .symbol:         _ZN7rocprim17ROCPRIM_400000_NS6detail17trampoline_kernelINS0_14default_configENS1_25partition_config_selectorILNS1_17partition_subalgoE2EiNS0_10empty_typeEbEEZZNS1_14partition_implILS5_2ELb0ES3_jN6thrust23THRUST_200600_302600_NS6detail15normal_iteratorINSA_7pointerIiNSA_11hip_rocprim3tagENSA_11use_defaultESG_EEEEPS6_NSA_18transform_iteratorINSA_8identityIiEENSC_INSA_10device_ptrIiEEEESG_SG_EENS0_5tupleIJPiSJ_EEENSR_IJSJ_SJ_EEES6_PlJS6_EEE10hipError_tPvRmT3_T4_T5_T6_T7_T9_mT8_P12ihipStream_tbDpT10_ENKUlT_T0_E_clISt17integral_constantIbLb1EES1F_EEDaS1A_S1B_EUlS1A_E_NS1_11comp_targetILNS1_3genE10ELNS1_11target_archE1200ELNS1_3gpuE4ELNS1_3repE0EEENS1_30default_config_static_selectorELNS0_4arch9wavefront6targetE1EEEvT1_.kd
    .uniform_work_group_size: 1
    .uses_dynamic_stack: false
    .vgpr_count:     0
    .vgpr_spill_count: 0
    .wavefront_size: 64
  - .agpr_count:     0
    .args:
      - .offset:         0
        .size:           144
        .value_kind:     by_value
    .group_segment_fixed_size: 0
    .kernarg_segment_align: 8
    .kernarg_segment_size: 144
    .language:       OpenCL C
    .language_version:
      - 2
      - 0
    .max_flat_workgroup_size: 128
    .name:           _ZN7rocprim17ROCPRIM_400000_NS6detail17trampoline_kernelINS0_14default_configENS1_25partition_config_selectorILNS1_17partition_subalgoE2EiNS0_10empty_typeEbEEZZNS1_14partition_implILS5_2ELb0ES3_jN6thrust23THRUST_200600_302600_NS6detail15normal_iteratorINSA_7pointerIiNSA_11hip_rocprim3tagENSA_11use_defaultESG_EEEEPS6_NSA_18transform_iteratorINSA_8identityIiEENSC_INSA_10device_ptrIiEEEESG_SG_EENS0_5tupleIJPiSJ_EEENSR_IJSJ_SJ_EEES6_PlJS6_EEE10hipError_tPvRmT3_T4_T5_T6_T7_T9_mT8_P12ihipStream_tbDpT10_ENKUlT_T0_E_clISt17integral_constantIbLb1EES1F_EEDaS1A_S1B_EUlS1A_E_NS1_11comp_targetILNS1_3genE9ELNS1_11target_archE1100ELNS1_3gpuE3ELNS1_3repE0EEENS1_30default_config_static_selectorELNS0_4arch9wavefront6targetE1EEEvT1_
    .private_segment_fixed_size: 0
    .sgpr_count:     4
    .sgpr_spill_count: 0
    .symbol:         _ZN7rocprim17ROCPRIM_400000_NS6detail17trampoline_kernelINS0_14default_configENS1_25partition_config_selectorILNS1_17partition_subalgoE2EiNS0_10empty_typeEbEEZZNS1_14partition_implILS5_2ELb0ES3_jN6thrust23THRUST_200600_302600_NS6detail15normal_iteratorINSA_7pointerIiNSA_11hip_rocprim3tagENSA_11use_defaultESG_EEEEPS6_NSA_18transform_iteratorINSA_8identityIiEENSC_INSA_10device_ptrIiEEEESG_SG_EENS0_5tupleIJPiSJ_EEENSR_IJSJ_SJ_EEES6_PlJS6_EEE10hipError_tPvRmT3_T4_T5_T6_T7_T9_mT8_P12ihipStream_tbDpT10_ENKUlT_T0_E_clISt17integral_constantIbLb1EES1F_EEDaS1A_S1B_EUlS1A_E_NS1_11comp_targetILNS1_3genE9ELNS1_11target_archE1100ELNS1_3gpuE3ELNS1_3repE0EEENS1_30default_config_static_selectorELNS0_4arch9wavefront6targetE1EEEvT1_.kd
    .uniform_work_group_size: 1
    .uses_dynamic_stack: false
    .vgpr_count:     0
    .vgpr_spill_count: 0
    .wavefront_size: 64
  - .agpr_count:     0
    .args:
      - .offset:         0
        .size:           144
        .value_kind:     by_value
    .group_segment_fixed_size: 0
    .kernarg_segment_align: 8
    .kernarg_segment_size: 144
    .language:       OpenCL C
    .language_version:
      - 2
      - 0
    .max_flat_workgroup_size: 512
    .name:           _ZN7rocprim17ROCPRIM_400000_NS6detail17trampoline_kernelINS0_14default_configENS1_25partition_config_selectorILNS1_17partition_subalgoE2EiNS0_10empty_typeEbEEZZNS1_14partition_implILS5_2ELb0ES3_jN6thrust23THRUST_200600_302600_NS6detail15normal_iteratorINSA_7pointerIiNSA_11hip_rocprim3tagENSA_11use_defaultESG_EEEEPS6_NSA_18transform_iteratorINSA_8identityIiEENSC_INSA_10device_ptrIiEEEESG_SG_EENS0_5tupleIJPiSJ_EEENSR_IJSJ_SJ_EEES6_PlJS6_EEE10hipError_tPvRmT3_T4_T5_T6_T7_T9_mT8_P12ihipStream_tbDpT10_ENKUlT_T0_E_clISt17integral_constantIbLb1EES1F_EEDaS1A_S1B_EUlS1A_E_NS1_11comp_targetILNS1_3genE8ELNS1_11target_archE1030ELNS1_3gpuE2ELNS1_3repE0EEENS1_30default_config_static_selectorELNS0_4arch9wavefront6targetE1EEEvT1_
    .private_segment_fixed_size: 0
    .sgpr_count:     4
    .sgpr_spill_count: 0
    .symbol:         _ZN7rocprim17ROCPRIM_400000_NS6detail17trampoline_kernelINS0_14default_configENS1_25partition_config_selectorILNS1_17partition_subalgoE2EiNS0_10empty_typeEbEEZZNS1_14partition_implILS5_2ELb0ES3_jN6thrust23THRUST_200600_302600_NS6detail15normal_iteratorINSA_7pointerIiNSA_11hip_rocprim3tagENSA_11use_defaultESG_EEEEPS6_NSA_18transform_iteratorINSA_8identityIiEENSC_INSA_10device_ptrIiEEEESG_SG_EENS0_5tupleIJPiSJ_EEENSR_IJSJ_SJ_EEES6_PlJS6_EEE10hipError_tPvRmT3_T4_T5_T6_T7_T9_mT8_P12ihipStream_tbDpT10_ENKUlT_T0_E_clISt17integral_constantIbLb1EES1F_EEDaS1A_S1B_EUlS1A_E_NS1_11comp_targetILNS1_3genE8ELNS1_11target_archE1030ELNS1_3gpuE2ELNS1_3repE0EEENS1_30default_config_static_selectorELNS0_4arch9wavefront6targetE1EEEvT1_.kd
    .uniform_work_group_size: 1
    .uses_dynamic_stack: false
    .vgpr_count:     0
    .vgpr_spill_count: 0
    .wavefront_size: 64
  - .agpr_count:     0
    .args:
      - .offset:         0
        .size:           128
        .value_kind:     by_value
    .group_segment_fixed_size: 0
    .kernarg_segment_align: 8
    .kernarg_segment_size: 128
    .language:       OpenCL C
    .language_version:
      - 2
      - 0
    .max_flat_workgroup_size: 128
    .name:           _ZN7rocprim17ROCPRIM_400000_NS6detail17trampoline_kernelINS0_14default_configENS1_25partition_config_selectorILNS1_17partition_subalgoE2EiNS0_10empty_typeEbEEZZNS1_14partition_implILS5_2ELb0ES3_jN6thrust23THRUST_200600_302600_NS6detail15normal_iteratorINSA_7pointerIiNSA_11hip_rocprim3tagENSA_11use_defaultESG_EEEEPS6_NSA_18transform_iteratorINSA_8identityIiEENSC_INSA_10device_ptrIiEEEESG_SG_EENS0_5tupleIJPiSJ_EEENSR_IJSJ_SJ_EEES6_PlJS6_EEE10hipError_tPvRmT3_T4_T5_T6_T7_T9_mT8_P12ihipStream_tbDpT10_ENKUlT_T0_E_clISt17integral_constantIbLb1EES1E_IbLb0EEEEDaS1A_S1B_EUlS1A_E_NS1_11comp_targetILNS1_3genE0ELNS1_11target_archE4294967295ELNS1_3gpuE0ELNS1_3repE0EEENS1_30default_config_static_selectorELNS0_4arch9wavefront6targetE1EEEvT1_
    .private_segment_fixed_size: 0
    .sgpr_count:     4
    .sgpr_spill_count: 0
    .symbol:         _ZN7rocprim17ROCPRIM_400000_NS6detail17trampoline_kernelINS0_14default_configENS1_25partition_config_selectorILNS1_17partition_subalgoE2EiNS0_10empty_typeEbEEZZNS1_14partition_implILS5_2ELb0ES3_jN6thrust23THRUST_200600_302600_NS6detail15normal_iteratorINSA_7pointerIiNSA_11hip_rocprim3tagENSA_11use_defaultESG_EEEEPS6_NSA_18transform_iteratorINSA_8identityIiEENSC_INSA_10device_ptrIiEEEESG_SG_EENS0_5tupleIJPiSJ_EEENSR_IJSJ_SJ_EEES6_PlJS6_EEE10hipError_tPvRmT3_T4_T5_T6_T7_T9_mT8_P12ihipStream_tbDpT10_ENKUlT_T0_E_clISt17integral_constantIbLb1EES1E_IbLb0EEEEDaS1A_S1B_EUlS1A_E_NS1_11comp_targetILNS1_3genE0ELNS1_11target_archE4294967295ELNS1_3gpuE0ELNS1_3repE0EEENS1_30default_config_static_selectorELNS0_4arch9wavefront6targetE1EEEvT1_.kd
    .uniform_work_group_size: 1
    .uses_dynamic_stack: false
    .vgpr_count:     0
    .vgpr_spill_count: 0
    .wavefront_size: 64
  - .agpr_count:     0
    .args:
      - .offset:         0
        .size:           128
        .value_kind:     by_value
    .group_segment_fixed_size: 0
    .kernarg_segment_align: 8
    .kernarg_segment_size: 128
    .language:       OpenCL C
    .language_version:
      - 2
      - 0
    .max_flat_workgroup_size: 512
    .name:           _ZN7rocprim17ROCPRIM_400000_NS6detail17trampoline_kernelINS0_14default_configENS1_25partition_config_selectorILNS1_17partition_subalgoE2EiNS0_10empty_typeEbEEZZNS1_14partition_implILS5_2ELb0ES3_jN6thrust23THRUST_200600_302600_NS6detail15normal_iteratorINSA_7pointerIiNSA_11hip_rocprim3tagENSA_11use_defaultESG_EEEEPS6_NSA_18transform_iteratorINSA_8identityIiEENSC_INSA_10device_ptrIiEEEESG_SG_EENS0_5tupleIJPiSJ_EEENSR_IJSJ_SJ_EEES6_PlJS6_EEE10hipError_tPvRmT3_T4_T5_T6_T7_T9_mT8_P12ihipStream_tbDpT10_ENKUlT_T0_E_clISt17integral_constantIbLb1EES1E_IbLb0EEEEDaS1A_S1B_EUlS1A_E_NS1_11comp_targetILNS1_3genE5ELNS1_11target_archE942ELNS1_3gpuE9ELNS1_3repE0EEENS1_30default_config_static_selectorELNS0_4arch9wavefront6targetE1EEEvT1_
    .private_segment_fixed_size: 0
    .sgpr_count:     4
    .sgpr_spill_count: 0
    .symbol:         _ZN7rocprim17ROCPRIM_400000_NS6detail17trampoline_kernelINS0_14default_configENS1_25partition_config_selectorILNS1_17partition_subalgoE2EiNS0_10empty_typeEbEEZZNS1_14partition_implILS5_2ELb0ES3_jN6thrust23THRUST_200600_302600_NS6detail15normal_iteratorINSA_7pointerIiNSA_11hip_rocprim3tagENSA_11use_defaultESG_EEEEPS6_NSA_18transform_iteratorINSA_8identityIiEENSC_INSA_10device_ptrIiEEEESG_SG_EENS0_5tupleIJPiSJ_EEENSR_IJSJ_SJ_EEES6_PlJS6_EEE10hipError_tPvRmT3_T4_T5_T6_T7_T9_mT8_P12ihipStream_tbDpT10_ENKUlT_T0_E_clISt17integral_constantIbLb1EES1E_IbLb0EEEEDaS1A_S1B_EUlS1A_E_NS1_11comp_targetILNS1_3genE5ELNS1_11target_archE942ELNS1_3gpuE9ELNS1_3repE0EEENS1_30default_config_static_selectorELNS0_4arch9wavefront6targetE1EEEvT1_.kd
    .uniform_work_group_size: 1
    .uses_dynamic_stack: false
    .vgpr_count:     0
    .vgpr_spill_count: 0
    .wavefront_size: 64
  - .agpr_count:     0
    .args:
      - .offset:         0
        .size:           128
        .value_kind:     by_value
    .group_segment_fixed_size: 10248
    .kernarg_segment_align: 8
    .kernarg_segment_size: 128
    .language:       OpenCL C
    .language_version:
      - 2
      - 0
    .max_flat_workgroup_size: 256
    .name:           _ZN7rocprim17ROCPRIM_400000_NS6detail17trampoline_kernelINS0_14default_configENS1_25partition_config_selectorILNS1_17partition_subalgoE2EiNS0_10empty_typeEbEEZZNS1_14partition_implILS5_2ELb0ES3_jN6thrust23THRUST_200600_302600_NS6detail15normal_iteratorINSA_7pointerIiNSA_11hip_rocprim3tagENSA_11use_defaultESG_EEEEPS6_NSA_18transform_iteratorINSA_8identityIiEENSC_INSA_10device_ptrIiEEEESG_SG_EENS0_5tupleIJPiSJ_EEENSR_IJSJ_SJ_EEES6_PlJS6_EEE10hipError_tPvRmT3_T4_T5_T6_T7_T9_mT8_P12ihipStream_tbDpT10_ENKUlT_T0_E_clISt17integral_constantIbLb1EES1E_IbLb0EEEEDaS1A_S1B_EUlS1A_E_NS1_11comp_targetILNS1_3genE4ELNS1_11target_archE910ELNS1_3gpuE8ELNS1_3repE0EEENS1_30default_config_static_selectorELNS0_4arch9wavefront6targetE1EEEvT1_
    .private_segment_fixed_size: 0
    .sgpr_count:     50
    .sgpr_spill_count: 0
    .symbol:         _ZN7rocprim17ROCPRIM_400000_NS6detail17trampoline_kernelINS0_14default_configENS1_25partition_config_selectorILNS1_17partition_subalgoE2EiNS0_10empty_typeEbEEZZNS1_14partition_implILS5_2ELb0ES3_jN6thrust23THRUST_200600_302600_NS6detail15normal_iteratorINSA_7pointerIiNSA_11hip_rocprim3tagENSA_11use_defaultESG_EEEEPS6_NSA_18transform_iteratorINSA_8identityIiEENSC_INSA_10device_ptrIiEEEESG_SG_EENS0_5tupleIJPiSJ_EEENSR_IJSJ_SJ_EEES6_PlJS6_EEE10hipError_tPvRmT3_T4_T5_T6_T7_T9_mT8_P12ihipStream_tbDpT10_ENKUlT_T0_E_clISt17integral_constantIbLb1EES1E_IbLb0EEEEDaS1A_S1B_EUlS1A_E_NS1_11comp_targetILNS1_3genE4ELNS1_11target_archE910ELNS1_3gpuE8ELNS1_3repE0EEENS1_30default_config_static_selectorELNS0_4arch9wavefront6targetE1EEEvT1_.kd
    .uniform_work_group_size: 1
    .uses_dynamic_stack: false
    .vgpr_count:     54
    .vgpr_spill_count: 0
    .wavefront_size: 64
  - .agpr_count:     0
    .args:
      - .offset:         0
        .size:           128
        .value_kind:     by_value
    .group_segment_fixed_size: 0
    .kernarg_segment_align: 8
    .kernarg_segment_size: 128
    .language:       OpenCL C
    .language_version:
      - 2
      - 0
    .max_flat_workgroup_size: 128
    .name:           _ZN7rocprim17ROCPRIM_400000_NS6detail17trampoline_kernelINS0_14default_configENS1_25partition_config_selectorILNS1_17partition_subalgoE2EiNS0_10empty_typeEbEEZZNS1_14partition_implILS5_2ELb0ES3_jN6thrust23THRUST_200600_302600_NS6detail15normal_iteratorINSA_7pointerIiNSA_11hip_rocprim3tagENSA_11use_defaultESG_EEEEPS6_NSA_18transform_iteratorINSA_8identityIiEENSC_INSA_10device_ptrIiEEEESG_SG_EENS0_5tupleIJPiSJ_EEENSR_IJSJ_SJ_EEES6_PlJS6_EEE10hipError_tPvRmT3_T4_T5_T6_T7_T9_mT8_P12ihipStream_tbDpT10_ENKUlT_T0_E_clISt17integral_constantIbLb1EES1E_IbLb0EEEEDaS1A_S1B_EUlS1A_E_NS1_11comp_targetILNS1_3genE3ELNS1_11target_archE908ELNS1_3gpuE7ELNS1_3repE0EEENS1_30default_config_static_selectorELNS0_4arch9wavefront6targetE1EEEvT1_
    .private_segment_fixed_size: 0
    .sgpr_count:     4
    .sgpr_spill_count: 0
    .symbol:         _ZN7rocprim17ROCPRIM_400000_NS6detail17trampoline_kernelINS0_14default_configENS1_25partition_config_selectorILNS1_17partition_subalgoE2EiNS0_10empty_typeEbEEZZNS1_14partition_implILS5_2ELb0ES3_jN6thrust23THRUST_200600_302600_NS6detail15normal_iteratorINSA_7pointerIiNSA_11hip_rocprim3tagENSA_11use_defaultESG_EEEEPS6_NSA_18transform_iteratorINSA_8identityIiEENSC_INSA_10device_ptrIiEEEESG_SG_EENS0_5tupleIJPiSJ_EEENSR_IJSJ_SJ_EEES6_PlJS6_EEE10hipError_tPvRmT3_T4_T5_T6_T7_T9_mT8_P12ihipStream_tbDpT10_ENKUlT_T0_E_clISt17integral_constantIbLb1EES1E_IbLb0EEEEDaS1A_S1B_EUlS1A_E_NS1_11comp_targetILNS1_3genE3ELNS1_11target_archE908ELNS1_3gpuE7ELNS1_3repE0EEENS1_30default_config_static_selectorELNS0_4arch9wavefront6targetE1EEEvT1_.kd
    .uniform_work_group_size: 1
    .uses_dynamic_stack: false
    .vgpr_count:     0
    .vgpr_spill_count: 0
    .wavefront_size: 64
  - .agpr_count:     0
    .args:
      - .offset:         0
        .size:           128
        .value_kind:     by_value
    .group_segment_fixed_size: 0
    .kernarg_segment_align: 8
    .kernarg_segment_size: 128
    .language:       OpenCL C
    .language_version:
      - 2
      - 0
    .max_flat_workgroup_size: 256
    .name:           _ZN7rocprim17ROCPRIM_400000_NS6detail17trampoline_kernelINS0_14default_configENS1_25partition_config_selectorILNS1_17partition_subalgoE2EiNS0_10empty_typeEbEEZZNS1_14partition_implILS5_2ELb0ES3_jN6thrust23THRUST_200600_302600_NS6detail15normal_iteratorINSA_7pointerIiNSA_11hip_rocprim3tagENSA_11use_defaultESG_EEEEPS6_NSA_18transform_iteratorINSA_8identityIiEENSC_INSA_10device_ptrIiEEEESG_SG_EENS0_5tupleIJPiSJ_EEENSR_IJSJ_SJ_EEES6_PlJS6_EEE10hipError_tPvRmT3_T4_T5_T6_T7_T9_mT8_P12ihipStream_tbDpT10_ENKUlT_T0_E_clISt17integral_constantIbLb1EES1E_IbLb0EEEEDaS1A_S1B_EUlS1A_E_NS1_11comp_targetILNS1_3genE2ELNS1_11target_archE906ELNS1_3gpuE6ELNS1_3repE0EEENS1_30default_config_static_selectorELNS0_4arch9wavefront6targetE1EEEvT1_
    .private_segment_fixed_size: 0
    .sgpr_count:     4
    .sgpr_spill_count: 0
    .symbol:         _ZN7rocprim17ROCPRIM_400000_NS6detail17trampoline_kernelINS0_14default_configENS1_25partition_config_selectorILNS1_17partition_subalgoE2EiNS0_10empty_typeEbEEZZNS1_14partition_implILS5_2ELb0ES3_jN6thrust23THRUST_200600_302600_NS6detail15normal_iteratorINSA_7pointerIiNSA_11hip_rocprim3tagENSA_11use_defaultESG_EEEEPS6_NSA_18transform_iteratorINSA_8identityIiEENSC_INSA_10device_ptrIiEEEESG_SG_EENS0_5tupleIJPiSJ_EEENSR_IJSJ_SJ_EEES6_PlJS6_EEE10hipError_tPvRmT3_T4_T5_T6_T7_T9_mT8_P12ihipStream_tbDpT10_ENKUlT_T0_E_clISt17integral_constantIbLb1EES1E_IbLb0EEEEDaS1A_S1B_EUlS1A_E_NS1_11comp_targetILNS1_3genE2ELNS1_11target_archE906ELNS1_3gpuE6ELNS1_3repE0EEENS1_30default_config_static_selectorELNS0_4arch9wavefront6targetE1EEEvT1_.kd
    .uniform_work_group_size: 1
    .uses_dynamic_stack: false
    .vgpr_count:     0
    .vgpr_spill_count: 0
    .wavefront_size: 64
  - .agpr_count:     0
    .args:
      - .offset:         0
        .size:           128
        .value_kind:     by_value
    .group_segment_fixed_size: 0
    .kernarg_segment_align: 8
    .kernarg_segment_size: 128
    .language:       OpenCL C
    .language_version:
      - 2
      - 0
    .max_flat_workgroup_size: 384
    .name:           _ZN7rocprim17ROCPRIM_400000_NS6detail17trampoline_kernelINS0_14default_configENS1_25partition_config_selectorILNS1_17partition_subalgoE2EiNS0_10empty_typeEbEEZZNS1_14partition_implILS5_2ELb0ES3_jN6thrust23THRUST_200600_302600_NS6detail15normal_iteratorINSA_7pointerIiNSA_11hip_rocprim3tagENSA_11use_defaultESG_EEEEPS6_NSA_18transform_iteratorINSA_8identityIiEENSC_INSA_10device_ptrIiEEEESG_SG_EENS0_5tupleIJPiSJ_EEENSR_IJSJ_SJ_EEES6_PlJS6_EEE10hipError_tPvRmT3_T4_T5_T6_T7_T9_mT8_P12ihipStream_tbDpT10_ENKUlT_T0_E_clISt17integral_constantIbLb1EES1E_IbLb0EEEEDaS1A_S1B_EUlS1A_E_NS1_11comp_targetILNS1_3genE10ELNS1_11target_archE1200ELNS1_3gpuE4ELNS1_3repE0EEENS1_30default_config_static_selectorELNS0_4arch9wavefront6targetE1EEEvT1_
    .private_segment_fixed_size: 0
    .sgpr_count:     4
    .sgpr_spill_count: 0
    .symbol:         _ZN7rocprim17ROCPRIM_400000_NS6detail17trampoline_kernelINS0_14default_configENS1_25partition_config_selectorILNS1_17partition_subalgoE2EiNS0_10empty_typeEbEEZZNS1_14partition_implILS5_2ELb0ES3_jN6thrust23THRUST_200600_302600_NS6detail15normal_iteratorINSA_7pointerIiNSA_11hip_rocprim3tagENSA_11use_defaultESG_EEEEPS6_NSA_18transform_iteratorINSA_8identityIiEENSC_INSA_10device_ptrIiEEEESG_SG_EENS0_5tupleIJPiSJ_EEENSR_IJSJ_SJ_EEES6_PlJS6_EEE10hipError_tPvRmT3_T4_T5_T6_T7_T9_mT8_P12ihipStream_tbDpT10_ENKUlT_T0_E_clISt17integral_constantIbLb1EES1E_IbLb0EEEEDaS1A_S1B_EUlS1A_E_NS1_11comp_targetILNS1_3genE10ELNS1_11target_archE1200ELNS1_3gpuE4ELNS1_3repE0EEENS1_30default_config_static_selectorELNS0_4arch9wavefront6targetE1EEEvT1_.kd
    .uniform_work_group_size: 1
    .uses_dynamic_stack: false
    .vgpr_count:     0
    .vgpr_spill_count: 0
    .wavefront_size: 64
  - .agpr_count:     0
    .args:
      - .offset:         0
        .size:           128
        .value_kind:     by_value
    .group_segment_fixed_size: 0
    .kernarg_segment_align: 8
    .kernarg_segment_size: 128
    .language:       OpenCL C
    .language_version:
      - 2
      - 0
    .max_flat_workgroup_size: 128
    .name:           _ZN7rocprim17ROCPRIM_400000_NS6detail17trampoline_kernelINS0_14default_configENS1_25partition_config_selectorILNS1_17partition_subalgoE2EiNS0_10empty_typeEbEEZZNS1_14partition_implILS5_2ELb0ES3_jN6thrust23THRUST_200600_302600_NS6detail15normal_iteratorINSA_7pointerIiNSA_11hip_rocprim3tagENSA_11use_defaultESG_EEEEPS6_NSA_18transform_iteratorINSA_8identityIiEENSC_INSA_10device_ptrIiEEEESG_SG_EENS0_5tupleIJPiSJ_EEENSR_IJSJ_SJ_EEES6_PlJS6_EEE10hipError_tPvRmT3_T4_T5_T6_T7_T9_mT8_P12ihipStream_tbDpT10_ENKUlT_T0_E_clISt17integral_constantIbLb1EES1E_IbLb0EEEEDaS1A_S1B_EUlS1A_E_NS1_11comp_targetILNS1_3genE9ELNS1_11target_archE1100ELNS1_3gpuE3ELNS1_3repE0EEENS1_30default_config_static_selectorELNS0_4arch9wavefront6targetE1EEEvT1_
    .private_segment_fixed_size: 0
    .sgpr_count:     4
    .sgpr_spill_count: 0
    .symbol:         _ZN7rocprim17ROCPRIM_400000_NS6detail17trampoline_kernelINS0_14default_configENS1_25partition_config_selectorILNS1_17partition_subalgoE2EiNS0_10empty_typeEbEEZZNS1_14partition_implILS5_2ELb0ES3_jN6thrust23THRUST_200600_302600_NS6detail15normal_iteratorINSA_7pointerIiNSA_11hip_rocprim3tagENSA_11use_defaultESG_EEEEPS6_NSA_18transform_iteratorINSA_8identityIiEENSC_INSA_10device_ptrIiEEEESG_SG_EENS0_5tupleIJPiSJ_EEENSR_IJSJ_SJ_EEES6_PlJS6_EEE10hipError_tPvRmT3_T4_T5_T6_T7_T9_mT8_P12ihipStream_tbDpT10_ENKUlT_T0_E_clISt17integral_constantIbLb1EES1E_IbLb0EEEEDaS1A_S1B_EUlS1A_E_NS1_11comp_targetILNS1_3genE9ELNS1_11target_archE1100ELNS1_3gpuE3ELNS1_3repE0EEENS1_30default_config_static_selectorELNS0_4arch9wavefront6targetE1EEEvT1_.kd
    .uniform_work_group_size: 1
    .uses_dynamic_stack: false
    .vgpr_count:     0
    .vgpr_spill_count: 0
    .wavefront_size: 64
  - .agpr_count:     0
    .args:
      - .offset:         0
        .size:           128
        .value_kind:     by_value
    .group_segment_fixed_size: 0
    .kernarg_segment_align: 8
    .kernarg_segment_size: 128
    .language:       OpenCL C
    .language_version:
      - 2
      - 0
    .max_flat_workgroup_size: 512
    .name:           _ZN7rocprim17ROCPRIM_400000_NS6detail17trampoline_kernelINS0_14default_configENS1_25partition_config_selectorILNS1_17partition_subalgoE2EiNS0_10empty_typeEbEEZZNS1_14partition_implILS5_2ELb0ES3_jN6thrust23THRUST_200600_302600_NS6detail15normal_iteratorINSA_7pointerIiNSA_11hip_rocprim3tagENSA_11use_defaultESG_EEEEPS6_NSA_18transform_iteratorINSA_8identityIiEENSC_INSA_10device_ptrIiEEEESG_SG_EENS0_5tupleIJPiSJ_EEENSR_IJSJ_SJ_EEES6_PlJS6_EEE10hipError_tPvRmT3_T4_T5_T6_T7_T9_mT8_P12ihipStream_tbDpT10_ENKUlT_T0_E_clISt17integral_constantIbLb1EES1E_IbLb0EEEEDaS1A_S1B_EUlS1A_E_NS1_11comp_targetILNS1_3genE8ELNS1_11target_archE1030ELNS1_3gpuE2ELNS1_3repE0EEENS1_30default_config_static_selectorELNS0_4arch9wavefront6targetE1EEEvT1_
    .private_segment_fixed_size: 0
    .sgpr_count:     4
    .sgpr_spill_count: 0
    .symbol:         _ZN7rocprim17ROCPRIM_400000_NS6detail17trampoline_kernelINS0_14default_configENS1_25partition_config_selectorILNS1_17partition_subalgoE2EiNS0_10empty_typeEbEEZZNS1_14partition_implILS5_2ELb0ES3_jN6thrust23THRUST_200600_302600_NS6detail15normal_iteratorINSA_7pointerIiNSA_11hip_rocprim3tagENSA_11use_defaultESG_EEEEPS6_NSA_18transform_iteratorINSA_8identityIiEENSC_INSA_10device_ptrIiEEEESG_SG_EENS0_5tupleIJPiSJ_EEENSR_IJSJ_SJ_EEES6_PlJS6_EEE10hipError_tPvRmT3_T4_T5_T6_T7_T9_mT8_P12ihipStream_tbDpT10_ENKUlT_T0_E_clISt17integral_constantIbLb1EES1E_IbLb0EEEEDaS1A_S1B_EUlS1A_E_NS1_11comp_targetILNS1_3genE8ELNS1_11target_archE1030ELNS1_3gpuE2ELNS1_3repE0EEENS1_30default_config_static_selectorELNS0_4arch9wavefront6targetE1EEEvT1_.kd
    .uniform_work_group_size: 1
    .uses_dynamic_stack: false
    .vgpr_count:     0
    .vgpr_spill_count: 0
    .wavefront_size: 64
  - .agpr_count:     0
    .args:
      - .offset:         0
        .size:           144
        .value_kind:     by_value
    .group_segment_fixed_size: 0
    .kernarg_segment_align: 8
    .kernarg_segment_size: 144
    .language:       OpenCL C
    .language_version:
      - 2
      - 0
    .max_flat_workgroup_size: 128
    .name:           _ZN7rocprim17ROCPRIM_400000_NS6detail17trampoline_kernelINS0_14default_configENS1_25partition_config_selectorILNS1_17partition_subalgoE2EiNS0_10empty_typeEbEEZZNS1_14partition_implILS5_2ELb0ES3_jN6thrust23THRUST_200600_302600_NS6detail15normal_iteratorINSA_7pointerIiNSA_11hip_rocprim3tagENSA_11use_defaultESG_EEEEPS6_NSA_18transform_iteratorINSA_8identityIiEENSC_INSA_10device_ptrIiEEEESG_SG_EENS0_5tupleIJPiSJ_EEENSR_IJSJ_SJ_EEES6_PlJS6_EEE10hipError_tPvRmT3_T4_T5_T6_T7_T9_mT8_P12ihipStream_tbDpT10_ENKUlT_T0_E_clISt17integral_constantIbLb0EES1E_IbLb1EEEEDaS1A_S1B_EUlS1A_E_NS1_11comp_targetILNS1_3genE0ELNS1_11target_archE4294967295ELNS1_3gpuE0ELNS1_3repE0EEENS1_30default_config_static_selectorELNS0_4arch9wavefront6targetE1EEEvT1_
    .private_segment_fixed_size: 0
    .sgpr_count:     4
    .sgpr_spill_count: 0
    .symbol:         _ZN7rocprim17ROCPRIM_400000_NS6detail17trampoline_kernelINS0_14default_configENS1_25partition_config_selectorILNS1_17partition_subalgoE2EiNS0_10empty_typeEbEEZZNS1_14partition_implILS5_2ELb0ES3_jN6thrust23THRUST_200600_302600_NS6detail15normal_iteratorINSA_7pointerIiNSA_11hip_rocprim3tagENSA_11use_defaultESG_EEEEPS6_NSA_18transform_iteratorINSA_8identityIiEENSC_INSA_10device_ptrIiEEEESG_SG_EENS0_5tupleIJPiSJ_EEENSR_IJSJ_SJ_EEES6_PlJS6_EEE10hipError_tPvRmT3_T4_T5_T6_T7_T9_mT8_P12ihipStream_tbDpT10_ENKUlT_T0_E_clISt17integral_constantIbLb0EES1E_IbLb1EEEEDaS1A_S1B_EUlS1A_E_NS1_11comp_targetILNS1_3genE0ELNS1_11target_archE4294967295ELNS1_3gpuE0ELNS1_3repE0EEENS1_30default_config_static_selectorELNS0_4arch9wavefront6targetE1EEEvT1_.kd
    .uniform_work_group_size: 1
    .uses_dynamic_stack: false
    .vgpr_count:     0
    .vgpr_spill_count: 0
    .wavefront_size: 64
  - .agpr_count:     0
    .args:
      - .offset:         0
        .size:           144
        .value_kind:     by_value
    .group_segment_fixed_size: 0
    .kernarg_segment_align: 8
    .kernarg_segment_size: 144
    .language:       OpenCL C
    .language_version:
      - 2
      - 0
    .max_flat_workgroup_size: 512
    .name:           _ZN7rocprim17ROCPRIM_400000_NS6detail17trampoline_kernelINS0_14default_configENS1_25partition_config_selectorILNS1_17partition_subalgoE2EiNS0_10empty_typeEbEEZZNS1_14partition_implILS5_2ELb0ES3_jN6thrust23THRUST_200600_302600_NS6detail15normal_iteratorINSA_7pointerIiNSA_11hip_rocprim3tagENSA_11use_defaultESG_EEEEPS6_NSA_18transform_iteratorINSA_8identityIiEENSC_INSA_10device_ptrIiEEEESG_SG_EENS0_5tupleIJPiSJ_EEENSR_IJSJ_SJ_EEES6_PlJS6_EEE10hipError_tPvRmT3_T4_T5_T6_T7_T9_mT8_P12ihipStream_tbDpT10_ENKUlT_T0_E_clISt17integral_constantIbLb0EES1E_IbLb1EEEEDaS1A_S1B_EUlS1A_E_NS1_11comp_targetILNS1_3genE5ELNS1_11target_archE942ELNS1_3gpuE9ELNS1_3repE0EEENS1_30default_config_static_selectorELNS0_4arch9wavefront6targetE1EEEvT1_
    .private_segment_fixed_size: 0
    .sgpr_count:     4
    .sgpr_spill_count: 0
    .symbol:         _ZN7rocprim17ROCPRIM_400000_NS6detail17trampoline_kernelINS0_14default_configENS1_25partition_config_selectorILNS1_17partition_subalgoE2EiNS0_10empty_typeEbEEZZNS1_14partition_implILS5_2ELb0ES3_jN6thrust23THRUST_200600_302600_NS6detail15normal_iteratorINSA_7pointerIiNSA_11hip_rocprim3tagENSA_11use_defaultESG_EEEEPS6_NSA_18transform_iteratorINSA_8identityIiEENSC_INSA_10device_ptrIiEEEESG_SG_EENS0_5tupleIJPiSJ_EEENSR_IJSJ_SJ_EEES6_PlJS6_EEE10hipError_tPvRmT3_T4_T5_T6_T7_T9_mT8_P12ihipStream_tbDpT10_ENKUlT_T0_E_clISt17integral_constantIbLb0EES1E_IbLb1EEEEDaS1A_S1B_EUlS1A_E_NS1_11comp_targetILNS1_3genE5ELNS1_11target_archE942ELNS1_3gpuE9ELNS1_3repE0EEENS1_30default_config_static_selectorELNS0_4arch9wavefront6targetE1EEEvT1_.kd
    .uniform_work_group_size: 1
    .uses_dynamic_stack: false
    .vgpr_count:     0
    .vgpr_spill_count: 0
    .wavefront_size: 64
  - .agpr_count:     0
    .args:
      - .offset:         0
        .size:           144
        .value_kind:     by_value
    .group_segment_fixed_size: 10248
    .kernarg_segment_align: 8
    .kernarg_segment_size: 144
    .language:       OpenCL C
    .language_version:
      - 2
      - 0
    .max_flat_workgroup_size: 256
    .name:           _ZN7rocprim17ROCPRIM_400000_NS6detail17trampoline_kernelINS0_14default_configENS1_25partition_config_selectorILNS1_17partition_subalgoE2EiNS0_10empty_typeEbEEZZNS1_14partition_implILS5_2ELb0ES3_jN6thrust23THRUST_200600_302600_NS6detail15normal_iteratorINSA_7pointerIiNSA_11hip_rocprim3tagENSA_11use_defaultESG_EEEEPS6_NSA_18transform_iteratorINSA_8identityIiEENSC_INSA_10device_ptrIiEEEESG_SG_EENS0_5tupleIJPiSJ_EEENSR_IJSJ_SJ_EEES6_PlJS6_EEE10hipError_tPvRmT3_T4_T5_T6_T7_T9_mT8_P12ihipStream_tbDpT10_ENKUlT_T0_E_clISt17integral_constantIbLb0EES1E_IbLb1EEEEDaS1A_S1B_EUlS1A_E_NS1_11comp_targetILNS1_3genE4ELNS1_11target_archE910ELNS1_3gpuE8ELNS1_3repE0EEENS1_30default_config_static_selectorELNS0_4arch9wavefront6targetE1EEEvT1_
    .private_segment_fixed_size: 0
    .sgpr_count:     50
    .sgpr_spill_count: 0
    .symbol:         _ZN7rocprim17ROCPRIM_400000_NS6detail17trampoline_kernelINS0_14default_configENS1_25partition_config_selectorILNS1_17partition_subalgoE2EiNS0_10empty_typeEbEEZZNS1_14partition_implILS5_2ELb0ES3_jN6thrust23THRUST_200600_302600_NS6detail15normal_iteratorINSA_7pointerIiNSA_11hip_rocprim3tagENSA_11use_defaultESG_EEEEPS6_NSA_18transform_iteratorINSA_8identityIiEENSC_INSA_10device_ptrIiEEEESG_SG_EENS0_5tupleIJPiSJ_EEENSR_IJSJ_SJ_EEES6_PlJS6_EEE10hipError_tPvRmT3_T4_T5_T6_T7_T9_mT8_P12ihipStream_tbDpT10_ENKUlT_T0_E_clISt17integral_constantIbLb0EES1E_IbLb1EEEEDaS1A_S1B_EUlS1A_E_NS1_11comp_targetILNS1_3genE4ELNS1_11target_archE910ELNS1_3gpuE8ELNS1_3repE0EEENS1_30default_config_static_selectorELNS0_4arch9wavefront6targetE1EEEvT1_.kd
    .uniform_work_group_size: 1
    .uses_dynamic_stack: false
    .vgpr_count:     56
    .vgpr_spill_count: 0
    .wavefront_size: 64
  - .agpr_count:     0
    .args:
      - .offset:         0
        .size:           144
        .value_kind:     by_value
    .group_segment_fixed_size: 0
    .kernarg_segment_align: 8
    .kernarg_segment_size: 144
    .language:       OpenCL C
    .language_version:
      - 2
      - 0
    .max_flat_workgroup_size: 128
    .name:           _ZN7rocprim17ROCPRIM_400000_NS6detail17trampoline_kernelINS0_14default_configENS1_25partition_config_selectorILNS1_17partition_subalgoE2EiNS0_10empty_typeEbEEZZNS1_14partition_implILS5_2ELb0ES3_jN6thrust23THRUST_200600_302600_NS6detail15normal_iteratorINSA_7pointerIiNSA_11hip_rocprim3tagENSA_11use_defaultESG_EEEEPS6_NSA_18transform_iteratorINSA_8identityIiEENSC_INSA_10device_ptrIiEEEESG_SG_EENS0_5tupleIJPiSJ_EEENSR_IJSJ_SJ_EEES6_PlJS6_EEE10hipError_tPvRmT3_T4_T5_T6_T7_T9_mT8_P12ihipStream_tbDpT10_ENKUlT_T0_E_clISt17integral_constantIbLb0EES1E_IbLb1EEEEDaS1A_S1B_EUlS1A_E_NS1_11comp_targetILNS1_3genE3ELNS1_11target_archE908ELNS1_3gpuE7ELNS1_3repE0EEENS1_30default_config_static_selectorELNS0_4arch9wavefront6targetE1EEEvT1_
    .private_segment_fixed_size: 0
    .sgpr_count:     4
    .sgpr_spill_count: 0
    .symbol:         _ZN7rocprim17ROCPRIM_400000_NS6detail17trampoline_kernelINS0_14default_configENS1_25partition_config_selectorILNS1_17partition_subalgoE2EiNS0_10empty_typeEbEEZZNS1_14partition_implILS5_2ELb0ES3_jN6thrust23THRUST_200600_302600_NS6detail15normal_iteratorINSA_7pointerIiNSA_11hip_rocprim3tagENSA_11use_defaultESG_EEEEPS6_NSA_18transform_iteratorINSA_8identityIiEENSC_INSA_10device_ptrIiEEEESG_SG_EENS0_5tupleIJPiSJ_EEENSR_IJSJ_SJ_EEES6_PlJS6_EEE10hipError_tPvRmT3_T4_T5_T6_T7_T9_mT8_P12ihipStream_tbDpT10_ENKUlT_T0_E_clISt17integral_constantIbLb0EES1E_IbLb1EEEEDaS1A_S1B_EUlS1A_E_NS1_11comp_targetILNS1_3genE3ELNS1_11target_archE908ELNS1_3gpuE7ELNS1_3repE0EEENS1_30default_config_static_selectorELNS0_4arch9wavefront6targetE1EEEvT1_.kd
    .uniform_work_group_size: 1
    .uses_dynamic_stack: false
    .vgpr_count:     0
    .vgpr_spill_count: 0
    .wavefront_size: 64
  - .agpr_count:     0
    .args:
      - .offset:         0
        .size:           144
        .value_kind:     by_value
    .group_segment_fixed_size: 0
    .kernarg_segment_align: 8
    .kernarg_segment_size: 144
    .language:       OpenCL C
    .language_version:
      - 2
      - 0
    .max_flat_workgroup_size: 256
    .name:           _ZN7rocprim17ROCPRIM_400000_NS6detail17trampoline_kernelINS0_14default_configENS1_25partition_config_selectorILNS1_17partition_subalgoE2EiNS0_10empty_typeEbEEZZNS1_14partition_implILS5_2ELb0ES3_jN6thrust23THRUST_200600_302600_NS6detail15normal_iteratorINSA_7pointerIiNSA_11hip_rocprim3tagENSA_11use_defaultESG_EEEEPS6_NSA_18transform_iteratorINSA_8identityIiEENSC_INSA_10device_ptrIiEEEESG_SG_EENS0_5tupleIJPiSJ_EEENSR_IJSJ_SJ_EEES6_PlJS6_EEE10hipError_tPvRmT3_T4_T5_T6_T7_T9_mT8_P12ihipStream_tbDpT10_ENKUlT_T0_E_clISt17integral_constantIbLb0EES1E_IbLb1EEEEDaS1A_S1B_EUlS1A_E_NS1_11comp_targetILNS1_3genE2ELNS1_11target_archE906ELNS1_3gpuE6ELNS1_3repE0EEENS1_30default_config_static_selectorELNS0_4arch9wavefront6targetE1EEEvT1_
    .private_segment_fixed_size: 0
    .sgpr_count:     4
    .sgpr_spill_count: 0
    .symbol:         _ZN7rocprim17ROCPRIM_400000_NS6detail17trampoline_kernelINS0_14default_configENS1_25partition_config_selectorILNS1_17partition_subalgoE2EiNS0_10empty_typeEbEEZZNS1_14partition_implILS5_2ELb0ES3_jN6thrust23THRUST_200600_302600_NS6detail15normal_iteratorINSA_7pointerIiNSA_11hip_rocprim3tagENSA_11use_defaultESG_EEEEPS6_NSA_18transform_iteratorINSA_8identityIiEENSC_INSA_10device_ptrIiEEEESG_SG_EENS0_5tupleIJPiSJ_EEENSR_IJSJ_SJ_EEES6_PlJS6_EEE10hipError_tPvRmT3_T4_T5_T6_T7_T9_mT8_P12ihipStream_tbDpT10_ENKUlT_T0_E_clISt17integral_constantIbLb0EES1E_IbLb1EEEEDaS1A_S1B_EUlS1A_E_NS1_11comp_targetILNS1_3genE2ELNS1_11target_archE906ELNS1_3gpuE6ELNS1_3repE0EEENS1_30default_config_static_selectorELNS0_4arch9wavefront6targetE1EEEvT1_.kd
    .uniform_work_group_size: 1
    .uses_dynamic_stack: false
    .vgpr_count:     0
    .vgpr_spill_count: 0
    .wavefront_size: 64
  - .agpr_count:     0
    .args:
      - .offset:         0
        .size:           144
        .value_kind:     by_value
    .group_segment_fixed_size: 0
    .kernarg_segment_align: 8
    .kernarg_segment_size: 144
    .language:       OpenCL C
    .language_version:
      - 2
      - 0
    .max_flat_workgroup_size: 384
    .name:           _ZN7rocprim17ROCPRIM_400000_NS6detail17trampoline_kernelINS0_14default_configENS1_25partition_config_selectorILNS1_17partition_subalgoE2EiNS0_10empty_typeEbEEZZNS1_14partition_implILS5_2ELb0ES3_jN6thrust23THRUST_200600_302600_NS6detail15normal_iteratorINSA_7pointerIiNSA_11hip_rocprim3tagENSA_11use_defaultESG_EEEEPS6_NSA_18transform_iteratorINSA_8identityIiEENSC_INSA_10device_ptrIiEEEESG_SG_EENS0_5tupleIJPiSJ_EEENSR_IJSJ_SJ_EEES6_PlJS6_EEE10hipError_tPvRmT3_T4_T5_T6_T7_T9_mT8_P12ihipStream_tbDpT10_ENKUlT_T0_E_clISt17integral_constantIbLb0EES1E_IbLb1EEEEDaS1A_S1B_EUlS1A_E_NS1_11comp_targetILNS1_3genE10ELNS1_11target_archE1200ELNS1_3gpuE4ELNS1_3repE0EEENS1_30default_config_static_selectorELNS0_4arch9wavefront6targetE1EEEvT1_
    .private_segment_fixed_size: 0
    .sgpr_count:     4
    .sgpr_spill_count: 0
    .symbol:         _ZN7rocprim17ROCPRIM_400000_NS6detail17trampoline_kernelINS0_14default_configENS1_25partition_config_selectorILNS1_17partition_subalgoE2EiNS0_10empty_typeEbEEZZNS1_14partition_implILS5_2ELb0ES3_jN6thrust23THRUST_200600_302600_NS6detail15normal_iteratorINSA_7pointerIiNSA_11hip_rocprim3tagENSA_11use_defaultESG_EEEEPS6_NSA_18transform_iteratorINSA_8identityIiEENSC_INSA_10device_ptrIiEEEESG_SG_EENS0_5tupleIJPiSJ_EEENSR_IJSJ_SJ_EEES6_PlJS6_EEE10hipError_tPvRmT3_T4_T5_T6_T7_T9_mT8_P12ihipStream_tbDpT10_ENKUlT_T0_E_clISt17integral_constantIbLb0EES1E_IbLb1EEEEDaS1A_S1B_EUlS1A_E_NS1_11comp_targetILNS1_3genE10ELNS1_11target_archE1200ELNS1_3gpuE4ELNS1_3repE0EEENS1_30default_config_static_selectorELNS0_4arch9wavefront6targetE1EEEvT1_.kd
    .uniform_work_group_size: 1
    .uses_dynamic_stack: false
    .vgpr_count:     0
    .vgpr_spill_count: 0
    .wavefront_size: 64
  - .agpr_count:     0
    .args:
      - .offset:         0
        .size:           144
        .value_kind:     by_value
    .group_segment_fixed_size: 0
    .kernarg_segment_align: 8
    .kernarg_segment_size: 144
    .language:       OpenCL C
    .language_version:
      - 2
      - 0
    .max_flat_workgroup_size: 128
    .name:           _ZN7rocprim17ROCPRIM_400000_NS6detail17trampoline_kernelINS0_14default_configENS1_25partition_config_selectorILNS1_17partition_subalgoE2EiNS0_10empty_typeEbEEZZNS1_14partition_implILS5_2ELb0ES3_jN6thrust23THRUST_200600_302600_NS6detail15normal_iteratorINSA_7pointerIiNSA_11hip_rocprim3tagENSA_11use_defaultESG_EEEEPS6_NSA_18transform_iteratorINSA_8identityIiEENSC_INSA_10device_ptrIiEEEESG_SG_EENS0_5tupleIJPiSJ_EEENSR_IJSJ_SJ_EEES6_PlJS6_EEE10hipError_tPvRmT3_T4_T5_T6_T7_T9_mT8_P12ihipStream_tbDpT10_ENKUlT_T0_E_clISt17integral_constantIbLb0EES1E_IbLb1EEEEDaS1A_S1B_EUlS1A_E_NS1_11comp_targetILNS1_3genE9ELNS1_11target_archE1100ELNS1_3gpuE3ELNS1_3repE0EEENS1_30default_config_static_selectorELNS0_4arch9wavefront6targetE1EEEvT1_
    .private_segment_fixed_size: 0
    .sgpr_count:     4
    .sgpr_spill_count: 0
    .symbol:         _ZN7rocprim17ROCPRIM_400000_NS6detail17trampoline_kernelINS0_14default_configENS1_25partition_config_selectorILNS1_17partition_subalgoE2EiNS0_10empty_typeEbEEZZNS1_14partition_implILS5_2ELb0ES3_jN6thrust23THRUST_200600_302600_NS6detail15normal_iteratorINSA_7pointerIiNSA_11hip_rocprim3tagENSA_11use_defaultESG_EEEEPS6_NSA_18transform_iteratorINSA_8identityIiEENSC_INSA_10device_ptrIiEEEESG_SG_EENS0_5tupleIJPiSJ_EEENSR_IJSJ_SJ_EEES6_PlJS6_EEE10hipError_tPvRmT3_T4_T5_T6_T7_T9_mT8_P12ihipStream_tbDpT10_ENKUlT_T0_E_clISt17integral_constantIbLb0EES1E_IbLb1EEEEDaS1A_S1B_EUlS1A_E_NS1_11comp_targetILNS1_3genE9ELNS1_11target_archE1100ELNS1_3gpuE3ELNS1_3repE0EEENS1_30default_config_static_selectorELNS0_4arch9wavefront6targetE1EEEvT1_.kd
    .uniform_work_group_size: 1
    .uses_dynamic_stack: false
    .vgpr_count:     0
    .vgpr_spill_count: 0
    .wavefront_size: 64
  - .agpr_count:     0
    .args:
      - .offset:         0
        .size:           144
        .value_kind:     by_value
    .group_segment_fixed_size: 0
    .kernarg_segment_align: 8
    .kernarg_segment_size: 144
    .language:       OpenCL C
    .language_version:
      - 2
      - 0
    .max_flat_workgroup_size: 512
    .name:           _ZN7rocprim17ROCPRIM_400000_NS6detail17trampoline_kernelINS0_14default_configENS1_25partition_config_selectorILNS1_17partition_subalgoE2EiNS0_10empty_typeEbEEZZNS1_14partition_implILS5_2ELb0ES3_jN6thrust23THRUST_200600_302600_NS6detail15normal_iteratorINSA_7pointerIiNSA_11hip_rocprim3tagENSA_11use_defaultESG_EEEEPS6_NSA_18transform_iteratorINSA_8identityIiEENSC_INSA_10device_ptrIiEEEESG_SG_EENS0_5tupleIJPiSJ_EEENSR_IJSJ_SJ_EEES6_PlJS6_EEE10hipError_tPvRmT3_T4_T5_T6_T7_T9_mT8_P12ihipStream_tbDpT10_ENKUlT_T0_E_clISt17integral_constantIbLb0EES1E_IbLb1EEEEDaS1A_S1B_EUlS1A_E_NS1_11comp_targetILNS1_3genE8ELNS1_11target_archE1030ELNS1_3gpuE2ELNS1_3repE0EEENS1_30default_config_static_selectorELNS0_4arch9wavefront6targetE1EEEvT1_
    .private_segment_fixed_size: 0
    .sgpr_count:     4
    .sgpr_spill_count: 0
    .symbol:         _ZN7rocprim17ROCPRIM_400000_NS6detail17trampoline_kernelINS0_14default_configENS1_25partition_config_selectorILNS1_17partition_subalgoE2EiNS0_10empty_typeEbEEZZNS1_14partition_implILS5_2ELb0ES3_jN6thrust23THRUST_200600_302600_NS6detail15normal_iteratorINSA_7pointerIiNSA_11hip_rocprim3tagENSA_11use_defaultESG_EEEEPS6_NSA_18transform_iteratorINSA_8identityIiEENSC_INSA_10device_ptrIiEEEESG_SG_EENS0_5tupleIJPiSJ_EEENSR_IJSJ_SJ_EEES6_PlJS6_EEE10hipError_tPvRmT3_T4_T5_T6_T7_T9_mT8_P12ihipStream_tbDpT10_ENKUlT_T0_E_clISt17integral_constantIbLb0EES1E_IbLb1EEEEDaS1A_S1B_EUlS1A_E_NS1_11comp_targetILNS1_3genE8ELNS1_11target_archE1030ELNS1_3gpuE2ELNS1_3repE0EEENS1_30default_config_static_selectorELNS0_4arch9wavefront6targetE1EEEvT1_.kd
    .uniform_work_group_size: 1
    .uses_dynamic_stack: false
    .vgpr_count:     0
    .vgpr_spill_count: 0
    .wavefront_size: 64
  - .agpr_count:     0
    .args:
      - .offset:         0
        .size:           128
        .value_kind:     by_value
    .group_segment_fixed_size: 0
    .kernarg_segment_align: 8
    .kernarg_segment_size: 128
    .language:       OpenCL C
    .language_version:
      - 2
      - 0
    .max_flat_workgroup_size: 256
    .name:           _ZN7rocprim17ROCPRIM_400000_NS6detail17trampoline_kernelINS0_14default_configENS1_25partition_config_selectorILNS1_17partition_subalgoE2EsNS0_10empty_typeEbEEZZNS1_14partition_implILS5_2ELb0ES3_jN6thrust23THRUST_200600_302600_NS6detail15normal_iteratorINSA_7pointerIsNSA_11hip_rocprim3tagENSA_11use_defaultESG_EEEEPS6_NSA_18transform_iteratorINSA_8identityIsEENSC_INSA_10device_ptrIsEEEESG_SG_EENS0_5tupleIJPsSJ_EEENSR_IJSJ_SJ_EEES6_PlJS6_EEE10hipError_tPvRmT3_T4_T5_T6_T7_T9_mT8_P12ihipStream_tbDpT10_ENKUlT_T0_E_clISt17integral_constantIbLb0EES1F_EEDaS1A_S1B_EUlS1A_E_NS1_11comp_targetILNS1_3genE0ELNS1_11target_archE4294967295ELNS1_3gpuE0ELNS1_3repE0EEENS1_30default_config_static_selectorELNS0_4arch9wavefront6targetE1EEEvT1_
    .private_segment_fixed_size: 0
    .sgpr_count:     4
    .sgpr_spill_count: 0
    .symbol:         _ZN7rocprim17ROCPRIM_400000_NS6detail17trampoline_kernelINS0_14default_configENS1_25partition_config_selectorILNS1_17partition_subalgoE2EsNS0_10empty_typeEbEEZZNS1_14partition_implILS5_2ELb0ES3_jN6thrust23THRUST_200600_302600_NS6detail15normal_iteratorINSA_7pointerIsNSA_11hip_rocprim3tagENSA_11use_defaultESG_EEEEPS6_NSA_18transform_iteratorINSA_8identityIsEENSC_INSA_10device_ptrIsEEEESG_SG_EENS0_5tupleIJPsSJ_EEENSR_IJSJ_SJ_EEES6_PlJS6_EEE10hipError_tPvRmT3_T4_T5_T6_T7_T9_mT8_P12ihipStream_tbDpT10_ENKUlT_T0_E_clISt17integral_constantIbLb0EES1F_EEDaS1A_S1B_EUlS1A_E_NS1_11comp_targetILNS1_3genE0ELNS1_11target_archE4294967295ELNS1_3gpuE0ELNS1_3repE0EEENS1_30default_config_static_selectorELNS0_4arch9wavefront6targetE1EEEvT1_.kd
    .uniform_work_group_size: 1
    .uses_dynamic_stack: false
    .vgpr_count:     0
    .vgpr_spill_count: 0
    .wavefront_size: 64
  - .agpr_count:     0
    .args:
      - .offset:         0
        .size:           128
        .value_kind:     by_value
    .group_segment_fixed_size: 0
    .kernarg_segment_align: 8
    .kernarg_segment_size: 128
    .language:       OpenCL C
    .language_version:
      - 2
      - 0
    .max_flat_workgroup_size: 512
    .name:           _ZN7rocprim17ROCPRIM_400000_NS6detail17trampoline_kernelINS0_14default_configENS1_25partition_config_selectorILNS1_17partition_subalgoE2EsNS0_10empty_typeEbEEZZNS1_14partition_implILS5_2ELb0ES3_jN6thrust23THRUST_200600_302600_NS6detail15normal_iteratorINSA_7pointerIsNSA_11hip_rocprim3tagENSA_11use_defaultESG_EEEEPS6_NSA_18transform_iteratorINSA_8identityIsEENSC_INSA_10device_ptrIsEEEESG_SG_EENS0_5tupleIJPsSJ_EEENSR_IJSJ_SJ_EEES6_PlJS6_EEE10hipError_tPvRmT3_T4_T5_T6_T7_T9_mT8_P12ihipStream_tbDpT10_ENKUlT_T0_E_clISt17integral_constantIbLb0EES1F_EEDaS1A_S1B_EUlS1A_E_NS1_11comp_targetILNS1_3genE5ELNS1_11target_archE942ELNS1_3gpuE9ELNS1_3repE0EEENS1_30default_config_static_selectorELNS0_4arch9wavefront6targetE1EEEvT1_
    .private_segment_fixed_size: 0
    .sgpr_count:     4
    .sgpr_spill_count: 0
    .symbol:         _ZN7rocprim17ROCPRIM_400000_NS6detail17trampoline_kernelINS0_14default_configENS1_25partition_config_selectorILNS1_17partition_subalgoE2EsNS0_10empty_typeEbEEZZNS1_14partition_implILS5_2ELb0ES3_jN6thrust23THRUST_200600_302600_NS6detail15normal_iteratorINSA_7pointerIsNSA_11hip_rocprim3tagENSA_11use_defaultESG_EEEEPS6_NSA_18transform_iteratorINSA_8identityIsEENSC_INSA_10device_ptrIsEEEESG_SG_EENS0_5tupleIJPsSJ_EEENSR_IJSJ_SJ_EEES6_PlJS6_EEE10hipError_tPvRmT3_T4_T5_T6_T7_T9_mT8_P12ihipStream_tbDpT10_ENKUlT_T0_E_clISt17integral_constantIbLb0EES1F_EEDaS1A_S1B_EUlS1A_E_NS1_11comp_targetILNS1_3genE5ELNS1_11target_archE942ELNS1_3gpuE9ELNS1_3repE0EEENS1_30default_config_static_selectorELNS0_4arch9wavefront6targetE1EEEvT1_.kd
    .uniform_work_group_size: 1
    .uses_dynamic_stack: false
    .vgpr_count:     0
    .vgpr_spill_count: 0
    .wavefront_size: 64
  - .agpr_count:     0
    .args:
      - .offset:         0
        .size:           128
        .value_kind:     by_value
    .group_segment_fixed_size: 10248
    .kernarg_segment_align: 8
    .kernarg_segment_size: 128
    .language:       OpenCL C
    .language_version:
      - 2
      - 0
    .max_flat_workgroup_size: 256
    .name:           _ZN7rocprim17ROCPRIM_400000_NS6detail17trampoline_kernelINS0_14default_configENS1_25partition_config_selectorILNS1_17partition_subalgoE2EsNS0_10empty_typeEbEEZZNS1_14partition_implILS5_2ELb0ES3_jN6thrust23THRUST_200600_302600_NS6detail15normal_iteratorINSA_7pointerIsNSA_11hip_rocprim3tagENSA_11use_defaultESG_EEEEPS6_NSA_18transform_iteratorINSA_8identityIsEENSC_INSA_10device_ptrIsEEEESG_SG_EENS0_5tupleIJPsSJ_EEENSR_IJSJ_SJ_EEES6_PlJS6_EEE10hipError_tPvRmT3_T4_T5_T6_T7_T9_mT8_P12ihipStream_tbDpT10_ENKUlT_T0_E_clISt17integral_constantIbLb0EES1F_EEDaS1A_S1B_EUlS1A_E_NS1_11comp_targetILNS1_3genE4ELNS1_11target_archE910ELNS1_3gpuE8ELNS1_3repE0EEENS1_30default_config_static_selectorELNS0_4arch9wavefront6targetE1EEEvT1_
    .private_segment_fixed_size: 0
    .sgpr_count:     50
    .sgpr_spill_count: 0
    .symbol:         _ZN7rocprim17ROCPRIM_400000_NS6detail17trampoline_kernelINS0_14default_configENS1_25partition_config_selectorILNS1_17partition_subalgoE2EsNS0_10empty_typeEbEEZZNS1_14partition_implILS5_2ELb0ES3_jN6thrust23THRUST_200600_302600_NS6detail15normal_iteratorINSA_7pointerIsNSA_11hip_rocprim3tagENSA_11use_defaultESG_EEEEPS6_NSA_18transform_iteratorINSA_8identityIsEENSC_INSA_10device_ptrIsEEEESG_SG_EENS0_5tupleIJPsSJ_EEENSR_IJSJ_SJ_EEES6_PlJS6_EEE10hipError_tPvRmT3_T4_T5_T6_T7_T9_mT8_P12ihipStream_tbDpT10_ENKUlT_T0_E_clISt17integral_constantIbLb0EES1F_EEDaS1A_S1B_EUlS1A_E_NS1_11comp_targetILNS1_3genE4ELNS1_11target_archE910ELNS1_3gpuE8ELNS1_3repE0EEENS1_30default_config_static_selectorELNS0_4arch9wavefront6targetE1EEEvT1_.kd
    .uniform_work_group_size: 1
    .uses_dynamic_stack: false
    .vgpr_count:     65
    .vgpr_spill_count: 0
    .wavefront_size: 64
  - .agpr_count:     0
    .args:
      - .offset:         0
        .size:           128
        .value_kind:     by_value
    .group_segment_fixed_size: 0
    .kernarg_segment_align: 8
    .kernarg_segment_size: 128
    .language:       OpenCL C
    .language_version:
      - 2
      - 0
    .max_flat_workgroup_size: 256
    .name:           _ZN7rocprim17ROCPRIM_400000_NS6detail17trampoline_kernelINS0_14default_configENS1_25partition_config_selectorILNS1_17partition_subalgoE2EsNS0_10empty_typeEbEEZZNS1_14partition_implILS5_2ELb0ES3_jN6thrust23THRUST_200600_302600_NS6detail15normal_iteratorINSA_7pointerIsNSA_11hip_rocprim3tagENSA_11use_defaultESG_EEEEPS6_NSA_18transform_iteratorINSA_8identityIsEENSC_INSA_10device_ptrIsEEEESG_SG_EENS0_5tupleIJPsSJ_EEENSR_IJSJ_SJ_EEES6_PlJS6_EEE10hipError_tPvRmT3_T4_T5_T6_T7_T9_mT8_P12ihipStream_tbDpT10_ENKUlT_T0_E_clISt17integral_constantIbLb0EES1F_EEDaS1A_S1B_EUlS1A_E_NS1_11comp_targetILNS1_3genE3ELNS1_11target_archE908ELNS1_3gpuE7ELNS1_3repE0EEENS1_30default_config_static_selectorELNS0_4arch9wavefront6targetE1EEEvT1_
    .private_segment_fixed_size: 0
    .sgpr_count:     4
    .sgpr_spill_count: 0
    .symbol:         _ZN7rocprim17ROCPRIM_400000_NS6detail17trampoline_kernelINS0_14default_configENS1_25partition_config_selectorILNS1_17partition_subalgoE2EsNS0_10empty_typeEbEEZZNS1_14partition_implILS5_2ELb0ES3_jN6thrust23THRUST_200600_302600_NS6detail15normal_iteratorINSA_7pointerIsNSA_11hip_rocprim3tagENSA_11use_defaultESG_EEEEPS6_NSA_18transform_iteratorINSA_8identityIsEENSC_INSA_10device_ptrIsEEEESG_SG_EENS0_5tupleIJPsSJ_EEENSR_IJSJ_SJ_EEES6_PlJS6_EEE10hipError_tPvRmT3_T4_T5_T6_T7_T9_mT8_P12ihipStream_tbDpT10_ENKUlT_T0_E_clISt17integral_constantIbLb0EES1F_EEDaS1A_S1B_EUlS1A_E_NS1_11comp_targetILNS1_3genE3ELNS1_11target_archE908ELNS1_3gpuE7ELNS1_3repE0EEENS1_30default_config_static_selectorELNS0_4arch9wavefront6targetE1EEEvT1_.kd
    .uniform_work_group_size: 1
    .uses_dynamic_stack: false
    .vgpr_count:     0
    .vgpr_spill_count: 0
    .wavefront_size: 64
  - .agpr_count:     0
    .args:
      - .offset:         0
        .size:           128
        .value_kind:     by_value
    .group_segment_fixed_size: 0
    .kernarg_segment_align: 8
    .kernarg_segment_size: 128
    .language:       OpenCL C
    .language_version:
      - 2
      - 0
    .max_flat_workgroup_size: 256
    .name:           _ZN7rocprim17ROCPRIM_400000_NS6detail17trampoline_kernelINS0_14default_configENS1_25partition_config_selectorILNS1_17partition_subalgoE2EsNS0_10empty_typeEbEEZZNS1_14partition_implILS5_2ELb0ES3_jN6thrust23THRUST_200600_302600_NS6detail15normal_iteratorINSA_7pointerIsNSA_11hip_rocprim3tagENSA_11use_defaultESG_EEEEPS6_NSA_18transform_iteratorINSA_8identityIsEENSC_INSA_10device_ptrIsEEEESG_SG_EENS0_5tupleIJPsSJ_EEENSR_IJSJ_SJ_EEES6_PlJS6_EEE10hipError_tPvRmT3_T4_T5_T6_T7_T9_mT8_P12ihipStream_tbDpT10_ENKUlT_T0_E_clISt17integral_constantIbLb0EES1F_EEDaS1A_S1B_EUlS1A_E_NS1_11comp_targetILNS1_3genE2ELNS1_11target_archE906ELNS1_3gpuE6ELNS1_3repE0EEENS1_30default_config_static_selectorELNS0_4arch9wavefront6targetE1EEEvT1_
    .private_segment_fixed_size: 0
    .sgpr_count:     4
    .sgpr_spill_count: 0
    .symbol:         _ZN7rocprim17ROCPRIM_400000_NS6detail17trampoline_kernelINS0_14default_configENS1_25partition_config_selectorILNS1_17partition_subalgoE2EsNS0_10empty_typeEbEEZZNS1_14partition_implILS5_2ELb0ES3_jN6thrust23THRUST_200600_302600_NS6detail15normal_iteratorINSA_7pointerIsNSA_11hip_rocprim3tagENSA_11use_defaultESG_EEEEPS6_NSA_18transform_iteratorINSA_8identityIsEENSC_INSA_10device_ptrIsEEEESG_SG_EENS0_5tupleIJPsSJ_EEENSR_IJSJ_SJ_EEES6_PlJS6_EEE10hipError_tPvRmT3_T4_T5_T6_T7_T9_mT8_P12ihipStream_tbDpT10_ENKUlT_T0_E_clISt17integral_constantIbLb0EES1F_EEDaS1A_S1B_EUlS1A_E_NS1_11comp_targetILNS1_3genE2ELNS1_11target_archE906ELNS1_3gpuE6ELNS1_3repE0EEENS1_30default_config_static_selectorELNS0_4arch9wavefront6targetE1EEEvT1_.kd
    .uniform_work_group_size: 1
    .uses_dynamic_stack: false
    .vgpr_count:     0
    .vgpr_spill_count: 0
    .wavefront_size: 64
  - .agpr_count:     0
    .args:
      - .offset:         0
        .size:           128
        .value_kind:     by_value
    .group_segment_fixed_size: 0
    .kernarg_segment_align: 8
    .kernarg_segment_size: 128
    .language:       OpenCL C
    .language_version:
      - 2
      - 0
    .max_flat_workgroup_size: 256
    .name:           _ZN7rocprim17ROCPRIM_400000_NS6detail17trampoline_kernelINS0_14default_configENS1_25partition_config_selectorILNS1_17partition_subalgoE2EsNS0_10empty_typeEbEEZZNS1_14partition_implILS5_2ELb0ES3_jN6thrust23THRUST_200600_302600_NS6detail15normal_iteratorINSA_7pointerIsNSA_11hip_rocprim3tagENSA_11use_defaultESG_EEEEPS6_NSA_18transform_iteratorINSA_8identityIsEENSC_INSA_10device_ptrIsEEEESG_SG_EENS0_5tupleIJPsSJ_EEENSR_IJSJ_SJ_EEES6_PlJS6_EEE10hipError_tPvRmT3_T4_T5_T6_T7_T9_mT8_P12ihipStream_tbDpT10_ENKUlT_T0_E_clISt17integral_constantIbLb0EES1F_EEDaS1A_S1B_EUlS1A_E_NS1_11comp_targetILNS1_3genE10ELNS1_11target_archE1200ELNS1_3gpuE4ELNS1_3repE0EEENS1_30default_config_static_selectorELNS0_4arch9wavefront6targetE1EEEvT1_
    .private_segment_fixed_size: 0
    .sgpr_count:     4
    .sgpr_spill_count: 0
    .symbol:         _ZN7rocprim17ROCPRIM_400000_NS6detail17trampoline_kernelINS0_14default_configENS1_25partition_config_selectorILNS1_17partition_subalgoE2EsNS0_10empty_typeEbEEZZNS1_14partition_implILS5_2ELb0ES3_jN6thrust23THRUST_200600_302600_NS6detail15normal_iteratorINSA_7pointerIsNSA_11hip_rocprim3tagENSA_11use_defaultESG_EEEEPS6_NSA_18transform_iteratorINSA_8identityIsEENSC_INSA_10device_ptrIsEEEESG_SG_EENS0_5tupleIJPsSJ_EEENSR_IJSJ_SJ_EEES6_PlJS6_EEE10hipError_tPvRmT3_T4_T5_T6_T7_T9_mT8_P12ihipStream_tbDpT10_ENKUlT_T0_E_clISt17integral_constantIbLb0EES1F_EEDaS1A_S1B_EUlS1A_E_NS1_11comp_targetILNS1_3genE10ELNS1_11target_archE1200ELNS1_3gpuE4ELNS1_3repE0EEENS1_30default_config_static_selectorELNS0_4arch9wavefront6targetE1EEEvT1_.kd
    .uniform_work_group_size: 1
    .uses_dynamic_stack: false
    .vgpr_count:     0
    .vgpr_spill_count: 0
    .wavefront_size: 64
  - .agpr_count:     0
    .args:
      - .offset:         0
        .size:           128
        .value_kind:     by_value
    .group_segment_fixed_size: 0
    .kernarg_segment_align: 8
    .kernarg_segment_size: 128
    .language:       OpenCL C
    .language_version:
      - 2
      - 0
    .max_flat_workgroup_size: 128
    .name:           _ZN7rocprim17ROCPRIM_400000_NS6detail17trampoline_kernelINS0_14default_configENS1_25partition_config_selectorILNS1_17partition_subalgoE2EsNS0_10empty_typeEbEEZZNS1_14partition_implILS5_2ELb0ES3_jN6thrust23THRUST_200600_302600_NS6detail15normal_iteratorINSA_7pointerIsNSA_11hip_rocprim3tagENSA_11use_defaultESG_EEEEPS6_NSA_18transform_iteratorINSA_8identityIsEENSC_INSA_10device_ptrIsEEEESG_SG_EENS0_5tupleIJPsSJ_EEENSR_IJSJ_SJ_EEES6_PlJS6_EEE10hipError_tPvRmT3_T4_T5_T6_T7_T9_mT8_P12ihipStream_tbDpT10_ENKUlT_T0_E_clISt17integral_constantIbLb0EES1F_EEDaS1A_S1B_EUlS1A_E_NS1_11comp_targetILNS1_3genE9ELNS1_11target_archE1100ELNS1_3gpuE3ELNS1_3repE0EEENS1_30default_config_static_selectorELNS0_4arch9wavefront6targetE1EEEvT1_
    .private_segment_fixed_size: 0
    .sgpr_count:     4
    .sgpr_spill_count: 0
    .symbol:         _ZN7rocprim17ROCPRIM_400000_NS6detail17trampoline_kernelINS0_14default_configENS1_25partition_config_selectorILNS1_17partition_subalgoE2EsNS0_10empty_typeEbEEZZNS1_14partition_implILS5_2ELb0ES3_jN6thrust23THRUST_200600_302600_NS6detail15normal_iteratorINSA_7pointerIsNSA_11hip_rocprim3tagENSA_11use_defaultESG_EEEEPS6_NSA_18transform_iteratorINSA_8identityIsEENSC_INSA_10device_ptrIsEEEESG_SG_EENS0_5tupleIJPsSJ_EEENSR_IJSJ_SJ_EEES6_PlJS6_EEE10hipError_tPvRmT3_T4_T5_T6_T7_T9_mT8_P12ihipStream_tbDpT10_ENKUlT_T0_E_clISt17integral_constantIbLb0EES1F_EEDaS1A_S1B_EUlS1A_E_NS1_11comp_targetILNS1_3genE9ELNS1_11target_archE1100ELNS1_3gpuE3ELNS1_3repE0EEENS1_30default_config_static_selectorELNS0_4arch9wavefront6targetE1EEEvT1_.kd
    .uniform_work_group_size: 1
    .uses_dynamic_stack: false
    .vgpr_count:     0
    .vgpr_spill_count: 0
    .wavefront_size: 64
  - .agpr_count:     0
    .args:
      - .offset:         0
        .size:           128
        .value_kind:     by_value
    .group_segment_fixed_size: 0
    .kernarg_segment_align: 8
    .kernarg_segment_size: 128
    .language:       OpenCL C
    .language_version:
      - 2
      - 0
    .max_flat_workgroup_size: 512
    .name:           _ZN7rocprim17ROCPRIM_400000_NS6detail17trampoline_kernelINS0_14default_configENS1_25partition_config_selectorILNS1_17partition_subalgoE2EsNS0_10empty_typeEbEEZZNS1_14partition_implILS5_2ELb0ES3_jN6thrust23THRUST_200600_302600_NS6detail15normal_iteratorINSA_7pointerIsNSA_11hip_rocprim3tagENSA_11use_defaultESG_EEEEPS6_NSA_18transform_iteratorINSA_8identityIsEENSC_INSA_10device_ptrIsEEEESG_SG_EENS0_5tupleIJPsSJ_EEENSR_IJSJ_SJ_EEES6_PlJS6_EEE10hipError_tPvRmT3_T4_T5_T6_T7_T9_mT8_P12ihipStream_tbDpT10_ENKUlT_T0_E_clISt17integral_constantIbLb0EES1F_EEDaS1A_S1B_EUlS1A_E_NS1_11comp_targetILNS1_3genE8ELNS1_11target_archE1030ELNS1_3gpuE2ELNS1_3repE0EEENS1_30default_config_static_selectorELNS0_4arch9wavefront6targetE1EEEvT1_
    .private_segment_fixed_size: 0
    .sgpr_count:     4
    .sgpr_spill_count: 0
    .symbol:         _ZN7rocprim17ROCPRIM_400000_NS6detail17trampoline_kernelINS0_14default_configENS1_25partition_config_selectorILNS1_17partition_subalgoE2EsNS0_10empty_typeEbEEZZNS1_14partition_implILS5_2ELb0ES3_jN6thrust23THRUST_200600_302600_NS6detail15normal_iteratorINSA_7pointerIsNSA_11hip_rocprim3tagENSA_11use_defaultESG_EEEEPS6_NSA_18transform_iteratorINSA_8identityIsEENSC_INSA_10device_ptrIsEEEESG_SG_EENS0_5tupleIJPsSJ_EEENSR_IJSJ_SJ_EEES6_PlJS6_EEE10hipError_tPvRmT3_T4_T5_T6_T7_T9_mT8_P12ihipStream_tbDpT10_ENKUlT_T0_E_clISt17integral_constantIbLb0EES1F_EEDaS1A_S1B_EUlS1A_E_NS1_11comp_targetILNS1_3genE8ELNS1_11target_archE1030ELNS1_3gpuE2ELNS1_3repE0EEENS1_30default_config_static_selectorELNS0_4arch9wavefront6targetE1EEEvT1_.kd
    .uniform_work_group_size: 1
    .uses_dynamic_stack: false
    .vgpr_count:     0
    .vgpr_spill_count: 0
    .wavefront_size: 64
  - .agpr_count:     0
    .args:
      - .offset:         0
        .size:           144
        .value_kind:     by_value
    .group_segment_fixed_size: 0
    .kernarg_segment_align: 8
    .kernarg_segment_size: 144
    .language:       OpenCL C
    .language_version:
      - 2
      - 0
    .max_flat_workgroup_size: 256
    .name:           _ZN7rocprim17ROCPRIM_400000_NS6detail17trampoline_kernelINS0_14default_configENS1_25partition_config_selectorILNS1_17partition_subalgoE2EsNS0_10empty_typeEbEEZZNS1_14partition_implILS5_2ELb0ES3_jN6thrust23THRUST_200600_302600_NS6detail15normal_iteratorINSA_7pointerIsNSA_11hip_rocprim3tagENSA_11use_defaultESG_EEEEPS6_NSA_18transform_iteratorINSA_8identityIsEENSC_INSA_10device_ptrIsEEEESG_SG_EENS0_5tupleIJPsSJ_EEENSR_IJSJ_SJ_EEES6_PlJS6_EEE10hipError_tPvRmT3_T4_T5_T6_T7_T9_mT8_P12ihipStream_tbDpT10_ENKUlT_T0_E_clISt17integral_constantIbLb1EES1F_EEDaS1A_S1B_EUlS1A_E_NS1_11comp_targetILNS1_3genE0ELNS1_11target_archE4294967295ELNS1_3gpuE0ELNS1_3repE0EEENS1_30default_config_static_selectorELNS0_4arch9wavefront6targetE1EEEvT1_
    .private_segment_fixed_size: 0
    .sgpr_count:     4
    .sgpr_spill_count: 0
    .symbol:         _ZN7rocprim17ROCPRIM_400000_NS6detail17trampoline_kernelINS0_14default_configENS1_25partition_config_selectorILNS1_17partition_subalgoE2EsNS0_10empty_typeEbEEZZNS1_14partition_implILS5_2ELb0ES3_jN6thrust23THRUST_200600_302600_NS6detail15normal_iteratorINSA_7pointerIsNSA_11hip_rocprim3tagENSA_11use_defaultESG_EEEEPS6_NSA_18transform_iteratorINSA_8identityIsEENSC_INSA_10device_ptrIsEEEESG_SG_EENS0_5tupleIJPsSJ_EEENSR_IJSJ_SJ_EEES6_PlJS6_EEE10hipError_tPvRmT3_T4_T5_T6_T7_T9_mT8_P12ihipStream_tbDpT10_ENKUlT_T0_E_clISt17integral_constantIbLb1EES1F_EEDaS1A_S1B_EUlS1A_E_NS1_11comp_targetILNS1_3genE0ELNS1_11target_archE4294967295ELNS1_3gpuE0ELNS1_3repE0EEENS1_30default_config_static_selectorELNS0_4arch9wavefront6targetE1EEEvT1_.kd
    .uniform_work_group_size: 1
    .uses_dynamic_stack: false
    .vgpr_count:     0
    .vgpr_spill_count: 0
    .wavefront_size: 64
  - .agpr_count:     0
    .args:
      - .offset:         0
        .size:           144
        .value_kind:     by_value
    .group_segment_fixed_size: 0
    .kernarg_segment_align: 8
    .kernarg_segment_size: 144
    .language:       OpenCL C
    .language_version:
      - 2
      - 0
    .max_flat_workgroup_size: 512
    .name:           _ZN7rocprim17ROCPRIM_400000_NS6detail17trampoline_kernelINS0_14default_configENS1_25partition_config_selectorILNS1_17partition_subalgoE2EsNS0_10empty_typeEbEEZZNS1_14partition_implILS5_2ELb0ES3_jN6thrust23THRUST_200600_302600_NS6detail15normal_iteratorINSA_7pointerIsNSA_11hip_rocprim3tagENSA_11use_defaultESG_EEEEPS6_NSA_18transform_iteratorINSA_8identityIsEENSC_INSA_10device_ptrIsEEEESG_SG_EENS0_5tupleIJPsSJ_EEENSR_IJSJ_SJ_EEES6_PlJS6_EEE10hipError_tPvRmT3_T4_T5_T6_T7_T9_mT8_P12ihipStream_tbDpT10_ENKUlT_T0_E_clISt17integral_constantIbLb1EES1F_EEDaS1A_S1B_EUlS1A_E_NS1_11comp_targetILNS1_3genE5ELNS1_11target_archE942ELNS1_3gpuE9ELNS1_3repE0EEENS1_30default_config_static_selectorELNS0_4arch9wavefront6targetE1EEEvT1_
    .private_segment_fixed_size: 0
    .sgpr_count:     4
    .sgpr_spill_count: 0
    .symbol:         _ZN7rocprim17ROCPRIM_400000_NS6detail17trampoline_kernelINS0_14default_configENS1_25partition_config_selectorILNS1_17partition_subalgoE2EsNS0_10empty_typeEbEEZZNS1_14partition_implILS5_2ELb0ES3_jN6thrust23THRUST_200600_302600_NS6detail15normal_iteratorINSA_7pointerIsNSA_11hip_rocprim3tagENSA_11use_defaultESG_EEEEPS6_NSA_18transform_iteratorINSA_8identityIsEENSC_INSA_10device_ptrIsEEEESG_SG_EENS0_5tupleIJPsSJ_EEENSR_IJSJ_SJ_EEES6_PlJS6_EEE10hipError_tPvRmT3_T4_T5_T6_T7_T9_mT8_P12ihipStream_tbDpT10_ENKUlT_T0_E_clISt17integral_constantIbLb1EES1F_EEDaS1A_S1B_EUlS1A_E_NS1_11comp_targetILNS1_3genE5ELNS1_11target_archE942ELNS1_3gpuE9ELNS1_3repE0EEENS1_30default_config_static_selectorELNS0_4arch9wavefront6targetE1EEEvT1_.kd
    .uniform_work_group_size: 1
    .uses_dynamic_stack: false
    .vgpr_count:     0
    .vgpr_spill_count: 0
    .wavefront_size: 64
  - .agpr_count:     0
    .args:
      - .offset:         0
        .size:           144
        .value_kind:     by_value
    .group_segment_fixed_size: 10248
    .kernarg_segment_align: 8
    .kernarg_segment_size: 144
    .language:       OpenCL C
    .language_version:
      - 2
      - 0
    .max_flat_workgroup_size: 256
    .name:           _ZN7rocprim17ROCPRIM_400000_NS6detail17trampoline_kernelINS0_14default_configENS1_25partition_config_selectorILNS1_17partition_subalgoE2EsNS0_10empty_typeEbEEZZNS1_14partition_implILS5_2ELb0ES3_jN6thrust23THRUST_200600_302600_NS6detail15normal_iteratorINSA_7pointerIsNSA_11hip_rocprim3tagENSA_11use_defaultESG_EEEEPS6_NSA_18transform_iteratorINSA_8identityIsEENSC_INSA_10device_ptrIsEEEESG_SG_EENS0_5tupleIJPsSJ_EEENSR_IJSJ_SJ_EEES6_PlJS6_EEE10hipError_tPvRmT3_T4_T5_T6_T7_T9_mT8_P12ihipStream_tbDpT10_ENKUlT_T0_E_clISt17integral_constantIbLb1EES1F_EEDaS1A_S1B_EUlS1A_E_NS1_11comp_targetILNS1_3genE4ELNS1_11target_archE910ELNS1_3gpuE8ELNS1_3repE0EEENS1_30default_config_static_selectorELNS0_4arch9wavefront6targetE1EEEvT1_
    .private_segment_fixed_size: 0
    .sgpr_count:     50
    .sgpr_spill_count: 0
    .symbol:         _ZN7rocprim17ROCPRIM_400000_NS6detail17trampoline_kernelINS0_14default_configENS1_25partition_config_selectorILNS1_17partition_subalgoE2EsNS0_10empty_typeEbEEZZNS1_14partition_implILS5_2ELb0ES3_jN6thrust23THRUST_200600_302600_NS6detail15normal_iteratorINSA_7pointerIsNSA_11hip_rocprim3tagENSA_11use_defaultESG_EEEEPS6_NSA_18transform_iteratorINSA_8identityIsEENSC_INSA_10device_ptrIsEEEESG_SG_EENS0_5tupleIJPsSJ_EEENSR_IJSJ_SJ_EEES6_PlJS6_EEE10hipError_tPvRmT3_T4_T5_T6_T7_T9_mT8_P12ihipStream_tbDpT10_ENKUlT_T0_E_clISt17integral_constantIbLb1EES1F_EEDaS1A_S1B_EUlS1A_E_NS1_11comp_targetILNS1_3genE4ELNS1_11target_archE910ELNS1_3gpuE8ELNS1_3repE0EEENS1_30default_config_static_selectorELNS0_4arch9wavefront6targetE1EEEvT1_.kd
    .uniform_work_group_size: 1
    .uses_dynamic_stack: false
    .vgpr_count:     67
    .vgpr_spill_count: 0
    .wavefront_size: 64
  - .agpr_count:     0
    .args:
      - .offset:         0
        .size:           144
        .value_kind:     by_value
    .group_segment_fixed_size: 0
    .kernarg_segment_align: 8
    .kernarg_segment_size: 144
    .language:       OpenCL C
    .language_version:
      - 2
      - 0
    .max_flat_workgroup_size: 256
    .name:           _ZN7rocprim17ROCPRIM_400000_NS6detail17trampoline_kernelINS0_14default_configENS1_25partition_config_selectorILNS1_17partition_subalgoE2EsNS0_10empty_typeEbEEZZNS1_14partition_implILS5_2ELb0ES3_jN6thrust23THRUST_200600_302600_NS6detail15normal_iteratorINSA_7pointerIsNSA_11hip_rocprim3tagENSA_11use_defaultESG_EEEEPS6_NSA_18transform_iteratorINSA_8identityIsEENSC_INSA_10device_ptrIsEEEESG_SG_EENS0_5tupleIJPsSJ_EEENSR_IJSJ_SJ_EEES6_PlJS6_EEE10hipError_tPvRmT3_T4_T5_T6_T7_T9_mT8_P12ihipStream_tbDpT10_ENKUlT_T0_E_clISt17integral_constantIbLb1EES1F_EEDaS1A_S1B_EUlS1A_E_NS1_11comp_targetILNS1_3genE3ELNS1_11target_archE908ELNS1_3gpuE7ELNS1_3repE0EEENS1_30default_config_static_selectorELNS0_4arch9wavefront6targetE1EEEvT1_
    .private_segment_fixed_size: 0
    .sgpr_count:     4
    .sgpr_spill_count: 0
    .symbol:         _ZN7rocprim17ROCPRIM_400000_NS6detail17trampoline_kernelINS0_14default_configENS1_25partition_config_selectorILNS1_17partition_subalgoE2EsNS0_10empty_typeEbEEZZNS1_14partition_implILS5_2ELb0ES3_jN6thrust23THRUST_200600_302600_NS6detail15normal_iteratorINSA_7pointerIsNSA_11hip_rocprim3tagENSA_11use_defaultESG_EEEEPS6_NSA_18transform_iteratorINSA_8identityIsEENSC_INSA_10device_ptrIsEEEESG_SG_EENS0_5tupleIJPsSJ_EEENSR_IJSJ_SJ_EEES6_PlJS6_EEE10hipError_tPvRmT3_T4_T5_T6_T7_T9_mT8_P12ihipStream_tbDpT10_ENKUlT_T0_E_clISt17integral_constantIbLb1EES1F_EEDaS1A_S1B_EUlS1A_E_NS1_11comp_targetILNS1_3genE3ELNS1_11target_archE908ELNS1_3gpuE7ELNS1_3repE0EEENS1_30default_config_static_selectorELNS0_4arch9wavefront6targetE1EEEvT1_.kd
    .uniform_work_group_size: 1
    .uses_dynamic_stack: false
    .vgpr_count:     0
    .vgpr_spill_count: 0
    .wavefront_size: 64
  - .agpr_count:     0
    .args:
      - .offset:         0
        .size:           144
        .value_kind:     by_value
    .group_segment_fixed_size: 0
    .kernarg_segment_align: 8
    .kernarg_segment_size: 144
    .language:       OpenCL C
    .language_version:
      - 2
      - 0
    .max_flat_workgroup_size: 256
    .name:           _ZN7rocprim17ROCPRIM_400000_NS6detail17trampoline_kernelINS0_14default_configENS1_25partition_config_selectorILNS1_17partition_subalgoE2EsNS0_10empty_typeEbEEZZNS1_14partition_implILS5_2ELb0ES3_jN6thrust23THRUST_200600_302600_NS6detail15normal_iteratorINSA_7pointerIsNSA_11hip_rocprim3tagENSA_11use_defaultESG_EEEEPS6_NSA_18transform_iteratorINSA_8identityIsEENSC_INSA_10device_ptrIsEEEESG_SG_EENS0_5tupleIJPsSJ_EEENSR_IJSJ_SJ_EEES6_PlJS6_EEE10hipError_tPvRmT3_T4_T5_T6_T7_T9_mT8_P12ihipStream_tbDpT10_ENKUlT_T0_E_clISt17integral_constantIbLb1EES1F_EEDaS1A_S1B_EUlS1A_E_NS1_11comp_targetILNS1_3genE2ELNS1_11target_archE906ELNS1_3gpuE6ELNS1_3repE0EEENS1_30default_config_static_selectorELNS0_4arch9wavefront6targetE1EEEvT1_
    .private_segment_fixed_size: 0
    .sgpr_count:     4
    .sgpr_spill_count: 0
    .symbol:         _ZN7rocprim17ROCPRIM_400000_NS6detail17trampoline_kernelINS0_14default_configENS1_25partition_config_selectorILNS1_17partition_subalgoE2EsNS0_10empty_typeEbEEZZNS1_14partition_implILS5_2ELb0ES3_jN6thrust23THRUST_200600_302600_NS6detail15normal_iteratorINSA_7pointerIsNSA_11hip_rocprim3tagENSA_11use_defaultESG_EEEEPS6_NSA_18transform_iteratorINSA_8identityIsEENSC_INSA_10device_ptrIsEEEESG_SG_EENS0_5tupleIJPsSJ_EEENSR_IJSJ_SJ_EEES6_PlJS6_EEE10hipError_tPvRmT3_T4_T5_T6_T7_T9_mT8_P12ihipStream_tbDpT10_ENKUlT_T0_E_clISt17integral_constantIbLb1EES1F_EEDaS1A_S1B_EUlS1A_E_NS1_11comp_targetILNS1_3genE2ELNS1_11target_archE906ELNS1_3gpuE6ELNS1_3repE0EEENS1_30default_config_static_selectorELNS0_4arch9wavefront6targetE1EEEvT1_.kd
    .uniform_work_group_size: 1
    .uses_dynamic_stack: false
    .vgpr_count:     0
    .vgpr_spill_count: 0
    .wavefront_size: 64
  - .agpr_count:     0
    .args:
      - .offset:         0
        .size:           144
        .value_kind:     by_value
    .group_segment_fixed_size: 0
    .kernarg_segment_align: 8
    .kernarg_segment_size: 144
    .language:       OpenCL C
    .language_version:
      - 2
      - 0
    .max_flat_workgroup_size: 256
    .name:           _ZN7rocprim17ROCPRIM_400000_NS6detail17trampoline_kernelINS0_14default_configENS1_25partition_config_selectorILNS1_17partition_subalgoE2EsNS0_10empty_typeEbEEZZNS1_14partition_implILS5_2ELb0ES3_jN6thrust23THRUST_200600_302600_NS6detail15normal_iteratorINSA_7pointerIsNSA_11hip_rocprim3tagENSA_11use_defaultESG_EEEEPS6_NSA_18transform_iteratorINSA_8identityIsEENSC_INSA_10device_ptrIsEEEESG_SG_EENS0_5tupleIJPsSJ_EEENSR_IJSJ_SJ_EEES6_PlJS6_EEE10hipError_tPvRmT3_T4_T5_T6_T7_T9_mT8_P12ihipStream_tbDpT10_ENKUlT_T0_E_clISt17integral_constantIbLb1EES1F_EEDaS1A_S1B_EUlS1A_E_NS1_11comp_targetILNS1_3genE10ELNS1_11target_archE1200ELNS1_3gpuE4ELNS1_3repE0EEENS1_30default_config_static_selectorELNS0_4arch9wavefront6targetE1EEEvT1_
    .private_segment_fixed_size: 0
    .sgpr_count:     4
    .sgpr_spill_count: 0
    .symbol:         _ZN7rocprim17ROCPRIM_400000_NS6detail17trampoline_kernelINS0_14default_configENS1_25partition_config_selectorILNS1_17partition_subalgoE2EsNS0_10empty_typeEbEEZZNS1_14partition_implILS5_2ELb0ES3_jN6thrust23THRUST_200600_302600_NS6detail15normal_iteratorINSA_7pointerIsNSA_11hip_rocprim3tagENSA_11use_defaultESG_EEEEPS6_NSA_18transform_iteratorINSA_8identityIsEENSC_INSA_10device_ptrIsEEEESG_SG_EENS0_5tupleIJPsSJ_EEENSR_IJSJ_SJ_EEES6_PlJS6_EEE10hipError_tPvRmT3_T4_T5_T6_T7_T9_mT8_P12ihipStream_tbDpT10_ENKUlT_T0_E_clISt17integral_constantIbLb1EES1F_EEDaS1A_S1B_EUlS1A_E_NS1_11comp_targetILNS1_3genE10ELNS1_11target_archE1200ELNS1_3gpuE4ELNS1_3repE0EEENS1_30default_config_static_selectorELNS0_4arch9wavefront6targetE1EEEvT1_.kd
    .uniform_work_group_size: 1
    .uses_dynamic_stack: false
    .vgpr_count:     0
    .vgpr_spill_count: 0
    .wavefront_size: 64
  - .agpr_count:     0
    .args:
      - .offset:         0
        .size:           144
        .value_kind:     by_value
    .group_segment_fixed_size: 0
    .kernarg_segment_align: 8
    .kernarg_segment_size: 144
    .language:       OpenCL C
    .language_version:
      - 2
      - 0
    .max_flat_workgroup_size: 128
    .name:           _ZN7rocprim17ROCPRIM_400000_NS6detail17trampoline_kernelINS0_14default_configENS1_25partition_config_selectorILNS1_17partition_subalgoE2EsNS0_10empty_typeEbEEZZNS1_14partition_implILS5_2ELb0ES3_jN6thrust23THRUST_200600_302600_NS6detail15normal_iteratorINSA_7pointerIsNSA_11hip_rocprim3tagENSA_11use_defaultESG_EEEEPS6_NSA_18transform_iteratorINSA_8identityIsEENSC_INSA_10device_ptrIsEEEESG_SG_EENS0_5tupleIJPsSJ_EEENSR_IJSJ_SJ_EEES6_PlJS6_EEE10hipError_tPvRmT3_T4_T5_T6_T7_T9_mT8_P12ihipStream_tbDpT10_ENKUlT_T0_E_clISt17integral_constantIbLb1EES1F_EEDaS1A_S1B_EUlS1A_E_NS1_11comp_targetILNS1_3genE9ELNS1_11target_archE1100ELNS1_3gpuE3ELNS1_3repE0EEENS1_30default_config_static_selectorELNS0_4arch9wavefront6targetE1EEEvT1_
    .private_segment_fixed_size: 0
    .sgpr_count:     4
    .sgpr_spill_count: 0
    .symbol:         _ZN7rocprim17ROCPRIM_400000_NS6detail17trampoline_kernelINS0_14default_configENS1_25partition_config_selectorILNS1_17partition_subalgoE2EsNS0_10empty_typeEbEEZZNS1_14partition_implILS5_2ELb0ES3_jN6thrust23THRUST_200600_302600_NS6detail15normal_iteratorINSA_7pointerIsNSA_11hip_rocprim3tagENSA_11use_defaultESG_EEEEPS6_NSA_18transform_iteratorINSA_8identityIsEENSC_INSA_10device_ptrIsEEEESG_SG_EENS0_5tupleIJPsSJ_EEENSR_IJSJ_SJ_EEES6_PlJS6_EEE10hipError_tPvRmT3_T4_T5_T6_T7_T9_mT8_P12ihipStream_tbDpT10_ENKUlT_T0_E_clISt17integral_constantIbLb1EES1F_EEDaS1A_S1B_EUlS1A_E_NS1_11comp_targetILNS1_3genE9ELNS1_11target_archE1100ELNS1_3gpuE3ELNS1_3repE0EEENS1_30default_config_static_selectorELNS0_4arch9wavefront6targetE1EEEvT1_.kd
    .uniform_work_group_size: 1
    .uses_dynamic_stack: false
    .vgpr_count:     0
    .vgpr_spill_count: 0
    .wavefront_size: 64
  - .agpr_count:     0
    .args:
      - .offset:         0
        .size:           144
        .value_kind:     by_value
    .group_segment_fixed_size: 0
    .kernarg_segment_align: 8
    .kernarg_segment_size: 144
    .language:       OpenCL C
    .language_version:
      - 2
      - 0
    .max_flat_workgroup_size: 512
    .name:           _ZN7rocprim17ROCPRIM_400000_NS6detail17trampoline_kernelINS0_14default_configENS1_25partition_config_selectorILNS1_17partition_subalgoE2EsNS0_10empty_typeEbEEZZNS1_14partition_implILS5_2ELb0ES3_jN6thrust23THRUST_200600_302600_NS6detail15normal_iteratorINSA_7pointerIsNSA_11hip_rocprim3tagENSA_11use_defaultESG_EEEEPS6_NSA_18transform_iteratorINSA_8identityIsEENSC_INSA_10device_ptrIsEEEESG_SG_EENS0_5tupleIJPsSJ_EEENSR_IJSJ_SJ_EEES6_PlJS6_EEE10hipError_tPvRmT3_T4_T5_T6_T7_T9_mT8_P12ihipStream_tbDpT10_ENKUlT_T0_E_clISt17integral_constantIbLb1EES1F_EEDaS1A_S1B_EUlS1A_E_NS1_11comp_targetILNS1_3genE8ELNS1_11target_archE1030ELNS1_3gpuE2ELNS1_3repE0EEENS1_30default_config_static_selectorELNS0_4arch9wavefront6targetE1EEEvT1_
    .private_segment_fixed_size: 0
    .sgpr_count:     4
    .sgpr_spill_count: 0
    .symbol:         _ZN7rocprim17ROCPRIM_400000_NS6detail17trampoline_kernelINS0_14default_configENS1_25partition_config_selectorILNS1_17partition_subalgoE2EsNS0_10empty_typeEbEEZZNS1_14partition_implILS5_2ELb0ES3_jN6thrust23THRUST_200600_302600_NS6detail15normal_iteratorINSA_7pointerIsNSA_11hip_rocprim3tagENSA_11use_defaultESG_EEEEPS6_NSA_18transform_iteratorINSA_8identityIsEENSC_INSA_10device_ptrIsEEEESG_SG_EENS0_5tupleIJPsSJ_EEENSR_IJSJ_SJ_EEES6_PlJS6_EEE10hipError_tPvRmT3_T4_T5_T6_T7_T9_mT8_P12ihipStream_tbDpT10_ENKUlT_T0_E_clISt17integral_constantIbLb1EES1F_EEDaS1A_S1B_EUlS1A_E_NS1_11comp_targetILNS1_3genE8ELNS1_11target_archE1030ELNS1_3gpuE2ELNS1_3repE0EEENS1_30default_config_static_selectorELNS0_4arch9wavefront6targetE1EEEvT1_.kd
    .uniform_work_group_size: 1
    .uses_dynamic_stack: false
    .vgpr_count:     0
    .vgpr_spill_count: 0
    .wavefront_size: 64
  - .agpr_count:     0
    .args:
      - .offset:         0
        .size:           128
        .value_kind:     by_value
    .group_segment_fixed_size: 0
    .kernarg_segment_align: 8
    .kernarg_segment_size: 128
    .language:       OpenCL C
    .language_version:
      - 2
      - 0
    .max_flat_workgroup_size: 256
    .name:           _ZN7rocprim17ROCPRIM_400000_NS6detail17trampoline_kernelINS0_14default_configENS1_25partition_config_selectorILNS1_17partition_subalgoE2EsNS0_10empty_typeEbEEZZNS1_14partition_implILS5_2ELb0ES3_jN6thrust23THRUST_200600_302600_NS6detail15normal_iteratorINSA_7pointerIsNSA_11hip_rocprim3tagENSA_11use_defaultESG_EEEEPS6_NSA_18transform_iteratorINSA_8identityIsEENSC_INSA_10device_ptrIsEEEESG_SG_EENS0_5tupleIJPsSJ_EEENSR_IJSJ_SJ_EEES6_PlJS6_EEE10hipError_tPvRmT3_T4_T5_T6_T7_T9_mT8_P12ihipStream_tbDpT10_ENKUlT_T0_E_clISt17integral_constantIbLb1EES1E_IbLb0EEEEDaS1A_S1B_EUlS1A_E_NS1_11comp_targetILNS1_3genE0ELNS1_11target_archE4294967295ELNS1_3gpuE0ELNS1_3repE0EEENS1_30default_config_static_selectorELNS0_4arch9wavefront6targetE1EEEvT1_
    .private_segment_fixed_size: 0
    .sgpr_count:     4
    .sgpr_spill_count: 0
    .symbol:         _ZN7rocprim17ROCPRIM_400000_NS6detail17trampoline_kernelINS0_14default_configENS1_25partition_config_selectorILNS1_17partition_subalgoE2EsNS0_10empty_typeEbEEZZNS1_14partition_implILS5_2ELb0ES3_jN6thrust23THRUST_200600_302600_NS6detail15normal_iteratorINSA_7pointerIsNSA_11hip_rocprim3tagENSA_11use_defaultESG_EEEEPS6_NSA_18transform_iteratorINSA_8identityIsEENSC_INSA_10device_ptrIsEEEESG_SG_EENS0_5tupleIJPsSJ_EEENSR_IJSJ_SJ_EEES6_PlJS6_EEE10hipError_tPvRmT3_T4_T5_T6_T7_T9_mT8_P12ihipStream_tbDpT10_ENKUlT_T0_E_clISt17integral_constantIbLb1EES1E_IbLb0EEEEDaS1A_S1B_EUlS1A_E_NS1_11comp_targetILNS1_3genE0ELNS1_11target_archE4294967295ELNS1_3gpuE0ELNS1_3repE0EEENS1_30default_config_static_selectorELNS0_4arch9wavefront6targetE1EEEvT1_.kd
    .uniform_work_group_size: 1
    .uses_dynamic_stack: false
    .vgpr_count:     0
    .vgpr_spill_count: 0
    .wavefront_size: 64
  - .agpr_count:     0
    .args:
      - .offset:         0
        .size:           128
        .value_kind:     by_value
    .group_segment_fixed_size: 0
    .kernarg_segment_align: 8
    .kernarg_segment_size: 128
    .language:       OpenCL C
    .language_version:
      - 2
      - 0
    .max_flat_workgroup_size: 512
    .name:           _ZN7rocprim17ROCPRIM_400000_NS6detail17trampoline_kernelINS0_14default_configENS1_25partition_config_selectorILNS1_17partition_subalgoE2EsNS0_10empty_typeEbEEZZNS1_14partition_implILS5_2ELb0ES3_jN6thrust23THRUST_200600_302600_NS6detail15normal_iteratorINSA_7pointerIsNSA_11hip_rocprim3tagENSA_11use_defaultESG_EEEEPS6_NSA_18transform_iteratorINSA_8identityIsEENSC_INSA_10device_ptrIsEEEESG_SG_EENS0_5tupleIJPsSJ_EEENSR_IJSJ_SJ_EEES6_PlJS6_EEE10hipError_tPvRmT3_T4_T5_T6_T7_T9_mT8_P12ihipStream_tbDpT10_ENKUlT_T0_E_clISt17integral_constantIbLb1EES1E_IbLb0EEEEDaS1A_S1B_EUlS1A_E_NS1_11comp_targetILNS1_3genE5ELNS1_11target_archE942ELNS1_3gpuE9ELNS1_3repE0EEENS1_30default_config_static_selectorELNS0_4arch9wavefront6targetE1EEEvT1_
    .private_segment_fixed_size: 0
    .sgpr_count:     4
    .sgpr_spill_count: 0
    .symbol:         _ZN7rocprim17ROCPRIM_400000_NS6detail17trampoline_kernelINS0_14default_configENS1_25partition_config_selectorILNS1_17partition_subalgoE2EsNS0_10empty_typeEbEEZZNS1_14partition_implILS5_2ELb0ES3_jN6thrust23THRUST_200600_302600_NS6detail15normal_iteratorINSA_7pointerIsNSA_11hip_rocprim3tagENSA_11use_defaultESG_EEEEPS6_NSA_18transform_iteratorINSA_8identityIsEENSC_INSA_10device_ptrIsEEEESG_SG_EENS0_5tupleIJPsSJ_EEENSR_IJSJ_SJ_EEES6_PlJS6_EEE10hipError_tPvRmT3_T4_T5_T6_T7_T9_mT8_P12ihipStream_tbDpT10_ENKUlT_T0_E_clISt17integral_constantIbLb1EES1E_IbLb0EEEEDaS1A_S1B_EUlS1A_E_NS1_11comp_targetILNS1_3genE5ELNS1_11target_archE942ELNS1_3gpuE9ELNS1_3repE0EEENS1_30default_config_static_selectorELNS0_4arch9wavefront6targetE1EEEvT1_.kd
    .uniform_work_group_size: 1
    .uses_dynamic_stack: false
    .vgpr_count:     0
    .vgpr_spill_count: 0
    .wavefront_size: 64
  - .agpr_count:     0
    .args:
      - .offset:         0
        .size:           128
        .value_kind:     by_value
    .group_segment_fixed_size: 10248
    .kernarg_segment_align: 8
    .kernarg_segment_size: 128
    .language:       OpenCL C
    .language_version:
      - 2
      - 0
    .max_flat_workgroup_size: 256
    .name:           _ZN7rocprim17ROCPRIM_400000_NS6detail17trampoline_kernelINS0_14default_configENS1_25partition_config_selectorILNS1_17partition_subalgoE2EsNS0_10empty_typeEbEEZZNS1_14partition_implILS5_2ELb0ES3_jN6thrust23THRUST_200600_302600_NS6detail15normal_iteratorINSA_7pointerIsNSA_11hip_rocprim3tagENSA_11use_defaultESG_EEEEPS6_NSA_18transform_iteratorINSA_8identityIsEENSC_INSA_10device_ptrIsEEEESG_SG_EENS0_5tupleIJPsSJ_EEENSR_IJSJ_SJ_EEES6_PlJS6_EEE10hipError_tPvRmT3_T4_T5_T6_T7_T9_mT8_P12ihipStream_tbDpT10_ENKUlT_T0_E_clISt17integral_constantIbLb1EES1E_IbLb0EEEEDaS1A_S1B_EUlS1A_E_NS1_11comp_targetILNS1_3genE4ELNS1_11target_archE910ELNS1_3gpuE8ELNS1_3repE0EEENS1_30default_config_static_selectorELNS0_4arch9wavefront6targetE1EEEvT1_
    .private_segment_fixed_size: 0
    .sgpr_count:     50
    .sgpr_spill_count: 0
    .symbol:         _ZN7rocprim17ROCPRIM_400000_NS6detail17trampoline_kernelINS0_14default_configENS1_25partition_config_selectorILNS1_17partition_subalgoE2EsNS0_10empty_typeEbEEZZNS1_14partition_implILS5_2ELb0ES3_jN6thrust23THRUST_200600_302600_NS6detail15normal_iteratorINSA_7pointerIsNSA_11hip_rocprim3tagENSA_11use_defaultESG_EEEEPS6_NSA_18transform_iteratorINSA_8identityIsEENSC_INSA_10device_ptrIsEEEESG_SG_EENS0_5tupleIJPsSJ_EEENSR_IJSJ_SJ_EEES6_PlJS6_EEE10hipError_tPvRmT3_T4_T5_T6_T7_T9_mT8_P12ihipStream_tbDpT10_ENKUlT_T0_E_clISt17integral_constantIbLb1EES1E_IbLb0EEEEDaS1A_S1B_EUlS1A_E_NS1_11comp_targetILNS1_3genE4ELNS1_11target_archE910ELNS1_3gpuE8ELNS1_3repE0EEENS1_30default_config_static_selectorELNS0_4arch9wavefront6targetE1EEEvT1_.kd
    .uniform_work_group_size: 1
    .uses_dynamic_stack: false
    .vgpr_count:     65
    .vgpr_spill_count: 0
    .wavefront_size: 64
  - .agpr_count:     0
    .args:
      - .offset:         0
        .size:           128
        .value_kind:     by_value
    .group_segment_fixed_size: 0
    .kernarg_segment_align: 8
    .kernarg_segment_size: 128
    .language:       OpenCL C
    .language_version:
      - 2
      - 0
    .max_flat_workgroup_size: 256
    .name:           _ZN7rocprim17ROCPRIM_400000_NS6detail17trampoline_kernelINS0_14default_configENS1_25partition_config_selectorILNS1_17partition_subalgoE2EsNS0_10empty_typeEbEEZZNS1_14partition_implILS5_2ELb0ES3_jN6thrust23THRUST_200600_302600_NS6detail15normal_iteratorINSA_7pointerIsNSA_11hip_rocprim3tagENSA_11use_defaultESG_EEEEPS6_NSA_18transform_iteratorINSA_8identityIsEENSC_INSA_10device_ptrIsEEEESG_SG_EENS0_5tupleIJPsSJ_EEENSR_IJSJ_SJ_EEES6_PlJS6_EEE10hipError_tPvRmT3_T4_T5_T6_T7_T9_mT8_P12ihipStream_tbDpT10_ENKUlT_T0_E_clISt17integral_constantIbLb1EES1E_IbLb0EEEEDaS1A_S1B_EUlS1A_E_NS1_11comp_targetILNS1_3genE3ELNS1_11target_archE908ELNS1_3gpuE7ELNS1_3repE0EEENS1_30default_config_static_selectorELNS0_4arch9wavefront6targetE1EEEvT1_
    .private_segment_fixed_size: 0
    .sgpr_count:     4
    .sgpr_spill_count: 0
    .symbol:         _ZN7rocprim17ROCPRIM_400000_NS6detail17trampoline_kernelINS0_14default_configENS1_25partition_config_selectorILNS1_17partition_subalgoE2EsNS0_10empty_typeEbEEZZNS1_14partition_implILS5_2ELb0ES3_jN6thrust23THRUST_200600_302600_NS6detail15normal_iteratorINSA_7pointerIsNSA_11hip_rocprim3tagENSA_11use_defaultESG_EEEEPS6_NSA_18transform_iteratorINSA_8identityIsEENSC_INSA_10device_ptrIsEEEESG_SG_EENS0_5tupleIJPsSJ_EEENSR_IJSJ_SJ_EEES6_PlJS6_EEE10hipError_tPvRmT3_T4_T5_T6_T7_T9_mT8_P12ihipStream_tbDpT10_ENKUlT_T0_E_clISt17integral_constantIbLb1EES1E_IbLb0EEEEDaS1A_S1B_EUlS1A_E_NS1_11comp_targetILNS1_3genE3ELNS1_11target_archE908ELNS1_3gpuE7ELNS1_3repE0EEENS1_30default_config_static_selectorELNS0_4arch9wavefront6targetE1EEEvT1_.kd
    .uniform_work_group_size: 1
    .uses_dynamic_stack: false
    .vgpr_count:     0
    .vgpr_spill_count: 0
    .wavefront_size: 64
  - .agpr_count:     0
    .args:
      - .offset:         0
        .size:           128
        .value_kind:     by_value
    .group_segment_fixed_size: 0
    .kernarg_segment_align: 8
    .kernarg_segment_size: 128
    .language:       OpenCL C
    .language_version:
      - 2
      - 0
    .max_flat_workgroup_size: 256
    .name:           _ZN7rocprim17ROCPRIM_400000_NS6detail17trampoline_kernelINS0_14default_configENS1_25partition_config_selectorILNS1_17partition_subalgoE2EsNS0_10empty_typeEbEEZZNS1_14partition_implILS5_2ELb0ES3_jN6thrust23THRUST_200600_302600_NS6detail15normal_iteratorINSA_7pointerIsNSA_11hip_rocprim3tagENSA_11use_defaultESG_EEEEPS6_NSA_18transform_iteratorINSA_8identityIsEENSC_INSA_10device_ptrIsEEEESG_SG_EENS0_5tupleIJPsSJ_EEENSR_IJSJ_SJ_EEES6_PlJS6_EEE10hipError_tPvRmT3_T4_T5_T6_T7_T9_mT8_P12ihipStream_tbDpT10_ENKUlT_T0_E_clISt17integral_constantIbLb1EES1E_IbLb0EEEEDaS1A_S1B_EUlS1A_E_NS1_11comp_targetILNS1_3genE2ELNS1_11target_archE906ELNS1_3gpuE6ELNS1_3repE0EEENS1_30default_config_static_selectorELNS0_4arch9wavefront6targetE1EEEvT1_
    .private_segment_fixed_size: 0
    .sgpr_count:     4
    .sgpr_spill_count: 0
    .symbol:         _ZN7rocprim17ROCPRIM_400000_NS6detail17trampoline_kernelINS0_14default_configENS1_25partition_config_selectorILNS1_17partition_subalgoE2EsNS0_10empty_typeEbEEZZNS1_14partition_implILS5_2ELb0ES3_jN6thrust23THRUST_200600_302600_NS6detail15normal_iteratorINSA_7pointerIsNSA_11hip_rocprim3tagENSA_11use_defaultESG_EEEEPS6_NSA_18transform_iteratorINSA_8identityIsEENSC_INSA_10device_ptrIsEEEESG_SG_EENS0_5tupleIJPsSJ_EEENSR_IJSJ_SJ_EEES6_PlJS6_EEE10hipError_tPvRmT3_T4_T5_T6_T7_T9_mT8_P12ihipStream_tbDpT10_ENKUlT_T0_E_clISt17integral_constantIbLb1EES1E_IbLb0EEEEDaS1A_S1B_EUlS1A_E_NS1_11comp_targetILNS1_3genE2ELNS1_11target_archE906ELNS1_3gpuE6ELNS1_3repE0EEENS1_30default_config_static_selectorELNS0_4arch9wavefront6targetE1EEEvT1_.kd
    .uniform_work_group_size: 1
    .uses_dynamic_stack: false
    .vgpr_count:     0
    .vgpr_spill_count: 0
    .wavefront_size: 64
  - .agpr_count:     0
    .args:
      - .offset:         0
        .size:           128
        .value_kind:     by_value
    .group_segment_fixed_size: 0
    .kernarg_segment_align: 8
    .kernarg_segment_size: 128
    .language:       OpenCL C
    .language_version:
      - 2
      - 0
    .max_flat_workgroup_size: 256
    .name:           _ZN7rocprim17ROCPRIM_400000_NS6detail17trampoline_kernelINS0_14default_configENS1_25partition_config_selectorILNS1_17partition_subalgoE2EsNS0_10empty_typeEbEEZZNS1_14partition_implILS5_2ELb0ES3_jN6thrust23THRUST_200600_302600_NS6detail15normal_iteratorINSA_7pointerIsNSA_11hip_rocprim3tagENSA_11use_defaultESG_EEEEPS6_NSA_18transform_iteratorINSA_8identityIsEENSC_INSA_10device_ptrIsEEEESG_SG_EENS0_5tupleIJPsSJ_EEENSR_IJSJ_SJ_EEES6_PlJS6_EEE10hipError_tPvRmT3_T4_T5_T6_T7_T9_mT8_P12ihipStream_tbDpT10_ENKUlT_T0_E_clISt17integral_constantIbLb1EES1E_IbLb0EEEEDaS1A_S1B_EUlS1A_E_NS1_11comp_targetILNS1_3genE10ELNS1_11target_archE1200ELNS1_3gpuE4ELNS1_3repE0EEENS1_30default_config_static_selectorELNS0_4arch9wavefront6targetE1EEEvT1_
    .private_segment_fixed_size: 0
    .sgpr_count:     4
    .sgpr_spill_count: 0
    .symbol:         _ZN7rocprim17ROCPRIM_400000_NS6detail17trampoline_kernelINS0_14default_configENS1_25partition_config_selectorILNS1_17partition_subalgoE2EsNS0_10empty_typeEbEEZZNS1_14partition_implILS5_2ELb0ES3_jN6thrust23THRUST_200600_302600_NS6detail15normal_iteratorINSA_7pointerIsNSA_11hip_rocprim3tagENSA_11use_defaultESG_EEEEPS6_NSA_18transform_iteratorINSA_8identityIsEENSC_INSA_10device_ptrIsEEEESG_SG_EENS0_5tupleIJPsSJ_EEENSR_IJSJ_SJ_EEES6_PlJS6_EEE10hipError_tPvRmT3_T4_T5_T6_T7_T9_mT8_P12ihipStream_tbDpT10_ENKUlT_T0_E_clISt17integral_constantIbLb1EES1E_IbLb0EEEEDaS1A_S1B_EUlS1A_E_NS1_11comp_targetILNS1_3genE10ELNS1_11target_archE1200ELNS1_3gpuE4ELNS1_3repE0EEENS1_30default_config_static_selectorELNS0_4arch9wavefront6targetE1EEEvT1_.kd
    .uniform_work_group_size: 1
    .uses_dynamic_stack: false
    .vgpr_count:     0
    .vgpr_spill_count: 0
    .wavefront_size: 64
  - .agpr_count:     0
    .args:
      - .offset:         0
        .size:           128
        .value_kind:     by_value
    .group_segment_fixed_size: 0
    .kernarg_segment_align: 8
    .kernarg_segment_size: 128
    .language:       OpenCL C
    .language_version:
      - 2
      - 0
    .max_flat_workgroup_size: 128
    .name:           _ZN7rocprim17ROCPRIM_400000_NS6detail17trampoline_kernelINS0_14default_configENS1_25partition_config_selectorILNS1_17partition_subalgoE2EsNS0_10empty_typeEbEEZZNS1_14partition_implILS5_2ELb0ES3_jN6thrust23THRUST_200600_302600_NS6detail15normal_iteratorINSA_7pointerIsNSA_11hip_rocprim3tagENSA_11use_defaultESG_EEEEPS6_NSA_18transform_iteratorINSA_8identityIsEENSC_INSA_10device_ptrIsEEEESG_SG_EENS0_5tupleIJPsSJ_EEENSR_IJSJ_SJ_EEES6_PlJS6_EEE10hipError_tPvRmT3_T4_T5_T6_T7_T9_mT8_P12ihipStream_tbDpT10_ENKUlT_T0_E_clISt17integral_constantIbLb1EES1E_IbLb0EEEEDaS1A_S1B_EUlS1A_E_NS1_11comp_targetILNS1_3genE9ELNS1_11target_archE1100ELNS1_3gpuE3ELNS1_3repE0EEENS1_30default_config_static_selectorELNS0_4arch9wavefront6targetE1EEEvT1_
    .private_segment_fixed_size: 0
    .sgpr_count:     4
    .sgpr_spill_count: 0
    .symbol:         _ZN7rocprim17ROCPRIM_400000_NS6detail17trampoline_kernelINS0_14default_configENS1_25partition_config_selectorILNS1_17partition_subalgoE2EsNS0_10empty_typeEbEEZZNS1_14partition_implILS5_2ELb0ES3_jN6thrust23THRUST_200600_302600_NS6detail15normal_iteratorINSA_7pointerIsNSA_11hip_rocprim3tagENSA_11use_defaultESG_EEEEPS6_NSA_18transform_iteratorINSA_8identityIsEENSC_INSA_10device_ptrIsEEEESG_SG_EENS0_5tupleIJPsSJ_EEENSR_IJSJ_SJ_EEES6_PlJS6_EEE10hipError_tPvRmT3_T4_T5_T6_T7_T9_mT8_P12ihipStream_tbDpT10_ENKUlT_T0_E_clISt17integral_constantIbLb1EES1E_IbLb0EEEEDaS1A_S1B_EUlS1A_E_NS1_11comp_targetILNS1_3genE9ELNS1_11target_archE1100ELNS1_3gpuE3ELNS1_3repE0EEENS1_30default_config_static_selectorELNS0_4arch9wavefront6targetE1EEEvT1_.kd
    .uniform_work_group_size: 1
    .uses_dynamic_stack: false
    .vgpr_count:     0
    .vgpr_spill_count: 0
    .wavefront_size: 64
  - .agpr_count:     0
    .args:
      - .offset:         0
        .size:           128
        .value_kind:     by_value
    .group_segment_fixed_size: 0
    .kernarg_segment_align: 8
    .kernarg_segment_size: 128
    .language:       OpenCL C
    .language_version:
      - 2
      - 0
    .max_flat_workgroup_size: 512
    .name:           _ZN7rocprim17ROCPRIM_400000_NS6detail17trampoline_kernelINS0_14default_configENS1_25partition_config_selectorILNS1_17partition_subalgoE2EsNS0_10empty_typeEbEEZZNS1_14partition_implILS5_2ELb0ES3_jN6thrust23THRUST_200600_302600_NS6detail15normal_iteratorINSA_7pointerIsNSA_11hip_rocprim3tagENSA_11use_defaultESG_EEEEPS6_NSA_18transform_iteratorINSA_8identityIsEENSC_INSA_10device_ptrIsEEEESG_SG_EENS0_5tupleIJPsSJ_EEENSR_IJSJ_SJ_EEES6_PlJS6_EEE10hipError_tPvRmT3_T4_T5_T6_T7_T9_mT8_P12ihipStream_tbDpT10_ENKUlT_T0_E_clISt17integral_constantIbLb1EES1E_IbLb0EEEEDaS1A_S1B_EUlS1A_E_NS1_11comp_targetILNS1_3genE8ELNS1_11target_archE1030ELNS1_3gpuE2ELNS1_3repE0EEENS1_30default_config_static_selectorELNS0_4arch9wavefront6targetE1EEEvT1_
    .private_segment_fixed_size: 0
    .sgpr_count:     4
    .sgpr_spill_count: 0
    .symbol:         _ZN7rocprim17ROCPRIM_400000_NS6detail17trampoline_kernelINS0_14default_configENS1_25partition_config_selectorILNS1_17partition_subalgoE2EsNS0_10empty_typeEbEEZZNS1_14partition_implILS5_2ELb0ES3_jN6thrust23THRUST_200600_302600_NS6detail15normal_iteratorINSA_7pointerIsNSA_11hip_rocprim3tagENSA_11use_defaultESG_EEEEPS6_NSA_18transform_iteratorINSA_8identityIsEENSC_INSA_10device_ptrIsEEEESG_SG_EENS0_5tupleIJPsSJ_EEENSR_IJSJ_SJ_EEES6_PlJS6_EEE10hipError_tPvRmT3_T4_T5_T6_T7_T9_mT8_P12ihipStream_tbDpT10_ENKUlT_T0_E_clISt17integral_constantIbLb1EES1E_IbLb0EEEEDaS1A_S1B_EUlS1A_E_NS1_11comp_targetILNS1_3genE8ELNS1_11target_archE1030ELNS1_3gpuE2ELNS1_3repE0EEENS1_30default_config_static_selectorELNS0_4arch9wavefront6targetE1EEEvT1_.kd
    .uniform_work_group_size: 1
    .uses_dynamic_stack: false
    .vgpr_count:     0
    .vgpr_spill_count: 0
    .wavefront_size: 64
  - .agpr_count:     0
    .args:
      - .offset:         0
        .size:           144
        .value_kind:     by_value
    .group_segment_fixed_size: 0
    .kernarg_segment_align: 8
    .kernarg_segment_size: 144
    .language:       OpenCL C
    .language_version:
      - 2
      - 0
    .max_flat_workgroup_size: 256
    .name:           _ZN7rocprim17ROCPRIM_400000_NS6detail17trampoline_kernelINS0_14default_configENS1_25partition_config_selectorILNS1_17partition_subalgoE2EsNS0_10empty_typeEbEEZZNS1_14partition_implILS5_2ELb0ES3_jN6thrust23THRUST_200600_302600_NS6detail15normal_iteratorINSA_7pointerIsNSA_11hip_rocprim3tagENSA_11use_defaultESG_EEEEPS6_NSA_18transform_iteratorINSA_8identityIsEENSC_INSA_10device_ptrIsEEEESG_SG_EENS0_5tupleIJPsSJ_EEENSR_IJSJ_SJ_EEES6_PlJS6_EEE10hipError_tPvRmT3_T4_T5_T6_T7_T9_mT8_P12ihipStream_tbDpT10_ENKUlT_T0_E_clISt17integral_constantIbLb0EES1E_IbLb1EEEEDaS1A_S1B_EUlS1A_E_NS1_11comp_targetILNS1_3genE0ELNS1_11target_archE4294967295ELNS1_3gpuE0ELNS1_3repE0EEENS1_30default_config_static_selectorELNS0_4arch9wavefront6targetE1EEEvT1_
    .private_segment_fixed_size: 0
    .sgpr_count:     4
    .sgpr_spill_count: 0
    .symbol:         _ZN7rocprim17ROCPRIM_400000_NS6detail17trampoline_kernelINS0_14default_configENS1_25partition_config_selectorILNS1_17partition_subalgoE2EsNS0_10empty_typeEbEEZZNS1_14partition_implILS5_2ELb0ES3_jN6thrust23THRUST_200600_302600_NS6detail15normal_iteratorINSA_7pointerIsNSA_11hip_rocprim3tagENSA_11use_defaultESG_EEEEPS6_NSA_18transform_iteratorINSA_8identityIsEENSC_INSA_10device_ptrIsEEEESG_SG_EENS0_5tupleIJPsSJ_EEENSR_IJSJ_SJ_EEES6_PlJS6_EEE10hipError_tPvRmT3_T4_T5_T6_T7_T9_mT8_P12ihipStream_tbDpT10_ENKUlT_T0_E_clISt17integral_constantIbLb0EES1E_IbLb1EEEEDaS1A_S1B_EUlS1A_E_NS1_11comp_targetILNS1_3genE0ELNS1_11target_archE4294967295ELNS1_3gpuE0ELNS1_3repE0EEENS1_30default_config_static_selectorELNS0_4arch9wavefront6targetE1EEEvT1_.kd
    .uniform_work_group_size: 1
    .uses_dynamic_stack: false
    .vgpr_count:     0
    .vgpr_spill_count: 0
    .wavefront_size: 64
  - .agpr_count:     0
    .args:
      - .offset:         0
        .size:           144
        .value_kind:     by_value
    .group_segment_fixed_size: 0
    .kernarg_segment_align: 8
    .kernarg_segment_size: 144
    .language:       OpenCL C
    .language_version:
      - 2
      - 0
    .max_flat_workgroup_size: 512
    .name:           _ZN7rocprim17ROCPRIM_400000_NS6detail17trampoline_kernelINS0_14default_configENS1_25partition_config_selectorILNS1_17partition_subalgoE2EsNS0_10empty_typeEbEEZZNS1_14partition_implILS5_2ELb0ES3_jN6thrust23THRUST_200600_302600_NS6detail15normal_iteratorINSA_7pointerIsNSA_11hip_rocprim3tagENSA_11use_defaultESG_EEEEPS6_NSA_18transform_iteratorINSA_8identityIsEENSC_INSA_10device_ptrIsEEEESG_SG_EENS0_5tupleIJPsSJ_EEENSR_IJSJ_SJ_EEES6_PlJS6_EEE10hipError_tPvRmT3_T4_T5_T6_T7_T9_mT8_P12ihipStream_tbDpT10_ENKUlT_T0_E_clISt17integral_constantIbLb0EES1E_IbLb1EEEEDaS1A_S1B_EUlS1A_E_NS1_11comp_targetILNS1_3genE5ELNS1_11target_archE942ELNS1_3gpuE9ELNS1_3repE0EEENS1_30default_config_static_selectorELNS0_4arch9wavefront6targetE1EEEvT1_
    .private_segment_fixed_size: 0
    .sgpr_count:     4
    .sgpr_spill_count: 0
    .symbol:         _ZN7rocprim17ROCPRIM_400000_NS6detail17trampoline_kernelINS0_14default_configENS1_25partition_config_selectorILNS1_17partition_subalgoE2EsNS0_10empty_typeEbEEZZNS1_14partition_implILS5_2ELb0ES3_jN6thrust23THRUST_200600_302600_NS6detail15normal_iteratorINSA_7pointerIsNSA_11hip_rocprim3tagENSA_11use_defaultESG_EEEEPS6_NSA_18transform_iteratorINSA_8identityIsEENSC_INSA_10device_ptrIsEEEESG_SG_EENS0_5tupleIJPsSJ_EEENSR_IJSJ_SJ_EEES6_PlJS6_EEE10hipError_tPvRmT3_T4_T5_T6_T7_T9_mT8_P12ihipStream_tbDpT10_ENKUlT_T0_E_clISt17integral_constantIbLb0EES1E_IbLb1EEEEDaS1A_S1B_EUlS1A_E_NS1_11comp_targetILNS1_3genE5ELNS1_11target_archE942ELNS1_3gpuE9ELNS1_3repE0EEENS1_30default_config_static_selectorELNS0_4arch9wavefront6targetE1EEEvT1_.kd
    .uniform_work_group_size: 1
    .uses_dynamic_stack: false
    .vgpr_count:     0
    .vgpr_spill_count: 0
    .wavefront_size: 64
  - .agpr_count:     0
    .args:
      - .offset:         0
        .size:           144
        .value_kind:     by_value
    .group_segment_fixed_size: 10248
    .kernarg_segment_align: 8
    .kernarg_segment_size: 144
    .language:       OpenCL C
    .language_version:
      - 2
      - 0
    .max_flat_workgroup_size: 256
    .name:           _ZN7rocprim17ROCPRIM_400000_NS6detail17trampoline_kernelINS0_14default_configENS1_25partition_config_selectorILNS1_17partition_subalgoE2EsNS0_10empty_typeEbEEZZNS1_14partition_implILS5_2ELb0ES3_jN6thrust23THRUST_200600_302600_NS6detail15normal_iteratorINSA_7pointerIsNSA_11hip_rocprim3tagENSA_11use_defaultESG_EEEEPS6_NSA_18transform_iteratorINSA_8identityIsEENSC_INSA_10device_ptrIsEEEESG_SG_EENS0_5tupleIJPsSJ_EEENSR_IJSJ_SJ_EEES6_PlJS6_EEE10hipError_tPvRmT3_T4_T5_T6_T7_T9_mT8_P12ihipStream_tbDpT10_ENKUlT_T0_E_clISt17integral_constantIbLb0EES1E_IbLb1EEEEDaS1A_S1B_EUlS1A_E_NS1_11comp_targetILNS1_3genE4ELNS1_11target_archE910ELNS1_3gpuE8ELNS1_3repE0EEENS1_30default_config_static_selectorELNS0_4arch9wavefront6targetE1EEEvT1_
    .private_segment_fixed_size: 0
    .sgpr_count:     50
    .sgpr_spill_count: 0
    .symbol:         _ZN7rocprim17ROCPRIM_400000_NS6detail17trampoline_kernelINS0_14default_configENS1_25partition_config_selectorILNS1_17partition_subalgoE2EsNS0_10empty_typeEbEEZZNS1_14partition_implILS5_2ELb0ES3_jN6thrust23THRUST_200600_302600_NS6detail15normal_iteratorINSA_7pointerIsNSA_11hip_rocprim3tagENSA_11use_defaultESG_EEEEPS6_NSA_18transform_iteratorINSA_8identityIsEENSC_INSA_10device_ptrIsEEEESG_SG_EENS0_5tupleIJPsSJ_EEENSR_IJSJ_SJ_EEES6_PlJS6_EEE10hipError_tPvRmT3_T4_T5_T6_T7_T9_mT8_P12ihipStream_tbDpT10_ENKUlT_T0_E_clISt17integral_constantIbLb0EES1E_IbLb1EEEEDaS1A_S1B_EUlS1A_E_NS1_11comp_targetILNS1_3genE4ELNS1_11target_archE910ELNS1_3gpuE8ELNS1_3repE0EEENS1_30default_config_static_selectorELNS0_4arch9wavefront6targetE1EEEvT1_.kd
    .uniform_work_group_size: 1
    .uses_dynamic_stack: false
    .vgpr_count:     67
    .vgpr_spill_count: 0
    .wavefront_size: 64
  - .agpr_count:     0
    .args:
      - .offset:         0
        .size:           144
        .value_kind:     by_value
    .group_segment_fixed_size: 0
    .kernarg_segment_align: 8
    .kernarg_segment_size: 144
    .language:       OpenCL C
    .language_version:
      - 2
      - 0
    .max_flat_workgroup_size: 256
    .name:           _ZN7rocprim17ROCPRIM_400000_NS6detail17trampoline_kernelINS0_14default_configENS1_25partition_config_selectorILNS1_17partition_subalgoE2EsNS0_10empty_typeEbEEZZNS1_14partition_implILS5_2ELb0ES3_jN6thrust23THRUST_200600_302600_NS6detail15normal_iteratorINSA_7pointerIsNSA_11hip_rocprim3tagENSA_11use_defaultESG_EEEEPS6_NSA_18transform_iteratorINSA_8identityIsEENSC_INSA_10device_ptrIsEEEESG_SG_EENS0_5tupleIJPsSJ_EEENSR_IJSJ_SJ_EEES6_PlJS6_EEE10hipError_tPvRmT3_T4_T5_T6_T7_T9_mT8_P12ihipStream_tbDpT10_ENKUlT_T0_E_clISt17integral_constantIbLb0EES1E_IbLb1EEEEDaS1A_S1B_EUlS1A_E_NS1_11comp_targetILNS1_3genE3ELNS1_11target_archE908ELNS1_3gpuE7ELNS1_3repE0EEENS1_30default_config_static_selectorELNS0_4arch9wavefront6targetE1EEEvT1_
    .private_segment_fixed_size: 0
    .sgpr_count:     4
    .sgpr_spill_count: 0
    .symbol:         _ZN7rocprim17ROCPRIM_400000_NS6detail17trampoline_kernelINS0_14default_configENS1_25partition_config_selectorILNS1_17partition_subalgoE2EsNS0_10empty_typeEbEEZZNS1_14partition_implILS5_2ELb0ES3_jN6thrust23THRUST_200600_302600_NS6detail15normal_iteratorINSA_7pointerIsNSA_11hip_rocprim3tagENSA_11use_defaultESG_EEEEPS6_NSA_18transform_iteratorINSA_8identityIsEENSC_INSA_10device_ptrIsEEEESG_SG_EENS0_5tupleIJPsSJ_EEENSR_IJSJ_SJ_EEES6_PlJS6_EEE10hipError_tPvRmT3_T4_T5_T6_T7_T9_mT8_P12ihipStream_tbDpT10_ENKUlT_T0_E_clISt17integral_constantIbLb0EES1E_IbLb1EEEEDaS1A_S1B_EUlS1A_E_NS1_11comp_targetILNS1_3genE3ELNS1_11target_archE908ELNS1_3gpuE7ELNS1_3repE0EEENS1_30default_config_static_selectorELNS0_4arch9wavefront6targetE1EEEvT1_.kd
    .uniform_work_group_size: 1
    .uses_dynamic_stack: false
    .vgpr_count:     0
    .vgpr_spill_count: 0
    .wavefront_size: 64
  - .agpr_count:     0
    .args:
      - .offset:         0
        .size:           144
        .value_kind:     by_value
    .group_segment_fixed_size: 0
    .kernarg_segment_align: 8
    .kernarg_segment_size: 144
    .language:       OpenCL C
    .language_version:
      - 2
      - 0
    .max_flat_workgroup_size: 256
    .name:           _ZN7rocprim17ROCPRIM_400000_NS6detail17trampoline_kernelINS0_14default_configENS1_25partition_config_selectorILNS1_17partition_subalgoE2EsNS0_10empty_typeEbEEZZNS1_14partition_implILS5_2ELb0ES3_jN6thrust23THRUST_200600_302600_NS6detail15normal_iteratorINSA_7pointerIsNSA_11hip_rocprim3tagENSA_11use_defaultESG_EEEEPS6_NSA_18transform_iteratorINSA_8identityIsEENSC_INSA_10device_ptrIsEEEESG_SG_EENS0_5tupleIJPsSJ_EEENSR_IJSJ_SJ_EEES6_PlJS6_EEE10hipError_tPvRmT3_T4_T5_T6_T7_T9_mT8_P12ihipStream_tbDpT10_ENKUlT_T0_E_clISt17integral_constantIbLb0EES1E_IbLb1EEEEDaS1A_S1B_EUlS1A_E_NS1_11comp_targetILNS1_3genE2ELNS1_11target_archE906ELNS1_3gpuE6ELNS1_3repE0EEENS1_30default_config_static_selectorELNS0_4arch9wavefront6targetE1EEEvT1_
    .private_segment_fixed_size: 0
    .sgpr_count:     4
    .sgpr_spill_count: 0
    .symbol:         _ZN7rocprim17ROCPRIM_400000_NS6detail17trampoline_kernelINS0_14default_configENS1_25partition_config_selectorILNS1_17partition_subalgoE2EsNS0_10empty_typeEbEEZZNS1_14partition_implILS5_2ELb0ES3_jN6thrust23THRUST_200600_302600_NS6detail15normal_iteratorINSA_7pointerIsNSA_11hip_rocprim3tagENSA_11use_defaultESG_EEEEPS6_NSA_18transform_iteratorINSA_8identityIsEENSC_INSA_10device_ptrIsEEEESG_SG_EENS0_5tupleIJPsSJ_EEENSR_IJSJ_SJ_EEES6_PlJS6_EEE10hipError_tPvRmT3_T4_T5_T6_T7_T9_mT8_P12ihipStream_tbDpT10_ENKUlT_T0_E_clISt17integral_constantIbLb0EES1E_IbLb1EEEEDaS1A_S1B_EUlS1A_E_NS1_11comp_targetILNS1_3genE2ELNS1_11target_archE906ELNS1_3gpuE6ELNS1_3repE0EEENS1_30default_config_static_selectorELNS0_4arch9wavefront6targetE1EEEvT1_.kd
    .uniform_work_group_size: 1
    .uses_dynamic_stack: false
    .vgpr_count:     0
    .vgpr_spill_count: 0
    .wavefront_size: 64
  - .agpr_count:     0
    .args:
      - .offset:         0
        .size:           144
        .value_kind:     by_value
    .group_segment_fixed_size: 0
    .kernarg_segment_align: 8
    .kernarg_segment_size: 144
    .language:       OpenCL C
    .language_version:
      - 2
      - 0
    .max_flat_workgroup_size: 256
    .name:           _ZN7rocprim17ROCPRIM_400000_NS6detail17trampoline_kernelINS0_14default_configENS1_25partition_config_selectorILNS1_17partition_subalgoE2EsNS0_10empty_typeEbEEZZNS1_14partition_implILS5_2ELb0ES3_jN6thrust23THRUST_200600_302600_NS6detail15normal_iteratorINSA_7pointerIsNSA_11hip_rocprim3tagENSA_11use_defaultESG_EEEEPS6_NSA_18transform_iteratorINSA_8identityIsEENSC_INSA_10device_ptrIsEEEESG_SG_EENS0_5tupleIJPsSJ_EEENSR_IJSJ_SJ_EEES6_PlJS6_EEE10hipError_tPvRmT3_T4_T5_T6_T7_T9_mT8_P12ihipStream_tbDpT10_ENKUlT_T0_E_clISt17integral_constantIbLb0EES1E_IbLb1EEEEDaS1A_S1B_EUlS1A_E_NS1_11comp_targetILNS1_3genE10ELNS1_11target_archE1200ELNS1_3gpuE4ELNS1_3repE0EEENS1_30default_config_static_selectorELNS0_4arch9wavefront6targetE1EEEvT1_
    .private_segment_fixed_size: 0
    .sgpr_count:     4
    .sgpr_spill_count: 0
    .symbol:         _ZN7rocprim17ROCPRIM_400000_NS6detail17trampoline_kernelINS0_14default_configENS1_25partition_config_selectorILNS1_17partition_subalgoE2EsNS0_10empty_typeEbEEZZNS1_14partition_implILS5_2ELb0ES3_jN6thrust23THRUST_200600_302600_NS6detail15normal_iteratorINSA_7pointerIsNSA_11hip_rocprim3tagENSA_11use_defaultESG_EEEEPS6_NSA_18transform_iteratorINSA_8identityIsEENSC_INSA_10device_ptrIsEEEESG_SG_EENS0_5tupleIJPsSJ_EEENSR_IJSJ_SJ_EEES6_PlJS6_EEE10hipError_tPvRmT3_T4_T5_T6_T7_T9_mT8_P12ihipStream_tbDpT10_ENKUlT_T0_E_clISt17integral_constantIbLb0EES1E_IbLb1EEEEDaS1A_S1B_EUlS1A_E_NS1_11comp_targetILNS1_3genE10ELNS1_11target_archE1200ELNS1_3gpuE4ELNS1_3repE0EEENS1_30default_config_static_selectorELNS0_4arch9wavefront6targetE1EEEvT1_.kd
    .uniform_work_group_size: 1
    .uses_dynamic_stack: false
    .vgpr_count:     0
    .vgpr_spill_count: 0
    .wavefront_size: 64
  - .agpr_count:     0
    .args:
      - .offset:         0
        .size:           144
        .value_kind:     by_value
    .group_segment_fixed_size: 0
    .kernarg_segment_align: 8
    .kernarg_segment_size: 144
    .language:       OpenCL C
    .language_version:
      - 2
      - 0
    .max_flat_workgroup_size: 128
    .name:           _ZN7rocprim17ROCPRIM_400000_NS6detail17trampoline_kernelINS0_14default_configENS1_25partition_config_selectorILNS1_17partition_subalgoE2EsNS0_10empty_typeEbEEZZNS1_14partition_implILS5_2ELb0ES3_jN6thrust23THRUST_200600_302600_NS6detail15normal_iteratorINSA_7pointerIsNSA_11hip_rocprim3tagENSA_11use_defaultESG_EEEEPS6_NSA_18transform_iteratorINSA_8identityIsEENSC_INSA_10device_ptrIsEEEESG_SG_EENS0_5tupleIJPsSJ_EEENSR_IJSJ_SJ_EEES6_PlJS6_EEE10hipError_tPvRmT3_T4_T5_T6_T7_T9_mT8_P12ihipStream_tbDpT10_ENKUlT_T0_E_clISt17integral_constantIbLb0EES1E_IbLb1EEEEDaS1A_S1B_EUlS1A_E_NS1_11comp_targetILNS1_3genE9ELNS1_11target_archE1100ELNS1_3gpuE3ELNS1_3repE0EEENS1_30default_config_static_selectorELNS0_4arch9wavefront6targetE1EEEvT1_
    .private_segment_fixed_size: 0
    .sgpr_count:     4
    .sgpr_spill_count: 0
    .symbol:         _ZN7rocprim17ROCPRIM_400000_NS6detail17trampoline_kernelINS0_14default_configENS1_25partition_config_selectorILNS1_17partition_subalgoE2EsNS0_10empty_typeEbEEZZNS1_14partition_implILS5_2ELb0ES3_jN6thrust23THRUST_200600_302600_NS6detail15normal_iteratorINSA_7pointerIsNSA_11hip_rocprim3tagENSA_11use_defaultESG_EEEEPS6_NSA_18transform_iteratorINSA_8identityIsEENSC_INSA_10device_ptrIsEEEESG_SG_EENS0_5tupleIJPsSJ_EEENSR_IJSJ_SJ_EEES6_PlJS6_EEE10hipError_tPvRmT3_T4_T5_T6_T7_T9_mT8_P12ihipStream_tbDpT10_ENKUlT_T0_E_clISt17integral_constantIbLb0EES1E_IbLb1EEEEDaS1A_S1B_EUlS1A_E_NS1_11comp_targetILNS1_3genE9ELNS1_11target_archE1100ELNS1_3gpuE3ELNS1_3repE0EEENS1_30default_config_static_selectorELNS0_4arch9wavefront6targetE1EEEvT1_.kd
    .uniform_work_group_size: 1
    .uses_dynamic_stack: false
    .vgpr_count:     0
    .vgpr_spill_count: 0
    .wavefront_size: 64
  - .agpr_count:     0
    .args:
      - .offset:         0
        .size:           144
        .value_kind:     by_value
    .group_segment_fixed_size: 0
    .kernarg_segment_align: 8
    .kernarg_segment_size: 144
    .language:       OpenCL C
    .language_version:
      - 2
      - 0
    .max_flat_workgroup_size: 512
    .name:           _ZN7rocprim17ROCPRIM_400000_NS6detail17trampoline_kernelINS0_14default_configENS1_25partition_config_selectorILNS1_17partition_subalgoE2EsNS0_10empty_typeEbEEZZNS1_14partition_implILS5_2ELb0ES3_jN6thrust23THRUST_200600_302600_NS6detail15normal_iteratorINSA_7pointerIsNSA_11hip_rocprim3tagENSA_11use_defaultESG_EEEEPS6_NSA_18transform_iteratorINSA_8identityIsEENSC_INSA_10device_ptrIsEEEESG_SG_EENS0_5tupleIJPsSJ_EEENSR_IJSJ_SJ_EEES6_PlJS6_EEE10hipError_tPvRmT3_T4_T5_T6_T7_T9_mT8_P12ihipStream_tbDpT10_ENKUlT_T0_E_clISt17integral_constantIbLb0EES1E_IbLb1EEEEDaS1A_S1B_EUlS1A_E_NS1_11comp_targetILNS1_3genE8ELNS1_11target_archE1030ELNS1_3gpuE2ELNS1_3repE0EEENS1_30default_config_static_selectorELNS0_4arch9wavefront6targetE1EEEvT1_
    .private_segment_fixed_size: 0
    .sgpr_count:     4
    .sgpr_spill_count: 0
    .symbol:         _ZN7rocprim17ROCPRIM_400000_NS6detail17trampoline_kernelINS0_14default_configENS1_25partition_config_selectorILNS1_17partition_subalgoE2EsNS0_10empty_typeEbEEZZNS1_14partition_implILS5_2ELb0ES3_jN6thrust23THRUST_200600_302600_NS6detail15normal_iteratorINSA_7pointerIsNSA_11hip_rocprim3tagENSA_11use_defaultESG_EEEEPS6_NSA_18transform_iteratorINSA_8identityIsEENSC_INSA_10device_ptrIsEEEESG_SG_EENS0_5tupleIJPsSJ_EEENSR_IJSJ_SJ_EEES6_PlJS6_EEE10hipError_tPvRmT3_T4_T5_T6_T7_T9_mT8_P12ihipStream_tbDpT10_ENKUlT_T0_E_clISt17integral_constantIbLb0EES1E_IbLb1EEEEDaS1A_S1B_EUlS1A_E_NS1_11comp_targetILNS1_3genE8ELNS1_11target_archE1030ELNS1_3gpuE2ELNS1_3repE0EEENS1_30default_config_static_selectorELNS0_4arch9wavefront6targetE1EEEvT1_.kd
    .uniform_work_group_size: 1
    .uses_dynamic_stack: false
    .vgpr_count:     0
    .vgpr_spill_count: 0
    .wavefront_size: 64
  - .agpr_count:     0
    .args:
      - .offset:         0
        .size:           128
        .value_kind:     by_value
    .group_segment_fixed_size: 0
    .kernarg_segment_align: 8
    .kernarg_segment_size: 128
    .language:       OpenCL C
    .language_version:
      - 2
      - 0
    .max_flat_workgroup_size: 128
    .name:           _ZN7rocprim17ROCPRIM_400000_NS6detail17trampoline_kernelINS0_14default_configENS1_25partition_config_selectorILNS1_17partition_subalgoE1ExNS0_10empty_typeEbEEZZNS1_14partition_implILS5_1ELb0ES3_jN6thrust23THRUST_200600_302600_NS6detail15normal_iteratorINSA_10device_ptrIxEEEEPS6_NSA_18transform_iteratorINSA_8identityIxEESF_NSA_11use_defaultESK_EENS0_5tupleIJSF_SF_EEENSM_IJSG_SG_EEES6_PlJS6_EEE10hipError_tPvRmT3_T4_T5_T6_T7_T9_mT8_P12ihipStream_tbDpT10_ENKUlT_T0_E_clISt17integral_constantIbLb0EES19_EEDaS14_S15_EUlS14_E_NS1_11comp_targetILNS1_3genE0ELNS1_11target_archE4294967295ELNS1_3gpuE0ELNS1_3repE0EEENS1_30default_config_static_selectorELNS0_4arch9wavefront6targetE1EEEvT1_
    .private_segment_fixed_size: 0
    .sgpr_count:     4
    .sgpr_spill_count: 0
    .symbol:         _ZN7rocprim17ROCPRIM_400000_NS6detail17trampoline_kernelINS0_14default_configENS1_25partition_config_selectorILNS1_17partition_subalgoE1ExNS0_10empty_typeEbEEZZNS1_14partition_implILS5_1ELb0ES3_jN6thrust23THRUST_200600_302600_NS6detail15normal_iteratorINSA_10device_ptrIxEEEEPS6_NSA_18transform_iteratorINSA_8identityIxEESF_NSA_11use_defaultESK_EENS0_5tupleIJSF_SF_EEENSM_IJSG_SG_EEES6_PlJS6_EEE10hipError_tPvRmT3_T4_T5_T6_T7_T9_mT8_P12ihipStream_tbDpT10_ENKUlT_T0_E_clISt17integral_constantIbLb0EES19_EEDaS14_S15_EUlS14_E_NS1_11comp_targetILNS1_3genE0ELNS1_11target_archE4294967295ELNS1_3gpuE0ELNS1_3repE0EEENS1_30default_config_static_selectorELNS0_4arch9wavefront6targetE1EEEvT1_.kd
    .uniform_work_group_size: 1
    .uses_dynamic_stack: false
    .vgpr_count:     0
    .vgpr_spill_count: 0
    .wavefront_size: 64
  - .agpr_count:     0
    .args:
      - .offset:         0
        .size:           128
        .value_kind:     by_value
    .group_segment_fixed_size: 0
    .kernarg_segment_align: 8
    .kernarg_segment_size: 128
    .language:       OpenCL C
    .language_version:
      - 2
      - 0
    .max_flat_workgroup_size: 512
    .name:           _ZN7rocprim17ROCPRIM_400000_NS6detail17trampoline_kernelINS0_14default_configENS1_25partition_config_selectorILNS1_17partition_subalgoE1ExNS0_10empty_typeEbEEZZNS1_14partition_implILS5_1ELb0ES3_jN6thrust23THRUST_200600_302600_NS6detail15normal_iteratorINSA_10device_ptrIxEEEEPS6_NSA_18transform_iteratorINSA_8identityIxEESF_NSA_11use_defaultESK_EENS0_5tupleIJSF_SF_EEENSM_IJSG_SG_EEES6_PlJS6_EEE10hipError_tPvRmT3_T4_T5_T6_T7_T9_mT8_P12ihipStream_tbDpT10_ENKUlT_T0_E_clISt17integral_constantIbLb0EES19_EEDaS14_S15_EUlS14_E_NS1_11comp_targetILNS1_3genE5ELNS1_11target_archE942ELNS1_3gpuE9ELNS1_3repE0EEENS1_30default_config_static_selectorELNS0_4arch9wavefront6targetE1EEEvT1_
    .private_segment_fixed_size: 0
    .sgpr_count:     4
    .sgpr_spill_count: 0
    .symbol:         _ZN7rocprim17ROCPRIM_400000_NS6detail17trampoline_kernelINS0_14default_configENS1_25partition_config_selectorILNS1_17partition_subalgoE1ExNS0_10empty_typeEbEEZZNS1_14partition_implILS5_1ELb0ES3_jN6thrust23THRUST_200600_302600_NS6detail15normal_iteratorINSA_10device_ptrIxEEEEPS6_NSA_18transform_iteratorINSA_8identityIxEESF_NSA_11use_defaultESK_EENS0_5tupleIJSF_SF_EEENSM_IJSG_SG_EEES6_PlJS6_EEE10hipError_tPvRmT3_T4_T5_T6_T7_T9_mT8_P12ihipStream_tbDpT10_ENKUlT_T0_E_clISt17integral_constantIbLb0EES19_EEDaS14_S15_EUlS14_E_NS1_11comp_targetILNS1_3genE5ELNS1_11target_archE942ELNS1_3gpuE9ELNS1_3repE0EEENS1_30default_config_static_selectorELNS0_4arch9wavefront6targetE1EEEvT1_.kd
    .uniform_work_group_size: 1
    .uses_dynamic_stack: false
    .vgpr_count:     0
    .vgpr_spill_count: 0
    .wavefront_size: 64
  - .agpr_count:     0
    .args:
      - .offset:         0
        .size:           128
        .value_kind:     by_value
    .group_segment_fixed_size: 6344
    .kernarg_segment_align: 8
    .kernarg_segment_size: 128
    .language:       OpenCL C
    .language_version:
      - 2
      - 0
    .max_flat_workgroup_size: 192
    .name:           _ZN7rocprim17ROCPRIM_400000_NS6detail17trampoline_kernelINS0_14default_configENS1_25partition_config_selectorILNS1_17partition_subalgoE1ExNS0_10empty_typeEbEEZZNS1_14partition_implILS5_1ELb0ES3_jN6thrust23THRUST_200600_302600_NS6detail15normal_iteratorINSA_10device_ptrIxEEEEPS6_NSA_18transform_iteratorINSA_8identityIxEESF_NSA_11use_defaultESK_EENS0_5tupleIJSF_SF_EEENSM_IJSG_SG_EEES6_PlJS6_EEE10hipError_tPvRmT3_T4_T5_T6_T7_T9_mT8_P12ihipStream_tbDpT10_ENKUlT_T0_E_clISt17integral_constantIbLb0EES19_EEDaS14_S15_EUlS14_E_NS1_11comp_targetILNS1_3genE4ELNS1_11target_archE910ELNS1_3gpuE8ELNS1_3repE0EEENS1_30default_config_static_selectorELNS0_4arch9wavefront6targetE1EEEvT1_
    .private_segment_fixed_size: 0
    .sgpr_count:     48
    .sgpr_spill_count: 0
    .symbol:         _ZN7rocprim17ROCPRIM_400000_NS6detail17trampoline_kernelINS0_14default_configENS1_25partition_config_selectorILNS1_17partition_subalgoE1ExNS0_10empty_typeEbEEZZNS1_14partition_implILS5_1ELb0ES3_jN6thrust23THRUST_200600_302600_NS6detail15normal_iteratorINSA_10device_ptrIxEEEEPS6_NSA_18transform_iteratorINSA_8identityIxEESF_NSA_11use_defaultESK_EENS0_5tupleIJSF_SF_EEENSM_IJSG_SG_EEES6_PlJS6_EEE10hipError_tPvRmT3_T4_T5_T6_T7_T9_mT8_P12ihipStream_tbDpT10_ENKUlT_T0_E_clISt17integral_constantIbLb0EES19_EEDaS14_S15_EUlS14_E_NS1_11comp_targetILNS1_3genE4ELNS1_11target_archE910ELNS1_3gpuE8ELNS1_3repE0EEENS1_30default_config_static_selectorELNS0_4arch9wavefront6targetE1EEEvT1_.kd
    .uniform_work_group_size: 1
    .uses_dynamic_stack: false
    .vgpr_count:     43
    .vgpr_spill_count: 0
    .wavefront_size: 64
  - .agpr_count:     0
    .args:
      - .offset:         0
        .size:           128
        .value_kind:     by_value
    .group_segment_fixed_size: 0
    .kernarg_segment_align: 8
    .kernarg_segment_size: 128
    .language:       OpenCL C
    .language_version:
      - 2
      - 0
    .max_flat_workgroup_size: 128
    .name:           _ZN7rocprim17ROCPRIM_400000_NS6detail17trampoline_kernelINS0_14default_configENS1_25partition_config_selectorILNS1_17partition_subalgoE1ExNS0_10empty_typeEbEEZZNS1_14partition_implILS5_1ELb0ES3_jN6thrust23THRUST_200600_302600_NS6detail15normal_iteratorINSA_10device_ptrIxEEEEPS6_NSA_18transform_iteratorINSA_8identityIxEESF_NSA_11use_defaultESK_EENS0_5tupleIJSF_SF_EEENSM_IJSG_SG_EEES6_PlJS6_EEE10hipError_tPvRmT3_T4_T5_T6_T7_T9_mT8_P12ihipStream_tbDpT10_ENKUlT_T0_E_clISt17integral_constantIbLb0EES19_EEDaS14_S15_EUlS14_E_NS1_11comp_targetILNS1_3genE3ELNS1_11target_archE908ELNS1_3gpuE7ELNS1_3repE0EEENS1_30default_config_static_selectorELNS0_4arch9wavefront6targetE1EEEvT1_
    .private_segment_fixed_size: 0
    .sgpr_count:     4
    .sgpr_spill_count: 0
    .symbol:         _ZN7rocprim17ROCPRIM_400000_NS6detail17trampoline_kernelINS0_14default_configENS1_25partition_config_selectorILNS1_17partition_subalgoE1ExNS0_10empty_typeEbEEZZNS1_14partition_implILS5_1ELb0ES3_jN6thrust23THRUST_200600_302600_NS6detail15normal_iteratorINSA_10device_ptrIxEEEEPS6_NSA_18transform_iteratorINSA_8identityIxEESF_NSA_11use_defaultESK_EENS0_5tupleIJSF_SF_EEENSM_IJSG_SG_EEES6_PlJS6_EEE10hipError_tPvRmT3_T4_T5_T6_T7_T9_mT8_P12ihipStream_tbDpT10_ENKUlT_T0_E_clISt17integral_constantIbLb0EES19_EEDaS14_S15_EUlS14_E_NS1_11comp_targetILNS1_3genE3ELNS1_11target_archE908ELNS1_3gpuE7ELNS1_3repE0EEENS1_30default_config_static_selectorELNS0_4arch9wavefront6targetE1EEEvT1_.kd
    .uniform_work_group_size: 1
    .uses_dynamic_stack: false
    .vgpr_count:     0
    .vgpr_spill_count: 0
    .wavefront_size: 64
  - .agpr_count:     0
    .args:
      - .offset:         0
        .size:           128
        .value_kind:     by_value
    .group_segment_fixed_size: 0
    .kernarg_segment_align: 8
    .kernarg_segment_size: 128
    .language:       OpenCL C
    .language_version:
      - 2
      - 0
    .max_flat_workgroup_size: 256
    .name:           _ZN7rocprim17ROCPRIM_400000_NS6detail17trampoline_kernelINS0_14default_configENS1_25partition_config_selectorILNS1_17partition_subalgoE1ExNS0_10empty_typeEbEEZZNS1_14partition_implILS5_1ELb0ES3_jN6thrust23THRUST_200600_302600_NS6detail15normal_iteratorINSA_10device_ptrIxEEEEPS6_NSA_18transform_iteratorINSA_8identityIxEESF_NSA_11use_defaultESK_EENS0_5tupleIJSF_SF_EEENSM_IJSG_SG_EEES6_PlJS6_EEE10hipError_tPvRmT3_T4_T5_T6_T7_T9_mT8_P12ihipStream_tbDpT10_ENKUlT_T0_E_clISt17integral_constantIbLb0EES19_EEDaS14_S15_EUlS14_E_NS1_11comp_targetILNS1_3genE2ELNS1_11target_archE906ELNS1_3gpuE6ELNS1_3repE0EEENS1_30default_config_static_selectorELNS0_4arch9wavefront6targetE1EEEvT1_
    .private_segment_fixed_size: 0
    .sgpr_count:     4
    .sgpr_spill_count: 0
    .symbol:         _ZN7rocprim17ROCPRIM_400000_NS6detail17trampoline_kernelINS0_14default_configENS1_25partition_config_selectorILNS1_17partition_subalgoE1ExNS0_10empty_typeEbEEZZNS1_14partition_implILS5_1ELb0ES3_jN6thrust23THRUST_200600_302600_NS6detail15normal_iteratorINSA_10device_ptrIxEEEEPS6_NSA_18transform_iteratorINSA_8identityIxEESF_NSA_11use_defaultESK_EENS0_5tupleIJSF_SF_EEENSM_IJSG_SG_EEES6_PlJS6_EEE10hipError_tPvRmT3_T4_T5_T6_T7_T9_mT8_P12ihipStream_tbDpT10_ENKUlT_T0_E_clISt17integral_constantIbLb0EES19_EEDaS14_S15_EUlS14_E_NS1_11comp_targetILNS1_3genE2ELNS1_11target_archE906ELNS1_3gpuE6ELNS1_3repE0EEENS1_30default_config_static_selectorELNS0_4arch9wavefront6targetE1EEEvT1_.kd
    .uniform_work_group_size: 1
    .uses_dynamic_stack: false
    .vgpr_count:     0
    .vgpr_spill_count: 0
    .wavefront_size: 64
  - .agpr_count:     0
    .args:
      - .offset:         0
        .size:           128
        .value_kind:     by_value
    .group_segment_fixed_size: 0
    .kernarg_segment_align: 8
    .kernarg_segment_size: 128
    .language:       OpenCL C
    .language_version:
      - 2
      - 0
    .max_flat_workgroup_size: 256
    .name:           _ZN7rocprim17ROCPRIM_400000_NS6detail17trampoline_kernelINS0_14default_configENS1_25partition_config_selectorILNS1_17partition_subalgoE1ExNS0_10empty_typeEbEEZZNS1_14partition_implILS5_1ELb0ES3_jN6thrust23THRUST_200600_302600_NS6detail15normal_iteratorINSA_10device_ptrIxEEEEPS6_NSA_18transform_iteratorINSA_8identityIxEESF_NSA_11use_defaultESK_EENS0_5tupleIJSF_SF_EEENSM_IJSG_SG_EEES6_PlJS6_EEE10hipError_tPvRmT3_T4_T5_T6_T7_T9_mT8_P12ihipStream_tbDpT10_ENKUlT_T0_E_clISt17integral_constantIbLb0EES19_EEDaS14_S15_EUlS14_E_NS1_11comp_targetILNS1_3genE10ELNS1_11target_archE1200ELNS1_3gpuE4ELNS1_3repE0EEENS1_30default_config_static_selectorELNS0_4arch9wavefront6targetE1EEEvT1_
    .private_segment_fixed_size: 0
    .sgpr_count:     4
    .sgpr_spill_count: 0
    .symbol:         _ZN7rocprim17ROCPRIM_400000_NS6detail17trampoline_kernelINS0_14default_configENS1_25partition_config_selectorILNS1_17partition_subalgoE1ExNS0_10empty_typeEbEEZZNS1_14partition_implILS5_1ELb0ES3_jN6thrust23THRUST_200600_302600_NS6detail15normal_iteratorINSA_10device_ptrIxEEEEPS6_NSA_18transform_iteratorINSA_8identityIxEESF_NSA_11use_defaultESK_EENS0_5tupleIJSF_SF_EEENSM_IJSG_SG_EEES6_PlJS6_EEE10hipError_tPvRmT3_T4_T5_T6_T7_T9_mT8_P12ihipStream_tbDpT10_ENKUlT_T0_E_clISt17integral_constantIbLb0EES19_EEDaS14_S15_EUlS14_E_NS1_11comp_targetILNS1_3genE10ELNS1_11target_archE1200ELNS1_3gpuE4ELNS1_3repE0EEENS1_30default_config_static_selectorELNS0_4arch9wavefront6targetE1EEEvT1_.kd
    .uniform_work_group_size: 1
    .uses_dynamic_stack: false
    .vgpr_count:     0
    .vgpr_spill_count: 0
    .wavefront_size: 64
  - .agpr_count:     0
    .args:
      - .offset:         0
        .size:           128
        .value_kind:     by_value
    .group_segment_fixed_size: 0
    .kernarg_segment_align: 8
    .kernarg_segment_size: 128
    .language:       OpenCL C
    .language_version:
      - 2
      - 0
    .max_flat_workgroup_size: 128
    .name:           _ZN7rocprim17ROCPRIM_400000_NS6detail17trampoline_kernelINS0_14default_configENS1_25partition_config_selectorILNS1_17partition_subalgoE1ExNS0_10empty_typeEbEEZZNS1_14partition_implILS5_1ELb0ES3_jN6thrust23THRUST_200600_302600_NS6detail15normal_iteratorINSA_10device_ptrIxEEEEPS6_NSA_18transform_iteratorINSA_8identityIxEESF_NSA_11use_defaultESK_EENS0_5tupleIJSF_SF_EEENSM_IJSG_SG_EEES6_PlJS6_EEE10hipError_tPvRmT3_T4_T5_T6_T7_T9_mT8_P12ihipStream_tbDpT10_ENKUlT_T0_E_clISt17integral_constantIbLb0EES19_EEDaS14_S15_EUlS14_E_NS1_11comp_targetILNS1_3genE9ELNS1_11target_archE1100ELNS1_3gpuE3ELNS1_3repE0EEENS1_30default_config_static_selectorELNS0_4arch9wavefront6targetE1EEEvT1_
    .private_segment_fixed_size: 0
    .sgpr_count:     4
    .sgpr_spill_count: 0
    .symbol:         _ZN7rocprim17ROCPRIM_400000_NS6detail17trampoline_kernelINS0_14default_configENS1_25partition_config_selectorILNS1_17partition_subalgoE1ExNS0_10empty_typeEbEEZZNS1_14partition_implILS5_1ELb0ES3_jN6thrust23THRUST_200600_302600_NS6detail15normal_iteratorINSA_10device_ptrIxEEEEPS6_NSA_18transform_iteratorINSA_8identityIxEESF_NSA_11use_defaultESK_EENS0_5tupleIJSF_SF_EEENSM_IJSG_SG_EEES6_PlJS6_EEE10hipError_tPvRmT3_T4_T5_T6_T7_T9_mT8_P12ihipStream_tbDpT10_ENKUlT_T0_E_clISt17integral_constantIbLb0EES19_EEDaS14_S15_EUlS14_E_NS1_11comp_targetILNS1_3genE9ELNS1_11target_archE1100ELNS1_3gpuE3ELNS1_3repE0EEENS1_30default_config_static_selectorELNS0_4arch9wavefront6targetE1EEEvT1_.kd
    .uniform_work_group_size: 1
    .uses_dynamic_stack: false
    .vgpr_count:     0
    .vgpr_spill_count: 0
    .wavefront_size: 64
  - .agpr_count:     0
    .args:
      - .offset:         0
        .size:           128
        .value_kind:     by_value
    .group_segment_fixed_size: 0
    .kernarg_segment_align: 8
    .kernarg_segment_size: 128
    .language:       OpenCL C
    .language_version:
      - 2
      - 0
    .max_flat_workgroup_size: 512
    .name:           _ZN7rocprim17ROCPRIM_400000_NS6detail17trampoline_kernelINS0_14default_configENS1_25partition_config_selectorILNS1_17partition_subalgoE1ExNS0_10empty_typeEbEEZZNS1_14partition_implILS5_1ELb0ES3_jN6thrust23THRUST_200600_302600_NS6detail15normal_iteratorINSA_10device_ptrIxEEEEPS6_NSA_18transform_iteratorINSA_8identityIxEESF_NSA_11use_defaultESK_EENS0_5tupleIJSF_SF_EEENSM_IJSG_SG_EEES6_PlJS6_EEE10hipError_tPvRmT3_T4_T5_T6_T7_T9_mT8_P12ihipStream_tbDpT10_ENKUlT_T0_E_clISt17integral_constantIbLb0EES19_EEDaS14_S15_EUlS14_E_NS1_11comp_targetILNS1_3genE8ELNS1_11target_archE1030ELNS1_3gpuE2ELNS1_3repE0EEENS1_30default_config_static_selectorELNS0_4arch9wavefront6targetE1EEEvT1_
    .private_segment_fixed_size: 0
    .sgpr_count:     4
    .sgpr_spill_count: 0
    .symbol:         _ZN7rocprim17ROCPRIM_400000_NS6detail17trampoline_kernelINS0_14default_configENS1_25partition_config_selectorILNS1_17partition_subalgoE1ExNS0_10empty_typeEbEEZZNS1_14partition_implILS5_1ELb0ES3_jN6thrust23THRUST_200600_302600_NS6detail15normal_iteratorINSA_10device_ptrIxEEEEPS6_NSA_18transform_iteratorINSA_8identityIxEESF_NSA_11use_defaultESK_EENS0_5tupleIJSF_SF_EEENSM_IJSG_SG_EEES6_PlJS6_EEE10hipError_tPvRmT3_T4_T5_T6_T7_T9_mT8_P12ihipStream_tbDpT10_ENKUlT_T0_E_clISt17integral_constantIbLb0EES19_EEDaS14_S15_EUlS14_E_NS1_11comp_targetILNS1_3genE8ELNS1_11target_archE1030ELNS1_3gpuE2ELNS1_3repE0EEENS1_30default_config_static_selectorELNS0_4arch9wavefront6targetE1EEEvT1_.kd
    .uniform_work_group_size: 1
    .uses_dynamic_stack: false
    .vgpr_count:     0
    .vgpr_spill_count: 0
    .wavefront_size: 64
  - .agpr_count:     0
    .args:
      - .offset:         0
        .size:           144
        .value_kind:     by_value
    .group_segment_fixed_size: 0
    .kernarg_segment_align: 8
    .kernarg_segment_size: 144
    .language:       OpenCL C
    .language_version:
      - 2
      - 0
    .max_flat_workgroup_size: 128
    .name:           _ZN7rocprim17ROCPRIM_400000_NS6detail17trampoline_kernelINS0_14default_configENS1_25partition_config_selectorILNS1_17partition_subalgoE1ExNS0_10empty_typeEbEEZZNS1_14partition_implILS5_1ELb0ES3_jN6thrust23THRUST_200600_302600_NS6detail15normal_iteratorINSA_10device_ptrIxEEEEPS6_NSA_18transform_iteratorINSA_8identityIxEESF_NSA_11use_defaultESK_EENS0_5tupleIJSF_SF_EEENSM_IJSG_SG_EEES6_PlJS6_EEE10hipError_tPvRmT3_T4_T5_T6_T7_T9_mT8_P12ihipStream_tbDpT10_ENKUlT_T0_E_clISt17integral_constantIbLb1EES19_EEDaS14_S15_EUlS14_E_NS1_11comp_targetILNS1_3genE0ELNS1_11target_archE4294967295ELNS1_3gpuE0ELNS1_3repE0EEENS1_30default_config_static_selectorELNS0_4arch9wavefront6targetE1EEEvT1_
    .private_segment_fixed_size: 0
    .sgpr_count:     4
    .sgpr_spill_count: 0
    .symbol:         _ZN7rocprim17ROCPRIM_400000_NS6detail17trampoline_kernelINS0_14default_configENS1_25partition_config_selectorILNS1_17partition_subalgoE1ExNS0_10empty_typeEbEEZZNS1_14partition_implILS5_1ELb0ES3_jN6thrust23THRUST_200600_302600_NS6detail15normal_iteratorINSA_10device_ptrIxEEEEPS6_NSA_18transform_iteratorINSA_8identityIxEESF_NSA_11use_defaultESK_EENS0_5tupleIJSF_SF_EEENSM_IJSG_SG_EEES6_PlJS6_EEE10hipError_tPvRmT3_T4_T5_T6_T7_T9_mT8_P12ihipStream_tbDpT10_ENKUlT_T0_E_clISt17integral_constantIbLb1EES19_EEDaS14_S15_EUlS14_E_NS1_11comp_targetILNS1_3genE0ELNS1_11target_archE4294967295ELNS1_3gpuE0ELNS1_3repE0EEENS1_30default_config_static_selectorELNS0_4arch9wavefront6targetE1EEEvT1_.kd
    .uniform_work_group_size: 1
    .uses_dynamic_stack: false
    .vgpr_count:     0
    .vgpr_spill_count: 0
    .wavefront_size: 64
  - .agpr_count:     0
    .args:
      - .offset:         0
        .size:           144
        .value_kind:     by_value
    .group_segment_fixed_size: 0
    .kernarg_segment_align: 8
    .kernarg_segment_size: 144
    .language:       OpenCL C
    .language_version:
      - 2
      - 0
    .max_flat_workgroup_size: 512
    .name:           _ZN7rocprim17ROCPRIM_400000_NS6detail17trampoline_kernelINS0_14default_configENS1_25partition_config_selectorILNS1_17partition_subalgoE1ExNS0_10empty_typeEbEEZZNS1_14partition_implILS5_1ELb0ES3_jN6thrust23THRUST_200600_302600_NS6detail15normal_iteratorINSA_10device_ptrIxEEEEPS6_NSA_18transform_iteratorINSA_8identityIxEESF_NSA_11use_defaultESK_EENS0_5tupleIJSF_SF_EEENSM_IJSG_SG_EEES6_PlJS6_EEE10hipError_tPvRmT3_T4_T5_T6_T7_T9_mT8_P12ihipStream_tbDpT10_ENKUlT_T0_E_clISt17integral_constantIbLb1EES19_EEDaS14_S15_EUlS14_E_NS1_11comp_targetILNS1_3genE5ELNS1_11target_archE942ELNS1_3gpuE9ELNS1_3repE0EEENS1_30default_config_static_selectorELNS0_4arch9wavefront6targetE1EEEvT1_
    .private_segment_fixed_size: 0
    .sgpr_count:     4
    .sgpr_spill_count: 0
    .symbol:         _ZN7rocprim17ROCPRIM_400000_NS6detail17trampoline_kernelINS0_14default_configENS1_25partition_config_selectorILNS1_17partition_subalgoE1ExNS0_10empty_typeEbEEZZNS1_14partition_implILS5_1ELb0ES3_jN6thrust23THRUST_200600_302600_NS6detail15normal_iteratorINSA_10device_ptrIxEEEEPS6_NSA_18transform_iteratorINSA_8identityIxEESF_NSA_11use_defaultESK_EENS0_5tupleIJSF_SF_EEENSM_IJSG_SG_EEES6_PlJS6_EEE10hipError_tPvRmT3_T4_T5_T6_T7_T9_mT8_P12ihipStream_tbDpT10_ENKUlT_T0_E_clISt17integral_constantIbLb1EES19_EEDaS14_S15_EUlS14_E_NS1_11comp_targetILNS1_3genE5ELNS1_11target_archE942ELNS1_3gpuE9ELNS1_3repE0EEENS1_30default_config_static_selectorELNS0_4arch9wavefront6targetE1EEEvT1_.kd
    .uniform_work_group_size: 1
    .uses_dynamic_stack: false
    .vgpr_count:     0
    .vgpr_spill_count: 0
    .wavefront_size: 64
  - .agpr_count:     0
    .args:
      - .offset:         0
        .size:           144
        .value_kind:     by_value
    .group_segment_fixed_size: 6344
    .kernarg_segment_align: 8
    .kernarg_segment_size: 144
    .language:       OpenCL C
    .language_version:
      - 2
      - 0
    .max_flat_workgroup_size: 192
    .name:           _ZN7rocprim17ROCPRIM_400000_NS6detail17trampoline_kernelINS0_14default_configENS1_25partition_config_selectorILNS1_17partition_subalgoE1ExNS0_10empty_typeEbEEZZNS1_14partition_implILS5_1ELb0ES3_jN6thrust23THRUST_200600_302600_NS6detail15normal_iteratorINSA_10device_ptrIxEEEEPS6_NSA_18transform_iteratorINSA_8identityIxEESF_NSA_11use_defaultESK_EENS0_5tupleIJSF_SF_EEENSM_IJSG_SG_EEES6_PlJS6_EEE10hipError_tPvRmT3_T4_T5_T6_T7_T9_mT8_P12ihipStream_tbDpT10_ENKUlT_T0_E_clISt17integral_constantIbLb1EES19_EEDaS14_S15_EUlS14_E_NS1_11comp_targetILNS1_3genE4ELNS1_11target_archE910ELNS1_3gpuE8ELNS1_3repE0EEENS1_30default_config_static_selectorELNS0_4arch9wavefront6targetE1EEEvT1_
    .private_segment_fixed_size: 0
    .sgpr_count:     48
    .sgpr_spill_count: 0
    .symbol:         _ZN7rocprim17ROCPRIM_400000_NS6detail17trampoline_kernelINS0_14default_configENS1_25partition_config_selectorILNS1_17partition_subalgoE1ExNS0_10empty_typeEbEEZZNS1_14partition_implILS5_1ELb0ES3_jN6thrust23THRUST_200600_302600_NS6detail15normal_iteratorINSA_10device_ptrIxEEEEPS6_NSA_18transform_iteratorINSA_8identityIxEESF_NSA_11use_defaultESK_EENS0_5tupleIJSF_SF_EEENSM_IJSG_SG_EEES6_PlJS6_EEE10hipError_tPvRmT3_T4_T5_T6_T7_T9_mT8_P12ihipStream_tbDpT10_ENKUlT_T0_E_clISt17integral_constantIbLb1EES19_EEDaS14_S15_EUlS14_E_NS1_11comp_targetILNS1_3genE4ELNS1_11target_archE910ELNS1_3gpuE8ELNS1_3repE0EEENS1_30default_config_static_selectorELNS0_4arch9wavefront6targetE1EEEvT1_.kd
    .uniform_work_group_size: 1
    .uses_dynamic_stack: false
    .vgpr_count:     47
    .vgpr_spill_count: 0
    .wavefront_size: 64
  - .agpr_count:     0
    .args:
      - .offset:         0
        .size:           144
        .value_kind:     by_value
    .group_segment_fixed_size: 0
    .kernarg_segment_align: 8
    .kernarg_segment_size: 144
    .language:       OpenCL C
    .language_version:
      - 2
      - 0
    .max_flat_workgroup_size: 128
    .name:           _ZN7rocprim17ROCPRIM_400000_NS6detail17trampoline_kernelINS0_14default_configENS1_25partition_config_selectorILNS1_17partition_subalgoE1ExNS0_10empty_typeEbEEZZNS1_14partition_implILS5_1ELb0ES3_jN6thrust23THRUST_200600_302600_NS6detail15normal_iteratorINSA_10device_ptrIxEEEEPS6_NSA_18transform_iteratorINSA_8identityIxEESF_NSA_11use_defaultESK_EENS0_5tupleIJSF_SF_EEENSM_IJSG_SG_EEES6_PlJS6_EEE10hipError_tPvRmT3_T4_T5_T6_T7_T9_mT8_P12ihipStream_tbDpT10_ENKUlT_T0_E_clISt17integral_constantIbLb1EES19_EEDaS14_S15_EUlS14_E_NS1_11comp_targetILNS1_3genE3ELNS1_11target_archE908ELNS1_3gpuE7ELNS1_3repE0EEENS1_30default_config_static_selectorELNS0_4arch9wavefront6targetE1EEEvT1_
    .private_segment_fixed_size: 0
    .sgpr_count:     4
    .sgpr_spill_count: 0
    .symbol:         _ZN7rocprim17ROCPRIM_400000_NS6detail17trampoline_kernelINS0_14default_configENS1_25partition_config_selectorILNS1_17partition_subalgoE1ExNS0_10empty_typeEbEEZZNS1_14partition_implILS5_1ELb0ES3_jN6thrust23THRUST_200600_302600_NS6detail15normal_iteratorINSA_10device_ptrIxEEEEPS6_NSA_18transform_iteratorINSA_8identityIxEESF_NSA_11use_defaultESK_EENS0_5tupleIJSF_SF_EEENSM_IJSG_SG_EEES6_PlJS6_EEE10hipError_tPvRmT3_T4_T5_T6_T7_T9_mT8_P12ihipStream_tbDpT10_ENKUlT_T0_E_clISt17integral_constantIbLb1EES19_EEDaS14_S15_EUlS14_E_NS1_11comp_targetILNS1_3genE3ELNS1_11target_archE908ELNS1_3gpuE7ELNS1_3repE0EEENS1_30default_config_static_selectorELNS0_4arch9wavefront6targetE1EEEvT1_.kd
    .uniform_work_group_size: 1
    .uses_dynamic_stack: false
    .vgpr_count:     0
    .vgpr_spill_count: 0
    .wavefront_size: 64
  - .agpr_count:     0
    .args:
      - .offset:         0
        .size:           144
        .value_kind:     by_value
    .group_segment_fixed_size: 0
    .kernarg_segment_align: 8
    .kernarg_segment_size: 144
    .language:       OpenCL C
    .language_version:
      - 2
      - 0
    .max_flat_workgroup_size: 256
    .name:           _ZN7rocprim17ROCPRIM_400000_NS6detail17trampoline_kernelINS0_14default_configENS1_25partition_config_selectorILNS1_17partition_subalgoE1ExNS0_10empty_typeEbEEZZNS1_14partition_implILS5_1ELb0ES3_jN6thrust23THRUST_200600_302600_NS6detail15normal_iteratorINSA_10device_ptrIxEEEEPS6_NSA_18transform_iteratorINSA_8identityIxEESF_NSA_11use_defaultESK_EENS0_5tupleIJSF_SF_EEENSM_IJSG_SG_EEES6_PlJS6_EEE10hipError_tPvRmT3_T4_T5_T6_T7_T9_mT8_P12ihipStream_tbDpT10_ENKUlT_T0_E_clISt17integral_constantIbLb1EES19_EEDaS14_S15_EUlS14_E_NS1_11comp_targetILNS1_3genE2ELNS1_11target_archE906ELNS1_3gpuE6ELNS1_3repE0EEENS1_30default_config_static_selectorELNS0_4arch9wavefront6targetE1EEEvT1_
    .private_segment_fixed_size: 0
    .sgpr_count:     4
    .sgpr_spill_count: 0
    .symbol:         _ZN7rocprim17ROCPRIM_400000_NS6detail17trampoline_kernelINS0_14default_configENS1_25partition_config_selectorILNS1_17partition_subalgoE1ExNS0_10empty_typeEbEEZZNS1_14partition_implILS5_1ELb0ES3_jN6thrust23THRUST_200600_302600_NS6detail15normal_iteratorINSA_10device_ptrIxEEEEPS6_NSA_18transform_iteratorINSA_8identityIxEESF_NSA_11use_defaultESK_EENS0_5tupleIJSF_SF_EEENSM_IJSG_SG_EEES6_PlJS6_EEE10hipError_tPvRmT3_T4_T5_T6_T7_T9_mT8_P12ihipStream_tbDpT10_ENKUlT_T0_E_clISt17integral_constantIbLb1EES19_EEDaS14_S15_EUlS14_E_NS1_11comp_targetILNS1_3genE2ELNS1_11target_archE906ELNS1_3gpuE6ELNS1_3repE0EEENS1_30default_config_static_selectorELNS0_4arch9wavefront6targetE1EEEvT1_.kd
    .uniform_work_group_size: 1
    .uses_dynamic_stack: false
    .vgpr_count:     0
    .vgpr_spill_count: 0
    .wavefront_size: 64
  - .agpr_count:     0
    .args:
      - .offset:         0
        .size:           144
        .value_kind:     by_value
    .group_segment_fixed_size: 0
    .kernarg_segment_align: 8
    .kernarg_segment_size: 144
    .language:       OpenCL C
    .language_version:
      - 2
      - 0
    .max_flat_workgroup_size: 256
    .name:           _ZN7rocprim17ROCPRIM_400000_NS6detail17trampoline_kernelINS0_14default_configENS1_25partition_config_selectorILNS1_17partition_subalgoE1ExNS0_10empty_typeEbEEZZNS1_14partition_implILS5_1ELb0ES3_jN6thrust23THRUST_200600_302600_NS6detail15normal_iteratorINSA_10device_ptrIxEEEEPS6_NSA_18transform_iteratorINSA_8identityIxEESF_NSA_11use_defaultESK_EENS0_5tupleIJSF_SF_EEENSM_IJSG_SG_EEES6_PlJS6_EEE10hipError_tPvRmT3_T4_T5_T6_T7_T9_mT8_P12ihipStream_tbDpT10_ENKUlT_T0_E_clISt17integral_constantIbLb1EES19_EEDaS14_S15_EUlS14_E_NS1_11comp_targetILNS1_3genE10ELNS1_11target_archE1200ELNS1_3gpuE4ELNS1_3repE0EEENS1_30default_config_static_selectorELNS0_4arch9wavefront6targetE1EEEvT1_
    .private_segment_fixed_size: 0
    .sgpr_count:     4
    .sgpr_spill_count: 0
    .symbol:         _ZN7rocprim17ROCPRIM_400000_NS6detail17trampoline_kernelINS0_14default_configENS1_25partition_config_selectorILNS1_17partition_subalgoE1ExNS0_10empty_typeEbEEZZNS1_14partition_implILS5_1ELb0ES3_jN6thrust23THRUST_200600_302600_NS6detail15normal_iteratorINSA_10device_ptrIxEEEEPS6_NSA_18transform_iteratorINSA_8identityIxEESF_NSA_11use_defaultESK_EENS0_5tupleIJSF_SF_EEENSM_IJSG_SG_EEES6_PlJS6_EEE10hipError_tPvRmT3_T4_T5_T6_T7_T9_mT8_P12ihipStream_tbDpT10_ENKUlT_T0_E_clISt17integral_constantIbLb1EES19_EEDaS14_S15_EUlS14_E_NS1_11comp_targetILNS1_3genE10ELNS1_11target_archE1200ELNS1_3gpuE4ELNS1_3repE0EEENS1_30default_config_static_selectorELNS0_4arch9wavefront6targetE1EEEvT1_.kd
    .uniform_work_group_size: 1
    .uses_dynamic_stack: false
    .vgpr_count:     0
    .vgpr_spill_count: 0
    .wavefront_size: 64
  - .agpr_count:     0
    .args:
      - .offset:         0
        .size:           144
        .value_kind:     by_value
    .group_segment_fixed_size: 0
    .kernarg_segment_align: 8
    .kernarg_segment_size: 144
    .language:       OpenCL C
    .language_version:
      - 2
      - 0
    .max_flat_workgroup_size: 128
    .name:           _ZN7rocprim17ROCPRIM_400000_NS6detail17trampoline_kernelINS0_14default_configENS1_25partition_config_selectorILNS1_17partition_subalgoE1ExNS0_10empty_typeEbEEZZNS1_14partition_implILS5_1ELb0ES3_jN6thrust23THRUST_200600_302600_NS6detail15normal_iteratorINSA_10device_ptrIxEEEEPS6_NSA_18transform_iteratorINSA_8identityIxEESF_NSA_11use_defaultESK_EENS0_5tupleIJSF_SF_EEENSM_IJSG_SG_EEES6_PlJS6_EEE10hipError_tPvRmT3_T4_T5_T6_T7_T9_mT8_P12ihipStream_tbDpT10_ENKUlT_T0_E_clISt17integral_constantIbLb1EES19_EEDaS14_S15_EUlS14_E_NS1_11comp_targetILNS1_3genE9ELNS1_11target_archE1100ELNS1_3gpuE3ELNS1_3repE0EEENS1_30default_config_static_selectorELNS0_4arch9wavefront6targetE1EEEvT1_
    .private_segment_fixed_size: 0
    .sgpr_count:     4
    .sgpr_spill_count: 0
    .symbol:         _ZN7rocprim17ROCPRIM_400000_NS6detail17trampoline_kernelINS0_14default_configENS1_25partition_config_selectorILNS1_17partition_subalgoE1ExNS0_10empty_typeEbEEZZNS1_14partition_implILS5_1ELb0ES3_jN6thrust23THRUST_200600_302600_NS6detail15normal_iteratorINSA_10device_ptrIxEEEEPS6_NSA_18transform_iteratorINSA_8identityIxEESF_NSA_11use_defaultESK_EENS0_5tupleIJSF_SF_EEENSM_IJSG_SG_EEES6_PlJS6_EEE10hipError_tPvRmT3_T4_T5_T6_T7_T9_mT8_P12ihipStream_tbDpT10_ENKUlT_T0_E_clISt17integral_constantIbLb1EES19_EEDaS14_S15_EUlS14_E_NS1_11comp_targetILNS1_3genE9ELNS1_11target_archE1100ELNS1_3gpuE3ELNS1_3repE0EEENS1_30default_config_static_selectorELNS0_4arch9wavefront6targetE1EEEvT1_.kd
    .uniform_work_group_size: 1
    .uses_dynamic_stack: false
    .vgpr_count:     0
    .vgpr_spill_count: 0
    .wavefront_size: 64
  - .agpr_count:     0
    .args:
      - .offset:         0
        .size:           144
        .value_kind:     by_value
    .group_segment_fixed_size: 0
    .kernarg_segment_align: 8
    .kernarg_segment_size: 144
    .language:       OpenCL C
    .language_version:
      - 2
      - 0
    .max_flat_workgroup_size: 512
    .name:           _ZN7rocprim17ROCPRIM_400000_NS6detail17trampoline_kernelINS0_14default_configENS1_25partition_config_selectorILNS1_17partition_subalgoE1ExNS0_10empty_typeEbEEZZNS1_14partition_implILS5_1ELb0ES3_jN6thrust23THRUST_200600_302600_NS6detail15normal_iteratorINSA_10device_ptrIxEEEEPS6_NSA_18transform_iteratorINSA_8identityIxEESF_NSA_11use_defaultESK_EENS0_5tupleIJSF_SF_EEENSM_IJSG_SG_EEES6_PlJS6_EEE10hipError_tPvRmT3_T4_T5_T6_T7_T9_mT8_P12ihipStream_tbDpT10_ENKUlT_T0_E_clISt17integral_constantIbLb1EES19_EEDaS14_S15_EUlS14_E_NS1_11comp_targetILNS1_3genE8ELNS1_11target_archE1030ELNS1_3gpuE2ELNS1_3repE0EEENS1_30default_config_static_selectorELNS0_4arch9wavefront6targetE1EEEvT1_
    .private_segment_fixed_size: 0
    .sgpr_count:     4
    .sgpr_spill_count: 0
    .symbol:         _ZN7rocprim17ROCPRIM_400000_NS6detail17trampoline_kernelINS0_14default_configENS1_25partition_config_selectorILNS1_17partition_subalgoE1ExNS0_10empty_typeEbEEZZNS1_14partition_implILS5_1ELb0ES3_jN6thrust23THRUST_200600_302600_NS6detail15normal_iteratorINSA_10device_ptrIxEEEEPS6_NSA_18transform_iteratorINSA_8identityIxEESF_NSA_11use_defaultESK_EENS0_5tupleIJSF_SF_EEENSM_IJSG_SG_EEES6_PlJS6_EEE10hipError_tPvRmT3_T4_T5_T6_T7_T9_mT8_P12ihipStream_tbDpT10_ENKUlT_T0_E_clISt17integral_constantIbLb1EES19_EEDaS14_S15_EUlS14_E_NS1_11comp_targetILNS1_3genE8ELNS1_11target_archE1030ELNS1_3gpuE2ELNS1_3repE0EEENS1_30default_config_static_selectorELNS0_4arch9wavefront6targetE1EEEvT1_.kd
    .uniform_work_group_size: 1
    .uses_dynamic_stack: false
    .vgpr_count:     0
    .vgpr_spill_count: 0
    .wavefront_size: 64
  - .agpr_count:     0
    .args:
      - .offset:         0
        .size:           128
        .value_kind:     by_value
    .group_segment_fixed_size: 0
    .kernarg_segment_align: 8
    .kernarg_segment_size: 128
    .language:       OpenCL C
    .language_version:
      - 2
      - 0
    .max_flat_workgroup_size: 128
    .name:           _ZN7rocprim17ROCPRIM_400000_NS6detail17trampoline_kernelINS0_14default_configENS1_25partition_config_selectorILNS1_17partition_subalgoE1ExNS0_10empty_typeEbEEZZNS1_14partition_implILS5_1ELb0ES3_jN6thrust23THRUST_200600_302600_NS6detail15normal_iteratorINSA_10device_ptrIxEEEEPS6_NSA_18transform_iteratorINSA_8identityIxEESF_NSA_11use_defaultESK_EENS0_5tupleIJSF_SF_EEENSM_IJSG_SG_EEES6_PlJS6_EEE10hipError_tPvRmT3_T4_T5_T6_T7_T9_mT8_P12ihipStream_tbDpT10_ENKUlT_T0_E_clISt17integral_constantIbLb1EES18_IbLb0EEEEDaS14_S15_EUlS14_E_NS1_11comp_targetILNS1_3genE0ELNS1_11target_archE4294967295ELNS1_3gpuE0ELNS1_3repE0EEENS1_30default_config_static_selectorELNS0_4arch9wavefront6targetE1EEEvT1_
    .private_segment_fixed_size: 0
    .sgpr_count:     4
    .sgpr_spill_count: 0
    .symbol:         _ZN7rocprim17ROCPRIM_400000_NS6detail17trampoline_kernelINS0_14default_configENS1_25partition_config_selectorILNS1_17partition_subalgoE1ExNS0_10empty_typeEbEEZZNS1_14partition_implILS5_1ELb0ES3_jN6thrust23THRUST_200600_302600_NS6detail15normal_iteratorINSA_10device_ptrIxEEEEPS6_NSA_18transform_iteratorINSA_8identityIxEESF_NSA_11use_defaultESK_EENS0_5tupleIJSF_SF_EEENSM_IJSG_SG_EEES6_PlJS6_EEE10hipError_tPvRmT3_T4_T5_T6_T7_T9_mT8_P12ihipStream_tbDpT10_ENKUlT_T0_E_clISt17integral_constantIbLb1EES18_IbLb0EEEEDaS14_S15_EUlS14_E_NS1_11comp_targetILNS1_3genE0ELNS1_11target_archE4294967295ELNS1_3gpuE0ELNS1_3repE0EEENS1_30default_config_static_selectorELNS0_4arch9wavefront6targetE1EEEvT1_.kd
    .uniform_work_group_size: 1
    .uses_dynamic_stack: false
    .vgpr_count:     0
    .vgpr_spill_count: 0
    .wavefront_size: 64
  - .agpr_count:     0
    .args:
      - .offset:         0
        .size:           128
        .value_kind:     by_value
    .group_segment_fixed_size: 0
    .kernarg_segment_align: 8
    .kernarg_segment_size: 128
    .language:       OpenCL C
    .language_version:
      - 2
      - 0
    .max_flat_workgroup_size: 512
    .name:           _ZN7rocprim17ROCPRIM_400000_NS6detail17trampoline_kernelINS0_14default_configENS1_25partition_config_selectorILNS1_17partition_subalgoE1ExNS0_10empty_typeEbEEZZNS1_14partition_implILS5_1ELb0ES3_jN6thrust23THRUST_200600_302600_NS6detail15normal_iteratorINSA_10device_ptrIxEEEEPS6_NSA_18transform_iteratorINSA_8identityIxEESF_NSA_11use_defaultESK_EENS0_5tupleIJSF_SF_EEENSM_IJSG_SG_EEES6_PlJS6_EEE10hipError_tPvRmT3_T4_T5_T6_T7_T9_mT8_P12ihipStream_tbDpT10_ENKUlT_T0_E_clISt17integral_constantIbLb1EES18_IbLb0EEEEDaS14_S15_EUlS14_E_NS1_11comp_targetILNS1_3genE5ELNS1_11target_archE942ELNS1_3gpuE9ELNS1_3repE0EEENS1_30default_config_static_selectorELNS0_4arch9wavefront6targetE1EEEvT1_
    .private_segment_fixed_size: 0
    .sgpr_count:     4
    .sgpr_spill_count: 0
    .symbol:         _ZN7rocprim17ROCPRIM_400000_NS6detail17trampoline_kernelINS0_14default_configENS1_25partition_config_selectorILNS1_17partition_subalgoE1ExNS0_10empty_typeEbEEZZNS1_14partition_implILS5_1ELb0ES3_jN6thrust23THRUST_200600_302600_NS6detail15normal_iteratorINSA_10device_ptrIxEEEEPS6_NSA_18transform_iteratorINSA_8identityIxEESF_NSA_11use_defaultESK_EENS0_5tupleIJSF_SF_EEENSM_IJSG_SG_EEES6_PlJS6_EEE10hipError_tPvRmT3_T4_T5_T6_T7_T9_mT8_P12ihipStream_tbDpT10_ENKUlT_T0_E_clISt17integral_constantIbLb1EES18_IbLb0EEEEDaS14_S15_EUlS14_E_NS1_11comp_targetILNS1_3genE5ELNS1_11target_archE942ELNS1_3gpuE9ELNS1_3repE0EEENS1_30default_config_static_selectorELNS0_4arch9wavefront6targetE1EEEvT1_.kd
    .uniform_work_group_size: 1
    .uses_dynamic_stack: false
    .vgpr_count:     0
    .vgpr_spill_count: 0
    .wavefront_size: 64
  - .agpr_count:     0
    .args:
      - .offset:         0
        .size:           128
        .value_kind:     by_value
    .group_segment_fixed_size: 6344
    .kernarg_segment_align: 8
    .kernarg_segment_size: 128
    .language:       OpenCL C
    .language_version:
      - 2
      - 0
    .max_flat_workgroup_size: 192
    .name:           _ZN7rocprim17ROCPRIM_400000_NS6detail17trampoline_kernelINS0_14default_configENS1_25partition_config_selectorILNS1_17partition_subalgoE1ExNS0_10empty_typeEbEEZZNS1_14partition_implILS5_1ELb0ES3_jN6thrust23THRUST_200600_302600_NS6detail15normal_iteratorINSA_10device_ptrIxEEEEPS6_NSA_18transform_iteratorINSA_8identityIxEESF_NSA_11use_defaultESK_EENS0_5tupleIJSF_SF_EEENSM_IJSG_SG_EEES6_PlJS6_EEE10hipError_tPvRmT3_T4_T5_T6_T7_T9_mT8_P12ihipStream_tbDpT10_ENKUlT_T0_E_clISt17integral_constantIbLb1EES18_IbLb0EEEEDaS14_S15_EUlS14_E_NS1_11comp_targetILNS1_3genE4ELNS1_11target_archE910ELNS1_3gpuE8ELNS1_3repE0EEENS1_30default_config_static_selectorELNS0_4arch9wavefront6targetE1EEEvT1_
    .private_segment_fixed_size: 0
    .sgpr_count:     48
    .sgpr_spill_count: 0
    .symbol:         _ZN7rocprim17ROCPRIM_400000_NS6detail17trampoline_kernelINS0_14default_configENS1_25partition_config_selectorILNS1_17partition_subalgoE1ExNS0_10empty_typeEbEEZZNS1_14partition_implILS5_1ELb0ES3_jN6thrust23THRUST_200600_302600_NS6detail15normal_iteratorINSA_10device_ptrIxEEEEPS6_NSA_18transform_iteratorINSA_8identityIxEESF_NSA_11use_defaultESK_EENS0_5tupleIJSF_SF_EEENSM_IJSG_SG_EEES6_PlJS6_EEE10hipError_tPvRmT3_T4_T5_T6_T7_T9_mT8_P12ihipStream_tbDpT10_ENKUlT_T0_E_clISt17integral_constantIbLb1EES18_IbLb0EEEEDaS14_S15_EUlS14_E_NS1_11comp_targetILNS1_3genE4ELNS1_11target_archE910ELNS1_3gpuE8ELNS1_3repE0EEENS1_30default_config_static_selectorELNS0_4arch9wavefront6targetE1EEEvT1_.kd
    .uniform_work_group_size: 1
    .uses_dynamic_stack: false
    .vgpr_count:     43
    .vgpr_spill_count: 0
    .wavefront_size: 64
  - .agpr_count:     0
    .args:
      - .offset:         0
        .size:           128
        .value_kind:     by_value
    .group_segment_fixed_size: 0
    .kernarg_segment_align: 8
    .kernarg_segment_size: 128
    .language:       OpenCL C
    .language_version:
      - 2
      - 0
    .max_flat_workgroup_size: 128
    .name:           _ZN7rocprim17ROCPRIM_400000_NS6detail17trampoline_kernelINS0_14default_configENS1_25partition_config_selectorILNS1_17partition_subalgoE1ExNS0_10empty_typeEbEEZZNS1_14partition_implILS5_1ELb0ES3_jN6thrust23THRUST_200600_302600_NS6detail15normal_iteratorINSA_10device_ptrIxEEEEPS6_NSA_18transform_iteratorINSA_8identityIxEESF_NSA_11use_defaultESK_EENS0_5tupleIJSF_SF_EEENSM_IJSG_SG_EEES6_PlJS6_EEE10hipError_tPvRmT3_T4_T5_T6_T7_T9_mT8_P12ihipStream_tbDpT10_ENKUlT_T0_E_clISt17integral_constantIbLb1EES18_IbLb0EEEEDaS14_S15_EUlS14_E_NS1_11comp_targetILNS1_3genE3ELNS1_11target_archE908ELNS1_3gpuE7ELNS1_3repE0EEENS1_30default_config_static_selectorELNS0_4arch9wavefront6targetE1EEEvT1_
    .private_segment_fixed_size: 0
    .sgpr_count:     4
    .sgpr_spill_count: 0
    .symbol:         _ZN7rocprim17ROCPRIM_400000_NS6detail17trampoline_kernelINS0_14default_configENS1_25partition_config_selectorILNS1_17partition_subalgoE1ExNS0_10empty_typeEbEEZZNS1_14partition_implILS5_1ELb0ES3_jN6thrust23THRUST_200600_302600_NS6detail15normal_iteratorINSA_10device_ptrIxEEEEPS6_NSA_18transform_iteratorINSA_8identityIxEESF_NSA_11use_defaultESK_EENS0_5tupleIJSF_SF_EEENSM_IJSG_SG_EEES6_PlJS6_EEE10hipError_tPvRmT3_T4_T5_T6_T7_T9_mT8_P12ihipStream_tbDpT10_ENKUlT_T0_E_clISt17integral_constantIbLb1EES18_IbLb0EEEEDaS14_S15_EUlS14_E_NS1_11comp_targetILNS1_3genE3ELNS1_11target_archE908ELNS1_3gpuE7ELNS1_3repE0EEENS1_30default_config_static_selectorELNS0_4arch9wavefront6targetE1EEEvT1_.kd
    .uniform_work_group_size: 1
    .uses_dynamic_stack: false
    .vgpr_count:     0
    .vgpr_spill_count: 0
    .wavefront_size: 64
  - .agpr_count:     0
    .args:
      - .offset:         0
        .size:           128
        .value_kind:     by_value
    .group_segment_fixed_size: 0
    .kernarg_segment_align: 8
    .kernarg_segment_size: 128
    .language:       OpenCL C
    .language_version:
      - 2
      - 0
    .max_flat_workgroup_size: 256
    .name:           _ZN7rocprim17ROCPRIM_400000_NS6detail17trampoline_kernelINS0_14default_configENS1_25partition_config_selectorILNS1_17partition_subalgoE1ExNS0_10empty_typeEbEEZZNS1_14partition_implILS5_1ELb0ES3_jN6thrust23THRUST_200600_302600_NS6detail15normal_iteratorINSA_10device_ptrIxEEEEPS6_NSA_18transform_iteratorINSA_8identityIxEESF_NSA_11use_defaultESK_EENS0_5tupleIJSF_SF_EEENSM_IJSG_SG_EEES6_PlJS6_EEE10hipError_tPvRmT3_T4_T5_T6_T7_T9_mT8_P12ihipStream_tbDpT10_ENKUlT_T0_E_clISt17integral_constantIbLb1EES18_IbLb0EEEEDaS14_S15_EUlS14_E_NS1_11comp_targetILNS1_3genE2ELNS1_11target_archE906ELNS1_3gpuE6ELNS1_3repE0EEENS1_30default_config_static_selectorELNS0_4arch9wavefront6targetE1EEEvT1_
    .private_segment_fixed_size: 0
    .sgpr_count:     4
    .sgpr_spill_count: 0
    .symbol:         _ZN7rocprim17ROCPRIM_400000_NS6detail17trampoline_kernelINS0_14default_configENS1_25partition_config_selectorILNS1_17partition_subalgoE1ExNS0_10empty_typeEbEEZZNS1_14partition_implILS5_1ELb0ES3_jN6thrust23THRUST_200600_302600_NS6detail15normal_iteratorINSA_10device_ptrIxEEEEPS6_NSA_18transform_iteratorINSA_8identityIxEESF_NSA_11use_defaultESK_EENS0_5tupleIJSF_SF_EEENSM_IJSG_SG_EEES6_PlJS6_EEE10hipError_tPvRmT3_T4_T5_T6_T7_T9_mT8_P12ihipStream_tbDpT10_ENKUlT_T0_E_clISt17integral_constantIbLb1EES18_IbLb0EEEEDaS14_S15_EUlS14_E_NS1_11comp_targetILNS1_3genE2ELNS1_11target_archE906ELNS1_3gpuE6ELNS1_3repE0EEENS1_30default_config_static_selectorELNS0_4arch9wavefront6targetE1EEEvT1_.kd
    .uniform_work_group_size: 1
    .uses_dynamic_stack: false
    .vgpr_count:     0
    .vgpr_spill_count: 0
    .wavefront_size: 64
  - .agpr_count:     0
    .args:
      - .offset:         0
        .size:           128
        .value_kind:     by_value
    .group_segment_fixed_size: 0
    .kernarg_segment_align: 8
    .kernarg_segment_size: 128
    .language:       OpenCL C
    .language_version:
      - 2
      - 0
    .max_flat_workgroup_size: 256
    .name:           _ZN7rocprim17ROCPRIM_400000_NS6detail17trampoline_kernelINS0_14default_configENS1_25partition_config_selectorILNS1_17partition_subalgoE1ExNS0_10empty_typeEbEEZZNS1_14partition_implILS5_1ELb0ES3_jN6thrust23THRUST_200600_302600_NS6detail15normal_iteratorINSA_10device_ptrIxEEEEPS6_NSA_18transform_iteratorINSA_8identityIxEESF_NSA_11use_defaultESK_EENS0_5tupleIJSF_SF_EEENSM_IJSG_SG_EEES6_PlJS6_EEE10hipError_tPvRmT3_T4_T5_T6_T7_T9_mT8_P12ihipStream_tbDpT10_ENKUlT_T0_E_clISt17integral_constantIbLb1EES18_IbLb0EEEEDaS14_S15_EUlS14_E_NS1_11comp_targetILNS1_3genE10ELNS1_11target_archE1200ELNS1_3gpuE4ELNS1_3repE0EEENS1_30default_config_static_selectorELNS0_4arch9wavefront6targetE1EEEvT1_
    .private_segment_fixed_size: 0
    .sgpr_count:     4
    .sgpr_spill_count: 0
    .symbol:         _ZN7rocprim17ROCPRIM_400000_NS6detail17trampoline_kernelINS0_14default_configENS1_25partition_config_selectorILNS1_17partition_subalgoE1ExNS0_10empty_typeEbEEZZNS1_14partition_implILS5_1ELb0ES3_jN6thrust23THRUST_200600_302600_NS6detail15normal_iteratorINSA_10device_ptrIxEEEEPS6_NSA_18transform_iteratorINSA_8identityIxEESF_NSA_11use_defaultESK_EENS0_5tupleIJSF_SF_EEENSM_IJSG_SG_EEES6_PlJS6_EEE10hipError_tPvRmT3_T4_T5_T6_T7_T9_mT8_P12ihipStream_tbDpT10_ENKUlT_T0_E_clISt17integral_constantIbLb1EES18_IbLb0EEEEDaS14_S15_EUlS14_E_NS1_11comp_targetILNS1_3genE10ELNS1_11target_archE1200ELNS1_3gpuE4ELNS1_3repE0EEENS1_30default_config_static_selectorELNS0_4arch9wavefront6targetE1EEEvT1_.kd
    .uniform_work_group_size: 1
    .uses_dynamic_stack: false
    .vgpr_count:     0
    .vgpr_spill_count: 0
    .wavefront_size: 64
  - .agpr_count:     0
    .args:
      - .offset:         0
        .size:           128
        .value_kind:     by_value
    .group_segment_fixed_size: 0
    .kernarg_segment_align: 8
    .kernarg_segment_size: 128
    .language:       OpenCL C
    .language_version:
      - 2
      - 0
    .max_flat_workgroup_size: 128
    .name:           _ZN7rocprim17ROCPRIM_400000_NS6detail17trampoline_kernelINS0_14default_configENS1_25partition_config_selectorILNS1_17partition_subalgoE1ExNS0_10empty_typeEbEEZZNS1_14partition_implILS5_1ELb0ES3_jN6thrust23THRUST_200600_302600_NS6detail15normal_iteratorINSA_10device_ptrIxEEEEPS6_NSA_18transform_iteratorINSA_8identityIxEESF_NSA_11use_defaultESK_EENS0_5tupleIJSF_SF_EEENSM_IJSG_SG_EEES6_PlJS6_EEE10hipError_tPvRmT3_T4_T5_T6_T7_T9_mT8_P12ihipStream_tbDpT10_ENKUlT_T0_E_clISt17integral_constantIbLb1EES18_IbLb0EEEEDaS14_S15_EUlS14_E_NS1_11comp_targetILNS1_3genE9ELNS1_11target_archE1100ELNS1_3gpuE3ELNS1_3repE0EEENS1_30default_config_static_selectorELNS0_4arch9wavefront6targetE1EEEvT1_
    .private_segment_fixed_size: 0
    .sgpr_count:     4
    .sgpr_spill_count: 0
    .symbol:         _ZN7rocprim17ROCPRIM_400000_NS6detail17trampoline_kernelINS0_14default_configENS1_25partition_config_selectorILNS1_17partition_subalgoE1ExNS0_10empty_typeEbEEZZNS1_14partition_implILS5_1ELb0ES3_jN6thrust23THRUST_200600_302600_NS6detail15normal_iteratorINSA_10device_ptrIxEEEEPS6_NSA_18transform_iteratorINSA_8identityIxEESF_NSA_11use_defaultESK_EENS0_5tupleIJSF_SF_EEENSM_IJSG_SG_EEES6_PlJS6_EEE10hipError_tPvRmT3_T4_T5_T6_T7_T9_mT8_P12ihipStream_tbDpT10_ENKUlT_T0_E_clISt17integral_constantIbLb1EES18_IbLb0EEEEDaS14_S15_EUlS14_E_NS1_11comp_targetILNS1_3genE9ELNS1_11target_archE1100ELNS1_3gpuE3ELNS1_3repE0EEENS1_30default_config_static_selectorELNS0_4arch9wavefront6targetE1EEEvT1_.kd
    .uniform_work_group_size: 1
    .uses_dynamic_stack: false
    .vgpr_count:     0
    .vgpr_spill_count: 0
    .wavefront_size: 64
  - .agpr_count:     0
    .args:
      - .offset:         0
        .size:           128
        .value_kind:     by_value
    .group_segment_fixed_size: 0
    .kernarg_segment_align: 8
    .kernarg_segment_size: 128
    .language:       OpenCL C
    .language_version:
      - 2
      - 0
    .max_flat_workgroup_size: 512
    .name:           _ZN7rocprim17ROCPRIM_400000_NS6detail17trampoline_kernelINS0_14default_configENS1_25partition_config_selectorILNS1_17partition_subalgoE1ExNS0_10empty_typeEbEEZZNS1_14partition_implILS5_1ELb0ES3_jN6thrust23THRUST_200600_302600_NS6detail15normal_iteratorINSA_10device_ptrIxEEEEPS6_NSA_18transform_iteratorINSA_8identityIxEESF_NSA_11use_defaultESK_EENS0_5tupleIJSF_SF_EEENSM_IJSG_SG_EEES6_PlJS6_EEE10hipError_tPvRmT3_T4_T5_T6_T7_T9_mT8_P12ihipStream_tbDpT10_ENKUlT_T0_E_clISt17integral_constantIbLb1EES18_IbLb0EEEEDaS14_S15_EUlS14_E_NS1_11comp_targetILNS1_3genE8ELNS1_11target_archE1030ELNS1_3gpuE2ELNS1_3repE0EEENS1_30default_config_static_selectorELNS0_4arch9wavefront6targetE1EEEvT1_
    .private_segment_fixed_size: 0
    .sgpr_count:     4
    .sgpr_spill_count: 0
    .symbol:         _ZN7rocprim17ROCPRIM_400000_NS6detail17trampoline_kernelINS0_14default_configENS1_25partition_config_selectorILNS1_17partition_subalgoE1ExNS0_10empty_typeEbEEZZNS1_14partition_implILS5_1ELb0ES3_jN6thrust23THRUST_200600_302600_NS6detail15normal_iteratorINSA_10device_ptrIxEEEEPS6_NSA_18transform_iteratorINSA_8identityIxEESF_NSA_11use_defaultESK_EENS0_5tupleIJSF_SF_EEENSM_IJSG_SG_EEES6_PlJS6_EEE10hipError_tPvRmT3_T4_T5_T6_T7_T9_mT8_P12ihipStream_tbDpT10_ENKUlT_T0_E_clISt17integral_constantIbLb1EES18_IbLb0EEEEDaS14_S15_EUlS14_E_NS1_11comp_targetILNS1_3genE8ELNS1_11target_archE1030ELNS1_3gpuE2ELNS1_3repE0EEENS1_30default_config_static_selectorELNS0_4arch9wavefront6targetE1EEEvT1_.kd
    .uniform_work_group_size: 1
    .uses_dynamic_stack: false
    .vgpr_count:     0
    .vgpr_spill_count: 0
    .wavefront_size: 64
  - .agpr_count:     0
    .args:
      - .offset:         0
        .size:           144
        .value_kind:     by_value
    .group_segment_fixed_size: 0
    .kernarg_segment_align: 8
    .kernarg_segment_size: 144
    .language:       OpenCL C
    .language_version:
      - 2
      - 0
    .max_flat_workgroup_size: 128
    .name:           _ZN7rocprim17ROCPRIM_400000_NS6detail17trampoline_kernelINS0_14default_configENS1_25partition_config_selectorILNS1_17partition_subalgoE1ExNS0_10empty_typeEbEEZZNS1_14partition_implILS5_1ELb0ES3_jN6thrust23THRUST_200600_302600_NS6detail15normal_iteratorINSA_10device_ptrIxEEEEPS6_NSA_18transform_iteratorINSA_8identityIxEESF_NSA_11use_defaultESK_EENS0_5tupleIJSF_SF_EEENSM_IJSG_SG_EEES6_PlJS6_EEE10hipError_tPvRmT3_T4_T5_T6_T7_T9_mT8_P12ihipStream_tbDpT10_ENKUlT_T0_E_clISt17integral_constantIbLb0EES18_IbLb1EEEEDaS14_S15_EUlS14_E_NS1_11comp_targetILNS1_3genE0ELNS1_11target_archE4294967295ELNS1_3gpuE0ELNS1_3repE0EEENS1_30default_config_static_selectorELNS0_4arch9wavefront6targetE1EEEvT1_
    .private_segment_fixed_size: 0
    .sgpr_count:     4
    .sgpr_spill_count: 0
    .symbol:         _ZN7rocprim17ROCPRIM_400000_NS6detail17trampoline_kernelINS0_14default_configENS1_25partition_config_selectorILNS1_17partition_subalgoE1ExNS0_10empty_typeEbEEZZNS1_14partition_implILS5_1ELb0ES3_jN6thrust23THRUST_200600_302600_NS6detail15normal_iteratorINSA_10device_ptrIxEEEEPS6_NSA_18transform_iteratorINSA_8identityIxEESF_NSA_11use_defaultESK_EENS0_5tupleIJSF_SF_EEENSM_IJSG_SG_EEES6_PlJS6_EEE10hipError_tPvRmT3_T4_T5_T6_T7_T9_mT8_P12ihipStream_tbDpT10_ENKUlT_T0_E_clISt17integral_constantIbLb0EES18_IbLb1EEEEDaS14_S15_EUlS14_E_NS1_11comp_targetILNS1_3genE0ELNS1_11target_archE4294967295ELNS1_3gpuE0ELNS1_3repE0EEENS1_30default_config_static_selectorELNS0_4arch9wavefront6targetE1EEEvT1_.kd
    .uniform_work_group_size: 1
    .uses_dynamic_stack: false
    .vgpr_count:     0
    .vgpr_spill_count: 0
    .wavefront_size: 64
  - .agpr_count:     0
    .args:
      - .offset:         0
        .size:           144
        .value_kind:     by_value
    .group_segment_fixed_size: 0
    .kernarg_segment_align: 8
    .kernarg_segment_size: 144
    .language:       OpenCL C
    .language_version:
      - 2
      - 0
    .max_flat_workgroup_size: 512
    .name:           _ZN7rocprim17ROCPRIM_400000_NS6detail17trampoline_kernelINS0_14default_configENS1_25partition_config_selectorILNS1_17partition_subalgoE1ExNS0_10empty_typeEbEEZZNS1_14partition_implILS5_1ELb0ES3_jN6thrust23THRUST_200600_302600_NS6detail15normal_iteratorINSA_10device_ptrIxEEEEPS6_NSA_18transform_iteratorINSA_8identityIxEESF_NSA_11use_defaultESK_EENS0_5tupleIJSF_SF_EEENSM_IJSG_SG_EEES6_PlJS6_EEE10hipError_tPvRmT3_T4_T5_T6_T7_T9_mT8_P12ihipStream_tbDpT10_ENKUlT_T0_E_clISt17integral_constantIbLb0EES18_IbLb1EEEEDaS14_S15_EUlS14_E_NS1_11comp_targetILNS1_3genE5ELNS1_11target_archE942ELNS1_3gpuE9ELNS1_3repE0EEENS1_30default_config_static_selectorELNS0_4arch9wavefront6targetE1EEEvT1_
    .private_segment_fixed_size: 0
    .sgpr_count:     4
    .sgpr_spill_count: 0
    .symbol:         _ZN7rocprim17ROCPRIM_400000_NS6detail17trampoline_kernelINS0_14default_configENS1_25partition_config_selectorILNS1_17partition_subalgoE1ExNS0_10empty_typeEbEEZZNS1_14partition_implILS5_1ELb0ES3_jN6thrust23THRUST_200600_302600_NS6detail15normal_iteratorINSA_10device_ptrIxEEEEPS6_NSA_18transform_iteratorINSA_8identityIxEESF_NSA_11use_defaultESK_EENS0_5tupleIJSF_SF_EEENSM_IJSG_SG_EEES6_PlJS6_EEE10hipError_tPvRmT3_T4_T5_T6_T7_T9_mT8_P12ihipStream_tbDpT10_ENKUlT_T0_E_clISt17integral_constantIbLb0EES18_IbLb1EEEEDaS14_S15_EUlS14_E_NS1_11comp_targetILNS1_3genE5ELNS1_11target_archE942ELNS1_3gpuE9ELNS1_3repE0EEENS1_30default_config_static_selectorELNS0_4arch9wavefront6targetE1EEEvT1_.kd
    .uniform_work_group_size: 1
    .uses_dynamic_stack: false
    .vgpr_count:     0
    .vgpr_spill_count: 0
    .wavefront_size: 64
  - .agpr_count:     0
    .args:
      - .offset:         0
        .size:           144
        .value_kind:     by_value
    .group_segment_fixed_size: 6344
    .kernarg_segment_align: 8
    .kernarg_segment_size: 144
    .language:       OpenCL C
    .language_version:
      - 2
      - 0
    .max_flat_workgroup_size: 192
    .name:           _ZN7rocprim17ROCPRIM_400000_NS6detail17trampoline_kernelINS0_14default_configENS1_25partition_config_selectorILNS1_17partition_subalgoE1ExNS0_10empty_typeEbEEZZNS1_14partition_implILS5_1ELb0ES3_jN6thrust23THRUST_200600_302600_NS6detail15normal_iteratorINSA_10device_ptrIxEEEEPS6_NSA_18transform_iteratorINSA_8identityIxEESF_NSA_11use_defaultESK_EENS0_5tupleIJSF_SF_EEENSM_IJSG_SG_EEES6_PlJS6_EEE10hipError_tPvRmT3_T4_T5_T6_T7_T9_mT8_P12ihipStream_tbDpT10_ENKUlT_T0_E_clISt17integral_constantIbLb0EES18_IbLb1EEEEDaS14_S15_EUlS14_E_NS1_11comp_targetILNS1_3genE4ELNS1_11target_archE910ELNS1_3gpuE8ELNS1_3repE0EEENS1_30default_config_static_selectorELNS0_4arch9wavefront6targetE1EEEvT1_
    .private_segment_fixed_size: 0
    .sgpr_count:     48
    .sgpr_spill_count: 0
    .symbol:         _ZN7rocprim17ROCPRIM_400000_NS6detail17trampoline_kernelINS0_14default_configENS1_25partition_config_selectorILNS1_17partition_subalgoE1ExNS0_10empty_typeEbEEZZNS1_14partition_implILS5_1ELb0ES3_jN6thrust23THRUST_200600_302600_NS6detail15normal_iteratorINSA_10device_ptrIxEEEEPS6_NSA_18transform_iteratorINSA_8identityIxEESF_NSA_11use_defaultESK_EENS0_5tupleIJSF_SF_EEENSM_IJSG_SG_EEES6_PlJS6_EEE10hipError_tPvRmT3_T4_T5_T6_T7_T9_mT8_P12ihipStream_tbDpT10_ENKUlT_T0_E_clISt17integral_constantIbLb0EES18_IbLb1EEEEDaS14_S15_EUlS14_E_NS1_11comp_targetILNS1_3genE4ELNS1_11target_archE910ELNS1_3gpuE8ELNS1_3repE0EEENS1_30default_config_static_selectorELNS0_4arch9wavefront6targetE1EEEvT1_.kd
    .uniform_work_group_size: 1
    .uses_dynamic_stack: false
    .vgpr_count:     47
    .vgpr_spill_count: 0
    .wavefront_size: 64
  - .agpr_count:     0
    .args:
      - .offset:         0
        .size:           144
        .value_kind:     by_value
    .group_segment_fixed_size: 0
    .kernarg_segment_align: 8
    .kernarg_segment_size: 144
    .language:       OpenCL C
    .language_version:
      - 2
      - 0
    .max_flat_workgroup_size: 128
    .name:           _ZN7rocprim17ROCPRIM_400000_NS6detail17trampoline_kernelINS0_14default_configENS1_25partition_config_selectorILNS1_17partition_subalgoE1ExNS0_10empty_typeEbEEZZNS1_14partition_implILS5_1ELb0ES3_jN6thrust23THRUST_200600_302600_NS6detail15normal_iteratorINSA_10device_ptrIxEEEEPS6_NSA_18transform_iteratorINSA_8identityIxEESF_NSA_11use_defaultESK_EENS0_5tupleIJSF_SF_EEENSM_IJSG_SG_EEES6_PlJS6_EEE10hipError_tPvRmT3_T4_T5_T6_T7_T9_mT8_P12ihipStream_tbDpT10_ENKUlT_T0_E_clISt17integral_constantIbLb0EES18_IbLb1EEEEDaS14_S15_EUlS14_E_NS1_11comp_targetILNS1_3genE3ELNS1_11target_archE908ELNS1_3gpuE7ELNS1_3repE0EEENS1_30default_config_static_selectorELNS0_4arch9wavefront6targetE1EEEvT1_
    .private_segment_fixed_size: 0
    .sgpr_count:     4
    .sgpr_spill_count: 0
    .symbol:         _ZN7rocprim17ROCPRIM_400000_NS6detail17trampoline_kernelINS0_14default_configENS1_25partition_config_selectorILNS1_17partition_subalgoE1ExNS0_10empty_typeEbEEZZNS1_14partition_implILS5_1ELb0ES3_jN6thrust23THRUST_200600_302600_NS6detail15normal_iteratorINSA_10device_ptrIxEEEEPS6_NSA_18transform_iteratorINSA_8identityIxEESF_NSA_11use_defaultESK_EENS0_5tupleIJSF_SF_EEENSM_IJSG_SG_EEES6_PlJS6_EEE10hipError_tPvRmT3_T4_T5_T6_T7_T9_mT8_P12ihipStream_tbDpT10_ENKUlT_T0_E_clISt17integral_constantIbLb0EES18_IbLb1EEEEDaS14_S15_EUlS14_E_NS1_11comp_targetILNS1_3genE3ELNS1_11target_archE908ELNS1_3gpuE7ELNS1_3repE0EEENS1_30default_config_static_selectorELNS0_4arch9wavefront6targetE1EEEvT1_.kd
    .uniform_work_group_size: 1
    .uses_dynamic_stack: false
    .vgpr_count:     0
    .vgpr_spill_count: 0
    .wavefront_size: 64
  - .agpr_count:     0
    .args:
      - .offset:         0
        .size:           144
        .value_kind:     by_value
    .group_segment_fixed_size: 0
    .kernarg_segment_align: 8
    .kernarg_segment_size: 144
    .language:       OpenCL C
    .language_version:
      - 2
      - 0
    .max_flat_workgroup_size: 256
    .name:           _ZN7rocprim17ROCPRIM_400000_NS6detail17trampoline_kernelINS0_14default_configENS1_25partition_config_selectorILNS1_17partition_subalgoE1ExNS0_10empty_typeEbEEZZNS1_14partition_implILS5_1ELb0ES3_jN6thrust23THRUST_200600_302600_NS6detail15normal_iteratorINSA_10device_ptrIxEEEEPS6_NSA_18transform_iteratorINSA_8identityIxEESF_NSA_11use_defaultESK_EENS0_5tupleIJSF_SF_EEENSM_IJSG_SG_EEES6_PlJS6_EEE10hipError_tPvRmT3_T4_T5_T6_T7_T9_mT8_P12ihipStream_tbDpT10_ENKUlT_T0_E_clISt17integral_constantIbLb0EES18_IbLb1EEEEDaS14_S15_EUlS14_E_NS1_11comp_targetILNS1_3genE2ELNS1_11target_archE906ELNS1_3gpuE6ELNS1_3repE0EEENS1_30default_config_static_selectorELNS0_4arch9wavefront6targetE1EEEvT1_
    .private_segment_fixed_size: 0
    .sgpr_count:     4
    .sgpr_spill_count: 0
    .symbol:         _ZN7rocprim17ROCPRIM_400000_NS6detail17trampoline_kernelINS0_14default_configENS1_25partition_config_selectorILNS1_17partition_subalgoE1ExNS0_10empty_typeEbEEZZNS1_14partition_implILS5_1ELb0ES3_jN6thrust23THRUST_200600_302600_NS6detail15normal_iteratorINSA_10device_ptrIxEEEEPS6_NSA_18transform_iteratorINSA_8identityIxEESF_NSA_11use_defaultESK_EENS0_5tupleIJSF_SF_EEENSM_IJSG_SG_EEES6_PlJS6_EEE10hipError_tPvRmT3_T4_T5_T6_T7_T9_mT8_P12ihipStream_tbDpT10_ENKUlT_T0_E_clISt17integral_constantIbLb0EES18_IbLb1EEEEDaS14_S15_EUlS14_E_NS1_11comp_targetILNS1_3genE2ELNS1_11target_archE906ELNS1_3gpuE6ELNS1_3repE0EEENS1_30default_config_static_selectorELNS0_4arch9wavefront6targetE1EEEvT1_.kd
    .uniform_work_group_size: 1
    .uses_dynamic_stack: false
    .vgpr_count:     0
    .vgpr_spill_count: 0
    .wavefront_size: 64
  - .agpr_count:     0
    .args:
      - .offset:         0
        .size:           144
        .value_kind:     by_value
    .group_segment_fixed_size: 0
    .kernarg_segment_align: 8
    .kernarg_segment_size: 144
    .language:       OpenCL C
    .language_version:
      - 2
      - 0
    .max_flat_workgroup_size: 256
    .name:           _ZN7rocprim17ROCPRIM_400000_NS6detail17trampoline_kernelINS0_14default_configENS1_25partition_config_selectorILNS1_17partition_subalgoE1ExNS0_10empty_typeEbEEZZNS1_14partition_implILS5_1ELb0ES3_jN6thrust23THRUST_200600_302600_NS6detail15normal_iteratorINSA_10device_ptrIxEEEEPS6_NSA_18transform_iteratorINSA_8identityIxEESF_NSA_11use_defaultESK_EENS0_5tupleIJSF_SF_EEENSM_IJSG_SG_EEES6_PlJS6_EEE10hipError_tPvRmT3_T4_T5_T6_T7_T9_mT8_P12ihipStream_tbDpT10_ENKUlT_T0_E_clISt17integral_constantIbLb0EES18_IbLb1EEEEDaS14_S15_EUlS14_E_NS1_11comp_targetILNS1_3genE10ELNS1_11target_archE1200ELNS1_3gpuE4ELNS1_3repE0EEENS1_30default_config_static_selectorELNS0_4arch9wavefront6targetE1EEEvT1_
    .private_segment_fixed_size: 0
    .sgpr_count:     4
    .sgpr_spill_count: 0
    .symbol:         _ZN7rocprim17ROCPRIM_400000_NS6detail17trampoline_kernelINS0_14default_configENS1_25partition_config_selectorILNS1_17partition_subalgoE1ExNS0_10empty_typeEbEEZZNS1_14partition_implILS5_1ELb0ES3_jN6thrust23THRUST_200600_302600_NS6detail15normal_iteratorINSA_10device_ptrIxEEEEPS6_NSA_18transform_iteratorINSA_8identityIxEESF_NSA_11use_defaultESK_EENS0_5tupleIJSF_SF_EEENSM_IJSG_SG_EEES6_PlJS6_EEE10hipError_tPvRmT3_T4_T5_T6_T7_T9_mT8_P12ihipStream_tbDpT10_ENKUlT_T0_E_clISt17integral_constantIbLb0EES18_IbLb1EEEEDaS14_S15_EUlS14_E_NS1_11comp_targetILNS1_3genE10ELNS1_11target_archE1200ELNS1_3gpuE4ELNS1_3repE0EEENS1_30default_config_static_selectorELNS0_4arch9wavefront6targetE1EEEvT1_.kd
    .uniform_work_group_size: 1
    .uses_dynamic_stack: false
    .vgpr_count:     0
    .vgpr_spill_count: 0
    .wavefront_size: 64
  - .agpr_count:     0
    .args:
      - .offset:         0
        .size:           144
        .value_kind:     by_value
    .group_segment_fixed_size: 0
    .kernarg_segment_align: 8
    .kernarg_segment_size: 144
    .language:       OpenCL C
    .language_version:
      - 2
      - 0
    .max_flat_workgroup_size: 128
    .name:           _ZN7rocprim17ROCPRIM_400000_NS6detail17trampoline_kernelINS0_14default_configENS1_25partition_config_selectorILNS1_17partition_subalgoE1ExNS0_10empty_typeEbEEZZNS1_14partition_implILS5_1ELb0ES3_jN6thrust23THRUST_200600_302600_NS6detail15normal_iteratorINSA_10device_ptrIxEEEEPS6_NSA_18transform_iteratorINSA_8identityIxEESF_NSA_11use_defaultESK_EENS0_5tupleIJSF_SF_EEENSM_IJSG_SG_EEES6_PlJS6_EEE10hipError_tPvRmT3_T4_T5_T6_T7_T9_mT8_P12ihipStream_tbDpT10_ENKUlT_T0_E_clISt17integral_constantIbLb0EES18_IbLb1EEEEDaS14_S15_EUlS14_E_NS1_11comp_targetILNS1_3genE9ELNS1_11target_archE1100ELNS1_3gpuE3ELNS1_3repE0EEENS1_30default_config_static_selectorELNS0_4arch9wavefront6targetE1EEEvT1_
    .private_segment_fixed_size: 0
    .sgpr_count:     4
    .sgpr_spill_count: 0
    .symbol:         _ZN7rocprim17ROCPRIM_400000_NS6detail17trampoline_kernelINS0_14default_configENS1_25partition_config_selectorILNS1_17partition_subalgoE1ExNS0_10empty_typeEbEEZZNS1_14partition_implILS5_1ELb0ES3_jN6thrust23THRUST_200600_302600_NS6detail15normal_iteratorINSA_10device_ptrIxEEEEPS6_NSA_18transform_iteratorINSA_8identityIxEESF_NSA_11use_defaultESK_EENS0_5tupleIJSF_SF_EEENSM_IJSG_SG_EEES6_PlJS6_EEE10hipError_tPvRmT3_T4_T5_T6_T7_T9_mT8_P12ihipStream_tbDpT10_ENKUlT_T0_E_clISt17integral_constantIbLb0EES18_IbLb1EEEEDaS14_S15_EUlS14_E_NS1_11comp_targetILNS1_3genE9ELNS1_11target_archE1100ELNS1_3gpuE3ELNS1_3repE0EEENS1_30default_config_static_selectorELNS0_4arch9wavefront6targetE1EEEvT1_.kd
    .uniform_work_group_size: 1
    .uses_dynamic_stack: false
    .vgpr_count:     0
    .vgpr_spill_count: 0
    .wavefront_size: 64
  - .agpr_count:     0
    .args:
      - .offset:         0
        .size:           144
        .value_kind:     by_value
    .group_segment_fixed_size: 0
    .kernarg_segment_align: 8
    .kernarg_segment_size: 144
    .language:       OpenCL C
    .language_version:
      - 2
      - 0
    .max_flat_workgroup_size: 512
    .name:           _ZN7rocprim17ROCPRIM_400000_NS6detail17trampoline_kernelINS0_14default_configENS1_25partition_config_selectorILNS1_17partition_subalgoE1ExNS0_10empty_typeEbEEZZNS1_14partition_implILS5_1ELb0ES3_jN6thrust23THRUST_200600_302600_NS6detail15normal_iteratorINSA_10device_ptrIxEEEEPS6_NSA_18transform_iteratorINSA_8identityIxEESF_NSA_11use_defaultESK_EENS0_5tupleIJSF_SF_EEENSM_IJSG_SG_EEES6_PlJS6_EEE10hipError_tPvRmT3_T4_T5_T6_T7_T9_mT8_P12ihipStream_tbDpT10_ENKUlT_T0_E_clISt17integral_constantIbLb0EES18_IbLb1EEEEDaS14_S15_EUlS14_E_NS1_11comp_targetILNS1_3genE8ELNS1_11target_archE1030ELNS1_3gpuE2ELNS1_3repE0EEENS1_30default_config_static_selectorELNS0_4arch9wavefront6targetE1EEEvT1_
    .private_segment_fixed_size: 0
    .sgpr_count:     4
    .sgpr_spill_count: 0
    .symbol:         _ZN7rocprim17ROCPRIM_400000_NS6detail17trampoline_kernelINS0_14default_configENS1_25partition_config_selectorILNS1_17partition_subalgoE1ExNS0_10empty_typeEbEEZZNS1_14partition_implILS5_1ELb0ES3_jN6thrust23THRUST_200600_302600_NS6detail15normal_iteratorINSA_10device_ptrIxEEEEPS6_NSA_18transform_iteratorINSA_8identityIxEESF_NSA_11use_defaultESK_EENS0_5tupleIJSF_SF_EEENSM_IJSG_SG_EEES6_PlJS6_EEE10hipError_tPvRmT3_T4_T5_T6_T7_T9_mT8_P12ihipStream_tbDpT10_ENKUlT_T0_E_clISt17integral_constantIbLb0EES18_IbLb1EEEEDaS14_S15_EUlS14_E_NS1_11comp_targetILNS1_3genE8ELNS1_11target_archE1030ELNS1_3gpuE2ELNS1_3repE0EEENS1_30default_config_static_selectorELNS0_4arch9wavefront6targetE1EEEvT1_.kd
    .uniform_work_group_size: 1
    .uses_dynamic_stack: false
    .vgpr_count:     0
    .vgpr_spill_count: 0
    .wavefront_size: 64
  - .agpr_count:     0
    .args:
      - .offset:         0
        .size:           128
        .value_kind:     by_value
    .group_segment_fixed_size: 0
    .kernarg_segment_align: 8
    .kernarg_segment_size: 128
    .language:       OpenCL C
    .language_version:
      - 2
      - 0
    .max_flat_workgroup_size: 256
    .name:           _ZN7rocprim17ROCPRIM_400000_NS6detail17trampoline_kernelINS0_14default_configENS1_25partition_config_selectorILNS1_17partition_subalgoE1EiNS0_10empty_typeEbEEZZNS1_14partition_implILS5_1ELb0ES3_jN6thrust23THRUST_200600_302600_NS6detail15normal_iteratorINSA_10device_ptrIiEEEEPS6_NSA_18transform_iteratorINSA_8identityIiEESF_NSA_11use_defaultESK_EENS0_5tupleIJSF_SF_EEENSM_IJSG_SG_EEES6_PlJS6_EEE10hipError_tPvRmT3_T4_T5_T6_T7_T9_mT8_P12ihipStream_tbDpT10_ENKUlT_T0_E_clISt17integral_constantIbLb0EES19_EEDaS14_S15_EUlS14_E_NS1_11comp_targetILNS1_3genE0ELNS1_11target_archE4294967295ELNS1_3gpuE0ELNS1_3repE0EEENS1_30default_config_static_selectorELNS0_4arch9wavefront6targetE1EEEvT1_
    .private_segment_fixed_size: 0
    .sgpr_count:     4
    .sgpr_spill_count: 0
    .symbol:         _ZN7rocprim17ROCPRIM_400000_NS6detail17trampoline_kernelINS0_14default_configENS1_25partition_config_selectorILNS1_17partition_subalgoE1EiNS0_10empty_typeEbEEZZNS1_14partition_implILS5_1ELb0ES3_jN6thrust23THRUST_200600_302600_NS6detail15normal_iteratorINSA_10device_ptrIiEEEEPS6_NSA_18transform_iteratorINSA_8identityIiEESF_NSA_11use_defaultESK_EENS0_5tupleIJSF_SF_EEENSM_IJSG_SG_EEES6_PlJS6_EEE10hipError_tPvRmT3_T4_T5_T6_T7_T9_mT8_P12ihipStream_tbDpT10_ENKUlT_T0_E_clISt17integral_constantIbLb0EES19_EEDaS14_S15_EUlS14_E_NS1_11comp_targetILNS1_3genE0ELNS1_11target_archE4294967295ELNS1_3gpuE0ELNS1_3repE0EEENS1_30default_config_static_selectorELNS0_4arch9wavefront6targetE1EEEvT1_.kd
    .uniform_work_group_size: 1
    .uses_dynamic_stack: false
    .vgpr_count:     0
    .vgpr_spill_count: 0
    .wavefront_size: 64
  - .agpr_count:     0
    .args:
      - .offset:         0
        .size:           128
        .value_kind:     by_value
    .group_segment_fixed_size: 0
    .kernarg_segment_align: 8
    .kernarg_segment_size: 128
    .language:       OpenCL C
    .language_version:
      - 2
      - 0
    .max_flat_workgroup_size: 512
    .name:           _ZN7rocprim17ROCPRIM_400000_NS6detail17trampoline_kernelINS0_14default_configENS1_25partition_config_selectorILNS1_17partition_subalgoE1EiNS0_10empty_typeEbEEZZNS1_14partition_implILS5_1ELb0ES3_jN6thrust23THRUST_200600_302600_NS6detail15normal_iteratorINSA_10device_ptrIiEEEEPS6_NSA_18transform_iteratorINSA_8identityIiEESF_NSA_11use_defaultESK_EENS0_5tupleIJSF_SF_EEENSM_IJSG_SG_EEES6_PlJS6_EEE10hipError_tPvRmT3_T4_T5_T6_T7_T9_mT8_P12ihipStream_tbDpT10_ENKUlT_T0_E_clISt17integral_constantIbLb0EES19_EEDaS14_S15_EUlS14_E_NS1_11comp_targetILNS1_3genE5ELNS1_11target_archE942ELNS1_3gpuE9ELNS1_3repE0EEENS1_30default_config_static_selectorELNS0_4arch9wavefront6targetE1EEEvT1_
    .private_segment_fixed_size: 0
    .sgpr_count:     4
    .sgpr_spill_count: 0
    .symbol:         _ZN7rocprim17ROCPRIM_400000_NS6detail17trampoline_kernelINS0_14default_configENS1_25partition_config_selectorILNS1_17partition_subalgoE1EiNS0_10empty_typeEbEEZZNS1_14partition_implILS5_1ELb0ES3_jN6thrust23THRUST_200600_302600_NS6detail15normal_iteratorINSA_10device_ptrIiEEEEPS6_NSA_18transform_iteratorINSA_8identityIiEESF_NSA_11use_defaultESK_EENS0_5tupleIJSF_SF_EEENSM_IJSG_SG_EEES6_PlJS6_EEE10hipError_tPvRmT3_T4_T5_T6_T7_T9_mT8_P12ihipStream_tbDpT10_ENKUlT_T0_E_clISt17integral_constantIbLb0EES19_EEDaS14_S15_EUlS14_E_NS1_11comp_targetILNS1_3genE5ELNS1_11target_archE942ELNS1_3gpuE9ELNS1_3repE0EEENS1_30default_config_static_selectorELNS0_4arch9wavefront6targetE1EEEvT1_.kd
    .uniform_work_group_size: 1
    .uses_dynamic_stack: false
    .vgpr_count:     0
    .vgpr_spill_count: 0
    .wavefront_size: 64
  - .agpr_count:     0
    .args:
      - .offset:         0
        .size:           128
        .value_kind:     by_value
    .group_segment_fixed_size: 7176
    .kernarg_segment_align: 8
    .kernarg_segment_size: 128
    .language:       OpenCL C
    .language_version:
      - 2
      - 0
    .max_flat_workgroup_size: 256
    .name:           _ZN7rocprim17ROCPRIM_400000_NS6detail17trampoline_kernelINS0_14default_configENS1_25partition_config_selectorILNS1_17partition_subalgoE1EiNS0_10empty_typeEbEEZZNS1_14partition_implILS5_1ELb0ES3_jN6thrust23THRUST_200600_302600_NS6detail15normal_iteratorINSA_10device_ptrIiEEEEPS6_NSA_18transform_iteratorINSA_8identityIiEESF_NSA_11use_defaultESK_EENS0_5tupleIJSF_SF_EEENSM_IJSG_SG_EEES6_PlJS6_EEE10hipError_tPvRmT3_T4_T5_T6_T7_T9_mT8_P12ihipStream_tbDpT10_ENKUlT_T0_E_clISt17integral_constantIbLb0EES19_EEDaS14_S15_EUlS14_E_NS1_11comp_targetILNS1_3genE4ELNS1_11target_archE910ELNS1_3gpuE8ELNS1_3repE0EEENS1_30default_config_static_selectorELNS0_4arch9wavefront6targetE1EEEvT1_
    .private_segment_fixed_size: 0
    .sgpr_count:     48
    .sgpr_spill_count: 0
    .symbol:         _ZN7rocprim17ROCPRIM_400000_NS6detail17trampoline_kernelINS0_14default_configENS1_25partition_config_selectorILNS1_17partition_subalgoE1EiNS0_10empty_typeEbEEZZNS1_14partition_implILS5_1ELb0ES3_jN6thrust23THRUST_200600_302600_NS6detail15normal_iteratorINSA_10device_ptrIiEEEEPS6_NSA_18transform_iteratorINSA_8identityIiEESF_NSA_11use_defaultESK_EENS0_5tupleIJSF_SF_EEENSM_IJSG_SG_EEES6_PlJS6_EEE10hipError_tPvRmT3_T4_T5_T6_T7_T9_mT8_P12ihipStream_tbDpT10_ENKUlT_T0_E_clISt17integral_constantIbLb0EES19_EEDaS14_S15_EUlS14_E_NS1_11comp_targetILNS1_3genE4ELNS1_11target_archE910ELNS1_3gpuE8ELNS1_3repE0EEENS1_30default_config_static_selectorELNS0_4arch9wavefront6targetE1EEEvT1_.kd
    .uniform_work_group_size: 1
    .uses_dynamic_stack: false
    .vgpr_count:     47
    .vgpr_spill_count: 0
    .wavefront_size: 64
  - .agpr_count:     0
    .args:
      - .offset:         0
        .size:           128
        .value_kind:     by_value
    .group_segment_fixed_size: 0
    .kernarg_segment_align: 8
    .kernarg_segment_size: 128
    .language:       OpenCL C
    .language_version:
      - 2
      - 0
    .max_flat_workgroup_size: 256
    .name:           _ZN7rocprim17ROCPRIM_400000_NS6detail17trampoline_kernelINS0_14default_configENS1_25partition_config_selectorILNS1_17partition_subalgoE1EiNS0_10empty_typeEbEEZZNS1_14partition_implILS5_1ELb0ES3_jN6thrust23THRUST_200600_302600_NS6detail15normal_iteratorINSA_10device_ptrIiEEEEPS6_NSA_18transform_iteratorINSA_8identityIiEESF_NSA_11use_defaultESK_EENS0_5tupleIJSF_SF_EEENSM_IJSG_SG_EEES6_PlJS6_EEE10hipError_tPvRmT3_T4_T5_T6_T7_T9_mT8_P12ihipStream_tbDpT10_ENKUlT_T0_E_clISt17integral_constantIbLb0EES19_EEDaS14_S15_EUlS14_E_NS1_11comp_targetILNS1_3genE3ELNS1_11target_archE908ELNS1_3gpuE7ELNS1_3repE0EEENS1_30default_config_static_selectorELNS0_4arch9wavefront6targetE1EEEvT1_
    .private_segment_fixed_size: 0
    .sgpr_count:     4
    .sgpr_spill_count: 0
    .symbol:         _ZN7rocprim17ROCPRIM_400000_NS6detail17trampoline_kernelINS0_14default_configENS1_25partition_config_selectorILNS1_17partition_subalgoE1EiNS0_10empty_typeEbEEZZNS1_14partition_implILS5_1ELb0ES3_jN6thrust23THRUST_200600_302600_NS6detail15normal_iteratorINSA_10device_ptrIiEEEEPS6_NSA_18transform_iteratorINSA_8identityIiEESF_NSA_11use_defaultESK_EENS0_5tupleIJSF_SF_EEENSM_IJSG_SG_EEES6_PlJS6_EEE10hipError_tPvRmT3_T4_T5_T6_T7_T9_mT8_P12ihipStream_tbDpT10_ENKUlT_T0_E_clISt17integral_constantIbLb0EES19_EEDaS14_S15_EUlS14_E_NS1_11comp_targetILNS1_3genE3ELNS1_11target_archE908ELNS1_3gpuE7ELNS1_3repE0EEENS1_30default_config_static_selectorELNS0_4arch9wavefront6targetE1EEEvT1_.kd
    .uniform_work_group_size: 1
    .uses_dynamic_stack: false
    .vgpr_count:     0
    .vgpr_spill_count: 0
    .wavefront_size: 64
  - .agpr_count:     0
    .args:
      - .offset:         0
        .size:           128
        .value_kind:     by_value
    .group_segment_fixed_size: 0
    .kernarg_segment_align: 8
    .kernarg_segment_size: 128
    .language:       OpenCL C
    .language_version:
      - 2
      - 0
    .max_flat_workgroup_size: 256
    .name:           _ZN7rocprim17ROCPRIM_400000_NS6detail17trampoline_kernelINS0_14default_configENS1_25partition_config_selectorILNS1_17partition_subalgoE1EiNS0_10empty_typeEbEEZZNS1_14partition_implILS5_1ELb0ES3_jN6thrust23THRUST_200600_302600_NS6detail15normal_iteratorINSA_10device_ptrIiEEEEPS6_NSA_18transform_iteratorINSA_8identityIiEESF_NSA_11use_defaultESK_EENS0_5tupleIJSF_SF_EEENSM_IJSG_SG_EEES6_PlJS6_EEE10hipError_tPvRmT3_T4_T5_T6_T7_T9_mT8_P12ihipStream_tbDpT10_ENKUlT_T0_E_clISt17integral_constantIbLb0EES19_EEDaS14_S15_EUlS14_E_NS1_11comp_targetILNS1_3genE2ELNS1_11target_archE906ELNS1_3gpuE6ELNS1_3repE0EEENS1_30default_config_static_selectorELNS0_4arch9wavefront6targetE1EEEvT1_
    .private_segment_fixed_size: 0
    .sgpr_count:     4
    .sgpr_spill_count: 0
    .symbol:         _ZN7rocprim17ROCPRIM_400000_NS6detail17trampoline_kernelINS0_14default_configENS1_25partition_config_selectorILNS1_17partition_subalgoE1EiNS0_10empty_typeEbEEZZNS1_14partition_implILS5_1ELb0ES3_jN6thrust23THRUST_200600_302600_NS6detail15normal_iteratorINSA_10device_ptrIiEEEEPS6_NSA_18transform_iteratorINSA_8identityIiEESF_NSA_11use_defaultESK_EENS0_5tupleIJSF_SF_EEENSM_IJSG_SG_EEES6_PlJS6_EEE10hipError_tPvRmT3_T4_T5_T6_T7_T9_mT8_P12ihipStream_tbDpT10_ENKUlT_T0_E_clISt17integral_constantIbLb0EES19_EEDaS14_S15_EUlS14_E_NS1_11comp_targetILNS1_3genE2ELNS1_11target_archE906ELNS1_3gpuE6ELNS1_3repE0EEENS1_30default_config_static_selectorELNS0_4arch9wavefront6targetE1EEEvT1_.kd
    .uniform_work_group_size: 1
    .uses_dynamic_stack: false
    .vgpr_count:     0
    .vgpr_spill_count: 0
    .wavefront_size: 64
  - .agpr_count:     0
    .args:
      - .offset:         0
        .size:           128
        .value_kind:     by_value
    .group_segment_fixed_size: 0
    .kernarg_segment_align: 8
    .kernarg_segment_size: 128
    .language:       OpenCL C
    .language_version:
      - 2
      - 0
    .max_flat_workgroup_size: 256
    .name:           _ZN7rocprim17ROCPRIM_400000_NS6detail17trampoline_kernelINS0_14default_configENS1_25partition_config_selectorILNS1_17partition_subalgoE1EiNS0_10empty_typeEbEEZZNS1_14partition_implILS5_1ELb0ES3_jN6thrust23THRUST_200600_302600_NS6detail15normal_iteratorINSA_10device_ptrIiEEEEPS6_NSA_18transform_iteratorINSA_8identityIiEESF_NSA_11use_defaultESK_EENS0_5tupleIJSF_SF_EEENSM_IJSG_SG_EEES6_PlJS6_EEE10hipError_tPvRmT3_T4_T5_T6_T7_T9_mT8_P12ihipStream_tbDpT10_ENKUlT_T0_E_clISt17integral_constantIbLb0EES19_EEDaS14_S15_EUlS14_E_NS1_11comp_targetILNS1_3genE10ELNS1_11target_archE1200ELNS1_3gpuE4ELNS1_3repE0EEENS1_30default_config_static_selectorELNS0_4arch9wavefront6targetE1EEEvT1_
    .private_segment_fixed_size: 0
    .sgpr_count:     4
    .sgpr_spill_count: 0
    .symbol:         _ZN7rocprim17ROCPRIM_400000_NS6detail17trampoline_kernelINS0_14default_configENS1_25partition_config_selectorILNS1_17partition_subalgoE1EiNS0_10empty_typeEbEEZZNS1_14partition_implILS5_1ELb0ES3_jN6thrust23THRUST_200600_302600_NS6detail15normal_iteratorINSA_10device_ptrIiEEEEPS6_NSA_18transform_iteratorINSA_8identityIiEESF_NSA_11use_defaultESK_EENS0_5tupleIJSF_SF_EEENSM_IJSG_SG_EEES6_PlJS6_EEE10hipError_tPvRmT3_T4_T5_T6_T7_T9_mT8_P12ihipStream_tbDpT10_ENKUlT_T0_E_clISt17integral_constantIbLb0EES19_EEDaS14_S15_EUlS14_E_NS1_11comp_targetILNS1_3genE10ELNS1_11target_archE1200ELNS1_3gpuE4ELNS1_3repE0EEENS1_30default_config_static_selectorELNS0_4arch9wavefront6targetE1EEEvT1_.kd
    .uniform_work_group_size: 1
    .uses_dynamic_stack: false
    .vgpr_count:     0
    .vgpr_spill_count: 0
    .wavefront_size: 64
  - .agpr_count:     0
    .args:
      - .offset:         0
        .size:           128
        .value_kind:     by_value
    .group_segment_fixed_size: 0
    .kernarg_segment_align: 8
    .kernarg_segment_size: 128
    .language:       OpenCL C
    .language_version:
      - 2
      - 0
    .max_flat_workgroup_size: 128
    .name:           _ZN7rocprim17ROCPRIM_400000_NS6detail17trampoline_kernelINS0_14default_configENS1_25partition_config_selectorILNS1_17partition_subalgoE1EiNS0_10empty_typeEbEEZZNS1_14partition_implILS5_1ELb0ES3_jN6thrust23THRUST_200600_302600_NS6detail15normal_iteratorINSA_10device_ptrIiEEEEPS6_NSA_18transform_iteratorINSA_8identityIiEESF_NSA_11use_defaultESK_EENS0_5tupleIJSF_SF_EEENSM_IJSG_SG_EEES6_PlJS6_EEE10hipError_tPvRmT3_T4_T5_T6_T7_T9_mT8_P12ihipStream_tbDpT10_ENKUlT_T0_E_clISt17integral_constantIbLb0EES19_EEDaS14_S15_EUlS14_E_NS1_11comp_targetILNS1_3genE9ELNS1_11target_archE1100ELNS1_3gpuE3ELNS1_3repE0EEENS1_30default_config_static_selectorELNS0_4arch9wavefront6targetE1EEEvT1_
    .private_segment_fixed_size: 0
    .sgpr_count:     4
    .sgpr_spill_count: 0
    .symbol:         _ZN7rocprim17ROCPRIM_400000_NS6detail17trampoline_kernelINS0_14default_configENS1_25partition_config_selectorILNS1_17partition_subalgoE1EiNS0_10empty_typeEbEEZZNS1_14partition_implILS5_1ELb0ES3_jN6thrust23THRUST_200600_302600_NS6detail15normal_iteratorINSA_10device_ptrIiEEEEPS6_NSA_18transform_iteratorINSA_8identityIiEESF_NSA_11use_defaultESK_EENS0_5tupleIJSF_SF_EEENSM_IJSG_SG_EEES6_PlJS6_EEE10hipError_tPvRmT3_T4_T5_T6_T7_T9_mT8_P12ihipStream_tbDpT10_ENKUlT_T0_E_clISt17integral_constantIbLb0EES19_EEDaS14_S15_EUlS14_E_NS1_11comp_targetILNS1_3genE9ELNS1_11target_archE1100ELNS1_3gpuE3ELNS1_3repE0EEENS1_30default_config_static_selectorELNS0_4arch9wavefront6targetE1EEEvT1_.kd
    .uniform_work_group_size: 1
    .uses_dynamic_stack: false
    .vgpr_count:     0
    .vgpr_spill_count: 0
    .wavefront_size: 64
  - .agpr_count:     0
    .args:
      - .offset:         0
        .size:           128
        .value_kind:     by_value
    .group_segment_fixed_size: 0
    .kernarg_segment_align: 8
    .kernarg_segment_size: 128
    .language:       OpenCL C
    .language_version:
      - 2
      - 0
    .max_flat_workgroup_size: 512
    .name:           _ZN7rocprim17ROCPRIM_400000_NS6detail17trampoline_kernelINS0_14default_configENS1_25partition_config_selectorILNS1_17partition_subalgoE1EiNS0_10empty_typeEbEEZZNS1_14partition_implILS5_1ELb0ES3_jN6thrust23THRUST_200600_302600_NS6detail15normal_iteratorINSA_10device_ptrIiEEEEPS6_NSA_18transform_iteratorINSA_8identityIiEESF_NSA_11use_defaultESK_EENS0_5tupleIJSF_SF_EEENSM_IJSG_SG_EEES6_PlJS6_EEE10hipError_tPvRmT3_T4_T5_T6_T7_T9_mT8_P12ihipStream_tbDpT10_ENKUlT_T0_E_clISt17integral_constantIbLb0EES19_EEDaS14_S15_EUlS14_E_NS1_11comp_targetILNS1_3genE8ELNS1_11target_archE1030ELNS1_3gpuE2ELNS1_3repE0EEENS1_30default_config_static_selectorELNS0_4arch9wavefront6targetE1EEEvT1_
    .private_segment_fixed_size: 0
    .sgpr_count:     4
    .sgpr_spill_count: 0
    .symbol:         _ZN7rocprim17ROCPRIM_400000_NS6detail17trampoline_kernelINS0_14default_configENS1_25partition_config_selectorILNS1_17partition_subalgoE1EiNS0_10empty_typeEbEEZZNS1_14partition_implILS5_1ELb0ES3_jN6thrust23THRUST_200600_302600_NS6detail15normal_iteratorINSA_10device_ptrIiEEEEPS6_NSA_18transform_iteratorINSA_8identityIiEESF_NSA_11use_defaultESK_EENS0_5tupleIJSF_SF_EEENSM_IJSG_SG_EEES6_PlJS6_EEE10hipError_tPvRmT3_T4_T5_T6_T7_T9_mT8_P12ihipStream_tbDpT10_ENKUlT_T0_E_clISt17integral_constantIbLb0EES19_EEDaS14_S15_EUlS14_E_NS1_11comp_targetILNS1_3genE8ELNS1_11target_archE1030ELNS1_3gpuE2ELNS1_3repE0EEENS1_30default_config_static_selectorELNS0_4arch9wavefront6targetE1EEEvT1_.kd
    .uniform_work_group_size: 1
    .uses_dynamic_stack: false
    .vgpr_count:     0
    .vgpr_spill_count: 0
    .wavefront_size: 64
  - .agpr_count:     0
    .args:
      - .offset:         0
        .size:           144
        .value_kind:     by_value
    .group_segment_fixed_size: 0
    .kernarg_segment_align: 8
    .kernarg_segment_size: 144
    .language:       OpenCL C
    .language_version:
      - 2
      - 0
    .max_flat_workgroup_size: 256
    .name:           _ZN7rocprim17ROCPRIM_400000_NS6detail17trampoline_kernelINS0_14default_configENS1_25partition_config_selectorILNS1_17partition_subalgoE1EiNS0_10empty_typeEbEEZZNS1_14partition_implILS5_1ELb0ES3_jN6thrust23THRUST_200600_302600_NS6detail15normal_iteratorINSA_10device_ptrIiEEEEPS6_NSA_18transform_iteratorINSA_8identityIiEESF_NSA_11use_defaultESK_EENS0_5tupleIJSF_SF_EEENSM_IJSG_SG_EEES6_PlJS6_EEE10hipError_tPvRmT3_T4_T5_T6_T7_T9_mT8_P12ihipStream_tbDpT10_ENKUlT_T0_E_clISt17integral_constantIbLb1EES19_EEDaS14_S15_EUlS14_E_NS1_11comp_targetILNS1_3genE0ELNS1_11target_archE4294967295ELNS1_3gpuE0ELNS1_3repE0EEENS1_30default_config_static_selectorELNS0_4arch9wavefront6targetE1EEEvT1_
    .private_segment_fixed_size: 0
    .sgpr_count:     4
    .sgpr_spill_count: 0
    .symbol:         _ZN7rocprim17ROCPRIM_400000_NS6detail17trampoline_kernelINS0_14default_configENS1_25partition_config_selectorILNS1_17partition_subalgoE1EiNS0_10empty_typeEbEEZZNS1_14partition_implILS5_1ELb0ES3_jN6thrust23THRUST_200600_302600_NS6detail15normal_iteratorINSA_10device_ptrIiEEEEPS6_NSA_18transform_iteratorINSA_8identityIiEESF_NSA_11use_defaultESK_EENS0_5tupleIJSF_SF_EEENSM_IJSG_SG_EEES6_PlJS6_EEE10hipError_tPvRmT3_T4_T5_T6_T7_T9_mT8_P12ihipStream_tbDpT10_ENKUlT_T0_E_clISt17integral_constantIbLb1EES19_EEDaS14_S15_EUlS14_E_NS1_11comp_targetILNS1_3genE0ELNS1_11target_archE4294967295ELNS1_3gpuE0ELNS1_3repE0EEENS1_30default_config_static_selectorELNS0_4arch9wavefront6targetE1EEEvT1_.kd
    .uniform_work_group_size: 1
    .uses_dynamic_stack: false
    .vgpr_count:     0
    .vgpr_spill_count: 0
    .wavefront_size: 64
  - .agpr_count:     0
    .args:
      - .offset:         0
        .size:           144
        .value_kind:     by_value
    .group_segment_fixed_size: 0
    .kernarg_segment_align: 8
    .kernarg_segment_size: 144
    .language:       OpenCL C
    .language_version:
      - 2
      - 0
    .max_flat_workgroup_size: 512
    .name:           _ZN7rocprim17ROCPRIM_400000_NS6detail17trampoline_kernelINS0_14default_configENS1_25partition_config_selectorILNS1_17partition_subalgoE1EiNS0_10empty_typeEbEEZZNS1_14partition_implILS5_1ELb0ES3_jN6thrust23THRUST_200600_302600_NS6detail15normal_iteratorINSA_10device_ptrIiEEEEPS6_NSA_18transform_iteratorINSA_8identityIiEESF_NSA_11use_defaultESK_EENS0_5tupleIJSF_SF_EEENSM_IJSG_SG_EEES6_PlJS6_EEE10hipError_tPvRmT3_T4_T5_T6_T7_T9_mT8_P12ihipStream_tbDpT10_ENKUlT_T0_E_clISt17integral_constantIbLb1EES19_EEDaS14_S15_EUlS14_E_NS1_11comp_targetILNS1_3genE5ELNS1_11target_archE942ELNS1_3gpuE9ELNS1_3repE0EEENS1_30default_config_static_selectorELNS0_4arch9wavefront6targetE1EEEvT1_
    .private_segment_fixed_size: 0
    .sgpr_count:     4
    .sgpr_spill_count: 0
    .symbol:         _ZN7rocprim17ROCPRIM_400000_NS6detail17trampoline_kernelINS0_14default_configENS1_25partition_config_selectorILNS1_17partition_subalgoE1EiNS0_10empty_typeEbEEZZNS1_14partition_implILS5_1ELb0ES3_jN6thrust23THRUST_200600_302600_NS6detail15normal_iteratorINSA_10device_ptrIiEEEEPS6_NSA_18transform_iteratorINSA_8identityIiEESF_NSA_11use_defaultESK_EENS0_5tupleIJSF_SF_EEENSM_IJSG_SG_EEES6_PlJS6_EEE10hipError_tPvRmT3_T4_T5_T6_T7_T9_mT8_P12ihipStream_tbDpT10_ENKUlT_T0_E_clISt17integral_constantIbLb1EES19_EEDaS14_S15_EUlS14_E_NS1_11comp_targetILNS1_3genE5ELNS1_11target_archE942ELNS1_3gpuE9ELNS1_3repE0EEENS1_30default_config_static_selectorELNS0_4arch9wavefront6targetE1EEEvT1_.kd
    .uniform_work_group_size: 1
    .uses_dynamic_stack: false
    .vgpr_count:     0
    .vgpr_spill_count: 0
    .wavefront_size: 64
  - .agpr_count:     0
    .args:
      - .offset:         0
        .size:           144
        .value_kind:     by_value
    .group_segment_fixed_size: 7176
    .kernarg_segment_align: 8
    .kernarg_segment_size: 144
    .language:       OpenCL C
    .language_version:
      - 2
      - 0
    .max_flat_workgroup_size: 256
    .name:           _ZN7rocprim17ROCPRIM_400000_NS6detail17trampoline_kernelINS0_14default_configENS1_25partition_config_selectorILNS1_17partition_subalgoE1EiNS0_10empty_typeEbEEZZNS1_14partition_implILS5_1ELb0ES3_jN6thrust23THRUST_200600_302600_NS6detail15normal_iteratorINSA_10device_ptrIiEEEEPS6_NSA_18transform_iteratorINSA_8identityIiEESF_NSA_11use_defaultESK_EENS0_5tupleIJSF_SF_EEENSM_IJSG_SG_EEES6_PlJS6_EEE10hipError_tPvRmT3_T4_T5_T6_T7_T9_mT8_P12ihipStream_tbDpT10_ENKUlT_T0_E_clISt17integral_constantIbLb1EES19_EEDaS14_S15_EUlS14_E_NS1_11comp_targetILNS1_3genE4ELNS1_11target_archE910ELNS1_3gpuE8ELNS1_3repE0EEENS1_30default_config_static_selectorELNS0_4arch9wavefront6targetE1EEEvT1_
    .private_segment_fixed_size: 0
    .sgpr_count:     48
    .sgpr_spill_count: 0
    .symbol:         _ZN7rocprim17ROCPRIM_400000_NS6detail17trampoline_kernelINS0_14default_configENS1_25partition_config_selectorILNS1_17partition_subalgoE1EiNS0_10empty_typeEbEEZZNS1_14partition_implILS5_1ELb0ES3_jN6thrust23THRUST_200600_302600_NS6detail15normal_iteratorINSA_10device_ptrIiEEEEPS6_NSA_18transform_iteratorINSA_8identityIiEESF_NSA_11use_defaultESK_EENS0_5tupleIJSF_SF_EEENSM_IJSG_SG_EEES6_PlJS6_EEE10hipError_tPvRmT3_T4_T5_T6_T7_T9_mT8_P12ihipStream_tbDpT10_ENKUlT_T0_E_clISt17integral_constantIbLb1EES19_EEDaS14_S15_EUlS14_E_NS1_11comp_targetILNS1_3genE4ELNS1_11target_archE910ELNS1_3gpuE8ELNS1_3repE0EEENS1_30default_config_static_selectorELNS0_4arch9wavefront6targetE1EEEvT1_.kd
    .uniform_work_group_size: 1
    .uses_dynamic_stack: false
    .vgpr_count:     51
    .vgpr_spill_count: 0
    .wavefront_size: 64
  - .agpr_count:     0
    .args:
      - .offset:         0
        .size:           144
        .value_kind:     by_value
    .group_segment_fixed_size: 0
    .kernarg_segment_align: 8
    .kernarg_segment_size: 144
    .language:       OpenCL C
    .language_version:
      - 2
      - 0
    .max_flat_workgroup_size: 256
    .name:           _ZN7rocprim17ROCPRIM_400000_NS6detail17trampoline_kernelINS0_14default_configENS1_25partition_config_selectorILNS1_17partition_subalgoE1EiNS0_10empty_typeEbEEZZNS1_14partition_implILS5_1ELb0ES3_jN6thrust23THRUST_200600_302600_NS6detail15normal_iteratorINSA_10device_ptrIiEEEEPS6_NSA_18transform_iteratorINSA_8identityIiEESF_NSA_11use_defaultESK_EENS0_5tupleIJSF_SF_EEENSM_IJSG_SG_EEES6_PlJS6_EEE10hipError_tPvRmT3_T4_T5_T6_T7_T9_mT8_P12ihipStream_tbDpT10_ENKUlT_T0_E_clISt17integral_constantIbLb1EES19_EEDaS14_S15_EUlS14_E_NS1_11comp_targetILNS1_3genE3ELNS1_11target_archE908ELNS1_3gpuE7ELNS1_3repE0EEENS1_30default_config_static_selectorELNS0_4arch9wavefront6targetE1EEEvT1_
    .private_segment_fixed_size: 0
    .sgpr_count:     4
    .sgpr_spill_count: 0
    .symbol:         _ZN7rocprim17ROCPRIM_400000_NS6detail17trampoline_kernelINS0_14default_configENS1_25partition_config_selectorILNS1_17partition_subalgoE1EiNS0_10empty_typeEbEEZZNS1_14partition_implILS5_1ELb0ES3_jN6thrust23THRUST_200600_302600_NS6detail15normal_iteratorINSA_10device_ptrIiEEEEPS6_NSA_18transform_iteratorINSA_8identityIiEESF_NSA_11use_defaultESK_EENS0_5tupleIJSF_SF_EEENSM_IJSG_SG_EEES6_PlJS6_EEE10hipError_tPvRmT3_T4_T5_T6_T7_T9_mT8_P12ihipStream_tbDpT10_ENKUlT_T0_E_clISt17integral_constantIbLb1EES19_EEDaS14_S15_EUlS14_E_NS1_11comp_targetILNS1_3genE3ELNS1_11target_archE908ELNS1_3gpuE7ELNS1_3repE0EEENS1_30default_config_static_selectorELNS0_4arch9wavefront6targetE1EEEvT1_.kd
    .uniform_work_group_size: 1
    .uses_dynamic_stack: false
    .vgpr_count:     0
    .vgpr_spill_count: 0
    .wavefront_size: 64
  - .agpr_count:     0
    .args:
      - .offset:         0
        .size:           144
        .value_kind:     by_value
    .group_segment_fixed_size: 0
    .kernarg_segment_align: 8
    .kernarg_segment_size: 144
    .language:       OpenCL C
    .language_version:
      - 2
      - 0
    .max_flat_workgroup_size: 256
    .name:           _ZN7rocprim17ROCPRIM_400000_NS6detail17trampoline_kernelINS0_14default_configENS1_25partition_config_selectorILNS1_17partition_subalgoE1EiNS0_10empty_typeEbEEZZNS1_14partition_implILS5_1ELb0ES3_jN6thrust23THRUST_200600_302600_NS6detail15normal_iteratorINSA_10device_ptrIiEEEEPS6_NSA_18transform_iteratorINSA_8identityIiEESF_NSA_11use_defaultESK_EENS0_5tupleIJSF_SF_EEENSM_IJSG_SG_EEES6_PlJS6_EEE10hipError_tPvRmT3_T4_T5_T6_T7_T9_mT8_P12ihipStream_tbDpT10_ENKUlT_T0_E_clISt17integral_constantIbLb1EES19_EEDaS14_S15_EUlS14_E_NS1_11comp_targetILNS1_3genE2ELNS1_11target_archE906ELNS1_3gpuE6ELNS1_3repE0EEENS1_30default_config_static_selectorELNS0_4arch9wavefront6targetE1EEEvT1_
    .private_segment_fixed_size: 0
    .sgpr_count:     4
    .sgpr_spill_count: 0
    .symbol:         _ZN7rocprim17ROCPRIM_400000_NS6detail17trampoline_kernelINS0_14default_configENS1_25partition_config_selectorILNS1_17partition_subalgoE1EiNS0_10empty_typeEbEEZZNS1_14partition_implILS5_1ELb0ES3_jN6thrust23THRUST_200600_302600_NS6detail15normal_iteratorINSA_10device_ptrIiEEEEPS6_NSA_18transform_iteratorINSA_8identityIiEESF_NSA_11use_defaultESK_EENS0_5tupleIJSF_SF_EEENSM_IJSG_SG_EEES6_PlJS6_EEE10hipError_tPvRmT3_T4_T5_T6_T7_T9_mT8_P12ihipStream_tbDpT10_ENKUlT_T0_E_clISt17integral_constantIbLb1EES19_EEDaS14_S15_EUlS14_E_NS1_11comp_targetILNS1_3genE2ELNS1_11target_archE906ELNS1_3gpuE6ELNS1_3repE0EEENS1_30default_config_static_selectorELNS0_4arch9wavefront6targetE1EEEvT1_.kd
    .uniform_work_group_size: 1
    .uses_dynamic_stack: false
    .vgpr_count:     0
    .vgpr_spill_count: 0
    .wavefront_size: 64
  - .agpr_count:     0
    .args:
      - .offset:         0
        .size:           144
        .value_kind:     by_value
    .group_segment_fixed_size: 0
    .kernarg_segment_align: 8
    .kernarg_segment_size: 144
    .language:       OpenCL C
    .language_version:
      - 2
      - 0
    .max_flat_workgroup_size: 256
    .name:           _ZN7rocprim17ROCPRIM_400000_NS6detail17trampoline_kernelINS0_14default_configENS1_25partition_config_selectorILNS1_17partition_subalgoE1EiNS0_10empty_typeEbEEZZNS1_14partition_implILS5_1ELb0ES3_jN6thrust23THRUST_200600_302600_NS6detail15normal_iteratorINSA_10device_ptrIiEEEEPS6_NSA_18transform_iteratorINSA_8identityIiEESF_NSA_11use_defaultESK_EENS0_5tupleIJSF_SF_EEENSM_IJSG_SG_EEES6_PlJS6_EEE10hipError_tPvRmT3_T4_T5_T6_T7_T9_mT8_P12ihipStream_tbDpT10_ENKUlT_T0_E_clISt17integral_constantIbLb1EES19_EEDaS14_S15_EUlS14_E_NS1_11comp_targetILNS1_3genE10ELNS1_11target_archE1200ELNS1_3gpuE4ELNS1_3repE0EEENS1_30default_config_static_selectorELNS0_4arch9wavefront6targetE1EEEvT1_
    .private_segment_fixed_size: 0
    .sgpr_count:     4
    .sgpr_spill_count: 0
    .symbol:         _ZN7rocprim17ROCPRIM_400000_NS6detail17trampoline_kernelINS0_14default_configENS1_25partition_config_selectorILNS1_17partition_subalgoE1EiNS0_10empty_typeEbEEZZNS1_14partition_implILS5_1ELb0ES3_jN6thrust23THRUST_200600_302600_NS6detail15normal_iteratorINSA_10device_ptrIiEEEEPS6_NSA_18transform_iteratorINSA_8identityIiEESF_NSA_11use_defaultESK_EENS0_5tupleIJSF_SF_EEENSM_IJSG_SG_EEES6_PlJS6_EEE10hipError_tPvRmT3_T4_T5_T6_T7_T9_mT8_P12ihipStream_tbDpT10_ENKUlT_T0_E_clISt17integral_constantIbLb1EES19_EEDaS14_S15_EUlS14_E_NS1_11comp_targetILNS1_3genE10ELNS1_11target_archE1200ELNS1_3gpuE4ELNS1_3repE0EEENS1_30default_config_static_selectorELNS0_4arch9wavefront6targetE1EEEvT1_.kd
    .uniform_work_group_size: 1
    .uses_dynamic_stack: false
    .vgpr_count:     0
    .vgpr_spill_count: 0
    .wavefront_size: 64
  - .agpr_count:     0
    .args:
      - .offset:         0
        .size:           144
        .value_kind:     by_value
    .group_segment_fixed_size: 0
    .kernarg_segment_align: 8
    .kernarg_segment_size: 144
    .language:       OpenCL C
    .language_version:
      - 2
      - 0
    .max_flat_workgroup_size: 128
    .name:           _ZN7rocprim17ROCPRIM_400000_NS6detail17trampoline_kernelINS0_14default_configENS1_25partition_config_selectorILNS1_17partition_subalgoE1EiNS0_10empty_typeEbEEZZNS1_14partition_implILS5_1ELb0ES3_jN6thrust23THRUST_200600_302600_NS6detail15normal_iteratorINSA_10device_ptrIiEEEEPS6_NSA_18transform_iteratorINSA_8identityIiEESF_NSA_11use_defaultESK_EENS0_5tupleIJSF_SF_EEENSM_IJSG_SG_EEES6_PlJS6_EEE10hipError_tPvRmT3_T4_T5_T6_T7_T9_mT8_P12ihipStream_tbDpT10_ENKUlT_T0_E_clISt17integral_constantIbLb1EES19_EEDaS14_S15_EUlS14_E_NS1_11comp_targetILNS1_3genE9ELNS1_11target_archE1100ELNS1_3gpuE3ELNS1_3repE0EEENS1_30default_config_static_selectorELNS0_4arch9wavefront6targetE1EEEvT1_
    .private_segment_fixed_size: 0
    .sgpr_count:     4
    .sgpr_spill_count: 0
    .symbol:         _ZN7rocprim17ROCPRIM_400000_NS6detail17trampoline_kernelINS0_14default_configENS1_25partition_config_selectorILNS1_17partition_subalgoE1EiNS0_10empty_typeEbEEZZNS1_14partition_implILS5_1ELb0ES3_jN6thrust23THRUST_200600_302600_NS6detail15normal_iteratorINSA_10device_ptrIiEEEEPS6_NSA_18transform_iteratorINSA_8identityIiEESF_NSA_11use_defaultESK_EENS0_5tupleIJSF_SF_EEENSM_IJSG_SG_EEES6_PlJS6_EEE10hipError_tPvRmT3_T4_T5_T6_T7_T9_mT8_P12ihipStream_tbDpT10_ENKUlT_T0_E_clISt17integral_constantIbLb1EES19_EEDaS14_S15_EUlS14_E_NS1_11comp_targetILNS1_3genE9ELNS1_11target_archE1100ELNS1_3gpuE3ELNS1_3repE0EEENS1_30default_config_static_selectorELNS0_4arch9wavefront6targetE1EEEvT1_.kd
    .uniform_work_group_size: 1
    .uses_dynamic_stack: false
    .vgpr_count:     0
    .vgpr_spill_count: 0
    .wavefront_size: 64
  - .agpr_count:     0
    .args:
      - .offset:         0
        .size:           144
        .value_kind:     by_value
    .group_segment_fixed_size: 0
    .kernarg_segment_align: 8
    .kernarg_segment_size: 144
    .language:       OpenCL C
    .language_version:
      - 2
      - 0
    .max_flat_workgroup_size: 512
    .name:           _ZN7rocprim17ROCPRIM_400000_NS6detail17trampoline_kernelINS0_14default_configENS1_25partition_config_selectorILNS1_17partition_subalgoE1EiNS0_10empty_typeEbEEZZNS1_14partition_implILS5_1ELb0ES3_jN6thrust23THRUST_200600_302600_NS6detail15normal_iteratorINSA_10device_ptrIiEEEEPS6_NSA_18transform_iteratorINSA_8identityIiEESF_NSA_11use_defaultESK_EENS0_5tupleIJSF_SF_EEENSM_IJSG_SG_EEES6_PlJS6_EEE10hipError_tPvRmT3_T4_T5_T6_T7_T9_mT8_P12ihipStream_tbDpT10_ENKUlT_T0_E_clISt17integral_constantIbLb1EES19_EEDaS14_S15_EUlS14_E_NS1_11comp_targetILNS1_3genE8ELNS1_11target_archE1030ELNS1_3gpuE2ELNS1_3repE0EEENS1_30default_config_static_selectorELNS0_4arch9wavefront6targetE1EEEvT1_
    .private_segment_fixed_size: 0
    .sgpr_count:     4
    .sgpr_spill_count: 0
    .symbol:         _ZN7rocprim17ROCPRIM_400000_NS6detail17trampoline_kernelINS0_14default_configENS1_25partition_config_selectorILNS1_17partition_subalgoE1EiNS0_10empty_typeEbEEZZNS1_14partition_implILS5_1ELb0ES3_jN6thrust23THRUST_200600_302600_NS6detail15normal_iteratorINSA_10device_ptrIiEEEEPS6_NSA_18transform_iteratorINSA_8identityIiEESF_NSA_11use_defaultESK_EENS0_5tupleIJSF_SF_EEENSM_IJSG_SG_EEES6_PlJS6_EEE10hipError_tPvRmT3_T4_T5_T6_T7_T9_mT8_P12ihipStream_tbDpT10_ENKUlT_T0_E_clISt17integral_constantIbLb1EES19_EEDaS14_S15_EUlS14_E_NS1_11comp_targetILNS1_3genE8ELNS1_11target_archE1030ELNS1_3gpuE2ELNS1_3repE0EEENS1_30default_config_static_selectorELNS0_4arch9wavefront6targetE1EEEvT1_.kd
    .uniform_work_group_size: 1
    .uses_dynamic_stack: false
    .vgpr_count:     0
    .vgpr_spill_count: 0
    .wavefront_size: 64
  - .agpr_count:     0
    .args:
      - .offset:         0
        .size:           128
        .value_kind:     by_value
    .group_segment_fixed_size: 0
    .kernarg_segment_align: 8
    .kernarg_segment_size: 128
    .language:       OpenCL C
    .language_version:
      - 2
      - 0
    .max_flat_workgroup_size: 256
    .name:           _ZN7rocprim17ROCPRIM_400000_NS6detail17trampoline_kernelINS0_14default_configENS1_25partition_config_selectorILNS1_17partition_subalgoE1EiNS0_10empty_typeEbEEZZNS1_14partition_implILS5_1ELb0ES3_jN6thrust23THRUST_200600_302600_NS6detail15normal_iteratorINSA_10device_ptrIiEEEEPS6_NSA_18transform_iteratorINSA_8identityIiEESF_NSA_11use_defaultESK_EENS0_5tupleIJSF_SF_EEENSM_IJSG_SG_EEES6_PlJS6_EEE10hipError_tPvRmT3_T4_T5_T6_T7_T9_mT8_P12ihipStream_tbDpT10_ENKUlT_T0_E_clISt17integral_constantIbLb1EES18_IbLb0EEEEDaS14_S15_EUlS14_E_NS1_11comp_targetILNS1_3genE0ELNS1_11target_archE4294967295ELNS1_3gpuE0ELNS1_3repE0EEENS1_30default_config_static_selectorELNS0_4arch9wavefront6targetE1EEEvT1_
    .private_segment_fixed_size: 0
    .sgpr_count:     4
    .sgpr_spill_count: 0
    .symbol:         _ZN7rocprim17ROCPRIM_400000_NS6detail17trampoline_kernelINS0_14default_configENS1_25partition_config_selectorILNS1_17partition_subalgoE1EiNS0_10empty_typeEbEEZZNS1_14partition_implILS5_1ELb0ES3_jN6thrust23THRUST_200600_302600_NS6detail15normal_iteratorINSA_10device_ptrIiEEEEPS6_NSA_18transform_iteratorINSA_8identityIiEESF_NSA_11use_defaultESK_EENS0_5tupleIJSF_SF_EEENSM_IJSG_SG_EEES6_PlJS6_EEE10hipError_tPvRmT3_T4_T5_T6_T7_T9_mT8_P12ihipStream_tbDpT10_ENKUlT_T0_E_clISt17integral_constantIbLb1EES18_IbLb0EEEEDaS14_S15_EUlS14_E_NS1_11comp_targetILNS1_3genE0ELNS1_11target_archE4294967295ELNS1_3gpuE0ELNS1_3repE0EEENS1_30default_config_static_selectorELNS0_4arch9wavefront6targetE1EEEvT1_.kd
    .uniform_work_group_size: 1
    .uses_dynamic_stack: false
    .vgpr_count:     0
    .vgpr_spill_count: 0
    .wavefront_size: 64
  - .agpr_count:     0
    .args:
      - .offset:         0
        .size:           128
        .value_kind:     by_value
    .group_segment_fixed_size: 0
    .kernarg_segment_align: 8
    .kernarg_segment_size: 128
    .language:       OpenCL C
    .language_version:
      - 2
      - 0
    .max_flat_workgroup_size: 512
    .name:           _ZN7rocprim17ROCPRIM_400000_NS6detail17trampoline_kernelINS0_14default_configENS1_25partition_config_selectorILNS1_17partition_subalgoE1EiNS0_10empty_typeEbEEZZNS1_14partition_implILS5_1ELb0ES3_jN6thrust23THRUST_200600_302600_NS6detail15normal_iteratorINSA_10device_ptrIiEEEEPS6_NSA_18transform_iteratorINSA_8identityIiEESF_NSA_11use_defaultESK_EENS0_5tupleIJSF_SF_EEENSM_IJSG_SG_EEES6_PlJS6_EEE10hipError_tPvRmT3_T4_T5_T6_T7_T9_mT8_P12ihipStream_tbDpT10_ENKUlT_T0_E_clISt17integral_constantIbLb1EES18_IbLb0EEEEDaS14_S15_EUlS14_E_NS1_11comp_targetILNS1_3genE5ELNS1_11target_archE942ELNS1_3gpuE9ELNS1_3repE0EEENS1_30default_config_static_selectorELNS0_4arch9wavefront6targetE1EEEvT1_
    .private_segment_fixed_size: 0
    .sgpr_count:     4
    .sgpr_spill_count: 0
    .symbol:         _ZN7rocprim17ROCPRIM_400000_NS6detail17trampoline_kernelINS0_14default_configENS1_25partition_config_selectorILNS1_17partition_subalgoE1EiNS0_10empty_typeEbEEZZNS1_14partition_implILS5_1ELb0ES3_jN6thrust23THRUST_200600_302600_NS6detail15normal_iteratorINSA_10device_ptrIiEEEEPS6_NSA_18transform_iteratorINSA_8identityIiEESF_NSA_11use_defaultESK_EENS0_5tupleIJSF_SF_EEENSM_IJSG_SG_EEES6_PlJS6_EEE10hipError_tPvRmT3_T4_T5_T6_T7_T9_mT8_P12ihipStream_tbDpT10_ENKUlT_T0_E_clISt17integral_constantIbLb1EES18_IbLb0EEEEDaS14_S15_EUlS14_E_NS1_11comp_targetILNS1_3genE5ELNS1_11target_archE942ELNS1_3gpuE9ELNS1_3repE0EEENS1_30default_config_static_selectorELNS0_4arch9wavefront6targetE1EEEvT1_.kd
    .uniform_work_group_size: 1
    .uses_dynamic_stack: false
    .vgpr_count:     0
    .vgpr_spill_count: 0
    .wavefront_size: 64
  - .agpr_count:     0
    .args:
      - .offset:         0
        .size:           128
        .value_kind:     by_value
    .group_segment_fixed_size: 7176
    .kernarg_segment_align: 8
    .kernarg_segment_size: 128
    .language:       OpenCL C
    .language_version:
      - 2
      - 0
    .max_flat_workgroup_size: 256
    .name:           _ZN7rocprim17ROCPRIM_400000_NS6detail17trampoline_kernelINS0_14default_configENS1_25partition_config_selectorILNS1_17partition_subalgoE1EiNS0_10empty_typeEbEEZZNS1_14partition_implILS5_1ELb0ES3_jN6thrust23THRUST_200600_302600_NS6detail15normal_iteratorINSA_10device_ptrIiEEEEPS6_NSA_18transform_iteratorINSA_8identityIiEESF_NSA_11use_defaultESK_EENS0_5tupleIJSF_SF_EEENSM_IJSG_SG_EEES6_PlJS6_EEE10hipError_tPvRmT3_T4_T5_T6_T7_T9_mT8_P12ihipStream_tbDpT10_ENKUlT_T0_E_clISt17integral_constantIbLb1EES18_IbLb0EEEEDaS14_S15_EUlS14_E_NS1_11comp_targetILNS1_3genE4ELNS1_11target_archE910ELNS1_3gpuE8ELNS1_3repE0EEENS1_30default_config_static_selectorELNS0_4arch9wavefront6targetE1EEEvT1_
    .private_segment_fixed_size: 0
    .sgpr_count:     48
    .sgpr_spill_count: 0
    .symbol:         _ZN7rocprim17ROCPRIM_400000_NS6detail17trampoline_kernelINS0_14default_configENS1_25partition_config_selectorILNS1_17partition_subalgoE1EiNS0_10empty_typeEbEEZZNS1_14partition_implILS5_1ELb0ES3_jN6thrust23THRUST_200600_302600_NS6detail15normal_iteratorINSA_10device_ptrIiEEEEPS6_NSA_18transform_iteratorINSA_8identityIiEESF_NSA_11use_defaultESK_EENS0_5tupleIJSF_SF_EEENSM_IJSG_SG_EEES6_PlJS6_EEE10hipError_tPvRmT3_T4_T5_T6_T7_T9_mT8_P12ihipStream_tbDpT10_ENKUlT_T0_E_clISt17integral_constantIbLb1EES18_IbLb0EEEEDaS14_S15_EUlS14_E_NS1_11comp_targetILNS1_3genE4ELNS1_11target_archE910ELNS1_3gpuE8ELNS1_3repE0EEENS1_30default_config_static_selectorELNS0_4arch9wavefront6targetE1EEEvT1_.kd
    .uniform_work_group_size: 1
    .uses_dynamic_stack: false
    .vgpr_count:     47
    .vgpr_spill_count: 0
    .wavefront_size: 64
  - .agpr_count:     0
    .args:
      - .offset:         0
        .size:           128
        .value_kind:     by_value
    .group_segment_fixed_size: 0
    .kernarg_segment_align: 8
    .kernarg_segment_size: 128
    .language:       OpenCL C
    .language_version:
      - 2
      - 0
    .max_flat_workgroup_size: 256
    .name:           _ZN7rocprim17ROCPRIM_400000_NS6detail17trampoline_kernelINS0_14default_configENS1_25partition_config_selectorILNS1_17partition_subalgoE1EiNS0_10empty_typeEbEEZZNS1_14partition_implILS5_1ELb0ES3_jN6thrust23THRUST_200600_302600_NS6detail15normal_iteratorINSA_10device_ptrIiEEEEPS6_NSA_18transform_iteratorINSA_8identityIiEESF_NSA_11use_defaultESK_EENS0_5tupleIJSF_SF_EEENSM_IJSG_SG_EEES6_PlJS6_EEE10hipError_tPvRmT3_T4_T5_T6_T7_T9_mT8_P12ihipStream_tbDpT10_ENKUlT_T0_E_clISt17integral_constantIbLb1EES18_IbLb0EEEEDaS14_S15_EUlS14_E_NS1_11comp_targetILNS1_3genE3ELNS1_11target_archE908ELNS1_3gpuE7ELNS1_3repE0EEENS1_30default_config_static_selectorELNS0_4arch9wavefront6targetE1EEEvT1_
    .private_segment_fixed_size: 0
    .sgpr_count:     4
    .sgpr_spill_count: 0
    .symbol:         _ZN7rocprim17ROCPRIM_400000_NS6detail17trampoline_kernelINS0_14default_configENS1_25partition_config_selectorILNS1_17partition_subalgoE1EiNS0_10empty_typeEbEEZZNS1_14partition_implILS5_1ELb0ES3_jN6thrust23THRUST_200600_302600_NS6detail15normal_iteratorINSA_10device_ptrIiEEEEPS6_NSA_18transform_iteratorINSA_8identityIiEESF_NSA_11use_defaultESK_EENS0_5tupleIJSF_SF_EEENSM_IJSG_SG_EEES6_PlJS6_EEE10hipError_tPvRmT3_T4_T5_T6_T7_T9_mT8_P12ihipStream_tbDpT10_ENKUlT_T0_E_clISt17integral_constantIbLb1EES18_IbLb0EEEEDaS14_S15_EUlS14_E_NS1_11comp_targetILNS1_3genE3ELNS1_11target_archE908ELNS1_3gpuE7ELNS1_3repE0EEENS1_30default_config_static_selectorELNS0_4arch9wavefront6targetE1EEEvT1_.kd
    .uniform_work_group_size: 1
    .uses_dynamic_stack: false
    .vgpr_count:     0
    .vgpr_spill_count: 0
    .wavefront_size: 64
  - .agpr_count:     0
    .args:
      - .offset:         0
        .size:           128
        .value_kind:     by_value
    .group_segment_fixed_size: 0
    .kernarg_segment_align: 8
    .kernarg_segment_size: 128
    .language:       OpenCL C
    .language_version:
      - 2
      - 0
    .max_flat_workgroup_size: 256
    .name:           _ZN7rocprim17ROCPRIM_400000_NS6detail17trampoline_kernelINS0_14default_configENS1_25partition_config_selectorILNS1_17partition_subalgoE1EiNS0_10empty_typeEbEEZZNS1_14partition_implILS5_1ELb0ES3_jN6thrust23THRUST_200600_302600_NS6detail15normal_iteratorINSA_10device_ptrIiEEEEPS6_NSA_18transform_iteratorINSA_8identityIiEESF_NSA_11use_defaultESK_EENS0_5tupleIJSF_SF_EEENSM_IJSG_SG_EEES6_PlJS6_EEE10hipError_tPvRmT3_T4_T5_T6_T7_T9_mT8_P12ihipStream_tbDpT10_ENKUlT_T0_E_clISt17integral_constantIbLb1EES18_IbLb0EEEEDaS14_S15_EUlS14_E_NS1_11comp_targetILNS1_3genE2ELNS1_11target_archE906ELNS1_3gpuE6ELNS1_3repE0EEENS1_30default_config_static_selectorELNS0_4arch9wavefront6targetE1EEEvT1_
    .private_segment_fixed_size: 0
    .sgpr_count:     4
    .sgpr_spill_count: 0
    .symbol:         _ZN7rocprim17ROCPRIM_400000_NS6detail17trampoline_kernelINS0_14default_configENS1_25partition_config_selectorILNS1_17partition_subalgoE1EiNS0_10empty_typeEbEEZZNS1_14partition_implILS5_1ELb0ES3_jN6thrust23THRUST_200600_302600_NS6detail15normal_iteratorINSA_10device_ptrIiEEEEPS6_NSA_18transform_iteratorINSA_8identityIiEESF_NSA_11use_defaultESK_EENS0_5tupleIJSF_SF_EEENSM_IJSG_SG_EEES6_PlJS6_EEE10hipError_tPvRmT3_T4_T5_T6_T7_T9_mT8_P12ihipStream_tbDpT10_ENKUlT_T0_E_clISt17integral_constantIbLb1EES18_IbLb0EEEEDaS14_S15_EUlS14_E_NS1_11comp_targetILNS1_3genE2ELNS1_11target_archE906ELNS1_3gpuE6ELNS1_3repE0EEENS1_30default_config_static_selectorELNS0_4arch9wavefront6targetE1EEEvT1_.kd
    .uniform_work_group_size: 1
    .uses_dynamic_stack: false
    .vgpr_count:     0
    .vgpr_spill_count: 0
    .wavefront_size: 64
  - .agpr_count:     0
    .args:
      - .offset:         0
        .size:           128
        .value_kind:     by_value
    .group_segment_fixed_size: 0
    .kernarg_segment_align: 8
    .kernarg_segment_size: 128
    .language:       OpenCL C
    .language_version:
      - 2
      - 0
    .max_flat_workgroup_size: 256
    .name:           _ZN7rocprim17ROCPRIM_400000_NS6detail17trampoline_kernelINS0_14default_configENS1_25partition_config_selectorILNS1_17partition_subalgoE1EiNS0_10empty_typeEbEEZZNS1_14partition_implILS5_1ELb0ES3_jN6thrust23THRUST_200600_302600_NS6detail15normal_iteratorINSA_10device_ptrIiEEEEPS6_NSA_18transform_iteratorINSA_8identityIiEESF_NSA_11use_defaultESK_EENS0_5tupleIJSF_SF_EEENSM_IJSG_SG_EEES6_PlJS6_EEE10hipError_tPvRmT3_T4_T5_T6_T7_T9_mT8_P12ihipStream_tbDpT10_ENKUlT_T0_E_clISt17integral_constantIbLb1EES18_IbLb0EEEEDaS14_S15_EUlS14_E_NS1_11comp_targetILNS1_3genE10ELNS1_11target_archE1200ELNS1_3gpuE4ELNS1_3repE0EEENS1_30default_config_static_selectorELNS0_4arch9wavefront6targetE1EEEvT1_
    .private_segment_fixed_size: 0
    .sgpr_count:     4
    .sgpr_spill_count: 0
    .symbol:         _ZN7rocprim17ROCPRIM_400000_NS6detail17trampoline_kernelINS0_14default_configENS1_25partition_config_selectorILNS1_17partition_subalgoE1EiNS0_10empty_typeEbEEZZNS1_14partition_implILS5_1ELb0ES3_jN6thrust23THRUST_200600_302600_NS6detail15normal_iteratorINSA_10device_ptrIiEEEEPS6_NSA_18transform_iteratorINSA_8identityIiEESF_NSA_11use_defaultESK_EENS0_5tupleIJSF_SF_EEENSM_IJSG_SG_EEES6_PlJS6_EEE10hipError_tPvRmT3_T4_T5_T6_T7_T9_mT8_P12ihipStream_tbDpT10_ENKUlT_T0_E_clISt17integral_constantIbLb1EES18_IbLb0EEEEDaS14_S15_EUlS14_E_NS1_11comp_targetILNS1_3genE10ELNS1_11target_archE1200ELNS1_3gpuE4ELNS1_3repE0EEENS1_30default_config_static_selectorELNS0_4arch9wavefront6targetE1EEEvT1_.kd
    .uniform_work_group_size: 1
    .uses_dynamic_stack: false
    .vgpr_count:     0
    .vgpr_spill_count: 0
    .wavefront_size: 64
  - .agpr_count:     0
    .args:
      - .offset:         0
        .size:           128
        .value_kind:     by_value
    .group_segment_fixed_size: 0
    .kernarg_segment_align: 8
    .kernarg_segment_size: 128
    .language:       OpenCL C
    .language_version:
      - 2
      - 0
    .max_flat_workgroup_size: 128
    .name:           _ZN7rocprim17ROCPRIM_400000_NS6detail17trampoline_kernelINS0_14default_configENS1_25partition_config_selectorILNS1_17partition_subalgoE1EiNS0_10empty_typeEbEEZZNS1_14partition_implILS5_1ELb0ES3_jN6thrust23THRUST_200600_302600_NS6detail15normal_iteratorINSA_10device_ptrIiEEEEPS6_NSA_18transform_iteratorINSA_8identityIiEESF_NSA_11use_defaultESK_EENS0_5tupleIJSF_SF_EEENSM_IJSG_SG_EEES6_PlJS6_EEE10hipError_tPvRmT3_T4_T5_T6_T7_T9_mT8_P12ihipStream_tbDpT10_ENKUlT_T0_E_clISt17integral_constantIbLb1EES18_IbLb0EEEEDaS14_S15_EUlS14_E_NS1_11comp_targetILNS1_3genE9ELNS1_11target_archE1100ELNS1_3gpuE3ELNS1_3repE0EEENS1_30default_config_static_selectorELNS0_4arch9wavefront6targetE1EEEvT1_
    .private_segment_fixed_size: 0
    .sgpr_count:     4
    .sgpr_spill_count: 0
    .symbol:         _ZN7rocprim17ROCPRIM_400000_NS6detail17trampoline_kernelINS0_14default_configENS1_25partition_config_selectorILNS1_17partition_subalgoE1EiNS0_10empty_typeEbEEZZNS1_14partition_implILS5_1ELb0ES3_jN6thrust23THRUST_200600_302600_NS6detail15normal_iteratorINSA_10device_ptrIiEEEEPS6_NSA_18transform_iteratorINSA_8identityIiEESF_NSA_11use_defaultESK_EENS0_5tupleIJSF_SF_EEENSM_IJSG_SG_EEES6_PlJS6_EEE10hipError_tPvRmT3_T4_T5_T6_T7_T9_mT8_P12ihipStream_tbDpT10_ENKUlT_T0_E_clISt17integral_constantIbLb1EES18_IbLb0EEEEDaS14_S15_EUlS14_E_NS1_11comp_targetILNS1_3genE9ELNS1_11target_archE1100ELNS1_3gpuE3ELNS1_3repE0EEENS1_30default_config_static_selectorELNS0_4arch9wavefront6targetE1EEEvT1_.kd
    .uniform_work_group_size: 1
    .uses_dynamic_stack: false
    .vgpr_count:     0
    .vgpr_spill_count: 0
    .wavefront_size: 64
  - .agpr_count:     0
    .args:
      - .offset:         0
        .size:           128
        .value_kind:     by_value
    .group_segment_fixed_size: 0
    .kernarg_segment_align: 8
    .kernarg_segment_size: 128
    .language:       OpenCL C
    .language_version:
      - 2
      - 0
    .max_flat_workgroup_size: 512
    .name:           _ZN7rocprim17ROCPRIM_400000_NS6detail17trampoline_kernelINS0_14default_configENS1_25partition_config_selectorILNS1_17partition_subalgoE1EiNS0_10empty_typeEbEEZZNS1_14partition_implILS5_1ELb0ES3_jN6thrust23THRUST_200600_302600_NS6detail15normal_iteratorINSA_10device_ptrIiEEEEPS6_NSA_18transform_iteratorINSA_8identityIiEESF_NSA_11use_defaultESK_EENS0_5tupleIJSF_SF_EEENSM_IJSG_SG_EEES6_PlJS6_EEE10hipError_tPvRmT3_T4_T5_T6_T7_T9_mT8_P12ihipStream_tbDpT10_ENKUlT_T0_E_clISt17integral_constantIbLb1EES18_IbLb0EEEEDaS14_S15_EUlS14_E_NS1_11comp_targetILNS1_3genE8ELNS1_11target_archE1030ELNS1_3gpuE2ELNS1_3repE0EEENS1_30default_config_static_selectorELNS0_4arch9wavefront6targetE1EEEvT1_
    .private_segment_fixed_size: 0
    .sgpr_count:     4
    .sgpr_spill_count: 0
    .symbol:         _ZN7rocprim17ROCPRIM_400000_NS6detail17trampoline_kernelINS0_14default_configENS1_25partition_config_selectorILNS1_17partition_subalgoE1EiNS0_10empty_typeEbEEZZNS1_14partition_implILS5_1ELb0ES3_jN6thrust23THRUST_200600_302600_NS6detail15normal_iteratorINSA_10device_ptrIiEEEEPS6_NSA_18transform_iteratorINSA_8identityIiEESF_NSA_11use_defaultESK_EENS0_5tupleIJSF_SF_EEENSM_IJSG_SG_EEES6_PlJS6_EEE10hipError_tPvRmT3_T4_T5_T6_T7_T9_mT8_P12ihipStream_tbDpT10_ENKUlT_T0_E_clISt17integral_constantIbLb1EES18_IbLb0EEEEDaS14_S15_EUlS14_E_NS1_11comp_targetILNS1_3genE8ELNS1_11target_archE1030ELNS1_3gpuE2ELNS1_3repE0EEENS1_30default_config_static_selectorELNS0_4arch9wavefront6targetE1EEEvT1_.kd
    .uniform_work_group_size: 1
    .uses_dynamic_stack: false
    .vgpr_count:     0
    .vgpr_spill_count: 0
    .wavefront_size: 64
  - .agpr_count:     0
    .args:
      - .offset:         0
        .size:           144
        .value_kind:     by_value
    .group_segment_fixed_size: 0
    .kernarg_segment_align: 8
    .kernarg_segment_size: 144
    .language:       OpenCL C
    .language_version:
      - 2
      - 0
    .max_flat_workgroup_size: 256
    .name:           _ZN7rocprim17ROCPRIM_400000_NS6detail17trampoline_kernelINS0_14default_configENS1_25partition_config_selectorILNS1_17partition_subalgoE1EiNS0_10empty_typeEbEEZZNS1_14partition_implILS5_1ELb0ES3_jN6thrust23THRUST_200600_302600_NS6detail15normal_iteratorINSA_10device_ptrIiEEEEPS6_NSA_18transform_iteratorINSA_8identityIiEESF_NSA_11use_defaultESK_EENS0_5tupleIJSF_SF_EEENSM_IJSG_SG_EEES6_PlJS6_EEE10hipError_tPvRmT3_T4_T5_T6_T7_T9_mT8_P12ihipStream_tbDpT10_ENKUlT_T0_E_clISt17integral_constantIbLb0EES18_IbLb1EEEEDaS14_S15_EUlS14_E_NS1_11comp_targetILNS1_3genE0ELNS1_11target_archE4294967295ELNS1_3gpuE0ELNS1_3repE0EEENS1_30default_config_static_selectorELNS0_4arch9wavefront6targetE1EEEvT1_
    .private_segment_fixed_size: 0
    .sgpr_count:     4
    .sgpr_spill_count: 0
    .symbol:         _ZN7rocprim17ROCPRIM_400000_NS6detail17trampoline_kernelINS0_14default_configENS1_25partition_config_selectorILNS1_17partition_subalgoE1EiNS0_10empty_typeEbEEZZNS1_14partition_implILS5_1ELb0ES3_jN6thrust23THRUST_200600_302600_NS6detail15normal_iteratorINSA_10device_ptrIiEEEEPS6_NSA_18transform_iteratorINSA_8identityIiEESF_NSA_11use_defaultESK_EENS0_5tupleIJSF_SF_EEENSM_IJSG_SG_EEES6_PlJS6_EEE10hipError_tPvRmT3_T4_T5_T6_T7_T9_mT8_P12ihipStream_tbDpT10_ENKUlT_T0_E_clISt17integral_constantIbLb0EES18_IbLb1EEEEDaS14_S15_EUlS14_E_NS1_11comp_targetILNS1_3genE0ELNS1_11target_archE4294967295ELNS1_3gpuE0ELNS1_3repE0EEENS1_30default_config_static_selectorELNS0_4arch9wavefront6targetE1EEEvT1_.kd
    .uniform_work_group_size: 1
    .uses_dynamic_stack: false
    .vgpr_count:     0
    .vgpr_spill_count: 0
    .wavefront_size: 64
  - .agpr_count:     0
    .args:
      - .offset:         0
        .size:           144
        .value_kind:     by_value
    .group_segment_fixed_size: 0
    .kernarg_segment_align: 8
    .kernarg_segment_size: 144
    .language:       OpenCL C
    .language_version:
      - 2
      - 0
    .max_flat_workgroup_size: 512
    .name:           _ZN7rocprim17ROCPRIM_400000_NS6detail17trampoline_kernelINS0_14default_configENS1_25partition_config_selectorILNS1_17partition_subalgoE1EiNS0_10empty_typeEbEEZZNS1_14partition_implILS5_1ELb0ES3_jN6thrust23THRUST_200600_302600_NS6detail15normal_iteratorINSA_10device_ptrIiEEEEPS6_NSA_18transform_iteratorINSA_8identityIiEESF_NSA_11use_defaultESK_EENS0_5tupleIJSF_SF_EEENSM_IJSG_SG_EEES6_PlJS6_EEE10hipError_tPvRmT3_T4_T5_T6_T7_T9_mT8_P12ihipStream_tbDpT10_ENKUlT_T0_E_clISt17integral_constantIbLb0EES18_IbLb1EEEEDaS14_S15_EUlS14_E_NS1_11comp_targetILNS1_3genE5ELNS1_11target_archE942ELNS1_3gpuE9ELNS1_3repE0EEENS1_30default_config_static_selectorELNS0_4arch9wavefront6targetE1EEEvT1_
    .private_segment_fixed_size: 0
    .sgpr_count:     4
    .sgpr_spill_count: 0
    .symbol:         _ZN7rocprim17ROCPRIM_400000_NS6detail17trampoline_kernelINS0_14default_configENS1_25partition_config_selectorILNS1_17partition_subalgoE1EiNS0_10empty_typeEbEEZZNS1_14partition_implILS5_1ELb0ES3_jN6thrust23THRUST_200600_302600_NS6detail15normal_iteratorINSA_10device_ptrIiEEEEPS6_NSA_18transform_iteratorINSA_8identityIiEESF_NSA_11use_defaultESK_EENS0_5tupleIJSF_SF_EEENSM_IJSG_SG_EEES6_PlJS6_EEE10hipError_tPvRmT3_T4_T5_T6_T7_T9_mT8_P12ihipStream_tbDpT10_ENKUlT_T0_E_clISt17integral_constantIbLb0EES18_IbLb1EEEEDaS14_S15_EUlS14_E_NS1_11comp_targetILNS1_3genE5ELNS1_11target_archE942ELNS1_3gpuE9ELNS1_3repE0EEENS1_30default_config_static_selectorELNS0_4arch9wavefront6targetE1EEEvT1_.kd
    .uniform_work_group_size: 1
    .uses_dynamic_stack: false
    .vgpr_count:     0
    .vgpr_spill_count: 0
    .wavefront_size: 64
  - .agpr_count:     0
    .args:
      - .offset:         0
        .size:           144
        .value_kind:     by_value
    .group_segment_fixed_size: 7176
    .kernarg_segment_align: 8
    .kernarg_segment_size: 144
    .language:       OpenCL C
    .language_version:
      - 2
      - 0
    .max_flat_workgroup_size: 256
    .name:           _ZN7rocprim17ROCPRIM_400000_NS6detail17trampoline_kernelINS0_14default_configENS1_25partition_config_selectorILNS1_17partition_subalgoE1EiNS0_10empty_typeEbEEZZNS1_14partition_implILS5_1ELb0ES3_jN6thrust23THRUST_200600_302600_NS6detail15normal_iteratorINSA_10device_ptrIiEEEEPS6_NSA_18transform_iteratorINSA_8identityIiEESF_NSA_11use_defaultESK_EENS0_5tupleIJSF_SF_EEENSM_IJSG_SG_EEES6_PlJS6_EEE10hipError_tPvRmT3_T4_T5_T6_T7_T9_mT8_P12ihipStream_tbDpT10_ENKUlT_T0_E_clISt17integral_constantIbLb0EES18_IbLb1EEEEDaS14_S15_EUlS14_E_NS1_11comp_targetILNS1_3genE4ELNS1_11target_archE910ELNS1_3gpuE8ELNS1_3repE0EEENS1_30default_config_static_selectorELNS0_4arch9wavefront6targetE1EEEvT1_
    .private_segment_fixed_size: 0
    .sgpr_count:     48
    .sgpr_spill_count: 0
    .symbol:         _ZN7rocprim17ROCPRIM_400000_NS6detail17trampoline_kernelINS0_14default_configENS1_25partition_config_selectorILNS1_17partition_subalgoE1EiNS0_10empty_typeEbEEZZNS1_14partition_implILS5_1ELb0ES3_jN6thrust23THRUST_200600_302600_NS6detail15normal_iteratorINSA_10device_ptrIiEEEEPS6_NSA_18transform_iteratorINSA_8identityIiEESF_NSA_11use_defaultESK_EENS0_5tupleIJSF_SF_EEENSM_IJSG_SG_EEES6_PlJS6_EEE10hipError_tPvRmT3_T4_T5_T6_T7_T9_mT8_P12ihipStream_tbDpT10_ENKUlT_T0_E_clISt17integral_constantIbLb0EES18_IbLb1EEEEDaS14_S15_EUlS14_E_NS1_11comp_targetILNS1_3genE4ELNS1_11target_archE910ELNS1_3gpuE8ELNS1_3repE0EEENS1_30default_config_static_selectorELNS0_4arch9wavefront6targetE1EEEvT1_.kd
    .uniform_work_group_size: 1
    .uses_dynamic_stack: false
    .vgpr_count:     51
    .vgpr_spill_count: 0
    .wavefront_size: 64
  - .agpr_count:     0
    .args:
      - .offset:         0
        .size:           144
        .value_kind:     by_value
    .group_segment_fixed_size: 0
    .kernarg_segment_align: 8
    .kernarg_segment_size: 144
    .language:       OpenCL C
    .language_version:
      - 2
      - 0
    .max_flat_workgroup_size: 256
    .name:           _ZN7rocprim17ROCPRIM_400000_NS6detail17trampoline_kernelINS0_14default_configENS1_25partition_config_selectorILNS1_17partition_subalgoE1EiNS0_10empty_typeEbEEZZNS1_14partition_implILS5_1ELb0ES3_jN6thrust23THRUST_200600_302600_NS6detail15normal_iteratorINSA_10device_ptrIiEEEEPS6_NSA_18transform_iteratorINSA_8identityIiEESF_NSA_11use_defaultESK_EENS0_5tupleIJSF_SF_EEENSM_IJSG_SG_EEES6_PlJS6_EEE10hipError_tPvRmT3_T4_T5_T6_T7_T9_mT8_P12ihipStream_tbDpT10_ENKUlT_T0_E_clISt17integral_constantIbLb0EES18_IbLb1EEEEDaS14_S15_EUlS14_E_NS1_11comp_targetILNS1_3genE3ELNS1_11target_archE908ELNS1_3gpuE7ELNS1_3repE0EEENS1_30default_config_static_selectorELNS0_4arch9wavefront6targetE1EEEvT1_
    .private_segment_fixed_size: 0
    .sgpr_count:     4
    .sgpr_spill_count: 0
    .symbol:         _ZN7rocprim17ROCPRIM_400000_NS6detail17trampoline_kernelINS0_14default_configENS1_25partition_config_selectorILNS1_17partition_subalgoE1EiNS0_10empty_typeEbEEZZNS1_14partition_implILS5_1ELb0ES3_jN6thrust23THRUST_200600_302600_NS6detail15normal_iteratorINSA_10device_ptrIiEEEEPS6_NSA_18transform_iteratorINSA_8identityIiEESF_NSA_11use_defaultESK_EENS0_5tupleIJSF_SF_EEENSM_IJSG_SG_EEES6_PlJS6_EEE10hipError_tPvRmT3_T4_T5_T6_T7_T9_mT8_P12ihipStream_tbDpT10_ENKUlT_T0_E_clISt17integral_constantIbLb0EES18_IbLb1EEEEDaS14_S15_EUlS14_E_NS1_11comp_targetILNS1_3genE3ELNS1_11target_archE908ELNS1_3gpuE7ELNS1_3repE0EEENS1_30default_config_static_selectorELNS0_4arch9wavefront6targetE1EEEvT1_.kd
    .uniform_work_group_size: 1
    .uses_dynamic_stack: false
    .vgpr_count:     0
    .vgpr_spill_count: 0
    .wavefront_size: 64
  - .agpr_count:     0
    .args:
      - .offset:         0
        .size:           144
        .value_kind:     by_value
    .group_segment_fixed_size: 0
    .kernarg_segment_align: 8
    .kernarg_segment_size: 144
    .language:       OpenCL C
    .language_version:
      - 2
      - 0
    .max_flat_workgroup_size: 256
    .name:           _ZN7rocprim17ROCPRIM_400000_NS6detail17trampoline_kernelINS0_14default_configENS1_25partition_config_selectorILNS1_17partition_subalgoE1EiNS0_10empty_typeEbEEZZNS1_14partition_implILS5_1ELb0ES3_jN6thrust23THRUST_200600_302600_NS6detail15normal_iteratorINSA_10device_ptrIiEEEEPS6_NSA_18transform_iteratorINSA_8identityIiEESF_NSA_11use_defaultESK_EENS0_5tupleIJSF_SF_EEENSM_IJSG_SG_EEES6_PlJS6_EEE10hipError_tPvRmT3_T4_T5_T6_T7_T9_mT8_P12ihipStream_tbDpT10_ENKUlT_T0_E_clISt17integral_constantIbLb0EES18_IbLb1EEEEDaS14_S15_EUlS14_E_NS1_11comp_targetILNS1_3genE2ELNS1_11target_archE906ELNS1_3gpuE6ELNS1_3repE0EEENS1_30default_config_static_selectorELNS0_4arch9wavefront6targetE1EEEvT1_
    .private_segment_fixed_size: 0
    .sgpr_count:     4
    .sgpr_spill_count: 0
    .symbol:         _ZN7rocprim17ROCPRIM_400000_NS6detail17trampoline_kernelINS0_14default_configENS1_25partition_config_selectorILNS1_17partition_subalgoE1EiNS0_10empty_typeEbEEZZNS1_14partition_implILS5_1ELb0ES3_jN6thrust23THRUST_200600_302600_NS6detail15normal_iteratorINSA_10device_ptrIiEEEEPS6_NSA_18transform_iteratorINSA_8identityIiEESF_NSA_11use_defaultESK_EENS0_5tupleIJSF_SF_EEENSM_IJSG_SG_EEES6_PlJS6_EEE10hipError_tPvRmT3_T4_T5_T6_T7_T9_mT8_P12ihipStream_tbDpT10_ENKUlT_T0_E_clISt17integral_constantIbLb0EES18_IbLb1EEEEDaS14_S15_EUlS14_E_NS1_11comp_targetILNS1_3genE2ELNS1_11target_archE906ELNS1_3gpuE6ELNS1_3repE0EEENS1_30default_config_static_selectorELNS0_4arch9wavefront6targetE1EEEvT1_.kd
    .uniform_work_group_size: 1
    .uses_dynamic_stack: false
    .vgpr_count:     0
    .vgpr_spill_count: 0
    .wavefront_size: 64
  - .agpr_count:     0
    .args:
      - .offset:         0
        .size:           144
        .value_kind:     by_value
    .group_segment_fixed_size: 0
    .kernarg_segment_align: 8
    .kernarg_segment_size: 144
    .language:       OpenCL C
    .language_version:
      - 2
      - 0
    .max_flat_workgroup_size: 256
    .name:           _ZN7rocprim17ROCPRIM_400000_NS6detail17trampoline_kernelINS0_14default_configENS1_25partition_config_selectorILNS1_17partition_subalgoE1EiNS0_10empty_typeEbEEZZNS1_14partition_implILS5_1ELb0ES3_jN6thrust23THRUST_200600_302600_NS6detail15normal_iteratorINSA_10device_ptrIiEEEEPS6_NSA_18transform_iteratorINSA_8identityIiEESF_NSA_11use_defaultESK_EENS0_5tupleIJSF_SF_EEENSM_IJSG_SG_EEES6_PlJS6_EEE10hipError_tPvRmT3_T4_T5_T6_T7_T9_mT8_P12ihipStream_tbDpT10_ENKUlT_T0_E_clISt17integral_constantIbLb0EES18_IbLb1EEEEDaS14_S15_EUlS14_E_NS1_11comp_targetILNS1_3genE10ELNS1_11target_archE1200ELNS1_3gpuE4ELNS1_3repE0EEENS1_30default_config_static_selectorELNS0_4arch9wavefront6targetE1EEEvT1_
    .private_segment_fixed_size: 0
    .sgpr_count:     4
    .sgpr_spill_count: 0
    .symbol:         _ZN7rocprim17ROCPRIM_400000_NS6detail17trampoline_kernelINS0_14default_configENS1_25partition_config_selectorILNS1_17partition_subalgoE1EiNS0_10empty_typeEbEEZZNS1_14partition_implILS5_1ELb0ES3_jN6thrust23THRUST_200600_302600_NS6detail15normal_iteratorINSA_10device_ptrIiEEEEPS6_NSA_18transform_iteratorINSA_8identityIiEESF_NSA_11use_defaultESK_EENS0_5tupleIJSF_SF_EEENSM_IJSG_SG_EEES6_PlJS6_EEE10hipError_tPvRmT3_T4_T5_T6_T7_T9_mT8_P12ihipStream_tbDpT10_ENKUlT_T0_E_clISt17integral_constantIbLb0EES18_IbLb1EEEEDaS14_S15_EUlS14_E_NS1_11comp_targetILNS1_3genE10ELNS1_11target_archE1200ELNS1_3gpuE4ELNS1_3repE0EEENS1_30default_config_static_selectorELNS0_4arch9wavefront6targetE1EEEvT1_.kd
    .uniform_work_group_size: 1
    .uses_dynamic_stack: false
    .vgpr_count:     0
    .vgpr_spill_count: 0
    .wavefront_size: 64
  - .agpr_count:     0
    .args:
      - .offset:         0
        .size:           144
        .value_kind:     by_value
    .group_segment_fixed_size: 0
    .kernarg_segment_align: 8
    .kernarg_segment_size: 144
    .language:       OpenCL C
    .language_version:
      - 2
      - 0
    .max_flat_workgroup_size: 128
    .name:           _ZN7rocprim17ROCPRIM_400000_NS6detail17trampoline_kernelINS0_14default_configENS1_25partition_config_selectorILNS1_17partition_subalgoE1EiNS0_10empty_typeEbEEZZNS1_14partition_implILS5_1ELb0ES3_jN6thrust23THRUST_200600_302600_NS6detail15normal_iteratorINSA_10device_ptrIiEEEEPS6_NSA_18transform_iteratorINSA_8identityIiEESF_NSA_11use_defaultESK_EENS0_5tupleIJSF_SF_EEENSM_IJSG_SG_EEES6_PlJS6_EEE10hipError_tPvRmT3_T4_T5_T6_T7_T9_mT8_P12ihipStream_tbDpT10_ENKUlT_T0_E_clISt17integral_constantIbLb0EES18_IbLb1EEEEDaS14_S15_EUlS14_E_NS1_11comp_targetILNS1_3genE9ELNS1_11target_archE1100ELNS1_3gpuE3ELNS1_3repE0EEENS1_30default_config_static_selectorELNS0_4arch9wavefront6targetE1EEEvT1_
    .private_segment_fixed_size: 0
    .sgpr_count:     4
    .sgpr_spill_count: 0
    .symbol:         _ZN7rocprim17ROCPRIM_400000_NS6detail17trampoline_kernelINS0_14default_configENS1_25partition_config_selectorILNS1_17partition_subalgoE1EiNS0_10empty_typeEbEEZZNS1_14partition_implILS5_1ELb0ES3_jN6thrust23THRUST_200600_302600_NS6detail15normal_iteratorINSA_10device_ptrIiEEEEPS6_NSA_18transform_iteratorINSA_8identityIiEESF_NSA_11use_defaultESK_EENS0_5tupleIJSF_SF_EEENSM_IJSG_SG_EEES6_PlJS6_EEE10hipError_tPvRmT3_T4_T5_T6_T7_T9_mT8_P12ihipStream_tbDpT10_ENKUlT_T0_E_clISt17integral_constantIbLb0EES18_IbLb1EEEEDaS14_S15_EUlS14_E_NS1_11comp_targetILNS1_3genE9ELNS1_11target_archE1100ELNS1_3gpuE3ELNS1_3repE0EEENS1_30default_config_static_selectorELNS0_4arch9wavefront6targetE1EEEvT1_.kd
    .uniform_work_group_size: 1
    .uses_dynamic_stack: false
    .vgpr_count:     0
    .vgpr_spill_count: 0
    .wavefront_size: 64
  - .agpr_count:     0
    .args:
      - .offset:         0
        .size:           144
        .value_kind:     by_value
    .group_segment_fixed_size: 0
    .kernarg_segment_align: 8
    .kernarg_segment_size: 144
    .language:       OpenCL C
    .language_version:
      - 2
      - 0
    .max_flat_workgroup_size: 512
    .name:           _ZN7rocprim17ROCPRIM_400000_NS6detail17trampoline_kernelINS0_14default_configENS1_25partition_config_selectorILNS1_17partition_subalgoE1EiNS0_10empty_typeEbEEZZNS1_14partition_implILS5_1ELb0ES3_jN6thrust23THRUST_200600_302600_NS6detail15normal_iteratorINSA_10device_ptrIiEEEEPS6_NSA_18transform_iteratorINSA_8identityIiEESF_NSA_11use_defaultESK_EENS0_5tupleIJSF_SF_EEENSM_IJSG_SG_EEES6_PlJS6_EEE10hipError_tPvRmT3_T4_T5_T6_T7_T9_mT8_P12ihipStream_tbDpT10_ENKUlT_T0_E_clISt17integral_constantIbLb0EES18_IbLb1EEEEDaS14_S15_EUlS14_E_NS1_11comp_targetILNS1_3genE8ELNS1_11target_archE1030ELNS1_3gpuE2ELNS1_3repE0EEENS1_30default_config_static_selectorELNS0_4arch9wavefront6targetE1EEEvT1_
    .private_segment_fixed_size: 0
    .sgpr_count:     4
    .sgpr_spill_count: 0
    .symbol:         _ZN7rocprim17ROCPRIM_400000_NS6detail17trampoline_kernelINS0_14default_configENS1_25partition_config_selectorILNS1_17partition_subalgoE1EiNS0_10empty_typeEbEEZZNS1_14partition_implILS5_1ELb0ES3_jN6thrust23THRUST_200600_302600_NS6detail15normal_iteratorINSA_10device_ptrIiEEEEPS6_NSA_18transform_iteratorINSA_8identityIiEESF_NSA_11use_defaultESK_EENS0_5tupleIJSF_SF_EEENSM_IJSG_SG_EEES6_PlJS6_EEE10hipError_tPvRmT3_T4_T5_T6_T7_T9_mT8_P12ihipStream_tbDpT10_ENKUlT_T0_E_clISt17integral_constantIbLb0EES18_IbLb1EEEEDaS14_S15_EUlS14_E_NS1_11comp_targetILNS1_3genE8ELNS1_11target_archE1030ELNS1_3gpuE2ELNS1_3repE0EEENS1_30default_config_static_selectorELNS0_4arch9wavefront6targetE1EEEvT1_.kd
    .uniform_work_group_size: 1
    .uses_dynamic_stack: false
    .vgpr_count:     0
    .vgpr_spill_count: 0
    .wavefront_size: 64
  - .agpr_count:     0
    .args:
      - .offset:         0
        .size:           128
        .value_kind:     by_value
    .group_segment_fixed_size: 0
    .kernarg_segment_align: 8
    .kernarg_segment_size: 128
    .language:       OpenCL C
    .language_version:
      - 2
      - 0
    .max_flat_workgroup_size: 256
    .name:           _ZN7rocprim17ROCPRIM_400000_NS6detail17trampoline_kernelINS0_14default_configENS1_25partition_config_selectorILNS1_17partition_subalgoE1EsNS0_10empty_typeEbEEZZNS1_14partition_implILS5_1ELb0ES3_jN6thrust23THRUST_200600_302600_NS6detail15normal_iteratorINSA_10device_ptrIsEEEEPS6_NSA_18transform_iteratorINSA_8identityIsEESF_NSA_11use_defaultESK_EENS0_5tupleIJSF_SF_EEENSM_IJSG_SG_EEES6_PlJS6_EEE10hipError_tPvRmT3_T4_T5_T6_T7_T9_mT8_P12ihipStream_tbDpT10_ENKUlT_T0_E_clISt17integral_constantIbLb0EES19_EEDaS14_S15_EUlS14_E_NS1_11comp_targetILNS1_3genE0ELNS1_11target_archE4294967295ELNS1_3gpuE0ELNS1_3repE0EEENS1_30default_config_static_selectorELNS0_4arch9wavefront6targetE1EEEvT1_
    .private_segment_fixed_size: 0
    .sgpr_count:     4
    .sgpr_spill_count: 0
    .symbol:         _ZN7rocprim17ROCPRIM_400000_NS6detail17trampoline_kernelINS0_14default_configENS1_25partition_config_selectorILNS1_17partition_subalgoE1EsNS0_10empty_typeEbEEZZNS1_14partition_implILS5_1ELb0ES3_jN6thrust23THRUST_200600_302600_NS6detail15normal_iteratorINSA_10device_ptrIsEEEEPS6_NSA_18transform_iteratorINSA_8identityIsEESF_NSA_11use_defaultESK_EENS0_5tupleIJSF_SF_EEENSM_IJSG_SG_EEES6_PlJS6_EEE10hipError_tPvRmT3_T4_T5_T6_T7_T9_mT8_P12ihipStream_tbDpT10_ENKUlT_T0_E_clISt17integral_constantIbLb0EES19_EEDaS14_S15_EUlS14_E_NS1_11comp_targetILNS1_3genE0ELNS1_11target_archE4294967295ELNS1_3gpuE0ELNS1_3repE0EEENS1_30default_config_static_selectorELNS0_4arch9wavefront6targetE1EEEvT1_.kd
    .uniform_work_group_size: 1
    .uses_dynamic_stack: false
    .vgpr_count:     0
    .vgpr_spill_count: 0
    .wavefront_size: 64
  - .agpr_count:     0
    .args:
      - .offset:         0
        .size:           128
        .value_kind:     by_value
    .group_segment_fixed_size: 0
    .kernarg_segment_align: 8
    .kernarg_segment_size: 128
    .language:       OpenCL C
    .language_version:
      - 2
      - 0
    .max_flat_workgroup_size: 512
    .name:           _ZN7rocprim17ROCPRIM_400000_NS6detail17trampoline_kernelINS0_14default_configENS1_25partition_config_selectorILNS1_17partition_subalgoE1EsNS0_10empty_typeEbEEZZNS1_14partition_implILS5_1ELb0ES3_jN6thrust23THRUST_200600_302600_NS6detail15normal_iteratorINSA_10device_ptrIsEEEEPS6_NSA_18transform_iteratorINSA_8identityIsEESF_NSA_11use_defaultESK_EENS0_5tupleIJSF_SF_EEENSM_IJSG_SG_EEES6_PlJS6_EEE10hipError_tPvRmT3_T4_T5_T6_T7_T9_mT8_P12ihipStream_tbDpT10_ENKUlT_T0_E_clISt17integral_constantIbLb0EES19_EEDaS14_S15_EUlS14_E_NS1_11comp_targetILNS1_3genE5ELNS1_11target_archE942ELNS1_3gpuE9ELNS1_3repE0EEENS1_30default_config_static_selectorELNS0_4arch9wavefront6targetE1EEEvT1_
    .private_segment_fixed_size: 0
    .sgpr_count:     4
    .sgpr_spill_count: 0
    .symbol:         _ZN7rocprim17ROCPRIM_400000_NS6detail17trampoline_kernelINS0_14default_configENS1_25partition_config_selectorILNS1_17partition_subalgoE1EsNS0_10empty_typeEbEEZZNS1_14partition_implILS5_1ELb0ES3_jN6thrust23THRUST_200600_302600_NS6detail15normal_iteratorINSA_10device_ptrIsEEEEPS6_NSA_18transform_iteratorINSA_8identityIsEESF_NSA_11use_defaultESK_EENS0_5tupleIJSF_SF_EEENSM_IJSG_SG_EEES6_PlJS6_EEE10hipError_tPvRmT3_T4_T5_T6_T7_T9_mT8_P12ihipStream_tbDpT10_ENKUlT_T0_E_clISt17integral_constantIbLb0EES19_EEDaS14_S15_EUlS14_E_NS1_11comp_targetILNS1_3genE5ELNS1_11target_archE942ELNS1_3gpuE9ELNS1_3repE0EEENS1_30default_config_static_selectorELNS0_4arch9wavefront6targetE1EEEvT1_.kd
    .uniform_work_group_size: 1
    .uses_dynamic_stack: false
    .vgpr_count:     0
    .vgpr_spill_count: 0
    .wavefront_size: 64
  - .agpr_count:     0
    .args:
      - .offset:         0
        .size:           128
        .value_kind:     by_value
    .group_segment_fixed_size: 10248
    .kernarg_segment_align: 8
    .kernarg_segment_size: 128
    .language:       OpenCL C
    .language_version:
      - 2
      - 0
    .max_flat_workgroup_size: 256
    .name:           _ZN7rocprim17ROCPRIM_400000_NS6detail17trampoline_kernelINS0_14default_configENS1_25partition_config_selectorILNS1_17partition_subalgoE1EsNS0_10empty_typeEbEEZZNS1_14partition_implILS5_1ELb0ES3_jN6thrust23THRUST_200600_302600_NS6detail15normal_iteratorINSA_10device_ptrIsEEEEPS6_NSA_18transform_iteratorINSA_8identityIsEESF_NSA_11use_defaultESK_EENS0_5tupleIJSF_SF_EEENSM_IJSG_SG_EEES6_PlJS6_EEE10hipError_tPvRmT3_T4_T5_T6_T7_T9_mT8_P12ihipStream_tbDpT10_ENKUlT_T0_E_clISt17integral_constantIbLb0EES19_EEDaS14_S15_EUlS14_E_NS1_11comp_targetILNS1_3genE4ELNS1_11target_archE910ELNS1_3gpuE8ELNS1_3repE0EEENS1_30default_config_static_selectorELNS0_4arch9wavefront6targetE1EEEvT1_
    .private_segment_fixed_size: 0
    .sgpr_count:     48
    .sgpr_spill_count: 0
    .symbol:         _ZN7rocprim17ROCPRIM_400000_NS6detail17trampoline_kernelINS0_14default_configENS1_25partition_config_selectorILNS1_17partition_subalgoE1EsNS0_10empty_typeEbEEZZNS1_14partition_implILS5_1ELb0ES3_jN6thrust23THRUST_200600_302600_NS6detail15normal_iteratorINSA_10device_ptrIsEEEEPS6_NSA_18transform_iteratorINSA_8identityIsEESF_NSA_11use_defaultESK_EENS0_5tupleIJSF_SF_EEENSM_IJSG_SG_EEES6_PlJS6_EEE10hipError_tPvRmT3_T4_T5_T6_T7_T9_mT8_P12ihipStream_tbDpT10_ENKUlT_T0_E_clISt17integral_constantIbLb0EES19_EEDaS14_S15_EUlS14_E_NS1_11comp_targetILNS1_3genE4ELNS1_11target_archE910ELNS1_3gpuE8ELNS1_3repE0EEENS1_30default_config_static_selectorELNS0_4arch9wavefront6targetE1EEEvT1_.kd
    .uniform_work_group_size: 1
    .uses_dynamic_stack: false
    .vgpr_count:     65
    .vgpr_spill_count: 0
    .wavefront_size: 64
  - .agpr_count:     0
    .args:
      - .offset:         0
        .size:           128
        .value_kind:     by_value
    .group_segment_fixed_size: 0
    .kernarg_segment_align: 8
    .kernarg_segment_size: 128
    .language:       OpenCL C
    .language_version:
      - 2
      - 0
    .max_flat_workgroup_size: 256
    .name:           _ZN7rocprim17ROCPRIM_400000_NS6detail17trampoline_kernelINS0_14default_configENS1_25partition_config_selectorILNS1_17partition_subalgoE1EsNS0_10empty_typeEbEEZZNS1_14partition_implILS5_1ELb0ES3_jN6thrust23THRUST_200600_302600_NS6detail15normal_iteratorINSA_10device_ptrIsEEEEPS6_NSA_18transform_iteratorINSA_8identityIsEESF_NSA_11use_defaultESK_EENS0_5tupleIJSF_SF_EEENSM_IJSG_SG_EEES6_PlJS6_EEE10hipError_tPvRmT3_T4_T5_T6_T7_T9_mT8_P12ihipStream_tbDpT10_ENKUlT_T0_E_clISt17integral_constantIbLb0EES19_EEDaS14_S15_EUlS14_E_NS1_11comp_targetILNS1_3genE3ELNS1_11target_archE908ELNS1_3gpuE7ELNS1_3repE0EEENS1_30default_config_static_selectorELNS0_4arch9wavefront6targetE1EEEvT1_
    .private_segment_fixed_size: 0
    .sgpr_count:     4
    .sgpr_spill_count: 0
    .symbol:         _ZN7rocprim17ROCPRIM_400000_NS6detail17trampoline_kernelINS0_14default_configENS1_25partition_config_selectorILNS1_17partition_subalgoE1EsNS0_10empty_typeEbEEZZNS1_14partition_implILS5_1ELb0ES3_jN6thrust23THRUST_200600_302600_NS6detail15normal_iteratorINSA_10device_ptrIsEEEEPS6_NSA_18transform_iteratorINSA_8identityIsEESF_NSA_11use_defaultESK_EENS0_5tupleIJSF_SF_EEENSM_IJSG_SG_EEES6_PlJS6_EEE10hipError_tPvRmT3_T4_T5_T6_T7_T9_mT8_P12ihipStream_tbDpT10_ENKUlT_T0_E_clISt17integral_constantIbLb0EES19_EEDaS14_S15_EUlS14_E_NS1_11comp_targetILNS1_3genE3ELNS1_11target_archE908ELNS1_3gpuE7ELNS1_3repE0EEENS1_30default_config_static_selectorELNS0_4arch9wavefront6targetE1EEEvT1_.kd
    .uniform_work_group_size: 1
    .uses_dynamic_stack: false
    .vgpr_count:     0
    .vgpr_spill_count: 0
    .wavefront_size: 64
  - .agpr_count:     0
    .args:
      - .offset:         0
        .size:           128
        .value_kind:     by_value
    .group_segment_fixed_size: 0
    .kernarg_segment_align: 8
    .kernarg_segment_size: 128
    .language:       OpenCL C
    .language_version:
      - 2
      - 0
    .max_flat_workgroup_size: 256
    .name:           _ZN7rocprim17ROCPRIM_400000_NS6detail17trampoline_kernelINS0_14default_configENS1_25partition_config_selectorILNS1_17partition_subalgoE1EsNS0_10empty_typeEbEEZZNS1_14partition_implILS5_1ELb0ES3_jN6thrust23THRUST_200600_302600_NS6detail15normal_iteratorINSA_10device_ptrIsEEEEPS6_NSA_18transform_iteratorINSA_8identityIsEESF_NSA_11use_defaultESK_EENS0_5tupleIJSF_SF_EEENSM_IJSG_SG_EEES6_PlJS6_EEE10hipError_tPvRmT3_T4_T5_T6_T7_T9_mT8_P12ihipStream_tbDpT10_ENKUlT_T0_E_clISt17integral_constantIbLb0EES19_EEDaS14_S15_EUlS14_E_NS1_11comp_targetILNS1_3genE2ELNS1_11target_archE906ELNS1_3gpuE6ELNS1_3repE0EEENS1_30default_config_static_selectorELNS0_4arch9wavefront6targetE1EEEvT1_
    .private_segment_fixed_size: 0
    .sgpr_count:     4
    .sgpr_spill_count: 0
    .symbol:         _ZN7rocprim17ROCPRIM_400000_NS6detail17trampoline_kernelINS0_14default_configENS1_25partition_config_selectorILNS1_17partition_subalgoE1EsNS0_10empty_typeEbEEZZNS1_14partition_implILS5_1ELb0ES3_jN6thrust23THRUST_200600_302600_NS6detail15normal_iteratorINSA_10device_ptrIsEEEEPS6_NSA_18transform_iteratorINSA_8identityIsEESF_NSA_11use_defaultESK_EENS0_5tupleIJSF_SF_EEENSM_IJSG_SG_EEES6_PlJS6_EEE10hipError_tPvRmT3_T4_T5_T6_T7_T9_mT8_P12ihipStream_tbDpT10_ENKUlT_T0_E_clISt17integral_constantIbLb0EES19_EEDaS14_S15_EUlS14_E_NS1_11comp_targetILNS1_3genE2ELNS1_11target_archE906ELNS1_3gpuE6ELNS1_3repE0EEENS1_30default_config_static_selectorELNS0_4arch9wavefront6targetE1EEEvT1_.kd
    .uniform_work_group_size: 1
    .uses_dynamic_stack: false
    .vgpr_count:     0
    .vgpr_spill_count: 0
    .wavefront_size: 64
  - .agpr_count:     0
    .args:
      - .offset:         0
        .size:           128
        .value_kind:     by_value
    .group_segment_fixed_size: 0
    .kernarg_segment_align: 8
    .kernarg_segment_size: 128
    .language:       OpenCL C
    .language_version:
      - 2
      - 0
    .max_flat_workgroup_size: 384
    .name:           _ZN7rocprim17ROCPRIM_400000_NS6detail17trampoline_kernelINS0_14default_configENS1_25partition_config_selectorILNS1_17partition_subalgoE1EsNS0_10empty_typeEbEEZZNS1_14partition_implILS5_1ELb0ES3_jN6thrust23THRUST_200600_302600_NS6detail15normal_iteratorINSA_10device_ptrIsEEEEPS6_NSA_18transform_iteratorINSA_8identityIsEESF_NSA_11use_defaultESK_EENS0_5tupleIJSF_SF_EEENSM_IJSG_SG_EEES6_PlJS6_EEE10hipError_tPvRmT3_T4_T5_T6_T7_T9_mT8_P12ihipStream_tbDpT10_ENKUlT_T0_E_clISt17integral_constantIbLb0EES19_EEDaS14_S15_EUlS14_E_NS1_11comp_targetILNS1_3genE10ELNS1_11target_archE1200ELNS1_3gpuE4ELNS1_3repE0EEENS1_30default_config_static_selectorELNS0_4arch9wavefront6targetE1EEEvT1_
    .private_segment_fixed_size: 0
    .sgpr_count:     4
    .sgpr_spill_count: 0
    .symbol:         _ZN7rocprim17ROCPRIM_400000_NS6detail17trampoline_kernelINS0_14default_configENS1_25partition_config_selectorILNS1_17partition_subalgoE1EsNS0_10empty_typeEbEEZZNS1_14partition_implILS5_1ELb0ES3_jN6thrust23THRUST_200600_302600_NS6detail15normal_iteratorINSA_10device_ptrIsEEEEPS6_NSA_18transform_iteratorINSA_8identityIsEESF_NSA_11use_defaultESK_EENS0_5tupleIJSF_SF_EEENSM_IJSG_SG_EEES6_PlJS6_EEE10hipError_tPvRmT3_T4_T5_T6_T7_T9_mT8_P12ihipStream_tbDpT10_ENKUlT_T0_E_clISt17integral_constantIbLb0EES19_EEDaS14_S15_EUlS14_E_NS1_11comp_targetILNS1_3genE10ELNS1_11target_archE1200ELNS1_3gpuE4ELNS1_3repE0EEENS1_30default_config_static_selectorELNS0_4arch9wavefront6targetE1EEEvT1_.kd
    .uniform_work_group_size: 1
    .uses_dynamic_stack: false
    .vgpr_count:     0
    .vgpr_spill_count: 0
    .wavefront_size: 64
  - .agpr_count:     0
    .args:
      - .offset:         0
        .size:           128
        .value_kind:     by_value
    .group_segment_fixed_size: 0
    .kernarg_segment_align: 8
    .kernarg_segment_size: 128
    .language:       OpenCL C
    .language_version:
      - 2
      - 0
    .max_flat_workgroup_size: 128
    .name:           _ZN7rocprim17ROCPRIM_400000_NS6detail17trampoline_kernelINS0_14default_configENS1_25partition_config_selectorILNS1_17partition_subalgoE1EsNS0_10empty_typeEbEEZZNS1_14partition_implILS5_1ELb0ES3_jN6thrust23THRUST_200600_302600_NS6detail15normal_iteratorINSA_10device_ptrIsEEEEPS6_NSA_18transform_iteratorINSA_8identityIsEESF_NSA_11use_defaultESK_EENS0_5tupleIJSF_SF_EEENSM_IJSG_SG_EEES6_PlJS6_EEE10hipError_tPvRmT3_T4_T5_T6_T7_T9_mT8_P12ihipStream_tbDpT10_ENKUlT_T0_E_clISt17integral_constantIbLb0EES19_EEDaS14_S15_EUlS14_E_NS1_11comp_targetILNS1_3genE9ELNS1_11target_archE1100ELNS1_3gpuE3ELNS1_3repE0EEENS1_30default_config_static_selectorELNS0_4arch9wavefront6targetE1EEEvT1_
    .private_segment_fixed_size: 0
    .sgpr_count:     4
    .sgpr_spill_count: 0
    .symbol:         _ZN7rocprim17ROCPRIM_400000_NS6detail17trampoline_kernelINS0_14default_configENS1_25partition_config_selectorILNS1_17partition_subalgoE1EsNS0_10empty_typeEbEEZZNS1_14partition_implILS5_1ELb0ES3_jN6thrust23THRUST_200600_302600_NS6detail15normal_iteratorINSA_10device_ptrIsEEEEPS6_NSA_18transform_iteratorINSA_8identityIsEESF_NSA_11use_defaultESK_EENS0_5tupleIJSF_SF_EEENSM_IJSG_SG_EEES6_PlJS6_EEE10hipError_tPvRmT3_T4_T5_T6_T7_T9_mT8_P12ihipStream_tbDpT10_ENKUlT_T0_E_clISt17integral_constantIbLb0EES19_EEDaS14_S15_EUlS14_E_NS1_11comp_targetILNS1_3genE9ELNS1_11target_archE1100ELNS1_3gpuE3ELNS1_3repE0EEENS1_30default_config_static_selectorELNS0_4arch9wavefront6targetE1EEEvT1_.kd
    .uniform_work_group_size: 1
    .uses_dynamic_stack: false
    .vgpr_count:     0
    .vgpr_spill_count: 0
    .wavefront_size: 64
  - .agpr_count:     0
    .args:
      - .offset:         0
        .size:           128
        .value_kind:     by_value
    .group_segment_fixed_size: 0
    .kernarg_segment_align: 8
    .kernarg_segment_size: 128
    .language:       OpenCL C
    .language_version:
      - 2
      - 0
    .max_flat_workgroup_size: 512
    .name:           _ZN7rocprim17ROCPRIM_400000_NS6detail17trampoline_kernelINS0_14default_configENS1_25partition_config_selectorILNS1_17partition_subalgoE1EsNS0_10empty_typeEbEEZZNS1_14partition_implILS5_1ELb0ES3_jN6thrust23THRUST_200600_302600_NS6detail15normal_iteratorINSA_10device_ptrIsEEEEPS6_NSA_18transform_iteratorINSA_8identityIsEESF_NSA_11use_defaultESK_EENS0_5tupleIJSF_SF_EEENSM_IJSG_SG_EEES6_PlJS6_EEE10hipError_tPvRmT3_T4_T5_T6_T7_T9_mT8_P12ihipStream_tbDpT10_ENKUlT_T0_E_clISt17integral_constantIbLb0EES19_EEDaS14_S15_EUlS14_E_NS1_11comp_targetILNS1_3genE8ELNS1_11target_archE1030ELNS1_3gpuE2ELNS1_3repE0EEENS1_30default_config_static_selectorELNS0_4arch9wavefront6targetE1EEEvT1_
    .private_segment_fixed_size: 0
    .sgpr_count:     4
    .sgpr_spill_count: 0
    .symbol:         _ZN7rocprim17ROCPRIM_400000_NS6detail17trampoline_kernelINS0_14default_configENS1_25partition_config_selectorILNS1_17partition_subalgoE1EsNS0_10empty_typeEbEEZZNS1_14partition_implILS5_1ELb0ES3_jN6thrust23THRUST_200600_302600_NS6detail15normal_iteratorINSA_10device_ptrIsEEEEPS6_NSA_18transform_iteratorINSA_8identityIsEESF_NSA_11use_defaultESK_EENS0_5tupleIJSF_SF_EEENSM_IJSG_SG_EEES6_PlJS6_EEE10hipError_tPvRmT3_T4_T5_T6_T7_T9_mT8_P12ihipStream_tbDpT10_ENKUlT_T0_E_clISt17integral_constantIbLb0EES19_EEDaS14_S15_EUlS14_E_NS1_11comp_targetILNS1_3genE8ELNS1_11target_archE1030ELNS1_3gpuE2ELNS1_3repE0EEENS1_30default_config_static_selectorELNS0_4arch9wavefront6targetE1EEEvT1_.kd
    .uniform_work_group_size: 1
    .uses_dynamic_stack: false
    .vgpr_count:     0
    .vgpr_spill_count: 0
    .wavefront_size: 64
  - .agpr_count:     0
    .args:
      - .offset:         0
        .size:           144
        .value_kind:     by_value
    .group_segment_fixed_size: 0
    .kernarg_segment_align: 8
    .kernarg_segment_size: 144
    .language:       OpenCL C
    .language_version:
      - 2
      - 0
    .max_flat_workgroup_size: 256
    .name:           _ZN7rocprim17ROCPRIM_400000_NS6detail17trampoline_kernelINS0_14default_configENS1_25partition_config_selectorILNS1_17partition_subalgoE1EsNS0_10empty_typeEbEEZZNS1_14partition_implILS5_1ELb0ES3_jN6thrust23THRUST_200600_302600_NS6detail15normal_iteratorINSA_10device_ptrIsEEEEPS6_NSA_18transform_iteratorINSA_8identityIsEESF_NSA_11use_defaultESK_EENS0_5tupleIJSF_SF_EEENSM_IJSG_SG_EEES6_PlJS6_EEE10hipError_tPvRmT3_T4_T5_T6_T7_T9_mT8_P12ihipStream_tbDpT10_ENKUlT_T0_E_clISt17integral_constantIbLb1EES19_EEDaS14_S15_EUlS14_E_NS1_11comp_targetILNS1_3genE0ELNS1_11target_archE4294967295ELNS1_3gpuE0ELNS1_3repE0EEENS1_30default_config_static_selectorELNS0_4arch9wavefront6targetE1EEEvT1_
    .private_segment_fixed_size: 0
    .sgpr_count:     4
    .sgpr_spill_count: 0
    .symbol:         _ZN7rocprim17ROCPRIM_400000_NS6detail17trampoline_kernelINS0_14default_configENS1_25partition_config_selectorILNS1_17partition_subalgoE1EsNS0_10empty_typeEbEEZZNS1_14partition_implILS5_1ELb0ES3_jN6thrust23THRUST_200600_302600_NS6detail15normal_iteratorINSA_10device_ptrIsEEEEPS6_NSA_18transform_iteratorINSA_8identityIsEESF_NSA_11use_defaultESK_EENS0_5tupleIJSF_SF_EEENSM_IJSG_SG_EEES6_PlJS6_EEE10hipError_tPvRmT3_T4_T5_T6_T7_T9_mT8_P12ihipStream_tbDpT10_ENKUlT_T0_E_clISt17integral_constantIbLb1EES19_EEDaS14_S15_EUlS14_E_NS1_11comp_targetILNS1_3genE0ELNS1_11target_archE4294967295ELNS1_3gpuE0ELNS1_3repE0EEENS1_30default_config_static_selectorELNS0_4arch9wavefront6targetE1EEEvT1_.kd
    .uniform_work_group_size: 1
    .uses_dynamic_stack: false
    .vgpr_count:     0
    .vgpr_spill_count: 0
    .wavefront_size: 64
  - .agpr_count:     0
    .args:
      - .offset:         0
        .size:           144
        .value_kind:     by_value
    .group_segment_fixed_size: 0
    .kernarg_segment_align: 8
    .kernarg_segment_size: 144
    .language:       OpenCL C
    .language_version:
      - 2
      - 0
    .max_flat_workgroup_size: 512
    .name:           _ZN7rocprim17ROCPRIM_400000_NS6detail17trampoline_kernelINS0_14default_configENS1_25partition_config_selectorILNS1_17partition_subalgoE1EsNS0_10empty_typeEbEEZZNS1_14partition_implILS5_1ELb0ES3_jN6thrust23THRUST_200600_302600_NS6detail15normal_iteratorINSA_10device_ptrIsEEEEPS6_NSA_18transform_iteratorINSA_8identityIsEESF_NSA_11use_defaultESK_EENS0_5tupleIJSF_SF_EEENSM_IJSG_SG_EEES6_PlJS6_EEE10hipError_tPvRmT3_T4_T5_T6_T7_T9_mT8_P12ihipStream_tbDpT10_ENKUlT_T0_E_clISt17integral_constantIbLb1EES19_EEDaS14_S15_EUlS14_E_NS1_11comp_targetILNS1_3genE5ELNS1_11target_archE942ELNS1_3gpuE9ELNS1_3repE0EEENS1_30default_config_static_selectorELNS0_4arch9wavefront6targetE1EEEvT1_
    .private_segment_fixed_size: 0
    .sgpr_count:     4
    .sgpr_spill_count: 0
    .symbol:         _ZN7rocprim17ROCPRIM_400000_NS6detail17trampoline_kernelINS0_14default_configENS1_25partition_config_selectorILNS1_17partition_subalgoE1EsNS0_10empty_typeEbEEZZNS1_14partition_implILS5_1ELb0ES3_jN6thrust23THRUST_200600_302600_NS6detail15normal_iteratorINSA_10device_ptrIsEEEEPS6_NSA_18transform_iteratorINSA_8identityIsEESF_NSA_11use_defaultESK_EENS0_5tupleIJSF_SF_EEENSM_IJSG_SG_EEES6_PlJS6_EEE10hipError_tPvRmT3_T4_T5_T6_T7_T9_mT8_P12ihipStream_tbDpT10_ENKUlT_T0_E_clISt17integral_constantIbLb1EES19_EEDaS14_S15_EUlS14_E_NS1_11comp_targetILNS1_3genE5ELNS1_11target_archE942ELNS1_3gpuE9ELNS1_3repE0EEENS1_30default_config_static_selectorELNS0_4arch9wavefront6targetE1EEEvT1_.kd
    .uniform_work_group_size: 1
    .uses_dynamic_stack: false
    .vgpr_count:     0
    .vgpr_spill_count: 0
    .wavefront_size: 64
  - .agpr_count:     0
    .args:
      - .offset:         0
        .size:           144
        .value_kind:     by_value
    .group_segment_fixed_size: 10248
    .kernarg_segment_align: 8
    .kernarg_segment_size: 144
    .language:       OpenCL C
    .language_version:
      - 2
      - 0
    .max_flat_workgroup_size: 256
    .name:           _ZN7rocprim17ROCPRIM_400000_NS6detail17trampoline_kernelINS0_14default_configENS1_25partition_config_selectorILNS1_17partition_subalgoE1EsNS0_10empty_typeEbEEZZNS1_14partition_implILS5_1ELb0ES3_jN6thrust23THRUST_200600_302600_NS6detail15normal_iteratorINSA_10device_ptrIsEEEEPS6_NSA_18transform_iteratorINSA_8identityIsEESF_NSA_11use_defaultESK_EENS0_5tupleIJSF_SF_EEENSM_IJSG_SG_EEES6_PlJS6_EEE10hipError_tPvRmT3_T4_T5_T6_T7_T9_mT8_P12ihipStream_tbDpT10_ENKUlT_T0_E_clISt17integral_constantIbLb1EES19_EEDaS14_S15_EUlS14_E_NS1_11comp_targetILNS1_3genE4ELNS1_11target_archE910ELNS1_3gpuE8ELNS1_3repE0EEENS1_30default_config_static_selectorELNS0_4arch9wavefront6targetE1EEEvT1_
    .private_segment_fixed_size: 0
    .sgpr_count:     48
    .sgpr_spill_count: 0
    .symbol:         _ZN7rocprim17ROCPRIM_400000_NS6detail17trampoline_kernelINS0_14default_configENS1_25partition_config_selectorILNS1_17partition_subalgoE1EsNS0_10empty_typeEbEEZZNS1_14partition_implILS5_1ELb0ES3_jN6thrust23THRUST_200600_302600_NS6detail15normal_iteratorINSA_10device_ptrIsEEEEPS6_NSA_18transform_iteratorINSA_8identityIsEESF_NSA_11use_defaultESK_EENS0_5tupleIJSF_SF_EEENSM_IJSG_SG_EEES6_PlJS6_EEE10hipError_tPvRmT3_T4_T5_T6_T7_T9_mT8_P12ihipStream_tbDpT10_ENKUlT_T0_E_clISt17integral_constantIbLb1EES19_EEDaS14_S15_EUlS14_E_NS1_11comp_targetILNS1_3genE4ELNS1_11target_archE910ELNS1_3gpuE8ELNS1_3repE0EEENS1_30default_config_static_selectorELNS0_4arch9wavefront6targetE1EEEvT1_.kd
    .uniform_work_group_size: 1
    .uses_dynamic_stack: false
    .vgpr_count:     69
    .vgpr_spill_count: 0
    .wavefront_size: 64
  - .agpr_count:     0
    .args:
      - .offset:         0
        .size:           144
        .value_kind:     by_value
    .group_segment_fixed_size: 0
    .kernarg_segment_align: 8
    .kernarg_segment_size: 144
    .language:       OpenCL C
    .language_version:
      - 2
      - 0
    .max_flat_workgroup_size: 256
    .name:           _ZN7rocprim17ROCPRIM_400000_NS6detail17trampoline_kernelINS0_14default_configENS1_25partition_config_selectorILNS1_17partition_subalgoE1EsNS0_10empty_typeEbEEZZNS1_14partition_implILS5_1ELb0ES3_jN6thrust23THRUST_200600_302600_NS6detail15normal_iteratorINSA_10device_ptrIsEEEEPS6_NSA_18transform_iteratorINSA_8identityIsEESF_NSA_11use_defaultESK_EENS0_5tupleIJSF_SF_EEENSM_IJSG_SG_EEES6_PlJS6_EEE10hipError_tPvRmT3_T4_T5_T6_T7_T9_mT8_P12ihipStream_tbDpT10_ENKUlT_T0_E_clISt17integral_constantIbLb1EES19_EEDaS14_S15_EUlS14_E_NS1_11comp_targetILNS1_3genE3ELNS1_11target_archE908ELNS1_3gpuE7ELNS1_3repE0EEENS1_30default_config_static_selectorELNS0_4arch9wavefront6targetE1EEEvT1_
    .private_segment_fixed_size: 0
    .sgpr_count:     4
    .sgpr_spill_count: 0
    .symbol:         _ZN7rocprim17ROCPRIM_400000_NS6detail17trampoline_kernelINS0_14default_configENS1_25partition_config_selectorILNS1_17partition_subalgoE1EsNS0_10empty_typeEbEEZZNS1_14partition_implILS5_1ELb0ES3_jN6thrust23THRUST_200600_302600_NS6detail15normal_iteratorINSA_10device_ptrIsEEEEPS6_NSA_18transform_iteratorINSA_8identityIsEESF_NSA_11use_defaultESK_EENS0_5tupleIJSF_SF_EEENSM_IJSG_SG_EEES6_PlJS6_EEE10hipError_tPvRmT3_T4_T5_T6_T7_T9_mT8_P12ihipStream_tbDpT10_ENKUlT_T0_E_clISt17integral_constantIbLb1EES19_EEDaS14_S15_EUlS14_E_NS1_11comp_targetILNS1_3genE3ELNS1_11target_archE908ELNS1_3gpuE7ELNS1_3repE0EEENS1_30default_config_static_selectorELNS0_4arch9wavefront6targetE1EEEvT1_.kd
    .uniform_work_group_size: 1
    .uses_dynamic_stack: false
    .vgpr_count:     0
    .vgpr_spill_count: 0
    .wavefront_size: 64
  - .agpr_count:     0
    .args:
      - .offset:         0
        .size:           144
        .value_kind:     by_value
    .group_segment_fixed_size: 0
    .kernarg_segment_align: 8
    .kernarg_segment_size: 144
    .language:       OpenCL C
    .language_version:
      - 2
      - 0
    .max_flat_workgroup_size: 256
    .name:           _ZN7rocprim17ROCPRIM_400000_NS6detail17trampoline_kernelINS0_14default_configENS1_25partition_config_selectorILNS1_17partition_subalgoE1EsNS0_10empty_typeEbEEZZNS1_14partition_implILS5_1ELb0ES3_jN6thrust23THRUST_200600_302600_NS6detail15normal_iteratorINSA_10device_ptrIsEEEEPS6_NSA_18transform_iteratorINSA_8identityIsEESF_NSA_11use_defaultESK_EENS0_5tupleIJSF_SF_EEENSM_IJSG_SG_EEES6_PlJS6_EEE10hipError_tPvRmT3_T4_T5_T6_T7_T9_mT8_P12ihipStream_tbDpT10_ENKUlT_T0_E_clISt17integral_constantIbLb1EES19_EEDaS14_S15_EUlS14_E_NS1_11comp_targetILNS1_3genE2ELNS1_11target_archE906ELNS1_3gpuE6ELNS1_3repE0EEENS1_30default_config_static_selectorELNS0_4arch9wavefront6targetE1EEEvT1_
    .private_segment_fixed_size: 0
    .sgpr_count:     4
    .sgpr_spill_count: 0
    .symbol:         _ZN7rocprim17ROCPRIM_400000_NS6detail17trampoline_kernelINS0_14default_configENS1_25partition_config_selectorILNS1_17partition_subalgoE1EsNS0_10empty_typeEbEEZZNS1_14partition_implILS5_1ELb0ES3_jN6thrust23THRUST_200600_302600_NS6detail15normal_iteratorINSA_10device_ptrIsEEEEPS6_NSA_18transform_iteratorINSA_8identityIsEESF_NSA_11use_defaultESK_EENS0_5tupleIJSF_SF_EEENSM_IJSG_SG_EEES6_PlJS6_EEE10hipError_tPvRmT3_T4_T5_T6_T7_T9_mT8_P12ihipStream_tbDpT10_ENKUlT_T0_E_clISt17integral_constantIbLb1EES19_EEDaS14_S15_EUlS14_E_NS1_11comp_targetILNS1_3genE2ELNS1_11target_archE906ELNS1_3gpuE6ELNS1_3repE0EEENS1_30default_config_static_selectorELNS0_4arch9wavefront6targetE1EEEvT1_.kd
    .uniform_work_group_size: 1
    .uses_dynamic_stack: false
    .vgpr_count:     0
    .vgpr_spill_count: 0
    .wavefront_size: 64
  - .agpr_count:     0
    .args:
      - .offset:         0
        .size:           144
        .value_kind:     by_value
    .group_segment_fixed_size: 0
    .kernarg_segment_align: 8
    .kernarg_segment_size: 144
    .language:       OpenCL C
    .language_version:
      - 2
      - 0
    .max_flat_workgroup_size: 384
    .name:           _ZN7rocprim17ROCPRIM_400000_NS6detail17trampoline_kernelINS0_14default_configENS1_25partition_config_selectorILNS1_17partition_subalgoE1EsNS0_10empty_typeEbEEZZNS1_14partition_implILS5_1ELb0ES3_jN6thrust23THRUST_200600_302600_NS6detail15normal_iteratorINSA_10device_ptrIsEEEEPS6_NSA_18transform_iteratorINSA_8identityIsEESF_NSA_11use_defaultESK_EENS0_5tupleIJSF_SF_EEENSM_IJSG_SG_EEES6_PlJS6_EEE10hipError_tPvRmT3_T4_T5_T6_T7_T9_mT8_P12ihipStream_tbDpT10_ENKUlT_T0_E_clISt17integral_constantIbLb1EES19_EEDaS14_S15_EUlS14_E_NS1_11comp_targetILNS1_3genE10ELNS1_11target_archE1200ELNS1_3gpuE4ELNS1_3repE0EEENS1_30default_config_static_selectorELNS0_4arch9wavefront6targetE1EEEvT1_
    .private_segment_fixed_size: 0
    .sgpr_count:     4
    .sgpr_spill_count: 0
    .symbol:         _ZN7rocprim17ROCPRIM_400000_NS6detail17trampoline_kernelINS0_14default_configENS1_25partition_config_selectorILNS1_17partition_subalgoE1EsNS0_10empty_typeEbEEZZNS1_14partition_implILS5_1ELb0ES3_jN6thrust23THRUST_200600_302600_NS6detail15normal_iteratorINSA_10device_ptrIsEEEEPS6_NSA_18transform_iteratorINSA_8identityIsEESF_NSA_11use_defaultESK_EENS0_5tupleIJSF_SF_EEENSM_IJSG_SG_EEES6_PlJS6_EEE10hipError_tPvRmT3_T4_T5_T6_T7_T9_mT8_P12ihipStream_tbDpT10_ENKUlT_T0_E_clISt17integral_constantIbLb1EES19_EEDaS14_S15_EUlS14_E_NS1_11comp_targetILNS1_3genE10ELNS1_11target_archE1200ELNS1_3gpuE4ELNS1_3repE0EEENS1_30default_config_static_selectorELNS0_4arch9wavefront6targetE1EEEvT1_.kd
    .uniform_work_group_size: 1
    .uses_dynamic_stack: false
    .vgpr_count:     0
    .vgpr_spill_count: 0
    .wavefront_size: 64
  - .agpr_count:     0
    .args:
      - .offset:         0
        .size:           144
        .value_kind:     by_value
    .group_segment_fixed_size: 0
    .kernarg_segment_align: 8
    .kernarg_segment_size: 144
    .language:       OpenCL C
    .language_version:
      - 2
      - 0
    .max_flat_workgroup_size: 128
    .name:           _ZN7rocprim17ROCPRIM_400000_NS6detail17trampoline_kernelINS0_14default_configENS1_25partition_config_selectorILNS1_17partition_subalgoE1EsNS0_10empty_typeEbEEZZNS1_14partition_implILS5_1ELb0ES3_jN6thrust23THRUST_200600_302600_NS6detail15normal_iteratorINSA_10device_ptrIsEEEEPS6_NSA_18transform_iteratorINSA_8identityIsEESF_NSA_11use_defaultESK_EENS0_5tupleIJSF_SF_EEENSM_IJSG_SG_EEES6_PlJS6_EEE10hipError_tPvRmT3_T4_T5_T6_T7_T9_mT8_P12ihipStream_tbDpT10_ENKUlT_T0_E_clISt17integral_constantIbLb1EES19_EEDaS14_S15_EUlS14_E_NS1_11comp_targetILNS1_3genE9ELNS1_11target_archE1100ELNS1_3gpuE3ELNS1_3repE0EEENS1_30default_config_static_selectorELNS0_4arch9wavefront6targetE1EEEvT1_
    .private_segment_fixed_size: 0
    .sgpr_count:     4
    .sgpr_spill_count: 0
    .symbol:         _ZN7rocprim17ROCPRIM_400000_NS6detail17trampoline_kernelINS0_14default_configENS1_25partition_config_selectorILNS1_17partition_subalgoE1EsNS0_10empty_typeEbEEZZNS1_14partition_implILS5_1ELb0ES3_jN6thrust23THRUST_200600_302600_NS6detail15normal_iteratorINSA_10device_ptrIsEEEEPS6_NSA_18transform_iteratorINSA_8identityIsEESF_NSA_11use_defaultESK_EENS0_5tupleIJSF_SF_EEENSM_IJSG_SG_EEES6_PlJS6_EEE10hipError_tPvRmT3_T4_T5_T6_T7_T9_mT8_P12ihipStream_tbDpT10_ENKUlT_T0_E_clISt17integral_constantIbLb1EES19_EEDaS14_S15_EUlS14_E_NS1_11comp_targetILNS1_3genE9ELNS1_11target_archE1100ELNS1_3gpuE3ELNS1_3repE0EEENS1_30default_config_static_selectorELNS0_4arch9wavefront6targetE1EEEvT1_.kd
    .uniform_work_group_size: 1
    .uses_dynamic_stack: false
    .vgpr_count:     0
    .vgpr_spill_count: 0
    .wavefront_size: 64
  - .agpr_count:     0
    .args:
      - .offset:         0
        .size:           144
        .value_kind:     by_value
    .group_segment_fixed_size: 0
    .kernarg_segment_align: 8
    .kernarg_segment_size: 144
    .language:       OpenCL C
    .language_version:
      - 2
      - 0
    .max_flat_workgroup_size: 512
    .name:           _ZN7rocprim17ROCPRIM_400000_NS6detail17trampoline_kernelINS0_14default_configENS1_25partition_config_selectorILNS1_17partition_subalgoE1EsNS0_10empty_typeEbEEZZNS1_14partition_implILS5_1ELb0ES3_jN6thrust23THRUST_200600_302600_NS6detail15normal_iteratorINSA_10device_ptrIsEEEEPS6_NSA_18transform_iteratorINSA_8identityIsEESF_NSA_11use_defaultESK_EENS0_5tupleIJSF_SF_EEENSM_IJSG_SG_EEES6_PlJS6_EEE10hipError_tPvRmT3_T4_T5_T6_T7_T9_mT8_P12ihipStream_tbDpT10_ENKUlT_T0_E_clISt17integral_constantIbLb1EES19_EEDaS14_S15_EUlS14_E_NS1_11comp_targetILNS1_3genE8ELNS1_11target_archE1030ELNS1_3gpuE2ELNS1_3repE0EEENS1_30default_config_static_selectorELNS0_4arch9wavefront6targetE1EEEvT1_
    .private_segment_fixed_size: 0
    .sgpr_count:     4
    .sgpr_spill_count: 0
    .symbol:         _ZN7rocprim17ROCPRIM_400000_NS6detail17trampoline_kernelINS0_14default_configENS1_25partition_config_selectorILNS1_17partition_subalgoE1EsNS0_10empty_typeEbEEZZNS1_14partition_implILS5_1ELb0ES3_jN6thrust23THRUST_200600_302600_NS6detail15normal_iteratorINSA_10device_ptrIsEEEEPS6_NSA_18transform_iteratorINSA_8identityIsEESF_NSA_11use_defaultESK_EENS0_5tupleIJSF_SF_EEENSM_IJSG_SG_EEES6_PlJS6_EEE10hipError_tPvRmT3_T4_T5_T6_T7_T9_mT8_P12ihipStream_tbDpT10_ENKUlT_T0_E_clISt17integral_constantIbLb1EES19_EEDaS14_S15_EUlS14_E_NS1_11comp_targetILNS1_3genE8ELNS1_11target_archE1030ELNS1_3gpuE2ELNS1_3repE0EEENS1_30default_config_static_selectorELNS0_4arch9wavefront6targetE1EEEvT1_.kd
    .uniform_work_group_size: 1
    .uses_dynamic_stack: false
    .vgpr_count:     0
    .vgpr_spill_count: 0
    .wavefront_size: 64
  - .agpr_count:     0
    .args:
      - .offset:         0
        .size:           128
        .value_kind:     by_value
    .group_segment_fixed_size: 0
    .kernarg_segment_align: 8
    .kernarg_segment_size: 128
    .language:       OpenCL C
    .language_version:
      - 2
      - 0
    .max_flat_workgroup_size: 256
    .name:           _ZN7rocprim17ROCPRIM_400000_NS6detail17trampoline_kernelINS0_14default_configENS1_25partition_config_selectorILNS1_17partition_subalgoE1EsNS0_10empty_typeEbEEZZNS1_14partition_implILS5_1ELb0ES3_jN6thrust23THRUST_200600_302600_NS6detail15normal_iteratorINSA_10device_ptrIsEEEEPS6_NSA_18transform_iteratorINSA_8identityIsEESF_NSA_11use_defaultESK_EENS0_5tupleIJSF_SF_EEENSM_IJSG_SG_EEES6_PlJS6_EEE10hipError_tPvRmT3_T4_T5_T6_T7_T9_mT8_P12ihipStream_tbDpT10_ENKUlT_T0_E_clISt17integral_constantIbLb1EES18_IbLb0EEEEDaS14_S15_EUlS14_E_NS1_11comp_targetILNS1_3genE0ELNS1_11target_archE4294967295ELNS1_3gpuE0ELNS1_3repE0EEENS1_30default_config_static_selectorELNS0_4arch9wavefront6targetE1EEEvT1_
    .private_segment_fixed_size: 0
    .sgpr_count:     4
    .sgpr_spill_count: 0
    .symbol:         _ZN7rocprim17ROCPRIM_400000_NS6detail17trampoline_kernelINS0_14default_configENS1_25partition_config_selectorILNS1_17partition_subalgoE1EsNS0_10empty_typeEbEEZZNS1_14partition_implILS5_1ELb0ES3_jN6thrust23THRUST_200600_302600_NS6detail15normal_iteratorINSA_10device_ptrIsEEEEPS6_NSA_18transform_iteratorINSA_8identityIsEESF_NSA_11use_defaultESK_EENS0_5tupleIJSF_SF_EEENSM_IJSG_SG_EEES6_PlJS6_EEE10hipError_tPvRmT3_T4_T5_T6_T7_T9_mT8_P12ihipStream_tbDpT10_ENKUlT_T0_E_clISt17integral_constantIbLb1EES18_IbLb0EEEEDaS14_S15_EUlS14_E_NS1_11comp_targetILNS1_3genE0ELNS1_11target_archE4294967295ELNS1_3gpuE0ELNS1_3repE0EEENS1_30default_config_static_selectorELNS0_4arch9wavefront6targetE1EEEvT1_.kd
    .uniform_work_group_size: 1
    .uses_dynamic_stack: false
    .vgpr_count:     0
    .vgpr_spill_count: 0
    .wavefront_size: 64
  - .agpr_count:     0
    .args:
      - .offset:         0
        .size:           128
        .value_kind:     by_value
    .group_segment_fixed_size: 0
    .kernarg_segment_align: 8
    .kernarg_segment_size: 128
    .language:       OpenCL C
    .language_version:
      - 2
      - 0
    .max_flat_workgroup_size: 512
    .name:           _ZN7rocprim17ROCPRIM_400000_NS6detail17trampoline_kernelINS0_14default_configENS1_25partition_config_selectorILNS1_17partition_subalgoE1EsNS0_10empty_typeEbEEZZNS1_14partition_implILS5_1ELb0ES3_jN6thrust23THRUST_200600_302600_NS6detail15normal_iteratorINSA_10device_ptrIsEEEEPS6_NSA_18transform_iteratorINSA_8identityIsEESF_NSA_11use_defaultESK_EENS0_5tupleIJSF_SF_EEENSM_IJSG_SG_EEES6_PlJS6_EEE10hipError_tPvRmT3_T4_T5_T6_T7_T9_mT8_P12ihipStream_tbDpT10_ENKUlT_T0_E_clISt17integral_constantIbLb1EES18_IbLb0EEEEDaS14_S15_EUlS14_E_NS1_11comp_targetILNS1_3genE5ELNS1_11target_archE942ELNS1_3gpuE9ELNS1_3repE0EEENS1_30default_config_static_selectorELNS0_4arch9wavefront6targetE1EEEvT1_
    .private_segment_fixed_size: 0
    .sgpr_count:     4
    .sgpr_spill_count: 0
    .symbol:         _ZN7rocprim17ROCPRIM_400000_NS6detail17trampoline_kernelINS0_14default_configENS1_25partition_config_selectorILNS1_17partition_subalgoE1EsNS0_10empty_typeEbEEZZNS1_14partition_implILS5_1ELb0ES3_jN6thrust23THRUST_200600_302600_NS6detail15normal_iteratorINSA_10device_ptrIsEEEEPS6_NSA_18transform_iteratorINSA_8identityIsEESF_NSA_11use_defaultESK_EENS0_5tupleIJSF_SF_EEENSM_IJSG_SG_EEES6_PlJS6_EEE10hipError_tPvRmT3_T4_T5_T6_T7_T9_mT8_P12ihipStream_tbDpT10_ENKUlT_T0_E_clISt17integral_constantIbLb1EES18_IbLb0EEEEDaS14_S15_EUlS14_E_NS1_11comp_targetILNS1_3genE5ELNS1_11target_archE942ELNS1_3gpuE9ELNS1_3repE0EEENS1_30default_config_static_selectorELNS0_4arch9wavefront6targetE1EEEvT1_.kd
    .uniform_work_group_size: 1
    .uses_dynamic_stack: false
    .vgpr_count:     0
    .vgpr_spill_count: 0
    .wavefront_size: 64
  - .agpr_count:     0
    .args:
      - .offset:         0
        .size:           128
        .value_kind:     by_value
    .group_segment_fixed_size: 10248
    .kernarg_segment_align: 8
    .kernarg_segment_size: 128
    .language:       OpenCL C
    .language_version:
      - 2
      - 0
    .max_flat_workgroup_size: 256
    .name:           _ZN7rocprim17ROCPRIM_400000_NS6detail17trampoline_kernelINS0_14default_configENS1_25partition_config_selectorILNS1_17partition_subalgoE1EsNS0_10empty_typeEbEEZZNS1_14partition_implILS5_1ELb0ES3_jN6thrust23THRUST_200600_302600_NS6detail15normal_iteratorINSA_10device_ptrIsEEEEPS6_NSA_18transform_iteratorINSA_8identityIsEESF_NSA_11use_defaultESK_EENS0_5tupleIJSF_SF_EEENSM_IJSG_SG_EEES6_PlJS6_EEE10hipError_tPvRmT3_T4_T5_T6_T7_T9_mT8_P12ihipStream_tbDpT10_ENKUlT_T0_E_clISt17integral_constantIbLb1EES18_IbLb0EEEEDaS14_S15_EUlS14_E_NS1_11comp_targetILNS1_3genE4ELNS1_11target_archE910ELNS1_3gpuE8ELNS1_3repE0EEENS1_30default_config_static_selectorELNS0_4arch9wavefront6targetE1EEEvT1_
    .private_segment_fixed_size: 0
    .sgpr_count:     48
    .sgpr_spill_count: 0
    .symbol:         _ZN7rocprim17ROCPRIM_400000_NS6detail17trampoline_kernelINS0_14default_configENS1_25partition_config_selectorILNS1_17partition_subalgoE1EsNS0_10empty_typeEbEEZZNS1_14partition_implILS5_1ELb0ES3_jN6thrust23THRUST_200600_302600_NS6detail15normal_iteratorINSA_10device_ptrIsEEEEPS6_NSA_18transform_iteratorINSA_8identityIsEESF_NSA_11use_defaultESK_EENS0_5tupleIJSF_SF_EEENSM_IJSG_SG_EEES6_PlJS6_EEE10hipError_tPvRmT3_T4_T5_T6_T7_T9_mT8_P12ihipStream_tbDpT10_ENKUlT_T0_E_clISt17integral_constantIbLb1EES18_IbLb0EEEEDaS14_S15_EUlS14_E_NS1_11comp_targetILNS1_3genE4ELNS1_11target_archE910ELNS1_3gpuE8ELNS1_3repE0EEENS1_30default_config_static_selectorELNS0_4arch9wavefront6targetE1EEEvT1_.kd
    .uniform_work_group_size: 1
    .uses_dynamic_stack: false
    .vgpr_count:     65
    .vgpr_spill_count: 0
    .wavefront_size: 64
  - .agpr_count:     0
    .args:
      - .offset:         0
        .size:           128
        .value_kind:     by_value
    .group_segment_fixed_size: 0
    .kernarg_segment_align: 8
    .kernarg_segment_size: 128
    .language:       OpenCL C
    .language_version:
      - 2
      - 0
    .max_flat_workgroup_size: 256
    .name:           _ZN7rocprim17ROCPRIM_400000_NS6detail17trampoline_kernelINS0_14default_configENS1_25partition_config_selectorILNS1_17partition_subalgoE1EsNS0_10empty_typeEbEEZZNS1_14partition_implILS5_1ELb0ES3_jN6thrust23THRUST_200600_302600_NS6detail15normal_iteratorINSA_10device_ptrIsEEEEPS6_NSA_18transform_iteratorINSA_8identityIsEESF_NSA_11use_defaultESK_EENS0_5tupleIJSF_SF_EEENSM_IJSG_SG_EEES6_PlJS6_EEE10hipError_tPvRmT3_T4_T5_T6_T7_T9_mT8_P12ihipStream_tbDpT10_ENKUlT_T0_E_clISt17integral_constantIbLb1EES18_IbLb0EEEEDaS14_S15_EUlS14_E_NS1_11comp_targetILNS1_3genE3ELNS1_11target_archE908ELNS1_3gpuE7ELNS1_3repE0EEENS1_30default_config_static_selectorELNS0_4arch9wavefront6targetE1EEEvT1_
    .private_segment_fixed_size: 0
    .sgpr_count:     4
    .sgpr_spill_count: 0
    .symbol:         _ZN7rocprim17ROCPRIM_400000_NS6detail17trampoline_kernelINS0_14default_configENS1_25partition_config_selectorILNS1_17partition_subalgoE1EsNS0_10empty_typeEbEEZZNS1_14partition_implILS5_1ELb0ES3_jN6thrust23THRUST_200600_302600_NS6detail15normal_iteratorINSA_10device_ptrIsEEEEPS6_NSA_18transform_iteratorINSA_8identityIsEESF_NSA_11use_defaultESK_EENS0_5tupleIJSF_SF_EEENSM_IJSG_SG_EEES6_PlJS6_EEE10hipError_tPvRmT3_T4_T5_T6_T7_T9_mT8_P12ihipStream_tbDpT10_ENKUlT_T0_E_clISt17integral_constantIbLb1EES18_IbLb0EEEEDaS14_S15_EUlS14_E_NS1_11comp_targetILNS1_3genE3ELNS1_11target_archE908ELNS1_3gpuE7ELNS1_3repE0EEENS1_30default_config_static_selectorELNS0_4arch9wavefront6targetE1EEEvT1_.kd
    .uniform_work_group_size: 1
    .uses_dynamic_stack: false
    .vgpr_count:     0
    .vgpr_spill_count: 0
    .wavefront_size: 64
  - .agpr_count:     0
    .args:
      - .offset:         0
        .size:           128
        .value_kind:     by_value
    .group_segment_fixed_size: 0
    .kernarg_segment_align: 8
    .kernarg_segment_size: 128
    .language:       OpenCL C
    .language_version:
      - 2
      - 0
    .max_flat_workgroup_size: 256
    .name:           _ZN7rocprim17ROCPRIM_400000_NS6detail17trampoline_kernelINS0_14default_configENS1_25partition_config_selectorILNS1_17partition_subalgoE1EsNS0_10empty_typeEbEEZZNS1_14partition_implILS5_1ELb0ES3_jN6thrust23THRUST_200600_302600_NS6detail15normal_iteratorINSA_10device_ptrIsEEEEPS6_NSA_18transform_iteratorINSA_8identityIsEESF_NSA_11use_defaultESK_EENS0_5tupleIJSF_SF_EEENSM_IJSG_SG_EEES6_PlJS6_EEE10hipError_tPvRmT3_T4_T5_T6_T7_T9_mT8_P12ihipStream_tbDpT10_ENKUlT_T0_E_clISt17integral_constantIbLb1EES18_IbLb0EEEEDaS14_S15_EUlS14_E_NS1_11comp_targetILNS1_3genE2ELNS1_11target_archE906ELNS1_3gpuE6ELNS1_3repE0EEENS1_30default_config_static_selectorELNS0_4arch9wavefront6targetE1EEEvT1_
    .private_segment_fixed_size: 0
    .sgpr_count:     4
    .sgpr_spill_count: 0
    .symbol:         _ZN7rocprim17ROCPRIM_400000_NS6detail17trampoline_kernelINS0_14default_configENS1_25partition_config_selectorILNS1_17partition_subalgoE1EsNS0_10empty_typeEbEEZZNS1_14partition_implILS5_1ELb0ES3_jN6thrust23THRUST_200600_302600_NS6detail15normal_iteratorINSA_10device_ptrIsEEEEPS6_NSA_18transform_iteratorINSA_8identityIsEESF_NSA_11use_defaultESK_EENS0_5tupleIJSF_SF_EEENSM_IJSG_SG_EEES6_PlJS6_EEE10hipError_tPvRmT3_T4_T5_T6_T7_T9_mT8_P12ihipStream_tbDpT10_ENKUlT_T0_E_clISt17integral_constantIbLb1EES18_IbLb0EEEEDaS14_S15_EUlS14_E_NS1_11comp_targetILNS1_3genE2ELNS1_11target_archE906ELNS1_3gpuE6ELNS1_3repE0EEENS1_30default_config_static_selectorELNS0_4arch9wavefront6targetE1EEEvT1_.kd
    .uniform_work_group_size: 1
    .uses_dynamic_stack: false
    .vgpr_count:     0
    .vgpr_spill_count: 0
    .wavefront_size: 64
  - .agpr_count:     0
    .args:
      - .offset:         0
        .size:           128
        .value_kind:     by_value
    .group_segment_fixed_size: 0
    .kernarg_segment_align: 8
    .kernarg_segment_size: 128
    .language:       OpenCL C
    .language_version:
      - 2
      - 0
    .max_flat_workgroup_size: 384
    .name:           _ZN7rocprim17ROCPRIM_400000_NS6detail17trampoline_kernelINS0_14default_configENS1_25partition_config_selectorILNS1_17partition_subalgoE1EsNS0_10empty_typeEbEEZZNS1_14partition_implILS5_1ELb0ES3_jN6thrust23THRUST_200600_302600_NS6detail15normal_iteratorINSA_10device_ptrIsEEEEPS6_NSA_18transform_iteratorINSA_8identityIsEESF_NSA_11use_defaultESK_EENS0_5tupleIJSF_SF_EEENSM_IJSG_SG_EEES6_PlJS6_EEE10hipError_tPvRmT3_T4_T5_T6_T7_T9_mT8_P12ihipStream_tbDpT10_ENKUlT_T0_E_clISt17integral_constantIbLb1EES18_IbLb0EEEEDaS14_S15_EUlS14_E_NS1_11comp_targetILNS1_3genE10ELNS1_11target_archE1200ELNS1_3gpuE4ELNS1_3repE0EEENS1_30default_config_static_selectorELNS0_4arch9wavefront6targetE1EEEvT1_
    .private_segment_fixed_size: 0
    .sgpr_count:     4
    .sgpr_spill_count: 0
    .symbol:         _ZN7rocprim17ROCPRIM_400000_NS6detail17trampoline_kernelINS0_14default_configENS1_25partition_config_selectorILNS1_17partition_subalgoE1EsNS0_10empty_typeEbEEZZNS1_14partition_implILS5_1ELb0ES3_jN6thrust23THRUST_200600_302600_NS6detail15normal_iteratorINSA_10device_ptrIsEEEEPS6_NSA_18transform_iteratorINSA_8identityIsEESF_NSA_11use_defaultESK_EENS0_5tupleIJSF_SF_EEENSM_IJSG_SG_EEES6_PlJS6_EEE10hipError_tPvRmT3_T4_T5_T6_T7_T9_mT8_P12ihipStream_tbDpT10_ENKUlT_T0_E_clISt17integral_constantIbLb1EES18_IbLb0EEEEDaS14_S15_EUlS14_E_NS1_11comp_targetILNS1_3genE10ELNS1_11target_archE1200ELNS1_3gpuE4ELNS1_3repE0EEENS1_30default_config_static_selectorELNS0_4arch9wavefront6targetE1EEEvT1_.kd
    .uniform_work_group_size: 1
    .uses_dynamic_stack: false
    .vgpr_count:     0
    .vgpr_spill_count: 0
    .wavefront_size: 64
  - .agpr_count:     0
    .args:
      - .offset:         0
        .size:           128
        .value_kind:     by_value
    .group_segment_fixed_size: 0
    .kernarg_segment_align: 8
    .kernarg_segment_size: 128
    .language:       OpenCL C
    .language_version:
      - 2
      - 0
    .max_flat_workgroup_size: 128
    .name:           _ZN7rocprim17ROCPRIM_400000_NS6detail17trampoline_kernelINS0_14default_configENS1_25partition_config_selectorILNS1_17partition_subalgoE1EsNS0_10empty_typeEbEEZZNS1_14partition_implILS5_1ELb0ES3_jN6thrust23THRUST_200600_302600_NS6detail15normal_iteratorINSA_10device_ptrIsEEEEPS6_NSA_18transform_iteratorINSA_8identityIsEESF_NSA_11use_defaultESK_EENS0_5tupleIJSF_SF_EEENSM_IJSG_SG_EEES6_PlJS6_EEE10hipError_tPvRmT3_T4_T5_T6_T7_T9_mT8_P12ihipStream_tbDpT10_ENKUlT_T0_E_clISt17integral_constantIbLb1EES18_IbLb0EEEEDaS14_S15_EUlS14_E_NS1_11comp_targetILNS1_3genE9ELNS1_11target_archE1100ELNS1_3gpuE3ELNS1_3repE0EEENS1_30default_config_static_selectorELNS0_4arch9wavefront6targetE1EEEvT1_
    .private_segment_fixed_size: 0
    .sgpr_count:     4
    .sgpr_spill_count: 0
    .symbol:         _ZN7rocprim17ROCPRIM_400000_NS6detail17trampoline_kernelINS0_14default_configENS1_25partition_config_selectorILNS1_17partition_subalgoE1EsNS0_10empty_typeEbEEZZNS1_14partition_implILS5_1ELb0ES3_jN6thrust23THRUST_200600_302600_NS6detail15normal_iteratorINSA_10device_ptrIsEEEEPS6_NSA_18transform_iteratorINSA_8identityIsEESF_NSA_11use_defaultESK_EENS0_5tupleIJSF_SF_EEENSM_IJSG_SG_EEES6_PlJS6_EEE10hipError_tPvRmT3_T4_T5_T6_T7_T9_mT8_P12ihipStream_tbDpT10_ENKUlT_T0_E_clISt17integral_constantIbLb1EES18_IbLb0EEEEDaS14_S15_EUlS14_E_NS1_11comp_targetILNS1_3genE9ELNS1_11target_archE1100ELNS1_3gpuE3ELNS1_3repE0EEENS1_30default_config_static_selectorELNS0_4arch9wavefront6targetE1EEEvT1_.kd
    .uniform_work_group_size: 1
    .uses_dynamic_stack: false
    .vgpr_count:     0
    .vgpr_spill_count: 0
    .wavefront_size: 64
  - .agpr_count:     0
    .args:
      - .offset:         0
        .size:           128
        .value_kind:     by_value
    .group_segment_fixed_size: 0
    .kernarg_segment_align: 8
    .kernarg_segment_size: 128
    .language:       OpenCL C
    .language_version:
      - 2
      - 0
    .max_flat_workgroup_size: 512
    .name:           _ZN7rocprim17ROCPRIM_400000_NS6detail17trampoline_kernelINS0_14default_configENS1_25partition_config_selectorILNS1_17partition_subalgoE1EsNS0_10empty_typeEbEEZZNS1_14partition_implILS5_1ELb0ES3_jN6thrust23THRUST_200600_302600_NS6detail15normal_iteratorINSA_10device_ptrIsEEEEPS6_NSA_18transform_iteratorINSA_8identityIsEESF_NSA_11use_defaultESK_EENS0_5tupleIJSF_SF_EEENSM_IJSG_SG_EEES6_PlJS6_EEE10hipError_tPvRmT3_T4_T5_T6_T7_T9_mT8_P12ihipStream_tbDpT10_ENKUlT_T0_E_clISt17integral_constantIbLb1EES18_IbLb0EEEEDaS14_S15_EUlS14_E_NS1_11comp_targetILNS1_3genE8ELNS1_11target_archE1030ELNS1_3gpuE2ELNS1_3repE0EEENS1_30default_config_static_selectorELNS0_4arch9wavefront6targetE1EEEvT1_
    .private_segment_fixed_size: 0
    .sgpr_count:     4
    .sgpr_spill_count: 0
    .symbol:         _ZN7rocprim17ROCPRIM_400000_NS6detail17trampoline_kernelINS0_14default_configENS1_25partition_config_selectorILNS1_17partition_subalgoE1EsNS0_10empty_typeEbEEZZNS1_14partition_implILS5_1ELb0ES3_jN6thrust23THRUST_200600_302600_NS6detail15normal_iteratorINSA_10device_ptrIsEEEEPS6_NSA_18transform_iteratorINSA_8identityIsEESF_NSA_11use_defaultESK_EENS0_5tupleIJSF_SF_EEENSM_IJSG_SG_EEES6_PlJS6_EEE10hipError_tPvRmT3_T4_T5_T6_T7_T9_mT8_P12ihipStream_tbDpT10_ENKUlT_T0_E_clISt17integral_constantIbLb1EES18_IbLb0EEEEDaS14_S15_EUlS14_E_NS1_11comp_targetILNS1_3genE8ELNS1_11target_archE1030ELNS1_3gpuE2ELNS1_3repE0EEENS1_30default_config_static_selectorELNS0_4arch9wavefront6targetE1EEEvT1_.kd
    .uniform_work_group_size: 1
    .uses_dynamic_stack: false
    .vgpr_count:     0
    .vgpr_spill_count: 0
    .wavefront_size: 64
  - .agpr_count:     0
    .args:
      - .offset:         0
        .size:           144
        .value_kind:     by_value
    .group_segment_fixed_size: 0
    .kernarg_segment_align: 8
    .kernarg_segment_size: 144
    .language:       OpenCL C
    .language_version:
      - 2
      - 0
    .max_flat_workgroup_size: 256
    .name:           _ZN7rocprim17ROCPRIM_400000_NS6detail17trampoline_kernelINS0_14default_configENS1_25partition_config_selectorILNS1_17partition_subalgoE1EsNS0_10empty_typeEbEEZZNS1_14partition_implILS5_1ELb0ES3_jN6thrust23THRUST_200600_302600_NS6detail15normal_iteratorINSA_10device_ptrIsEEEEPS6_NSA_18transform_iteratorINSA_8identityIsEESF_NSA_11use_defaultESK_EENS0_5tupleIJSF_SF_EEENSM_IJSG_SG_EEES6_PlJS6_EEE10hipError_tPvRmT3_T4_T5_T6_T7_T9_mT8_P12ihipStream_tbDpT10_ENKUlT_T0_E_clISt17integral_constantIbLb0EES18_IbLb1EEEEDaS14_S15_EUlS14_E_NS1_11comp_targetILNS1_3genE0ELNS1_11target_archE4294967295ELNS1_3gpuE0ELNS1_3repE0EEENS1_30default_config_static_selectorELNS0_4arch9wavefront6targetE1EEEvT1_
    .private_segment_fixed_size: 0
    .sgpr_count:     4
    .sgpr_spill_count: 0
    .symbol:         _ZN7rocprim17ROCPRIM_400000_NS6detail17trampoline_kernelINS0_14default_configENS1_25partition_config_selectorILNS1_17partition_subalgoE1EsNS0_10empty_typeEbEEZZNS1_14partition_implILS5_1ELb0ES3_jN6thrust23THRUST_200600_302600_NS6detail15normal_iteratorINSA_10device_ptrIsEEEEPS6_NSA_18transform_iteratorINSA_8identityIsEESF_NSA_11use_defaultESK_EENS0_5tupleIJSF_SF_EEENSM_IJSG_SG_EEES6_PlJS6_EEE10hipError_tPvRmT3_T4_T5_T6_T7_T9_mT8_P12ihipStream_tbDpT10_ENKUlT_T0_E_clISt17integral_constantIbLb0EES18_IbLb1EEEEDaS14_S15_EUlS14_E_NS1_11comp_targetILNS1_3genE0ELNS1_11target_archE4294967295ELNS1_3gpuE0ELNS1_3repE0EEENS1_30default_config_static_selectorELNS0_4arch9wavefront6targetE1EEEvT1_.kd
    .uniform_work_group_size: 1
    .uses_dynamic_stack: false
    .vgpr_count:     0
    .vgpr_spill_count: 0
    .wavefront_size: 64
  - .agpr_count:     0
    .args:
      - .offset:         0
        .size:           144
        .value_kind:     by_value
    .group_segment_fixed_size: 0
    .kernarg_segment_align: 8
    .kernarg_segment_size: 144
    .language:       OpenCL C
    .language_version:
      - 2
      - 0
    .max_flat_workgroup_size: 512
    .name:           _ZN7rocprim17ROCPRIM_400000_NS6detail17trampoline_kernelINS0_14default_configENS1_25partition_config_selectorILNS1_17partition_subalgoE1EsNS0_10empty_typeEbEEZZNS1_14partition_implILS5_1ELb0ES3_jN6thrust23THRUST_200600_302600_NS6detail15normal_iteratorINSA_10device_ptrIsEEEEPS6_NSA_18transform_iteratorINSA_8identityIsEESF_NSA_11use_defaultESK_EENS0_5tupleIJSF_SF_EEENSM_IJSG_SG_EEES6_PlJS6_EEE10hipError_tPvRmT3_T4_T5_T6_T7_T9_mT8_P12ihipStream_tbDpT10_ENKUlT_T0_E_clISt17integral_constantIbLb0EES18_IbLb1EEEEDaS14_S15_EUlS14_E_NS1_11comp_targetILNS1_3genE5ELNS1_11target_archE942ELNS1_3gpuE9ELNS1_3repE0EEENS1_30default_config_static_selectorELNS0_4arch9wavefront6targetE1EEEvT1_
    .private_segment_fixed_size: 0
    .sgpr_count:     4
    .sgpr_spill_count: 0
    .symbol:         _ZN7rocprim17ROCPRIM_400000_NS6detail17trampoline_kernelINS0_14default_configENS1_25partition_config_selectorILNS1_17partition_subalgoE1EsNS0_10empty_typeEbEEZZNS1_14partition_implILS5_1ELb0ES3_jN6thrust23THRUST_200600_302600_NS6detail15normal_iteratorINSA_10device_ptrIsEEEEPS6_NSA_18transform_iteratorINSA_8identityIsEESF_NSA_11use_defaultESK_EENS0_5tupleIJSF_SF_EEENSM_IJSG_SG_EEES6_PlJS6_EEE10hipError_tPvRmT3_T4_T5_T6_T7_T9_mT8_P12ihipStream_tbDpT10_ENKUlT_T0_E_clISt17integral_constantIbLb0EES18_IbLb1EEEEDaS14_S15_EUlS14_E_NS1_11comp_targetILNS1_3genE5ELNS1_11target_archE942ELNS1_3gpuE9ELNS1_3repE0EEENS1_30default_config_static_selectorELNS0_4arch9wavefront6targetE1EEEvT1_.kd
    .uniform_work_group_size: 1
    .uses_dynamic_stack: false
    .vgpr_count:     0
    .vgpr_spill_count: 0
    .wavefront_size: 64
  - .agpr_count:     0
    .args:
      - .offset:         0
        .size:           144
        .value_kind:     by_value
    .group_segment_fixed_size: 10248
    .kernarg_segment_align: 8
    .kernarg_segment_size: 144
    .language:       OpenCL C
    .language_version:
      - 2
      - 0
    .max_flat_workgroup_size: 256
    .name:           _ZN7rocprim17ROCPRIM_400000_NS6detail17trampoline_kernelINS0_14default_configENS1_25partition_config_selectorILNS1_17partition_subalgoE1EsNS0_10empty_typeEbEEZZNS1_14partition_implILS5_1ELb0ES3_jN6thrust23THRUST_200600_302600_NS6detail15normal_iteratorINSA_10device_ptrIsEEEEPS6_NSA_18transform_iteratorINSA_8identityIsEESF_NSA_11use_defaultESK_EENS0_5tupleIJSF_SF_EEENSM_IJSG_SG_EEES6_PlJS6_EEE10hipError_tPvRmT3_T4_T5_T6_T7_T9_mT8_P12ihipStream_tbDpT10_ENKUlT_T0_E_clISt17integral_constantIbLb0EES18_IbLb1EEEEDaS14_S15_EUlS14_E_NS1_11comp_targetILNS1_3genE4ELNS1_11target_archE910ELNS1_3gpuE8ELNS1_3repE0EEENS1_30default_config_static_selectorELNS0_4arch9wavefront6targetE1EEEvT1_
    .private_segment_fixed_size: 0
    .sgpr_count:     48
    .sgpr_spill_count: 0
    .symbol:         _ZN7rocprim17ROCPRIM_400000_NS6detail17trampoline_kernelINS0_14default_configENS1_25partition_config_selectorILNS1_17partition_subalgoE1EsNS0_10empty_typeEbEEZZNS1_14partition_implILS5_1ELb0ES3_jN6thrust23THRUST_200600_302600_NS6detail15normal_iteratorINSA_10device_ptrIsEEEEPS6_NSA_18transform_iteratorINSA_8identityIsEESF_NSA_11use_defaultESK_EENS0_5tupleIJSF_SF_EEENSM_IJSG_SG_EEES6_PlJS6_EEE10hipError_tPvRmT3_T4_T5_T6_T7_T9_mT8_P12ihipStream_tbDpT10_ENKUlT_T0_E_clISt17integral_constantIbLb0EES18_IbLb1EEEEDaS14_S15_EUlS14_E_NS1_11comp_targetILNS1_3genE4ELNS1_11target_archE910ELNS1_3gpuE8ELNS1_3repE0EEENS1_30default_config_static_selectorELNS0_4arch9wavefront6targetE1EEEvT1_.kd
    .uniform_work_group_size: 1
    .uses_dynamic_stack: false
    .vgpr_count:     69
    .vgpr_spill_count: 0
    .wavefront_size: 64
  - .agpr_count:     0
    .args:
      - .offset:         0
        .size:           144
        .value_kind:     by_value
    .group_segment_fixed_size: 0
    .kernarg_segment_align: 8
    .kernarg_segment_size: 144
    .language:       OpenCL C
    .language_version:
      - 2
      - 0
    .max_flat_workgroup_size: 256
    .name:           _ZN7rocprim17ROCPRIM_400000_NS6detail17trampoline_kernelINS0_14default_configENS1_25partition_config_selectorILNS1_17partition_subalgoE1EsNS0_10empty_typeEbEEZZNS1_14partition_implILS5_1ELb0ES3_jN6thrust23THRUST_200600_302600_NS6detail15normal_iteratorINSA_10device_ptrIsEEEEPS6_NSA_18transform_iteratorINSA_8identityIsEESF_NSA_11use_defaultESK_EENS0_5tupleIJSF_SF_EEENSM_IJSG_SG_EEES6_PlJS6_EEE10hipError_tPvRmT3_T4_T5_T6_T7_T9_mT8_P12ihipStream_tbDpT10_ENKUlT_T0_E_clISt17integral_constantIbLb0EES18_IbLb1EEEEDaS14_S15_EUlS14_E_NS1_11comp_targetILNS1_3genE3ELNS1_11target_archE908ELNS1_3gpuE7ELNS1_3repE0EEENS1_30default_config_static_selectorELNS0_4arch9wavefront6targetE1EEEvT1_
    .private_segment_fixed_size: 0
    .sgpr_count:     4
    .sgpr_spill_count: 0
    .symbol:         _ZN7rocprim17ROCPRIM_400000_NS6detail17trampoline_kernelINS0_14default_configENS1_25partition_config_selectorILNS1_17partition_subalgoE1EsNS0_10empty_typeEbEEZZNS1_14partition_implILS5_1ELb0ES3_jN6thrust23THRUST_200600_302600_NS6detail15normal_iteratorINSA_10device_ptrIsEEEEPS6_NSA_18transform_iteratorINSA_8identityIsEESF_NSA_11use_defaultESK_EENS0_5tupleIJSF_SF_EEENSM_IJSG_SG_EEES6_PlJS6_EEE10hipError_tPvRmT3_T4_T5_T6_T7_T9_mT8_P12ihipStream_tbDpT10_ENKUlT_T0_E_clISt17integral_constantIbLb0EES18_IbLb1EEEEDaS14_S15_EUlS14_E_NS1_11comp_targetILNS1_3genE3ELNS1_11target_archE908ELNS1_3gpuE7ELNS1_3repE0EEENS1_30default_config_static_selectorELNS0_4arch9wavefront6targetE1EEEvT1_.kd
    .uniform_work_group_size: 1
    .uses_dynamic_stack: false
    .vgpr_count:     0
    .vgpr_spill_count: 0
    .wavefront_size: 64
  - .agpr_count:     0
    .args:
      - .offset:         0
        .size:           144
        .value_kind:     by_value
    .group_segment_fixed_size: 0
    .kernarg_segment_align: 8
    .kernarg_segment_size: 144
    .language:       OpenCL C
    .language_version:
      - 2
      - 0
    .max_flat_workgroup_size: 256
    .name:           _ZN7rocprim17ROCPRIM_400000_NS6detail17trampoline_kernelINS0_14default_configENS1_25partition_config_selectorILNS1_17partition_subalgoE1EsNS0_10empty_typeEbEEZZNS1_14partition_implILS5_1ELb0ES3_jN6thrust23THRUST_200600_302600_NS6detail15normal_iteratorINSA_10device_ptrIsEEEEPS6_NSA_18transform_iteratorINSA_8identityIsEESF_NSA_11use_defaultESK_EENS0_5tupleIJSF_SF_EEENSM_IJSG_SG_EEES6_PlJS6_EEE10hipError_tPvRmT3_T4_T5_T6_T7_T9_mT8_P12ihipStream_tbDpT10_ENKUlT_T0_E_clISt17integral_constantIbLb0EES18_IbLb1EEEEDaS14_S15_EUlS14_E_NS1_11comp_targetILNS1_3genE2ELNS1_11target_archE906ELNS1_3gpuE6ELNS1_3repE0EEENS1_30default_config_static_selectorELNS0_4arch9wavefront6targetE1EEEvT1_
    .private_segment_fixed_size: 0
    .sgpr_count:     4
    .sgpr_spill_count: 0
    .symbol:         _ZN7rocprim17ROCPRIM_400000_NS6detail17trampoline_kernelINS0_14default_configENS1_25partition_config_selectorILNS1_17partition_subalgoE1EsNS0_10empty_typeEbEEZZNS1_14partition_implILS5_1ELb0ES3_jN6thrust23THRUST_200600_302600_NS6detail15normal_iteratorINSA_10device_ptrIsEEEEPS6_NSA_18transform_iteratorINSA_8identityIsEESF_NSA_11use_defaultESK_EENS0_5tupleIJSF_SF_EEENSM_IJSG_SG_EEES6_PlJS6_EEE10hipError_tPvRmT3_T4_T5_T6_T7_T9_mT8_P12ihipStream_tbDpT10_ENKUlT_T0_E_clISt17integral_constantIbLb0EES18_IbLb1EEEEDaS14_S15_EUlS14_E_NS1_11comp_targetILNS1_3genE2ELNS1_11target_archE906ELNS1_3gpuE6ELNS1_3repE0EEENS1_30default_config_static_selectorELNS0_4arch9wavefront6targetE1EEEvT1_.kd
    .uniform_work_group_size: 1
    .uses_dynamic_stack: false
    .vgpr_count:     0
    .vgpr_spill_count: 0
    .wavefront_size: 64
  - .agpr_count:     0
    .args:
      - .offset:         0
        .size:           144
        .value_kind:     by_value
    .group_segment_fixed_size: 0
    .kernarg_segment_align: 8
    .kernarg_segment_size: 144
    .language:       OpenCL C
    .language_version:
      - 2
      - 0
    .max_flat_workgroup_size: 384
    .name:           _ZN7rocprim17ROCPRIM_400000_NS6detail17trampoline_kernelINS0_14default_configENS1_25partition_config_selectorILNS1_17partition_subalgoE1EsNS0_10empty_typeEbEEZZNS1_14partition_implILS5_1ELb0ES3_jN6thrust23THRUST_200600_302600_NS6detail15normal_iteratorINSA_10device_ptrIsEEEEPS6_NSA_18transform_iteratorINSA_8identityIsEESF_NSA_11use_defaultESK_EENS0_5tupleIJSF_SF_EEENSM_IJSG_SG_EEES6_PlJS6_EEE10hipError_tPvRmT3_T4_T5_T6_T7_T9_mT8_P12ihipStream_tbDpT10_ENKUlT_T0_E_clISt17integral_constantIbLb0EES18_IbLb1EEEEDaS14_S15_EUlS14_E_NS1_11comp_targetILNS1_3genE10ELNS1_11target_archE1200ELNS1_3gpuE4ELNS1_3repE0EEENS1_30default_config_static_selectorELNS0_4arch9wavefront6targetE1EEEvT1_
    .private_segment_fixed_size: 0
    .sgpr_count:     4
    .sgpr_spill_count: 0
    .symbol:         _ZN7rocprim17ROCPRIM_400000_NS6detail17trampoline_kernelINS0_14default_configENS1_25partition_config_selectorILNS1_17partition_subalgoE1EsNS0_10empty_typeEbEEZZNS1_14partition_implILS5_1ELb0ES3_jN6thrust23THRUST_200600_302600_NS6detail15normal_iteratorINSA_10device_ptrIsEEEEPS6_NSA_18transform_iteratorINSA_8identityIsEESF_NSA_11use_defaultESK_EENS0_5tupleIJSF_SF_EEENSM_IJSG_SG_EEES6_PlJS6_EEE10hipError_tPvRmT3_T4_T5_T6_T7_T9_mT8_P12ihipStream_tbDpT10_ENKUlT_T0_E_clISt17integral_constantIbLb0EES18_IbLb1EEEEDaS14_S15_EUlS14_E_NS1_11comp_targetILNS1_3genE10ELNS1_11target_archE1200ELNS1_3gpuE4ELNS1_3repE0EEENS1_30default_config_static_selectorELNS0_4arch9wavefront6targetE1EEEvT1_.kd
    .uniform_work_group_size: 1
    .uses_dynamic_stack: false
    .vgpr_count:     0
    .vgpr_spill_count: 0
    .wavefront_size: 64
  - .agpr_count:     0
    .args:
      - .offset:         0
        .size:           144
        .value_kind:     by_value
    .group_segment_fixed_size: 0
    .kernarg_segment_align: 8
    .kernarg_segment_size: 144
    .language:       OpenCL C
    .language_version:
      - 2
      - 0
    .max_flat_workgroup_size: 128
    .name:           _ZN7rocprim17ROCPRIM_400000_NS6detail17trampoline_kernelINS0_14default_configENS1_25partition_config_selectorILNS1_17partition_subalgoE1EsNS0_10empty_typeEbEEZZNS1_14partition_implILS5_1ELb0ES3_jN6thrust23THRUST_200600_302600_NS6detail15normal_iteratorINSA_10device_ptrIsEEEEPS6_NSA_18transform_iteratorINSA_8identityIsEESF_NSA_11use_defaultESK_EENS0_5tupleIJSF_SF_EEENSM_IJSG_SG_EEES6_PlJS6_EEE10hipError_tPvRmT3_T4_T5_T6_T7_T9_mT8_P12ihipStream_tbDpT10_ENKUlT_T0_E_clISt17integral_constantIbLb0EES18_IbLb1EEEEDaS14_S15_EUlS14_E_NS1_11comp_targetILNS1_3genE9ELNS1_11target_archE1100ELNS1_3gpuE3ELNS1_3repE0EEENS1_30default_config_static_selectorELNS0_4arch9wavefront6targetE1EEEvT1_
    .private_segment_fixed_size: 0
    .sgpr_count:     4
    .sgpr_spill_count: 0
    .symbol:         _ZN7rocprim17ROCPRIM_400000_NS6detail17trampoline_kernelINS0_14default_configENS1_25partition_config_selectorILNS1_17partition_subalgoE1EsNS0_10empty_typeEbEEZZNS1_14partition_implILS5_1ELb0ES3_jN6thrust23THRUST_200600_302600_NS6detail15normal_iteratorINSA_10device_ptrIsEEEEPS6_NSA_18transform_iteratorINSA_8identityIsEESF_NSA_11use_defaultESK_EENS0_5tupleIJSF_SF_EEENSM_IJSG_SG_EEES6_PlJS6_EEE10hipError_tPvRmT3_T4_T5_T6_T7_T9_mT8_P12ihipStream_tbDpT10_ENKUlT_T0_E_clISt17integral_constantIbLb0EES18_IbLb1EEEEDaS14_S15_EUlS14_E_NS1_11comp_targetILNS1_3genE9ELNS1_11target_archE1100ELNS1_3gpuE3ELNS1_3repE0EEENS1_30default_config_static_selectorELNS0_4arch9wavefront6targetE1EEEvT1_.kd
    .uniform_work_group_size: 1
    .uses_dynamic_stack: false
    .vgpr_count:     0
    .vgpr_spill_count: 0
    .wavefront_size: 64
  - .agpr_count:     0
    .args:
      - .offset:         0
        .size:           144
        .value_kind:     by_value
    .group_segment_fixed_size: 0
    .kernarg_segment_align: 8
    .kernarg_segment_size: 144
    .language:       OpenCL C
    .language_version:
      - 2
      - 0
    .max_flat_workgroup_size: 512
    .name:           _ZN7rocprim17ROCPRIM_400000_NS6detail17trampoline_kernelINS0_14default_configENS1_25partition_config_selectorILNS1_17partition_subalgoE1EsNS0_10empty_typeEbEEZZNS1_14partition_implILS5_1ELb0ES3_jN6thrust23THRUST_200600_302600_NS6detail15normal_iteratorINSA_10device_ptrIsEEEEPS6_NSA_18transform_iteratorINSA_8identityIsEESF_NSA_11use_defaultESK_EENS0_5tupleIJSF_SF_EEENSM_IJSG_SG_EEES6_PlJS6_EEE10hipError_tPvRmT3_T4_T5_T6_T7_T9_mT8_P12ihipStream_tbDpT10_ENKUlT_T0_E_clISt17integral_constantIbLb0EES18_IbLb1EEEEDaS14_S15_EUlS14_E_NS1_11comp_targetILNS1_3genE8ELNS1_11target_archE1030ELNS1_3gpuE2ELNS1_3repE0EEENS1_30default_config_static_selectorELNS0_4arch9wavefront6targetE1EEEvT1_
    .private_segment_fixed_size: 0
    .sgpr_count:     4
    .sgpr_spill_count: 0
    .symbol:         _ZN7rocprim17ROCPRIM_400000_NS6detail17trampoline_kernelINS0_14default_configENS1_25partition_config_selectorILNS1_17partition_subalgoE1EsNS0_10empty_typeEbEEZZNS1_14partition_implILS5_1ELb0ES3_jN6thrust23THRUST_200600_302600_NS6detail15normal_iteratorINSA_10device_ptrIsEEEEPS6_NSA_18transform_iteratorINSA_8identityIsEESF_NSA_11use_defaultESK_EENS0_5tupleIJSF_SF_EEENSM_IJSG_SG_EEES6_PlJS6_EEE10hipError_tPvRmT3_T4_T5_T6_T7_T9_mT8_P12ihipStream_tbDpT10_ENKUlT_T0_E_clISt17integral_constantIbLb0EES18_IbLb1EEEEDaS14_S15_EUlS14_E_NS1_11comp_targetILNS1_3genE8ELNS1_11target_archE1030ELNS1_3gpuE2ELNS1_3repE0EEENS1_30default_config_static_selectorELNS0_4arch9wavefront6targetE1EEEvT1_.kd
    .uniform_work_group_size: 1
    .uses_dynamic_stack: false
    .vgpr_count:     0
    .vgpr_spill_count: 0
    .wavefront_size: 64
  - .agpr_count:     0
    .args:
      - .offset:         0
        .size:           16
        .value_kind:     by_value
      - .offset:         16
        .size:           8
        .value_kind:     by_value
      - .offset:         24
        .size:           8
        .value_kind:     by_value
    .group_segment_fixed_size: 0
    .kernarg_segment_align: 8
    .kernarg_segment_size: 32
    .language:       OpenCL C
    .language_version:
      - 2
      - 0
    .max_flat_workgroup_size: 256
    .name:           _ZN6thrust23THRUST_200600_302600_NS11hip_rocprim14__parallel_for6kernelILj256ENS1_20__uninitialized_copy7functorINS0_6detail15normal_iteratorINS0_10device_ptrIyEEEENS7_INS0_7pointerIyNS1_3tagENS0_11use_defaultESD_EEEEEElLj1EEEvT0_T1_SI_
    .private_segment_fixed_size: 0
    .sgpr_count:     20
    .sgpr_spill_count: 0
    .symbol:         _ZN6thrust23THRUST_200600_302600_NS11hip_rocprim14__parallel_for6kernelILj256ENS1_20__uninitialized_copy7functorINS0_6detail15normal_iteratorINS0_10device_ptrIyEEEENS7_INS0_7pointerIyNS1_3tagENS0_11use_defaultESD_EEEEEElLj1EEEvT0_T1_SI_.kd
    .uniform_work_group_size: 1
    .uses_dynamic_stack: false
    .vgpr_count:     6
    .vgpr_spill_count: 0
    .wavefront_size: 64
  - .agpr_count:     0
    .args:
      - .offset:         0
        .size:           120
        .value_kind:     by_value
    .group_segment_fixed_size: 0
    .kernarg_segment_align: 8
    .kernarg_segment_size: 120
    .language:       OpenCL C
    .language_version:
      - 2
      - 0
    .max_flat_workgroup_size: 192
    .name:           _ZN7rocprim17ROCPRIM_400000_NS6detail17trampoline_kernelINS0_14default_configENS1_25partition_config_selectorILNS1_17partition_subalgoE3EyNS0_10empty_typeEbEEZZNS1_14partition_implILS5_3ELb0ES3_jN6thrust23THRUST_200600_302600_NS6detail15normal_iteratorINSA_7pointerIyNSA_11hip_rocprim3tagENSA_11use_defaultESG_EEEEPS6_SJ_NS0_5tupleIJPySJ_EEENSK_IJSJ_SJ_EEES6_PlJ7is_evenIyEEEE10hipError_tPvRmT3_T4_T5_T6_T7_T9_mT8_P12ihipStream_tbDpT10_ENKUlT_T0_E_clISt17integral_constantIbLb0EES1A_EEDaS15_S16_EUlS15_E_NS1_11comp_targetILNS1_3genE0ELNS1_11target_archE4294967295ELNS1_3gpuE0ELNS1_3repE0EEENS1_30default_config_static_selectorELNS0_4arch9wavefront6targetE1EEEvT1_
    .private_segment_fixed_size: 0
    .sgpr_count:     4
    .sgpr_spill_count: 0
    .symbol:         _ZN7rocprim17ROCPRIM_400000_NS6detail17trampoline_kernelINS0_14default_configENS1_25partition_config_selectorILNS1_17partition_subalgoE3EyNS0_10empty_typeEbEEZZNS1_14partition_implILS5_3ELb0ES3_jN6thrust23THRUST_200600_302600_NS6detail15normal_iteratorINSA_7pointerIyNSA_11hip_rocprim3tagENSA_11use_defaultESG_EEEEPS6_SJ_NS0_5tupleIJPySJ_EEENSK_IJSJ_SJ_EEES6_PlJ7is_evenIyEEEE10hipError_tPvRmT3_T4_T5_T6_T7_T9_mT8_P12ihipStream_tbDpT10_ENKUlT_T0_E_clISt17integral_constantIbLb0EES1A_EEDaS15_S16_EUlS15_E_NS1_11comp_targetILNS1_3genE0ELNS1_11target_archE4294967295ELNS1_3gpuE0ELNS1_3repE0EEENS1_30default_config_static_selectorELNS0_4arch9wavefront6targetE1EEEvT1_.kd
    .uniform_work_group_size: 1
    .uses_dynamic_stack: false
    .vgpr_count:     0
    .vgpr_spill_count: 0
    .wavefront_size: 64
  - .agpr_count:     0
    .args:
      - .offset:         0
        .size:           120
        .value_kind:     by_value
    .group_segment_fixed_size: 0
    .kernarg_segment_align: 8
    .kernarg_segment_size: 120
    .language:       OpenCL C
    .language_version:
      - 2
      - 0
    .max_flat_workgroup_size: 512
    .name:           _ZN7rocprim17ROCPRIM_400000_NS6detail17trampoline_kernelINS0_14default_configENS1_25partition_config_selectorILNS1_17partition_subalgoE3EyNS0_10empty_typeEbEEZZNS1_14partition_implILS5_3ELb0ES3_jN6thrust23THRUST_200600_302600_NS6detail15normal_iteratorINSA_7pointerIyNSA_11hip_rocprim3tagENSA_11use_defaultESG_EEEEPS6_SJ_NS0_5tupleIJPySJ_EEENSK_IJSJ_SJ_EEES6_PlJ7is_evenIyEEEE10hipError_tPvRmT3_T4_T5_T6_T7_T9_mT8_P12ihipStream_tbDpT10_ENKUlT_T0_E_clISt17integral_constantIbLb0EES1A_EEDaS15_S16_EUlS15_E_NS1_11comp_targetILNS1_3genE5ELNS1_11target_archE942ELNS1_3gpuE9ELNS1_3repE0EEENS1_30default_config_static_selectorELNS0_4arch9wavefront6targetE1EEEvT1_
    .private_segment_fixed_size: 0
    .sgpr_count:     4
    .sgpr_spill_count: 0
    .symbol:         _ZN7rocprim17ROCPRIM_400000_NS6detail17trampoline_kernelINS0_14default_configENS1_25partition_config_selectorILNS1_17partition_subalgoE3EyNS0_10empty_typeEbEEZZNS1_14partition_implILS5_3ELb0ES3_jN6thrust23THRUST_200600_302600_NS6detail15normal_iteratorINSA_7pointerIyNSA_11hip_rocprim3tagENSA_11use_defaultESG_EEEEPS6_SJ_NS0_5tupleIJPySJ_EEENSK_IJSJ_SJ_EEES6_PlJ7is_evenIyEEEE10hipError_tPvRmT3_T4_T5_T6_T7_T9_mT8_P12ihipStream_tbDpT10_ENKUlT_T0_E_clISt17integral_constantIbLb0EES1A_EEDaS15_S16_EUlS15_E_NS1_11comp_targetILNS1_3genE5ELNS1_11target_archE942ELNS1_3gpuE9ELNS1_3repE0EEENS1_30default_config_static_selectorELNS0_4arch9wavefront6targetE1EEEvT1_.kd
    .uniform_work_group_size: 1
    .uses_dynamic_stack: false
    .vgpr_count:     0
    .vgpr_spill_count: 0
    .wavefront_size: 64
  - .agpr_count:     0
    .args:
      - .offset:         0
        .size:           120
        .value_kind:     by_value
    .group_segment_fixed_size: 6344
    .kernarg_segment_align: 8
    .kernarg_segment_size: 120
    .language:       OpenCL C
    .language_version:
      - 2
      - 0
    .max_flat_workgroup_size: 192
    .name:           _ZN7rocprim17ROCPRIM_400000_NS6detail17trampoline_kernelINS0_14default_configENS1_25partition_config_selectorILNS1_17partition_subalgoE3EyNS0_10empty_typeEbEEZZNS1_14partition_implILS5_3ELb0ES3_jN6thrust23THRUST_200600_302600_NS6detail15normal_iteratorINSA_7pointerIyNSA_11hip_rocprim3tagENSA_11use_defaultESG_EEEEPS6_SJ_NS0_5tupleIJPySJ_EEENSK_IJSJ_SJ_EEES6_PlJ7is_evenIyEEEE10hipError_tPvRmT3_T4_T5_T6_T7_T9_mT8_P12ihipStream_tbDpT10_ENKUlT_T0_E_clISt17integral_constantIbLb0EES1A_EEDaS15_S16_EUlS15_E_NS1_11comp_targetILNS1_3genE4ELNS1_11target_archE910ELNS1_3gpuE8ELNS1_3repE0EEENS1_30default_config_static_selectorELNS0_4arch9wavefront6targetE1EEEvT1_
    .private_segment_fixed_size: 0
    .sgpr_count:     50
    .sgpr_spill_count: 0
    .symbol:         _ZN7rocprim17ROCPRIM_400000_NS6detail17trampoline_kernelINS0_14default_configENS1_25partition_config_selectorILNS1_17partition_subalgoE3EyNS0_10empty_typeEbEEZZNS1_14partition_implILS5_3ELb0ES3_jN6thrust23THRUST_200600_302600_NS6detail15normal_iteratorINSA_7pointerIyNSA_11hip_rocprim3tagENSA_11use_defaultESG_EEEEPS6_SJ_NS0_5tupleIJPySJ_EEENSK_IJSJ_SJ_EEES6_PlJ7is_evenIyEEEE10hipError_tPvRmT3_T4_T5_T6_T7_T9_mT8_P12ihipStream_tbDpT10_ENKUlT_T0_E_clISt17integral_constantIbLb0EES1A_EEDaS15_S16_EUlS15_E_NS1_11comp_targetILNS1_3genE4ELNS1_11target_archE910ELNS1_3gpuE8ELNS1_3repE0EEENS1_30default_config_static_selectorELNS0_4arch9wavefront6targetE1EEEvT1_.kd
    .uniform_work_group_size: 1
    .uses_dynamic_stack: false
    .vgpr_count:     43
    .vgpr_spill_count: 0
    .wavefront_size: 64
  - .agpr_count:     0
    .args:
      - .offset:         0
        .size:           120
        .value_kind:     by_value
    .group_segment_fixed_size: 0
    .kernarg_segment_align: 8
    .kernarg_segment_size: 120
    .language:       OpenCL C
    .language_version:
      - 2
      - 0
    .max_flat_workgroup_size: 192
    .name:           _ZN7rocprim17ROCPRIM_400000_NS6detail17trampoline_kernelINS0_14default_configENS1_25partition_config_selectorILNS1_17partition_subalgoE3EyNS0_10empty_typeEbEEZZNS1_14partition_implILS5_3ELb0ES3_jN6thrust23THRUST_200600_302600_NS6detail15normal_iteratorINSA_7pointerIyNSA_11hip_rocprim3tagENSA_11use_defaultESG_EEEEPS6_SJ_NS0_5tupleIJPySJ_EEENSK_IJSJ_SJ_EEES6_PlJ7is_evenIyEEEE10hipError_tPvRmT3_T4_T5_T6_T7_T9_mT8_P12ihipStream_tbDpT10_ENKUlT_T0_E_clISt17integral_constantIbLb0EES1A_EEDaS15_S16_EUlS15_E_NS1_11comp_targetILNS1_3genE3ELNS1_11target_archE908ELNS1_3gpuE7ELNS1_3repE0EEENS1_30default_config_static_selectorELNS0_4arch9wavefront6targetE1EEEvT1_
    .private_segment_fixed_size: 0
    .sgpr_count:     4
    .sgpr_spill_count: 0
    .symbol:         _ZN7rocprim17ROCPRIM_400000_NS6detail17trampoline_kernelINS0_14default_configENS1_25partition_config_selectorILNS1_17partition_subalgoE3EyNS0_10empty_typeEbEEZZNS1_14partition_implILS5_3ELb0ES3_jN6thrust23THRUST_200600_302600_NS6detail15normal_iteratorINSA_7pointerIyNSA_11hip_rocprim3tagENSA_11use_defaultESG_EEEEPS6_SJ_NS0_5tupleIJPySJ_EEENSK_IJSJ_SJ_EEES6_PlJ7is_evenIyEEEE10hipError_tPvRmT3_T4_T5_T6_T7_T9_mT8_P12ihipStream_tbDpT10_ENKUlT_T0_E_clISt17integral_constantIbLb0EES1A_EEDaS15_S16_EUlS15_E_NS1_11comp_targetILNS1_3genE3ELNS1_11target_archE908ELNS1_3gpuE7ELNS1_3repE0EEENS1_30default_config_static_selectorELNS0_4arch9wavefront6targetE1EEEvT1_.kd
    .uniform_work_group_size: 1
    .uses_dynamic_stack: false
    .vgpr_count:     0
    .vgpr_spill_count: 0
    .wavefront_size: 64
  - .agpr_count:     0
    .args:
      - .offset:         0
        .size:           120
        .value_kind:     by_value
    .group_segment_fixed_size: 0
    .kernarg_segment_align: 8
    .kernarg_segment_size: 120
    .language:       OpenCL C
    .language_version:
      - 2
      - 0
    .max_flat_workgroup_size: 256
    .name:           _ZN7rocprim17ROCPRIM_400000_NS6detail17trampoline_kernelINS0_14default_configENS1_25partition_config_selectorILNS1_17partition_subalgoE3EyNS0_10empty_typeEbEEZZNS1_14partition_implILS5_3ELb0ES3_jN6thrust23THRUST_200600_302600_NS6detail15normal_iteratorINSA_7pointerIyNSA_11hip_rocprim3tagENSA_11use_defaultESG_EEEEPS6_SJ_NS0_5tupleIJPySJ_EEENSK_IJSJ_SJ_EEES6_PlJ7is_evenIyEEEE10hipError_tPvRmT3_T4_T5_T6_T7_T9_mT8_P12ihipStream_tbDpT10_ENKUlT_T0_E_clISt17integral_constantIbLb0EES1A_EEDaS15_S16_EUlS15_E_NS1_11comp_targetILNS1_3genE2ELNS1_11target_archE906ELNS1_3gpuE6ELNS1_3repE0EEENS1_30default_config_static_selectorELNS0_4arch9wavefront6targetE1EEEvT1_
    .private_segment_fixed_size: 0
    .sgpr_count:     4
    .sgpr_spill_count: 0
    .symbol:         _ZN7rocprim17ROCPRIM_400000_NS6detail17trampoline_kernelINS0_14default_configENS1_25partition_config_selectorILNS1_17partition_subalgoE3EyNS0_10empty_typeEbEEZZNS1_14partition_implILS5_3ELb0ES3_jN6thrust23THRUST_200600_302600_NS6detail15normal_iteratorINSA_7pointerIyNSA_11hip_rocprim3tagENSA_11use_defaultESG_EEEEPS6_SJ_NS0_5tupleIJPySJ_EEENSK_IJSJ_SJ_EEES6_PlJ7is_evenIyEEEE10hipError_tPvRmT3_T4_T5_T6_T7_T9_mT8_P12ihipStream_tbDpT10_ENKUlT_T0_E_clISt17integral_constantIbLb0EES1A_EEDaS15_S16_EUlS15_E_NS1_11comp_targetILNS1_3genE2ELNS1_11target_archE906ELNS1_3gpuE6ELNS1_3repE0EEENS1_30default_config_static_selectorELNS0_4arch9wavefront6targetE1EEEvT1_.kd
    .uniform_work_group_size: 1
    .uses_dynamic_stack: false
    .vgpr_count:     0
    .vgpr_spill_count: 0
    .wavefront_size: 64
  - .agpr_count:     0
    .args:
      - .offset:         0
        .size:           120
        .value_kind:     by_value
    .group_segment_fixed_size: 0
    .kernarg_segment_align: 8
    .kernarg_segment_size: 120
    .language:       OpenCL C
    .language_version:
      - 2
      - 0
    .max_flat_workgroup_size: 512
    .name:           _ZN7rocprim17ROCPRIM_400000_NS6detail17trampoline_kernelINS0_14default_configENS1_25partition_config_selectorILNS1_17partition_subalgoE3EyNS0_10empty_typeEbEEZZNS1_14partition_implILS5_3ELb0ES3_jN6thrust23THRUST_200600_302600_NS6detail15normal_iteratorINSA_7pointerIyNSA_11hip_rocprim3tagENSA_11use_defaultESG_EEEEPS6_SJ_NS0_5tupleIJPySJ_EEENSK_IJSJ_SJ_EEES6_PlJ7is_evenIyEEEE10hipError_tPvRmT3_T4_T5_T6_T7_T9_mT8_P12ihipStream_tbDpT10_ENKUlT_T0_E_clISt17integral_constantIbLb0EES1A_EEDaS15_S16_EUlS15_E_NS1_11comp_targetILNS1_3genE10ELNS1_11target_archE1200ELNS1_3gpuE4ELNS1_3repE0EEENS1_30default_config_static_selectorELNS0_4arch9wavefront6targetE1EEEvT1_
    .private_segment_fixed_size: 0
    .sgpr_count:     4
    .sgpr_spill_count: 0
    .symbol:         _ZN7rocprim17ROCPRIM_400000_NS6detail17trampoline_kernelINS0_14default_configENS1_25partition_config_selectorILNS1_17partition_subalgoE3EyNS0_10empty_typeEbEEZZNS1_14partition_implILS5_3ELb0ES3_jN6thrust23THRUST_200600_302600_NS6detail15normal_iteratorINSA_7pointerIyNSA_11hip_rocprim3tagENSA_11use_defaultESG_EEEEPS6_SJ_NS0_5tupleIJPySJ_EEENSK_IJSJ_SJ_EEES6_PlJ7is_evenIyEEEE10hipError_tPvRmT3_T4_T5_T6_T7_T9_mT8_P12ihipStream_tbDpT10_ENKUlT_T0_E_clISt17integral_constantIbLb0EES1A_EEDaS15_S16_EUlS15_E_NS1_11comp_targetILNS1_3genE10ELNS1_11target_archE1200ELNS1_3gpuE4ELNS1_3repE0EEENS1_30default_config_static_selectorELNS0_4arch9wavefront6targetE1EEEvT1_.kd
    .uniform_work_group_size: 1
    .uses_dynamic_stack: false
    .vgpr_count:     0
    .vgpr_spill_count: 0
    .wavefront_size: 64
  - .agpr_count:     0
    .args:
      - .offset:         0
        .size:           120
        .value_kind:     by_value
    .group_segment_fixed_size: 0
    .kernarg_segment_align: 8
    .kernarg_segment_size: 120
    .language:       OpenCL C
    .language_version:
      - 2
      - 0
    .max_flat_workgroup_size: 512
    .name:           _ZN7rocprim17ROCPRIM_400000_NS6detail17trampoline_kernelINS0_14default_configENS1_25partition_config_selectorILNS1_17partition_subalgoE3EyNS0_10empty_typeEbEEZZNS1_14partition_implILS5_3ELb0ES3_jN6thrust23THRUST_200600_302600_NS6detail15normal_iteratorINSA_7pointerIyNSA_11hip_rocprim3tagENSA_11use_defaultESG_EEEEPS6_SJ_NS0_5tupleIJPySJ_EEENSK_IJSJ_SJ_EEES6_PlJ7is_evenIyEEEE10hipError_tPvRmT3_T4_T5_T6_T7_T9_mT8_P12ihipStream_tbDpT10_ENKUlT_T0_E_clISt17integral_constantIbLb0EES1A_EEDaS15_S16_EUlS15_E_NS1_11comp_targetILNS1_3genE9ELNS1_11target_archE1100ELNS1_3gpuE3ELNS1_3repE0EEENS1_30default_config_static_selectorELNS0_4arch9wavefront6targetE1EEEvT1_
    .private_segment_fixed_size: 0
    .sgpr_count:     4
    .sgpr_spill_count: 0
    .symbol:         _ZN7rocprim17ROCPRIM_400000_NS6detail17trampoline_kernelINS0_14default_configENS1_25partition_config_selectorILNS1_17partition_subalgoE3EyNS0_10empty_typeEbEEZZNS1_14partition_implILS5_3ELb0ES3_jN6thrust23THRUST_200600_302600_NS6detail15normal_iteratorINSA_7pointerIyNSA_11hip_rocprim3tagENSA_11use_defaultESG_EEEEPS6_SJ_NS0_5tupleIJPySJ_EEENSK_IJSJ_SJ_EEES6_PlJ7is_evenIyEEEE10hipError_tPvRmT3_T4_T5_T6_T7_T9_mT8_P12ihipStream_tbDpT10_ENKUlT_T0_E_clISt17integral_constantIbLb0EES1A_EEDaS15_S16_EUlS15_E_NS1_11comp_targetILNS1_3genE9ELNS1_11target_archE1100ELNS1_3gpuE3ELNS1_3repE0EEENS1_30default_config_static_selectorELNS0_4arch9wavefront6targetE1EEEvT1_.kd
    .uniform_work_group_size: 1
    .uses_dynamic_stack: false
    .vgpr_count:     0
    .vgpr_spill_count: 0
    .wavefront_size: 64
  - .agpr_count:     0
    .args:
      - .offset:         0
        .size:           120
        .value_kind:     by_value
    .group_segment_fixed_size: 0
    .kernarg_segment_align: 8
    .kernarg_segment_size: 120
    .language:       OpenCL C
    .language_version:
      - 2
      - 0
    .max_flat_workgroup_size: 512
    .name:           _ZN7rocprim17ROCPRIM_400000_NS6detail17trampoline_kernelINS0_14default_configENS1_25partition_config_selectorILNS1_17partition_subalgoE3EyNS0_10empty_typeEbEEZZNS1_14partition_implILS5_3ELb0ES3_jN6thrust23THRUST_200600_302600_NS6detail15normal_iteratorINSA_7pointerIyNSA_11hip_rocprim3tagENSA_11use_defaultESG_EEEEPS6_SJ_NS0_5tupleIJPySJ_EEENSK_IJSJ_SJ_EEES6_PlJ7is_evenIyEEEE10hipError_tPvRmT3_T4_T5_T6_T7_T9_mT8_P12ihipStream_tbDpT10_ENKUlT_T0_E_clISt17integral_constantIbLb0EES1A_EEDaS15_S16_EUlS15_E_NS1_11comp_targetILNS1_3genE8ELNS1_11target_archE1030ELNS1_3gpuE2ELNS1_3repE0EEENS1_30default_config_static_selectorELNS0_4arch9wavefront6targetE1EEEvT1_
    .private_segment_fixed_size: 0
    .sgpr_count:     4
    .sgpr_spill_count: 0
    .symbol:         _ZN7rocprim17ROCPRIM_400000_NS6detail17trampoline_kernelINS0_14default_configENS1_25partition_config_selectorILNS1_17partition_subalgoE3EyNS0_10empty_typeEbEEZZNS1_14partition_implILS5_3ELb0ES3_jN6thrust23THRUST_200600_302600_NS6detail15normal_iteratorINSA_7pointerIyNSA_11hip_rocprim3tagENSA_11use_defaultESG_EEEEPS6_SJ_NS0_5tupleIJPySJ_EEENSK_IJSJ_SJ_EEES6_PlJ7is_evenIyEEEE10hipError_tPvRmT3_T4_T5_T6_T7_T9_mT8_P12ihipStream_tbDpT10_ENKUlT_T0_E_clISt17integral_constantIbLb0EES1A_EEDaS15_S16_EUlS15_E_NS1_11comp_targetILNS1_3genE8ELNS1_11target_archE1030ELNS1_3gpuE2ELNS1_3repE0EEENS1_30default_config_static_selectorELNS0_4arch9wavefront6targetE1EEEvT1_.kd
    .uniform_work_group_size: 1
    .uses_dynamic_stack: false
    .vgpr_count:     0
    .vgpr_spill_count: 0
    .wavefront_size: 64
  - .agpr_count:     0
    .args:
      - .offset:         0
        .size:           136
        .value_kind:     by_value
    .group_segment_fixed_size: 0
    .kernarg_segment_align: 8
    .kernarg_segment_size: 136
    .language:       OpenCL C
    .language_version:
      - 2
      - 0
    .max_flat_workgroup_size: 192
    .name:           _ZN7rocprim17ROCPRIM_400000_NS6detail17trampoline_kernelINS0_14default_configENS1_25partition_config_selectorILNS1_17partition_subalgoE3EyNS0_10empty_typeEbEEZZNS1_14partition_implILS5_3ELb0ES3_jN6thrust23THRUST_200600_302600_NS6detail15normal_iteratorINSA_7pointerIyNSA_11hip_rocprim3tagENSA_11use_defaultESG_EEEEPS6_SJ_NS0_5tupleIJPySJ_EEENSK_IJSJ_SJ_EEES6_PlJ7is_evenIyEEEE10hipError_tPvRmT3_T4_T5_T6_T7_T9_mT8_P12ihipStream_tbDpT10_ENKUlT_T0_E_clISt17integral_constantIbLb1EES1A_EEDaS15_S16_EUlS15_E_NS1_11comp_targetILNS1_3genE0ELNS1_11target_archE4294967295ELNS1_3gpuE0ELNS1_3repE0EEENS1_30default_config_static_selectorELNS0_4arch9wavefront6targetE1EEEvT1_
    .private_segment_fixed_size: 0
    .sgpr_count:     4
    .sgpr_spill_count: 0
    .symbol:         _ZN7rocprim17ROCPRIM_400000_NS6detail17trampoline_kernelINS0_14default_configENS1_25partition_config_selectorILNS1_17partition_subalgoE3EyNS0_10empty_typeEbEEZZNS1_14partition_implILS5_3ELb0ES3_jN6thrust23THRUST_200600_302600_NS6detail15normal_iteratorINSA_7pointerIyNSA_11hip_rocprim3tagENSA_11use_defaultESG_EEEEPS6_SJ_NS0_5tupleIJPySJ_EEENSK_IJSJ_SJ_EEES6_PlJ7is_evenIyEEEE10hipError_tPvRmT3_T4_T5_T6_T7_T9_mT8_P12ihipStream_tbDpT10_ENKUlT_T0_E_clISt17integral_constantIbLb1EES1A_EEDaS15_S16_EUlS15_E_NS1_11comp_targetILNS1_3genE0ELNS1_11target_archE4294967295ELNS1_3gpuE0ELNS1_3repE0EEENS1_30default_config_static_selectorELNS0_4arch9wavefront6targetE1EEEvT1_.kd
    .uniform_work_group_size: 1
    .uses_dynamic_stack: false
    .vgpr_count:     0
    .vgpr_spill_count: 0
    .wavefront_size: 64
  - .agpr_count:     0
    .args:
      - .offset:         0
        .size:           136
        .value_kind:     by_value
    .group_segment_fixed_size: 0
    .kernarg_segment_align: 8
    .kernarg_segment_size: 136
    .language:       OpenCL C
    .language_version:
      - 2
      - 0
    .max_flat_workgroup_size: 512
    .name:           _ZN7rocprim17ROCPRIM_400000_NS6detail17trampoline_kernelINS0_14default_configENS1_25partition_config_selectorILNS1_17partition_subalgoE3EyNS0_10empty_typeEbEEZZNS1_14partition_implILS5_3ELb0ES3_jN6thrust23THRUST_200600_302600_NS6detail15normal_iteratorINSA_7pointerIyNSA_11hip_rocprim3tagENSA_11use_defaultESG_EEEEPS6_SJ_NS0_5tupleIJPySJ_EEENSK_IJSJ_SJ_EEES6_PlJ7is_evenIyEEEE10hipError_tPvRmT3_T4_T5_T6_T7_T9_mT8_P12ihipStream_tbDpT10_ENKUlT_T0_E_clISt17integral_constantIbLb1EES1A_EEDaS15_S16_EUlS15_E_NS1_11comp_targetILNS1_3genE5ELNS1_11target_archE942ELNS1_3gpuE9ELNS1_3repE0EEENS1_30default_config_static_selectorELNS0_4arch9wavefront6targetE1EEEvT1_
    .private_segment_fixed_size: 0
    .sgpr_count:     4
    .sgpr_spill_count: 0
    .symbol:         _ZN7rocprim17ROCPRIM_400000_NS6detail17trampoline_kernelINS0_14default_configENS1_25partition_config_selectorILNS1_17partition_subalgoE3EyNS0_10empty_typeEbEEZZNS1_14partition_implILS5_3ELb0ES3_jN6thrust23THRUST_200600_302600_NS6detail15normal_iteratorINSA_7pointerIyNSA_11hip_rocprim3tagENSA_11use_defaultESG_EEEEPS6_SJ_NS0_5tupleIJPySJ_EEENSK_IJSJ_SJ_EEES6_PlJ7is_evenIyEEEE10hipError_tPvRmT3_T4_T5_T6_T7_T9_mT8_P12ihipStream_tbDpT10_ENKUlT_T0_E_clISt17integral_constantIbLb1EES1A_EEDaS15_S16_EUlS15_E_NS1_11comp_targetILNS1_3genE5ELNS1_11target_archE942ELNS1_3gpuE9ELNS1_3repE0EEENS1_30default_config_static_selectorELNS0_4arch9wavefront6targetE1EEEvT1_.kd
    .uniform_work_group_size: 1
    .uses_dynamic_stack: false
    .vgpr_count:     0
    .vgpr_spill_count: 0
    .wavefront_size: 64
  - .agpr_count:     0
    .args:
      - .offset:         0
        .size:           136
        .value_kind:     by_value
    .group_segment_fixed_size: 6344
    .kernarg_segment_align: 8
    .kernarg_segment_size: 136
    .language:       OpenCL C
    .language_version:
      - 2
      - 0
    .max_flat_workgroup_size: 192
    .name:           _ZN7rocprim17ROCPRIM_400000_NS6detail17trampoline_kernelINS0_14default_configENS1_25partition_config_selectorILNS1_17partition_subalgoE3EyNS0_10empty_typeEbEEZZNS1_14partition_implILS5_3ELb0ES3_jN6thrust23THRUST_200600_302600_NS6detail15normal_iteratorINSA_7pointerIyNSA_11hip_rocprim3tagENSA_11use_defaultESG_EEEEPS6_SJ_NS0_5tupleIJPySJ_EEENSK_IJSJ_SJ_EEES6_PlJ7is_evenIyEEEE10hipError_tPvRmT3_T4_T5_T6_T7_T9_mT8_P12ihipStream_tbDpT10_ENKUlT_T0_E_clISt17integral_constantIbLb1EES1A_EEDaS15_S16_EUlS15_E_NS1_11comp_targetILNS1_3genE4ELNS1_11target_archE910ELNS1_3gpuE8ELNS1_3repE0EEENS1_30default_config_static_selectorELNS0_4arch9wavefront6targetE1EEEvT1_
    .private_segment_fixed_size: 0
    .sgpr_count:     48
    .sgpr_spill_count: 0
    .symbol:         _ZN7rocprim17ROCPRIM_400000_NS6detail17trampoline_kernelINS0_14default_configENS1_25partition_config_selectorILNS1_17partition_subalgoE3EyNS0_10empty_typeEbEEZZNS1_14partition_implILS5_3ELb0ES3_jN6thrust23THRUST_200600_302600_NS6detail15normal_iteratorINSA_7pointerIyNSA_11hip_rocprim3tagENSA_11use_defaultESG_EEEEPS6_SJ_NS0_5tupleIJPySJ_EEENSK_IJSJ_SJ_EEES6_PlJ7is_evenIyEEEE10hipError_tPvRmT3_T4_T5_T6_T7_T9_mT8_P12ihipStream_tbDpT10_ENKUlT_T0_E_clISt17integral_constantIbLb1EES1A_EEDaS15_S16_EUlS15_E_NS1_11comp_targetILNS1_3genE4ELNS1_11target_archE910ELNS1_3gpuE8ELNS1_3repE0EEENS1_30default_config_static_selectorELNS0_4arch9wavefront6targetE1EEEvT1_.kd
    .uniform_work_group_size: 1
    .uses_dynamic_stack: false
    .vgpr_count:     46
    .vgpr_spill_count: 0
    .wavefront_size: 64
  - .agpr_count:     0
    .args:
      - .offset:         0
        .size:           136
        .value_kind:     by_value
    .group_segment_fixed_size: 0
    .kernarg_segment_align: 8
    .kernarg_segment_size: 136
    .language:       OpenCL C
    .language_version:
      - 2
      - 0
    .max_flat_workgroup_size: 192
    .name:           _ZN7rocprim17ROCPRIM_400000_NS6detail17trampoline_kernelINS0_14default_configENS1_25partition_config_selectorILNS1_17partition_subalgoE3EyNS0_10empty_typeEbEEZZNS1_14partition_implILS5_3ELb0ES3_jN6thrust23THRUST_200600_302600_NS6detail15normal_iteratorINSA_7pointerIyNSA_11hip_rocprim3tagENSA_11use_defaultESG_EEEEPS6_SJ_NS0_5tupleIJPySJ_EEENSK_IJSJ_SJ_EEES6_PlJ7is_evenIyEEEE10hipError_tPvRmT3_T4_T5_T6_T7_T9_mT8_P12ihipStream_tbDpT10_ENKUlT_T0_E_clISt17integral_constantIbLb1EES1A_EEDaS15_S16_EUlS15_E_NS1_11comp_targetILNS1_3genE3ELNS1_11target_archE908ELNS1_3gpuE7ELNS1_3repE0EEENS1_30default_config_static_selectorELNS0_4arch9wavefront6targetE1EEEvT1_
    .private_segment_fixed_size: 0
    .sgpr_count:     4
    .sgpr_spill_count: 0
    .symbol:         _ZN7rocprim17ROCPRIM_400000_NS6detail17trampoline_kernelINS0_14default_configENS1_25partition_config_selectorILNS1_17partition_subalgoE3EyNS0_10empty_typeEbEEZZNS1_14partition_implILS5_3ELb0ES3_jN6thrust23THRUST_200600_302600_NS6detail15normal_iteratorINSA_7pointerIyNSA_11hip_rocprim3tagENSA_11use_defaultESG_EEEEPS6_SJ_NS0_5tupleIJPySJ_EEENSK_IJSJ_SJ_EEES6_PlJ7is_evenIyEEEE10hipError_tPvRmT3_T4_T5_T6_T7_T9_mT8_P12ihipStream_tbDpT10_ENKUlT_T0_E_clISt17integral_constantIbLb1EES1A_EEDaS15_S16_EUlS15_E_NS1_11comp_targetILNS1_3genE3ELNS1_11target_archE908ELNS1_3gpuE7ELNS1_3repE0EEENS1_30default_config_static_selectorELNS0_4arch9wavefront6targetE1EEEvT1_.kd
    .uniform_work_group_size: 1
    .uses_dynamic_stack: false
    .vgpr_count:     0
    .vgpr_spill_count: 0
    .wavefront_size: 64
  - .agpr_count:     0
    .args:
      - .offset:         0
        .size:           136
        .value_kind:     by_value
    .group_segment_fixed_size: 0
    .kernarg_segment_align: 8
    .kernarg_segment_size: 136
    .language:       OpenCL C
    .language_version:
      - 2
      - 0
    .max_flat_workgroup_size: 256
    .name:           _ZN7rocprim17ROCPRIM_400000_NS6detail17trampoline_kernelINS0_14default_configENS1_25partition_config_selectorILNS1_17partition_subalgoE3EyNS0_10empty_typeEbEEZZNS1_14partition_implILS5_3ELb0ES3_jN6thrust23THRUST_200600_302600_NS6detail15normal_iteratorINSA_7pointerIyNSA_11hip_rocprim3tagENSA_11use_defaultESG_EEEEPS6_SJ_NS0_5tupleIJPySJ_EEENSK_IJSJ_SJ_EEES6_PlJ7is_evenIyEEEE10hipError_tPvRmT3_T4_T5_T6_T7_T9_mT8_P12ihipStream_tbDpT10_ENKUlT_T0_E_clISt17integral_constantIbLb1EES1A_EEDaS15_S16_EUlS15_E_NS1_11comp_targetILNS1_3genE2ELNS1_11target_archE906ELNS1_3gpuE6ELNS1_3repE0EEENS1_30default_config_static_selectorELNS0_4arch9wavefront6targetE1EEEvT1_
    .private_segment_fixed_size: 0
    .sgpr_count:     4
    .sgpr_spill_count: 0
    .symbol:         _ZN7rocprim17ROCPRIM_400000_NS6detail17trampoline_kernelINS0_14default_configENS1_25partition_config_selectorILNS1_17partition_subalgoE3EyNS0_10empty_typeEbEEZZNS1_14partition_implILS5_3ELb0ES3_jN6thrust23THRUST_200600_302600_NS6detail15normal_iteratorINSA_7pointerIyNSA_11hip_rocprim3tagENSA_11use_defaultESG_EEEEPS6_SJ_NS0_5tupleIJPySJ_EEENSK_IJSJ_SJ_EEES6_PlJ7is_evenIyEEEE10hipError_tPvRmT3_T4_T5_T6_T7_T9_mT8_P12ihipStream_tbDpT10_ENKUlT_T0_E_clISt17integral_constantIbLb1EES1A_EEDaS15_S16_EUlS15_E_NS1_11comp_targetILNS1_3genE2ELNS1_11target_archE906ELNS1_3gpuE6ELNS1_3repE0EEENS1_30default_config_static_selectorELNS0_4arch9wavefront6targetE1EEEvT1_.kd
    .uniform_work_group_size: 1
    .uses_dynamic_stack: false
    .vgpr_count:     0
    .vgpr_spill_count: 0
    .wavefront_size: 64
  - .agpr_count:     0
    .args:
      - .offset:         0
        .size:           136
        .value_kind:     by_value
    .group_segment_fixed_size: 0
    .kernarg_segment_align: 8
    .kernarg_segment_size: 136
    .language:       OpenCL C
    .language_version:
      - 2
      - 0
    .max_flat_workgroup_size: 512
    .name:           _ZN7rocprim17ROCPRIM_400000_NS6detail17trampoline_kernelINS0_14default_configENS1_25partition_config_selectorILNS1_17partition_subalgoE3EyNS0_10empty_typeEbEEZZNS1_14partition_implILS5_3ELb0ES3_jN6thrust23THRUST_200600_302600_NS6detail15normal_iteratorINSA_7pointerIyNSA_11hip_rocprim3tagENSA_11use_defaultESG_EEEEPS6_SJ_NS0_5tupleIJPySJ_EEENSK_IJSJ_SJ_EEES6_PlJ7is_evenIyEEEE10hipError_tPvRmT3_T4_T5_T6_T7_T9_mT8_P12ihipStream_tbDpT10_ENKUlT_T0_E_clISt17integral_constantIbLb1EES1A_EEDaS15_S16_EUlS15_E_NS1_11comp_targetILNS1_3genE10ELNS1_11target_archE1200ELNS1_3gpuE4ELNS1_3repE0EEENS1_30default_config_static_selectorELNS0_4arch9wavefront6targetE1EEEvT1_
    .private_segment_fixed_size: 0
    .sgpr_count:     4
    .sgpr_spill_count: 0
    .symbol:         _ZN7rocprim17ROCPRIM_400000_NS6detail17trampoline_kernelINS0_14default_configENS1_25partition_config_selectorILNS1_17partition_subalgoE3EyNS0_10empty_typeEbEEZZNS1_14partition_implILS5_3ELb0ES3_jN6thrust23THRUST_200600_302600_NS6detail15normal_iteratorINSA_7pointerIyNSA_11hip_rocprim3tagENSA_11use_defaultESG_EEEEPS6_SJ_NS0_5tupleIJPySJ_EEENSK_IJSJ_SJ_EEES6_PlJ7is_evenIyEEEE10hipError_tPvRmT3_T4_T5_T6_T7_T9_mT8_P12ihipStream_tbDpT10_ENKUlT_T0_E_clISt17integral_constantIbLb1EES1A_EEDaS15_S16_EUlS15_E_NS1_11comp_targetILNS1_3genE10ELNS1_11target_archE1200ELNS1_3gpuE4ELNS1_3repE0EEENS1_30default_config_static_selectorELNS0_4arch9wavefront6targetE1EEEvT1_.kd
    .uniform_work_group_size: 1
    .uses_dynamic_stack: false
    .vgpr_count:     0
    .vgpr_spill_count: 0
    .wavefront_size: 64
  - .agpr_count:     0
    .args:
      - .offset:         0
        .size:           136
        .value_kind:     by_value
    .group_segment_fixed_size: 0
    .kernarg_segment_align: 8
    .kernarg_segment_size: 136
    .language:       OpenCL C
    .language_version:
      - 2
      - 0
    .max_flat_workgroup_size: 512
    .name:           _ZN7rocprim17ROCPRIM_400000_NS6detail17trampoline_kernelINS0_14default_configENS1_25partition_config_selectorILNS1_17partition_subalgoE3EyNS0_10empty_typeEbEEZZNS1_14partition_implILS5_3ELb0ES3_jN6thrust23THRUST_200600_302600_NS6detail15normal_iteratorINSA_7pointerIyNSA_11hip_rocprim3tagENSA_11use_defaultESG_EEEEPS6_SJ_NS0_5tupleIJPySJ_EEENSK_IJSJ_SJ_EEES6_PlJ7is_evenIyEEEE10hipError_tPvRmT3_T4_T5_T6_T7_T9_mT8_P12ihipStream_tbDpT10_ENKUlT_T0_E_clISt17integral_constantIbLb1EES1A_EEDaS15_S16_EUlS15_E_NS1_11comp_targetILNS1_3genE9ELNS1_11target_archE1100ELNS1_3gpuE3ELNS1_3repE0EEENS1_30default_config_static_selectorELNS0_4arch9wavefront6targetE1EEEvT1_
    .private_segment_fixed_size: 0
    .sgpr_count:     4
    .sgpr_spill_count: 0
    .symbol:         _ZN7rocprim17ROCPRIM_400000_NS6detail17trampoline_kernelINS0_14default_configENS1_25partition_config_selectorILNS1_17partition_subalgoE3EyNS0_10empty_typeEbEEZZNS1_14partition_implILS5_3ELb0ES3_jN6thrust23THRUST_200600_302600_NS6detail15normal_iteratorINSA_7pointerIyNSA_11hip_rocprim3tagENSA_11use_defaultESG_EEEEPS6_SJ_NS0_5tupleIJPySJ_EEENSK_IJSJ_SJ_EEES6_PlJ7is_evenIyEEEE10hipError_tPvRmT3_T4_T5_T6_T7_T9_mT8_P12ihipStream_tbDpT10_ENKUlT_T0_E_clISt17integral_constantIbLb1EES1A_EEDaS15_S16_EUlS15_E_NS1_11comp_targetILNS1_3genE9ELNS1_11target_archE1100ELNS1_3gpuE3ELNS1_3repE0EEENS1_30default_config_static_selectorELNS0_4arch9wavefront6targetE1EEEvT1_.kd
    .uniform_work_group_size: 1
    .uses_dynamic_stack: false
    .vgpr_count:     0
    .vgpr_spill_count: 0
    .wavefront_size: 64
  - .agpr_count:     0
    .args:
      - .offset:         0
        .size:           136
        .value_kind:     by_value
    .group_segment_fixed_size: 0
    .kernarg_segment_align: 8
    .kernarg_segment_size: 136
    .language:       OpenCL C
    .language_version:
      - 2
      - 0
    .max_flat_workgroup_size: 512
    .name:           _ZN7rocprim17ROCPRIM_400000_NS6detail17trampoline_kernelINS0_14default_configENS1_25partition_config_selectorILNS1_17partition_subalgoE3EyNS0_10empty_typeEbEEZZNS1_14partition_implILS5_3ELb0ES3_jN6thrust23THRUST_200600_302600_NS6detail15normal_iteratorINSA_7pointerIyNSA_11hip_rocprim3tagENSA_11use_defaultESG_EEEEPS6_SJ_NS0_5tupleIJPySJ_EEENSK_IJSJ_SJ_EEES6_PlJ7is_evenIyEEEE10hipError_tPvRmT3_T4_T5_T6_T7_T9_mT8_P12ihipStream_tbDpT10_ENKUlT_T0_E_clISt17integral_constantIbLb1EES1A_EEDaS15_S16_EUlS15_E_NS1_11comp_targetILNS1_3genE8ELNS1_11target_archE1030ELNS1_3gpuE2ELNS1_3repE0EEENS1_30default_config_static_selectorELNS0_4arch9wavefront6targetE1EEEvT1_
    .private_segment_fixed_size: 0
    .sgpr_count:     4
    .sgpr_spill_count: 0
    .symbol:         _ZN7rocprim17ROCPRIM_400000_NS6detail17trampoline_kernelINS0_14default_configENS1_25partition_config_selectorILNS1_17partition_subalgoE3EyNS0_10empty_typeEbEEZZNS1_14partition_implILS5_3ELb0ES3_jN6thrust23THRUST_200600_302600_NS6detail15normal_iteratorINSA_7pointerIyNSA_11hip_rocprim3tagENSA_11use_defaultESG_EEEEPS6_SJ_NS0_5tupleIJPySJ_EEENSK_IJSJ_SJ_EEES6_PlJ7is_evenIyEEEE10hipError_tPvRmT3_T4_T5_T6_T7_T9_mT8_P12ihipStream_tbDpT10_ENKUlT_T0_E_clISt17integral_constantIbLb1EES1A_EEDaS15_S16_EUlS15_E_NS1_11comp_targetILNS1_3genE8ELNS1_11target_archE1030ELNS1_3gpuE2ELNS1_3repE0EEENS1_30default_config_static_selectorELNS0_4arch9wavefront6targetE1EEEvT1_.kd
    .uniform_work_group_size: 1
    .uses_dynamic_stack: false
    .vgpr_count:     0
    .vgpr_spill_count: 0
    .wavefront_size: 64
  - .agpr_count:     0
    .args:
      - .offset:         0
        .size:           120
        .value_kind:     by_value
    .group_segment_fixed_size: 0
    .kernarg_segment_align: 8
    .kernarg_segment_size: 120
    .language:       OpenCL C
    .language_version:
      - 2
      - 0
    .max_flat_workgroup_size: 192
    .name:           _ZN7rocprim17ROCPRIM_400000_NS6detail17trampoline_kernelINS0_14default_configENS1_25partition_config_selectorILNS1_17partition_subalgoE3EyNS0_10empty_typeEbEEZZNS1_14partition_implILS5_3ELb0ES3_jN6thrust23THRUST_200600_302600_NS6detail15normal_iteratorINSA_7pointerIyNSA_11hip_rocprim3tagENSA_11use_defaultESG_EEEEPS6_SJ_NS0_5tupleIJPySJ_EEENSK_IJSJ_SJ_EEES6_PlJ7is_evenIyEEEE10hipError_tPvRmT3_T4_T5_T6_T7_T9_mT8_P12ihipStream_tbDpT10_ENKUlT_T0_E_clISt17integral_constantIbLb1EES19_IbLb0EEEEDaS15_S16_EUlS15_E_NS1_11comp_targetILNS1_3genE0ELNS1_11target_archE4294967295ELNS1_3gpuE0ELNS1_3repE0EEENS1_30default_config_static_selectorELNS0_4arch9wavefront6targetE1EEEvT1_
    .private_segment_fixed_size: 0
    .sgpr_count:     4
    .sgpr_spill_count: 0
    .symbol:         _ZN7rocprim17ROCPRIM_400000_NS6detail17trampoline_kernelINS0_14default_configENS1_25partition_config_selectorILNS1_17partition_subalgoE3EyNS0_10empty_typeEbEEZZNS1_14partition_implILS5_3ELb0ES3_jN6thrust23THRUST_200600_302600_NS6detail15normal_iteratorINSA_7pointerIyNSA_11hip_rocprim3tagENSA_11use_defaultESG_EEEEPS6_SJ_NS0_5tupleIJPySJ_EEENSK_IJSJ_SJ_EEES6_PlJ7is_evenIyEEEE10hipError_tPvRmT3_T4_T5_T6_T7_T9_mT8_P12ihipStream_tbDpT10_ENKUlT_T0_E_clISt17integral_constantIbLb1EES19_IbLb0EEEEDaS15_S16_EUlS15_E_NS1_11comp_targetILNS1_3genE0ELNS1_11target_archE4294967295ELNS1_3gpuE0ELNS1_3repE0EEENS1_30default_config_static_selectorELNS0_4arch9wavefront6targetE1EEEvT1_.kd
    .uniform_work_group_size: 1
    .uses_dynamic_stack: false
    .vgpr_count:     0
    .vgpr_spill_count: 0
    .wavefront_size: 64
  - .agpr_count:     0
    .args:
      - .offset:         0
        .size:           120
        .value_kind:     by_value
    .group_segment_fixed_size: 0
    .kernarg_segment_align: 8
    .kernarg_segment_size: 120
    .language:       OpenCL C
    .language_version:
      - 2
      - 0
    .max_flat_workgroup_size: 512
    .name:           _ZN7rocprim17ROCPRIM_400000_NS6detail17trampoline_kernelINS0_14default_configENS1_25partition_config_selectorILNS1_17partition_subalgoE3EyNS0_10empty_typeEbEEZZNS1_14partition_implILS5_3ELb0ES3_jN6thrust23THRUST_200600_302600_NS6detail15normal_iteratorINSA_7pointerIyNSA_11hip_rocprim3tagENSA_11use_defaultESG_EEEEPS6_SJ_NS0_5tupleIJPySJ_EEENSK_IJSJ_SJ_EEES6_PlJ7is_evenIyEEEE10hipError_tPvRmT3_T4_T5_T6_T7_T9_mT8_P12ihipStream_tbDpT10_ENKUlT_T0_E_clISt17integral_constantIbLb1EES19_IbLb0EEEEDaS15_S16_EUlS15_E_NS1_11comp_targetILNS1_3genE5ELNS1_11target_archE942ELNS1_3gpuE9ELNS1_3repE0EEENS1_30default_config_static_selectorELNS0_4arch9wavefront6targetE1EEEvT1_
    .private_segment_fixed_size: 0
    .sgpr_count:     4
    .sgpr_spill_count: 0
    .symbol:         _ZN7rocprim17ROCPRIM_400000_NS6detail17trampoline_kernelINS0_14default_configENS1_25partition_config_selectorILNS1_17partition_subalgoE3EyNS0_10empty_typeEbEEZZNS1_14partition_implILS5_3ELb0ES3_jN6thrust23THRUST_200600_302600_NS6detail15normal_iteratorINSA_7pointerIyNSA_11hip_rocprim3tagENSA_11use_defaultESG_EEEEPS6_SJ_NS0_5tupleIJPySJ_EEENSK_IJSJ_SJ_EEES6_PlJ7is_evenIyEEEE10hipError_tPvRmT3_T4_T5_T6_T7_T9_mT8_P12ihipStream_tbDpT10_ENKUlT_T0_E_clISt17integral_constantIbLb1EES19_IbLb0EEEEDaS15_S16_EUlS15_E_NS1_11comp_targetILNS1_3genE5ELNS1_11target_archE942ELNS1_3gpuE9ELNS1_3repE0EEENS1_30default_config_static_selectorELNS0_4arch9wavefront6targetE1EEEvT1_.kd
    .uniform_work_group_size: 1
    .uses_dynamic_stack: false
    .vgpr_count:     0
    .vgpr_spill_count: 0
    .wavefront_size: 64
  - .agpr_count:     0
    .args:
      - .offset:         0
        .size:           120
        .value_kind:     by_value
    .group_segment_fixed_size: 6344
    .kernarg_segment_align: 8
    .kernarg_segment_size: 120
    .language:       OpenCL C
    .language_version:
      - 2
      - 0
    .max_flat_workgroup_size: 192
    .name:           _ZN7rocprim17ROCPRIM_400000_NS6detail17trampoline_kernelINS0_14default_configENS1_25partition_config_selectorILNS1_17partition_subalgoE3EyNS0_10empty_typeEbEEZZNS1_14partition_implILS5_3ELb0ES3_jN6thrust23THRUST_200600_302600_NS6detail15normal_iteratorINSA_7pointerIyNSA_11hip_rocprim3tagENSA_11use_defaultESG_EEEEPS6_SJ_NS0_5tupleIJPySJ_EEENSK_IJSJ_SJ_EEES6_PlJ7is_evenIyEEEE10hipError_tPvRmT3_T4_T5_T6_T7_T9_mT8_P12ihipStream_tbDpT10_ENKUlT_T0_E_clISt17integral_constantIbLb1EES19_IbLb0EEEEDaS15_S16_EUlS15_E_NS1_11comp_targetILNS1_3genE4ELNS1_11target_archE910ELNS1_3gpuE8ELNS1_3repE0EEENS1_30default_config_static_selectorELNS0_4arch9wavefront6targetE1EEEvT1_
    .private_segment_fixed_size: 0
    .sgpr_count:     50
    .sgpr_spill_count: 0
    .symbol:         _ZN7rocprim17ROCPRIM_400000_NS6detail17trampoline_kernelINS0_14default_configENS1_25partition_config_selectorILNS1_17partition_subalgoE3EyNS0_10empty_typeEbEEZZNS1_14partition_implILS5_3ELb0ES3_jN6thrust23THRUST_200600_302600_NS6detail15normal_iteratorINSA_7pointerIyNSA_11hip_rocprim3tagENSA_11use_defaultESG_EEEEPS6_SJ_NS0_5tupleIJPySJ_EEENSK_IJSJ_SJ_EEES6_PlJ7is_evenIyEEEE10hipError_tPvRmT3_T4_T5_T6_T7_T9_mT8_P12ihipStream_tbDpT10_ENKUlT_T0_E_clISt17integral_constantIbLb1EES19_IbLb0EEEEDaS15_S16_EUlS15_E_NS1_11comp_targetILNS1_3genE4ELNS1_11target_archE910ELNS1_3gpuE8ELNS1_3repE0EEENS1_30default_config_static_selectorELNS0_4arch9wavefront6targetE1EEEvT1_.kd
    .uniform_work_group_size: 1
    .uses_dynamic_stack: false
    .vgpr_count:     43
    .vgpr_spill_count: 0
    .wavefront_size: 64
  - .agpr_count:     0
    .args:
      - .offset:         0
        .size:           120
        .value_kind:     by_value
    .group_segment_fixed_size: 0
    .kernarg_segment_align: 8
    .kernarg_segment_size: 120
    .language:       OpenCL C
    .language_version:
      - 2
      - 0
    .max_flat_workgroup_size: 192
    .name:           _ZN7rocprim17ROCPRIM_400000_NS6detail17trampoline_kernelINS0_14default_configENS1_25partition_config_selectorILNS1_17partition_subalgoE3EyNS0_10empty_typeEbEEZZNS1_14partition_implILS5_3ELb0ES3_jN6thrust23THRUST_200600_302600_NS6detail15normal_iteratorINSA_7pointerIyNSA_11hip_rocprim3tagENSA_11use_defaultESG_EEEEPS6_SJ_NS0_5tupleIJPySJ_EEENSK_IJSJ_SJ_EEES6_PlJ7is_evenIyEEEE10hipError_tPvRmT3_T4_T5_T6_T7_T9_mT8_P12ihipStream_tbDpT10_ENKUlT_T0_E_clISt17integral_constantIbLb1EES19_IbLb0EEEEDaS15_S16_EUlS15_E_NS1_11comp_targetILNS1_3genE3ELNS1_11target_archE908ELNS1_3gpuE7ELNS1_3repE0EEENS1_30default_config_static_selectorELNS0_4arch9wavefront6targetE1EEEvT1_
    .private_segment_fixed_size: 0
    .sgpr_count:     4
    .sgpr_spill_count: 0
    .symbol:         _ZN7rocprim17ROCPRIM_400000_NS6detail17trampoline_kernelINS0_14default_configENS1_25partition_config_selectorILNS1_17partition_subalgoE3EyNS0_10empty_typeEbEEZZNS1_14partition_implILS5_3ELb0ES3_jN6thrust23THRUST_200600_302600_NS6detail15normal_iteratorINSA_7pointerIyNSA_11hip_rocprim3tagENSA_11use_defaultESG_EEEEPS6_SJ_NS0_5tupleIJPySJ_EEENSK_IJSJ_SJ_EEES6_PlJ7is_evenIyEEEE10hipError_tPvRmT3_T4_T5_T6_T7_T9_mT8_P12ihipStream_tbDpT10_ENKUlT_T0_E_clISt17integral_constantIbLb1EES19_IbLb0EEEEDaS15_S16_EUlS15_E_NS1_11comp_targetILNS1_3genE3ELNS1_11target_archE908ELNS1_3gpuE7ELNS1_3repE0EEENS1_30default_config_static_selectorELNS0_4arch9wavefront6targetE1EEEvT1_.kd
    .uniform_work_group_size: 1
    .uses_dynamic_stack: false
    .vgpr_count:     0
    .vgpr_spill_count: 0
    .wavefront_size: 64
  - .agpr_count:     0
    .args:
      - .offset:         0
        .size:           120
        .value_kind:     by_value
    .group_segment_fixed_size: 0
    .kernarg_segment_align: 8
    .kernarg_segment_size: 120
    .language:       OpenCL C
    .language_version:
      - 2
      - 0
    .max_flat_workgroup_size: 256
    .name:           _ZN7rocprim17ROCPRIM_400000_NS6detail17trampoline_kernelINS0_14default_configENS1_25partition_config_selectorILNS1_17partition_subalgoE3EyNS0_10empty_typeEbEEZZNS1_14partition_implILS5_3ELb0ES3_jN6thrust23THRUST_200600_302600_NS6detail15normal_iteratorINSA_7pointerIyNSA_11hip_rocprim3tagENSA_11use_defaultESG_EEEEPS6_SJ_NS0_5tupleIJPySJ_EEENSK_IJSJ_SJ_EEES6_PlJ7is_evenIyEEEE10hipError_tPvRmT3_T4_T5_T6_T7_T9_mT8_P12ihipStream_tbDpT10_ENKUlT_T0_E_clISt17integral_constantIbLb1EES19_IbLb0EEEEDaS15_S16_EUlS15_E_NS1_11comp_targetILNS1_3genE2ELNS1_11target_archE906ELNS1_3gpuE6ELNS1_3repE0EEENS1_30default_config_static_selectorELNS0_4arch9wavefront6targetE1EEEvT1_
    .private_segment_fixed_size: 0
    .sgpr_count:     4
    .sgpr_spill_count: 0
    .symbol:         _ZN7rocprim17ROCPRIM_400000_NS6detail17trampoline_kernelINS0_14default_configENS1_25partition_config_selectorILNS1_17partition_subalgoE3EyNS0_10empty_typeEbEEZZNS1_14partition_implILS5_3ELb0ES3_jN6thrust23THRUST_200600_302600_NS6detail15normal_iteratorINSA_7pointerIyNSA_11hip_rocprim3tagENSA_11use_defaultESG_EEEEPS6_SJ_NS0_5tupleIJPySJ_EEENSK_IJSJ_SJ_EEES6_PlJ7is_evenIyEEEE10hipError_tPvRmT3_T4_T5_T6_T7_T9_mT8_P12ihipStream_tbDpT10_ENKUlT_T0_E_clISt17integral_constantIbLb1EES19_IbLb0EEEEDaS15_S16_EUlS15_E_NS1_11comp_targetILNS1_3genE2ELNS1_11target_archE906ELNS1_3gpuE6ELNS1_3repE0EEENS1_30default_config_static_selectorELNS0_4arch9wavefront6targetE1EEEvT1_.kd
    .uniform_work_group_size: 1
    .uses_dynamic_stack: false
    .vgpr_count:     0
    .vgpr_spill_count: 0
    .wavefront_size: 64
  - .agpr_count:     0
    .args:
      - .offset:         0
        .size:           120
        .value_kind:     by_value
    .group_segment_fixed_size: 0
    .kernarg_segment_align: 8
    .kernarg_segment_size: 120
    .language:       OpenCL C
    .language_version:
      - 2
      - 0
    .max_flat_workgroup_size: 512
    .name:           _ZN7rocprim17ROCPRIM_400000_NS6detail17trampoline_kernelINS0_14default_configENS1_25partition_config_selectorILNS1_17partition_subalgoE3EyNS0_10empty_typeEbEEZZNS1_14partition_implILS5_3ELb0ES3_jN6thrust23THRUST_200600_302600_NS6detail15normal_iteratorINSA_7pointerIyNSA_11hip_rocprim3tagENSA_11use_defaultESG_EEEEPS6_SJ_NS0_5tupleIJPySJ_EEENSK_IJSJ_SJ_EEES6_PlJ7is_evenIyEEEE10hipError_tPvRmT3_T4_T5_T6_T7_T9_mT8_P12ihipStream_tbDpT10_ENKUlT_T0_E_clISt17integral_constantIbLb1EES19_IbLb0EEEEDaS15_S16_EUlS15_E_NS1_11comp_targetILNS1_3genE10ELNS1_11target_archE1200ELNS1_3gpuE4ELNS1_3repE0EEENS1_30default_config_static_selectorELNS0_4arch9wavefront6targetE1EEEvT1_
    .private_segment_fixed_size: 0
    .sgpr_count:     4
    .sgpr_spill_count: 0
    .symbol:         _ZN7rocprim17ROCPRIM_400000_NS6detail17trampoline_kernelINS0_14default_configENS1_25partition_config_selectorILNS1_17partition_subalgoE3EyNS0_10empty_typeEbEEZZNS1_14partition_implILS5_3ELb0ES3_jN6thrust23THRUST_200600_302600_NS6detail15normal_iteratorINSA_7pointerIyNSA_11hip_rocprim3tagENSA_11use_defaultESG_EEEEPS6_SJ_NS0_5tupleIJPySJ_EEENSK_IJSJ_SJ_EEES6_PlJ7is_evenIyEEEE10hipError_tPvRmT3_T4_T5_T6_T7_T9_mT8_P12ihipStream_tbDpT10_ENKUlT_T0_E_clISt17integral_constantIbLb1EES19_IbLb0EEEEDaS15_S16_EUlS15_E_NS1_11comp_targetILNS1_3genE10ELNS1_11target_archE1200ELNS1_3gpuE4ELNS1_3repE0EEENS1_30default_config_static_selectorELNS0_4arch9wavefront6targetE1EEEvT1_.kd
    .uniform_work_group_size: 1
    .uses_dynamic_stack: false
    .vgpr_count:     0
    .vgpr_spill_count: 0
    .wavefront_size: 64
  - .agpr_count:     0
    .args:
      - .offset:         0
        .size:           120
        .value_kind:     by_value
    .group_segment_fixed_size: 0
    .kernarg_segment_align: 8
    .kernarg_segment_size: 120
    .language:       OpenCL C
    .language_version:
      - 2
      - 0
    .max_flat_workgroup_size: 512
    .name:           _ZN7rocprim17ROCPRIM_400000_NS6detail17trampoline_kernelINS0_14default_configENS1_25partition_config_selectorILNS1_17partition_subalgoE3EyNS0_10empty_typeEbEEZZNS1_14partition_implILS5_3ELb0ES3_jN6thrust23THRUST_200600_302600_NS6detail15normal_iteratorINSA_7pointerIyNSA_11hip_rocprim3tagENSA_11use_defaultESG_EEEEPS6_SJ_NS0_5tupleIJPySJ_EEENSK_IJSJ_SJ_EEES6_PlJ7is_evenIyEEEE10hipError_tPvRmT3_T4_T5_T6_T7_T9_mT8_P12ihipStream_tbDpT10_ENKUlT_T0_E_clISt17integral_constantIbLb1EES19_IbLb0EEEEDaS15_S16_EUlS15_E_NS1_11comp_targetILNS1_3genE9ELNS1_11target_archE1100ELNS1_3gpuE3ELNS1_3repE0EEENS1_30default_config_static_selectorELNS0_4arch9wavefront6targetE1EEEvT1_
    .private_segment_fixed_size: 0
    .sgpr_count:     4
    .sgpr_spill_count: 0
    .symbol:         _ZN7rocprim17ROCPRIM_400000_NS6detail17trampoline_kernelINS0_14default_configENS1_25partition_config_selectorILNS1_17partition_subalgoE3EyNS0_10empty_typeEbEEZZNS1_14partition_implILS5_3ELb0ES3_jN6thrust23THRUST_200600_302600_NS6detail15normal_iteratorINSA_7pointerIyNSA_11hip_rocprim3tagENSA_11use_defaultESG_EEEEPS6_SJ_NS0_5tupleIJPySJ_EEENSK_IJSJ_SJ_EEES6_PlJ7is_evenIyEEEE10hipError_tPvRmT3_T4_T5_T6_T7_T9_mT8_P12ihipStream_tbDpT10_ENKUlT_T0_E_clISt17integral_constantIbLb1EES19_IbLb0EEEEDaS15_S16_EUlS15_E_NS1_11comp_targetILNS1_3genE9ELNS1_11target_archE1100ELNS1_3gpuE3ELNS1_3repE0EEENS1_30default_config_static_selectorELNS0_4arch9wavefront6targetE1EEEvT1_.kd
    .uniform_work_group_size: 1
    .uses_dynamic_stack: false
    .vgpr_count:     0
    .vgpr_spill_count: 0
    .wavefront_size: 64
  - .agpr_count:     0
    .args:
      - .offset:         0
        .size:           120
        .value_kind:     by_value
    .group_segment_fixed_size: 0
    .kernarg_segment_align: 8
    .kernarg_segment_size: 120
    .language:       OpenCL C
    .language_version:
      - 2
      - 0
    .max_flat_workgroup_size: 512
    .name:           _ZN7rocprim17ROCPRIM_400000_NS6detail17trampoline_kernelINS0_14default_configENS1_25partition_config_selectorILNS1_17partition_subalgoE3EyNS0_10empty_typeEbEEZZNS1_14partition_implILS5_3ELb0ES3_jN6thrust23THRUST_200600_302600_NS6detail15normal_iteratorINSA_7pointerIyNSA_11hip_rocprim3tagENSA_11use_defaultESG_EEEEPS6_SJ_NS0_5tupleIJPySJ_EEENSK_IJSJ_SJ_EEES6_PlJ7is_evenIyEEEE10hipError_tPvRmT3_T4_T5_T6_T7_T9_mT8_P12ihipStream_tbDpT10_ENKUlT_T0_E_clISt17integral_constantIbLb1EES19_IbLb0EEEEDaS15_S16_EUlS15_E_NS1_11comp_targetILNS1_3genE8ELNS1_11target_archE1030ELNS1_3gpuE2ELNS1_3repE0EEENS1_30default_config_static_selectorELNS0_4arch9wavefront6targetE1EEEvT1_
    .private_segment_fixed_size: 0
    .sgpr_count:     4
    .sgpr_spill_count: 0
    .symbol:         _ZN7rocprim17ROCPRIM_400000_NS6detail17trampoline_kernelINS0_14default_configENS1_25partition_config_selectorILNS1_17partition_subalgoE3EyNS0_10empty_typeEbEEZZNS1_14partition_implILS5_3ELb0ES3_jN6thrust23THRUST_200600_302600_NS6detail15normal_iteratorINSA_7pointerIyNSA_11hip_rocprim3tagENSA_11use_defaultESG_EEEEPS6_SJ_NS0_5tupleIJPySJ_EEENSK_IJSJ_SJ_EEES6_PlJ7is_evenIyEEEE10hipError_tPvRmT3_T4_T5_T6_T7_T9_mT8_P12ihipStream_tbDpT10_ENKUlT_T0_E_clISt17integral_constantIbLb1EES19_IbLb0EEEEDaS15_S16_EUlS15_E_NS1_11comp_targetILNS1_3genE8ELNS1_11target_archE1030ELNS1_3gpuE2ELNS1_3repE0EEENS1_30default_config_static_selectorELNS0_4arch9wavefront6targetE1EEEvT1_.kd
    .uniform_work_group_size: 1
    .uses_dynamic_stack: false
    .vgpr_count:     0
    .vgpr_spill_count: 0
    .wavefront_size: 64
  - .agpr_count:     0
    .args:
      - .offset:         0
        .size:           136
        .value_kind:     by_value
    .group_segment_fixed_size: 0
    .kernarg_segment_align: 8
    .kernarg_segment_size: 136
    .language:       OpenCL C
    .language_version:
      - 2
      - 0
    .max_flat_workgroup_size: 192
    .name:           _ZN7rocprim17ROCPRIM_400000_NS6detail17trampoline_kernelINS0_14default_configENS1_25partition_config_selectorILNS1_17partition_subalgoE3EyNS0_10empty_typeEbEEZZNS1_14partition_implILS5_3ELb0ES3_jN6thrust23THRUST_200600_302600_NS6detail15normal_iteratorINSA_7pointerIyNSA_11hip_rocprim3tagENSA_11use_defaultESG_EEEEPS6_SJ_NS0_5tupleIJPySJ_EEENSK_IJSJ_SJ_EEES6_PlJ7is_evenIyEEEE10hipError_tPvRmT3_T4_T5_T6_T7_T9_mT8_P12ihipStream_tbDpT10_ENKUlT_T0_E_clISt17integral_constantIbLb0EES19_IbLb1EEEEDaS15_S16_EUlS15_E_NS1_11comp_targetILNS1_3genE0ELNS1_11target_archE4294967295ELNS1_3gpuE0ELNS1_3repE0EEENS1_30default_config_static_selectorELNS0_4arch9wavefront6targetE1EEEvT1_
    .private_segment_fixed_size: 0
    .sgpr_count:     4
    .sgpr_spill_count: 0
    .symbol:         _ZN7rocprim17ROCPRIM_400000_NS6detail17trampoline_kernelINS0_14default_configENS1_25partition_config_selectorILNS1_17partition_subalgoE3EyNS0_10empty_typeEbEEZZNS1_14partition_implILS5_3ELb0ES3_jN6thrust23THRUST_200600_302600_NS6detail15normal_iteratorINSA_7pointerIyNSA_11hip_rocprim3tagENSA_11use_defaultESG_EEEEPS6_SJ_NS0_5tupleIJPySJ_EEENSK_IJSJ_SJ_EEES6_PlJ7is_evenIyEEEE10hipError_tPvRmT3_T4_T5_T6_T7_T9_mT8_P12ihipStream_tbDpT10_ENKUlT_T0_E_clISt17integral_constantIbLb0EES19_IbLb1EEEEDaS15_S16_EUlS15_E_NS1_11comp_targetILNS1_3genE0ELNS1_11target_archE4294967295ELNS1_3gpuE0ELNS1_3repE0EEENS1_30default_config_static_selectorELNS0_4arch9wavefront6targetE1EEEvT1_.kd
    .uniform_work_group_size: 1
    .uses_dynamic_stack: false
    .vgpr_count:     0
    .vgpr_spill_count: 0
    .wavefront_size: 64
  - .agpr_count:     0
    .args:
      - .offset:         0
        .size:           136
        .value_kind:     by_value
    .group_segment_fixed_size: 0
    .kernarg_segment_align: 8
    .kernarg_segment_size: 136
    .language:       OpenCL C
    .language_version:
      - 2
      - 0
    .max_flat_workgroup_size: 512
    .name:           _ZN7rocprim17ROCPRIM_400000_NS6detail17trampoline_kernelINS0_14default_configENS1_25partition_config_selectorILNS1_17partition_subalgoE3EyNS0_10empty_typeEbEEZZNS1_14partition_implILS5_3ELb0ES3_jN6thrust23THRUST_200600_302600_NS6detail15normal_iteratorINSA_7pointerIyNSA_11hip_rocprim3tagENSA_11use_defaultESG_EEEEPS6_SJ_NS0_5tupleIJPySJ_EEENSK_IJSJ_SJ_EEES6_PlJ7is_evenIyEEEE10hipError_tPvRmT3_T4_T5_T6_T7_T9_mT8_P12ihipStream_tbDpT10_ENKUlT_T0_E_clISt17integral_constantIbLb0EES19_IbLb1EEEEDaS15_S16_EUlS15_E_NS1_11comp_targetILNS1_3genE5ELNS1_11target_archE942ELNS1_3gpuE9ELNS1_3repE0EEENS1_30default_config_static_selectorELNS0_4arch9wavefront6targetE1EEEvT1_
    .private_segment_fixed_size: 0
    .sgpr_count:     4
    .sgpr_spill_count: 0
    .symbol:         _ZN7rocprim17ROCPRIM_400000_NS6detail17trampoline_kernelINS0_14default_configENS1_25partition_config_selectorILNS1_17partition_subalgoE3EyNS0_10empty_typeEbEEZZNS1_14partition_implILS5_3ELb0ES3_jN6thrust23THRUST_200600_302600_NS6detail15normal_iteratorINSA_7pointerIyNSA_11hip_rocprim3tagENSA_11use_defaultESG_EEEEPS6_SJ_NS0_5tupleIJPySJ_EEENSK_IJSJ_SJ_EEES6_PlJ7is_evenIyEEEE10hipError_tPvRmT3_T4_T5_T6_T7_T9_mT8_P12ihipStream_tbDpT10_ENKUlT_T0_E_clISt17integral_constantIbLb0EES19_IbLb1EEEEDaS15_S16_EUlS15_E_NS1_11comp_targetILNS1_3genE5ELNS1_11target_archE942ELNS1_3gpuE9ELNS1_3repE0EEENS1_30default_config_static_selectorELNS0_4arch9wavefront6targetE1EEEvT1_.kd
    .uniform_work_group_size: 1
    .uses_dynamic_stack: false
    .vgpr_count:     0
    .vgpr_spill_count: 0
    .wavefront_size: 64
  - .agpr_count:     0
    .args:
      - .offset:         0
        .size:           136
        .value_kind:     by_value
    .group_segment_fixed_size: 6344
    .kernarg_segment_align: 8
    .kernarg_segment_size: 136
    .language:       OpenCL C
    .language_version:
      - 2
      - 0
    .max_flat_workgroup_size: 192
    .name:           _ZN7rocprim17ROCPRIM_400000_NS6detail17trampoline_kernelINS0_14default_configENS1_25partition_config_selectorILNS1_17partition_subalgoE3EyNS0_10empty_typeEbEEZZNS1_14partition_implILS5_3ELb0ES3_jN6thrust23THRUST_200600_302600_NS6detail15normal_iteratorINSA_7pointerIyNSA_11hip_rocprim3tagENSA_11use_defaultESG_EEEEPS6_SJ_NS0_5tupleIJPySJ_EEENSK_IJSJ_SJ_EEES6_PlJ7is_evenIyEEEE10hipError_tPvRmT3_T4_T5_T6_T7_T9_mT8_P12ihipStream_tbDpT10_ENKUlT_T0_E_clISt17integral_constantIbLb0EES19_IbLb1EEEEDaS15_S16_EUlS15_E_NS1_11comp_targetILNS1_3genE4ELNS1_11target_archE910ELNS1_3gpuE8ELNS1_3repE0EEENS1_30default_config_static_selectorELNS0_4arch9wavefront6targetE1EEEvT1_
    .private_segment_fixed_size: 0
    .sgpr_count:     48
    .sgpr_spill_count: 0
    .symbol:         _ZN7rocprim17ROCPRIM_400000_NS6detail17trampoline_kernelINS0_14default_configENS1_25partition_config_selectorILNS1_17partition_subalgoE3EyNS0_10empty_typeEbEEZZNS1_14partition_implILS5_3ELb0ES3_jN6thrust23THRUST_200600_302600_NS6detail15normal_iteratorINSA_7pointerIyNSA_11hip_rocprim3tagENSA_11use_defaultESG_EEEEPS6_SJ_NS0_5tupleIJPySJ_EEENSK_IJSJ_SJ_EEES6_PlJ7is_evenIyEEEE10hipError_tPvRmT3_T4_T5_T6_T7_T9_mT8_P12ihipStream_tbDpT10_ENKUlT_T0_E_clISt17integral_constantIbLb0EES19_IbLb1EEEEDaS15_S16_EUlS15_E_NS1_11comp_targetILNS1_3genE4ELNS1_11target_archE910ELNS1_3gpuE8ELNS1_3repE0EEENS1_30default_config_static_selectorELNS0_4arch9wavefront6targetE1EEEvT1_.kd
    .uniform_work_group_size: 1
    .uses_dynamic_stack: false
    .vgpr_count:     46
    .vgpr_spill_count: 0
    .wavefront_size: 64
  - .agpr_count:     0
    .args:
      - .offset:         0
        .size:           136
        .value_kind:     by_value
    .group_segment_fixed_size: 0
    .kernarg_segment_align: 8
    .kernarg_segment_size: 136
    .language:       OpenCL C
    .language_version:
      - 2
      - 0
    .max_flat_workgroup_size: 192
    .name:           _ZN7rocprim17ROCPRIM_400000_NS6detail17trampoline_kernelINS0_14default_configENS1_25partition_config_selectorILNS1_17partition_subalgoE3EyNS0_10empty_typeEbEEZZNS1_14partition_implILS5_3ELb0ES3_jN6thrust23THRUST_200600_302600_NS6detail15normal_iteratorINSA_7pointerIyNSA_11hip_rocprim3tagENSA_11use_defaultESG_EEEEPS6_SJ_NS0_5tupleIJPySJ_EEENSK_IJSJ_SJ_EEES6_PlJ7is_evenIyEEEE10hipError_tPvRmT3_T4_T5_T6_T7_T9_mT8_P12ihipStream_tbDpT10_ENKUlT_T0_E_clISt17integral_constantIbLb0EES19_IbLb1EEEEDaS15_S16_EUlS15_E_NS1_11comp_targetILNS1_3genE3ELNS1_11target_archE908ELNS1_3gpuE7ELNS1_3repE0EEENS1_30default_config_static_selectorELNS0_4arch9wavefront6targetE1EEEvT1_
    .private_segment_fixed_size: 0
    .sgpr_count:     4
    .sgpr_spill_count: 0
    .symbol:         _ZN7rocprim17ROCPRIM_400000_NS6detail17trampoline_kernelINS0_14default_configENS1_25partition_config_selectorILNS1_17partition_subalgoE3EyNS0_10empty_typeEbEEZZNS1_14partition_implILS5_3ELb0ES3_jN6thrust23THRUST_200600_302600_NS6detail15normal_iteratorINSA_7pointerIyNSA_11hip_rocprim3tagENSA_11use_defaultESG_EEEEPS6_SJ_NS0_5tupleIJPySJ_EEENSK_IJSJ_SJ_EEES6_PlJ7is_evenIyEEEE10hipError_tPvRmT3_T4_T5_T6_T7_T9_mT8_P12ihipStream_tbDpT10_ENKUlT_T0_E_clISt17integral_constantIbLb0EES19_IbLb1EEEEDaS15_S16_EUlS15_E_NS1_11comp_targetILNS1_3genE3ELNS1_11target_archE908ELNS1_3gpuE7ELNS1_3repE0EEENS1_30default_config_static_selectorELNS0_4arch9wavefront6targetE1EEEvT1_.kd
    .uniform_work_group_size: 1
    .uses_dynamic_stack: false
    .vgpr_count:     0
    .vgpr_spill_count: 0
    .wavefront_size: 64
  - .agpr_count:     0
    .args:
      - .offset:         0
        .size:           136
        .value_kind:     by_value
    .group_segment_fixed_size: 0
    .kernarg_segment_align: 8
    .kernarg_segment_size: 136
    .language:       OpenCL C
    .language_version:
      - 2
      - 0
    .max_flat_workgroup_size: 256
    .name:           _ZN7rocprim17ROCPRIM_400000_NS6detail17trampoline_kernelINS0_14default_configENS1_25partition_config_selectorILNS1_17partition_subalgoE3EyNS0_10empty_typeEbEEZZNS1_14partition_implILS5_3ELb0ES3_jN6thrust23THRUST_200600_302600_NS6detail15normal_iteratorINSA_7pointerIyNSA_11hip_rocprim3tagENSA_11use_defaultESG_EEEEPS6_SJ_NS0_5tupleIJPySJ_EEENSK_IJSJ_SJ_EEES6_PlJ7is_evenIyEEEE10hipError_tPvRmT3_T4_T5_T6_T7_T9_mT8_P12ihipStream_tbDpT10_ENKUlT_T0_E_clISt17integral_constantIbLb0EES19_IbLb1EEEEDaS15_S16_EUlS15_E_NS1_11comp_targetILNS1_3genE2ELNS1_11target_archE906ELNS1_3gpuE6ELNS1_3repE0EEENS1_30default_config_static_selectorELNS0_4arch9wavefront6targetE1EEEvT1_
    .private_segment_fixed_size: 0
    .sgpr_count:     4
    .sgpr_spill_count: 0
    .symbol:         _ZN7rocprim17ROCPRIM_400000_NS6detail17trampoline_kernelINS0_14default_configENS1_25partition_config_selectorILNS1_17partition_subalgoE3EyNS0_10empty_typeEbEEZZNS1_14partition_implILS5_3ELb0ES3_jN6thrust23THRUST_200600_302600_NS6detail15normal_iteratorINSA_7pointerIyNSA_11hip_rocprim3tagENSA_11use_defaultESG_EEEEPS6_SJ_NS0_5tupleIJPySJ_EEENSK_IJSJ_SJ_EEES6_PlJ7is_evenIyEEEE10hipError_tPvRmT3_T4_T5_T6_T7_T9_mT8_P12ihipStream_tbDpT10_ENKUlT_T0_E_clISt17integral_constantIbLb0EES19_IbLb1EEEEDaS15_S16_EUlS15_E_NS1_11comp_targetILNS1_3genE2ELNS1_11target_archE906ELNS1_3gpuE6ELNS1_3repE0EEENS1_30default_config_static_selectorELNS0_4arch9wavefront6targetE1EEEvT1_.kd
    .uniform_work_group_size: 1
    .uses_dynamic_stack: false
    .vgpr_count:     0
    .vgpr_spill_count: 0
    .wavefront_size: 64
  - .agpr_count:     0
    .args:
      - .offset:         0
        .size:           136
        .value_kind:     by_value
    .group_segment_fixed_size: 0
    .kernarg_segment_align: 8
    .kernarg_segment_size: 136
    .language:       OpenCL C
    .language_version:
      - 2
      - 0
    .max_flat_workgroup_size: 512
    .name:           _ZN7rocprim17ROCPRIM_400000_NS6detail17trampoline_kernelINS0_14default_configENS1_25partition_config_selectorILNS1_17partition_subalgoE3EyNS0_10empty_typeEbEEZZNS1_14partition_implILS5_3ELb0ES3_jN6thrust23THRUST_200600_302600_NS6detail15normal_iteratorINSA_7pointerIyNSA_11hip_rocprim3tagENSA_11use_defaultESG_EEEEPS6_SJ_NS0_5tupleIJPySJ_EEENSK_IJSJ_SJ_EEES6_PlJ7is_evenIyEEEE10hipError_tPvRmT3_T4_T5_T6_T7_T9_mT8_P12ihipStream_tbDpT10_ENKUlT_T0_E_clISt17integral_constantIbLb0EES19_IbLb1EEEEDaS15_S16_EUlS15_E_NS1_11comp_targetILNS1_3genE10ELNS1_11target_archE1200ELNS1_3gpuE4ELNS1_3repE0EEENS1_30default_config_static_selectorELNS0_4arch9wavefront6targetE1EEEvT1_
    .private_segment_fixed_size: 0
    .sgpr_count:     4
    .sgpr_spill_count: 0
    .symbol:         _ZN7rocprim17ROCPRIM_400000_NS6detail17trampoline_kernelINS0_14default_configENS1_25partition_config_selectorILNS1_17partition_subalgoE3EyNS0_10empty_typeEbEEZZNS1_14partition_implILS5_3ELb0ES3_jN6thrust23THRUST_200600_302600_NS6detail15normal_iteratorINSA_7pointerIyNSA_11hip_rocprim3tagENSA_11use_defaultESG_EEEEPS6_SJ_NS0_5tupleIJPySJ_EEENSK_IJSJ_SJ_EEES6_PlJ7is_evenIyEEEE10hipError_tPvRmT3_T4_T5_T6_T7_T9_mT8_P12ihipStream_tbDpT10_ENKUlT_T0_E_clISt17integral_constantIbLb0EES19_IbLb1EEEEDaS15_S16_EUlS15_E_NS1_11comp_targetILNS1_3genE10ELNS1_11target_archE1200ELNS1_3gpuE4ELNS1_3repE0EEENS1_30default_config_static_selectorELNS0_4arch9wavefront6targetE1EEEvT1_.kd
    .uniform_work_group_size: 1
    .uses_dynamic_stack: false
    .vgpr_count:     0
    .vgpr_spill_count: 0
    .wavefront_size: 64
  - .agpr_count:     0
    .args:
      - .offset:         0
        .size:           136
        .value_kind:     by_value
    .group_segment_fixed_size: 0
    .kernarg_segment_align: 8
    .kernarg_segment_size: 136
    .language:       OpenCL C
    .language_version:
      - 2
      - 0
    .max_flat_workgroup_size: 512
    .name:           _ZN7rocprim17ROCPRIM_400000_NS6detail17trampoline_kernelINS0_14default_configENS1_25partition_config_selectorILNS1_17partition_subalgoE3EyNS0_10empty_typeEbEEZZNS1_14partition_implILS5_3ELb0ES3_jN6thrust23THRUST_200600_302600_NS6detail15normal_iteratorINSA_7pointerIyNSA_11hip_rocprim3tagENSA_11use_defaultESG_EEEEPS6_SJ_NS0_5tupleIJPySJ_EEENSK_IJSJ_SJ_EEES6_PlJ7is_evenIyEEEE10hipError_tPvRmT3_T4_T5_T6_T7_T9_mT8_P12ihipStream_tbDpT10_ENKUlT_T0_E_clISt17integral_constantIbLb0EES19_IbLb1EEEEDaS15_S16_EUlS15_E_NS1_11comp_targetILNS1_3genE9ELNS1_11target_archE1100ELNS1_3gpuE3ELNS1_3repE0EEENS1_30default_config_static_selectorELNS0_4arch9wavefront6targetE1EEEvT1_
    .private_segment_fixed_size: 0
    .sgpr_count:     4
    .sgpr_spill_count: 0
    .symbol:         _ZN7rocprim17ROCPRIM_400000_NS6detail17trampoline_kernelINS0_14default_configENS1_25partition_config_selectorILNS1_17partition_subalgoE3EyNS0_10empty_typeEbEEZZNS1_14partition_implILS5_3ELb0ES3_jN6thrust23THRUST_200600_302600_NS6detail15normal_iteratorINSA_7pointerIyNSA_11hip_rocprim3tagENSA_11use_defaultESG_EEEEPS6_SJ_NS0_5tupleIJPySJ_EEENSK_IJSJ_SJ_EEES6_PlJ7is_evenIyEEEE10hipError_tPvRmT3_T4_T5_T6_T7_T9_mT8_P12ihipStream_tbDpT10_ENKUlT_T0_E_clISt17integral_constantIbLb0EES19_IbLb1EEEEDaS15_S16_EUlS15_E_NS1_11comp_targetILNS1_3genE9ELNS1_11target_archE1100ELNS1_3gpuE3ELNS1_3repE0EEENS1_30default_config_static_selectorELNS0_4arch9wavefront6targetE1EEEvT1_.kd
    .uniform_work_group_size: 1
    .uses_dynamic_stack: false
    .vgpr_count:     0
    .vgpr_spill_count: 0
    .wavefront_size: 64
  - .agpr_count:     0
    .args:
      - .offset:         0
        .size:           136
        .value_kind:     by_value
    .group_segment_fixed_size: 0
    .kernarg_segment_align: 8
    .kernarg_segment_size: 136
    .language:       OpenCL C
    .language_version:
      - 2
      - 0
    .max_flat_workgroup_size: 512
    .name:           _ZN7rocprim17ROCPRIM_400000_NS6detail17trampoline_kernelINS0_14default_configENS1_25partition_config_selectorILNS1_17partition_subalgoE3EyNS0_10empty_typeEbEEZZNS1_14partition_implILS5_3ELb0ES3_jN6thrust23THRUST_200600_302600_NS6detail15normal_iteratorINSA_7pointerIyNSA_11hip_rocprim3tagENSA_11use_defaultESG_EEEEPS6_SJ_NS0_5tupleIJPySJ_EEENSK_IJSJ_SJ_EEES6_PlJ7is_evenIyEEEE10hipError_tPvRmT3_T4_T5_T6_T7_T9_mT8_P12ihipStream_tbDpT10_ENKUlT_T0_E_clISt17integral_constantIbLb0EES19_IbLb1EEEEDaS15_S16_EUlS15_E_NS1_11comp_targetILNS1_3genE8ELNS1_11target_archE1030ELNS1_3gpuE2ELNS1_3repE0EEENS1_30default_config_static_selectorELNS0_4arch9wavefront6targetE1EEEvT1_
    .private_segment_fixed_size: 0
    .sgpr_count:     4
    .sgpr_spill_count: 0
    .symbol:         _ZN7rocprim17ROCPRIM_400000_NS6detail17trampoline_kernelINS0_14default_configENS1_25partition_config_selectorILNS1_17partition_subalgoE3EyNS0_10empty_typeEbEEZZNS1_14partition_implILS5_3ELb0ES3_jN6thrust23THRUST_200600_302600_NS6detail15normal_iteratorINSA_7pointerIyNSA_11hip_rocprim3tagENSA_11use_defaultESG_EEEEPS6_SJ_NS0_5tupleIJPySJ_EEENSK_IJSJ_SJ_EEES6_PlJ7is_evenIyEEEE10hipError_tPvRmT3_T4_T5_T6_T7_T9_mT8_P12ihipStream_tbDpT10_ENKUlT_T0_E_clISt17integral_constantIbLb0EES19_IbLb1EEEEDaS15_S16_EUlS15_E_NS1_11comp_targetILNS1_3genE8ELNS1_11target_archE1030ELNS1_3gpuE2ELNS1_3repE0EEENS1_30default_config_static_selectorELNS0_4arch9wavefront6targetE1EEEvT1_.kd
    .uniform_work_group_size: 1
    .uses_dynamic_stack: false
    .vgpr_count:     0
    .vgpr_spill_count: 0
    .wavefront_size: 64
  - .agpr_count:     0
    .args:
      - .offset:         0
        .size:           48
        .value_kind:     by_value
    .group_segment_fixed_size: 0
    .kernarg_segment_align: 8
    .kernarg_segment_size: 48
    .language:       OpenCL C
    .language_version:
      - 2
      - 0
    .max_flat_workgroup_size: 256
    .name:           _ZN7rocprim17ROCPRIM_400000_NS6detail17trampoline_kernelINS0_13kernel_configILj256ELj4ELj4294967295EEENS1_37radix_sort_block_sort_config_selectorIyNS0_10empty_typeEEEZNS1_21radix_sort_block_sortIS4_Lb0EN6thrust23THRUST_200600_302600_NS6detail15normal_iteratorINSA_10device_ptrIyEEEESF_PS6_SG_NS0_19identity_decomposerEEE10hipError_tT1_T2_T3_T4_jRjT5_jjP12ihipStream_tbEUlT_E_NS1_11comp_targetILNS1_3genE0ELNS1_11target_archE4294967295ELNS1_3gpuE0ELNS1_3repE0EEENS1_44radix_sort_block_sort_config_static_selectorELNS0_4arch9wavefront6targetE1EEEvSJ_
    .private_segment_fixed_size: 0
    .sgpr_count:     4
    .sgpr_spill_count: 0
    .symbol:         _ZN7rocprim17ROCPRIM_400000_NS6detail17trampoline_kernelINS0_13kernel_configILj256ELj4ELj4294967295EEENS1_37radix_sort_block_sort_config_selectorIyNS0_10empty_typeEEEZNS1_21radix_sort_block_sortIS4_Lb0EN6thrust23THRUST_200600_302600_NS6detail15normal_iteratorINSA_10device_ptrIyEEEESF_PS6_SG_NS0_19identity_decomposerEEE10hipError_tT1_T2_T3_T4_jRjT5_jjP12ihipStream_tbEUlT_E_NS1_11comp_targetILNS1_3genE0ELNS1_11target_archE4294967295ELNS1_3gpuE0ELNS1_3repE0EEENS1_44radix_sort_block_sort_config_static_selectorELNS0_4arch9wavefront6targetE1EEEvSJ_.kd
    .uniform_work_group_size: 1
    .uses_dynamic_stack: false
    .vgpr_count:     0
    .vgpr_spill_count: 0
    .wavefront_size: 64
  - .agpr_count:     0
    .args:
      - .offset:         0
        .size:           48
        .value_kind:     by_value
    .group_segment_fixed_size: 0
    .kernarg_segment_align: 8
    .kernarg_segment_size: 48
    .language:       OpenCL C
    .language_version:
      - 2
      - 0
    .max_flat_workgroup_size: 256
    .name:           _ZN7rocprim17ROCPRIM_400000_NS6detail17trampoline_kernelINS0_13kernel_configILj256ELj4ELj4294967295EEENS1_37radix_sort_block_sort_config_selectorIyNS0_10empty_typeEEEZNS1_21radix_sort_block_sortIS4_Lb0EN6thrust23THRUST_200600_302600_NS6detail15normal_iteratorINSA_10device_ptrIyEEEESF_PS6_SG_NS0_19identity_decomposerEEE10hipError_tT1_T2_T3_T4_jRjT5_jjP12ihipStream_tbEUlT_E_NS1_11comp_targetILNS1_3genE5ELNS1_11target_archE942ELNS1_3gpuE9ELNS1_3repE0EEENS1_44radix_sort_block_sort_config_static_selectorELNS0_4arch9wavefront6targetE1EEEvSJ_
    .private_segment_fixed_size: 0
    .sgpr_count:     4
    .sgpr_spill_count: 0
    .symbol:         _ZN7rocprim17ROCPRIM_400000_NS6detail17trampoline_kernelINS0_13kernel_configILj256ELj4ELj4294967295EEENS1_37radix_sort_block_sort_config_selectorIyNS0_10empty_typeEEEZNS1_21radix_sort_block_sortIS4_Lb0EN6thrust23THRUST_200600_302600_NS6detail15normal_iteratorINSA_10device_ptrIyEEEESF_PS6_SG_NS0_19identity_decomposerEEE10hipError_tT1_T2_T3_T4_jRjT5_jjP12ihipStream_tbEUlT_E_NS1_11comp_targetILNS1_3genE5ELNS1_11target_archE942ELNS1_3gpuE9ELNS1_3repE0EEENS1_44radix_sort_block_sort_config_static_selectorELNS0_4arch9wavefront6targetE1EEEvSJ_.kd
    .uniform_work_group_size: 1
    .uses_dynamic_stack: false
    .vgpr_count:     0
    .vgpr_spill_count: 0
    .wavefront_size: 64
  - .agpr_count:     0
    .args:
      - .offset:         0
        .size:           48
        .value_kind:     by_value
      - .offset:         48
        .size:           4
        .value_kind:     hidden_block_count_x
      - .offset:         52
        .size:           4
        .value_kind:     hidden_block_count_y
      - .offset:         56
        .size:           4
        .value_kind:     hidden_block_count_z
      - .offset:         60
        .size:           2
        .value_kind:     hidden_group_size_x
      - .offset:         62
        .size:           2
        .value_kind:     hidden_group_size_y
      - .offset:         64
        .size:           2
        .value_kind:     hidden_group_size_z
      - .offset:         66
        .size:           2
        .value_kind:     hidden_remainder_x
      - .offset:         68
        .size:           2
        .value_kind:     hidden_remainder_y
      - .offset:         70
        .size:           2
        .value_kind:     hidden_remainder_z
      - .offset:         88
        .size:           8
        .value_kind:     hidden_global_offset_x
      - .offset:         96
        .size:           8
        .value_kind:     hidden_global_offset_y
      - .offset:         104
        .size:           8
        .value_kind:     hidden_global_offset_z
      - .offset:         112
        .size:           2
        .value_kind:     hidden_grid_dims
    .group_segment_fixed_size: 8192
    .kernarg_segment_align: 8
    .kernarg_segment_size: 304
    .language:       OpenCL C
    .language_version:
      - 2
      - 0
    .max_flat_workgroup_size: 256
    .name:           _ZN7rocprim17ROCPRIM_400000_NS6detail17trampoline_kernelINS0_13kernel_configILj256ELj4ELj4294967295EEENS1_37radix_sort_block_sort_config_selectorIyNS0_10empty_typeEEEZNS1_21radix_sort_block_sortIS4_Lb0EN6thrust23THRUST_200600_302600_NS6detail15normal_iteratorINSA_10device_ptrIyEEEESF_PS6_SG_NS0_19identity_decomposerEEE10hipError_tT1_T2_T3_T4_jRjT5_jjP12ihipStream_tbEUlT_E_NS1_11comp_targetILNS1_3genE4ELNS1_11target_archE910ELNS1_3gpuE8ELNS1_3repE0EEENS1_44radix_sort_block_sort_config_static_selectorELNS0_4arch9wavefront6targetE1EEEvSJ_
    .private_segment_fixed_size: 0
    .sgpr_count:     48
    .sgpr_spill_count: 0
    .symbol:         _ZN7rocprim17ROCPRIM_400000_NS6detail17trampoline_kernelINS0_13kernel_configILj256ELj4ELj4294967295EEENS1_37radix_sort_block_sort_config_selectorIyNS0_10empty_typeEEEZNS1_21radix_sort_block_sortIS4_Lb0EN6thrust23THRUST_200600_302600_NS6detail15normal_iteratorINSA_10device_ptrIyEEEESF_PS6_SG_NS0_19identity_decomposerEEE10hipError_tT1_T2_T3_T4_jRjT5_jjP12ihipStream_tbEUlT_E_NS1_11comp_targetILNS1_3genE4ELNS1_11target_archE910ELNS1_3gpuE8ELNS1_3repE0EEENS1_44radix_sort_block_sort_config_static_selectorELNS0_4arch9wavefront6targetE1EEEvSJ_.kd
    .uniform_work_group_size: 1
    .uses_dynamic_stack: false
    .vgpr_count:     42
    .vgpr_spill_count: 0
    .wavefront_size: 64
  - .agpr_count:     0
    .args:
      - .offset:         0
        .size:           48
        .value_kind:     by_value
    .group_segment_fixed_size: 0
    .kernarg_segment_align: 8
    .kernarg_segment_size: 48
    .language:       OpenCL C
    .language_version:
      - 2
      - 0
    .max_flat_workgroup_size: 256
    .name:           _ZN7rocprim17ROCPRIM_400000_NS6detail17trampoline_kernelINS0_13kernel_configILj256ELj4ELj4294967295EEENS1_37radix_sort_block_sort_config_selectorIyNS0_10empty_typeEEEZNS1_21radix_sort_block_sortIS4_Lb0EN6thrust23THRUST_200600_302600_NS6detail15normal_iteratorINSA_10device_ptrIyEEEESF_PS6_SG_NS0_19identity_decomposerEEE10hipError_tT1_T2_T3_T4_jRjT5_jjP12ihipStream_tbEUlT_E_NS1_11comp_targetILNS1_3genE3ELNS1_11target_archE908ELNS1_3gpuE7ELNS1_3repE0EEENS1_44radix_sort_block_sort_config_static_selectorELNS0_4arch9wavefront6targetE1EEEvSJ_
    .private_segment_fixed_size: 0
    .sgpr_count:     4
    .sgpr_spill_count: 0
    .symbol:         _ZN7rocprim17ROCPRIM_400000_NS6detail17trampoline_kernelINS0_13kernel_configILj256ELj4ELj4294967295EEENS1_37radix_sort_block_sort_config_selectorIyNS0_10empty_typeEEEZNS1_21radix_sort_block_sortIS4_Lb0EN6thrust23THRUST_200600_302600_NS6detail15normal_iteratorINSA_10device_ptrIyEEEESF_PS6_SG_NS0_19identity_decomposerEEE10hipError_tT1_T2_T3_T4_jRjT5_jjP12ihipStream_tbEUlT_E_NS1_11comp_targetILNS1_3genE3ELNS1_11target_archE908ELNS1_3gpuE7ELNS1_3repE0EEENS1_44radix_sort_block_sort_config_static_selectorELNS0_4arch9wavefront6targetE1EEEvSJ_.kd
    .uniform_work_group_size: 1
    .uses_dynamic_stack: false
    .vgpr_count:     0
    .vgpr_spill_count: 0
    .wavefront_size: 64
  - .agpr_count:     0
    .args:
      - .offset:         0
        .size:           48
        .value_kind:     by_value
    .group_segment_fixed_size: 0
    .kernarg_segment_align: 8
    .kernarg_segment_size: 48
    .language:       OpenCL C
    .language_version:
      - 2
      - 0
    .max_flat_workgroup_size: 256
    .name:           _ZN7rocprim17ROCPRIM_400000_NS6detail17trampoline_kernelINS0_13kernel_configILj256ELj4ELj4294967295EEENS1_37radix_sort_block_sort_config_selectorIyNS0_10empty_typeEEEZNS1_21radix_sort_block_sortIS4_Lb0EN6thrust23THRUST_200600_302600_NS6detail15normal_iteratorINSA_10device_ptrIyEEEESF_PS6_SG_NS0_19identity_decomposerEEE10hipError_tT1_T2_T3_T4_jRjT5_jjP12ihipStream_tbEUlT_E_NS1_11comp_targetILNS1_3genE2ELNS1_11target_archE906ELNS1_3gpuE6ELNS1_3repE0EEENS1_44radix_sort_block_sort_config_static_selectorELNS0_4arch9wavefront6targetE1EEEvSJ_
    .private_segment_fixed_size: 0
    .sgpr_count:     4
    .sgpr_spill_count: 0
    .symbol:         _ZN7rocprim17ROCPRIM_400000_NS6detail17trampoline_kernelINS0_13kernel_configILj256ELj4ELj4294967295EEENS1_37radix_sort_block_sort_config_selectorIyNS0_10empty_typeEEEZNS1_21radix_sort_block_sortIS4_Lb0EN6thrust23THRUST_200600_302600_NS6detail15normal_iteratorINSA_10device_ptrIyEEEESF_PS6_SG_NS0_19identity_decomposerEEE10hipError_tT1_T2_T3_T4_jRjT5_jjP12ihipStream_tbEUlT_E_NS1_11comp_targetILNS1_3genE2ELNS1_11target_archE906ELNS1_3gpuE6ELNS1_3repE0EEENS1_44radix_sort_block_sort_config_static_selectorELNS0_4arch9wavefront6targetE1EEEvSJ_.kd
    .uniform_work_group_size: 1
    .uses_dynamic_stack: false
    .vgpr_count:     0
    .vgpr_spill_count: 0
    .wavefront_size: 64
  - .agpr_count:     0
    .args:
      - .offset:         0
        .size:           48
        .value_kind:     by_value
    .group_segment_fixed_size: 0
    .kernarg_segment_align: 8
    .kernarg_segment_size: 48
    .language:       OpenCL C
    .language_version:
      - 2
      - 0
    .max_flat_workgroup_size: 256
    .name:           _ZN7rocprim17ROCPRIM_400000_NS6detail17trampoline_kernelINS0_13kernel_configILj256ELj4ELj4294967295EEENS1_37radix_sort_block_sort_config_selectorIyNS0_10empty_typeEEEZNS1_21radix_sort_block_sortIS4_Lb0EN6thrust23THRUST_200600_302600_NS6detail15normal_iteratorINSA_10device_ptrIyEEEESF_PS6_SG_NS0_19identity_decomposerEEE10hipError_tT1_T2_T3_T4_jRjT5_jjP12ihipStream_tbEUlT_E_NS1_11comp_targetILNS1_3genE10ELNS1_11target_archE1201ELNS1_3gpuE5ELNS1_3repE0EEENS1_44radix_sort_block_sort_config_static_selectorELNS0_4arch9wavefront6targetE1EEEvSJ_
    .private_segment_fixed_size: 0
    .sgpr_count:     4
    .sgpr_spill_count: 0
    .symbol:         _ZN7rocprim17ROCPRIM_400000_NS6detail17trampoline_kernelINS0_13kernel_configILj256ELj4ELj4294967295EEENS1_37radix_sort_block_sort_config_selectorIyNS0_10empty_typeEEEZNS1_21radix_sort_block_sortIS4_Lb0EN6thrust23THRUST_200600_302600_NS6detail15normal_iteratorINSA_10device_ptrIyEEEESF_PS6_SG_NS0_19identity_decomposerEEE10hipError_tT1_T2_T3_T4_jRjT5_jjP12ihipStream_tbEUlT_E_NS1_11comp_targetILNS1_3genE10ELNS1_11target_archE1201ELNS1_3gpuE5ELNS1_3repE0EEENS1_44radix_sort_block_sort_config_static_selectorELNS0_4arch9wavefront6targetE1EEEvSJ_.kd
    .uniform_work_group_size: 1
    .uses_dynamic_stack: false
    .vgpr_count:     0
    .vgpr_spill_count: 0
    .wavefront_size: 64
  - .agpr_count:     0
    .args:
      - .offset:         0
        .size:           48
        .value_kind:     by_value
    .group_segment_fixed_size: 0
    .kernarg_segment_align: 8
    .kernarg_segment_size: 48
    .language:       OpenCL C
    .language_version:
      - 2
      - 0
    .max_flat_workgroup_size: 256
    .name:           _ZN7rocprim17ROCPRIM_400000_NS6detail17trampoline_kernelINS0_13kernel_configILj256ELj4ELj4294967295EEENS1_37radix_sort_block_sort_config_selectorIyNS0_10empty_typeEEEZNS1_21radix_sort_block_sortIS4_Lb0EN6thrust23THRUST_200600_302600_NS6detail15normal_iteratorINSA_10device_ptrIyEEEESF_PS6_SG_NS0_19identity_decomposerEEE10hipError_tT1_T2_T3_T4_jRjT5_jjP12ihipStream_tbEUlT_E_NS1_11comp_targetILNS1_3genE10ELNS1_11target_archE1200ELNS1_3gpuE4ELNS1_3repE0EEENS1_44radix_sort_block_sort_config_static_selectorELNS0_4arch9wavefront6targetE1EEEvSJ_
    .private_segment_fixed_size: 0
    .sgpr_count:     4
    .sgpr_spill_count: 0
    .symbol:         _ZN7rocprim17ROCPRIM_400000_NS6detail17trampoline_kernelINS0_13kernel_configILj256ELj4ELj4294967295EEENS1_37radix_sort_block_sort_config_selectorIyNS0_10empty_typeEEEZNS1_21radix_sort_block_sortIS4_Lb0EN6thrust23THRUST_200600_302600_NS6detail15normal_iteratorINSA_10device_ptrIyEEEESF_PS6_SG_NS0_19identity_decomposerEEE10hipError_tT1_T2_T3_T4_jRjT5_jjP12ihipStream_tbEUlT_E_NS1_11comp_targetILNS1_3genE10ELNS1_11target_archE1200ELNS1_3gpuE4ELNS1_3repE0EEENS1_44radix_sort_block_sort_config_static_selectorELNS0_4arch9wavefront6targetE1EEEvSJ_.kd
    .uniform_work_group_size: 1
    .uses_dynamic_stack: false
    .vgpr_count:     0
    .vgpr_spill_count: 0
    .wavefront_size: 64
  - .agpr_count:     0
    .args:
      - .offset:         0
        .size:           48
        .value_kind:     by_value
    .group_segment_fixed_size: 0
    .kernarg_segment_align: 8
    .kernarg_segment_size: 48
    .language:       OpenCL C
    .language_version:
      - 2
      - 0
    .max_flat_workgroup_size: 256
    .name:           _ZN7rocprim17ROCPRIM_400000_NS6detail17trampoline_kernelINS0_13kernel_configILj256ELj4ELj4294967295EEENS1_37radix_sort_block_sort_config_selectorIyNS0_10empty_typeEEEZNS1_21radix_sort_block_sortIS4_Lb0EN6thrust23THRUST_200600_302600_NS6detail15normal_iteratorINSA_10device_ptrIyEEEESF_PS6_SG_NS0_19identity_decomposerEEE10hipError_tT1_T2_T3_T4_jRjT5_jjP12ihipStream_tbEUlT_E_NS1_11comp_targetILNS1_3genE9ELNS1_11target_archE1100ELNS1_3gpuE3ELNS1_3repE0EEENS1_44radix_sort_block_sort_config_static_selectorELNS0_4arch9wavefront6targetE1EEEvSJ_
    .private_segment_fixed_size: 0
    .sgpr_count:     4
    .sgpr_spill_count: 0
    .symbol:         _ZN7rocprim17ROCPRIM_400000_NS6detail17trampoline_kernelINS0_13kernel_configILj256ELj4ELj4294967295EEENS1_37radix_sort_block_sort_config_selectorIyNS0_10empty_typeEEEZNS1_21radix_sort_block_sortIS4_Lb0EN6thrust23THRUST_200600_302600_NS6detail15normal_iteratorINSA_10device_ptrIyEEEESF_PS6_SG_NS0_19identity_decomposerEEE10hipError_tT1_T2_T3_T4_jRjT5_jjP12ihipStream_tbEUlT_E_NS1_11comp_targetILNS1_3genE9ELNS1_11target_archE1100ELNS1_3gpuE3ELNS1_3repE0EEENS1_44radix_sort_block_sort_config_static_selectorELNS0_4arch9wavefront6targetE1EEEvSJ_.kd
    .uniform_work_group_size: 1
    .uses_dynamic_stack: false
    .vgpr_count:     0
    .vgpr_spill_count: 0
    .wavefront_size: 64
  - .agpr_count:     0
    .args:
      - .offset:         0
        .size:           48
        .value_kind:     by_value
    .group_segment_fixed_size: 0
    .kernarg_segment_align: 8
    .kernarg_segment_size: 48
    .language:       OpenCL C
    .language_version:
      - 2
      - 0
    .max_flat_workgroup_size: 256
    .name:           _ZN7rocprim17ROCPRIM_400000_NS6detail17trampoline_kernelINS0_13kernel_configILj256ELj4ELj4294967295EEENS1_37radix_sort_block_sort_config_selectorIyNS0_10empty_typeEEEZNS1_21radix_sort_block_sortIS4_Lb0EN6thrust23THRUST_200600_302600_NS6detail15normal_iteratorINSA_10device_ptrIyEEEESF_PS6_SG_NS0_19identity_decomposerEEE10hipError_tT1_T2_T3_T4_jRjT5_jjP12ihipStream_tbEUlT_E_NS1_11comp_targetILNS1_3genE8ELNS1_11target_archE1030ELNS1_3gpuE2ELNS1_3repE0EEENS1_44radix_sort_block_sort_config_static_selectorELNS0_4arch9wavefront6targetE1EEEvSJ_
    .private_segment_fixed_size: 0
    .sgpr_count:     4
    .sgpr_spill_count: 0
    .symbol:         _ZN7rocprim17ROCPRIM_400000_NS6detail17trampoline_kernelINS0_13kernel_configILj256ELj4ELj4294967295EEENS1_37radix_sort_block_sort_config_selectorIyNS0_10empty_typeEEEZNS1_21radix_sort_block_sortIS4_Lb0EN6thrust23THRUST_200600_302600_NS6detail15normal_iteratorINSA_10device_ptrIyEEEESF_PS6_SG_NS0_19identity_decomposerEEE10hipError_tT1_T2_T3_T4_jRjT5_jjP12ihipStream_tbEUlT_E_NS1_11comp_targetILNS1_3genE8ELNS1_11target_archE1030ELNS1_3gpuE2ELNS1_3repE0EEENS1_44radix_sort_block_sort_config_static_selectorELNS0_4arch9wavefront6targetE1EEEvSJ_.kd
    .uniform_work_group_size: 1
    .uses_dynamic_stack: false
    .vgpr_count:     0
    .vgpr_spill_count: 0
    .wavefront_size: 64
  - .agpr_count:     0
    .args:           []
    .group_segment_fixed_size: 0
    .kernarg_segment_align: 4
    .kernarg_segment_size: 0
    .language:       OpenCL C
    .language_version:
      - 2
      - 0
    .max_flat_workgroup_size: 1024
    .name:           _ZN7rocprim17ROCPRIM_400000_NS6detail44device_merge_sort_compile_time_verifier_archINS1_11comp_targetILNS1_3genE0ELNS1_11target_archE4294967295ELNS1_3gpuE0ELNS1_3repE0EEES8_NS1_28merge_sort_block_sort_configILj256ELj4ELNS0_20block_sort_algorithmE0EEENS0_14default_configENS1_37merge_sort_block_sort_config_selectorIyNS0_10empty_typeEEENS1_38merge_sort_block_merge_config_selectorIySE_EEEEvv
    .private_segment_fixed_size: 0
    .sgpr_count:     4
    .sgpr_spill_count: 0
    .symbol:         _ZN7rocprim17ROCPRIM_400000_NS6detail44device_merge_sort_compile_time_verifier_archINS1_11comp_targetILNS1_3genE0ELNS1_11target_archE4294967295ELNS1_3gpuE0ELNS1_3repE0EEES8_NS1_28merge_sort_block_sort_configILj256ELj4ELNS0_20block_sort_algorithmE0EEENS0_14default_configENS1_37merge_sort_block_sort_config_selectorIyNS0_10empty_typeEEENS1_38merge_sort_block_merge_config_selectorIySE_EEEEvv.kd
    .uniform_work_group_size: 1
    .uses_dynamic_stack: false
    .vgpr_count:     0
    .vgpr_spill_count: 0
    .wavefront_size: 64
  - .agpr_count:     0
    .args:           []
    .group_segment_fixed_size: 0
    .kernarg_segment_align: 4
    .kernarg_segment_size: 0
    .language:       OpenCL C
    .language_version:
      - 2
      - 0
    .max_flat_workgroup_size: 1024
    .name:           _ZN7rocprim17ROCPRIM_400000_NS6detail44device_merge_sort_compile_time_verifier_archINS1_11comp_targetILNS1_3genE5ELNS1_11target_archE942ELNS1_3gpuE9ELNS1_3repE0EEES8_NS1_28merge_sort_block_sort_configILj256ELj4ELNS0_20block_sort_algorithmE0EEENS0_14default_configENS1_37merge_sort_block_sort_config_selectorIyNS0_10empty_typeEEENS1_38merge_sort_block_merge_config_selectorIySE_EEEEvv
    .private_segment_fixed_size: 0
    .sgpr_count:     4
    .sgpr_spill_count: 0
    .symbol:         _ZN7rocprim17ROCPRIM_400000_NS6detail44device_merge_sort_compile_time_verifier_archINS1_11comp_targetILNS1_3genE5ELNS1_11target_archE942ELNS1_3gpuE9ELNS1_3repE0EEES8_NS1_28merge_sort_block_sort_configILj256ELj4ELNS0_20block_sort_algorithmE0EEENS0_14default_configENS1_37merge_sort_block_sort_config_selectorIyNS0_10empty_typeEEENS1_38merge_sort_block_merge_config_selectorIySE_EEEEvv.kd
    .uniform_work_group_size: 1
    .uses_dynamic_stack: false
    .vgpr_count:     0
    .vgpr_spill_count: 0
    .wavefront_size: 64
  - .agpr_count:     0
    .args:           []
    .group_segment_fixed_size: 0
    .kernarg_segment_align: 4
    .kernarg_segment_size: 0
    .language:       OpenCL C
    .language_version:
      - 2
      - 0
    .max_flat_workgroup_size: 1024
    .name:           _ZN7rocprim17ROCPRIM_400000_NS6detail44device_merge_sort_compile_time_verifier_archINS1_11comp_targetILNS1_3genE4ELNS1_11target_archE910ELNS1_3gpuE8ELNS1_3repE0EEES8_NS1_28merge_sort_block_sort_configILj256ELj4ELNS0_20block_sort_algorithmE0EEENS0_14default_configENS1_37merge_sort_block_sort_config_selectorIyNS0_10empty_typeEEENS1_38merge_sort_block_merge_config_selectorIySE_EEEEvv
    .private_segment_fixed_size: 0
    .sgpr_count:     4
    .sgpr_spill_count: 0
    .symbol:         _ZN7rocprim17ROCPRIM_400000_NS6detail44device_merge_sort_compile_time_verifier_archINS1_11comp_targetILNS1_3genE4ELNS1_11target_archE910ELNS1_3gpuE8ELNS1_3repE0EEES8_NS1_28merge_sort_block_sort_configILj256ELj4ELNS0_20block_sort_algorithmE0EEENS0_14default_configENS1_37merge_sort_block_sort_config_selectorIyNS0_10empty_typeEEENS1_38merge_sort_block_merge_config_selectorIySE_EEEEvv.kd
    .uniform_work_group_size: 1
    .uses_dynamic_stack: false
    .vgpr_count:     0
    .vgpr_spill_count: 0
    .wavefront_size: 64
  - .agpr_count:     0
    .args:           []
    .group_segment_fixed_size: 0
    .kernarg_segment_align: 4
    .kernarg_segment_size: 0
    .language:       OpenCL C
    .language_version:
      - 2
      - 0
    .max_flat_workgroup_size: 1024
    .name:           _ZN7rocprim17ROCPRIM_400000_NS6detail44device_merge_sort_compile_time_verifier_archINS1_11comp_targetILNS1_3genE3ELNS1_11target_archE908ELNS1_3gpuE7ELNS1_3repE0EEES8_NS1_28merge_sort_block_sort_configILj256ELj4ELNS0_20block_sort_algorithmE0EEENS0_14default_configENS1_37merge_sort_block_sort_config_selectorIyNS0_10empty_typeEEENS1_38merge_sort_block_merge_config_selectorIySE_EEEEvv
    .private_segment_fixed_size: 0
    .sgpr_count:     4
    .sgpr_spill_count: 0
    .symbol:         _ZN7rocprim17ROCPRIM_400000_NS6detail44device_merge_sort_compile_time_verifier_archINS1_11comp_targetILNS1_3genE3ELNS1_11target_archE908ELNS1_3gpuE7ELNS1_3repE0EEES8_NS1_28merge_sort_block_sort_configILj256ELj4ELNS0_20block_sort_algorithmE0EEENS0_14default_configENS1_37merge_sort_block_sort_config_selectorIyNS0_10empty_typeEEENS1_38merge_sort_block_merge_config_selectorIySE_EEEEvv.kd
    .uniform_work_group_size: 1
    .uses_dynamic_stack: false
    .vgpr_count:     0
    .vgpr_spill_count: 0
    .wavefront_size: 64
  - .agpr_count:     0
    .args:           []
    .group_segment_fixed_size: 0
    .kernarg_segment_align: 4
    .kernarg_segment_size: 0
    .language:       OpenCL C
    .language_version:
      - 2
      - 0
    .max_flat_workgroup_size: 1024
    .name:           _ZN7rocprim17ROCPRIM_400000_NS6detail44device_merge_sort_compile_time_verifier_archINS1_11comp_targetILNS1_3genE2ELNS1_11target_archE906ELNS1_3gpuE6ELNS1_3repE0EEES8_NS1_28merge_sort_block_sort_configILj256ELj4ELNS0_20block_sort_algorithmE0EEENS0_14default_configENS1_37merge_sort_block_sort_config_selectorIyNS0_10empty_typeEEENS1_38merge_sort_block_merge_config_selectorIySE_EEEEvv
    .private_segment_fixed_size: 0
    .sgpr_count:     4
    .sgpr_spill_count: 0
    .symbol:         _ZN7rocprim17ROCPRIM_400000_NS6detail44device_merge_sort_compile_time_verifier_archINS1_11comp_targetILNS1_3genE2ELNS1_11target_archE906ELNS1_3gpuE6ELNS1_3repE0EEES8_NS1_28merge_sort_block_sort_configILj256ELj4ELNS0_20block_sort_algorithmE0EEENS0_14default_configENS1_37merge_sort_block_sort_config_selectorIyNS0_10empty_typeEEENS1_38merge_sort_block_merge_config_selectorIySE_EEEEvv.kd
    .uniform_work_group_size: 1
    .uses_dynamic_stack: false
    .vgpr_count:     0
    .vgpr_spill_count: 0
    .wavefront_size: 64
  - .agpr_count:     0
    .args:           []
    .group_segment_fixed_size: 0
    .kernarg_segment_align: 4
    .kernarg_segment_size: 0
    .language:       OpenCL C
    .language_version:
      - 2
      - 0
    .max_flat_workgroup_size: 1024
    .name:           _ZN7rocprim17ROCPRIM_400000_NS6detail44device_merge_sort_compile_time_verifier_archINS1_11comp_targetILNS1_3genE10ELNS1_11target_archE1201ELNS1_3gpuE5ELNS1_3repE0EEES8_NS1_28merge_sort_block_sort_configILj256ELj4ELNS0_20block_sort_algorithmE0EEENS0_14default_configENS1_37merge_sort_block_sort_config_selectorIyNS0_10empty_typeEEENS1_38merge_sort_block_merge_config_selectorIySE_EEEEvv
    .private_segment_fixed_size: 0
    .sgpr_count:     4
    .sgpr_spill_count: 0
    .symbol:         _ZN7rocprim17ROCPRIM_400000_NS6detail44device_merge_sort_compile_time_verifier_archINS1_11comp_targetILNS1_3genE10ELNS1_11target_archE1201ELNS1_3gpuE5ELNS1_3repE0EEES8_NS1_28merge_sort_block_sort_configILj256ELj4ELNS0_20block_sort_algorithmE0EEENS0_14default_configENS1_37merge_sort_block_sort_config_selectorIyNS0_10empty_typeEEENS1_38merge_sort_block_merge_config_selectorIySE_EEEEvv.kd
    .uniform_work_group_size: 1
    .uses_dynamic_stack: false
    .vgpr_count:     0
    .vgpr_spill_count: 0
    .wavefront_size: 64
  - .agpr_count:     0
    .args:           []
    .group_segment_fixed_size: 0
    .kernarg_segment_align: 4
    .kernarg_segment_size: 0
    .language:       OpenCL C
    .language_version:
      - 2
      - 0
    .max_flat_workgroup_size: 1024
    .name:           _ZN7rocprim17ROCPRIM_400000_NS6detail44device_merge_sort_compile_time_verifier_archINS1_11comp_targetILNS1_3genE10ELNS1_11target_archE1200ELNS1_3gpuE4ELNS1_3repE0EEENS3_ILS4_10ELS5_1201ELS6_5ELS7_0EEENS1_28merge_sort_block_sort_configILj256ELj4ELNS0_20block_sort_algorithmE0EEENS0_14default_configENS1_37merge_sort_block_sort_config_selectorIyNS0_10empty_typeEEENS1_38merge_sort_block_merge_config_selectorIySF_EEEEvv
    .private_segment_fixed_size: 0
    .sgpr_count:     4
    .sgpr_spill_count: 0
    .symbol:         _ZN7rocprim17ROCPRIM_400000_NS6detail44device_merge_sort_compile_time_verifier_archINS1_11comp_targetILNS1_3genE10ELNS1_11target_archE1200ELNS1_3gpuE4ELNS1_3repE0EEENS3_ILS4_10ELS5_1201ELS6_5ELS7_0EEENS1_28merge_sort_block_sort_configILj256ELj4ELNS0_20block_sort_algorithmE0EEENS0_14default_configENS1_37merge_sort_block_sort_config_selectorIyNS0_10empty_typeEEENS1_38merge_sort_block_merge_config_selectorIySF_EEEEvv.kd
    .uniform_work_group_size: 1
    .uses_dynamic_stack: false
    .vgpr_count:     0
    .vgpr_spill_count: 0
    .wavefront_size: 64
  - .agpr_count:     0
    .args:           []
    .group_segment_fixed_size: 0
    .kernarg_segment_align: 4
    .kernarg_segment_size: 0
    .language:       OpenCL C
    .language_version:
      - 2
      - 0
    .max_flat_workgroup_size: 1024
    .name:           _ZN7rocprim17ROCPRIM_400000_NS6detail44device_merge_sort_compile_time_verifier_archINS1_11comp_targetILNS1_3genE9ELNS1_11target_archE1100ELNS1_3gpuE3ELNS1_3repE0EEES8_NS1_28merge_sort_block_sort_configILj256ELj4ELNS0_20block_sort_algorithmE0EEENS0_14default_configENS1_37merge_sort_block_sort_config_selectorIyNS0_10empty_typeEEENS1_38merge_sort_block_merge_config_selectorIySE_EEEEvv
    .private_segment_fixed_size: 0
    .sgpr_count:     4
    .sgpr_spill_count: 0
    .symbol:         _ZN7rocprim17ROCPRIM_400000_NS6detail44device_merge_sort_compile_time_verifier_archINS1_11comp_targetILNS1_3genE9ELNS1_11target_archE1100ELNS1_3gpuE3ELNS1_3repE0EEES8_NS1_28merge_sort_block_sort_configILj256ELj4ELNS0_20block_sort_algorithmE0EEENS0_14default_configENS1_37merge_sort_block_sort_config_selectorIyNS0_10empty_typeEEENS1_38merge_sort_block_merge_config_selectorIySE_EEEEvv.kd
    .uniform_work_group_size: 1
    .uses_dynamic_stack: false
    .vgpr_count:     0
    .vgpr_spill_count: 0
    .wavefront_size: 64
  - .agpr_count:     0
    .args:           []
    .group_segment_fixed_size: 0
    .kernarg_segment_align: 4
    .kernarg_segment_size: 0
    .language:       OpenCL C
    .language_version:
      - 2
      - 0
    .max_flat_workgroup_size: 1024
    .name:           _ZN7rocprim17ROCPRIM_400000_NS6detail44device_merge_sort_compile_time_verifier_archINS1_11comp_targetILNS1_3genE8ELNS1_11target_archE1030ELNS1_3gpuE2ELNS1_3repE0EEES8_NS1_28merge_sort_block_sort_configILj256ELj4ELNS0_20block_sort_algorithmE0EEENS0_14default_configENS1_37merge_sort_block_sort_config_selectorIyNS0_10empty_typeEEENS1_38merge_sort_block_merge_config_selectorIySE_EEEEvv
    .private_segment_fixed_size: 0
    .sgpr_count:     4
    .sgpr_spill_count: 0
    .symbol:         _ZN7rocprim17ROCPRIM_400000_NS6detail44device_merge_sort_compile_time_verifier_archINS1_11comp_targetILNS1_3genE8ELNS1_11target_archE1030ELNS1_3gpuE2ELNS1_3repE0EEES8_NS1_28merge_sort_block_sort_configILj256ELj4ELNS0_20block_sort_algorithmE0EEENS0_14default_configENS1_37merge_sort_block_sort_config_selectorIyNS0_10empty_typeEEENS1_38merge_sort_block_merge_config_selectorIySE_EEEEvv.kd
    .uniform_work_group_size: 1
    .uses_dynamic_stack: false
    .vgpr_count:     0
    .vgpr_spill_count: 0
    .wavefront_size: 64
  - .agpr_count:     0
    .args:
      - .offset:         0
        .size:           40
        .value_kind:     by_value
    .group_segment_fixed_size: 0
    .kernarg_segment_align: 8
    .kernarg_segment_size: 40
    .language:       OpenCL C
    .language_version:
      - 2
      - 0
    .max_flat_workgroup_size: 128
    .name:           _ZN7rocprim17ROCPRIM_400000_NS6detail17trampoline_kernelINS0_14default_configENS1_38merge_sort_block_merge_config_selectorIyNS0_10empty_typeEEEZZNS1_27merge_sort_block_merge_implIS3_N6thrust23THRUST_200600_302600_NS6detail15normal_iteratorINS9_10device_ptrIyEEEEPS5_jNS1_19radix_merge_compareILb0ELb0EyNS0_19identity_decomposerEEEEE10hipError_tT0_T1_T2_jT3_P12ihipStream_tbPNSt15iterator_traitsISK_E10value_typeEPNSQ_ISL_E10value_typeEPSM_NS1_7vsmem_tEENKUlT_SK_SL_SM_E_clIPySE_SF_SF_EESJ_SZ_SK_SL_SM_EUlSZ_E_NS1_11comp_targetILNS1_3genE0ELNS1_11target_archE4294967295ELNS1_3gpuE0ELNS1_3repE0EEENS1_48merge_mergepath_partition_config_static_selectorELNS0_4arch9wavefront6targetE1EEEvSL_
    .private_segment_fixed_size: 0
    .sgpr_count:     4
    .sgpr_spill_count: 0
    .symbol:         _ZN7rocprim17ROCPRIM_400000_NS6detail17trampoline_kernelINS0_14default_configENS1_38merge_sort_block_merge_config_selectorIyNS0_10empty_typeEEEZZNS1_27merge_sort_block_merge_implIS3_N6thrust23THRUST_200600_302600_NS6detail15normal_iteratorINS9_10device_ptrIyEEEEPS5_jNS1_19radix_merge_compareILb0ELb0EyNS0_19identity_decomposerEEEEE10hipError_tT0_T1_T2_jT3_P12ihipStream_tbPNSt15iterator_traitsISK_E10value_typeEPNSQ_ISL_E10value_typeEPSM_NS1_7vsmem_tEENKUlT_SK_SL_SM_E_clIPySE_SF_SF_EESJ_SZ_SK_SL_SM_EUlSZ_E_NS1_11comp_targetILNS1_3genE0ELNS1_11target_archE4294967295ELNS1_3gpuE0ELNS1_3repE0EEENS1_48merge_mergepath_partition_config_static_selectorELNS0_4arch9wavefront6targetE1EEEvSL_.kd
    .uniform_work_group_size: 1
    .uses_dynamic_stack: false
    .vgpr_count:     0
    .vgpr_spill_count: 0
    .wavefront_size: 64
  - .agpr_count:     0
    .args:
      - .offset:         0
        .size:           40
        .value_kind:     by_value
    .group_segment_fixed_size: 0
    .kernarg_segment_align: 8
    .kernarg_segment_size: 40
    .language:       OpenCL C
    .language_version:
      - 2
      - 0
    .max_flat_workgroup_size: 128
    .name:           _ZN7rocprim17ROCPRIM_400000_NS6detail17trampoline_kernelINS0_14default_configENS1_38merge_sort_block_merge_config_selectorIyNS0_10empty_typeEEEZZNS1_27merge_sort_block_merge_implIS3_N6thrust23THRUST_200600_302600_NS6detail15normal_iteratorINS9_10device_ptrIyEEEEPS5_jNS1_19radix_merge_compareILb0ELb0EyNS0_19identity_decomposerEEEEE10hipError_tT0_T1_T2_jT3_P12ihipStream_tbPNSt15iterator_traitsISK_E10value_typeEPNSQ_ISL_E10value_typeEPSM_NS1_7vsmem_tEENKUlT_SK_SL_SM_E_clIPySE_SF_SF_EESJ_SZ_SK_SL_SM_EUlSZ_E_NS1_11comp_targetILNS1_3genE10ELNS1_11target_archE1201ELNS1_3gpuE5ELNS1_3repE0EEENS1_48merge_mergepath_partition_config_static_selectorELNS0_4arch9wavefront6targetE1EEEvSL_
    .private_segment_fixed_size: 0
    .sgpr_count:     4
    .sgpr_spill_count: 0
    .symbol:         _ZN7rocprim17ROCPRIM_400000_NS6detail17trampoline_kernelINS0_14default_configENS1_38merge_sort_block_merge_config_selectorIyNS0_10empty_typeEEEZZNS1_27merge_sort_block_merge_implIS3_N6thrust23THRUST_200600_302600_NS6detail15normal_iteratorINS9_10device_ptrIyEEEEPS5_jNS1_19radix_merge_compareILb0ELb0EyNS0_19identity_decomposerEEEEE10hipError_tT0_T1_T2_jT3_P12ihipStream_tbPNSt15iterator_traitsISK_E10value_typeEPNSQ_ISL_E10value_typeEPSM_NS1_7vsmem_tEENKUlT_SK_SL_SM_E_clIPySE_SF_SF_EESJ_SZ_SK_SL_SM_EUlSZ_E_NS1_11comp_targetILNS1_3genE10ELNS1_11target_archE1201ELNS1_3gpuE5ELNS1_3repE0EEENS1_48merge_mergepath_partition_config_static_selectorELNS0_4arch9wavefront6targetE1EEEvSL_.kd
    .uniform_work_group_size: 1
    .uses_dynamic_stack: false
    .vgpr_count:     0
    .vgpr_spill_count: 0
    .wavefront_size: 64
  - .agpr_count:     0
    .args:
      - .offset:         0
        .size:           40
        .value_kind:     by_value
    .group_segment_fixed_size: 0
    .kernarg_segment_align: 8
    .kernarg_segment_size: 40
    .language:       OpenCL C
    .language_version:
      - 2
      - 0
    .max_flat_workgroup_size: 128
    .name:           _ZN7rocprim17ROCPRIM_400000_NS6detail17trampoline_kernelINS0_14default_configENS1_38merge_sort_block_merge_config_selectorIyNS0_10empty_typeEEEZZNS1_27merge_sort_block_merge_implIS3_N6thrust23THRUST_200600_302600_NS6detail15normal_iteratorINS9_10device_ptrIyEEEEPS5_jNS1_19radix_merge_compareILb0ELb0EyNS0_19identity_decomposerEEEEE10hipError_tT0_T1_T2_jT3_P12ihipStream_tbPNSt15iterator_traitsISK_E10value_typeEPNSQ_ISL_E10value_typeEPSM_NS1_7vsmem_tEENKUlT_SK_SL_SM_E_clIPySE_SF_SF_EESJ_SZ_SK_SL_SM_EUlSZ_E_NS1_11comp_targetILNS1_3genE5ELNS1_11target_archE942ELNS1_3gpuE9ELNS1_3repE0EEENS1_48merge_mergepath_partition_config_static_selectorELNS0_4arch9wavefront6targetE1EEEvSL_
    .private_segment_fixed_size: 0
    .sgpr_count:     4
    .sgpr_spill_count: 0
    .symbol:         _ZN7rocprim17ROCPRIM_400000_NS6detail17trampoline_kernelINS0_14default_configENS1_38merge_sort_block_merge_config_selectorIyNS0_10empty_typeEEEZZNS1_27merge_sort_block_merge_implIS3_N6thrust23THRUST_200600_302600_NS6detail15normal_iteratorINS9_10device_ptrIyEEEEPS5_jNS1_19radix_merge_compareILb0ELb0EyNS0_19identity_decomposerEEEEE10hipError_tT0_T1_T2_jT3_P12ihipStream_tbPNSt15iterator_traitsISK_E10value_typeEPNSQ_ISL_E10value_typeEPSM_NS1_7vsmem_tEENKUlT_SK_SL_SM_E_clIPySE_SF_SF_EESJ_SZ_SK_SL_SM_EUlSZ_E_NS1_11comp_targetILNS1_3genE5ELNS1_11target_archE942ELNS1_3gpuE9ELNS1_3repE0EEENS1_48merge_mergepath_partition_config_static_selectorELNS0_4arch9wavefront6targetE1EEEvSL_.kd
    .uniform_work_group_size: 1
    .uses_dynamic_stack: false
    .vgpr_count:     0
    .vgpr_spill_count: 0
    .wavefront_size: 64
  - .agpr_count:     0
    .args:
      - .offset:         0
        .size:           40
        .value_kind:     by_value
    .group_segment_fixed_size: 0
    .kernarg_segment_align: 8
    .kernarg_segment_size: 40
    .language:       OpenCL C
    .language_version:
      - 2
      - 0
    .max_flat_workgroup_size: 128
    .name:           _ZN7rocprim17ROCPRIM_400000_NS6detail17trampoline_kernelINS0_14default_configENS1_38merge_sort_block_merge_config_selectorIyNS0_10empty_typeEEEZZNS1_27merge_sort_block_merge_implIS3_N6thrust23THRUST_200600_302600_NS6detail15normal_iteratorINS9_10device_ptrIyEEEEPS5_jNS1_19radix_merge_compareILb0ELb0EyNS0_19identity_decomposerEEEEE10hipError_tT0_T1_T2_jT3_P12ihipStream_tbPNSt15iterator_traitsISK_E10value_typeEPNSQ_ISL_E10value_typeEPSM_NS1_7vsmem_tEENKUlT_SK_SL_SM_E_clIPySE_SF_SF_EESJ_SZ_SK_SL_SM_EUlSZ_E_NS1_11comp_targetILNS1_3genE4ELNS1_11target_archE910ELNS1_3gpuE8ELNS1_3repE0EEENS1_48merge_mergepath_partition_config_static_selectorELNS0_4arch9wavefront6targetE1EEEvSL_
    .private_segment_fixed_size: 0
    .sgpr_count:     12
    .sgpr_spill_count: 0
    .symbol:         _ZN7rocprim17ROCPRIM_400000_NS6detail17trampoline_kernelINS0_14default_configENS1_38merge_sort_block_merge_config_selectorIyNS0_10empty_typeEEEZZNS1_27merge_sort_block_merge_implIS3_N6thrust23THRUST_200600_302600_NS6detail15normal_iteratorINS9_10device_ptrIyEEEEPS5_jNS1_19radix_merge_compareILb0ELb0EyNS0_19identity_decomposerEEEEE10hipError_tT0_T1_T2_jT3_P12ihipStream_tbPNSt15iterator_traitsISK_E10value_typeEPNSQ_ISL_E10value_typeEPSM_NS1_7vsmem_tEENKUlT_SK_SL_SM_E_clIPySE_SF_SF_EESJ_SZ_SK_SL_SM_EUlSZ_E_NS1_11comp_targetILNS1_3genE4ELNS1_11target_archE910ELNS1_3gpuE8ELNS1_3repE0EEENS1_48merge_mergepath_partition_config_static_selectorELNS0_4arch9wavefront6targetE1EEEvSL_.kd
    .uniform_work_group_size: 1
    .uses_dynamic_stack: false
    .vgpr_count:     20
    .vgpr_spill_count: 0
    .wavefront_size: 64
  - .agpr_count:     0
    .args:
      - .offset:         0
        .size:           40
        .value_kind:     by_value
    .group_segment_fixed_size: 0
    .kernarg_segment_align: 8
    .kernarg_segment_size: 40
    .language:       OpenCL C
    .language_version:
      - 2
      - 0
    .max_flat_workgroup_size: 128
    .name:           _ZN7rocprim17ROCPRIM_400000_NS6detail17trampoline_kernelINS0_14default_configENS1_38merge_sort_block_merge_config_selectorIyNS0_10empty_typeEEEZZNS1_27merge_sort_block_merge_implIS3_N6thrust23THRUST_200600_302600_NS6detail15normal_iteratorINS9_10device_ptrIyEEEEPS5_jNS1_19radix_merge_compareILb0ELb0EyNS0_19identity_decomposerEEEEE10hipError_tT0_T1_T2_jT3_P12ihipStream_tbPNSt15iterator_traitsISK_E10value_typeEPNSQ_ISL_E10value_typeEPSM_NS1_7vsmem_tEENKUlT_SK_SL_SM_E_clIPySE_SF_SF_EESJ_SZ_SK_SL_SM_EUlSZ_E_NS1_11comp_targetILNS1_3genE3ELNS1_11target_archE908ELNS1_3gpuE7ELNS1_3repE0EEENS1_48merge_mergepath_partition_config_static_selectorELNS0_4arch9wavefront6targetE1EEEvSL_
    .private_segment_fixed_size: 0
    .sgpr_count:     4
    .sgpr_spill_count: 0
    .symbol:         _ZN7rocprim17ROCPRIM_400000_NS6detail17trampoline_kernelINS0_14default_configENS1_38merge_sort_block_merge_config_selectorIyNS0_10empty_typeEEEZZNS1_27merge_sort_block_merge_implIS3_N6thrust23THRUST_200600_302600_NS6detail15normal_iteratorINS9_10device_ptrIyEEEEPS5_jNS1_19radix_merge_compareILb0ELb0EyNS0_19identity_decomposerEEEEE10hipError_tT0_T1_T2_jT3_P12ihipStream_tbPNSt15iterator_traitsISK_E10value_typeEPNSQ_ISL_E10value_typeEPSM_NS1_7vsmem_tEENKUlT_SK_SL_SM_E_clIPySE_SF_SF_EESJ_SZ_SK_SL_SM_EUlSZ_E_NS1_11comp_targetILNS1_3genE3ELNS1_11target_archE908ELNS1_3gpuE7ELNS1_3repE0EEENS1_48merge_mergepath_partition_config_static_selectorELNS0_4arch9wavefront6targetE1EEEvSL_.kd
    .uniform_work_group_size: 1
    .uses_dynamic_stack: false
    .vgpr_count:     0
    .vgpr_spill_count: 0
    .wavefront_size: 64
  - .agpr_count:     0
    .args:
      - .offset:         0
        .size:           40
        .value_kind:     by_value
    .group_segment_fixed_size: 0
    .kernarg_segment_align: 8
    .kernarg_segment_size: 40
    .language:       OpenCL C
    .language_version:
      - 2
      - 0
    .max_flat_workgroup_size: 128
    .name:           _ZN7rocprim17ROCPRIM_400000_NS6detail17trampoline_kernelINS0_14default_configENS1_38merge_sort_block_merge_config_selectorIyNS0_10empty_typeEEEZZNS1_27merge_sort_block_merge_implIS3_N6thrust23THRUST_200600_302600_NS6detail15normal_iteratorINS9_10device_ptrIyEEEEPS5_jNS1_19radix_merge_compareILb0ELb0EyNS0_19identity_decomposerEEEEE10hipError_tT0_T1_T2_jT3_P12ihipStream_tbPNSt15iterator_traitsISK_E10value_typeEPNSQ_ISL_E10value_typeEPSM_NS1_7vsmem_tEENKUlT_SK_SL_SM_E_clIPySE_SF_SF_EESJ_SZ_SK_SL_SM_EUlSZ_E_NS1_11comp_targetILNS1_3genE2ELNS1_11target_archE906ELNS1_3gpuE6ELNS1_3repE0EEENS1_48merge_mergepath_partition_config_static_selectorELNS0_4arch9wavefront6targetE1EEEvSL_
    .private_segment_fixed_size: 0
    .sgpr_count:     4
    .sgpr_spill_count: 0
    .symbol:         _ZN7rocprim17ROCPRIM_400000_NS6detail17trampoline_kernelINS0_14default_configENS1_38merge_sort_block_merge_config_selectorIyNS0_10empty_typeEEEZZNS1_27merge_sort_block_merge_implIS3_N6thrust23THRUST_200600_302600_NS6detail15normal_iteratorINS9_10device_ptrIyEEEEPS5_jNS1_19radix_merge_compareILb0ELb0EyNS0_19identity_decomposerEEEEE10hipError_tT0_T1_T2_jT3_P12ihipStream_tbPNSt15iterator_traitsISK_E10value_typeEPNSQ_ISL_E10value_typeEPSM_NS1_7vsmem_tEENKUlT_SK_SL_SM_E_clIPySE_SF_SF_EESJ_SZ_SK_SL_SM_EUlSZ_E_NS1_11comp_targetILNS1_3genE2ELNS1_11target_archE906ELNS1_3gpuE6ELNS1_3repE0EEENS1_48merge_mergepath_partition_config_static_selectorELNS0_4arch9wavefront6targetE1EEEvSL_.kd
    .uniform_work_group_size: 1
    .uses_dynamic_stack: false
    .vgpr_count:     0
    .vgpr_spill_count: 0
    .wavefront_size: 64
  - .agpr_count:     0
    .args:
      - .offset:         0
        .size:           40
        .value_kind:     by_value
    .group_segment_fixed_size: 0
    .kernarg_segment_align: 8
    .kernarg_segment_size: 40
    .language:       OpenCL C
    .language_version:
      - 2
      - 0
    .max_flat_workgroup_size: 128
    .name:           _ZN7rocprim17ROCPRIM_400000_NS6detail17trampoline_kernelINS0_14default_configENS1_38merge_sort_block_merge_config_selectorIyNS0_10empty_typeEEEZZNS1_27merge_sort_block_merge_implIS3_N6thrust23THRUST_200600_302600_NS6detail15normal_iteratorINS9_10device_ptrIyEEEEPS5_jNS1_19radix_merge_compareILb0ELb0EyNS0_19identity_decomposerEEEEE10hipError_tT0_T1_T2_jT3_P12ihipStream_tbPNSt15iterator_traitsISK_E10value_typeEPNSQ_ISL_E10value_typeEPSM_NS1_7vsmem_tEENKUlT_SK_SL_SM_E_clIPySE_SF_SF_EESJ_SZ_SK_SL_SM_EUlSZ_E_NS1_11comp_targetILNS1_3genE9ELNS1_11target_archE1100ELNS1_3gpuE3ELNS1_3repE0EEENS1_48merge_mergepath_partition_config_static_selectorELNS0_4arch9wavefront6targetE1EEEvSL_
    .private_segment_fixed_size: 0
    .sgpr_count:     4
    .sgpr_spill_count: 0
    .symbol:         _ZN7rocprim17ROCPRIM_400000_NS6detail17trampoline_kernelINS0_14default_configENS1_38merge_sort_block_merge_config_selectorIyNS0_10empty_typeEEEZZNS1_27merge_sort_block_merge_implIS3_N6thrust23THRUST_200600_302600_NS6detail15normal_iteratorINS9_10device_ptrIyEEEEPS5_jNS1_19radix_merge_compareILb0ELb0EyNS0_19identity_decomposerEEEEE10hipError_tT0_T1_T2_jT3_P12ihipStream_tbPNSt15iterator_traitsISK_E10value_typeEPNSQ_ISL_E10value_typeEPSM_NS1_7vsmem_tEENKUlT_SK_SL_SM_E_clIPySE_SF_SF_EESJ_SZ_SK_SL_SM_EUlSZ_E_NS1_11comp_targetILNS1_3genE9ELNS1_11target_archE1100ELNS1_3gpuE3ELNS1_3repE0EEENS1_48merge_mergepath_partition_config_static_selectorELNS0_4arch9wavefront6targetE1EEEvSL_.kd
    .uniform_work_group_size: 1
    .uses_dynamic_stack: false
    .vgpr_count:     0
    .vgpr_spill_count: 0
    .wavefront_size: 64
  - .agpr_count:     0
    .args:
      - .offset:         0
        .size:           40
        .value_kind:     by_value
    .group_segment_fixed_size: 0
    .kernarg_segment_align: 8
    .kernarg_segment_size: 40
    .language:       OpenCL C
    .language_version:
      - 2
      - 0
    .max_flat_workgroup_size: 128
    .name:           _ZN7rocprim17ROCPRIM_400000_NS6detail17trampoline_kernelINS0_14default_configENS1_38merge_sort_block_merge_config_selectorIyNS0_10empty_typeEEEZZNS1_27merge_sort_block_merge_implIS3_N6thrust23THRUST_200600_302600_NS6detail15normal_iteratorINS9_10device_ptrIyEEEEPS5_jNS1_19radix_merge_compareILb0ELb0EyNS0_19identity_decomposerEEEEE10hipError_tT0_T1_T2_jT3_P12ihipStream_tbPNSt15iterator_traitsISK_E10value_typeEPNSQ_ISL_E10value_typeEPSM_NS1_7vsmem_tEENKUlT_SK_SL_SM_E_clIPySE_SF_SF_EESJ_SZ_SK_SL_SM_EUlSZ_E_NS1_11comp_targetILNS1_3genE8ELNS1_11target_archE1030ELNS1_3gpuE2ELNS1_3repE0EEENS1_48merge_mergepath_partition_config_static_selectorELNS0_4arch9wavefront6targetE1EEEvSL_
    .private_segment_fixed_size: 0
    .sgpr_count:     4
    .sgpr_spill_count: 0
    .symbol:         _ZN7rocprim17ROCPRIM_400000_NS6detail17trampoline_kernelINS0_14default_configENS1_38merge_sort_block_merge_config_selectorIyNS0_10empty_typeEEEZZNS1_27merge_sort_block_merge_implIS3_N6thrust23THRUST_200600_302600_NS6detail15normal_iteratorINS9_10device_ptrIyEEEEPS5_jNS1_19radix_merge_compareILb0ELb0EyNS0_19identity_decomposerEEEEE10hipError_tT0_T1_T2_jT3_P12ihipStream_tbPNSt15iterator_traitsISK_E10value_typeEPNSQ_ISL_E10value_typeEPSM_NS1_7vsmem_tEENKUlT_SK_SL_SM_E_clIPySE_SF_SF_EESJ_SZ_SK_SL_SM_EUlSZ_E_NS1_11comp_targetILNS1_3genE8ELNS1_11target_archE1030ELNS1_3gpuE2ELNS1_3repE0EEENS1_48merge_mergepath_partition_config_static_selectorELNS0_4arch9wavefront6targetE1EEEvSL_.kd
    .uniform_work_group_size: 1
    .uses_dynamic_stack: false
    .vgpr_count:     0
    .vgpr_spill_count: 0
    .wavefront_size: 64
  - .agpr_count:     0
    .args:
      - .offset:         0
        .size:           64
        .value_kind:     by_value
    .group_segment_fixed_size: 0
    .kernarg_segment_align: 8
    .kernarg_segment_size: 64
    .language:       OpenCL C
    .language_version:
      - 2
      - 0
    .max_flat_workgroup_size: 128
    .name:           _ZN7rocprim17ROCPRIM_400000_NS6detail17trampoline_kernelINS0_14default_configENS1_38merge_sort_block_merge_config_selectorIyNS0_10empty_typeEEEZZNS1_27merge_sort_block_merge_implIS3_N6thrust23THRUST_200600_302600_NS6detail15normal_iteratorINS9_10device_ptrIyEEEEPS5_jNS1_19radix_merge_compareILb0ELb0EyNS0_19identity_decomposerEEEEE10hipError_tT0_T1_T2_jT3_P12ihipStream_tbPNSt15iterator_traitsISK_E10value_typeEPNSQ_ISL_E10value_typeEPSM_NS1_7vsmem_tEENKUlT_SK_SL_SM_E_clIPySE_SF_SF_EESJ_SZ_SK_SL_SM_EUlSZ_E0_NS1_11comp_targetILNS1_3genE0ELNS1_11target_archE4294967295ELNS1_3gpuE0ELNS1_3repE0EEENS1_38merge_mergepath_config_static_selectorELNS0_4arch9wavefront6targetE1EEEvSL_
    .private_segment_fixed_size: 0
    .sgpr_count:     4
    .sgpr_spill_count: 0
    .symbol:         _ZN7rocprim17ROCPRIM_400000_NS6detail17trampoline_kernelINS0_14default_configENS1_38merge_sort_block_merge_config_selectorIyNS0_10empty_typeEEEZZNS1_27merge_sort_block_merge_implIS3_N6thrust23THRUST_200600_302600_NS6detail15normal_iteratorINS9_10device_ptrIyEEEEPS5_jNS1_19radix_merge_compareILb0ELb0EyNS0_19identity_decomposerEEEEE10hipError_tT0_T1_T2_jT3_P12ihipStream_tbPNSt15iterator_traitsISK_E10value_typeEPNSQ_ISL_E10value_typeEPSM_NS1_7vsmem_tEENKUlT_SK_SL_SM_E_clIPySE_SF_SF_EESJ_SZ_SK_SL_SM_EUlSZ_E0_NS1_11comp_targetILNS1_3genE0ELNS1_11target_archE4294967295ELNS1_3gpuE0ELNS1_3repE0EEENS1_38merge_mergepath_config_static_selectorELNS0_4arch9wavefront6targetE1EEEvSL_.kd
    .uniform_work_group_size: 1
    .uses_dynamic_stack: false
    .vgpr_count:     0
    .vgpr_spill_count: 0
    .wavefront_size: 64
  - .agpr_count:     0
    .args:
      - .offset:         0
        .size:           64
        .value_kind:     by_value
    .group_segment_fixed_size: 0
    .kernarg_segment_align: 8
    .kernarg_segment_size: 64
    .language:       OpenCL C
    .language_version:
      - 2
      - 0
    .max_flat_workgroup_size: 512
    .name:           _ZN7rocprim17ROCPRIM_400000_NS6detail17trampoline_kernelINS0_14default_configENS1_38merge_sort_block_merge_config_selectorIyNS0_10empty_typeEEEZZNS1_27merge_sort_block_merge_implIS3_N6thrust23THRUST_200600_302600_NS6detail15normal_iteratorINS9_10device_ptrIyEEEEPS5_jNS1_19radix_merge_compareILb0ELb0EyNS0_19identity_decomposerEEEEE10hipError_tT0_T1_T2_jT3_P12ihipStream_tbPNSt15iterator_traitsISK_E10value_typeEPNSQ_ISL_E10value_typeEPSM_NS1_7vsmem_tEENKUlT_SK_SL_SM_E_clIPySE_SF_SF_EESJ_SZ_SK_SL_SM_EUlSZ_E0_NS1_11comp_targetILNS1_3genE10ELNS1_11target_archE1201ELNS1_3gpuE5ELNS1_3repE0EEENS1_38merge_mergepath_config_static_selectorELNS0_4arch9wavefront6targetE1EEEvSL_
    .private_segment_fixed_size: 0
    .sgpr_count:     4
    .sgpr_spill_count: 0
    .symbol:         _ZN7rocprim17ROCPRIM_400000_NS6detail17trampoline_kernelINS0_14default_configENS1_38merge_sort_block_merge_config_selectorIyNS0_10empty_typeEEEZZNS1_27merge_sort_block_merge_implIS3_N6thrust23THRUST_200600_302600_NS6detail15normal_iteratorINS9_10device_ptrIyEEEEPS5_jNS1_19radix_merge_compareILb0ELb0EyNS0_19identity_decomposerEEEEE10hipError_tT0_T1_T2_jT3_P12ihipStream_tbPNSt15iterator_traitsISK_E10value_typeEPNSQ_ISL_E10value_typeEPSM_NS1_7vsmem_tEENKUlT_SK_SL_SM_E_clIPySE_SF_SF_EESJ_SZ_SK_SL_SM_EUlSZ_E0_NS1_11comp_targetILNS1_3genE10ELNS1_11target_archE1201ELNS1_3gpuE5ELNS1_3repE0EEENS1_38merge_mergepath_config_static_selectorELNS0_4arch9wavefront6targetE1EEEvSL_.kd
    .uniform_work_group_size: 1
    .uses_dynamic_stack: false
    .vgpr_count:     0
    .vgpr_spill_count: 0
    .wavefront_size: 64
  - .agpr_count:     0
    .args:
      - .offset:         0
        .size:           64
        .value_kind:     by_value
    .group_segment_fixed_size: 0
    .kernarg_segment_align: 8
    .kernarg_segment_size: 64
    .language:       OpenCL C
    .language_version:
      - 2
      - 0
    .max_flat_workgroup_size: 128
    .name:           _ZN7rocprim17ROCPRIM_400000_NS6detail17trampoline_kernelINS0_14default_configENS1_38merge_sort_block_merge_config_selectorIyNS0_10empty_typeEEEZZNS1_27merge_sort_block_merge_implIS3_N6thrust23THRUST_200600_302600_NS6detail15normal_iteratorINS9_10device_ptrIyEEEEPS5_jNS1_19radix_merge_compareILb0ELb0EyNS0_19identity_decomposerEEEEE10hipError_tT0_T1_T2_jT3_P12ihipStream_tbPNSt15iterator_traitsISK_E10value_typeEPNSQ_ISL_E10value_typeEPSM_NS1_7vsmem_tEENKUlT_SK_SL_SM_E_clIPySE_SF_SF_EESJ_SZ_SK_SL_SM_EUlSZ_E0_NS1_11comp_targetILNS1_3genE5ELNS1_11target_archE942ELNS1_3gpuE9ELNS1_3repE0EEENS1_38merge_mergepath_config_static_selectorELNS0_4arch9wavefront6targetE1EEEvSL_
    .private_segment_fixed_size: 0
    .sgpr_count:     4
    .sgpr_spill_count: 0
    .symbol:         _ZN7rocprim17ROCPRIM_400000_NS6detail17trampoline_kernelINS0_14default_configENS1_38merge_sort_block_merge_config_selectorIyNS0_10empty_typeEEEZZNS1_27merge_sort_block_merge_implIS3_N6thrust23THRUST_200600_302600_NS6detail15normal_iteratorINS9_10device_ptrIyEEEEPS5_jNS1_19radix_merge_compareILb0ELb0EyNS0_19identity_decomposerEEEEE10hipError_tT0_T1_T2_jT3_P12ihipStream_tbPNSt15iterator_traitsISK_E10value_typeEPNSQ_ISL_E10value_typeEPSM_NS1_7vsmem_tEENKUlT_SK_SL_SM_E_clIPySE_SF_SF_EESJ_SZ_SK_SL_SM_EUlSZ_E0_NS1_11comp_targetILNS1_3genE5ELNS1_11target_archE942ELNS1_3gpuE9ELNS1_3repE0EEENS1_38merge_mergepath_config_static_selectorELNS0_4arch9wavefront6targetE1EEEvSL_.kd
    .uniform_work_group_size: 1
    .uses_dynamic_stack: false
    .vgpr_count:     0
    .vgpr_spill_count: 0
    .wavefront_size: 64
  - .agpr_count:     0
    .args:
      - .offset:         0
        .size:           64
        .value_kind:     by_value
      - .offset:         64
        .size:           4
        .value_kind:     hidden_block_count_x
      - .offset:         68
        .size:           4
        .value_kind:     hidden_block_count_y
      - .offset:         72
        .size:           4
        .value_kind:     hidden_block_count_z
      - .offset:         76
        .size:           2
        .value_kind:     hidden_group_size_x
      - .offset:         78
        .size:           2
        .value_kind:     hidden_group_size_y
      - .offset:         80
        .size:           2
        .value_kind:     hidden_group_size_z
      - .offset:         82
        .size:           2
        .value_kind:     hidden_remainder_x
      - .offset:         84
        .size:           2
        .value_kind:     hidden_remainder_y
      - .offset:         86
        .size:           2
        .value_kind:     hidden_remainder_z
      - .offset:         104
        .size:           8
        .value_kind:     hidden_global_offset_x
      - .offset:         112
        .size:           8
        .value_kind:     hidden_global_offset_y
      - .offset:         120
        .size:           8
        .value_kind:     hidden_global_offset_z
      - .offset:         128
        .size:           2
        .value_kind:     hidden_grid_dims
    .group_segment_fixed_size: 8448
    .kernarg_segment_align: 8
    .kernarg_segment_size: 320
    .language:       OpenCL C
    .language_version:
      - 2
      - 0
    .max_flat_workgroup_size: 256
    .name:           _ZN7rocprim17ROCPRIM_400000_NS6detail17trampoline_kernelINS0_14default_configENS1_38merge_sort_block_merge_config_selectorIyNS0_10empty_typeEEEZZNS1_27merge_sort_block_merge_implIS3_N6thrust23THRUST_200600_302600_NS6detail15normal_iteratorINS9_10device_ptrIyEEEEPS5_jNS1_19radix_merge_compareILb0ELb0EyNS0_19identity_decomposerEEEEE10hipError_tT0_T1_T2_jT3_P12ihipStream_tbPNSt15iterator_traitsISK_E10value_typeEPNSQ_ISL_E10value_typeEPSM_NS1_7vsmem_tEENKUlT_SK_SL_SM_E_clIPySE_SF_SF_EESJ_SZ_SK_SL_SM_EUlSZ_E0_NS1_11comp_targetILNS1_3genE4ELNS1_11target_archE910ELNS1_3gpuE8ELNS1_3repE0EEENS1_38merge_mergepath_config_static_selectorELNS0_4arch9wavefront6targetE1EEEvSL_
    .private_segment_fixed_size: 0
    .sgpr_count:     27
    .sgpr_spill_count: 0
    .symbol:         _ZN7rocprim17ROCPRIM_400000_NS6detail17trampoline_kernelINS0_14default_configENS1_38merge_sort_block_merge_config_selectorIyNS0_10empty_typeEEEZZNS1_27merge_sort_block_merge_implIS3_N6thrust23THRUST_200600_302600_NS6detail15normal_iteratorINS9_10device_ptrIyEEEEPS5_jNS1_19radix_merge_compareILb0ELb0EyNS0_19identity_decomposerEEEEE10hipError_tT0_T1_T2_jT3_P12ihipStream_tbPNSt15iterator_traitsISK_E10value_typeEPNSQ_ISL_E10value_typeEPSM_NS1_7vsmem_tEENKUlT_SK_SL_SM_E_clIPySE_SF_SF_EESJ_SZ_SK_SL_SM_EUlSZ_E0_NS1_11comp_targetILNS1_3genE4ELNS1_11target_archE910ELNS1_3gpuE8ELNS1_3repE0EEENS1_38merge_mergepath_config_static_selectorELNS0_4arch9wavefront6targetE1EEEvSL_.kd
    .uniform_work_group_size: 1
    .uses_dynamic_stack: false
    .vgpr_count:     21
    .vgpr_spill_count: 0
    .wavefront_size: 64
  - .agpr_count:     0
    .args:
      - .offset:         0
        .size:           64
        .value_kind:     by_value
    .group_segment_fixed_size: 0
    .kernarg_segment_align: 8
    .kernarg_segment_size: 64
    .language:       OpenCL C
    .language_version:
      - 2
      - 0
    .max_flat_workgroup_size: 128
    .name:           _ZN7rocprim17ROCPRIM_400000_NS6detail17trampoline_kernelINS0_14default_configENS1_38merge_sort_block_merge_config_selectorIyNS0_10empty_typeEEEZZNS1_27merge_sort_block_merge_implIS3_N6thrust23THRUST_200600_302600_NS6detail15normal_iteratorINS9_10device_ptrIyEEEEPS5_jNS1_19radix_merge_compareILb0ELb0EyNS0_19identity_decomposerEEEEE10hipError_tT0_T1_T2_jT3_P12ihipStream_tbPNSt15iterator_traitsISK_E10value_typeEPNSQ_ISL_E10value_typeEPSM_NS1_7vsmem_tEENKUlT_SK_SL_SM_E_clIPySE_SF_SF_EESJ_SZ_SK_SL_SM_EUlSZ_E0_NS1_11comp_targetILNS1_3genE3ELNS1_11target_archE908ELNS1_3gpuE7ELNS1_3repE0EEENS1_38merge_mergepath_config_static_selectorELNS0_4arch9wavefront6targetE1EEEvSL_
    .private_segment_fixed_size: 0
    .sgpr_count:     4
    .sgpr_spill_count: 0
    .symbol:         _ZN7rocprim17ROCPRIM_400000_NS6detail17trampoline_kernelINS0_14default_configENS1_38merge_sort_block_merge_config_selectorIyNS0_10empty_typeEEEZZNS1_27merge_sort_block_merge_implIS3_N6thrust23THRUST_200600_302600_NS6detail15normal_iteratorINS9_10device_ptrIyEEEEPS5_jNS1_19radix_merge_compareILb0ELb0EyNS0_19identity_decomposerEEEEE10hipError_tT0_T1_T2_jT3_P12ihipStream_tbPNSt15iterator_traitsISK_E10value_typeEPNSQ_ISL_E10value_typeEPSM_NS1_7vsmem_tEENKUlT_SK_SL_SM_E_clIPySE_SF_SF_EESJ_SZ_SK_SL_SM_EUlSZ_E0_NS1_11comp_targetILNS1_3genE3ELNS1_11target_archE908ELNS1_3gpuE7ELNS1_3repE0EEENS1_38merge_mergepath_config_static_selectorELNS0_4arch9wavefront6targetE1EEEvSL_.kd
    .uniform_work_group_size: 1
    .uses_dynamic_stack: false
    .vgpr_count:     0
    .vgpr_spill_count: 0
    .wavefront_size: 64
  - .agpr_count:     0
    .args:
      - .offset:         0
        .size:           64
        .value_kind:     by_value
    .group_segment_fixed_size: 0
    .kernarg_segment_align: 8
    .kernarg_segment_size: 64
    .language:       OpenCL C
    .language_version:
      - 2
      - 0
    .max_flat_workgroup_size: 256
    .name:           _ZN7rocprim17ROCPRIM_400000_NS6detail17trampoline_kernelINS0_14default_configENS1_38merge_sort_block_merge_config_selectorIyNS0_10empty_typeEEEZZNS1_27merge_sort_block_merge_implIS3_N6thrust23THRUST_200600_302600_NS6detail15normal_iteratorINS9_10device_ptrIyEEEEPS5_jNS1_19radix_merge_compareILb0ELb0EyNS0_19identity_decomposerEEEEE10hipError_tT0_T1_T2_jT3_P12ihipStream_tbPNSt15iterator_traitsISK_E10value_typeEPNSQ_ISL_E10value_typeEPSM_NS1_7vsmem_tEENKUlT_SK_SL_SM_E_clIPySE_SF_SF_EESJ_SZ_SK_SL_SM_EUlSZ_E0_NS1_11comp_targetILNS1_3genE2ELNS1_11target_archE906ELNS1_3gpuE6ELNS1_3repE0EEENS1_38merge_mergepath_config_static_selectorELNS0_4arch9wavefront6targetE1EEEvSL_
    .private_segment_fixed_size: 0
    .sgpr_count:     4
    .sgpr_spill_count: 0
    .symbol:         _ZN7rocprim17ROCPRIM_400000_NS6detail17trampoline_kernelINS0_14default_configENS1_38merge_sort_block_merge_config_selectorIyNS0_10empty_typeEEEZZNS1_27merge_sort_block_merge_implIS3_N6thrust23THRUST_200600_302600_NS6detail15normal_iteratorINS9_10device_ptrIyEEEEPS5_jNS1_19radix_merge_compareILb0ELb0EyNS0_19identity_decomposerEEEEE10hipError_tT0_T1_T2_jT3_P12ihipStream_tbPNSt15iterator_traitsISK_E10value_typeEPNSQ_ISL_E10value_typeEPSM_NS1_7vsmem_tEENKUlT_SK_SL_SM_E_clIPySE_SF_SF_EESJ_SZ_SK_SL_SM_EUlSZ_E0_NS1_11comp_targetILNS1_3genE2ELNS1_11target_archE906ELNS1_3gpuE6ELNS1_3repE0EEENS1_38merge_mergepath_config_static_selectorELNS0_4arch9wavefront6targetE1EEEvSL_.kd
    .uniform_work_group_size: 1
    .uses_dynamic_stack: false
    .vgpr_count:     0
    .vgpr_spill_count: 0
    .wavefront_size: 64
  - .agpr_count:     0
    .args:
      - .offset:         0
        .size:           64
        .value_kind:     by_value
    .group_segment_fixed_size: 0
    .kernarg_segment_align: 8
    .kernarg_segment_size: 64
    .language:       OpenCL C
    .language_version:
      - 2
      - 0
    .max_flat_workgroup_size: 512
    .name:           _ZN7rocprim17ROCPRIM_400000_NS6detail17trampoline_kernelINS0_14default_configENS1_38merge_sort_block_merge_config_selectorIyNS0_10empty_typeEEEZZNS1_27merge_sort_block_merge_implIS3_N6thrust23THRUST_200600_302600_NS6detail15normal_iteratorINS9_10device_ptrIyEEEEPS5_jNS1_19radix_merge_compareILb0ELb0EyNS0_19identity_decomposerEEEEE10hipError_tT0_T1_T2_jT3_P12ihipStream_tbPNSt15iterator_traitsISK_E10value_typeEPNSQ_ISL_E10value_typeEPSM_NS1_7vsmem_tEENKUlT_SK_SL_SM_E_clIPySE_SF_SF_EESJ_SZ_SK_SL_SM_EUlSZ_E0_NS1_11comp_targetILNS1_3genE9ELNS1_11target_archE1100ELNS1_3gpuE3ELNS1_3repE0EEENS1_38merge_mergepath_config_static_selectorELNS0_4arch9wavefront6targetE1EEEvSL_
    .private_segment_fixed_size: 0
    .sgpr_count:     4
    .sgpr_spill_count: 0
    .symbol:         _ZN7rocprim17ROCPRIM_400000_NS6detail17trampoline_kernelINS0_14default_configENS1_38merge_sort_block_merge_config_selectorIyNS0_10empty_typeEEEZZNS1_27merge_sort_block_merge_implIS3_N6thrust23THRUST_200600_302600_NS6detail15normal_iteratorINS9_10device_ptrIyEEEEPS5_jNS1_19radix_merge_compareILb0ELb0EyNS0_19identity_decomposerEEEEE10hipError_tT0_T1_T2_jT3_P12ihipStream_tbPNSt15iterator_traitsISK_E10value_typeEPNSQ_ISL_E10value_typeEPSM_NS1_7vsmem_tEENKUlT_SK_SL_SM_E_clIPySE_SF_SF_EESJ_SZ_SK_SL_SM_EUlSZ_E0_NS1_11comp_targetILNS1_3genE9ELNS1_11target_archE1100ELNS1_3gpuE3ELNS1_3repE0EEENS1_38merge_mergepath_config_static_selectorELNS0_4arch9wavefront6targetE1EEEvSL_.kd
    .uniform_work_group_size: 1
    .uses_dynamic_stack: false
    .vgpr_count:     0
    .vgpr_spill_count: 0
    .wavefront_size: 64
  - .agpr_count:     0
    .args:
      - .offset:         0
        .size:           64
        .value_kind:     by_value
    .group_segment_fixed_size: 0
    .kernarg_segment_align: 8
    .kernarg_segment_size: 64
    .language:       OpenCL C
    .language_version:
      - 2
      - 0
    .max_flat_workgroup_size: 1024
    .name:           _ZN7rocprim17ROCPRIM_400000_NS6detail17trampoline_kernelINS0_14default_configENS1_38merge_sort_block_merge_config_selectorIyNS0_10empty_typeEEEZZNS1_27merge_sort_block_merge_implIS3_N6thrust23THRUST_200600_302600_NS6detail15normal_iteratorINS9_10device_ptrIyEEEEPS5_jNS1_19radix_merge_compareILb0ELb0EyNS0_19identity_decomposerEEEEE10hipError_tT0_T1_T2_jT3_P12ihipStream_tbPNSt15iterator_traitsISK_E10value_typeEPNSQ_ISL_E10value_typeEPSM_NS1_7vsmem_tEENKUlT_SK_SL_SM_E_clIPySE_SF_SF_EESJ_SZ_SK_SL_SM_EUlSZ_E0_NS1_11comp_targetILNS1_3genE8ELNS1_11target_archE1030ELNS1_3gpuE2ELNS1_3repE0EEENS1_38merge_mergepath_config_static_selectorELNS0_4arch9wavefront6targetE1EEEvSL_
    .private_segment_fixed_size: 0
    .sgpr_count:     4
    .sgpr_spill_count: 0
    .symbol:         _ZN7rocprim17ROCPRIM_400000_NS6detail17trampoline_kernelINS0_14default_configENS1_38merge_sort_block_merge_config_selectorIyNS0_10empty_typeEEEZZNS1_27merge_sort_block_merge_implIS3_N6thrust23THRUST_200600_302600_NS6detail15normal_iteratorINS9_10device_ptrIyEEEEPS5_jNS1_19radix_merge_compareILb0ELb0EyNS0_19identity_decomposerEEEEE10hipError_tT0_T1_T2_jT3_P12ihipStream_tbPNSt15iterator_traitsISK_E10value_typeEPNSQ_ISL_E10value_typeEPSM_NS1_7vsmem_tEENKUlT_SK_SL_SM_E_clIPySE_SF_SF_EESJ_SZ_SK_SL_SM_EUlSZ_E0_NS1_11comp_targetILNS1_3genE8ELNS1_11target_archE1030ELNS1_3gpuE2ELNS1_3repE0EEENS1_38merge_mergepath_config_static_selectorELNS0_4arch9wavefront6targetE1EEEvSL_.kd
    .uniform_work_group_size: 1
    .uses_dynamic_stack: false
    .vgpr_count:     0
    .vgpr_spill_count: 0
    .wavefront_size: 64
  - .agpr_count:     0
    .args:
      - .offset:         0
        .size:           48
        .value_kind:     by_value
    .group_segment_fixed_size: 0
    .kernarg_segment_align: 8
    .kernarg_segment_size: 48
    .language:       OpenCL C
    .language_version:
      - 2
      - 0
    .max_flat_workgroup_size: 256
    .name:           _ZN7rocprim17ROCPRIM_400000_NS6detail17trampoline_kernelINS0_14default_configENS1_38merge_sort_block_merge_config_selectorIyNS0_10empty_typeEEEZZNS1_27merge_sort_block_merge_implIS3_N6thrust23THRUST_200600_302600_NS6detail15normal_iteratorINS9_10device_ptrIyEEEEPS5_jNS1_19radix_merge_compareILb0ELb0EyNS0_19identity_decomposerEEEEE10hipError_tT0_T1_T2_jT3_P12ihipStream_tbPNSt15iterator_traitsISK_E10value_typeEPNSQ_ISL_E10value_typeEPSM_NS1_7vsmem_tEENKUlT_SK_SL_SM_E_clIPySE_SF_SF_EESJ_SZ_SK_SL_SM_EUlSZ_E1_NS1_11comp_targetILNS1_3genE0ELNS1_11target_archE4294967295ELNS1_3gpuE0ELNS1_3repE0EEENS1_36merge_oddeven_config_static_selectorELNS0_4arch9wavefront6targetE1EEEvSL_
    .private_segment_fixed_size: 0
    .sgpr_count:     4
    .sgpr_spill_count: 0
    .symbol:         _ZN7rocprim17ROCPRIM_400000_NS6detail17trampoline_kernelINS0_14default_configENS1_38merge_sort_block_merge_config_selectorIyNS0_10empty_typeEEEZZNS1_27merge_sort_block_merge_implIS3_N6thrust23THRUST_200600_302600_NS6detail15normal_iteratorINS9_10device_ptrIyEEEEPS5_jNS1_19radix_merge_compareILb0ELb0EyNS0_19identity_decomposerEEEEE10hipError_tT0_T1_T2_jT3_P12ihipStream_tbPNSt15iterator_traitsISK_E10value_typeEPNSQ_ISL_E10value_typeEPSM_NS1_7vsmem_tEENKUlT_SK_SL_SM_E_clIPySE_SF_SF_EESJ_SZ_SK_SL_SM_EUlSZ_E1_NS1_11comp_targetILNS1_3genE0ELNS1_11target_archE4294967295ELNS1_3gpuE0ELNS1_3repE0EEENS1_36merge_oddeven_config_static_selectorELNS0_4arch9wavefront6targetE1EEEvSL_.kd
    .uniform_work_group_size: 1
    .uses_dynamic_stack: false
    .vgpr_count:     0
    .vgpr_spill_count: 0
    .wavefront_size: 64
  - .agpr_count:     0
    .args:
      - .offset:         0
        .size:           48
        .value_kind:     by_value
    .group_segment_fixed_size: 0
    .kernarg_segment_align: 8
    .kernarg_segment_size: 48
    .language:       OpenCL C
    .language_version:
      - 2
      - 0
    .max_flat_workgroup_size: 256
    .name:           _ZN7rocprim17ROCPRIM_400000_NS6detail17trampoline_kernelINS0_14default_configENS1_38merge_sort_block_merge_config_selectorIyNS0_10empty_typeEEEZZNS1_27merge_sort_block_merge_implIS3_N6thrust23THRUST_200600_302600_NS6detail15normal_iteratorINS9_10device_ptrIyEEEEPS5_jNS1_19radix_merge_compareILb0ELb0EyNS0_19identity_decomposerEEEEE10hipError_tT0_T1_T2_jT3_P12ihipStream_tbPNSt15iterator_traitsISK_E10value_typeEPNSQ_ISL_E10value_typeEPSM_NS1_7vsmem_tEENKUlT_SK_SL_SM_E_clIPySE_SF_SF_EESJ_SZ_SK_SL_SM_EUlSZ_E1_NS1_11comp_targetILNS1_3genE10ELNS1_11target_archE1201ELNS1_3gpuE5ELNS1_3repE0EEENS1_36merge_oddeven_config_static_selectorELNS0_4arch9wavefront6targetE1EEEvSL_
    .private_segment_fixed_size: 0
    .sgpr_count:     4
    .sgpr_spill_count: 0
    .symbol:         _ZN7rocprim17ROCPRIM_400000_NS6detail17trampoline_kernelINS0_14default_configENS1_38merge_sort_block_merge_config_selectorIyNS0_10empty_typeEEEZZNS1_27merge_sort_block_merge_implIS3_N6thrust23THRUST_200600_302600_NS6detail15normal_iteratorINS9_10device_ptrIyEEEEPS5_jNS1_19radix_merge_compareILb0ELb0EyNS0_19identity_decomposerEEEEE10hipError_tT0_T1_T2_jT3_P12ihipStream_tbPNSt15iterator_traitsISK_E10value_typeEPNSQ_ISL_E10value_typeEPSM_NS1_7vsmem_tEENKUlT_SK_SL_SM_E_clIPySE_SF_SF_EESJ_SZ_SK_SL_SM_EUlSZ_E1_NS1_11comp_targetILNS1_3genE10ELNS1_11target_archE1201ELNS1_3gpuE5ELNS1_3repE0EEENS1_36merge_oddeven_config_static_selectorELNS0_4arch9wavefront6targetE1EEEvSL_.kd
    .uniform_work_group_size: 1
    .uses_dynamic_stack: false
    .vgpr_count:     0
    .vgpr_spill_count: 0
    .wavefront_size: 64
  - .agpr_count:     0
    .args:
      - .offset:         0
        .size:           48
        .value_kind:     by_value
    .group_segment_fixed_size: 0
    .kernarg_segment_align: 8
    .kernarg_segment_size: 48
    .language:       OpenCL C
    .language_version:
      - 2
      - 0
    .max_flat_workgroup_size: 256
    .name:           _ZN7rocprim17ROCPRIM_400000_NS6detail17trampoline_kernelINS0_14default_configENS1_38merge_sort_block_merge_config_selectorIyNS0_10empty_typeEEEZZNS1_27merge_sort_block_merge_implIS3_N6thrust23THRUST_200600_302600_NS6detail15normal_iteratorINS9_10device_ptrIyEEEEPS5_jNS1_19radix_merge_compareILb0ELb0EyNS0_19identity_decomposerEEEEE10hipError_tT0_T1_T2_jT3_P12ihipStream_tbPNSt15iterator_traitsISK_E10value_typeEPNSQ_ISL_E10value_typeEPSM_NS1_7vsmem_tEENKUlT_SK_SL_SM_E_clIPySE_SF_SF_EESJ_SZ_SK_SL_SM_EUlSZ_E1_NS1_11comp_targetILNS1_3genE5ELNS1_11target_archE942ELNS1_3gpuE9ELNS1_3repE0EEENS1_36merge_oddeven_config_static_selectorELNS0_4arch9wavefront6targetE1EEEvSL_
    .private_segment_fixed_size: 0
    .sgpr_count:     4
    .sgpr_spill_count: 0
    .symbol:         _ZN7rocprim17ROCPRIM_400000_NS6detail17trampoline_kernelINS0_14default_configENS1_38merge_sort_block_merge_config_selectorIyNS0_10empty_typeEEEZZNS1_27merge_sort_block_merge_implIS3_N6thrust23THRUST_200600_302600_NS6detail15normal_iteratorINS9_10device_ptrIyEEEEPS5_jNS1_19radix_merge_compareILb0ELb0EyNS0_19identity_decomposerEEEEE10hipError_tT0_T1_T2_jT3_P12ihipStream_tbPNSt15iterator_traitsISK_E10value_typeEPNSQ_ISL_E10value_typeEPSM_NS1_7vsmem_tEENKUlT_SK_SL_SM_E_clIPySE_SF_SF_EESJ_SZ_SK_SL_SM_EUlSZ_E1_NS1_11comp_targetILNS1_3genE5ELNS1_11target_archE942ELNS1_3gpuE9ELNS1_3repE0EEENS1_36merge_oddeven_config_static_selectorELNS0_4arch9wavefront6targetE1EEEvSL_.kd
    .uniform_work_group_size: 1
    .uses_dynamic_stack: false
    .vgpr_count:     0
    .vgpr_spill_count: 0
    .wavefront_size: 64
  - .agpr_count:     0
    .args:
      - .offset:         0
        .size:           48
        .value_kind:     by_value
    .group_segment_fixed_size: 0
    .kernarg_segment_align: 8
    .kernarg_segment_size: 48
    .language:       OpenCL C
    .language_version:
      - 2
      - 0
    .max_flat_workgroup_size: 256
    .name:           _ZN7rocprim17ROCPRIM_400000_NS6detail17trampoline_kernelINS0_14default_configENS1_38merge_sort_block_merge_config_selectorIyNS0_10empty_typeEEEZZNS1_27merge_sort_block_merge_implIS3_N6thrust23THRUST_200600_302600_NS6detail15normal_iteratorINS9_10device_ptrIyEEEEPS5_jNS1_19radix_merge_compareILb0ELb0EyNS0_19identity_decomposerEEEEE10hipError_tT0_T1_T2_jT3_P12ihipStream_tbPNSt15iterator_traitsISK_E10value_typeEPNSQ_ISL_E10value_typeEPSM_NS1_7vsmem_tEENKUlT_SK_SL_SM_E_clIPySE_SF_SF_EESJ_SZ_SK_SL_SM_EUlSZ_E1_NS1_11comp_targetILNS1_3genE4ELNS1_11target_archE910ELNS1_3gpuE8ELNS1_3repE0EEENS1_36merge_oddeven_config_static_selectorELNS0_4arch9wavefront6targetE1EEEvSL_
    .private_segment_fixed_size: 0
    .sgpr_count:     25
    .sgpr_spill_count: 0
    .symbol:         _ZN7rocprim17ROCPRIM_400000_NS6detail17trampoline_kernelINS0_14default_configENS1_38merge_sort_block_merge_config_selectorIyNS0_10empty_typeEEEZZNS1_27merge_sort_block_merge_implIS3_N6thrust23THRUST_200600_302600_NS6detail15normal_iteratorINS9_10device_ptrIyEEEEPS5_jNS1_19radix_merge_compareILb0ELb0EyNS0_19identity_decomposerEEEEE10hipError_tT0_T1_T2_jT3_P12ihipStream_tbPNSt15iterator_traitsISK_E10value_typeEPNSQ_ISL_E10value_typeEPSM_NS1_7vsmem_tEENKUlT_SK_SL_SM_E_clIPySE_SF_SF_EESJ_SZ_SK_SL_SM_EUlSZ_E1_NS1_11comp_targetILNS1_3genE4ELNS1_11target_archE910ELNS1_3gpuE8ELNS1_3repE0EEENS1_36merge_oddeven_config_static_selectorELNS0_4arch9wavefront6targetE1EEEvSL_.kd
    .uniform_work_group_size: 1
    .uses_dynamic_stack: false
    .vgpr_count:     12
    .vgpr_spill_count: 0
    .wavefront_size: 64
  - .agpr_count:     0
    .args:
      - .offset:         0
        .size:           48
        .value_kind:     by_value
    .group_segment_fixed_size: 0
    .kernarg_segment_align: 8
    .kernarg_segment_size: 48
    .language:       OpenCL C
    .language_version:
      - 2
      - 0
    .max_flat_workgroup_size: 256
    .name:           _ZN7rocprim17ROCPRIM_400000_NS6detail17trampoline_kernelINS0_14default_configENS1_38merge_sort_block_merge_config_selectorIyNS0_10empty_typeEEEZZNS1_27merge_sort_block_merge_implIS3_N6thrust23THRUST_200600_302600_NS6detail15normal_iteratorINS9_10device_ptrIyEEEEPS5_jNS1_19radix_merge_compareILb0ELb0EyNS0_19identity_decomposerEEEEE10hipError_tT0_T1_T2_jT3_P12ihipStream_tbPNSt15iterator_traitsISK_E10value_typeEPNSQ_ISL_E10value_typeEPSM_NS1_7vsmem_tEENKUlT_SK_SL_SM_E_clIPySE_SF_SF_EESJ_SZ_SK_SL_SM_EUlSZ_E1_NS1_11comp_targetILNS1_3genE3ELNS1_11target_archE908ELNS1_3gpuE7ELNS1_3repE0EEENS1_36merge_oddeven_config_static_selectorELNS0_4arch9wavefront6targetE1EEEvSL_
    .private_segment_fixed_size: 0
    .sgpr_count:     4
    .sgpr_spill_count: 0
    .symbol:         _ZN7rocprim17ROCPRIM_400000_NS6detail17trampoline_kernelINS0_14default_configENS1_38merge_sort_block_merge_config_selectorIyNS0_10empty_typeEEEZZNS1_27merge_sort_block_merge_implIS3_N6thrust23THRUST_200600_302600_NS6detail15normal_iteratorINS9_10device_ptrIyEEEEPS5_jNS1_19radix_merge_compareILb0ELb0EyNS0_19identity_decomposerEEEEE10hipError_tT0_T1_T2_jT3_P12ihipStream_tbPNSt15iterator_traitsISK_E10value_typeEPNSQ_ISL_E10value_typeEPSM_NS1_7vsmem_tEENKUlT_SK_SL_SM_E_clIPySE_SF_SF_EESJ_SZ_SK_SL_SM_EUlSZ_E1_NS1_11comp_targetILNS1_3genE3ELNS1_11target_archE908ELNS1_3gpuE7ELNS1_3repE0EEENS1_36merge_oddeven_config_static_selectorELNS0_4arch9wavefront6targetE1EEEvSL_.kd
    .uniform_work_group_size: 1
    .uses_dynamic_stack: false
    .vgpr_count:     0
    .vgpr_spill_count: 0
    .wavefront_size: 64
  - .agpr_count:     0
    .args:
      - .offset:         0
        .size:           48
        .value_kind:     by_value
    .group_segment_fixed_size: 0
    .kernarg_segment_align: 8
    .kernarg_segment_size: 48
    .language:       OpenCL C
    .language_version:
      - 2
      - 0
    .max_flat_workgroup_size: 256
    .name:           _ZN7rocprim17ROCPRIM_400000_NS6detail17trampoline_kernelINS0_14default_configENS1_38merge_sort_block_merge_config_selectorIyNS0_10empty_typeEEEZZNS1_27merge_sort_block_merge_implIS3_N6thrust23THRUST_200600_302600_NS6detail15normal_iteratorINS9_10device_ptrIyEEEEPS5_jNS1_19radix_merge_compareILb0ELb0EyNS0_19identity_decomposerEEEEE10hipError_tT0_T1_T2_jT3_P12ihipStream_tbPNSt15iterator_traitsISK_E10value_typeEPNSQ_ISL_E10value_typeEPSM_NS1_7vsmem_tEENKUlT_SK_SL_SM_E_clIPySE_SF_SF_EESJ_SZ_SK_SL_SM_EUlSZ_E1_NS1_11comp_targetILNS1_3genE2ELNS1_11target_archE906ELNS1_3gpuE6ELNS1_3repE0EEENS1_36merge_oddeven_config_static_selectorELNS0_4arch9wavefront6targetE1EEEvSL_
    .private_segment_fixed_size: 0
    .sgpr_count:     4
    .sgpr_spill_count: 0
    .symbol:         _ZN7rocprim17ROCPRIM_400000_NS6detail17trampoline_kernelINS0_14default_configENS1_38merge_sort_block_merge_config_selectorIyNS0_10empty_typeEEEZZNS1_27merge_sort_block_merge_implIS3_N6thrust23THRUST_200600_302600_NS6detail15normal_iteratorINS9_10device_ptrIyEEEEPS5_jNS1_19radix_merge_compareILb0ELb0EyNS0_19identity_decomposerEEEEE10hipError_tT0_T1_T2_jT3_P12ihipStream_tbPNSt15iterator_traitsISK_E10value_typeEPNSQ_ISL_E10value_typeEPSM_NS1_7vsmem_tEENKUlT_SK_SL_SM_E_clIPySE_SF_SF_EESJ_SZ_SK_SL_SM_EUlSZ_E1_NS1_11comp_targetILNS1_3genE2ELNS1_11target_archE906ELNS1_3gpuE6ELNS1_3repE0EEENS1_36merge_oddeven_config_static_selectorELNS0_4arch9wavefront6targetE1EEEvSL_.kd
    .uniform_work_group_size: 1
    .uses_dynamic_stack: false
    .vgpr_count:     0
    .vgpr_spill_count: 0
    .wavefront_size: 64
  - .agpr_count:     0
    .args:
      - .offset:         0
        .size:           48
        .value_kind:     by_value
    .group_segment_fixed_size: 0
    .kernarg_segment_align: 8
    .kernarg_segment_size: 48
    .language:       OpenCL C
    .language_version:
      - 2
      - 0
    .max_flat_workgroup_size: 256
    .name:           _ZN7rocprim17ROCPRIM_400000_NS6detail17trampoline_kernelINS0_14default_configENS1_38merge_sort_block_merge_config_selectorIyNS0_10empty_typeEEEZZNS1_27merge_sort_block_merge_implIS3_N6thrust23THRUST_200600_302600_NS6detail15normal_iteratorINS9_10device_ptrIyEEEEPS5_jNS1_19radix_merge_compareILb0ELb0EyNS0_19identity_decomposerEEEEE10hipError_tT0_T1_T2_jT3_P12ihipStream_tbPNSt15iterator_traitsISK_E10value_typeEPNSQ_ISL_E10value_typeEPSM_NS1_7vsmem_tEENKUlT_SK_SL_SM_E_clIPySE_SF_SF_EESJ_SZ_SK_SL_SM_EUlSZ_E1_NS1_11comp_targetILNS1_3genE9ELNS1_11target_archE1100ELNS1_3gpuE3ELNS1_3repE0EEENS1_36merge_oddeven_config_static_selectorELNS0_4arch9wavefront6targetE1EEEvSL_
    .private_segment_fixed_size: 0
    .sgpr_count:     4
    .sgpr_spill_count: 0
    .symbol:         _ZN7rocprim17ROCPRIM_400000_NS6detail17trampoline_kernelINS0_14default_configENS1_38merge_sort_block_merge_config_selectorIyNS0_10empty_typeEEEZZNS1_27merge_sort_block_merge_implIS3_N6thrust23THRUST_200600_302600_NS6detail15normal_iteratorINS9_10device_ptrIyEEEEPS5_jNS1_19radix_merge_compareILb0ELb0EyNS0_19identity_decomposerEEEEE10hipError_tT0_T1_T2_jT3_P12ihipStream_tbPNSt15iterator_traitsISK_E10value_typeEPNSQ_ISL_E10value_typeEPSM_NS1_7vsmem_tEENKUlT_SK_SL_SM_E_clIPySE_SF_SF_EESJ_SZ_SK_SL_SM_EUlSZ_E1_NS1_11comp_targetILNS1_3genE9ELNS1_11target_archE1100ELNS1_3gpuE3ELNS1_3repE0EEENS1_36merge_oddeven_config_static_selectorELNS0_4arch9wavefront6targetE1EEEvSL_.kd
    .uniform_work_group_size: 1
    .uses_dynamic_stack: false
    .vgpr_count:     0
    .vgpr_spill_count: 0
    .wavefront_size: 64
  - .agpr_count:     0
    .args:
      - .offset:         0
        .size:           48
        .value_kind:     by_value
    .group_segment_fixed_size: 0
    .kernarg_segment_align: 8
    .kernarg_segment_size: 48
    .language:       OpenCL C
    .language_version:
      - 2
      - 0
    .max_flat_workgroup_size: 256
    .name:           _ZN7rocprim17ROCPRIM_400000_NS6detail17trampoline_kernelINS0_14default_configENS1_38merge_sort_block_merge_config_selectorIyNS0_10empty_typeEEEZZNS1_27merge_sort_block_merge_implIS3_N6thrust23THRUST_200600_302600_NS6detail15normal_iteratorINS9_10device_ptrIyEEEEPS5_jNS1_19radix_merge_compareILb0ELb0EyNS0_19identity_decomposerEEEEE10hipError_tT0_T1_T2_jT3_P12ihipStream_tbPNSt15iterator_traitsISK_E10value_typeEPNSQ_ISL_E10value_typeEPSM_NS1_7vsmem_tEENKUlT_SK_SL_SM_E_clIPySE_SF_SF_EESJ_SZ_SK_SL_SM_EUlSZ_E1_NS1_11comp_targetILNS1_3genE8ELNS1_11target_archE1030ELNS1_3gpuE2ELNS1_3repE0EEENS1_36merge_oddeven_config_static_selectorELNS0_4arch9wavefront6targetE1EEEvSL_
    .private_segment_fixed_size: 0
    .sgpr_count:     4
    .sgpr_spill_count: 0
    .symbol:         _ZN7rocprim17ROCPRIM_400000_NS6detail17trampoline_kernelINS0_14default_configENS1_38merge_sort_block_merge_config_selectorIyNS0_10empty_typeEEEZZNS1_27merge_sort_block_merge_implIS3_N6thrust23THRUST_200600_302600_NS6detail15normal_iteratorINS9_10device_ptrIyEEEEPS5_jNS1_19radix_merge_compareILb0ELb0EyNS0_19identity_decomposerEEEEE10hipError_tT0_T1_T2_jT3_P12ihipStream_tbPNSt15iterator_traitsISK_E10value_typeEPNSQ_ISL_E10value_typeEPSM_NS1_7vsmem_tEENKUlT_SK_SL_SM_E_clIPySE_SF_SF_EESJ_SZ_SK_SL_SM_EUlSZ_E1_NS1_11comp_targetILNS1_3genE8ELNS1_11target_archE1030ELNS1_3gpuE2ELNS1_3repE0EEENS1_36merge_oddeven_config_static_selectorELNS0_4arch9wavefront6targetE1EEEvSL_.kd
    .uniform_work_group_size: 1
    .uses_dynamic_stack: false
    .vgpr_count:     0
    .vgpr_spill_count: 0
    .wavefront_size: 64
  - .agpr_count:     0
    .args:
      - .offset:         0
        .size:           40
        .value_kind:     by_value
    .group_segment_fixed_size: 0
    .kernarg_segment_align: 8
    .kernarg_segment_size: 40
    .language:       OpenCL C
    .language_version:
      - 2
      - 0
    .max_flat_workgroup_size: 128
    .name:           _ZN7rocprim17ROCPRIM_400000_NS6detail17trampoline_kernelINS0_14default_configENS1_38merge_sort_block_merge_config_selectorIyNS0_10empty_typeEEEZZNS1_27merge_sort_block_merge_implIS3_N6thrust23THRUST_200600_302600_NS6detail15normal_iteratorINS9_10device_ptrIyEEEEPS5_jNS1_19radix_merge_compareILb0ELb0EyNS0_19identity_decomposerEEEEE10hipError_tT0_T1_T2_jT3_P12ihipStream_tbPNSt15iterator_traitsISK_E10value_typeEPNSQ_ISL_E10value_typeEPSM_NS1_7vsmem_tEENKUlT_SK_SL_SM_E_clISE_PySF_SF_EESJ_SZ_SK_SL_SM_EUlSZ_E_NS1_11comp_targetILNS1_3genE0ELNS1_11target_archE4294967295ELNS1_3gpuE0ELNS1_3repE0EEENS1_48merge_mergepath_partition_config_static_selectorELNS0_4arch9wavefront6targetE1EEEvSL_
    .private_segment_fixed_size: 0
    .sgpr_count:     4
    .sgpr_spill_count: 0
    .symbol:         _ZN7rocprim17ROCPRIM_400000_NS6detail17trampoline_kernelINS0_14default_configENS1_38merge_sort_block_merge_config_selectorIyNS0_10empty_typeEEEZZNS1_27merge_sort_block_merge_implIS3_N6thrust23THRUST_200600_302600_NS6detail15normal_iteratorINS9_10device_ptrIyEEEEPS5_jNS1_19radix_merge_compareILb0ELb0EyNS0_19identity_decomposerEEEEE10hipError_tT0_T1_T2_jT3_P12ihipStream_tbPNSt15iterator_traitsISK_E10value_typeEPNSQ_ISL_E10value_typeEPSM_NS1_7vsmem_tEENKUlT_SK_SL_SM_E_clISE_PySF_SF_EESJ_SZ_SK_SL_SM_EUlSZ_E_NS1_11comp_targetILNS1_3genE0ELNS1_11target_archE4294967295ELNS1_3gpuE0ELNS1_3repE0EEENS1_48merge_mergepath_partition_config_static_selectorELNS0_4arch9wavefront6targetE1EEEvSL_.kd
    .uniform_work_group_size: 1
    .uses_dynamic_stack: false
    .vgpr_count:     0
    .vgpr_spill_count: 0
    .wavefront_size: 64
  - .agpr_count:     0
    .args:
      - .offset:         0
        .size:           40
        .value_kind:     by_value
    .group_segment_fixed_size: 0
    .kernarg_segment_align: 8
    .kernarg_segment_size: 40
    .language:       OpenCL C
    .language_version:
      - 2
      - 0
    .max_flat_workgroup_size: 128
    .name:           _ZN7rocprim17ROCPRIM_400000_NS6detail17trampoline_kernelINS0_14default_configENS1_38merge_sort_block_merge_config_selectorIyNS0_10empty_typeEEEZZNS1_27merge_sort_block_merge_implIS3_N6thrust23THRUST_200600_302600_NS6detail15normal_iteratorINS9_10device_ptrIyEEEEPS5_jNS1_19radix_merge_compareILb0ELb0EyNS0_19identity_decomposerEEEEE10hipError_tT0_T1_T2_jT3_P12ihipStream_tbPNSt15iterator_traitsISK_E10value_typeEPNSQ_ISL_E10value_typeEPSM_NS1_7vsmem_tEENKUlT_SK_SL_SM_E_clISE_PySF_SF_EESJ_SZ_SK_SL_SM_EUlSZ_E_NS1_11comp_targetILNS1_3genE10ELNS1_11target_archE1201ELNS1_3gpuE5ELNS1_3repE0EEENS1_48merge_mergepath_partition_config_static_selectorELNS0_4arch9wavefront6targetE1EEEvSL_
    .private_segment_fixed_size: 0
    .sgpr_count:     4
    .sgpr_spill_count: 0
    .symbol:         _ZN7rocprim17ROCPRIM_400000_NS6detail17trampoline_kernelINS0_14default_configENS1_38merge_sort_block_merge_config_selectorIyNS0_10empty_typeEEEZZNS1_27merge_sort_block_merge_implIS3_N6thrust23THRUST_200600_302600_NS6detail15normal_iteratorINS9_10device_ptrIyEEEEPS5_jNS1_19radix_merge_compareILb0ELb0EyNS0_19identity_decomposerEEEEE10hipError_tT0_T1_T2_jT3_P12ihipStream_tbPNSt15iterator_traitsISK_E10value_typeEPNSQ_ISL_E10value_typeEPSM_NS1_7vsmem_tEENKUlT_SK_SL_SM_E_clISE_PySF_SF_EESJ_SZ_SK_SL_SM_EUlSZ_E_NS1_11comp_targetILNS1_3genE10ELNS1_11target_archE1201ELNS1_3gpuE5ELNS1_3repE0EEENS1_48merge_mergepath_partition_config_static_selectorELNS0_4arch9wavefront6targetE1EEEvSL_.kd
    .uniform_work_group_size: 1
    .uses_dynamic_stack: false
    .vgpr_count:     0
    .vgpr_spill_count: 0
    .wavefront_size: 64
  - .agpr_count:     0
    .args:
      - .offset:         0
        .size:           40
        .value_kind:     by_value
    .group_segment_fixed_size: 0
    .kernarg_segment_align: 8
    .kernarg_segment_size: 40
    .language:       OpenCL C
    .language_version:
      - 2
      - 0
    .max_flat_workgroup_size: 128
    .name:           _ZN7rocprim17ROCPRIM_400000_NS6detail17trampoline_kernelINS0_14default_configENS1_38merge_sort_block_merge_config_selectorIyNS0_10empty_typeEEEZZNS1_27merge_sort_block_merge_implIS3_N6thrust23THRUST_200600_302600_NS6detail15normal_iteratorINS9_10device_ptrIyEEEEPS5_jNS1_19radix_merge_compareILb0ELb0EyNS0_19identity_decomposerEEEEE10hipError_tT0_T1_T2_jT3_P12ihipStream_tbPNSt15iterator_traitsISK_E10value_typeEPNSQ_ISL_E10value_typeEPSM_NS1_7vsmem_tEENKUlT_SK_SL_SM_E_clISE_PySF_SF_EESJ_SZ_SK_SL_SM_EUlSZ_E_NS1_11comp_targetILNS1_3genE5ELNS1_11target_archE942ELNS1_3gpuE9ELNS1_3repE0EEENS1_48merge_mergepath_partition_config_static_selectorELNS0_4arch9wavefront6targetE1EEEvSL_
    .private_segment_fixed_size: 0
    .sgpr_count:     4
    .sgpr_spill_count: 0
    .symbol:         _ZN7rocprim17ROCPRIM_400000_NS6detail17trampoline_kernelINS0_14default_configENS1_38merge_sort_block_merge_config_selectorIyNS0_10empty_typeEEEZZNS1_27merge_sort_block_merge_implIS3_N6thrust23THRUST_200600_302600_NS6detail15normal_iteratorINS9_10device_ptrIyEEEEPS5_jNS1_19radix_merge_compareILb0ELb0EyNS0_19identity_decomposerEEEEE10hipError_tT0_T1_T2_jT3_P12ihipStream_tbPNSt15iterator_traitsISK_E10value_typeEPNSQ_ISL_E10value_typeEPSM_NS1_7vsmem_tEENKUlT_SK_SL_SM_E_clISE_PySF_SF_EESJ_SZ_SK_SL_SM_EUlSZ_E_NS1_11comp_targetILNS1_3genE5ELNS1_11target_archE942ELNS1_3gpuE9ELNS1_3repE0EEENS1_48merge_mergepath_partition_config_static_selectorELNS0_4arch9wavefront6targetE1EEEvSL_.kd
    .uniform_work_group_size: 1
    .uses_dynamic_stack: false
    .vgpr_count:     0
    .vgpr_spill_count: 0
    .wavefront_size: 64
  - .agpr_count:     0
    .args:
      - .offset:         0
        .size:           40
        .value_kind:     by_value
    .group_segment_fixed_size: 0
    .kernarg_segment_align: 8
    .kernarg_segment_size: 40
    .language:       OpenCL C
    .language_version:
      - 2
      - 0
    .max_flat_workgroup_size: 128
    .name:           _ZN7rocprim17ROCPRIM_400000_NS6detail17trampoline_kernelINS0_14default_configENS1_38merge_sort_block_merge_config_selectorIyNS0_10empty_typeEEEZZNS1_27merge_sort_block_merge_implIS3_N6thrust23THRUST_200600_302600_NS6detail15normal_iteratorINS9_10device_ptrIyEEEEPS5_jNS1_19radix_merge_compareILb0ELb0EyNS0_19identity_decomposerEEEEE10hipError_tT0_T1_T2_jT3_P12ihipStream_tbPNSt15iterator_traitsISK_E10value_typeEPNSQ_ISL_E10value_typeEPSM_NS1_7vsmem_tEENKUlT_SK_SL_SM_E_clISE_PySF_SF_EESJ_SZ_SK_SL_SM_EUlSZ_E_NS1_11comp_targetILNS1_3genE4ELNS1_11target_archE910ELNS1_3gpuE8ELNS1_3repE0EEENS1_48merge_mergepath_partition_config_static_selectorELNS0_4arch9wavefront6targetE1EEEvSL_
    .private_segment_fixed_size: 0
    .sgpr_count:     12
    .sgpr_spill_count: 0
    .symbol:         _ZN7rocprim17ROCPRIM_400000_NS6detail17trampoline_kernelINS0_14default_configENS1_38merge_sort_block_merge_config_selectorIyNS0_10empty_typeEEEZZNS1_27merge_sort_block_merge_implIS3_N6thrust23THRUST_200600_302600_NS6detail15normal_iteratorINS9_10device_ptrIyEEEEPS5_jNS1_19radix_merge_compareILb0ELb0EyNS0_19identity_decomposerEEEEE10hipError_tT0_T1_T2_jT3_P12ihipStream_tbPNSt15iterator_traitsISK_E10value_typeEPNSQ_ISL_E10value_typeEPSM_NS1_7vsmem_tEENKUlT_SK_SL_SM_E_clISE_PySF_SF_EESJ_SZ_SK_SL_SM_EUlSZ_E_NS1_11comp_targetILNS1_3genE4ELNS1_11target_archE910ELNS1_3gpuE8ELNS1_3repE0EEENS1_48merge_mergepath_partition_config_static_selectorELNS0_4arch9wavefront6targetE1EEEvSL_.kd
    .uniform_work_group_size: 1
    .uses_dynamic_stack: false
    .vgpr_count:     20
    .vgpr_spill_count: 0
    .wavefront_size: 64
  - .agpr_count:     0
    .args:
      - .offset:         0
        .size:           40
        .value_kind:     by_value
    .group_segment_fixed_size: 0
    .kernarg_segment_align: 8
    .kernarg_segment_size: 40
    .language:       OpenCL C
    .language_version:
      - 2
      - 0
    .max_flat_workgroup_size: 128
    .name:           _ZN7rocprim17ROCPRIM_400000_NS6detail17trampoline_kernelINS0_14default_configENS1_38merge_sort_block_merge_config_selectorIyNS0_10empty_typeEEEZZNS1_27merge_sort_block_merge_implIS3_N6thrust23THRUST_200600_302600_NS6detail15normal_iteratorINS9_10device_ptrIyEEEEPS5_jNS1_19radix_merge_compareILb0ELb0EyNS0_19identity_decomposerEEEEE10hipError_tT0_T1_T2_jT3_P12ihipStream_tbPNSt15iterator_traitsISK_E10value_typeEPNSQ_ISL_E10value_typeEPSM_NS1_7vsmem_tEENKUlT_SK_SL_SM_E_clISE_PySF_SF_EESJ_SZ_SK_SL_SM_EUlSZ_E_NS1_11comp_targetILNS1_3genE3ELNS1_11target_archE908ELNS1_3gpuE7ELNS1_3repE0EEENS1_48merge_mergepath_partition_config_static_selectorELNS0_4arch9wavefront6targetE1EEEvSL_
    .private_segment_fixed_size: 0
    .sgpr_count:     4
    .sgpr_spill_count: 0
    .symbol:         _ZN7rocprim17ROCPRIM_400000_NS6detail17trampoline_kernelINS0_14default_configENS1_38merge_sort_block_merge_config_selectorIyNS0_10empty_typeEEEZZNS1_27merge_sort_block_merge_implIS3_N6thrust23THRUST_200600_302600_NS6detail15normal_iteratorINS9_10device_ptrIyEEEEPS5_jNS1_19radix_merge_compareILb0ELb0EyNS0_19identity_decomposerEEEEE10hipError_tT0_T1_T2_jT3_P12ihipStream_tbPNSt15iterator_traitsISK_E10value_typeEPNSQ_ISL_E10value_typeEPSM_NS1_7vsmem_tEENKUlT_SK_SL_SM_E_clISE_PySF_SF_EESJ_SZ_SK_SL_SM_EUlSZ_E_NS1_11comp_targetILNS1_3genE3ELNS1_11target_archE908ELNS1_3gpuE7ELNS1_3repE0EEENS1_48merge_mergepath_partition_config_static_selectorELNS0_4arch9wavefront6targetE1EEEvSL_.kd
    .uniform_work_group_size: 1
    .uses_dynamic_stack: false
    .vgpr_count:     0
    .vgpr_spill_count: 0
    .wavefront_size: 64
  - .agpr_count:     0
    .args:
      - .offset:         0
        .size:           40
        .value_kind:     by_value
    .group_segment_fixed_size: 0
    .kernarg_segment_align: 8
    .kernarg_segment_size: 40
    .language:       OpenCL C
    .language_version:
      - 2
      - 0
    .max_flat_workgroup_size: 128
    .name:           _ZN7rocprim17ROCPRIM_400000_NS6detail17trampoline_kernelINS0_14default_configENS1_38merge_sort_block_merge_config_selectorIyNS0_10empty_typeEEEZZNS1_27merge_sort_block_merge_implIS3_N6thrust23THRUST_200600_302600_NS6detail15normal_iteratorINS9_10device_ptrIyEEEEPS5_jNS1_19radix_merge_compareILb0ELb0EyNS0_19identity_decomposerEEEEE10hipError_tT0_T1_T2_jT3_P12ihipStream_tbPNSt15iterator_traitsISK_E10value_typeEPNSQ_ISL_E10value_typeEPSM_NS1_7vsmem_tEENKUlT_SK_SL_SM_E_clISE_PySF_SF_EESJ_SZ_SK_SL_SM_EUlSZ_E_NS1_11comp_targetILNS1_3genE2ELNS1_11target_archE906ELNS1_3gpuE6ELNS1_3repE0EEENS1_48merge_mergepath_partition_config_static_selectorELNS0_4arch9wavefront6targetE1EEEvSL_
    .private_segment_fixed_size: 0
    .sgpr_count:     4
    .sgpr_spill_count: 0
    .symbol:         _ZN7rocprim17ROCPRIM_400000_NS6detail17trampoline_kernelINS0_14default_configENS1_38merge_sort_block_merge_config_selectorIyNS0_10empty_typeEEEZZNS1_27merge_sort_block_merge_implIS3_N6thrust23THRUST_200600_302600_NS6detail15normal_iteratorINS9_10device_ptrIyEEEEPS5_jNS1_19radix_merge_compareILb0ELb0EyNS0_19identity_decomposerEEEEE10hipError_tT0_T1_T2_jT3_P12ihipStream_tbPNSt15iterator_traitsISK_E10value_typeEPNSQ_ISL_E10value_typeEPSM_NS1_7vsmem_tEENKUlT_SK_SL_SM_E_clISE_PySF_SF_EESJ_SZ_SK_SL_SM_EUlSZ_E_NS1_11comp_targetILNS1_3genE2ELNS1_11target_archE906ELNS1_3gpuE6ELNS1_3repE0EEENS1_48merge_mergepath_partition_config_static_selectorELNS0_4arch9wavefront6targetE1EEEvSL_.kd
    .uniform_work_group_size: 1
    .uses_dynamic_stack: false
    .vgpr_count:     0
    .vgpr_spill_count: 0
    .wavefront_size: 64
  - .agpr_count:     0
    .args:
      - .offset:         0
        .size:           40
        .value_kind:     by_value
    .group_segment_fixed_size: 0
    .kernarg_segment_align: 8
    .kernarg_segment_size: 40
    .language:       OpenCL C
    .language_version:
      - 2
      - 0
    .max_flat_workgroup_size: 128
    .name:           _ZN7rocprim17ROCPRIM_400000_NS6detail17trampoline_kernelINS0_14default_configENS1_38merge_sort_block_merge_config_selectorIyNS0_10empty_typeEEEZZNS1_27merge_sort_block_merge_implIS3_N6thrust23THRUST_200600_302600_NS6detail15normal_iteratorINS9_10device_ptrIyEEEEPS5_jNS1_19radix_merge_compareILb0ELb0EyNS0_19identity_decomposerEEEEE10hipError_tT0_T1_T2_jT3_P12ihipStream_tbPNSt15iterator_traitsISK_E10value_typeEPNSQ_ISL_E10value_typeEPSM_NS1_7vsmem_tEENKUlT_SK_SL_SM_E_clISE_PySF_SF_EESJ_SZ_SK_SL_SM_EUlSZ_E_NS1_11comp_targetILNS1_3genE9ELNS1_11target_archE1100ELNS1_3gpuE3ELNS1_3repE0EEENS1_48merge_mergepath_partition_config_static_selectorELNS0_4arch9wavefront6targetE1EEEvSL_
    .private_segment_fixed_size: 0
    .sgpr_count:     4
    .sgpr_spill_count: 0
    .symbol:         _ZN7rocprim17ROCPRIM_400000_NS6detail17trampoline_kernelINS0_14default_configENS1_38merge_sort_block_merge_config_selectorIyNS0_10empty_typeEEEZZNS1_27merge_sort_block_merge_implIS3_N6thrust23THRUST_200600_302600_NS6detail15normal_iteratorINS9_10device_ptrIyEEEEPS5_jNS1_19radix_merge_compareILb0ELb0EyNS0_19identity_decomposerEEEEE10hipError_tT0_T1_T2_jT3_P12ihipStream_tbPNSt15iterator_traitsISK_E10value_typeEPNSQ_ISL_E10value_typeEPSM_NS1_7vsmem_tEENKUlT_SK_SL_SM_E_clISE_PySF_SF_EESJ_SZ_SK_SL_SM_EUlSZ_E_NS1_11comp_targetILNS1_3genE9ELNS1_11target_archE1100ELNS1_3gpuE3ELNS1_3repE0EEENS1_48merge_mergepath_partition_config_static_selectorELNS0_4arch9wavefront6targetE1EEEvSL_.kd
    .uniform_work_group_size: 1
    .uses_dynamic_stack: false
    .vgpr_count:     0
    .vgpr_spill_count: 0
    .wavefront_size: 64
  - .agpr_count:     0
    .args:
      - .offset:         0
        .size:           40
        .value_kind:     by_value
    .group_segment_fixed_size: 0
    .kernarg_segment_align: 8
    .kernarg_segment_size: 40
    .language:       OpenCL C
    .language_version:
      - 2
      - 0
    .max_flat_workgroup_size: 128
    .name:           _ZN7rocprim17ROCPRIM_400000_NS6detail17trampoline_kernelINS0_14default_configENS1_38merge_sort_block_merge_config_selectorIyNS0_10empty_typeEEEZZNS1_27merge_sort_block_merge_implIS3_N6thrust23THRUST_200600_302600_NS6detail15normal_iteratorINS9_10device_ptrIyEEEEPS5_jNS1_19radix_merge_compareILb0ELb0EyNS0_19identity_decomposerEEEEE10hipError_tT0_T1_T2_jT3_P12ihipStream_tbPNSt15iterator_traitsISK_E10value_typeEPNSQ_ISL_E10value_typeEPSM_NS1_7vsmem_tEENKUlT_SK_SL_SM_E_clISE_PySF_SF_EESJ_SZ_SK_SL_SM_EUlSZ_E_NS1_11comp_targetILNS1_3genE8ELNS1_11target_archE1030ELNS1_3gpuE2ELNS1_3repE0EEENS1_48merge_mergepath_partition_config_static_selectorELNS0_4arch9wavefront6targetE1EEEvSL_
    .private_segment_fixed_size: 0
    .sgpr_count:     4
    .sgpr_spill_count: 0
    .symbol:         _ZN7rocprim17ROCPRIM_400000_NS6detail17trampoline_kernelINS0_14default_configENS1_38merge_sort_block_merge_config_selectorIyNS0_10empty_typeEEEZZNS1_27merge_sort_block_merge_implIS3_N6thrust23THRUST_200600_302600_NS6detail15normal_iteratorINS9_10device_ptrIyEEEEPS5_jNS1_19radix_merge_compareILb0ELb0EyNS0_19identity_decomposerEEEEE10hipError_tT0_T1_T2_jT3_P12ihipStream_tbPNSt15iterator_traitsISK_E10value_typeEPNSQ_ISL_E10value_typeEPSM_NS1_7vsmem_tEENKUlT_SK_SL_SM_E_clISE_PySF_SF_EESJ_SZ_SK_SL_SM_EUlSZ_E_NS1_11comp_targetILNS1_3genE8ELNS1_11target_archE1030ELNS1_3gpuE2ELNS1_3repE0EEENS1_48merge_mergepath_partition_config_static_selectorELNS0_4arch9wavefront6targetE1EEEvSL_.kd
    .uniform_work_group_size: 1
    .uses_dynamic_stack: false
    .vgpr_count:     0
    .vgpr_spill_count: 0
    .wavefront_size: 64
  - .agpr_count:     0
    .args:
      - .offset:         0
        .size:           64
        .value_kind:     by_value
    .group_segment_fixed_size: 0
    .kernarg_segment_align: 8
    .kernarg_segment_size: 64
    .language:       OpenCL C
    .language_version:
      - 2
      - 0
    .max_flat_workgroup_size: 128
    .name:           _ZN7rocprim17ROCPRIM_400000_NS6detail17trampoline_kernelINS0_14default_configENS1_38merge_sort_block_merge_config_selectorIyNS0_10empty_typeEEEZZNS1_27merge_sort_block_merge_implIS3_N6thrust23THRUST_200600_302600_NS6detail15normal_iteratorINS9_10device_ptrIyEEEEPS5_jNS1_19radix_merge_compareILb0ELb0EyNS0_19identity_decomposerEEEEE10hipError_tT0_T1_T2_jT3_P12ihipStream_tbPNSt15iterator_traitsISK_E10value_typeEPNSQ_ISL_E10value_typeEPSM_NS1_7vsmem_tEENKUlT_SK_SL_SM_E_clISE_PySF_SF_EESJ_SZ_SK_SL_SM_EUlSZ_E0_NS1_11comp_targetILNS1_3genE0ELNS1_11target_archE4294967295ELNS1_3gpuE0ELNS1_3repE0EEENS1_38merge_mergepath_config_static_selectorELNS0_4arch9wavefront6targetE1EEEvSL_
    .private_segment_fixed_size: 0
    .sgpr_count:     4
    .sgpr_spill_count: 0
    .symbol:         _ZN7rocprim17ROCPRIM_400000_NS6detail17trampoline_kernelINS0_14default_configENS1_38merge_sort_block_merge_config_selectorIyNS0_10empty_typeEEEZZNS1_27merge_sort_block_merge_implIS3_N6thrust23THRUST_200600_302600_NS6detail15normal_iteratorINS9_10device_ptrIyEEEEPS5_jNS1_19radix_merge_compareILb0ELb0EyNS0_19identity_decomposerEEEEE10hipError_tT0_T1_T2_jT3_P12ihipStream_tbPNSt15iterator_traitsISK_E10value_typeEPNSQ_ISL_E10value_typeEPSM_NS1_7vsmem_tEENKUlT_SK_SL_SM_E_clISE_PySF_SF_EESJ_SZ_SK_SL_SM_EUlSZ_E0_NS1_11comp_targetILNS1_3genE0ELNS1_11target_archE4294967295ELNS1_3gpuE0ELNS1_3repE0EEENS1_38merge_mergepath_config_static_selectorELNS0_4arch9wavefront6targetE1EEEvSL_.kd
    .uniform_work_group_size: 1
    .uses_dynamic_stack: false
    .vgpr_count:     0
    .vgpr_spill_count: 0
    .wavefront_size: 64
  - .agpr_count:     0
    .args:
      - .offset:         0
        .size:           64
        .value_kind:     by_value
    .group_segment_fixed_size: 0
    .kernarg_segment_align: 8
    .kernarg_segment_size: 64
    .language:       OpenCL C
    .language_version:
      - 2
      - 0
    .max_flat_workgroup_size: 512
    .name:           _ZN7rocprim17ROCPRIM_400000_NS6detail17trampoline_kernelINS0_14default_configENS1_38merge_sort_block_merge_config_selectorIyNS0_10empty_typeEEEZZNS1_27merge_sort_block_merge_implIS3_N6thrust23THRUST_200600_302600_NS6detail15normal_iteratorINS9_10device_ptrIyEEEEPS5_jNS1_19radix_merge_compareILb0ELb0EyNS0_19identity_decomposerEEEEE10hipError_tT0_T1_T2_jT3_P12ihipStream_tbPNSt15iterator_traitsISK_E10value_typeEPNSQ_ISL_E10value_typeEPSM_NS1_7vsmem_tEENKUlT_SK_SL_SM_E_clISE_PySF_SF_EESJ_SZ_SK_SL_SM_EUlSZ_E0_NS1_11comp_targetILNS1_3genE10ELNS1_11target_archE1201ELNS1_3gpuE5ELNS1_3repE0EEENS1_38merge_mergepath_config_static_selectorELNS0_4arch9wavefront6targetE1EEEvSL_
    .private_segment_fixed_size: 0
    .sgpr_count:     4
    .sgpr_spill_count: 0
    .symbol:         _ZN7rocprim17ROCPRIM_400000_NS6detail17trampoline_kernelINS0_14default_configENS1_38merge_sort_block_merge_config_selectorIyNS0_10empty_typeEEEZZNS1_27merge_sort_block_merge_implIS3_N6thrust23THRUST_200600_302600_NS6detail15normal_iteratorINS9_10device_ptrIyEEEEPS5_jNS1_19radix_merge_compareILb0ELb0EyNS0_19identity_decomposerEEEEE10hipError_tT0_T1_T2_jT3_P12ihipStream_tbPNSt15iterator_traitsISK_E10value_typeEPNSQ_ISL_E10value_typeEPSM_NS1_7vsmem_tEENKUlT_SK_SL_SM_E_clISE_PySF_SF_EESJ_SZ_SK_SL_SM_EUlSZ_E0_NS1_11comp_targetILNS1_3genE10ELNS1_11target_archE1201ELNS1_3gpuE5ELNS1_3repE0EEENS1_38merge_mergepath_config_static_selectorELNS0_4arch9wavefront6targetE1EEEvSL_.kd
    .uniform_work_group_size: 1
    .uses_dynamic_stack: false
    .vgpr_count:     0
    .vgpr_spill_count: 0
    .wavefront_size: 64
  - .agpr_count:     0
    .args:
      - .offset:         0
        .size:           64
        .value_kind:     by_value
    .group_segment_fixed_size: 0
    .kernarg_segment_align: 8
    .kernarg_segment_size: 64
    .language:       OpenCL C
    .language_version:
      - 2
      - 0
    .max_flat_workgroup_size: 128
    .name:           _ZN7rocprim17ROCPRIM_400000_NS6detail17trampoline_kernelINS0_14default_configENS1_38merge_sort_block_merge_config_selectorIyNS0_10empty_typeEEEZZNS1_27merge_sort_block_merge_implIS3_N6thrust23THRUST_200600_302600_NS6detail15normal_iteratorINS9_10device_ptrIyEEEEPS5_jNS1_19radix_merge_compareILb0ELb0EyNS0_19identity_decomposerEEEEE10hipError_tT0_T1_T2_jT3_P12ihipStream_tbPNSt15iterator_traitsISK_E10value_typeEPNSQ_ISL_E10value_typeEPSM_NS1_7vsmem_tEENKUlT_SK_SL_SM_E_clISE_PySF_SF_EESJ_SZ_SK_SL_SM_EUlSZ_E0_NS1_11comp_targetILNS1_3genE5ELNS1_11target_archE942ELNS1_3gpuE9ELNS1_3repE0EEENS1_38merge_mergepath_config_static_selectorELNS0_4arch9wavefront6targetE1EEEvSL_
    .private_segment_fixed_size: 0
    .sgpr_count:     4
    .sgpr_spill_count: 0
    .symbol:         _ZN7rocprim17ROCPRIM_400000_NS6detail17trampoline_kernelINS0_14default_configENS1_38merge_sort_block_merge_config_selectorIyNS0_10empty_typeEEEZZNS1_27merge_sort_block_merge_implIS3_N6thrust23THRUST_200600_302600_NS6detail15normal_iteratorINS9_10device_ptrIyEEEEPS5_jNS1_19radix_merge_compareILb0ELb0EyNS0_19identity_decomposerEEEEE10hipError_tT0_T1_T2_jT3_P12ihipStream_tbPNSt15iterator_traitsISK_E10value_typeEPNSQ_ISL_E10value_typeEPSM_NS1_7vsmem_tEENKUlT_SK_SL_SM_E_clISE_PySF_SF_EESJ_SZ_SK_SL_SM_EUlSZ_E0_NS1_11comp_targetILNS1_3genE5ELNS1_11target_archE942ELNS1_3gpuE9ELNS1_3repE0EEENS1_38merge_mergepath_config_static_selectorELNS0_4arch9wavefront6targetE1EEEvSL_.kd
    .uniform_work_group_size: 1
    .uses_dynamic_stack: false
    .vgpr_count:     0
    .vgpr_spill_count: 0
    .wavefront_size: 64
  - .agpr_count:     0
    .args:
      - .offset:         0
        .size:           64
        .value_kind:     by_value
      - .offset:         64
        .size:           4
        .value_kind:     hidden_block_count_x
      - .offset:         68
        .size:           4
        .value_kind:     hidden_block_count_y
      - .offset:         72
        .size:           4
        .value_kind:     hidden_block_count_z
      - .offset:         76
        .size:           2
        .value_kind:     hidden_group_size_x
      - .offset:         78
        .size:           2
        .value_kind:     hidden_group_size_y
      - .offset:         80
        .size:           2
        .value_kind:     hidden_group_size_z
      - .offset:         82
        .size:           2
        .value_kind:     hidden_remainder_x
      - .offset:         84
        .size:           2
        .value_kind:     hidden_remainder_y
      - .offset:         86
        .size:           2
        .value_kind:     hidden_remainder_z
      - .offset:         104
        .size:           8
        .value_kind:     hidden_global_offset_x
      - .offset:         112
        .size:           8
        .value_kind:     hidden_global_offset_y
      - .offset:         120
        .size:           8
        .value_kind:     hidden_global_offset_z
      - .offset:         128
        .size:           2
        .value_kind:     hidden_grid_dims
    .group_segment_fixed_size: 8448
    .kernarg_segment_align: 8
    .kernarg_segment_size: 320
    .language:       OpenCL C
    .language_version:
      - 2
      - 0
    .max_flat_workgroup_size: 256
    .name:           _ZN7rocprim17ROCPRIM_400000_NS6detail17trampoline_kernelINS0_14default_configENS1_38merge_sort_block_merge_config_selectorIyNS0_10empty_typeEEEZZNS1_27merge_sort_block_merge_implIS3_N6thrust23THRUST_200600_302600_NS6detail15normal_iteratorINS9_10device_ptrIyEEEEPS5_jNS1_19radix_merge_compareILb0ELb0EyNS0_19identity_decomposerEEEEE10hipError_tT0_T1_T2_jT3_P12ihipStream_tbPNSt15iterator_traitsISK_E10value_typeEPNSQ_ISL_E10value_typeEPSM_NS1_7vsmem_tEENKUlT_SK_SL_SM_E_clISE_PySF_SF_EESJ_SZ_SK_SL_SM_EUlSZ_E0_NS1_11comp_targetILNS1_3genE4ELNS1_11target_archE910ELNS1_3gpuE8ELNS1_3repE0EEENS1_38merge_mergepath_config_static_selectorELNS0_4arch9wavefront6targetE1EEEvSL_
    .private_segment_fixed_size: 0
    .sgpr_count:     27
    .sgpr_spill_count: 0
    .symbol:         _ZN7rocprim17ROCPRIM_400000_NS6detail17trampoline_kernelINS0_14default_configENS1_38merge_sort_block_merge_config_selectorIyNS0_10empty_typeEEEZZNS1_27merge_sort_block_merge_implIS3_N6thrust23THRUST_200600_302600_NS6detail15normal_iteratorINS9_10device_ptrIyEEEEPS5_jNS1_19radix_merge_compareILb0ELb0EyNS0_19identity_decomposerEEEEE10hipError_tT0_T1_T2_jT3_P12ihipStream_tbPNSt15iterator_traitsISK_E10value_typeEPNSQ_ISL_E10value_typeEPSM_NS1_7vsmem_tEENKUlT_SK_SL_SM_E_clISE_PySF_SF_EESJ_SZ_SK_SL_SM_EUlSZ_E0_NS1_11comp_targetILNS1_3genE4ELNS1_11target_archE910ELNS1_3gpuE8ELNS1_3repE0EEENS1_38merge_mergepath_config_static_selectorELNS0_4arch9wavefront6targetE1EEEvSL_.kd
    .uniform_work_group_size: 1
    .uses_dynamic_stack: false
    .vgpr_count:     22
    .vgpr_spill_count: 0
    .wavefront_size: 64
  - .agpr_count:     0
    .args:
      - .offset:         0
        .size:           64
        .value_kind:     by_value
    .group_segment_fixed_size: 0
    .kernarg_segment_align: 8
    .kernarg_segment_size: 64
    .language:       OpenCL C
    .language_version:
      - 2
      - 0
    .max_flat_workgroup_size: 128
    .name:           _ZN7rocprim17ROCPRIM_400000_NS6detail17trampoline_kernelINS0_14default_configENS1_38merge_sort_block_merge_config_selectorIyNS0_10empty_typeEEEZZNS1_27merge_sort_block_merge_implIS3_N6thrust23THRUST_200600_302600_NS6detail15normal_iteratorINS9_10device_ptrIyEEEEPS5_jNS1_19radix_merge_compareILb0ELb0EyNS0_19identity_decomposerEEEEE10hipError_tT0_T1_T2_jT3_P12ihipStream_tbPNSt15iterator_traitsISK_E10value_typeEPNSQ_ISL_E10value_typeEPSM_NS1_7vsmem_tEENKUlT_SK_SL_SM_E_clISE_PySF_SF_EESJ_SZ_SK_SL_SM_EUlSZ_E0_NS1_11comp_targetILNS1_3genE3ELNS1_11target_archE908ELNS1_3gpuE7ELNS1_3repE0EEENS1_38merge_mergepath_config_static_selectorELNS0_4arch9wavefront6targetE1EEEvSL_
    .private_segment_fixed_size: 0
    .sgpr_count:     4
    .sgpr_spill_count: 0
    .symbol:         _ZN7rocprim17ROCPRIM_400000_NS6detail17trampoline_kernelINS0_14default_configENS1_38merge_sort_block_merge_config_selectorIyNS0_10empty_typeEEEZZNS1_27merge_sort_block_merge_implIS3_N6thrust23THRUST_200600_302600_NS6detail15normal_iteratorINS9_10device_ptrIyEEEEPS5_jNS1_19radix_merge_compareILb0ELb0EyNS0_19identity_decomposerEEEEE10hipError_tT0_T1_T2_jT3_P12ihipStream_tbPNSt15iterator_traitsISK_E10value_typeEPNSQ_ISL_E10value_typeEPSM_NS1_7vsmem_tEENKUlT_SK_SL_SM_E_clISE_PySF_SF_EESJ_SZ_SK_SL_SM_EUlSZ_E0_NS1_11comp_targetILNS1_3genE3ELNS1_11target_archE908ELNS1_3gpuE7ELNS1_3repE0EEENS1_38merge_mergepath_config_static_selectorELNS0_4arch9wavefront6targetE1EEEvSL_.kd
    .uniform_work_group_size: 1
    .uses_dynamic_stack: false
    .vgpr_count:     0
    .vgpr_spill_count: 0
    .wavefront_size: 64
  - .agpr_count:     0
    .args:
      - .offset:         0
        .size:           64
        .value_kind:     by_value
    .group_segment_fixed_size: 0
    .kernarg_segment_align: 8
    .kernarg_segment_size: 64
    .language:       OpenCL C
    .language_version:
      - 2
      - 0
    .max_flat_workgroup_size: 256
    .name:           _ZN7rocprim17ROCPRIM_400000_NS6detail17trampoline_kernelINS0_14default_configENS1_38merge_sort_block_merge_config_selectorIyNS0_10empty_typeEEEZZNS1_27merge_sort_block_merge_implIS3_N6thrust23THRUST_200600_302600_NS6detail15normal_iteratorINS9_10device_ptrIyEEEEPS5_jNS1_19radix_merge_compareILb0ELb0EyNS0_19identity_decomposerEEEEE10hipError_tT0_T1_T2_jT3_P12ihipStream_tbPNSt15iterator_traitsISK_E10value_typeEPNSQ_ISL_E10value_typeEPSM_NS1_7vsmem_tEENKUlT_SK_SL_SM_E_clISE_PySF_SF_EESJ_SZ_SK_SL_SM_EUlSZ_E0_NS1_11comp_targetILNS1_3genE2ELNS1_11target_archE906ELNS1_3gpuE6ELNS1_3repE0EEENS1_38merge_mergepath_config_static_selectorELNS0_4arch9wavefront6targetE1EEEvSL_
    .private_segment_fixed_size: 0
    .sgpr_count:     4
    .sgpr_spill_count: 0
    .symbol:         _ZN7rocprim17ROCPRIM_400000_NS6detail17trampoline_kernelINS0_14default_configENS1_38merge_sort_block_merge_config_selectorIyNS0_10empty_typeEEEZZNS1_27merge_sort_block_merge_implIS3_N6thrust23THRUST_200600_302600_NS6detail15normal_iteratorINS9_10device_ptrIyEEEEPS5_jNS1_19radix_merge_compareILb0ELb0EyNS0_19identity_decomposerEEEEE10hipError_tT0_T1_T2_jT3_P12ihipStream_tbPNSt15iterator_traitsISK_E10value_typeEPNSQ_ISL_E10value_typeEPSM_NS1_7vsmem_tEENKUlT_SK_SL_SM_E_clISE_PySF_SF_EESJ_SZ_SK_SL_SM_EUlSZ_E0_NS1_11comp_targetILNS1_3genE2ELNS1_11target_archE906ELNS1_3gpuE6ELNS1_3repE0EEENS1_38merge_mergepath_config_static_selectorELNS0_4arch9wavefront6targetE1EEEvSL_.kd
    .uniform_work_group_size: 1
    .uses_dynamic_stack: false
    .vgpr_count:     0
    .vgpr_spill_count: 0
    .wavefront_size: 64
  - .agpr_count:     0
    .args:
      - .offset:         0
        .size:           64
        .value_kind:     by_value
    .group_segment_fixed_size: 0
    .kernarg_segment_align: 8
    .kernarg_segment_size: 64
    .language:       OpenCL C
    .language_version:
      - 2
      - 0
    .max_flat_workgroup_size: 512
    .name:           _ZN7rocprim17ROCPRIM_400000_NS6detail17trampoline_kernelINS0_14default_configENS1_38merge_sort_block_merge_config_selectorIyNS0_10empty_typeEEEZZNS1_27merge_sort_block_merge_implIS3_N6thrust23THRUST_200600_302600_NS6detail15normal_iteratorINS9_10device_ptrIyEEEEPS5_jNS1_19radix_merge_compareILb0ELb0EyNS0_19identity_decomposerEEEEE10hipError_tT0_T1_T2_jT3_P12ihipStream_tbPNSt15iterator_traitsISK_E10value_typeEPNSQ_ISL_E10value_typeEPSM_NS1_7vsmem_tEENKUlT_SK_SL_SM_E_clISE_PySF_SF_EESJ_SZ_SK_SL_SM_EUlSZ_E0_NS1_11comp_targetILNS1_3genE9ELNS1_11target_archE1100ELNS1_3gpuE3ELNS1_3repE0EEENS1_38merge_mergepath_config_static_selectorELNS0_4arch9wavefront6targetE1EEEvSL_
    .private_segment_fixed_size: 0
    .sgpr_count:     4
    .sgpr_spill_count: 0
    .symbol:         _ZN7rocprim17ROCPRIM_400000_NS6detail17trampoline_kernelINS0_14default_configENS1_38merge_sort_block_merge_config_selectorIyNS0_10empty_typeEEEZZNS1_27merge_sort_block_merge_implIS3_N6thrust23THRUST_200600_302600_NS6detail15normal_iteratorINS9_10device_ptrIyEEEEPS5_jNS1_19radix_merge_compareILb0ELb0EyNS0_19identity_decomposerEEEEE10hipError_tT0_T1_T2_jT3_P12ihipStream_tbPNSt15iterator_traitsISK_E10value_typeEPNSQ_ISL_E10value_typeEPSM_NS1_7vsmem_tEENKUlT_SK_SL_SM_E_clISE_PySF_SF_EESJ_SZ_SK_SL_SM_EUlSZ_E0_NS1_11comp_targetILNS1_3genE9ELNS1_11target_archE1100ELNS1_3gpuE3ELNS1_3repE0EEENS1_38merge_mergepath_config_static_selectorELNS0_4arch9wavefront6targetE1EEEvSL_.kd
    .uniform_work_group_size: 1
    .uses_dynamic_stack: false
    .vgpr_count:     0
    .vgpr_spill_count: 0
    .wavefront_size: 64
  - .agpr_count:     0
    .args:
      - .offset:         0
        .size:           64
        .value_kind:     by_value
    .group_segment_fixed_size: 0
    .kernarg_segment_align: 8
    .kernarg_segment_size: 64
    .language:       OpenCL C
    .language_version:
      - 2
      - 0
    .max_flat_workgroup_size: 1024
    .name:           _ZN7rocprim17ROCPRIM_400000_NS6detail17trampoline_kernelINS0_14default_configENS1_38merge_sort_block_merge_config_selectorIyNS0_10empty_typeEEEZZNS1_27merge_sort_block_merge_implIS3_N6thrust23THRUST_200600_302600_NS6detail15normal_iteratorINS9_10device_ptrIyEEEEPS5_jNS1_19radix_merge_compareILb0ELb0EyNS0_19identity_decomposerEEEEE10hipError_tT0_T1_T2_jT3_P12ihipStream_tbPNSt15iterator_traitsISK_E10value_typeEPNSQ_ISL_E10value_typeEPSM_NS1_7vsmem_tEENKUlT_SK_SL_SM_E_clISE_PySF_SF_EESJ_SZ_SK_SL_SM_EUlSZ_E0_NS1_11comp_targetILNS1_3genE8ELNS1_11target_archE1030ELNS1_3gpuE2ELNS1_3repE0EEENS1_38merge_mergepath_config_static_selectorELNS0_4arch9wavefront6targetE1EEEvSL_
    .private_segment_fixed_size: 0
    .sgpr_count:     4
    .sgpr_spill_count: 0
    .symbol:         _ZN7rocprim17ROCPRIM_400000_NS6detail17trampoline_kernelINS0_14default_configENS1_38merge_sort_block_merge_config_selectorIyNS0_10empty_typeEEEZZNS1_27merge_sort_block_merge_implIS3_N6thrust23THRUST_200600_302600_NS6detail15normal_iteratorINS9_10device_ptrIyEEEEPS5_jNS1_19radix_merge_compareILb0ELb0EyNS0_19identity_decomposerEEEEE10hipError_tT0_T1_T2_jT3_P12ihipStream_tbPNSt15iterator_traitsISK_E10value_typeEPNSQ_ISL_E10value_typeEPSM_NS1_7vsmem_tEENKUlT_SK_SL_SM_E_clISE_PySF_SF_EESJ_SZ_SK_SL_SM_EUlSZ_E0_NS1_11comp_targetILNS1_3genE8ELNS1_11target_archE1030ELNS1_3gpuE2ELNS1_3repE0EEENS1_38merge_mergepath_config_static_selectorELNS0_4arch9wavefront6targetE1EEEvSL_.kd
    .uniform_work_group_size: 1
    .uses_dynamic_stack: false
    .vgpr_count:     0
    .vgpr_spill_count: 0
    .wavefront_size: 64
  - .agpr_count:     0
    .args:
      - .offset:         0
        .size:           48
        .value_kind:     by_value
    .group_segment_fixed_size: 0
    .kernarg_segment_align: 8
    .kernarg_segment_size: 48
    .language:       OpenCL C
    .language_version:
      - 2
      - 0
    .max_flat_workgroup_size: 256
    .name:           _ZN7rocprim17ROCPRIM_400000_NS6detail17trampoline_kernelINS0_14default_configENS1_38merge_sort_block_merge_config_selectorIyNS0_10empty_typeEEEZZNS1_27merge_sort_block_merge_implIS3_N6thrust23THRUST_200600_302600_NS6detail15normal_iteratorINS9_10device_ptrIyEEEEPS5_jNS1_19radix_merge_compareILb0ELb0EyNS0_19identity_decomposerEEEEE10hipError_tT0_T1_T2_jT3_P12ihipStream_tbPNSt15iterator_traitsISK_E10value_typeEPNSQ_ISL_E10value_typeEPSM_NS1_7vsmem_tEENKUlT_SK_SL_SM_E_clISE_PySF_SF_EESJ_SZ_SK_SL_SM_EUlSZ_E1_NS1_11comp_targetILNS1_3genE0ELNS1_11target_archE4294967295ELNS1_3gpuE0ELNS1_3repE0EEENS1_36merge_oddeven_config_static_selectorELNS0_4arch9wavefront6targetE1EEEvSL_
    .private_segment_fixed_size: 0
    .sgpr_count:     4
    .sgpr_spill_count: 0
    .symbol:         _ZN7rocprim17ROCPRIM_400000_NS6detail17trampoline_kernelINS0_14default_configENS1_38merge_sort_block_merge_config_selectorIyNS0_10empty_typeEEEZZNS1_27merge_sort_block_merge_implIS3_N6thrust23THRUST_200600_302600_NS6detail15normal_iteratorINS9_10device_ptrIyEEEEPS5_jNS1_19radix_merge_compareILb0ELb0EyNS0_19identity_decomposerEEEEE10hipError_tT0_T1_T2_jT3_P12ihipStream_tbPNSt15iterator_traitsISK_E10value_typeEPNSQ_ISL_E10value_typeEPSM_NS1_7vsmem_tEENKUlT_SK_SL_SM_E_clISE_PySF_SF_EESJ_SZ_SK_SL_SM_EUlSZ_E1_NS1_11comp_targetILNS1_3genE0ELNS1_11target_archE4294967295ELNS1_3gpuE0ELNS1_3repE0EEENS1_36merge_oddeven_config_static_selectorELNS0_4arch9wavefront6targetE1EEEvSL_.kd
    .uniform_work_group_size: 1
    .uses_dynamic_stack: false
    .vgpr_count:     0
    .vgpr_spill_count: 0
    .wavefront_size: 64
  - .agpr_count:     0
    .args:
      - .offset:         0
        .size:           48
        .value_kind:     by_value
    .group_segment_fixed_size: 0
    .kernarg_segment_align: 8
    .kernarg_segment_size: 48
    .language:       OpenCL C
    .language_version:
      - 2
      - 0
    .max_flat_workgroup_size: 256
    .name:           _ZN7rocprim17ROCPRIM_400000_NS6detail17trampoline_kernelINS0_14default_configENS1_38merge_sort_block_merge_config_selectorIyNS0_10empty_typeEEEZZNS1_27merge_sort_block_merge_implIS3_N6thrust23THRUST_200600_302600_NS6detail15normal_iteratorINS9_10device_ptrIyEEEEPS5_jNS1_19radix_merge_compareILb0ELb0EyNS0_19identity_decomposerEEEEE10hipError_tT0_T1_T2_jT3_P12ihipStream_tbPNSt15iterator_traitsISK_E10value_typeEPNSQ_ISL_E10value_typeEPSM_NS1_7vsmem_tEENKUlT_SK_SL_SM_E_clISE_PySF_SF_EESJ_SZ_SK_SL_SM_EUlSZ_E1_NS1_11comp_targetILNS1_3genE10ELNS1_11target_archE1201ELNS1_3gpuE5ELNS1_3repE0EEENS1_36merge_oddeven_config_static_selectorELNS0_4arch9wavefront6targetE1EEEvSL_
    .private_segment_fixed_size: 0
    .sgpr_count:     4
    .sgpr_spill_count: 0
    .symbol:         _ZN7rocprim17ROCPRIM_400000_NS6detail17trampoline_kernelINS0_14default_configENS1_38merge_sort_block_merge_config_selectorIyNS0_10empty_typeEEEZZNS1_27merge_sort_block_merge_implIS3_N6thrust23THRUST_200600_302600_NS6detail15normal_iteratorINS9_10device_ptrIyEEEEPS5_jNS1_19radix_merge_compareILb0ELb0EyNS0_19identity_decomposerEEEEE10hipError_tT0_T1_T2_jT3_P12ihipStream_tbPNSt15iterator_traitsISK_E10value_typeEPNSQ_ISL_E10value_typeEPSM_NS1_7vsmem_tEENKUlT_SK_SL_SM_E_clISE_PySF_SF_EESJ_SZ_SK_SL_SM_EUlSZ_E1_NS1_11comp_targetILNS1_3genE10ELNS1_11target_archE1201ELNS1_3gpuE5ELNS1_3repE0EEENS1_36merge_oddeven_config_static_selectorELNS0_4arch9wavefront6targetE1EEEvSL_.kd
    .uniform_work_group_size: 1
    .uses_dynamic_stack: false
    .vgpr_count:     0
    .vgpr_spill_count: 0
    .wavefront_size: 64
  - .agpr_count:     0
    .args:
      - .offset:         0
        .size:           48
        .value_kind:     by_value
    .group_segment_fixed_size: 0
    .kernarg_segment_align: 8
    .kernarg_segment_size: 48
    .language:       OpenCL C
    .language_version:
      - 2
      - 0
    .max_flat_workgroup_size: 256
    .name:           _ZN7rocprim17ROCPRIM_400000_NS6detail17trampoline_kernelINS0_14default_configENS1_38merge_sort_block_merge_config_selectorIyNS0_10empty_typeEEEZZNS1_27merge_sort_block_merge_implIS3_N6thrust23THRUST_200600_302600_NS6detail15normal_iteratorINS9_10device_ptrIyEEEEPS5_jNS1_19radix_merge_compareILb0ELb0EyNS0_19identity_decomposerEEEEE10hipError_tT0_T1_T2_jT3_P12ihipStream_tbPNSt15iterator_traitsISK_E10value_typeEPNSQ_ISL_E10value_typeEPSM_NS1_7vsmem_tEENKUlT_SK_SL_SM_E_clISE_PySF_SF_EESJ_SZ_SK_SL_SM_EUlSZ_E1_NS1_11comp_targetILNS1_3genE5ELNS1_11target_archE942ELNS1_3gpuE9ELNS1_3repE0EEENS1_36merge_oddeven_config_static_selectorELNS0_4arch9wavefront6targetE1EEEvSL_
    .private_segment_fixed_size: 0
    .sgpr_count:     4
    .sgpr_spill_count: 0
    .symbol:         _ZN7rocprim17ROCPRIM_400000_NS6detail17trampoline_kernelINS0_14default_configENS1_38merge_sort_block_merge_config_selectorIyNS0_10empty_typeEEEZZNS1_27merge_sort_block_merge_implIS3_N6thrust23THRUST_200600_302600_NS6detail15normal_iteratorINS9_10device_ptrIyEEEEPS5_jNS1_19radix_merge_compareILb0ELb0EyNS0_19identity_decomposerEEEEE10hipError_tT0_T1_T2_jT3_P12ihipStream_tbPNSt15iterator_traitsISK_E10value_typeEPNSQ_ISL_E10value_typeEPSM_NS1_7vsmem_tEENKUlT_SK_SL_SM_E_clISE_PySF_SF_EESJ_SZ_SK_SL_SM_EUlSZ_E1_NS1_11comp_targetILNS1_3genE5ELNS1_11target_archE942ELNS1_3gpuE9ELNS1_3repE0EEENS1_36merge_oddeven_config_static_selectorELNS0_4arch9wavefront6targetE1EEEvSL_.kd
    .uniform_work_group_size: 1
    .uses_dynamic_stack: false
    .vgpr_count:     0
    .vgpr_spill_count: 0
    .wavefront_size: 64
  - .agpr_count:     0
    .args:
      - .offset:         0
        .size:           48
        .value_kind:     by_value
    .group_segment_fixed_size: 0
    .kernarg_segment_align: 8
    .kernarg_segment_size: 48
    .language:       OpenCL C
    .language_version:
      - 2
      - 0
    .max_flat_workgroup_size: 256
    .name:           _ZN7rocprim17ROCPRIM_400000_NS6detail17trampoline_kernelINS0_14default_configENS1_38merge_sort_block_merge_config_selectorIyNS0_10empty_typeEEEZZNS1_27merge_sort_block_merge_implIS3_N6thrust23THRUST_200600_302600_NS6detail15normal_iteratorINS9_10device_ptrIyEEEEPS5_jNS1_19radix_merge_compareILb0ELb0EyNS0_19identity_decomposerEEEEE10hipError_tT0_T1_T2_jT3_P12ihipStream_tbPNSt15iterator_traitsISK_E10value_typeEPNSQ_ISL_E10value_typeEPSM_NS1_7vsmem_tEENKUlT_SK_SL_SM_E_clISE_PySF_SF_EESJ_SZ_SK_SL_SM_EUlSZ_E1_NS1_11comp_targetILNS1_3genE4ELNS1_11target_archE910ELNS1_3gpuE8ELNS1_3repE0EEENS1_36merge_oddeven_config_static_selectorELNS0_4arch9wavefront6targetE1EEEvSL_
    .private_segment_fixed_size: 0
    .sgpr_count:     25
    .sgpr_spill_count: 0
    .symbol:         _ZN7rocprim17ROCPRIM_400000_NS6detail17trampoline_kernelINS0_14default_configENS1_38merge_sort_block_merge_config_selectorIyNS0_10empty_typeEEEZZNS1_27merge_sort_block_merge_implIS3_N6thrust23THRUST_200600_302600_NS6detail15normal_iteratorINS9_10device_ptrIyEEEEPS5_jNS1_19radix_merge_compareILb0ELb0EyNS0_19identity_decomposerEEEEE10hipError_tT0_T1_T2_jT3_P12ihipStream_tbPNSt15iterator_traitsISK_E10value_typeEPNSQ_ISL_E10value_typeEPSM_NS1_7vsmem_tEENKUlT_SK_SL_SM_E_clISE_PySF_SF_EESJ_SZ_SK_SL_SM_EUlSZ_E1_NS1_11comp_targetILNS1_3genE4ELNS1_11target_archE910ELNS1_3gpuE8ELNS1_3repE0EEENS1_36merge_oddeven_config_static_selectorELNS0_4arch9wavefront6targetE1EEEvSL_.kd
    .uniform_work_group_size: 1
    .uses_dynamic_stack: false
    .vgpr_count:     12
    .vgpr_spill_count: 0
    .wavefront_size: 64
  - .agpr_count:     0
    .args:
      - .offset:         0
        .size:           48
        .value_kind:     by_value
    .group_segment_fixed_size: 0
    .kernarg_segment_align: 8
    .kernarg_segment_size: 48
    .language:       OpenCL C
    .language_version:
      - 2
      - 0
    .max_flat_workgroup_size: 256
    .name:           _ZN7rocprim17ROCPRIM_400000_NS6detail17trampoline_kernelINS0_14default_configENS1_38merge_sort_block_merge_config_selectorIyNS0_10empty_typeEEEZZNS1_27merge_sort_block_merge_implIS3_N6thrust23THRUST_200600_302600_NS6detail15normal_iteratorINS9_10device_ptrIyEEEEPS5_jNS1_19radix_merge_compareILb0ELb0EyNS0_19identity_decomposerEEEEE10hipError_tT0_T1_T2_jT3_P12ihipStream_tbPNSt15iterator_traitsISK_E10value_typeEPNSQ_ISL_E10value_typeEPSM_NS1_7vsmem_tEENKUlT_SK_SL_SM_E_clISE_PySF_SF_EESJ_SZ_SK_SL_SM_EUlSZ_E1_NS1_11comp_targetILNS1_3genE3ELNS1_11target_archE908ELNS1_3gpuE7ELNS1_3repE0EEENS1_36merge_oddeven_config_static_selectorELNS0_4arch9wavefront6targetE1EEEvSL_
    .private_segment_fixed_size: 0
    .sgpr_count:     4
    .sgpr_spill_count: 0
    .symbol:         _ZN7rocprim17ROCPRIM_400000_NS6detail17trampoline_kernelINS0_14default_configENS1_38merge_sort_block_merge_config_selectorIyNS0_10empty_typeEEEZZNS1_27merge_sort_block_merge_implIS3_N6thrust23THRUST_200600_302600_NS6detail15normal_iteratorINS9_10device_ptrIyEEEEPS5_jNS1_19radix_merge_compareILb0ELb0EyNS0_19identity_decomposerEEEEE10hipError_tT0_T1_T2_jT3_P12ihipStream_tbPNSt15iterator_traitsISK_E10value_typeEPNSQ_ISL_E10value_typeEPSM_NS1_7vsmem_tEENKUlT_SK_SL_SM_E_clISE_PySF_SF_EESJ_SZ_SK_SL_SM_EUlSZ_E1_NS1_11comp_targetILNS1_3genE3ELNS1_11target_archE908ELNS1_3gpuE7ELNS1_3repE0EEENS1_36merge_oddeven_config_static_selectorELNS0_4arch9wavefront6targetE1EEEvSL_.kd
    .uniform_work_group_size: 1
    .uses_dynamic_stack: false
    .vgpr_count:     0
    .vgpr_spill_count: 0
    .wavefront_size: 64
  - .agpr_count:     0
    .args:
      - .offset:         0
        .size:           48
        .value_kind:     by_value
    .group_segment_fixed_size: 0
    .kernarg_segment_align: 8
    .kernarg_segment_size: 48
    .language:       OpenCL C
    .language_version:
      - 2
      - 0
    .max_flat_workgroup_size: 256
    .name:           _ZN7rocprim17ROCPRIM_400000_NS6detail17trampoline_kernelINS0_14default_configENS1_38merge_sort_block_merge_config_selectorIyNS0_10empty_typeEEEZZNS1_27merge_sort_block_merge_implIS3_N6thrust23THRUST_200600_302600_NS6detail15normal_iteratorINS9_10device_ptrIyEEEEPS5_jNS1_19radix_merge_compareILb0ELb0EyNS0_19identity_decomposerEEEEE10hipError_tT0_T1_T2_jT3_P12ihipStream_tbPNSt15iterator_traitsISK_E10value_typeEPNSQ_ISL_E10value_typeEPSM_NS1_7vsmem_tEENKUlT_SK_SL_SM_E_clISE_PySF_SF_EESJ_SZ_SK_SL_SM_EUlSZ_E1_NS1_11comp_targetILNS1_3genE2ELNS1_11target_archE906ELNS1_3gpuE6ELNS1_3repE0EEENS1_36merge_oddeven_config_static_selectorELNS0_4arch9wavefront6targetE1EEEvSL_
    .private_segment_fixed_size: 0
    .sgpr_count:     4
    .sgpr_spill_count: 0
    .symbol:         _ZN7rocprim17ROCPRIM_400000_NS6detail17trampoline_kernelINS0_14default_configENS1_38merge_sort_block_merge_config_selectorIyNS0_10empty_typeEEEZZNS1_27merge_sort_block_merge_implIS3_N6thrust23THRUST_200600_302600_NS6detail15normal_iteratorINS9_10device_ptrIyEEEEPS5_jNS1_19radix_merge_compareILb0ELb0EyNS0_19identity_decomposerEEEEE10hipError_tT0_T1_T2_jT3_P12ihipStream_tbPNSt15iterator_traitsISK_E10value_typeEPNSQ_ISL_E10value_typeEPSM_NS1_7vsmem_tEENKUlT_SK_SL_SM_E_clISE_PySF_SF_EESJ_SZ_SK_SL_SM_EUlSZ_E1_NS1_11comp_targetILNS1_3genE2ELNS1_11target_archE906ELNS1_3gpuE6ELNS1_3repE0EEENS1_36merge_oddeven_config_static_selectorELNS0_4arch9wavefront6targetE1EEEvSL_.kd
    .uniform_work_group_size: 1
    .uses_dynamic_stack: false
    .vgpr_count:     0
    .vgpr_spill_count: 0
    .wavefront_size: 64
  - .agpr_count:     0
    .args:
      - .offset:         0
        .size:           48
        .value_kind:     by_value
    .group_segment_fixed_size: 0
    .kernarg_segment_align: 8
    .kernarg_segment_size: 48
    .language:       OpenCL C
    .language_version:
      - 2
      - 0
    .max_flat_workgroup_size: 256
    .name:           _ZN7rocprim17ROCPRIM_400000_NS6detail17trampoline_kernelINS0_14default_configENS1_38merge_sort_block_merge_config_selectorIyNS0_10empty_typeEEEZZNS1_27merge_sort_block_merge_implIS3_N6thrust23THRUST_200600_302600_NS6detail15normal_iteratorINS9_10device_ptrIyEEEEPS5_jNS1_19radix_merge_compareILb0ELb0EyNS0_19identity_decomposerEEEEE10hipError_tT0_T1_T2_jT3_P12ihipStream_tbPNSt15iterator_traitsISK_E10value_typeEPNSQ_ISL_E10value_typeEPSM_NS1_7vsmem_tEENKUlT_SK_SL_SM_E_clISE_PySF_SF_EESJ_SZ_SK_SL_SM_EUlSZ_E1_NS1_11comp_targetILNS1_3genE9ELNS1_11target_archE1100ELNS1_3gpuE3ELNS1_3repE0EEENS1_36merge_oddeven_config_static_selectorELNS0_4arch9wavefront6targetE1EEEvSL_
    .private_segment_fixed_size: 0
    .sgpr_count:     4
    .sgpr_spill_count: 0
    .symbol:         _ZN7rocprim17ROCPRIM_400000_NS6detail17trampoline_kernelINS0_14default_configENS1_38merge_sort_block_merge_config_selectorIyNS0_10empty_typeEEEZZNS1_27merge_sort_block_merge_implIS3_N6thrust23THRUST_200600_302600_NS6detail15normal_iteratorINS9_10device_ptrIyEEEEPS5_jNS1_19radix_merge_compareILb0ELb0EyNS0_19identity_decomposerEEEEE10hipError_tT0_T1_T2_jT3_P12ihipStream_tbPNSt15iterator_traitsISK_E10value_typeEPNSQ_ISL_E10value_typeEPSM_NS1_7vsmem_tEENKUlT_SK_SL_SM_E_clISE_PySF_SF_EESJ_SZ_SK_SL_SM_EUlSZ_E1_NS1_11comp_targetILNS1_3genE9ELNS1_11target_archE1100ELNS1_3gpuE3ELNS1_3repE0EEENS1_36merge_oddeven_config_static_selectorELNS0_4arch9wavefront6targetE1EEEvSL_.kd
    .uniform_work_group_size: 1
    .uses_dynamic_stack: false
    .vgpr_count:     0
    .vgpr_spill_count: 0
    .wavefront_size: 64
  - .agpr_count:     0
    .args:
      - .offset:         0
        .size:           48
        .value_kind:     by_value
    .group_segment_fixed_size: 0
    .kernarg_segment_align: 8
    .kernarg_segment_size: 48
    .language:       OpenCL C
    .language_version:
      - 2
      - 0
    .max_flat_workgroup_size: 256
    .name:           _ZN7rocprim17ROCPRIM_400000_NS6detail17trampoline_kernelINS0_14default_configENS1_38merge_sort_block_merge_config_selectorIyNS0_10empty_typeEEEZZNS1_27merge_sort_block_merge_implIS3_N6thrust23THRUST_200600_302600_NS6detail15normal_iteratorINS9_10device_ptrIyEEEEPS5_jNS1_19radix_merge_compareILb0ELb0EyNS0_19identity_decomposerEEEEE10hipError_tT0_T1_T2_jT3_P12ihipStream_tbPNSt15iterator_traitsISK_E10value_typeEPNSQ_ISL_E10value_typeEPSM_NS1_7vsmem_tEENKUlT_SK_SL_SM_E_clISE_PySF_SF_EESJ_SZ_SK_SL_SM_EUlSZ_E1_NS1_11comp_targetILNS1_3genE8ELNS1_11target_archE1030ELNS1_3gpuE2ELNS1_3repE0EEENS1_36merge_oddeven_config_static_selectorELNS0_4arch9wavefront6targetE1EEEvSL_
    .private_segment_fixed_size: 0
    .sgpr_count:     4
    .sgpr_spill_count: 0
    .symbol:         _ZN7rocprim17ROCPRIM_400000_NS6detail17trampoline_kernelINS0_14default_configENS1_38merge_sort_block_merge_config_selectorIyNS0_10empty_typeEEEZZNS1_27merge_sort_block_merge_implIS3_N6thrust23THRUST_200600_302600_NS6detail15normal_iteratorINS9_10device_ptrIyEEEEPS5_jNS1_19radix_merge_compareILb0ELb0EyNS0_19identity_decomposerEEEEE10hipError_tT0_T1_T2_jT3_P12ihipStream_tbPNSt15iterator_traitsISK_E10value_typeEPNSQ_ISL_E10value_typeEPSM_NS1_7vsmem_tEENKUlT_SK_SL_SM_E_clISE_PySF_SF_EESJ_SZ_SK_SL_SM_EUlSZ_E1_NS1_11comp_targetILNS1_3genE8ELNS1_11target_archE1030ELNS1_3gpuE2ELNS1_3repE0EEENS1_36merge_oddeven_config_static_selectorELNS0_4arch9wavefront6targetE1EEEvSL_.kd
    .uniform_work_group_size: 1
    .uses_dynamic_stack: false
    .vgpr_count:     0
    .vgpr_spill_count: 0
    .wavefront_size: 64
  - .agpr_count:     0
    .args:
      - .offset:         0
        .size:           40
        .value_kind:     by_value
    .group_segment_fixed_size: 0
    .kernarg_segment_align: 8
    .kernarg_segment_size: 40
    .language:       OpenCL C
    .language_version:
      - 2
      - 0
    .max_flat_workgroup_size: 128
    .name:           _ZN7rocprim17ROCPRIM_400000_NS6detail17trampoline_kernelINS0_14default_configENS1_25transform_config_selectorIyLb0EEEZNS1_14transform_implILb0ES3_S5_PyN6thrust23THRUST_200600_302600_NS6detail15normal_iteratorINS9_10device_ptrIyEEEENS0_8identityIyEEEE10hipError_tT2_T3_mT4_P12ihipStream_tbEUlT_E_NS1_11comp_targetILNS1_3genE0ELNS1_11target_archE4294967295ELNS1_3gpuE0ELNS1_3repE0EEENS1_30default_config_static_selectorELNS0_4arch9wavefront6targetE1EEEvT1_
    .private_segment_fixed_size: 0
    .sgpr_count:     4
    .sgpr_spill_count: 0
    .symbol:         _ZN7rocprim17ROCPRIM_400000_NS6detail17trampoline_kernelINS0_14default_configENS1_25transform_config_selectorIyLb0EEEZNS1_14transform_implILb0ES3_S5_PyN6thrust23THRUST_200600_302600_NS6detail15normal_iteratorINS9_10device_ptrIyEEEENS0_8identityIyEEEE10hipError_tT2_T3_mT4_P12ihipStream_tbEUlT_E_NS1_11comp_targetILNS1_3genE0ELNS1_11target_archE4294967295ELNS1_3gpuE0ELNS1_3repE0EEENS1_30default_config_static_selectorELNS0_4arch9wavefront6targetE1EEEvT1_.kd
    .uniform_work_group_size: 1
    .uses_dynamic_stack: false
    .vgpr_count:     0
    .vgpr_spill_count: 0
    .wavefront_size: 64
  - .agpr_count:     0
    .args:
      - .offset:         0
        .size:           40
        .value_kind:     by_value
    .group_segment_fixed_size: 0
    .kernarg_segment_align: 8
    .kernarg_segment_size: 40
    .language:       OpenCL C
    .language_version:
      - 2
      - 0
    .max_flat_workgroup_size: 512
    .name:           _ZN7rocprim17ROCPRIM_400000_NS6detail17trampoline_kernelINS0_14default_configENS1_25transform_config_selectorIyLb0EEEZNS1_14transform_implILb0ES3_S5_PyN6thrust23THRUST_200600_302600_NS6detail15normal_iteratorINS9_10device_ptrIyEEEENS0_8identityIyEEEE10hipError_tT2_T3_mT4_P12ihipStream_tbEUlT_E_NS1_11comp_targetILNS1_3genE5ELNS1_11target_archE942ELNS1_3gpuE9ELNS1_3repE0EEENS1_30default_config_static_selectorELNS0_4arch9wavefront6targetE1EEEvT1_
    .private_segment_fixed_size: 0
    .sgpr_count:     4
    .sgpr_spill_count: 0
    .symbol:         _ZN7rocprim17ROCPRIM_400000_NS6detail17trampoline_kernelINS0_14default_configENS1_25transform_config_selectorIyLb0EEEZNS1_14transform_implILb0ES3_S5_PyN6thrust23THRUST_200600_302600_NS6detail15normal_iteratorINS9_10device_ptrIyEEEENS0_8identityIyEEEE10hipError_tT2_T3_mT4_P12ihipStream_tbEUlT_E_NS1_11comp_targetILNS1_3genE5ELNS1_11target_archE942ELNS1_3gpuE9ELNS1_3repE0EEENS1_30default_config_static_selectorELNS0_4arch9wavefront6targetE1EEEvT1_.kd
    .uniform_work_group_size: 1
    .uses_dynamic_stack: false
    .vgpr_count:     0
    .vgpr_spill_count: 0
    .wavefront_size: 64
  - .agpr_count:     0
    .args:
      - .offset:         0
        .size:           40
        .value_kind:     by_value
      - .offset:         40
        .size:           4
        .value_kind:     hidden_block_count_x
      - .offset:         44
        .size:           4
        .value_kind:     hidden_block_count_y
      - .offset:         48
        .size:           4
        .value_kind:     hidden_block_count_z
      - .offset:         52
        .size:           2
        .value_kind:     hidden_group_size_x
      - .offset:         54
        .size:           2
        .value_kind:     hidden_group_size_y
      - .offset:         56
        .size:           2
        .value_kind:     hidden_group_size_z
      - .offset:         58
        .size:           2
        .value_kind:     hidden_remainder_x
      - .offset:         60
        .size:           2
        .value_kind:     hidden_remainder_y
      - .offset:         62
        .size:           2
        .value_kind:     hidden_remainder_z
      - .offset:         80
        .size:           8
        .value_kind:     hidden_global_offset_x
      - .offset:         88
        .size:           8
        .value_kind:     hidden_global_offset_y
      - .offset:         96
        .size:           8
        .value_kind:     hidden_global_offset_z
      - .offset:         104
        .size:           2
        .value_kind:     hidden_grid_dims
    .group_segment_fixed_size: 0
    .kernarg_segment_align: 8
    .kernarg_segment_size: 296
    .language:       OpenCL C
    .language_version:
      - 2
      - 0
    .max_flat_workgroup_size: 256
    .name:           _ZN7rocprim17ROCPRIM_400000_NS6detail17trampoline_kernelINS0_14default_configENS1_25transform_config_selectorIyLb0EEEZNS1_14transform_implILb0ES3_S5_PyN6thrust23THRUST_200600_302600_NS6detail15normal_iteratorINS9_10device_ptrIyEEEENS0_8identityIyEEEE10hipError_tT2_T3_mT4_P12ihipStream_tbEUlT_E_NS1_11comp_targetILNS1_3genE4ELNS1_11target_archE910ELNS1_3gpuE8ELNS1_3repE0EEENS1_30default_config_static_selectorELNS0_4arch9wavefront6targetE1EEEvT1_
    .private_segment_fixed_size: 0
    .sgpr_count:     20
    .sgpr_spill_count: 0
    .symbol:         _ZN7rocprim17ROCPRIM_400000_NS6detail17trampoline_kernelINS0_14default_configENS1_25transform_config_selectorIyLb0EEEZNS1_14transform_implILb0ES3_S5_PyN6thrust23THRUST_200600_302600_NS6detail15normal_iteratorINS9_10device_ptrIyEEEENS0_8identityIyEEEE10hipError_tT2_T3_mT4_P12ihipStream_tbEUlT_E_NS1_11comp_targetILNS1_3genE4ELNS1_11target_archE910ELNS1_3gpuE8ELNS1_3repE0EEENS1_30default_config_static_selectorELNS0_4arch9wavefront6targetE1EEEvT1_.kd
    .uniform_work_group_size: 1
    .uses_dynamic_stack: false
    .vgpr_count:     9
    .vgpr_spill_count: 0
    .wavefront_size: 64
  - .agpr_count:     0
    .args:
      - .offset:         0
        .size:           40
        .value_kind:     by_value
    .group_segment_fixed_size: 0
    .kernarg_segment_align: 8
    .kernarg_segment_size: 40
    .language:       OpenCL C
    .language_version:
      - 2
      - 0
    .max_flat_workgroup_size: 128
    .name:           _ZN7rocprim17ROCPRIM_400000_NS6detail17trampoline_kernelINS0_14default_configENS1_25transform_config_selectorIyLb0EEEZNS1_14transform_implILb0ES3_S5_PyN6thrust23THRUST_200600_302600_NS6detail15normal_iteratorINS9_10device_ptrIyEEEENS0_8identityIyEEEE10hipError_tT2_T3_mT4_P12ihipStream_tbEUlT_E_NS1_11comp_targetILNS1_3genE3ELNS1_11target_archE908ELNS1_3gpuE7ELNS1_3repE0EEENS1_30default_config_static_selectorELNS0_4arch9wavefront6targetE1EEEvT1_
    .private_segment_fixed_size: 0
    .sgpr_count:     4
    .sgpr_spill_count: 0
    .symbol:         _ZN7rocprim17ROCPRIM_400000_NS6detail17trampoline_kernelINS0_14default_configENS1_25transform_config_selectorIyLb0EEEZNS1_14transform_implILb0ES3_S5_PyN6thrust23THRUST_200600_302600_NS6detail15normal_iteratorINS9_10device_ptrIyEEEENS0_8identityIyEEEE10hipError_tT2_T3_mT4_P12ihipStream_tbEUlT_E_NS1_11comp_targetILNS1_3genE3ELNS1_11target_archE908ELNS1_3gpuE7ELNS1_3repE0EEENS1_30default_config_static_selectorELNS0_4arch9wavefront6targetE1EEEvT1_.kd
    .uniform_work_group_size: 1
    .uses_dynamic_stack: false
    .vgpr_count:     0
    .vgpr_spill_count: 0
    .wavefront_size: 64
  - .agpr_count:     0
    .args:
      - .offset:         0
        .size:           40
        .value_kind:     by_value
    .group_segment_fixed_size: 0
    .kernarg_segment_align: 8
    .kernarg_segment_size: 40
    .language:       OpenCL C
    .language_version:
      - 2
      - 0
    .max_flat_workgroup_size: 512
    .name:           _ZN7rocprim17ROCPRIM_400000_NS6detail17trampoline_kernelINS0_14default_configENS1_25transform_config_selectorIyLb0EEEZNS1_14transform_implILb0ES3_S5_PyN6thrust23THRUST_200600_302600_NS6detail15normal_iteratorINS9_10device_ptrIyEEEENS0_8identityIyEEEE10hipError_tT2_T3_mT4_P12ihipStream_tbEUlT_E_NS1_11comp_targetILNS1_3genE2ELNS1_11target_archE906ELNS1_3gpuE6ELNS1_3repE0EEENS1_30default_config_static_selectorELNS0_4arch9wavefront6targetE1EEEvT1_
    .private_segment_fixed_size: 0
    .sgpr_count:     4
    .sgpr_spill_count: 0
    .symbol:         _ZN7rocprim17ROCPRIM_400000_NS6detail17trampoline_kernelINS0_14default_configENS1_25transform_config_selectorIyLb0EEEZNS1_14transform_implILb0ES3_S5_PyN6thrust23THRUST_200600_302600_NS6detail15normal_iteratorINS9_10device_ptrIyEEEENS0_8identityIyEEEE10hipError_tT2_T3_mT4_P12ihipStream_tbEUlT_E_NS1_11comp_targetILNS1_3genE2ELNS1_11target_archE906ELNS1_3gpuE6ELNS1_3repE0EEENS1_30default_config_static_selectorELNS0_4arch9wavefront6targetE1EEEvT1_.kd
    .uniform_work_group_size: 1
    .uses_dynamic_stack: false
    .vgpr_count:     0
    .vgpr_spill_count: 0
    .wavefront_size: 64
  - .agpr_count:     0
    .args:
      - .offset:         0
        .size:           40
        .value_kind:     by_value
    .group_segment_fixed_size: 0
    .kernarg_segment_align: 8
    .kernarg_segment_size: 40
    .language:       OpenCL C
    .language_version:
      - 2
      - 0
    .max_flat_workgroup_size: 1024
    .name:           _ZN7rocprim17ROCPRIM_400000_NS6detail17trampoline_kernelINS0_14default_configENS1_25transform_config_selectorIyLb0EEEZNS1_14transform_implILb0ES3_S5_PyN6thrust23THRUST_200600_302600_NS6detail15normal_iteratorINS9_10device_ptrIyEEEENS0_8identityIyEEEE10hipError_tT2_T3_mT4_P12ihipStream_tbEUlT_E_NS1_11comp_targetILNS1_3genE10ELNS1_11target_archE1201ELNS1_3gpuE5ELNS1_3repE0EEENS1_30default_config_static_selectorELNS0_4arch9wavefront6targetE1EEEvT1_
    .private_segment_fixed_size: 0
    .sgpr_count:     4
    .sgpr_spill_count: 0
    .symbol:         _ZN7rocprim17ROCPRIM_400000_NS6detail17trampoline_kernelINS0_14default_configENS1_25transform_config_selectorIyLb0EEEZNS1_14transform_implILb0ES3_S5_PyN6thrust23THRUST_200600_302600_NS6detail15normal_iteratorINS9_10device_ptrIyEEEENS0_8identityIyEEEE10hipError_tT2_T3_mT4_P12ihipStream_tbEUlT_E_NS1_11comp_targetILNS1_3genE10ELNS1_11target_archE1201ELNS1_3gpuE5ELNS1_3repE0EEENS1_30default_config_static_selectorELNS0_4arch9wavefront6targetE1EEEvT1_.kd
    .uniform_work_group_size: 1
    .uses_dynamic_stack: false
    .vgpr_count:     0
    .vgpr_spill_count: 0
    .wavefront_size: 64
  - .agpr_count:     0
    .args:
      - .offset:         0
        .size:           40
        .value_kind:     by_value
    .group_segment_fixed_size: 0
    .kernarg_segment_align: 8
    .kernarg_segment_size: 40
    .language:       OpenCL C
    .language_version:
      - 2
      - 0
    .max_flat_workgroup_size: 512
    .name:           _ZN7rocprim17ROCPRIM_400000_NS6detail17trampoline_kernelINS0_14default_configENS1_25transform_config_selectorIyLb0EEEZNS1_14transform_implILb0ES3_S5_PyN6thrust23THRUST_200600_302600_NS6detail15normal_iteratorINS9_10device_ptrIyEEEENS0_8identityIyEEEE10hipError_tT2_T3_mT4_P12ihipStream_tbEUlT_E_NS1_11comp_targetILNS1_3genE10ELNS1_11target_archE1200ELNS1_3gpuE4ELNS1_3repE0EEENS1_30default_config_static_selectorELNS0_4arch9wavefront6targetE1EEEvT1_
    .private_segment_fixed_size: 0
    .sgpr_count:     4
    .sgpr_spill_count: 0
    .symbol:         _ZN7rocprim17ROCPRIM_400000_NS6detail17trampoline_kernelINS0_14default_configENS1_25transform_config_selectorIyLb0EEEZNS1_14transform_implILb0ES3_S5_PyN6thrust23THRUST_200600_302600_NS6detail15normal_iteratorINS9_10device_ptrIyEEEENS0_8identityIyEEEE10hipError_tT2_T3_mT4_P12ihipStream_tbEUlT_E_NS1_11comp_targetILNS1_3genE10ELNS1_11target_archE1200ELNS1_3gpuE4ELNS1_3repE0EEENS1_30default_config_static_selectorELNS0_4arch9wavefront6targetE1EEEvT1_.kd
    .uniform_work_group_size: 1
    .uses_dynamic_stack: false
    .vgpr_count:     0
    .vgpr_spill_count: 0
    .wavefront_size: 64
  - .agpr_count:     0
    .args:
      - .offset:         0
        .size:           40
        .value_kind:     by_value
    .group_segment_fixed_size: 0
    .kernarg_segment_align: 8
    .kernarg_segment_size: 40
    .language:       OpenCL C
    .language_version:
      - 2
      - 0
    .max_flat_workgroup_size: 512
    .name:           _ZN7rocprim17ROCPRIM_400000_NS6detail17trampoline_kernelINS0_14default_configENS1_25transform_config_selectorIyLb0EEEZNS1_14transform_implILb0ES3_S5_PyN6thrust23THRUST_200600_302600_NS6detail15normal_iteratorINS9_10device_ptrIyEEEENS0_8identityIyEEEE10hipError_tT2_T3_mT4_P12ihipStream_tbEUlT_E_NS1_11comp_targetILNS1_3genE9ELNS1_11target_archE1100ELNS1_3gpuE3ELNS1_3repE0EEENS1_30default_config_static_selectorELNS0_4arch9wavefront6targetE1EEEvT1_
    .private_segment_fixed_size: 0
    .sgpr_count:     4
    .sgpr_spill_count: 0
    .symbol:         _ZN7rocprim17ROCPRIM_400000_NS6detail17trampoline_kernelINS0_14default_configENS1_25transform_config_selectorIyLb0EEEZNS1_14transform_implILb0ES3_S5_PyN6thrust23THRUST_200600_302600_NS6detail15normal_iteratorINS9_10device_ptrIyEEEENS0_8identityIyEEEE10hipError_tT2_T3_mT4_P12ihipStream_tbEUlT_E_NS1_11comp_targetILNS1_3genE9ELNS1_11target_archE1100ELNS1_3gpuE3ELNS1_3repE0EEENS1_30default_config_static_selectorELNS0_4arch9wavefront6targetE1EEEvT1_.kd
    .uniform_work_group_size: 1
    .uses_dynamic_stack: false
    .vgpr_count:     0
    .vgpr_spill_count: 0
    .wavefront_size: 64
  - .agpr_count:     0
    .args:
      - .offset:         0
        .size:           40
        .value_kind:     by_value
    .group_segment_fixed_size: 0
    .kernarg_segment_align: 8
    .kernarg_segment_size: 40
    .language:       OpenCL C
    .language_version:
      - 2
      - 0
    .max_flat_workgroup_size: 512
    .name:           _ZN7rocprim17ROCPRIM_400000_NS6detail17trampoline_kernelINS0_14default_configENS1_25transform_config_selectorIyLb0EEEZNS1_14transform_implILb0ES3_S5_PyN6thrust23THRUST_200600_302600_NS6detail15normal_iteratorINS9_10device_ptrIyEEEENS0_8identityIyEEEE10hipError_tT2_T3_mT4_P12ihipStream_tbEUlT_E_NS1_11comp_targetILNS1_3genE8ELNS1_11target_archE1030ELNS1_3gpuE2ELNS1_3repE0EEENS1_30default_config_static_selectorELNS0_4arch9wavefront6targetE1EEEvT1_
    .private_segment_fixed_size: 0
    .sgpr_count:     4
    .sgpr_spill_count: 0
    .symbol:         _ZN7rocprim17ROCPRIM_400000_NS6detail17trampoline_kernelINS0_14default_configENS1_25transform_config_selectorIyLb0EEEZNS1_14transform_implILb0ES3_S5_PyN6thrust23THRUST_200600_302600_NS6detail15normal_iteratorINS9_10device_ptrIyEEEENS0_8identityIyEEEE10hipError_tT2_T3_mT4_P12ihipStream_tbEUlT_E_NS1_11comp_targetILNS1_3genE8ELNS1_11target_archE1030ELNS1_3gpuE2ELNS1_3repE0EEENS1_30default_config_static_selectorELNS0_4arch9wavefront6targetE1EEEvT1_.kd
    .uniform_work_group_size: 1
    .uses_dynamic_stack: false
    .vgpr_count:     0
    .vgpr_spill_count: 0
    .wavefront_size: 64
  - .agpr_count:     0
    .args:
      - .offset:         0
        .size:           40
        .value_kind:     by_value
    .group_segment_fixed_size: 0
    .kernarg_segment_align: 8
    .kernarg_segment_size: 40
    .language:       OpenCL C
    .language_version:
      - 2
      - 0
    .max_flat_workgroup_size: 128
    .name:           _ZN7rocprim17ROCPRIM_400000_NS6detail17trampoline_kernelINS0_14default_configENS1_25transform_config_selectorINS0_10empty_typeELb1EEEZNS1_14transform_implILb1ES3_S6_PS5_S8_NS0_8identityIS5_EEEE10hipError_tT2_T3_mT4_P12ihipStream_tbEUlT_E_NS1_11comp_targetILNS1_3genE0ELNS1_11target_archE4294967295ELNS1_3gpuE0ELNS1_3repE0EEENS1_30default_config_static_selectorELNS0_4arch9wavefront6targetE1EEEvT1_
    .private_segment_fixed_size: 0
    .sgpr_count:     4
    .sgpr_spill_count: 0
    .symbol:         _ZN7rocprim17ROCPRIM_400000_NS6detail17trampoline_kernelINS0_14default_configENS1_25transform_config_selectorINS0_10empty_typeELb1EEEZNS1_14transform_implILb1ES3_S6_PS5_S8_NS0_8identityIS5_EEEE10hipError_tT2_T3_mT4_P12ihipStream_tbEUlT_E_NS1_11comp_targetILNS1_3genE0ELNS1_11target_archE4294967295ELNS1_3gpuE0ELNS1_3repE0EEENS1_30default_config_static_selectorELNS0_4arch9wavefront6targetE1EEEvT1_.kd
    .uniform_work_group_size: 1
    .uses_dynamic_stack: false
    .vgpr_count:     0
    .vgpr_spill_count: 0
    .wavefront_size: 64
  - .agpr_count:     0
    .args:
      - .offset:         0
        .size:           40
        .value_kind:     by_value
    .group_segment_fixed_size: 0
    .kernarg_segment_align: 8
    .kernarg_segment_size: 40
    .language:       OpenCL C
    .language_version:
      - 2
      - 0
    .max_flat_workgroup_size: 1024
    .name:           _ZN7rocprim17ROCPRIM_400000_NS6detail17trampoline_kernelINS0_14default_configENS1_25transform_config_selectorINS0_10empty_typeELb1EEEZNS1_14transform_implILb1ES3_S6_PS5_S8_NS0_8identityIS5_EEEE10hipError_tT2_T3_mT4_P12ihipStream_tbEUlT_E_NS1_11comp_targetILNS1_3genE10ELNS1_11target_archE1201ELNS1_3gpuE5ELNS1_3repE0EEENS1_30default_config_static_selectorELNS0_4arch9wavefront6targetE1EEEvT1_
    .private_segment_fixed_size: 0
    .sgpr_count:     4
    .sgpr_spill_count: 0
    .symbol:         _ZN7rocprim17ROCPRIM_400000_NS6detail17trampoline_kernelINS0_14default_configENS1_25transform_config_selectorINS0_10empty_typeELb1EEEZNS1_14transform_implILb1ES3_S6_PS5_S8_NS0_8identityIS5_EEEE10hipError_tT2_T3_mT4_P12ihipStream_tbEUlT_E_NS1_11comp_targetILNS1_3genE10ELNS1_11target_archE1201ELNS1_3gpuE5ELNS1_3repE0EEENS1_30default_config_static_selectorELNS0_4arch9wavefront6targetE1EEEvT1_.kd
    .uniform_work_group_size: 1
    .uses_dynamic_stack: false
    .vgpr_count:     0
    .vgpr_spill_count: 0
    .wavefront_size: 64
  - .agpr_count:     0
    .args:
      - .offset:         0
        .size:           40
        .value_kind:     by_value
    .group_segment_fixed_size: 0
    .kernarg_segment_align: 8
    .kernarg_segment_size: 40
    .language:       OpenCL C
    .language_version:
      - 2
      - 0
    .max_flat_workgroup_size: 256
    .name:           _ZN7rocprim17ROCPRIM_400000_NS6detail17trampoline_kernelINS0_14default_configENS1_25transform_config_selectorINS0_10empty_typeELb1EEEZNS1_14transform_implILb1ES3_S6_PS5_S8_NS0_8identityIS5_EEEE10hipError_tT2_T3_mT4_P12ihipStream_tbEUlT_E_NS1_11comp_targetILNS1_3genE5ELNS1_11target_archE942ELNS1_3gpuE9ELNS1_3repE0EEENS1_30default_config_static_selectorELNS0_4arch9wavefront6targetE1EEEvT1_
    .private_segment_fixed_size: 0
    .sgpr_count:     4
    .sgpr_spill_count: 0
    .symbol:         _ZN7rocprim17ROCPRIM_400000_NS6detail17trampoline_kernelINS0_14default_configENS1_25transform_config_selectorINS0_10empty_typeELb1EEEZNS1_14transform_implILb1ES3_S6_PS5_S8_NS0_8identityIS5_EEEE10hipError_tT2_T3_mT4_P12ihipStream_tbEUlT_E_NS1_11comp_targetILNS1_3genE5ELNS1_11target_archE942ELNS1_3gpuE9ELNS1_3repE0EEENS1_30default_config_static_selectorELNS0_4arch9wavefront6targetE1EEEvT1_.kd
    .uniform_work_group_size: 1
    .uses_dynamic_stack: false
    .vgpr_count:     0
    .vgpr_spill_count: 0
    .wavefront_size: 64
  - .agpr_count:     0
    .args:
      - .offset:         0
        .size:           40
        .value_kind:     by_value
    .group_segment_fixed_size: 0
    .kernarg_segment_align: 8
    .kernarg_segment_size: 40
    .language:       OpenCL C
    .language_version:
      - 2
      - 0
    .max_flat_workgroup_size: 1024
    .name:           _ZN7rocprim17ROCPRIM_400000_NS6detail17trampoline_kernelINS0_14default_configENS1_25transform_config_selectorINS0_10empty_typeELb1EEEZNS1_14transform_implILb1ES3_S6_PS5_S8_NS0_8identityIS5_EEEE10hipError_tT2_T3_mT4_P12ihipStream_tbEUlT_E_NS1_11comp_targetILNS1_3genE4ELNS1_11target_archE910ELNS1_3gpuE8ELNS1_3repE0EEENS1_30default_config_static_selectorELNS0_4arch9wavefront6targetE1EEEvT1_
    .private_segment_fixed_size: 0
    .sgpr_count:     4
    .sgpr_spill_count: 0
    .symbol:         _ZN7rocprim17ROCPRIM_400000_NS6detail17trampoline_kernelINS0_14default_configENS1_25transform_config_selectorINS0_10empty_typeELb1EEEZNS1_14transform_implILb1ES3_S6_PS5_S8_NS0_8identityIS5_EEEE10hipError_tT2_T3_mT4_P12ihipStream_tbEUlT_E_NS1_11comp_targetILNS1_3genE4ELNS1_11target_archE910ELNS1_3gpuE8ELNS1_3repE0EEENS1_30default_config_static_selectorELNS0_4arch9wavefront6targetE1EEEvT1_.kd
    .uniform_work_group_size: 1
    .uses_dynamic_stack: false
    .vgpr_count:     0
    .vgpr_spill_count: 0
    .wavefront_size: 64
  - .agpr_count:     0
    .args:
      - .offset:         0
        .size:           40
        .value_kind:     by_value
    .group_segment_fixed_size: 0
    .kernarg_segment_align: 8
    .kernarg_segment_size: 40
    .language:       OpenCL C
    .language_version:
      - 2
      - 0
    .max_flat_workgroup_size: 128
    .name:           _ZN7rocprim17ROCPRIM_400000_NS6detail17trampoline_kernelINS0_14default_configENS1_25transform_config_selectorINS0_10empty_typeELb1EEEZNS1_14transform_implILb1ES3_S6_PS5_S8_NS0_8identityIS5_EEEE10hipError_tT2_T3_mT4_P12ihipStream_tbEUlT_E_NS1_11comp_targetILNS1_3genE3ELNS1_11target_archE908ELNS1_3gpuE7ELNS1_3repE0EEENS1_30default_config_static_selectorELNS0_4arch9wavefront6targetE1EEEvT1_
    .private_segment_fixed_size: 0
    .sgpr_count:     4
    .sgpr_spill_count: 0
    .symbol:         _ZN7rocprim17ROCPRIM_400000_NS6detail17trampoline_kernelINS0_14default_configENS1_25transform_config_selectorINS0_10empty_typeELb1EEEZNS1_14transform_implILb1ES3_S6_PS5_S8_NS0_8identityIS5_EEEE10hipError_tT2_T3_mT4_P12ihipStream_tbEUlT_E_NS1_11comp_targetILNS1_3genE3ELNS1_11target_archE908ELNS1_3gpuE7ELNS1_3repE0EEENS1_30default_config_static_selectorELNS0_4arch9wavefront6targetE1EEEvT1_.kd
    .uniform_work_group_size: 1
    .uses_dynamic_stack: false
    .vgpr_count:     0
    .vgpr_spill_count: 0
    .wavefront_size: 64
  - .agpr_count:     0
    .args:
      - .offset:         0
        .size:           40
        .value_kind:     by_value
    .group_segment_fixed_size: 0
    .kernarg_segment_align: 8
    .kernarg_segment_size: 40
    .language:       OpenCL C
    .language_version:
      - 2
      - 0
    .max_flat_workgroup_size: 512
    .name:           _ZN7rocprim17ROCPRIM_400000_NS6detail17trampoline_kernelINS0_14default_configENS1_25transform_config_selectorINS0_10empty_typeELb1EEEZNS1_14transform_implILb1ES3_S6_PS5_S8_NS0_8identityIS5_EEEE10hipError_tT2_T3_mT4_P12ihipStream_tbEUlT_E_NS1_11comp_targetILNS1_3genE2ELNS1_11target_archE906ELNS1_3gpuE6ELNS1_3repE0EEENS1_30default_config_static_selectorELNS0_4arch9wavefront6targetE1EEEvT1_
    .private_segment_fixed_size: 0
    .sgpr_count:     4
    .sgpr_spill_count: 0
    .symbol:         _ZN7rocprim17ROCPRIM_400000_NS6detail17trampoline_kernelINS0_14default_configENS1_25transform_config_selectorINS0_10empty_typeELb1EEEZNS1_14transform_implILb1ES3_S6_PS5_S8_NS0_8identityIS5_EEEE10hipError_tT2_T3_mT4_P12ihipStream_tbEUlT_E_NS1_11comp_targetILNS1_3genE2ELNS1_11target_archE906ELNS1_3gpuE6ELNS1_3repE0EEENS1_30default_config_static_selectorELNS0_4arch9wavefront6targetE1EEEvT1_.kd
    .uniform_work_group_size: 1
    .uses_dynamic_stack: false
    .vgpr_count:     0
    .vgpr_spill_count: 0
    .wavefront_size: 64
  - .agpr_count:     0
    .args:
      - .offset:         0
        .size:           40
        .value_kind:     by_value
    .group_segment_fixed_size: 0
    .kernarg_segment_align: 8
    .kernarg_segment_size: 40
    .language:       OpenCL C
    .language_version:
      - 2
      - 0
    .max_flat_workgroup_size: 1024
    .name:           _ZN7rocprim17ROCPRIM_400000_NS6detail17trampoline_kernelINS0_14default_configENS1_25transform_config_selectorINS0_10empty_typeELb1EEEZNS1_14transform_implILb1ES3_S6_PS5_S8_NS0_8identityIS5_EEEE10hipError_tT2_T3_mT4_P12ihipStream_tbEUlT_E_NS1_11comp_targetILNS1_3genE9ELNS1_11target_archE1100ELNS1_3gpuE3ELNS1_3repE0EEENS1_30default_config_static_selectorELNS0_4arch9wavefront6targetE1EEEvT1_
    .private_segment_fixed_size: 0
    .sgpr_count:     4
    .sgpr_spill_count: 0
    .symbol:         _ZN7rocprim17ROCPRIM_400000_NS6detail17trampoline_kernelINS0_14default_configENS1_25transform_config_selectorINS0_10empty_typeELb1EEEZNS1_14transform_implILb1ES3_S6_PS5_S8_NS0_8identityIS5_EEEE10hipError_tT2_T3_mT4_P12ihipStream_tbEUlT_E_NS1_11comp_targetILNS1_3genE9ELNS1_11target_archE1100ELNS1_3gpuE3ELNS1_3repE0EEENS1_30default_config_static_selectorELNS0_4arch9wavefront6targetE1EEEvT1_.kd
    .uniform_work_group_size: 1
    .uses_dynamic_stack: false
    .vgpr_count:     0
    .vgpr_spill_count: 0
    .wavefront_size: 64
  - .agpr_count:     0
    .args:
      - .offset:         0
        .size:           40
        .value_kind:     by_value
    .group_segment_fixed_size: 0
    .kernarg_segment_align: 8
    .kernarg_segment_size: 40
    .language:       OpenCL C
    .language_version:
      - 2
      - 0
    .max_flat_workgroup_size: 1024
    .name:           _ZN7rocprim17ROCPRIM_400000_NS6detail17trampoline_kernelINS0_14default_configENS1_25transform_config_selectorINS0_10empty_typeELb1EEEZNS1_14transform_implILb1ES3_S6_PS5_S8_NS0_8identityIS5_EEEE10hipError_tT2_T3_mT4_P12ihipStream_tbEUlT_E_NS1_11comp_targetILNS1_3genE8ELNS1_11target_archE1030ELNS1_3gpuE2ELNS1_3repE0EEENS1_30default_config_static_selectorELNS0_4arch9wavefront6targetE1EEEvT1_
    .private_segment_fixed_size: 0
    .sgpr_count:     4
    .sgpr_spill_count: 0
    .symbol:         _ZN7rocprim17ROCPRIM_400000_NS6detail17trampoline_kernelINS0_14default_configENS1_25transform_config_selectorINS0_10empty_typeELb1EEEZNS1_14transform_implILb1ES3_S6_PS5_S8_NS0_8identityIS5_EEEE10hipError_tT2_T3_mT4_P12ihipStream_tbEUlT_E_NS1_11comp_targetILNS1_3genE8ELNS1_11target_archE1030ELNS1_3gpuE2ELNS1_3repE0EEENS1_30default_config_static_selectorELNS0_4arch9wavefront6targetE1EEEvT1_.kd
    .uniform_work_group_size: 1
    .uses_dynamic_stack: false
    .vgpr_count:     0
    .vgpr_spill_count: 0
    .wavefront_size: 64
  - .agpr_count:     0
    .args:
      - .offset:         0
        .size:           40
        .value_kind:     by_value
    .group_segment_fixed_size: 0
    .kernarg_segment_align: 8
    .kernarg_segment_size: 40
    .language:       OpenCL C
    .language_version:
      - 2
      - 0
    .max_flat_workgroup_size: 128
    .name:           _ZN7rocprim17ROCPRIM_400000_NS6detail17trampoline_kernelINS0_14default_configENS1_38merge_sort_block_merge_config_selectorIyNS0_10empty_typeEEEZZNS1_27merge_sort_block_merge_implIS3_N6thrust23THRUST_200600_302600_NS6detail15normal_iteratorINS9_10device_ptrIyEEEEPS5_jNS1_19radix_merge_compareILb0ELb1EyNS0_19identity_decomposerEEEEE10hipError_tT0_T1_T2_jT3_P12ihipStream_tbPNSt15iterator_traitsISK_E10value_typeEPNSQ_ISL_E10value_typeEPSM_NS1_7vsmem_tEENKUlT_SK_SL_SM_E_clIPySE_SF_SF_EESJ_SZ_SK_SL_SM_EUlSZ_E_NS1_11comp_targetILNS1_3genE0ELNS1_11target_archE4294967295ELNS1_3gpuE0ELNS1_3repE0EEENS1_48merge_mergepath_partition_config_static_selectorELNS0_4arch9wavefront6targetE1EEEvSL_
    .private_segment_fixed_size: 0
    .sgpr_count:     4
    .sgpr_spill_count: 0
    .symbol:         _ZN7rocprim17ROCPRIM_400000_NS6detail17trampoline_kernelINS0_14default_configENS1_38merge_sort_block_merge_config_selectorIyNS0_10empty_typeEEEZZNS1_27merge_sort_block_merge_implIS3_N6thrust23THRUST_200600_302600_NS6detail15normal_iteratorINS9_10device_ptrIyEEEEPS5_jNS1_19radix_merge_compareILb0ELb1EyNS0_19identity_decomposerEEEEE10hipError_tT0_T1_T2_jT3_P12ihipStream_tbPNSt15iterator_traitsISK_E10value_typeEPNSQ_ISL_E10value_typeEPSM_NS1_7vsmem_tEENKUlT_SK_SL_SM_E_clIPySE_SF_SF_EESJ_SZ_SK_SL_SM_EUlSZ_E_NS1_11comp_targetILNS1_3genE0ELNS1_11target_archE4294967295ELNS1_3gpuE0ELNS1_3repE0EEENS1_48merge_mergepath_partition_config_static_selectorELNS0_4arch9wavefront6targetE1EEEvSL_.kd
    .uniform_work_group_size: 1
    .uses_dynamic_stack: false
    .vgpr_count:     0
    .vgpr_spill_count: 0
    .wavefront_size: 64
  - .agpr_count:     0
    .args:
      - .offset:         0
        .size:           40
        .value_kind:     by_value
    .group_segment_fixed_size: 0
    .kernarg_segment_align: 8
    .kernarg_segment_size: 40
    .language:       OpenCL C
    .language_version:
      - 2
      - 0
    .max_flat_workgroup_size: 128
    .name:           _ZN7rocprim17ROCPRIM_400000_NS6detail17trampoline_kernelINS0_14default_configENS1_38merge_sort_block_merge_config_selectorIyNS0_10empty_typeEEEZZNS1_27merge_sort_block_merge_implIS3_N6thrust23THRUST_200600_302600_NS6detail15normal_iteratorINS9_10device_ptrIyEEEEPS5_jNS1_19radix_merge_compareILb0ELb1EyNS0_19identity_decomposerEEEEE10hipError_tT0_T1_T2_jT3_P12ihipStream_tbPNSt15iterator_traitsISK_E10value_typeEPNSQ_ISL_E10value_typeEPSM_NS1_7vsmem_tEENKUlT_SK_SL_SM_E_clIPySE_SF_SF_EESJ_SZ_SK_SL_SM_EUlSZ_E_NS1_11comp_targetILNS1_3genE10ELNS1_11target_archE1201ELNS1_3gpuE5ELNS1_3repE0EEENS1_48merge_mergepath_partition_config_static_selectorELNS0_4arch9wavefront6targetE1EEEvSL_
    .private_segment_fixed_size: 0
    .sgpr_count:     4
    .sgpr_spill_count: 0
    .symbol:         _ZN7rocprim17ROCPRIM_400000_NS6detail17trampoline_kernelINS0_14default_configENS1_38merge_sort_block_merge_config_selectorIyNS0_10empty_typeEEEZZNS1_27merge_sort_block_merge_implIS3_N6thrust23THRUST_200600_302600_NS6detail15normal_iteratorINS9_10device_ptrIyEEEEPS5_jNS1_19radix_merge_compareILb0ELb1EyNS0_19identity_decomposerEEEEE10hipError_tT0_T1_T2_jT3_P12ihipStream_tbPNSt15iterator_traitsISK_E10value_typeEPNSQ_ISL_E10value_typeEPSM_NS1_7vsmem_tEENKUlT_SK_SL_SM_E_clIPySE_SF_SF_EESJ_SZ_SK_SL_SM_EUlSZ_E_NS1_11comp_targetILNS1_3genE10ELNS1_11target_archE1201ELNS1_3gpuE5ELNS1_3repE0EEENS1_48merge_mergepath_partition_config_static_selectorELNS0_4arch9wavefront6targetE1EEEvSL_.kd
    .uniform_work_group_size: 1
    .uses_dynamic_stack: false
    .vgpr_count:     0
    .vgpr_spill_count: 0
    .wavefront_size: 64
  - .agpr_count:     0
    .args:
      - .offset:         0
        .size:           40
        .value_kind:     by_value
    .group_segment_fixed_size: 0
    .kernarg_segment_align: 8
    .kernarg_segment_size: 40
    .language:       OpenCL C
    .language_version:
      - 2
      - 0
    .max_flat_workgroup_size: 128
    .name:           _ZN7rocprim17ROCPRIM_400000_NS6detail17trampoline_kernelINS0_14default_configENS1_38merge_sort_block_merge_config_selectorIyNS0_10empty_typeEEEZZNS1_27merge_sort_block_merge_implIS3_N6thrust23THRUST_200600_302600_NS6detail15normal_iteratorINS9_10device_ptrIyEEEEPS5_jNS1_19radix_merge_compareILb0ELb1EyNS0_19identity_decomposerEEEEE10hipError_tT0_T1_T2_jT3_P12ihipStream_tbPNSt15iterator_traitsISK_E10value_typeEPNSQ_ISL_E10value_typeEPSM_NS1_7vsmem_tEENKUlT_SK_SL_SM_E_clIPySE_SF_SF_EESJ_SZ_SK_SL_SM_EUlSZ_E_NS1_11comp_targetILNS1_3genE5ELNS1_11target_archE942ELNS1_3gpuE9ELNS1_3repE0EEENS1_48merge_mergepath_partition_config_static_selectorELNS0_4arch9wavefront6targetE1EEEvSL_
    .private_segment_fixed_size: 0
    .sgpr_count:     4
    .sgpr_spill_count: 0
    .symbol:         _ZN7rocprim17ROCPRIM_400000_NS6detail17trampoline_kernelINS0_14default_configENS1_38merge_sort_block_merge_config_selectorIyNS0_10empty_typeEEEZZNS1_27merge_sort_block_merge_implIS3_N6thrust23THRUST_200600_302600_NS6detail15normal_iteratorINS9_10device_ptrIyEEEEPS5_jNS1_19radix_merge_compareILb0ELb1EyNS0_19identity_decomposerEEEEE10hipError_tT0_T1_T2_jT3_P12ihipStream_tbPNSt15iterator_traitsISK_E10value_typeEPNSQ_ISL_E10value_typeEPSM_NS1_7vsmem_tEENKUlT_SK_SL_SM_E_clIPySE_SF_SF_EESJ_SZ_SK_SL_SM_EUlSZ_E_NS1_11comp_targetILNS1_3genE5ELNS1_11target_archE942ELNS1_3gpuE9ELNS1_3repE0EEENS1_48merge_mergepath_partition_config_static_selectorELNS0_4arch9wavefront6targetE1EEEvSL_.kd
    .uniform_work_group_size: 1
    .uses_dynamic_stack: false
    .vgpr_count:     0
    .vgpr_spill_count: 0
    .wavefront_size: 64
  - .agpr_count:     0
    .args:
      - .offset:         0
        .size:           40
        .value_kind:     by_value
    .group_segment_fixed_size: 0
    .kernarg_segment_align: 8
    .kernarg_segment_size: 40
    .language:       OpenCL C
    .language_version:
      - 2
      - 0
    .max_flat_workgroup_size: 128
    .name:           _ZN7rocprim17ROCPRIM_400000_NS6detail17trampoline_kernelINS0_14default_configENS1_38merge_sort_block_merge_config_selectorIyNS0_10empty_typeEEEZZNS1_27merge_sort_block_merge_implIS3_N6thrust23THRUST_200600_302600_NS6detail15normal_iteratorINS9_10device_ptrIyEEEEPS5_jNS1_19radix_merge_compareILb0ELb1EyNS0_19identity_decomposerEEEEE10hipError_tT0_T1_T2_jT3_P12ihipStream_tbPNSt15iterator_traitsISK_E10value_typeEPNSQ_ISL_E10value_typeEPSM_NS1_7vsmem_tEENKUlT_SK_SL_SM_E_clIPySE_SF_SF_EESJ_SZ_SK_SL_SM_EUlSZ_E_NS1_11comp_targetILNS1_3genE4ELNS1_11target_archE910ELNS1_3gpuE8ELNS1_3repE0EEENS1_48merge_mergepath_partition_config_static_selectorELNS0_4arch9wavefront6targetE1EEEvSL_
    .private_segment_fixed_size: 0
    .sgpr_count:     14
    .sgpr_spill_count: 0
    .symbol:         _ZN7rocprim17ROCPRIM_400000_NS6detail17trampoline_kernelINS0_14default_configENS1_38merge_sort_block_merge_config_selectorIyNS0_10empty_typeEEEZZNS1_27merge_sort_block_merge_implIS3_N6thrust23THRUST_200600_302600_NS6detail15normal_iteratorINS9_10device_ptrIyEEEEPS5_jNS1_19radix_merge_compareILb0ELb1EyNS0_19identity_decomposerEEEEE10hipError_tT0_T1_T2_jT3_P12ihipStream_tbPNSt15iterator_traitsISK_E10value_typeEPNSQ_ISL_E10value_typeEPSM_NS1_7vsmem_tEENKUlT_SK_SL_SM_E_clIPySE_SF_SF_EESJ_SZ_SK_SL_SM_EUlSZ_E_NS1_11comp_targetILNS1_3genE4ELNS1_11target_archE910ELNS1_3gpuE8ELNS1_3repE0EEENS1_48merge_mergepath_partition_config_static_selectorELNS0_4arch9wavefront6targetE1EEEvSL_.kd
    .uniform_work_group_size: 1
    .uses_dynamic_stack: false
    .vgpr_count:     16
    .vgpr_spill_count: 0
    .wavefront_size: 64
  - .agpr_count:     0
    .args:
      - .offset:         0
        .size:           40
        .value_kind:     by_value
    .group_segment_fixed_size: 0
    .kernarg_segment_align: 8
    .kernarg_segment_size: 40
    .language:       OpenCL C
    .language_version:
      - 2
      - 0
    .max_flat_workgroup_size: 128
    .name:           _ZN7rocprim17ROCPRIM_400000_NS6detail17trampoline_kernelINS0_14default_configENS1_38merge_sort_block_merge_config_selectorIyNS0_10empty_typeEEEZZNS1_27merge_sort_block_merge_implIS3_N6thrust23THRUST_200600_302600_NS6detail15normal_iteratorINS9_10device_ptrIyEEEEPS5_jNS1_19radix_merge_compareILb0ELb1EyNS0_19identity_decomposerEEEEE10hipError_tT0_T1_T2_jT3_P12ihipStream_tbPNSt15iterator_traitsISK_E10value_typeEPNSQ_ISL_E10value_typeEPSM_NS1_7vsmem_tEENKUlT_SK_SL_SM_E_clIPySE_SF_SF_EESJ_SZ_SK_SL_SM_EUlSZ_E_NS1_11comp_targetILNS1_3genE3ELNS1_11target_archE908ELNS1_3gpuE7ELNS1_3repE0EEENS1_48merge_mergepath_partition_config_static_selectorELNS0_4arch9wavefront6targetE1EEEvSL_
    .private_segment_fixed_size: 0
    .sgpr_count:     4
    .sgpr_spill_count: 0
    .symbol:         _ZN7rocprim17ROCPRIM_400000_NS6detail17trampoline_kernelINS0_14default_configENS1_38merge_sort_block_merge_config_selectorIyNS0_10empty_typeEEEZZNS1_27merge_sort_block_merge_implIS3_N6thrust23THRUST_200600_302600_NS6detail15normal_iteratorINS9_10device_ptrIyEEEEPS5_jNS1_19radix_merge_compareILb0ELb1EyNS0_19identity_decomposerEEEEE10hipError_tT0_T1_T2_jT3_P12ihipStream_tbPNSt15iterator_traitsISK_E10value_typeEPNSQ_ISL_E10value_typeEPSM_NS1_7vsmem_tEENKUlT_SK_SL_SM_E_clIPySE_SF_SF_EESJ_SZ_SK_SL_SM_EUlSZ_E_NS1_11comp_targetILNS1_3genE3ELNS1_11target_archE908ELNS1_3gpuE7ELNS1_3repE0EEENS1_48merge_mergepath_partition_config_static_selectorELNS0_4arch9wavefront6targetE1EEEvSL_.kd
    .uniform_work_group_size: 1
    .uses_dynamic_stack: false
    .vgpr_count:     0
    .vgpr_spill_count: 0
    .wavefront_size: 64
  - .agpr_count:     0
    .args:
      - .offset:         0
        .size:           40
        .value_kind:     by_value
    .group_segment_fixed_size: 0
    .kernarg_segment_align: 8
    .kernarg_segment_size: 40
    .language:       OpenCL C
    .language_version:
      - 2
      - 0
    .max_flat_workgroup_size: 128
    .name:           _ZN7rocprim17ROCPRIM_400000_NS6detail17trampoline_kernelINS0_14default_configENS1_38merge_sort_block_merge_config_selectorIyNS0_10empty_typeEEEZZNS1_27merge_sort_block_merge_implIS3_N6thrust23THRUST_200600_302600_NS6detail15normal_iteratorINS9_10device_ptrIyEEEEPS5_jNS1_19radix_merge_compareILb0ELb1EyNS0_19identity_decomposerEEEEE10hipError_tT0_T1_T2_jT3_P12ihipStream_tbPNSt15iterator_traitsISK_E10value_typeEPNSQ_ISL_E10value_typeEPSM_NS1_7vsmem_tEENKUlT_SK_SL_SM_E_clIPySE_SF_SF_EESJ_SZ_SK_SL_SM_EUlSZ_E_NS1_11comp_targetILNS1_3genE2ELNS1_11target_archE906ELNS1_3gpuE6ELNS1_3repE0EEENS1_48merge_mergepath_partition_config_static_selectorELNS0_4arch9wavefront6targetE1EEEvSL_
    .private_segment_fixed_size: 0
    .sgpr_count:     4
    .sgpr_spill_count: 0
    .symbol:         _ZN7rocprim17ROCPRIM_400000_NS6detail17trampoline_kernelINS0_14default_configENS1_38merge_sort_block_merge_config_selectorIyNS0_10empty_typeEEEZZNS1_27merge_sort_block_merge_implIS3_N6thrust23THRUST_200600_302600_NS6detail15normal_iteratorINS9_10device_ptrIyEEEEPS5_jNS1_19radix_merge_compareILb0ELb1EyNS0_19identity_decomposerEEEEE10hipError_tT0_T1_T2_jT3_P12ihipStream_tbPNSt15iterator_traitsISK_E10value_typeEPNSQ_ISL_E10value_typeEPSM_NS1_7vsmem_tEENKUlT_SK_SL_SM_E_clIPySE_SF_SF_EESJ_SZ_SK_SL_SM_EUlSZ_E_NS1_11comp_targetILNS1_3genE2ELNS1_11target_archE906ELNS1_3gpuE6ELNS1_3repE0EEENS1_48merge_mergepath_partition_config_static_selectorELNS0_4arch9wavefront6targetE1EEEvSL_.kd
    .uniform_work_group_size: 1
    .uses_dynamic_stack: false
    .vgpr_count:     0
    .vgpr_spill_count: 0
    .wavefront_size: 64
  - .agpr_count:     0
    .args:
      - .offset:         0
        .size:           40
        .value_kind:     by_value
    .group_segment_fixed_size: 0
    .kernarg_segment_align: 8
    .kernarg_segment_size: 40
    .language:       OpenCL C
    .language_version:
      - 2
      - 0
    .max_flat_workgroup_size: 128
    .name:           _ZN7rocprim17ROCPRIM_400000_NS6detail17trampoline_kernelINS0_14default_configENS1_38merge_sort_block_merge_config_selectorIyNS0_10empty_typeEEEZZNS1_27merge_sort_block_merge_implIS3_N6thrust23THRUST_200600_302600_NS6detail15normal_iteratorINS9_10device_ptrIyEEEEPS5_jNS1_19radix_merge_compareILb0ELb1EyNS0_19identity_decomposerEEEEE10hipError_tT0_T1_T2_jT3_P12ihipStream_tbPNSt15iterator_traitsISK_E10value_typeEPNSQ_ISL_E10value_typeEPSM_NS1_7vsmem_tEENKUlT_SK_SL_SM_E_clIPySE_SF_SF_EESJ_SZ_SK_SL_SM_EUlSZ_E_NS1_11comp_targetILNS1_3genE9ELNS1_11target_archE1100ELNS1_3gpuE3ELNS1_3repE0EEENS1_48merge_mergepath_partition_config_static_selectorELNS0_4arch9wavefront6targetE1EEEvSL_
    .private_segment_fixed_size: 0
    .sgpr_count:     4
    .sgpr_spill_count: 0
    .symbol:         _ZN7rocprim17ROCPRIM_400000_NS6detail17trampoline_kernelINS0_14default_configENS1_38merge_sort_block_merge_config_selectorIyNS0_10empty_typeEEEZZNS1_27merge_sort_block_merge_implIS3_N6thrust23THRUST_200600_302600_NS6detail15normal_iteratorINS9_10device_ptrIyEEEEPS5_jNS1_19radix_merge_compareILb0ELb1EyNS0_19identity_decomposerEEEEE10hipError_tT0_T1_T2_jT3_P12ihipStream_tbPNSt15iterator_traitsISK_E10value_typeEPNSQ_ISL_E10value_typeEPSM_NS1_7vsmem_tEENKUlT_SK_SL_SM_E_clIPySE_SF_SF_EESJ_SZ_SK_SL_SM_EUlSZ_E_NS1_11comp_targetILNS1_3genE9ELNS1_11target_archE1100ELNS1_3gpuE3ELNS1_3repE0EEENS1_48merge_mergepath_partition_config_static_selectorELNS0_4arch9wavefront6targetE1EEEvSL_.kd
    .uniform_work_group_size: 1
    .uses_dynamic_stack: false
    .vgpr_count:     0
    .vgpr_spill_count: 0
    .wavefront_size: 64
  - .agpr_count:     0
    .args:
      - .offset:         0
        .size:           40
        .value_kind:     by_value
    .group_segment_fixed_size: 0
    .kernarg_segment_align: 8
    .kernarg_segment_size: 40
    .language:       OpenCL C
    .language_version:
      - 2
      - 0
    .max_flat_workgroup_size: 128
    .name:           _ZN7rocprim17ROCPRIM_400000_NS6detail17trampoline_kernelINS0_14default_configENS1_38merge_sort_block_merge_config_selectorIyNS0_10empty_typeEEEZZNS1_27merge_sort_block_merge_implIS3_N6thrust23THRUST_200600_302600_NS6detail15normal_iteratorINS9_10device_ptrIyEEEEPS5_jNS1_19radix_merge_compareILb0ELb1EyNS0_19identity_decomposerEEEEE10hipError_tT0_T1_T2_jT3_P12ihipStream_tbPNSt15iterator_traitsISK_E10value_typeEPNSQ_ISL_E10value_typeEPSM_NS1_7vsmem_tEENKUlT_SK_SL_SM_E_clIPySE_SF_SF_EESJ_SZ_SK_SL_SM_EUlSZ_E_NS1_11comp_targetILNS1_3genE8ELNS1_11target_archE1030ELNS1_3gpuE2ELNS1_3repE0EEENS1_48merge_mergepath_partition_config_static_selectorELNS0_4arch9wavefront6targetE1EEEvSL_
    .private_segment_fixed_size: 0
    .sgpr_count:     4
    .sgpr_spill_count: 0
    .symbol:         _ZN7rocprim17ROCPRIM_400000_NS6detail17trampoline_kernelINS0_14default_configENS1_38merge_sort_block_merge_config_selectorIyNS0_10empty_typeEEEZZNS1_27merge_sort_block_merge_implIS3_N6thrust23THRUST_200600_302600_NS6detail15normal_iteratorINS9_10device_ptrIyEEEEPS5_jNS1_19radix_merge_compareILb0ELb1EyNS0_19identity_decomposerEEEEE10hipError_tT0_T1_T2_jT3_P12ihipStream_tbPNSt15iterator_traitsISK_E10value_typeEPNSQ_ISL_E10value_typeEPSM_NS1_7vsmem_tEENKUlT_SK_SL_SM_E_clIPySE_SF_SF_EESJ_SZ_SK_SL_SM_EUlSZ_E_NS1_11comp_targetILNS1_3genE8ELNS1_11target_archE1030ELNS1_3gpuE2ELNS1_3repE0EEENS1_48merge_mergepath_partition_config_static_selectorELNS0_4arch9wavefront6targetE1EEEvSL_.kd
    .uniform_work_group_size: 1
    .uses_dynamic_stack: false
    .vgpr_count:     0
    .vgpr_spill_count: 0
    .wavefront_size: 64
  - .agpr_count:     0
    .args:
      - .offset:         0
        .size:           72
        .value_kind:     by_value
    .group_segment_fixed_size: 0
    .kernarg_segment_align: 8
    .kernarg_segment_size: 72
    .language:       OpenCL C
    .language_version:
      - 2
      - 0
    .max_flat_workgroup_size: 128
    .name:           _ZN7rocprim17ROCPRIM_400000_NS6detail17trampoline_kernelINS0_14default_configENS1_38merge_sort_block_merge_config_selectorIyNS0_10empty_typeEEEZZNS1_27merge_sort_block_merge_implIS3_N6thrust23THRUST_200600_302600_NS6detail15normal_iteratorINS9_10device_ptrIyEEEEPS5_jNS1_19radix_merge_compareILb0ELb1EyNS0_19identity_decomposerEEEEE10hipError_tT0_T1_T2_jT3_P12ihipStream_tbPNSt15iterator_traitsISK_E10value_typeEPNSQ_ISL_E10value_typeEPSM_NS1_7vsmem_tEENKUlT_SK_SL_SM_E_clIPySE_SF_SF_EESJ_SZ_SK_SL_SM_EUlSZ_E0_NS1_11comp_targetILNS1_3genE0ELNS1_11target_archE4294967295ELNS1_3gpuE0ELNS1_3repE0EEENS1_38merge_mergepath_config_static_selectorELNS0_4arch9wavefront6targetE1EEEvSL_
    .private_segment_fixed_size: 0
    .sgpr_count:     4
    .sgpr_spill_count: 0
    .symbol:         _ZN7rocprim17ROCPRIM_400000_NS6detail17trampoline_kernelINS0_14default_configENS1_38merge_sort_block_merge_config_selectorIyNS0_10empty_typeEEEZZNS1_27merge_sort_block_merge_implIS3_N6thrust23THRUST_200600_302600_NS6detail15normal_iteratorINS9_10device_ptrIyEEEEPS5_jNS1_19radix_merge_compareILb0ELb1EyNS0_19identity_decomposerEEEEE10hipError_tT0_T1_T2_jT3_P12ihipStream_tbPNSt15iterator_traitsISK_E10value_typeEPNSQ_ISL_E10value_typeEPSM_NS1_7vsmem_tEENKUlT_SK_SL_SM_E_clIPySE_SF_SF_EESJ_SZ_SK_SL_SM_EUlSZ_E0_NS1_11comp_targetILNS1_3genE0ELNS1_11target_archE4294967295ELNS1_3gpuE0ELNS1_3repE0EEENS1_38merge_mergepath_config_static_selectorELNS0_4arch9wavefront6targetE1EEEvSL_.kd
    .uniform_work_group_size: 1
    .uses_dynamic_stack: false
    .vgpr_count:     0
    .vgpr_spill_count: 0
    .wavefront_size: 64
  - .agpr_count:     0
    .args:
      - .offset:         0
        .size:           72
        .value_kind:     by_value
    .group_segment_fixed_size: 0
    .kernarg_segment_align: 8
    .kernarg_segment_size: 72
    .language:       OpenCL C
    .language_version:
      - 2
      - 0
    .max_flat_workgroup_size: 512
    .name:           _ZN7rocprim17ROCPRIM_400000_NS6detail17trampoline_kernelINS0_14default_configENS1_38merge_sort_block_merge_config_selectorIyNS0_10empty_typeEEEZZNS1_27merge_sort_block_merge_implIS3_N6thrust23THRUST_200600_302600_NS6detail15normal_iteratorINS9_10device_ptrIyEEEEPS5_jNS1_19radix_merge_compareILb0ELb1EyNS0_19identity_decomposerEEEEE10hipError_tT0_T1_T2_jT3_P12ihipStream_tbPNSt15iterator_traitsISK_E10value_typeEPNSQ_ISL_E10value_typeEPSM_NS1_7vsmem_tEENKUlT_SK_SL_SM_E_clIPySE_SF_SF_EESJ_SZ_SK_SL_SM_EUlSZ_E0_NS1_11comp_targetILNS1_3genE10ELNS1_11target_archE1201ELNS1_3gpuE5ELNS1_3repE0EEENS1_38merge_mergepath_config_static_selectorELNS0_4arch9wavefront6targetE1EEEvSL_
    .private_segment_fixed_size: 0
    .sgpr_count:     4
    .sgpr_spill_count: 0
    .symbol:         _ZN7rocprim17ROCPRIM_400000_NS6detail17trampoline_kernelINS0_14default_configENS1_38merge_sort_block_merge_config_selectorIyNS0_10empty_typeEEEZZNS1_27merge_sort_block_merge_implIS3_N6thrust23THRUST_200600_302600_NS6detail15normal_iteratorINS9_10device_ptrIyEEEEPS5_jNS1_19radix_merge_compareILb0ELb1EyNS0_19identity_decomposerEEEEE10hipError_tT0_T1_T2_jT3_P12ihipStream_tbPNSt15iterator_traitsISK_E10value_typeEPNSQ_ISL_E10value_typeEPSM_NS1_7vsmem_tEENKUlT_SK_SL_SM_E_clIPySE_SF_SF_EESJ_SZ_SK_SL_SM_EUlSZ_E0_NS1_11comp_targetILNS1_3genE10ELNS1_11target_archE1201ELNS1_3gpuE5ELNS1_3repE0EEENS1_38merge_mergepath_config_static_selectorELNS0_4arch9wavefront6targetE1EEEvSL_.kd
    .uniform_work_group_size: 1
    .uses_dynamic_stack: false
    .vgpr_count:     0
    .vgpr_spill_count: 0
    .wavefront_size: 64
  - .agpr_count:     0
    .args:
      - .offset:         0
        .size:           72
        .value_kind:     by_value
    .group_segment_fixed_size: 0
    .kernarg_segment_align: 8
    .kernarg_segment_size: 72
    .language:       OpenCL C
    .language_version:
      - 2
      - 0
    .max_flat_workgroup_size: 128
    .name:           _ZN7rocprim17ROCPRIM_400000_NS6detail17trampoline_kernelINS0_14default_configENS1_38merge_sort_block_merge_config_selectorIyNS0_10empty_typeEEEZZNS1_27merge_sort_block_merge_implIS3_N6thrust23THRUST_200600_302600_NS6detail15normal_iteratorINS9_10device_ptrIyEEEEPS5_jNS1_19radix_merge_compareILb0ELb1EyNS0_19identity_decomposerEEEEE10hipError_tT0_T1_T2_jT3_P12ihipStream_tbPNSt15iterator_traitsISK_E10value_typeEPNSQ_ISL_E10value_typeEPSM_NS1_7vsmem_tEENKUlT_SK_SL_SM_E_clIPySE_SF_SF_EESJ_SZ_SK_SL_SM_EUlSZ_E0_NS1_11comp_targetILNS1_3genE5ELNS1_11target_archE942ELNS1_3gpuE9ELNS1_3repE0EEENS1_38merge_mergepath_config_static_selectorELNS0_4arch9wavefront6targetE1EEEvSL_
    .private_segment_fixed_size: 0
    .sgpr_count:     4
    .sgpr_spill_count: 0
    .symbol:         _ZN7rocprim17ROCPRIM_400000_NS6detail17trampoline_kernelINS0_14default_configENS1_38merge_sort_block_merge_config_selectorIyNS0_10empty_typeEEEZZNS1_27merge_sort_block_merge_implIS3_N6thrust23THRUST_200600_302600_NS6detail15normal_iteratorINS9_10device_ptrIyEEEEPS5_jNS1_19radix_merge_compareILb0ELb1EyNS0_19identity_decomposerEEEEE10hipError_tT0_T1_T2_jT3_P12ihipStream_tbPNSt15iterator_traitsISK_E10value_typeEPNSQ_ISL_E10value_typeEPSM_NS1_7vsmem_tEENKUlT_SK_SL_SM_E_clIPySE_SF_SF_EESJ_SZ_SK_SL_SM_EUlSZ_E0_NS1_11comp_targetILNS1_3genE5ELNS1_11target_archE942ELNS1_3gpuE9ELNS1_3repE0EEENS1_38merge_mergepath_config_static_selectorELNS0_4arch9wavefront6targetE1EEEvSL_.kd
    .uniform_work_group_size: 1
    .uses_dynamic_stack: false
    .vgpr_count:     0
    .vgpr_spill_count: 0
    .wavefront_size: 64
  - .agpr_count:     0
    .args:
      - .offset:         0
        .size:           72
        .value_kind:     by_value
      - .offset:         72
        .size:           4
        .value_kind:     hidden_block_count_x
      - .offset:         76
        .size:           4
        .value_kind:     hidden_block_count_y
      - .offset:         80
        .size:           4
        .value_kind:     hidden_block_count_z
      - .offset:         84
        .size:           2
        .value_kind:     hidden_group_size_x
      - .offset:         86
        .size:           2
        .value_kind:     hidden_group_size_y
      - .offset:         88
        .size:           2
        .value_kind:     hidden_group_size_z
      - .offset:         90
        .size:           2
        .value_kind:     hidden_remainder_x
      - .offset:         92
        .size:           2
        .value_kind:     hidden_remainder_y
      - .offset:         94
        .size:           2
        .value_kind:     hidden_remainder_z
      - .offset:         112
        .size:           8
        .value_kind:     hidden_global_offset_x
      - .offset:         120
        .size:           8
        .value_kind:     hidden_global_offset_y
      - .offset:         128
        .size:           8
        .value_kind:     hidden_global_offset_z
      - .offset:         136
        .size:           2
        .value_kind:     hidden_grid_dims
    .group_segment_fixed_size: 8448
    .kernarg_segment_align: 8
    .kernarg_segment_size: 328
    .language:       OpenCL C
    .language_version:
      - 2
      - 0
    .max_flat_workgroup_size: 256
    .name:           _ZN7rocprim17ROCPRIM_400000_NS6detail17trampoline_kernelINS0_14default_configENS1_38merge_sort_block_merge_config_selectorIyNS0_10empty_typeEEEZZNS1_27merge_sort_block_merge_implIS3_N6thrust23THRUST_200600_302600_NS6detail15normal_iteratorINS9_10device_ptrIyEEEEPS5_jNS1_19radix_merge_compareILb0ELb1EyNS0_19identity_decomposerEEEEE10hipError_tT0_T1_T2_jT3_P12ihipStream_tbPNSt15iterator_traitsISK_E10value_typeEPNSQ_ISL_E10value_typeEPSM_NS1_7vsmem_tEENKUlT_SK_SL_SM_E_clIPySE_SF_SF_EESJ_SZ_SK_SL_SM_EUlSZ_E0_NS1_11comp_targetILNS1_3genE4ELNS1_11target_archE910ELNS1_3gpuE8ELNS1_3repE0EEENS1_38merge_mergepath_config_static_selectorELNS0_4arch9wavefront6targetE1EEEvSL_
    .private_segment_fixed_size: 0
    .sgpr_count:     30
    .sgpr_spill_count: 0
    .symbol:         _ZN7rocprim17ROCPRIM_400000_NS6detail17trampoline_kernelINS0_14default_configENS1_38merge_sort_block_merge_config_selectorIyNS0_10empty_typeEEEZZNS1_27merge_sort_block_merge_implIS3_N6thrust23THRUST_200600_302600_NS6detail15normal_iteratorINS9_10device_ptrIyEEEEPS5_jNS1_19radix_merge_compareILb0ELb1EyNS0_19identity_decomposerEEEEE10hipError_tT0_T1_T2_jT3_P12ihipStream_tbPNSt15iterator_traitsISK_E10value_typeEPNSQ_ISL_E10value_typeEPSM_NS1_7vsmem_tEENKUlT_SK_SL_SM_E_clIPySE_SF_SF_EESJ_SZ_SK_SL_SM_EUlSZ_E0_NS1_11comp_targetILNS1_3genE4ELNS1_11target_archE910ELNS1_3gpuE8ELNS1_3repE0EEENS1_38merge_mergepath_config_static_selectorELNS0_4arch9wavefront6targetE1EEEvSL_.kd
    .uniform_work_group_size: 1
    .uses_dynamic_stack: false
    .vgpr_count:     23
    .vgpr_spill_count: 0
    .wavefront_size: 64
  - .agpr_count:     0
    .args:
      - .offset:         0
        .size:           72
        .value_kind:     by_value
    .group_segment_fixed_size: 0
    .kernarg_segment_align: 8
    .kernarg_segment_size: 72
    .language:       OpenCL C
    .language_version:
      - 2
      - 0
    .max_flat_workgroup_size: 128
    .name:           _ZN7rocprim17ROCPRIM_400000_NS6detail17trampoline_kernelINS0_14default_configENS1_38merge_sort_block_merge_config_selectorIyNS0_10empty_typeEEEZZNS1_27merge_sort_block_merge_implIS3_N6thrust23THRUST_200600_302600_NS6detail15normal_iteratorINS9_10device_ptrIyEEEEPS5_jNS1_19radix_merge_compareILb0ELb1EyNS0_19identity_decomposerEEEEE10hipError_tT0_T1_T2_jT3_P12ihipStream_tbPNSt15iterator_traitsISK_E10value_typeEPNSQ_ISL_E10value_typeEPSM_NS1_7vsmem_tEENKUlT_SK_SL_SM_E_clIPySE_SF_SF_EESJ_SZ_SK_SL_SM_EUlSZ_E0_NS1_11comp_targetILNS1_3genE3ELNS1_11target_archE908ELNS1_3gpuE7ELNS1_3repE0EEENS1_38merge_mergepath_config_static_selectorELNS0_4arch9wavefront6targetE1EEEvSL_
    .private_segment_fixed_size: 0
    .sgpr_count:     4
    .sgpr_spill_count: 0
    .symbol:         _ZN7rocprim17ROCPRIM_400000_NS6detail17trampoline_kernelINS0_14default_configENS1_38merge_sort_block_merge_config_selectorIyNS0_10empty_typeEEEZZNS1_27merge_sort_block_merge_implIS3_N6thrust23THRUST_200600_302600_NS6detail15normal_iteratorINS9_10device_ptrIyEEEEPS5_jNS1_19radix_merge_compareILb0ELb1EyNS0_19identity_decomposerEEEEE10hipError_tT0_T1_T2_jT3_P12ihipStream_tbPNSt15iterator_traitsISK_E10value_typeEPNSQ_ISL_E10value_typeEPSM_NS1_7vsmem_tEENKUlT_SK_SL_SM_E_clIPySE_SF_SF_EESJ_SZ_SK_SL_SM_EUlSZ_E0_NS1_11comp_targetILNS1_3genE3ELNS1_11target_archE908ELNS1_3gpuE7ELNS1_3repE0EEENS1_38merge_mergepath_config_static_selectorELNS0_4arch9wavefront6targetE1EEEvSL_.kd
    .uniform_work_group_size: 1
    .uses_dynamic_stack: false
    .vgpr_count:     0
    .vgpr_spill_count: 0
    .wavefront_size: 64
  - .agpr_count:     0
    .args:
      - .offset:         0
        .size:           72
        .value_kind:     by_value
    .group_segment_fixed_size: 0
    .kernarg_segment_align: 8
    .kernarg_segment_size: 72
    .language:       OpenCL C
    .language_version:
      - 2
      - 0
    .max_flat_workgroup_size: 256
    .name:           _ZN7rocprim17ROCPRIM_400000_NS6detail17trampoline_kernelINS0_14default_configENS1_38merge_sort_block_merge_config_selectorIyNS0_10empty_typeEEEZZNS1_27merge_sort_block_merge_implIS3_N6thrust23THRUST_200600_302600_NS6detail15normal_iteratorINS9_10device_ptrIyEEEEPS5_jNS1_19radix_merge_compareILb0ELb1EyNS0_19identity_decomposerEEEEE10hipError_tT0_T1_T2_jT3_P12ihipStream_tbPNSt15iterator_traitsISK_E10value_typeEPNSQ_ISL_E10value_typeEPSM_NS1_7vsmem_tEENKUlT_SK_SL_SM_E_clIPySE_SF_SF_EESJ_SZ_SK_SL_SM_EUlSZ_E0_NS1_11comp_targetILNS1_3genE2ELNS1_11target_archE906ELNS1_3gpuE6ELNS1_3repE0EEENS1_38merge_mergepath_config_static_selectorELNS0_4arch9wavefront6targetE1EEEvSL_
    .private_segment_fixed_size: 0
    .sgpr_count:     4
    .sgpr_spill_count: 0
    .symbol:         _ZN7rocprim17ROCPRIM_400000_NS6detail17trampoline_kernelINS0_14default_configENS1_38merge_sort_block_merge_config_selectorIyNS0_10empty_typeEEEZZNS1_27merge_sort_block_merge_implIS3_N6thrust23THRUST_200600_302600_NS6detail15normal_iteratorINS9_10device_ptrIyEEEEPS5_jNS1_19radix_merge_compareILb0ELb1EyNS0_19identity_decomposerEEEEE10hipError_tT0_T1_T2_jT3_P12ihipStream_tbPNSt15iterator_traitsISK_E10value_typeEPNSQ_ISL_E10value_typeEPSM_NS1_7vsmem_tEENKUlT_SK_SL_SM_E_clIPySE_SF_SF_EESJ_SZ_SK_SL_SM_EUlSZ_E0_NS1_11comp_targetILNS1_3genE2ELNS1_11target_archE906ELNS1_3gpuE6ELNS1_3repE0EEENS1_38merge_mergepath_config_static_selectorELNS0_4arch9wavefront6targetE1EEEvSL_.kd
    .uniform_work_group_size: 1
    .uses_dynamic_stack: false
    .vgpr_count:     0
    .vgpr_spill_count: 0
    .wavefront_size: 64
  - .agpr_count:     0
    .args:
      - .offset:         0
        .size:           72
        .value_kind:     by_value
    .group_segment_fixed_size: 0
    .kernarg_segment_align: 8
    .kernarg_segment_size: 72
    .language:       OpenCL C
    .language_version:
      - 2
      - 0
    .max_flat_workgroup_size: 512
    .name:           _ZN7rocprim17ROCPRIM_400000_NS6detail17trampoline_kernelINS0_14default_configENS1_38merge_sort_block_merge_config_selectorIyNS0_10empty_typeEEEZZNS1_27merge_sort_block_merge_implIS3_N6thrust23THRUST_200600_302600_NS6detail15normal_iteratorINS9_10device_ptrIyEEEEPS5_jNS1_19radix_merge_compareILb0ELb1EyNS0_19identity_decomposerEEEEE10hipError_tT0_T1_T2_jT3_P12ihipStream_tbPNSt15iterator_traitsISK_E10value_typeEPNSQ_ISL_E10value_typeEPSM_NS1_7vsmem_tEENKUlT_SK_SL_SM_E_clIPySE_SF_SF_EESJ_SZ_SK_SL_SM_EUlSZ_E0_NS1_11comp_targetILNS1_3genE9ELNS1_11target_archE1100ELNS1_3gpuE3ELNS1_3repE0EEENS1_38merge_mergepath_config_static_selectorELNS0_4arch9wavefront6targetE1EEEvSL_
    .private_segment_fixed_size: 0
    .sgpr_count:     4
    .sgpr_spill_count: 0
    .symbol:         _ZN7rocprim17ROCPRIM_400000_NS6detail17trampoline_kernelINS0_14default_configENS1_38merge_sort_block_merge_config_selectorIyNS0_10empty_typeEEEZZNS1_27merge_sort_block_merge_implIS3_N6thrust23THRUST_200600_302600_NS6detail15normal_iteratorINS9_10device_ptrIyEEEEPS5_jNS1_19radix_merge_compareILb0ELb1EyNS0_19identity_decomposerEEEEE10hipError_tT0_T1_T2_jT3_P12ihipStream_tbPNSt15iterator_traitsISK_E10value_typeEPNSQ_ISL_E10value_typeEPSM_NS1_7vsmem_tEENKUlT_SK_SL_SM_E_clIPySE_SF_SF_EESJ_SZ_SK_SL_SM_EUlSZ_E0_NS1_11comp_targetILNS1_3genE9ELNS1_11target_archE1100ELNS1_3gpuE3ELNS1_3repE0EEENS1_38merge_mergepath_config_static_selectorELNS0_4arch9wavefront6targetE1EEEvSL_.kd
    .uniform_work_group_size: 1
    .uses_dynamic_stack: false
    .vgpr_count:     0
    .vgpr_spill_count: 0
    .wavefront_size: 64
  - .agpr_count:     0
    .args:
      - .offset:         0
        .size:           72
        .value_kind:     by_value
    .group_segment_fixed_size: 0
    .kernarg_segment_align: 8
    .kernarg_segment_size: 72
    .language:       OpenCL C
    .language_version:
      - 2
      - 0
    .max_flat_workgroup_size: 1024
    .name:           _ZN7rocprim17ROCPRIM_400000_NS6detail17trampoline_kernelINS0_14default_configENS1_38merge_sort_block_merge_config_selectorIyNS0_10empty_typeEEEZZNS1_27merge_sort_block_merge_implIS3_N6thrust23THRUST_200600_302600_NS6detail15normal_iteratorINS9_10device_ptrIyEEEEPS5_jNS1_19radix_merge_compareILb0ELb1EyNS0_19identity_decomposerEEEEE10hipError_tT0_T1_T2_jT3_P12ihipStream_tbPNSt15iterator_traitsISK_E10value_typeEPNSQ_ISL_E10value_typeEPSM_NS1_7vsmem_tEENKUlT_SK_SL_SM_E_clIPySE_SF_SF_EESJ_SZ_SK_SL_SM_EUlSZ_E0_NS1_11comp_targetILNS1_3genE8ELNS1_11target_archE1030ELNS1_3gpuE2ELNS1_3repE0EEENS1_38merge_mergepath_config_static_selectorELNS0_4arch9wavefront6targetE1EEEvSL_
    .private_segment_fixed_size: 0
    .sgpr_count:     4
    .sgpr_spill_count: 0
    .symbol:         _ZN7rocprim17ROCPRIM_400000_NS6detail17trampoline_kernelINS0_14default_configENS1_38merge_sort_block_merge_config_selectorIyNS0_10empty_typeEEEZZNS1_27merge_sort_block_merge_implIS3_N6thrust23THRUST_200600_302600_NS6detail15normal_iteratorINS9_10device_ptrIyEEEEPS5_jNS1_19radix_merge_compareILb0ELb1EyNS0_19identity_decomposerEEEEE10hipError_tT0_T1_T2_jT3_P12ihipStream_tbPNSt15iterator_traitsISK_E10value_typeEPNSQ_ISL_E10value_typeEPSM_NS1_7vsmem_tEENKUlT_SK_SL_SM_E_clIPySE_SF_SF_EESJ_SZ_SK_SL_SM_EUlSZ_E0_NS1_11comp_targetILNS1_3genE8ELNS1_11target_archE1030ELNS1_3gpuE2ELNS1_3repE0EEENS1_38merge_mergepath_config_static_selectorELNS0_4arch9wavefront6targetE1EEEvSL_.kd
    .uniform_work_group_size: 1
    .uses_dynamic_stack: false
    .vgpr_count:     0
    .vgpr_spill_count: 0
    .wavefront_size: 64
  - .agpr_count:     0
    .args:
      - .offset:         0
        .size:           48
        .value_kind:     by_value
    .group_segment_fixed_size: 0
    .kernarg_segment_align: 8
    .kernarg_segment_size: 48
    .language:       OpenCL C
    .language_version:
      - 2
      - 0
    .max_flat_workgroup_size: 256
    .name:           _ZN7rocprim17ROCPRIM_400000_NS6detail17trampoline_kernelINS0_14default_configENS1_38merge_sort_block_merge_config_selectorIyNS0_10empty_typeEEEZZNS1_27merge_sort_block_merge_implIS3_N6thrust23THRUST_200600_302600_NS6detail15normal_iteratorINS9_10device_ptrIyEEEEPS5_jNS1_19radix_merge_compareILb0ELb1EyNS0_19identity_decomposerEEEEE10hipError_tT0_T1_T2_jT3_P12ihipStream_tbPNSt15iterator_traitsISK_E10value_typeEPNSQ_ISL_E10value_typeEPSM_NS1_7vsmem_tEENKUlT_SK_SL_SM_E_clIPySE_SF_SF_EESJ_SZ_SK_SL_SM_EUlSZ_E1_NS1_11comp_targetILNS1_3genE0ELNS1_11target_archE4294967295ELNS1_3gpuE0ELNS1_3repE0EEENS1_36merge_oddeven_config_static_selectorELNS0_4arch9wavefront6targetE1EEEvSL_
    .private_segment_fixed_size: 0
    .sgpr_count:     4
    .sgpr_spill_count: 0
    .symbol:         _ZN7rocprim17ROCPRIM_400000_NS6detail17trampoline_kernelINS0_14default_configENS1_38merge_sort_block_merge_config_selectorIyNS0_10empty_typeEEEZZNS1_27merge_sort_block_merge_implIS3_N6thrust23THRUST_200600_302600_NS6detail15normal_iteratorINS9_10device_ptrIyEEEEPS5_jNS1_19radix_merge_compareILb0ELb1EyNS0_19identity_decomposerEEEEE10hipError_tT0_T1_T2_jT3_P12ihipStream_tbPNSt15iterator_traitsISK_E10value_typeEPNSQ_ISL_E10value_typeEPSM_NS1_7vsmem_tEENKUlT_SK_SL_SM_E_clIPySE_SF_SF_EESJ_SZ_SK_SL_SM_EUlSZ_E1_NS1_11comp_targetILNS1_3genE0ELNS1_11target_archE4294967295ELNS1_3gpuE0ELNS1_3repE0EEENS1_36merge_oddeven_config_static_selectorELNS0_4arch9wavefront6targetE1EEEvSL_.kd
    .uniform_work_group_size: 1
    .uses_dynamic_stack: false
    .vgpr_count:     0
    .vgpr_spill_count: 0
    .wavefront_size: 64
  - .agpr_count:     0
    .args:
      - .offset:         0
        .size:           48
        .value_kind:     by_value
    .group_segment_fixed_size: 0
    .kernarg_segment_align: 8
    .kernarg_segment_size: 48
    .language:       OpenCL C
    .language_version:
      - 2
      - 0
    .max_flat_workgroup_size: 256
    .name:           _ZN7rocprim17ROCPRIM_400000_NS6detail17trampoline_kernelINS0_14default_configENS1_38merge_sort_block_merge_config_selectorIyNS0_10empty_typeEEEZZNS1_27merge_sort_block_merge_implIS3_N6thrust23THRUST_200600_302600_NS6detail15normal_iteratorINS9_10device_ptrIyEEEEPS5_jNS1_19radix_merge_compareILb0ELb1EyNS0_19identity_decomposerEEEEE10hipError_tT0_T1_T2_jT3_P12ihipStream_tbPNSt15iterator_traitsISK_E10value_typeEPNSQ_ISL_E10value_typeEPSM_NS1_7vsmem_tEENKUlT_SK_SL_SM_E_clIPySE_SF_SF_EESJ_SZ_SK_SL_SM_EUlSZ_E1_NS1_11comp_targetILNS1_3genE10ELNS1_11target_archE1201ELNS1_3gpuE5ELNS1_3repE0EEENS1_36merge_oddeven_config_static_selectorELNS0_4arch9wavefront6targetE1EEEvSL_
    .private_segment_fixed_size: 0
    .sgpr_count:     4
    .sgpr_spill_count: 0
    .symbol:         _ZN7rocprim17ROCPRIM_400000_NS6detail17trampoline_kernelINS0_14default_configENS1_38merge_sort_block_merge_config_selectorIyNS0_10empty_typeEEEZZNS1_27merge_sort_block_merge_implIS3_N6thrust23THRUST_200600_302600_NS6detail15normal_iteratorINS9_10device_ptrIyEEEEPS5_jNS1_19radix_merge_compareILb0ELb1EyNS0_19identity_decomposerEEEEE10hipError_tT0_T1_T2_jT3_P12ihipStream_tbPNSt15iterator_traitsISK_E10value_typeEPNSQ_ISL_E10value_typeEPSM_NS1_7vsmem_tEENKUlT_SK_SL_SM_E_clIPySE_SF_SF_EESJ_SZ_SK_SL_SM_EUlSZ_E1_NS1_11comp_targetILNS1_3genE10ELNS1_11target_archE1201ELNS1_3gpuE5ELNS1_3repE0EEENS1_36merge_oddeven_config_static_selectorELNS0_4arch9wavefront6targetE1EEEvSL_.kd
    .uniform_work_group_size: 1
    .uses_dynamic_stack: false
    .vgpr_count:     0
    .vgpr_spill_count: 0
    .wavefront_size: 64
  - .agpr_count:     0
    .args:
      - .offset:         0
        .size:           48
        .value_kind:     by_value
    .group_segment_fixed_size: 0
    .kernarg_segment_align: 8
    .kernarg_segment_size: 48
    .language:       OpenCL C
    .language_version:
      - 2
      - 0
    .max_flat_workgroup_size: 256
    .name:           _ZN7rocprim17ROCPRIM_400000_NS6detail17trampoline_kernelINS0_14default_configENS1_38merge_sort_block_merge_config_selectorIyNS0_10empty_typeEEEZZNS1_27merge_sort_block_merge_implIS3_N6thrust23THRUST_200600_302600_NS6detail15normal_iteratorINS9_10device_ptrIyEEEEPS5_jNS1_19radix_merge_compareILb0ELb1EyNS0_19identity_decomposerEEEEE10hipError_tT0_T1_T2_jT3_P12ihipStream_tbPNSt15iterator_traitsISK_E10value_typeEPNSQ_ISL_E10value_typeEPSM_NS1_7vsmem_tEENKUlT_SK_SL_SM_E_clIPySE_SF_SF_EESJ_SZ_SK_SL_SM_EUlSZ_E1_NS1_11comp_targetILNS1_3genE5ELNS1_11target_archE942ELNS1_3gpuE9ELNS1_3repE0EEENS1_36merge_oddeven_config_static_selectorELNS0_4arch9wavefront6targetE1EEEvSL_
    .private_segment_fixed_size: 0
    .sgpr_count:     4
    .sgpr_spill_count: 0
    .symbol:         _ZN7rocprim17ROCPRIM_400000_NS6detail17trampoline_kernelINS0_14default_configENS1_38merge_sort_block_merge_config_selectorIyNS0_10empty_typeEEEZZNS1_27merge_sort_block_merge_implIS3_N6thrust23THRUST_200600_302600_NS6detail15normal_iteratorINS9_10device_ptrIyEEEEPS5_jNS1_19radix_merge_compareILb0ELb1EyNS0_19identity_decomposerEEEEE10hipError_tT0_T1_T2_jT3_P12ihipStream_tbPNSt15iterator_traitsISK_E10value_typeEPNSQ_ISL_E10value_typeEPSM_NS1_7vsmem_tEENKUlT_SK_SL_SM_E_clIPySE_SF_SF_EESJ_SZ_SK_SL_SM_EUlSZ_E1_NS1_11comp_targetILNS1_3genE5ELNS1_11target_archE942ELNS1_3gpuE9ELNS1_3repE0EEENS1_36merge_oddeven_config_static_selectorELNS0_4arch9wavefront6targetE1EEEvSL_.kd
    .uniform_work_group_size: 1
    .uses_dynamic_stack: false
    .vgpr_count:     0
    .vgpr_spill_count: 0
    .wavefront_size: 64
  - .agpr_count:     0
    .args:
      - .offset:         0
        .size:           48
        .value_kind:     by_value
    .group_segment_fixed_size: 0
    .kernarg_segment_align: 8
    .kernarg_segment_size: 48
    .language:       OpenCL C
    .language_version:
      - 2
      - 0
    .max_flat_workgroup_size: 256
    .name:           _ZN7rocprim17ROCPRIM_400000_NS6detail17trampoline_kernelINS0_14default_configENS1_38merge_sort_block_merge_config_selectorIyNS0_10empty_typeEEEZZNS1_27merge_sort_block_merge_implIS3_N6thrust23THRUST_200600_302600_NS6detail15normal_iteratorINS9_10device_ptrIyEEEEPS5_jNS1_19radix_merge_compareILb0ELb1EyNS0_19identity_decomposerEEEEE10hipError_tT0_T1_T2_jT3_P12ihipStream_tbPNSt15iterator_traitsISK_E10value_typeEPNSQ_ISL_E10value_typeEPSM_NS1_7vsmem_tEENKUlT_SK_SL_SM_E_clIPySE_SF_SF_EESJ_SZ_SK_SL_SM_EUlSZ_E1_NS1_11comp_targetILNS1_3genE4ELNS1_11target_archE910ELNS1_3gpuE8ELNS1_3repE0EEENS1_36merge_oddeven_config_static_selectorELNS0_4arch9wavefront6targetE1EEEvSL_
    .private_segment_fixed_size: 0
    .sgpr_count:     25
    .sgpr_spill_count: 0
    .symbol:         _ZN7rocprim17ROCPRIM_400000_NS6detail17trampoline_kernelINS0_14default_configENS1_38merge_sort_block_merge_config_selectorIyNS0_10empty_typeEEEZZNS1_27merge_sort_block_merge_implIS3_N6thrust23THRUST_200600_302600_NS6detail15normal_iteratorINS9_10device_ptrIyEEEEPS5_jNS1_19radix_merge_compareILb0ELb1EyNS0_19identity_decomposerEEEEE10hipError_tT0_T1_T2_jT3_P12ihipStream_tbPNSt15iterator_traitsISK_E10value_typeEPNSQ_ISL_E10value_typeEPSM_NS1_7vsmem_tEENKUlT_SK_SL_SM_E_clIPySE_SF_SF_EESJ_SZ_SK_SL_SM_EUlSZ_E1_NS1_11comp_targetILNS1_3genE4ELNS1_11target_archE910ELNS1_3gpuE8ELNS1_3repE0EEENS1_36merge_oddeven_config_static_selectorELNS0_4arch9wavefront6targetE1EEEvSL_.kd
    .uniform_work_group_size: 1
    .uses_dynamic_stack: false
    .vgpr_count:     14
    .vgpr_spill_count: 0
    .wavefront_size: 64
  - .agpr_count:     0
    .args:
      - .offset:         0
        .size:           48
        .value_kind:     by_value
    .group_segment_fixed_size: 0
    .kernarg_segment_align: 8
    .kernarg_segment_size: 48
    .language:       OpenCL C
    .language_version:
      - 2
      - 0
    .max_flat_workgroup_size: 256
    .name:           _ZN7rocprim17ROCPRIM_400000_NS6detail17trampoline_kernelINS0_14default_configENS1_38merge_sort_block_merge_config_selectorIyNS0_10empty_typeEEEZZNS1_27merge_sort_block_merge_implIS3_N6thrust23THRUST_200600_302600_NS6detail15normal_iteratorINS9_10device_ptrIyEEEEPS5_jNS1_19radix_merge_compareILb0ELb1EyNS0_19identity_decomposerEEEEE10hipError_tT0_T1_T2_jT3_P12ihipStream_tbPNSt15iterator_traitsISK_E10value_typeEPNSQ_ISL_E10value_typeEPSM_NS1_7vsmem_tEENKUlT_SK_SL_SM_E_clIPySE_SF_SF_EESJ_SZ_SK_SL_SM_EUlSZ_E1_NS1_11comp_targetILNS1_3genE3ELNS1_11target_archE908ELNS1_3gpuE7ELNS1_3repE0EEENS1_36merge_oddeven_config_static_selectorELNS0_4arch9wavefront6targetE1EEEvSL_
    .private_segment_fixed_size: 0
    .sgpr_count:     4
    .sgpr_spill_count: 0
    .symbol:         _ZN7rocprim17ROCPRIM_400000_NS6detail17trampoline_kernelINS0_14default_configENS1_38merge_sort_block_merge_config_selectorIyNS0_10empty_typeEEEZZNS1_27merge_sort_block_merge_implIS3_N6thrust23THRUST_200600_302600_NS6detail15normal_iteratorINS9_10device_ptrIyEEEEPS5_jNS1_19radix_merge_compareILb0ELb1EyNS0_19identity_decomposerEEEEE10hipError_tT0_T1_T2_jT3_P12ihipStream_tbPNSt15iterator_traitsISK_E10value_typeEPNSQ_ISL_E10value_typeEPSM_NS1_7vsmem_tEENKUlT_SK_SL_SM_E_clIPySE_SF_SF_EESJ_SZ_SK_SL_SM_EUlSZ_E1_NS1_11comp_targetILNS1_3genE3ELNS1_11target_archE908ELNS1_3gpuE7ELNS1_3repE0EEENS1_36merge_oddeven_config_static_selectorELNS0_4arch9wavefront6targetE1EEEvSL_.kd
    .uniform_work_group_size: 1
    .uses_dynamic_stack: false
    .vgpr_count:     0
    .vgpr_spill_count: 0
    .wavefront_size: 64
  - .agpr_count:     0
    .args:
      - .offset:         0
        .size:           48
        .value_kind:     by_value
    .group_segment_fixed_size: 0
    .kernarg_segment_align: 8
    .kernarg_segment_size: 48
    .language:       OpenCL C
    .language_version:
      - 2
      - 0
    .max_flat_workgroup_size: 256
    .name:           _ZN7rocprim17ROCPRIM_400000_NS6detail17trampoline_kernelINS0_14default_configENS1_38merge_sort_block_merge_config_selectorIyNS0_10empty_typeEEEZZNS1_27merge_sort_block_merge_implIS3_N6thrust23THRUST_200600_302600_NS6detail15normal_iteratorINS9_10device_ptrIyEEEEPS5_jNS1_19radix_merge_compareILb0ELb1EyNS0_19identity_decomposerEEEEE10hipError_tT0_T1_T2_jT3_P12ihipStream_tbPNSt15iterator_traitsISK_E10value_typeEPNSQ_ISL_E10value_typeEPSM_NS1_7vsmem_tEENKUlT_SK_SL_SM_E_clIPySE_SF_SF_EESJ_SZ_SK_SL_SM_EUlSZ_E1_NS1_11comp_targetILNS1_3genE2ELNS1_11target_archE906ELNS1_3gpuE6ELNS1_3repE0EEENS1_36merge_oddeven_config_static_selectorELNS0_4arch9wavefront6targetE1EEEvSL_
    .private_segment_fixed_size: 0
    .sgpr_count:     4
    .sgpr_spill_count: 0
    .symbol:         _ZN7rocprim17ROCPRIM_400000_NS6detail17trampoline_kernelINS0_14default_configENS1_38merge_sort_block_merge_config_selectorIyNS0_10empty_typeEEEZZNS1_27merge_sort_block_merge_implIS3_N6thrust23THRUST_200600_302600_NS6detail15normal_iteratorINS9_10device_ptrIyEEEEPS5_jNS1_19radix_merge_compareILb0ELb1EyNS0_19identity_decomposerEEEEE10hipError_tT0_T1_T2_jT3_P12ihipStream_tbPNSt15iterator_traitsISK_E10value_typeEPNSQ_ISL_E10value_typeEPSM_NS1_7vsmem_tEENKUlT_SK_SL_SM_E_clIPySE_SF_SF_EESJ_SZ_SK_SL_SM_EUlSZ_E1_NS1_11comp_targetILNS1_3genE2ELNS1_11target_archE906ELNS1_3gpuE6ELNS1_3repE0EEENS1_36merge_oddeven_config_static_selectorELNS0_4arch9wavefront6targetE1EEEvSL_.kd
    .uniform_work_group_size: 1
    .uses_dynamic_stack: false
    .vgpr_count:     0
    .vgpr_spill_count: 0
    .wavefront_size: 64
  - .agpr_count:     0
    .args:
      - .offset:         0
        .size:           48
        .value_kind:     by_value
    .group_segment_fixed_size: 0
    .kernarg_segment_align: 8
    .kernarg_segment_size: 48
    .language:       OpenCL C
    .language_version:
      - 2
      - 0
    .max_flat_workgroup_size: 256
    .name:           _ZN7rocprim17ROCPRIM_400000_NS6detail17trampoline_kernelINS0_14default_configENS1_38merge_sort_block_merge_config_selectorIyNS0_10empty_typeEEEZZNS1_27merge_sort_block_merge_implIS3_N6thrust23THRUST_200600_302600_NS6detail15normal_iteratorINS9_10device_ptrIyEEEEPS5_jNS1_19radix_merge_compareILb0ELb1EyNS0_19identity_decomposerEEEEE10hipError_tT0_T1_T2_jT3_P12ihipStream_tbPNSt15iterator_traitsISK_E10value_typeEPNSQ_ISL_E10value_typeEPSM_NS1_7vsmem_tEENKUlT_SK_SL_SM_E_clIPySE_SF_SF_EESJ_SZ_SK_SL_SM_EUlSZ_E1_NS1_11comp_targetILNS1_3genE9ELNS1_11target_archE1100ELNS1_3gpuE3ELNS1_3repE0EEENS1_36merge_oddeven_config_static_selectorELNS0_4arch9wavefront6targetE1EEEvSL_
    .private_segment_fixed_size: 0
    .sgpr_count:     4
    .sgpr_spill_count: 0
    .symbol:         _ZN7rocprim17ROCPRIM_400000_NS6detail17trampoline_kernelINS0_14default_configENS1_38merge_sort_block_merge_config_selectorIyNS0_10empty_typeEEEZZNS1_27merge_sort_block_merge_implIS3_N6thrust23THRUST_200600_302600_NS6detail15normal_iteratorINS9_10device_ptrIyEEEEPS5_jNS1_19radix_merge_compareILb0ELb1EyNS0_19identity_decomposerEEEEE10hipError_tT0_T1_T2_jT3_P12ihipStream_tbPNSt15iterator_traitsISK_E10value_typeEPNSQ_ISL_E10value_typeEPSM_NS1_7vsmem_tEENKUlT_SK_SL_SM_E_clIPySE_SF_SF_EESJ_SZ_SK_SL_SM_EUlSZ_E1_NS1_11comp_targetILNS1_3genE9ELNS1_11target_archE1100ELNS1_3gpuE3ELNS1_3repE0EEENS1_36merge_oddeven_config_static_selectorELNS0_4arch9wavefront6targetE1EEEvSL_.kd
    .uniform_work_group_size: 1
    .uses_dynamic_stack: false
    .vgpr_count:     0
    .vgpr_spill_count: 0
    .wavefront_size: 64
  - .agpr_count:     0
    .args:
      - .offset:         0
        .size:           48
        .value_kind:     by_value
    .group_segment_fixed_size: 0
    .kernarg_segment_align: 8
    .kernarg_segment_size: 48
    .language:       OpenCL C
    .language_version:
      - 2
      - 0
    .max_flat_workgroup_size: 256
    .name:           _ZN7rocprim17ROCPRIM_400000_NS6detail17trampoline_kernelINS0_14default_configENS1_38merge_sort_block_merge_config_selectorIyNS0_10empty_typeEEEZZNS1_27merge_sort_block_merge_implIS3_N6thrust23THRUST_200600_302600_NS6detail15normal_iteratorINS9_10device_ptrIyEEEEPS5_jNS1_19radix_merge_compareILb0ELb1EyNS0_19identity_decomposerEEEEE10hipError_tT0_T1_T2_jT3_P12ihipStream_tbPNSt15iterator_traitsISK_E10value_typeEPNSQ_ISL_E10value_typeEPSM_NS1_7vsmem_tEENKUlT_SK_SL_SM_E_clIPySE_SF_SF_EESJ_SZ_SK_SL_SM_EUlSZ_E1_NS1_11comp_targetILNS1_3genE8ELNS1_11target_archE1030ELNS1_3gpuE2ELNS1_3repE0EEENS1_36merge_oddeven_config_static_selectorELNS0_4arch9wavefront6targetE1EEEvSL_
    .private_segment_fixed_size: 0
    .sgpr_count:     4
    .sgpr_spill_count: 0
    .symbol:         _ZN7rocprim17ROCPRIM_400000_NS6detail17trampoline_kernelINS0_14default_configENS1_38merge_sort_block_merge_config_selectorIyNS0_10empty_typeEEEZZNS1_27merge_sort_block_merge_implIS3_N6thrust23THRUST_200600_302600_NS6detail15normal_iteratorINS9_10device_ptrIyEEEEPS5_jNS1_19radix_merge_compareILb0ELb1EyNS0_19identity_decomposerEEEEE10hipError_tT0_T1_T2_jT3_P12ihipStream_tbPNSt15iterator_traitsISK_E10value_typeEPNSQ_ISL_E10value_typeEPSM_NS1_7vsmem_tEENKUlT_SK_SL_SM_E_clIPySE_SF_SF_EESJ_SZ_SK_SL_SM_EUlSZ_E1_NS1_11comp_targetILNS1_3genE8ELNS1_11target_archE1030ELNS1_3gpuE2ELNS1_3repE0EEENS1_36merge_oddeven_config_static_selectorELNS0_4arch9wavefront6targetE1EEEvSL_.kd
    .uniform_work_group_size: 1
    .uses_dynamic_stack: false
    .vgpr_count:     0
    .vgpr_spill_count: 0
    .wavefront_size: 64
  - .agpr_count:     0
    .args:
      - .offset:         0
        .size:           40
        .value_kind:     by_value
    .group_segment_fixed_size: 0
    .kernarg_segment_align: 8
    .kernarg_segment_size: 40
    .language:       OpenCL C
    .language_version:
      - 2
      - 0
    .max_flat_workgroup_size: 128
    .name:           _ZN7rocprim17ROCPRIM_400000_NS6detail17trampoline_kernelINS0_14default_configENS1_38merge_sort_block_merge_config_selectorIyNS0_10empty_typeEEEZZNS1_27merge_sort_block_merge_implIS3_N6thrust23THRUST_200600_302600_NS6detail15normal_iteratorINS9_10device_ptrIyEEEEPS5_jNS1_19radix_merge_compareILb0ELb1EyNS0_19identity_decomposerEEEEE10hipError_tT0_T1_T2_jT3_P12ihipStream_tbPNSt15iterator_traitsISK_E10value_typeEPNSQ_ISL_E10value_typeEPSM_NS1_7vsmem_tEENKUlT_SK_SL_SM_E_clISE_PySF_SF_EESJ_SZ_SK_SL_SM_EUlSZ_E_NS1_11comp_targetILNS1_3genE0ELNS1_11target_archE4294967295ELNS1_3gpuE0ELNS1_3repE0EEENS1_48merge_mergepath_partition_config_static_selectorELNS0_4arch9wavefront6targetE1EEEvSL_
    .private_segment_fixed_size: 0
    .sgpr_count:     4
    .sgpr_spill_count: 0
    .symbol:         _ZN7rocprim17ROCPRIM_400000_NS6detail17trampoline_kernelINS0_14default_configENS1_38merge_sort_block_merge_config_selectorIyNS0_10empty_typeEEEZZNS1_27merge_sort_block_merge_implIS3_N6thrust23THRUST_200600_302600_NS6detail15normal_iteratorINS9_10device_ptrIyEEEEPS5_jNS1_19radix_merge_compareILb0ELb1EyNS0_19identity_decomposerEEEEE10hipError_tT0_T1_T2_jT3_P12ihipStream_tbPNSt15iterator_traitsISK_E10value_typeEPNSQ_ISL_E10value_typeEPSM_NS1_7vsmem_tEENKUlT_SK_SL_SM_E_clISE_PySF_SF_EESJ_SZ_SK_SL_SM_EUlSZ_E_NS1_11comp_targetILNS1_3genE0ELNS1_11target_archE4294967295ELNS1_3gpuE0ELNS1_3repE0EEENS1_48merge_mergepath_partition_config_static_selectorELNS0_4arch9wavefront6targetE1EEEvSL_.kd
    .uniform_work_group_size: 1
    .uses_dynamic_stack: false
    .vgpr_count:     0
    .vgpr_spill_count: 0
    .wavefront_size: 64
  - .agpr_count:     0
    .args:
      - .offset:         0
        .size:           40
        .value_kind:     by_value
    .group_segment_fixed_size: 0
    .kernarg_segment_align: 8
    .kernarg_segment_size: 40
    .language:       OpenCL C
    .language_version:
      - 2
      - 0
    .max_flat_workgroup_size: 128
    .name:           _ZN7rocprim17ROCPRIM_400000_NS6detail17trampoline_kernelINS0_14default_configENS1_38merge_sort_block_merge_config_selectorIyNS0_10empty_typeEEEZZNS1_27merge_sort_block_merge_implIS3_N6thrust23THRUST_200600_302600_NS6detail15normal_iteratorINS9_10device_ptrIyEEEEPS5_jNS1_19radix_merge_compareILb0ELb1EyNS0_19identity_decomposerEEEEE10hipError_tT0_T1_T2_jT3_P12ihipStream_tbPNSt15iterator_traitsISK_E10value_typeEPNSQ_ISL_E10value_typeEPSM_NS1_7vsmem_tEENKUlT_SK_SL_SM_E_clISE_PySF_SF_EESJ_SZ_SK_SL_SM_EUlSZ_E_NS1_11comp_targetILNS1_3genE10ELNS1_11target_archE1201ELNS1_3gpuE5ELNS1_3repE0EEENS1_48merge_mergepath_partition_config_static_selectorELNS0_4arch9wavefront6targetE1EEEvSL_
    .private_segment_fixed_size: 0
    .sgpr_count:     4
    .sgpr_spill_count: 0
    .symbol:         _ZN7rocprim17ROCPRIM_400000_NS6detail17trampoline_kernelINS0_14default_configENS1_38merge_sort_block_merge_config_selectorIyNS0_10empty_typeEEEZZNS1_27merge_sort_block_merge_implIS3_N6thrust23THRUST_200600_302600_NS6detail15normal_iteratorINS9_10device_ptrIyEEEEPS5_jNS1_19radix_merge_compareILb0ELb1EyNS0_19identity_decomposerEEEEE10hipError_tT0_T1_T2_jT3_P12ihipStream_tbPNSt15iterator_traitsISK_E10value_typeEPNSQ_ISL_E10value_typeEPSM_NS1_7vsmem_tEENKUlT_SK_SL_SM_E_clISE_PySF_SF_EESJ_SZ_SK_SL_SM_EUlSZ_E_NS1_11comp_targetILNS1_3genE10ELNS1_11target_archE1201ELNS1_3gpuE5ELNS1_3repE0EEENS1_48merge_mergepath_partition_config_static_selectorELNS0_4arch9wavefront6targetE1EEEvSL_.kd
    .uniform_work_group_size: 1
    .uses_dynamic_stack: false
    .vgpr_count:     0
    .vgpr_spill_count: 0
    .wavefront_size: 64
  - .agpr_count:     0
    .args:
      - .offset:         0
        .size:           40
        .value_kind:     by_value
    .group_segment_fixed_size: 0
    .kernarg_segment_align: 8
    .kernarg_segment_size: 40
    .language:       OpenCL C
    .language_version:
      - 2
      - 0
    .max_flat_workgroup_size: 128
    .name:           _ZN7rocprim17ROCPRIM_400000_NS6detail17trampoline_kernelINS0_14default_configENS1_38merge_sort_block_merge_config_selectorIyNS0_10empty_typeEEEZZNS1_27merge_sort_block_merge_implIS3_N6thrust23THRUST_200600_302600_NS6detail15normal_iteratorINS9_10device_ptrIyEEEEPS5_jNS1_19radix_merge_compareILb0ELb1EyNS0_19identity_decomposerEEEEE10hipError_tT0_T1_T2_jT3_P12ihipStream_tbPNSt15iterator_traitsISK_E10value_typeEPNSQ_ISL_E10value_typeEPSM_NS1_7vsmem_tEENKUlT_SK_SL_SM_E_clISE_PySF_SF_EESJ_SZ_SK_SL_SM_EUlSZ_E_NS1_11comp_targetILNS1_3genE5ELNS1_11target_archE942ELNS1_3gpuE9ELNS1_3repE0EEENS1_48merge_mergepath_partition_config_static_selectorELNS0_4arch9wavefront6targetE1EEEvSL_
    .private_segment_fixed_size: 0
    .sgpr_count:     4
    .sgpr_spill_count: 0
    .symbol:         _ZN7rocprim17ROCPRIM_400000_NS6detail17trampoline_kernelINS0_14default_configENS1_38merge_sort_block_merge_config_selectorIyNS0_10empty_typeEEEZZNS1_27merge_sort_block_merge_implIS3_N6thrust23THRUST_200600_302600_NS6detail15normal_iteratorINS9_10device_ptrIyEEEEPS5_jNS1_19radix_merge_compareILb0ELb1EyNS0_19identity_decomposerEEEEE10hipError_tT0_T1_T2_jT3_P12ihipStream_tbPNSt15iterator_traitsISK_E10value_typeEPNSQ_ISL_E10value_typeEPSM_NS1_7vsmem_tEENKUlT_SK_SL_SM_E_clISE_PySF_SF_EESJ_SZ_SK_SL_SM_EUlSZ_E_NS1_11comp_targetILNS1_3genE5ELNS1_11target_archE942ELNS1_3gpuE9ELNS1_3repE0EEENS1_48merge_mergepath_partition_config_static_selectorELNS0_4arch9wavefront6targetE1EEEvSL_.kd
    .uniform_work_group_size: 1
    .uses_dynamic_stack: false
    .vgpr_count:     0
    .vgpr_spill_count: 0
    .wavefront_size: 64
  - .agpr_count:     0
    .args:
      - .offset:         0
        .size:           40
        .value_kind:     by_value
    .group_segment_fixed_size: 0
    .kernarg_segment_align: 8
    .kernarg_segment_size: 40
    .language:       OpenCL C
    .language_version:
      - 2
      - 0
    .max_flat_workgroup_size: 128
    .name:           _ZN7rocprim17ROCPRIM_400000_NS6detail17trampoline_kernelINS0_14default_configENS1_38merge_sort_block_merge_config_selectorIyNS0_10empty_typeEEEZZNS1_27merge_sort_block_merge_implIS3_N6thrust23THRUST_200600_302600_NS6detail15normal_iteratorINS9_10device_ptrIyEEEEPS5_jNS1_19radix_merge_compareILb0ELb1EyNS0_19identity_decomposerEEEEE10hipError_tT0_T1_T2_jT3_P12ihipStream_tbPNSt15iterator_traitsISK_E10value_typeEPNSQ_ISL_E10value_typeEPSM_NS1_7vsmem_tEENKUlT_SK_SL_SM_E_clISE_PySF_SF_EESJ_SZ_SK_SL_SM_EUlSZ_E_NS1_11comp_targetILNS1_3genE4ELNS1_11target_archE910ELNS1_3gpuE8ELNS1_3repE0EEENS1_48merge_mergepath_partition_config_static_selectorELNS0_4arch9wavefront6targetE1EEEvSL_
    .private_segment_fixed_size: 0
    .sgpr_count:     14
    .sgpr_spill_count: 0
    .symbol:         _ZN7rocprim17ROCPRIM_400000_NS6detail17trampoline_kernelINS0_14default_configENS1_38merge_sort_block_merge_config_selectorIyNS0_10empty_typeEEEZZNS1_27merge_sort_block_merge_implIS3_N6thrust23THRUST_200600_302600_NS6detail15normal_iteratorINS9_10device_ptrIyEEEEPS5_jNS1_19radix_merge_compareILb0ELb1EyNS0_19identity_decomposerEEEEE10hipError_tT0_T1_T2_jT3_P12ihipStream_tbPNSt15iterator_traitsISK_E10value_typeEPNSQ_ISL_E10value_typeEPSM_NS1_7vsmem_tEENKUlT_SK_SL_SM_E_clISE_PySF_SF_EESJ_SZ_SK_SL_SM_EUlSZ_E_NS1_11comp_targetILNS1_3genE4ELNS1_11target_archE910ELNS1_3gpuE8ELNS1_3repE0EEENS1_48merge_mergepath_partition_config_static_selectorELNS0_4arch9wavefront6targetE1EEEvSL_.kd
    .uniform_work_group_size: 1
    .uses_dynamic_stack: false
    .vgpr_count:     16
    .vgpr_spill_count: 0
    .wavefront_size: 64
  - .agpr_count:     0
    .args:
      - .offset:         0
        .size:           40
        .value_kind:     by_value
    .group_segment_fixed_size: 0
    .kernarg_segment_align: 8
    .kernarg_segment_size: 40
    .language:       OpenCL C
    .language_version:
      - 2
      - 0
    .max_flat_workgroup_size: 128
    .name:           _ZN7rocprim17ROCPRIM_400000_NS6detail17trampoline_kernelINS0_14default_configENS1_38merge_sort_block_merge_config_selectorIyNS0_10empty_typeEEEZZNS1_27merge_sort_block_merge_implIS3_N6thrust23THRUST_200600_302600_NS6detail15normal_iteratorINS9_10device_ptrIyEEEEPS5_jNS1_19radix_merge_compareILb0ELb1EyNS0_19identity_decomposerEEEEE10hipError_tT0_T1_T2_jT3_P12ihipStream_tbPNSt15iterator_traitsISK_E10value_typeEPNSQ_ISL_E10value_typeEPSM_NS1_7vsmem_tEENKUlT_SK_SL_SM_E_clISE_PySF_SF_EESJ_SZ_SK_SL_SM_EUlSZ_E_NS1_11comp_targetILNS1_3genE3ELNS1_11target_archE908ELNS1_3gpuE7ELNS1_3repE0EEENS1_48merge_mergepath_partition_config_static_selectorELNS0_4arch9wavefront6targetE1EEEvSL_
    .private_segment_fixed_size: 0
    .sgpr_count:     4
    .sgpr_spill_count: 0
    .symbol:         _ZN7rocprim17ROCPRIM_400000_NS6detail17trampoline_kernelINS0_14default_configENS1_38merge_sort_block_merge_config_selectorIyNS0_10empty_typeEEEZZNS1_27merge_sort_block_merge_implIS3_N6thrust23THRUST_200600_302600_NS6detail15normal_iteratorINS9_10device_ptrIyEEEEPS5_jNS1_19radix_merge_compareILb0ELb1EyNS0_19identity_decomposerEEEEE10hipError_tT0_T1_T2_jT3_P12ihipStream_tbPNSt15iterator_traitsISK_E10value_typeEPNSQ_ISL_E10value_typeEPSM_NS1_7vsmem_tEENKUlT_SK_SL_SM_E_clISE_PySF_SF_EESJ_SZ_SK_SL_SM_EUlSZ_E_NS1_11comp_targetILNS1_3genE3ELNS1_11target_archE908ELNS1_3gpuE7ELNS1_3repE0EEENS1_48merge_mergepath_partition_config_static_selectorELNS0_4arch9wavefront6targetE1EEEvSL_.kd
    .uniform_work_group_size: 1
    .uses_dynamic_stack: false
    .vgpr_count:     0
    .vgpr_spill_count: 0
    .wavefront_size: 64
  - .agpr_count:     0
    .args:
      - .offset:         0
        .size:           40
        .value_kind:     by_value
    .group_segment_fixed_size: 0
    .kernarg_segment_align: 8
    .kernarg_segment_size: 40
    .language:       OpenCL C
    .language_version:
      - 2
      - 0
    .max_flat_workgroup_size: 128
    .name:           _ZN7rocprim17ROCPRIM_400000_NS6detail17trampoline_kernelINS0_14default_configENS1_38merge_sort_block_merge_config_selectorIyNS0_10empty_typeEEEZZNS1_27merge_sort_block_merge_implIS3_N6thrust23THRUST_200600_302600_NS6detail15normal_iteratorINS9_10device_ptrIyEEEEPS5_jNS1_19radix_merge_compareILb0ELb1EyNS0_19identity_decomposerEEEEE10hipError_tT0_T1_T2_jT3_P12ihipStream_tbPNSt15iterator_traitsISK_E10value_typeEPNSQ_ISL_E10value_typeEPSM_NS1_7vsmem_tEENKUlT_SK_SL_SM_E_clISE_PySF_SF_EESJ_SZ_SK_SL_SM_EUlSZ_E_NS1_11comp_targetILNS1_3genE2ELNS1_11target_archE906ELNS1_3gpuE6ELNS1_3repE0EEENS1_48merge_mergepath_partition_config_static_selectorELNS0_4arch9wavefront6targetE1EEEvSL_
    .private_segment_fixed_size: 0
    .sgpr_count:     4
    .sgpr_spill_count: 0
    .symbol:         _ZN7rocprim17ROCPRIM_400000_NS6detail17trampoline_kernelINS0_14default_configENS1_38merge_sort_block_merge_config_selectorIyNS0_10empty_typeEEEZZNS1_27merge_sort_block_merge_implIS3_N6thrust23THRUST_200600_302600_NS6detail15normal_iteratorINS9_10device_ptrIyEEEEPS5_jNS1_19radix_merge_compareILb0ELb1EyNS0_19identity_decomposerEEEEE10hipError_tT0_T1_T2_jT3_P12ihipStream_tbPNSt15iterator_traitsISK_E10value_typeEPNSQ_ISL_E10value_typeEPSM_NS1_7vsmem_tEENKUlT_SK_SL_SM_E_clISE_PySF_SF_EESJ_SZ_SK_SL_SM_EUlSZ_E_NS1_11comp_targetILNS1_3genE2ELNS1_11target_archE906ELNS1_3gpuE6ELNS1_3repE0EEENS1_48merge_mergepath_partition_config_static_selectorELNS0_4arch9wavefront6targetE1EEEvSL_.kd
    .uniform_work_group_size: 1
    .uses_dynamic_stack: false
    .vgpr_count:     0
    .vgpr_spill_count: 0
    .wavefront_size: 64
  - .agpr_count:     0
    .args:
      - .offset:         0
        .size:           40
        .value_kind:     by_value
    .group_segment_fixed_size: 0
    .kernarg_segment_align: 8
    .kernarg_segment_size: 40
    .language:       OpenCL C
    .language_version:
      - 2
      - 0
    .max_flat_workgroup_size: 128
    .name:           _ZN7rocprim17ROCPRIM_400000_NS6detail17trampoline_kernelINS0_14default_configENS1_38merge_sort_block_merge_config_selectorIyNS0_10empty_typeEEEZZNS1_27merge_sort_block_merge_implIS3_N6thrust23THRUST_200600_302600_NS6detail15normal_iteratorINS9_10device_ptrIyEEEEPS5_jNS1_19radix_merge_compareILb0ELb1EyNS0_19identity_decomposerEEEEE10hipError_tT0_T1_T2_jT3_P12ihipStream_tbPNSt15iterator_traitsISK_E10value_typeEPNSQ_ISL_E10value_typeEPSM_NS1_7vsmem_tEENKUlT_SK_SL_SM_E_clISE_PySF_SF_EESJ_SZ_SK_SL_SM_EUlSZ_E_NS1_11comp_targetILNS1_3genE9ELNS1_11target_archE1100ELNS1_3gpuE3ELNS1_3repE0EEENS1_48merge_mergepath_partition_config_static_selectorELNS0_4arch9wavefront6targetE1EEEvSL_
    .private_segment_fixed_size: 0
    .sgpr_count:     4
    .sgpr_spill_count: 0
    .symbol:         _ZN7rocprim17ROCPRIM_400000_NS6detail17trampoline_kernelINS0_14default_configENS1_38merge_sort_block_merge_config_selectorIyNS0_10empty_typeEEEZZNS1_27merge_sort_block_merge_implIS3_N6thrust23THRUST_200600_302600_NS6detail15normal_iteratorINS9_10device_ptrIyEEEEPS5_jNS1_19radix_merge_compareILb0ELb1EyNS0_19identity_decomposerEEEEE10hipError_tT0_T1_T2_jT3_P12ihipStream_tbPNSt15iterator_traitsISK_E10value_typeEPNSQ_ISL_E10value_typeEPSM_NS1_7vsmem_tEENKUlT_SK_SL_SM_E_clISE_PySF_SF_EESJ_SZ_SK_SL_SM_EUlSZ_E_NS1_11comp_targetILNS1_3genE9ELNS1_11target_archE1100ELNS1_3gpuE3ELNS1_3repE0EEENS1_48merge_mergepath_partition_config_static_selectorELNS0_4arch9wavefront6targetE1EEEvSL_.kd
    .uniform_work_group_size: 1
    .uses_dynamic_stack: false
    .vgpr_count:     0
    .vgpr_spill_count: 0
    .wavefront_size: 64
  - .agpr_count:     0
    .args:
      - .offset:         0
        .size:           40
        .value_kind:     by_value
    .group_segment_fixed_size: 0
    .kernarg_segment_align: 8
    .kernarg_segment_size: 40
    .language:       OpenCL C
    .language_version:
      - 2
      - 0
    .max_flat_workgroup_size: 128
    .name:           _ZN7rocprim17ROCPRIM_400000_NS6detail17trampoline_kernelINS0_14default_configENS1_38merge_sort_block_merge_config_selectorIyNS0_10empty_typeEEEZZNS1_27merge_sort_block_merge_implIS3_N6thrust23THRUST_200600_302600_NS6detail15normal_iteratorINS9_10device_ptrIyEEEEPS5_jNS1_19radix_merge_compareILb0ELb1EyNS0_19identity_decomposerEEEEE10hipError_tT0_T1_T2_jT3_P12ihipStream_tbPNSt15iterator_traitsISK_E10value_typeEPNSQ_ISL_E10value_typeEPSM_NS1_7vsmem_tEENKUlT_SK_SL_SM_E_clISE_PySF_SF_EESJ_SZ_SK_SL_SM_EUlSZ_E_NS1_11comp_targetILNS1_3genE8ELNS1_11target_archE1030ELNS1_3gpuE2ELNS1_3repE0EEENS1_48merge_mergepath_partition_config_static_selectorELNS0_4arch9wavefront6targetE1EEEvSL_
    .private_segment_fixed_size: 0
    .sgpr_count:     4
    .sgpr_spill_count: 0
    .symbol:         _ZN7rocprim17ROCPRIM_400000_NS6detail17trampoline_kernelINS0_14default_configENS1_38merge_sort_block_merge_config_selectorIyNS0_10empty_typeEEEZZNS1_27merge_sort_block_merge_implIS3_N6thrust23THRUST_200600_302600_NS6detail15normal_iteratorINS9_10device_ptrIyEEEEPS5_jNS1_19radix_merge_compareILb0ELb1EyNS0_19identity_decomposerEEEEE10hipError_tT0_T1_T2_jT3_P12ihipStream_tbPNSt15iterator_traitsISK_E10value_typeEPNSQ_ISL_E10value_typeEPSM_NS1_7vsmem_tEENKUlT_SK_SL_SM_E_clISE_PySF_SF_EESJ_SZ_SK_SL_SM_EUlSZ_E_NS1_11comp_targetILNS1_3genE8ELNS1_11target_archE1030ELNS1_3gpuE2ELNS1_3repE0EEENS1_48merge_mergepath_partition_config_static_selectorELNS0_4arch9wavefront6targetE1EEEvSL_.kd
    .uniform_work_group_size: 1
    .uses_dynamic_stack: false
    .vgpr_count:     0
    .vgpr_spill_count: 0
    .wavefront_size: 64
  - .agpr_count:     0
    .args:
      - .offset:         0
        .size:           72
        .value_kind:     by_value
    .group_segment_fixed_size: 0
    .kernarg_segment_align: 8
    .kernarg_segment_size: 72
    .language:       OpenCL C
    .language_version:
      - 2
      - 0
    .max_flat_workgroup_size: 128
    .name:           _ZN7rocprim17ROCPRIM_400000_NS6detail17trampoline_kernelINS0_14default_configENS1_38merge_sort_block_merge_config_selectorIyNS0_10empty_typeEEEZZNS1_27merge_sort_block_merge_implIS3_N6thrust23THRUST_200600_302600_NS6detail15normal_iteratorINS9_10device_ptrIyEEEEPS5_jNS1_19radix_merge_compareILb0ELb1EyNS0_19identity_decomposerEEEEE10hipError_tT0_T1_T2_jT3_P12ihipStream_tbPNSt15iterator_traitsISK_E10value_typeEPNSQ_ISL_E10value_typeEPSM_NS1_7vsmem_tEENKUlT_SK_SL_SM_E_clISE_PySF_SF_EESJ_SZ_SK_SL_SM_EUlSZ_E0_NS1_11comp_targetILNS1_3genE0ELNS1_11target_archE4294967295ELNS1_3gpuE0ELNS1_3repE0EEENS1_38merge_mergepath_config_static_selectorELNS0_4arch9wavefront6targetE1EEEvSL_
    .private_segment_fixed_size: 0
    .sgpr_count:     4
    .sgpr_spill_count: 0
    .symbol:         _ZN7rocprim17ROCPRIM_400000_NS6detail17trampoline_kernelINS0_14default_configENS1_38merge_sort_block_merge_config_selectorIyNS0_10empty_typeEEEZZNS1_27merge_sort_block_merge_implIS3_N6thrust23THRUST_200600_302600_NS6detail15normal_iteratorINS9_10device_ptrIyEEEEPS5_jNS1_19radix_merge_compareILb0ELb1EyNS0_19identity_decomposerEEEEE10hipError_tT0_T1_T2_jT3_P12ihipStream_tbPNSt15iterator_traitsISK_E10value_typeEPNSQ_ISL_E10value_typeEPSM_NS1_7vsmem_tEENKUlT_SK_SL_SM_E_clISE_PySF_SF_EESJ_SZ_SK_SL_SM_EUlSZ_E0_NS1_11comp_targetILNS1_3genE0ELNS1_11target_archE4294967295ELNS1_3gpuE0ELNS1_3repE0EEENS1_38merge_mergepath_config_static_selectorELNS0_4arch9wavefront6targetE1EEEvSL_.kd
    .uniform_work_group_size: 1
    .uses_dynamic_stack: false
    .vgpr_count:     0
    .vgpr_spill_count: 0
    .wavefront_size: 64
  - .agpr_count:     0
    .args:
      - .offset:         0
        .size:           72
        .value_kind:     by_value
    .group_segment_fixed_size: 0
    .kernarg_segment_align: 8
    .kernarg_segment_size: 72
    .language:       OpenCL C
    .language_version:
      - 2
      - 0
    .max_flat_workgroup_size: 512
    .name:           _ZN7rocprim17ROCPRIM_400000_NS6detail17trampoline_kernelINS0_14default_configENS1_38merge_sort_block_merge_config_selectorIyNS0_10empty_typeEEEZZNS1_27merge_sort_block_merge_implIS3_N6thrust23THRUST_200600_302600_NS6detail15normal_iteratorINS9_10device_ptrIyEEEEPS5_jNS1_19radix_merge_compareILb0ELb1EyNS0_19identity_decomposerEEEEE10hipError_tT0_T1_T2_jT3_P12ihipStream_tbPNSt15iterator_traitsISK_E10value_typeEPNSQ_ISL_E10value_typeEPSM_NS1_7vsmem_tEENKUlT_SK_SL_SM_E_clISE_PySF_SF_EESJ_SZ_SK_SL_SM_EUlSZ_E0_NS1_11comp_targetILNS1_3genE10ELNS1_11target_archE1201ELNS1_3gpuE5ELNS1_3repE0EEENS1_38merge_mergepath_config_static_selectorELNS0_4arch9wavefront6targetE1EEEvSL_
    .private_segment_fixed_size: 0
    .sgpr_count:     4
    .sgpr_spill_count: 0
    .symbol:         _ZN7rocprim17ROCPRIM_400000_NS6detail17trampoline_kernelINS0_14default_configENS1_38merge_sort_block_merge_config_selectorIyNS0_10empty_typeEEEZZNS1_27merge_sort_block_merge_implIS3_N6thrust23THRUST_200600_302600_NS6detail15normal_iteratorINS9_10device_ptrIyEEEEPS5_jNS1_19radix_merge_compareILb0ELb1EyNS0_19identity_decomposerEEEEE10hipError_tT0_T1_T2_jT3_P12ihipStream_tbPNSt15iterator_traitsISK_E10value_typeEPNSQ_ISL_E10value_typeEPSM_NS1_7vsmem_tEENKUlT_SK_SL_SM_E_clISE_PySF_SF_EESJ_SZ_SK_SL_SM_EUlSZ_E0_NS1_11comp_targetILNS1_3genE10ELNS1_11target_archE1201ELNS1_3gpuE5ELNS1_3repE0EEENS1_38merge_mergepath_config_static_selectorELNS0_4arch9wavefront6targetE1EEEvSL_.kd
    .uniform_work_group_size: 1
    .uses_dynamic_stack: false
    .vgpr_count:     0
    .vgpr_spill_count: 0
    .wavefront_size: 64
  - .agpr_count:     0
    .args:
      - .offset:         0
        .size:           72
        .value_kind:     by_value
    .group_segment_fixed_size: 0
    .kernarg_segment_align: 8
    .kernarg_segment_size: 72
    .language:       OpenCL C
    .language_version:
      - 2
      - 0
    .max_flat_workgroup_size: 128
    .name:           _ZN7rocprim17ROCPRIM_400000_NS6detail17trampoline_kernelINS0_14default_configENS1_38merge_sort_block_merge_config_selectorIyNS0_10empty_typeEEEZZNS1_27merge_sort_block_merge_implIS3_N6thrust23THRUST_200600_302600_NS6detail15normal_iteratorINS9_10device_ptrIyEEEEPS5_jNS1_19radix_merge_compareILb0ELb1EyNS0_19identity_decomposerEEEEE10hipError_tT0_T1_T2_jT3_P12ihipStream_tbPNSt15iterator_traitsISK_E10value_typeEPNSQ_ISL_E10value_typeEPSM_NS1_7vsmem_tEENKUlT_SK_SL_SM_E_clISE_PySF_SF_EESJ_SZ_SK_SL_SM_EUlSZ_E0_NS1_11comp_targetILNS1_3genE5ELNS1_11target_archE942ELNS1_3gpuE9ELNS1_3repE0EEENS1_38merge_mergepath_config_static_selectorELNS0_4arch9wavefront6targetE1EEEvSL_
    .private_segment_fixed_size: 0
    .sgpr_count:     4
    .sgpr_spill_count: 0
    .symbol:         _ZN7rocprim17ROCPRIM_400000_NS6detail17trampoline_kernelINS0_14default_configENS1_38merge_sort_block_merge_config_selectorIyNS0_10empty_typeEEEZZNS1_27merge_sort_block_merge_implIS3_N6thrust23THRUST_200600_302600_NS6detail15normal_iteratorINS9_10device_ptrIyEEEEPS5_jNS1_19radix_merge_compareILb0ELb1EyNS0_19identity_decomposerEEEEE10hipError_tT0_T1_T2_jT3_P12ihipStream_tbPNSt15iterator_traitsISK_E10value_typeEPNSQ_ISL_E10value_typeEPSM_NS1_7vsmem_tEENKUlT_SK_SL_SM_E_clISE_PySF_SF_EESJ_SZ_SK_SL_SM_EUlSZ_E0_NS1_11comp_targetILNS1_3genE5ELNS1_11target_archE942ELNS1_3gpuE9ELNS1_3repE0EEENS1_38merge_mergepath_config_static_selectorELNS0_4arch9wavefront6targetE1EEEvSL_.kd
    .uniform_work_group_size: 1
    .uses_dynamic_stack: false
    .vgpr_count:     0
    .vgpr_spill_count: 0
    .wavefront_size: 64
  - .agpr_count:     0
    .args:
      - .offset:         0
        .size:           72
        .value_kind:     by_value
      - .offset:         72
        .size:           4
        .value_kind:     hidden_block_count_x
      - .offset:         76
        .size:           4
        .value_kind:     hidden_block_count_y
      - .offset:         80
        .size:           4
        .value_kind:     hidden_block_count_z
      - .offset:         84
        .size:           2
        .value_kind:     hidden_group_size_x
      - .offset:         86
        .size:           2
        .value_kind:     hidden_group_size_y
      - .offset:         88
        .size:           2
        .value_kind:     hidden_group_size_z
      - .offset:         90
        .size:           2
        .value_kind:     hidden_remainder_x
      - .offset:         92
        .size:           2
        .value_kind:     hidden_remainder_y
      - .offset:         94
        .size:           2
        .value_kind:     hidden_remainder_z
      - .offset:         112
        .size:           8
        .value_kind:     hidden_global_offset_x
      - .offset:         120
        .size:           8
        .value_kind:     hidden_global_offset_y
      - .offset:         128
        .size:           8
        .value_kind:     hidden_global_offset_z
      - .offset:         136
        .size:           2
        .value_kind:     hidden_grid_dims
    .group_segment_fixed_size: 8448
    .kernarg_segment_align: 8
    .kernarg_segment_size: 328
    .language:       OpenCL C
    .language_version:
      - 2
      - 0
    .max_flat_workgroup_size: 256
    .name:           _ZN7rocprim17ROCPRIM_400000_NS6detail17trampoline_kernelINS0_14default_configENS1_38merge_sort_block_merge_config_selectorIyNS0_10empty_typeEEEZZNS1_27merge_sort_block_merge_implIS3_N6thrust23THRUST_200600_302600_NS6detail15normal_iteratorINS9_10device_ptrIyEEEEPS5_jNS1_19radix_merge_compareILb0ELb1EyNS0_19identity_decomposerEEEEE10hipError_tT0_T1_T2_jT3_P12ihipStream_tbPNSt15iterator_traitsISK_E10value_typeEPNSQ_ISL_E10value_typeEPSM_NS1_7vsmem_tEENKUlT_SK_SL_SM_E_clISE_PySF_SF_EESJ_SZ_SK_SL_SM_EUlSZ_E0_NS1_11comp_targetILNS1_3genE4ELNS1_11target_archE910ELNS1_3gpuE8ELNS1_3repE0EEENS1_38merge_mergepath_config_static_selectorELNS0_4arch9wavefront6targetE1EEEvSL_
    .private_segment_fixed_size: 0
    .sgpr_count:     27
    .sgpr_spill_count: 0
    .symbol:         _ZN7rocprim17ROCPRIM_400000_NS6detail17trampoline_kernelINS0_14default_configENS1_38merge_sort_block_merge_config_selectorIyNS0_10empty_typeEEEZZNS1_27merge_sort_block_merge_implIS3_N6thrust23THRUST_200600_302600_NS6detail15normal_iteratorINS9_10device_ptrIyEEEEPS5_jNS1_19radix_merge_compareILb0ELb1EyNS0_19identity_decomposerEEEEE10hipError_tT0_T1_T2_jT3_P12ihipStream_tbPNSt15iterator_traitsISK_E10value_typeEPNSQ_ISL_E10value_typeEPSM_NS1_7vsmem_tEENKUlT_SK_SL_SM_E_clISE_PySF_SF_EESJ_SZ_SK_SL_SM_EUlSZ_E0_NS1_11comp_targetILNS1_3genE4ELNS1_11target_archE910ELNS1_3gpuE8ELNS1_3repE0EEENS1_38merge_mergepath_config_static_selectorELNS0_4arch9wavefront6targetE1EEEvSL_.kd
    .uniform_work_group_size: 1
    .uses_dynamic_stack: false
    .vgpr_count:     23
    .vgpr_spill_count: 0
    .wavefront_size: 64
  - .agpr_count:     0
    .args:
      - .offset:         0
        .size:           72
        .value_kind:     by_value
    .group_segment_fixed_size: 0
    .kernarg_segment_align: 8
    .kernarg_segment_size: 72
    .language:       OpenCL C
    .language_version:
      - 2
      - 0
    .max_flat_workgroup_size: 128
    .name:           _ZN7rocprim17ROCPRIM_400000_NS6detail17trampoline_kernelINS0_14default_configENS1_38merge_sort_block_merge_config_selectorIyNS0_10empty_typeEEEZZNS1_27merge_sort_block_merge_implIS3_N6thrust23THRUST_200600_302600_NS6detail15normal_iteratorINS9_10device_ptrIyEEEEPS5_jNS1_19radix_merge_compareILb0ELb1EyNS0_19identity_decomposerEEEEE10hipError_tT0_T1_T2_jT3_P12ihipStream_tbPNSt15iterator_traitsISK_E10value_typeEPNSQ_ISL_E10value_typeEPSM_NS1_7vsmem_tEENKUlT_SK_SL_SM_E_clISE_PySF_SF_EESJ_SZ_SK_SL_SM_EUlSZ_E0_NS1_11comp_targetILNS1_3genE3ELNS1_11target_archE908ELNS1_3gpuE7ELNS1_3repE0EEENS1_38merge_mergepath_config_static_selectorELNS0_4arch9wavefront6targetE1EEEvSL_
    .private_segment_fixed_size: 0
    .sgpr_count:     4
    .sgpr_spill_count: 0
    .symbol:         _ZN7rocprim17ROCPRIM_400000_NS6detail17trampoline_kernelINS0_14default_configENS1_38merge_sort_block_merge_config_selectorIyNS0_10empty_typeEEEZZNS1_27merge_sort_block_merge_implIS3_N6thrust23THRUST_200600_302600_NS6detail15normal_iteratorINS9_10device_ptrIyEEEEPS5_jNS1_19radix_merge_compareILb0ELb1EyNS0_19identity_decomposerEEEEE10hipError_tT0_T1_T2_jT3_P12ihipStream_tbPNSt15iterator_traitsISK_E10value_typeEPNSQ_ISL_E10value_typeEPSM_NS1_7vsmem_tEENKUlT_SK_SL_SM_E_clISE_PySF_SF_EESJ_SZ_SK_SL_SM_EUlSZ_E0_NS1_11comp_targetILNS1_3genE3ELNS1_11target_archE908ELNS1_3gpuE7ELNS1_3repE0EEENS1_38merge_mergepath_config_static_selectorELNS0_4arch9wavefront6targetE1EEEvSL_.kd
    .uniform_work_group_size: 1
    .uses_dynamic_stack: false
    .vgpr_count:     0
    .vgpr_spill_count: 0
    .wavefront_size: 64
  - .agpr_count:     0
    .args:
      - .offset:         0
        .size:           72
        .value_kind:     by_value
    .group_segment_fixed_size: 0
    .kernarg_segment_align: 8
    .kernarg_segment_size: 72
    .language:       OpenCL C
    .language_version:
      - 2
      - 0
    .max_flat_workgroup_size: 256
    .name:           _ZN7rocprim17ROCPRIM_400000_NS6detail17trampoline_kernelINS0_14default_configENS1_38merge_sort_block_merge_config_selectorIyNS0_10empty_typeEEEZZNS1_27merge_sort_block_merge_implIS3_N6thrust23THRUST_200600_302600_NS6detail15normal_iteratorINS9_10device_ptrIyEEEEPS5_jNS1_19radix_merge_compareILb0ELb1EyNS0_19identity_decomposerEEEEE10hipError_tT0_T1_T2_jT3_P12ihipStream_tbPNSt15iterator_traitsISK_E10value_typeEPNSQ_ISL_E10value_typeEPSM_NS1_7vsmem_tEENKUlT_SK_SL_SM_E_clISE_PySF_SF_EESJ_SZ_SK_SL_SM_EUlSZ_E0_NS1_11comp_targetILNS1_3genE2ELNS1_11target_archE906ELNS1_3gpuE6ELNS1_3repE0EEENS1_38merge_mergepath_config_static_selectorELNS0_4arch9wavefront6targetE1EEEvSL_
    .private_segment_fixed_size: 0
    .sgpr_count:     4
    .sgpr_spill_count: 0
    .symbol:         _ZN7rocprim17ROCPRIM_400000_NS6detail17trampoline_kernelINS0_14default_configENS1_38merge_sort_block_merge_config_selectorIyNS0_10empty_typeEEEZZNS1_27merge_sort_block_merge_implIS3_N6thrust23THRUST_200600_302600_NS6detail15normal_iteratorINS9_10device_ptrIyEEEEPS5_jNS1_19radix_merge_compareILb0ELb1EyNS0_19identity_decomposerEEEEE10hipError_tT0_T1_T2_jT3_P12ihipStream_tbPNSt15iterator_traitsISK_E10value_typeEPNSQ_ISL_E10value_typeEPSM_NS1_7vsmem_tEENKUlT_SK_SL_SM_E_clISE_PySF_SF_EESJ_SZ_SK_SL_SM_EUlSZ_E0_NS1_11comp_targetILNS1_3genE2ELNS1_11target_archE906ELNS1_3gpuE6ELNS1_3repE0EEENS1_38merge_mergepath_config_static_selectorELNS0_4arch9wavefront6targetE1EEEvSL_.kd
    .uniform_work_group_size: 1
    .uses_dynamic_stack: false
    .vgpr_count:     0
    .vgpr_spill_count: 0
    .wavefront_size: 64
  - .agpr_count:     0
    .args:
      - .offset:         0
        .size:           72
        .value_kind:     by_value
    .group_segment_fixed_size: 0
    .kernarg_segment_align: 8
    .kernarg_segment_size: 72
    .language:       OpenCL C
    .language_version:
      - 2
      - 0
    .max_flat_workgroup_size: 512
    .name:           _ZN7rocprim17ROCPRIM_400000_NS6detail17trampoline_kernelINS0_14default_configENS1_38merge_sort_block_merge_config_selectorIyNS0_10empty_typeEEEZZNS1_27merge_sort_block_merge_implIS3_N6thrust23THRUST_200600_302600_NS6detail15normal_iteratorINS9_10device_ptrIyEEEEPS5_jNS1_19radix_merge_compareILb0ELb1EyNS0_19identity_decomposerEEEEE10hipError_tT0_T1_T2_jT3_P12ihipStream_tbPNSt15iterator_traitsISK_E10value_typeEPNSQ_ISL_E10value_typeEPSM_NS1_7vsmem_tEENKUlT_SK_SL_SM_E_clISE_PySF_SF_EESJ_SZ_SK_SL_SM_EUlSZ_E0_NS1_11comp_targetILNS1_3genE9ELNS1_11target_archE1100ELNS1_3gpuE3ELNS1_3repE0EEENS1_38merge_mergepath_config_static_selectorELNS0_4arch9wavefront6targetE1EEEvSL_
    .private_segment_fixed_size: 0
    .sgpr_count:     4
    .sgpr_spill_count: 0
    .symbol:         _ZN7rocprim17ROCPRIM_400000_NS6detail17trampoline_kernelINS0_14default_configENS1_38merge_sort_block_merge_config_selectorIyNS0_10empty_typeEEEZZNS1_27merge_sort_block_merge_implIS3_N6thrust23THRUST_200600_302600_NS6detail15normal_iteratorINS9_10device_ptrIyEEEEPS5_jNS1_19radix_merge_compareILb0ELb1EyNS0_19identity_decomposerEEEEE10hipError_tT0_T1_T2_jT3_P12ihipStream_tbPNSt15iterator_traitsISK_E10value_typeEPNSQ_ISL_E10value_typeEPSM_NS1_7vsmem_tEENKUlT_SK_SL_SM_E_clISE_PySF_SF_EESJ_SZ_SK_SL_SM_EUlSZ_E0_NS1_11comp_targetILNS1_3genE9ELNS1_11target_archE1100ELNS1_3gpuE3ELNS1_3repE0EEENS1_38merge_mergepath_config_static_selectorELNS0_4arch9wavefront6targetE1EEEvSL_.kd
    .uniform_work_group_size: 1
    .uses_dynamic_stack: false
    .vgpr_count:     0
    .vgpr_spill_count: 0
    .wavefront_size: 64
  - .agpr_count:     0
    .args:
      - .offset:         0
        .size:           72
        .value_kind:     by_value
    .group_segment_fixed_size: 0
    .kernarg_segment_align: 8
    .kernarg_segment_size: 72
    .language:       OpenCL C
    .language_version:
      - 2
      - 0
    .max_flat_workgroup_size: 1024
    .name:           _ZN7rocprim17ROCPRIM_400000_NS6detail17trampoline_kernelINS0_14default_configENS1_38merge_sort_block_merge_config_selectorIyNS0_10empty_typeEEEZZNS1_27merge_sort_block_merge_implIS3_N6thrust23THRUST_200600_302600_NS6detail15normal_iteratorINS9_10device_ptrIyEEEEPS5_jNS1_19radix_merge_compareILb0ELb1EyNS0_19identity_decomposerEEEEE10hipError_tT0_T1_T2_jT3_P12ihipStream_tbPNSt15iterator_traitsISK_E10value_typeEPNSQ_ISL_E10value_typeEPSM_NS1_7vsmem_tEENKUlT_SK_SL_SM_E_clISE_PySF_SF_EESJ_SZ_SK_SL_SM_EUlSZ_E0_NS1_11comp_targetILNS1_3genE8ELNS1_11target_archE1030ELNS1_3gpuE2ELNS1_3repE0EEENS1_38merge_mergepath_config_static_selectorELNS0_4arch9wavefront6targetE1EEEvSL_
    .private_segment_fixed_size: 0
    .sgpr_count:     4
    .sgpr_spill_count: 0
    .symbol:         _ZN7rocprim17ROCPRIM_400000_NS6detail17trampoline_kernelINS0_14default_configENS1_38merge_sort_block_merge_config_selectorIyNS0_10empty_typeEEEZZNS1_27merge_sort_block_merge_implIS3_N6thrust23THRUST_200600_302600_NS6detail15normal_iteratorINS9_10device_ptrIyEEEEPS5_jNS1_19radix_merge_compareILb0ELb1EyNS0_19identity_decomposerEEEEE10hipError_tT0_T1_T2_jT3_P12ihipStream_tbPNSt15iterator_traitsISK_E10value_typeEPNSQ_ISL_E10value_typeEPSM_NS1_7vsmem_tEENKUlT_SK_SL_SM_E_clISE_PySF_SF_EESJ_SZ_SK_SL_SM_EUlSZ_E0_NS1_11comp_targetILNS1_3genE8ELNS1_11target_archE1030ELNS1_3gpuE2ELNS1_3repE0EEENS1_38merge_mergepath_config_static_selectorELNS0_4arch9wavefront6targetE1EEEvSL_.kd
    .uniform_work_group_size: 1
    .uses_dynamic_stack: false
    .vgpr_count:     0
    .vgpr_spill_count: 0
    .wavefront_size: 64
  - .agpr_count:     0
    .args:
      - .offset:         0
        .size:           48
        .value_kind:     by_value
    .group_segment_fixed_size: 0
    .kernarg_segment_align: 8
    .kernarg_segment_size: 48
    .language:       OpenCL C
    .language_version:
      - 2
      - 0
    .max_flat_workgroup_size: 256
    .name:           _ZN7rocprim17ROCPRIM_400000_NS6detail17trampoline_kernelINS0_14default_configENS1_38merge_sort_block_merge_config_selectorIyNS0_10empty_typeEEEZZNS1_27merge_sort_block_merge_implIS3_N6thrust23THRUST_200600_302600_NS6detail15normal_iteratorINS9_10device_ptrIyEEEEPS5_jNS1_19radix_merge_compareILb0ELb1EyNS0_19identity_decomposerEEEEE10hipError_tT0_T1_T2_jT3_P12ihipStream_tbPNSt15iterator_traitsISK_E10value_typeEPNSQ_ISL_E10value_typeEPSM_NS1_7vsmem_tEENKUlT_SK_SL_SM_E_clISE_PySF_SF_EESJ_SZ_SK_SL_SM_EUlSZ_E1_NS1_11comp_targetILNS1_3genE0ELNS1_11target_archE4294967295ELNS1_3gpuE0ELNS1_3repE0EEENS1_36merge_oddeven_config_static_selectorELNS0_4arch9wavefront6targetE1EEEvSL_
    .private_segment_fixed_size: 0
    .sgpr_count:     4
    .sgpr_spill_count: 0
    .symbol:         _ZN7rocprim17ROCPRIM_400000_NS6detail17trampoline_kernelINS0_14default_configENS1_38merge_sort_block_merge_config_selectorIyNS0_10empty_typeEEEZZNS1_27merge_sort_block_merge_implIS3_N6thrust23THRUST_200600_302600_NS6detail15normal_iteratorINS9_10device_ptrIyEEEEPS5_jNS1_19radix_merge_compareILb0ELb1EyNS0_19identity_decomposerEEEEE10hipError_tT0_T1_T2_jT3_P12ihipStream_tbPNSt15iterator_traitsISK_E10value_typeEPNSQ_ISL_E10value_typeEPSM_NS1_7vsmem_tEENKUlT_SK_SL_SM_E_clISE_PySF_SF_EESJ_SZ_SK_SL_SM_EUlSZ_E1_NS1_11comp_targetILNS1_3genE0ELNS1_11target_archE4294967295ELNS1_3gpuE0ELNS1_3repE0EEENS1_36merge_oddeven_config_static_selectorELNS0_4arch9wavefront6targetE1EEEvSL_.kd
    .uniform_work_group_size: 1
    .uses_dynamic_stack: false
    .vgpr_count:     0
    .vgpr_spill_count: 0
    .wavefront_size: 64
  - .agpr_count:     0
    .args:
      - .offset:         0
        .size:           48
        .value_kind:     by_value
    .group_segment_fixed_size: 0
    .kernarg_segment_align: 8
    .kernarg_segment_size: 48
    .language:       OpenCL C
    .language_version:
      - 2
      - 0
    .max_flat_workgroup_size: 256
    .name:           _ZN7rocprim17ROCPRIM_400000_NS6detail17trampoline_kernelINS0_14default_configENS1_38merge_sort_block_merge_config_selectorIyNS0_10empty_typeEEEZZNS1_27merge_sort_block_merge_implIS3_N6thrust23THRUST_200600_302600_NS6detail15normal_iteratorINS9_10device_ptrIyEEEEPS5_jNS1_19radix_merge_compareILb0ELb1EyNS0_19identity_decomposerEEEEE10hipError_tT0_T1_T2_jT3_P12ihipStream_tbPNSt15iterator_traitsISK_E10value_typeEPNSQ_ISL_E10value_typeEPSM_NS1_7vsmem_tEENKUlT_SK_SL_SM_E_clISE_PySF_SF_EESJ_SZ_SK_SL_SM_EUlSZ_E1_NS1_11comp_targetILNS1_3genE10ELNS1_11target_archE1201ELNS1_3gpuE5ELNS1_3repE0EEENS1_36merge_oddeven_config_static_selectorELNS0_4arch9wavefront6targetE1EEEvSL_
    .private_segment_fixed_size: 0
    .sgpr_count:     4
    .sgpr_spill_count: 0
    .symbol:         _ZN7rocprim17ROCPRIM_400000_NS6detail17trampoline_kernelINS0_14default_configENS1_38merge_sort_block_merge_config_selectorIyNS0_10empty_typeEEEZZNS1_27merge_sort_block_merge_implIS3_N6thrust23THRUST_200600_302600_NS6detail15normal_iteratorINS9_10device_ptrIyEEEEPS5_jNS1_19radix_merge_compareILb0ELb1EyNS0_19identity_decomposerEEEEE10hipError_tT0_T1_T2_jT3_P12ihipStream_tbPNSt15iterator_traitsISK_E10value_typeEPNSQ_ISL_E10value_typeEPSM_NS1_7vsmem_tEENKUlT_SK_SL_SM_E_clISE_PySF_SF_EESJ_SZ_SK_SL_SM_EUlSZ_E1_NS1_11comp_targetILNS1_3genE10ELNS1_11target_archE1201ELNS1_3gpuE5ELNS1_3repE0EEENS1_36merge_oddeven_config_static_selectorELNS0_4arch9wavefront6targetE1EEEvSL_.kd
    .uniform_work_group_size: 1
    .uses_dynamic_stack: false
    .vgpr_count:     0
    .vgpr_spill_count: 0
    .wavefront_size: 64
  - .agpr_count:     0
    .args:
      - .offset:         0
        .size:           48
        .value_kind:     by_value
    .group_segment_fixed_size: 0
    .kernarg_segment_align: 8
    .kernarg_segment_size: 48
    .language:       OpenCL C
    .language_version:
      - 2
      - 0
    .max_flat_workgroup_size: 256
    .name:           _ZN7rocprim17ROCPRIM_400000_NS6detail17trampoline_kernelINS0_14default_configENS1_38merge_sort_block_merge_config_selectorIyNS0_10empty_typeEEEZZNS1_27merge_sort_block_merge_implIS3_N6thrust23THRUST_200600_302600_NS6detail15normal_iteratorINS9_10device_ptrIyEEEEPS5_jNS1_19radix_merge_compareILb0ELb1EyNS0_19identity_decomposerEEEEE10hipError_tT0_T1_T2_jT3_P12ihipStream_tbPNSt15iterator_traitsISK_E10value_typeEPNSQ_ISL_E10value_typeEPSM_NS1_7vsmem_tEENKUlT_SK_SL_SM_E_clISE_PySF_SF_EESJ_SZ_SK_SL_SM_EUlSZ_E1_NS1_11comp_targetILNS1_3genE5ELNS1_11target_archE942ELNS1_3gpuE9ELNS1_3repE0EEENS1_36merge_oddeven_config_static_selectorELNS0_4arch9wavefront6targetE1EEEvSL_
    .private_segment_fixed_size: 0
    .sgpr_count:     4
    .sgpr_spill_count: 0
    .symbol:         _ZN7rocprim17ROCPRIM_400000_NS6detail17trampoline_kernelINS0_14default_configENS1_38merge_sort_block_merge_config_selectorIyNS0_10empty_typeEEEZZNS1_27merge_sort_block_merge_implIS3_N6thrust23THRUST_200600_302600_NS6detail15normal_iteratorINS9_10device_ptrIyEEEEPS5_jNS1_19radix_merge_compareILb0ELb1EyNS0_19identity_decomposerEEEEE10hipError_tT0_T1_T2_jT3_P12ihipStream_tbPNSt15iterator_traitsISK_E10value_typeEPNSQ_ISL_E10value_typeEPSM_NS1_7vsmem_tEENKUlT_SK_SL_SM_E_clISE_PySF_SF_EESJ_SZ_SK_SL_SM_EUlSZ_E1_NS1_11comp_targetILNS1_3genE5ELNS1_11target_archE942ELNS1_3gpuE9ELNS1_3repE0EEENS1_36merge_oddeven_config_static_selectorELNS0_4arch9wavefront6targetE1EEEvSL_.kd
    .uniform_work_group_size: 1
    .uses_dynamic_stack: false
    .vgpr_count:     0
    .vgpr_spill_count: 0
    .wavefront_size: 64
  - .agpr_count:     0
    .args:
      - .offset:         0
        .size:           48
        .value_kind:     by_value
    .group_segment_fixed_size: 0
    .kernarg_segment_align: 8
    .kernarg_segment_size: 48
    .language:       OpenCL C
    .language_version:
      - 2
      - 0
    .max_flat_workgroup_size: 256
    .name:           _ZN7rocprim17ROCPRIM_400000_NS6detail17trampoline_kernelINS0_14default_configENS1_38merge_sort_block_merge_config_selectorIyNS0_10empty_typeEEEZZNS1_27merge_sort_block_merge_implIS3_N6thrust23THRUST_200600_302600_NS6detail15normal_iteratorINS9_10device_ptrIyEEEEPS5_jNS1_19radix_merge_compareILb0ELb1EyNS0_19identity_decomposerEEEEE10hipError_tT0_T1_T2_jT3_P12ihipStream_tbPNSt15iterator_traitsISK_E10value_typeEPNSQ_ISL_E10value_typeEPSM_NS1_7vsmem_tEENKUlT_SK_SL_SM_E_clISE_PySF_SF_EESJ_SZ_SK_SL_SM_EUlSZ_E1_NS1_11comp_targetILNS1_3genE4ELNS1_11target_archE910ELNS1_3gpuE8ELNS1_3repE0EEENS1_36merge_oddeven_config_static_selectorELNS0_4arch9wavefront6targetE1EEEvSL_
    .private_segment_fixed_size: 0
    .sgpr_count:     25
    .sgpr_spill_count: 0
    .symbol:         _ZN7rocprim17ROCPRIM_400000_NS6detail17trampoline_kernelINS0_14default_configENS1_38merge_sort_block_merge_config_selectorIyNS0_10empty_typeEEEZZNS1_27merge_sort_block_merge_implIS3_N6thrust23THRUST_200600_302600_NS6detail15normal_iteratorINS9_10device_ptrIyEEEEPS5_jNS1_19radix_merge_compareILb0ELb1EyNS0_19identity_decomposerEEEEE10hipError_tT0_T1_T2_jT3_P12ihipStream_tbPNSt15iterator_traitsISK_E10value_typeEPNSQ_ISL_E10value_typeEPSM_NS1_7vsmem_tEENKUlT_SK_SL_SM_E_clISE_PySF_SF_EESJ_SZ_SK_SL_SM_EUlSZ_E1_NS1_11comp_targetILNS1_3genE4ELNS1_11target_archE910ELNS1_3gpuE8ELNS1_3repE0EEENS1_36merge_oddeven_config_static_selectorELNS0_4arch9wavefront6targetE1EEEvSL_.kd
    .uniform_work_group_size: 1
    .uses_dynamic_stack: false
    .vgpr_count:     14
    .vgpr_spill_count: 0
    .wavefront_size: 64
  - .agpr_count:     0
    .args:
      - .offset:         0
        .size:           48
        .value_kind:     by_value
    .group_segment_fixed_size: 0
    .kernarg_segment_align: 8
    .kernarg_segment_size: 48
    .language:       OpenCL C
    .language_version:
      - 2
      - 0
    .max_flat_workgroup_size: 256
    .name:           _ZN7rocprim17ROCPRIM_400000_NS6detail17trampoline_kernelINS0_14default_configENS1_38merge_sort_block_merge_config_selectorIyNS0_10empty_typeEEEZZNS1_27merge_sort_block_merge_implIS3_N6thrust23THRUST_200600_302600_NS6detail15normal_iteratorINS9_10device_ptrIyEEEEPS5_jNS1_19radix_merge_compareILb0ELb1EyNS0_19identity_decomposerEEEEE10hipError_tT0_T1_T2_jT3_P12ihipStream_tbPNSt15iterator_traitsISK_E10value_typeEPNSQ_ISL_E10value_typeEPSM_NS1_7vsmem_tEENKUlT_SK_SL_SM_E_clISE_PySF_SF_EESJ_SZ_SK_SL_SM_EUlSZ_E1_NS1_11comp_targetILNS1_3genE3ELNS1_11target_archE908ELNS1_3gpuE7ELNS1_3repE0EEENS1_36merge_oddeven_config_static_selectorELNS0_4arch9wavefront6targetE1EEEvSL_
    .private_segment_fixed_size: 0
    .sgpr_count:     4
    .sgpr_spill_count: 0
    .symbol:         _ZN7rocprim17ROCPRIM_400000_NS6detail17trampoline_kernelINS0_14default_configENS1_38merge_sort_block_merge_config_selectorIyNS0_10empty_typeEEEZZNS1_27merge_sort_block_merge_implIS3_N6thrust23THRUST_200600_302600_NS6detail15normal_iteratorINS9_10device_ptrIyEEEEPS5_jNS1_19radix_merge_compareILb0ELb1EyNS0_19identity_decomposerEEEEE10hipError_tT0_T1_T2_jT3_P12ihipStream_tbPNSt15iterator_traitsISK_E10value_typeEPNSQ_ISL_E10value_typeEPSM_NS1_7vsmem_tEENKUlT_SK_SL_SM_E_clISE_PySF_SF_EESJ_SZ_SK_SL_SM_EUlSZ_E1_NS1_11comp_targetILNS1_3genE3ELNS1_11target_archE908ELNS1_3gpuE7ELNS1_3repE0EEENS1_36merge_oddeven_config_static_selectorELNS0_4arch9wavefront6targetE1EEEvSL_.kd
    .uniform_work_group_size: 1
    .uses_dynamic_stack: false
    .vgpr_count:     0
    .vgpr_spill_count: 0
    .wavefront_size: 64
  - .agpr_count:     0
    .args:
      - .offset:         0
        .size:           48
        .value_kind:     by_value
    .group_segment_fixed_size: 0
    .kernarg_segment_align: 8
    .kernarg_segment_size: 48
    .language:       OpenCL C
    .language_version:
      - 2
      - 0
    .max_flat_workgroup_size: 256
    .name:           _ZN7rocprim17ROCPRIM_400000_NS6detail17trampoline_kernelINS0_14default_configENS1_38merge_sort_block_merge_config_selectorIyNS0_10empty_typeEEEZZNS1_27merge_sort_block_merge_implIS3_N6thrust23THRUST_200600_302600_NS6detail15normal_iteratorINS9_10device_ptrIyEEEEPS5_jNS1_19radix_merge_compareILb0ELb1EyNS0_19identity_decomposerEEEEE10hipError_tT0_T1_T2_jT3_P12ihipStream_tbPNSt15iterator_traitsISK_E10value_typeEPNSQ_ISL_E10value_typeEPSM_NS1_7vsmem_tEENKUlT_SK_SL_SM_E_clISE_PySF_SF_EESJ_SZ_SK_SL_SM_EUlSZ_E1_NS1_11comp_targetILNS1_3genE2ELNS1_11target_archE906ELNS1_3gpuE6ELNS1_3repE0EEENS1_36merge_oddeven_config_static_selectorELNS0_4arch9wavefront6targetE1EEEvSL_
    .private_segment_fixed_size: 0
    .sgpr_count:     4
    .sgpr_spill_count: 0
    .symbol:         _ZN7rocprim17ROCPRIM_400000_NS6detail17trampoline_kernelINS0_14default_configENS1_38merge_sort_block_merge_config_selectorIyNS0_10empty_typeEEEZZNS1_27merge_sort_block_merge_implIS3_N6thrust23THRUST_200600_302600_NS6detail15normal_iteratorINS9_10device_ptrIyEEEEPS5_jNS1_19radix_merge_compareILb0ELb1EyNS0_19identity_decomposerEEEEE10hipError_tT0_T1_T2_jT3_P12ihipStream_tbPNSt15iterator_traitsISK_E10value_typeEPNSQ_ISL_E10value_typeEPSM_NS1_7vsmem_tEENKUlT_SK_SL_SM_E_clISE_PySF_SF_EESJ_SZ_SK_SL_SM_EUlSZ_E1_NS1_11comp_targetILNS1_3genE2ELNS1_11target_archE906ELNS1_3gpuE6ELNS1_3repE0EEENS1_36merge_oddeven_config_static_selectorELNS0_4arch9wavefront6targetE1EEEvSL_.kd
    .uniform_work_group_size: 1
    .uses_dynamic_stack: false
    .vgpr_count:     0
    .vgpr_spill_count: 0
    .wavefront_size: 64
  - .agpr_count:     0
    .args:
      - .offset:         0
        .size:           48
        .value_kind:     by_value
    .group_segment_fixed_size: 0
    .kernarg_segment_align: 8
    .kernarg_segment_size: 48
    .language:       OpenCL C
    .language_version:
      - 2
      - 0
    .max_flat_workgroup_size: 256
    .name:           _ZN7rocprim17ROCPRIM_400000_NS6detail17trampoline_kernelINS0_14default_configENS1_38merge_sort_block_merge_config_selectorIyNS0_10empty_typeEEEZZNS1_27merge_sort_block_merge_implIS3_N6thrust23THRUST_200600_302600_NS6detail15normal_iteratorINS9_10device_ptrIyEEEEPS5_jNS1_19radix_merge_compareILb0ELb1EyNS0_19identity_decomposerEEEEE10hipError_tT0_T1_T2_jT3_P12ihipStream_tbPNSt15iterator_traitsISK_E10value_typeEPNSQ_ISL_E10value_typeEPSM_NS1_7vsmem_tEENKUlT_SK_SL_SM_E_clISE_PySF_SF_EESJ_SZ_SK_SL_SM_EUlSZ_E1_NS1_11comp_targetILNS1_3genE9ELNS1_11target_archE1100ELNS1_3gpuE3ELNS1_3repE0EEENS1_36merge_oddeven_config_static_selectorELNS0_4arch9wavefront6targetE1EEEvSL_
    .private_segment_fixed_size: 0
    .sgpr_count:     4
    .sgpr_spill_count: 0
    .symbol:         _ZN7rocprim17ROCPRIM_400000_NS6detail17trampoline_kernelINS0_14default_configENS1_38merge_sort_block_merge_config_selectorIyNS0_10empty_typeEEEZZNS1_27merge_sort_block_merge_implIS3_N6thrust23THRUST_200600_302600_NS6detail15normal_iteratorINS9_10device_ptrIyEEEEPS5_jNS1_19radix_merge_compareILb0ELb1EyNS0_19identity_decomposerEEEEE10hipError_tT0_T1_T2_jT3_P12ihipStream_tbPNSt15iterator_traitsISK_E10value_typeEPNSQ_ISL_E10value_typeEPSM_NS1_7vsmem_tEENKUlT_SK_SL_SM_E_clISE_PySF_SF_EESJ_SZ_SK_SL_SM_EUlSZ_E1_NS1_11comp_targetILNS1_3genE9ELNS1_11target_archE1100ELNS1_3gpuE3ELNS1_3repE0EEENS1_36merge_oddeven_config_static_selectorELNS0_4arch9wavefront6targetE1EEEvSL_.kd
    .uniform_work_group_size: 1
    .uses_dynamic_stack: false
    .vgpr_count:     0
    .vgpr_spill_count: 0
    .wavefront_size: 64
  - .agpr_count:     0
    .args:
      - .offset:         0
        .size:           48
        .value_kind:     by_value
    .group_segment_fixed_size: 0
    .kernarg_segment_align: 8
    .kernarg_segment_size: 48
    .language:       OpenCL C
    .language_version:
      - 2
      - 0
    .max_flat_workgroup_size: 256
    .name:           _ZN7rocprim17ROCPRIM_400000_NS6detail17trampoline_kernelINS0_14default_configENS1_38merge_sort_block_merge_config_selectorIyNS0_10empty_typeEEEZZNS1_27merge_sort_block_merge_implIS3_N6thrust23THRUST_200600_302600_NS6detail15normal_iteratorINS9_10device_ptrIyEEEEPS5_jNS1_19radix_merge_compareILb0ELb1EyNS0_19identity_decomposerEEEEE10hipError_tT0_T1_T2_jT3_P12ihipStream_tbPNSt15iterator_traitsISK_E10value_typeEPNSQ_ISL_E10value_typeEPSM_NS1_7vsmem_tEENKUlT_SK_SL_SM_E_clISE_PySF_SF_EESJ_SZ_SK_SL_SM_EUlSZ_E1_NS1_11comp_targetILNS1_3genE8ELNS1_11target_archE1030ELNS1_3gpuE2ELNS1_3repE0EEENS1_36merge_oddeven_config_static_selectorELNS0_4arch9wavefront6targetE1EEEvSL_
    .private_segment_fixed_size: 0
    .sgpr_count:     4
    .sgpr_spill_count: 0
    .symbol:         _ZN7rocprim17ROCPRIM_400000_NS6detail17trampoline_kernelINS0_14default_configENS1_38merge_sort_block_merge_config_selectorIyNS0_10empty_typeEEEZZNS1_27merge_sort_block_merge_implIS3_N6thrust23THRUST_200600_302600_NS6detail15normal_iteratorINS9_10device_ptrIyEEEEPS5_jNS1_19radix_merge_compareILb0ELb1EyNS0_19identity_decomposerEEEEE10hipError_tT0_T1_T2_jT3_P12ihipStream_tbPNSt15iterator_traitsISK_E10value_typeEPNSQ_ISL_E10value_typeEPSM_NS1_7vsmem_tEENKUlT_SK_SL_SM_E_clISE_PySF_SF_EESJ_SZ_SK_SL_SM_EUlSZ_E1_NS1_11comp_targetILNS1_3genE8ELNS1_11target_archE1030ELNS1_3gpuE2ELNS1_3repE0EEENS1_36merge_oddeven_config_static_selectorELNS0_4arch9wavefront6targetE1EEEvSL_.kd
    .uniform_work_group_size: 1
    .uses_dynamic_stack: false
    .vgpr_count:     0
    .vgpr_spill_count: 0
    .wavefront_size: 64
  - .agpr_count:     0
    .args:
      - .offset:         0
        .size:           40
        .value_kind:     by_value
    .group_segment_fixed_size: 0
    .kernarg_segment_align: 8
    .kernarg_segment_size: 40
    .language:       OpenCL C
    .language_version:
      - 2
      - 0
    .max_flat_workgroup_size: 512
    .name:           _ZN7rocprim17ROCPRIM_400000_NS6detail17trampoline_kernelINS0_14default_configENS1_35radix_sort_onesweep_config_selectorIyNS0_10empty_typeEEEZNS1_34radix_sort_onesweep_global_offsetsIS3_Lb0EN6thrust23THRUST_200600_302600_NS6detail15normal_iteratorINS9_10device_ptrIyEEEEPS5_jNS0_19identity_decomposerEEE10hipError_tT1_T2_PT3_SK_jT4_jjP12ihipStream_tbEUlT_E_NS1_11comp_targetILNS1_3genE0ELNS1_11target_archE4294967295ELNS1_3gpuE0ELNS1_3repE0EEENS1_52radix_sort_onesweep_histogram_config_static_selectorELNS0_4arch9wavefront6targetE1EEEvSI_
    .private_segment_fixed_size: 0
    .sgpr_count:     4
    .sgpr_spill_count: 0
    .symbol:         _ZN7rocprim17ROCPRIM_400000_NS6detail17trampoline_kernelINS0_14default_configENS1_35radix_sort_onesweep_config_selectorIyNS0_10empty_typeEEEZNS1_34radix_sort_onesweep_global_offsetsIS3_Lb0EN6thrust23THRUST_200600_302600_NS6detail15normal_iteratorINS9_10device_ptrIyEEEEPS5_jNS0_19identity_decomposerEEE10hipError_tT1_T2_PT3_SK_jT4_jjP12ihipStream_tbEUlT_E_NS1_11comp_targetILNS1_3genE0ELNS1_11target_archE4294967295ELNS1_3gpuE0ELNS1_3repE0EEENS1_52radix_sort_onesweep_histogram_config_static_selectorELNS0_4arch9wavefront6targetE1EEEvSI_.kd
    .uniform_work_group_size: 1
    .uses_dynamic_stack: false
    .vgpr_count:     0
    .vgpr_spill_count: 0
    .wavefront_size: 64
  - .agpr_count:     0
    .args:
      - .offset:         0
        .size:           40
        .value_kind:     by_value
    .group_segment_fixed_size: 0
    .kernarg_segment_align: 8
    .kernarg_segment_size: 40
    .language:       OpenCL C
    .language_version:
      - 2
      - 0
    .max_flat_workgroup_size: 512
    .name:           _ZN7rocprim17ROCPRIM_400000_NS6detail17trampoline_kernelINS0_14default_configENS1_35radix_sort_onesweep_config_selectorIyNS0_10empty_typeEEEZNS1_34radix_sort_onesweep_global_offsetsIS3_Lb0EN6thrust23THRUST_200600_302600_NS6detail15normal_iteratorINS9_10device_ptrIyEEEEPS5_jNS0_19identity_decomposerEEE10hipError_tT1_T2_PT3_SK_jT4_jjP12ihipStream_tbEUlT_E_NS1_11comp_targetILNS1_3genE6ELNS1_11target_archE950ELNS1_3gpuE13ELNS1_3repE0EEENS1_52radix_sort_onesweep_histogram_config_static_selectorELNS0_4arch9wavefront6targetE1EEEvSI_
    .private_segment_fixed_size: 0
    .sgpr_count:     4
    .sgpr_spill_count: 0
    .symbol:         _ZN7rocprim17ROCPRIM_400000_NS6detail17trampoline_kernelINS0_14default_configENS1_35radix_sort_onesweep_config_selectorIyNS0_10empty_typeEEEZNS1_34radix_sort_onesweep_global_offsetsIS3_Lb0EN6thrust23THRUST_200600_302600_NS6detail15normal_iteratorINS9_10device_ptrIyEEEEPS5_jNS0_19identity_decomposerEEE10hipError_tT1_T2_PT3_SK_jT4_jjP12ihipStream_tbEUlT_E_NS1_11comp_targetILNS1_3genE6ELNS1_11target_archE950ELNS1_3gpuE13ELNS1_3repE0EEENS1_52radix_sort_onesweep_histogram_config_static_selectorELNS0_4arch9wavefront6targetE1EEEvSI_.kd
    .uniform_work_group_size: 1
    .uses_dynamic_stack: false
    .vgpr_count:     0
    .vgpr_spill_count: 0
    .wavefront_size: 64
  - .agpr_count:     0
    .args:
      - .offset:         0
        .size:           40
        .value_kind:     by_value
    .group_segment_fixed_size: 0
    .kernarg_segment_align: 8
    .kernarg_segment_size: 40
    .language:       OpenCL C
    .language_version:
      - 2
      - 0
    .max_flat_workgroup_size: 512
    .name:           _ZN7rocprim17ROCPRIM_400000_NS6detail17trampoline_kernelINS0_14default_configENS1_35radix_sort_onesweep_config_selectorIyNS0_10empty_typeEEEZNS1_34radix_sort_onesweep_global_offsetsIS3_Lb0EN6thrust23THRUST_200600_302600_NS6detail15normal_iteratorINS9_10device_ptrIyEEEEPS5_jNS0_19identity_decomposerEEE10hipError_tT1_T2_PT3_SK_jT4_jjP12ihipStream_tbEUlT_E_NS1_11comp_targetILNS1_3genE5ELNS1_11target_archE942ELNS1_3gpuE9ELNS1_3repE0EEENS1_52radix_sort_onesweep_histogram_config_static_selectorELNS0_4arch9wavefront6targetE1EEEvSI_
    .private_segment_fixed_size: 0
    .sgpr_count:     4
    .sgpr_spill_count: 0
    .symbol:         _ZN7rocprim17ROCPRIM_400000_NS6detail17trampoline_kernelINS0_14default_configENS1_35radix_sort_onesweep_config_selectorIyNS0_10empty_typeEEEZNS1_34radix_sort_onesweep_global_offsetsIS3_Lb0EN6thrust23THRUST_200600_302600_NS6detail15normal_iteratorINS9_10device_ptrIyEEEEPS5_jNS0_19identity_decomposerEEE10hipError_tT1_T2_PT3_SK_jT4_jjP12ihipStream_tbEUlT_E_NS1_11comp_targetILNS1_3genE5ELNS1_11target_archE942ELNS1_3gpuE9ELNS1_3repE0EEENS1_52radix_sort_onesweep_histogram_config_static_selectorELNS0_4arch9wavefront6targetE1EEEvSI_.kd
    .uniform_work_group_size: 1
    .uses_dynamic_stack: false
    .vgpr_count:     0
    .vgpr_spill_count: 0
    .wavefront_size: 64
  - .agpr_count:     0
    .args:
      - .offset:         0
        .size:           40
        .value_kind:     by_value
    .group_segment_fixed_size: 0
    .kernarg_segment_align: 8
    .kernarg_segment_size: 40
    .language:       OpenCL C
    .language_version:
      - 2
      - 0
    .max_flat_workgroup_size: 512
    .name:           _ZN7rocprim17ROCPRIM_400000_NS6detail17trampoline_kernelINS0_14default_configENS1_35radix_sort_onesweep_config_selectorIyNS0_10empty_typeEEEZNS1_34radix_sort_onesweep_global_offsetsIS3_Lb0EN6thrust23THRUST_200600_302600_NS6detail15normal_iteratorINS9_10device_ptrIyEEEEPS5_jNS0_19identity_decomposerEEE10hipError_tT1_T2_PT3_SK_jT4_jjP12ihipStream_tbEUlT_E_NS1_11comp_targetILNS1_3genE2ELNS1_11target_archE906ELNS1_3gpuE6ELNS1_3repE0EEENS1_52radix_sort_onesweep_histogram_config_static_selectorELNS0_4arch9wavefront6targetE1EEEvSI_
    .private_segment_fixed_size: 0
    .sgpr_count:     4
    .sgpr_spill_count: 0
    .symbol:         _ZN7rocprim17ROCPRIM_400000_NS6detail17trampoline_kernelINS0_14default_configENS1_35radix_sort_onesweep_config_selectorIyNS0_10empty_typeEEEZNS1_34radix_sort_onesweep_global_offsetsIS3_Lb0EN6thrust23THRUST_200600_302600_NS6detail15normal_iteratorINS9_10device_ptrIyEEEEPS5_jNS0_19identity_decomposerEEE10hipError_tT1_T2_PT3_SK_jT4_jjP12ihipStream_tbEUlT_E_NS1_11comp_targetILNS1_3genE2ELNS1_11target_archE906ELNS1_3gpuE6ELNS1_3repE0EEENS1_52radix_sort_onesweep_histogram_config_static_selectorELNS0_4arch9wavefront6targetE1EEEvSI_.kd
    .uniform_work_group_size: 1
    .uses_dynamic_stack: false
    .vgpr_count:     0
    .vgpr_spill_count: 0
    .wavefront_size: 64
  - .agpr_count:     0
    .args:
      - .offset:         0
        .size:           40
        .value_kind:     by_value
    .group_segment_fixed_size: 32768
    .kernarg_segment_align: 8
    .kernarg_segment_size: 40
    .language:       OpenCL C
    .language_version:
      - 2
      - 0
    .max_flat_workgroup_size: 1024
    .name:           _ZN7rocprim17ROCPRIM_400000_NS6detail17trampoline_kernelINS0_14default_configENS1_35radix_sort_onesweep_config_selectorIyNS0_10empty_typeEEEZNS1_34radix_sort_onesweep_global_offsetsIS3_Lb0EN6thrust23THRUST_200600_302600_NS6detail15normal_iteratorINS9_10device_ptrIyEEEEPS5_jNS0_19identity_decomposerEEE10hipError_tT1_T2_PT3_SK_jT4_jjP12ihipStream_tbEUlT_E_NS1_11comp_targetILNS1_3genE4ELNS1_11target_archE910ELNS1_3gpuE8ELNS1_3repE0EEENS1_52radix_sort_onesweep_histogram_config_static_selectorELNS0_4arch9wavefront6targetE1EEEvSI_
    .private_segment_fixed_size: 0
    .sgpr_count:     23
    .sgpr_spill_count: 0
    .symbol:         _ZN7rocprim17ROCPRIM_400000_NS6detail17trampoline_kernelINS0_14default_configENS1_35radix_sort_onesweep_config_selectorIyNS0_10empty_typeEEEZNS1_34radix_sort_onesweep_global_offsetsIS3_Lb0EN6thrust23THRUST_200600_302600_NS6detail15normal_iteratorINS9_10device_ptrIyEEEEPS5_jNS0_19identity_decomposerEEE10hipError_tT1_T2_PT3_SK_jT4_jjP12ihipStream_tbEUlT_E_NS1_11comp_targetILNS1_3genE4ELNS1_11target_archE910ELNS1_3gpuE8ELNS1_3repE0EEENS1_52radix_sort_onesweep_histogram_config_static_selectorELNS0_4arch9wavefront6targetE1EEEvSI_.kd
    .uniform_work_group_size: 1
    .uses_dynamic_stack: false
    .vgpr_count:     28
    .vgpr_spill_count: 0
    .wavefront_size: 64
  - .agpr_count:     0
    .args:
      - .offset:         0
        .size:           40
        .value_kind:     by_value
    .group_segment_fixed_size: 0
    .kernarg_segment_align: 8
    .kernarg_segment_size: 40
    .language:       OpenCL C
    .language_version:
      - 2
      - 0
    .max_flat_workgroup_size: 512
    .name:           _ZN7rocprim17ROCPRIM_400000_NS6detail17trampoline_kernelINS0_14default_configENS1_35radix_sort_onesweep_config_selectorIyNS0_10empty_typeEEEZNS1_34radix_sort_onesweep_global_offsetsIS3_Lb0EN6thrust23THRUST_200600_302600_NS6detail15normal_iteratorINS9_10device_ptrIyEEEEPS5_jNS0_19identity_decomposerEEE10hipError_tT1_T2_PT3_SK_jT4_jjP12ihipStream_tbEUlT_E_NS1_11comp_targetILNS1_3genE3ELNS1_11target_archE908ELNS1_3gpuE7ELNS1_3repE0EEENS1_52radix_sort_onesweep_histogram_config_static_selectorELNS0_4arch9wavefront6targetE1EEEvSI_
    .private_segment_fixed_size: 0
    .sgpr_count:     4
    .sgpr_spill_count: 0
    .symbol:         _ZN7rocprim17ROCPRIM_400000_NS6detail17trampoline_kernelINS0_14default_configENS1_35radix_sort_onesweep_config_selectorIyNS0_10empty_typeEEEZNS1_34radix_sort_onesweep_global_offsetsIS3_Lb0EN6thrust23THRUST_200600_302600_NS6detail15normal_iteratorINS9_10device_ptrIyEEEEPS5_jNS0_19identity_decomposerEEE10hipError_tT1_T2_PT3_SK_jT4_jjP12ihipStream_tbEUlT_E_NS1_11comp_targetILNS1_3genE3ELNS1_11target_archE908ELNS1_3gpuE7ELNS1_3repE0EEENS1_52radix_sort_onesweep_histogram_config_static_selectorELNS0_4arch9wavefront6targetE1EEEvSI_.kd
    .uniform_work_group_size: 1
    .uses_dynamic_stack: false
    .vgpr_count:     0
    .vgpr_spill_count: 0
    .wavefront_size: 64
  - .agpr_count:     0
    .args:
      - .offset:         0
        .size:           40
        .value_kind:     by_value
    .group_segment_fixed_size: 0
    .kernarg_segment_align: 8
    .kernarg_segment_size: 40
    .language:       OpenCL C
    .language_version:
      - 2
      - 0
    .max_flat_workgroup_size: 512
    .name:           _ZN7rocprim17ROCPRIM_400000_NS6detail17trampoline_kernelINS0_14default_configENS1_35radix_sort_onesweep_config_selectorIyNS0_10empty_typeEEEZNS1_34radix_sort_onesweep_global_offsetsIS3_Lb0EN6thrust23THRUST_200600_302600_NS6detail15normal_iteratorINS9_10device_ptrIyEEEEPS5_jNS0_19identity_decomposerEEE10hipError_tT1_T2_PT3_SK_jT4_jjP12ihipStream_tbEUlT_E_NS1_11comp_targetILNS1_3genE10ELNS1_11target_archE1201ELNS1_3gpuE5ELNS1_3repE0EEENS1_52radix_sort_onesweep_histogram_config_static_selectorELNS0_4arch9wavefront6targetE1EEEvSI_
    .private_segment_fixed_size: 0
    .sgpr_count:     4
    .sgpr_spill_count: 0
    .symbol:         _ZN7rocprim17ROCPRIM_400000_NS6detail17trampoline_kernelINS0_14default_configENS1_35radix_sort_onesweep_config_selectorIyNS0_10empty_typeEEEZNS1_34radix_sort_onesweep_global_offsetsIS3_Lb0EN6thrust23THRUST_200600_302600_NS6detail15normal_iteratorINS9_10device_ptrIyEEEEPS5_jNS0_19identity_decomposerEEE10hipError_tT1_T2_PT3_SK_jT4_jjP12ihipStream_tbEUlT_E_NS1_11comp_targetILNS1_3genE10ELNS1_11target_archE1201ELNS1_3gpuE5ELNS1_3repE0EEENS1_52radix_sort_onesweep_histogram_config_static_selectorELNS0_4arch9wavefront6targetE1EEEvSI_.kd
    .uniform_work_group_size: 1
    .uses_dynamic_stack: false
    .vgpr_count:     0
    .vgpr_spill_count: 0
    .wavefront_size: 64
  - .agpr_count:     0
    .args:
      - .offset:         0
        .size:           40
        .value_kind:     by_value
    .group_segment_fixed_size: 0
    .kernarg_segment_align: 8
    .kernarg_segment_size: 40
    .language:       OpenCL C
    .language_version:
      - 2
      - 0
    .max_flat_workgroup_size: 1024
    .name:           _ZN7rocprim17ROCPRIM_400000_NS6detail17trampoline_kernelINS0_14default_configENS1_35radix_sort_onesweep_config_selectorIyNS0_10empty_typeEEEZNS1_34radix_sort_onesweep_global_offsetsIS3_Lb0EN6thrust23THRUST_200600_302600_NS6detail15normal_iteratorINS9_10device_ptrIyEEEEPS5_jNS0_19identity_decomposerEEE10hipError_tT1_T2_PT3_SK_jT4_jjP12ihipStream_tbEUlT_E_NS1_11comp_targetILNS1_3genE9ELNS1_11target_archE1100ELNS1_3gpuE3ELNS1_3repE0EEENS1_52radix_sort_onesweep_histogram_config_static_selectorELNS0_4arch9wavefront6targetE1EEEvSI_
    .private_segment_fixed_size: 0
    .sgpr_count:     4
    .sgpr_spill_count: 0
    .symbol:         _ZN7rocprim17ROCPRIM_400000_NS6detail17trampoline_kernelINS0_14default_configENS1_35radix_sort_onesweep_config_selectorIyNS0_10empty_typeEEEZNS1_34radix_sort_onesweep_global_offsetsIS3_Lb0EN6thrust23THRUST_200600_302600_NS6detail15normal_iteratorINS9_10device_ptrIyEEEEPS5_jNS0_19identity_decomposerEEE10hipError_tT1_T2_PT3_SK_jT4_jjP12ihipStream_tbEUlT_E_NS1_11comp_targetILNS1_3genE9ELNS1_11target_archE1100ELNS1_3gpuE3ELNS1_3repE0EEENS1_52radix_sort_onesweep_histogram_config_static_selectorELNS0_4arch9wavefront6targetE1EEEvSI_.kd
    .uniform_work_group_size: 1
    .uses_dynamic_stack: false
    .vgpr_count:     0
    .vgpr_spill_count: 0
    .wavefront_size: 64
  - .agpr_count:     0
    .args:
      - .offset:         0
        .size:           40
        .value_kind:     by_value
    .group_segment_fixed_size: 0
    .kernarg_segment_align: 8
    .kernarg_segment_size: 40
    .language:       OpenCL C
    .language_version:
      - 2
      - 0
    .max_flat_workgroup_size: 1024
    .name:           _ZN7rocprim17ROCPRIM_400000_NS6detail17trampoline_kernelINS0_14default_configENS1_35radix_sort_onesweep_config_selectorIyNS0_10empty_typeEEEZNS1_34radix_sort_onesweep_global_offsetsIS3_Lb0EN6thrust23THRUST_200600_302600_NS6detail15normal_iteratorINS9_10device_ptrIyEEEEPS5_jNS0_19identity_decomposerEEE10hipError_tT1_T2_PT3_SK_jT4_jjP12ihipStream_tbEUlT_E_NS1_11comp_targetILNS1_3genE8ELNS1_11target_archE1030ELNS1_3gpuE2ELNS1_3repE0EEENS1_52radix_sort_onesweep_histogram_config_static_selectorELNS0_4arch9wavefront6targetE1EEEvSI_
    .private_segment_fixed_size: 0
    .sgpr_count:     4
    .sgpr_spill_count: 0
    .symbol:         _ZN7rocprim17ROCPRIM_400000_NS6detail17trampoline_kernelINS0_14default_configENS1_35radix_sort_onesweep_config_selectorIyNS0_10empty_typeEEEZNS1_34radix_sort_onesweep_global_offsetsIS3_Lb0EN6thrust23THRUST_200600_302600_NS6detail15normal_iteratorINS9_10device_ptrIyEEEEPS5_jNS0_19identity_decomposerEEE10hipError_tT1_T2_PT3_SK_jT4_jjP12ihipStream_tbEUlT_E_NS1_11comp_targetILNS1_3genE8ELNS1_11target_archE1030ELNS1_3gpuE2ELNS1_3repE0EEENS1_52radix_sort_onesweep_histogram_config_static_selectorELNS0_4arch9wavefront6targetE1EEEvSI_.kd
    .uniform_work_group_size: 1
    .uses_dynamic_stack: false
    .vgpr_count:     0
    .vgpr_spill_count: 0
    .wavefront_size: 64
  - .agpr_count:     0
    .args:
      - .address_space:  global
        .offset:         0
        .size:           8
        .value_kind:     global_buffer
    .group_segment_fixed_size: 0
    .kernarg_segment_align: 8
    .kernarg_segment_size: 8
    .language:       OpenCL C
    .language_version:
      - 2
      - 0
    .max_flat_workgroup_size: 512
    .name:           _ZN7rocprim17ROCPRIM_400000_NS6detail17trampoline_kernelINS0_14default_configENS1_35radix_sort_onesweep_config_selectorIyNS0_10empty_typeEEEZNS1_34radix_sort_onesweep_global_offsetsIS3_Lb0EN6thrust23THRUST_200600_302600_NS6detail15normal_iteratorINS9_10device_ptrIyEEEEPS5_jNS0_19identity_decomposerEEE10hipError_tT1_T2_PT3_SK_jT4_jjP12ihipStream_tbEUlT_E0_NS1_11comp_targetILNS1_3genE0ELNS1_11target_archE4294967295ELNS1_3gpuE0ELNS1_3repE0EEENS1_52radix_sort_onesweep_histogram_config_static_selectorELNS0_4arch9wavefront6targetE1EEEvSI_
    .private_segment_fixed_size: 0
    .sgpr_count:     4
    .sgpr_spill_count: 0
    .symbol:         _ZN7rocprim17ROCPRIM_400000_NS6detail17trampoline_kernelINS0_14default_configENS1_35radix_sort_onesweep_config_selectorIyNS0_10empty_typeEEEZNS1_34radix_sort_onesweep_global_offsetsIS3_Lb0EN6thrust23THRUST_200600_302600_NS6detail15normal_iteratorINS9_10device_ptrIyEEEEPS5_jNS0_19identity_decomposerEEE10hipError_tT1_T2_PT3_SK_jT4_jjP12ihipStream_tbEUlT_E0_NS1_11comp_targetILNS1_3genE0ELNS1_11target_archE4294967295ELNS1_3gpuE0ELNS1_3repE0EEENS1_52radix_sort_onesweep_histogram_config_static_selectorELNS0_4arch9wavefront6targetE1EEEvSI_.kd
    .uniform_work_group_size: 1
    .uses_dynamic_stack: false
    .vgpr_count:     0
    .vgpr_spill_count: 0
    .wavefront_size: 64
  - .agpr_count:     0
    .args:
      - .address_space:  global
        .offset:         0
        .size:           8
        .value_kind:     global_buffer
    .group_segment_fixed_size: 0
    .kernarg_segment_align: 8
    .kernarg_segment_size: 8
    .language:       OpenCL C
    .language_version:
      - 2
      - 0
    .max_flat_workgroup_size: 512
    .name:           _ZN7rocprim17ROCPRIM_400000_NS6detail17trampoline_kernelINS0_14default_configENS1_35radix_sort_onesweep_config_selectorIyNS0_10empty_typeEEEZNS1_34radix_sort_onesweep_global_offsetsIS3_Lb0EN6thrust23THRUST_200600_302600_NS6detail15normal_iteratorINS9_10device_ptrIyEEEEPS5_jNS0_19identity_decomposerEEE10hipError_tT1_T2_PT3_SK_jT4_jjP12ihipStream_tbEUlT_E0_NS1_11comp_targetILNS1_3genE6ELNS1_11target_archE950ELNS1_3gpuE13ELNS1_3repE0EEENS1_52radix_sort_onesweep_histogram_config_static_selectorELNS0_4arch9wavefront6targetE1EEEvSI_
    .private_segment_fixed_size: 0
    .sgpr_count:     4
    .sgpr_spill_count: 0
    .symbol:         _ZN7rocprim17ROCPRIM_400000_NS6detail17trampoline_kernelINS0_14default_configENS1_35radix_sort_onesweep_config_selectorIyNS0_10empty_typeEEEZNS1_34radix_sort_onesweep_global_offsetsIS3_Lb0EN6thrust23THRUST_200600_302600_NS6detail15normal_iteratorINS9_10device_ptrIyEEEEPS5_jNS0_19identity_decomposerEEE10hipError_tT1_T2_PT3_SK_jT4_jjP12ihipStream_tbEUlT_E0_NS1_11comp_targetILNS1_3genE6ELNS1_11target_archE950ELNS1_3gpuE13ELNS1_3repE0EEENS1_52radix_sort_onesweep_histogram_config_static_selectorELNS0_4arch9wavefront6targetE1EEEvSI_.kd
    .uniform_work_group_size: 1
    .uses_dynamic_stack: false
    .vgpr_count:     0
    .vgpr_spill_count: 0
    .wavefront_size: 64
  - .agpr_count:     0
    .args:
      - .address_space:  global
        .offset:         0
        .size:           8
        .value_kind:     global_buffer
    .group_segment_fixed_size: 0
    .kernarg_segment_align: 8
    .kernarg_segment_size: 8
    .language:       OpenCL C
    .language_version:
      - 2
      - 0
    .max_flat_workgroup_size: 512
    .name:           _ZN7rocprim17ROCPRIM_400000_NS6detail17trampoline_kernelINS0_14default_configENS1_35radix_sort_onesweep_config_selectorIyNS0_10empty_typeEEEZNS1_34radix_sort_onesweep_global_offsetsIS3_Lb0EN6thrust23THRUST_200600_302600_NS6detail15normal_iteratorINS9_10device_ptrIyEEEEPS5_jNS0_19identity_decomposerEEE10hipError_tT1_T2_PT3_SK_jT4_jjP12ihipStream_tbEUlT_E0_NS1_11comp_targetILNS1_3genE5ELNS1_11target_archE942ELNS1_3gpuE9ELNS1_3repE0EEENS1_52radix_sort_onesweep_histogram_config_static_selectorELNS0_4arch9wavefront6targetE1EEEvSI_
    .private_segment_fixed_size: 0
    .sgpr_count:     4
    .sgpr_spill_count: 0
    .symbol:         _ZN7rocprim17ROCPRIM_400000_NS6detail17trampoline_kernelINS0_14default_configENS1_35radix_sort_onesweep_config_selectorIyNS0_10empty_typeEEEZNS1_34radix_sort_onesweep_global_offsetsIS3_Lb0EN6thrust23THRUST_200600_302600_NS6detail15normal_iteratorINS9_10device_ptrIyEEEEPS5_jNS0_19identity_decomposerEEE10hipError_tT1_T2_PT3_SK_jT4_jjP12ihipStream_tbEUlT_E0_NS1_11comp_targetILNS1_3genE5ELNS1_11target_archE942ELNS1_3gpuE9ELNS1_3repE0EEENS1_52radix_sort_onesweep_histogram_config_static_selectorELNS0_4arch9wavefront6targetE1EEEvSI_.kd
    .uniform_work_group_size: 1
    .uses_dynamic_stack: false
    .vgpr_count:     0
    .vgpr_spill_count: 0
    .wavefront_size: 64
  - .agpr_count:     0
    .args:
      - .address_space:  global
        .offset:         0
        .size:           8
        .value_kind:     global_buffer
    .group_segment_fixed_size: 0
    .kernarg_segment_align: 8
    .kernarg_segment_size: 8
    .language:       OpenCL C
    .language_version:
      - 2
      - 0
    .max_flat_workgroup_size: 512
    .name:           _ZN7rocprim17ROCPRIM_400000_NS6detail17trampoline_kernelINS0_14default_configENS1_35radix_sort_onesweep_config_selectorIyNS0_10empty_typeEEEZNS1_34radix_sort_onesweep_global_offsetsIS3_Lb0EN6thrust23THRUST_200600_302600_NS6detail15normal_iteratorINS9_10device_ptrIyEEEEPS5_jNS0_19identity_decomposerEEE10hipError_tT1_T2_PT3_SK_jT4_jjP12ihipStream_tbEUlT_E0_NS1_11comp_targetILNS1_3genE2ELNS1_11target_archE906ELNS1_3gpuE6ELNS1_3repE0EEENS1_52radix_sort_onesweep_histogram_config_static_selectorELNS0_4arch9wavefront6targetE1EEEvSI_
    .private_segment_fixed_size: 0
    .sgpr_count:     4
    .sgpr_spill_count: 0
    .symbol:         _ZN7rocprim17ROCPRIM_400000_NS6detail17trampoline_kernelINS0_14default_configENS1_35radix_sort_onesweep_config_selectorIyNS0_10empty_typeEEEZNS1_34radix_sort_onesweep_global_offsetsIS3_Lb0EN6thrust23THRUST_200600_302600_NS6detail15normal_iteratorINS9_10device_ptrIyEEEEPS5_jNS0_19identity_decomposerEEE10hipError_tT1_T2_PT3_SK_jT4_jjP12ihipStream_tbEUlT_E0_NS1_11comp_targetILNS1_3genE2ELNS1_11target_archE906ELNS1_3gpuE6ELNS1_3repE0EEENS1_52radix_sort_onesweep_histogram_config_static_selectorELNS0_4arch9wavefront6targetE1EEEvSI_.kd
    .uniform_work_group_size: 1
    .uses_dynamic_stack: false
    .vgpr_count:     0
    .vgpr_spill_count: 0
    .wavefront_size: 64
  - .agpr_count:     0
    .args:
      - .address_space:  global
        .offset:         0
        .size:           8
        .value_kind:     global_buffer
    .group_segment_fixed_size: 64
    .kernarg_segment_align: 8
    .kernarg_segment_size: 8
    .language:       OpenCL C
    .language_version:
      - 2
      - 0
    .max_flat_workgroup_size: 1024
    .name:           _ZN7rocprim17ROCPRIM_400000_NS6detail17trampoline_kernelINS0_14default_configENS1_35radix_sort_onesweep_config_selectorIyNS0_10empty_typeEEEZNS1_34radix_sort_onesweep_global_offsetsIS3_Lb0EN6thrust23THRUST_200600_302600_NS6detail15normal_iteratorINS9_10device_ptrIyEEEEPS5_jNS0_19identity_decomposerEEE10hipError_tT1_T2_PT3_SK_jT4_jjP12ihipStream_tbEUlT_E0_NS1_11comp_targetILNS1_3genE4ELNS1_11target_archE910ELNS1_3gpuE8ELNS1_3repE0EEENS1_52radix_sort_onesweep_histogram_config_static_selectorELNS0_4arch9wavefront6targetE1EEEvSI_
    .private_segment_fixed_size: 0
    .sgpr_count:     18
    .sgpr_spill_count: 0
    .symbol:         _ZN7rocprim17ROCPRIM_400000_NS6detail17trampoline_kernelINS0_14default_configENS1_35radix_sort_onesweep_config_selectorIyNS0_10empty_typeEEEZNS1_34radix_sort_onesweep_global_offsetsIS3_Lb0EN6thrust23THRUST_200600_302600_NS6detail15normal_iteratorINS9_10device_ptrIyEEEEPS5_jNS0_19identity_decomposerEEE10hipError_tT1_T2_PT3_SK_jT4_jjP12ihipStream_tbEUlT_E0_NS1_11comp_targetILNS1_3genE4ELNS1_11target_archE910ELNS1_3gpuE8ELNS1_3repE0EEENS1_52radix_sort_onesweep_histogram_config_static_selectorELNS0_4arch9wavefront6targetE1EEEvSI_.kd
    .uniform_work_group_size: 1
    .uses_dynamic_stack: false
    .vgpr_count:     7
    .vgpr_spill_count: 0
    .wavefront_size: 64
  - .agpr_count:     0
    .args:
      - .address_space:  global
        .offset:         0
        .size:           8
        .value_kind:     global_buffer
    .group_segment_fixed_size: 0
    .kernarg_segment_align: 8
    .kernarg_segment_size: 8
    .language:       OpenCL C
    .language_version:
      - 2
      - 0
    .max_flat_workgroup_size: 512
    .name:           _ZN7rocprim17ROCPRIM_400000_NS6detail17trampoline_kernelINS0_14default_configENS1_35radix_sort_onesweep_config_selectorIyNS0_10empty_typeEEEZNS1_34radix_sort_onesweep_global_offsetsIS3_Lb0EN6thrust23THRUST_200600_302600_NS6detail15normal_iteratorINS9_10device_ptrIyEEEEPS5_jNS0_19identity_decomposerEEE10hipError_tT1_T2_PT3_SK_jT4_jjP12ihipStream_tbEUlT_E0_NS1_11comp_targetILNS1_3genE3ELNS1_11target_archE908ELNS1_3gpuE7ELNS1_3repE0EEENS1_52radix_sort_onesweep_histogram_config_static_selectorELNS0_4arch9wavefront6targetE1EEEvSI_
    .private_segment_fixed_size: 0
    .sgpr_count:     4
    .sgpr_spill_count: 0
    .symbol:         _ZN7rocprim17ROCPRIM_400000_NS6detail17trampoline_kernelINS0_14default_configENS1_35radix_sort_onesweep_config_selectorIyNS0_10empty_typeEEEZNS1_34radix_sort_onesweep_global_offsetsIS3_Lb0EN6thrust23THRUST_200600_302600_NS6detail15normal_iteratorINS9_10device_ptrIyEEEEPS5_jNS0_19identity_decomposerEEE10hipError_tT1_T2_PT3_SK_jT4_jjP12ihipStream_tbEUlT_E0_NS1_11comp_targetILNS1_3genE3ELNS1_11target_archE908ELNS1_3gpuE7ELNS1_3repE0EEENS1_52radix_sort_onesweep_histogram_config_static_selectorELNS0_4arch9wavefront6targetE1EEEvSI_.kd
    .uniform_work_group_size: 1
    .uses_dynamic_stack: false
    .vgpr_count:     0
    .vgpr_spill_count: 0
    .wavefront_size: 64
  - .agpr_count:     0
    .args:
      - .address_space:  global
        .offset:         0
        .size:           8
        .value_kind:     global_buffer
    .group_segment_fixed_size: 0
    .kernarg_segment_align: 8
    .kernarg_segment_size: 8
    .language:       OpenCL C
    .language_version:
      - 2
      - 0
    .max_flat_workgroup_size: 512
    .name:           _ZN7rocprim17ROCPRIM_400000_NS6detail17trampoline_kernelINS0_14default_configENS1_35radix_sort_onesweep_config_selectorIyNS0_10empty_typeEEEZNS1_34radix_sort_onesweep_global_offsetsIS3_Lb0EN6thrust23THRUST_200600_302600_NS6detail15normal_iteratorINS9_10device_ptrIyEEEEPS5_jNS0_19identity_decomposerEEE10hipError_tT1_T2_PT3_SK_jT4_jjP12ihipStream_tbEUlT_E0_NS1_11comp_targetILNS1_3genE10ELNS1_11target_archE1201ELNS1_3gpuE5ELNS1_3repE0EEENS1_52radix_sort_onesweep_histogram_config_static_selectorELNS0_4arch9wavefront6targetE1EEEvSI_
    .private_segment_fixed_size: 0
    .sgpr_count:     4
    .sgpr_spill_count: 0
    .symbol:         _ZN7rocprim17ROCPRIM_400000_NS6detail17trampoline_kernelINS0_14default_configENS1_35radix_sort_onesweep_config_selectorIyNS0_10empty_typeEEEZNS1_34radix_sort_onesweep_global_offsetsIS3_Lb0EN6thrust23THRUST_200600_302600_NS6detail15normal_iteratorINS9_10device_ptrIyEEEEPS5_jNS0_19identity_decomposerEEE10hipError_tT1_T2_PT3_SK_jT4_jjP12ihipStream_tbEUlT_E0_NS1_11comp_targetILNS1_3genE10ELNS1_11target_archE1201ELNS1_3gpuE5ELNS1_3repE0EEENS1_52radix_sort_onesweep_histogram_config_static_selectorELNS0_4arch9wavefront6targetE1EEEvSI_.kd
    .uniform_work_group_size: 1
    .uses_dynamic_stack: false
    .vgpr_count:     0
    .vgpr_spill_count: 0
    .wavefront_size: 64
  - .agpr_count:     0
    .args:
      - .address_space:  global
        .offset:         0
        .size:           8
        .value_kind:     global_buffer
    .group_segment_fixed_size: 0
    .kernarg_segment_align: 8
    .kernarg_segment_size: 8
    .language:       OpenCL C
    .language_version:
      - 2
      - 0
    .max_flat_workgroup_size: 1024
    .name:           _ZN7rocprim17ROCPRIM_400000_NS6detail17trampoline_kernelINS0_14default_configENS1_35radix_sort_onesweep_config_selectorIyNS0_10empty_typeEEEZNS1_34radix_sort_onesweep_global_offsetsIS3_Lb0EN6thrust23THRUST_200600_302600_NS6detail15normal_iteratorINS9_10device_ptrIyEEEEPS5_jNS0_19identity_decomposerEEE10hipError_tT1_T2_PT3_SK_jT4_jjP12ihipStream_tbEUlT_E0_NS1_11comp_targetILNS1_3genE9ELNS1_11target_archE1100ELNS1_3gpuE3ELNS1_3repE0EEENS1_52radix_sort_onesweep_histogram_config_static_selectorELNS0_4arch9wavefront6targetE1EEEvSI_
    .private_segment_fixed_size: 0
    .sgpr_count:     4
    .sgpr_spill_count: 0
    .symbol:         _ZN7rocprim17ROCPRIM_400000_NS6detail17trampoline_kernelINS0_14default_configENS1_35radix_sort_onesweep_config_selectorIyNS0_10empty_typeEEEZNS1_34radix_sort_onesweep_global_offsetsIS3_Lb0EN6thrust23THRUST_200600_302600_NS6detail15normal_iteratorINS9_10device_ptrIyEEEEPS5_jNS0_19identity_decomposerEEE10hipError_tT1_T2_PT3_SK_jT4_jjP12ihipStream_tbEUlT_E0_NS1_11comp_targetILNS1_3genE9ELNS1_11target_archE1100ELNS1_3gpuE3ELNS1_3repE0EEENS1_52radix_sort_onesweep_histogram_config_static_selectorELNS0_4arch9wavefront6targetE1EEEvSI_.kd
    .uniform_work_group_size: 1
    .uses_dynamic_stack: false
    .vgpr_count:     0
    .vgpr_spill_count: 0
    .wavefront_size: 64
  - .agpr_count:     0
    .args:
      - .address_space:  global
        .offset:         0
        .size:           8
        .value_kind:     global_buffer
    .group_segment_fixed_size: 0
    .kernarg_segment_align: 8
    .kernarg_segment_size: 8
    .language:       OpenCL C
    .language_version:
      - 2
      - 0
    .max_flat_workgroup_size: 1024
    .name:           _ZN7rocprim17ROCPRIM_400000_NS6detail17trampoline_kernelINS0_14default_configENS1_35radix_sort_onesweep_config_selectorIyNS0_10empty_typeEEEZNS1_34radix_sort_onesweep_global_offsetsIS3_Lb0EN6thrust23THRUST_200600_302600_NS6detail15normal_iteratorINS9_10device_ptrIyEEEEPS5_jNS0_19identity_decomposerEEE10hipError_tT1_T2_PT3_SK_jT4_jjP12ihipStream_tbEUlT_E0_NS1_11comp_targetILNS1_3genE8ELNS1_11target_archE1030ELNS1_3gpuE2ELNS1_3repE0EEENS1_52radix_sort_onesweep_histogram_config_static_selectorELNS0_4arch9wavefront6targetE1EEEvSI_
    .private_segment_fixed_size: 0
    .sgpr_count:     4
    .sgpr_spill_count: 0
    .symbol:         _ZN7rocprim17ROCPRIM_400000_NS6detail17trampoline_kernelINS0_14default_configENS1_35radix_sort_onesweep_config_selectorIyNS0_10empty_typeEEEZNS1_34radix_sort_onesweep_global_offsetsIS3_Lb0EN6thrust23THRUST_200600_302600_NS6detail15normal_iteratorINS9_10device_ptrIyEEEEPS5_jNS0_19identity_decomposerEEE10hipError_tT1_T2_PT3_SK_jT4_jjP12ihipStream_tbEUlT_E0_NS1_11comp_targetILNS1_3genE8ELNS1_11target_archE1030ELNS1_3gpuE2ELNS1_3repE0EEENS1_52radix_sort_onesweep_histogram_config_static_selectorELNS0_4arch9wavefront6targetE1EEEvSI_.kd
    .uniform_work_group_size: 1
    .uses_dynamic_stack: false
    .vgpr_count:     0
    .vgpr_spill_count: 0
    .wavefront_size: 64
  - .agpr_count:     0
    .args:
      - .offset:         0
        .size:           40
        .value_kind:     by_value
    .group_segment_fixed_size: 0
    .kernarg_segment_align: 8
    .kernarg_segment_size: 40
    .language:       OpenCL C
    .language_version:
      - 2
      - 0
    .max_flat_workgroup_size: 128
    .name:           _ZN7rocprim17ROCPRIM_400000_NS6detail17trampoline_kernelINS0_14default_configENS1_25transform_config_selectorIyLb0EEEZNS1_14transform_implILb0ES3_S5_N6thrust23THRUST_200600_302600_NS6detail15normal_iteratorINS8_10device_ptrIyEEEEPyNS0_8identityIyEEEE10hipError_tT2_T3_mT4_P12ihipStream_tbEUlT_E_NS1_11comp_targetILNS1_3genE0ELNS1_11target_archE4294967295ELNS1_3gpuE0ELNS1_3repE0EEENS1_30default_config_static_selectorELNS0_4arch9wavefront6targetE1EEEvT1_
    .private_segment_fixed_size: 0
    .sgpr_count:     4
    .sgpr_spill_count: 0
    .symbol:         _ZN7rocprim17ROCPRIM_400000_NS6detail17trampoline_kernelINS0_14default_configENS1_25transform_config_selectorIyLb0EEEZNS1_14transform_implILb0ES3_S5_N6thrust23THRUST_200600_302600_NS6detail15normal_iteratorINS8_10device_ptrIyEEEEPyNS0_8identityIyEEEE10hipError_tT2_T3_mT4_P12ihipStream_tbEUlT_E_NS1_11comp_targetILNS1_3genE0ELNS1_11target_archE4294967295ELNS1_3gpuE0ELNS1_3repE0EEENS1_30default_config_static_selectorELNS0_4arch9wavefront6targetE1EEEvT1_.kd
    .uniform_work_group_size: 1
    .uses_dynamic_stack: false
    .vgpr_count:     0
    .vgpr_spill_count: 0
    .wavefront_size: 64
  - .agpr_count:     0
    .args:
      - .offset:         0
        .size:           40
        .value_kind:     by_value
    .group_segment_fixed_size: 0
    .kernarg_segment_align: 8
    .kernarg_segment_size: 40
    .language:       OpenCL C
    .language_version:
      - 2
      - 0
    .max_flat_workgroup_size: 512
    .name:           _ZN7rocprim17ROCPRIM_400000_NS6detail17trampoline_kernelINS0_14default_configENS1_25transform_config_selectorIyLb0EEEZNS1_14transform_implILb0ES3_S5_N6thrust23THRUST_200600_302600_NS6detail15normal_iteratorINS8_10device_ptrIyEEEEPyNS0_8identityIyEEEE10hipError_tT2_T3_mT4_P12ihipStream_tbEUlT_E_NS1_11comp_targetILNS1_3genE5ELNS1_11target_archE942ELNS1_3gpuE9ELNS1_3repE0EEENS1_30default_config_static_selectorELNS0_4arch9wavefront6targetE1EEEvT1_
    .private_segment_fixed_size: 0
    .sgpr_count:     4
    .sgpr_spill_count: 0
    .symbol:         _ZN7rocprim17ROCPRIM_400000_NS6detail17trampoline_kernelINS0_14default_configENS1_25transform_config_selectorIyLb0EEEZNS1_14transform_implILb0ES3_S5_N6thrust23THRUST_200600_302600_NS6detail15normal_iteratorINS8_10device_ptrIyEEEEPyNS0_8identityIyEEEE10hipError_tT2_T3_mT4_P12ihipStream_tbEUlT_E_NS1_11comp_targetILNS1_3genE5ELNS1_11target_archE942ELNS1_3gpuE9ELNS1_3repE0EEENS1_30default_config_static_selectorELNS0_4arch9wavefront6targetE1EEEvT1_.kd
    .uniform_work_group_size: 1
    .uses_dynamic_stack: false
    .vgpr_count:     0
    .vgpr_spill_count: 0
    .wavefront_size: 64
  - .agpr_count:     0
    .args:
      - .offset:         0
        .size:           40
        .value_kind:     by_value
      - .offset:         40
        .size:           4
        .value_kind:     hidden_block_count_x
      - .offset:         44
        .size:           4
        .value_kind:     hidden_block_count_y
      - .offset:         48
        .size:           4
        .value_kind:     hidden_block_count_z
      - .offset:         52
        .size:           2
        .value_kind:     hidden_group_size_x
      - .offset:         54
        .size:           2
        .value_kind:     hidden_group_size_y
      - .offset:         56
        .size:           2
        .value_kind:     hidden_group_size_z
      - .offset:         58
        .size:           2
        .value_kind:     hidden_remainder_x
      - .offset:         60
        .size:           2
        .value_kind:     hidden_remainder_y
      - .offset:         62
        .size:           2
        .value_kind:     hidden_remainder_z
      - .offset:         80
        .size:           8
        .value_kind:     hidden_global_offset_x
      - .offset:         88
        .size:           8
        .value_kind:     hidden_global_offset_y
      - .offset:         96
        .size:           8
        .value_kind:     hidden_global_offset_z
      - .offset:         104
        .size:           2
        .value_kind:     hidden_grid_dims
    .group_segment_fixed_size: 0
    .kernarg_segment_align: 8
    .kernarg_segment_size: 296
    .language:       OpenCL C
    .language_version:
      - 2
      - 0
    .max_flat_workgroup_size: 256
    .name:           _ZN7rocprim17ROCPRIM_400000_NS6detail17trampoline_kernelINS0_14default_configENS1_25transform_config_selectorIyLb0EEEZNS1_14transform_implILb0ES3_S5_N6thrust23THRUST_200600_302600_NS6detail15normal_iteratorINS8_10device_ptrIyEEEEPyNS0_8identityIyEEEE10hipError_tT2_T3_mT4_P12ihipStream_tbEUlT_E_NS1_11comp_targetILNS1_3genE4ELNS1_11target_archE910ELNS1_3gpuE8ELNS1_3repE0EEENS1_30default_config_static_selectorELNS0_4arch9wavefront6targetE1EEEvT1_
    .private_segment_fixed_size: 0
    .sgpr_count:     20
    .sgpr_spill_count: 0
    .symbol:         _ZN7rocprim17ROCPRIM_400000_NS6detail17trampoline_kernelINS0_14default_configENS1_25transform_config_selectorIyLb0EEEZNS1_14transform_implILb0ES3_S5_N6thrust23THRUST_200600_302600_NS6detail15normal_iteratorINS8_10device_ptrIyEEEEPyNS0_8identityIyEEEE10hipError_tT2_T3_mT4_P12ihipStream_tbEUlT_E_NS1_11comp_targetILNS1_3genE4ELNS1_11target_archE910ELNS1_3gpuE8ELNS1_3repE0EEENS1_30default_config_static_selectorELNS0_4arch9wavefront6targetE1EEEvT1_.kd
    .uniform_work_group_size: 1
    .uses_dynamic_stack: false
    .vgpr_count:     12
    .vgpr_spill_count: 0
    .wavefront_size: 64
  - .agpr_count:     0
    .args:
      - .offset:         0
        .size:           40
        .value_kind:     by_value
    .group_segment_fixed_size: 0
    .kernarg_segment_align: 8
    .kernarg_segment_size: 40
    .language:       OpenCL C
    .language_version:
      - 2
      - 0
    .max_flat_workgroup_size: 128
    .name:           _ZN7rocprim17ROCPRIM_400000_NS6detail17trampoline_kernelINS0_14default_configENS1_25transform_config_selectorIyLb0EEEZNS1_14transform_implILb0ES3_S5_N6thrust23THRUST_200600_302600_NS6detail15normal_iteratorINS8_10device_ptrIyEEEEPyNS0_8identityIyEEEE10hipError_tT2_T3_mT4_P12ihipStream_tbEUlT_E_NS1_11comp_targetILNS1_3genE3ELNS1_11target_archE908ELNS1_3gpuE7ELNS1_3repE0EEENS1_30default_config_static_selectorELNS0_4arch9wavefront6targetE1EEEvT1_
    .private_segment_fixed_size: 0
    .sgpr_count:     4
    .sgpr_spill_count: 0
    .symbol:         _ZN7rocprim17ROCPRIM_400000_NS6detail17trampoline_kernelINS0_14default_configENS1_25transform_config_selectorIyLb0EEEZNS1_14transform_implILb0ES3_S5_N6thrust23THRUST_200600_302600_NS6detail15normal_iteratorINS8_10device_ptrIyEEEEPyNS0_8identityIyEEEE10hipError_tT2_T3_mT4_P12ihipStream_tbEUlT_E_NS1_11comp_targetILNS1_3genE3ELNS1_11target_archE908ELNS1_3gpuE7ELNS1_3repE0EEENS1_30default_config_static_selectorELNS0_4arch9wavefront6targetE1EEEvT1_.kd
    .uniform_work_group_size: 1
    .uses_dynamic_stack: false
    .vgpr_count:     0
    .vgpr_spill_count: 0
    .wavefront_size: 64
  - .agpr_count:     0
    .args:
      - .offset:         0
        .size:           40
        .value_kind:     by_value
    .group_segment_fixed_size: 0
    .kernarg_segment_align: 8
    .kernarg_segment_size: 40
    .language:       OpenCL C
    .language_version:
      - 2
      - 0
    .max_flat_workgroup_size: 512
    .name:           _ZN7rocprim17ROCPRIM_400000_NS6detail17trampoline_kernelINS0_14default_configENS1_25transform_config_selectorIyLb0EEEZNS1_14transform_implILb0ES3_S5_N6thrust23THRUST_200600_302600_NS6detail15normal_iteratorINS8_10device_ptrIyEEEEPyNS0_8identityIyEEEE10hipError_tT2_T3_mT4_P12ihipStream_tbEUlT_E_NS1_11comp_targetILNS1_3genE2ELNS1_11target_archE906ELNS1_3gpuE6ELNS1_3repE0EEENS1_30default_config_static_selectorELNS0_4arch9wavefront6targetE1EEEvT1_
    .private_segment_fixed_size: 0
    .sgpr_count:     4
    .sgpr_spill_count: 0
    .symbol:         _ZN7rocprim17ROCPRIM_400000_NS6detail17trampoline_kernelINS0_14default_configENS1_25transform_config_selectorIyLb0EEEZNS1_14transform_implILb0ES3_S5_N6thrust23THRUST_200600_302600_NS6detail15normal_iteratorINS8_10device_ptrIyEEEEPyNS0_8identityIyEEEE10hipError_tT2_T3_mT4_P12ihipStream_tbEUlT_E_NS1_11comp_targetILNS1_3genE2ELNS1_11target_archE906ELNS1_3gpuE6ELNS1_3repE0EEENS1_30default_config_static_selectorELNS0_4arch9wavefront6targetE1EEEvT1_.kd
    .uniform_work_group_size: 1
    .uses_dynamic_stack: false
    .vgpr_count:     0
    .vgpr_spill_count: 0
    .wavefront_size: 64
  - .agpr_count:     0
    .args:
      - .offset:         0
        .size:           40
        .value_kind:     by_value
    .group_segment_fixed_size: 0
    .kernarg_segment_align: 8
    .kernarg_segment_size: 40
    .language:       OpenCL C
    .language_version:
      - 2
      - 0
    .max_flat_workgroup_size: 1024
    .name:           _ZN7rocprim17ROCPRIM_400000_NS6detail17trampoline_kernelINS0_14default_configENS1_25transform_config_selectorIyLb0EEEZNS1_14transform_implILb0ES3_S5_N6thrust23THRUST_200600_302600_NS6detail15normal_iteratorINS8_10device_ptrIyEEEEPyNS0_8identityIyEEEE10hipError_tT2_T3_mT4_P12ihipStream_tbEUlT_E_NS1_11comp_targetILNS1_3genE10ELNS1_11target_archE1201ELNS1_3gpuE5ELNS1_3repE0EEENS1_30default_config_static_selectorELNS0_4arch9wavefront6targetE1EEEvT1_
    .private_segment_fixed_size: 0
    .sgpr_count:     4
    .sgpr_spill_count: 0
    .symbol:         _ZN7rocprim17ROCPRIM_400000_NS6detail17trampoline_kernelINS0_14default_configENS1_25transform_config_selectorIyLb0EEEZNS1_14transform_implILb0ES3_S5_N6thrust23THRUST_200600_302600_NS6detail15normal_iteratorINS8_10device_ptrIyEEEEPyNS0_8identityIyEEEE10hipError_tT2_T3_mT4_P12ihipStream_tbEUlT_E_NS1_11comp_targetILNS1_3genE10ELNS1_11target_archE1201ELNS1_3gpuE5ELNS1_3repE0EEENS1_30default_config_static_selectorELNS0_4arch9wavefront6targetE1EEEvT1_.kd
    .uniform_work_group_size: 1
    .uses_dynamic_stack: false
    .vgpr_count:     0
    .vgpr_spill_count: 0
    .wavefront_size: 64
  - .agpr_count:     0
    .args:
      - .offset:         0
        .size:           40
        .value_kind:     by_value
    .group_segment_fixed_size: 0
    .kernarg_segment_align: 8
    .kernarg_segment_size: 40
    .language:       OpenCL C
    .language_version:
      - 2
      - 0
    .max_flat_workgroup_size: 512
    .name:           _ZN7rocprim17ROCPRIM_400000_NS6detail17trampoline_kernelINS0_14default_configENS1_25transform_config_selectorIyLb0EEEZNS1_14transform_implILb0ES3_S5_N6thrust23THRUST_200600_302600_NS6detail15normal_iteratorINS8_10device_ptrIyEEEEPyNS0_8identityIyEEEE10hipError_tT2_T3_mT4_P12ihipStream_tbEUlT_E_NS1_11comp_targetILNS1_3genE10ELNS1_11target_archE1200ELNS1_3gpuE4ELNS1_3repE0EEENS1_30default_config_static_selectorELNS0_4arch9wavefront6targetE1EEEvT1_
    .private_segment_fixed_size: 0
    .sgpr_count:     4
    .sgpr_spill_count: 0
    .symbol:         _ZN7rocprim17ROCPRIM_400000_NS6detail17trampoline_kernelINS0_14default_configENS1_25transform_config_selectorIyLb0EEEZNS1_14transform_implILb0ES3_S5_N6thrust23THRUST_200600_302600_NS6detail15normal_iteratorINS8_10device_ptrIyEEEEPyNS0_8identityIyEEEE10hipError_tT2_T3_mT4_P12ihipStream_tbEUlT_E_NS1_11comp_targetILNS1_3genE10ELNS1_11target_archE1200ELNS1_3gpuE4ELNS1_3repE0EEENS1_30default_config_static_selectorELNS0_4arch9wavefront6targetE1EEEvT1_.kd
    .uniform_work_group_size: 1
    .uses_dynamic_stack: false
    .vgpr_count:     0
    .vgpr_spill_count: 0
    .wavefront_size: 64
  - .agpr_count:     0
    .args:
      - .offset:         0
        .size:           40
        .value_kind:     by_value
    .group_segment_fixed_size: 0
    .kernarg_segment_align: 8
    .kernarg_segment_size: 40
    .language:       OpenCL C
    .language_version:
      - 2
      - 0
    .max_flat_workgroup_size: 512
    .name:           _ZN7rocprim17ROCPRIM_400000_NS6detail17trampoline_kernelINS0_14default_configENS1_25transform_config_selectorIyLb0EEEZNS1_14transform_implILb0ES3_S5_N6thrust23THRUST_200600_302600_NS6detail15normal_iteratorINS8_10device_ptrIyEEEEPyNS0_8identityIyEEEE10hipError_tT2_T3_mT4_P12ihipStream_tbEUlT_E_NS1_11comp_targetILNS1_3genE9ELNS1_11target_archE1100ELNS1_3gpuE3ELNS1_3repE0EEENS1_30default_config_static_selectorELNS0_4arch9wavefront6targetE1EEEvT1_
    .private_segment_fixed_size: 0
    .sgpr_count:     4
    .sgpr_spill_count: 0
    .symbol:         _ZN7rocprim17ROCPRIM_400000_NS6detail17trampoline_kernelINS0_14default_configENS1_25transform_config_selectorIyLb0EEEZNS1_14transform_implILb0ES3_S5_N6thrust23THRUST_200600_302600_NS6detail15normal_iteratorINS8_10device_ptrIyEEEEPyNS0_8identityIyEEEE10hipError_tT2_T3_mT4_P12ihipStream_tbEUlT_E_NS1_11comp_targetILNS1_3genE9ELNS1_11target_archE1100ELNS1_3gpuE3ELNS1_3repE0EEENS1_30default_config_static_selectorELNS0_4arch9wavefront6targetE1EEEvT1_.kd
    .uniform_work_group_size: 1
    .uses_dynamic_stack: false
    .vgpr_count:     0
    .vgpr_spill_count: 0
    .wavefront_size: 64
  - .agpr_count:     0
    .args:
      - .offset:         0
        .size:           40
        .value_kind:     by_value
    .group_segment_fixed_size: 0
    .kernarg_segment_align: 8
    .kernarg_segment_size: 40
    .language:       OpenCL C
    .language_version:
      - 2
      - 0
    .max_flat_workgroup_size: 512
    .name:           _ZN7rocprim17ROCPRIM_400000_NS6detail17trampoline_kernelINS0_14default_configENS1_25transform_config_selectorIyLb0EEEZNS1_14transform_implILb0ES3_S5_N6thrust23THRUST_200600_302600_NS6detail15normal_iteratorINS8_10device_ptrIyEEEEPyNS0_8identityIyEEEE10hipError_tT2_T3_mT4_P12ihipStream_tbEUlT_E_NS1_11comp_targetILNS1_3genE8ELNS1_11target_archE1030ELNS1_3gpuE2ELNS1_3repE0EEENS1_30default_config_static_selectorELNS0_4arch9wavefront6targetE1EEEvT1_
    .private_segment_fixed_size: 0
    .sgpr_count:     4
    .sgpr_spill_count: 0
    .symbol:         _ZN7rocprim17ROCPRIM_400000_NS6detail17trampoline_kernelINS0_14default_configENS1_25transform_config_selectorIyLb0EEEZNS1_14transform_implILb0ES3_S5_N6thrust23THRUST_200600_302600_NS6detail15normal_iteratorINS8_10device_ptrIyEEEEPyNS0_8identityIyEEEE10hipError_tT2_T3_mT4_P12ihipStream_tbEUlT_E_NS1_11comp_targetILNS1_3genE8ELNS1_11target_archE1030ELNS1_3gpuE2ELNS1_3repE0EEENS1_30default_config_static_selectorELNS0_4arch9wavefront6targetE1EEEvT1_.kd
    .uniform_work_group_size: 1
    .uses_dynamic_stack: false
    .vgpr_count:     0
    .vgpr_spill_count: 0
    .wavefront_size: 64
  - .agpr_count:     0
    .args:
      - .offset:         0
        .size:           88
        .value_kind:     by_value
    .group_segment_fixed_size: 0
    .kernarg_segment_align: 8
    .kernarg_segment_size: 88
    .language:       OpenCL C
    .language_version:
      - 2
      - 0
    .max_flat_workgroup_size: 512
    .name:           _ZN7rocprim17ROCPRIM_400000_NS6detail17trampoline_kernelINS0_14default_configENS1_35radix_sort_onesweep_config_selectorIyNS0_10empty_typeEEEZZNS1_29radix_sort_onesweep_iterationIS3_Lb0EN6thrust23THRUST_200600_302600_NS6detail15normal_iteratorINS9_10device_ptrIyEEEESE_PS5_SF_jNS0_19identity_decomposerENS1_16block_id_wrapperIjLb1EEEEE10hipError_tT1_PNSt15iterator_traitsISK_E10value_typeET2_T3_PNSL_ISQ_E10value_typeET4_T5_PSV_SW_PNS1_23onesweep_lookback_stateEbbT6_jjT7_P12ihipStream_tbENKUlT_T0_SK_SP_E_clISE_SE_SF_SF_EEDaS13_S14_SK_SP_EUlS13_E_NS1_11comp_targetILNS1_3genE0ELNS1_11target_archE4294967295ELNS1_3gpuE0ELNS1_3repE0EEENS1_47radix_sort_onesweep_sort_config_static_selectorELNS0_4arch9wavefront6targetE1EEEvSK_
    .private_segment_fixed_size: 0
    .sgpr_count:     4
    .sgpr_spill_count: 0
    .symbol:         _ZN7rocprim17ROCPRIM_400000_NS6detail17trampoline_kernelINS0_14default_configENS1_35radix_sort_onesweep_config_selectorIyNS0_10empty_typeEEEZZNS1_29radix_sort_onesweep_iterationIS3_Lb0EN6thrust23THRUST_200600_302600_NS6detail15normal_iteratorINS9_10device_ptrIyEEEESE_PS5_SF_jNS0_19identity_decomposerENS1_16block_id_wrapperIjLb1EEEEE10hipError_tT1_PNSt15iterator_traitsISK_E10value_typeET2_T3_PNSL_ISQ_E10value_typeET4_T5_PSV_SW_PNS1_23onesweep_lookback_stateEbbT6_jjT7_P12ihipStream_tbENKUlT_T0_SK_SP_E_clISE_SE_SF_SF_EEDaS13_S14_SK_SP_EUlS13_E_NS1_11comp_targetILNS1_3genE0ELNS1_11target_archE4294967295ELNS1_3gpuE0ELNS1_3repE0EEENS1_47radix_sort_onesweep_sort_config_static_selectorELNS0_4arch9wavefront6targetE1EEEvSK_.kd
    .uniform_work_group_size: 1
    .uses_dynamic_stack: false
    .vgpr_count:     0
    .vgpr_spill_count: 0
    .wavefront_size: 64
  - .agpr_count:     0
    .args:
      - .offset:         0
        .size:           88
        .value_kind:     by_value
    .group_segment_fixed_size: 0
    .kernarg_segment_align: 8
    .kernarg_segment_size: 88
    .language:       OpenCL C
    .language_version:
      - 2
      - 0
    .max_flat_workgroup_size: 512
    .name:           _ZN7rocprim17ROCPRIM_400000_NS6detail17trampoline_kernelINS0_14default_configENS1_35radix_sort_onesweep_config_selectorIyNS0_10empty_typeEEEZZNS1_29radix_sort_onesweep_iterationIS3_Lb0EN6thrust23THRUST_200600_302600_NS6detail15normal_iteratorINS9_10device_ptrIyEEEESE_PS5_SF_jNS0_19identity_decomposerENS1_16block_id_wrapperIjLb1EEEEE10hipError_tT1_PNSt15iterator_traitsISK_E10value_typeET2_T3_PNSL_ISQ_E10value_typeET4_T5_PSV_SW_PNS1_23onesweep_lookback_stateEbbT6_jjT7_P12ihipStream_tbENKUlT_T0_SK_SP_E_clISE_SE_SF_SF_EEDaS13_S14_SK_SP_EUlS13_E_NS1_11comp_targetILNS1_3genE6ELNS1_11target_archE950ELNS1_3gpuE13ELNS1_3repE0EEENS1_47radix_sort_onesweep_sort_config_static_selectorELNS0_4arch9wavefront6targetE1EEEvSK_
    .private_segment_fixed_size: 0
    .sgpr_count:     4
    .sgpr_spill_count: 0
    .symbol:         _ZN7rocprim17ROCPRIM_400000_NS6detail17trampoline_kernelINS0_14default_configENS1_35radix_sort_onesweep_config_selectorIyNS0_10empty_typeEEEZZNS1_29radix_sort_onesweep_iterationIS3_Lb0EN6thrust23THRUST_200600_302600_NS6detail15normal_iteratorINS9_10device_ptrIyEEEESE_PS5_SF_jNS0_19identity_decomposerENS1_16block_id_wrapperIjLb1EEEEE10hipError_tT1_PNSt15iterator_traitsISK_E10value_typeET2_T3_PNSL_ISQ_E10value_typeET4_T5_PSV_SW_PNS1_23onesweep_lookback_stateEbbT6_jjT7_P12ihipStream_tbENKUlT_T0_SK_SP_E_clISE_SE_SF_SF_EEDaS13_S14_SK_SP_EUlS13_E_NS1_11comp_targetILNS1_3genE6ELNS1_11target_archE950ELNS1_3gpuE13ELNS1_3repE0EEENS1_47radix_sort_onesweep_sort_config_static_selectorELNS0_4arch9wavefront6targetE1EEEvSK_.kd
    .uniform_work_group_size: 1
    .uses_dynamic_stack: false
    .vgpr_count:     0
    .vgpr_spill_count: 0
    .wavefront_size: 64
  - .agpr_count:     0
    .args:
      - .offset:         0
        .size:           88
        .value_kind:     by_value
    .group_segment_fixed_size: 0
    .kernarg_segment_align: 8
    .kernarg_segment_size: 88
    .language:       OpenCL C
    .language_version:
      - 2
      - 0
    .max_flat_workgroup_size: 512
    .name:           _ZN7rocprim17ROCPRIM_400000_NS6detail17trampoline_kernelINS0_14default_configENS1_35radix_sort_onesweep_config_selectorIyNS0_10empty_typeEEEZZNS1_29radix_sort_onesweep_iterationIS3_Lb0EN6thrust23THRUST_200600_302600_NS6detail15normal_iteratorINS9_10device_ptrIyEEEESE_PS5_SF_jNS0_19identity_decomposerENS1_16block_id_wrapperIjLb1EEEEE10hipError_tT1_PNSt15iterator_traitsISK_E10value_typeET2_T3_PNSL_ISQ_E10value_typeET4_T5_PSV_SW_PNS1_23onesweep_lookback_stateEbbT6_jjT7_P12ihipStream_tbENKUlT_T0_SK_SP_E_clISE_SE_SF_SF_EEDaS13_S14_SK_SP_EUlS13_E_NS1_11comp_targetILNS1_3genE5ELNS1_11target_archE942ELNS1_3gpuE9ELNS1_3repE0EEENS1_47radix_sort_onesweep_sort_config_static_selectorELNS0_4arch9wavefront6targetE1EEEvSK_
    .private_segment_fixed_size: 0
    .sgpr_count:     4
    .sgpr_spill_count: 0
    .symbol:         _ZN7rocprim17ROCPRIM_400000_NS6detail17trampoline_kernelINS0_14default_configENS1_35radix_sort_onesweep_config_selectorIyNS0_10empty_typeEEEZZNS1_29radix_sort_onesweep_iterationIS3_Lb0EN6thrust23THRUST_200600_302600_NS6detail15normal_iteratorINS9_10device_ptrIyEEEESE_PS5_SF_jNS0_19identity_decomposerENS1_16block_id_wrapperIjLb1EEEEE10hipError_tT1_PNSt15iterator_traitsISK_E10value_typeET2_T3_PNSL_ISQ_E10value_typeET4_T5_PSV_SW_PNS1_23onesweep_lookback_stateEbbT6_jjT7_P12ihipStream_tbENKUlT_T0_SK_SP_E_clISE_SE_SF_SF_EEDaS13_S14_SK_SP_EUlS13_E_NS1_11comp_targetILNS1_3genE5ELNS1_11target_archE942ELNS1_3gpuE9ELNS1_3repE0EEENS1_47radix_sort_onesweep_sort_config_static_selectorELNS0_4arch9wavefront6targetE1EEEvSK_.kd
    .uniform_work_group_size: 1
    .uses_dynamic_stack: false
    .vgpr_count:     0
    .vgpr_spill_count: 0
    .wavefront_size: 64
  - .agpr_count:     0
    .args:
      - .offset:         0
        .size:           88
        .value_kind:     by_value
    .group_segment_fixed_size: 0
    .kernarg_segment_align: 8
    .kernarg_segment_size: 88
    .language:       OpenCL C
    .language_version:
      - 2
      - 0
    .max_flat_workgroup_size: 512
    .name:           _ZN7rocprim17ROCPRIM_400000_NS6detail17trampoline_kernelINS0_14default_configENS1_35radix_sort_onesweep_config_selectorIyNS0_10empty_typeEEEZZNS1_29radix_sort_onesweep_iterationIS3_Lb0EN6thrust23THRUST_200600_302600_NS6detail15normal_iteratorINS9_10device_ptrIyEEEESE_PS5_SF_jNS0_19identity_decomposerENS1_16block_id_wrapperIjLb1EEEEE10hipError_tT1_PNSt15iterator_traitsISK_E10value_typeET2_T3_PNSL_ISQ_E10value_typeET4_T5_PSV_SW_PNS1_23onesweep_lookback_stateEbbT6_jjT7_P12ihipStream_tbENKUlT_T0_SK_SP_E_clISE_SE_SF_SF_EEDaS13_S14_SK_SP_EUlS13_E_NS1_11comp_targetILNS1_3genE2ELNS1_11target_archE906ELNS1_3gpuE6ELNS1_3repE0EEENS1_47radix_sort_onesweep_sort_config_static_selectorELNS0_4arch9wavefront6targetE1EEEvSK_
    .private_segment_fixed_size: 0
    .sgpr_count:     4
    .sgpr_spill_count: 0
    .symbol:         _ZN7rocprim17ROCPRIM_400000_NS6detail17trampoline_kernelINS0_14default_configENS1_35radix_sort_onesweep_config_selectorIyNS0_10empty_typeEEEZZNS1_29radix_sort_onesweep_iterationIS3_Lb0EN6thrust23THRUST_200600_302600_NS6detail15normal_iteratorINS9_10device_ptrIyEEEESE_PS5_SF_jNS0_19identity_decomposerENS1_16block_id_wrapperIjLb1EEEEE10hipError_tT1_PNSt15iterator_traitsISK_E10value_typeET2_T3_PNSL_ISQ_E10value_typeET4_T5_PSV_SW_PNS1_23onesweep_lookback_stateEbbT6_jjT7_P12ihipStream_tbENKUlT_T0_SK_SP_E_clISE_SE_SF_SF_EEDaS13_S14_SK_SP_EUlS13_E_NS1_11comp_targetILNS1_3genE2ELNS1_11target_archE906ELNS1_3gpuE6ELNS1_3repE0EEENS1_47radix_sort_onesweep_sort_config_static_selectorELNS0_4arch9wavefront6targetE1EEEvSK_.kd
    .uniform_work_group_size: 1
    .uses_dynamic_stack: false
    .vgpr_count:     0
    .vgpr_spill_count: 0
    .wavefront_size: 64
  - .agpr_count:     0
    .args:
      - .offset:         0
        .size:           88
        .value_kind:     by_value
      - .offset:         88
        .size:           4
        .value_kind:     hidden_block_count_x
      - .offset:         92
        .size:           4
        .value_kind:     hidden_block_count_y
      - .offset:         96
        .size:           4
        .value_kind:     hidden_block_count_z
      - .offset:         100
        .size:           2
        .value_kind:     hidden_group_size_x
      - .offset:         102
        .size:           2
        .value_kind:     hidden_group_size_y
      - .offset:         104
        .size:           2
        .value_kind:     hidden_group_size_z
      - .offset:         106
        .size:           2
        .value_kind:     hidden_remainder_x
      - .offset:         108
        .size:           2
        .value_kind:     hidden_remainder_y
      - .offset:         110
        .size:           2
        .value_kind:     hidden_remainder_z
      - .offset:         128
        .size:           8
        .value_kind:     hidden_global_offset_x
      - .offset:         136
        .size:           8
        .value_kind:     hidden_global_offset_y
      - .offset:         144
        .size:           8
        .value_kind:     hidden_global_offset_z
      - .offset:         152
        .size:           2
        .value_kind:     hidden_grid_dims
    .group_segment_fixed_size: 20552
    .kernarg_segment_align: 8
    .kernarg_segment_size: 344
    .language:       OpenCL C
    .language_version:
      - 2
      - 0
    .max_flat_workgroup_size: 1024
    .name:           _ZN7rocprim17ROCPRIM_400000_NS6detail17trampoline_kernelINS0_14default_configENS1_35radix_sort_onesweep_config_selectorIyNS0_10empty_typeEEEZZNS1_29radix_sort_onesweep_iterationIS3_Lb0EN6thrust23THRUST_200600_302600_NS6detail15normal_iteratorINS9_10device_ptrIyEEEESE_PS5_SF_jNS0_19identity_decomposerENS1_16block_id_wrapperIjLb1EEEEE10hipError_tT1_PNSt15iterator_traitsISK_E10value_typeET2_T3_PNSL_ISQ_E10value_typeET4_T5_PSV_SW_PNS1_23onesweep_lookback_stateEbbT6_jjT7_P12ihipStream_tbENKUlT_T0_SK_SP_E_clISE_SE_SF_SF_EEDaS13_S14_SK_SP_EUlS13_E_NS1_11comp_targetILNS1_3genE4ELNS1_11target_archE910ELNS1_3gpuE8ELNS1_3repE0EEENS1_47radix_sort_onesweep_sort_config_static_selectorELNS0_4arch9wavefront6targetE1EEEvSK_
    .private_segment_fixed_size: 0
    .sgpr_count:     38
    .sgpr_spill_count: 0
    .symbol:         _ZN7rocprim17ROCPRIM_400000_NS6detail17trampoline_kernelINS0_14default_configENS1_35radix_sort_onesweep_config_selectorIyNS0_10empty_typeEEEZZNS1_29radix_sort_onesweep_iterationIS3_Lb0EN6thrust23THRUST_200600_302600_NS6detail15normal_iteratorINS9_10device_ptrIyEEEESE_PS5_SF_jNS0_19identity_decomposerENS1_16block_id_wrapperIjLb1EEEEE10hipError_tT1_PNSt15iterator_traitsISK_E10value_typeET2_T3_PNSL_ISQ_E10value_typeET4_T5_PSV_SW_PNS1_23onesweep_lookback_stateEbbT6_jjT7_P12ihipStream_tbENKUlT_T0_SK_SP_E_clISE_SE_SF_SF_EEDaS13_S14_SK_SP_EUlS13_E_NS1_11comp_targetILNS1_3genE4ELNS1_11target_archE910ELNS1_3gpuE8ELNS1_3repE0EEENS1_47radix_sort_onesweep_sort_config_static_selectorELNS0_4arch9wavefront6targetE1EEEvSK_.kd
    .uniform_work_group_size: 1
    .uses_dynamic_stack: false
    .vgpr_count:     55
    .vgpr_spill_count: 0
    .wavefront_size: 64
  - .agpr_count:     0
    .args:
      - .offset:         0
        .size:           88
        .value_kind:     by_value
    .group_segment_fixed_size: 0
    .kernarg_segment_align: 8
    .kernarg_segment_size: 88
    .language:       OpenCL C
    .language_version:
      - 2
      - 0
    .max_flat_workgroup_size: 512
    .name:           _ZN7rocprim17ROCPRIM_400000_NS6detail17trampoline_kernelINS0_14default_configENS1_35radix_sort_onesweep_config_selectorIyNS0_10empty_typeEEEZZNS1_29radix_sort_onesweep_iterationIS3_Lb0EN6thrust23THRUST_200600_302600_NS6detail15normal_iteratorINS9_10device_ptrIyEEEESE_PS5_SF_jNS0_19identity_decomposerENS1_16block_id_wrapperIjLb1EEEEE10hipError_tT1_PNSt15iterator_traitsISK_E10value_typeET2_T3_PNSL_ISQ_E10value_typeET4_T5_PSV_SW_PNS1_23onesweep_lookback_stateEbbT6_jjT7_P12ihipStream_tbENKUlT_T0_SK_SP_E_clISE_SE_SF_SF_EEDaS13_S14_SK_SP_EUlS13_E_NS1_11comp_targetILNS1_3genE3ELNS1_11target_archE908ELNS1_3gpuE7ELNS1_3repE0EEENS1_47radix_sort_onesweep_sort_config_static_selectorELNS0_4arch9wavefront6targetE1EEEvSK_
    .private_segment_fixed_size: 0
    .sgpr_count:     4
    .sgpr_spill_count: 0
    .symbol:         _ZN7rocprim17ROCPRIM_400000_NS6detail17trampoline_kernelINS0_14default_configENS1_35radix_sort_onesweep_config_selectorIyNS0_10empty_typeEEEZZNS1_29radix_sort_onesweep_iterationIS3_Lb0EN6thrust23THRUST_200600_302600_NS6detail15normal_iteratorINS9_10device_ptrIyEEEESE_PS5_SF_jNS0_19identity_decomposerENS1_16block_id_wrapperIjLb1EEEEE10hipError_tT1_PNSt15iterator_traitsISK_E10value_typeET2_T3_PNSL_ISQ_E10value_typeET4_T5_PSV_SW_PNS1_23onesweep_lookback_stateEbbT6_jjT7_P12ihipStream_tbENKUlT_T0_SK_SP_E_clISE_SE_SF_SF_EEDaS13_S14_SK_SP_EUlS13_E_NS1_11comp_targetILNS1_3genE3ELNS1_11target_archE908ELNS1_3gpuE7ELNS1_3repE0EEENS1_47radix_sort_onesweep_sort_config_static_selectorELNS0_4arch9wavefront6targetE1EEEvSK_.kd
    .uniform_work_group_size: 1
    .uses_dynamic_stack: false
    .vgpr_count:     0
    .vgpr_spill_count: 0
    .wavefront_size: 64
  - .agpr_count:     0
    .args:
      - .offset:         0
        .size:           88
        .value_kind:     by_value
    .group_segment_fixed_size: 0
    .kernarg_segment_align: 8
    .kernarg_segment_size: 88
    .language:       OpenCL C
    .language_version:
      - 2
      - 0
    .max_flat_workgroup_size: 512
    .name:           _ZN7rocprim17ROCPRIM_400000_NS6detail17trampoline_kernelINS0_14default_configENS1_35radix_sort_onesweep_config_selectorIyNS0_10empty_typeEEEZZNS1_29radix_sort_onesweep_iterationIS3_Lb0EN6thrust23THRUST_200600_302600_NS6detail15normal_iteratorINS9_10device_ptrIyEEEESE_PS5_SF_jNS0_19identity_decomposerENS1_16block_id_wrapperIjLb1EEEEE10hipError_tT1_PNSt15iterator_traitsISK_E10value_typeET2_T3_PNSL_ISQ_E10value_typeET4_T5_PSV_SW_PNS1_23onesweep_lookback_stateEbbT6_jjT7_P12ihipStream_tbENKUlT_T0_SK_SP_E_clISE_SE_SF_SF_EEDaS13_S14_SK_SP_EUlS13_E_NS1_11comp_targetILNS1_3genE10ELNS1_11target_archE1201ELNS1_3gpuE5ELNS1_3repE0EEENS1_47radix_sort_onesweep_sort_config_static_selectorELNS0_4arch9wavefront6targetE1EEEvSK_
    .private_segment_fixed_size: 0
    .sgpr_count:     4
    .sgpr_spill_count: 0
    .symbol:         _ZN7rocprim17ROCPRIM_400000_NS6detail17trampoline_kernelINS0_14default_configENS1_35radix_sort_onesweep_config_selectorIyNS0_10empty_typeEEEZZNS1_29radix_sort_onesweep_iterationIS3_Lb0EN6thrust23THRUST_200600_302600_NS6detail15normal_iteratorINS9_10device_ptrIyEEEESE_PS5_SF_jNS0_19identity_decomposerENS1_16block_id_wrapperIjLb1EEEEE10hipError_tT1_PNSt15iterator_traitsISK_E10value_typeET2_T3_PNSL_ISQ_E10value_typeET4_T5_PSV_SW_PNS1_23onesweep_lookback_stateEbbT6_jjT7_P12ihipStream_tbENKUlT_T0_SK_SP_E_clISE_SE_SF_SF_EEDaS13_S14_SK_SP_EUlS13_E_NS1_11comp_targetILNS1_3genE10ELNS1_11target_archE1201ELNS1_3gpuE5ELNS1_3repE0EEENS1_47radix_sort_onesweep_sort_config_static_selectorELNS0_4arch9wavefront6targetE1EEEvSK_.kd
    .uniform_work_group_size: 1
    .uses_dynamic_stack: false
    .vgpr_count:     0
    .vgpr_spill_count: 0
    .wavefront_size: 64
  - .agpr_count:     0
    .args:
      - .offset:         0
        .size:           88
        .value_kind:     by_value
    .group_segment_fixed_size: 0
    .kernarg_segment_align: 8
    .kernarg_segment_size: 88
    .language:       OpenCL C
    .language_version:
      - 2
      - 0
    .max_flat_workgroup_size: 1024
    .name:           _ZN7rocprim17ROCPRIM_400000_NS6detail17trampoline_kernelINS0_14default_configENS1_35radix_sort_onesweep_config_selectorIyNS0_10empty_typeEEEZZNS1_29radix_sort_onesweep_iterationIS3_Lb0EN6thrust23THRUST_200600_302600_NS6detail15normal_iteratorINS9_10device_ptrIyEEEESE_PS5_SF_jNS0_19identity_decomposerENS1_16block_id_wrapperIjLb1EEEEE10hipError_tT1_PNSt15iterator_traitsISK_E10value_typeET2_T3_PNSL_ISQ_E10value_typeET4_T5_PSV_SW_PNS1_23onesweep_lookback_stateEbbT6_jjT7_P12ihipStream_tbENKUlT_T0_SK_SP_E_clISE_SE_SF_SF_EEDaS13_S14_SK_SP_EUlS13_E_NS1_11comp_targetILNS1_3genE9ELNS1_11target_archE1100ELNS1_3gpuE3ELNS1_3repE0EEENS1_47radix_sort_onesweep_sort_config_static_selectorELNS0_4arch9wavefront6targetE1EEEvSK_
    .private_segment_fixed_size: 0
    .sgpr_count:     4
    .sgpr_spill_count: 0
    .symbol:         _ZN7rocprim17ROCPRIM_400000_NS6detail17trampoline_kernelINS0_14default_configENS1_35radix_sort_onesweep_config_selectorIyNS0_10empty_typeEEEZZNS1_29radix_sort_onesweep_iterationIS3_Lb0EN6thrust23THRUST_200600_302600_NS6detail15normal_iteratorINS9_10device_ptrIyEEEESE_PS5_SF_jNS0_19identity_decomposerENS1_16block_id_wrapperIjLb1EEEEE10hipError_tT1_PNSt15iterator_traitsISK_E10value_typeET2_T3_PNSL_ISQ_E10value_typeET4_T5_PSV_SW_PNS1_23onesweep_lookback_stateEbbT6_jjT7_P12ihipStream_tbENKUlT_T0_SK_SP_E_clISE_SE_SF_SF_EEDaS13_S14_SK_SP_EUlS13_E_NS1_11comp_targetILNS1_3genE9ELNS1_11target_archE1100ELNS1_3gpuE3ELNS1_3repE0EEENS1_47radix_sort_onesweep_sort_config_static_selectorELNS0_4arch9wavefront6targetE1EEEvSK_.kd
    .uniform_work_group_size: 1
    .uses_dynamic_stack: false
    .vgpr_count:     0
    .vgpr_spill_count: 0
    .wavefront_size: 64
  - .agpr_count:     0
    .args:
      - .offset:         0
        .size:           88
        .value_kind:     by_value
    .group_segment_fixed_size: 0
    .kernarg_segment_align: 8
    .kernarg_segment_size: 88
    .language:       OpenCL C
    .language_version:
      - 2
      - 0
    .max_flat_workgroup_size: 1024
    .name:           _ZN7rocprim17ROCPRIM_400000_NS6detail17trampoline_kernelINS0_14default_configENS1_35radix_sort_onesweep_config_selectorIyNS0_10empty_typeEEEZZNS1_29radix_sort_onesweep_iterationIS3_Lb0EN6thrust23THRUST_200600_302600_NS6detail15normal_iteratorINS9_10device_ptrIyEEEESE_PS5_SF_jNS0_19identity_decomposerENS1_16block_id_wrapperIjLb1EEEEE10hipError_tT1_PNSt15iterator_traitsISK_E10value_typeET2_T3_PNSL_ISQ_E10value_typeET4_T5_PSV_SW_PNS1_23onesweep_lookback_stateEbbT6_jjT7_P12ihipStream_tbENKUlT_T0_SK_SP_E_clISE_SE_SF_SF_EEDaS13_S14_SK_SP_EUlS13_E_NS1_11comp_targetILNS1_3genE8ELNS1_11target_archE1030ELNS1_3gpuE2ELNS1_3repE0EEENS1_47radix_sort_onesweep_sort_config_static_selectorELNS0_4arch9wavefront6targetE1EEEvSK_
    .private_segment_fixed_size: 0
    .sgpr_count:     4
    .sgpr_spill_count: 0
    .symbol:         _ZN7rocprim17ROCPRIM_400000_NS6detail17trampoline_kernelINS0_14default_configENS1_35radix_sort_onesweep_config_selectorIyNS0_10empty_typeEEEZZNS1_29radix_sort_onesweep_iterationIS3_Lb0EN6thrust23THRUST_200600_302600_NS6detail15normal_iteratorINS9_10device_ptrIyEEEESE_PS5_SF_jNS0_19identity_decomposerENS1_16block_id_wrapperIjLb1EEEEE10hipError_tT1_PNSt15iterator_traitsISK_E10value_typeET2_T3_PNSL_ISQ_E10value_typeET4_T5_PSV_SW_PNS1_23onesweep_lookback_stateEbbT6_jjT7_P12ihipStream_tbENKUlT_T0_SK_SP_E_clISE_SE_SF_SF_EEDaS13_S14_SK_SP_EUlS13_E_NS1_11comp_targetILNS1_3genE8ELNS1_11target_archE1030ELNS1_3gpuE2ELNS1_3repE0EEENS1_47radix_sort_onesweep_sort_config_static_selectorELNS0_4arch9wavefront6targetE1EEEvSK_.kd
    .uniform_work_group_size: 1
    .uses_dynamic_stack: false
    .vgpr_count:     0
    .vgpr_spill_count: 0
    .wavefront_size: 64
  - .agpr_count:     0
    .args:
      - .offset:         0
        .size:           88
        .value_kind:     by_value
    .group_segment_fixed_size: 0
    .kernarg_segment_align: 8
    .kernarg_segment_size: 88
    .language:       OpenCL C
    .language_version:
      - 2
      - 0
    .max_flat_workgroup_size: 512
    .name:           _ZN7rocprim17ROCPRIM_400000_NS6detail17trampoline_kernelINS0_14default_configENS1_35radix_sort_onesweep_config_selectorIyNS0_10empty_typeEEEZZNS1_29radix_sort_onesweep_iterationIS3_Lb0EN6thrust23THRUST_200600_302600_NS6detail15normal_iteratorINS9_10device_ptrIyEEEESE_PS5_SF_jNS0_19identity_decomposerENS1_16block_id_wrapperIjLb1EEEEE10hipError_tT1_PNSt15iterator_traitsISK_E10value_typeET2_T3_PNSL_ISQ_E10value_typeET4_T5_PSV_SW_PNS1_23onesweep_lookback_stateEbbT6_jjT7_P12ihipStream_tbENKUlT_T0_SK_SP_E_clISE_PySF_SF_EEDaS13_S14_SK_SP_EUlS13_E_NS1_11comp_targetILNS1_3genE0ELNS1_11target_archE4294967295ELNS1_3gpuE0ELNS1_3repE0EEENS1_47radix_sort_onesweep_sort_config_static_selectorELNS0_4arch9wavefront6targetE1EEEvSK_
    .private_segment_fixed_size: 0
    .sgpr_count:     4
    .sgpr_spill_count: 0
    .symbol:         _ZN7rocprim17ROCPRIM_400000_NS6detail17trampoline_kernelINS0_14default_configENS1_35radix_sort_onesweep_config_selectorIyNS0_10empty_typeEEEZZNS1_29radix_sort_onesweep_iterationIS3_Lb0EN6thrust23THRUST_200600_302600_NS6detail15normal_iteratorINS9_10device_ptrIyEEEESE_PS5_SF_jNS0_19identity_decomposerENS1_16block_id_wrapperIjLb1EEEEE10hipError_tT1_PNSt15iterator_traitsISK_E10value_typeET2_T3_PNSL_ISQ_E10value_typeET4_T5_PSV_SW_PNS1_23onesweep_lookback_stateEbbT6_jjT7_P12ihipStream_tbENKUlT_T0_SK_SP_E_clISE_PySF_SF_EEDaS13_S14_SK_SP_EUlS13_E_NS1_11comp_targetILNS1_3genE0ELNS1_11target_archE4294967295ELNS1_3gpuE0ELNS1_3repE0EEENS1_47radix_sort_onesweep_sort_config_static_selectorELNS0_4arch9wavefront6targetE1EEEvSK_.kd
    .uniform_work_group_size: 1
    .uses_dynamic_stack: false
    .vgpr_count:     0
    .vgpr_spill_count: 0
    .wavefront_size: 64
  - .agpr_count:     0
    .args:
      - .offset:         0
        .size:           88
        .value_kind:     by_value
    .group_segment_fixed_size: 0
    .kernarg_segment_align: 8
    .kernarg_segment_size: 88
    .language:       OpenCL C
    .language_version:
      - 2
      - 0
    .max_flat_workgroup_size: 512
    .name:           _ZN7rocprim17ROCPRIM_400000_NS6detail17trampoline_kernelINS0_14default_configENS1_35radix_sort_onesweep_config_selectorIyNS0_10empty_typeEEEZZNS1_29radix_sort_onesweep_iterationIS3_Lb0EN6thrust23THRUST_200600_302600_NS6detail15normal_iteratorINS9_10device_ptrIyEEEESE_PS5_SF_jNS0_19identity_decomposerENS1_16block_id_wrapperIjLb1EEEEE10hipError_tT1_PNSt15iterator_traitsISK_E10value_typeET2_T3_PNSL_ISQ_E10value_typeET4_T5_PSV_SW_PNS1_23onesweep_lookback_stateEbbT6_jjT7_P12ihipStream_tbENKUlT_T0_SK_SP_E_clISE_PySF_SF_EEDaS13_S14_SK_SP_EUlS13_E_NS1_11comp_targetILNS1_3genE6ELNS1_11target_archE950ELNS1_3gpuE13ELNS1_3repE0EEENS1_47radix_sort_onesweep_sort_config_static_selectorELNS0_4arch9wavefront6targetE1EEEvSK_
    .private_segment_fixed_size: 0
    .sgpr_count:     4
    .sgpr_spill_count: 0
    .symbol:         _ZN7rocprim17ROCPRIM_400000_NS6detail17trampoline_kernelINS0_14default_configENS1_35radix_sort_onesweep_config_selectorIyNS0_10empty_typeEEEZZNS1_29radix_sort_onesweep_iterationIS3_Lb0EN6thrust23THRUST_200600_302600_NS6detail15normal_iteratorINS9_10device_ptrIyEEEESE_PS5_SF_jNS0_19identity_decomposerENS1_16block_id_wrapperIjLb1EEEEE10hipError_tT1_PNSt15iterator_traitsISK_E10value_typeET2_T3_PNSL_ISQ_E10value_typeET4_T5_PSV_SW_PNS1_23onesweep_lookback_stateEbbT6_jjT7_P12ihipStream_tbENKUlT_T0_SK_SP_E_clISE_PySF_SF_EEDaS13_S14_SK_SP_EUlS13_E_NS1_11comp_targetILNS1_3genE6ELNS1_11target_archE950ELNS1_3gpuE13ELNS1_3repE0EEENS1_47radix_sort_onesweep_sort_config_static_selectorELNS0_4arch9wavefront6targetE1EEEvSK_.kd
    .uniform_work_group_size: 1
    .uses_dynamic_stack: false
    .vgpr_count:     0
    .vgpr_spill_count: 0
    .wavefront_size: 64
  - .agpr_count:     0
    .args:
      - .offset:         0
        .size:           88
        .value_kind:     by_value
    .group_segment_fixed_size: 0
    .kernarg_segment_align: 8
    .kernarg_segment_size: 88
    .language:       OpenCL C
    .language_version:
      - 2
      - 0
    .max_flat_workgroup_size: 512
    .name:           _ZN7rocprim17ROCPRIM_400000_NS6detail17trampoline_kernelINS0_14default_configENS1_35radix_sort_onesweep_config_selectorIyNS0_10empty_typeEEEZZNS1_29radix_sort_onesweep_iterationIS3_Lb0EN6thrust23THRUST_200600_302600_NS6detail15normal_iteratorINS9_10device_ptrIyEEEESE_PS5_SF_jNS0_19identity_decomposerENS1_16block_id_wrapperIjLb1EEEEE10hipError_tT1_PNSt15iterator_traitsISK_E10value_typeET2_T3_PNSL_ISQ_E10value_typeET4_T5_PSV_SW_PNS1_23onesweep_lookback_stateEbbT6_jjT7_P12ihipStream_tbENKUlT_T0_SK_SP_E_clISE_PySF_SF_EEDaS13_S14_SK_SP_EUlS13_E_NS1_11comp_targetILNS1_3genE5ELNS1_11target_archE942ELNS1_3gpuE9ELNS1_3repE0EEENS1_47radix_sort_onesweep_sort_config_static_selectorELNS0_4arch9wavefront6targetE1EEEvSK_
    .private_segment_fixed_size: 0
    .sgpr_count:     4
    .sgpr_spill_count: 0
    .symbol:         _ZN7rocprim17ROCPRIM_400000_NS6detail17trampoline_kernelINS0_14default_configENS1_35radix_sort_onesweep_config_selectorIyNS0_10empty_typeEEEZZNS1_29radix_sort_onesweep_iterationIS3_Lb0EN6thrust23THRUST_200600_302600_NS6detail15normal_iteratorINS9_10device_ptrIyEEEESE_PS5_SF_jNS0_19identity_decomposerENS1_16block_id_wrapperIjLb1EEEEE10hipError_tT1_PNSt15iterator_traitsISK_E10value_typeET2_T3_PNSL_ISQ_E10value_typeET4_T5_PSV_SW_PNS1_23onesweep_lookback_stateEbbT6_jjT7_P12ihipStream_tbENKUlT_T0_SK_SP_E_clISE_PySF_SF_EEDaS13_S14_SK_SP_EUlS13_E_NS1_11comp_targetILNS1_3genE5ELNS1_11target_archE942ELNS1_3gpuE9ELNS1_3repE0EEENS1_47radix_sort_onesweep_sort_config_static_selectorELNS0_4arch9wavefront6targetE1EEEvSK_.kd
    .uniform_work_group_size: 1
    .uses_dynamic_stack: false
    .vgpr_count:     0
    .vgpr_spill_count: 0
    .wavefront_size: 64
  - .agpr_count:     0
    .args:
      - .offset:         0
        .size:           88
        .value_kind:     by_value
    .group_segment_fixed_size: 0
    .kernarg_segment_align: 8
    .kernarg_segment_size: 88
    .language:       OpenCL C
    .language_version:
      - 2
      - 0
    .max_flat_workgroup_size: 512
    .name:           _ZN7rocprim17ROCPRIM_400000_NS6detail17trampoline_kernelINS0_14default_configENS1_35radix_sort_onesweep_config_selectorIyNS0_10empty_typeEEEZZNS1_29radix_sort_onesweep_iterationIS3_Lb0EN6thrust23THRUST_200600_302600_NS6detail15normal_iteratorINS9_10device_ptrIyEEEESE_PS5_SF_jNS0_19identity_decomposerENS1_16block_id_wrapperIjLb1EEEEE10hipError_tT1_PNSt15iterator_traitsISK_E10value_typeET2_T3_PNSL_ISQ_E10value_typeET4_T5_PSV_SW_PNS1_23onesweep_lookback_stateEbbT6_jjT7_P12ihipStream_tbENKUlT_T0_SK_SP_E_clISE_PySF_SF_EEDaS13_S14_SK_SP_EUlS13_E_NS1_11comp_targetILNS1_3genE2ELNS1_11target_archE906ELNS1_3gpuE6ELNS1_3repE0EEENS1_47radix_sort_onesweep_sort_config_static_selectorELNS0_4arch9wavefront6targetE1EEEvSK_
    .private_segment_fixed_size: 0
    .sgpr_count:     4
    .sgpr_spill_count: 0
    .symbol:         _ZN7rocprim17ROCPRIM_400000_NS6detail17trampoline_kernelINS0_14default_configENS1_35radix_sort_onesweep_config_selectorIyNS0_10empty_typeEEEZZNS1_29radix_sort_onesweep_iterationIS3_Lb0EN6thrust23THRUST_200600_302600_NS6detail15normal_iteratorINS9_10device_ptrIyEEEESE_PS5_SF_jNS0_19identity_decomposerENS1_16block_id_wrapperIjLb1EEEEE10hipError_tT1_PNSt15iterator_traitsISK_E10value_typeET2_T3_PNSL_ISQ_E10value_typeET4_T5_PSV_SW_PNS1_23onesweep_lookback_stateEbbT6_jjT7_P12ihipStream_tbENKUlT_T0_SK_SP_E_clISE_PySF_SF_EEDaS13_S14_SK_SP_EUlS13_E_NS1_11comp_targetILNS1_3genE2ELNS1_11target_archE906ELNS1_3gpuE6ELNS1_3repE0EEENS1_47radix_sort_onesweep_sort_config_static_selectorELNS0_4arch9wavefront6targetE1EEEvSK_.kd
    .uniform_work_group_size: 1
    .uses_dynamic_stack: false
    .vgpr_count:     0
    .vgpr_spill_count: 0
    .wavefront_size: 64
  - .agpr_count:     0
    .args:
      - .offset:         0
        .size:           88
        .value_kind:     by_value
      - .offset:         88
        .size:           4
        .value_kind:     hidden_block_count_x
      - .offset:         92
        .size:           4
        .value_kind:     hidden_block_count_y
      - .offset:         96
        .size:           4
        .value_kind:     hidden_block_count_z
      - .offset:         100
        .size:           2
        .value_kind:     hidden_group_size_x
      - .offset:         102
        .size:           2
        .value_kind:     hidden_group_size_y
      - .offset:         104
        .size:           2
        .value_kind:     hidden_group_size_z
      - .offset:         106
        .size:           2
        .value_kind:     hidden_remainder_x
      - .offset:         108
        .size:           2
        .value_kind:     hidden_remainder_y
      - .offset:         110
        .size:           2
        .value_kind:     hidden_remainder_z
      - .offset:         128
        .size:           8
        .value_kind:     hidden_global_offset_x
      - .offset:         136
        .size:           8
        .value_kind:     hidden_global_offset_y
      - .offset:         144
        .size:           8
        .value_kind:     hidden_global_offset_z
      - .offset:         152
        .size:           2
        .value_kind:     hidden_grid_dims
    .group_segment_fixed_size: 20552
    .kernarg_segment_align: 8
    .kernarg_segment_size: 344
    .language:       OpenCL C
    .language_version:
      - 2
      - 0
    .max_flat_workgroup_size: 1024
    .name:           _ZN7rocprim17ROCPRIM_400000_NS6detail17trampoline_kernelINS0_14default_configENS1_35radix_sort_onesweep_config_selectorIyNS0_10empty_typeEEEZZNS1_29radix_sort_onesweep_iterationIS3_Lb0EN6thrust23THRUST_200600_302600_NS6detail15normal_iteratorINS9_10device_ptrIyEEEESE_PS5_SF_jNS0_19identity_decomposerENS1_16block_id_wrapperIjLb1EEEEE10hipError_tT1_PNSt15iterator_traitsISK_E10value_typeET2_T3_PNSL_ISQ_E10value_typeET4_T5_PSV_SW_PNS1_23onesweep_lookback_stateEbbT6_jjT7_P12ihipStream_tbENKUlT_T0_SK_SP_E_clISE_PySF_SF_EEDaS13_S14_SK_SP_EUlS13_E_NS1_11comp_targetILNS1_3genE4ELNS1_11target_archE910ELNS1_3gpuE8ELNS1_3repE0EEENS1_47radix_sort_onesweep_sort_config_static_selectorELNS0_4arch9wavefront6targetE1EEEvSK_
    .private_segment_fixed_size: 0
    .sgpr_count:     38
    .sgpr_spill_count: 0
    .symbol:         _ZN7rocprim17ROCPRIM_400000_NS6detail17trampoline_kernelINS0_14default_configENS1_35radix_sort_onesweep_config_selectorIyNS0_10empty_typeEEEZZNS1_29radix_sort_onesweep_iterationIS3_Lb0EN6thrust23THRUST_200600_302600_NS6detail15normal_iteratorINS9_10device_ptrIyEEEESE_PS5_SF_jNS0_19identity_decomposerENS1_16block_id_wrapperIjLb1EEEEE10hipError_tT1_PNSt15iterator_traitsISK_E10value_typeET2_T3_PNSL_ISQ_E10value_typeET4_T5_PSV_SW_PNS1_23onesweep_lookback_stateEbbT6_jjT7_P12ihipStream_tbENKUlT_T0_SK_SP_E_clISE_PySF_SF_EEDaS13_S14_SK_SP_EUlS13_E_NS1_11comp_targetILNS1_3genE4ELNS1_11target_archE910ELNS1_3gpuE8ELNS1_3repE0EEENS1_47radix_sort_onesweep_sort_config_static_selectorELNS0_4arch9wavefront6targetE1EEEvSK_.kd
    .uniform_work_group_size: 1
    .uses_dynamic_stack: false
    .vgpr_count:     55
    .vgpr_spill_count: 0
    .wavefront_size: 64
  - .agpr_count:     0
    .args:
      - .offset:         0
        .size:           88
        .value_kind:     by_value
    .group_segment_fixed_size: 0
    .kernarg_segment_align: 8
    .kernarg_segment_size: 88
    .language:       OpenCL C
    .language_version:
      - 2
      - 0
    .max_flat_workgroup_size: 512
    .name:           _ZN7rocprim17ROCPRIM_400000_NS6detail17trampoline_kernelINS0_14default_configENS1_35radix_sort_onesweep_config_selectorIyNS0_10empty_typeEEEZZNS1_29radix_sort_onesweep_iterationIS3_Lb0EN6thrust23THRUST_200600_302600_NS6detail15normal_iteratorINS9_10device_ptrIyEEEESE_PS5_SF_jNS0_19identity_decomposerENS1_16block_id_wrapperIjLb1EEEEE10hipError_tT1_PNSt15iterator_traitsISK_E10value_typeET2_T3_PNSL_ISQ_E10value_typeET4_T5_PSV_SW_PNS1_23onesweep_lookback_stateEbbT6_jjT7_P12ihipStream_tbENKUlT_T0_SK_SP_E_clISE_PySF_SF_EEDaS13_S14_SK_SP_EUlS13_E_NS1_11comp_targetILNS1_3genE3ELNS1_11target_archE908ELNS1_3gpuE7ELNS1_3repE0EEENS1_47radix_sort_onesweep_sort_config_static_selectorELNS0_4arch9wavefront6targetE1EEEvSK_
    .private_segment_fixed_size: 0
    .sgpr_count:     4
    .sgpr_spill_count: 0
    .symbol:         _ZN7rocprim17ROCPRIM_400000_NS6detail17trampoline_kernelINS0_14default_configENS1_35radix_sort_onesweep_config_selectorIyNS0_10empty_typeEEEZZNS1_29radix_sort_onesweep_iterationIS3_Lb0EN6thrust23THRUST_200600_302600_NS6detail15normal_iteratorINS9_10device_ptrIyEEEESE_PS5_SF_jNS0_19identity_decomposerENS1_16block_id_wrapperIjLb1EEEEE10hipError_tT1_PNSt15iterator_traitsISK_E10value_typeET2_T3_PNSL_ISQ_E10value_typeET4_T5_PSV_SW_PNS1_23onesweep_lookback_stateEbbT6_jjT7_P12ihipStream_tbENKUlT_T0_SK_SP_E_clISE_PySF_SF_EEDaS13_S14_SK_SP_EUlS13_E_NS1_11comp_targetILNS1_3genE3ELNS1_11target_archE908ELNS1_3gpuE7ELNS1_3repE0EEENS1_47radix_sort_onesweep_sort_config_static_selectorELNS0_4arch9wavefront6targetE1EEEvSK_.kd
    .uniform_work_group_size: 1
    .uses_dynamic_stack: false
    .vgpr_count:     0
    .vgpr_spill_count: 0
    .wavefront_size: 64
  - .agpr_count:     0
    .args:
      - .offset:         0
        .size:           88
        .value_kind:     by_value
    .group_segment_fixed_size: 0
    .kernarg_segment_align: 8
    .kernarg_segment_size: 88
    .language:       OpenCL C
    .language_version:
      - 2
      - 0
    .max_flat_workgroup_size: 512
    .name:           _ZN7rocprim17ROCPRIM_400000_NS6detail17trampoline_kernelINS0_14default_configENS1_35radix_sort_onesweep_config_selectorIyNS0_10empty_typeEEEZZNS1_29radix_sort_onesweep_iterationIS3_Lb0EN6thrust23THRUST_200600_302600_NS6detail15normal_iteratorINS9_10device_ptrIyEEEESE_PS5_SF_jNS0_19identity_decomposerENS1_16block_id_wrapperIjLb1EEEEE10hipError_tT1_PNSt15iterator_traitsISK_E10value_typeET2_T3_PNSL_ISQ_E10value_typeET4_T5_PSV_SW_PNS1_23onesweep_lookback_stateEbbT6_jjT7_P12ihipStream_tbENKUlT_T0_SK_SP_E_clISE_PySF_SF_EEDaS13_S14_SK_SP_EUlS13_E_NS1_11comp_targetILNS1_3genE10ELNS1_11target_archE1201ELNS1_3gpuE5ELNS1_3repE0EEENS1_47radix_sort_onesweep_sort_config_static_selectorELNS0_4arch9wavefront6targetE1EEEvSK_
    .private_segment_fixed_size: 0
    .sgpr_count:     4
    .sgpr_spill_count: 0
    .symbol:         _ZN7rocprim17ROCPRIM_400000_NS6detail17trampoline_kernelINS0_14default_configENS1_35radix_sort_onesweep_config_selectorIyNS0_10empty_typeEEEZZNS1_29radix_sort_onesweep_iterationIS3_Lb0EN6thrust23THRUST_200600_302600_NS6detail15normal_iteratorINS9_10device_ptrIyEEEESE_PS5_SF_jNS0_19identity_decomposerENS1_16block_id_wrapperIjLb1EEEEE10hipError_tT1_PNSt15iterator_traitsISK_E10value_typeET2_T3_PNSL_ISQ_E10value_typeET4_T5_PSV_SW_PNS1_23onesweep_lookback_stateEbbT6_jjT7_P12ihipStream_tbENKUlT_T0_SK_SP_E_clISE_PySF_SF_EEDaS13_S14_SK_SP_EUlS13_E_NS1_11comp_targetILNS1_3genE10ELNS1_11target_archE1201ELNS1_3gpuE5ELNS1_3repE0EEENS1_47radix_sort_onesweep_sort_config_static_selectorELNS0_4arch9wavefront6targetE1EEEvSK_.kd
    .uniform_work_group_size: 1
    .uses_dynamic_stack: false
    .vgpr_count:     0
    .vgpr_spill_count: 0
    .wavefront_size: 64
  - .agpr_count:     0
    .args:
      - .offset:         0
        .size:           88
        .value_kind:     by_value
    .group_segment_fixed_size: 0
    .kernarg_segment_align: 8
    .kernarg_segment_size: 88
    .language:       OpenCL C
    .language_version:
      - 2
      - 0
    .max_flat_workgroup_size: 1024
    .name:           _ZN7rocprim17ROCPRIM_400000_NS6detail17trampoline_kernelINS0_14default_configENS1_35radix_sort_onesweep_config_selectorIyNS0_10empty_typeEEEZZNS1_29radix_sort_onesweep_iterationIS3_Lb0EN6thrust23THRUST_200600_302600_NS6detail15normal_iteratorINS9_10device_ptrIyEEEESE_PS5_SF_jNS0_19identity_decomposerENS1_16block_id_wrapperIjLb1EEEEE10hipError_tT1_PNSt15iterator_traitsISK_E10value_typeET2_T3_PNSL_ISQ_E10value_typeET4_T5_PSV_SW_PNS1_23onesweep_lookback_stateEbbT6_jjT7_P12ihipStream_tbENKUlT_T0_SK_SP_E_clISE_PySF_SF_EEDaS13_S14_SK_SP_EUlS13_E_NS1_11comp_targetILNS1_3genE9ELNS1_11target_archE1100ELNS1_3gpuE3ELNS1_3repE0EEENS1_47radix_sort_onesweep_sort_config_static_selectorELNS0_4arch9wavefront6targetE1EEEvSK_
    .private_segment_fixed_size: 0
    .sgpr_count:     4
    .sgpr_spill_count: 0
    .symbol:         _ZN7rocprim17ROCPRIM_400000_NS6detail17trampoline_kernelINS0_14default_configENS1_35radix_sort_onesweep_config_selectorIyNS0_10empty_typeEEEZZNS1_29radix_sort_onesweep_iterationIS3_Lb0EN6thrust23THRUST_200600_302600_NS6detail15normal_iteratorINS9_10device_ptrIyEEEESE_PS5_SF_jNS0_19identity_decomposerENS1_16block_id_wrapperIjLb1EEEEE10hipError_tT1_PNSt15iterator_traitsISK_E10value_typeET2_T3_PNSL_ISQ_E10value_typeET4_T5_PSV_SW_PNS1_23onesweep_lookback_stateEbbT6_jjT7_P12ihipStream_tbENKUlT_T0_SK_SP_E_clISE_PySF_SF_EEDaS13_S14_SK_SP_EUlS13_E_NS1_11comp_targetILNS1_3genE9ELNS1_11target_archE1100ELNS1_3gpuE3ELNS1_3repE0EEENS1_47radix_sort_onesweep_sort_config_static_selectorELNS0_4arch9wavefront6targetE1EEEvSK_.kd
    .uniform_work_group_size: 1
    .uses_dynamic_stack: false
    .vgpr_count:     0
    .vgpr_spill_count: 0
    .wavefront_size: 64
  - .agpr_count:     0
    .args:
      - .offset:         0
        .size:           88
        .value_kind:     by_value
    .group_segment_fixed_size: 0
    .kernarg_segment_align: 8
    .kernarg_segment_size: 88
    .language:       OpenCL C
    .language_version:
      - 2
      - 0
    .max_flat_workgroup_size: 1024
    .name:           _ZN7rocprim17ROCPRIM_400000_NS6detail17trampoline_kernelINS0_14default_configENS1_35radix_sort_onesweep_config_selectorIyNS0_10empty_typeEEEZZNS1_29radix_sort_onesweep_iterationIS3_Lb0EN6thrust23THRUST_200600_302600_NS6detail15normal_iteratorINS9_10device_ptrIyEEEESE_PS5_SF_jNS0_19identity_decomposerENS1_16block_id_wrapperIjLb1EEEEE10hipError_tT1_PNSt15iterator_traitsISK_E10value_typeET2_T3_PNSL_ISQ_E10value_typeET4_T5_PSV_SW_PNS1_23onesweep_lookback_stateEbbT6_jjT7_P12ihipStream_tbENKUlT_T0_SK_SP_E_clISE_PySF_SF_EEDaS13_S14_SK_SP_EUlS13_E_NS1_11comp_targetILNS1_3genE8ELNS1_11target_archE1030ELNS1_3gpuE2ELNS1_3repE0EEENS1_47radix_sort_onesweep_sort_config_static_selectorELNS0_4arch9wavefront6targetE1EEEvSK_
    .private_segment_fixed_size: 0
    .sgpr_count:     4
    .sgpr_spill_count: 0
    .symbol:         _ZN7rocprim17ROCPRIM_400000_NS6detail17trampoline_kernelINS0_14default_configENS1_35radix_sort_onesweep_config_selectorIyNS0_10empty_typeEEEZZNS1_29radix_sort_onesweep_iterationIS3_Lb0EN6thrust23THRUST_200600_302600_NS6detail15normal_iteratorINS9_10device_ptrIyEEEESE_PS5_SF_jNS0_19identity_decomposerENS1_16block_id_wrapperIjLb1EEEEE10hipError_tT1_PNSt15iterator_traitsISK_E10value_typeET2_T3_PNSL_ISQ_E10value_typeET4_T5_PSV_SW_PNS1_23onesweep_lookback_stateEbbT6_jjT7_P12ihipStream_tbENKUlT_T0_SK_SP_E_clISE_PySF_SF_EEDaS13_S14_SK_SP_EUlS13_E_NS1_11comp_targetILNS1_3genE8ELNS1_11target_archE1030ELNS1_3gpuE2ELNS1_3repE0EEENS1_47radix_sort_onesweep_sort_config_static_selectorELNS0_4arch9wavefront6targetE1EEEvSK_.kd
    .uniform_work_group_size: 1
    .uses_dynamic_stack: false
    .vgpr_count:     0
    .vgpr_spill_count: 0
    .wavefront_size: 64
  - .agpr_count:     0
    .args:
      - .offset:         0
        .size:           88
        .value_kind:     by_value
    .group_segment_fixed_size: 0
    .kernarg_segment_align: 8
    .kernarg_segment_size: 88
    .language:       OpenCL C
    .language_version:
      - 2
      - 0
    .max_flat_workgroup_size: 512
    .name:           _ZN7rocprim17ROCPRIM_400000_NS6detail17trampoline_kernelINS0_14default_configENS1_35radix_sort_onesweep_config_selectorIyNS0_10empty_typeEEEZZNS1_29radix_sort_onesweep_iterationIS3_Lb0EN6thrust23THRUST_200600_302600_NS6detail15normal_iteratorINS9_10device_ptrIyEEEESE_PS5_SF_jNS0_19identity_decomposerENS1_16block_id_wrapperIjLb1EEEEE10hipError_tT1_PNSt15iterator_traitsISK_E10value_typeET2_T3_PNSL_ISQ_E10value_typeET4_T5_PSV_SW_PNS1_23onesweep_lookback_stateEbbT6_jjT7_P12ihipStream_tbENKUlT_T0_SK_SP_E_clIPySE_SF_SF_EEDaS13_S14_SK_SP_EUlS13_E_NS1_11comp_targetILNS1_3genE0ELNS1_11target_archE4294967295ELNS1_3gpuE0ELNS1_3repE0EEENS1_47radix_sort_onesweep_sort_config_static_selectorELNS0_4arch9wavefront6targetE1EEEvSK_
    .private_segment_fixed_size: 0
    .sgpr_count:     4
    .sgpr_spill_count: 0
    .symbol:         _ZN7rocprim17ROCPRIM_400000_NS6detail17trampoline_kernelINS0_14default_configENS1_35radix_sort_onesweep_config_selectorIyNS0_10empty_typeEEEZZNS1_29radix_sort_onesweep_iterationIS3_Lb0EN6thrust23THRUST_200600_302600_NS6detail15normal_iteratorINS9_10device_ptrIyEEEESE_PS5_SF_jNS0_19identity_decomposerENS1_16block_id_wrapperIjLb1EEEEE10hipError_tT1_PNSt15iterator_traitsISK_E10value_typeET2_T3_PNSL_ISQ_E10value_typeET4_T5_PSV_SW_PNS1_23onesweep_lookback_stateEbbT6_jjT7_P12ihipStream_tbENKUlT_T0_SK_SP_E_clIPySE_SF_SF_EEDaS13_S14_SK_SP_EUlS13_E_NS1_11comp_targetILNS1_3genE0ELNS1_11target_archE4294967295ELNS1_3gpuE0ELNS1_3repE0EEENS1_47radix_sort_onesweep_sort_config_static_selectorELNS0_4arch9wavefront6targetE1EEEvSK_.kd
    .uniform_work_group_size: 1
    .uses_dynamic_stack: false
    .vgpr_count:     0
    .vgpr_spill_count: 0
    .wavefront_size: 64
  - .agpr_count:     0
    .args:
      - .offset:         0
        .size:           88
        .value_kind:     by_value
    .group_segment_fixed_size: 0
    .kernarg_segment_align: 8
    .kernarg_segment_size: 88
    .language:       OpenCL C
    .language_version:
      - 2
      - 0
    .max_flat_workgroup_size: 512
    .name:           _ZN7rocprim17ROCPRIM_400000_NS6detail17trampoline_kernelINS0_14default_configENS1_35radix_sort_onesweep_config_selectorIyNS0_10empty_typeEEEZZNS1_29radix_sort_onesweep_iterationIS3_Lb0EN6thrust23THRUST_200600_302600_NS6detail15normal_iteratorINS9_10device_ptrIyEEEESE_PS5_SF_jNS0_19identity_decomposerENS1_16block_id_wrapperIjLb1EEEEE10hipError_tT1_PNSt15iterator_traitsISK_E10value_typeET2_T3_PNSL_ISQ_E10value_typeET4_T5_PSV_SW_PNS1_23onesweep_lookback_stateEbbT6_jjT7_P12ihipStream_tbENKUlT_T0_SK_SP_E_clIPySE_SF_SF_EEDaS13_S14_SK_SP_EUlS13_E_NS1_11comp_targetILNS1_3genE6ELNS1_11target_archE950ELNS1_3gpuE13ELNS1_3repE0EEENS1_47radix_sort_onesweep_sort_config_static_selectorELNS0_4arch9wavefront6targetE1EEEvSK_
    .private_segment_fixed_size: 0
    .sgpr_count:     4
    .sgpr_spill_count: 0
    .symbol:         _ZN7rocprim17ROCPRIM_400000_NS6detail17trampoline_kernelINS0_14default_configENS1_35radix_sort_onesweep_config_selectorIyNS0_10empty_typeEEEZZNS1_29radix_sort_onesweep_iterationIS3_Lb0EN6thrust23THRUST_200600_302600_NS6detail15normal_iteratorINS9_10device_ptrIyEEEESE_PS5_SF_jNS0_19identity_decomposerENS1_16block_id_wrapperIjLb1EEEEE10hipError_tT1_PNSt15iterator_traitsISK_E10value_typeET2_T3_PNSL_ISQ_E10value_typeET4_T5_PSV_SW_PNS1_23onesweep_lookback_stateEbbT6_jjT7_P12ihipStream_tbENKUlT_T0_SK_SP_E_clIPySE_SF_SF_EEDaS13_S14_SK_SP_EUlS13_E_NS1_11comp_targetILNS1_3genE6ELNS1_11target_archE950ELNS1_3gpuE13ELNS1_3repE0EEENS1_47radix_sort_onesweep_sort_config_static_selectorELNS0_4arch9wavefront6targetE1EEEvSK_.kd
    .uniform_work_group_size: 1
    .uses_dynamic_stack: false
    .vgpr_count:     0
    .vgpr_spill_count: 0
    .wavefront_size: 64
  - .agpr_count:     0
    .args:
      - .offset:         0
        .size:           88
        .value_kind:     by_value
    .group_segment_fixed_size: 0
    .kernarg_segment_align: 8
    .kernarg_segment_size: 88
    .language:       OpenCL C
    .language_version:
      - 2
      - 0
    .max_flat_workgroup_size: 512
    .name:           _ZN7rocprim17ROCPRIM_400000_NS6detail17trampoline_kernelINS0_14default_configENS1_35radix_sort_onesweep_config_selectorIyNS0_10empty_typeEEEZZNS1_29radix_sort_onesweep_iterationIS3_Lb0EN6thrust23THRUST_200600_302600_NS6detail15normal_iteratorINS9_10device_ptrIyEEEESE_PS5_SF_jNS0_19identity_decomposerENS1_16block_id_wrapperIjLb1EEEEE10hipError_tT1_PNSt15iterator_traitsISK_E10value_typeET2_T3_PNSL_ISQ_E10value_typeET4_T5_PSV_SW_PNS1_23onesweep_lookback_stateEbbT6_jjT7_P12ihipStream_tbENKUlT_T0_SK_SP_E_clIPySE_SF_SF_EEDaS13_S14_SK_SP_EUlS13_E_NS1_11comp_targetILNS1_3genE5ELNS1_11target_archE942ELNS1_3gpuE9ELNS1_3repE0EEENS1_47radix_sort_onesweep_sort_config_static_selectorELNS0_4arch9wavefront6targetE1EEEvSK_
    .private_segment_fixed_size: 0
    .sgpr_count:     4
    .sgpr_spill_count: 0
    .symbol:         _ZN7rocprim17ROCPRIM_400000_NS6detail17trampoline_kernelINS0_14default_configENS1_35radix_sort_onesweep_config_selectorIyNS0_10empty_typeEEEZZNS1_29radix_sort_onesweep_iterationIS3_Lb0EN6thrust23THRUST_200600_302600_NS6detail15normal_iteratorINS9_10device_ptrIyEEEESE_PS5_SF_jNS0_19identity_decomposerENS1_16block_id_wrapperIjLb1EEEEE10hipError_tT1_PNSt15iterator_traitsISK_E10value_typeET2_T3_PNSL_ISQ_E10value_typeET4_T5_PSV_SW_PNS1_23onesweep_lookback_stateEbbT6_jjT7_P12ihipStream_tbENKUlT_T0_SK_SP_E_clIPySE_SF_SF_EEDaS13_S14_SK_SP_EUlS13_E_NS1_11comp_targetILNS1_3genE5ELNS1_11target_archE942ELNS1_3gpuE9ELNS1_3repE0EEENS1_47radix_sort_onesweep_sort_config_static_selectorELNS0_4arch9wavefront6targetE1EEEvSK_.kd
    .uniform_work_group_size: 1
    .uses_dynamic_stack: false
    .vgpr_count:     0
    .vgpr_spill_count: 0
    .wavefront_size: 64
  - .agpr_count:     0
    .args:
      - .offset:         0
        .size:           88
        .value_kind:     by_value
    .group_segment_fixed_size: 0
    .kernarg_segment_align: 8
    .kernarg_segment_size: 88
    .language:       OpenCL C
    .language_version:
      - 2
      - 0
    .max_flat_workgroup_size: 512
    .name:           _ZN7rocprim17ROCPRIM_400000_NS6detail17trampoline_kernelINS0_14default_configENS1_35radix_sort_onesweep_config_selectorIyNS0_10empty_typeEEEZZNS1_29radix_sort_onesweep_iterationIS3_Lb0EN6thrust23THRUST_200600_302600_NS6detail15normal_iteratorINS9_10device_ptrIyEEEESE_PS5_SF_jNS0_19identity_decomposerENS1_16block_id_wrapperIjLb1EEEEE10hipError_tT1_PNSt15iterator_traitsISK_E10value_typeET2_T3_PNSL_ISQ_E10value_typeET4_T5_PSV_SW_PNS1_23onesweep_lookback_stateEbbT6_jjT7_P12ihipStream_tbENKUlT_T0_SK_SP_E_clIPySE_SF_SF_EEDaS13_S14_SK_SP_EUlS13_E_NS1_11comp_targetILNS1_3genE2ELNS1_11target_archE906ELNS1_3gpuE6ELNS1_3repE0EEENS1_47radix_sort_onesweep_sort_config_static_selectorELNS0_4arch9wavefront6targetE1EEEvSK_
    .private_segment_fixed_size: 0
    .sgpr_count:     4
    .sgpr_spill_count: 0
    .symbol:         _ZN7rocprim17ROCPRIM_400000_NS6detail17trampoline_kernelINS0_14default_configENS1_35radix_sort_onesweep_config_selectorIyNS0_10empty_typeEEEZZNS1_29radix_sort_onesweep_iterationIS3_Lb0EN6thrust23THRUST_200600_302600_NS6detail15normal_iteratorINS9_10device_ptrIyEEEESE_PS5_SF_jNS0_19identity_decomposerENS1_16block_id_wrapperIjLb1EEEEE10hipError_tT1_PNSt15iterator_traitsISK_E10value_typeET2_T3_PNSL_ISQ_E10value_typeET4_T5_PSV_SW_PNS1_23onesweep_lookback_stateEbbT6_jjT7_P12ihipStream_tbENKUlT_T0_SK_SP_E_clIPySE_SF_SF_EEDaS13_S14_SK_SP_EUlS13_E_NS1_11comp_targetILNS1_3genE2ELNS1_11target_archE906ELNS1_3gpuE6ELNS1_3repE0EEENS1_47radix_sort_onesweep_sort_config_static_selectorELNS0_4arch9wavefront6targetE1EEEvSK_.kd
    .uniform_work_group_size: 1
    .uses_dynamic_stack: false
    .vgpr_count:     0
    .vgpr_spill_count: 0
    .wavefront_size: 64
  - .agpr_count:     0
    .args:
      - .offset:         0
        .size:           88
        .value_kind:     by_value
      - .offset:         88
        .size:           4
        .value_kind:     hidden_block_count_x
      - .offset:         92
        .size:           4
        .value_kind:     hidden_block_count_y
      - .offset:         96
        .size:           4
        .value_kind:     hidden_block_count_z
      - .offset:         100
        .size:           2
        .value_kind:     hidden_group_size_x
      - .offset:         102
        .size:           2
        .value_kind:     hidden_group_size_y
      - .offset:         104
        .size:           2
        .value_kind:     hidden_group_size_z
      - .offset:         106
        .size:           2
        .value_kind:     hidden_remainder_x
      - .offset:         108
        .size:           2
        .value_kind:     hidden_remainder_y
      - .offset:         110
        .size:           2
        .value_kind:     hidden_remainder_z
      - .offset:         128
        .size:           8
        .value_kind:     hidden_global_offset_x
      - .offset:         136
        .size:           8
        .value_kind:     hidden_global_offset_y
      - .offset:         144
        .size:           8
        .value_kind:     hidden_global_offset_z
      - .offset:         152
        .size:           2
        .value_kind:     hidden_grid_dims
    .group_segment_fixed_size: 20552
    .kernarg_segment_align: 8
    .kernarg_segment_size: 344
    .language:       OpenCL C
    .language_version:
      - 2
      - 0
    .max_flat_workgroup_size: 1024
    .name:           _ZN7rocprim17ROCPRIM_400000_NS6detail17trampoline_kernelINS0_14default_configENS1_35radix_sort_onesweep_config_selectorIyNS0_10empty_typeEEEZZNS1_29radix_sort_onesweep_iterationIS3_Lb0EN6thrust23THRUST_200600_302600_NS6detail15normal_iteratorINS9_10device_ptrIyEEEESE_PS5_SF_jNS0_19identity_decomposerENS1_16block_id_wrapperIjLb1EEEEE10hipError_tT1_PNSt15iterator_traitsISK_E10value_typeET2_T3_PNSL_ISQ_E10value_typeET4_T5_PSV_SW_PNS1_23onesweep_lookback_stateEbbT6_jjT7_P12ihipStream_tbENKUlT_T0_SK_SP_E_clIPySE_SF_SF_EEDaS13_S14_SK_SP_EUlS13_E_NS1_11comp_targetILNS1_3genE4ELNS1_11target_archE910ELNS1_3gpuE8ELNS1_3repE0EEENS1_47radix_sort_onesweep_sort_config_static_selectorELNS0_4arch9wavefront6targetE1EEEvSK_
    .private_segment_fixed_size: 0
    .sgpr_count:     38
    .sgpr_spill_count: 0
    .symbol:         _ZN7rocprim17ROCPRIM_400000_NS6detail17trampoline_kernelINS0_14default_configENS1_35radix_sort_onesweep_config_selectorIyNS0_10empty_typeEEEZZNS1_29radix_sort_onesweep_iterationIS3_Lb0EN6thrust23THRUST_200600_302600_NS6detail15normal_iteratorINS9_10device_ptrIyEEEESE_PS5_SF_jNS0_19identity_decomposerENS1_16block_id_wrapperIjLb1EEEEE10hipError_tT1_PNSt15iterator_traitsISK_E10value_typeET2_T3_PNSL_ISQ_E10value_typeET4_T5_PSV_SW_PNS1_23onesweep_lookback_stateEbbT6_jjT7_P12ihipStream_tbENKUlT_T0_SK_SP_E_clIPySE_SF_SF_EEDaS13_S14_SK_SP_EUlS13_E_NS1_11comp_targetILNS1_3genE4ELNS1_11target_archE910ELNS1_3gpuE8ELNS1_3repE0EEENS1_47radix_sort_onesweep_sort_config_static_selectorELNS0_4arch9wavefront6targetE1EEEvSK_.kd
    .uniform_work_group_size: 1
    .uses_dynamic_stack: false
    .vgpr_count:     55
    .vgpr_spill_count: 0
    .wavefront_size: 64
  - .agpr_count:     0
    .args:
      - .offset:         0
        .size:           88
        .value_kind:     by_value
    .group_segment_fixed_size: 0
    .kernarg_segment_align: 8
    .kernarg_segment_size: 88
    .language:       OpenCL C
    .language_version:
      - 2
      - 0
    .max_flat_workgroup_size: 512
    .name:           _ZN7rocprim17ROCPRIM_400000_NS6detail17trampoline_kernelINS0_14default_configENS1_35radix_sort_onesweep_config_selectorIyNS0_10empty_typeEEEZZNS1_29radix_sort_onesweep_iterationIS3_Lb0EN6thrust23THRUST_200600_302600_NS6detail15normal_iteratorINS9_10device_ptrIyEEEESE_PS5_SF_jNS0_19identity_decomposerENS1_16block_id_wrapperIjLb1EEEEE10hipError_tT1_PNSt15iterator_traitsISK_E10value_typeET2_T3_PNSL_ISQ_E10value_typeET4_T5_PSV_SW_PNS1_23onesweep_lookback_stateEbbT6_jjT7_P12ihipStream_tbENKUlT_T0_SK_SP_E_clIPySE_SF_SF_EEDaS13_S14_SK_SP_EUlS13_E_NS1_11comp_targetILNS1_3genE3ELNS1_11target_archE908ELNS1_3gpuE7ELNS1_3repE0EEENS1_47radix_sort_onesweep_sort_config_static_selectorELNS0_4arch9wavefront6targetE1EEEvSK_
    .private_segment_fixed_size: 0
    .sgpr_count:     4
    .sgpr_spill_count: 0
    .symbol:         _ZN7rocprim17ROCPRIM_400000_NS6detail17trampoline_kernelINS0_14default_configENS1_35radix_sort_onesweep_config_selectorIyNS0_10empty_typeEEEZZNS1_29radix_sort_onesweep_iterationIS3_Lb0EN6thrust23THRUST_200600_302600_NS6detail15normal_iteratorINS9_10device_ptrIyEEEESE_PS5_SF_jNS0_19identity_decomposerENS1_16block_id_wrapperIjLb1EEEEE10hipError_tT1_PNSt15iterator_traitsISK_E10value_typeET2_T3_PNSL_ISQ_E10value_typeET4_T5_PSV_SW_PNS1_23onesweep_lookback_stateEbbT6_jjT7_P12ihipStream_tbENKUlT_T0_SK_SP_E_clIPySE_SF_SF_EEDaS13_S14_SK_SP_EUlS13_E_NS1_11comp_targetILNS1_3genE3ELNS1_11target_archE908ELNS1_3gpuE7ELNS1_3repE0EEENS1_47radix_sort_onesweep_sort_config_static_selectorELNS0_4arch9wavefront6targetE1EEEvSK_.kd
    .uniform_work_group_size: 1
    .uses_dynamic_stack: false
    .vgpr_count:     0
    .vgpr_spill_count: 0
    .wavefront_size: 64
  - .agpr_count:     0
    .args:
      - .offset:         0
        .size:           88
        .value_kind:     by_value
    .group_segment_fixed_size: 0
    .kernarg_segment_align: 8
    .kernarg_segment_size: 88
    .language:       OpenCL C
    .language_version:
      - 2
      - 0
    .max_flat_workgroup_size: 512
    .name:           _ZN7rocprim17ROCPRIM_400000_NS6detail17trampoline_kernelINS0_14default_configENS1_35radix_sort_onesweep_config_selectorIyNS0_10empty_typeEEEZZNS1_29radix_sort_onesweep_iterationIS3_Lb0EN6thrust23THRUST_200600_302600_NS6detail15normal_iteratorINS9_10device_ptrIyEEEESE_PS5_SF_jNS0_19identity_decomposerENS1_16block_id_wrapperIjLb1EEEEE10hipError_tT1_PNSt15iterator_traitsISK_E10value_typeET2_T3_PNSL_ISQ_E10value_typeET4_T5_PSV_SW_PNS1_23onesweep_lookback_stateEbbT6_jjT7_P12ihipStream_tbENKUlT_T0_SK_SP_E_clIPySE_SF_SF_EEDaS13_S14_SK_SP_EUlS13_E_NS1_11comp_targetILNS1_3genE10ELNS1_11target_archE1201ELNS1_3gpuE5ELNS1_3repE0EEENS1_47radix_sort_onesweep_sort_config_static_selectorELNS0_4arch9wavefront6targetE1EEEvSK_
    .private_segment_fixed_size: 0
    .sgpr_count:     4
    .sgpr_spill_count: 0
    .symbol:         _ZN7rocprim17ROCPRIM_400000_NS6detail17trampoline_kernelINS0_14default_configENS1_35radix_sort_onesweep_config_selectorIyNS0_10empty_typeEEEZZNS1_29radix_sort_onesweep_iterationIS3_Lb0EN6thrust23THRUST_200600_302600_NS6detail15normal_iteratorINS9_10device_ptrIyEEEESE_PS5_SF_jNS0_19identity_decomposerENS1_16block_id_wrapperIjLb1EEEEE10hipError_tT1_PNSt15iterator_traitsISK_E10value_typeET2_T3_PNSL_ISQ_E10value_typeET4_T5_PSV_SW_PNS1_23onesweep_lookback_stateEbbT6_jjT7_P12ihipStream_tbENKUlT_T0_SK_SP_E_clIPySE_SF_SF_EEDaS13_S14_SK_SP_EUlS13_E_NS1_11comp_targetILNS1_3genE10ELNS1_11target_archE1201ELNS1_3gpuE5ELNS1_3repE0EEENS1_47radix_sort_onesweep_sort_config_static_selectorELNS0_4arch9wavefront6targetE1EEEvSK_.kd
    .uniform_work_group_size: 1
    .uses_dynamic_stack: false
    .vgpr_count:     0
    .vgpr_spill_count: 0
    .wavefront_size: 64
  - .agpr_count:     0
    .args:
      - .offset:         0
        .size:           88
        .value_kind:     by_value
    .group_segment_fixed_size: 0
    .kernarg_segment_align: 8
    .kernarg_segment_size: 88
    .language:       OpenCL C
    .language_version:
      - 2
      - 0
    .max_flat_workgroup_size: 1024
    .name:           _ZN7rocprim17ROCPRIM_400000_NS6detail17trampoline_kernelINS0_14default_configENS1_35radix_sort_onesweep_config_selectorIyNS0_10empty_typeEEEZZNS1_29radix_sort_onesweep_iterationIS3_Lb0EN6thrust23THRUST_200600_302600_NS6detail15normal_iteratorINS9_10device_ptrIyEEEESE_PS5_SF_jNS0_19identity_decomposerENS1_16block_id_wrapperIjLb1EEEEE10hipError_tT1_PNSt15iterator_traitsISK_E10value_typeET2_T3_PNSL_ISQ_E10value_typeET4_T5_PSV_SW_PNS1_23onesweep_lookback_stateEbbT6_jjT7_P12ihipStream_tbENKUlT_T0_SK_SP_E_clIPySE_SF_SF_EEDaS13_S14_SK_SP_EUlS13_E_NS1_11comp_targetILNS1_3genE9ELNS1_11target_archE1100ELNS1_3gpuE3ELNS1_3repE0EEENS1_47radix_sort_onesweep_sort_config_static_selectorELNS0_4arch9wavefront6targetE1EEEvSK_
    .private_segment_fixed_size: 0
    .sgpr_count:     4
    .sgpr_spill_count: 0
    .symbol:         _ZN7rocprim17ROCPRIM_400000_NS6detail17trampoline_kernelINS0_14default_configENS1_35radix_sort_onesweep_config_selectorIyNS0_10empty_typeEEEZZNS1_29radix_sort_onesweep_iterationIS3_Lb0EN6thrust23THRUST_200600_302600_NS6detail15normal_iteratorINS9_10device_ptrIyEEEESE_PS5_SF_jNS0_19identity_decomposerENS1_16block_id_wrapperIjLb1EEEEE10hipError_tT1_PNSt15iterator_traitsISK_E10value_typeET2_T3_PNSL_ISQ_E10value_typeET4_T5_PSV_SW_PNS1_23onesweep_lookback_stateEbbT6_jjT7_P12ihipStream_tbENKUlT_T0_SK_SP_E_clIPySE_SF_SF_EEDaS13_S14_SK_SP_EUlS13_E_NS1_11comp_targetILNS1_3genE9ELNS1_11target_archE1100ELNS1_3gpuE3ELNS1_3repE0EEENS1_47radix_sort_onesweep_sort_config_static_selectorELNS0_4arch9wavefront6targetE1EEEvSK_.kd
    .uniform_work_group_size: 1
    .uses_dynamic_stack: false
    .vgpr_count:     0
    .vgpr_spill_count: 0
    .wavefront_size: 64
  - .agpr_count:     0
    .args:
      - .offset:         0
        .size:           88
        .value_kind:     by_value
    .group_segment_fixed_size: 0
    .kernarg_segment_align: 8
    .kernarg_segment_size: 88
    .language:       OpenCL C
    .language_version:
      - 2
      - 0
    .max_flat_workgroup_size: 1024
    .name:           _ZN7rocprim17ROCPRIM_400000_NS6detail17trampoline_kernelINS0_14default_configENS1_35radix_sort_onesweep_config_selectorIyNS0_10empty_typeEEEZZNS1_29radix_sort_onesweep_iterationIS3_Lb0EN6thrust23THRUST_200600_302600_NS6detail15normal_iteratorINS9_10device_ptrIyEEEESE_PS5_SF_jNS0_19identity_decomposerENS1_16block_id_wrapperIjLb1EEEEE10hipError_tT1_PNSt15iterator_traitsISK_E10value_typeET2_T3_PNSL_ISQ_E10value_typeET4_T5_PSV_SW_PNS1_23onesweep_lookback_stateEbbT6_jjT7_P12ihipStream_tbENKUlT_T0_SK_SP_E_clIPySE_SF_SF_EEDaS13_S14_SK_SP_EUlS13_E_NS1_11comp_targetILNS1_3genE8ELNS1_11target_archE1030ELNS1_3gpuE2ELNS1_3repE0EEENS1_47radix_sort_onesweep_sort_config_static_selectorELNS0_4arch9wavefront6targetE1EEEvSK_
    .private_segment_fixed_size: 0
    .sgpr_count:     4
    .sgpr_spill_count: 0
    .symbol:         _ZN7rocprim17ROCPRIM_400000_NS6detail17trampoline_kernelINS0_14default_configENS1_35radix_sort_onesweep_config_selectorIyNS0_10empty_typeEEEZZNS1_29radix_sort_onesweep_iterationIS3_Lb0EN6thrust23THRUST_200600_302600_NS6detail15normal_iteratorINS9_10device_ptrIyEEEESE_PS5_SF_jNS0_19identity_decomposerENS1_16block_id_wrapperIjLb1EEEEE10hipError_tT1_PNSt15iterator_traitsISK_E10value_typeET2_T3_PNSL_ISQ_E10value_typeET4_T5_PSV_SW_PNS1_23onesweep_lookback_stateEbbT6_jjT7_P12ihipStream_tbENKUlT_T0_SK_SP_E_clIPySE_SF_SF_EEDaS13_S14_SK_SP_EUlS13_E_NS1_11comp_targetILNS1_3genE8ELNS1_11target_archE1030ELNS1_3gpuE2ELNS1_3repE0EEENS1_47radix_sort_onesweep_sort_config_static_selectorELNS0_4arch9wavefront6targetE1EEEvSK_.kd
    .uniform_work_group_size: 1
    .uses_dynamic_stack: false
    .vgpr_count:     0
    .vgpr_spill_count: 0
    .wavefront_size: 64
  - .agpr_count:     0
    .args:
      - .offset:         0
        .size:           88
        .value_kind:     by_value
    .group_segment_fixed_size: 0
    .kernarg_segment_align: 8
    .kernarg_segment_size: 88
    .language:       OpenCL C
    .language_version:
      - 2
      - 0
    .max_flat_workgroup_size: 512
    .name:           _ZN7rocprim17ROCPRIM_400000_NS6detail17trampoline_kernelINS0_14default_configENS1_35radix_sort_onesweep_config_selectorIyNS0_10empty_typeEEEZZNS1_29radix_sort_onesweep_iterationIS3_Lb0EN6thrust23THRUST_200600_302600_NS6detail15normal_iteratorINS9_10device_ptrIyEEEESE_PS5_SF_jNS0_19identity_decomposerENS1_16block_id_wrapperIjLb0EEEEE10hipError_tT1_PNSt15iterator_traitsISK_E10value_typeET2_T3_PNSL_ISQ_E10value_typeET4_T5_PSV_SW_PNS1_23onesweep_lookback_stateEbbT6_jjT7_P12ihipStream_tbENKUlT_T0_SK_SP_E_clISE_SE_SF_SF_EEDaS13_S14_SK_SP_EUlS13_E_NS1_11comp_targetILNS1_3genE0ELNS1_11target_archE4294967295ELNS1_3gpuE0ELNS1_3repE0EEENS1_47radix_sort_onesweep_sort_config_static_selectorELNS0_4arch9wavefront6targetE1EEEvSK_
    .private_segment_fixed_size: 0
    .sgpr_count:     4
    .sgpr_spill_count: 0
    .symbol:         _ZN7rocprim17ROCPRIM_400000_NS6detail17trampoline_kernelINS0_14default_configENS1_35radix_sort_onesweep_config_selectorIyNS0_10empty_typeEEEZZNS1_29radix_sort_onesweep_iterationIS3_Lb0EN6thrust23THRUST_200600_302600_NS6detail15normal_iteratorINS9_10device_ptrIyEEEESE_PS5_SF_jNS0_19identity_decomposerENS1_16block_id_wrapperIjLb0EEEEE10hipError_tT1_PNSt15iterator_traitsISK_E10value_typeET2_T3_PNSL_ISQ_E10value_typeET4_T5_PSV_SW_PNS1_23onesweep_lookback_stateEbbT6_jjT7_P12ihipStream_tbENKUlT_T0_SK_SP_E_clISE_SE_SF_SF_EEDaS13_S14_SK_SP_EUlS13_E_NS1_11comp_targetILNS1_3genE0ELNS1_11target_archE4294967295ELNS1_3gpuE0ELNS1_3repE0EEENS1_47radix_sort_onesweep_sort_config_static_selectorELNS0_4arch9wavefront6targetE1EEEvSK_.kd
    .uniform_work_group_size: 1
    .uses_dynamic_stack: false
    .vgpr_count:     0
    .vgpr_spill_count: 0
    .wavefront_size: 64
  - .agpr_count:     0
    .args:
      - .offset:         0
        .size:           88
        .value_kind:     by_value
    .group_segment_fixed_size: 0
    .kernarg_segment_align: 8
    .kernarg_segment_size: 88
    .language:       OpenCL C
    .language_version:
      - 2
      - 0
    .max_flat_workgroup_size: 512
    .name:           _ZN7rocprim17ROCPRIM_400000_NS6detail17trampoline_kernelINS0_14default_configENS1_35radix_sort_onesweep_config_selectorIyNS0_10empty_typeEEEZZNS1_29radix_sort_onesweep_iterationIS3_Lb0EN6thrust23THRUST_200600_302600_NS6detail15normal_iteratorINS9_10device_ptrIyEEEESE_PS5_SF_jNS0_19identity_decomposerENS1_16block_id_wrapperIjLb0EEEEE10hipError_tT1_PNSt15iterator_traitsISK_E10value_typeET2_T3_PNSL_ISQ_E10value_typeET4_T5_PSV_SW_PNS1_23onesweep_lookback_stateEbbT6_jjT7_P12ihipStream_tbENKUlT_T0_SK_SP_E_clISE_SE_SF_SF_EEDaS13_S14_SK_SP_EUlS13_E_NS1_11comp_targetILNS1_3genE6ELNS1_11target_archE950ELNS1_3gpuE13ELNS1_3repE0EEENS1_47radix_sort_onesweep_sort_config_static_selectorELNS0_4arch9wavefront6targetE1EEEvSK_
    .private_segment_fixed_size: 0
    .sgpr_count:     4
    .sgpr_spill_count: 0
    .symbol:         _ZN7rocprim17ROCPRIM_400000_NS6detail17trampoline_kernelINS0_14default_configENS1_35radix_sort_onesweep_config_selectorIyNS0_10empty_typeEEEZZNS1_29radix_sort_onesweep_iterationIS3_Lb0EN6thrust23THRUST_200600_302600_NS6detail15normal_iteratorINS9_10device_ptrIyEEEESE_PS5_SF_jNS0_19identity_decomposerENS1_16block_id_wrapperIjLb0EEEEE10hipError_tT1_PNSt15iterator_traitsISK_E10value_typeET2_T3_PNSL_ISQ_E10value_typeET4_T5_PSV_SW_PNS1_23onesweep_lookback_stateEbbT6_jjT7_P12ihipStream_tbENKUlT_T0_SK_SP_E_clISE_SE_SF_SF_EEDaS13_S14_SK_SP_EUlS13_E_NS1_11comp_targetILNS1_3genE6ELNS1_11target_archE950ELNS1_3gpuE13ELNS1_3repE0EEENS1_47radix_sort_onesweep_sort_config_static_selectorELNS0_4arch9wavefront6targetE1EEEvSK_.kd
    .uniform_work_group_size: 1
    .uses_dynamic_stack: false
    .vgpr_count:     0
    .vgpr_spill_count: 0
    .wavefront_size: 64
  - .agpr_count:     0
    .args:
      - .offset:         0
        .size:           88
        .value_kind:     by_value
    .group_segment_fixed_size: 0
    .kernarg_segment_align: 8
    .kernarg_segment_size: 88
    .language:       OpenCL C
    .language_version:
      - 2
      - 0
    .max_flat_workgroup_size: 512
    .name:           _ZN7rocprim17ROCPRIM_400000_NS6detail17trampoline_kernelINS0_14default_configENS1_35radix_sort_onesweep_config_selectorIyNS0_10empty_typeEEEZZNS1_29radix_sort_onesweep_iterationIS3_Lb0EN6thrust23THRUST_200600_302600_NS6detail15normal_iteratorINS9_10device_ptrIyEEEESE_PS5_SF_jNS0_19identity_decomposerENS1_16block_id_wrapperIjLb0EEEEE10hipError_tT1_PNSt15iterator_traitsISK_E10value_typeET2_T3_PNSL_ISQ_E10value_typeET4_T5_PSV_SW_PNS1_23onesweep_lookback_stateEbbT6_jjT7_P12ihipStream_tbENKUlT_T0_SK_SP_E_clISE_SE_SF_SF_EEDaS13_S14_SK_SP_EUlS13_E_NS1_11comp_targetILNS1_3genE5ELNS1_11target_archE942ELNS1_3gpuE9ELNS1_3repE0EEENS1_47radix_sort_onesweep_sort_config_static_selectorELNS0_4arch9wavefront6targetE1EEEvSK_
    .private_segment_fixed_size: 0
    .sgpr_count:     4
    .sgpr_spill_count: 0
    .symbol:         _ZN7rocprim17ROCPRIM_400000_NS6detail17trampoline_kernelINS0_14default_configENS1_35radix_sort_onesweep_config_selectorIyNS0_10empty_typeEEEZZNS1_29radix_sort_onesweep_iterationIS3_Lb0EN6thrust23THRUST_200600_302600_NS6detail15normal_iteratorINS9_10device_ptrIyEEEESE_PS5_SF_jNS0_19identity_decomposerENS1_16block_id_wrapperIjLb0EEEEE10hipError_tT1_PNSt15iterator_traitsISK_E10value_typeET2_T3_PNSL_ISQ_E10value_typeET4_T5_PSV_SW_PNS1_23onesweep_lookback_stateEbbT6_jjT7_P12ihipStream_tbENKUlT_T0_SK_SP_E_clISE_SE_SF_SF_EEDaS13_S14_SK_SP_EUlS13_E_NS1_11comp_targetILNS1_3genE5ELNS1_11target_archE942ELNS1_3gpuE9ELNS1_3repE0EEENS1_47radix_sort_onesweep_sort_config_static_selectorELNS0_4arch9wavefront6targetE1EEEvSK_.kd
    .uniform_work_group_size: 1
    .uses_dynamic_stack: false
    .vgpr_count:     0
    .vgpr_spill_count: 0
    .wavefront_size: 64
  - .agpr_count:     0
    .args:
      - .offset:         0
        .size:           88
        .value_kind:     by_value
    .group_segment_fixed_size: 0
    .kernarg_segment_align: 8
    .kernarg_segment_size: 88
    .language:       OpenCL C
    .language_version:
      - 2
      - 0
    .max_flat_workgroup_size: 512
    .name:           _ZN7rocprim17ROCPRIM_400000_NS6detail17trampoline_kernelINS0_14default_configENS1_35radix_sort_onesweep_config_selectorIyNS0_10empty_typeEEEZZNS1_29radix_sort_onesweep_iterationIS3_Lb0EN6thrust23THRUST_200600_302600_NS6detail15normal_iteratorINS9_10device_ptrIyEEEESE_PS5_SF_jNS0_19identity_decomposerENS1_16block_id_wrapperIjLb0EEEEE10hipError_tT1_PNSt15iterator_traitsISK_E10value_typeET2_T3_PNSL_ISQ_E10value_typeET4_T5_PSV_SW_PNS1_23onesweep_lookback_stateEbbT6_jjT7_P12ihipStream_tbENKUlT_T0_SK_SP_E_clISE_SE_SF_SF_EEDaS13_S14_SK_SP_EUlS13_E_NS1_11comp_targetILNS1_3genE2ELNS1_11target_archE906ELNS1_3gpuE6ELNS1_3repE0EEENS1_47radix_sort_onesweep_sort_config_static_selectorELNS0_4arch9wavefront6targetE1EEEvSK_
    .private_segment_fixed_size: 0
    .sgpr_count:     4
    .sgpr_spill_count: 0
    .symbol:         _ZN7rocprim17ROCPRIM_400000_NS6detail17trampoline_kernelINS0_14default_configENS1_35radix_sort_onesweep_config_selectorIyNS0_10empty_typeEEEZZNS1_29radix_sort_onesweep_iterationIS3_Lb0EN6thrust23THRUST_200600_302600_NS6detail15normal_iteratorINS9_10device_ptrIyEEEESE_PS5_SF_jNS0_19identity_decomposerENS1_16block_id_wrapperIjLb0EEEEE10hipError_tT1_PNSt15iterator_traitsISK_E10value_typeET2_T3_PNSL_ISQ_E10value_typeET4_T5_PSV_SW_PNS1_23onesweep_lookback_stateEbbT6_jjT7_P12ihipStream_tbENKUlT_T0_SK_SP_E_clISE_SE_SF_SF_EEDaS13_S14_SK_SP_EUlS13_E_NS1_11comp_targetILNS1_3genE2ELNS1_11target_archE906ELNS1_3gpuE6ELNS1_3repE0EEENS1_47radix_sort_onesweep_sort_config_static_selectorELNS0_4arch9wavefront6targetE1EEEvSK_.kd
    .uniform_work_group_size: 1
    .uses_dynamic_stack: false
    .vgpr_count:     0
    .vgpr_spill_count: 0
    .wavefront_size: 64
  - .agpr_count:     0
    .args:
      - .offset:         0
        .size:           88
        .value_kind:     by_value
      - .offset:         88
        .size:           4
        .value_kind:     hidden_block_count_x
      - .offset:         92
        .size:           4
        .value_kind:     hidden_block_count_y
      - .offset:         96
        .size:           4
        .value_kind:     hidden_block_count_z
      - .offset:         100
        .size:           2
        .value_kind:     hidden_group_size_x
      - .offset:         102
        .size:           2
        .value_kind:     hidden_group_size_y
      - .offset:         104
        .size:           2
        .value_kind:     hidden_group_size_z
      - .offset:         106
        .size:           2
        .value_kind:     hidden_remainder_x
      - .offset:         108
        .size:           2
        .value_kind:     hidden_remainder_y
      - .offset:         110
        .size:           2
        .value_kind:     hidden_remainder_z
      - .offset:         128
        .size:           8
        .value_kind:     hidden_global_offset_x
      - .offset:         136
        .size:           8
        .value_kind:     hidden_global_offset_y
      - .offset:         144
        .size:           8
        .value_kind:     hidden_global_offset_z
      - .offset:         152
        .size:           2
        .value_kind:     hidden_grid_dims
    .group_segment_fixed_size: 20552
    .kernarg_segment_align: 8
    .kernarg_segment_size: 344
    .language:       OpenCL C
    .language_version:
      - 2
      - 0
    .max_flat_workgroup_size: 1024
    .name:           _ZN7rocprim17ROCPRIM_400000_NS6detail17trampoline_kernelINS0_14default_configENS1_35radix_sort_onesweep_config_selectorIyNS0_10empty_typeEEEZZNS1_29radix_sort_onesweep_iterationIS3_Lb0EN6thrust23THRUST_200600_302600_NS6detail15normal_iteratorINS9_10device_ptrIyEEEESE_PS5_SF_jNS0_19identity_decomposerENS1_16block_id_wrapperIjLb0EEEEE10hipError_tT1_PNSt15iterator_traitsISK_E10value_typeET2_T3_PNSL_ISQ_E10value_typeET4_T5_PSV_SW_PNS1_23onesweep_lookback_stateEbbT6_jjT7_P12ihipStream_tbENKUlT_T0_SK_SP_E_clISE_SE_SF_SF_EEDaS13_S14_SK_SP_EUlS13_E_NS1_11comp_targetILNS1_3genE4ELNS1_11target_archE910ELNS1_3gpuE8ELNS1_3repE0EEENS1_47radix_sort_onesweep_sort_config_static_selectorELNS0_4arch9wavefront6targetE1EEEvSK_
    .private_segment_fixed_size: 0
    .sgpr_count:     34
    .sgpr_spill_count: 0
    .symbol:         _ZN7rocprim17ROCPRIM_400000_NS6detail17trampoline_kernelINS0_14default_configENS1_35radix_sort_onesweep_config_selectorIyNS0_10empty_typeEEEZZNS1_29radix_sort_onesweep_iterationIS3_Lb0EN6thrust23THRUST_200600_302600_NS6detail15normal_iteratorINS9_10device_ptrIyEEEESE_PS5_SF_jNS0_19identity_decomposerENS1_16block_id_wrapperIjLb0EEEEE10hipError_tT1_PNSt15iterator_traitsISK_E10value_typeET2_T3_PNSL_ISQ_E10value_typeET4_T5_PSV_SW_PNS1_23onesweep_lookback_stateEbbT6_jjT7_P12ihipStream_tbENKUlT_T0_SK_SP_E_clISE_SE_SF_SF_EEDaS13_S14_SK_SP_EUlS13_E_NS1_11comp_targetILNS1_3genE4ELNS1_11target_archE910ELNS1_3gpuE8ELNS1_3repE0EEENS1_47radix_sort_onesweep_sort_config_static_selectorELNS0_4arch9wavefront6targetE1EEEvSK_.kd
    .uniform_work_group_size: 1
    .uses_dynamic_stack: false
    .vgpr_count:     55
    .vgpr_spill_count: 0
    .wavefront_size: 64
  - .agpr_count:     0
    .args:
      - .offset:         0
        .size:           88
        .value_kind:     by_value
    .group_segment_fixed_size: 0
    .kernarg_segment_align: 8
    .kernarg_segment_size: 88
    .language:       OpenCL C
    .language_version:
      - 2
      - 0
    .max_flat_workgroup_size: 512
    .name:           _ZN7rocprim17ROCPRIM_400000_NS6detail17trampoline_kernelINS0_14default_configENS1_35radix_sort_onesweep_config_selectorIyNS0_10empty_typeEEEZZNS1_29radix_sort_onesweep_iterationIS3_Lb0EN6thrust23THRUST_200600_302600_NS6detail15normal_iteratorINS9_10device_ptrIyEEEESE_PS5_SF_jNS0_19identity_decomposerENS1_16block_id_wrapperIjLb0EEEEE10hipError_tT1_PNSt15iterator_traitsISK_E10value_typeET2_T3_PNSL_ISQ_E10value_typeET4_T5_PSV_SW_PNS1_23onesweep_lookback_stateEbbT6_jjT7_P12ihipStream_tbENKUlT_T0_SK_SP_E_clISE_SE_SF_SF_EEDaS13_S14_SK_SP_EUlS13_E_NS1_11comp_targetILNS1_3genE3ELNS1_11target_archE908ELNS1_3gpuE7ELNS1_3repE0EEENS1_47radix_sort_onesweep_sort_config_static_selectorELNS0_4arch9wavefront6targetE1EEEvSK_
    .private_segment_fixed_size: 0
    .sgpr_count:     4
    .sgpr_spill_count: 0
    .symbol:         _ZN7rocprim17ROCPRIM_400000_NS6detail17trampoline_kernelINS0_14default_configENS1_35radix_sort_onesweep_config_selectorIyNS0_10empty_typeEEEZZNS1_29radix_sort_onesweep_iterationIS3_Lb0EN6thrust23THRUST_200600_302600_NS6detail15normal_iteratorINS9_10device_ptrIyEEEESE_PS5_SF_jNS0_19identity_decomposerENS1_16block_id_wrapperIjLb0EEEEE10hipError_tT1_PNSt15iterator_traitsISK_E10value_typeET2_T3_PNSL_ISQ_E10value_typeET4_T5_PSV_SW_PNS1_23onesweep_lookback_stateEbbT6_jjT7_P12ihipStream_tbENKUlT_T0_SK_SP_E_clISE_SE_SF_SF_EEDaS13_S14_SK_SP_EUlS13_E_NS1_11comp_targetILNS1_3genE3ELNS1_11target_archE908ELNS1_3gpuE7ELNS1_3repE0EEENS1_47radix_sort_onesweep_sort_config_static_selectorELNS0_4arch9wavefront6targetE1EEEvSK_.kd
    .uniform_work_group_size: 1
    .uses_dynamic_stack: false
    .vgpr_count:     0
    .vgpr_spill_count: 0
    .wavefront_size: 64
  - .agpr_count:     0
    .args:
      - .offset:         0
        .size:           88
        .value_kind:     by_value
    .group_segment_fixed_size: 0
    .kernarg_segment_align: 8
    .kernarg_segment_size: 88
    .language:       OpenCL C
    .language_version:
      - 2
      - 0
    .max_flat_workgroup_size: 512
    .name:           _ZN7rocprim17ROCPRIM_400000_NS6detail17trampoline_kernelINS0_14default_configENS1_35radix_sort_onesweep_config_selectorIyNS0_10empty_typeEEEZZNS1_29radix_sort_onesweep_iterationIS3_Lb0EN6thrust23THRUST_200600_302600_NS6detail15normal_iteratorINS9_10device_ptrIyEEEESE_PS5_SF_jNS0_19identity_decomposerENS1_16block_id_wrapperIjLb0EEEEE10hipError_tT1_PNSt15iterator_traitsISK_E10value_typeET2_T3_PNSL_ISQ_E10value_typeET4_T5_PSV_SW_PNS1_23onesweep_lookback_stateEbbT6_jjT7_P12ihipStream_tbENKUlT_T0_SK_SP_E_clISE_SE_SF_SF_EEDaS13_S14_SK_SP_EUlS13_E_NS1_11comp_targetILNS1_3genE10ELNS1_11target_archE1201ELNS1_3gpuE5ELNS1_3repE0EEENS1_47radix_sort_onesweep_sort_config_static_selectorELNS0_4arch9wavefront6targetE1EEEvSK_
    .private_segment_fixed_size: 0
    .sgpr_count:     4
    .sgpr_spill_count: 0
    .symbol:         _ZN7rocprim17ROCPRIM_400000_NS6detail17trampoline_kernelINS0_14default_configENS1_35radix_sort_onesweep_config_selectorIyNS0_10empty_typeEEEZZNS1_29radix_sort_onesweep_iterationIS3_Lb0EN6thrust23THRUST_200600_302600_NS6detail15normal_iteratorINS9_10device_ptrIyEEEESE_PS5_SF_jNS0_19identity_decomposerENS1_16block_id_wrapperIjLb0EEEEE10hipError_tT1_PNSt15iterator_traitsISK_E10value_typeET2_T3_PNSL_ISQ_E10value_typeET4_T5_PSV_SW_PNS1_23onesweep_lookback_stateEbbT6_jjT7_P12ihipStream_tbENKUlT_T0_SK_SP_E_clISE_SE_SF_SF_EEDaS13_S14_SK_SP_EUlS13_E_NS1_11comp_targetILNS1_3genE10ELNS1_11target_archE1201ELNS1_3gpuE5ELNS1_3repE0EEENS1_47radix_sort_onesweep_sort_config_static_selectorELNS0_4arch9wavefront6targetE1EEEvSK_.kd
    .uniform_work_group_size: 1
    .uses_dynamic_stack: false
    .vgpr_count:     0
    .vgpr_spill_count: 0
    .wavefront_size: 64
  - .agpr_count:     0
    .args:
      - .offset:         0
        .size:           88
        .value_kind:     by_value
    .group_segment_fixed_size: 0
    .kernarg_segment_align: 8
    .kernarg_segment_size: 88
    .language:       OpenCL C
    .language_version:
      - 2
      - 0
    .max_flat_workgroup_size: 1024
    .name:           _ZN7rocprim17ROCPRIM_400000_NS6detail17trampoline_kernelINS0_14default_configENS1_35radix_sort_onesweep_config_selectorIyNS0_10empty_typeEEEZZNS1_29radix_sort_onesweep_iterationIS3_Lb0EN6thrust23THRUST_200600_302600_NS6detail15normal_iteratorINS9_10device_ptrIyEEEESE_PS5_SF_jNS0_19identity_decomposerENS1_16block_id_wrapperIjLb0EEEEE10hipError_tT1_PNSt15iterator_traitsISK_E10value_typeET2_T3_PNSL_ISQ_E10value_typeET4_T5_PSV_SW_PNS1_23onesweep_lookback_stateEbbT6_jjT7_P12ihipStream_tbENKUlT_T0_SK_SP_E_clISE_SE_SF_SF_EEDaS13_S14_SK_SP_EUlS13_E_NS1_11comp_targetILNS1_3genE9ELNS1_11target_archE1100ELNS1_3gpuE3ELNS1_3repE0EEENS1_47radix_sort_onesweep_sort_config_static_selectorELNS0_4arch9wavefront6targetE1EEEvSK_
    .private_segment_fixed_size: 0
    .sgpr_count:     4
    .sgpr_spill_count: 0
    .symbol:         _ZN7rocprim17ROCPRIM_400000_NS6detail17trampoline_kernelINS0_14default_configENS1_35radix_sort_onesweep_config_selectorIyNS0_10empty_typeEEEZZNS1_29radix_sort_onesweep_iterationIS3_Lb0EN6thrust23THRUST_200600_302600_NS6detail15normal_iteratorINS9_10device_ptrIyEEEESE_PS5_SF_jNS0_19identity_decomposerENS1_16block_id_wrapperIjLb0EEEEE10hipError_tT1_PNSt15iterator_traitsISK_E10value_typeET2_T3_PNSL_ISQ_E10value_typeET4_T5_PSV_SW_PNS1_23onesweep_lookback_stateEbbT6_jjT7_P12ihipStream_tbENKUlT_T0_SK_SP_E_clISE_SE_SF_SF_EEDaS13_S14_SK_SP_EUlS13_E_NS1_11comp_targetILNS1_3genE9ELNS1_11target_archE1100ELNS1_3gpuE3ELNS1_3repE0EEENS1_47radix_sort_onesweep_sort_config_static_selectorELNS0_4arch9wavefront6targetE1EEEvSK_.kd
    .uniform_work_group_size: 1
    .uses_dynamic_stack: false
    .vgpr_count:     0
    .vgpr_spill_count: 0
    .wavefront_size: 64
  - .agpr_count:     0
    .args:
      - .offset:         0
        .size:           88
        .value_kind:     by_value
    .group_segment_fixed_size: 0
    .kernarg_segment_align: 8
    .kernarg_segment_size: 88
    .language:       OpenCL C
    .language_version:
      - 2
      - 0
    .max_flat_workgroup_size: 1024
    .name:           _ZN7rocprim17ROCPRIM_400000_NS6detail17trampoline_kernelINS0_14default_configENS1_35radix_sort_onesweep_config_selectorIyNS0_10empty_typeEEEZZNS1_29radix_sort_onesweep_iterationIS3_Lb0EN6thrust23THRUST_200600_302600_NS6detail15normal_iteratorINS9_10device_ptrIyEEEESE_PS5_SF_jNS0_19identity_decomposerENS1_16block_id_wrapperIjLb0EEEEE10hipError_tT1_PNSt15iterator_traitsISK_E10value_typeET2_T3_PNSL_ISQ_E10value_typeET4_T5_PSV_SW_PNS1_23onesweep_lookback_stateEbbT6_jjT7_P12ihipStream_tbENKUlT_T0_SK_SP_E_clISE_SE_SF_SF_EEDaS13_S14_SK_SP_EUlS13_E_NS1_11comp_targetILNS1_3genE8ELNS1_11target_archE1030ELNS1_3gpuE2ELNS1_3repE0EEENS1_47radix_sort_onesweep_sort_config_static_selectorELNS0_4arch9wavefront6targetE1EEEvSK_
    .private_segment_fixed_size: 0
    .sgpr_count:     4
    .sgpr_spill_count: 0
    .symbol:         _ZN7rocprim17ROCPRIM_400000_NS6detail17trampoline_kernelINS0_14default_configENS1_35radix_sort_onesweep_config_selectorIyNS0_10empty_typeEEEZZNS1_29radix_sort_onesweep_iterationIS3_Lb0EN6thrust23THRUST_200600_302600_NS6detail15normal_iteratorINS9_10device_ptrIyEEEESE_PS5_SF_jNS0_19identity_decomposerENS1_16block_id_wrapperIjLb0EEEEE10hipError_tT1_PNSt15iterator_traitsISK_E10value_typeET2_T3_PNSL_ISQ_E10value_typeET4_T5_PSV_SW_PNS1_23onesweep_lookback_stateEbbT6_jjT7_P12ihipStream_tbENKUlT_T0_SK_SP_E_clISE_SE_SF_SF_EEDaS13_S14_SK_SP_EUlS13_E_NS1_11comp_targetILNS1_3genE8ELNS1_11target_archE1030ELNS1_3gpuE2ELNS1_3repE0EEENS1_47radix_sort_onesweep_sort_config_static_selectorELNS0_4arch9wavefront6targetE1EEEvSK_.kd
    .uniform_work_group_size: 1
    .uses_dynamic_stack: false
    .vgpr_count:     0
    .vgpr_spill_count: 0
    .wavefront_size: 64
  - .agpr_count:     0
    .args:
      - .offset:         0
        .size:           88
        .value_kind:     by_value
    .group_segment_fixed_size: 0
    .kernarg_segment_align: 8
    .kernarg_segment_size: 88
    .language:       OpenCL C
    .language_version:
      - 2
      - 0
    .max_flat_workgroup_size: 512
    .name:           _ZN7rocprim17ROCPRIM_400000_NS6detail17trampoline_kernelINS0_14default_configENS1_35radix_sort_onesweep_config_selectorIyNS0_10empty_typeEEEZZNS1_29radix_sort_onesweep_iterationIS3_Lb0EN6thrust23THRUST_200600_302600_NS6detail15normal_iteratorINS9_10device_ptrIyEEEESE_PS5_SF_jNS0_19identity_decomposerENS1_16block_id_wrapperIjLb0EEEEE10hipError_tT1_PNSt15iterator_traitsISK_E10value_typeET2_T3_PNSL_ISQ_E10value_typeET4_T5_PSV_SW_PNS1_23onesweep_lookback_stateEbbT6_jjT7_P12ihipStream_tbENKUlT_T0_SK_SP_E_clISE_PySF_SF_EEDaS13_S14_SK_SP_EUlS13_E_NS1_11comp_targetILNS1_3genE0ELNS1_11target_archE4294967295ELNS1_3gpuE0ELNS1_3repE0EEENS1_47radix_sort_onesweep_sort_config_static_selectorELNS0_4arch9wavefront6targetE1EEEvSK_
    .private_segment_fixed_size: 0
    .sgpr_count:     4
    .sgpr_spill_count: 0
    .symbol:         _ZN7rocprim17ROCPRIM_400000_NS6detail17trampoline_kernelINS0_14default_configENS1_35radix_sort_onesweep_config_selectorIyNS0_10empty_typeEEEZZNS1_29radix_sort_onesweep_iterationIS3_Lb0EN6thrust23THRUST_200600_302600_NS6detail15normal_iteratorINS9_10device_ptrIyEEEESE_PS5_SF_jNS0_19identity_decomposerENS1_16block_id_wrapperIjLb0EEEEE10hipError_tT1_PNSt15iterator_traitsISK_E10value_typeET2_T3_PNSL_ISQ_E10value_typeET4_T5_PSV_SW_PNS1_23onesweep_lookback_stateEbbT6_jjT7_P12ihipStream_tbENKUlT_T0_SK_SP_E_clISE_PySF_SF_EEDaS13_S14_SK_SP_EUlS13_E_NS1_11comp_targetILNS1_3genE0ELNS1_11target_archE4294967295ELNS1_3gpuE0ELNS1_3repE0EEENS1_47radix_sort_onesweep_sort_config_static_selectorELNS0_4arch9wavefront6targetE1EEEvSK_.kd
    .uniform_work_group_size: 1
    .uses_dynamic_stack: false
    .vgpr_count:     0
    .vgpr_spill_count: 0
    .wavefront_size: 64
  - .agpr_count:     0
    .args:
      - .offset:         0
        .size:           88
        .value_kind:     by_value
    .group_segment_fixed_size: 0
    .kernarg_segment_align: 8
    .kernarg_segment_size: 88
    .language:       OpenCL C
    .language_version:
      - 2
      - 0
    .max_flat_workgroup_size: 512
    .name:           _ZN7rocprim17ROCPRIM_400000_NS6detail17trampoline_kernelINS0_14default_configENS1_35radix_sort_onesweep_config_selectorIyNS0_10empty_typeEEEZZNS1_29radix_sort_onesweep_iterationIS3_Lb0EN6thrust23THRUST_200600_302600_NS6detail15normal_iteratorINS9_10device_ptrIyEEEESE_PS5_SF_jNS0_19identity_decomposerENS1_16block_id_wrapperIjLb0EEEEE10hipError_tT1_PNSt15iterator_traitsISK_E10value_typeET2_T3_PNSL_ISQ_E10value_typeET4_T5_PSV_SW_PNS1_23onesweep_lookback_stateEbbT6_jjT7_P12ihipStream_tbENKUlT_T0_SK_SP_E_clISE_PySF_SF_EEDaS13_S14_SK_SP_EUlS13_E_NS1_11comp_targetILNS1_3genE6ELNS1_11target_archE950ELNS1_3gpuE13ELNS1_3repE0EEENS1_47radix_sort_onesweep_sort_config_static_selectorELNS0_4arch9wavefront6targetE1EEEvSK_
    .private_segment_fixed_size: 0
    .sgpr_count:     4
    .sgpr_spill_count: 0
    .symbol:         _ZN7rocprim17ROCPRIM_400000_NS6detail17trampoline_kernelINS0_14default_configENS1_35radix_sort_onesweep_config_selectorIyNS0_10empty_typeEEEZZNS1_29radix_sort_onesweep_iterationIS3_Lb0EN6thrust23THRUST_200600_302600_NS6detail15normal_iteratorINS9_10device_ptrIyEEEESE_PS5_SF_jNS0_19identity_decomposerENS1_16block_id_wrapperIjLb0EEEEE10hipError_tT1_PNSt15iterator_traitsISK_E10value_typeET2_T3_PNSL_ISQ_E10value_typeET4_T5_PSV_SW_PNS1_23onesweep_lookback_stateEbbT6_jjT7_P12ihipStream_tbENKUlT_T0_SK_SP_E_clISE_PySF_SF_EEDaS13_S14_SK_SP_EUlS13_E_NS1_11comp_targetILNS1_3genE6ELNS1_11target_archE950ELNS1_3gpuE13ELNS1_3repE0EEENS1_47radix_sort_onesweep_sort_config_static_selectorELNS0_4arch9wavefront6targetE1EEEvSK_.kd
    .uniform_work_group_size: 1
    .uses_dynamic_stack: false
    .vgpr_count:     0
    .vgpr_spill_count: 0
    .wavefront_size: 64
  - .agpr_count:     0
    .args:
      - .offset:         0
        .size:           88
        .value_kind:     by_value
    .group_segment_fixed_size: 0
    .kernarg_segment_align: 8
    .kernarg_segment_size: 88
    .language:       OpenCL C
    .language_version:
      - 2
      - 0
    .max_flat_workgroup_size: 512
    .name:           _ZN7rocprim17ROCPRIM_400000_NS6detail17trampoline_kernelINS0_14default_configENS1_35radix_sort_onesweep_config_selectorIyNS0_10empty_typeEEEZZNS1_29radix_sort_onesweep_iterationIS3_Lb0EN6thrust23THRUST_200600_302600_NS6detail15normal_iteratorINS9_10device_ptrIyEEEESE_PS5_SF_jNS0_19identity_decomposerENS1_16block_id_wrapperIjLb0EEEEE10hipError_tT1_PNSt15iterator_traitsISK_E10value_typeET2_T3_PNSL_ISQ_E10value_typeET4_T5_PSV_SW_PNS1_23onesweep_lookback_stateEbbT6_jjT7_P12ihipStream_tbENKUlT_T0_SK_SP_E_clISE_PySF_SF_EEDaS13_S14_SK_SP_EUlS13_E_NS1_11comp_targetILNS1_3genE5ELNS1_11target_archE942ELNS1_3gpuE9ELNS1_3repE0EEENS1_47radix_sort_onesweep_sort_config_static_selectorELNS0_4arch9wavefront6targetE1EEEvSK_
    .private_segment_fixed_size: 0
    .sgpr_count:     4
    .sgpr_spill_count: 0
    .symbol:         _ZN7rocprim17ROCPRIM_400000_NS6detail17trampoline_kernelINS0_14default_configENS1_35radix_sort_onesweep_config_selectorIyNS0_10empty_typeEEEZZNS1_29radix_sort_onesweep_iterationIS3_Lb0EN6thrust23THRUST_200600_302600_NS6detail15normal_iteratorINS9_10device_ptrIyEEEESE_PS5_SF_jNS0_19identity_decomposerENS1_16block_id_wrapperIjLb0EEEEE10hipError_tT1_PNSt15iterator_traitsISK_E10value_typeET2_T3_PNSL_ISQ_E10value_typeET4_T5_PSV_SW_PNS1_23onesweep_lookback_stateEbbT6_jjT7_P12ihipStream_tbENKUlT_T0_SK_SP_E_clISE_PySF_SF_EEDaS13_S14_SK_SP_EUlS13_E_NS1_11comp_targetILNS1_3genE5ELNS1_11target_archE942ELNS1_3gpuE9ELNS1_3repE0EEENS1_47radix_sort_onesweep_sort_config_static_selectorELNS0_4arch9wavefront6targetE1EEEvSK_.kd
    .uniform_work_group_size: 1
    .uses_dynamic_stack: false
    .vgpr_count:     0
    .vgpr_spill_count: 0
    .wavefront_size: 64
  - .agpr_count:     0
    .args:
      - .offset:         0
        .size:           88
        .value_kind:     by_value
    .group_segment_fixed_size: 0
    .kernarg_segment_align: 8
    .kernarg_segment_size: 88
    .language:       OpenCL C
    .language_version:
      - 2
      - 0
    .max_flat_workgroup_size: 512
    .name:           _ZN7rocprim17ROCPRIM_400000_NS6detail17trampoline_kernelINS0_14default_configENS1_35radix_sort_onesweep_config_selectorIyNS0_10empty_typeEEEZZNS1_29radix_sort_onesweep_iterationIS3_Lb0EN6thrust23THRUST_200600_302600_NS6detail15normal_iteratorINS9_10device_ptrIyEEEESE_PS5_SF_jNS0_19identity_decomposerENS1_16block_id_wrapperIjLb0EEEEE10hipError_tT1_PNSt15iterator_traitsISK_E10value_typeET2_T3_PNSL_ISQ_E10value_typeET4_T5_PSV_SW_PNS1_23onesweep_lookback_stateEbbT6_jjT7_P12ihipStream_tbENKUlT_T0_SK_SP_E_clISE_PySF_SF_EEDaS13_S14_SK_SP_EUlS13_E_NS1_11comp_targetILNS1_3genE2ELNS1_11target_archE906ELNS1_3gpuE6ELNS1_3repE0EEENS1_47radix_sort_onesweep_sort_config_static_selectorELNS0_4arch9wavefront6targetE1EEEvSK_
    .private_segment_fixed_size: 0
    .sgpr_count:     4
    .sgpr_spill_count: 0
    .symbol:         _ZN7rocprim17ROCPRIM_400000_NS6detail17trampoline_kernelINS0_14default_configENS1_35radix_sort_onesweep_config_selectorIyNS0_10empty_typeEEEZZNS1_29radix_sort_onesweep_iterationIS3_Lb0EN6thrust23THRUST_200600_302600_NS6detail15normal_iteratorINS9_10device_ptrIyEEEESE_PS5_SF_jNS0_19identity_decomposerENS1_16block_id_wrapperIjLb0EEEEE10hipError_tT1_PNSt15iterator_traitsISK_E10value_typeET2_T3_PNSL_ISQ_E10value_typeET4_T5_PSV_SW_PNS1_23onesweep_lookback_stateEbbT6_jjT7_P12ihipStream_tbENKUlT_T0_SK_SP_E_clISE_PySF_SF_EEDaS13_S14_SK_SP_EUlS13_E_NS1_11comp_targetILNS1_3genE2ELNS1_11target_archE906ELNS1_3gpuE6ELNS1_3repE0EEENS1_47radix_sort_onesweep_sort_config_static_selectorELNS0_4arch9wavefront6targetE1EEEvSK_.kd
    .uniform_work_group_size: 1
    .uses_dynamic_stack: false
    .vgpr_count:     0
    .vgpr_spill_count: 0
    .wavefront_size: 64
  - .agpr_count:     0
    .args:
      - .offset:         0
        .size:           88
        .value_kind:     by_value
      - .offset:         88
        .size:           4
        .value_kind:     hidden_block_count_x
      - .offset:         92
        .size:           4
        .value_kind:     hidden_block_count_y
      - .offset:         96
        .size:           4
        .value_kind:     hidden_block_count_z
      - .offset:         100
        .size:           2
        .value_kind:     hidden_group_size_x
      - .offset:         102
        .size:           2
        .value_kind:     hidden_group_size_y
      - .offset:         104
        .size:           2
        .value_kind:     hidden_group_size_z
      - .offset:         106
        .size:           2
        .value_kind:     hidden_remainder_x
      - .offset:         108
        .size:           2
        .value_kind:     hidden_remainder_y
      - .offset:         110
        .size:           2
        .value_kind:     hidden_remainder_z
      - .offset:         128
        .size:           8
        .value_kind:     hidden_global_offset_x
      - .offset:         136
        .size:           8
        .value_kind:     hidden_global_offset_y
      - .offset:         144
        .size:           8
        .value_kind:     hidden_global_offset_z
      - .offset:         152
        .size:           2
        .value_kind:     hidden_grid_dims
    .group_segment_fixed_size: 20552
    .kernarg_segment_align: 8
    .kernarg_segment_size: 344
    .language:       OpenCL C
    .language_version:
      - 2
      - 0
    .max_flat_workgroup_size: 1024
    .name:           _ZN7rocprim17ROCPRIM_400000_NS6detail17trampoline_kernelINS0_14default_configENS1_35radix_sort_onesweep_config_selectorIyNS0_10empty_typeEEEZZNS1_29radix_sort_onesweep_iterationIS3_Lb0EN6thrust23THRUST_200600_302600_NS6detail15normal_iteratorINS9_10device_ptrIyEEEESE_PS5_SF_jNS0_19identity_decomposerENS1_16block_id_wrapperIjLb0EEEEE10hipError_tT1_PNSt15iterator_traitsISK_E10value_typeET2_T3_PNSL_ISQ_E10value_typeET4_T5_PSV_SW_PNS1_23onesweep_lookback_stateEbbT6_jjT7_P12ihipStream_tbENKUlT_T0_SK_SP_E_clISE_PySF_SF_EEDaS13_S14_SK_SP_EUlS13_E_NS1_11comp_targetILNS1_3genE4ELNS1_11target_archE910ELNS1_3gpuE8ELNS1_3repE0EEENS1_47radix_sort_onesweep_sort_config_static_selectorELNS0_4arch9wavefront6targetE1EEEvSK_
    .private_segment_fixed_size: 0
    .sgpr_count:     34
    .sgpr_spill_count: 0
    .symbol:         _ZN7rocprim17ROCPRIM_400000_NS6detail17trampoline_kernelINS0_14default_configENS1_35radix_sort_onesweep_config_selectorIyNS0_10empty_typeEEEZZNS1_29radix_sort_onesweep_iterationIS3_Lb0EN6thrust23THRUST_200600_302600_NS6detail15normal_iteratorINS9_10device_ptrIyEEEESE_PS5_SF_jNS0_19identity_decomposerENS1_16block_id_wrapperIjLb0EEEEE10hipError_tT1_PNSt15iterator_traitsISK_E10value_typeET2_T3_PNSL_ISQ_E10value_typeET4_T5_PSV_SW_PNS1_23onesweep_lookback_stateEbbT6_jjT7_P12ihipStream_tbENKUlT_T0_SK_SP_E_clISE_PySF_SF_EEDaS13_S14_SK_SP_EUlS13_E_NS1_11comp_targetILNS1_3genE4ELNS1_11target_archE910ELNS1_3gpuE8ELNS1_3repE0EEENS1_47radix_sort_onesweep_sort_config_static_selectorELNS0_4arch9wavefront6targetE1EEEvSK_.kd
    .uniform_work_group_size: 1
    .uses_dynamic_stack: false
    .vgpr_count:     55
    .vgpr_spill_count: 0
    .wavefront_size: 64
  - .agpr_count:     0
    .args:
      - .offset:         0
        .size:           88
        .value_kind:     by_value
    .group_segment_fixed_size: 0
    .kernarg_segment_align: 8
    .kernarg_segment_size: 88
    .language:       OpenCL C
    .language_version:
      - 2
      - 0
    .max_flat_workgroup_size: 512
    .name:           _ZN7rocprim17ROCPRIM_400000_NS6detail17trampoline_kernelINS0_14default_configENS1_35radix_sort_onesweep_config_selectorIyNS0_10empty_typeEEEZZNS1_29radix_sort_onesweep_iterationIS3_Lb0EN6thrust23THRUST_200600_302600_NS6detail15normal_iteratorINS9_10device_ptrIyEEEESE_PS5_SF_jNS0_19identity_decomposerENS1_16block_id_wrapperIjLb0EEEEE10hipError_tT1_PNSt15iterator_traitsISK_E10value_typeET2_T3_PNSL_ISQ_E10value_typeET4_T5_PSV_SW_PNS1_23onesweep_lookback_stateEbbT6_jjT7_P12ihipStream_tbENKUlT_T0_SK_SP_E_clISE_PySF_SF_EEDaS13_S14_SK_SP_EUlS13_E_NS1_11comp_targetILNS1_3genE3ELNS1_11target_archE908ELNS1_3gpuE7ELNS1_3repE0EEENS1_47radix_sort_onesweep_sort_config_static_selectorELNS0_4arch9wavefront6targetE1EEEvSK_
    .private_segment_fixed_size: 0
    .sgpr_count:     4
    .sgpr_spill_count: 0
    .symbol:         _ZN7rocprim17ROCPRIM_400000_NS6detail17trampoline_kernelINS0_14default_configENS1_35radix_sort_onesweep_config_selectorIyNS0_10empty_typeEEEZZNS1_29radix_sort_onesweep_iterationIS3_Lb0EN6thrust23THRUST_200600_302600_NS6detail15normal_iteratorINS9_10device_ptrIyEEEESE_PS5_SF_jNS0_19identity_decomposerENS1_16block_id_wrapperIjLb0EEEEE10hipError_tT1_PNSt15iterator_traitsISK_E10value_typeET2_T3_PNSL_ISQ_E10value_typeET4_T5_PSV_SW_PNS1_23onesweep_lookback_stateEbbT6_jjT7_P12ihipStream_tbENKUlT_T0_SK_SP_E_clISE_PySF_SF_EEDaS13_S14_SK_SP_EUlS13_E_NS1_11comp_targetILNS1_3genE3ELNS1_11target_archE908ELNS1_3gpuE7ELNS1_3repE0EEENS1_47radix_sort_onesweep_sort_config_static_selectorELNS0_4arch9wavefront6targetE1EEEvSK_.kd
    .uniform_work_group_size: 1
    .uses_dynamic_stack: false
    .vgpr_count:     0
    .vgpr_spill_count: 0
    .wavefront_size: 64
  - .agpr_count:     0
    .args:
      - .offset:         0
        .size:           88
        .value_kind:     by_value
    .group_segment_fixed_size: 0
    .kernarg_segment_align: 8
    .kernarg_segment_size: 88
    .language:       OpenCL C
    .language_version:
      - 2
      - 0
    .max_flat_workgroup_size: 512
    .name:           _ZN7rocprim17ROCPRIM_400000_NS6detail17trampoline_kernelINS0_14default_configENS1_35radix_sort_onesweep_config_selectorIyNS0_10empty_typeEEEZZNS1_29radix_sort_onesweep_iterationIS3_Lb0EN6thrust23THRUST_200600_302600_NS6detail15normal_iteratorINS9_10device_ptrIyEEEESE_PS5_SF_jNS0_19identity_decomposerENS1_16block_id_wrapperIjLb0EEEEE10hipError_tT1_PNSt15iterator_traitsISK_E10value_typeET2_T3_PNSL_ISQ_E10value_typeET4_T5_PSV_SW_PNS1_23onesweep_lookback_stateEbbT6_jjT7_P12ihipStream_tbENKUlT_T0_SK_SP_E_clISE_PySF_SF_EEDaS13_S14_SK_SP_EUlS13_E_NS1_11comp_targetILNS1_3genE10ELNS1_11target_archE1201ELNS1_3gpuE5ELNS1_3repE0EEENS1_47radix_sort_onesweep_sort_config_static_selectorELNS0_4arch9wavefront6targetE1EEEvSK_
    .private_segment_fixed_size: 0
    .sgpr_count:     4
    .sgpr_spill_count: 0
    .symbol:         _ZN7rocprim17ROCPRIM_400000_NS6detail17trampoline_kernelINS0_14default_configENS1_35radix_sort_onesweep_config_selectorIyNS0_10empty_typeEEEZZNS1_29radix_sort_onesweep_iterationIS3_Lb0EN6thrust23THRUST_200600_302600_NS6detail15normal_iteratorINS9_10device_ptrIyEEEESE_PS5_SF_jNS0_19identity_decomposerENS1_16block_id_wrapperIjLb0EEEEE10hipError_tT1_PNSt15iterator_traitsISK_E10value_typeET2_T3_PNSL_ISQ_E10value_typeET4_T5_PSV_SW_PNS1_23onesweep_lookback_stateEbbT6_jjT7_P12ihipStream_tbENKUlT_T0_SK_SP_E_clISE_PySF_SF_EEDaS13_S14_SK_SP_EUlS13_E_NS1_11comp_targetILNS1_3genE10ELNS1_11target_archE1201ELNS1_3gpuE5ELNS1_3repE0EEENS1_47radix_sort_onesweep_sort_config_static_selectorELNS0_4arch9wavefront6targetE1EEEvSK_.kd
    .uniform_work_group_size: 1
    .uses_dynamic_stack: false
    .vgpr_count:     0
    .vgpr_spill_count: 0
    .wavefront_size: 64
  - .agpr_count:     0
    .args:
      - .offset:         0
        .size:           88
        .value_kind:     by_value
    .group_segment_fixed_size: 0
    .kernarg_segment_align: 8
    .kernarg_segment_size: 88
    .language:       OpenCL C
    .language_version:
      - 2
      - 0
    .max_flat_workgroup_size: 1024
    .name:           _ZN7rocprim17ROCPRIM_400000_NS6detail17trampoline_kernelINS0_14default_configENS1_35radix_sort_onesweep_config_selectorIyNS0_10empty_typeEEEZZNS1_29radix_sort_onesweep_iterationIS3_Lb0EN6thrust23THRUST_200600_302600_NS6detail15normal_iteratorINS9_10device_ptrIyEEEESE_PS5_SF_jNS0_19identity_decomposerENS1_16block_id_wrapperIjLb0EEEEE10hipError_tT1_PNSt15iterator_traitsISK_E10value_typeET2_T3_PNSL_ISQ_E10value_typeET4_T5_PSV_SW_PNS1_23onesweep_lookback_stateEbbT6_jjT7_P12ihipStream_tbENKUlT_T0_SK_SP_E_clISE_PySF_SF_EEDaS13_S14_SK_SP_EUlS13_E_NS1_11comp_targetILNS1_3genE9ELNS1_11target_archE1100ELNS1_3gpuE3ELNS1_3repE0EEENS1_47radix_sort_onesweep_sort_config_static_selectorELNS0_4arch9wavefront6targetE1EEEvSK_
    .private_segment_fixed_size: 0
    .sgpr_count:     4
    .sgpr_spill_count: 0
    .symbol:         _ZN7rocprim17ROCPRIM_400000_NS6detail17trampoline_kernelINS0_14default_configENS1_35radix_sort_onesweep_config_selectorIyNS0_10empty_typeEEEZZNS1_29radix_sort_onesweep_iterationIS3_Lb0EN6thrust23THRUST_200600_302600_NS6detail15normal_iteratorINS9_10device_ptrIyEEEESE_PS5_SF_jNS0_19identity_decomposerENS1_16block_id_wrapperIjLb0EEEEE10hipError_tT1_PNSt15iterator_traitsISK_E10value_typeET2_T3_PNSL_ISQ_E10value_typeET4_T5_PSV_SW_PNS1_23onesweep_lookback_stateEbbT6_jjT7_P12ihipStream_tbENKUlT_T0_SK_SP_E_clISE_PySF_SF_EEDaS13_S14_SK_SP_EUlS13_E_NS1_11comp_targetILNS1_3genE9ELNS1_11target_archE1100ELNS1_3gpuE3ELNS1_3repE0EEENS1_47radix_sort_onesweep_sort_config_static_selectorELNS0_4arch9wavefront6targetE1EEEvSK_.kd
    .uniform_work_group_size: 1
    .uses_dynamic_stack: false
    .vgpr_count:     0
    .vgpr_spill_count: 0
    .wavefront_size: 64
  - .agpr_count:     0
    .args:
      - .offset:         0
        .size:           88
        .value_kind:     by_value
    .group_segment_fixed_size: 0
    .kernarg_segment_align: 8
    .kernarg_segment_size: 88
    .language:       OpenCL C
    .language_version:
      - 2
      - 0
    .max_flat_workgroup_size: 1024
    .name:           _ZN7rocprim17ROCPRIM_400000_NS6detail17trampoline_kernelINS0_14default_configENS1_35radix_sort_onesweep_config_selectorIyNS0_10empty_typeEEEZZNS1_29radix_sort_onesweep_iterationIS3_Lb0EN6thrust23THRUST_200600_302600_NS6detail15normal_iteratorINS9_10device_ptrIyEEEESE_PS5_SF_jNS0_19identity_decomposerENS1_16block_id_wrapperIjLb0EEEEE10hipError_tT1_PNSt15iterator_traitsISK_E10value_typeET2_T3_PNSL_ISQ_E10value_typeET4_T5_PSV_SW_PNS1_23onesweep_lookback_stateEbbT6_jjT7_P12ihipStream_tbENKUlT_T0_SK_SP_E_clISE_PySF_SF_EEDaS13_S14_SK_SP_EUlS13_E_NS1_11comp_targetILNS1_3genE8ELNS1_11target_archE1030ELNS1_3gpuE2ELNS1_3repE0EEENS1_47radix_sort_onesweep_sort_config_static_selectorELNS0_4arch9wavefront6targetE1EEEvSK_
    .private_segment_fixed_size: 0
    .sgpr_count:     4
    .sgpr_spill_count: 0
    .symbol:         _ZN7rocprim17ROCPRIM_400000_NS6detail17trampoline_kernelINS0_14default_configENS1_35radix_sort_onesweep_config_selectorIyNS0_10empty_typeEEEZZNS1_29radix_sort_onesweep_iterationIS3_Lb0EN6thrust23THRUST_200600_302600_NS6detail15normal_iteratorINS9_10device_ptrIyEEEESE_PS5_SF_jNS0_19identity_decomposerENS1_16block_id_wrapperIjLb0EEEEE10hipError_tT1_PNSt15iterator_traitsISK_E10value_typeET2_T3_PNSL_ISQ_E10value_typeET4_T5_PSV_SW_PNS1_23onesweep_lookback_stateEbbT6_jjT7_P12ihipStream_tbENKUlT_T0_SK_SP_E_clISE_PySF_SF_EEDaS13_S14_SK_SP_EUlS13_E_NS1_11comp_targetILNS1_3genE8ELNS1_11target_archE1030ELNS1_3gpuE2ELNS1_3repE0EEENS1_47radix_sort_onesweep_sort_config_static_selectorELNS0_4arch9wavefront6targetE1EEEvSK_.kd
    .uniform_work_group_size: 1
    .uses_dynamic_stack: false
    .vgpr_count:     0
    .vgpr_spill_count: 0
    .wavefront_size: 64
  - .agpr_count:     0
    .args:
      - .offset:         0
        .size:           88
        .value_kind:     by_value
    .group_segment_fixed_size: 0
    .kernarg_segment_align: 8
    .kernarg_segment_size: 88
    .language:       OpenCL C
    .language_version:
      - 2
      - 0
    .max_flat_workgroup_size: 512
    .name:           _ZN7rocprim17ROCPRIM_400000_NS6detail17trampoline_kernelINS0_14default_configENS1_35radix_sort_onesweep_config_selectorIyNS0_10empty_typeEEEZZNS1_29radix_sort_onesweep_iterationIS3_Lb0EN6thrust23THRUST_200600_302600_NS6detail15normal_iteratorINS9_10device_ptrIyEEEESE_PS5_SF_jNS0_19identity_decomposerENS1_16block_id_wrapperIjLb0EEEEE10hipError_tT1_PNSt15iterator_traitsISK_E10value_typeET2_T3_PNSL_ISQ_E10value_typeET4_T5_PSV_SW_PNS1_23onesweep_lookback_stateEbbT6_jjT7_P12ihipStream_tbENKUlT_T0_SK_SP_E_clIPySE_SF_SF_EEDaS13_S14_SK_SP_EUlS13_E_NS1_11comp_targetILNS1_3genE0ELNS1_11target_archE4294967295ELNS1_3gpuE0ELNS1_3repE0EEENS1_47radix_sort_onesweep_sort_config_static_selectorELNS0_4arch9wavefront6targetE1EEEvSK_
    .private_segment_fixed_size: 0
    .sgpr_count:     4
    .sgpr_spill_count: 0
    .symbol:         _ZN7rocprim17ROCPRIM_400000_NS6detail17trampoline_kernelINS0_14default_configENS1_35radix_sort_onesweep_config_selectorIyNS0_10empty_typeEEEZZNS1_29radix_sort_onesweep_iterationIS3_Lb0EN6thrust23THRUST_200600_302600_NS6detail15normal_iteratorINS9_10device_ptrIyEEEESE_PS5_SF_jNS0_19identity_decomposerENS1_16block_id_wrapperIjLb0EEEEE10hipError_tT1_PNSt15iterator_traitsISK_E10value_typeET2_T3_PNSL_ISQ_E10value_typeET4_T5_PSV_SW_PNS1_23onesweep_lookback_stateEbbT6_jjT7_P12ihipStream_tbENKUlT_T0_SK_SP_E_clIPySE_SF_SF_EEDaS13_S14_SK_SP_EUlS13_E_NS1_11comp_targetILNS1_3genE0ELNS1_11target_archE4294967295ELNS1_3gpuE0ELNS1_3repE0EEENS1_47radix_sort_onesweep_sort_config_static_selectorELNS0_4arch9wavefront6targetE1EEEvSK_.kd
    .uniform_work_group_size: 1
    .uses_dynamic_stack: false
    .vgpr_count:     0
    .vgpr_spill_count: 0
    .wavefront_size: 64
  - .agpr_count:     0
    .args:
      - .offset:         0
        .size:           88
        .value_kind:     by_value
    .group_segment_fixed_size: 0
    .kernarg_segment_align: 8
    .kernarg_segment_size: 88
    .language:       OpenCL C
    .language_version:
      - 2
      - 0
    .max_flat_workgroup_size: 512
    .name:           _ZN7rocprim17ROCPRIM_400000_NS6detail17trampoline_kernelINS0_14default_configENS1_35radix_sort_onesweep_config_selectorIyNS0_10empty_typeEEEZZNS1_29radix_sort_onesweep_iterationIS3_Lb0EN6thrust23THRUST_200600_302600_NS6detail15normal_iteratorINS9_10device_ptrIyEEEESE_PS5_SF_jNS0_19identity_decomposerENS1_16block_id_wrapperIjLb0EEEEE10hipError_tT1_PNSt15iterator_traitsISK_E10value_typeET2_T3_PNSL_ISQ_E10value_typeET4_T5_PSV_SW_PNS1_23onesweep_lookback_stateEbbT6_jjT7_P12ihipStream_tbENKUlT_T0_SK_SP_E_clIPySE_SF_SF_EEDaS13_S14_SK_SP_EUlS13_E_NS1_11comp_targetILNS1_3genE6ELNS1_11target_archE950ELNS1_3gpuE13ELNS1_3repE0EEENS1_47radix_sort_onesweep_sort_config_static_selectorELNS0_4arch9wavefront6targetE1EEEvSK_
    .private_segment_fixed_size: 0
    .sgpr_count:     4
    .sgpr_spill_count: 0
    .symbol:         _ZN7rocprim17ROCPRIM_400000_NS6detail17trampoline_kernelINS0_14default_configENS1_35radix_sort_onesweep_config_selectorIyNS0_10empty_typeEEEZZNS1_29radix_sort_onesweep_iterationIS3_Lb0EN6thrust23THRUST_200600_302600_NS6detail15normal_iteratorINS9_10device_ptrIyEEEESE_PS5_SF_jNS0_19identity_decomposerENS1_16block_id_wrapperIjLb0EEEEE10hipError_tT1_PNSt15iterator_traitsISK_E10value_typeET2_T3_PNSL_ISQ_E10value_typeET4_T5_PSV_SW_PNS1_23onesweep_lookback_stateEbbT6_jjT7_P12ihipStream_tbENKUlT_T0_SK_SP_E_clIPySE_SF_SF_EEDaS13_S14_SK_SP_EUlS13_E_NS1_11comp_targetILNS1_3genE6ELNS1_11target_archE950ELNS1_3gpuE13ELNS1_3repE0EEENS1_47radix_sort_onesweep_sort_config_static_selectorELNS0_4arch9wavefront6targetE1EEEvSK_.kd
    .uniform_work_group_size: 1
    .uses_dynamic_stack: false
    .vgpr_count:     0
    .vgpr_spill_count: 0
    .wavefront_size: 64
  - .agpr_count:     0
    .args:
      - .offset:         0
        .size:           88
        .value_kind:     by_value
    .group_segment_fixed_size: 0
    .kernarg_segment_align: 8
    .kernarg_segment_size: 88
    .language:       OpenCL C
    .language_version:
      - 2
      - 0
    .max_flat_workgroup_size: 512
    .name:           _ZN7rocprim17ROCPRIM_400000_NS6detail17trampoline_kernelINS0_14default_configENS1_35radix_sort_onesweep_config_selectorIyNS0_10empty_typeEEEZZNS1_29radix_sort_onesweep_iterationIS3_Lb0EN6thrust23THRUST_200600_302600_NS6detail15normal_iteratorINS9_10device_ptrIyEEEESE_PS5_SF_jNS0_19identity_decomposerENS1_16block_id_wrapperIjLb0EEEEE10hipError_tT1_PNSt15iterator_traitsISK_E10value_typeET2_T3_PNSL_ISQ_E10value_typeET4_T5_PSV_SW_PNS1_23onesweep_lookback_stateEbbT6_jjT7_P12ihipStream_tbENKUlT_T0_SK_SP_E_clIPySE_SF_SF_EEDaS13_S14_SK_SP_EUlS13_E_NS1_11comp_targetILNS1_3genE5ELNS1_11target_archE942ELNS1_3gpuE9ELNS1_3repE0EEENS1_47radix_sort_onesweep_sort_config_static_selectorELNS0_4arch9wavefront6targetE1EEEvSK_
    .private_segment_fixed_size: 0
    .sgpr_count:     4
    .sgpr_spill_count: 0
    .symbol:         _ZN7rocprim17ROCPRIM_400000_NS6detail17trampoline_kernelINS0_14default_configENS1_35radix_sort_onesweep_config_selectorIyNS0_10empty_typeEEEZZNS1_29radix_sort_onesweep_iterationIS3_Lb0EN6thrust23THRUST_200600_302600_NS6detail15normal_iteratorINS9_10device_ptrIyEEEESE_PS5_SF_jNS0_19identity_decomposerENS1_16block_id_wrapperIjLb0EEEEE10hipError_tT1_PNSt15iterator_traitsISK_E10value_typeET2_T3_PNSL_ISQ_E10value_typeET4_T5_PSV_SW_PNS1_23onesweep_lookback_stateEbbT6_jjT7_P12ihipStream_tbENKUlT_T0_SK_SP_E_clIPySE_SF_SF_EEDaS13_S14_SK_SP_EUlS13_E_NS1_11comp_targetILNS1_3genE5ELNS1_11target_archE942ELNS1_3gpuE9ELNS1_3repE0EEENS1_47radix_sort_onesweep_sort_config_static_selectorELNS0_4arch9wavefront6targetE1EEEvSK_.kd
    .uniform_work_group_size: 1
    .uses_dynamic_stack: false
    .vgpr_count:     0
    .vgpr_spill_count: 0
    .wavefront_size: 64
  - .agpr_count:     0
    .args:
      - .offset:         0
        .size:           88
        .value_kind:     by_value
    .group_segment_fixed_size: 0
    .kernarg_segment_align: 8
    .kernarg_segment_size: 88
    .language:       OpenCL C
    .language_version:
      - 2
      - 0
    .max_flat_workgroup_size: 512
    .name:           _ZN7rocprim17ROCPRIM_400000_NS6detail17trampoline_kernelINS0_14default_configENS1_35radix_sort_onesweep_config_selectorIyNS0_10empty_typeEEEZZNS1_29radix_sort_onesweep_iterationIS3_Lb0EN6thrust23THRUST_200600_302600_NS6detail15normal_iteratorINS9_10device_ptrIyEEEESE_PS5_SF_jNS0_19identity_decomposerENS1_16block_id_wrapperIjLb0EEEEE10hipError_tT1_PNSt15iterator_traitsISK_E10value_typeET2_T3_PNSL_ISQ_E10value_typeET4_T5_PSV_SW_PNS1_23onesweep_lookback_stateEbbT6_jjT7_P12ihipStream_tbENKUlT_T0_SK_SP_E_clIPySE_SF_SF_EEDaS13_S14_SK_SP_EUlS13_E_NS1_11comp_targetILNS1_3genE2ELNS1_11target_archE906ELNS1_3gpuE6ELNS1_3repE0EEENS1_47radix_sort_onesweep_sort_config_static_selectorELNS0_4arch9wavefront6targetE1EEEvSK_
    .private_segment_fixed_size: 0
    .sgpr_count:     4
    .sgpr_spill_count: 0
    .symbol:         _ZN7rocprim17ROCPRIM_400000_NS6detail17trampoline_kernelINS0_14default_configENS1_35radix_sort_onesweep_config_selectorIyNS0_10empty_typeEEEZZNS1_29radix_sort_onesweep_iterationIS3_Lb0EN6thrust23THRUST_200600_302600_NS6detail15normal_iteratorINS9_10device_ptrIyEEEESE_PS5_SF_jNS0_19identity_decomposerENS1_16block_id_wrapperIjLb0EEEEE10hipError_tT1_PNSt15iterator_traitsISK_E10value_typeET2_T3_PNSL_ISQ_E10value_typeET4_T5_PSV_SW_PNS1_23onesweep_lookback_stateEbbT6_jjT7_P12ihipStream_tbENKUlT_T0_SK_SP_E_clIPySE_SF_SF_EEDaS13_S14_SK_SP_EUlS13_E_NS1_11comp_targetILNS1_3genE2ELNS1_11target_archE906ELNS1_3gpuE6ELNS1_3repE0EEENS1_47radix_sort_onesweep_sort_config_static_selectorELNS0_4arch9wavefront6targetE1EEEvSK_.kd
    .uniform_work_group_size: 1
    .uses_dynamic_stack: false
    .vgpr_count:     0
    .vgpr_spill_count: 0
    .wavefront_size: 64
  - .agpr_count:     0
    .args:
      - .offset:         0
        .size:           88
        .value_kind:     by_value
      - .offset:         88
        .size:           4
        .value_kind:     hidden_block_count_x
      - .offset:         92
        .size:           4
        .value_kind:     hidden_block_count_y
      - .offset:         96
        .size:           4
        .value_kind:     hidden_block_count_z
      - .offset:         100
        .size:           2
        .value_kind:     hidden_group_size_x
      - .offset:         102
        .size:           2
        .value_kind:     hidden_group_size_y
      - .offset:         104
        .size:           2
        .value_kind:     hidden_group_size_z
      - .offset:         106
        .size:           2
        .value_kind:     hidden_remainder_x
      - .offset:         108
        .size:           2
        .value_kind:     hidden_remainder_y
      - .offset:         110
        .size:           2
        .value_kind:     hidden_remainder_z
      - .offset:         128
        .size:           8
        .value_kind:     hidden_global_offset_x
      - .offset:         136
        .size:           8
        .value_kind:     hidden_global_offset_y
      - .offset:         144
        .size:           8
        .value_kind:     hidden_global_offset_z
      - .offset:         152
        .size:           2
        .value_kind:     hidden_grid_dims
    .group_segment_fixed_size: 20552
    .kernarg_segment_align: 8
    .kernarg_segment_size: 344
    .language:       OpenCL C
    .language_version:
      - 2
      - 0
    .max_flat_workgroup_size: 1024
    .name:           _ZN7rocprim17ROCPRIM_400000_NS6detail17trampoline_kernelINS0_14default_configENS1_35radix_sort_onesweep_config_selectorIyNS0_10empty_typeEEEZZNS1_29radix_sort_onesweep_iterationIS3_Lb0EN6thrust23THRUST_200600_302600_NS6detail15normal_iteratorINS9_10device_ptrIyEEEESE_PS5_SF_jNS0_19identity_decomposerENS1_16block_id_wrapperIjLb0EEEEE10hipError_tT1_PNSt15iterator_traitsISK_E10value_typeET2_T3_PNSL_ISQ_E10value_typeET4_T5_PSV_SW_PNS1_23onesweep_lookback_stateEbbT6_jjT7_P12ihipStream_tbENKUlT_T0_SK_SP_E_clIPySE_SF_SF_EEDaS13_S14_SK_SP_EUlS13_E_NS1_11comp_targetILNS1_3genE4ELNS1_11target_archE910ELNS1_3gpuE8ELNS1_3repE0EEENS1_47radix_sort_onesweep_sort_config_static_selectorELNS0_4arch9wavefront6targetE1EEEvSK_
    .private_segment_fixed_size: 0
    .sgpr_count:     34
    .sgpr_spill_count: 0
    .symbol:         _ZN7rocprim17ROCPRIM_400000_NS6detail17trampoline_kernelINS0_14default_configENS1_35radix_sort_onesweep_config_selectorIyNS0_10empty_typeEEEZZNS1_29radix_sort_onesweep_iterationIS3_Lb0EN6thrust23THRUST_200600_302600_NS6detail15normal_iteratorINS9_10device_ptrIyEEEESE_PS5_SF_jNS0_19identity_decomposerENS1_16block_id_wrapperIjLb0EEEEE10hipError_tT1_PNSt15iterator_traitsISK_E10value_typeET2_T3_PNSL_ISQ_E10value_typeET4_T5_PSV_SW_PNS1_23onesweep_lookback_stateEbbT6_jjT7_P12ihipStream_tbENKUlT_T0_SK_SP_E_clIPySE_SF_SF_EEDaS13_S14_SK_SP_EUlS13_E_NS1_11comp_targetILNS1_3genE4ELNS1_11target_archE910ELNS1_3gpuE8ELNS1_3repE0EEENS1_47radix_sort_onesweep_sort_config_static_selectorELNS0_4arch9wavefront6targetE1EEEvSK_.kd
    .uniform_work_group_size: 1
    .uses_dynamic_stack: false
    .vgpr_count:     55
    .vgpr_spill_count: 0
    .wavefront_size: 64
  - .agpr_count:     0
    .args:
      - .offset:         0
        .size:           88
        .value_kind:     by_value
    .group_segment_fixed_size: 0
    .kernarg_segment_align: 8
    .kernarg_segment_size: 88
    .language:       OpenCL C
    .language_version:
      - 2
      - 0
    .max_flat_workgroup_size: 512
    .name:           _ZN7rocprim17ROCPRIM_400000_NS6detail17trampoline_kernelINS0_14default_configENS1_35radix_sort_onesweep_config_selectorIyNS0_10empty_typeEEEZZNS1_29radix_sort_onesweep_iterationIS3_Lb0EN6thrust23THRUST_200600_302600_NS6detail15normal_iteratorINS9_10device_ptrIyEEEESE_PS5_SF_jNS0_19identity_decomposerENS1_16block_id_wrapperIjLb0EEEEE10hipError_tT1_PNSt15iterator_traitsISK_E10value_typeET2_T3_PNSL_ISQ_E10value_typeET4_T5_PSV_SW_PNS1_23onesweep_lookback_stateEbbT6_jjT7_P12ihipStream_tbENKUlT_T0_SK_SP_E_clIPySE_SF_SF_EEDaS13_S14_SK_SP_EUlS13_E_NS1_11comp_targetILNS1_3genE3ELNS1_11target_archE908ELNS1_3gpuE7ELNS1_3repE0EEENS1_47radix_sort_onesweep_sort_config_static_selectorELNS0_4arch9wavefront6targetE1EEEvSK_
    .private_segment_fixed_size: 0
    .sgpr_count:     4
    .sgpr_spill_count: 0
    .symbol:         _ZN7rocprim17ROCPRIM_400000_NS6detail17trampoline_kernelINS0_14default_configENS1_35radix_sort_onesweep_config_selectorIyNS0_10empty_typeEEEZZNS1_29radix_sort_onesweep_iterationIS3_Lb0EN6thrust23THRUST_200600_302600_NS6detail15normal_iteratorINS9_10device_ptrIyEEEESE_PS5_SF_jNS0_19identity_decomposerENS1_16block_id_wrapperIjLb0EEEEE10hipError_tT1_PNSt15iterator_traitsISK_E10value_typeET2_T3_PNSL_ISQ_E10value_typeET4_T5_PSV_SW_PNS1_23onesweep_lookback_stateEbbT6_jjT7_P12ihipStream_tbENKUlT_T0_SK_SP_E_clIPySE_SF_SF_EEDaS13_S14_SK_SP_EUlS13_E_NS1_11comp_targetILNS1_3genE3ELNS1_11target_archE908ELNS1_3gpuE7ELNS1_3repE0EEENS1_47radix_sort_onesweep_sort_config_static_selectorELNS0_4arch9wavefront6targetE1EEEvSK_.kd
    .uniform_work_group_size: 1
    .uses_dynamic_stack: false
    .vgpr_count:     0
    .vgpr_spill_count: 0
    .wavefront_size: 64
  - .agpr_count:     0
    .args:
      - .offset:         0
        .size:           88
        .value_kind:     by_value
    .group_segment_fixed_size: 0
    .kernarg_segment_align: 8
    .kernarg_segment_size: 88
    .language:       OpenCL C
    .language_version:
      - 2
      - 0
    .max_flat_workgroup_size: 512
    .name:           _ZN7rocprim17ROCPRIM_400000_NS6detail17trampoline_kernelINS0_14default_configENS1_35radix_sort_onesweep_config_selectorIyNS0_10empty_typeEEEZZNS1_29radix_sort_onesweep_iterationIS3_Lb0EN6thrust23THRUST_200600_302600_NS6detail15normal_iteratorINS9_10device_ptrIyEEEESE_PS5_SF_jNS0_19identity_decomposerENS1_16block_id_wrapperIjLb0EEEEE10hipError_tT1_PNSt15iterator_traitsISK_E10value_typeET2_T3_PNSL_ISQ_E10value_typeET4_T5_PSV_SW_PNS1_23onesweep_lookback_stateEbbT6_jjT7_P12ihipStream_tbENKUlT_T0_SK_SP_E_clIPySE_SF_SF_EEDaS13_S14_SK_SP_EUlS13_E_NS1_11comp_targetILNS1_3genE10ELNS1_11target_archE1201ELNS1_3gpuE5ELNS1_3repE0EEENS1_47radix_sort_onesweep_sort_config_static_selectorELNS0_4arch9wavefront6targetE1EEEvSK_
    .private_segment_fixed_size: 0
    .sgpr_count:     4
    .sgpr_spill_count: 0
    .symbol:         _ZN7rocprim17ROCPRIM_400000_NS6detail17trampoline_kernelINS0_14default_configENS1_35radix_sort_onesweep_config_selectorIyNS0_10empty_typeEEEZZNS1_29radix_sort_onesweep_iterationIS3_Lb0EN6thrust23THRUST_200600_302600_NS6detail15normal_iteratorINS9_10device_ptrIyEEEESE_PS5_SF_jNS0_19identity_decomposerENS1_16block_id_wrapperIjLb0EEEEE10hipError_tT1_PNSt15iterator_traitsISK_E10value_typeET2_T3_PNSL_ISQ_E10value_typeET4_T5_PSV_SW_PNS1_23onesweep_lookback_stateEbbT6_jjT7_P12ihipStream_tbENKUlT_T0_SK_SP_E_clIPySE_SF_SF_EEDaS13_S14_SK_SP_EUlS13_E_NS1_11comp_targetILNS1_3genE10ELNS1_11target_archE1201ELNS1_3gpuE5ELNS1_3repE0EEENS1_47radix_sort_onesweep_sort_config_static_selectorELNS0_4arch9wavefront6targetE1EEEvSK_.kd
    .uniform_work_group_size: 1
    .uses_dynamic_stack: false
    .vgpr_count:     0
    .vgpr_spill_count: 0
    .wavefront_size: 64
  - .agpr_count:     0
    .args:
      - .offset:         0
        .size:           88
        .value_kind:     by_value
    .group_segment_fixed_size: 0
    .kernarg_segment_align: 8
    .kernarg_segment_size: 88
    .language:       OpenCL C
    .language_version:
      - 2
      - 0
    .max_flat_workgroup_size: 1024
    .name:           _ZN7rocprim17ROCPRIM_400000_NS6detail17trampoline_kernelINS0_14default_configENS1_35radix_sort_onesweep_config_selectorIyNS0_10empty_typeEEEZZNS1_29radix_sort_onesweep_iterationIS3_Lb0EN6thrust23THRUST_200600_302600_NS6detail15normal_iteratorINS9_10device_ptrIyEEEESE_PS5_SF_jNS0_19identity_decomposerENS1_16block_id_wrapperIjLb0EEEEE10hipError_tT1_PNSt15iterator_traitsISK_E10value_typeET2_T3_PNSL_ISQ_E10value_typeET4_T5_PSV_SW_PNS1_23onesweep_lookback_stateEbbT6_jjT7_P12ihipStream_tbENKUlT_T0_SK_SP_E_clIPySE_SF_SF_EEDaS13_S14_SK_SP_EUlS13_E_NS1_11comp_targetILNS1_3genE9ELNS1_11target_archE1100ELNS1_3gpuE3ELNS1_3repE0EEENS1_47radix_sort_onesweep_sort_config_static_selectorELNS0_4arch9wavefront6targetE1EEEvSK_
    .private_segment_fixed_size: 0
    .sgpr_count:     4
    .sgpr_spill_count: 0
    .symbol:         _ZN7rocprim17ROCPRIM_400000_NS6detail17trampoline_kernelINS0_14default_configENS1_35radix_sort_onesweep_config_selectorIyNS0_10empty_typeEEEZZNS1_29radix_sort_onesweep_iterationIS3_Lb0EN6thrust23THRUST_200600_302600_NS6detail15normal_iteratorINS9_10device_ptrIyEEEESE_PS5_SF_jNS0_19identity_decomposerENS1_16block_id_wrapperIjLb0EEEEE10hipError_tT1_PNSt15iterator_traitsISK_E10value_typeET2_T3_PNSL_ISQ_E10value_typeET4_T5_PSV_SW_PNS1_23onesweep_lookback_stateEbbT6_jjT7_P12ihipStream_tbENKUlT_T0_SK_SP_E_clIPySE_SF_SF_EEDaS13_S14_SK_SP_EUlS13_E_NS1_11comp_targetILNS1_3genE9ELNS1_11target_archE1100ELNS1_3gpuE3ELNS1_3repE0EEENS1_47radix_sort_onesweep_sort_config_static_selectorELNS0_4arch9wavefront6targetE1EEEvSK_.kd
    .uniform_work_group_size: 1
    .uses_dynamic_stack: false
    .vgpr_count:     0
    .vgpr_spill_count: 0
    .wavefront_size: 64
  - .agpr_count:     0
    .args:
      - .offset:         0
        .size:           88
        .value_kind:     by_value
    .group_segment_fixed_size: 0
    .kernarg_segment_align: 8
    .kernarg_segment_size: 88
    .language:       OpenCL C
    .language_version:
      - 2
      - 0
    .max_flat_workgroup_size: 1024
    .name:           _ZN7rocprim17ROCPRIM_400000_NS6detail17trampoline_kernelINS0_14default_configENS1_35radix_sort_onesweep_config_selectorIyNS0_10empty_typeEEEZZNS1_29radix_sort_onesweep_iterationIS3_Lb0EN6thrust23THRUST_200600_302600_NS6detail15normal_iteratorINS9_10device_ptrIyEEEESE_PS5_SF_jNS0_19identity_decomposerENS1_16block_id_wrapperIjLb0EEEEE10hipError_tT1_PNSt15iterator_traitsISK_E10value_typeET2_T3_PNSL_ISQ_E10value_typeET4_T5_PSV_SW_PNS1_23onesweep_lookback_stateEbbT6_jjT7_P12ihipStream_tbENKUlT_T0_SK_SP_E_clIPySE_SF_SF_EEDaS13_S14_SK_SP_EUlS13_E_NS1_11comp_targetILNS1_3genE8ELNS1_11target_archE1030ELNS1_3gpuE2ELNS1_3repE0EEENS1_47radix_sort_onesweep_sort_config_static_selectorELNS0_4arch9wavefront6targetE1EEEvSK_
    .private_segment_fixed_size: 0
    .sgpr_count:     4
    .sgpr_spill_count: 0
    .symbol:         _ZN7rocprim17ROCPRIM_400000_NS6detail17trampoline_kernelINS0_14default_configENS1_35radix_sort_onesweep_config_selectorIyNS0_10empty_typeEEEZZNS1_29radix_sort_onesweep_iterationIS3_Lb0EN6thrust23THRUST_200600_302600_NS6detail15normal_iteratorINS9_10device_ptrIyEEEESE_PS5_SF_jNS0_19identity_decomposerENS1_16block_id_wrapperIjLb0EEEEE10hipError_tT1_PNSt15iterator_traitsISK_E10value_typeET2_T3_PNSL_ISQ_E10value_typeET4_T5_PSV_SW_PNS1_23onesweep_lookback_stateEbbT6_jjT7_P12ihipStream_tbENKUlT_T0_SK_SP_E_clIPySE_SF_SF_EEDaS13_S14_SK_SP_EUlS13_E_NS1_11comp_targetILNS1_3genE8ELNS1_11target_archE1030ELNS1_3gpuE2ELNS1_3repE0EEENS1_47radix_sort_onesweep_sort_config_static_selectorELNS0_4arch9wavefront6targetE1EEEvSK_.kd
    .uniform_work_group_size: 1
    .uses_dynamic_stack: false
    .vgpr_count:     0
    .vgpr_spill_count: 0
    .wavefront_size: 64
  - .agpr_count:     0
    .args:
      - .offset:         0
        .size:           16
        .value_kind:     by_value
      - .offset:         16
        .size:           8
        .value_kind:     by_value
      - .offset:         24
        .size:           8
        .value_kind:     by_value
    .group_segment_fixed_size: 0
    .kernarg_segment_align: 8
    .kernarg_segment_size: 32
    .language:       OpenCL C
    .language_version:
      - 2
      - 0
    .max_flat_workgroup_size: 256
    .name:           _ZN6thrust23THRUST_200600_302600_NS11hip_rocprim14__parallel_for6kernelILj256ENS1_20__uninitialized_copy7functorINS0_6detail15normal_iteratorINS0_10device_ptrIjEEEENS7_INS0_7pointerIjNS1_3tagENS0_11use_defaultESD_EEEEEElLj1EEEvT0_T1_SI_
    .private_segment_fixed_size: 0
    .sgpr_count:     20
    .sgpr_spill_count: 0
    .symbol:         _ZN6thrust23THRUST_200600_302600_NS11hip_rocprim14__parallel_for6kernelILj256ENS1_20__uninitialized_copy7functorINS0_6detail15normal_iteratorINS0_10device_ptrIjEEEENS7_INS0_7pointerIjNS1_3tagENS0_11use_defaultESD_EEEEEElLj1EEEvT0_T1_SI_.kd
    .uniform_work_group_size: 1
    .uses_dynamic_stack: false
    .vgpr_count:     6
    .vgpr_spill_count: 0
    .wavefront_size: 64
  - .agpr_count:     0
    .args:
      - .offset:         0
        .size:           120
        .value_kind:     by_value
    .group_segment_fixed_size: 0
    .kernarg_segment_align: 8
    .kernarg_segment_size: 120
    .language:       OpenCL C
    .language_version:
      - 2
      - 0
    .max_flat_workgroup_size: 256
    .name:           _ZN7rocprim17ROCPRIM_400000_NS6detail17trampoline_kernelINS0_14default_configENS1_25partition_config_selectorILNS1_17partition_subalgoE3EjNS0_10empty_typeEbEEZZNS1_14partition_implILS5_3ELb0ES3_jN6thrust23THRUST_200600_302600_NS6detail15normal_iteratorINSA_7pointerIjNSA_11hip_rocprim3tagENSA_11use_defaultESG_EEEEPS6_SJ_NS0_5tupleIJPjSJ_EEENSK_IJSJ_SJ_EEES6_PlJ7is_evenIjEEEE10hipError_tPvRmT3_T4_T5_T6_T7_T9_mT8_P12ihipStream_tbDpT10_ENKUlT_T0_E_clISt17integral_constantIbLb0EES1A_EEDaS15_S16_EUlS15_E_NS1_11comp_targetILNS1_3genE0ELNS1_11target_archE4294967295ELNS1_3gpuE0ELNS1_3repE0EEENS1_30default_config_static_selectorELNS0_4arch9wavefront6targetE1EEEvT1_
    .private_segment_fixed_size: 0
    .sgpr_count:     4
    .sgpr_spill_count: 0
    .symbol:         _ZN7rocprim17ROCPRIM_400000_NS6detail17trampoline_kernelINS0_14default_configENS1_25partition_config_selectorILNS1_17partition_subalgoE3EjNS0_10empty_typeEbEEZZNS1_14partition_implILS5_3ELb0ES3_jN6thrust23THRUST_200600_302600_NS6detail15normal_iteratorINSA_7pointerIjNSA_11hip_rocprim3tagENSA_11use_defaultESG_EEEEPS6_SJ_NS0_5tupleIJPjSJ_EEENSK_IJSJ_SJ_EEES6_PlJ7is_evenIjEEEE10hipError_tPvRmT3_T4_T5_T6_T7_T9_mT8_P12ihipStream_tbDpT10_ENKUlT_T0_E_clISt17integral_constantIbLb0EES1A_EEDaS15_S16_EUlS15_E_NS1_11comp_targetILNS1_3genE0ELNS1_11target_archE4294967295ELNS1_3gpuE0ELNS1_3repE0EEENS1_30default_config_static_selectorELNS0_4arch9wavefront6targetE1EEEvT1_.kd
    .uniform_work_group_size: 1
    .uses_dynamic_stack: false
    .vgpr_count:     0
    .vgpr_spill_count: 0
    .wavefront_size: 64
  - .agpr_count:     0
    .args:
      - .offset:         0
        .size:           120
        .value_kind:     by_value
    .group_segment_fixed_size: 0
    .kernarg_segment_align: 8
    .kernarg_segment_size: 120
    .language:       OpenCL C
    .language_version:
      - 2
      - 0
    .max_flat_workgroup_size: 512
    .name:           _ZN7rocprim17ROCPRIM_400000_NS6detail17trampoline_kernelINS0_14default_configENS1_25partition_config_selectorILNS1_17partition_subalgoE3EjNS0_10empty_typeEbEEZZNS1_14partition_implILS5_3ELb0ES3_jN6thrust23THRUST_200600_302600_NS6detail15normal_iteratorINSA_7pointerIjNSA_11hip_rocprim3tagENSA_11use_defaultESG_EEEEPS6_SJ_NS0_5tupleIJPjSJ_EEENSK_IJSJ_SJ_EEES6_PlJ7is_evenIjEEEE10hipError_tPvRmT3_T4_T5_T6_T7_T9_mT8_P12ihipStream_tbDpT10_ENKUlT_T0_E_clISt17integral_constantIbLb0EES1A_EEDaS15_S16_EUlS15_E_NS1_11comp_targetILNS1_3genE5ELNS1_11target_archE942ELNS1_3gpuE9ELNS1_3repE0EEENS1_30default_config_static_selectorELNS0_4arch9wavefront6targetE1EEEvT1_
    .private_segment_fixed_size: 0
    .sgpr_count:     4
    .sgpr_spill_count: 0
    .symbol:         _ZN7rocprim17ROCPRIM_400000_NS6detail17trampoline_kernelINS0_14default_configENS1_25partition_config_selectorILNS1_17partition_subalgoE3EjNS0_10empty_typeEbEEZZNS1_14partition_implILS5_3ELb0ES3_jN6thrust23THRUST_200600_302600_NS6detail15normal_iteratorINSA_7pointerIjNSA_11hip_rocprim3tagENSA_11use_defaultESG_EEEEPS6_SJ_NS0_5tupleIJPjSJ_EEENSK_IJSJ_SJ_EEES6_PlJ7is_evenIjEEEE10hipError_tPvRmT3_T4_T5_T6_T7_T9_mT8_P12ihipStream_tbDpT10_ENKUlT_T0_E_clISt17integral_constantIbLb0EES1A_EEDaS15_S16_EUlS15_E_NS1_11comp_targetILNS1_3genE5ELNS1_11target_archE942ELNS1_3gpuE9ELNS1_3repE0EEENS1_30default_config_static_selectorELNS0_4arch9wavefront6targetE1EEEvT1_.kd
    .uniform_work_group_size: 1
    .uses_dynamic_stack: false
    .vgpr_count:     0
    .vgpr_spill_count: 0
    .wavefront_size: 64
  - .agpr_count:     0
    .args:
      - .offset:         0
        .size:           120
        .value_kind:     by_value
    .group_segment_fixed_size: 10248
    .kernarg_segment_align: 8
    .kernarg_segment_size: 120
    .language:       OpenCL C
    .language_version:
      - 2
      - 0
    .max_flat_workgroup_size: 256
    .name:           _ZN7rocprim17ROCPRIM_400000_NS6detail17trampoline_kernelINS0_14default_configENS1_25partition_config_selectorILNS1_17partition_subalgoE3EjNS0_10empty_typeEbEEZZNS1_14partition_implILS5_3ELb0ES3_jN6thrust23THRUST_200600_302600_NS6detail15normal_iteratorINSA_7pointerIjNSA_11hip_rocprim3tagENSA_11use_defaultESG_EEEEPS6_SJ_NS0_5tupleIJPjSJ_EEENSK_IJSJ_SJ_EEES6_PlJ7is_evenIjEEEE10hipError_tPvRmT3_T4_T5_T6_T7_T9_mT8_P12ihipStream_tbDpT10_ENKUlT_T0_E_clISt17integral_constantIbLb0EES1A_EEDaS15_S16_EUlS15_E_NS1_11comp_targetILNS1_3genE4ELNS1_11target_archE910ELNS1_3gpuE8ELNS1_3repE0EEENS1_30default_config_static_selectorELNS0_4arch9wavefront6targetE1EEEvT1_
    .private_segment_fixed_size: 0
    .sgpr_count:     50
    .sgpr_spill_count: 0
    .symbol:         _ZN7rocprim17ROCPRIM_400000_NS6detail17trampoline_kernelINS0_14default_configENS1_25partition_config_selectorILNS1_17partition_subalgoE3EjNS0_10empty_typeEbEEZZNS1_14partition_implILS5_3ELb0ES3_jN6thrust23THRUST_200600_302600_NS6detail15normal_iteratorINSA_7pointerIjNSA_11hip_rocprim3tagENSA_11use_defaultESG_EEEEPS6_SJ_NS0_5tupleIJPjSJ_EEENSK_IJSJ_SJ_EEES6_PlJ7is_evenIjEEEE10hipError_tPvRmT3_T4_T5_T6_T7_T9_mT8_P12ihipStream_tbDpT10_ENKUlT_T0_E_clISt17integral_constantIbLb0EES1A_EEDaS15_S16_EUlS15_E_NS1_11comp_targetILNS1_3genE4ELNS1_11target_archE910ELNS1_3gpuE8ELNS1_3repE0EEENS1_30default_config_static_selectorELNS0_4arch9wavefront6targetE1EEEvT1_.kd
    .uniform_work_group_size: 1
    .uses_dynamic_stack: false
    .vgpr_count:     54
    .vgpr_spill_count: 0
    .wavefront_size: 64
  - .agpr_count:     0
    .args:
      - .offset:         0
        .size:           120
        .value_kind:     by_value
    .group_segment_fixed_size: 0
    .kernarg_segment_align: 8
    .kernarg_segment_size: 120
    .language:       OpenCL C
    .language_version:
      - 2
      - 0
    .max_flat_workgroup_size: 256
    .name:           _ZN7rocprim17ROCPRIM_400000_NS6detail17trampoline_kernelINS0_14default_configENS1_25partition_config_selectorILNS1_17partition_subalgoE3EjNS0_10empty_typeEbEEZZNS1_14partition_implILS5_3ELb0ES3_jN6thrust23THRUST_200600_302600_NS6detail15normal_iteratorINSA_7pointerIjNSA_11hip_rocprim3tagENSA_11use_defaultESG_EEEEPS6_SJ_NS0_5tupleIJPjSJ_EEENSK_IJSJ_SJ_EEES6_PlJ7is_evenIjEEEE10hipError_tPvRmT3_T4_T5_T6_T7_T9_mT8_P12ihipStream_tbDpT10_ENKUlT_T0_E_clISt17integral_constantIbLb0EES1A_EEDaS15_S16_EUlS15_E_NS1_11comp_targetILNS1_3genE3ELNS1_11target_archE908ELNS1_3gpuE7ELNS1_3repE0EEENS1_30default_config_static_selectorELNS0_4arch9wavefront6targetE1EEEvT1_
    .private_segment_fixed_size: 0
    .sgpr_count:     4
    .sgpr_spill_count: 0
    .symbol:         _ZN7rocprim17ROCPRIM_400000_NS6detail17trampoline_kernelINS0_14default_configENS1_25partition_config_selectorILNS1_17partition_subalgoE3EjNS0_10empty_typeEbEEZZNS1_14partition_implILS5_3ELb0ES3_jN6thrust23THRUST_200600_302600_NS6detail15normal_iteratorINSA_7pointerIjNSA_11hip_rocprim3tagENSA_11use_defaultESG_EEEEPS6_SJ_NS0_5tupleIJPjSJ_EEENSK_IJSJ_SJ_EEES6_PlJ7is_evenIjEEEE10hipError_tPvRmT3_T4_T5_T6_T7_T9_mT8_P12ihipStream_tbDpT10_ENKUlT_T0_E_clISt17integral_constantIbLb0EES1A_EEDaS15_S16_EUlS15_E_NS1_11comp_targetILNS1_3genE3ELNS1_11target_archE908ELNS1_3gpuE7ELNS1_3repE0EEENS1_30default_config_static_selectorELNS0_4arch9wavefront6targetE1EEEvT1_.kd
    .uniform_work_group_size: 1
    .uses_dynamic_stack: false
    .vgpr_count:     0
    .vgpr_spill_count: 0
    .wavefront_size: 64
  - .agpr_count:     0
    .args:
      - .offset:         0
        .size:           120
        .value_kind:     by_value
    .group_segment_fixed_size: 0
    .kernarg_segment_align: 8
    .kernarg_segment_size: 120
    .language:       OpenCL C
    .language_version:
      - 2
      - 0
    .max_flat_workgroup_size: 192
    .name:           _ZN7rocprim17ROCPRIM_400000_NS6detail17trampoline_kernelINS0_14default_configENS1_25partition_config_selectorILNS1_17partition_subalgoE3EjNS0_10empty_typeEbEEZZNS1_14partition_implILS5_3ELb0ES3_jN6thrust23THRUST_200600_302600_NS6detail15normal_iteratorINSA_7pointerIjNSA_11hip_rocprim3tagENSA_11use_defaultESG_EEEEPS6_SJ_NS0_5tupleIJPjSJ_EEENSK_IJSJ_SJ_EEES6_PlJ7is_evenIjEEEE10hipError_tPvRmT3_T4_T5_T6_T7_T9_mT8_P12ihipStream_tbDpT10_ENKUlT_T0_E_clISt17integral_constantIbLb0EES1A_EEDaS15_S16_EUlS15_E_NS1_11comp_targetILNS1_3genE2ELNS1_11target_archE906ELNS1_3gpuE6ELNS1_3repE0EEENS1_30default_config_static_selectorELNS0_4arch9wavefront6targetE1EEEvT1_
    .private_segment_fixed_size: 0
    .sgpr_count:     4
    .sgpr_spill_count: 0
    .symbol:         _ZN7rocprim17ROCPRIM_400000_NS6detail17trampoline_kernelINS0_14default_configENS1_25partition_config_selectorILNS1_17partition_subalgoE3EjNS0_10empty_typeEbEEZZNS1_14partition_implILS5_3ELb0ES3_jN6thrust23THRUST_200600_302600_NS6detail15normal_iteratorINSA_7pointerIjNSA_11hip_rocprim3tagENSA_11use_defaultESG_EEEEPS6_SJ_NS0_5tupleIJPjSJ_EEENSK_IJSJ_SJ_EEES6_PlJ7is_evenIjEEEE10hipError_tPvRmT3_T4_T5_T6_T7_T9_mT8_P12ihipStream_tbDpT10_ENKUlT_T0_E_clISt17integral_constantIbLb0EES1A_EEDaS15_S16_EUlS15_E_NS1_11comp_targetILNS1_3genE2ELNS1_11target_archE906ELNS1_3gpuE6ELNS1_3repE0EEENS1_30default_config_static_selectorELNS0_4arch9wavefront6targetE1EEEvT1_.kd
    .uniform_work_group_size: 1
    .uses_dynamic_stack: false
    .vgpr_count:     0
    .vgpr_spill_count: 0
    .wavefront_size: 64
  - .agpr_count:     0
    .args:
      - .offset:         0
        .size:           120
        .value_kind:     by_value
    .group_segment_fixed_size: 0
    .kernarg_segment_align: 8
    .kernarg_segment_size: 120
    .language:       OpenCL C
    .language_version:
      - 2
      - 0
    .max_flat_workgroup_size: 384
    .name:           _ZN7rocprim17ROCPRIM_400000_NS6detail17trampoline_kernelINS0_14default_configENS1_25partition_config_selectorILNS1_17partition_subalgoE3EjNS0_10empty_typeEbEEZZNS1_14partition_implILS5_3ELb0ES3_jN6thrust23THRUST_200600_302600_NS6detail15normal_iteratorINSA_7pointerIjNSA_11hip_rocprim3tagENSA_11use_defaultESG_EEEEPS6_SJ_NS0_5tupleIJPjSJ_EEENSK_IJSJ_SJ_EEES6_PlJ7is_evenIjEEEE10hipError_tPvRmT3_T4_T5_T6_T7_T9_mT8_P12ihipStream_tbDpT10_ENKUlT_T0_E_clISt17integral_constantIbLb0EES1A_EEDaS15_S16_EUlS15_E_NS1_11comp_targetILNS1_3genE10ELNS1_11target_archE1200ELNS1_3gpuE4ELNS1_3repE0EEENS1_30default_config_static_selectorELNS0_4arch9wavefront6targetE1EEEvT1_
    .private_segment_fixed_size: 0
    .sgpr_count:     4
    .sgpr_spill_count: 0
    .symbol:         _ZN7rocprim17ROCPRIM_400000_NS6detail17trampoline_kernelINS0_14default_configENS1_25partition_config_selectorILNS1_17partition_subalgoE3EjNS0_10empty_typeEbEEZZNS1_14partition_implILS5_3ELb0ES3_jN6thrust23THRUST_200600_302600_NS6detail15normal_iteratorINSA_7pointerIjNSA_11hip_rocprim3tagENSA_11use_defaultESG_EEEEPS6_SJ_NS0_5tupleIJPjSJ_EEENSK_IJSJ_SJ_EEES6_PlJ7is_evenIjEEEE10hipError_tPvRmT3_T4_T5_T6_T7_T9_mT8_P12ihipStream_tbDpT10_ENKUlT_T0_E_clISt17integral_constantIbLb0EES1A_EEDaS15_S16_EUlS15_E_NS1_11comp_targetILNS1_3genE10ELNS1_11target_archE1200ELNS1_3gpuE4ELNS1_3repE0EEENS1_30default_config_static_selectorELNS0_4arch9wavefront6targetE1EEEvT1_.kd
    .uniform_work_group_size: 1
    .uses_dynamic_stack: false
    .vgpr_count:     0
    .vgpr_spill_count: 0
    .wavefront_size: 64
  - .agpr_count:     0
    .args:
      - .offset:         0
        .size:           120
        .value_kind:     by_value
    .group_segment_fixed_size: 0
    .kernarg_segment_align: 8
    .kernarg_segment_size: 120
    .language:       OpenCL C
    .language_version:
      - 2
      - 0
    .max_flat_workgroup_size: 384
    .name:           _ZN7rocprim17ROCPRIM_400000_NS6detail17trampoline_kernelINS0_14default_configENS1_25partition_config_selectorILNS1_17partition_subalgoE3EjNS0_10empty_typeEbEEZZNS1_14partition_implILS5_3ELb0ES3_jN6thrust23THRUST_200600_302600_NS6detail15normal_iteratorINSA_7pointerIjNSA_11hip_rocprim3tagENSA_11use_defaultESG_EEEEPS6_SJ_NS0_5tupleIJPjSJ_EEENSK_IJSJ_SJ_EEES6_PlJ7is_evenIjEEEE10hipError_tPvRmT3_T4_T5_T6_T7_T9_mT8_P12ihipStream_tbDpT10_ENKUlT_T0_E_clISt17integral_constantIbLb0EES1A_EEDaS15_S16_EUlS15_E_NS1_11comp_targetILNS1_3genE9ELNS1_11target_archE1100ELNS1_3gpuE3ELNS1_3repE0EEENS1_30default_config_static_selectorELNS0_4arch9wavefront6targetE1EEEvT1_
    .private_segment_fixed_size: 0
    .sgpr_count:     4
    .sgpr_spill_count: 0
    .symbol:         _ZN7rocprim17ROCPRIM_400000_NS6detail17trampoline_kernelINS0_14default_configENS1_25partition_config_selectorILNS1_17partition_subalgoE3EjNS0_10empty_typeEbEEZZNS1_14partition_implILS5_3ELb0ES3_jN6thrust23THRUST_200600_302600_NS6detail15normal_iteratorINSA_7pointerIjNSA_11hip_rocprim3tagENSA_11use_defaultESG_EEEEPS6_SJ_NS0_5tupleIJPjSJ_EEENSK_IJSJ_SJ_EEES6_PlJ7is_evenIjEEEE10hipError_tPvRmT3_T4_T5_T6_T7_T9_mT8_P12ihipStream_tbDpT10_ENKUlT_T0_E_clISt17integral_constantIbLb0EES1A_EEDaS15_S16_EUlS15_E_NS1_11comp_targetILNS1_3genE9ELNS1_11target_archE1100ELNS1_3gpuE3ELNS1_3repE0EEENS1_30default_config_static_selectorELNS0_4arch9wavefront6targetE1EEEvT1_.kd
    .uniform_work_group_size: 1
    .uses_dynamic_stack: false
    .vgpr_count:     0
    .vgpr_spill_count: 0
    .wavefront_size: 64
  - .agpr_count:     0
    .args:
      - .offset:         0
        .size:           120
        .value_kind:     by_value
    .group_segment_fixed_size: 0
    .kernarg_segment_align: 8
    .kernarg_segment_size: 120
    .language:       OpenCL C
    .language_version:
      - 2
      - 0
    .max_flat_workgroup_size: 512
    .name:           _ZN7rocprim17ROCPRIM_400000_NS6detail17trampoline_kernelINS0_14default_configENS1_25partition_config_selectorILNS1_17partition_subalgoE3EjNS0_10empty_typeEbEEZZNS1_14partition_implILS5_3ELb0ES3_jN6thrust23THRUST_200600_302600_NS6detail15normal_iteratorINSA_7pointerIjNSA_11hip_rocprim3tagENSA_11use_defaultESG_EEEEPS6_SJ_NS0_5tupleIJPjSJ_EEENSK_IJSJ_SJ_EEES6_PlJ7is_evenIjEEEE10hipError_tPvRmT3_T4_T5_T6_T7_T9_mT8_P12ihipStream_tbDpT10_ENKUlT_T0_E_clISt17integral_constantIbLb0EES1A_EEDaS15_S16_EUlS15_E_NS1_11comp_targetILNS1_3genE8ELNS1_11target_archE1030ELNS1_3gpuE2ELNS1_3repE0EEENS1_30default_config_static_selectorELNS0_4arch9wavefront6targetE1EEEvT1_
    .private_segment_fixed_size: 0
    .sgpr_count:     4
    .sgpr_spill_count: 0
    .symbol:         _ZN7rocprim17ROCPRIM_400000_NS6detail17trampoline_kernelINS0_14default_configENS1_25partition_config_selectorILNS1_17partition_subalgoE3EjNS0_10empty_typeEbEEZZNS1_14partition_implILS5_3ELb0ES3_jN6thrust23THRUST_200600_302600_NS6detail15normal_iteratorINSA_7pointerIjNSA_11hip_rocprim3tagENSA_11use_defaultESG_EEEEPS6_SJ_NS0_5tupleIJPjSJ_EEENSK_IJSJ_SJ_EEES6_PlJ7is_evenIjEEEE10hipError_tPvRmT3_T4_T5_T6_T7_T9_mT8_P12ihipStream_tbDpT10_ENKUlT_T0_E_clISt17integral_constantIbLb0EES1A_EEDaS15_S16_EUlS15_E_NS1_11comp_targetILNS1_3genE8ELNS1_11target_archE1030ELNS1_3gpuE2ELNS1_3repE0EEENS1_30default_config_static_selectorELNS0_4arch9wavefront6targetE1EEEvT1_.kd
    .uniform_work_group_size: 1
    .uses_dynamic_stack: false
    .vgpr_count:     0
    .vgpr_spill_count: 0
    .wavefront_size: 64
  - .agpr_count:     0
    .args:
      - .offset:         0
        .size:           136
        .value_kind:     by_value
    .group_segment_fixed_size: 0
    .kernarg_segment_align: 8
    .kernarg_segment_size: 136
    .language:       OpenCL C
    .language_version:
      - 2
      - 0
    .max_flat_workgroup_size: 256
    .name:           _ZN7rocprim17ROCPRIM_400000_NS6detail17trampoline_kernelINS0_14default_configENS1_25partition_config_selectorILNS1_17partition_subalgoE3EjNS0_10empty_typeEbEEZZNS1_14partition_implILS5_3ELb0ES3_jN6thrust23THRUST_200600_302600_NS6detail15normal_iteratorINSA_7pointerIjNSA_11hip_rocprim3tagENSA_11use_defaultESG_EEEEPS6_SJ_NS0_5tupleIJPjSJ_EEENSK_IJSJ_SJ_EEES6_PlJ7is_evenIjEEEE10hipError_tPvRmT3_T4_T5_T6_T7_T9_mT8_P12ihipStream_tbDpT10_ENKUlT_T0_E_clISt17integral_constantIbLb1EES1A_EEDaS15_S16_EUlS15_E_NS1_11comp_targetILNS1_3genE0ELNS1_11target_archE4294967295ELNS1_3gpuE0ELNS1_3repE0EEENS1_30default_config_static_selectorELNS0_4arch9wavefront6targetE1EEEvT1_
    .private_segment_fixed_size: 0
    .sgpr_count:     4
    .sgpr_spill_count: 0
    .symbol:         _ZN7rocprim17ROCPRIM_400000_NS6detail17trampoline_kernelINS0_14default_configENS1_25partition_config_selectorILNS1_17partition_subalgoE3EjNS0_10empty_typeEbEEZZNS1_14partition_implILS5_3ELb0ES3_jN6thrust23THRUST_200600_302600_NS6detail15normal_iteratorINSA_7pointerIjNSA_11hip_rocprim3tagENSA_11use_defaultESG_EEEEPS6_SJ_NS0_5tupleIJPjSJ_EEENSK_IJSJ_SJ_EEES6_PlJ7is_evenIjEEEE10hipError_tPvRmT3_T4_T5_T6_T7_T9_mT8_P12ihipStream_tbDpT10_ENKUlT_T0_E_clISt17integral_constantIbLb1EES1A_EEDaS15_S16_EUlS15_E_NS1_11comp_targetILNS1_3genE0ELNS1_11target_archE4294967295ELNS1_3gpuE0ELNS1_3repE0EEENS1_30default_config_static_selectorELNS0_4arch9wavefront6targetE1EEEvT1_.kd
    .uniform_work_group_size: 1
    .uses_dynamic_stack: false
    .vgpr_count:     0
    .vgpr_spill_count: 0
    .wavefront_size: 64
  - .agpr_count:     0
    .args:
      - .offset:         0
        .size:           136
        .value_kind:     by_value
    .group_segment_fixed_size: 0
    .kernarg_segment_align: 8
    .kernarg_segment_size: 136
    .language:       OpenCL C
    .language_version:
      - 2
      - 0
    .max_flat_workgroup_size: 512
    .name:           _ZN7rocprim17ROCPRIM_400000_NS6detail17trampoline_kernelINS0_14default_configENS1_25partition_config_selectorILNS1_17partition_subalgoE3EjNS0_10empty_typeEbEEZZNS1_14partition_implILS5_3ELb0ES3_jN6thrust23THRUST_200600_302600_NS6detail15normal_iteratorINSA_7pointerIjNSA_11hip_rocprim3tagENSA_11use_defaultESG_EEEEPS6_SJ_NS0_5tupleIJPjSJ_EEENSK_IJSJ_SJ_EEES6_PlJ7is_evenIjEEEE10hipError_tPvRmT3_T4_T5_T6_T7_T9_mT8_P12ihipStream_tbDpT10_ENKUlT_T0_E_clISt17integral_constantIbLb1EES1A_EEDaS15_S16_EUlS15_E_NS1_11comp_targetILNS1_3genE5ELNS1_11target_archE942ELNS1_3gpuE9ELNS1_3repE0EEENS1_30default_config_static_selectorELNS0_4arch9wavefront6targetE1EEEvT1_
    .private_segment_fixed_size: 0
    .sgpr_count:     4
    .sgpr_spill_count: 0
    .symbol:         _ZN7rocprim17ROCPRIM_400000_NS6detail17trampoline_kernelINS0_14default_configENS1_25partition_config_selectorILNS1_17partition_subalgoE3EjNS0_10empty_typeEbEEZZNS1_14partition_implILS5_3ELb0ES3_jN6thrust23THRUST_200600_302600_NS6detail15normal_iteratorINSA_7pointerIjNSA_11hip_rocprim3tagENSA_11use_defaultESG_EEEEPS6_SJ_NS0_5tupleIJPjSJ_EEENSK_IJSJ_SJ_EEES6_PlJ7is_evenIjEEEE10hipError_tPvRmT3_T4_T5_T6_T7_T9_mT8_P12ihipStream_tbDpT10_ENKUlT_T0_E_clISt17integral_constantIbLb1EES1A_EEDaS15_S16_EUlS15_E_NS1_11comp_targetILNS1_3genE5ELNS1_11target_archE942ELNS1_3gpuE9ELNS1_3repE0EEENS1_30default_config_static_selectorELNS0_4arch9wavefront6targetE1EEEvT1_.kd
    .uniform_work_group_size: 1
    .uses_dynamic_stack: false
    .vgpr_count:     0
    .vgpr_spill_count: 0
    .wavefront_size: 64
  - .agpr_count:     0
    .args:
      - .offset:         0
        .size:           136
        .value_kind:     by_value
    .group_segment_fixed_size: 10248
    .kernarg_segment_align: 8
    .kernarg_segment_size: 136
    .language:       OpenCL C
    .language_version:
      - 2
      - 0
    .max_flat_workgroup_size: 256
    .name:           _ZN7rocprim17ROCPRIM_400000_NS6detail17trampoline_kernelINS0_14default_configENS1_25partition_config_selectorILNS1_17partition_subalgoE3EjNS0_10empty_typeEbEEZZNS1_14partition_implILS5_3ELb0ES3_jN6thrust23THRUST_200600_302600_NS6detail15normal_iteratorINSA_7pointerIjNSA_11hip_rocprim3tagENSA_11use_defaultESG_EEEEPS6_SJ_NS0_5tupleIJPjSJ_EEENSK_IJSJ_SJ_EEES6_PlJ7is_evenIjEEEE10hipError_tPvRmT3_T4_T5_T6_T7_T9_mT8_P12ihipStream_tbDpT10_ENKUlT_T0_E_clISt17integral_constantIbLb1EES1A_EEDaS15_S16_EUlS15_E_NS1_11comp_targetILNS1_3genE4ELNS1_11target_archE910ELNS1_3gpuE8ELNS1_3repE0EEENS1_30default_config_static_selectorELNS0_4arch9wavefront6targetE1EEEvT1_
    .private_segment_fixed_size: 0
    .sgpr_count:     48
    .sgpr_spill_count: 0
    .symbol:         _ZN7rocprim17ROCPRIM_400000_NS6detail17trampoline_kernelINS0_14default_configENS1_25partition_config_selectorILNS1_17partition_subalgoE3EjNS0_10empty_typeEbEEZZNS1_14partition_implILS5_3ELb0ES3_jN6thrust23THRUST_200600_302600_NS6detail15normal_iteratorINSA_7pointerIjNSA_11hip_rocprim3tagENSA_11use_defaultESG_EEEEPS6_SJ_NS0_5tupleIJPjSJ_EEENSK_IJSJ_SJ_EEES6_PlJ7is_evenIjEEEE10hipError_tPvRmT3_T4_T5_T6_T7_T9_mT8_P12ihipStream_tbDpT10_ENKUlT_T0_E_clISt17integral_constantIbLb1EES1A_EEDaS15_S16_EUlS15_E_NS1_11comp_targetILNS1_3genE4ELNS1_11target_archE910ELNS1_3gpuE8ELNS1_3repE0EEENS1_30default_config_static_selectorELNS0_4arch9wavefront6targetE1EEEvT1_.kd
    .uniform_work_group_size: 1
    .uses_dynamic_stack: false
    .vgpr_count:     57
    .vgpr_spill_count: 0
    .wavefront_size: 64
  - .agpr_count:     0
    .args:
      - .offset:         0
        .size:           136
        .value_kind:     by_value
    .group_segment_fixed_size: 0
    .kernarg_segment_align: 8
    .kernarg_segment_size: 136
    .language:       OpenCL C
    .language_version:
      - 2
      - 0
    .max_flat_workgroup_size: 256
    .name:           _ZN7rocprim17ROCPRIM_400000_NS6detail17trampoline_kernelINS0_14default_configENS1_25partition_config_selectorILNS1_17partition_subalgoE3EjNS0_10empty_typeEbEEZZNS1_14partition_implILS5_3ELb0ES3_jN6thrust23THRUST_200600_302600_NS6detail15normal_iteratorINSA_7pointerIjNSA_11hip_rocprim3tagENSA_11use_defaultESG_EEEEPS6_SJ_NS0_5tupleIJPjSJ_EEENSK_IJSJ_SJ_EEES6_PlJ7is_evenIjEEEE10hipError_tPvRmT3_T4_T5_T6_T7_T9_mT8_P12ihipStream_tbDpT10_ENKUlT_T0_E_clISt17integral_constantIbLb1EES1A_EEDaS15_S16_EUlS15_E_NS1_11comp_targetILNS1_3genE3ELNS1_11target_archE908ELNS1_3gpuE7ELNS1_3repE0EEENS1_30default_config_static_selectorELNS0_4arch9wavefront6targetE1EEEvT1_
    .private_segment_fixed_size: 0
    .sgpr_count:     4
    .sgpr_spill_count: 0
    .symbol:         _ZN7rocprim17ROCPRIM_400000_NS6detail17trampoline_kernelINS0_14default_configENS1_25partition_config_selectorILNS1_17partition_subalgoE3EjNS0_10empty_typeEbEEZZNS1_14partition_implILS5_3ELb0ES3_jN6thrust23THRUST_200600_302600_NS6detail15normal_iteratorINSA_7pointerIjNSA_11hip_rocprim3tagENSA_11use_defaultESG_EEEEPS6_SJ_NS0_5tupleIJPjSJ_EEENSK_IJSJ_SJ_EEES6_PlJ7is_evenIjEEEE10hipError_tPvRmT3_T4_T5_T6_T7_T9_mT8_P12ihipStream_tbDpT10_ENKUlT_T0_E_clISt17integral_constantIbLb1EES1A_EEDaS15_S16_EUlS15_E_NS1_11comp_targetILNS1_3genE3ELNS1_11target_archE908ELNS1_3gpuE7ELNS1_3repE0EEENS1_30default_config_static_selectorELNS0_4arch9wavefront6targetE1EEEvT1_.kd
    .uniform_work_group_size: 1
    .uses_dynamic_stack: false
    .vgpr_count:     0
    .vgpr_spill_count: 0
    .wavefront_size: 64
  - .agpr_count:     0
    .args:
      - .offset:         0
        .size:           136
        .value_kind:     by_value
    .group_segment_fixed_size: 0
    .kernarg_segment_align: 8
    .kernarg_segment_size: 136
    .language:       OpenCL C
    .language_version:
      - 2
      - 0
    .max_flat_workgroup_size: 192
    .name:           _ZN7rocprim17ROCPRIM_400000_NS6detail17trampoline_kernelINS0_14default_configENS1_25partition_config_selectorILNS1_17partition_subalgoE3EjNS0_10empty_typeEbEEZZNS1_14partition_implILS5_3ELb0ES3_jN6thrust23THRUST_200600_302600_NS6detail15normal_iteratorINSA_7pointerIjNSA_11hip_rocprim3tagENSA_11use_defaultESG_EEEEPS6_SJ_NS0_5tupleIJPjSJ_EEENSK_IJSJ_SJ_EEES6_PlJ7is_evenIjEEEE10hipError_tPvRmT3_T4_T5_T6_T7_T9_mT8_P12ihipStream_tbDpT10_ENKUlT_T0_E_clISt17integral_constantIbLb1EES1A_EEDaS15_S16_EUlS15_E_NS1_11comp_targetILNS1_3genE2ELNS1_11target_archE906ELNS1_3gpuE6ELNS1_3repE0EEENS1_30default_config_static_selectorELNS0_4arch9wavefront6targetE1EEEvT1_
    .private_segment_fixed_size: 0
    .sgpr_count:     4
    .sgpr_spill_count: 0
    .symbol:         _ZN7rocprim17ROCPRIM_400000_NS6detail17trampoline_kernelINS0_14default_configENS1_25partition_config_selectorILNS1_17partition_subalgoE3EjNS0_10empty_typeEbEEZZNS1_14partition_implILS5_3ELb0ES3_jN6thrust23THRUST_200600_302600_NS6detail15normal_iteratorINSA_7pointerIjNSA_11hip_rocprim3tagENSA_11use_defaultESG_EEEEPS6_SJ_NS0_5tupleIJPjSJ_EEENSK_IJSJ_SJ_EEES6_PlJ7is_evenIjEEEE10hipError_tPvRmT3_T4_T5_T6_T7_T9_mT8_P12ihipStream_tbDpT10_ENKUlT_T0_E_clISt17integral_constantIbLb1EES1A_EEDaS15_S16_EUlS15_E_NS1_11comp_targetILNS1_3genE2ELNS1_11target_archE906ELNS1_3gpuE6ELNS1_3repE0EEENS1_30default_config_static_selectorELNS0_4arch9wavefront6targetE1EEEvT1_.kd
    .uniform_work_group_size: 1
    .uses_dynamic_stack: false
    .vgpr_count:     0
    .vgpr_spill_count: 0
    .wavefront_size: 64
  - .agpr_count:     0
    .args:
      - .offset:         0
        .size:           136
        .value_kind:     by_value
    .group_segment_fixed_size: 0
    .kernarg_segment_align: 8
    .kernarg_segment_size: 136
    .language:       OpenCL C
    .language_version:
      - 2
      - 0
    .max_flat_workgroup_size: 384
    .name:           _ZN7rocprim17ROCPRIM_400000_NS6detail17trampoline_kernelINS0_14default_configENS1_25partition_config_selectorILNS1_17partition_subalgoE3EjNS0_10empty_typeEbEEZZNS1_14partition_implILS5_3ELb0ES3_jN6thrust23THRUST_200600_302600_NS6detail15normal_iteratorINSA_7pointerIjNSA_11hip_rocprim3tagENSA_11use_defaultESG_EEEEPS6_SJ_NS0_5tupleIJPjSJ_EEENSK_IJSJ_SJ_EEES6_PlJ7is_evenIjEEEE10hipError_tPvRmT3_T4_T5_T6_T7_T9_mT8_P12ihipStream_tbDpT10_ENKUlT_T0_E_clISt17integral_constantIbLb1EES1A_EEDaS15_S16_EUlS15_E_NS1_11comp_targetILNS1_3genE10ELNS1_11target_archE1200ELNS1_3gpuE4ELNS1_3repE0EEENS1_30default_config_static_selectorELNS0_4arch9wavefront6targetE1EEEvT1_
    .private_segment_fixed_size: 0
    .sgpr_count:     4
    .sgpr_spill_count: 0
    .symbol:         _ZN7rocprim17ROCPRIM_400000_NS6detail17trampoline_kernelINS0_14default_configENS1_25partition_config_selectorILNS1_17partition_subalgoE3EjNS0_10empty_typeEbEEZZNS1_14partition_implILS5_3ELb0ES3_jN6thrust23THRUST_200600_302600_NS6detail15normal_iteratorINSA_7pointerIjNSA_11hip_rocprim3tagENSA_11use_defaultESG_EEEEPS6_SJ_NS0_5tupleIJPjSJ_EEENSK_IJSJ_SJ_EEES6_PlJ7is_evenIjEEEE10hipError_tPvRmT3_T4_T5_T6_T7_T9_mT8_P12ihipStream_tbDpT10_ENKUlT_T0_E_clISt17integral_constantIbLb1EES1A_EEDaS15_S16_EUlS15_E_NS1_11comp_targetILNS1_3genE10ELNS1_11target_archE1200ELNS1_3gpuE4ELNS1_3repE0EEENS1_30default_config_static_selectorELNS0_4arch9wavefront6targetE1EEEvT1_.kd
    .uniform_work_group_size: 1
    .uses_dynamic_stack: false
    .vgpr_count:     0
    .vgpr_spill_count: 0
    .wavefront_size: 64
  - .agpr_count:     0
    .args:
      - .offset:         0
        .size:           136
        .value_kind:     by_value
    .group_segment_fixed_size: 0
    .kernarg_segment_align: 8
    .kernarg_segment_size: 136
    .language:       OpenCL C
    .language_version:
      - 2
      - 0
    .max_flat_workgroup_size: 384
    .name:           _ZN7rocprim17ROCPRIM_400000_NS6detail17trampoline_kernelINS0_14default_configENS1_25partition_config_selectorILNS1_17partition_subalgoE3EjNS0_10empty_typeEbEEZZNS1_14partition_implILS5_3ELb0ES3_jN6thrust23THRUST_200600_302600_NS6detail15normal_iteratorINSA_7pointerIjNSA_11hip_rocprim3tagENSA_11use_defaultESG_EEEEPS6_SJ_NS0_5tupleIJPjSJ_EEENSK_IJSJ_SJ_EEES6_PlJ7is_evenIjEEEE10hipError_tPvRmT3_T4_T5_T6_T7_T9_mT8_P12ihipStream_tbDpT10_ENKUlT_T0_E_clISt17integral_constantIbLb1EES1A_EEDaS15_S16_EUlS15_E_NS1_11comp_targetILNS1_3genE9ELNS1_11target_archE1100ELNS1_3gpuE3ELNS1_3repE0EEENS1_30default_config_static_selectorELNS0_4arch9wavefront6targetE1EEEvT1_
    .private_segment_fixed_size: 0
    .sgpr_count:     4
    .sgpr_spill_count: 0
    .symbol:         _ZN7rocprim17ROCPRIM_400000_NS6detail17trampoline_kernelINS0_14default_configENS1_25partition_config_selectorILNS1_17partition_subalgoE3EjNS0_10empty_typeEbEEZZNS1_14partition_implILS5_3ELb0ES3_jN6thrust23THRUST_200600_302600_NS6detail15normal_iteratorINSA_7pointerIjNSA_11hip_rocprim3tagENSA_11use_defaultESG_EEEEPS6_SJ_NS0_5tupleIJPjSJ_EEENSK_IJSJ_SJ_EEES6_PlJ7is_evenIjEEEE10hipError_tPvRmT3_T4_T5_T6_T7_T9_mT8_P12ihipStream_tbDpT10_ENKUlT_T0_E_clISt17integral_constantIbLb1EES1A_EEDaS15_S16_EUlS15_E_NS1_11comp_targetILNS1_3genE9ELNS1_11target_archE1100ELNS1_3gpuE3ELNS1_3repE0EEENS1_30default_config_static_selectorELNS0_4arch9wavefront6targetE1EEEvT1_.kd
    .uniform_work_group_size: 1
    .uses_dynamic_stack: false
    .vgpr_count:     0
    .vgpr_spill_count: 0
    .wavefront_size: 64
  - .agpr_count:     0
    .args:
      - .offset:         0
        .size:           136
        .value_kind:     by_value
    .group_segment_fixed_size: 0
    .kernarg_segment_align: 8
    .kernarg_segment_size: 136
    .language:       OpenCL C
    .language_version:
      - 2
      - 0
    .max_flat_workgroup_size: 512
    .name:           _ZN7rocprim17ROCPRIM_400000_NS6detail17trampoline_kernelINS0_14default_configENS1_25partition_config_selectorILNS1_17partition_subalgoE3EjNS0_10empty_typeEbEEZZNS1_14partition_implILS5_3ELb0ES3_jN6thrust23THRUST_200600_302600_NS6detail15normal_iteratorINSA_7pointerIjNSA_11hip_rocprim3tagENSA_11use_defaultESG_EEEEPS6_SJ_NS0_5tupleIJPjSJ_EEENSK_IJSJ_SJ_EEES6_PlJ7is_evenIjEEEE10hipError_tPvRmT3_T4_T5_T6_T7_T9_mT8_P12ihipStream_tbDpT10_ENKUlT_T0_E_clISt17integral_constantIbLb1EES1A_EEDaS15_S16_EUlS15_E_NS1_11comp_targetILNS1_3genE8ELNS1_11target_archE1030ELNS1_3gpuE2ELNS1_3repE0EEENS1_30default_config_static_selectorELNS0_4arch9wavefront6targetE1EEEvT1_
    .private_segment_fixed_size: 0
    .sgpr_count:     4
    .sgpr_spill_count: 0
    .symbol:         _ZN7rocprim17ROCPRIM_400000_NS6detail17trampoline_kernelINS0_14default_configENS1_25partition_config_selectorILNS1_17partition_subalgoE3EjNS0_10empty_typeEbEEZZNS1_14partition_implILS5_3ELb0ES3_jN6thrust23THRUST_200600_302600_NS6detail15normal_iteratorINSA_7pointerIjNSA_11hip_rocprim3tagENSA_11use_defaultESG_EEEEPS6_SJ_NS0_5tupleIJPjSJ_EEENSK_IJSJ_SJ_EEES6_PlJ7is_evenIjEEEE10hipError_tPvRmT3_T4_T5_T6_T7_T9_mT8_P12ihipStream_tbDpT10_ENKUlT_T0_E_clISt17integral_constantIbLb1EES1A_EEDaS15_S16_EUlS15_E_NS1_11comp_targetILNS1_3genE8ELNS1_11target_archE1030ELNS1_3gpuE2ELNS1_3repE0EEENS1_30default_config_static_selectorELNS0_4arch9wavefront6targetE1EEEvT1_.kd
    .uniform_work_group_size: 1
    .uses_dynamic_stack: false
    .vgpr_count:     0
    .vgpr_spill_count: 0
    .wavefront_size: 64
  - .agpr_count:     0
    .args:
      - .offset:         0
        .size:           120
        .value_kind:     by_value
    .group_segment_fixed_size: 0
    .kernarg_segment_align: 8
    .kernarg_segment_size: 120
    .language:       OpenCL C
    .language_version:
      - 2
      - 0
    .max_flat_workgroup_size: 256
    .name:           _ZN7rocprim17ROCPRIM_400000_NS6detail17trampoline_kernelINS0_14default_configENS1_25partition_config_selectorILNS1_17partition_subalgoE3EjNS0_10empty_typeEbEEZZNS1_14partition_implILS5_3ELb0ES3_jN6thrust23THRUST_200600_302600_NS6detail15normal_iteratorINSA_7pointerIjNSA_11hip_rocprim3tagENSA_11use_defaultESG_EEEEPS6_SJ_NS0_5tupleIJPjSJ_EEENSK_IJSJ_SJ_EEES6_PlJ7is_evenIjEEEE10hipError_tPvRmT3_T4_T5_T6_T7_T9_mT8_P12ihipStream_tbDpT10_ENKUlT_T0_E_clISt17integral_constantIbLb1EES19_IbLb0EEEEDaS15_S16_EUlS15_E_NS1_11comp_targetILNS1_3genE0ELNS1_11target_archE4294967295ELNS1_3gpuE0ELNS1_3repE0EEENS1_30default_config_static_selectorELNS0_4arch9wavefront6targetE1EEEvT1_
    .private_segment_fixed_size: 0
    .sgpr_count:     4
    .sgpr_spill_count: 0
    .symbol:         _ZN7rocprim17ROCPRIM_400000_NS6detail17trampoline_kernelINS0_14default_configENS1_25partition_config_selectorILNS1_17partition_subalgoE3EjNS0_10empty_typeEbEEZZNS1_14partition_implILS5_3ELb0ES3_jN6thrust23THRUST_200600_302600_NS6detail15normal_iteratorINSA_7pointerIjNSA_11hip_rocprim3tagENSA_11use_defaultESG_EEEEPS6_SJ_NS0_5tupleIJPjSJ_EEENSK_IJSJ_SJ_EEES6_PlJ7is_evenIjEEEE10hipError_tPvRmT3_T4_T5_T6_T7_T9_mT8_P12ihipStream_tbDpT10_ENKUlT_T0_E_clISt17integral_constantIbLb1EES19_IbLb0EEEEDaS15_S16_EUlS15_E_NS1_11comp_targetILNS1_3genE0ELNS1_11target_archE4294967295ELNS1_3gpuE0ELNS1_3repE0EEENS1_30default_config_static_selectorELNS0_4arch9wavefront6targetE1EEEvT1_.kd
    .uniform_work_group_size: 1
    .uses_dynamic_stack: false
    .vgpr_count:     0
    .vgpr_spill_count: 0
    .wavefront_size: 64
  - .agpr_count:     0
    .args:
      - .offset:         0
        .size:           120
        .value_kind:     by_value
    .group_segment_fixed_size: 0
    .kernarg_segment_align: 8
    .kernarg_segment_size: 120
    .language:       OpenCL C
    .language_version:
      - 2
      - 0
    .max_flat_workgroup_size: 512
    .name:           _ZN7rocprim17ROCPRIM_400000_NS6detail17trampoline_kernelINS0_14default_configENS1_25partition_config_selectorILNS1_17partition_subalgoE3EjNS0_10empty_typeEbEEZZNS1_14partition_implILS5_3ELb0ES3_jN6thrust23THRUST_200600_302600_NS6detail15normal_iteratorINSA_7pointerIjNSA_11hip_rocprim3tagENSA_11use_defaultESG_EEEEPS6_SJ_NS0_5tupleIJPjSJ_EEENSK_IJSJ_SJ_EEES6_PlJ7is_evenIjEEEE10hipError_tPvRmT3_T4_T5_T6_T7_T9_mT8_P12ihipStream_tbDpT10_ENKUlT_T0_E_clISt17integral_constantIbLb1EES19_IbLb0EEEEDaS15_S16_EUlS15_E_NS1_11comp_targetILNS1_3genE5ELNS1_11target_archE942ELNS1_3gpuE9ELNS1_3repE0EEENS1_30default_config_static_selectorELNS0_4arch9wavefront6targetE1EEEvT1_
    .private_segment_fixed_size: 0
    .sgpr_count:     4
    .sgpr_spill_count: 0
    .symbol:         _ZN7rocprim17ROCPRIM_400000_NS6detail17trampoline_kernelINS0_14default_configENS1_25partition_config_selectorILNS1_17partition_subalgoE3EjNS0_10empty_typeEbEEZZNS1_14partition_implILS5_3ELb0ES3_jN6thrust23THRUST_200600_302600_NS6detail15normal_iteratorINSA_7pointerIjNSA_11hip_rocprim3tagENSA_11use_defaultESG_EEEEPS6_SJ_NS0_5tupleIJPjSJ_EEENSK_IJSJ_SJ_EEES6_PlJ7is_evenIjEEEE10hipError_tPvRmT3_T4_T5_T6_T7_T9_mT8_P12ihipStream_tbDpT10_ENKUlT_T0_E_clISt17integral_constantIbLb1EES19_IbLb0EEEEDaS15_S16_EUlS15_E_NS1_11comp_targetILNS1_3genE5ELNS1_11target_archE942ELNS1_3gpuE9ELNS1_3repE0EEENS1_30default_config_static_selectorELNS0_4arch9wavefront6targetE1EEEvT1_.kd
    .uniform_work_group_size: 1
    .uses_dynamic_stack: false
    .vgpr_count:     0
    .vgpr_spill_count: 0
    .wavefront_size: 64
  - .agpr_count:     0
    .args:
      - .offset:         0
        .size:           120
        .value_kind:     by_value
    .group_segment_fixed_size: 10248
    .kernarg_segment_align: 8
    .kernarg_segment_size: 120
    .language:       OpenCL C
    .language_version:
      - 2
      - 0
    .max_flat_workgroup_size: 256
    .name:           _ZN7rocprim17ROCPRIM_400000_NS6detail17trampoline_kernelINS0_14default_configENS1_25partition_config_selectorILNS1_17partition_subalgoE3EjNS0_10empty_typeEbEEZZNS1_14partition_implILS5_3ELb0ES3_jN6thrust23THRUST_200600_302600_NS6detail15normal_iteratorINSA_7pointerIjNSA_11hip_rocprim3tagENSA_11use_defaultESG_EEEEPS6_SJ_NS0_5tupleIJPjSJ_EEENSK_IJSJ_SJ_EEES6_PlJ7is_evenIjEEEE10hipError_tPvRmT3_T4_T5_T6_T7_T9_mT8_P12ihipStream_tbDpT10_ENKUlT_T0_E_clISt17integral_constantIbLb1EES19_IbLb0EEEEDaS15_S16_EUlS15_E_NS1_11comp_targetILNS1_3genE4ELNS1_11target_archE910ELNS1_3gpuE8ELNS1_3repE0EEENS1_30default_config_static_selectorELNS0_4arch9wavefront6targetE1EEEvT1_
    .private_segment_fixed_size: 0
    .sgpr_count:     50
    .sgpr_spill_count: 0
    .symbol:         _ZN7rocprim17ROCPRIM_400000_NS6detail17trampoline_kernelINS0_14default_configENS1_25partition_config_selectorILNS1_17partition_subalgoE3EjNS0_10empty_typeEbEEZZNS1_14partition_implILS5_3ELb0ES3_jN6thrust23THRUST_200600_302600_NS6detail15normal_iteratorINSA_7pointerIjNSA_11hip_rocprim3tagENSA_11use_defaultESG_EEEEPS6_SJ_NS0_5tupleIJPjSJ_EEENSK_IJSJ_SJ_EEES6_PlJ7is_evenIjEEEE10hipError_tPvRmT3_T4_T5_T6_T7_T9_mT8_P12ihipStream_tbDpT10_ENKUlT_T0_E_clISt17integral_constantIbLb1EES19_IbLb0EEEEDaS15_S16_EUlS15_E_NS1_11comp_targetILNS1_3genE4ELNS1_11target_archE910ELNS1_3gpuE8ELNS1_3repE0EEENS1_30default_config_static_selectorELNS0_4arch9wavefront6targetE1EEEvT1_.kd
    .uniform_work_group_size: 1
    .uses_dynamic_stack: false
    .vgpr_count:     54
    .vgpr_spill_count: 0
    .wavefront_size: 64
  - .agpr_count:     0
    .args:
      - .offset:         0
        .size:           120
        .value_kind:     by_value
    .group_segment_fixed_size: 0
    .kernarg_segment_align: 8
    .kernarg_segment_size: 120
    .language:       OpenCL C
    .language_version:
      - 2
      - 0
    .max_flat_workgroup_size: 256
    .name:           _ZN7rocprim17ROCPRIM_400000_NS6detail17trampoline_kernelINS0_14default_configENS1_25partition_config_selectorILNS1_17partition_subalgoE3EjNS0_10empty_typeEbEEZZNS1_14partition_implILS5_3ELb0ES3_jN6thrust23THRUST_200600_302600_NS6detail15normal_iteratorINSA_7pointerIjNSA_11hip_rocprim3tagENSA_11use_defaultESG_EEEEPS6_SJ_NS0_5tupleIJPjSJ_EEENSK_IJSJ_SJ_EEES6_PlJ7is_evenIjEEEE10hipError_tPvRmT3_T4_T5_T6_T7_T9_mT8_P12ihipStream_tbDpT10_ENKUlT_T0_E_clISt17integral_constantIbLb1EES19_IbLb0EEEEDaS15_S16_EUlS15_E_NS1_11comp_targetILNS1_3genE3ELNS1_11target_archE908ELNS1_3gpuE7ELNS1_3repE0EEENS1_30default_config_static_selectorELNS0_4arch9wavefront6targetE1EEEvT1_
    .private_segment_fixed_size: 0
    .sgpr_count:     4
    .sgpr_spill_count: 0
    .symbol:         _ZN7rocprim17ROCPRIM_400000_NS6detail17trampoline_kernelINS0_14default_configENS1_25partition_config_selectorILNS1_17partition_subalgoE3EjNS0_10empty_typeEbEEZZNS1_14partition_implILS5_3ELb0ES3_jN6thrust23THRUST_200600_302600_NS6detail15normal_iteratorINSA_7pointerIjNSA_11hip_rocprim3tagENSA_11use_defaultESG_EEEEPS6_SJ_NS0_5tupleIJPjSJ_EEENSK_IJSJ_SJ_EEES6_PlJ7is_evenIjEEEE10hipError_tPvRmT3_T4_T5_T6_T7_T9_mT8_P12ihipStream_tbDpT10_ENKUlT_T0_E_clISt17integral_constantIbLb1EES19_IbLb0EEEEDaS15_S16_EUlS15_E_NS1_11comp_targetILNS1_3genE3ELNS1_11target_archE908ELNS1_3gpuE7ELNS1_3repE0EEENS1_30default_config_static_selectorELNS0_4arch9wavefront6targetE1EEEvT1_.kd
    .uniform_work_group_size: 1
    .uses_dynamic_stack: false
    .vgpr_count:     0
    .vgpr_spill_count: 0
    .wavefront_size: 64
  - .agpr_count:     0
    .args:
      - .offset:         0
        .size:           120
        .value_kind:     by_value
    .group_segment_fixed_size: 0
    .kernarg_segment_align: 8
    .kernarg_segment_size: 120
    .language:       OpenCL C
    .language_version:
      - 2
      - 0
    .max_flat_workgroup_size: 192
    .name:           _ZN7rocprim17ROCPRIM_400000_NS6detail17trampoline_kernelINS0_14default_configENS1_25partition_config_selectorILNS1_17partition_subalgoE3EjNS0_10empty_typeEbEEZZNS1_14partition_implILS5_3ELb0ES3_jN6thrust23THRUST_200600_302600_NS6detail15normal_iteratorINSA_7pointerIjNSA_11hip_rocprim3tagENSA_11use_defaultESG_EEEEPS6_SJ_NS0_5tupleIJPjSJ_EEENSK_IJSJ_SJ_EEES6_PlJ7is_evenIjEEEE10hipError_tPvRmT3_T4_T5_T6_T7_T9_mT8_P12ihipStream_tbDpT10_ENKUlT_T0_E_clISt17integral_constantIbLb1EES19_IbLb0EEEEDaS15_S16_EUlS15_E_NS1_11comp_targetILNS1_3genE2ELNS1_11target_archE906ELNS1_3gpuE6ELNS1_3repE0EEENS1_30default_config_static_selectorELNS0_4arch9wavefront6targetE1EEEvT1_
    .private_segment_fixed_size: 0
    .sgpr_count:     4
    .sgpr_spill_count: 0
    .symbol:         _ZN7rocprim17ROCPRIM_400000_NS6detail17trampoline_kernelINS0_14default_configENS1_25partition_config_selectorILNS1_17partition_subalgoE3EjNS0_10empty_typeEbEEZZNS1_14partition_implILS5_3ELb0ES3_jN6thrust23THRUST_200600_302600_NS6detail15normal_iteratorINSA_7pointerIjNSA_11hip_rocprim3tagENSA_11use_defaultESG_EEEEPS6_SJ_NS0_5tupleIJPjSJ_EEENSK_IJSJ_SJ_EEES6_PlJ7is_evenIjEEEE10hipError_tPvRmT3_T4_T5_T6_T7_T9_mT8_P12ihipStream_tbDpT10_ENKUlT_T0_E_clISt17integral_constantIbLb1EES19_IbLb0EEEEDaS15_S16_EUlS15_E_NS1_11comp_targetILNS1_3genE2ELNS1_11target_archE906ELNS1_3gpuE6ELNS1_3repE0EEENS1_30default_config_static_selectorELNS0_4arch9wavefront6targetE1EEEvT1_.kd
    .uniform_work_group_size: 1
    .uses_dynamic_stack: false
    .vgpr_count:     0
    .vgpr_spill_count: 0
    .wavefront_size: 64
  - .agpr_count:     0
    .args:
      - .offset:         0
        .size:           120
        .value_kind:     by_value
    .group_segment_fixed_size: 0
    .kernarg_segment_align: 8
    .kernarg_segment_size: 120
    .language:       OpenCL C
    .language_version:
      - 2
      - 0
    .max_flat_workgroup_size: 384
    .name:           _ZN7rocprim17ROCPRIM_400000_NS6detail17trampoline_kernelINS0_14default_configENS1_25partition_config_selectorILNS1_17partition_subalgoE3EjNS0_10empty_typeEbEEZZNS1_14partition_implILS5_3ELb0ES3_jN6thrust23THRUST_200600_302600_NS6detail15normal_iteratorINSA_7pointerIjNSA_11hip_rocprim3tagENSA_11use_defaultESG_EEEEPS6_SJ_NS0_5tupleIJPjSJ_EEENSK_IJSJ_SJ_EEES6_PlJ7is_evenIjEEEE10hipError_tPvRmT3_T4_T5_T6_T7_T9_mT8_P12ihipStream_tbDpT10_ENKUlT_T0_E_clISt17integral_constantIbLb1EES19_IbLb0EEEEDaS15_S16_EUlS15_E_NS1_11comp_targetILNS1_3genE10ELNS1_11target_archE1200ELNS1_3gpuE4ELNS1_3repE0EEENS1_30default_config_static_selectorELNS0_4arch9wavefront6targetE1EEEvT1_
    .private_segment_fixed_size: 0
    .sgpr_count:     4
    .sgpr_spill_count: 0
    .symbol:         _ZN7rocprim17ROCPRIM_400000_NS6detail17trampoline_kernelINS0_14default_configENS1_25partition_config_selectorILNS1_17partition_subalgoE3EjNS0_10empty_typeEbEEZZNS1_14partition_implILS5_3ELb0ES3_jN6thrust23THRUST_200600_302600_NS6detail15normal_iteratorINSA_7pointerIjNSA_11hip_rocprim3tagENSA_11use_defaultESG_EEEEPS6_SJ_NS0_5tupleIJPjSJ_EEENSK_IJSJ_SJ_EEES6_PlJ7is_evenIjEEEE10hipError_tPvRmT3_T4_T5_T6_T7_T9_mT8_P12ihipStream_tbDpT10_ENKUlT_T0_E_clISt17integral_constantIbLb1EES19_IbLb0EEEEDaS15_S16_EUlS15_E_NS1_11comp_targetILNS1_3genE10ELNS1_11target_archE1200ELNS1_3gpuE4ELNS1_3repE0EEENS1_30default_config_static_selectorELNS0_4arch9wavefront6targetE1EEEvT1_.kd
    .uniform_work_group_size: 1
    .uses_dynamic_stack: false
    .vgpr_count:     0
    .vgpr_spill_count: 0
    .wavefront_size: 64
  - .agpr_count:     0
    .args:
      - .offset:         0
        .size:           120
        .value_kind:     by_value
    .group_segment_fixed_size: 0
    .kernarg_segment_align: 8
    .kernarg_segment_size: 120
    .language:       OpenCL C
    .language_version:
      - 2
      - 0
    .max_flat_workgroup_size: 384
    .name:           _ZN7rocprim17ROCPRIM_400000_NS6detail17trampoline_kernelINS0_14default_configENS1_25partition_config_selectorILNS1_17partition_subalgoE3EjNS0_10empty_typeEbEEZZNS1_14partition_implILS5_3ELb0ES3_jN6thrust23THRUST_200600_302600_NS6detail15normal_iteratorINSA_7pointerIjNSA_11hip_rocprim3tagENSA_11use_defaultESG_EEEEPS6_SJ_NS0_5tupleIJPjSJ_EEENSK_IJSJ_SJ_EEES6_PlJ7is_evenIjEEEE10hipError_tPvRmT3_T4_T5_T6_T7_T9_mT8_P12ihipStream_tbDpT10_ENKUlT_T0_E_clISt17integral_constantIbLb1EES19_IbLb0EEEEDaS15_S16_EUlS15_E_NS1_11comp_targetILNS1_3genE9ELNS1_11target_archE1100ELNS1_3gpuE3ELNS1_3repE0EEENS1_30default_config_static_selectorELNS0_4arch9wavefront6targetE1EEEvT1_
    .private_segment_fixed_size: 0
    .sgpr_count:     4
    .sgpr_spill_count: 0
    .symbol:         _ZN7rocprim17ROCPRIM_400000_NS6detail17trampoline_kernelINS0_14default_configENS1_25partition_config_selectorILNS1_17partition_subalgoE3EjNS0_10empty_typeEbEEZZNS1_14partition_implILS5_3ELb0ES3_jN6thrust23THRUST_200600_302600_NS6detail15normal_iteratorINSA_7pointerIjNSA_11hip_rocprim3tagENSA_11use_defaultESG_EEEEPS6_SJ_NS0_5tupleIJPjSJ_EEENSK_IJSJ_SJ_EEES6_PlJ7is_evenIjEEEE10hipError_tPvRmT3_T4_T5_T6_T7_T9_mT8_P12ihipStream_tbDpT10_ENKUlT_T0_E_clISt17integral_constantIbLb1EES19_IbLb0EEEEDaS15_S16_EUlS15_E_NS1_11comp_targetILNS1_3genE9ELNS1_11target_archE1100ELNS1_3gpuE3ELNS1_3repE0EEENS1_30default_config_static_selectorELNS0_4arch9wavefront6targetE1EEEvT1_.kd
    .uniform_work_group_size: 1
    .uses_dynamic_stack: false
    .vgpr_count:     0
    .vgpr_spill_count: 0
    .wavefront_size: 64
  - .agpr_count:     0
    .args:
      - .offset:         0
        .size:           120
        .value_kind:     by_value
    .group_segment_fixed_size: 0
    .kernarg_segment_align: 8
    .kernarg_segment_size: 120
    .language:       OpenCL C
    .language_version:
      - 2
      - 0
    .max_flat_workgroup_size: 512
    .name:           _ZN7rocprim17ROCPRIM_400000_NS6detail17trampoline_kernelINS0_14default_configENS1_25partition_config_selectorILNS1_17partition_subalgoE3EjNS0_10empty_typeEbEEZZNS1_14partition_implILS5_3ELb0ES3_jN6thrust23THRUST_200600_302600_NS6detail15normal_iteratorINSA_7pointerIjNSA_11hip_rocprim3tagENSA_11use_defaultESG_EEEEPS6_SJ_NS0_5tupleIJPjSJ_EEENSK_IJSJ_SJ_EEES6_PlJ7is_evenIjEEEE10hipError_tPvRmT3_T4_T5_T6_T7_T9_mT8_P12ihipStream_tbDpT10_ENKUlT_T0_E_clISt17integral_constantIbLb1EES19_IbLb0EEEEDaS15_S16_EUlS15_E_NS1_11comp_targetILNS1_3genE8ELNS1_11target_archE1030ELNS1_3gpuE2ELNS1_3repE0EEENS1_30default_config_static_selectorELNS0_4arch9wavefront6targetE1EEEvT1_
    .private_segment_fixed_size: 0
    .sgpr_count:     4
    .sgpr_spill_count: 0
    .symbol:         _ZN7rocprim17ROCPRIM_400000_NS6detail17trampoline_kernelINS0_14default_configENS1_25partition_config_selectorILNS1_17partition_subalgoE3EjNS0_10empty_typeEbEEZZNS1_14partition_implILS5_3ELb0ES3_jN6thrust23THRUST_200600_302600_NS6detail15normal_iteratorINSA_7pointerIjNSA_11hip_rocprim3tagENSA_11use_defaultESG_EEEEPS6_SJ_NS0_5tupleIJPjSJ_EEENSK_IJSJ_SJ_EEES6_PlJ7is_evenIjEEEE10hipError_tPvRmT3_T4_T5_T6_T7_T9_mT8_P12ihipStream_tbDpT10_ENKUlT_T0_E_clISt17integral_constantIbLb1EES19_IbLb0EEEEDaS15_S16_EUlS15_E_NS1_11comp_targetILNS1_3genE8ELNS1_11target_archE1030ELNS1_3gpuE2ELNS1_3repE0EEENS1_30default_config_static_selectorELNS0_4arch9wavefront6targetE1EEEvT1_.kd
    .uniform_work_group_size: 1
    .uses_dynamic_stack: false
    .vgpr_count:     0
    .vgpr_spill_count: 0
    .wavefront_size: 64
  - .agpr_count:     0
    .args:
      - .offset:         0
        .size:           136
        .value_kind:     by_value
    .group_segment_fixed_size: 0
    .kernarg_segment_align: 8
    .kernarg_segment_size: 136
    .language:       OpenCL C
    .language_version:
      - 2
      - 0
    .max_flat_workgroup_size: 256
    .name:           _ZN7rocprim17ROCPRIM_400000_NS6detail17trampoline_kernelINS0_14default_configENS1_25partition_config_selectorILNS1_17partition_subalgoE3EjNS0_10empty_typeEbEEZZNS1_14partition_implILS5_3ELb0ES3_jN6thrust23THRUST_200600_302600_NS6detail15normal_iteratorINSA_7pointerIjNSA_11hip_rocprim3tagENSA_11use_defaultESG_EEEEPS6_SJ_NS0_5tupleIJPjSJ_EEENSK_IJSJ_SJ_EEES6_PlJ7is_evenIjEEEE10hipError_tPvRmT3_T4_T5_T6_T7_T9_mT8_P12ihipStream_tbDpT10_ENKUlT_T0_E_clISt17integral_constantIbLb0EES19_IbLb1EEEEDaS15_S16_EUlS15_E_NS1_11comp_targetILNS1_3genE0ELNS1_11target_archE4294967295ELNS1_3gpuE0ELNS1_3repE0EEENS1_30default_config_static_selectorELNS0_4arch9wavefront6targetE1EEEvT1_
    .private_segment_fixed_size: 0
    .sgpr_count:     4
    .sgpr_spill_count: 0
    .symbol:         _ZN7rocprim17ROCPRIM_400000_NS6detail17trampoline_kernelINS0_14default_configENS1_25partition_config_selectorILNS1_17partition_subalgoE3EjNS0_10empty_typeEbEEZZNS1_14partition_implILS5_3ELb0ES3_jN6thrust23THRUST_200600_302600_NS6detail15normal_iteratorINSA_7pointerIjNSA_11hip_rocprim3tagENSA_11use_defaultESG_EEEEPS6_SJ_NS0_5tupleIJPjSJ_EEENSK_IJSJ_SJ_EEES6_PlJ7is_evenIjEEEE10hipError_tPvRmT3_T4_T5_T6_T7_T9_mT8_P12ihipStream_tbDpT10_ENKUlT_T0_E_clISt17integral_constantIbLb0EES19_IbLb1EEEEDaS15_S16_EUlS15_E_NS1_11comp_targetILNS1_3genE0ELNS1_11target_archE4294967295ELNS1_3gpuE0ELNS1_3repE0EEENS1_30default_config_static_selectorELNS0_4arch9wavefront6targetE1EEEvT1_.kd
    .uniform_work_group_size: 1
    .uses_dynamic_stack: false
    .vgpr_count:     0
    .vgpr_spill_count: 0
    .wavefront_size: 64
  - .agpr_count:     0
    .args:
      - .offset:         0
        .size:           136
        .value_kind:     by_value
    .group_segment_fixed_size: 0
    .kernarg_segment_align: 8
    .kernarg_segment_size: 136
    .language:       OpenCL C
    .language_version:
      - 2
      - 0
    .max_flat_workgroup_size: 512
    .name:           _ZN7rocprim17ROCPRIM_400000_NS6detail17trampoline_kernelINS0_14default_configENS1_25partition_config_selectorILNS1_17partition_subalgoE3EjNS0_10empty_typeEbEEZZNS1_14partition_implILS5_3ELb0ES3_jN6thrust23THRUST_200600_302600_NS6detail15normal_iteratorINSA_7pointerIjNSA_11hip_rocprim3tagENSA_11use_defaultESG_EEEEPS6_SJ_NS0_5tupleIJPjSJ_EEENSK_IJSJ_SJ_EEES6_PlJ7is_evenIjEEEE10hipError_tPvRmT3_T4_T5_T6_T7_T9_mT8_P12ihipStream_tbDpT10_ENKUlT_T0_E_clISt17integral_constantIbLb0EES19_IbLb1EEEEDaS15_S16_EUlS15_E_NS1_11comp_targetILNS1_3genE5ELNS1_11target_archE942ELNS1_3gpuE9ELNS1_3repE0EEENS1_30default_config_static_selectorELNS0_4arch9wavefront6targetE1EEEvT1_
    .private_segment_fixed_size: 0
    .sgpr_count:     4
    .sgpr_spill_count: 0
    .symbol:         _ZN7rocprim17ROCPRIM_400000_NS6detail17trampoline_kernelINS0_14default_configENS1_25partition_config_selectorILNS1_17partition_subalgoE3EjNS0_10empty_typeEbEEZZNS1_14partition_implILS5_3ELb0ES3_jN6thrust23THRUST_200600_302600_NS6detail15normal_iteratorINSA_7pointerIjNSA_11hip_rocprim3tagENSA_11use_defaultESG_EEEEPS6_SJ_NS0_5tupleIJPjSJ_EEENSK_IJSJ_SJ_EEES6_PlJ7is_evenIjEEEE10hipError_tPvRmT3_T4_T5_T6_T7_T9_mT8_P12ihipStream_tbDpT10_ENKUlT_T0_E_clISt17integral_constantIbLb0EES19_IbLb1EEEEDaS15_S16_EUlS15_E_NS1_11comp_targetILNS1_3genE5ELNS1_11target_archE942ELNS1_3gpuE9ELNS1_3repE0EEENS1_30default_config_static_selectorELNS0_4arch9wavefront6targetE1EEEvT1_.kd
    .uniform_work_group_size: 1
    .uses_dynamic_stack: false
    .vgpr_count:     0
    .vgpr_spill_count: 0
    .wavefront_size: 64
  - .agpr_count:     0
    .args:
      - .offset:         0
        .size:           136
        .value_kind:     by_value
    .group_segment_fixed_size: 10248
    .kernarg_segment_align: 8
    .kernarg_segment_size: 136
    .language:       OpenCL C
    .language_version:
      - 2
      - 0
    .max_flat_workgroup_size: 256
    .name:           _ZN7rocprim17ROCPRIM_400000_NS6detail17trampoline_kernelINS0_14default_configENS1_25partition_config_selectorILNS1_17partition_subalgoE3EjNS0_10empty_typeEbEEZZNS1_14partition_implILS5_3ELb0ES3_jN6thrust23THRUST_200600_302600_NS6detail15normal_iteratorINSA_7pointerIjNSA_11hip_rocprim3tagENSA_11use_defaultESG_EEEEPS6_SJ_NS0_5tupleIJPjSJ_EEENSK_IJSJ_SJ_EEES6_PlJ7is_evenIjEEEE10hipError_tPvRmT3_T4_T5_T6_T7_T9_mT8_P12ihipStream_tbDpT10_ENKUlT_T0_E_clISt17integral_constantIbLb0EES19_IbLb1EEEEDaS15_S16_EUlS15_E_NS1_11comp_targetILNS1_3genE4ELNS1_11target_archE910ELNS1_3gpuE8ELNS1_3repE0EEENS1_30default_config_static_selectorELNS0_4arch9wavefront6targetE1EEEvT1_
    .private_segment_fixed_size: 0
    .sgpr_count:     48
    .sgpr_spill_count: 0
    .symbol:         _ZN7rocprim17ROCPRIM_400000_NS6detail17trampoline_kernelINS0_14default_configENS1_25partition_config_selectorILNS1_17partition_subalgoE3EjNS0_10empty_typeEbEEZZNS1_14partition_implILS5_3ELb0ES3_jN6thrust23THRUST_200600_302600_NS6detail15normal_iteratorINSA_7pointerIjNSA_11hip_rocprim3tagENSA_11use_defaultESG_EEEEPS6_SJ_NS0_5tupleIJPjSJ_EEENSK_IJSJ_SJ_EEES6_PlJ7is_evenIjEEEE10hipError_tPvRmT3_T4_T5_T6_T7_T9_mT8_P12ihipStream_tbDpT10_ENKUlT_T0_E_clISt17integral_constantIbLb0EES19_IbLb1EEEEDaS15_S16_EUlS15_E_NS1_11comp_targetILNS1_3genE4ELNS1_11target_archE910ELNS1_3gpuE8ELNS1_3repE0EEENS1_30default_config_static_selectorELNS0_4arch9wavefront6targetE1EEEvT1_.kd
    .uniform_work_group_size: 1
    .uses_dynamic_stack: false
    .vgpr_count:     57
    .vgpr_spill_count: 0
    .wavefront_size: 64
  - .agpr_count:     0
    .args:
      - .offset:         0
        .size:           136
        .value_kind:     by_value
    .group_segment_fixed_size: 0
    .kernarg_segment_align: 8
    .kernarg_segment_size: 136
    .language:       OpenCL C
    .language_version:
      - 2
      - 0
    .max_flat_workgroup_size: 256
    .name:           _ZN7rocprim17ROCPRIM_400000_NS6detail17trampoline_kernelINS0_14default_configENS1_25partition_config_selectorILNS1_17partition_subalgoE3EjNS0_10empty_typeEbEEZZNS1_14partition_implILS5_3ELb0ES3_jN6thrust23THRUST_200600_302600_NS6detail15normal_iteratorINSA_7pointerIjNSA_11hip_rocprim3tagENSA_11use_defaultESG_EEEEPS6_SJ_NS0_5tupleIJPjSJ_EEENSK_IJSJ_SJ_EEES6_PlJ7is_evenIjEEEE10hipError_tPvRmT3_T4_T5_T6_T7_T9_mT8_P12ihipStream_tbDpT10_ENKUlT_T0_E_clISt17integral_constantIbLb0EES19_IbLb1EEEEDaS15_S16_EUlS15_E_NS1_11comp_targetILNS1_3genE3ELNS1_11target_archE908ELNS1_3gpuE7ELNS1_3repE0EEENS1_30default_config_static_selectorELNS0_4arch9wavefront6targetE1EEEvT1_
    .private_segment_fixed_size: 0
    .sgpr_count:     4
    .sgpr_spill_count: 0
    .symbol:         _ZN7rocprim17ROCPRIM_400000_NS6detail17trampoline_kernelINS0_14default_configENS1_25partition_config_selectorILNS1_17partition_subalgoE3EjNS0_10empty_typeEbEEZZNS1_14partition_implILS5_3ELb0ES3_jN6thrust23THRUST_200600_302600_NS6detail15normal_iteratorINSA_7pointerIjNSA_11hip_rocprim3tagENSA_11use_defaultESG_EEEEPS6_SJ_NS0_5tupleIJPjSJ_EEENSK_IJSJ_SJ_EEES6_PlJ7is_evenIjEEEE10hipError_tPvRmT3_T4_T5_T6_T7_T9_mT8_P12ihipStream_tbDpT10_ENKUlT_T0_E_clISt17integral_constantIbLb0EES19_IbLb1EEEEDaS15_S16_EUlS15_E_NS1_11comp_targetILNS1_3genE3ELNS1_11target_archE908ELNS1_3gpuE7ELNS1_3repE0EEENS1_30default_config_static_selectorELNS0_4arch9wavefront6targetE1EEEvT1_.kd
    .uniform_work_group_size: 1
    .uses_dynamic_stack: false
    .vgpr_count:     0
    .vgpr_spill_count: 0
    .wavefront_size: 64
  - .agpr_count:     0
    .args:
      - .offset:         0
        .size:           136
        .value_kind:     by_value
    .group_segment_fixed_size: 0
    .kernarg_segment_align: 8
    .kernarg_segment_size: 136
    .language:       OpenCL C
    .language_version:
      - 2
      - 0
    .max_flat_workgroup_size: 192
    .name:           _ZN7rocprim17ROCPRIM_400000_NS6detail17trampoline_kernelINS0_14default_configENS1_25partition_config_selectorILNS1_17partition_subalgoE3EjNS0_10empty_typeEbEEZZNS1_14partition_implILS5_3ELb0ES3_jN6thrust23THRUST_200600_302600_NS6detail15normal_iteratorINSA_7pointerIjNSA_11hip_rocprim3tagENSA_11use_defaultESG_EEEEPS6_SJ_NS0_5tupleIJPjSJ_EEENSK_IJSJ_SJ_EEES6_PlJ7is_evenIjEEEE10hipError_tPvRmT3_T4_T5_T6_T7_T9_mT8_P12ihipStream_tbDpT10_ENKUlT_T0_E_clISt17integral_constantIbLb0EES19_IbLb1EEEEDaS15_S16_EUlS15_E_NS1_11comp_targetILNS1_3genE2ELNS1_11target_archE906ELNS1_3gpuE6ELNS1_3repE0EEENS1_30default_config_static_selectorELNS0_4arch9wavefront6targetE1EEEvT1_
    .private_segment_fixed_size: 0
    .sgpr_count:     4
    .sgpr_spill_count: 0
    .symbol:         _ZN7rocprim17ROCPRIM_400000_NS6detail17trampoline_kernelINS0_14default_configENS1_25partition_config_selectorILNS1_17partition_subalgoE3EjNS0_10empty_typeEbEEZZNS1_14partition_implILS5_3ELb0ES3_jN6thrust23THRUST_200600_302600_NS6detail15normal_iteratorINSA_7pointerIjNSA_11hip_rocprim3tagENSA_11use_defaultESG_EEEEPS6_SJ_NS0_5tupleIJPjSJ_EEENSK_IJSJ_SJ_EEES6_PlJ7is_evenIjEEEE10hipError_tPvRmT3_T4_T5_T6_T7_T9_mT8_P12ihipStream_tbDpT10_ENKUlT_T0_E_clISt17integral_constantIbLb0EES19_IbLb1EEEEDaS15_S16_EUlS15_E_NS1_11comp_targetILNS1_3genE2ELNS1_11target_archE906ELNS1_3gpuE6ELNS1_3repE0EEENS1_30default_config_static_selectorELNS0_4arch9wavefront6targetE1EEEvT1_.kd
    .uniform_work_group_size: 1
    .uses_dynamic_stack: false
    .vgpr_count:     0
    .vgpr_spill_count: 0
    .wavefront_size: 64
  - .agpr_count:     0
    .args:
      - .offset:         0
        .size:           136
        .value_kind:     by_value
    .group_segment_fixed_size: 0
    .kernarg_segment_align: 8
    .kernarg_segment_size: 136
    .language:       OpenCL C
    .language_version:
      - 2
      - 0
    .max_flat_workgroup_size: 384
    .name:           _ZN7rocprim17ROCPRIM_400000_NS6detail17trampoline_kernelINS0_14default_configENS1_25partition_config_selectorILNS1_17partition_subalgoE3EjNS0_10empty_typeEbEEZZNS1_14partition_implILS5_3ELb0ES3_jN6thrust23THRUST_200600_302600_NS6detail15normal_iteratorINSA_7pointerIjNSA_11hip_rocprim3tagENSA_11use_defaultESG_EEEEPS6_SJ_NS0_5tupleIJPjSJ_EEENSK_IJSJ_SJ_EEES6_PlJ7is_evenIjEEEE10hipError_tPvRmT3_T4_T5_T6_T7_T9_mT8_P12ihipStream_tbDpT10_ENKUlT_T0_E_clISt17integral_constantIbLb0EES19_IbLb1EEEEDaS15_S16_EUlS15_E_NS1_11comp_targetILNS1_3genE10ELNS1_11target_archE1200ELNS1_3gpuE4ELNS1_3repE0EEENS1_30default_config_static_selectorELNS0_4arch9wavefront6targetE1EEEvT1_
    .private_segment_fixed_size: 0
    .sgpr_count:     4
    .sgpr_spill_count: 0
    .symbol:         _ZN7rocprim17ROCPRIM_400000_NS6detail17trampoline_kernelINS0_14default_configENS1_25partition_config_selectorILNS1_17partition_subalgoE3EjNS0_10empty_typeEbEEZZNS1_14partition_implILS5_3ELb0ES3_jN6thrust23THRUST_200600_302600_NS6detail15normal_iteratorINSA_7pointerIjNSA_11hip_rocprim3tagENSA_11use_defaultESG_EEEEPS6_SJ_NS0_5tupleIJPjSJ_EEENSK_IJSJ_SJ_EEES6_PlJ7is_evenIjEEEE10hipError_tPvRmT3_T4_T5_T6_T7_T9_mT8_P12ihipStream_tbDpT10_ENKUlT_T0_E_clISt17integral_constantIbLb0EES19_IbLb1EEEEDaS15_S16_EUlS15_E_NS1_11comp_targetILNS1_3genE10ELNS1_11target_archE1200ELNS1_3gpuE4ELNS1_3repE0EEENS1_30default_config_static_selectorELNS0_4arch9wavefront6targetE1EEEvT1_.kd
    .uniform_work_group_size: 1
    .uses_dynamic_stack: false
    .vgpr_count:     0
    .vgpr_spill_count: 0
    .wavefront_size: 64
  - .agpr_count:     0
    .args:
      - .offset:         0
        .size:           136
        .value_kind:     by_value
    .group_segment_fixed_size: 0
    .kernarg_segment_align: 8
    .kernarg_segment_size: 136
    .language:       OpenCL C
    .language_version:
      - 2
      - 0
    .max_flat_workgroup_size: 384
    .name:           _ZN7rocprim17ROCPRIM_400000_NS6detail17trampoline_kernelINS0_14default_configENS1_25partition_config_selectorILNS1_17partition_subalgoE3EjNS0_10empty_typeEbEEZZNS1_14partition_implILS5_3ELb0ES3_jN6thrust23THRUST_200600_302600_NS6detail15normal_iteratorINSA_7pointerIjNSA_11hip_rocprim3tagENSA_11use_defaultESG_EEEEPS6_SJ_NS0_5tupleIJPjSJ_EEENSK_IJSJ_SJ_EEES6_PlJ7is_evenIjEEEE10hipError_tPvRmT3_T4_T5_T6_T7_T9_mT8_P12ihipStream_tbDpT10_ENKUlT_T0_E_clISt17integral_constantIbLb0EES19_IbLb1EEEEDaS15_S16_EUlS15_E_NS1_11comp_targetILNS1_3genE9ELNS1_11target_archE1100ELNS1_3gpuE3ELNS1_3repE0EEENS1_30default_config_static_selectorELNS0_4arch9wavefront6targetE1EEEvT1_
    .private_segment_fixed_size: 0
    .sgpr_count:     4
    .sgpr_spill_count: 0
    .symbol:         _ZN7rocprim17ROCPRIM_400000_NS6detail17trampoline_kernelINS0_14default_configENS1_25partition_config_selectorILNS1_17partition_subalgoE3EjNS0_10empty_typeEbEEZZNS1_14partition_implILS5_3ELb0ES3_jN6thrust23THRUST_200600_302600_NS6detail15normal_iteratorINSA_7pointerIjNSA_11hip_rocprim3tagENSA_11use_defaultESG_EEEEPS6_SJ_NS0_5tupleIJPjSJ_EEENSK_IJSJ_SJ_EEES6_PlJ7is_evenIjEEEE10hipError_tPvRmT3_T4_T5_T6_T7_T9_mT8_P12ihipStream_tbDpT10_ENKUlT_T0_E_clISt17integral_constantIbLb0EES19_IbLb1EEEEDaS15_S16_EUlS15_E_NS1_11comp_targetILNS1_3genE9ELNS1_11target_archE1100ELNS1_3gpuE3ELNS1_3repE0EEENS1_30default_config_static_selectorELNS0_4arch9wavefront6targetE1EEEvT1_.kd
    .uniform_work_group_size: 1
    .uses_dynamic_stack: false
    .vgpr_count:     0
    .vgpr_spill_count: 0
    .wavefront_size: 64
  - .agpr_count:     0
    .args:
      - .offset:         0
        .size:           136
        .value_kind:     by_value
    .group_segment_fixed_size: 0
    .kernarg_segment_align: 8
    .kernarg_segment_size: 136
    .language:       OpenCL C
    .language_version:
      - 2
      - 0
    .max_flat_workgroup_size: 512
    .name:           _ZN7rocprim17ROCPRIM_400000_NS6detail17trampoline_kernelINS0_14default_configENS1_25partition_config_selectorILNS1_17partition_subalgoE3EjNS0_10empty_typeEbEEZZNS1_14partition_implILS5_3ELb0ES3_jN6thrust23THRUST_200600_302600_NS6detail15normal_iteratorINSA_7pointerIjNSA_11hip_rocprim3tagENSA_11use_defaultESG_EEEEPS6_SJ_NS0_5tupleIJPjSJ_EEENSK_IJSJ_SJ_EEES6_PlJ7is_evenIjEEEE10hipError_tPvRmT3_T4_T5_T6_T7_T9_mT8_P12ihipStream_tbDpT10_ENKUlT_T0_E_clISt17integral_constantIbLb0EES19_IbLb1EEEEDaS15_S16_EUlS15_E_NS1_11comp_targetILNS1_3genE8ELNS1_11target_archE1030ELNS1_3gpuE2ELNS1_3repE0EEENS1_30default_config_static_selectorELNS0_4arch9wavefront6targetE1EEEvT1_
    .private_segment_fixed_size: 0
    .sgpr_count:     4
    .sgpr_spill_count: 0
    .symbol:         _ZN7rocprim17ROCPRIM_400000_NS6detail17trampoline_kernelINS0_14default_configENS1_25partition_config_selectorILNS1_17partition_subalgoE3EjNS0_10empty_typeEbEEZZNS1_14partition_implILS5_3ELb0ES3_jN6thrust23THRUST_200600_302600_NS6detail15normal_iteratorINSA_7pointerIjNSA_11hip_rocprim3tagENSA_11use_defaultESG_EEEEPS6_SJ_NS0_5tupleIJPjSJ_EEENSK_IJSJ_SJ_EEES6_PlJ7is_evenIjEEEE10hipError_tPvRmT3_T4_T5_T6_T7_T9_mT8_P12ihipStream_tbDpT10_ENKUlT_T0_E_clISt17integral_constantIbLb0EES19_IbLb1EEEEDaS15_S16_EUlS15_E_NS1_11comp_targetILNS1_3genE8ELNS1_11target_archE1030ELNS1_3gpuE2ELNS1_3repE0EEENS1_30default_config_static_selectorELNS0_4arch9wavefront6targetE1EEEvT1_.kd
    .uniform_work_group_size: 1
    .uses_dynamic_stack: false
    .vgpr_count:     0
    .vgpr_spill_count: 0
    .wavefront_size: 64
  - .agpr_count:     0
    .args:
      - .offset:         0
        .size:           48
        .value_kind:     by_value
    .group_segment_fixed_size: 0
    .kernarg_segment_align: 8
    .kernarg_segment_size: 48
    .language:       OpenCL C
    .language_version:
      - 2
      - 0
    .max_flat_workgroup_size: 256
    .name:           _ZN7rocprim17ROCPRIM_400000_NS6detail17trampoline_kernelINS0_13kernel_configILj256ELj4ELj4294967295EEENS1_37radix_sort_block_sort_config_selectorIjNS0_10empty_typeEEEZNS1_21radix_sort_block_sortIS4_Lb0EN6thrust23THRUST_200600_302600_NS6detail15normal_iteratorINSA_10device_ptrIjEEEESF_PS6_SG_NS0_19identity_decomposerEEE10hipError_tT1_T2_T3_T4_jRjT5_jjP12ihipStream_tbEUlT_E_NS1_11comp_targetILNS1_3genE0ELNS1_11target_archE4294967295ELNS1_3gpuE0ELNS1_3repE0EEENS1_44radix_sort_block_sort_config_static_selectorELNS0_4arch9wavefront6targetE1EEEvSJ_
    .private_segment_fixed_size: 0
    .sgpr_count:     4
    .sgpr_spill_count: 0
    .symbol:         _ZN7rocprim17ROCPRIM_400000_NS6detail17trampoline_kernelINS0_13kernel_configILj256ELj4ELj4294967295EEENS1_37radix_sort_block_sort_config_selectorIjNS0_10empty_typeEEEZNS1_21radix_sort_block_sortIS4_Lb0EN6thrust23THRUST_200600_302600_NS6detail15normal_iteratorINSA_10device_ptrIjEEEESF_PS6_SG_NS0_19identity_decomposerEEE10hipError_tT1_T2_T3_T4_jRjT5_jjP12ihipStream_tbEUlT_E_NS1_11comp_targetILNS1_3genE0ELNS1_11target_archE4294967295ELNS1_3gpuE0ELNS1_3repE0EEENS1_44radix_sort_block_sort_config_static_selectorELNS0_4arch9wavefront6targetE1EEEvSJ_.kd
    .uniform_work_group_size: 1
    .uses_dynamic_stack: false
    .vgpr_count:     0
    .vgpr_spill_count: 0
    .wavefront_size: 64
  - .agpr_count:     0
    .args:
      - .offset:         0
        .size:           48
        .value_kind:     by_value
    .group_segment_fixed_size: 0
    .kernarg_segment_align: 8
    .kernarg_segment_size: 48
    .language:       OpenCL C
    .language_version:
      - 2
      - 0
    .max_flat_workgroup_size: 256
    .name:           _ZN7rocprim17ROCPRIM_400000_NS6detail17trampoline_kernelINS0_13kernel_configILj256ELj4ELj4294967295EEENS1_37radix_sort_block_sort_config_selectorIjNS0_10empty_typeEEEZNS1_21radix_sort_block_sortIS4_Lb0EN6thrust23THRUST_200600_302600_NS6detail15normal_iteratorINSA_10device_ptrIjEEEESF_PS6_SG_NS0_19identity_decomposerEEE10hipError_tT1_T2_T3_T4_jRjT5_jjP12ihipStream_tbEUlT_E_NS1_11comp_targetILNS1_3genE5ELNS1_11target_archE942ELNS1_3gpuE9ELNS1_3repE0EEENS1_44radix_sort_block_sort_config_static_selectorELNS0_4arch9wavefront6targetE1EEEvSJ_
    .private_segment_fixed_size: 0
    .sgpr_count:     4
    .sgpr_spill_count: 0
    .symbol:         _ZN7rocprim17ROCPRIM_400000_NS6detail17trampoline_kernelINS0_13kernel_configILj256ELj4ELj4294967295EEENS1_37radix_sort_block_sort_config_selectorIjNS0_10empty_typeEEEZNS1_21radix_sort_block_sortIS4_Lb0EN6thrust23THRUST_200600_302600_NS6detail15normal_iteratorINSA_10device_ptrIjEEEESF_PS6_SG_NS0_19identity_decomposerEEE10hipError_tT1_T2_T3_T4_jRjT5_jjP12ihipStream_tbEUlT_E_NS1_11comp_targetILNS1_3genE5ELNS1_11target_archE942ELNS1_3gpuE9ELNS1_3repE0EEENS1_44radix_sort_block_sort_config_static_selectorELNS0_4arch9wavefront6targetE1EEEvSJ_.kd
    .uniform_work_group_size: 1
    .uses_dynamic_stack: false
    .vgpr_count:     0
    .vgpr_spill_count: 0
    .wavefront_size: 64
  - .agpr_count:     0
    .args:
      - .offset:         0
        .size:           48
        .value_kind:     by_value
      - .offset:         48
        .size:           4
        .value_kind:     hidden_block_count_x
      - .offset:         52
        .size:           4
        .value_kind:     hidden_block_count_y
      - .offset:         56
        .size:           4
        .value_kind:     hidden_block_count_z
      - .offset:         60
        .size:           2
        .value_kind:     hidden_group_size_x
      - .offset:         62
        .size:           2
        .value_kind:     hidden_group_size_y
      - .offset:         64
        .size:           2
        .value_kind:     hidden_group_size_z
      - .offset:         66
        .size:           2
        .value_kind:     hidden_remainder_x
      - .offset:         68
        .size:           2
        .value_kind:     hidden_remainder_y
      - .offset:         70
        .size:           2
        .value_kind:     hidden_remainder_z
      - .offset:         88
        .size:           8
        .value_kind:     hidden_global_offset_x
      - .offset:         96
        .size:           8
        .value_kind:     hidden_global_offset_y
      - .offset:         104
        .size:           8
        .value_kind:     hidden_global_offset_z
      - .offset:         112
        .size:           2
        .value_kind:     hidden_grid_dims
    .group_segment_fixed_size: 4112
    .kernarg_segment_align: 8
    .kernarg_segment_size: 304
    .language:       OpenCL C
    .language_version:
      - 2
      - 0
    .max_flat_workgroup_size: 256
    .name:           _ZN7rocprim17ROCPRIM_400000_NS6detail17trampoline_kernelINS0_13kernel_configILj256ELj4ELj4294967295EEENS1_37radix_sort_block_sort_config_selectorIjNS0_10empty_typeEEEZNS1_21radix_sort_block_sortIS4_Lb0EN6thrust23THRUST_200600_302600_NS6detail15normal_iteratorINSA_10device_ptrIjEEEESF_PS6_SG_NS0_19identity_decomposerEEE10hipError_tT1_T2_T3_T4_jRjT5_jjP12ihipStream_tbEUlT_E_NS1_11comp_targetILNS1_3genE4ELNS1_11target_archE910ELNS1_3gpuE8ELNS1_3repE0EEENS1_44radix_sort_block_sort_config_static_selectorELNS0_4arch9wavefront6targetE1EEEvSJ_
    .private_segment_fixed_size: 0
    .sgpr_count:     48
    .sgpr_spill_count: 0
    .symbol:         _ZN7rocprim17ROCPRIM_400000_NS6detail17trampoline_kernelINS0_13kernel_configILj256ELj4ELj4294967295EEENS1_37radix_sort_block_sort_config_selectorIjNS0_10empty_typeEEEZNS1_21radix_sort_block_sortIS4_Lb0EN6thrust23THRUST_200600_302600_NS6detail15normal_iteratorINSA_10device_ptrIjEEEESF_PS6_SG_NS0_19identity_decomposerEEE10hipError_tT1_T2_T3_T4_jRjT5_jjP12ihipStream_tbEUlT_E_NS1_11comp_targetILNS1_3genE4ELNS1_11target_archE910ELNS1_3gpuE8ELNS1_3repE0EEENS1_44radix_sort_block_sort_config_static_selectorELNS0_4arch9wavefront6targetE1EEEvSJ_.kd
    .uniform_work_group_size: 1
    .uses_dynamic_stack: false
    .vgpr_count:     39
    .vgpr_spill_count: 0
    .wavefront_size: 64
  - .agpr_count:     0
    .args:
      - .offset:         0
        .size:           48
        .value_kind:     by_value
    .group_segment_fixed_size: 0
    .kernarg_segment_align: 8
    .kernarg_segment_size: 48
    .language:       OpenCL C
    .language_version:
      - 2
      - 0
    .max_flat_workgroup_size: 256
    .name:           _ZN7rocprim17ROCPRIM_400000_NS6detail17trampoline_kernelINS0_13kernel_configILj256ELj4ELj4294967295EEENS1_37radix_sort_block_sort_config_selectorIjNS0_10empty_typeEEEZNS1_21radix_sort_block_sortIS4_Lb0EN6thrust23THRUST_200600_302600_NS6detail15normal_iteratorINSA_10device_ptrIjEEEESF_PS6_SG_NS0_19identity_decomposerEEE10hipError_tT1_T2_T3_T4_jRjT5_jjP12ihipStream_tbEUlT_E_NS1_11comp_targetILNS1_3genE3ELNS1_11target_archE908ELNS1_3gpuE7ELNS1_3repE0EEENS1_44radix_sort_block_sort_config_static_selectorELNS0_4arch9wavefront6targetE1EEEvSJ_
    .private_segment_fixed_size: 0
    .sgpr_count:     4
    .sgpr_spill_count: 0
    .symbol:         _ZN7rocprim17ROCPRIM_400000_NS6detail17trampoline_kernelINS0_13kernel_configILj256ELj4ELj4294967295EEENS1_37radix_sort_block_sort_config_selectorIjNS0_10empty_typeEEEZNS1_21radix_sort_block_sortIS4_Lb0EN6thrust23THRUST_200600_302600_NS6detail15normal_iteratorINSA_10device_ptrIjEEEESF_PS6_SG_NS0_19identity_decomposerEEE10hipError_tT1_T2_T3_T4_jRjT5_jjP12ihipStream_tbEUlT_E_NS1_11comp_targetILNS1_3genE3ELNS1_11target_archE908ELNS1_3gpuE7ELNS1_3repE0EEENS1_44radix_sort_block_sort_config_static_selectorELNS0_4arch9wavefront6targetE1EEEvSJ_.kd
    .uniform_work_group_size: 1
    .uses_dynamic_stack: false
    .vgpr_count:     0
    .vgpr_spill_count: 0
    .wavefront_size: 64
  - .agpr_count:     0
    .args:
      - .offset:         0
        .size:           48
        .value_kind:     by_value
    .group_segment_fixed_size: 0
    .kernarg_segment_align: 8
    .kernarg_segment_size: 48
    .language:       OpenCL C
    .language_version:
      - 2
      - 0
    .max_flat_workgroup_size: 256
    .name:           _ZN7rocprim17ROCPRIM_400000_NS6detail17trampoline_kernelINS0_13kernel_configILj256ELj4ELj4294967295EEENS1_37radix_sort_block_sort_config_selectorIjNS0_10empty_typeEEEZNS1_21radix_sort_block_sortIS4_Lb0EN6thrust23THRUST_200600_302600_NS6detail15normal_iteratorINSA_10device_ptrIjEEEESF_PS6_SG_NS0_19identity_decomposerEEE10hipError_tT1_T2_T3_T4_jRjT5_jjP12ihipStream_tbEUlT_E_NS1_11comp_targetILNS1_3genE2ELNS1_11target_archE906ELNS1_3gpuE6ELNS1_3repE0EEENS1_44radix_sort_block_sort_config_static_selectorELNS0_4arch9wavefront6targetE1EEEvSJ_
    .private_segment_fixed_size: 0
    .sgpr_count:     4
    .sgpr_spill_count: 0
    .symbol:         _ZN7rocprim17ROCPRIM_400000_NS6detail17trampoline_kernelINS0_13kernel_configILj256ELj4ELj4294967295EEENS1_37radix_sort_block_sort_config_selectorIjNS0_10empty_typeEEEZNS1_21radix_sort_block_sortIS4_Lb0EN6thrust23THRUST_200600_302600_NS6detail15normal_iteratorINSA_10device_ptrIjEEEESF_PS6_SG_NS0_19identity_decomposerEEE10hipError_tT1_T2_T3_T4_jRjT5_jjP12ihipStream_tbEUlT_E_NS1_11comp_targetILNS1_3genE2ELNS1_11target_archE906ELNS1_3gpuE6ELNS1_3repE0EEENS1_44radix_sort_block_sort_config_static_selectorELNS0_4arch9wavefront6targetE1EEEvSJ_.kd
    .uniform_work_group_size: 1
    .uses_dynamic_stack: false
    .vgpr_count:     0
    .vgpr_spill_count: 0
    .wavefront_size: 64
  - .agpr_count:     0
    .args:
      - .offset:         0
        .size:           48
        .value_kind:     by_value
    .group_segment_fixed_size: 0
    .kernarg_segment_align: 8
    .kernarg_segment_size: 48
    .language:       OpenCL C
    .language_version:
      - 2
      - 0
    .max_flat_workgroup_size: 256
    .name:           _ZN7rocprim17ROCPRIM_400000_NS6detail17trampoline_kernelINS0_13kernel_configILj256ELj4ELj4294967295EEENS1_37radix_sort_block_sort_config_selectorIjNS0_10empty_typeEEEZNS1_21radix_sort_block_sortIS4_Lb0EN6thrust23THRUST_200600_302600_NS6detail15normal_iteratorINSA_10device_ptrIjEEEESF_PS6_SG_NS0_19identity_decomposerEEE10hipError_tT1_T2_T3_T4_jRjT5_jjP12ihipStream_tbEUlT_E_NS1_11comp_targetILNS1_3genE10ELNS1_11target_archE1201ELNS1_3gpuE5ELNS1_3repE0EEENS1_44radix_sort_block_sort_config_static_selectorELNS0_4arch9wavefront6targetE1EEEvSJ_
    .private_segment_fixed_size: 0
    .sgpr_count:     4
    .sgpr_spill_count: 0
    .symbol:         _ZN7rocprim17ROCPRIM_400000_NS6detail17trampoline_kernelINS0_13kernel_configILj256ELj4ELj4294967295EEENS1_37radix_sort_block_sort_config_selectorIjNS0_10empty_typeEEEZNS1_21radix_sort_block_sortIS4_Lb0EN6thrust23THRUST_200600_302600_NS6detail15normal_iteratorINSA_10device_ptrIjEEEESF_PS6_SG_NS0_19identity_decomposerEEE10hipError_tT1_T2_T3_T4_jRjT5_jjP12ihipStream_tbEUlT_E_NS1_11comp_targetILNS1_3genE10ELNS1_11target_archE1201ELNS1_3gpuE5ELNS1_3repE0EEENS1_44radix_sort_block_sort_config_static_selectorELNS0_4arch9wavefront6targetE1EEEvSJ_.kd
    .uniform_work_group_size: 1
    .uses_dynamic_stack: false
    .vgpr_count:     0
    .vgpr_spill_count: 0
    .wavefront_size: 64
  - .agpr_count:     0
    .args:
      - .offset:         0
        .size:           48
        .value_kind:     by_value
    .group_segment_fixed_size: 0
    .kernarg_segment_align: 8
    .kernarg_segment_size: 48
    .language:       OpenCL C
    .language_version:
      - 2
      - 0
    .max_flat_workgroup_size: 256
    .name:           _ZN7rocprim17ROCPRIM_400000_NS6detail17trampoline_kernelINS0_13kernel_configILj256ELj4ELj4294967295EEENS1_37radix_sort_block_sort_config_selectorIjNS0_10empty_typeEEEZNS1_21radix_sort_block_sortIS4_Lb0EN6thrust23THRUST_200600_302600_NS6detail15normal_iteratorINSA_10device_ptrIjEEEESF_PS6_SG_NS0_19identity_decomposerEEE10hipError_tT1_T2_T3_T4_jRjT5_jjP12ihipStream_tbEUlT_E_NS1_11comp_targetILNS1_3genE10ELNS1_11target_archE1200ELNS1_3gpuE4ELNS1_3repE0EEENS1_44radix_sort_block_sort_config_static_selectorELNS0_4arch9wavefront6targetE1EEEvSJ_
    .private_segment_fixed_size: 0
    .sgpr_count:     4
    .sgpr_spill_count: 0
    .symbol:         _ZN7rocprim17ROCPRIM_400000_NS6detail17trampoline_kernelINS0_13kernel_configILj256ELj4ELj4294967295EEENS1_37radix_sort_block_sort_config_selectorIjNS0_10empty_typeEEEZNS1_21radix_sort_block_sortIS4_Lb0EN6thrust23THRUST_200600_302600_NS6detail15normal_iteratorINSA_10device_ptrIjEEEESF_PS6_SG_NS0_19identity_decomposerEEE10hipError_tT1_T2_T3_T4_jRjT5_jjP12ihipStream_tbEUlT_E_NS1_11comp_targetILNS1_3genE10ELNS1_11target_archE1200ELNS1_3gpuE4ELNS1_3repE0EEENS1_44radix_sort_block_sort_config_static_selectorELNS0_4arch9wavefront6targetE1EEEvSJ_.kd
    .uniform_work_group_size: 1
    .uses_dynamic_stack: false
    .vgpr_count:     0
    .vgpr_spill_count: 0
    .wavefront_size: 64
  - .agpr_count:     0
    .args:
      - .offset:         0
        .size:           48
        .value_kind:     by_value
    .group_segment_fixed_size: 0
    .kernarg_segment_align: 8
    .kernarg_segment_size: 48
    .language:       OpenCL C
    .language_version:
      - 2
      - 0
    .max_flat_workgroup_size: 256
    .name:           _ZN7rocprim17ROCPRIM_400000_NS6detail17trampoline_kernelINS0_13kernel_configILj256ELj4ELj4294967295EEENS1_37radix_sort_block_sort_config_selectorIjNS0_10empty_typeEEEZNS1_21radix_sort_block_sortIS4_Lb0EN6thrust23THRUST_200600_302600_NS6detail15normal_iteratorINSA_10device_ptrIjEEEESF_PS6_SG_NS0_19identity_decomposerEEE10hipError_tT1_T2_T3_T4_jRjT5_jjP12ihipStream_tbEUlT_E_NS1_11comp_targetILNS1_3genE9ELNS1_11target_archE1100ELNS1_3gpuE3ELNS1_3repE0EEENS1_44radix_sort_block_sort_config_static_selectorELNS0_4arch9wavefront6targetE1EEEvSJ_
    .private_segment_fixed_size: 0
    .sgpr_count:     4
    .sgpr_spill_count: 0
    .symbol:         _ZN7rocprim17ROCPRIM_400000_NS6detail17trampoline_kernelINS0_13kernel_configILj256ELj4ELj4294967295EEENS1_37radix_sort_block_sort_config_selectorIjNS0_10empty_typeEEEZNS1_21radix_sort_block_sortIS4_Lb0EN6thrust23THRUST_200600_302600_NS6detail15normal_iteratorINSA_10device_ptrIjEEEESF_PS6_SG_NS0_19identity_decomposerEEE10hipError_tT1_T2_T3_T4_jRjT5_jjP12ihipStream_tbEUlT_E_NS1_11comp_targetILNS1_3genE9ELNS1_11target_archE1100ELNS1_3gpuE3ELNS1_3repE0EEENS1_44radix_sort_block_sort_config_static_selectorELNS0_4arch9wavefront6targetE1EEEvSJ_.kd
    .uniform_work_group_size: 1
    .uses_dynamic_stack: false
    .vgpr_count:     0
    .vgpr_spill_count: 0
    .wavefront_size: 64
  - .agpr_count:     0
    .args:
      - .offset:         0
        .size:           48
        .value_kind:     by_value
    .group_segment_fixed_size: 0
    .kernarg_segment_align: 8
    .kernarg_segment_size: 48
    .language:       OpenCL C
    .language_version:
      - 2
      - 0
    .max_flat_workgroup_size: 256
    .name:           _ZN7rocprim17ROCPRIM_400000_NS6detail17trampoline_kernelINS0_13kernel_configILj256ELj4ELj4294967295EEENS1_37radix_sort_block_sort_config_selectorIjNS0_10empty_typeEEEZNS1_21radix_sort_block_sortIS4_Lb0EN6thrust23THRUST_200600_302600_NS6detail15normal_iteratorINSA_10device_ptrIjEEEESF_PS6_SG_NS0_19identity_decomposerEEE10hipError_tT1_T2_T3_T4_jRjT5_jjP12ihipStream_tbEUlT_E_NS1_11comp_targetILNS1_3genE8ELNS1_11target_archE1030ELNS1_3gpuE2ELNS1_3repE0EEENS1_44radix_sort_block_sort_config_static_selectorELNS0_4arch9wavefront6targetE1EEEvSJ_
    .private_segment_fixed_size: 0
    .sgpr_count:     4
    .sgpr_spill_count: 0
    .symbol:         _ZN7rocprim17ROCPRIM_400000_NS6detail17trampoline_kernelINS0_13kernel_configILj256ELj4ELj4294967295EEENS1_37radix_sort_block_sort_config_selectorIjNS0_10empty_typeEEEZNS1_21radix_sort_block_sortIS4_Lb0EN6thrust23THRUST_200600_302600_NS6detail15normal_iteratorINSA_10device_ptrIjEEEESF_PS6_SG_NS0_19identity_decomposerEEE10hipError_tT1_T2_T3_T4_jRjT5_jjP12ihipStream_tbEUlT_E_NS1_11comp_targetILNS1_3genE8ELNS1_11target_archE1030ELNS1_3gpuE2ELNS1_3repE0EEENS1_44radix_sort_block_sort_config_static_selectorELNS0_4arch9wavefront6targetE1EEEvSJ_.kd
    .uniform_work_group_size: 1
    .uses_dynamic_stack: false
    .vgpr_count:     0
    .vgpr_spill_count: 0
    .wavefront_size: 64
  - .agpr_count:     0
    .args:           []
    .group_segment_fixed_size: 0
    .kernarg_segment_align: 4
    .kernarg_segment_size: 0
    .language:       OpenCL C
    .language_version:
      - 2
      - 0
    .max_flat_workgroup_size: 1024
    .name:           _ZN7rocprim17ROCPRIM_400000_NS6detail44device_merge_sort_compile_time_verifier_archINS1_11comp_targetILNS1_3genE0ELNS1_11target_archE4294967295ELNS1_3gpuE0ELNS1_3repE0EEES8_NS1_28merge_sort_block_sort_configILj256ELj4ELNS0_20block_sort_algorithmE0EEENS0_14default_configENS1_37merge_sort_block_sort_config_selectorIjNS0_10empty_typeEEENS1_38merge_sort_block_merge_config_selectorIjSE_EEEEvv
    .private_segment_fixed_size: 0
    .sgpr_count:     4
    .sgpr_spill_count: 0
    .symbol:         _ZN7rocprim17ROCPRIM_400000_NS6detail44device_merge_sort_compile_time_verifier_archINS1_11comp_targetILNS1_3genE0ELNS1_11target_archE4294967295ELNS1_3gpuE0ELNS1_3repE0EEES8_NS1_28merge_sort_block_sort_configILj256ELj4ELNS0_20block_sort_algorithmE0EEENS0_14default_configENS1_37merge_sort_block_sort_config_selectorIjNS0_10empty_typeEEENS1_38merge_sort_block_merge_config_selectorIjSE_EEEEvv.kd
    .uniform_work_group_size: 1
    .uses_dynamic_stack: false
    .vgpr_count:     0
    .vgpr_spill_count: 0
    .wavefront_size: 64
  - .agpr_count:     0
    .args:           []
    .group_segment_fixed_size: 0
    .kernarg_segment_align: 4
    .kernarg_segment_size: 0
    .language:       OpenCL C
    .language_version:
      - 2
      - 0
    .max_flat_workgroup_size: 1024
    .name:           _ZN7rocprim17ROCPRIM_400000_NS6detail44device_merge_sort_compile_time_verifier_archINS1_11comp_targetILNS1_3genE5ELNS1_11target_archE942ELNS1_3gpuE9ELNS1_3repE0EEES8_NS1_28merge_sort_block_sort_configILj256ELj4ELNS0_20block_sort_algorithmE0EEENS0_14default_configENS1_37merge_sort_block_sort_config_selectorIjNS0_10empty_typeEEENS1_38merge_sort_block_merge_config_selectorIjSE_EEEEvv
    .private_segment_fixed_size: 0
    .sgpr_count:     4
    .sgpr_spill_count: 0
    .symbol:         _ZN7rocprim17ROCPRIM_400000_NS6detail44device_merge_sort_compile_time_verifier_archINS1_11comp_targetILNS1_3genE5ELNS1_11target_archE942ELNS1_3gpuE9ELNS1_3repE0EEES8_NS1_28merge_sort_block_sort_configILj256ELj4ELNS0_20block_sort_algorithmE0EEENS0_14default_configENS1_37merge_sort_block_sort_config_selectorIjNS0_10empty_typeEEENS1_38merge_sort_block_merge_config_selectorIjSE_EEEEvv.kd
    .uniform_work_group_size: 1
    .uses_dynamic_stack: false
    .vgpr_count:     0
    .vgpr_spill_count: 0
    .wavefront_size: 64
  - .agpr_count:     0
    .args:           []
    .group_segment_fixed_size: 0
    .kernarg_segment_align: 4
    .kernarg_segment_size: 0
    .language:       OpenCL C
    .language_version:
      - 2
      - 0
    .max_flat_workgroup_size: 1024
    .name:           _ZN7rocprim17ROCPRIM_400000_NS6detail44device_merge_sort_compile_time_verifier_archINS1_11comp_targetILNS1_3genE4ELNS1_11target_archE910ELNS1_3gpuE8ELNS1_3repE0EEES8_NS1_28merge_sort_block_sort_configILj256ELj4ELNS0_20block_sort_algorithmE0EEENS0_14default_configENS1_37merge_sort_block_sort_config_selectorIjNS0_10empty_typeEEENS1_38merge_sort_block_merge_config_selectorIjSE_EEEEvv
    .private_segment_fixed_size: 0
    .sgpr_count:     4
    .sgpr_spill_count: 0
    .symbol:         _ZN7rocprim17ROCPRIM_400000_NS6detail44device_merge_sort_compile_time_verifier_archINS1_11comp_targetILNS1_3genE4ELNS1_11target_archE910ELNS1_3gpuE8ELNS1_3repE0EEES8_NS1_28merge_sort_block_sort_configILj256ELj4ELNS0_20block_sort_algorithmE0EEENS0_14default_configENS1_37merge_sort_block_sort_config_selectorIjNS0_10empty_typeEEENS1_38merge_sort_block_merge_config_selectorIjSE_EEEEvv.kd
    .uniform_work_group_size: 1
    .uses_dynamic_stack: false
    .vgpr_count:     0
    .vgpr_spill_count: 0
    .wavefront_size: 64
  - .agpr_count:     0
    .args:           []
    .group_segment_fixed_size: 0
    .kernarg_segment_align: 4
    .kernarg_segment_size: 0
    .language:       OpenCL C
    .language_version:
      - 2
      - 0
    .max_flat_workgroup_size: 1024
    .name:           _ZN7rocprim17ROCPRIM_400000_NS6detail44device_merge_sort_compile_time_verifier_archINS1_11comp_targetILNS1_3genE3ELNS1_11target_archE908ELNS1_3gpuE7ELNS1_3repE0EEES8_NS1_28merge_sort_block_sort_configILj256ELj4ELNS0_20block_sort_algorithmE0EEENS0_14default_configENS1_37merge_sort_block_sort_config_selectorIjNS0_10empty_typeEEENS1_38merge_sort_block_merge_config_selectorIjSE_EEEEvv
    .private_segment_fixed_size: 0
    .sgpr_count:     4
    .sgpr_spill_count: 0
    .symbol:         _ZN7rocprim17ROCPRIM_400000_NS6detail44device_merge_sort_compile_time_verifier_archINS1_11comp_targetILNS1_3genE3ELNS1_11target_archE908ELNS1_3gpuE7ELNS1_3repE0EEES8_NS1_28merge_sort_block_sort_configILj256ELj4ELNS0_20block_sort_algorithmE0EEENS0_14default_configENS1_37merge_sort_block_sort_config_selectorIjNS0_10empty_typeEEENS1_38merge_sort_block_merge_config_selectorIjSE_EEEEvv.kd
    .uniform_work_group_size: 1
    .uses_dynamic_stack: false
    .vgpr_count:     0
    .vgpr_spill_count: 0
    .wavefront_size: 64
  - .agpr_count:     0
    .args:           []
    .group_segment_fixed_size: 0
    .kernarg_segment_align: 4
    .kernarg_segment_size: 0
    .language:       OpenCL C
    .language_version:
      - 2
      - 0
    .max_flat_workgroup_size: 1024
    .name:           _ZN7rocprim17ROCPRIM_400000_NS6detail44device_merge_sort_compile_time_verifier_archINS1_11comp_targetILNS1_3genE2ELNS1_11target_archE906ELNS1_3gpuE6ELNS1_3repE0EEES8_NS1_28merge_sort_block_sort_configILj256ELj4ELNS0_20block_sort_algorithmE0EEENS0_14default_configENS1_37merge_sort_block_sort_config_selectorIjNS0_10empty_typeEEENS1_38merge_sort_block_merge_config_selectorIjSE_EEEEvv
    .private_segment_fixed_size: 0
    .sgpr_count:     4
    .sgpr_spill_count: 0
    .symbol:         _ZN7rocprim17ROCPRIM_400000_NS6detail44device_merge_sort_compile_time_verifier_archINS1_11comp_targetILNS1_3genE2ELNS1_11target_archE906ELNS1_3gpuE6ELNS1_3repE0EEES8_NS1_28merge_sort_block_sort_configILj256ELj4ELNS0_20block_sort_algorithmE0EEENS0_14default_configENS1_37merge_sort_block_sort_config_selectorIjNS0_10empty_typeEEENS1_38merge_sort_block_merge_config_selectorIjSE_EEEEvv.kd
    .uniform_work_group_size: 1
    .uses_dynamic_stack: false
    .vgpr_count:     0
    .vgpr_spill_count: 0
    .wavefront_size: 64
  - .agpr_count:     0
    .args:           []
    .group_segment_fixed_size: 0
    .kernarg_segment_align: 4
    .kernarg_segment_size: 0
    .language:       OpenCL C
    .language_version:
      - 2
      - 0
    .max_flat_workgroup_size: 1024
    .name:           _ZN7rocprim17ROCPRIM_400000_NS6detail44device_merge_sort_compile_time_verifier_archINS1_11comp_targetILNS1_3genE10ELNS1_11target_archE1201ELNS1_3gpuE5ELNS1_3repE0EEES8_NS1_28merge_sort_block_sort_configILj256ELj4ELNS0_20block_sort_algorithmE0EEENS0_14default_configENS1_37merge_sort_block_sort_config_selectorIjNS0_10empty_typeEEENS1_38merge_sort_block_merge_config_selectorIjSE_EEEEvv
    .private_segment_fixed_size: 0
    .sgpr_count:     4
    .sgpr_spill_count: 0
    .symbol:         _ZN7rocprim17ROCPRIM_400000_NS6detail44device_merge_sort_compile_time_verifier_archINS1_11comp_targetILNS1_3genE10ELNS1_11target_archE1201ELNS1_3gpuE5ELNS1_3repE0EEES8_NS1_28merge_sort_block_sort_configILj256ELj4ELNS0_20block_sort_algorithmE0EEENS0_14default_configENS1_37merge_sort_block_sort_config_selectorIjNS0_10empty_typeEEENS1_38merge_sort_block_merge_config_selectorIjSE_EEEEvv.kd
    .uniform_work_group_size: 1
    .uses_dynamic_stack: false
    .vgpr_count:     0
    .vgpr_spill_count: 0
    .wavefront_size: 64
  - .agpr_count:     0
    .args:           []
    .group_segment_fixed_size: 0
    .kernarg_segment_align: 4
    .kernarg_segment_size: 0
    .language:       OpenCL C
    .language_version:
      - 2
      - 0
    .max_flat_workgroup_size: 1024
    .name:           _ZN7rocprim17ROCPRIM_400000_NS6detail44device_merge_sort_compile_time_verifier_archINS1_11comp_targetILNS1_3genE10ELNS1_11target_archE1200ELNS1_3gpuE4ELNS1_3repE0EEENS3_ILS4_10ELS5_1201ELS6_5ELS7_0EEENS1_28merge_sort_block_sort_configILj256ELj4ELNS0_20block_sort_algorithmE0EEENS0_14default_configENS1_37merge_sort_block_sort_config_selectorIjNS0_10empty_typeEEENS1_38merge_sort_block_merge_config_selectorIjSF_EEEEvv
    .private_segment_fixed_size: 0
    .sgpr_count:     4
    .sgpr_spill_count: 0
    .symbol:         _ZN7rocprim17ROCPRIM_400000_NS6detail44device_merge_sort_compile_time_verifier_archINS1_11comp_targetILNS1_3genE10ELNS1_11target_archE1200ELNS1_3gpuE4ELNS1_3repE0EEENS3_ILS4_10ELS5_1201ELS6_5ELS7_0EEENS1_28merge_sort_block_sort_configILj256ELj4ELNS0_20block_sort_algorithmE0EEENS0_14default_configENS1_37merge_sort_block_sort_config_selectorIjNS0_10empty_typeEEENS1_38merge_sort_block_merge_config_selectorIjSF_EEEEvv.kd
    .uniform_work_group_size: 1
    .uses_dynamic_stack: false
    .vgpr_count:     0
    .vgpr_spill_count: 0
    .wavefront_size: 64
  - .agpr_count:     0
    .args:           []
    .group_segment_fixed_size: 0
    .kernarg_segment_align: 4
    .kernarg_segment_size: 0
    .language:       OpenCL C
    .language_version:
      - 2
      - 0
    .max_flat_workgroup_size: 1024
    .name:           _ZN7rocprim17ROCPRIM_400000_NS6detail44device_merge_sort_compile_time_verifier_archINS1_11comp_targetILNS1_3genE9ELNS1_11target_archE1100ELNS1_3gpuE3ELNS1_3repE0EEES8_NS1_28merge_sort_block_sort_configILj256ELj4ELNS0_20block_sort_algorithmE0EEENS0_14default_configENS1_37merge_sort_block_sort_config_selectorIjNS0_10empty_typeEEENS1_38merge_sort_block_merge_config_selectorIjSE_EEEEvv
    .private_segment_fixed_size: 0
    .sgpr_count:     4
    .sgpr_spill_count: 0
    .symbol:         _ZN7rocprim17ROCPRIM_400000_NS6detail44device_merge_sort_compile_time_verifier_archINS1_11comp_targetILNS1_3genE9ELNS1_11target_archE1100ELNS1_3gpuE3ELNS1_3repE0EEES8_NS1_28merge_sort_block_sort_configILj256ELj4ELNS0_20block_sort_algorithmE0EEENS0_14default_configENS1_37merge_sort_block_sort_config_selectorIjNS0_10empty_typeEEENS1_38merge_sort_block_merge_config_selectorIjSE_EEEEvv.kd
    .uniform_work_group_size: 1
    .uses_dynamic_stack: false
    .vgpr_count:     0
    .vgpr_spill_count: 0
    .wavefront_size: 64
  - .agpr_count:     0
    .args:           []
    .group_segment_fixed_size: 0
    .kernarg_segment_align: 4
    .kernarg_segment_size: 0
    .language:       OpenCL C
    .language_version:
      - 2
      - 0
    .max_flat_workgroup_size: 1024
    .name:           _ZN7rocprim17ROCPRIM_400000_NS6detail44device_merge_sort_compile_time_verifier_archINS1_11comp_targetILNS1_3genE8ELNS1_11target_archE1030ELNS1_3gpuE2ELNS1_3repE0EEES8_NS1_28merge_sort_block_sort_configILj256ELj4ELNS0_20block_sort_algorithmE0EEENS0_14default_configENS1_37merge_sort_block_sort_config_selectorIjNS0_10empty_typeEEENS1_38merge_sort_block_merge_config_selectorIjSE_EEEEvv
    .private_segment_fixed_size: 0
    .sgpr_count:     4
    .sgpr_spill_count: 0
    .symbol:         _ZN7rocprim17ROCPRIM_400000_NS6detail44device_merge_sort_compile_time_verifier_archINS1_11comp_targetILNS1_3genE8ELNS1_11target_archE1030ELNS1_3gpuE2ELNS1_3repE0EEES8_NS1_28merge_sort_block_sort_configILj256ELj4ELNS0_20block_sort_algorithmE0EEENS0_14default_configENS1_37merge_sort_block_sort_config_selectorIjNS0_10empty_typeEEENS1_38merge_sort_block_merge_config_selectorIjSE_EEEEvv.kd
    .uniform_work_group_size: 1
    .uses_dynamic_stack: false
    .vgpr_count:     0
    .vgpr_spill_count: 0
    .wavefront_size: 64
  - .agpr_count:     0
    .args:
      - .offset:         0
        .size:           40
        .value_kind:     by_value
    .group_segment_fixed_size: 0
    .kernarg_segment_align: 8
    .kernarg_segment_size: 40
    .language:       OpenCL C
    .language_version:
      - 2
      - 0
    .max_flat_workgroup_size: 128
    .name:           _ZN7rocprim17ROCPRIM_400000_NS6detail17trampoline_kernelINS0_14default_configENS1_38merge_sort_block_merge_config_selectorIjNS0_10empty_typeEEEZZNS1_27merge_sort_block_merge_implIS3_N6thrust23THRUST_200600_302600_NS6detail15normal_iteratorINS9_10device_ptrIjEEEEPS5_jNS1_19radix_merge_compareILb0ELb0EjNS0_19identity_decomposerEEEEE10hipError_tT0_T1_T2_jT3_P12ihipStream_tbPNSt15iterator_traitsISK_E10value_typeEPNSQ_ISL_E10value_typeEPSM_NS1_7vsmem_tEENKUlT_SK_SL_SM_E_clIPjSE_SF_SF_EESJ_SZ_SK_SL_SM_EUlSZ_E_NS1_11comp_targetILNS1_3genE0ELNS1_11target_archE4294967295ELNS1_3gpuE0ELNS1_3repE0EEENS1_48merge_mergepath_partition_config_static_selectorELNS0_4arch9wavefront6targetE1EEEvSL_
    .private_segment_fixed_size: 0
    .sgpr_count:     4
    .sgpr_spill_count: 0
    .symbol:         _ZN7rocprim17ROCPRIM_400000_NS6detail17trampoline_kernelINS0_14default_configENS1_38merge_sort_block_merge_config_selectorIjNS0_10empty_typeEEEZZNS1_27merge_sort_block_merge_implIS3_N6thrust23THRUST_200600_302600_NS6detail15normal_iteratorINS9_10device_ptrIjEEEEPS5_jNS1_19radix_merge_compareILb0ELb0EjNS0_19identity_decomposerEEEEE10hipError_tT0_T1_T2_jT3_P12ihipStream_tbPNSt15iterator_traitsISK_E10value_typeEPNSQ_ISL_E10value_typeEPSM_NS1_7vsmem_tEENKUlT_SK_SL_SM_E_clIPjSE_SF_SF_EESJ_SZ_SK_SL_SM_EUlSZ_E_NS1_11comp_targetILNS1_3genE0ELNS1_11target_archE4294967295ELNS1_3gpuE0ELNS1_3repE0EEENS1_48merge_mergepath_partition_config_static_selectorELNS0_4arch9wavefront6targetE1EEEvSL_.kd
    .uniform_work_group_size: 1
    .uses_dynamic_stack: false
    .vgpr_count:     0
    .vgpr_spill_count: 0
    .wavefront_size: 64
  - .agpr_count:     0
    .args:
      - .offset:         0
        .size:           40
        .value_kind:     by_value
    .group_segment_fixed_size: 0
    .kernarg_segment_align: 8
    .kernarg_segment_size: 40
    .language:       OpenCL C
    .language_version:
      - 2
      - 0
    .max_flat_workgroup_size: 128
    .name:           _ZN7rocprim17ROCPRIM_400000_NS6detail17trampoline_kernelINS0_14default_configENS1_38merge_sort_block_merge_config_selectorIjNS0_10empty_typeEEEZZNS1_27merge_sort_block_merge_implIS3_N6thrust23THRUST_200600_302600_NS6detail15normal_iteratorINS9_10device_ptrIjEEEEPS5_jNS1_19radix_merge_compareILb0ELb0EjNS0_19identity_decomposerEEEEE10hipError_tT0_T1_T2_jT3_P12ihipStream_tbPNSt15iterator_traitsISK_E10value_typeEPNSQ_ISL_E10value_typeEPSM_NS1_7vsmem_tEENKUlT_SK_SL_SM_E_clIPjSE_SF_SF_EESJ_SZ_SK_SL_SM_EUlSZ_E_NS1_11comp_targetILNS1_3genE10ELNS1_11target_archE1201ELNS1_3gpuE5ELNS1_3repE0EEENS1_48merge_mergepath_partition_config_static_selectorELNS0_4arch9wavefront6targetE1EEEvSL_
    .private_segment_fixed_size: 0
    .sgpr_count:     4
    .sgpr_spill_count: 0
    .symbol:         _ZN7rocprim17ROCPRIM_400000_NS6detail17trampoline_kernelINS0_14default_configENS1_38merge_sort_block_merge_config_selectorIjNS0_10empty_typeEEEZZNS1_27merge_sort_block_merge_implIS3_N6thrust23THRUST_200600_302600_NS6detail15normal_iteratorINS9_10device_ptrIjEEEEPS5_jNS1_19radix_merge_compareILb0ELb0EjNS0_19identity_decomposerEEEEE10hipError_tT0_T1_T2_jT3_P12ihipStream_tbPNSt15iterator_traitsISK_E10value_typeEPNSQ_ISL_E10value_typeEPSM_NS1_7vsmem_tEENKUlT_SK_SL_SM_E_clIPjSE_SF_SF_EESJ_SZ_SK_SL_SM_EUlSZ_E_NS1_11comp_targetILNS1_3genE10ELNS1_11target_archE1201ELNS1_3gpuE5ELNS1_3repE0EEENS1_48merge_mergepath_partition_config_static_selectorELNS0_4arch9wavefront6targetE1EEEvSL_.kd
    .uniform_work_group_size: 1
    .uses_dynamic_stack: false
    .vgpr_count:     0
    .vgpr_spill_count: 0
    .wavefront_size: 64
  - .agpr_count:     0
    .args:
      - .offset:         0
        .size:           40
        .value_kind:     by_value
    .group_segment_fixed_size: 0
    .kernarg_segment_align: 8
    .kernarg_segment_size: 40
    .language:       OpenCL C
    .language_version:
      - 2
      - 0
    .max_flat_workgroup_size: 128
    .name:           _ZN7rocprim17ROCPRIM_400000_NS6detail17trampoline_kernelINS0_14default_configENS1_38merge_sort_block_merge_config_selectorIjNS0_10empty_typeEEEZZNS1_27merge_sort_block_merge_implIS3_N6thrust23THRUST_200600_302600_NS6detail15normal_iteratorINS9_10device_ptrIjEEEEPS5_jNS1_19radix_merge_compareILb0ELb0EjNS0_19identity_decomposerEEEEE10hipError_tT0_T1_T2_jT3_P12ihipStream_tbPNSt15iterator_traitsISK_E10value_typeEPNSQ_ISL_E10value_typeEPSM_NS1_7vsmem_tEENKUlT_SK_SL_SM_E_clIPjSE_SF_SF_EESJ_SZ_SK_SL_SM_EUlSZ_E_NS1_11comp_targetILNS1_3genE5ELNS1_11target_archE942ELNS1_3gpuE9ELNS1_3repE0EEENS1_48merge_mergepath_partition_config_static_selectorELNS0_4arch9wavefront6targetE1EEEvSL_
    .private_segment_fixed_size: 0
    .sgpr_count:     4
    .sgpr_spill_count: 0
    .symbol:         _ZN7rocprim17ROCPRIM_400000_NS6detail17trampoline_kernelINS0_14default_configENS1_38merge_sort_block_merge_config_selectorIjNS0_10empty_typeEEEZZNS1_27merge_sort_block_merge_implIS3_N6thrust23THRUST_200600_302600_NS6detail15normal_iteratorINS9_10device_ptrIjEEEEPS5_jNS1_19radix_merge_compareILb0ELb0EjNS0_19identity_decomposerEEEEE10hipError_tT0_T1_T2_jT3_P12ihipStream_tbPNSt15iterator_traitsISK_E10value_typeEPNSQ_ISL_E10value_typeEPSM_NS1_7vsmem_tEENKUlT_SK_SL_SM_E_clIPjSE_SF_SF_EESJ_SZ_SK_SL_SM_EUlSZ_E_NS1_11comp_targetILNS1_3genE5ELNS1_11target_archE942ELNS1_3gpuE9ELNS1_3repE0EEENS1_48merge_mergepath_partition_config_static_selectorELNS0_4arch9wavefront6targetE1EEEvSL_.kd
    .uniform_work_group_size: 1
    .uses_dynamic_stack: false
    .vgpr_count:     0
    .vgpr_spill_count: 0
    .wavefront_size: 64
  - .agpr_count:     0
    .args:
      - .offset:         0
        .size:           40
        .value_kind:     by_value
    .group_segment_fixed_size: 0
    .kernarg_segment_align: 8
    .kernarg_segment_size: 40
    .language:       OpenCL C
    .language_version:
      - 2
      - 0
    .max_flat_workgroup_size: 128
    .name:           _ZN7rocprim17ROCPRIM_400000_NS6detail17trampoline_kernelINS0_14default_configENS1_38merge_sort_block_merge_config_selectorIjNS0_10empty_typeEEEZZNS1_27merge_sort_block_merge_implIS3_N6thrust23THRUST_200600_302600_NS6detail15normal_iteratorINS9_10device_ptrIjEEEEPS5_jNS1_19radix_merge_compareILb0ELb0EjNS0_19identity_decomposerEEEEE10hipError_tT0_T1_T2_jT3_P12ihipStream_tbPNSt15iterator_traitsISK_E10value_typeEPNSQ_ISL_E10value_typeEPSM_NS1_7vsmem_tEENKUlT_SK_SL_SM_E_clIPjSE_SF_SF_EESJ_SZ_SK_SL_SM_EUlSZ_E_NS1_11comp_targetILNS1_3genE4ELNS1_11target_archE910ELNS1_3gpuE8ELNS1_3repE0EEENS1_48merge_mergepath_partition_config_static_selectorELNS0_4arch9wavefront6targetE1EEEvSL_
    .private_segment_fixed_size: 0
    .sgpr_count:     12
    .sgpr_spill_count: 0
    .symbol:         _ZN7rocprim17ROCPRIM_400000_NS6detail17trampoline_kernelINS0_14default_configENS1_38merge_sort_block_merge_config_selectorIjNS0_10empty_typeEEEZZNS1_27merge_sort_block_merge_implIS3_N6thrust23THRUST_200600_302600_NS6detail15normal_iteratorINS9_10device_ptrIjEEEEPS5_jNS1_19radix_merge_compareILb0ELb0EjNS0_19identity_decomposerEEEEE10hipError_tT0_T1_T2_jT3_P12ihipStream_tbPNSt15iterator_traitsISK_E10value_typeEPNSQ_ISL_E10value_typeEPSM_NS1_7vsmem_tEENKUlT_SK_SL_SM_E_clIPjSE_SF_SF_EESJ_SZ_SK_SL_SM_EUlSZ_E_NS1_11comp_targetILNS1_3genE4ELNS1_11target_archE910ELNS1_3gpuE8ELNS1_3repE0EEENS1_48merge_mergepath_partition_config_static_selectorELNS0_4arch9wavefront6targetE1EEEvSL_.kd
    .uniform_work_group_size: 1
    .uses_dynamic_stack: false
    .vgpr_count:     17
    .vgpr_spill_count: 0
    .wavefront_size: 64
  - .agpr_count:     0
    .args:
      - .offset:         0
        .size:           40
        .value_kind:     by_value
    .group_segment_fixed_size: 0
    .kernarg_segment_align: 8
    .kernarg_segment_size: 40
    .language:       OpenCL C
    .language_version:
      - 2
      - 0
    .max_flat_workgroup_size: 128
    .name:           _ZN7rocprim17ROCPRIM_400000_NS6detail17trampoline_kernelINS0_14default_configENS1_38merge_sort_block_merge_config_selectorIjNS0_10empty_typeEEEZZNS1_27merge_sort_block_merge_implIS3_N6thrust23THRUST_200600_302600_NS6detail15normal_iteratorINS9_10device_ptrIjEEEEPS5_jNS1_19radix_merge_compareILb0ELb0EjNS0_19identity_decomposerEEEEE10hipError_tT0_T1_T2_jT3_P12ihipStream_tbPNSt15iterator_traitsISK_E10value_typeEPNSQ_ISL_E10value_typeEPSM_NS1_7vsmem_tEENKUlT_SK_SL_SM_E_clIPjSE_SF_SF_EESJ_SZ_SK_SL_SM_EUlSZ_E_NS1_11comp_targetILNS1_3genE3ELNS1_11target_archE908ELNS1_3gpuE7ELNS1_3repE0EEENS1_48merge_mergepath_partition_config_static_selectorELNS0_4arch9wavefront6targetE1EEEvSL_
    .private_segment_fixed_size: 0
    .sgpr_count:     4
    .sgpr_spill_count: 0
    .symbol:         _ZN7rocprim17ROCPRIM_400000_NS6detail17trampoline_kernelINS0_14default_configENS1_38merge_sort_block_merge_config_selectorIjNS0_10empty_typeEEEZZNS1_27merge_sort_block_merge_implIS3_N6thrust23THRUST_200600_302600_NS6detail15normal_iteratorINS9_10device_ptrIjEEEEPS5_jNS1_19radix_merge_compareILb0ELb0EjNS0_19identity_decomposerEEEEE10hipError_tT0_T1_T2_jT3_P12ihipStream_tbPNSt15iterator_traitsISK_E10value_typeEPNSQ_ISL_E10value_typeEPSM_NS1_7vsmem_tEENKUlT_SK_SL_SM_E_clIPjSE_SF_SF_EESJ_SZ_SK_SL_SM_EUlSZ_E_NS1_11comp_targetILNS1_3genE3ELNS1_11target_archE908ELNS1_3gpuE7ELNS1_3repE0EEENS1_48merge_mergepath_partition_config_static_selectorELNS0_4arch9wavefront6targetE1EEEvSL_.kd
    .uniform_work_group_size: 1
    .uses_dynamic_stack: false
    .vgpr_count:     0
    .vgpr_spill_count: 0
    .wavefront_size: 64
  - .agpr_count:     0
    .args:
      - .offset:         0
        .size:           40
        .value_kind:     by_value
    .group_segment_fixed_size: 0
    .kernarg_segment_align: 8
    .kernarg_segment_size: 40
    .language:       OpenCL C
    .language_version:
      - 2
      - 0
    .max_flat_workgroup_size: 128
    .name:           _ZN7rocprim17ROCPRIM_400000_NS6detail17trampoline_kernelINS0_14default_configENS1_38merge_sort_block_merge_config_selectorIjNS0_10empty_typeEEEZZNS1_27merge_sort_block_merge_implIS3_N6thrust23THRUST_200600_302600_NS6detail15normal_iteratorINS9_10device_ptrIjEEEEPS5_jNS1_19radix_merge_compareILb0ELb0EjNS0_19identity_decomposerEEEEE10hipError_tT0_T1_T2_jT3_P12ihipStream_tbPNSt15iterator_traitsISK_E10value_typeEPNSQ_ISL_E10value_typeEPSM_NS1_7vsmem_tEENKUlT_SK_SL_SM_E_clIPjSE_SF_SF_EESJ_SZ_SK_SL_SM_EUlSZ_E_NS1_11comp_targetILNS1_3genE2ELNS1_11target_archE906ELNS1_3gpuE6ELNS1_3repE0EEENS1_48merge_mergepath_partition_config_static_selectorELNS0_4arch9wavefront6targetE1EEEvSL_
    .private_segment_fixed_size: 0
    .sgpr_count:     4
    .sgpr_spill_count: 0
    .symbol:         _ZN7rocprim17ROCPRIM_400000_NS6detail17trampoline_kernelINS0_14default_configENS1_38merge_sort_block_merge_config_selectorIjNS0_10empty_typeEEEZZNS1_27merge_sort_block_merge_implIS3_N6thrust23THRUST_200600_302600_NS6detail15normal_iteratorINS9_10device_ptrIjEEEEPS5_jNS1_19radix_merge_compareILb0ELb0EjNS0_19identity_decomposerEEEEE10hipError_tT0_T1_T2_jT3_P12ihipStream_tbPNSt15iterator_traitsISK_E10value_typeEPNSQ_ISL_E10value_typeEPSM_NS1_7vsmem_tEENKUlT_SK_SL_SM_E_clIPjSE_SF_SF_EESJ_SZ_SK_SL_SM_EUlSZ_E_NS1_11comp_targetILNS1_3genE2ELNS1_11target_archE906ELNS1_3gpuE6ELNS1_3repE0EEENS1_48merge_mergepath_partition_config_static_selectorELNS0_4arch9wavefront6targetE1EEEvSL_.kd
    .uniform_work_group_size: 1
    .uses_dynamic_stack: false
    .vgpr_count:     0
    .vgpr_spill_count: 0
    .wavefront_size: 64
  - .agpr_count:     0
    .args:
      - .offset:         0
        .size:           40
        .value_kind:     by_value
    .group_segment_fixed_size: 0
    .kernarg_segment_align: 8
    .kernarg_segment_size: 40
    .language:       OpenCL C
    .language_version:
      - 2
      - 0
    .max_flat_workgroup_size: 128
    .name:           _ZN7rocprim17ROCPRIM_400000_NS6detail17trampoline_kernelINS0_14default_configENS1_38merge_sort_block_merge_config_selectorIjNS0_10empty_typeEEEZZNS1_27merge_sort_block_merge_implIS3_N6thrust23THRUST_200600_302600_NS6detail15normal_iteratorINS9_10device_ptrIjEEEEPS5_jNS1_19radix_merge_compareILb0ELb0EjNS0_19identity_decomposerEEEEE10hipError_tT0_T1_T2_jT3_P12ihipStream_tbPNSt15iterator_traitsISK_E10value_typeEPNSQ_ISL_E10value_typeEPSM_NS1_7vsmem_tEENKUlT_SK_SL_SM_E_clIPjSE_SF_SF_EESJ_SZ_SK_SL_SM_EUlSZ_E_NS1_11comp_targetILNS1_3genE9ELNS1_11target_archE1100ELNS1_3gpuE3ELNS1_3repE0EEENS1_48merge_mergepath_partition_config_static_selectorELNS0_4arch9wavefront6targetE1EEEvSL_
    .private_segment_fixed_size: 0
    .sgpr_count:     4
    .sgpr_spill_count: 0
    .symbol:         _ZN7rocprim17ROCPRIM_400000_NS6detail17trampoline_kernelINS0_14default_configENS1_38merge_sort_block_merge_config_selectorIjNS0_10empty_typeEEEZZNS1_27merge_sort_block_merge_implIS3_N6thrust23THRUST_200600_302600_NS6detail15normal_iteratorINS9_10device_ptrIjEEEEPS5_jNS1_19radix_merge_compareILb0ELb0EjNS0_19identity_decomposerEEEEE10hipError_tT0_T1_T2_jT3_P12ihipStream_tbPNSt15iterator_traitsISK_E10value_typeEPNSQ_ISL_E10value_typeEPSM_NS1_7vsmem_tEENKUlT_SK_SL_SM_E_clIPjSE_SF_SF_EESJ_SZ_SK_SL_SM_EUlSZ_E_NS1_11comp_targetILNS1_3genE9ELNS1_11target_archE1100ELNS1_3gpuE3ELNS1_3repE0EEENS1_48merge_mergepath_partition_config_static_selectorELNS0_4arch9wavefront6targetE1EEEvSL_.kd
    .uniform_work_group_size: 1
    .uses_dynamic_stack: false
    .vgpr_count:     0
    .vgpr_spill_count: 0
    .wavefront_size: 64
  - .agpr_count:     0
    .args:
      - .offset:         0
        .size:           40
        .value_kind:     by_value
    .group_segment_fixed_size: 0
    .kernarg_segment_align: 8
    .kernarg_segment_size: 40
    .language:       OpenCL C
    .language_version:
      - 2
      - 0
    .max_flat_workgroup_size: 128
    .name:           _ZN7rocprim17ROCPRIM_400000_NS6detail17trampoline_kernelINS0_14default_configENS1_38merge_sort_block_merge_config_selectorIjNS0_10empty_typeEEEZZNS1_27merge_sort_block_merge_implIS3_N6thrust23THRUST_200600_302600_NS6detail15normal_iteratorINS9_10device_ptrIjEEEEPS5_jNS1_19radix_merge_compareILb0ELb0EjNS0_19identity_decomposerEEEEE10hipError_tT0_T1_T2_jT3_P12ihipStream_tbPNSt15iterator_traitsISK_E10value_typeEPNSQ_ISL_E10value_typeEPSM_NS1_7vsmem_tEENKUlT_SK_SL_SM_E_clIPjSE_SF_SF_EESJ_SZ_SK_SL_SM_EUlSZ_E_NS1_11comp_targetILNS1_3genE8ELNS1_11target_archE1030ELNS1_3gpuE2ELNS1_3repE0EEENS1_48merge_mergepath_partition_config_static_selectorELNS0_4arch9wavefront6targetE1EEEvSL_
    .private_segment_fixed_size: 0
    .sgpr_count:     4
    .sgpr_spill_count: 0
    .symbol:         _ZN7rocprim17ROCPRIM_400000_NS6detail17trampoline_kernelINS0_14default_configENS1_38merge_sort_block_merge_config_selectorIjNS0_10empty_typeEEEZZNS1_27merge_sort_block_merge_implIS3_N6thrust23THRUST_200600_302600_NS6detail15normal_iteratorINS9_10device_ptrIjEEEEPS5_jNS1_19radix_merge_compareILb0ELb0EjNS0_19identity_decomposerEEEEE10hipError_tT0_T1_T2_jT3_P12ihipStream_tbPNSt15iterator_traitsISK_E10value_typeEPNSQ_ISL_E10value_typeEPSM_NS1_7vsmem_tEENKUlT_SK_SL_SM_E_clIPjSE_SF_SF_EESJ_SZ_SK_SL_SM_EUlSZ_E_NS1_11comp_targetILNS1_3genE8ELNS1_11target_archE1030ELNS1_3gpuE2ELNS1_3repE0EEENS1_48merge_mergepath_partition_config_static_selectorELNS0_4arch9wavefront6targetE1EEEvSL_.kd
    .uniform_work_group_size: 1
    .uses_dynamic_stack: false
    .vgpr_count:     0
    .vgpr_spill_count: 0
    .wavefront_size: 64
  - .agpr_count:     0
    .args:
      - .offset:         0
        .size:           64
        .value_kind:     by_value
    .group_segment_fixed_size: 0
    .kernarg_segment_align: 8
    .kernarg_segment_size: 64
    .language:       OpenCL C
    .language_version:
      - 2
      - 0
    .max_flat_workgroup_size: 128
    .name:           _ZN7rocprim17ROCPRIM_400000_NS6detail17trampoline_kernelINS0_14default_configENS1_38merge_sort_block_merge_config_selectorIjNS0_10empty_typeEEEZZNS1_27merge_sort_block_merge_implIS3_N6thrust23THRUST_200600_302600_NS6detail15normal_iteratorINS9_10device_ptrIjEEEEPS5_jNS1_19radix_merge_compareILb0ELb0EjNS0_19identity_decomposerEEEEE10hipError_tT0_T1_T2_jT3_P12ihipStream_tbPNSt15iterator_traitsISK_E10value_typeEPNSQ_ISL_E10value_typeEPSM_NS1_7vsmem_tEENKUlT_SK_SL_SM_E_clIPjSE_SF_SF_EESJ_SZ_SK_SL_SM_EUlSZ_E0_NS1_11comp_targetILNS1_3genE0ELNS1_11target_archE4294967295ELNS1_3gpuE0ELNS1_3repE0EEENS1_38merge_mergepath_config_static_selectorELNS0_4arch9wavefront6targetE1EEEvSL_
    .private_segment_fixed_size: 0
    .sgpr_count:     4
    .sgpr_spill_count: 0
    .symbol:         _ZN7rocprim17ROCPRIM_400000_NS6detail17trampoline_kernelINS0_14default_configENS1_38merge_sort_block_merge_config_selectorIjNS0_10empty_typeEEEZZNS1_27merge_sort_block_merge_implIS3_N6thrust23THRUST_200600_302600_NS6detail15normal_iteratorINS9_10device_ptrIjEEEEPS5_jNS1_19radix_merge_compareILb0ELb0EjNS0_19identity_decomposerEEEEE10hipError_tT0_T1_T2_jT3_P12ihipStream_tbPNSt15iterator_traitsISK_E10value_typeEPNSQ_ISL_E10value_typeEPSM_NS1_7vsmem_tEENKUlT_SK_SL_SM_E_clIPjSE_SF_SF_EESJ_SZ_SK_SL_SM_EUlSZ_E0_NS1_11comp_targetILNS1_3genE0ELNS1_11target_archE4294967295ELNS1_3gpuE0ELNS1_3repE0EEENS1_38merge_mergepath_config_static_selectorELNS0_4arch9wavefront6targetE1EEEvSL_.kd
    .uniform_work_group_size: 1
    .uses_dynamic_stack: false
    .vgpr_count:     0
    .vgpr_spill_count: 0
    .wavefront_size: 64
  - .agpr_count:     0
    .args:
      - .offset:         0
        .size:           64
        .value_kind:     by_value
    .group_segment_fixed_size: 0
    .kernarg_segment_align: 8
    .kernarg_segment_size: 64
    .language:       OpenCL C
    .language_version:
      - 2
      - 0
    .max_flat_workgroup_size: 256
    .name:           _ZN7rocprim17ROCPRIM_400000_NS6detail17trampoline_kernelINS0_14default_configENS1_38merge_sort_block_merge_config_selectorIjNS0_10empty_typeEEEZZNS1_27merge_sort_block_merge_implIS3_N6thrust23THRUST_200600_302600_NS6detail15normal_iteratorINS9_10device_ptrIjEEEEPS5_jNS1_19radix_merge_compareILb0ELb0EjNS0_19identity_decomposerEEEEE10hipError_tT0_T1_T2_jT3_P12ihipStream_tbPNSt15iterator_traitsISK_E10value_typeEPNSQ_ISL_E10value_typeEPSM_NS1_7vsmem_tEENKUlT_SK_SL_SM_E_clIPjSE_SF_SF_EESJ_SZ_SK_SL_SM_EUlSZ_E0_NS1_11comp_targetILNS1_3genE10ELNS1_11target_archE1201ELNS1_3gpuE5ELNS1_3repE0EEENS1_38merge_mergepath_config_static_selectorELNS0_4arch9wavefront6targetE1EEEvSL_
    .private_segment_fixed_size: 0
    .sgpr_count:     4
    .sgpr_spill_count: 0
    .symbol:         _ZN7rocprim17ROCPRIM_400000_NS6detail17trampoline_kernelINS0_14default_configENS1_38merge_sort_block_merge_config_selectorIjNS0_10empty_typeEEEZZNS1_27merge_sort_block_merge_implIS3_N6thrust23THRUST_200600_302600_NS6detail15normal_iteratorINS9_10device_ptrIjEEEEPS5_jNS1_19radix_merge_compareILb0ELb0EjNS0_19identity_decomposerEEEEE10hipError_tT0_T1_T2_jT3_P12ihipStream_tbPNSt15iterator_traitsISK_E10value_typeEPNSQ_ISL_E10value_typeEPSM_NS1_7vsmem_tEENKUlT_SK_SL_SM_E_clIPjSE_SF_SF_EESJ_SZ_SK_SL_SM_EUlSZ_E0_NS1_11comp_targetILNS1_3genE10ELNS1_11target_archE1201ELNS1_3gpuE5ELNS1_3repE0EEENS1_38merge_mergepath_config_static_selectorELNS0_4arch9wavefront6targetE1EEEvSL_.kd
    .uniform_work_group_size: 1
    .uses_dynamic_stack: false
    .vgpr_count:     0
    .vgpr_spill_count: 0
    .wavefront_size: 64
  - .agpr_count:     0
    .args:
      - .offset:         0
        .size:           64
        .value_kind:     by_value
    .group_segment_fixed_size: 0
    .kernarg_segment_align: 8
    .kernarg_segment_size: 64
    .language:       OpenCL C
    .language_version:
      - 2
      - 0
    .max_flat_workgroup_size: 128
    .name:           _ZN7rocprim17ROCPRIM_400000_NS6detail17trampoline_kernelINS0_14default_configENS1_38merge_sort_block_merge_config_selectorIjNS0_10empty_typeEEEZZNS1_27merge_sort_block_merge_implIS3_N6thrust23THRUST_200600_302600_NS6detail15normal_iteratorINS9_10device_ptrIjEEEEPS5_jNS1_19radix_merge_compareILb0ELb0EjNS0_19identity_decomposerEEEEE10hipError_tT0_T1_T2_jT3_P12ihipStream_tbPNSt15iterator_traitsISK_E10value_typeEPNSQ_ISL_E10value_typeEPSM_NS1_7vsmem_tEENKUlT_SK_SL_SM_E_clIPjSE_SF_SF_EESJ_SZ_SK_SL_SM_EUlSZ_E0_NS1_11comp_targetILNS1_3genE5ELNS1_11target_archE942ELNS1_3gpuE9ELNS1_3repE0EEENS1_38merge_mergepath_config_static_selectorELNS0_4arch9wavefront6targetE1EEEvSL_
    .private_segment_fixed_size: 0
    .sgpr_count:     4
    .sgpr_spill_count: 0
    .symbol:         _ZN7rocprim17ROCPRIM_400000_NS6detail17trampoline_kernelINS0_14default_configENS1_38merge_sort_block_merge_config_selectorIjNS0_10empty_typeEEEZZNS1_27merge_sort_block_merge_implIS3_N6thrust23THRUST_200600_302600_NS6detail15normal_iteratorINS9_10device_ptrIjEEEEPS5_jNS1_19radix_merge_compareILb0ELb0EjNS0_19identity_decomposerEEEEE10hipError_tT0_T1_T2_jT3_P12ihipStream_tbPNSt15iterator_traitsISK_E10value_typeEPNSQ_ISL_E10value_typeEPSM_NS1_7vsmem_tEENKUlT_SK_SL_SM_E_clIPjSE_SF_SF_EESJ_SZ_SK_SL_SM_EUlSZ_E0_NS1_11comp_targetILNS1_3genE5ELNS1_11target_archE942ELNS1_3gpuE9ELNS1_3repE0EEENS1_38merge_mergepath_config_static_selectorELNS0_4arch9wavefront6targetE1EEEvSL_.kd
    .uniform_work_group_size: 1
    .uses_dynamic_stack: false
    .vgpr_count:     0
    .vgpr_spill_count: 0
    .wavefront_size: 64
  - .agpr_count:     0
    .args:
      - .offset:         0
        .size:           64
        .value_kind:     by_value
      - .offset:         64
        .size:           4
        .value_kind:     hidden_block_count_x
      - .offset:         68
        .size:           4
        .value_kind:     hidden_block_count_y
      - .offset:         72
        .size:           4
        .value_kind:     hidden_block_count_z
      - .offset:         76
        .size:           2
        .value_kind:     hidden_group_size_x
      - .offset:         78
        .size:           2
        .value_kind:     hidden_group_size_y
      - .offset:         80
        .size:           2
        .value_kind:     hidden_group_size_z
      - .offset:         82
        .size:           2
        .value_kind:     hidden_remainder_x
      - .offset:         84
        .size:           2
        .value_kind:     hidden_remainder_y
      - .offset:         86
        .size:           2
        .value_kind:     hidden_remainder_z
      - .offset:         104
        .size:           8
        .value_kind:     hidden_global_offset_x
      - .offset:         112
        .size:           8
        .value_kind:     hidden_global_offset_y
      - .offset:         120
        .size:           8
        .value_kind:     hidden_global_offset_z
      - .offset:         128
        .size:           2
        .value_kind:     hidden_grid_dims
    .group_segment_fixed_size: 4224
    .kernarg_segment_align: 8
    .kernarg_segment_size: 320
    .language:       OpenCL C
    .language_version:
      - 2
      - 0
    .max_flat_workgroup_size: 128
    .name:           _ZN7rocprim17ROCPRIM_400000_NS6detail17trampoline_kernelINS0_14default_configENS1_38merge_sort_block_merge_config_selectorIjNS0_10empty_typeEEEZZNS1_27merge_sort_block_merge_implIS3_N6thrust23THRUST_200600_302600_NS6detail15normal_iteratorINS9_10device_ptrIjEEEEPS5_jNS1_19radix_merge_compareILb0ELb0EjNS0_19identity_decomposerEEEEE10hipError_tT0_T1_T2_jT3_P12ihipStream_tbPNSt15iterator_traitsISK_E10value_typeEPNSQ_ISL_E10value_typeEPSM_NS1_7vsmem_tEENKUlT_SK_SL_SM_E_clIPjSE_SF_SF_EESJ_SZ_SK_SL_SM_EUlSZ_E0_NS1_11comp_targetILNS1_3genE4ELNS1_11target_archE910ELNS1_3gpuE8ELNS1_3repE0EEENS1_38merge_mergepath_config_static_selectorELNS0_4arch9wavefront6targetE1EEEvSL_
    .private_segment_fixed_size: 0
    .sgpr_count:     28
    .sgpr_spill_count: 0
    .symbol:         _ZN7rocprim17ROCPRIM_400000_NS6detail17trampoline_kernelINS0_14default_configENS1_38merge_sort_block_merge_config_selectorIjNS0_10empty_typeEEEZZNS1_27merge_sort_block_merge_implIS3_N6thrust23THRUST_200600_302600_NS6detail15normal_iteratorINS9_10device_ptrIjEEEEPS5_jNS1_19radix_merge_compareILb0ELb0EjNS0_19identity_decomposerEEEEE10hipError_tT0_T1_T2_jT3_P12ihipStream_tbPNSt15iterator_traitsISK_E10value_typeEPNSQ_ISL_E10value_typeEPSM_NS1_7vsmem_tEENKUlT_SK_SL_SM_E_clIPjSE_SF_SF_EESJ_SZ_SK_SL_SM_EUlSZ_E0_NS1_11comp_targetILNS1_3genE4ELNS1_11target_archE910ELNS1_3gpuE8ELNS1_3repE0EEENS1_38merge_mergepath_config_static_selectorELNS0_4arch9wavefront6targetE1EEEvSL_.kd
    .uniform_work_group_size: 1
    .uses_dynamic_stack: false
    .vgpr_count:     26
    .vgpr_spill_count: 0
    .wavefront_size: 64
  - .agpr_count:     0
    .args:
      - .offset:         0
        .size:           64
        .value_kind:     by_value
    .group_segment_fixed_size: 0
    .kernarg_segment_align: 8
    .kernarg_segment_size: 64
    .language:       OpenCL C
    .language_version:
      - 2
      - 0
    .max_flat_workgroup_size: 128
    .name:           _ZN7rocprim17ROCPRIM_400000_NS6detail17trampoline_kernelINS0_14default_configENS1_38merge_sort_block_merge_config_selectorIjNS0_10empty_typeEEEZZNS1_27merge_sort_block_merge_implIS3_N6thrust23THRUST_200600_302600_NS6detail15normal_iteratorINS9_10device_ptrIjEEEEPS5_jNS1_19radix_merge_compareILb0ELb0EjNS0_19identity_decomposerEEEEE10hipError_tT0_T1_T2_jT3_P12ihipStream_tbPNSt15iterator_traitsISK_E10value_typeEPNSQ_ISL_E10value_typeEPSM_NS1_7vsmem_tEENKUlT_SK_SL_SM_E_clIPjSE_SF_SF_EESJ_SZ_SK_SL_SM_EUlSZ_E0_NS1_11comp_targetILNS1_3genE3ELNS1_11target_archE908ELNS1_3gpuE7ELNS1_3repE0EEENS1_38merge_mergepath_config_static_selectorELNS0_4arch9wavefront6targetE1EEEvSL_
    .private_segment_fixed_size: 0
    .sgpr_count:     4
    .sgpr_spill_count: 0
    .symbol:         _ZN7rocprim17ROCPRIM_400000_NS6detail17trampoline_kernelINS0_14default_configENS1_38merge_sort_block_merge_config_selectorIjNS0_10empty_typeEEEZZNS1_27merge_sort_block_merge_implIS3_N6thrust23THRUST_200600_302600_NS6detail15normal_iteratorINS9_10device_ptrIjEEEEPS5_jNS1_19radix_merge_compareILb0ELb0EjNS0_19identity_decomposerEEEEE10hipError_tT0_T1_T2_jT3_P12ihipStream_tbPNSt15iterator_traitsISK_E10value_typeEPNSQ_ISL_E10value_typeEPSM_NS1_7vsmem_tEENKUlT_SK_SL_SM_E_clIPjSE_SF_SF_EESJ_SZ_SK_SL_SM_EUlSZ_E0_NS1_11comp_targetILNS1_3genE3ELNS1_11target_archE908ELNS1_3gpuE7ELNS1_3repE0EEENS1_38merge_mergepath_config_static_selectorELNS0_4arch9wavefront6targetE1EEEvSL_.kd
    .uniform_work_group_size: 1
    .uses_dynamic_stack: false
    .vgpr_count:     0
    .vgpr_spill_count: 0
    .wavefront_size: 64
  - .agpr_count:     0
    .args:
      - .offset:         0
        .size:           64
        .value_kind:     by_value
    .group_segment_fixed_size: 0
    .kernarg_segment_align: 8
    .kernarg_segment_size: 64
    .language:       OpenCL C
    .language_version:
      - 2
      - 0
    .max_flat_workgroup_size: 128
    .name:           _ZN7rocprim17ROCPRIM_400000_NS6detail17trampoline_kernelINS0_14default_configENS1_38merge_sort_block_merge_config_selectorIjNS0_10empty_typeEEEZZNS1_27merge_sort_block_merge_implIS3_N6thrust23THRUST_200600_302600_NS6detail15normal_iteratorINS9_10device_ptrIjEEEEPS5_jNS1_19radix_merge_compareILb0ELb0EjNS0_19identity_decomposerEEEEE10hipError_tT0_T1_T2_jT3_P12ihipStream_tbPNSt15iterator_traitsISK_E10value_typeEPNSQ_ISL_E10value_typeEPSM_NS1_7vsmem_tEENKUlT_SK_SL_SM_E_clIPjSE_SF_SF_EESJ_SZ_SK_SL_SM_EUlSZ_E0_NS1_11comp_targetILNS1_3genE2ELNS1_11target_archE906ELNS1_3gpuE6ELNS1_3repE0EEENS1_38merge_mergepath_config_static_selectorELNS0_4arch9wavefront6targetE1EEEvSL_
    .private_segment_fixed_size: 0
    .sgpr_count:     4
    .sgpr_spill_count: 0
    .symbol:         _ZN7rocprim17ROCPRIM_400000_NS6detail17trampoline_kernelINS0_14default_configENS1_38merge_sort_block_merge_config_selectorIjNS0_10empty_typeEEEZZNS1_27merge_sort_block_merge_implIS3_N6thrust23THRUST_200600_302600_NS6detail15normal_iteratorINS9_10device_ptrIjEEEEPS5_jNS1_19radix_merge_compareILb0ELb0EjNS0_19identity_decomposerEEEEE10hipError_tT0_T1_T2_jT3_P12ihipStream_tbPNSt15iterator_traitsISK_E10value_typeEPNSQ_ISL_E10value_typeEPSM_NS1_7vsmem_tEENKUlT_SK_SL_SM_E_clIPjSE_SF_SF_EESJ_SZ_SK_SL_SM_EUlSZ_E0_NS1_11comp_targetILNS1_3genE2ELNS1_11target_archE906ELNS1_3gpuE6ELNS1_3repE0EEENS1_38merge_mergepath_config_static_selectorELNS0_4arch9wavefront6targetE1EEEvSL_.kd
    .uniform_work_group_size: 1
    .uses_dynamic_stack: false
    .vgpr_count:     0
    .vgpr_spill_count: 0
    .wavefront_size: 64
  - .agpr_count:     0
    .args:
      - .offset:         0
        .size:           64
        .value_kind:     by_value
    .group_segment_fixed_size: 0
    .kernarg_segment_align: 8
    .kernarg_segment_size: 64
    .language:       OpenCL C
    .language_version:
      - 2
      - 0
    .max_flat_workgroup_size: 256
    .name:           _ZN7rocprim17ROCPRIM_400000_NS6detail17trampoline_kernelINS0_14default_configENS1_38merge_sort_block_merge_config_selectorIjNS0_10empty_typeEEEZZNS1_27merge_sort_block_merge_implIS3_N6thrust23THRUST_200600_302600_NS6detail15normal_iteratorINS9_10device_ptrIjEEEEPS5_jNS1_19radix_merge_compareILb0ELb0EjNS0_19identity_decomposerEEEEE10hipError_tT0_T1_T2_jT3_P12ihipStream_tbPNSt15iterator_traitsISK_E10value_typeEPNSQ_ISL_E10value_typeEPSM_NS1_7vsmem_tEENKUlT_SK_SL_SM_E_clIPjSE_SF_SF_EESJ_SZ_SK_SL_SM_EUlSZ_E0_NS1_11comp_targetILNS1_3genE9ELNS1_11target_archE1100ELNS1_3gpuE3ELNS1_3repE0EEENS1_38merge_mergepath_config_static_selectorELNS0_4arch9wavefront6targetE1EEEvSL_
    .private_segment_fixed_size: 0
    .sgpr_count:     4
    .sgpr_spill_count: 0
    .symbol:         _ZN7rocprim17ROCPRIM_400000_NS6detail17trampoline_kernelINS0_14default_configENS1_38merge_sort_block_merge_config_selectorIjNS0_10empty_typeEEEZZNS1_27merge_sort_block_merge_implIS3_N6thrust23THRUST_200600_302600_NS6detail15normal_iteratorINS9_10device_ptrIjEEEEPS5_jNS1_19radix_merge_compareILb0ELb0EjNS0_19identity_decomposerEEEEE10hipError_tT0_T1_T2_jT3_P12ihipStream_tbPNSt15iterator_traitsISK_E10value_typeEPNSQ_ISL_E10value_typeEPSM_NS1_7vsmem_tEENKUlT_SK_SL_SM_E_clIPjSE_SF_SF_EESJ_SZ_SK_SL_SM_EUlSZ_E0_NS1_11comp_targetILNS1_3genE9ELNS1_11target_archE1100ELNS1_3gpuE3ELNS1_3repE0EEENS1_38merge_mergepath_config_static_selectorELNS0_4arch9wavefront6targetE1EEEvSL_.kd
    .uniform_work_group_size: 1
    .uses_dynamic_stack: false
    .vgpr_count:     0
    .vgpr_spill_count: 0
    .wavefront_size: 64
  - .agpr_count:     0
    .args:
      - .offset:         0
        .size:           64
        .value_kind:     by_value
    .group_segment_fixed_size: 0
    .kernarg_segment_align: 8
    .kernarg_segment_size: 64
    .language:       OpenCL C
    .language_version:
      - 2
      - 0
    .max_flat_workgroup_size: 512
    .name:           _ZN7rocprim17ROCPRIM_400000_NS6detail17trampoline_kernelINS0_14default_configENS1_38merge_sort_block_merge_config_selectorIjNS0_10empty_typeEEEZZNS1_27merge_sort_block_merge_implIS3_N6thrust23THRUST_200600_302600_NS6detail15normal_iteratorINS9_10device_ptrIjEEEEPS5_jNS1_19radix_merge_compareILb0ELb0EjNS0_19identity_decomposerEEEEE10hipError_tT0_T1_T2_jT3_P12ihipStream_tbPNSt15iterator_traitsISK_E10value_typeEPNSQ_ISL_E10value_typeEPSM_NS1_7vsmem_tEENKUlT_SK_SL_SM_E_clIPjSE_SF_SF_EESJ_SZ_SK_SL_SM_EUlSZ_E0_NS1_11comp_targetILNS1_3genE8ELNS1_11target_archE1030ELNS1_3gpuE2ELNS1_3repE0EEENS1_38merge_mergepath_config_static_selectorELNS0_4arch9wavefront6targetE1EEEvSL_
    .private_segment_fixed_size: 0
    .sgpr_count:     4
    .sgpr_spill_count: 0
    .symbol:         _ZN7rocprim17ROCPRIM_400000_NS6detail17trampoline_kernelINS0_14default_configENS1_38merge_sort_block_merge_config_selectorIjNS0_10empty_typeEEEZZNS1_27merge_sort_block_merge_implIS3_N6thrust23THRUST_200600_302600_NS6detail15normal_iteratorINS9_10device_ptrIjEEEEPS5_jNS1_19radix_merge_compareILb0ELb0EjNS0_19identity_decomposerEEEEE10hipError_tT0_T1_T2_jT3_P12ihipStream_tbPNSt15iterator_traitsISK_E10value_typeEPNSQ_ISL_E10value_typeEPSM_NS1_7vsmem_tEENKUlT_SK_SL_SM_E_clIPjSE_SF_SF_EESJ_SZ_SK_SL_SM_EUlSZ_E0_NS1_11comp_targetILNS1_3genE8ELNS1_11target_archE1030ELNS1_3gpuE2ELNS1_3repE0EEENS1_38merge_mergepath_config_static_selectorELNS0_4arch9wavefront6targetE1EEEvSL_.kd
    .uniform_work_group_size: 1
    .uses_dynamic_stack: false
    .vgpr_count:     0
    .vgpr_spill_count: 0
    .wavefront_size: 64
  - .agpr_count:     0
    .args:
      - .offset:         0
        .size:           48
        .value_kind:     by_value
    .group_segment_fixed_size: 0
    .kernarg_segment_align: 8
    .kernarg_segment_size: 48
    .language:       OpenCL C
    .language_version:
      - 2
      - 0
    .max_flat_workgroup_size: 256
    .name:           _ZN7rocprim17ROCPRIM_400000_NS6detail17trampoline_kernelINS0_14default_configENS1_38merge_sort_block_merge_config_selectorIjNS0_10empty_typeEEEZZNS1_27merge_sort_block_merge_implIS3_N6thrust23THRUST_200600_302600_NS6detail15normal_iteratorINS9_10device_ptrIjEEEEPS5_jNS1_19radix_merge_compareILb0ELb0EjNS0_19identity_decomposerEEEEE10hipError_tT0_T1_T2_jT3_P12ihipStream_tbPNSt15iterator_traitsISK_E10value_typeEPNSQ_ISL_E10value_typeEPSM_NS1_7vsmem_tEENKUlT_SK_SL_SM_E_clIPjSE_SF_SF_EESJ_SZ_SK_SL_SM_EUlSZ_E1_NS1_11comp_targetILNS1_3genE0ELNS1_11target_archE4294967295ELNS1_3gpuE0ELNS1_3repE0EEENS1_36merge_oddeven_config_static_selectorELNS0_4arch9wavefront6targetE1EEEvSL_
    .private_segment_fixed_size: 0
    .sgpr_count:     4
    .sgpr_spill_count: 0
    .symbol:         _ZN7rocprim17ROCPRIM_400000_NS6detail17trampoline_kernelINS0_14default_configENS1_38merge_sort_block_merge_config_selectorIjNS0_10empty_typeEEEZZNS1_27merge_sort_block_merge_implIS3_N6thrust23THRUST_200600_302600_NS6detail15normal_iteratorINS9_10device_ptrIjEEEEPS5_jNS1_19radix_merge_compareILb0ELb0EjNS0_19identity_decomposerEEEEE10hipError_tT0_T1_T2_jT3_P12ihipStream_tbPNSt15iterator_traitsISK_E10value_typeEPNSQ_ISL_E10value_typeEPSM_NS1_7vsmem_tEENKUlT_SK_SL_SM_E_clIPjSE_SF_SF_EESJ_SZ_SK_SL_SM_EUlSZ_E1_NS1_11comp_targetILNS1_3genE0ELNS1_11target_archE4294967295ELNS1_3gpuE0ELNS1_3repE0EEENS1_36merge_oddeven_config_static_selectorELNS0_4arch9wavefront6targetE1EEEvSL_.kd
    .uniform_work_group_size: 1
    .uses_dynamic_stack: false
    .vgpr_count:     0
    .vgpr_spill_count: 0
    .wavefront_size: 64
  - .agpr_count:     0
    .args:
      - .offset:         0
        .size:           48
        .value_kind:     by_value
    .group_segment_fixed_size: 0
    .kernarg_segment_align: 8
    .kernarg_segment_size: 48
    .language:       OpenCL C
    .language_version:
      - 2
      - 0
    .max_flat_workgroup_size: 256
    .name:           _ZN7rocprim17ROCPRIM_400000_NS6detail17trampoline_kernelINS0_14default_configENS1_38merge_sort_block_merge_config_selectorIjNS0_10empty_typeEEEZZNS1_27merge_sort_block_merge_implIS3_N6thrust23THRUST_200600_302600_NS6detail15normal_iteratorINS9_10device_ptrIjEEEEPS5_jNS1_19radix_merge_compareILb0ELb0EjNS0_19identity_decomposerEEEEE10hipError_tT0_T1_T2_jT3_P12ihipStream_tbPNSt15iterator_traitsISK_E10value_typeEPNSQ_ISL_E10value_typeEPSM_NS1_7vsmem_tEENKUlT_SK_SL_SM_E_clIPjSE_SF_SF_EESJ_SZ_SK_SL_SM_EUlSZ_E1_NS1_11comp_targetILNS1_3genE10ELNS1_11target_archE1201ELNS1_3gpuE5ELNS1_3repE0EEENS1_36merge_oddeven_config_static_selectorELNS0_4arch9wavefront6targetE1EEEvSL_
    .private_segment_fixed_size: 0
    .sgpr_count:     4
    .sgpr_spill_count: 0
    .symbol:         _ZN7rocprim17ROCPRIM_400000_NS6detail17trampoline_kernelINS0_14default_configENS1_38merge_sort_block_merge_config_selectorIjNS0_10empty_typeEEEZZNS1_27merge_sort_block_merge_implIS3_N6thrust23THRUST_200600_302600_NS6detail15normal_iteratorINS9_10device_ptrIjEEEEPS5_jNS1_19radix_merge_compareILb0ELb0EjNS0_19identity_decomposerEEEEE10hipError_tT0_T1_T2_jT3_P12ihipStream_tbPNSt15iterator_traitsISK_E10value_typeEPNSQ_ISL_E10value_typeEPSM_NS1_7vsmem_tEENKUlT_SK_SL_SM_E_clIPjSE_SF_SF_EESJ_SZ_SK_SL_SM_EUlSZ_E1_NS1_11comp_targetILNS1_3genE10ELNS1_11target_archE1201ELNS1_3gpuE5ELNS1_3repE0EEENS1_36merge_oddeven_config_static_selectorELNS0_4arch9wavefront6targetE1EEEvSL_.kd
    .uniform_work_group_size: 1
    .uses_dynamic_stack: false
    .vgpr_count:     0
    .vgpr_spill_count: 0
    .wavefront_size: 64
  - .agpr_count:     0
    .args:
      - .offset:         0
        .size:           48
        .value_kind:     by_value
    .group_segment_fixed_size: 0
    .kernarg_segment_align: 8
    .kernarg_segment_size: 48
    .language:       OpenCL C
    .language_version:
      - 2
      - 0
    .max_flat_workgroup_size: 256
    .name:           _ZN7rocprim17ROCPRIM_400000_NS6detail17trampoline_kernelINS0_14default_configENS1_38merge_sort_block_merge_config_selectorIjNS0_10empty_typeEEEZZNS1_27merge_sort_block_merge_implIS3_N6thrust23THRUST_200600_302600_NS6detail15normal_iteratorINS9_10device_ptrIjEEEEPS5_jNS1_19radix_merge_compareILb0ELb0EjNS0_19identity_decomposerEEEEE10hipError_tT0_T1_T2_jT3_P12ihipStream_tbPNSt15iterator_traitsISK_E10value_typeEPNSQ_ISL_E10value_typeEPSM_NS1_7vsmem_tEENKUlT_SK_SL_SM_E_clIPjSE_SF_SF_EESJ_SZ_SK_SL_SM_EUlSZ_E1_NS1_11comp_targetILNS1_3genE5ELNS1_11target_archE942ELNS1_3gpuE9ELNS1_3repE0EEENS1_36merge_oddeven_config_static_selectorELNS0_4arch9wavefront6targetE1EEEvSL_
    .private_segment_fixed_size: 0
    .sgpr_count:     4
    .sgpr_spill_count: 0
    .symbol:         _ZN7rocprim17ROCPRIM_400000_NS6detail17trampoline_kernelINS0_14default_configENS1_38merge_sort_block_merge_config_selectorIjNS0_10empty_typeEEEZZNS1_27merge_sort_block_merge_implIS3_N6thrust23THRUST_200600_302600_NS6detail15normal_iteratorINS9_10device_ptrIjEEEEPS5_jNS1_19radix_merge_compareILb0ELb0EjNS0_19identity_decomposerEEEEE10hipError_tT0_T1_T2_jT3_P12ihipStream_tbPNSt15iterator_traitsISK_E10value_typeEPNSQ_ISL_E10value_typeEPSM_NS1_7vsmem_tEENKUlT_SK_SL_SM_E_clIPjSE_SF_SF_EESJ_SZ_SK_SL_SM_EUlSZ_E1_NS1_11comp_targetILNS1_3genE5ELNS1_11target_archE942ELNS1_3gpuE9ELNS1_3repE0EEENS1_36merge_oddeven_config_static_selectorELNS0_4arch9wavefront6targetE1EEEvSL_.kd
    .uniform_work_group_size: 1
    .uses_dynamic_stack: false
    .vgpr_count:     0
    .vgpr_spill_count: 0
    .wavefront_size: 64
  - .agpr_count:     0
    .args:
      - .offset:         0
        .size:           48
        .value_kind:     by_value
    .group_segment_fixed_size: 0
    .kernarg_segment_align: 8
    .kernarg_segment_size: 48
    .language:       OpenCL C
    .language_version:
      - 2
      - 0
    .max_flat_workgroup_size: 256
    .name:           _ZN7rocprim17ROCPRIM_400000_NS6detail17trampoline_kernelINS0_14default_configENS1_38merge_sort_block_merge_config_selectorIjNS0_10empty_typeEEEZZNS1_27merge_sort_block_merge_implIS3_N6thrust23THRUST_200600_302600_NS6detail15normal_iteratorINS9_10device_ptrIjEEEEPS5_jNS1_19radix_merge_compareILb0ELb0EjNS0_19identity_decomposerEEEEE10hipError_tT0_T1_T2_jT3_P12ihipStream_tbPNSt15iterator_traitsISK_E10value_typeEPNSQ_ISL_E10value_typeEPSM_NS1_7vsmem_tEENKUlT_SK_SL_SM_E_clIPjSE_SF_SF_EESJ_SZ_SK_SL_SM_EUlSZ_E1_NS1_11comp_targetILNS1_3genE4ELNS1_11target_archE910ELNS1_3gpuE8ELNS1_3repE0EEENS1_36merge_oddeven_config_static_selectorELNS0_4arch9wavefront6targetE1EEEvSL_
    .private_segment_fixed_size: 0
    .sgpr_count:     25
    .sgpr_spill_count: 0
    .symbol:         _ZN7rocprim17ROCPRIM_400000_NS6detail17trampoline_kernelINS0_14default_configENS1_38merge_sort_block_merge_config_selectorIjNS0_10empty_typeEEEZZNS1_27merge_sort_block_merge_implIS3_N6thrust23THRUST_200600_302600_NS6detail15normal_iteratorINS9_10device_ptrIjEEEEPS5_jNS1_19radix_merge_compareILb0ELb0EjNS0_19identity_decomposerEEEEE10hipError_tT0_T1_T2_jT3_P12ihipStream_tbPNSt15iterator_traitsISK_E10value_typeEPNSQ_ISL_E10value_typeEPSM_NS1_7vsmem_tEENKUlT_SK_SL_SM_E_clIPjSE_SF_SF_EESJ_SZ_SK_SL_SM_EUlSZ_E1_NS1_11comp_targetILNS1_3genE4ELNS1_11target_archE910ELNS1_3gpuE8ELNS1_3repE0EEENS1_36merge_oddeven_config_static_selectorELNS0_4arch9wavefront6targetE1EEEvSL_.kd
    .uniform_work_group_size: 1
    .uses_dynamic_stack: false
    .vgpr_count:     10
    .vgpr_spill_count: 0
    .wavefront_size: 64
  - .agpr_count:     0
    .args:
      - .offset:         0
        .size:           48
        .value_kind:     by_value
    .group_segment_fixed_size: 0
    .kernarg_segment_align: 8
    .kernarg_segment_size: 48
    .language:       OpenCL C
    .language_version:
      - 2
      - 0
    .max_flat_workgroup_size: 256
    .name:           _ZN7rocprim17ROCPRIM_400000_NS6detail17trampoline_kernelINS0_14default_configENS1_38merge_sort_block_merge_config_selectorIjNS0_10empty_typeEEEZZNS1_27merge_sort_block_merge_implIS3_N6thrust23THRUST_200600_302600_NS6detail15normal_iteratorINS9_10device_ptrIjEEEEPS5_jNS1_19radix_merge_compareILb0ELb0EjNS0_19identity_decomposerEEEEE10hipError_tT0_T1_T2_jT3_P12ihipStream_tbPNSt15iterator_traitsISK_E10value_typeEPNSQ_ISL_E10value_typeEPSM_NS1_7vsmem_tEENKUlT_SK_SL_SM_E_clIPjSE_SF_SF_EESJ_SZ_SK_SL_SM_EUlSZ_E1_NS1_11comp_targetILNS1_3genE3ELNS1_11target_archE908ELNS1_3gpuE7ELNS1_3repE0EEENS1_36merge_oddeven_config_static_selectorELNS0_4arch9wavefront6targetE1EEEvSL_
    .private_segment_fixed_size: 0
    .sgpr_count:     4
    .sgpr_spill_count: 0
    .symbol:         _ZN7rocprim17ROCPRIM_400000_NS6detail17trampoline_kernelINS0_14default_configENS1_38merge_sort_block_merge_config_selectorIjNS0_10empty_typeEEEZZNS1_27merge_sort_block_merge_implIS3_N6thrust23THRUST_200600_302600_NS6detail15normal_iteratorINS9_10device_ptrIjEEEEPS5_jNS1_19radix_merge_compareILb0ELb0EjNS0_19identity_decomposerEEEEE10hipError_tT0_T1_T2_jT3_P12ihipStream_tbPNSt15iterator_traitsISK_E10value_typeEPNSQ_ISL_E10value_typeEPSM_NS1_7vsmem_tEENKUlT_SK_SL_SM_E_clIPjSE_SF_SF_EESJ_SZ_SK_SL_SM_EUlSZ_E1_NS1_11comp_targetILNS1_3genE3ELNS1_11target_archE908ELNS1_3gpuE7ELNS1_3repE0EEENS1_36merge_oddeven_config_static_selectorELNS0_4arch9wavefront6targetE1EEEvSL_.kd
    .uniform_work_group_size: 1
    .uses_dynamic_stack: false
    .vgpr_count:     0
    .vgpr_spill_count: 0
    .wavefront_size: 64
  - .agpr_count:     0
    .args:
      - .offset:         0
        .size:           48
        .value_kind:     by_value
    .group_segment_fixed_size: 0
    .kernarg_segment_align: 8
    .kernarg_segment_size: 48
    .language:       OpenCL C
    .language_version:
      - 2
      - 0
    .max_flat_workgroup_size: 256
    .name:           _ZN7rocprim17ROCPRIM_400000_NS6detail17trampoline_kernelINS0_14default_configENS1_38merge_sort_block_merge_config_selectorIjNS0_10empty_typeEEEZZNS1_27merge_sort_block_merge_implIS3_N6thrust23THRUST_200600_302600_NS6detail15normal_iteratorINS9_10device_ptrIjEEEEPS5_jNS1_19radix_merge_compareILb0ELb0EjNS0_19identity_decomposerEEEEE10hipError_tT0_T1_T2_jT3_P12ihipStream_tbPNSt15iterator_traitsISK_E10value_typeEPNSQ_ISL_E10value_typeEPSM_NS1_7vsmem_tEENKUlT_SK_SL_SM_E_clIPjSE_SF_SF_EESJ_SZ_SK_SL_SM_EUlSZ_E1_NS1_11comp_targetILNS1_3genE2ELNS1_11target_archE906ELNS1_3gpuE6ELNS1_3repE0EEENS1_36merge_oddeven_config_static_selectorELNS0_4arch9wavefront6targetE1EEEvSL_
    .private_segment_fixed_size: 0
    .sgpr_count:     4
    .sgpr_spill_count: 0
    .symbol:         _ZN7rocprim17ROCPRIM_400000_NS6detail17trampoline_kernelINS0_14default_configENS1_38merge_sort_block_merge_config_selectorIjNS0_10empty_typeEEEZZNS1_27merge_sort_block_merge_implIS3_N6thrust23THRUST_200600_302600_NS6detail15normal_iteratorINS9_10device_ptrIjEEEEPS5_jNS1_19radix_merge_compareILb0ELb0EjNS0_19identity_decomposerEEEEE10hipError_tT0_T1_T2_jT3_P12ihipStream_tbPNSt15iterator_traitsISK_E10value_typeEPNSQ_ISL_E10value_typeEPSM_NS1_7vsmem_tEENKUlT_SK_SL_SM_E_clIPjSE_SF_SF_EESJ_SZ_SK_SL_SM_EUlSZ_E1_NS1_11comp_targetILNS1_3genE2ELNS1_11target_archE906ELNS1_3gpuE6ELNS1_3repE0EEENS1_36merge_oddeven_config_static_selectorELNS0_4arch9wavefront6targetE1EEEvSL_.kd
    .uniform_work_group_size: 1
    .uses_dynamic_stack: false
    .vgpr_count:     0
    .vgpr_spill_count: 0
    .wavefront_size: 64
  - .agpr_count:     0
    .args:
      - .offset:         0
        .size:           48
        .value_kind:     by_value
    .group_segment_fixed_size: 0
    .kernarg_segment_align: 8
    .kernarg_segment_size: 48
    .language:       OpenCL C
    .language_version:
      - 2
      - 0
    .max_flat_workgroup_size: 256
    .name:           _ZN7rocprim17ROCPRIM_400000_NS6detail17trampoline_kernelINS0_14default_configENS1_38merge_sort_block_merge_config_selectorIjNS0_10empty_typeEEEZZNS1_27merge_sort_block_merge_implIS3_N6thrust23THRUST_200600_302600_NS6detail15normal_iteratorINS9_10device_ptrIjEEEEPS5_jNS1_19radix_merge_compareILb0ELb0EjNS0_19identity_decomposerEEEEE10hipError_tT0_T1_T2_jT3_P12ihipStream_tbPNSt15iterator_traitsISK_E10value_typeEPNSQ_ISL_E10value_typeEPSM_NS1_7vsmem_tEENKUlT_SK_SL_SM_E_clIPjSE_SF_SF_EESJ_SZ_SK_SL_SM_EUlSZ_E1_NS1_11comp_targetILNS1_3genE9ELNS1_11target_archE1100ELNS1_3gpuE3ELNS1_3repE0EEENS1_36merge_oddeven_config_static_selectorELNS0_4arch9wavefront6targetE1EEEvSL_
    .private_segment_fixed_size: 0
    .sgpr_count:     4
    .sgpr_spill_count: 0
    .symbol:         _ZN7rocprim17ROCPRIM_400000_NS6detail17trampoline_kernelINS0_14default_configENS1_38merge_sort_block_merge_config_selectorIjNS0_10empty_typeEEEZZNS1_27merge_sort_block_merge_implIS3_N6thrust23THRUST_200600_302600_NS6detail15normal_iteratorINS9_10device_ptrIjEEEEPS5_jNS1_19radix_merge_compareILb0ELb0EjNS0_19identity_decomposerEEEEE10hipError_tT0_T1_T2_jT3_P12ihipStream_tbPNSt15iterator_traitsISK_E10value_typeEPNSQ_ISL_E10value_typeEPSM_NS1_7vsmem_tEENKUlT_SK_SL_SM_E_clIPjSE_SF_SF_EESJ_SZ_SK_SL_SM_EUlSZ_E1_NS1_11comp_targetILNS1_3genE9ELNS1_11target_archE1100ELNS1_3gpuE3ELNS1_3repE0EEENS1_36merge_oddeven_config_static_selectorELNS0_4arch9wavefront6targetE1EEEvSL_.kd
    .uniform_work_group_size: 1
    .uses_dynamic_stack: false
    .vgpr_count:     0
    .vgpr_spill_count: 0
    .wavefront_size: 64
  - .agpr_count:     0
    .args:
      - .offset:         0
        .size:           48
        .value_kind:     by_value
    .group_segment_fixed_size: 0
    .kernarg_segment_align: 8
    .kernarg_segment_size: 48
    .language:       OpenCL C
    .language_version:
      - 2
      - 0
    .max_flat_workgroup_size: 256
    .name:           _ZN7rocprim17ROCPRIM_400000_NS6detail17trampoline_kernelINS0_14default_configENS1_38merge_sort_block_merge_config_selectorIjNS0_10empty_typeEEEZZNS1_27merge_sort_block_merge_implIS3_N6thrust23THRUST_200600_302600_NS6detail15normal_iteratorINS9_10device_ptrIjEEEEPS5_jNS1_19radix_merge_compareILb0ELb0EjNS0_19identity_decomposerEEEEE10hipError_tT0_T1_T2_jT3_P12ihipStream_tbPNSt15iterator_traitsISK_E10value_typeEPNSQ_ISL_E10value_typeEPSM_NS1_7vsmem_tEENKUlT_SK_SL_SM_E_clIPjSE_SF_SF_EESJ_SZ_SK_SL_SM_EUlSZ_E1_NS1_11comp_targetILNS1_3genE8ELNS1_11target_archE1030ELNS1_3gpuE2ELNS1_3repE0EEENS1_36merge_oddeven_config_static_selectorELNS0_4arch9wavefront6targetE1EEEvSL_
    .private_segment_fixed_size: 0
    .sgpr_count:     4
    .sgpr_spill_count: 0
    .symbol:         _ZN7rocprim17ROCPRIM_400000_NS6detail17trampoline_kernelINS0_14default_configENS1_38merge_sort_block_merge_config_selectorIjNS0_10empty_typeEEEZZNS1_27merge_sort_block_merge_implIS3_N6thrust23THRUST_200600_302600_NS6detail15normal_iteratorINS9_10device_ptrIjEEEEPS5_jNS1_19radix_merge_compareILb0ELb0EjNS0_19identity_decomposerEEEEE10hipError_tT0_T1_T2_jT3_P12ihipStream_tbPNSt15iterator_traitsISK_E10value_typeEPNSQ_ISL_E10value_typeEPSM_NS1_7vsmem_tEENKUlT_SK_SL_SM_E_clIPjSE_SF_SF_EESJ_SZ_SK_SL_SM_EUlSZ_E1_NS1_11comp_targetILNS1_3genE8ELNS1_11target_archE1030ELNS1_3gpuE2ELNS1_3repE0EEENS1_36merge_oddeven_config_static_selectorELNS0_4arch9wavefront6targetE1EEEvSL_.kd
    .uniform_work_group_size: 1
    .uses_dynamic_stack: false
    .vgpr_count:     0
    .vgpr_spill_count: 0
    .wavefront_size: 64
  - .agpr_count:     0
    .args:
      - .offset:         0
        .size:           40
        .value_kind:     by_value
    .group_segment_fixed_size: 0
    .kernarg_segment_align: 8
    .kernarg_segment_size: 40
    .language:       OpenCL C
    .language_version:
      - 2
      - 0
    .max_flat_workgroup_size: 128
    .name:           _ZN7rocprim17ROCPRIM_400000_NS6detail17trampoline_kernelINS0_14default_configENS1_38merge_sort_block_merge_config_selectorIjNS0_10empty_typeEEEZZNS1_27merge_sort_block_merge_implIS3_N6thrust23THRUST_200600_302600_NS6detail15normal_iteratorINS9_10device_ptrIjEEEEPS5_jNS1_19radix_merge_compareILb0ELb0EjNS0_19identity_decomposerEEEEE10hipError_tT0_T1_T2_jT3_P12ihipStream_tbPNSt15iterator_traitsISK_E10value_typeEPNSQ_ISL_E10value_typeEPSM_NS1_7vsmem_tEENKUlT_SK_SL_SM_E_clISE_PjSF_SF_EESJ_SZ_SK_SL_SM_EUlSZ_E_NS1_11comp_targetILNS1_3genE0ELNS1_11target_archE4294967295ELNS1_3gpuE0ELNS1_3repE0EEENS1_48merge_mergepath_partition_config_static_selectorELNS0_4arch9wavefront6targetE1EEEvSL_
    .private_segment_fixed_size: 0
    .sgpr_count:     4
    .sgpr_spill_count: 0
    .symbol:         _ZN7rocprim17ROCPRIM_400000_NS6detail17trampoline_kernelINS0_14default_configENS1_38merge_sort_block_merge_config_selectorIjNS0_10empty_typeEEEZZNS1_27merge_sort_block_merge_implIS3_N6thrust23THRUST_200600_302600_NS6detail15normal_iteratorINS9_10device_ptrIjEEEEPS5_jNS1_19radix_merge_compareILb0ELb0EjNS0_19identity_decomposerEEEEE10hipError_tT0_T1_T2_jT3_P12ihipStream_tbPNSt15iterator_traitsISK_E10value_typeEPNSQ_ISL_E10value_typeEPSM_NS1_7vsmem_tEENKUlT_SK_SL_SM_E_clISE_PjSF_SF_EESJ_SZ_SK_SL_SM_EUlSZ_E_NS1_11comp_targetILNS1_3genE0ELNS1_11target_archE4294967295ELNS1_3gpuE0ELNS1_3repE0EEENS1_48merge_mergepath_partition_config_static_selectorELNS0_4arch9wavefront6targetE1EEEvSL_.kd
    .uniform_work_group_size: 1
    .uses_dynamic_stack: false
    .vgpr_count:     0
    .vgpr_spill_count: 0
    .wavefront_size: 64
  - .agpr_count:     0
    .args:
      - .offset:         0
        .size:           40
        .value_kind:     by_value
    .group_segment_fixed_size: 0
    .kernarg_segment_align: 8
    .kernarg_segment_size: 40
    .language:       OpenCL C
    .language_version:
      - 2
      - 0
    .max_flat_workgroup_size: 128
    .name:           _ZN7rocprim17ROCPRIM_400000_NS6detail17trampoline_kernelINS0_14default_configENS1_38merge_sort_block_merge_config_selectorIjNS0_10empty_typeEEEZZNS1_27merge_sort_block_merge_implIS3_N6thrust23THRUST_200600_302600_NS6detail15normal_iteratorINS9_10device_ptrIjEEEEPS5_jNS1_19radix_merge_compareILb0ELb0EjNS0_19identity_decomposerEEEEE10hipError_tT0_T1_T2_jT3_P12ihipStream_tbPNSt15iterator_traitsISK_E10value_typeEPNSQ_ISL_E10value_typeEPSM_NS1_7vsmem_tEENKUlT_SK_SL_SM_E_clISE_PjSF_SF_EESJ_SZ_SK_SL_SM_EUlSZ_E_NS1_11comp_targetILNS1_3genE10ELNS1_11target_archE1201ELNS1_3gpuE5ELNS1_3repE0EEENS1_48merge_mergepath_partition_config_static_selectorELNS0_4arch9wavefront6targetE1EEEvSL_
    .private_segment_fixed_size: 0
    .sgpr_count:     4
    .sgpr_spill_count: 0
    .symbol:         _ZN7rocprim17ROCPRIM_400000_NS6detail17trampoline_kernelINS0_14default_configENS1_38merge_sort_block_merge_config_selectorIjNS0_10empty_typeEEEZZNS1_27merge_sort_block_merge_implIS3_N6thrust23THRUST_200600_302600_NS6detail15normal_iteratorINS9_10device_ptrIjEEEEPS5_jNS1_19radix_merge_compareILb0ELb0EjNS0_19identity_decomposerEEEEE10hipError_tT0_T1_T2_jT3_P12ihipStream_tbPNSt15iterator_traitsISK_E10value_typeEPNSQ_ISL_E10value_typeEPSM_NS1_7vsmem_tEENKUlT_SK_SL_SM_E_clISE_PjSF_SF_EESJ_SZ_SK_SL_SM_EUlSZ_E_NS1_11comp_targetILNS1_3genE10ELNS1_11target_archE1201ELNS1_3gpuE5ELNS1_3repE0EEENS1_48merge_mergepath_partition_config_static_selectorELNS0_4arch9wavefront6targetE1EEEvSL_.kd
    .uniform_work_group_size: 1
    .uses_dynamic_stack: false
    .vgpr_count:     0
    .vgpr_spill_count: 0
    .wavefront_size: 64
  - .agpr_count:     0
    .args:
      - .offset:         0
        .size:           40
        .value_kind:     by_value
    .group_segment_fixed_size: 0
    .kernarg_segment_align: 8
    .kernarg_segment_size: 40
    .language:       OpenCL C
    .language_version:
      - 2
      - 0
    .max_flat_workgroup_size: 128
    .name:           _ZN7rocprim17ROCPRIM_400000_NS6detail17trampoline_kernelINS0_14default_configENS1_38merge_sort_block_merge_config_selectorIjNS0_10empty_typeEEEZZNS1_27merge_sort_block_merge_implIS3_N6thrust23THRUST_200600_302600_NS6detail15normal_iteratorINS9_10device_ptrIjEEEEPS5_jNS1_19radix_merge_compareILb0ELb0EjNS0_19identity_decomposerEEEEE10hipError_tT0_T1_T2_jT3_P12ihipStream_tbPNSt15iterator_traitsISK_E10value_typeEPNSQ_ISL_E10value_typeEPSM_NS1_7vsmem_tEENKUlT_SK_SL_SM_E_clISE_PjSF_SF_EESJ_SZ_SK_SL_SM_EUlSZ_E_NS1_11comp_targetILNS1_3genE5ELNS1_11target_archE942ELNS1_3gpuE9ELNS1_3repE0EEENS1_48merge_mergepath_partition_config_static_selectorELNS0_4arch9wavefront6targetE1EEEvSL_
    .private_segment_fixed_size: 0
    .sgpr_count:     4
    .sgpr_spill_count: 0
    .symbol:         _ZN7rocprim17ROCPRIM_400000_NS6detail17trampoline_kernelINS0_14default_configENS1_38merge_sort_block_merge_config_selectorIjNS0_10empty_typeEEEZZNS1_27merge_sort_block_merge_implIS3_N6thrust23THRUST_200600_302600_NS6detail15normal_iteratorINS9_10device_ptrIjEEEEPS5_jNS1_19radix_merge_compareILb0ELb0EjNS0_19identity_decomposerEEEEE10hipError_tT0_T1_T2_jT3_P12ihipStream_tbPNSt15iterator_traitsISK_E10value_typeEPNSQ_ISL_E10value_typeEPSM_NS1_7vsmem_tEENKUlT_SK_SL_SM_E_clISE_PjSF_SF_EESJ_SZ_SK_SL_SM_EUlSZ_E_NS1_11comp_targetILNS1_3genE5ELNS1_11target_archE942ELNS1_3gpuE9ELNS1_3repE0EEENS1_48merge_mergepath_partition_config_static_selectorELNS0_4arch9wavefront6targetE1EEEvSL_.kd
    .uniform_work_group_size: 1
    .uses_dynamic_stack: false
    .vgpr_count:     0
    .vgpr_spill_count: 0
    .wavefront_size: 64
  - .agpr_count:     0
    .args:
      - .offset:         0
        .size:           40
        .value_kind:     by_value
    .group_segment_fixed_size: 0
    .kernarg_segment_align: 8
    .kernarg_segment_size: 40
    .language:       OpenCL C
    .language_version:
      - 2
      - 0
    .max_flat_workgroup_size: 128
    .name:           _ZN7rocprim17ROCPRIM_400000_NS6detail17trampoline_kernelINS0_14default_configENS1_38merge_sort_block_merge_config_selectorIjNS0_10empty_typeEEEZZNS1_27merge_sort_block_merge_implIS3_N6thrust23THRUST_200600_302600_NS6detail15normal_iteratorINS9_10device_ptrIjEEEEPS5_jNS1_19radix_merge_compareILb0ELb0EjNS0_19identity_decomposerEEEEE10hipError_tT0_T1_T2_jT3_P12ihipStream_tbPNSt15iterator_traitsISK_E10value_typeEPNSQ_ISL_E10value_typeEPSM_NS1_7vsmem_tEENKUlT_SK_SL_SM_E_clISE_PjSF_SF_EESJ_SZ_SK_SL_SM_EUlSZ_E_NS1_11comp_targetILNS1_3genE4ELNS1_11target_archE910ELNS1_3gpuE8ELNS1_3repE0EEENS1_48merge_mergepath_partition_config_static_selectorELNS0_4arch9wavefront6targetE1EEEvSL_
    .private_segment_fixed_size: 0
    .sgpr_count:     12
    .sgpr_spill_count: 0
    .symbol:         _ZN7rocprim17ROCPRIM_400000_NS6detail17trampoline_kernelINS0_14default_configENS1_38merge_sort_block_merge_config_selectorIjNS0_10empty_typeEEEZZNS1_27merge_sort_block_merge_implIS3_N6thrust23THRUST_200600_302600_NS6detail15normal_iteratorINS9_10device_ptrIjEEEEPS5_jNS1_19radix_merge_compareILb0ELb0EjNS0_19identity_decomposerEEEEE10hipError_tT0_T1_T2_jT3_P12ihipStream_tbPNSt15iterator_traitsISK_E10value_typeEPNSQ_ISL_E10value_typeEPSM_NS1_7vsmem_tEENKUlT_SK_SL_SM_E_clISE_PjSF_SF_EESJ_SZ_SK_SL_SM_EUlSZ_E_NS1_11comp_targetILNS1_3genE4ELNS1_11target_archE910ELNS1_3gpuE8ELNS1_3repE0EEENS1_48merge_mergepath_partition_config_static_selectorELNS0_4arch9wavefront6targetE1EEEvSL_.kd
    .uniform_work_group_size: 1
    .uses_dynamic_stack: false
    .vgpr_count:     17
    .vgpr_spill_count: 0
    .wavefront_size: 64
  - .agpr_count:     0
    .args:
      - .offset:         0
        .size:           40
        .value_kind:     by_value
    .group_segment_fixed_size: 0
    .kernarg_segment_align: 8
    .kernarg_segment_size: 40
    .language:       OpenCL C
    .language_version:
      - 2
      - 0
    .max_flat_workgroup_size: 128
    .name:           _ZN7rocprim17ROCPRIM_400000_NS6detail17trampoline_kernelINS0_14default_configENS1_38merge_sort_block_merge_config_selectorIjNS0_10empty_typeEEEZZNS1_27merge_sort_block_merge_implIS3_N6thrust23THRUST_200600_302600_NS6detail15normal_iteratorINS9_10device_ptrIjEEEEPS5_jNS1_19radix_merge_compareILb0ELb0EjNS0_19identity_decomposerEEEEE10hipError_tT0_T1_T2_jT3_P12ihipStream_tbPNSt15iterator_traitsISK_E10value_typeEPNSQ_ISL_E10value_typeEPSM_NS1_7vsmem_tEENKUlT_SK_SL_SM_E_clISE_PjSF_SF_EESJ_SZ_SK_SL_SM_EUlSZ_E_NS1_11comp_targetILNS1_3genE3ELNS1_11target_archE908ELNS1_3gpuE7ELNS1_3repE0EEENS1_48merge_mergepath_partition_config_static_selectorELNS0_4arch9wavefront6targetE1EEEvSL_
    .private_segment_fixed_size: 0
    .sgpr_count:     4
    .sgpr_spill_count: 0
    .symbol:         _ZN7rocprim17ROCPRIM_400000_NS6detail17trampoline_kernelINS0_14default_configENS1_38merge_sort_block_merge_config_selectorIjNS0_10empty_typeEEEZZNS1_27merge_sort_block_merge_implIS3_N6thrust23THRUST_200600_302600_NS6detail15normal_iteratorINS9_10device_ptrIjEEEEPS5_jNS1_19radix_merge_compareILb0ELb0EjNS0_19identity_decomposerEEEEE10hipError_tT0_T1_T2_jT3_P12ihipStream_tbPNSt15iterator_traitsISK_E10value_typeEPNSQ_ISL_E10value_typeEPSM_NS1_7vsmem_tEENKUlT_SK_SL_SM_E_clISE_PjSF_SF_EESJ_SZ_SK_SL_SM_EUlSZ_E_NS1_11comp_targetILNS1_3genE3ELNS1_11target_archE908ELNS1_3gpuE7ELNS1_3repE0EEENS1_48merge_mergepath_partition_config_static_selectorELNS0_4arch9wavefront6targetE1EEEvSL_.kd
    .uniform_work_group_size: 1
    .uses_dynamic_stack: false
    .vgpr_count:     0
    .vgpr_spill_count: 0
    .wavefront_size: 64
  - .agpr_count:     0
    .args:
      - .offset:         0
        .size:           40
        .value_kind:     by_value
    .group_segment_fixed_size: 0
    .kernarg_segment_align: 8
    .kernarg_segment_size: 40
    .language:       OpenCL C
    .language_version:
      - 2
      - 0
    .max_flat_workgroup_size: 128
    .name:           _ZN7rocprim17ROCPRIM_400000_NS6detail17trampoline_kernelINS0_14default_configENS1_38merge_sort_block_merge_config_selectorIjNS0_10empty_typeEEEZZNS1_27merge_sort_block_merge_implIS3_N6thrust23THRUST_200600_302600_NS6detail15normal_iteratorINS9_10device_ptrIjEEEEPS5_jNS1_19radix_merge_compareILb0ELb0EjNS0_19identity_decomposerEEEEE10hipError_tT0_T1_T2_jT3_P12ihipStream_tbPNSt15iterator_traitsISK_E10value_typeEPNSQ_ISL_E10value_typeEPSM_NS1_7vsmem_tEENKUlT_SK_SL_SM_E_clISE_PjSF_SF_EESJ_SZ_SK_SL_SM_EUlSZ_E_NS1_11comp_targetILNS1_3genE2ELNS1_11target_archE906ELNS1_3gpuE6ELNS1_3repE0EEENS1_48merge_mergepath_partition_config_static_selectorELNS0_4arch9wavefront6targetE1EEEvSL_
    .private_segment_fixed_size: 0
    .sgpr_count:     4
    .sgpr_spill_count: 0
    .symbol:         _ZN7rocprim17ROCPRIM_400000_NS6detail17trampoline_kernelINS0_14default_configENS1_38merge_sort_block_merge_config_selectorIjNS0_10empty_typeEEEZZNS1_27merge_sort_block_merge_implIS3_N6thrust23THRUST_200600_302600_NS6detail15normal_iteratorINS9_10device_ptrIjEEEEPS5_jNS1_19radix_merge_compareILb0ELb0EjNS0_19identity_decomposerEEEEE10hipError_tT0_T1_T2_jT3_P12ihipStream_tbPNSt15iterator_traitsISK_E10value_typeEPNSQ_ISL_E10value_typeEPSM_NS1_7vsmem_tEENKUlT_SK_SL_SM_E_clISE_PjSF_SF_EESJ_SZ_SK_SL_SM_EUlSZ_E_NS1_11comp_targetILNS1_3genE2ELNS1_11target_archE906ELNS1_3gpuE6ELNS1_3repE0EEENS1_48merge_mergepath_partition_config_static_selectorELNS0_4arch9wavefront6targetE1EEEvSL_.kd
    .uniform_work_group_size: 1
    .uses_dynamic_stack: false
    .vgpr_count:     0
    .vgpr_spill_count: 0
    .wavefront_size: 64
  - .agpr_count:     0
    .args:
      - .offset:         0
        .size:           40
        .value_kind:     by_value
    .group_segment_fixed_size: 0
    .kernarg_segment_align: 8
    .kernarg_segment_size: 40
    .language:       OpenCL C
    .language_version:
      - 2
      - 0
    .max_flat_workgroup_size: 128
    .name:           _ZN7rocprim17ROCPRIM_400000_NS6detail17trampoline_kernelINS0_14default_configENS1_38merge_sort_block_merge_config_selectorIjNS0_10empty_typeEEEZZNS1_27merge_sort_block_merge_implIS3_N6thrust23THRUST_200600_302600_NS6detail15normal_iteratorINS9_10device_ptrIjEEEEPS5_jNS1_19radix_merge_compareILb0ELb0EjNS0_19identity_decomposerEEEEE10hipError_tT0_T1_T2_jT3_P12ihipStream_tbPNSt15iterator_traitsISK_E10value_typeEPNSQ_ISL_E10value_typeEPSM_NS1_7vsmem_tEENKUlT_SK_SL_SM_E_clISE_PjSF_SF_EESJ_SZ_SK_SL_SM_EUlSZ_E_NS1_11comp_targetILNS1_3genE9ELNS1_11target_archE1100ELNS1_3gpuE3ELNS1_3repE0EEENS1_48merge_mergepath_partition_config_static_selectorELNS0_4arch9wavefront6targetE1EEEvSL_
    .private_segment_fixed_size: 0
    .sgpr_count:     4
    .sgpr_spill_count: 0
    .symbol:         _ZN7rocprim17ROCPRIM_400000_NS6detail17trampoline_kernelINS0_14default_configENS1_38merge_sort_block_merge_config_selectorIjNS0_10empty_typeEEEZZNS1_27merge_sort_block_merge_implIS3_N6thrust23THRUST_200600_302600_NS6detail15normal_iteratorINS9_10device_ptrIjEEEEPS5_jNS1_19radix_merge_compareILb0ELb0EjNS0_19identity_decomposerEEEEE10hipError_tT0_T1_T2_jT3_P12ihipStream_tbPNSt15iterator_traitsISK_E10value_typeEPNSQ_ISL_E10value_typeEPSM_NS1_7vsmem_tEENKUlT_SK_SL_SM_E_clISE_PjSF_SF_EESJ_SZ_SK_SL_SM_EUlSZ_E_NS1_11comp_targetILNS1_3genE9ELNS1_11target_archE1100ELNS1_3gpuE3ELNS1_3repE0EEENS1_48merge_mergepath_partition_config_static_selectorELNS0_4arch9wavefront6targetE1EEEvSL_.kd
    .uniform_work_group_size: 1
    .uses_dynamic_stack: false
    .vgpr_count:     0
    .vgpr_spill_count: 0
    .wavefront_size: 64
  - .agpr_count:     0
    .args:
      - .offset:         0
        .size:           40
        .value_kind:     by_value
    .group_segment_fixed_size: 0
    .kernarg_segment_align: 8
    .kernarg_segment_size: 40
    .language:       OpenCL C
    .language_version:
      - 2
      - 0
    .max_flat_workgroup_size: 128
    .name:           _ZN7rocprim17ROCPRIM_400000_NS6detail17trampoline_kernelINS0_14default_configENS1_38merge_sort_block_merge_config_selectorIjNS0_10empty_typeEEEZZNS1_27merge_sort_block_merge_implIS3_N6thrust23THRUST_200600_302600_NS6detail15normal_iteratorINS9_10device_ptrIjEEEEPS5_jNS1_19radix_merge_compareILb0ELb0EjNS0_19identity_decomposerEEEEE10hipError_tT0_T1_T2_jT3_P12ihipStream_tbPNSt15iterator_traitsISK_E10value_typeEPNSQ_ISL_E10value_typeEPSM_NS1_7vsmem_tEENKUlT_SK_SL_SM_E_clISE_PjSF_SF_EESJ_SZ_SK_SL_SM_EUlSZ_E_NS1_11comp_targetILNS1_3genE8ELNS1_11target_archE1030ELNS1_3gpuE2ELNS1_3repE0EEENS1_48merge_mergepath_partition_config_static_selectorELNS0_4arch9wavefront6targetE1EEEvSL_
    .private_segment_fixed_size: 0
    .sgpr_count:     4
    .sgpr_spill_count: 0
    .symbol:         _ZN7rocprim17ROCPRIM_400000_NS6detail17trampoline_kernelINS0_14default_configENS1_38merge_sort_block_merge_config_selectorIjNS0_10empty_typeEEEZZNS1_27merge_sort_block_merge_implIS3_N6thrust23THRUST_200600_302600_NS6detail15normal_iteratorINS9_10device_ptrIjEEEEPS5_jNS1_19radix_merge_compareILb0ELb0EjNS0_19identity_decomposerEEEEE10hipError_tT0_T1_T2_jT3_P12ihipStream_tbPNSt15iterator_traitsISK_E10value_typeEPNSQ_ISL_E10value_typeEPSM_NS1_7vsmem_tEENKUlT_SK_SL_SM_E_clISE_PjSF_SF_EESJ_SZ_SK_SL_SM_EUlSZ_E_NS1_11comp_targetILNS1_3genE8ELNS1_11target_archE1030ELNS1_3gpuE2ELNS1_3repE0EEENS1_48merge_mergepath_partition_config_static_selectorELNS0_4arch9wavefront6targetE1EEEvSL_.kd
    .uniform_work_group_size: 1
    .uses_dynamic_stack: false
    .vgpr_count:     0
    .vgpr_spill_count: 0
    .wavefront_size: 64
  - .agpr_count:     0
    .args:
      - .offset:         0
        .size:           64
        .value_kind:     by_value
    .group_segment_fixed_size: 0
    .kernarg_segment_align: 8
    .kernarg_segment_size: 64
    .language:       OpenCL C
    .language_version:
      - 2
      - 0
    .max_flat_workgroup_size: 128
    .name:           _ZN7rocprim17ROCPRIM_400000_NS6detail17trampoline_kernelINS0_14default_configENS1_38merge_sort_block_merge_config_selectorIjNS0_10empty_typeEEEZZNS1_27merge_sort_block_merge_implIS3_N6thrust23THRUST_200600_302600_NS6detail15normal_iteratorINS9_10device_ptrIjEEEEPS5_jNS1_19radix_merge_compareILb0ELb0EjNS0_19identity_decomposerEEEEE10hipError_tT0_T1_T2_jT3_P12ihipStream_tbPNSt15iterator_traitsISK_E10value_typeEPNSQ_ISL_E10value_typeEPSM_NS1_7vsmem_tEENKUlT_SK_SL_SM_E_clISE_PjSF_SF_EESJ_SZ_SK_SL_SM_EUlSZ_E0_NS1_11comp_targetILNS1_3genE0ELNS1_11target_archE4294967295ELNS1_3gpuE0ELNS1_3repE0EEENS1_38merge_mergepath_config_static_selectorELNS0_4arch9wavefront6targetE1EEEvSL_
    .private_segment_fixed_size: 0
    .sgpr_count:     4
    .sgpr_spill_count: 0
    .symbol:         _ZN7rocprim17ROCPRIM_400000_NS6detail17trampoline_kernelINS0_14default_configENS1_38merge_sort_block_merge_config_selectorIjNS0_10empty_typeEEEZZNS1_27merge_sort_block_merge_implIS3_N6thrust23THRUST_200600_302600_NS6detail15normal_iteratorINS9_10device_ptrIjEEEEPS5_jNS1_19radix_merge_compareILb0ELb0EjNS0_19identity_decomposerEEEEE10hipError_tT0_T1_T2_jT3_P12ihipStream_tbPNSt15iterator_traitsISK_E10value_typeEPNSQ_ISL_E10value_typeEPSM_NS1_7vsmem_tEENKUlT_SK_SL_SM_E_clISE_PjSF_SF_EESJ_SZ_SK_SL_SM_EUlSZ_E0_NS1_11comp_targetILNS1_3genE0ELNS1_11target_archE4294967295ELNS1_3gpuE0ELNS1_3repE0EEENS1_38merge_mergepath_config_static_selectorELNS0_4arch9wavefront6targetE1EEEvSL_.kd
    .uniform_work_group_size: 1
    .uses_dynamic_stack: false
    .vgpr_count:     0
    .vgpr_spill_count: 0
    .wavefront_size: 64
  - .agpr_count:     0
    .args:
      - .offset:         0
        .size:           64
        .value_kind:     by_value
    .group_segment_fixed_size: 0
    .kernarg_segment_align: 8
    .kernarg_segment_size: 64
    .language:       OpenCL C
    .language_version:
      - 2
      - 0
    .max_flat_workgroup_size: 256
    .name:           _ZN7rocprim17ROCPRIM_400000_NS6detail17trampoline_kernelINS0_14default_configENS1_38merge_sort_block_merge_config_selectorIjNS0_10empty_typeEEEZZNS1_27merge_sort_block_merge_implIS3_N6thrust23THRUST_200600_302600_NS6detail15normal_iteratorINS9_10device_ptrIjEEEEPS5_jNS1_19radix_merge_compareILb0ELb0EjNS0_19identity_decomposerEEEEE10hipError_tT0_T1_T2_jT3_P12ihipStream_tbPNSt15iterator_traitsISK_E10value_typeEPNSQ_ISL_E10value_typeEPSM_NS1_7vsmem_tEENKUlT_SK_SL_SM_E_clISE_PjSF_SF_EESJ_SZ_SK_SL_SM_EUlSZ_E0_NS1_11comp_targetILNS1_3genE10ELNS1_11target_archE1201ELNS1_3gpuE5ELNS1_3repE0EEENS1_38merge_mergepath_config_static_selectorELNS0_4arch9wavefront6targetE1EEEvSL_
    .private_segment_fixed_size: 0
    .sgpr_count:     4
    .sgpr_spill_count: 0
    .symbol:         _ZN7rocprim17ROCPRIM_400000_NS6detail17trampoline_kernelINS0_14default_configENS1_38merge_sort_block_merge_config_selectorIjNS0_10empty_typeEEEZZNS1_27merge_sort_block_merge_implIS3_N6thrust23THRUST_200600_302600_NS6detail15normal_iteratorINS9_10device_ptrIjEEEEPS5_jNS1_19radix_merge_compareILb0ELb0EjNS0_19identity_decomposerEEEEE10hipError_tT0_T1_T2_jT3_P12ihipStream_tbPNSt15iterator_traitsISK_E10value_typeEPNSQ_ISL_E10value_typeEPSM_NS1_7vsmem_tEENKUlT_SK_SL_SM_E_clISE_PjSF_SF_EESJ_SZ_SK_SL_SM_EUlSZ_E0_NS1_11comp_targetILNS1_3genE10ELNS1_11target_archE1201ELNS1_3gpuE5ELNS1_3repE0EEENS1_38merge_mergepath_config_static_selectorELNS0_4arch9wavefront6targetE1EEEvSL_.kd
    .uniform_work_group_size: 1
    .uses_dynamic_stack: false
    .vgpr_count:     0
    .vgpr_spill_count: 0
    .wavefront_size: 64
  - .agpr_count:     0
    .args:
      - .offset:         0
        .size:           64
        .value_kind:     by_value
    .group_segment_fixed_size: 0
    .kernarg_segment_align: 8
    .kernarg_segment_size: 64
    .language:       OpenCL C
    .language_version:
      - 2
      - 0
    .max_flat_workgroup_size: 128
    .name:           _ZN7rocprim17ROCPRIM_400000_NS6detail17trampoline_kernelINS0_14default_configENS1_38merge_sort_block_merge_config_selectorIjNS0_10empty_typeEEEZZNS1_27merge_sort_block_merge_implIS3_N6thrust23THRUST_200600_302600_NS6detail15normal_iteratorINS9_10device_ptrIjEEEEPS5_jNS1_19radix_merge_compareILb0ELb0EjNS0_19identity_decomposerEEEEE10hipError_tT0_T1_T2_jT3_P12ihipStream_tbPNSt15iterator_traitsISK_E10value_typeEPNSQ_ISL_E10value_typeEPSM_NS1_7vsmem_tEENKUlT_SK_SL_SM_E_clISE_PjSF_SF_EESJ_SZ_SK_SL_SM_EUlSZ_E0_NS1_11comp_targetILNS1_3genE5ELNS1_11target_archE942ELNS1_3gpuE9ELNS1_3repE0EEENS1_38merge_mergepath_config_static_selectorELNS0_4arch9wavefront6targetE1EEEvSL_
    .private_segment_fixed_size: 0
    .sgpr_count:     4
    .sgpr_spill_count: 0
    .symbol:         _ZN7rocprim17ROCPRIM_400000_NS6detail17trampoline_kernelINS0_14default_configENS1_38merge_sort_block_merge_config_selectorIjNS0_10empty_typeEEEZZNS1_27merge_sort_block_merge_implIS3_N6thrust23THRUST_200600_302600_NS6detail15normal_iteratorINS9_10device_ptrIjEEEEPS5_jNS1_19radix_merge_compareILb0ELb0EjNS0_19identity_decomposerEEEEE10hipError_tT0_T1_T2_jT3_P12ihipStream_tbPNSt15iterator_traitsISK_E10value_typeEPNSQ_ISL_E10value_typeEPSM_NS1_7vsmem_tEENKUlT_SK_SL_SM_E_clISE_PjSF_SF_EESJ_SZ_SK_SL_SM_EUlSZ_E0_NS1_11comp_targetILNS1_3genE5ELNS1_11target_archE942ELNS1_3gpuE9ELNS1_3repE0EEENS1_38merge_mergepath_config_static_selectorELNS0_4arch9wavefront6targetE1EEEvSL_.kd
    .uniform_work_group_size: 1
    .uses_dynamic_stack: false
    .vgpr_count:     0
    .vgpr_spill_count: 0
    .wavefront_size: 64
  - .agpr_count:     0
    .args:
      - .offset:         0
        .size:           64
        .value_kind:     by_value
      - .offset:         64
        .size:           4
        .value_kind:     hidden_block_count_x
      - .offset:         68
        .size:           4
        .value_kind:     hidden_block_count_y
      - .offset:         72
        .size:           4
        .value_kind:     hidden_block_count_z
      - .offset:         76
        .size:           2
        .value_kind:     hidden_group_size_x
      - .offset:         78
        .size:           2
        .value_kind:     hidden_group_size_y
      - .offset:         80
        .size:           2
        .value_kind:     hidden_group_size_z
      - .offset:         82
        .size:           2
        .value_kind:     hidden_remainder_x
      - .offset:         84
        .size:           2
        .value_kind:     hidden_remainder_y
      - .offset:         86
        .size:           2
        .value_kind:     hidden_remainder_z
      - .offset:         104
        .size:           8
        .value_kind:     hidden_global_offset_x
      - .offset:         112
        .size:           8
        .value_kind:     hidden_global_offset_y
      - .offset:         120
        .size:           8
        .value_kind:     hidden_global_offset_z
      - .offset:         128
        .size:           2
        .value_kind:     hidden_grid_dims
    .group_segment_fixed_size: 4224
    .kernarg_segment_align: 8
    .kernarg_segment_size: 320
    .language:       OpenCL C
    .language_version:
      - 2
      - 0
    .max_flat_workgroup_size: 128
    .name:           _ZN7rocprim17ROCPRIM_400000_NS6detail17trampoline_kernelINS0_14default_configENS1_38merge_sort_block_merge_config_selectorIjNS0_10empty_typeEEEZZNS1_27merge_sort_block_merge_implIS3_N6thrust23THRUST_200600_302600_NS6detail15normal_iteratorINS9_10device_ptrIjEEEEPS5_jNS1_19radix_merge_compareILb0ELb0EjNS0_19identity_decomposerEEEEE10hipError_tT0_T1_T2_jT3_P12ihipStream_tbPNSt15iterator_traitsISK_E10value_typeEPNSQ_ISL_E10value_typeEPSM_NS1_7vsmem_tEENKUlT_SK_SL_SM_E_clISE_PjSF_SF_EESJ_SZ_SK_SL_SM_EUlSZ_E0_NS1_11comp_targetILNS1_3genE4ELNS1_11target_archE910ELNS1_3gpuE8ELNS1_3repE0EEENS1_38merge_mergepath_config_static_selectorELNS0_4arch9wavefront6targetE1EEEvSL_
    .private_segment_fixed_size: 0
    .sgpr_count:     28
    .sgpr_spill_count: 0
    .symbol:         _ZN7rocprim17ROCPRIM_400000_NS6detail17trampoline_kernelINS0_14default_configENS1_38merge_sort_block_merge_config_selectorIjNS0_10empty_typeEEEZZNS1_27merge_sort_block_merge_implIS3_N6thrust23THRUST_200600_302600_NS6detail15normal_iteratorINS9_10device_ptrIjEEEEPS5_jNS1_19radix_merge_compareILb0ELb0EjNS0_19identity_decomposerEEEEE10hipError_tT0_T1_T2_jT3_P12ihipStream_tbPNSt15iterator_traitsISK_E10value_typeEPNSQ_ISL_E10value_typeEPSM_NS1_7vsmem_tEENKUlT_SK_SL_SM_E_clISE_PjSF_SF_EESJ_SZ_SK_SL_SM_EUlSZ_E0_NS1_11comp_targetILNS1_3genE4ELNS1_11target_archE910ELNS1_3gpuE8ELNS1_3repE0EEENS1_38merge_mergepath_config_static_selectorELNS0_4arch9wavefront6targetE1EEEvSL_.kd
    .uniform_work_group_size: 1
    .uses_dynamic_stack: false
    .vgpr_count:     26
    .vgpr_spill_count: 0
    .wavefront_size: 64
  - .agpr_count:     0
    .args:
      - .offset:         0
        .size:           64
        .value_kind:     by_value
    .group_segment_fixed_size: 0
    .kernarg_segment_align: 8
    .kernarg_segment_size: 64
    .language:       OpenCL C
    .language_version:
      - 2
      - 0
    .max_flat_workgroup_size: 128
    .name:           _ZN7rocprim17ROCPRIM_400000_NS6detail17trampoline_kernelINS0_14default_configENS1_38merge_sort_block_merge_config_selectorIjNS0_10empty_typeEEEZZNS1_27merge_sort_block_merge_implIS3_N6thrust23THRUST_200600_302600_NS6detail15normal_iteratorINS9_10device_ptrIjEEEEPS5_jNS1_19radix_merge_compareILb0ELb0EjNS0_19identity_decomposerEEEEE10hipError_tT0_T1_T2_jT3_P12ihipStream_tbPNSt15iterator_traitsISK_E10value_typeEPNSQ_ISL_E10value_typeEPSM_NS1_7vsmem_tEENKUlT_SK_SL_SM_E_clISE_PjSF_SF_EESJ_SZ_SK_SL_SM_EUlSZ_E0_NS1_11comp_targetILNS1_3genE3ELNS1_11target_archE908ELNS1_3gpuE7ELNS1_3repE0EEENS1_38merge_mergepath_config_static_selectorELNS0_4arch9wavefront6targetE1EEEvSL_
    .private_segment_fixed_size: 0
    .sgpr_count:     4
    .sgpr_spill_count: 0
    .symbol:         _ZN7rocprim17ROCPRIM_400000_NS6detail17trampoline_kernelINS0_14default_configENS1_38merge_sort_block_merge_config_selectorIjNS0_10empty_typeEEEZZNS1_27merge_sort_block_merge_implIS3_N6thrust23THRUST_200600_302600_NS6detail15normal_iteratorINS9_10device_ptrIjEEEEPS5_jNS1_19radix_merge_compareILb0ELb0EjNS0_19identity_decomposerEEEEE10hipError_tT0_T1_T2_jT3_P12ihipStream_tbPNSt15iterator_traitsISK_E10value_typeEPNSQ_ISL_E10value_typeEPSM_NS1_7vsmem_tEENKUlT_SK_SL_SM_E_clISE_PjSF_SF_EESJ_SZ_SK_SL_SM_EUlSZ_E0_NS1_11comp_targetILNS1_3genE3ELNS1_11target_archE908ELNS1_3gpuE7ELNS1_3repE0EEENS1_38merge_mergepath_config_static_selectorELNS0_4arch9wavefront6targetE1EEEvSL_.kd
    .uniform_work_group_size: 1
    .uses_dynamic_stack: false
    .vgpr_count:     0
    .vgpr_spill_count: 0
    .wavefront_size: 64
  - .agpr_count:     0
    .args:
      - .offset:         0
        .size:           64
        .value_kind:     by_value
    .group_segment_fixed_size: 0
    .kernarg_segment_align: 8
    .kernarg_segment_size: 64
    .language:       OpenCL C
    .language_version:
      - 2
      - 0
    .max_flat_workgroup_size: 128
    .name:           _ZN7rocprim17ROCPRIM_400000_NS6detail17trampoline_kernelINS0_14default_configENS1_38merge_sort_block_merge_config_selectorIjNS0_10empty_typeEEEZZNS1_27merge_sort_block_merge_implIS3_N6thrust23THRUST_200600_302600_NS6detail15normal_iteratorINS9_10device_ptrIjEEEEPS5_jNS1_19radix_merge_compareILb0ELb0EjNS0_19identity_decomposerEEEEE10hipError_tT0_T1_T2_jT3_P12ihipStream_tbPNSt15iterator_traitsISK_E10value_typeEPNSQ_ISL_E10value_typeEPSM_NS1_7vsmem_tEENKUlT_SK_SL_SM_E_clISE_PjSF_SF_EESJ_SZ_SK_SL_SM_EUlSZ_E0_NS1_11comp_targetILNS1_3genE2ELNS1_11target_archE906ELNS1_3gpuE6ELNS1_3repE0EEENS1_38merge_mergepath_config_static_selectorELNS0_4arch9wavefront6targetE1EEEvSL_
    .private_segment_fixed_size: 0
    .sgpr_count:     4
    .sgpr_spill_count: 0
    .symbol:         _ZN7rocprim17ROCPRIM_400000_NS6detail17trampoline_kernelINS0_14default_configENS1_38merge_sort_block_merge_config_selectorIjNS0_10empty_typeEEEZZNS1_27merge_sort_block_merge_implIS3_N6thrust23THRUST_200600_302600_NS6detail15normal_iteratorINS9_10device_ptrIjEEEEPS5_jNS1_19radix_merge_compareILb0ELb0EjNS0_19identity_decomposerEEEEE10hipError_tT0_T1_T2_jT3_P12ihipStream_tbPNSt15iterator_traitsISK_E10value_typeEPNSQ_ISL_E10value_typeEPSM_NS1_7vsmem_tEENKUlT_SK_SL_SM_E_clISE_PjSF_SF_EESJ_SZ_SK_SL_SM_EUlSZ_E0_NS1_11comp_targetILNS1_3genE2ELNS1_11target_archE906ELNS1_3gpuE6ELNS1_3repE0EEENS1_38merge_mergepath_config_static_selectorELNS0_4arch9wavefront6targetE1EEEvSL_.kd
    .uniform_work_group_size: 1
    .uses_dynamic_stack: false
    .vgpr_count:     0
    .vgpr_spill_count: 0
    .wavefront_size: 64
  - .agpr_count:     0
    .args:
      - .offset:         0
        .size:           64
        .value_kind:     by_value
    .group_segment_fixed_size: 0
    .kernarg_segment_align: 8
    .kernarg_segment_size: 64
    .language:       OpenCL C
    .language_version:
      - 2
      - 0
    .max_flat_workgroup_size: 256
    .name:           _ZN7rocprim17ROCPRIM_400000_NS6detail17trampoline_kernelINS0_14default_configENS1_38merge_sort_block_merge_config_selectorIjNS0_10empty_typeEEEZZNS1_27merge_sort_block_merge_implIS3_N6thrust23THRUST_200600_302600_NS6detail15normal_iteratorINS9_10device_ptrIjEEEEPS5_jNS1_19radix_merge_compareILb0ELb0EjNS0_19identity_decomposerEEEEE10hipError_tT0_T1_T2_jT3_P12ihipStream_tbPNSt15iterator_traitsISK_E10value_typeEPNSQ_ISL_E10value_typeEPSM_NS1_7vsmem_tEENKUlT_SK_SL_SM_E_clISE_PjSF_SF_EESJ_SZ_SK_SL_SM_EUlSZ_E0_NS1_11comp_targetILNS1_3genE9ELNS1_11target_archE1100ELNS1_3gpuE3ELNS1_3repE0EEENS1_38merge_mergepath_config_static_selectorELNS0_4arch9wavefront6targetE1EEEvSL_
    .private_segment_fixed_size: 0
    .sgpr_count:     4
    .sgpr_spill_count: 0
    .symbol:         _ZN7rocprim17ROCPRIM_400000_NS6detail17trampoline_kernelINS0_14default_configENS1_38merge_sort_block_merge_config_selectorIjNS0_10empty_typeEEEZZNS1_27merge_sort_block_merge_implIS3_N6thrust23THRUST_200600_302600_NS6detail15normal_iteratorINS9_10device_ptrIjEEEEPS5_jNS1_19radix_merge_compareILb0ELb0EjNS0_19identity_decomposerEEEEE10hipError_tT0_T1_T2_jT3_P12ihipStream_tbPNSt15iterator_traitsISK_E10value_typeEPNSQ_ISL_E10value_typeEPSM_NS1_7vsmem_tEENKUlT_SK_SL_SM_E_clISE_PjSF_SF_EESJ_SZ_SK_SL_SM_EUlSZ_E0_NS1_11comp_targetILNS1_3genE9ELNS1_11target_archE1100ELNS1_3gpuE3ELNS1_3repE0EEENS1_38merge_mergepath_config_static_selectorELNS0_4arch9wavefront6targetE1EEEvSL_.kd
    .uniform_work_group_size: 1
    .uses_dynamic_stack: false
    .vgpr_count:     0
    .vgpr_spill_count: 0
    .wavefront_size: 64
  - .agpr_count:     0
    .args:
      - .offset:         0
        .size:           64
        .value_kind:     by_value
    .group_segment_fixed_size: 0
    .kernarg_segment_align: 8
    .kernarg_segment_size: 64
    .language:       OpenCL C
    .language_version:
      - 2
      - 0
    .max_flat_workgroup_size: 512
    .name:           _ZN7rocprim17ROCPRIM_400000_NS6detail17trampoline_kernelINS0_14default_configENS1_38merge_sort_block_merge_config_selectorIjNS0_10empty_typeEEEZZNS1_27merge_sort_block_merge_implIS3_N6thrust23THRUST_200600_302600_NS6detail15normal_iteratorINS9_10device_ptrIjEEEEPS5_jNS1_19radix_merge_compareILb0ELb0EjNS0_19identity_decomposerEEEEE10hipError_tT0_T1_T2_jT3_P12ihipStream_tbPNSt15iterator_traitsISK_E10value_typeEPNSQ_ISL_E10value_typeEPSM_NS1_7vsmem_tEENKUlT_SK_SL_SM_E_clISE_PjSF_SF_EESJ_SZ_SK_SL_SM_EUlSZ_E0_NS1_11comp_targetILNS1_3genE8ELNS1_11target_archE1030ELNS1_3gpuE2ELNS1_3repE0EEENS1_38merge_mergepath_config_static_selectorELNS0_4arch9wavefront6targetE1EEEvSL_
    .private_segment_fixed_size: 0
    .sgpr_count:     4
    .sgpr_spill_count: 0
    .symbol:         _ZN7rocprim17ROCPRIM_400000_NS6detail17trampoline_kernelINS0_14default_configENS1_38merge_sort_block_merge_config_selectorIjNS0_10empty_typeEEEZZNS1_27merge_sort_block_merge_implIS3_N6thrust23THRUST_200600_302600_NS6detail15normal_iteratorINS9_10device_ptrIjEEEEPS5_jNS1_19radix_merge_compareILb0ELb0EjNS0_19identity_decomposerEEEEE10hipError_tT0_T1_T2_jT3_P12ihipStream_tbPNSt15iterator_traitsISK_E10value_typeEPNSQ_ISL_E10value_typeEPSM_NS1_7vsmem_tEENKUlT_SK_SL_SM_E_clISE_PjSF_SF_EESJ_SZ_SK_SL_SM_EUlSZ_E0_NS1_11comp_targetILNS1_3genE8ELNS1_11target_archE1030ELNS1_3gpuE2ELNS1_3repE0EEENS1_38merge_mergepath_config_static_selectorELNS0_4arch9wavefront6targetE1EEEvSL_.kd
    .uniform_work_group_size: 1
    .uses_dynamic_stack: false
    .vgpr_count:     0
    .vgpr_spill_count: 0
    .wavefront_size: 64
  - .agpr_count:     0
    .args:
      - .offset:         0
        .size:           48
        .value_kind:     by_value
    .group_segment_fixed_size: 0
    .kernarg_segment_align: 8
    .kernarg_segment_size: 48
    .language:       OpenCL C
    .language_version:
      - 2
      - 0
    .max_flat_workgroup_size: 256
    .name:           _ZN7rocprim17ROCPRIM_400000_NS6detail17trampoline_kernelINS0_14default_configENS1_38merge_sort_block_merge_config_selectorIjNS0_10empty_typeEEEZZNS1_27merge_sort_block_merge_implIS3_N6thrust23THRUST_200600_302600_NS6detail15normal_iteratorINS9_10device_ptrIjEEEEPS5_jNS1_19radix_merge_compareILb0ELb0EjNS0_19identity_decomposerEEEEE10hipError_tT0_T1_T2_jT3_P12ihipStream_tbPNSt15iterator_traitsISK_E10value_typeEPNSQ_ISL_E10value_typeEPSM_NS1_7vsmem_tEENKUlT_SK_SL_SM_E_clISE_PjSF_SF_EESJ_SZ_SK_SL_SM_EUlSZ_E1_NS1_11comp_targetILNS1_3genE0ELNS1_11target_archE4294967295ELNS1_3gpuE0ELNS1_3repE0EEENS1_36merge_oddeven_config_static_selectorELNS0_4arch9wavefront6targetE1EEEvSL_
    .private_segment_fixed_size: 0
    .sgpr_count:     4
    .sgpr_spill_count: 0
    .symbol:         _ZN7rocprim17ROCPRIM_400000_NS6detail17trampoline_kernelINS0_14default_configENS1_38merge_sort_block_merge_config_selectorIjNS0_10empty_typeEEEZZNS1_27merge_sort_block_merge_implIS3_N6thrust23THRUST_200600_302600_NS6detail15normal_iteratorINS9_10device_ptrIjEEEEPS5_jNS1_19radix_merge_compareILb0ELb0EjNS0_19identity_decomposerEEEEE10hipError_tT0_T1_T2_jT3_P12ihipStream_tbPNSt15iterator_traitsISK_E10value_typeEPNSQ_ISL_E10value_typeEPSM_NS1_7vsmem_tEENKUlT_SK_SL_SM_E_clISE_PjSF_SF_EESJ_SZ_SK_SL_SM_EUlSZ_E1_NS1_11comp_targetILNS1_3genE0ELNS1_11target_archE4294967295ELNS1_3gpuE0ELNS1_3repE0EEENS1_36merge_oddeven_config_static_selectorELNS0_4arch9wavefront6targetE1EEEvSL_.kd
    .uniform_work_group_size: 1
    .uses_dynamic_stack: false
    .vgpr_count:     0
    .vgpr_spill_count: 0
    .wavefront_size: 64
  - .agpr_count:     0
    .args:
      - .offset:         0
        .size:           48
        .value_kind:     by_value
    .group_segment_fixed_size: 0
    .kernarg_segment_align: 8
    .kernarg_segment_size: 48
    .language:       OpenCL C
    .language_version:
      - 2
      - 0
    .max_flat_workgroup_size: 256
    .name:           _ZN7rocprim17ROCPRIM_400000_NS6detail17trampoline_kernelINS0_14default_configENS1_38merge_sort_block_merge_config_selectorIjNS0_10empty_typeEEEZZNS1_27merge_sort_block_merge_implIS3_N6thrust23THRUST_200600_302600_NS6detail15normal_iteratorINS9_10device_ptrIjEEEEPS5_jNS1_19radix_merge_compareILb0ELb0EjNS0_19identity_decomposerEEEEE10hipError_tT0_T1_T2_jT3_P12ihipStream_tbPNSt15iterator_traitsISK_E10value_typeEPNSQ_ISL_E10value_typeEPSM_NS1_7vsmem_tEENKUlT_SK_SL_SM_E_clISE_PjSF_SF_EESJ_SZ_SK_SL_SM_EUlSZ_E1_NS1_11comp_targetILNS1_3genE10ELNS1_11target_archE1201ELNS1_3gpuE5ELNS1_3repE0EEENS1_36merge_oddeven_config_static_selectorELNS0_4arch9wavefront6targetE1EEEvSL_
    .private_segment_fixed_size: 0
    .sgpr_count:     4
    .sgpr_spill_count: 0
    .symbol:         _ZN7rocprim17ROCPRIM_400000_NS6detail17trampoline_kernelINS0_14default_configENS1_38merge_sort_block_merge_config_selectorIjNS0_10empty_typeEEEZZNS1_27merge_sort_block_merge_implIS3_N6thrust23THRUST_200600_302600_NS6detail15normal_iteratorINS9_10device_ptrIjEEEEPS5_jNS1_19radix_merge_compareILb0ELb0EjNS0_19identity_decomposerEEEEE10hipError_tT0_T1_T2_jT3_P12ihipStream_tbPNSt15iterator_traitsISK_E10value_typeEPNSQ_ISL_E10value_typeEPSM_NS1_7vsmem_tEENKUlT_SK_SL_SM_E_clISE_PjSF_SF_EESJ_SZ_SK_SL_SM_EUlSZ_E1_NS1_11comp_targetILNS1_3genE10ELNS1_11target_archE1201ELNS1_3gpuE5ELNS1_3repE0EEENS1_36merge_oddeven_config_static_selectorELNS0_4arch9wavefront6targetE1EEEvSL_.kd
    .uniform_work_group_size: 1
    .uses_dynamic_stack: false
    .vgpr_count:     0
    .vgpr_spill_count: 0
    .wavefront_size: 64
  - .agpr_count:     0
    .args:
      - .offset:         0
        .size:           48
        .value_kind:     by_value
    .group_segment_fixed_size: 0
    .kernarg_segment_align: 8
    .kernarg_segment_size: 48
    .language:       OpenCL C
    .language_version:
      - 2
      - 0
    .max_flat_workgroup_size: 256
    .name:           _ZN7rocprim17ROCPRIM_400000_NS6detail17trampoline_kernelINS0_14default_configENS1_38merge_sort_block_merge_config_selectorIjNS0_10empty_typeEEEZZNS1_27merge_sort_block_merge_implIS3_N6thrust23THRUST_200600_302600_NS6detail15normal_iteratorINS9_10device_ptrIjEEEEPS5_jNS1_19radix_merge_compareILb0ELb0EjNS0_19identity_decomposerEEEEE10hipError_tT0_T1_T2_jT3_P12ihipStream_tbPNSt15iterator_traitsISK_E10value_typeEPNSQ_ISL_E10value_typeEPSM_NS1_7vsmem_tEENKUlT_SK_SL_SM_E_clISE_PjSF_SF_EESJ_SZ_SK_SL_SM_EUlSZ_E1_NS1_11comp_targetILNS1_3genE5ELNS1_11target_archE942ELNS1_3gpuE9ELNS1_3repE0EEENS1_36merge_oddeven_config_static_selectorELNS0_4arch9wavefront6targetE1EEEvSL_
    .private_segment_fixed_size: 0
    .sgpr_count:     4
    .sgpr_spill_count: 0
    .symbol:         _ZN7rocprim17ROCPRIM_400000_NS6detail17trampoline_kernelINS0_14default_configENS1_38merge_sort_block_merge_config_selectorIjNS0_10empty_typeEEEZZNS1_27merge_sort_block_merge_implIS3_N6thrust23THRUST_200600_302600_NS6detail15normal_iteratorINS9_10device_ptrIjEEEEPS5_jNS1_19radix_merge_compareILb0ELb0EjNS0_19identity_decomposerEEEEE10hipError_tT0_T1_T2_jT3_P12ihipStream_tbPNSt15iterator_traitsISK_E10value_typeEPNSQ_ISL_E10value_typeEPSM_NS1_7vsmem_tEENKUlT_SK_SL_SM_E_clISE_PjSF_SF_EESJ_SZ_SK_SL_SM_EUlSZ_E1_NS1_11comp_targetILNS1_3genE5ELNS1_11target_archE942ELNS1_3gpuE9ELNS1_3repE0EEENS1_36merge_oddeven_config_static_selectorELNS0_4arch9wavefront6targetE1EEEvSL_.kd
    .uniform_work_group_size: 1
    .uses_dynamic_stack: false
    .vgpr_count:     0
    .vgpr_spill_count: 0
    .wavefront_size: 64
  - .agpr_count:     0
    .args:
      - .offset:         0
        .size:           48
        .value_kind:     by_value
    .group_segment_fixed_size: 0
    .kernarg_segment_align: 8
    .kernarg_segment_size: 48
    .language:       OpenCL C
    .language_version:
      - 2
      - 0
    .max_flat_workgroup_size: 256
    .name:           _ZN7rocprim17ROCPRIM_400000_NS6detail17trampoline_kernelINS0_14default_configENS1_38merge_sort_block_merge_config_selectorIjNS0_10empty_typeEEEZZNS1_27merge_sort_block_merge_implIS3_N6thrust23THRUST_200600_302600_NS6detail15normal_iteratorINS9_10device_ptrIjEEEEPS5_jNS1_19radix_merge_compareILb0ELb0EjNS0_19identity_decomposerEEEEE10hipError_tT0_T1_T2_jT3_P12ihipStream_tbPNSt15iterator_traitsISK_E10value_typeEPNSQ_ISL_E10value_typeEPSM_NS1_7vsmem_tEENKUlT_SK_SL_SM_E_clISE_PjSF_SF_EESJ_SZ_SK_SL_SM_EUlSZ_E1_NS1_11comp_targetILNS1_3genE4ELNS1_11target_archE910ELNS1_3gpuE8ELNS1_3repE0EEENS1_36merge_oddeven_config_static_selectorELNS0_4arch9wavefront6targetE1EEEvSL_
    .private_segment_fixed_size: 0
    .sgpr_count:     25
    .sgpr_spill_count: 0
    .symbol:         _ZN7rocprim17ROCPRIM_400000_NS6detail17trampoline_kernelINS0_14default_configENS1_38merge_sort_block_merge_config_selectorIjNS0_10empty_typeEEEZZNS1_27merge_sort_block_merge_implIS3_N6thrust23THRUST_200600_302600_NS6detail15normal_iteratorINS9_10device_ptrIjEEEEPS5_jNS1_19radix_merge_compareILb0ELb0EjNS0_19identity_decomposerEEEEE10hipError_tT0_T1_T2_jT3_P12ihipStream_tbPNSt15iterator_traitsISK_E10value_typeEPNSQ_ISL_E10value_typeEPSM_NS1_7vsmem_tEENKUlT_SK_SL_SM_E_clISE_PjSF_SF_EESJ_SZ_SK_SL_SM_EUlSZ_E1_NS1_11comp_targetILNS1_3genE4ELNS1_11target_archE910ELNS1_3gpuE8ELNS1_3repE0EEENS1_36merge_oddeven_config_static_selectorELNS0_4arch9wavefront6targetE1EEEvSL_.kd
    .uniform_work_group_size: 1
    .uses_dynamic_stack: false
    .vgpr_count:     10
    .vgpr_spill_count: 0
    .wavefront_size: 64
  - .agpr_count:     0
    .args:
      - .offset:         0
        .size:           48
        .value_kind:     by_value
    .group_segment_fixed_size: 0
    .kernarg_segment_align: 8
    .kernarg_segment_size: 48
    .language:       OpenCL C
    .language_version:
      - 2
      - 0
    .max_flat_workgroup_size: 256
    .name:           _ZN7rocprim17ROCPRIM_400000_NS6detail17trampoline_kernelINS0_14default_configENS1_38merge_sort_block_merge_config_selectorIjNS0_10empty_typeEEEZZNS1_27merge_sort_block_merge_implIS3_N6thrust23THRUST_200600_302600_NS6detail15normal_iteratorINS9_10device_ptrIjEEEEPS5_jNS1_19radix_merge_compareILb0ELb0EjNS0_19identity_decomposerEEEEE10hipError_tT0_T1_T2_jT3_P12ihipStream_tbPNSt15iterator_traitsISK_E10value_typeEPNSQ_ISL_E10value_typeEPSM_NS1_7vsmem_tEENKUlT_SK_SL_SM_E_clISE_PjSF_SF_EESJ_SZ_SK_SL_SM_EUlSZ_E1_NS1_11comp_targetILNS1_3genE3ELNS1_11target_archE908ELNS1_3gpuE7ELNS1_3repE0EEENS1_36merge_oddeven_config_static_selectorELNS0_4arch9wavefront6targetE1EEEvSL_
    .private_segment_fixed_size: 0
    .sgpr_count:     4
    .sgpr_spill_count: 0
    .symbol:         _ZN7rocprim17ROCPRIM_400000_NS6detail17trampoline_kernelINS0_14default_configENS1_38merge_sort_block_merge_config_selectorIjNS0_10empty_typeEEEZZNS1_27merge_sort_block_merge_implIS3_N6thrust23THRUST_200600_302600_NS6detail15normal_iteratorINS9_10device_ptrIjEEEEPS5_jNS1_19radix_merge_compareILb0ELb0EjNS0_19identity_decomposerEEEEE10hipError_tT0_T1_T2_jT3_P12ihipStream_tbPNSt15iterator_traitsISK_E10value_typeEPNSQ_ISL_E10value_typeEPSM_NS1_7vsmem_tEENKUlT_SK_SL_SM_E_clISE_PjSF_SF_EESJ_SZ_SK_SL_SM_EUlSZ_E1_NS1_11comp_targetILNS1_3genE3ELNS1_11target_archE908ELNS1_3gpuE7ELNS1_3repE0EEENS1_36merge_oddeven_config_static_selectorELNS0_4arch9wavefront6targetE1EEEvSL_.kd
    .uniform_work_group_size: 1
    .uses_dynamic_stack: false
    .vgpr_count:     0
    .vgpr_spill_count: 0
    .wavefront_size: 64
  - .agpr_count:     0
    .args:
      - .offset:         0
        .size:           48
        .value_kind:     by_value
    .group_segment_fixed_size: 0
    .kernarg_segment_align: 8
    .kernarg_segment_size: 48
    .language:       OpenCL C
    .language_version:
      - 2
      - 0
    .max_flat_workgroup_size: 256
    .name:           _ZN7rocprim17ROCPRIM_400000_NS6detail17trampoline_kernelINS0_14default_configENS1_38merge_sort_block_merge_config_selectorIjNS0_10empty_typeEEEZZNS1_27merge_sort_block_merge_implIS3_N6thrust23THRUST_200600_302600_NS6detail15normal_iteratorINS9_10device_ptrIjEEEEPS5_jNS1_19radix_merge_compareILb0ELb0EjNS0_19identity_decomposerEEEEE10hipError_tT0_T1_T2_jT3_P12ihipStream_tbPNSt15iterator_traitsISK_E10value_typeEPNSQ_ISL_E10value_typeEPSM_NS1_7vsmem_tEENKUlT_SK_SL_SM_E_clISE_PjSF_SF_EESJ_SZ_SK_SL_SM_EUlSZ_E1_NS1_11comp_targetILNS1_3genE2ELNS1_11target_archE906ELNS1_3gpuE6ELNS1_3repE0EEENS1_36merge_oddeven_config_static_selectorELNS0_4arch9wavefront6targetE1EEEvSL_
    .private_segment_fixed_size: 0
    .sgpr_count:     4
    .sgpr_spill_count: 0
    .symbol:         _ZN7rocprim17ROCPRIM_400000_NS6detail17trampoline_kernelINS0_14default_configENS1_38merge_sort_block_merge_config_selectorIjNS0_10empty_typeEEEZZNS1_27merge_sort_block_merge_implIS3_N6thrust23THRUST_200600_302600_NS6detail15normal_iteratorINS9_10device_ptrIjEEEEPS5_jNS1_19radix_merge_compareILb0ELb0EjNS0_19identity_decomposerEEEEE10hipError_tT0_T1_T2_jT3_P12ihipStream_tbPNSt15iterator_traitsISK_E10value_typeEPNSQ_ISL_E10value_typeEPSM_NS1_7vsmem_tEENKUlT_SK_SL_SM_E_clISE_PjSF_SF_EESJ_SZ_SK_SL_SM_EUlSZ_E1_NS1_11comp_targetILNS1_3genE2ELNS1_11target_archE906ELNS1_3gpuE6ELNS1_3repE0EEENS1_36merge_oddeven_config_static_selectorELNS0_4arch9wavefront6targetE1EEEvSL_.kd
    .uniform_work_group_size: 1
    .uses_dynamic_stack: false
    .vgpr_count:     0
    .vgpr_spill_count: 0
    .wavefront_size: 64
  - .agpr_count:     0
    .args:
      - .offset:         0
        .size:           48
        .value_kind:     by_value
    .group_segment_fixed_size: 0
    .kernarg_segment_align: 8
    .kernarg_segment_size: 48
    .language:       OpenCL C
    .language_version:
      - 2
      - 0
    .max_flat_workgroup_size: 256
    .name:           _ZN7rocprim17ROCPRIM_400000_NS6detail17trampoline_kernelINS0_14default_configENS1_38merge_sort_block_merge_config_selectorIjNS0_10empty_typeEEEZZNS1_27merge_sort_block_merge_implIS3_N6thrust23THRUST_200600_302600_NS6detail15normal_iteratorINS9_10device_ptrIjEEEEPS5_jNS1_19radix_merge_compareILb0ELb0EjNS0_19identity_decomposerEEEEE10hipError_tT0_T1_T2_jT3_P12ihipStream_tbPNSt15iterator_traitsISK_E10value_typeEPNSQ_ISL_E10value_typeEPSM_NS1_7vsmem_tEENKUlT_SK_SL_SM_E_clISE_PjSF_SF_EESJ_SZ_SK_SL_SM_EUlSZ_E1_NS1_11comp_targetILNS1_3genE9ELNS1_11target_archE1100ELNS1_3gpuE3ELNS1_3repE0EEENS1_36merge_oddeven_config_static_selectorELNS0_4arch9wavefront6targetE1EEEvSL_
    .private_segment_fixed_size: 0
    .sgpr_count:     4
    .sgpr_spill_count: 0
    .symbol:         _ZN7rocprim17ROCPRIM_400000_NS6detail17trampoline_kernelINS0_14default_configENS1_38merge_sort_block_merge_config_selectorIjNS0_10empty_typeEEEZZNS1_27merge_sort_block_merge_implIS3_N6thrust23THRUST_200600_302600_NS6detail15normal_iteratorINS9_10device_ptrIjEEEEPS5_jNS1_19radix_merge_compareILb0ELb0EjNS0_19identity_decomposerEEEEE10hipError_tT0_T1_T2_jT3_P12ihipStream_tbPNSt15iterator_traitsISK_E10value_typeEPNSQ_ISL_E10value_typeEPSM_NS1_7vsmem_tEENKUlT_SK_SL_SM_E_clISE_PjSF_SF_EESJ_SZ_SK_SL_SM_EUlSZ_E1_NS1_11comp_targetILNS1_3genE9ELNS1_11target_archE1100ELNS1_3gpuE3ELNS1_3repE0EEENS1_36merge_oddeven_config_static_selectorELNS0_4arch9wavefront6targetE1EEEvSL_.kd
    .uniform_work_group_size: 1
    .uses_dynamic_stack: false
    .vgpr_count:     0
    .vgpr_spill_count: 0
    .wavefront_size: 64
  - .agpr_count:     0
    .args:
      - .offset:         0
        .size:           48
        .value_kind:     by_value
    .group_segment_fixed_size: 0
    .kernarg_segment_align: 8
    .kernarg_segment_size: 48
    .language:       OpenCL C
    .language_version:
      - 2
      - 0
    .max_flat_workgroup_size: 256
    .name:           _ZN7rocprim17ROCPRIM_400000_NS6detail17trampoline_kernelINS0_14default_configENS1_38merge_sort_block_merge_config_selectorIjNS0_10empty_typeEEEZZNS1_27merge_sort_block_merge_implIS3_N6thrust23THRUST_200600_302600_NS6detail15normal_iteratorINS9_10device_ptrIjEEEEPS5_jNS1_19radix_merge_compareILb0ELb0EjNS0_19identity_decomposerEEEEE10hipError_tT0_T1_T2_jT3_P12ihipStream_tbPNSt15iterator_traitsISK_E10value_typeEPNSQ_ISL_E10value_typeEPSM_NS1_7vsmem_tEENKUlT_SK_SL_SM_E_clISE_PjSF_SF_EESJ_SZ_SK_SL_SM_EUlSZ_E1_NS1_11comp_targetILNS1_3genE8ELNS1_11target_archE1030ELNS1_3gpuE2ELNS1_3repE0EEENS1_36merge_oddeven_config_static_selectorELNS0_4arch9wavefront6targetE1EEEvSL_
    .private_segment_fixed_size: 0
    .sgpr_count:     4
    .sgpr_spill_count: 0
    .symbol:         _ZN7rocprim17ROCPRIM_400000_NS6detail17trampoline_kernelINS0_14default_configENS1_38merge_sort_block_merge_config_selectorIjNS0_10empty_typeEEEZZNS1_27merge_sort_block_merge_implIS3_N6thrust23THRUST_200600_302600_NS6detail15normal_iteratorINS9_10device_ptrIjEEEEPS5_jNS1_19radix_merge_compareILb0ELb0EjNS0_19identity_decomposerEEEEE10hipError_tT0_T1_T2_jT3_P12ihipStream_tbPNSt15iterator_traitsISK_E10value_typeEPNSQ_ISL_E10value_typeEPSM_NS1_7vsmem_tEENKUlT_SK_SL_SM_E_clISE_PjSF_SF_EESJ_SZ_SK_SL_SM_EUlSZ_E1_NS1_11comp_targetILNS1_3genE8ELNS1_11target_archE1030ELNS1_3gpuE2ELNS1_3repE0EEENS1_36merge_oddeven_config_static_selectorELNS0_4arch9wavefront6targetE1EEEvSL_.kd
    .uniform_work_group_size: 1
    .uses_dynamic_stack: false
    .vgpr_count:     0
    .vgpr_spill_count: 0
    .wavefront_size: 64
  - .agpr_count:     0
    .args:
      - .offset:         0
        .size:           40
        .value_kind:     by_value
    .group_segment_fixed_size: 0
    .kernarg_segment_align: 8
    .kernarg_segment_size: 40
    .language:       OpenCL C
    .language_version:
      - 2
      - 0
    .max_flat_workgroup_size: 128
    .name:           _ZN7rocprim17ROCPRIM_400000_NS6detail17trampoline_kernelINS0_14default_configENS1_25transform_config_selectorIjLb0EEEZNS1_14transform_implILb0ES3_S5_PjN6thrust23THRUST_200600_302600_NS6detail15normal_iteratorINS9_10device_ptrIjEEEENS0_8identityIjEEEE10hipError_tT2_T3_mT4_P12ihipStream_tbEUlT_E_NS1_11comp_targetILNS1_3genE0ELNS1_11target_archE4294967295ELNS1_3gpuE0ELNS1_3repE0EEENS1_30default_config_static_selectorELNS0_4arch9wavefront6targetE1EEEvT1_
    .private_segment_fixed_size: 0
    .sgpr_count:     4
    .sgpr_spill_count: 0
    .symbol:         _ZN7rocprim17ROCPRIM_400000_NS6detail17trampoline_kernelINS0_14default_configENS1_25transform_config_selectorIjLb0EEEZNS1_14transform_implILb0ES3_S5_PjN6thrust23THRUST_200600_302600_NS6detail15normal_iteratorINS9_10device_ptrIjEEEENS0_8identityIjEEEE10hipError_tT2_T3_mT4_P12ihipStream_tbEUlT_E_NS1_11comp_targetILNS1_3genE0ELNS1_11target_archE4294967295ELNS1_3gpuE0ELNS1_3repE0EEENS1_30default_config_static_selectorELNS0_4arch9wavefront6targetE1EEEvT1_.kd
    .uniform_work_group_size: 1
    .uses_dynamic_stack: false
    .vgpr_count:     0
    .vgpr_spill_count: 0
    .wavefront_size: 64
  - .agpr_count:     0
    .args:
      - .offset:         0
        .size:           40
        .value_kind:     by_value
    .group_segment_fixed_size: 0
    .kernarg_segment_align: 8
    .kernarg_segment_size: 40
    .language:       OpenCL C
    .language_version:
      - 2
      - 0
    .max_flat_workgroup_size: 512
    .name:           _ZN7rocprim17ROCPRIM_400000_NS6detail17trampoline_kernelINS0_14default_configENS1_25transform_config_selectorIjLb0EEEZNS1_14transform_implILb0ES3_S5_PjN6thrust23THRUST_200600_302600_NS6detail15normal_iteratorINS9_10device_ptrIjEEEENS0_8identityIjEEEE10hipError_tT2_T3_mT4_P12ihipStream_tbEUlT_E_NS1_11comp_targetILNS1_3genE5ELNS1_11target_archE942ELNS1_3gpuE9ELNS1_3repE0EEENS1_30default_config_static_selectorELNS0_4arch9wavefront6targetE1EEEvT1_
    .private_segment_fixed_size: 0
    .sgpr_count:     4
    .sgpr_spill_count: 0
    .symbol:         _ZN7rocprim17ROCPRIM_400000_NS6detail17trampoline_kernelINS0_14default_configENS1_25transform_config_selectorIjLb0EEEZNS1_14transform_implILb0ES3_S5_PjN6thrust23THRUST_200600_302600_NS6detail15normal_iteratorINS9_10device_ptrIjEEEENS0_8identityIjEEEE10hipError_tT2_T3_mT4_P12ihipStream_tbEUlT_E_NS1_11comp_targetILNS1_3genE5ELNS1_11target_archE942ELNS1_3gpuE9ELNS1_3repE0EEENS1_30default_config_static_selectorELNS0_4arch9wavefront6targetE1EEEvT1_.kd
    .uniform_work_group_size: 1
    .uses_dynamic_stack: false
    .vgpr_count:     0
    .vgpr_spill_count: 0
    .wavefront_size: 64
  - .agpr_count:     0
    .args:
      - .offset:         0
        .size:           40
        .value_kind:     by_value
      - .offset:         40
        .size:           4
        .value_kind:     hidden_block_count_x
      - .offset:         44
        .size:           4
        .value_kind:     hidden_block_count_y
      - .offset:         48
        .size:           4
        .value_kind:     hidden_block_count_z
      - .offset:         52
        .size:           2
        .value_kind:     hidden_group_size_x
      - .offset:         54
        .size:           2
        .value_kind:     hidden_group_size_y
      - .offset:         56
        .size:           2
        .value_kind:     hidden_group_size_z
      - .offset:         58
        .size:           2
        .value_kind:     hidden_remainder_x
      - .offset:         60
        .size:           2
        .value_kind:     hidden_remainder_y
      - .offset:         62
        .size:           2
        .value_kind:     hidden_remainder_z
      - .offset:         80
        .size:           8
        .value_kind:     hidden_global_offset_x
      - .offset:         88
        .size:           8
        .value_kind:     hidden_global_offset_y
      - .offset:         96
        .size:           8
        .value_kind:     hidden_global_offset_z
      - .offset:         104
        .size:           2
        .value_kind:     hidden_grid_dims
    .group_segment_fixed_size: 0
    .kernarg_segment_align: 8
    .kernarg_segment_size: 296
    .language:       OpenCL C
    .language_version:
      - 2
      - 0
    .max_flat_workgroup_size: 1024
    .name:           _ZN7rocprim17ROCPRIM_400000_NS6detail17trampoline_kernelINS0_14default_configENS1_25transform_config_selectorIjLb0EEEZNS1_14transform_implILb0ES3_S5_PjN6thrust23THRUST_200600_302600_NS6detail15normal_iteratorINS9_10device_ptrIjEEEENS0_8identityIjEEEE10hipError_tT2_T3_mT4_P12ihipStream_tbEUlT_E_NS1_11comp_targetILNS1_3genE4ELNS1_11target_archE910ELNS1_3gpuE8ELNS1_3repE0EEENS1_30default_config_static_selectorELNS0_4arch9wavefront6targetE1EEEvT1_
    .private_segment_fixed_size: 0
    .sgpr_count:     20
    .sgpr_spill_count: 0
    .symbol:         _ZN7rocprim17ROCPRIM_400000_NS6detail17trampoline_kernelINS0_14default_configENS1_25transform_config_selectorIjLb0EEEZNS1_14transform_implILb0ES3_S5_PjN6thrust23THRUST_200600_302600_NS6detail15normal_iteratorINS9_10device_ptrIjEEEENS0_8identityIjEEEE10hipError_tT2_T3_mT4_P12ihipStream_tbEUlT_E_NS1_11comp_targetILNS1_3genE4ELNS1_11target_archE910ELNS1_3gpuE8ELNS1_3repE0EEENS1_30default_config_static_selectorELNS0_4arch9wavefront6targetE1EEEvT1_.kd
    .uniform_work_group_size: 1
    .uses_dynamic_stack: false
    .vgpr_count:     7
    .vgpr_spill_count: 0
    .wavefront_size: 64
  - .agpr_count:     0
    .args:
      - .offset:         0
        .size:           40
        .value_kind:     by_value
    .group_segment_fixed_size: 0
    .kernarg_segment_align: 8
    .kernarg_segment_size: 40
    .language:       OpenCL C
    .language_version:
      - 2
      - 0
    .max_flat_workgroup_size: 128
    .name:           _ZN7rocprim17ROCPRIM_400000_NS6detail17trampoline_kernelINS0_14default_configENS1_25transform_config_selectorIjLb0EEEZNS1_14transform_implILb0ES3_S5_PjN6thrust23THRUST_200600_302600_NS6detail15normal_iteratorINS9_10device_ptrIjEEEENS0_8identityIjEEEE10hipError_tT2_T3_mT4_P12ihipStream_tbEUlT_E_NS1_11comp_targetILNS1_3genE3ELNS1_11target_archE908ELNS1_3gpuE7ELNS1_3repE0EEENS1_30default_config_static_selectorELNS0_4arch9wavefront6targetE1EEEvT1_
    .private_segment_fixed_size: 0
    .sgpr_count:     4
    .sgpr_spill_count: 0
    .symbol:         _ZN7rocprim17ROCPRIM_400000_NS6detail17trampoline_kernelINS0_14default_configENS1_25transform_config_selectorIjLb0EEEZNS1_14transform_implILb0ES3_S5_PjN6thrust23THRUST_200600_302600_NS6detail15normal_iteratorINS9_10device_ptrIjEEEENS0_8identityIjEEEE10hipError_tT2_T3_mT4_P12ihipStream_tbEUlT_E_NS1_11comp_targetILNS1_3genE3ELNS1_11target_archE908ELNS1_3gpuE7ELNS1_3repE0EEENS1_30default_config_static_selectorELNS0_4arch9wavefront6targetE1EEEvT1_.kd
    .uniform_work_group_size: 1
    .uses_dynamic_stack: false
    .vgpr_count:     0
    .vgpr_spill_count: 0
    .wavefront_size: 64
  - .agpr_count:     0
    .args:
      - .offset:         0
        .size:           40
        .value_kind:     by_value
    .group_segment_fixed_size: 0
    .kernarg_segment_align: 8
    .kernarg_segment_size: 40
    .language:       OpenCL C
    .language_version:
      - 2
      - 0
    .max_flat_workgroup_size: 1024
    .name:           _ZN7rocprim17ROCPRIM_400000_NS6detail17trampoline_kernelINS0_14default_configENS1_25transform_config_selectorIjLb0EEEZNS1_14transform_implILb0ES3_S5_PjN6thrust23THRUST_200600_302600_NS6detail15normal_iteratorINS9_10device_ptrIjEEEENS0_8identityIjEEEE10hipError_tT2_T3_mT4_P12ihipStream_tbEUlT_E_NS1_11comp_targetILNS1_3genE2ELNS1_11target_archE906ELNS1_3gpuE6ELNS1_3repE0EEENS1_30default_config_static_selectorELNS0_4arch9wavefront6targetE1EEEvT1_
    .private_segment_fixed_size: 0
    .sgpr_count:     4
    .sgpr_spill_count: 0
    .symbol:         _ZN7rocprim17ROCPRIM_400000_NS6detail17trampoline_kernelINS0_14default_configENS1_25transform_config_selectorIjLb0EEEZNS1_14transform_implILb0ES3_S5_PjN6thrust23THRUST_200600_302600_NS6detail15normal_iteratorINS9_10device_ptrIjEEEENS0_8identityIjEEEE10hipError_tT2_T3_mT4_P12ihipStream_tbEUlT_E_NS1_11comp_targetILNS1_3genE2ELNS1_11target_archE906ELNS1_3gpuE6ELNS1_3repE0EEENS1_30default_config_static_selectorELNS0_4arch9wavefront6targetE1EEEvT1_.kd
    .uniform_work_group_size: 1
    .uses_dynamic_stack: false
    .vgpr_count:     0
    .vgpr_spill_count: 0
    .wavefront_size: 64
  - .agpr_count:     0
    .args:
      - .offset:         0
        .size:           40
        .value_kind:     by_value
    .group_segment_fixed_size: 0
    .kernarg_segment_align: 8
    .kernarg_segment_size: 40
    .language:       OpenCL C
    .language_version:
      - 2
      - 0
    .max_flat_workgroup_size: 1024
    .name:           _ZN7rocprim17ROCPRIM_400000_NS6detail17trampoline_kernelINS0_14default_configENS1_25transform_config_selectorIjLb0EEEZNS1_14transform_implILb0ES3_S5_PjN6thrust23THRUST_200600_302600_NS6detail15normal_iteratorINS9_10device_ptrIjEEEENS0_8identityIjEEEE10hipError_tT2_T3_mT4_P12ihipStream_tbEUlT_E_NS1_11comp_targetILNS1_3genE10ELNS1_11target_archE1201ELNS1_3gpuE5ELNS1_3repE0EEENS1_30default_config_static_selectorELNS0_4arch9wavefront6targetE1EEEvT1_
    .private_segment_fixed_size: 0
    .sgpr_count:     4
    .sgpr_spill_count: 0
    .symbol:         _ZN7rocprim17ROCPRIM_400000_NS6detail17trampoline_kernelINS0_14default_configENS1_25transform_config_selectorIjLb0EEEZNS1_14transform_implILb0ES3_S5_PjN6thrust23THRUST_200600_302600_NS6detail15normal_iteratorINS9_10device_ptrIjEEEENS0_8identityIjEEEE10hipError_tT2_T3_mT4_P12ihipStream_tbEUlT_E_NS1_11comp_targetILNS1_3genE10ELNS1_11target_archE1201ELNS1_3gpuE5ELNS1_3repE0EEENS1_30default_config_static_selectorELNS0_4arch9wavefront6targetE1EEEvT1_.kd
    .uniform_work_group_size: 1
    .uses_dynamic_stack: false
    .vgpr_count:     0
    .vgpr_spill_count: 0
    .wavefront_size: 64
  - .agpr_count:     0
    .args:
      - .offset:         0
        .size:           40
        .value_kind:     by_value
    .group_segment_fixed_size: 0
    .kernarg_segment_align: 8
    .kernarg_segment_size: 40
    .language:       OpenCL C
    .language_version:
      - 2
      - 0
    .max_flat_workgroup_size: 512
    .name:           _ZN7rocprim17ROCPRIM_400000_NS6detail17trampoline_kernelINS0_14default_configENS1_25transform_config_selectorIjLb0EEEZNS1_14transform_implILb0ES3_S5_PjN6thrust23THRUST_200600_302600_NS6detail15normal_iteratorINS9_10device_ptrIjEEEENS0_8identityIjEEEE10hipError_tT2_T3_mT4_P12ihipStream_tbEUlT_E_NS1_11comp_targetILNS1_3genE10ELNS1_11target_archE1200ELNS1_3gpuE4ELNS1_3repE0EEENS1_30default_config_static_selectorELNS0_4arch9wavefront6targetE1EEEvT1_
    .private_segment_fixed_size: 0
    .sgpr_count:     4
    .sgpr_spill_count: 0
    .symbol:         _ZN7rocprim17ROCPRIM_400000_NS6detail17trampoline_kernelINS0_14default_configENS1_25transform_config_selectorIjLb0EEEZNS1_14transform_implILb0ES3_S5_PjN6thrust23THRUST_200600_302600_NS6detail15normal_iteratorINS9_10device_ptrIjEEEENS0_8identityIjEEEE10hipError_tT2_T3_mT4_P12ihipStream_tbEUlT_E_NS1_11comp_targetILNS1_3genE10ELNS1_11target_archE1200ELNS1_3gpuE4ELNS1_3repE0EEENS1_30default_config_static_selectorELNS0_4arch9wavefront6targetE1EEEvT1_.kd
    .uniform_work_group_size: 1
    .uses_dynamic_stack: false
    .vgpr_count:     0
    .vgpr_spill_count: 0
    .wavefront_size: 64
  - .agpr_count:     0
    .args:
      - .offset:         0
        .size:           40
        .value_kind:     by_value
    .group_segment_fixed_size: 0
    .kernarg_segment_align: 8
    .kernarg_segment_size: 40
    .language:       OpenCL C
    .language_version:
      - 2
      - 0
    .max_flat_workgroup_size: 64
    .name:           _ZN7rocprim17ROCPRIM_400000_NS6detail17trampoline_kernelINS0_14default_configENS1_25transform_config_selectorIjLb0EEEZNS1_14transform_implILb0ES3_S5_PjN6thrust23THRUST_200600_302600_NS6detail15normal_iteratorINS9_10device_ptrIjEEEENS0_8identityIjEEEE10hipError_tT2_T3_mT4_P12ihipStream_tbEUlT_E_NS1_11comp_targetILNS1_3genE9ELNS1_11target_archE1100ELNS1_3gpuE3ELNS1_3repE0EEENS1_30default_config_static_selectorELNS0_4arch9wavefront6targetE1EEEvT1_
    .private_segment_fixed_size: 0
    .sgpr_count:     4
    .sgpr_spill_count: 0
    .symbol:         _ZN7rocprim17ROCPRIM_400000_NS6detail17trampoline_kernelINS0_14default_configENS1_25transform_config_selectorIjLb0EEEZNS1_14transform_implILb0ES3_S5_PjN6thrust23THRUST_200600_302600_NS6detail15normal_iteratorINS9_10device_ptrIjEEEENS0_8identityIjEEEE10hipError_tT2_T3_mT4_P12ihipStream_tbEUlT_E_NS1_11comp_targetILNS1_3genE9ELNS1_11target_archE1100ELNS1_3gpuE3ELNS1_3repE0EEENS1_30default_config_static_selectorELNS0_4arch9wavefront6targetE1EEEvT1_.kd
    .uniform_work_group_size: 1
    .uses_dynamic_stack: false
    .vgpr_count:     0
    .vgpr_spill_count: 0
    .wavefront_size: 64
  - .agpr_count:     0
    .args:
      - .offset:         0
        .size:           40
        .value_kind:     by_value
    .group_segment_fixed_size: 0
    .kernarg_segment_align: 8
    .kernarg_segment_size: 40
    .language:       OpenCL C
    .language_version:
      - 2
      - 0
    .max_flat_workgroup_size: 256
    .name:           _ZN7rocprim17ROCPRIM_400000_NS6detail17trampoline_kernelINS0_14default_configENS1_25transform_config_selectorIjLb0EEEZNS1_14transform_implILb0ES3_S5_PjN6thrust23THRUST_200600_302600_NS6detail15normal_iteratorINS9_10device_ptrIjEEEENS0_8identityIjEEEE10hipError_tT2_T3_mT4_P12ihipStream_tbEUlT_E_NS1_11comp_targetILNS1_3genE8ELNS1_11target_archE1030ELNS1_3gpuE2ELNS1_3repE0EEENS1_30default_config_static_selectorELNS0_4arch9wavefront6targetE1EEEvT1_
    .private_segment_fixed_size: 0
    .sgpr_count:     4
    .sgpr_spill_count: 0
    .symbol:         _ZN7rocprim17ROCPRIM_400000_NS6detail17trampoline_kernelINS0_14default_configENS1_25transform_config_selectorIjLb0EEEZNS1_14transform_implILb0ES3_S5_PjN6thrust23THRUST_200600_302600_NS6detail15normal_iteratorINS9_10device_ptrIjEEEENS0_8identityIjEEEE10hipError_tT2_T3_mT4_P12ihipStream_tbEUlT_E_NS1_11comp_targetILNS1_3genE8ELNS1_11target_archE1030ELNS1_3gpuE2ELNS1_3repE0EEENS1_30default_config_static_selectorELNS0_4arch9wavefront6targetE1EEEvT1_.kd
    .uniform_work_group_size: 1
    .uses_dynamic_stack: false
    .vgpr_count:     0
    .vgpr_spill_count: 0
    .wavefront_size: 64
  - .agpr_count:     0
    .args:
      - .offset:         0
        .size:           40
        .value_kind:     by_value
    .group_segment_fixed_size: 0
    .kernarg_segment_align: 8
    .kernarg_segment_size: 40
    .language:       OpenCL C
    .language_version:
      - 2
      - 0
    .max_flat_workgroup_size: 128
    .name:           _ZN7rocprim17ROCPRIM_400000_NS6detail17trampoline_kernelINS0_14default_configENS1_38merge_sort_block_merge_config_selectorIjNS0_10empty_typeEEEZZNS1_27merge_sort_block_merge_implIS3_N6thrust23THRUST_200600_302600_NS6detail15normal_iteratorINS9_10device_ptrIjEEEEPS5_jNS1_19radix_merge_compareILb0ELb1EjNS0_19identity_decomposerEEEEE10hipError_tT0_T1_T2_jT3_P12ihipStream_tbPNSt15iterator_traitsISK_E10value_typeEPNSQ_ISL_E10value_typeEPSM_NS1_7vsmem_tEENKUlT_SK_SL_SM_E_clIPjSE_SF_SF_EESJ_SZ_SK_SL_SM_EUlSZ_E_NS1_11comp_targetILNS1_3genE0ELNS1_11target_archE4294967295ELNS1_3gpuE0ELNS1_3repE0EEENS1_48merge_mergepath_partition_config_static_selectorELNS0_4arch9wavefront6targetE1EEEvSL_
    .private_segment_fixed_size: 0
    .sgpr_count:     4
    .sgpr_spill_count: 0
    .symbol:         _ZN7rocprim17ROCPRIM_400000_NS6detail17trampoline_kernelINS0_14default_configENS1_38merge_sort_block_merge_config_selectorIjNS0_10empty_typeEEEZZNS1_27merge_sort_block_merge_implIS3_N6thrust23THRUST_200600_302600_NS6detail15normal_iteratorINS9_10device_ptrIjEEEEPS5_jNS1_19radix_merge_compareILb0ELb1EjNS0_19identity_decomposerEEEEE10hipError_tT0_T1_T2_jT3_P12ihipStream_tbPNSt15iterator_traitsISK_E10value_typeEPNSQ_ISL_E10value_typeEPSM_NS1_7vsmem_tEENKUlT_SK_SL_SM_E_clIPjSE_SF_SF_EESJ_SZ_SK_SL_SM_EUlSZ_E_NS1_11comp_targetILNS1_3genE0ELNS1_11target_archE4294967295ELNS1_3gpuE0ELNS1_3repE0EEENS1_48merge_mergepath_partition_config_static_selectorELNS0_4arch9wavefront6targetE1EEEvSL_.kd
    .uniform_work_group_size: 1
    .uses_dynamic_stack: false
    .vgpr_count:     0
    .vgpr_spill_count: 0
    .wavefront_size: 64
  - .agpr_count:     0
    .args:
      - .offset:         0
        .size:           40
        .value_kind:     by_value
    .group_segment_fixed_size: 0
    .kernarg_segment_align: 8
    .kernarg_segment_size: 40
    .language:       OpenCL C
    .language_version:
      - 2
      - 0
    .max_flat_workgroup_size: 128
    .name:           _ZN7rocprim17ROCPRIM_400000_NS6detail17trampoline_kernelINS0_14default_configENS1_38merge_sort_block_merge_config_selectorIjNS0_10empty_typeEEEZZNS1_27merge_sort_block_merge_implIS3_N6thrust23THRUST_200600_302600_NS6detail15normal_iteratorINS9_10device_ptrIjEEEEPS5_jNS1_19radix_merge_compareILb0ELb1EjNS0_19identity_decomposerEEEEE10hipError_tT0_T1_T2_jT3_P12ihipStream_tbPNSt15iterator_traitsISK_E10value_typeEPNSQ_ISL_E10value_typeEPSM_NS1_7vsmem_tEENKUlT_SK_SL_SM_E_clIPjSE_SF_SF_EESJ_SZ_SK_SL_SM_EUlSZ_E_NS1_11comp_targetILNS1_3genE10ELNS1_11target_archE1201ELNS1_3gpuE5ELNS1_3repE0EEENS1_48merge_mergepath_partition_config_static_selectorELNS0_4arch9wavefront6targetE1EEEvSL_
    .private_segment_fixed_size: 0
    .sgpr_count:     4
    .sgpr_spill_count: 0
    .symbol:         _ZN7rocprim17ROCPRIM_400000_NS6detail17trampoline_kernelINS0_14default_configENS1_38merge_sort_block_merge_config_selectorIjNS0_10empty_typeEEEZZNS1_27merge_sort_block_merge_implIS3_N6thrust23THRUST_200600_302600_NS6detail15normal_iteratorINS9_10device_ptrIjEEEEPS5_jNS1_19radix_merge_compareILb0ELb1EjNS0_19identity_decomposerEEEEE10hipError_tT0_T1_T2_jT3_P12ihipStream_tbPNSt15iterator_traitsISK_E10value_typeEPNSQ_ISL_E10value_typeEPSM_NS1_7vsmem_tEENKUlT_SK_SL_SM_E_clIPjSE_SF_SF_EESJ_SZ_SK_SL_SM_EUlSZ_E_NS1_11comp_targetILNS1_3genE10ELNS1_11target_archE1201ELNS1_3gpuE5ELNS1_3repE0EEENS1_48merge_mergepath_partition_config_static_selectorELNS0_4arch9wavefront6targetE1EEEvSL_.kd
    .uniform_work_group_size: 1
    .uses_dynamic_stack: false
    .vgpr_count:     0
    .vgpr_spill_count: 0
    .wavefront_size: 64
  - .agpr_count:     0
    .args:
      - .offset:         0
        .size:           40
        .value_kind:     by_value
    .group_segment_fixed_size: 0
    .kernarg_segment_align: 8
    .kernarg_segment_size: 40
    .language:       OpenCL C
    .language_version:
      - 2
      - 0
    .max_flat_workgroup_size: 128
    .name:           _ZN7rocprim17ROCPRIM_400000_NS6detail17trampoline_kernelINS0_14default_configENS1_38merge_sort_block_merge_config_selectorIjNS0_10empty_typeEEEZZNS1_27merge_sort_block_merge_implIS3_N6thrust23THRUST_200600_302600_NS6detail15normal_iteratorINS9_10device_ptrIjEEEEPS5_jNS1_19radix_merge_compareILb0ELb1EjNS0_19identity_decomposerEEEEE10hipError_tT0_T1_T2_jT3_P12ihipStream_tbPNSt15iterator_traitsISK_E10value_typeEPNSQ_ISL_E10value_typeEPSM_NS1_7vsmem_tEENKUlT_SK_SL_SM_E_clIPjSE_SF_SF_EESJ_SZ_SK_SL_SM_EUlSZ_E_NS1_11comp_targetILNS1_3genE5ELNS1_11target_archE942ELNS1_3gpuE9ELNS1_3repE0EEENS1_48merge_mergepath_partition_config_static_selectorELNS0_4arch9wavefront6targetE1EEEvSL_
    .private_segment_fixed_size: 0
    .sgpr_count:     4
    .sgpr_spill_count: 0
    .symbol:         _ZN7rocprim17ROCPRIM_400000_NS6detail17trampoline_kernelINS0_14default_configENS1_38merge_sort_block_merge_config_selectorIjNS0_10empty_typeEEEZZNS1_27merge_sort_block_merge_implIS3_N6thrust23THRUST_200600_302600_NS6detail15normal_iteratorINS9_10device_ptrIjEEEEPS5_jNS1_19radix_merge_compareILb0ELb1EjNS0_19identity_decomposerEEEEE10hipError_tT0_T1_T2_jT3_P12ihipStream_tbPNSt15iterator_traitsISK_E10value_typeEPNSQ_ISL_E10value_typeEPSM_NS1_7vsmem_tEENKUlT_SK_SL_SM_E_clIPjSE_SF_SF_EESJ_SZ_SK_SL_SM_EUlSZ_E_NS1_11comp_targetILNS1_3genE5ELNS1_11target_archE942ELNS1_3gpuE9ELNS1_3repE0EEENS1_48merge_mergepath_partition_config_static_selectorELNS0_4arch9wavefront6targetE1EEEvSL_.kd
    .uniform_work_group_size: 1
    .uses_dynamic_stack: false
    .vgpr_count:     0
    .vgpr_spill_count: 0
    .wavefront_size: 64
  - .agpr_count:     0
    .args:
      - .offset:         0
        .size:           40
        .value_kind:     by_value
    .group_segment_fixed_size: 0
    .kernarg_segment_align: 8
    .kernarg_segment_size: 40
    .language:       OpenCL C
    .language_version:
      - 2
      - 0
    .max_flat_workgroup_size: 128
    .name:           _ZN7rocprim17ROCPRIM_400000_NS6detail17trampoline_kernelINS0_14default_configENS1_38merge_sort_block_merge_config_selectorIjNS0_10empty_typeEEEZZNS1_27merge_sort_block_merge_implIS3_N6thrust23THRUST_200600_302600_NS6detail15normal_iteratorINS9_10device_ptrIjEEEEPS5_jNS1_19radix_merge_compareILb0ELb1EjNS0_19identity_decomposerEEEEE10hipError_tT0_T1_T2_jT3_P12ihipStream_tbPNSt15iterator_traitsISK_E10value_typeEPNSQ_ISL_E10value_typeEPSM_NS1_7vsmem_tEENKUlT_SK_SL_SM_E_clIPjSE_SF_SF_EESJ_SZ_SK_SL_SM_EUlSZ_E_NS1_11comp_targetILNS1_3genE4ELNS1_11target_archE910ELNS1_3gpuE8ELNS1_3repE0EEENS1_48merge_mergepath_partition_config_static_selectorELNS0_4arch9wavefront6targetE1EEEvSL_
    .private_segment_fixed_size: 0
    .sgpr_count:     14
    .sgpr_spill_count: 0
    .symbol:         _ZN7rocprim17ROCPRIM_400000_NS6detail17trampoline_kernelINS0_14default_configENS1_38merge_sort_block_merge_config_selectorIjNS0_10empty_typeEEEZZNS1_27merge_sort_block_merge_implIS3_N6thrust23THRUST_200600_302600_NS6detail15normal_iteratorINS9_10device_ptrIjEEEEPS5_jNS1_19radix_merge_compareILb0ELb1EjNS0_19identity_decomposerEEEEE10hipError_tT0_T1_T2_jT3_P12ihipStream_tbPNSt15iterator_traitsISK_E10value_typeEPNSQ_ISL_E10value_typeEPSM_NS1_7vsmem_tEENKUlT_SK_SL_SM_E_clIPjSE_SF_SF_EESJ_SZ_SK_SL_SM_EUlSZ_E_NS1_11comp_targetILNS1_3genE4ELNS1_11target_archE910ELNS1_3gpuE8ELNS1_3repE0EEENS1_48merge_mergepath_partition_config_static_selectorELNS0_4arch9wavefront6targetE1EEEvSL_.kd
    .uniform_work_group_size: 1
    .uses_dynamic_stack: false
    .vgpr_count:     17
    .vgpr_spill_count: 0
    .wavefront_size: 64
  - .agpr_count:     0
    .args:
      - .offset:         0
        .size:           40
        .value_kind:     by_value
    .group_segment_fixed_size: 0
    .kernarg_segment_align: 8
    .kernarg_segment_size: 40
    .language:       OpenCL C
    .language_version:
      - 2
      - 0
    .max_flat_workgroup_size: 128
    .name:           _ZN7rocprim17ROCPRIM_400000_NS6detail17trampoline_kernelINS0_14default_configENS1_38merge_sort_block_merge_config_selectorIjNS0_10empty_typeEEEZZNS1_27merge_sort_block_merge_implIS3_N6thrust23THRUST_200600_302600_NS6detail15normal_iteratorINS9_10device_ptrIjEEEEPS5_jNS1_19radix_merge_compareILb0ELb1EjNS0_19identity_decomposerEEEEE10hipError_tT0_T1_T2_jT3_P12ihipStream_tbPNSt15iterator_traitsISK_E10value_typeEPNSQ_ISL_E10value_typeEPSM_NS1_7vsmem_tEENKUlT_SK_SL_SM_E_clIPjSE_SF_SF_EESJ_SZ_SK_SL_SM_EUlSZ_E_NS1_11comp_targetILNS1_3genE3ELNS1_11target_archE908ELNS1_3gpuE7ELNS1_3repE0EEENS1_48merge_mergepath_partition_config_static_selectorELNS0_4arch9wavefront6targetE1EEEvSL_
    .private_segment_fixed_size: 0
    .sgpr_count:     4
    .sgpr_spill_count: 0
    .symbol:         _ZN7rocprim17ROCPRIM_400000_NS6detail17trampoline_kernelINS0_14default_configENS1_38merge_sort_block_merge_config_selectorIjNS0_10empty_typeEEEZZNS1_27merge_sort_block_merge_implIS3_N6thrust23THRUST_200600_302600_NS6detail15normal_iteratorINS9_10device_ptrIjEEEEPS5_jNS1_19radix_merge_compareILb0ELb1EjNS0_19identity_decomposerEEEEE10hipError_tT0_T1_T2_jT3_P12ihipStream_tbPNSt15iterator_traitsISK_E10value_typeEPNSQ_ISL_E10value_typeEPSM_NS1_7vsmem_tEENKUlT_SK_SL_SM_E_clIPjSE_SF_SF_EESJ_SZ_SK_SL_SM_EUlSZ_E_NS1_11comp_targetILNS1_3genE3ELNS1_11target_archE908ELNS1_3gpuE7ELNS1_3repE0EEENS1_48merge_mergepath_partition_config_static_selectorELNS0_4arch9wavefront6targetE1EEEvSL_.kd
    .uniform_work_group_size: 1
    .uses_dynamic_stack: false
    .vgpr_count:     0
    .vgpr_spill_count: 0
    .wavefront_size: 64
  - .agpr_count:     0
    .args:
      - .offset:         0
        .size:           40
        .value_kind:     by_value
    .group_segment_fixed_size: 0
    .kernarg_segment_align: 8
    .kernarg_segment_size: 40
    .language:       OpenCL C
    .language_version:
      - 2
      - 0
    .max_flat_workgroup_size: 128
    .name:           _ZN7rocprim17ROCPRIM_400000_NS6detail17trampoline_kernelINS0_14default_configENS1_38merge_sort_block_merge_config_selectorIjNS0_10empty_typeEEEZZNS1_27merge_sort_block_merge_implIS3_N6thrust23THRUST_200600_302600_NS6detail15normal_iteratorINS9_10device_ptrIjEEEEPS5_jNS1_19radix_merge_compareILb0ELb1EjNS0_19identity_decomposerEEEEE10hipError_tT0_T1_T2_jT3_P12ihipStream_tbPNSt15iterator_traitsISK_E10value_typeEPNSQ_ISL_E10value_typeEPSM_NS1_7vsmem_tEENKUlT_SK_SL_SM_E_clIPjSE_SF_SF_EESJ_SZ_SK_SL_SM_EUlSZ_E_NS1_11comp_targetILNS1_3genE2ELNS1_11target_archE906ELNS1_3gpuE6ELNS1_3repE0EEENS1_48merge_mergepath_partition_config_static_selectorELNS0_4arch9wavefront6targetE1EEEvSL_
    .private_segment_fixed_size: 0
    .sgpr_count:     4
    .sgpr_spill_count: 0
    .symbol:         _ZN7rocprim17ROCPRIM_400000_NS6detail17trampoline_kernelINS0_14default_configENS1_38merge_sort_block_merge_config_selectorIjNS0_10empty_typeEEEZZNS1_27merge_sort_block_merge_implIS3_N6thrust23THRUST_200600_302600_NS6detail15normal_iteratorINS9_10device_ptrIjEEEEPS5_jNS1_19radix_merge_compareILb0ELb1EjNS0_19identity_decomposerEEEEE10hipError_tT0_T1_T2_jT3_P12ihipStream_tbPNSt15iterator_traitsISK_E10value_typeEPNSQ_ISL_E10value_typeEPSM_NS1_7vsmem_tEENKUlT_SK_SL_SM_E_clIPjSE_SF_SF_EESJ_SZ_SK_SL_SM_EUlSZ_E_NS1_11comp_targetILNS1_3genE2ELNS1_11target_archE906ELNS1_3gpuE6ELNS1_3repE0EEENS1_48merge_mergepath_partition_config_static_selectorELNS0_4arch9wavefront6targetE1EEEvSL_.kd
    .uniform_work_group_size: 1
    .uses_dynamic_stack: false
    .vgpr_count:     0
    .vgpr_spill_count: 0
    .wavefront_size: 64
  - .agpr_count:     0
    .args:
      - .offset:         0
        .size:           40
        .value_kind:     by_value
    .group_segment_fixed_size: 0
    .kernarg_segment_align: 8
    .kernarg_segment_size: 40
    .language:       OpenCL C
    .language_version:
      - 2
      - 0
    .max_flat_workgroup_size: 128
    .name:           _ZN7rocprim17ROCPRIM_400000_NS6detail17trampoline_kernelINS0_14default_configENS1_38merge_sort_block_merge_config_selectorIjNS0_10empty_typeEEEZZNS1_27merge_sort_block_merge_implIS3_N6thrust23THRUST_200600_302600_NS6detail15normal_iteratorINS9_10device_ptrIjEEEEPS5_jNS1_19radix_merge_compareILb0ELb1EjNS0_19identity_decomposerEEEEE10hipError_tT0_T1_T2_jT3_P12ihipStream_tbPNSt15iterator_traitsISK_E10value_typeEPNSQ_ISL_E10value_typeEPSM_NS1_7vsmem_tEENKUlT_SK_SL_SM_E_clIPjSE_SF_SF_EESJ_SZ_SK_SL_SM_EUlSZ_E_NS1_11comp_targetILNS1_3genE9ELNS1_11target_archE1100ELNS1_3gpuE3ELNS1_3repE0EEENS1_48merge_mergepath_partition_config_static_selectorELNS0_4arch9wavefront6targetE1EEEvSL_
    .private_segment_fixed_size: 0
    .sgpr_count:     4
    .sgpr_spill_count: 0
    .symbol:         _ZN7rocprim17ROCPRIM_400000_NS6detail17trampoline_kernelINS0_14default_configENS1_38merge_sort_block_merge_config_selectorIjNS0_10empty_typeEEEZZNS1_27merge_sort_block_merge_implIS3_N6thrust23THRUST_200600_302600_NS6detail15normal_iteratorINS9_10device_ptrIjEEEEPS5_jNS1_19radix_merge_compareILb0ELb1EjNS0_19identity_decomposerEEEEE10hipError_tT0_T1_T2_jT3_P12ihipStream_tbPNSt15iterator_traitsISK_E10value_typeEPNSQ_ISL_E10value_typeEPSM_NS1_7vsmem_tEENKUlT_SK_SL_SM_E_clIPjSE_SF_SF_EESJ_SZ_SK_SL_SM_EUlSZ_E_NS1_11comp_targetILNS1_3genE9ELNS1_11target_archE1100ELNS1_3gpuE3ELNS1_3repE0EEENS1_48merge_mergepath_partition_config_static_selectorELNS0_4arch9wavefront6targetE1EEEvSL_.kd
    .uniform_work_group_size: 1
    .uses_dynamic_stack: false
    .vgpr_count:     0
    .vgpr_spill_count: 0
    .wavefront_size: 64
  - .agpr_count:     0
    .args:
      - .offset:         0
        .size:           40
        .value_kind:     by_value
    .group_segment_fixed_size: 0
    .kernarg_segment_align: 8
    .kernarg_segment_size: 40
    .language:       OpenCL C
    .language_version:
      - 2
      - 0
    .max_flat_workgroup_size: 128
    .name:           _ZN7rocprim17ROCPRIM_400000_NS6detail17trampoline_kernelINS0_14default_configENS1_38merge_sort_block_merge_config_selectorIjNS0_10empty_typeEEEZZNS1_27merge_sort_block_merge_implIS3_N6thrust23THRUST_200600_302600_NS6detail15normal_iteratorINS9_10device_ptrIjEEEEPS5_jNS1_19radix_merge_compareILb0ELb1EjNS0_19identity_decomposerEEEEE10hipError_tT0_T1_T2_jT3_P12ihipStream_tbPNSt15iterator_traitsISK_E10value_typeEPNSQ_ISL_E10value_typeEPSM_NS1_7vsmem_tEENKUlT_SK_SL_SM_E_clIPjSE_SF_SF_EESJ_SZ_SK_SL_SM_EUlSZ_E_NS1_11comp_targetILNS1_3genE8ELNS1_11target_archE1030ELNS1_3gpuE2ELNS1_3repE0EEENS1_48merge_mergepath_partition_config_static_selectorELNS0_4arch9wavefront6targetE1EEEvSL_
    .private_segment_fixed_size: 0
    .sgpr_count:     4
    .sgpr_spill_count: 0
    .symbol:         _ZN7rocprim17ROCPRIM_400000_NS6detail17trampoline_kernelINS0_14default_configENS1_38merge_sort_block_merge_config_selectorIjNS0_10empty_typeEEEZZNS1_27merge_sort_block_merge_implIS3_N6thrust23THRUST_200600_302600_NS6detail15normal_iteratorINS9_10device_ptrIjEEEEPS5_jNS1_19radix_merge_compareILb0ELb1EjNS0_19identity_decomposerEEEEE10hipError_tT0_T1_T2_jT3_P12ihipStream_tbPNSt15iterator_traitsISK_E10value_typeEPNSQ_ISL_E10value_typeEPSM_NS1_7vsmem_tEENKUlT_SK_SL_SM_E_clIPjSE_SF_SF_EESJ_SZ_SK_SL_SM_EUlSZ_E_NS1_11comp_targetILNS1_3genE8ELNS1_11target_archE1030ELNS1_3gpuE2ELNS1_3repE0EEENS1_48merge_mergepath_partition_config_static_selectorELNS0_4arch9wavefront6targetE1EEEvSL_.kd
    .uniform_work_group_size: 1
    .uses_dynamic_stack: false
    .vgpr_count:     0
    .vgpr_spill_count: 0
    .wavefront_size: 64
  - .agpr_count:     0
    .args:
      - .offset:         0
        .size:           64
        .value_kind:     by_value
    .group_segment_fixed_size: 0
    .kernarg_segment_align: 8
    .kernarg_segment_size: 64
    .language:       OpenCL C
    .language_version:
      - 2
      - 0
    .max_flat_workgroup_size: 128
    .name:           _ZN7rocprim17ROCPRIM_400000_NS6detail17trampoline_kernelINS0_14default_configENS1_38merge_sort_block_merge_config_selectorIjNS0_10empty_typeEEEZZNS1_27merge_sort_block_merge_implIS3_N6thrust23THRUST_200600_302600_NS6detail15normal_iteratorINS9_10device_ptrIjEEEEPS5_jNS1_19radix_merge_compareILb0ELb1EjNS0_19identity_decomposerEEEEE10hipError_tT0_T1_T2_jT3_P12ihipStream_tbPNSt15iterator_traitsISK_E10value_typeEPNSQ_ISL_E10value_typeEPSM_NS1_7vsmem_tEENKUlT_SK_SL_SM_E_clIPjSE_SF_SF_EESJ_SZ_SK_SL_SM_EUlSZ_E0_NS1_11comp_targetILNS1_3genE0ELNS1_11target_archE4294967295ELNS1_3gpuE0ELNS1_3repE0EEENS1_38merge_mergepath_config_static_selectorELNS0_4arch9wavefront6targetE1EEEvSL_
    .private_segment_fixed_size: 0
    .sgpr_count:     4
    .sgpr_spill_count: 0
    .symbol:         _ZN7rocprim17ROCPRIM_400000_NS6detail17trampoline_kernelINS0_14default_configENS1_38merge_sort_block_merge_config_selectorIjNS0_10empty_typeEEEZZNS1_27merge_sort_block_merge_implIS3_N6thrust23THRUST_200600_302600_NS6detail15normal_iteratorINS9_10device_ptrIjEEEEPS5_jNS1_19radix_merge_compareILb0ELb1EjNS0_19identity_decomposerEEEEE10hipError_tT0_T1_T2_jT3_P12ihipStream_tbPNSt15iterator_traitsISK_E10value_typeEPNSQ_ISL_E10value_typeEPSM_NS1_7vsmem_tEENKUlT_SK_SL_SM_E_clIPjSE_SF_SF_EESJ_SZ_SK_SL_SM_EUlSZ_E0_NS1_11comp_targetILNS1_3genE0ELNS1_11target_archE4294967295ELNS1_3gpuE0ELNS1_3repE0EEENS1_38merge_mergepath_config_static_selectorELNS0_4arch9wavefront6targetE1EEEvSL_.kd
    .uniform_work_group_size: 1
    .uses_dynamic_stack: false
    .vgpr_count:     0
    .vgpr_spill_count: 0
    .wavefront_size: 64
  - .agpr_count:     0
    .args:
      - .offset:         0
        .size:           64
        .value_kind:     by_value
    .group_segment_fixed_size: 0
    .kernarg_segment_align: 8
    .kernarg_segment_size: 64
    .language:       OpenCL C
    .language_version:
      - 2
      - 0
    .max_flat_workgroup_size: 256
    .name:           _ZN7rocprim17ROCPRIM_400000_NS6detail17trampoline_kernelINS0_14default_configENS1_38merge_sort_block_merge_config_selectorIjNS0_10empty_typeEEEZZNS1_27merge_sort_block_merge_implIS3_N6thrust23THRUST_200600_302600_NS6detail15normal_iteratorINS9_10device_ptrIjEEEEPS5_jNS1_19radix_merge_compareILb0ELb1EjNS0_19identity_decomposerEEEEE10hipError_tT0_T1_T2_jT3_P12ihipStream_tbPNSt15iterator_traitsISK_E10value_typeEPNSQ_ISL_E10value_typeEPSM_NS1_7vsmem_tEENKUlT_SK_SL_SM_E_clIPjSE_SF_SF_EESJ_SZ_SK_SL_SM_EUlSZ_E0_NS1_11comp_targetILNS1_3genE10ELNS1_11target_archE1201ELNS1_3gpuE5ELNS1_3repE0EEENS1_38merge_mergepath_config_static_selectorELNS0_4arch9wavefront6targetE1EEEvSL_
    .private_segment_fixed_size: 0
    .sgpr_count:     4
    .sgpr_spill_count: 0
    .symbol:         _ZN7rocprim17ROCPRIM_400000_NS6detail17trampoline_kernelINS0_14default_configENS1_38merge_sort_block_merge_config_selectorIjNS0_10empty_typeEEEZZNS1_27merge_sort_block_merge_implIS3_N6thrust23THRUST_200600_302600_NS6detail15normal_iteratorINS9_10device_ptrIjEEEEPS5_jNS1_19radix_merge_compareILb0ELb1EjNS0_19identity_decomposerEEEEE10hipError_tT0_T1_T2_jT3_P12ihipStream_tbPNSt15iterator_traitsISK_E10value_typeEPNSQ_ISL_E10value_typeEPSM_NS1_7vsmem_tEENKUlT_SK_SL_SM_E_clIPjSE_SF_SF_EESJ_SZ_SK_SL_SM_EUlSZ_E0_NS1_11comp_targetILNS1_3genE10ELNS1_11target_archE1201ELNS1_3gpuE5ELNS1_3repE0EEENS1_38merge_mergepath_config_static_selectorELNS0_4arch9wavefront6targetE1EEEvSL_.kd
    .uniform_work_group_size: 1
    .uses_dynamic_stack: false
    .vgpr_count:     0
    .vgpr_spill_count: 0
    .wavefront_size: 64
  - .agpr_count:     0
    .args:
      - .offset:         0
        .size:           64
        .value_kind:     by_value
    .group_segment_fixed_size: 0
    .kernarg_segment_align: 8
    .kernarg_segment_size: 64
    .language:       OpenCL C
    .language_version:
      - 2
      - 0
    .max_flat_workgroup_size: 128
    .name:           _ZN7rocprim17ROCPRIM_400000_NS6detail17trampoline_kernelINS0_14default_configENS1_38merge_sort_block_merge_config_selectorIjNS0_10empty_typeEEEZZNS1_27merge_sort_block_merge_implIS3_N6thrust23THRUST_200600_302600_NS6detail15normal_iteratorINS9_10device_ptrIjEEEEPS5_jNS1_19radix_merge_compareILb0ELb1EjNS0_19identity_decomposerEEEEE10hipError_tT0_T1_T2_jT3_P12ihipStream_tbPNSt15iterator_traitsISK_E10value_typeEPNSQ_ISL_E10value_typeEPSM_NS1_7vsmem_tEENKUlT_SK_SL_SM_E_clIPjSE_SF_SF_EESJ_SZ_SK_SL_SM_EUlSZ_E0_NS1_11comp_targetILNS1_3genE5ELNS1_11target_archE942ELNS1_3gpuE9ELNS1_3repE0EEENS1_38merge_mergepath_config_static_selectorELNS0_4arch9wavefront6targetE1EEEvSL_
    .private_segment_fixed_size: 0
    .sgpr_count:     4
    .sgpr_spill_count: 0
    .symbol:         _ZN7rocprim17ROCPRIM_400000_NS6detail17trampoline_kernelINS0_14default_configENS1_38merge_sort_block_merge_config_selectorIjNS0_10empty_typeEEEZZNS1_27merge_sort_block_merge_implIS3_N6thrust23THRUST_200600_302600_NS6detail15normal_iteratorINS9_10device_ptrIjEEEEPS5_jNS1_19radix_merge_compareILb0ELb1EjNS0_19identity_decomposerEEEEE10hipError_tT0_T1_T2_jT3_P12ihipStream_tbPNSt15iterator_traitsISK_E10value_typeEPNSQ_ISL_E10value_typeEPSM_NS1_7vsmem_tEENKUlT_SK_SL_SM_E_clIPjSE_SF_SF_EESJ_SZ_SK_SL_SM_EUlSZ_E0_NS1_11comp_targetILNS1_3genE5ELNS1_11target_archE942ELNS1_3gpuE9ELNS1_3repE0EEENS1_38merge_mergepath_config_static_selectorELNS0_4arch9wavefront6targetE1EEEvSL_.kd
    .uniform_work_group_size: 1
    .uses_dynamic_stack: false
    .vgpr_count:     0
    .vgpr_spill_count: 0
    .wavefront_size: 64
  - .agpr_count:     0
    .args:
      - .offset:         0
        .size:           64
        .value_kind:     by_value
      - .offset:         64
        .size:           4
        .value_kind:     hidden_block_count_x
      - .offset:         68
        .size:           4
        .value_kind:     hidden_block_count_y
      - .offset:         72
        .size:           4
        .value_kind:     hidden_block_count_z
      - .offset:         76
        .size:           2
        .value_kind:     hidden_group_size_x
      - .offset:         78
        .size:           2
        .value_kind:     hidden_group_size_y
      - .offset:         80
        .size:           2
        .value_kind:     hidden_group_size_z
      - .offset:         82
        .size:           2
        .value_kind:     hidden_remainder_x
      - .offset:         84
        .size:           2
        .value_kind:     hidden_remainder_y
      - .offset:         86
        .size:           2
        .value_kind:     hidden_remainder_z
      - .offset:         104
        .size:           8
        .value_kind:     hidden_global_offset_x
      - .offset:         112
        .size:           8
        .value_kind:     hidden_global_offset_y
      - .offset:         120
        .size:           8
        .value_kind:     hidden_global_offset_z
      - .offset:         128
        .size:           2
        .value_kind:     hidden_grid_dims
    .group_segment_fixed_size: 4224
    .kernarg_segment_align: 8
    .kernarg_segment_size: 320
    .language:       OpenCL C
    .language_version:
      - 2
      - 0
    .max_flat_workgroup_size: 128
    .name:           _ZN7rocprim17ROCPRIM_400000_NS6detail17trampoline_kernelINS0_14default_configENS1_38merge_sort_block_merge_config_selectorIjNS0_10empty_typeEEEZZNS1_27merge_sort_block_merge_implIS3_N6thrust23THRUST_200600_302600_NS6detail15normal_iteratorINS9_10device_ptrIjEEEEPS5_jNS1_19radix_merge_compareILb0ELb1EjNS0_19identity_decomposerEEEEE10hipError_tT0_T1_T2_jT3_P12ihipStream_tbPNSt15iterator_traitsISK_E10value_typeEPNSQ_ISL_E10value_typeEPSM_NS1_7vsmem_tEENKUlT_SK_SL_SM_E_clIPjSE_SF_SF_EESJ_SZ_SK_SL_SM_EUlSZ_E0_NS1_11comp_targetILNS1_3genE4ELNS1_11target_archE910ELNS1_3gpuE8ELNS1_3repE0EEENS1_38merge_mergepath_config_static_selectorELNS0_4arch9wavefront6targetE1EEEvSL_
    .private_segment_fixed_size: 0
    .sgpr_count:     29
    .sgpr_spill_count: 0
    .symbol:         _ZN7rocprim17ROCPRIM_400000_NS6detail17trampoline_kernelINS0_14default_configENS1_38merge_sort_block_merge_config_selectorIjNS0_10empty_typeEEEZZNS1_27merge_sort_block_merge_implIS3_N6thrust23THRUST_200600_302600_NS6detail15normal_iteratorINS9_10device_ptrIjEEEEPS5_jNS1_19radix_merge_compareILb0ELb1EjNS0_19identity_decomposerEEEEE10hipError_tT0_T1_T2_jT3_P12ihipStream_tbPNSt15iterator_traitsISK_E10value_typeEPNSQ_ISL_E10value_typeEPSM_NS1_7vsmem_tEENKUlT_SK_SL_SM_E_clIPjSE_SF_SF_EESJ_SZ_SK_SL_SM_EUlSZ_E0_NS1_11comp_targetILNS1_3genE4ELNS1_11target_archE910ELNS1_3gpuE8ELNS1_3repE0EEENS1_38merge_mergepath_config_static_selectorELNS0_4arch9wavefront6targetE1EEEvSL_.kd
    .uniform_work_group_size: 1
    .uses_dynamic_stack: false
    .vgpr_count:     26
    .vgpr_spill_count: 0
    .wavefront_size: 64
  - .agpr_count:     0
    .args:
      - .offset:         0
        .size:           64
        .value_kind:     by_value
    .group_segment_fixed_size: 0
    .kernarg_segment_align: 8
    .kernarg_segment_size: 64
    .language:       OpenCL C
    .language_version:
      - 2
      - 0
    .max_flat_workgroup_size: 128
    .name:           _ZN7rocprim17ROCPRIM_400000_NS6detail17trampoline_kernelINS0_14default_configENS1_38merge_sort_block_merge_config_selectorIjNS0_10empty_typeEEEZZNS1_27merge_sort_block_merge_implIS3_N6thrust23THRUST_200600_302600_NS6detail15normal_iteratorINS9_10device_ptrIjEEEEPS5_jNS1_19radix_merge_compareILb0ELb1EjNS0_19identity_decomposerEEEEE10hipError_tT0_T1_T2_jT3_P12ihipStream_tbPNSt15iterator_traitsISK_E10value_typeEPNSQ_ISL_E10value_typeEPSM_NS1_7vsmem_tEENKUlT_SK_SL_SM_E_clIPjSE_SF_SF_EESJ_SZ_SK_SL_SM_EUlSZ_E0_NS1_11comp_targetILNS1_3genE3ELNS1_11target_archE908ELNS1_3gpuE7ELNS1_3repE0EEENS1_38merge_mergepath_config_static_selectorELNS0_4arch9wavefront6targetE1EEEvSL_
    .private_segment_fixed_size: 0
    .sgpr_count:     4
    .sgpr_spill_count: 0
    .symbol:         _ZN7rocprim17ROCPRIM_400000_NS6detail17trampoline_kernelINS0_14default_configENS1_38merge_sort_block_merge_config_selectorIjNS0_10empty_typeEEEZZNS1_27merge_sort_block_merge_implIS3_N6thrust23THRUST_200600_302600_NS6detail15normal_iteratorINS9_10device_ptrIjEEEEPS5_jNS1_19radix_merge_compareILb0ELb1EjNS0_19identity_decomposerEEEEE10hipError_tT0_T1_T2_jT3_P12ihipStream_tbPNSt15iterator_traitsISK_E10value_typeEPNSQ_ISL_E10value_typeEPSM_NS1_7vsmem_tEENKUlT_SK_SL_SM_E_clIPjSE_SF_SF_EESJ_SZ_SK_SL_SM_EUlSZ_E0_NS1_11comp_targetILNS1_3genE3ELNS1_11target_archE908ELNS1_3gpuE7ELNS1_3repE0EEENS1_38merge_mergepath_config_static_selectorELNS0_4arch9wavefront6targetE1EEEvSL_.kd
    .uniform_work_group_size: 1
    .uses_dynamic_stack: false
    .vgpr_count:     0
    .vgpr_spill_count: 0
    .wavefront_size: 64
  - .agpr_count:     0
    .args:
      - .offset:         0
        .size:           64
        .value_kind:     by_value
    .group_segment_fixed_size: 0
    .kernarg_segment_align: 8
    .kernarg_segment_size: 64
    .language:       OpenCL C
    .language_version:
      - 2
      - 0
    .max_flat_workgroup_size: 128
    .name:           _ZN7rocprim17ROCPRIM_400000_NS6detail17trampoline_kernelINS0_14default_configENS1_38merge_sort_block_merge_config_selectorIjNS0_10empty_typeEEEZZNS1_27merge_sort_block_merge_implIS3_N6thrust23THRUST_200600_302600_NS6detail15normal_iteratorINS9_10device_ptrIjEEEEPS5_jNS1_19radix_merge_compareILb0ELb1EjNS0_19identity_decomposerEEEEE10hipError_tT0_T1_T2_jT3_P12ihipStream_tbPNSt15iterator_traitsISK_E10value_typeEPNSQ_ISL_E10value_typeEPSM_NS1_7vsmem_tEENKUlT_SK_SL_SM_E_clIPjSE_SF_SF_EESJ_SZ_SK_SL_SM_EUlSZ_E0_NS1_11comp_targetILNS1_3genE2ELNS1_11target_archE906ELNS1_3gpuE6ELNS1_3repE0EEENS1_38merge_mergepath_config_static_selectorELNS0_4arch9wavefront6targetE1EEEvSL_
    .private_segment_fixed_size: 0
    .sgpr_count:     4
    .sgpr_spill_count: 0
    .symbol:         _ZN7rocprim17ROCPRIM_400000_NS6detail17trampoline_kernelINS0_14default_configENS1_38merge_sort_block_merge_config_selectorIjNS0_10empty_typeEEEZZNS1_27merge_sort_block_merge_implIS3_N6thrust23THRUST_200600_302600_NS6detail15normal_iteratorINS9_10device_ptrIjEEEEPS5_jNS1_19radix_merge_compareILb0ELb1EjNS0_19identity_decomposerEEEEE10hipError_tT0_T1_T2_jT3_P12ihipStream_tbPNSt15iterator_traitsISK_E10value_typeEPNSQ_ISL_E10value_typeEPSM_NS1_7vsmem_tEENKUlT_SK_SL_SM_E_clIPjSE_SF_SF_EESJ_SZ_SK_SL_SM_EUlSZ_E0_NS1_11comp_targetILNS1_3genE2ELNS1_11target_archE906ELNS1_3gpuE6ELNS1_3repE0EEENS1_38merge_mergepath_config_static_selectorELNS0_4arch9wavefront6targetE1EEEvSL_.kd
    .uniform_work_group_size: 1
    .uses_dynamic_stack: false
    .vgpr_count:     0
    .vgpr_spill_count: 0
    .wavefront_size: 64
  - .agpr_count:     0
    .args:
      - .offset:         0
        .size:           64
        .value_kind:     by_value
    .group_segment_fixed_size: 0
    .kernarg_segment_align: 8
    .kernarg_segment_size: 64
    .language:       OpenCL C
    .language_version:
      - 2
      - 0
    .max_flat_workgroup_size: 256
    .name:           _ZN7rocprim17ROCPRIM_400000_NS6detail17trampoline_kernelINS0_14default_configENS1_38merge_sort_block_merge_config_selectorIjNS0_10empty_typeEEEZZNS1_27merge_sort_block_merge_implIS3_N6thrust23THRUST_200600_302600_NS6detail15normal_iteratorINS9_10device_ptrIjEEEEPS5_jNS1_19radix_merge_compareILb0ELb1EjNS0_19identity_decomposerEEEEE10hipError_tT0_T1_T2_jT3_P12ihipStream_tbPNSt15iterator_traitsISK_E10value_typeEPNSQ_ISL_E10value_typeEPSM_NS1_7vsmem_tEENKUlT_SK_SL_SM_E_clIPjSE_SF_SF_EESJ_SZ_SK_SL_SM_EUlSZ_E0_NS1_11comp_targetILNS1_3genE9ELNS1_11target_archE1100ELNS1_3gpuE3ELNS1_3repE0EEENS1_38merge_mergepath_config_static_selectorELNS0_4arch9wavefront6targetE1EEEvSL_
    .private_segment_fixed_size: 0
    .sgpr_count:     4
    .sgpr_spill_count: 0
    .symbol:         _ZN7rocprim17ROCPRIM_400000_NS6detail17trampoline_kernelINS0_14default_configENS1_38merge_sort_block_merge_config_selectorIjNS0_10empty_typeEEEZZNS1_27merge_sort_block_merge_implIS3_N6thrust23THRUST_200600_302600_NS6detail15normal_iteratorINS9_10device_ptrIjEEEEPS5_jNS1_19radix_merge_compareILb0ELb1EjNS0_19identity_decomposerEEEEE10hipError_tT0_T1_T2_jT3_P12ihipStream_tbPNSt15iterator_traitsISK_E10value_typeEPNSQ_ISL_E10value_typeEPSM_NS1_7vsmem_tEENKUlT_SK_SL_SM_E_clIPjSE_SF_SF_EESJ_SZ_SK_SL_SM_EUlSZ_E0_NS1_11comp_targetILNS1_3genE9ELNS1_11target_archE1100ELNS1_3gpuE3ELNS1_3repE0EEENS1_38merge_mergepath_config_static_selectorELNS0_4arch9wavefront6targetE1EEEvSL_.kd
    .uniform_work_group_size: 1
    .uses_dynamic_stack: false
    .vgpr_count:     0
    .vgpr_spill_count: 0
    .wavefront_size: 64
  - .agpr_count:     0
    .args:
      - .offset:         0
        .size:           64
        .value_kind:     by_value
    .group_segment_fixed_size: 0
    .kernarg_segment_align: 8
    .kernarg_segment_size: 64
    .language:       OpenCL C
    .language_version:
      - 2
      - 0
    .max_flat_workgroup_size: 512
    .name:           _ZN7rocprim17ROCPRIM_400000_NS6detail17trampoline_kernelINS0_14default_configENS1_38merge_sort_block_merge_config_selectorIjNS0_10empty_typeEEEZZNS1_27merge_sort_block_merge_implIS3_N6thrust23THRUST_200600_302600_NS6detail15normal_iteratorINS9_10device_ptrIjEEEEPS5_jNS1_19radix_merge_compareILb0ELb1EjNS0_19identity_decomposerEEEEE10hipError_tT0_T1_T2_jT3_P12ihipStream_tbPNSt15iterator_traitsISK_E10value_typeEPNSQ_ISL_E10value_typeEPSM_NS1_7vsmem_tEENKUlT_SK_SL_SM_E_clIPjSE_SF_SF_EESJ_SZ_SK_SL_SM_EUlSZ_E0_NS1_11comp_targetILNS1_3genE8ELNS1_11target_archE1030ELNS1_3gpuE2ELNS1_3repE0EEENS1_38merge_mergepath_config_static_selectorELNS0_4arch9wavefront6targetE1EEEvSL_
    .private_segment_fixed_size: 0
    .sgpr_count:     4
    .sgpr_spill_count: 0
    .symbol:         _ZN7rocprim17ROCPRIM_400000_NS6detail17trampoline_kernelINS0_14default_configENS1_38merge_sort_block_merge_config_selectorIjNS0_10empty_typeEEEZZNS1_27merge_sort_block_merge_implIS3_N6thrust23THRUST_200600_302600_NS6detail15normal_iteratorINS9_10device_ptrIjEEEEPS5_jNS1_19radix_merge_compareILb0ELb1EjNS0_19identity_decomposerEEEEE10hipError_tT0_T1_T2_jT3_P12ihipStream_tbPNSt15iterator_traitsISK_E10value_typeEPNSQ_ISL_E10value_typeEPSM_NS1_7vsmem_tEENKUlT_SK_SL_SM_E_clIPjSE_SF_SF_EESJ_SZ_SK_SL_SM_EUlSZ_E0_NS1_11comp_targetILNS1_3genE8ELNS1_11target_archE1030ELNS1_3gpuE2ELNS1_3repE0EEENS1_38merge_mergepath_config_static_selectorELNS0_4arch9wavefront6targetE1EEEvSL_.kd
    .uniform_work_group_size: 1
    .uses_dynamic_stack: false
    .vgpr_count:     0
    .vgpr_spill_count: 0
    .wavefront_size: 64
  - .agpr_count:     0
    .args:
      - .offset:         0
        .size:           48
        .value_kind:     by_value
    .group_segment_fixed_size: 0
    .kernarg_segment_align: 8
    .kernarg_segment_size: 48
    .language:       OpenCL C
    .language_version:
      - 2
      - 0
    .max_flat_workgroup_size: 256
    .name:           _ZN7rocprim17ROCPRIM_400000_NS6detail17trampoline_kernelINS0_14default_configENS1_38merge_sort_block_merge_config_selectorIjNS0_10empty_typeEEEZZNS1_27merge_sort_block_merge_implIS3_N6thrust23THRUST_200600_302600_NS6detail15normal_iteratorINS9_10device_ptrIjEEEEPS5_jNS1_19radix_merge_compareILb0ELb1EjNS0_19identity_decomposerEEEEE10hipError_tT0_T1_T2_jT3_P12ihipStream_tbPNSt15iterator_traitsISK_E10value_typeEPNSQ_ISL_E10value_typeEPSM_NS1_7vsmem_tEENKUlT_SK_SL_SM_E_clIPjSE_SF_SF_EESJ_SZ_SK_SL_SM_EUlSZ_E1_NS1_11comp_targetILNS1_3genE0ELNS1_11target_archE4294967295ELNS1_3gpuE0ELNS1_3repE0EEENS1_36merge_oddeven_config_static_selectorELNS0_4arch9wavefront6targetE1EEEvSL_
    .private_segment_fixed_size: 0
    .sgpr_count:     4
    .sgpr_spill_count: 0
    .symbol:         _ZN7rocprim17ROCPRIM_400000_NS6detail17trampoline_kernelINS0_14default_configENS1_38merge_sort_block_merge_config_selectorIjNS0_10empty_typeEEEZZNS1_27merge_sort_block_merge_implIS3_N6thrust23THRUST_200600_302600_NS6detail15normal_iteratorINS9_10device_ptrIjEEEEPS5_jNS1_19radix_merge_compareILb0ELb1EjNS0_19identity_decomposerEEEEE10hipError_tT0_T1_T2_jT3_P12ihipStream_tbPNSt15iterator_traitsISK_E10value_typeEPNSQ_ISL_E10value_typeEPSM_NS1_7vsmem_tEENKUlT_SK_SL_SM_E_clIPjSE_SF_SF_EESJ_SZ_SK_SL_SM_EUlSZ_E1_NS1_11comp_targetILNS1_3genE0ELNS1_11target_archE4294967295ELNS1_3gpuE0ELNS1_3repE0EEENS1_36merge_oddeven_config_static_selectorELNS0_4arch9wavefront6targetE1EEEvSL_.kd
    .uniform_work_group_size: 1
    .uses_dynamic_stack: false
    .vgpr_count:     0
    .vgpr_spill_count: 0
    .wavefront_size: 64
  - .agpr_count:     0
    .args:
      - .offset:         0
        .size:           48
        .value_kind:     by_value
    .group_segment_fixed_size: 0
    .kernarg_segment_align: 8
    .kernarg_segment_size: 48
    .language:       OpenCL C
    .language_version:
      - 2
      - 0
    .max_flat_workgroup_size: 256
    .name:           _ZN7rocprim17ROCPRIM_400000_NS6detail17trampoline_kernelINS0_14default_configENS1_38merge_sort_block_merge_config_selectorIjNS0_10empty_typeEEEZZNS1_27merge_sort_block_merge_implIS3_N6thrust23THRUST_200600_302600_NS6detail15normal_iteratorINS9_10device_ptrIjEEEEPS5_jNS1_19radix_merge_compareILb0ELb1EjNS0_19identity_decomposerEEEEE10hipError_tT0_T1_T2_jT3_P12ihipStream_tbPNSt15iterator_traitsISK_E10value_typeEPNSQ_ISL_E10value_typeEPSM_NS1_7vsmem_tEENKUlT_SK_SL_SM_E_clIPjSE_SF_SF_EESJ_SZ_SK_SL_SM_EUlSZ_E1_NS1_11comp_targetILNS1_3genE10ELNS1_11target_archE1201ELNS1_3gpuE5ELNS1_3repE0EEENS1_36merge_oddeven_config_static_selectorELNS0_4arch9wavefront6targetE1EEEvSL_
    .private_segment_fixed_size: 0
    .sgpr_count:     4
    .sgpr_spill_count: 0
    .symbol:         _ZN7rocprim17ROCPRIM_400000_NS6detail17trampoline_kernelINS0_14default_configENS1_38merge_sort_block_merge_config_selectorIjNS0_10empty_typeEEEZZNS1_27merge_sort_block_merge_implIS3_N6thrust23THRUST_200600_302600_NS6detail15normal_iteratorINS9_10device_ptrIjEEEEPS5_jNS1_19radix_merge_compareILb0ELb1EjNS0_19identity_decomposerEEEEE10hipError_tT0_T1_T2_jT3_P12ihipStream_tbPNSt15iterator_traitsISK_E10value_typeEPNSQ_ISL_E10value_typeEPSM_NS1_7vsmem_tEENKUlT_SK_SL_SM_E_clIPjSE_SF_SF_EESJ_SZ_SK_SL_SM_EUlSZ_E1_NS1_11comp_targetILNS1_3genE10ELNS1_11target_archE1201ELNS1_3gpuE5ELNS1_3repE0EEENS1_36merge_oddeven_config_static_selectorELNS0_4arch9wavefront6targetE1EEEvSL_.kd
    .uniform_work_group_size: 1
    .uses_dynamic_stack: false
    .vgpr_count:     0
    .vgpr_spill_count: 0
    .wavefront_size: 64
  - .agpr_count:     0
    .args:
      - .offset:         0
        .size:           48
        .value_kind:     by_value
    .group_segment_fixed_size: 0
    .kernarg_segment_align: 8
    .kernarg_segment_size: 48
    .language:       OpenCL C
    .language_version:
      - 2
      - 0
    .max_flat_workgroup_size: 256
    .name:           _ZN7rocprim17ROCPRIM_400000_NS6detail17trampoline_kernelINS0_14default_configENS1_38merge_sort_block_merge_config_selectorIjNS0_10empty_typeEEEZZNS1_27merge_sort_block_merge_implIS3_N6thrust23THRUST_200600_302600_NS6detail15normal_iteratorINS9_10device_ptrIjEEEEPS5_jNS1_19radix_merge_compareILb0ELb1EjNS0_19identity_decomposerEEEEE10hipError_tT0_T1_T2_jT3_P12ihipStream_tbPNSt15iterator_traitsISK_E10value_typeEPNSQ_ISL_E10value_typeEPSM_NS1_7vsmem_tEENKUlT_SK_SL_SM_E_clIPjSE_SF_SF_EESJ_SZ_SK_SL_SM_EUlSZ_E1_NS1_11comp_targetILNS1_3genE5ELNS1_11target_archE942ELNS1_3gpuE9ELNS1_3repE0EEENS1_36merge_oddeven_config_static_selectorELNS0_4arch9wavefront6targetE1EEEvSL_
    .private_segment_fixed_size: 0
    .sgpr_count:     4
    .sgpr_spill_count: 0
    .symbol:         _ZN7rocprim17ROCPRIM_400000_NS6detail17trampoline_kernelINS0_14default_configENS1_38merge_sort_block_merge_config_selectorIjNS0_10empty_typeEEEZZNS1_27merge_sort_block_merge_implIS3_N6thrust23THRUST_200600_302600_NS6detail15normal_iteratorINS9_10device_ptrIjEEEEPS5_jNS1_19radix_merge_compareILb0ELb1EjNS0_19identity_decomposerEEEEE10hipError_tT0_T1_T2_jT3_P12ihipStream_tbPNSt15iterator_traitsISK_E10value_typeEPNSQ_ISL_E10value_typeEPSM_NS1_7vsmem_tEENKUlT_SK_SL_SM_E_clIPjSE_SF_SF_EESJ_SZ_SK_SL_SM_EUlSZ_E1_NS1_11comp_targetILNS1_3genE5ELNS1_11target_archE942ELNS1_3gpuE9ELNS1_3repE0EEENS1_36merge_oddeven_config_static_selectorELNS0_4arch9wavefront6targetE1EEEvSL_.kd
    .uniform_work_group_size: 1
    .uses_dynamic_stack: false
    .vgpr_count:     0
    .vgpr_spill_count: 0
    .wavefront_size: 64
  - .agpr_count:     0
    .args:
      - .offset:         0
        .size:           48
        .value_kind:     by_value
    .group_segment_fixed_size: 0
    .kernarg_segment_align: 8
    .kernarg_segment_size: 48
    .language:       OpenCL C
    .language_version:
      - 2
      - 0
    .max_flat_workgroup_size: 256
    .name:           _ZN7rocprim17ROCPRIM_400000_NS6detail17trampoline_kernelINS0_14default_configENS1_38merge_sort_block_merge_config_selectorIjNS0_10empty_typeEEEZZNS1_27merge_sort_block_merge_implIS3_N6thrust23THRUST_200600_302600_NS6detail15normal_iteratorINS9_10device_ptrIjEEEEPS5_jNS1_19radix_merge_compareILb0ELb1EjNS0_19identity_decomposerEEEEE10hipError_tT0_T1_T2_jT3_P12ihipStream_tbPNSt15iterator_traitsISK_E10value_typeEPNSQ_ISL_E10value_typeEPSM_NS1_7vsmem_tEENKUlT_SK_SL_SM_E_clIPjSE_SF_SF_EESJ_SZ_SK_SL_SM_EUlSZ_E1_NS1_11comp_targetILNS1_3genE4ELNS1_11target_archE910ELNS1_3gpuE8ELNS1_3repE0EEENS1_36merge_oddeven_config_static_selectorELNS0_4arch9wavefront6targetE1EEEvSL_
    .private_segment_fixed_size: 0
    .sgpr_count:     25
    .sgpr_spill_count: 0
    .symbol:         _ZN7rocprim17ROCPRIM_400000_NS6detail17trampoline_kernelINS0_14default_configENS1_38merge_sort_block_merge_config_selectorIjNS0_10empty_typeEEEZZNS1_27merge_sort_block_merge_implIS3_N6thrust23THRUST_200600_302600_NS6detail15normal_iteratorINS9_10device_ptrIjEEEEPS5_jNS1_19radix_merge_compareILb0ELb1EjNS0_19identity_decomposerEEEEE10hipError_tT0_T1_T2_jT3_P12ihipStream_tbPNSt15iterator_traitsISK_E10value_typeEPNSQ_ISL_E10value_typeEPSM_NS1_7vsmem_tEENKUlT_SK_SL_SM_E_clIPjSE_SF_SF_EESJ_SZ_SK_SL_SM_EUlSZ_E1_NS1_11comp_targetILNS1_3genE4ELNS1_11target_archE910ELNS1_3gpuE8ELNS1_3repE0EEENS1_36merge_oddeven_config_static_selectorELNS0_4arch9wavefront6targetE1EEEvSL_.kd
    .uniform_work_group_size: 1
    .uses_dynamic_stack: false
    .vgpr_count:     11
    .vgpr_spill_count: 0
    .wavefront_size: 64
  - .agpr_count:     0
    .args:
      - .offset:         0
        .size:           48
        .value_kind:     by_value
    .group_segment_fixed_size: 0
    .kernarg_segment_align: 8
    .kernarg_segment_size: 48
    .language:       OpenCL C
    .language_version:
      - 2
      - 0
    .max_flat_workgroup_size: 256
    .name:           _ZN7rocprim17ROCPRIM_400000_NS6detail17trampoline_kernelINS0_14default_configENS1_38merge_sort_block_merge_config_selectorIjNS0_10empty_typeEEEZZNS1_27merge_sort_block_merge_implIS3_N6thrust23THRUST_200600_302600_NS6detail15normal_iteratorINS9_10device_ptrIjEEEEPS5_jNS1_19radix_merge_compareILb0ELb1EjNS0_19identity_decomposerEEEEE10hipError_tT0_T1_T2_jT3_P12ihipStream_tbPNSt15iterator_traitsISK_E10value_typeEPNSQ_ISL_E10value_typeEPSM_NS1_7vsmem_tEENKUlT_SK_SL_SM_E_clIPjSE_SF_SF_EESJ_SZ_SK_SL_SM_EUlSZ_E1_NS1_11comp_targetILNS1_3genE3ELNS1_11target_archE908ELNS1_3gpuE7ELNS1_3repE0EEENS1_36merge_oddeven_config_static_selectorELNS0_4arch9wavefront6targetE1EEEvSL_
    .private_segment_fixed_size: 0
    .sgpr_count:     4
    .sgpr_spill_count: 0
    .symbol:         _ZN7rocprim17ROCPRIM_400000_NS6detail17trampoline_kernelINS0_14default_configENS1_38merge_sort_block_merge_config_selectorIjNS0_10empty_typeEEEZZNS1_27merge_sort_block_merge_implIS3_N6thrust23THRUST_200600_302600_NS6detail15normal_iteratorINS9_10device_ptrIjEEEEPS5_jNS1_19radix_merge_compareILb0ELb1EjNS0_19identity_decomposerEEEEE10hipError_tT0_T1_T2_jT3_P12ihipStream_tbPNSt15iterator_traitsISK_E10value_typeEPNSQ_ISL_E10value_typeEPSM_NS1_7vsmem_tEENKUlT_SK_SL_SM_E_clIPjSE_SF_SF_EESJ_SZ_SK_SL_SM_EUlSZ_E1_NS1_11comp_targetILNS1_3genE3ELNS1_11target_archE908ELNS1_3gpuE7ELNS1_3repE0EEENS1_36merge_oddeven_config_static_selectorELNS0_4arch9wavefront6targetE1EEEvSL_.kd
    .uniform_work_group_size: 1
    .uses_dynamic_stack: false
    .vgpr_count:     0
    .vgpr_spill_count: 0
    .wavefront_size: 64
  - .agpr_count:     0
    .args:
      - .offset:         0
        .size:           48
        .value_kind:     by_value
    .group_segment_fixed_size: 0
    .kernarg_segment_align: 8
    .kernarg_segment_size: 48
    .language:       OpenCL C
    .language_version:
      - 2
      - 0
    .max_flat_workgroup_size: 256
    .name:           _ZN7rocprim17ROCPRIM_400000_NS6detail17trampoline_kernelINS0_14default_configENS1_38merge_sort_block_merge_config_selectorIjNS0_10empty_typeEEEZZNS1_27merge_sort_block_merge_implIS3_N6thrust23THRUST_200600_302600_NS6detail15normal_iteratorINS9_10device_ptrIjEEEEPS5_jNS1_19radix_merge_compareILb0ELb1EjNS0_19identity_decomposerEEEEE10hipError_tT0_T1_T2_jT3_P12ihipStream_tbPNSt15iterator_traitsISK_E10value_typeEPNSQ_ISL_E10value_typeEPSM_NS1_7vsmem_tEENKUlT_SK_SL_SM_E_clIPjSE_SF_SF_EESJ_SZ_SK_SL_SM_EUlSZ_E1_NS1_11comp_targetILNS1_3genE2ELNS1_11target_archE906ELNS1_3gpuE6ELNS1_3repE0EEENS1_36merge_oddeven_config_static_selectorELNS0_4arch9wavefront6targetE1EEEvSL_
    .private_segment_fixed_size: 0
    .sgpr_count:     4
    .sgpr_spill_count: 0
    .symbol:         _ZN7rocprim17ROCPRIM_400000_NS6detail17trampoline_kernelINS0_14default_configENS1_38merge_sort_block_merge_config_selectorIjNS0_10empty_typeEEEZZNS1_27merge_sort_block_merge_implIS3_N6thrust23THRUST_200600_302600_NS6detail15normal_iteratorINS9_10device_ptrIjEEEEPS5_jNS1_19radix_merge_compareILb0ELb1EjNS0_19identity_decomposerEEEEE10hipError_tT0_T1_T2_jT3_P12ihipStream_tbPNSt15iterator_traitsISK_E10value_typeEPNSQ_ISL_E10value_typeEPSM_NS1_7vsmem_tEENKUlT_SK_SL_SM_E_clIPjSE_SF_SF_EESJ_SZ_SK_SL_SM_EUlSZ_E1_NS1_11comp_targetILNS1_3genE2ELNS1_11target_archE906ELNS1_3gpuE6ELNS1_3repE0EEENS1_36merge_oddeven_config_static_selectorELNS0_4arch9wavefront6targetE1EEEvSL_.kd
    .uniform_work_group_size: 1
    .uses_dynamic_stack: false
    .vgpr_count:     0
    .vgpr_spill_count: 0
    .wavefront_size: 64
  - .agpr_count:     0
    .args:
      - .offset:         0
        .size:           48
        .value_kind:     by_value
    .group_segment_fixed_size: 0
    .kernarg_segment_align: 8
    .kernarg_segment_size: 48
    .language:       OpenCL C
    .language_version:
      - 2
      - 0
    .max_flat_workgroup_size: 256
    .name:           _ZN7rocprim17ROCPRIM_400000_NS6detail17trampoline_kernelINS0_14default_configENS1_38merge_sort_block_merge_config_selectorIjNS0_10empty_typeEEEZZNS1_27merge_sort_block_merge_implIS3_N6thrust23THRUST_200600_302600_NS6detail15normal_iteratorINS9_10device_ptrIjEEEEPS5_jNS1_19radix_merge_compareILb0ELb1EjNS0_19identity_decomposerEEEEE10hipError_tT0_T1_T2_jT3_P12ihipStream_tbPNSt15iterator_traitsISK_E10value_typeEPNSQ_ISL_E10value_typeEPSM_NS1_7vsmem_tEENKUlT_SK_SL_SM_E_clIPjSE_SF_SF_EESJ_SZ_SK_SL_SM_EUlSZ_E1_NS1_11comp_targetILNS1_3genE9ELNS1_11target_archE1100ELNS1_3gpuE3ELNS1_3repE0EEENS1_36merge_oddeven_config_static_selectorELNS0_4arch9wavefront6targetE1EEEvSL_
    .private_segment_fixed_size: 0
    .sgpr_count:     4
    .sgpr_spill_count: 0
    .symbol:         _ZN7rocprim17ROCPRIM_400000_NS6detail17trampoline_kernelINS0_14default_configENS1_38merge_sort_block_merge_config_selectorIjNS0_10empty_typeEEEZZNS1_27merge_sort_block_merge_implIS3_N6thrust23THRUST_200600_302600_NS6detail15normal_iteratorINS9_10device_ptrIjEEEEPS5_jNS1_19radix_merge_compareILb0ELb1EjNS0_19identity_decomposerEEEEE10hipError_tT0_T1_T2_jT3_P12ihipStream_tbPNSt15iterator_traitsISK_E10value_typeEPNSQ_ISL_E10value_typeEPSM_NS1_7vsmem_tEENKUlT_SK_SL_SM_E_clIPjSE_SF_SF_EESJ_SZ_SK_SL_SM_EUlSZ_E1_NS1_11comp_targetILNS1_3genE9ELNS1_11target_archE1100ELNS1_3gpuE3ELNS1_3repE0EEENS1_36merge_oddeven_config_static_selectorELNS0_4arch9wavefront6targetE1EEEvSL_.kd
    .uniform_work_group_size: 1
    .uses_dynamic_stack: false
    .vgpr_count:     0
    .vgpr_spill_count: 0
    .wavefront_size: 64
  - .agpr_count:     0
    .args:
      - .offset:         0
        .size:           48
        .value_kind:     by_value
    .group_segment_fixed_size: 0
    .kernarg_segment_align: 8
    .kernarg_segment_size: 48
    .language:       OpenCL C
    .language_version:
      - 2
      - 0
    .max_flat_workgroup_size: 256
    .name:           _ZN7rocprim17ROCPRIM_400000_NS6detail17trampoline_kernelINS0_14default_configENS1_38merge_sort_block_merge_config_selectorIjNS0_10empty_typeEEEZZNS1_27merge_sort_block_merge_implIS3_N6thrust23THRUST_200600_302600_NS6detail15normal_iteratorINS9_10device_ptrIjEEEEPS5_jNS1_19radix_merge_compareILb0ELb1EjNS0_19identity_decomposerEEEEE10hipError_tT0_T1_T2_jT3_P12ihipStream_tbPNSt15iterator_traitsISK_E10value_typeEPNSQ_ISL_E10value_typeEPSM_NS1_7vsmem_tEENKUlT_SK_SL_SM_E_clIPjSE_SF_SF_EESJ_SZ_SK_SL_SM_EUlSZ_E1_NS1_11comp_targetILNS1_3genE8ELNS1_11target_archE1030ELNS1_3gpuE2ELNS1_3repE0EEENS1_36merge_oddeven_config_static_selectorELNS0_4arch9wavefront6targetE1EEEvSL_
    .private_segment_fixed_size: 0
    .sgpr_count:     4
    .sgpr_spill_count: 0
    .symbol:         _ZN7rocprim17ROCPRIM_400000_NS6detail17trampoline_kernelINS0_14default_configENS1_38merge_sort_block_merge_config_selectorIjNS0_10empty_typeEEEZZNS1_27merge_sort_block_merge_implIS3_N6thrust23THRUST_200600_302600_NS6detail15normal_iteratorINS9_10device_ptrIjEEEEPS5_jNS1_19radix_merge_compareILb0ELb1EjNS0_19identity_decomposerEEEEE10hipError_tT0_T1_T2_jT3_P12ihipStream_tbPNSt15iterator_traitsISK_E10value_typeEPNSQ_ISL_E10value_typeEPSM_NS1_7vsmem_tEENKUlT_SK_SL_SM_E_clIPjSE_SF_SF_EESJ_SZ_SK_SL_SM_EUlSZ_E1_NS1_11comp_targetILNS1_3genE8ELNS1_11target_archE1030ELNS1_3gpuE2ELNS1_3repE0EEENS1_36merge_oddeven_config_static_selectorELNS0_4arch9wavefront6targetE1EEEvSL_.kd
    .uniform_work_group_size: 1
    .uses_dynamic_stack: false
    .vgpr_count:     0
    .vgpr_spill_count: 0
    .wavefront_size: 64
  - .agpr_count:     0
    .args:
      - .offset:         0
        .size:           40
        .value_kind:     by_value
    .group_segment_fixed_size: 0
    .kernarg_segment_align: 8
    .kernarg_segment_size: 40
    .language:       OpenCL C
    .language_version:
      - 2
      - 0
    .max_flat_workgroup_size: 128
    .name:           _ZN7rocprim17ROCPRIM_400000_NS6detail17trampoline_kernelINS0_14default_configENS1_38merge_sort_block_merge_config_selectorIjNS0_10empty_typeEEEZZNS1_27merge_sort_block_merge_implIS3_N6thrust23THRUST_200600_302600_NS6detail15normal_iteratorINS9_10device_ptrIjEEEEPS5_jNS1_19radix_merge_compareILb0ELb1EjNS0_19identity_decomposerEEEEE10hipError_tT0_T1_T2_jT3_P12ihipStream_tbPNSt15iterator_traitsISK_E10value_typeEPNSQ_ISL_E10value_typeEPSM_NS1_7vsmem_tEENKUlT_SK_SL_SM_E_clISE_PjSF_SF_EESJ_SZ_SK_SL_SM_EUlSZ_E_NS1_11comp_targetILNS1_3genE0ELNS1_11target_archE4294967295ELNS1_3gpuE0ELNS1_3repE0EEENS1_48merge_mergepath_partition_config_static_selectorELNS0_4arch9wavefront6targetE1EEEvSL_
    .private_segment_fixed_size: 0
    .sgpr_count:     4
    .sgpr_spill_count: 0
    .symbol:         _ZN7rocprim17ROCPRIM_400000_NS6detail17trampoline_kernelINS0_14default_configENS1_38merge_sort_block_merge_config_selectorIjNS0_10empty_typeEEEZZNS1_27merge_sort_block_merge_implIS3_N6thrust23THRUST_200600_302600_NS6detail15normal_iteratorINS9_10device_ptrIjEEEEPS5_jNS1_19radix_merge_compareILb0ELb1EjNS0_19identity_decomposerEEEEE10hipError_tT0_T1_T2_jT3_P12ihipStream_tbPNSt15iterator_traitsISK_E10value_typeEPNSQ_ISL_E10value_typeEPSM_NS1_7vsmem_tEENKUlT_SK_SL_SM_E_clISE_PjSF_SF_EESJ_SZ_SK_SL_SM_EUlSZ_E_NS1_11comp_targetILNS1_3genE0ELNS1_11target_archE4294967295ELNS1_3gpuE0ELNS1_3repE0EEENS1_48merge_mergepath_partition_config_static_selectorELNS0_4arch9wavefront6targetE1EEEvSL_.kd
    .uniform_work_group_size: 1
    .uses_dynamic_stack: false
    .vgpr_count:     0
    .vgpr_spill_count: 0
    .wavefront_size: 64
  - .agpr_count:     0
    .args:
      - .offset:         0
        .size:           40
        .value_kind:     by_value
    .group_segment_fixed_size: 0
    .kernarg_segment_align: 8
    .kernarg_segment_size: 40
    .language:       OpenCL C
    .language_version:
      - 2
      - 0
    .max_flat_workgroup_size: 128
    .name:           _ZN7rocprim17ROCPRIM_400000_NS6detail17trampoline_kernelINS0_14default_configENS1_38merge_sort_block_merge_config_selectorIjNS0_10empty_typeEEEZZNS1_27merge_sort_block_merge_implIS3_N6thrust23THRUST_200600_302600_NS6detail15normal_iteratorINS9_10device_ptrIjEEEEPS5_jNS1_19radix_merge_compareILb0ELb1EjNS0_19identity_decomposerEEEEE10hipError_tT0_T1_T2_jT3_P12ihipStream_tbPNSt15iterator_traitsISK_E10value_typeEPNSQ_ISL_E10value_typeEPSM_NS1_7vsmem_tEENKUlT_SK_SL_SM_E_clISE_PjSF_SF_EESJ_SZ_SK_SL_SM_EUlSZ_E_NS1_11comp_targetILNS1_3genE10ELNS1_11target_archE1201ELNS1_3gpuE5ELNS1_3repE0EEENS1_48merge_mergepath_partition_config_static_selectorELNS0_4arch9wavefront6targetE1EEEvSL_
    .private_segment_fixed_size: 0
    .sgpr_count:     4
    .sgpr_spill_count: 0
    .symbol:         _ZN7rocprim17ROCPRIM_400000_NS6detail17trampoline_kernelINS0_14default_configENS1_38merge_sort_block_merge_config_selectorIjNS0_10empty_typeEEEZZNS1_27merge_sort_block_merge_implIS3_N6thrust23THRUST_200600_302600_NS6detail15normal_iteratorINS9_10device_ptrIjEEEEPS5_jNS1_19radix_merge_compareILb0ELb1EjNS0_19identity_decomposerEEEEE10hipError_tT0_T1_T2_jT3_P12ihipStream_tbPNSt15iterator_traitsISK_E10value_typeEPNSQ_ISL_E10value_typeEPSM_NS1_7vsmem_tEENKUlT_SK_SL_SM_E_clISE_PjSF_SF_EESJ_SZ_SK_SL_SM_EUlSZ_E_NS1_11comp_targetILNS1_3genE10ELNS1_11target_archE1201ELNS1_3gpuE5ELNS1_3repE0EEENS1_48merge_mergepath_partition_config_static_selectorELNS0_4arch9wavefront6targetE1EEEvSL_.kd
    .uniform_work_group_size: 1
    .uses_dynamic_stack: false
    .vgpr_count:     0
    .vgpr_spill_count: 0
    .wavefront_size: 64
  - .agpr_count:     0
    .args:
      - .offset:         0
        .size:           40
        .value_kind:     by_value
    .group_segment_fixed_size: 0
    .kernarg_segment_align: 8
    .kernarg_segment_size: 40
    .language:       OpenCL C
    .language_version:
      - 2
      - 0
    .max_flat_workgroup_size: 128
    .name:           _ZN7rocprim17ROCPRIM_400000_NS6detail17trampoline_kernelINS0_14default_configENS1_38merge_sort_block_merge_config_selectorIjNS0_10empty_typeEEEZZNS1_27merge_sort_block_merge_implIS3_N6thrust23THRUST_200600_302600_NS6detail15normal_iteratorINS9_10device_ptrIjEEEEPS5_jNS1_19radix_merge_compareILb0ELb1EjNS0_19identity_decomposerEEEEE10hipError_tT0_T1_T2_jT3_P12ihipStream_tbPNSt15iterator_traitsISK_E10value_typeEPNSQ_ISL_E10value_typeEPSM_NS1_7vsmem_tEENKUlT_SK_SL_SM_E_clISE_PjSF_SF_EESJ_SZ_SK_SL_SM_EUlSZ_E_NS1_11comp_targetILNS1_3genE5ELNS1_11target_archE942ELNS1_3gpuE9ELNS1_3repE0EEENS1_48merge_mergepath_partition_config_static_selectorELNS0_4arch9wavefront6targetE1EEEvSL_
    .private_segment_fixed_size: 0
    .sgpr_count:     4
    .sgpr_spill_count: 0
    .symbol:         _ZN7rocprim17ROCPRIM_400000_NS6detail17trampoline_kernelINS0_14default_configENS1_38merge_sort_block_merge_config_selectorIjNS0_10empty_typeEEEZZNS1_27merge_sort_block_merge_implIS3_N6thrust23THRUST_200600_302600_NS6detail15normal_iteratorINS9_10device_ptrIjEEEEPS5_jNS1_19radix_merge_compareILb0ELb1EjNS0_19identity_decomposerEEEEE10hipError_tT0_T1_T2_jT3_P12ihipStream_tbPNSt15iterator_traitsISK_E10value_typeEPNSQ_ISL_E10value_typeEPSM_NS1_7vsmem_tEENKUlT_SK_SL_SM_E_clISE_PjSF_SF_EESJ_SZ_SK_SL_SM_EUlSZ_E_NS1_11comp_targetILNS1_3genE5ELNS1_11target_archE942ELNS1_3gpuE9ELNS1_3repE0EEENS1_48merge_mergepath_partition_config_static_selectorELNS0_4arch9wavefront6targetE1EEEvSL_.kd
    .uniform_work_group_size: 1
    .uses_dynamic_stack: false
    .vgpr_count:     0
    .vgpr_spill_count: 0
    .wavefront_size: 64
  - .agpr_count:     0
    .args:
      - .offset:         0
        .size:           40
        .value_kind:     by_value
    .group_segment_fixed_size: 0
    .kernarg_segment_align: 8
    .kernarg_segment_size: 40
    .language:       OpenCL C
    .language_version:
      - 2
      - 0
    .max_flat_workgroup_size: 128
    .name:           _ZN7rocprim17ROCPRIM_400000_NS6detail17trampoline_kernelINS0_14default_configENS1_38merge_sort_block_merge_config_selectorIjNS0_10empty_typeEEEZZNS1_27merge_sort_block_merge_implIS3_N6thrust23THRUST_200600_302600_NS6detail15normal_iteratorINS9_10device_ptrIjEEEEPS5_jNS1_19radix_merge_compareILb0ELb1EjNS0_19identity_decomposerEEEEE10hipError_tT0_T1_T2_jT3_P12ihipStream_tbPNSt15iterator_traitsISK_E10value_typeEPNSQ_ISL_E10value_typeEPSM_NS1_7vsmem_tEENKUlT_SK_SL_SM_E_clISE_PjSF_SF_EESJ_SZ_SK_SL_SM_EUlSZ_E_NS1_11comp_targetILNS1_3genE4ELNS1_11target_archE910ELNS1_3gpuE8ELNS1_3repE0EEENS1_48merge_mergepath_partition_config_static_selectorELNS0_4arch9wavefront6targetE1EEEvSL_
    .private_segment_fixed_size: 0
    .sgpr_count:     14
    .sgpr_spill_count: 0
    .symbol:         _ZN7rocprim17ROCPRIM_400000_NS6detail17trampoline_kernelINS0_14default_configENS1_38merge_sort_block_merge_config_selectorIjNS0_10empty_typeEEEZZNS1_27merge_sort_block_merge_implIS3_N6thrust23THRUST_200600_302600_NS6detail15normal_iteratorINS9_10device_ptrIjEEEEPS5_jNS1_19radix_merge_compareILb0ELb1EjNS0_19identity_decomposerEEEEE10hipError_tT0_T1_T2_jT3_P12ihipStream_tbPNSt15iterator_traitsISK_E10value_typeEPNSQ_ISL_E10value_typeEPSM_NS1_7vsmem_tEENKUlT_SK_SL_SM_E_clISE_PjSF_SF_EESJ_SZ_SK_SL_SM_EUlSZ_E_NS1_11comp_targetILNS1_3genE4ELNS1_11target_archE910ELNS1_3gpuE8ELNS1_3repE0EEENS1_48merge_mergepath_partition_config_static_selectorELNS0_4arch9wavefront6targetE1EEEvSL_.kd
    .uniform_work_group_size: 1
    .uses_dynamic_stack: false
    .vgpr_count:     17
    .vgpr_spill_count: 0
    .wavefront_size: 64
  - .agpr_count:     0
    .args:
      - .offset:         0
        .size:           40
        .value_kind:     by_value
    .group_segment_fixed_size: 0
    .kernarg_segment_align: 8
    .kernarg_segment_size: 40
    .language:       OpenCL C
    .language_version:
      - 2
      - 0
    .max_flat_workgroup_size: 128
    .name:           _ZN7rocprim17ROCPRIM_400000_NS6detail17trampoline_kernelINS0_14default_configENS1_38merge_sort_block_merge_config_selectorIjNS0_10empty_typeEEEZZNS1_27merge_sort_block_merge_implIS3_N6thrust23THRUST_200600_302600_NS6detail15normal_iteratorINS9_10device_ptrIjEEEEPS5_jNS1_19radix_merge_compareILb0ELb1EjNS0_19identity_decomposerEEEEE10hipError_tT0_T1_T2_jT3_P12ihipStream_tbPNSt15iterator_traitsISK_E10value_typeEPNSQ_ISL_E10value_typeEPSM_NS1_7vsmem_tEENKUlT_SK_SL_SM_E_clISE_PjSF_SF_EESJ_SZ_SK_SL_SM_EUlSZ_E_NS1_11comp_targetILNS1_3genE3ELNS1_11target_archE908ELNS1_3gpuE7ELNS1_3repE0EEENS1_48merge_mergepath_partition_config_static_selectorELNS0_4arch9wavefront6targetE1EEEvSL_
    .private_segment_fixed_size: 0
    .sgpr_count:     4
    .sgpr_spill_count: 0
    .symbol:         _ZN7rocprim17ROCPRIM_400000_NS6detail17trampoline_kernelINS0_14default_configENS1_38merge_sort_block_merge_config_selectorIjNS0_10empty_typeEEEZZNS1_27merge_sort_block_merge_implIS3_N6thrust23THRUST_200600_302600_NS6detail15normal_iteratorINS9_10device_ptrIjEEEEPS5_jNS1_19radix_merge_compareILb0ELb1EjNS0_19identity_decomposerEEEEE10hipError_tT0_T1_T2_jT3_P12ihipStream_tbPNSt15iterator_traitsISK_E10value_typeEPNSQ_ISL_E10value_typeEPSM_NS1_7vsmem_tEENKUlT_SK_SL_SM_E_clISE_PjSF_SF_EESJ_SZ_SK_SL_SM_EUlSZ_E_NS1_11comp_targetILNS1_3genE3ELNS1_11target_archE908ELNS1_3gpuE7ELNS1_3repE0EEENS1_48merge_mergepath_partition_config_static_selectorELNS0_4arch9wavefront6targetE1EEEvSL_.kd
    .uniform_work_group_size: 1
    .uses_dynamic_stack: false
    .vgpr_count:     0
    .vgpr_spill_count: 0
    .wavefront_size: 64
  - .agpr_count:     0
    .args:
      - .offset:         0
        .size:           40
        .value_kind:     by_value
    .group_segment_fixed_size: 0
    .kernarg_segment_align: 8
    .kernarg_segment_size: 40
    .language:       OpenCL C
    .language_version:
      - 2
      - 0
    .max_flat_workgroup_size: 128
    .name:           _ZN7rocprim17ROCPRIM_400000_NS6detail17trampoline_kernelINS0_14default_configENS1_38merge_sort_block_merge_config_selectorIjNS0_10empty_typeEEEZZNS1_27merge_sort_block_merge_implIS3_N6thrust23THRUST_200600_302600_NS6detail15normal_iteratorINS9_10device_ptrIjEEEEPS5_jNS1_19radix_merge_compareILb0ELb1EjNS0_19identity_decomposerEEEEE10hipError_tT0_T1_T2_jT3_P12ihipStream_tbPNSt15iterator_traitsISK_E10value_typeEPNSQ_ISL_E10value_typeEPSM_NS1_7vsmem_tEENKUlT_SK_SL_SM_E_clISE_PjSF_SF_EESJ_SZ_SK_SL_SM_EUlSZ_E_NS1_11comp_targetILNS1_3genE2ELNS1_11target_archE906ELNS1_3gpuE6ELNS1_3repE0EEENS1_48merge_mergepath_partition_config_static_selectorELNS0_4arch9wavefront6targetE1EEEvSL_
    .private_segment_fixed_size: 0
    .sgpr_count:     4
    .sgpr_spill_count: 0
    .symbol:         _ZN7rocprim17ROCPRIM_400000_NS6detail17trampoline_kernelINS0_14default_configENS1_38merge_sort_block_merge_config_selectorIjNS0_10empty_typeEEEZZNS1_27merge_sort_block_merge_implIS3_N6thrust23THRUST_200600_302600_NS6detail15normal_iteratorINS9_10device_ptrIjEEEEPS5_jNS1_19radix_merge_compareILb0ELb1EjNS0_19identity_decomposerEEEEE10hipError_tT0_T1_T2_jT3_P12ihipStream_tbPNSt15iterator_traitsISK_E10value_typeEPNSQ_ISL_E10value_typeEPSM_NS1_7vsmem_tEENKUlT_SK_SL_SM_E_clISE_PjSF_SF_EESJ_SZ_SK_SL_SM_EUlSZ_E_NS1_11comp_targetILNS1_3genE2ELNS1_11target_archE906ELNS1_3gpuE6ELNS1_3repE0EEENS1_48merge_mergepath_partition_config_static_selectorELNS0_4arch9wavefront6targetE1EEEvSL_.kd
    .uniform_work_group_size: 1
    .uses_dynamic_stack: false
    .vgpr_count:     0
    .vgpr_spill_count: 0
    .wavefront_size: 64
  - .agpr_count:     0
    .args:
      - .offset:         0
        .size:           40
        .value_kind:     by_value
    .group_segment_fixed_size: 0
    .kernarg_segment_align: 8
    .kernarg_segment_size: 40
    .language:       OpenCL C
    .language_version:
      - 2
      - 0
    .max_flat_workgroup_size: 128
    .name:           _ZN7rocprim17ROCPRIM_400000_NS6detail17trampoline_kernelINS0_14default_configENS1_38merge_sort_block_merge_config_selectorIjNS0_10empty_typeEEEZZNS1_27merge_sort_block_merge_implIS3_N6thrust23THRUST_200600_302600_NS6detail15normal_iteratorINS9_10device_ptrIjEEEEPS5_jNS1_19radix_merge_compareILb0ELb1EjNS0_19identity_decomposerEEEEE10hipError_tT0_T1_T2_jT3_P12ihipStream_tbPNSt15iterator_traitsISK_E10value_typeEPNSQ_ISL_E10value_typeEPSM_NS1_7vsmem_tEENKUlT_SK_SL_SM_E_clISE_PjSF_SF_EESJ_SZ_SK_SL_SM_EUlSZ_E_NS1_11comp_targetILNS1_3genE9ELNS1_11target_archE1100ELNS1_3gpuE3ELNS1_3repE0EEENS1_48merge_mergepath_partition_config_static_selectorELNS0_4arch9wavefront6targetE1EEEvSL_
    .private_segment_fixed_size: 0
    .sgpr_count:     4
    .sgpr_spill_count: 0
    .symbol:         _ZN7rocprim17ROCPRIM_400000_NS6detail17trampoline_kernelINS0_14default_configENS1_38merge_sort_block_merge_config_selectorIjNS0_10empty_typeEEEZZNS1_27merge_sort_block_merge_implIS3_N6thrust23THRUST_200600_302600_NS6detail15normal_iteratorINS9_10device_ptrIjEEEEPS5_jNS1_19radix_merge_compareILb0ELb1EjNS0_19identity_decomposerEEEEE10hipError_tT0_T1_T2_jT3_P12ihipStream_tbPNSt15iterator_traitsISK_E10value_typeEPNSQ_ISL_E10value_typeEPSM_NS1_7vsmem_tEENKUlT_SK_SL_SM_E_clISE_PjSF_SF_EESJ_SZ_SK_SL_SM_EUlSZ_E_NS1_11comp_targetILNS1_3genE9ELNS1_11target_archE1100ELNS1_3gpuE3ELNS1_3repE0EEENS1_48merge_mergepath_partition_config_static_selectorELNS0_4arch9wavefront6targetE1EEEvSL_.kd
    .uniform_work_group_size: 1
    .uses_dynamic_stack: false
    .vgpr_count:     0
    .vgpr_spill_count: 0
    .wavefront_size: 64
  - .agpr_count:     0
    .args:
      - .offset:         0
        .size:           40
        .value_kind:     by_value
    .group_segment_fixed_size: 0
    .kernarg_segment_align: 8
    .kernarg_segment_size: 40
    .language:       OpenCL C
    .language_version:
      - 2
      - 0
    .max_flat_workgroup_size: 128
    .name:           _ZN7rocprim17ROCPRIM_400000_NS6detail17trampoline_kernelINS0_14default_configENS1_38merge_sort_block_merge_config_selectorIjNS0_10empty_typeEEEZZNS1_27merge_sort_block_merge_implIS3_N6thrust23THRUST_200600_302600_NS6detail15normal_iteratorINS9_10device_ptrIjEEEEPS5_jNS1_19radix_merge_compareILb0ELb1EjNS0_19identity_decomposerEEEEE10hipError_tT0_T1_T2_jT3_P12ihipStream_tbPNSt15iterator_traitsISK_E10value_typeEPNSQ_ISL_E10value_typeEPSM_NS1_7vsmem_tEENKUlT_SK_SL_SM_E_clISE_PjSF_SF_EESJ_SZ_SK_SL_SM_EUlSZ_E_NS1_11comp_targetILNS1_3genE8ELNS1_11target_archE1030ELNS1_3gpuE2ELNS1_3repE0EEENS1_48merge_mergepath_partition_config_static_selectorELNS0_4arch9wavefront6targetE1EEEvSL_
    .private_segment_fixed_size: 0
    .sgpr_count:     4
    .sgpr_spill_count: 0
    .symbol:         _ZN7rocprim17ROCPRIM_400000_NS6detail17trampoline_kernelINS0_14default_configENS1_38merge_sort_block_merge_config_selectorIjNS0_10empty_typeEEEZZNS1_27merge_sort_block_merge_implIS3_N6thrust23THRUST_200600_302600_NS6detail15normal_iteratorINS9_10device_ptrIjEEEEPS5_jNS1_19radix_merge_compareILb0ELb1EjNS0_19identity_decomposerEEEEE10hipError_tT0_T1_T2_jT3_P12ihipStream_tbPNSt15iterator_traitsISK_E10value_typeEPNSQ_ISL_E10value_typeEPSM_NS1_7vsmem_tEENKUlT_SK_SL_SM_E_clISE_PjSF_SF_EESJ_SZ_SK_SL_SM_EUlSZ_E_NS1_11comp_targetILNS1_3genE8ELNS1_11target_archE1030ELNS1_3gpuE2ELNS1_3repE0EEENS1_48merge_mergepath_partition_config_static_selectorELNS0_4arch9wavefront6targetE1EEEvSL_.kd
    .uniform_work_group_size: 1
    .uses_dynamic_stack: false
    .vgpr_count:     0
    .vgpr_spill_count: 0
    .wavefront_size: 64
  - .agpr_count:     0
    .args:
      - .offset:         0
        .size:           64
        .value_kind:     by_value
    .group_segment_fixed_size: 0
    .kernarg_segment_align: 8
    .kernarg_segment_size: 64
    .language:       OpenCL C
    .language_version:
      - 2
      - 0
    .max_flat_workgroup_size: 128
    .name:           _ZN7rocprim17ROCPRIM_400000_NS6detail17trampoline_kernelINS0_14default_configENS1_38merge_sort_block_merge_config_selectorIjNS0_10empty_typeEEEZZNS1_27merge_sort_block_merge_implIS3_N6thrust23THRUST_200600_302600_NS6detail15normal_iteratorINS9_10device_ptrIjEEEEPS5_jNS1_19radix_merge_compareILb0ELb1EjNS0_19identity_decomposerEEEEE10hipError_tT0_T1_T2_jT3_P12ihipStream_tbPNSt15iterator_traitsISK_E10value_typeEPNSQ_ISL_E10value_typeEPSM_NS1_7vsmem_tEENKUlT_SK_SL_SM_E_clISE_PjSF_SF_EESJ_SZ_SK_SL_SM_EUlSZ_E0_NS1_11comp_targetILNS1_3genE0ELNS1_11target_archE4294967295ELNS1_3gpuE0ELNS1_3repE0EEENS1_38merge_mergepath_config_static_selectorELNS0_4arch9wavefront6targetE1EEEvSL_
    .private_segment_fixed_size: 0
    .sgpr_count:     4
    .sgpr_spill_count: 0
    .symbol:         _ZN7rocprim17ROCPRIM_400000_NS6detail17trampoline_kernelINS0_14default_configENS1_38merge_sort_block_merge_config_selectorIjNS0_10empty_typeEEEZZNS1_27merge_sort_block_merge_implIS3_N6thrust23THRUST_200600_302600_NS6detail15normal_iteratorINS9_10device_ptrIjEEEEPS5_jNS1_19radix_merge_compareILb0ELb1EjNS0_19identity_decomposerEEEEE10hipError_tT0_T1_T2_jT3_P12ihipStream_tbPNSt15iterator_traitsISK_E10value_typeEPNSQ_ISL_E10value_typeEPSM_NS1_7vsmem_tEENKUlT_SK_SL_SM_E_clISE_PjSF_SF_EESJ_SZ_SK_SL_SM_EUlSZ_E0_NS1_11comp_targetILNS1_3genE0ELNS1_11target_archE4294967295ELNS1_3gpuE0ELNS1_3repE0EEENS1_38merge_mergepath_config_static_selectorELNS0_4arch9wavefront6targetE1EEEvSL_.kd
    .uniform_work_group_size: 1
    .uses_dynamic_stack: false
    .vgpr_count:     0
    .vgpr_spill_count: 0
    .wavefront_size: 64
  - .agpr_count:     0
    .args:
      - .offset:         0
        .size:           64
        .value_kind:     by_value
    .group_segment_fixed_size: 0
    .kernarg_segment_align: 8
    .kernarg_segment_size: 64
    .language:       OpenCL C
    .language_version:
      - 2
      - 0
    .max_flat_workgroup_size: 256
    .name:           _ZN7rocprim17ROCPRIM_400000_NS6detail17trampoline_kernelINS0_14default_configENS1_38merge_sort_block_merge_config_selectorIjNS0_10empty_typeEEEZZNS1_27merge_sort_block_merge_implIS3_N6thrust23THRUST_200600_302600_NS6detail15normal_iteratorINS9_10device_ptrIjEEEEPS5_jNS1_19radix_merge_compareILb0ELb1EjNS0_19identity_decomposerEEEEE10hipError_tT0_T1_T2_jT3_P12ihipStream_tbPNSt15iterator_traitsISK_E10value_typeEPNSQ_ISL_E10value_typeEPSM_NS1_7vsmem_tEENKUlT_SK_SL_SM_E_clISE_PjSF_SF_EESJ_SZ_SK_SL_SM_EUlSZ_E0_NS1_11comp_targetILNS1_3genE10ELNS1_11target_archE1201ELNS1_3gpuE5ELNS1_3repE0EEENS1_38merge_mergepath_config_static_selectorELNS0_4arch9wavefront6targetE1EEEvSL_
    .private_segment_fixed_size: 0
    .sgpr_count:     4
    .sgpr_spill_count: 0
    .symbol:         _ZN7rocprim17ROCPRIM_400000_NS6detail17trampoline_kernelINS0_14default_configENS1_38merge_sort_block_merge_config_selectorIjNS0_10empty_typeEEEZZNS1_27merge_sort_block_merge_implIS3_N6thrust23THRUST_200600_302600_NS6detail15normal_iteratorINS9_10device_ptrIjEEEEPS5_jNS1_19radix_merge_compareILb0ELb1EjNS0_19identity_decomposerEEEEE10hipError_tT0_T1_T2_jT3_P12ihipStream_tbPNSt15iterator_traitsISK_E10value_typeEPNSQ_ISL_E10value_typeEPSM_NS1_7vsmem_tEENKUlT_SK_SL_SM_E_clISE_PjSF_SF_EESJ_SZ_SK_SL_SM_EUlSZ_E0_NS1_11comp_targetILNS1_3genE10ELNS1_11target_archE1201ELNS1_3gpuE5ELNS1_3repE0EEENS1_38merge_mergepath_config_static_selectorELNS0_4arch9wavefront6targetE1EEEvSL_.kd
    .uniform_work_group_size: 1
    .uses_dynamic_stack: false
    .vgpr_count:     0
    .vgpr_spill_count: 0
    .wavefront_size: 64
  - .agpr_count:     0
    .args:
      - .offset:         0
        .size:           64
        .value_kind:     by_value
    .group_segment_fixed_size: 0
    .kernarg_segment_align: 8
    .kernarg_segment_size: 64
    .language:       OpenCL C
    .language_version:
      - 2
      - 0
    .max_flat_workgroup_size: 128
    .name:           _ZN7rocprim17ROCPRIM_400000_NS6detail17trampoline_kernelINS0_14default_configENS1_38merge_sort_block_merge_config_selectorIjNS0_10empty_typeEEEZZNS1_27merge_sort_block_merge_implIS3_N6thrust23THRUST_200600_302600_NS6detail15normal_iteratorINS9_10device_ptrIjEEEEPS5_jNS1_19radix_merge_compareILb0ELb1EjNS0_19identity_decomposerEEEEE10hipError_tT0_T1_T2_jT3_P12ihipStream_tbPNSt15iterator_traitsISK_E10value_typeEPNSQ_ISL_E10value_typeEPSM_NS1_7vsmem_tEENKUlT_SK_SL_SM_E_clISE_PjSF_SF_EESJ_SZ_SK_SL_SM_EUlSZ_E0_NS1_11comp_targetILNS1_3genE5ELNS1_11target_archE942ELNS1_3gpuE9ELNS1_3repE0EEENS1_38merge_mergepath_config_static_selectorELNS0_4arch9wavefront6targetE1EEEvSL_
    .private_segment_fixed_size: 0
    .sgpr_count:     4
    .sgpr_spill_count: 0
    .symbol:         _ZN7rocprim17ROCPRIM_400000_NS6detail17trampoline_kernelINS0_14default_configENS1_38merge_sort_block_merge_config_selectorIjNS0_10empty_typeEEEZZNS1_27merge_sort_block_merge_implIS3_N6thrust23THRUST_200600_302600_NS6detail15normal_iteratorINS9_10device_ptrIjEEEEPS5_jNS1_19radix_merge_compareILb0ELb1EjNS0_19identity_decomposerEEEEE10hipError_tT0_T1_T2_jT3_P12ihipStream_tbPNSt15iterator_traitsISK_E10value_typeEPNSQ_ISL_E10value_typeEPSM_NS1_7vsmem_tEENKUlT_SK_SL_SM_E_clISE_PjSF_SF_EESJ_SZ_SK_SL_SM_EUlSZ_E0_NS1_11comp_targetILNS1_3genE5ELNS1_11target_archE942ELNS1_3gpuE9ELNS1_3repE0EEENS1_38merge_mergepath_config_static_selectorELNS0_4arch9wavefront6targetE1EEEvSL_.kd
    .uniform_work_group_size: 1
    .uses_dynamic_stack: false
    .vgpr_count:     0
    .vgpr_spill_count: 0
    .wavefront_size: 64
  - .agpr_count:     0
    .args:
      - .offset:         0
        .size:           64
        .value_kind:     by_value
      - .offset:         64
        .size:           4
        .value_kind:     hidden_block_count_x
      - .offset:         68
        .size:           4
        .value_kind:     hidden_block_count_y
      - .offset:         72
        .size:           4
        .value_kind:     hidden_block_count_z
      - .offset:         76
        .size:           2
        .value_kind:     hidden_group_size_x
      - .offset:         78
        .size:           2
        .value_kind:     hidden_group_size_y
      - .offset:         80
        .size:           2
        .value_kind:     hidden_group_size_z
      - .offset:         82
        .size:           2
        .value_kind:     hidden_remainder_x
      - .offset:         84
        .size:           2
        .value_kind:     hidden_remainder_y
      - .offset:         86
        .size:           2
        .value_kind:     hidden_remainder_z
      - .offset:         104
        .size:           8
        .value_kind:     hidden_global_offset_x
      - .offset:         112
        .size:           8
        .value_kind:     hidden_global_offset_y
      - .offset:         120
        .size:           8
        .value_kind:     hidden_global_offset_z
      - .offset:         128
        .size:           2
        .value_kind:     hidden_grid_dims
    .group_segment_fixed_size: 4224
    .kernarg_segment_align: 8
    .kernarg_segment_size: 320
    .language:       OpenCL C
    .language_version:
      - 2
      - 0
    .max_flat_workgroup_size: 128
    .name:           _ZN7rocprim17ROCPRIM_400000_NS6detail17trampoline_kernelINS0_14default_configENS1_38merge_sort_block_merge_config_selectorIjNS0_10empty_typeEEEZZNS1_27merge_sort_block_merge_implIS3_N6thrust23THRUST_200600_302600_NS6detail15normal_iteratorINS9_10device_ptrIjEEEEPS5_jNS1_19radix_merge_compareILb0ELb1EjNS0_19identity_decomposerEEEEE10hipError_tT0_T1_T2_jT3_P12ihipStream_tbPNSt15iterator_traitsISK_E10value_typeEPNSQ_ISL_E10value_typeEPSM_NS1_7vsmem_tEENKUlT_SK_SL_SM_E_clISE_PjSF_SF_EESJ_SZ_SK_SL_SM_EUlSZ_E0_NS1_11comp_targetILNS1_3genE4ELNS1_11target_archE910ELNS1_3gpuE8ELNS1_3repE0EEENS1_38merge_mergepath_config_static_selectorELNS0_4arch9wavefront6targetE1EEEvSL_
    .private_segment_fixed_size: 0
    .sgpr_count:     28
    .sgpr_spill_count: 0
    .symbol:         _ZN7rocprim17ROCPRIM_400000_NS6detail17trampoline_kernelINS0_14default_configENS1_38merge_sort_block_merge_config_selectorIjNS0_10empty_typeEEEZZNS1_27merge_sort_block_merge_implIS3_N6thrust23THRUST_200600_302600_NS6detail15normal_iteratorINS9_10device_ptrIjEEEEPS5_jNS1_19radix_merge_compareILb0ELb1EjNS0_19identity_decomposerEEEEE10hipError_tT0_T1_T2_jT3_P12ihipStream_tbPNSt15iterator_traitsISK_E10value_typeEPNSQ_ISL_E10value_typeEPSM_NS1_7vsmem_tEENKUlT_SK_SL_SM_E_clISE_PjSF_SF_EESJ_SZ_SK_SL_SM_EUlSZ_E0_NS1_11comp_targetILNS1_3genE4ELNS1_11target_archE910ELNS1_3gpuE8ELNS1_3repE0EEENS1_38merge_mergepath_config_static_selectorELNS0_4arch9wavefront6targetE1EEEvSL_.kd
    .uniform_work_group_size: 1
    .uses_dynamic_stack: false
    .vgpr_count:     26
    .vgpr_spill_count: 0
    .wavefront_size: 64
  - .agpr_count:     0
    .args:
      - .offset:         0
        .size:           64
        .value_kind:     by_value
    .group_segment_fixed_size: 0
    .kernarg_segment_align: 8
    .kernarg_segment_size: 64
    .language:       OpenCL C
    .language_version:
      - 2
      - 0
    .max_flat_workgroup_size: 128
    .name:           _ZN7rocprim17ROCPRIM_400000_NS6detail17trampoline_kernelINS0_14default_configENS1_38merge_sort_block_merge_config_selectorIjNS0_10empty_typeEEEZZNS1_27merge_sort_block_merge_implIS3_N6thrust23THRUST_200600_302600_NS6detail15normal_iteratorINS9_10device_ptrIjEEEEPS5_jNS1_19radix_merge_compareILb0ELb1EjNS0_19identity_decomposerEEEEE10hipError_tT0_T1_T2_jT3_P12ihipStream_tbPNSt15iterator_traitsISK_E10value_typeEPNSQ_ISL_E10value_typeEPSM_NS1_7vsmem_tEENKUlT_SK_SL_SM_E_clISE_PjSF_SF_EESJ_SZ_SK_SL_SM_EUlSZ_E0_NS1_11comp_targetILNS1_3genE3ELNS1_11target_archE908ELNS1_3gpuE7ELNS1_3repE0EEENS1_38merge_mergepath_config_static_selectorELNS0_4arch9wavefront6targetE1EEEvSL_
    .private_segment_fixed_size: 0
    .sgpr_count:     4
    .sgpr_spill_count: 0
    .symbol:         _ZN7rocprim17ROCPRIM_400000_NS6detail17trampoline_kernelINS0_14default_configENS1_38merge_sort_block_merge_config_selectorIjNS0_10empty_typeEEEZZNS1_27merge_sort_block_merge_implIS3_N6thrust23THRUST_200600_302600_NS6detail15normal_iteratorINS9_10device_ptrIjEEEEPS5_jNS1_19radix_merge_compareILb0ELb1EjNS0_19identity_decomposerEEEEE10hipError_tT0_T1_T2_jT3_P12ihipStream_tbPNSt15iterator_traitsISK_E10value_typeEPNSQ_ISL_E10value_typeEPSM_NS1_7vsmem_tEENKUlT_SK_SL_SM_E_clISE_PjSF_SF_EESJ_SZ_SK_SL_SM_EUlSZ_E0_NS1_11comp_targetILNS1_3genE3ELNS1_11target_archE908ELNS1_3gpuE7ELNS1_3repE0EEENS1_38merge_mergepath_config_static_selectorELNS0_4arch9wavefront6targetE1EEEvSL_.kd
    .uniform_work_group_size: 1
    .uses_dynamic_stack: false
    .vgpr_count:     0
    .vgpr_spill_count: 0
    .wavefront_size: 64
  - .agpr_count:     0
    .args:
      - .offset:         0
        .size:           64
        .value_kind:     by_value
    .group_segment_fixed_size: 0
    .kernarg_segment_align: 8
    .kernarg_segment_size: 64
    .language:       OpenCL C
    .language_version:
      - 2
      - 0
    .max_flat_workgroup_size: 128
    .name:           _ZN7rocprim17ROCPRIM_400000_NS6detail17trampoline_kernelINS0_14default_configENS1_38merge_sort_block_merge_config_selectorIjNS0_10empty_typeEEEZZNS1_27merge_sort_block_merge_implIS3_N6thrust23THRUST_200600_302600_NS6detail15normal_iteratorINS9_10device_ptrIjEEEEPS5_jNS1_19radix_merge_compareILb0ELb1EjNS0_19identity_decomposerEEEEE10hipError_tT0_T1_T2_jT3_P12ihipStream_tbPNSt15iterator_traitsISK_E10value_typeEPNSQ_ISL_E10value_typeEPSM_NS1_7vsmem_tEENKUlT_SK_SL_SM_E_clISE_PjSF_SF_EESJ_SZ_SK_SL_SM_EUlSZ_E0_NS1_11comp_targetILNS1_3genE2ELNS1_11target_archE906ELNS1_3gpuE6ELNS1_3repE0EEENS1_38merge_mergepath_config_static_selectorELNS0_4arch9wavefront6targetE1EEEvSL_
    .private_segment_fixed_size: 0
    .sgpr_count:     4
    .sgpr_spill_count: 0
    .symbol:         _ZN7rocprim17ROCPRIM_400000_NS6detail17trampoline_kernelINS0_14default_configENS1_38merge_sort_block_merge_config_selectorIjNS0_10empty_typeEEEZZNS1_27merge_sort_block_merge_implIS3_N6thrust23THRUST_200600_302600_NS6detail15normal_iteratorINS9_10device_ptrIjEEEEPS5_jNS1_19radix_merge_compareILb0ELb1EjNS0_19identity_decomposerEEEEE10hipError_tT0_T1_T2_jT3_P12ihipStream_tbPNSt15iterator_traitsISK_E10value_typeEPNSQ_ISL_E10value_typeEPSM_NS1_7vsmem_tEENKUlT_SK_SL_SM_E_clISE_PjSF_SF_EESJ_SZ_SK_SL_SM_EUlSZ_E0_NS1_11comp_targetILNS1_3genE2ELNS1_11target_archE906ELNS1_3gpuE6ELNS1_3repE0EEENS1_38merge_mergepath_config_static_selectorELNS0_4arch9wavefront6targetE1EEEvSL_.kd
    .uniform_work_group_size: 1
    .uses_dynamic_stack: false
    .vgpr_count:     0
    .vgpr_spill_count: 0
    .wavefront_size: 64
  - .agpr_count:     0
    .args:
      - .offset:         0
        .size:           64
        .value_kind:     by_value
    .group_segment_fixed_size: 0
    .kernarg_segment_align: 8
    .kernarg_segment_size: 64
    .language:       OpenCL C
    .language_version:
      - 2
      - 0
    .max_flat_workgroup_size: 256
    .name:           _ZN7rocprim17ROCPRIM_400000_NS6detail17trampoline_kernelINS0_14default_configENS1_38merge_sort_block_merge_config_selectorIjNS0_10empty_typeEEEZZNS1_27merge_sort_block_merge_implIS3_N6thrust23THRUST_200600_302600_NS6detail15normal_iteratorINS9_10device_ptrIjEEEEPS5_jNS1_19radix_merge_compareILb0ELb1EjNS0_19identity_decomposerEEEEE10hipError_tT0_T1_T2_jT3_P12ihipStream_tbPNSt15iterator_traitsISK_E10value_typeEPNSQ_ISL_E10value_typeEPSM_NS1_7vsmem_tEENKUlT_SK_SL_SM_E_clISE_PjSF_SF_EESJ_SZ_SK_SL_SM_EUlSZ_E0_NS1_11comp_targetILNS1_3genE9ELNS1_11target_archE1100ELNS1_3gpuE3ELNS1_3repE0EEENS1_38merge_mergepath_config_static_selectorELNS0_4arch9wavefront6targetE1EEEvSL_
    .private_segment_fixed_size: 0
    .sgpr_count:     4
    .sgpr_spill_count: 0
    .symbol:         _ZN7rocprim17ROCPRIM_400000_NS6detail17trampoline_kernelINS0_14default_configENS1_38merge_sort_block_merge_config_selectorIjNS0_10empty_typeEEEZZNS1_27merge_sort_block_merge_implIS3_N6thrust23THRUST_200600_302600_NS6detail15normal_iteratorINS9_10device_ptrIjEEEEPS5_jNS1_19radix_merge_compareILb0ELb1EjNS0_19identity_decomposerEEEEE10hipError_tT0_T1_T2_jT3_P12ihipStream_tbPNSt15iterator_traitsISK_E10value_typeEPNSQ_ISL_E10value_typeEPSM_NS1_7vsmem_tEENKUlT_SK_SL_SM_E_clISE_PjSF_SF_EESJ_SZ_SK_SL_SM_EUlSZ_E0_NS1_11comp_targetILNS1_3genE9ELNS1_11target_archE1100ELNS1_3gpuE3ELNS1_3repE0EEENS1_38merge_mergepath_config_static_selectorELNS0_4arch9wavefront6targetE1EEEvSL_.kd
    .uniform_work_group_size: 1
    .uses_dynamic_stack: false
    .vgpr_count:     0
    .vgpr_spill_count: 0
    .wavefront_size: 64
  - .agpr_count:     0
    .args:
      - .offset:         0
        .size:           64
        .value_kind:     by_value
    .group_segment_fixed_size: 0
    .kernarg_segment_align: 8
    .kernarg_segment_size: 64
    .language:       OpenCL C
    .language_version:
      - 2
      - 0
    .max_flat_workgroup_size: 512
    .name:           _ZN7rocprim17ROCPRIM_400000_NS6detail17trampoline_kernelINS0_14default_configENS1_38merge_sort_block_merge_config_selectorIjNS0_10empty_typeEEEZZNS1_27merge_sort_block_merge_implIS3_N6thrust23THRUST_200600_302600_NS6detail15normal_iteratorINS9_10device_ptrIjEEEEPS5_jNS1_19radix_merge_compareILb0ELb1EjNS0_19identity_decomposerEEEEE10hipError_tT0_T1_T2_jT3_P12ihipStream_tbPNSt15iterator_traitsISK_E10value_typeEPNSQ_ISL_E10value_typeEPSM_NS1_7vsmem_tEENKUlT_SK_SL_SM_E_clISE_PjSF_SF_EESJ_SZ_SK_SL_SM_EUlSZ_E0_NS1_11comp_targetILNS1_3genE8ELNS1_11target_archE1030ELNS1_3gpuE2ELNS1_3repE0EEENS1_38merge_mergepath_config_static_selectorELNS0_4arch9wavefront6targetE1EEEvSL_
    .private_segment_fixed_size: 0
    .sgpr_count:     4
    .sgpr_spill_count: 0
    .symbol:         _ZN7rocprim17ROCPRIM_400000_NS6detail17trampoline_kernelINS0_14default_configENS1_38merge_sort_block_merge_config_selectorIjNS0_10empty_typeEEEZZNS1_27merge_sort_block_merge_implIS3_N6thrust23THRUST_200600_302600_NS6detail15normal_iteratorINS9_10device_ptrIjEEEEPS5_jNS1_19radix_merge_compareILb0ELb1EjNS0_19identity_decomposerEEEEE10hipError_tT0_T1_T2_jT3_P12ihipStream_tbPNSt15iterator_traitsISK_E10value_typeEPNSQ_ISL_E10value_typeEPSM_NS1_7vsmem_tEENKUlT_SK_SL_SM_E_clISE_PjSF_SF_EESJ_SZ_SK_SL_SM_EUlSZ_E0_NS1_11comp_targetILNS1_3genE8ELNS1_11target_archE1030ELNS1_3gpuE2ELNS1_3repE0EEENS1_38merge_mergepath_config_static_selectorELNS0_4arch9wavefront6targetE1EEEvSL_.kd
    .uniform_work_group_size: 1
    .uses_dynamic_stack: false
    .vgpr_count:     0
    .vgpr_spill_count: 0
    .wavefront_size: 64
  - .agpr_count:     0
    .args:
      - .offset:         0
        .size:           48
        .value_kind:     by_value
    .group_segment_fixed_size: 0
    .kernarg_segment_align: 8
    .kernarg_segment_size: 48
    .language:       OpenCL C
    .language_version:
      - 2
      - 0
    .max_flat_workgroup_size: 256
    .name:           _ZN7rocprim17ROCPRIM_400000_NS6detail17trampoline_kernelINS0_14default_configENS1_38merge_sort_block_merge_config_selectorIjNS0_10empty_typeEEEZZNS1_27merge_sort_block_merge_implIS3_N6thrust23THRUST_200600_302600_NS6detail15normal_iteratorINS9_10device_ptrIjEEEEPS5_jNS1_19radix_merge_compareILb0ELb1EjNS0_19identity_decomposerEEEEE10hipError_tT0_T1_T2_jT3_P12ihipStream_tbPNSt15iterator_traitsISK_E10value_typeEPNSQ_ISL_E10value_typeEPSM_NS1_7vsmem_tEENKUlT_SK_SL_SM_E_clISE_PjSF_SF_EESJ_SZ_SK_SL_SM_EUlSZ_E1_NS1_11comp_targetILNS1_3genE0ELNS1_11target_archE4294967295ELNS1_3gpuE0ELNS1_3repE0EEENS1_36merge_oddeven_config_static_selectorELNS0_4arch9wavefront6targetE1EEEvSL_
    .private_segment_fixed_size: 0
    .sgpr_count:     4
    .sgpr_spill_count: 0
    .symbol:         _ZN7rocprim17ROCPRIM_400000_NS6detail17trampoline_kernelINS0_14default_configENS1_38merge_sort_block_merge_config_selectorIjNS0_10empty_typeEEEZZNS1_27merge_sort_block_merge_implIS3_N6thrust23THRUST_200600_302600_NS6detail15normal_iteratorINS9_10device_ptrIjEEEEPS5_jNS1_19radix_merge_compareILb0ELb1EjNS0_19identity_decomposerEEEEE10hipError_tT0_T1_T2_jT3_P12ihipStream_tbPNSt15iterator_traitsISK_E10value_typeEPNSQ_ISL_E10value_typeEPSM_NS1_7vsmem_tEENKUlT_SK_SL_SM_E_clISE_PjSF_SF_EESJ_SZ_SK_SL_SM_EUlSZ_E1_NS1_11comp_targetILNS1_3genE0ELNS1_11target_archE4294967295ELNS1_3gpuE0ELNS1_3repE0EEENS1_36merge_oddeven_config_static_selectorELNS0_4arch9wavefront6targetE1EEEvSL_.kd
    .uniform_work_group_size: 1
    .uses_dynamic_stack: false
    .vgpr_count:     0
    .vgpr_spill_count: 0
    .wavefront_size: 64
  - .agpr_count:     0
    .args:
      - .offset:         0
        .size:           48
        .value_kind:     by_value
    .group_segment_fixed_size: 0
    .kernarg_segment_align: 8
    .kernarg_segment_size: 48
    .language:       OpenCL C
    .language_version:
      - 2
      - 0
    .max_flat_workgroup_size: 256
    .name:           _ZN7rocprim17ROCPRIM_400000_NS6detail17trampoline_kernelINS0_14default_configENS1_38merge_sort_block_merge_config_selectorIjNS0_10empty_typeEEEZZNS1_27merge_sort_block_merge_implIS3_N6thrust23THRUST_200600_302600_NS6detail15normal_iteratorINS9_10device_ptrIjEEEEPS5_jNS1_19radix_merge_compareILb0ELb1EjNS0_19identity_decomposerEEEEE10hipError_tT0_T1_T2_jT3_P12ihipStream_tbPNSt15iterator_traitsISK_E10value_typeEPNSQ_ISL_E10value_typeEPSM_NS1_7vsmem_tEENKUlT_SK_SL_SM_E_clISE_PjSF_SF_EESJ_SZ_SK_SL_SM_EUlSZ_E1_NS1_11comp_targetILNS1_3genE10ELNS1_11target_archE1201ELNS1_3gpuE5ELNS1_3repE0EEENS1_36merge_oddeven_config_static_selectorELNS0_4arch9wavefront6targetE1EEEvSL_
    .private_segment_fixed_size: 0
    .sgpr_count:     4
    .sgpr_spill_count: 0
    .symbol:         _ZN7rocprim17ROCPRIM_400000_NS6detail17trampoline_kernelINS0_14default_configENS1_38merge_sort_block_merge_config_selectorIjNS0_10empty_typeEEEZZNS1_27merge_sort_block_merge_implIS3_N6thrust23THRUST_200600_302600_NS6detail15normal_iteratorINS9_10device_ptrIjEEEEPS5_jNS1_19radix_merge_compareILb0ELb1EjNS0_19identity_decomposerEEEEE10hipError_tT0_T1_T2_jT3_P12ihipStream_tbPNSt15iterator_traitsISK_E10value_typeEPNSQ_ISL_E10value_typeEPSM_NS1_7vsmem_tEENKUlT_SK_SL_SM_E_clISE_PjSF_SF_EESJ_SZ_SK_SL_SM_EUlSZ_E1_NS1_11comp_targetILNS1_3genE10ELNS1_11target_archE1201ELNS1_3gpuE5ELNS1_3repE0EEENS1_36merge_oddeven_config_static_selectorELNS0_4arch9wavefront6targetE1EEEvSL_.kd
    .uniform_work_group_size: 1
    .uses_dynamic_stack: false
    .vgpr_count:     0
    .vgpr_spill_count: 0
    .wavefront_size: 64
  - .agpr_count:     0
    .args:
      - .offset:         0
        .size:           48
        .value_kind:     by_value
    .group_segment_fixed_size: 0
    .kernarg_segment_align: 8
    .kernarg_segment_size: 48
    .language:       OpenCL C
    .language_version:
      - 2
      - 0
    .max_flat_workgroup_size: 256
    .name:           _ZN7rocprim17ROCPRIM_400000_NS6detail17trampoline_kernelINS0_14default_configENS1_38merge_sort_block_merge_config_selectorIjNS0_10empty_typeEEEZZNS1_27merge_sort_block_merge_implIS3_N6thrust23THRUST_200600_302600_NS6detail15normal_iteratorINS9_10device_ptrIjEEEEPS5_jNS1_19radix_merge_compareILb0ELb1EjNS0_19identity_decomposerEEEEE10hipError_tT0_T1_T2_jT3_P12ihipStream_tbPNSt15iterator_traitsISK_E10value_typeEPNSQ_ISL_E10value_typeEPSM_NS1_7vsmem_tEENKUlT_SK_SL_SM_E_clISE_PjSF_SF_EESJ_SZ_SK_SL_SM_EUlSZ_E1_NS1_11comp_targetILNS1_3genE5ELNS1_11target_archE942ELNS1_3gpuE9ELNS1_3repE0EEENS1_36merge_oddeven_config_static_selectorELNS0_4arch9wavefront6targetE1EEEvSL_
    .private_segment_fixed_size: 0
    .sgpr_count:     4
    .sgpr_spill_count: 0
    .symbol:         _ZN7rocprim17ROCPRIM_400000_NS6detail17trampoline_kernelINS0_14default_configENS1_38merge_sort_block_merge_config_selectorIjNS0_10empty_typeEEEZZNS1_27merge_sort_block_merge_implIS3_N6thrust23THRUST_200600_302600_NS6detail15normal_iteratorINS9_10device_ptrIjEEEEPS5_jNS1_19radix_merge_compareILb0ELb1EjNS0_19identity_decomposerEEEEE10hipError_tT0_T1_T2_jT3_P12ihipStream_tbPNSt15iterator_traitsISK_E10value_typeEPNSQ_ISL_E10value_typeEPSM_NS1_7vsmem_tEENKUlT_SK_SL_SM_E_clISE_PjSF_SF_EESJ_SZ_SK_SL_SM_EUlSZ_E1_NS1_11comp_targetILNS1_3genE5ELNS1_11target_archE942ELNS1_3gpuE9ELNS1_3repE0EEENS1_36merge_oddeven_config_static_selectorELNS0_4arch9wavefront6targetE1EEEvSL_.kd
    .uniform_work_group_size: 1
    .uses_dynamic_stack: false
    .vgpr_count:     0
    .vgpr_spill_count: 0
    .wavefront_size: 64
  - .agpr_count:     0
    .args:
      - .offset:         0
        .size:           48
        .value_kind:     by_value
    .group_segment_fixed_size: 0
    .kernarg_segment_align: 8
    .kernarg_segment_size: 48
    .language:       OpenCL C
    .language_version:
      - 2
      - 0
    .max_flat_workgroup_size: 256
    .name:           _ZN7rocprim17ROCPRIM_400000_NS6detail17trampoline_kernelINS0_14default_configENS1_38merge_sort_block_merge_config_selectorIjNS0_10empty_typeEEEZZNS1_27merge_sort_block_merge_implIS3_N6thrust23THRUST_200600_302600_NS6detail15normal_iteratorINS9_10device_ptrIjEEEEPS5_jNS1_19radix_merge_compareILb0ELb1EjNS0_19identity_decomposerEEEEE10hipError_tT0_T1_T2_jT3_P12ihipStream_tbPNSt15iterator_traitsISK_E10value_typeEPNSQ_ISL_E10value_typeEPSM_NS1_7vsmem_tEENKUlT_SK_SL_SM_E_clISE_PjSF_SF_EESJ_SZ_SK_SL_SM_EUlSZ_E1_NS1_11comp_targetILNS1_3genE4ELNS1_11target_archE910ELNS1_3gpuE8ELNS1_3repE0EEENS1_36merge_oddeven_config_static_selectorELNS0_4arch9wavefront6targetE1EEEvSL_
    .private_segment_fixed_size: 0
    .sgpr_count:     25
    .sgpr_spill_count: 0
    .symbol:         _ZN7rocprim17ROCPRIM_400000_NS6detail17trampoline_kernelINS0_14default_configENS1_38merge_sort_block_merge_config_selectorIjNS0_10empty_typeEEEZZNS1_27merge_sort_block_merge_implIS3_N6thrust23THRUST_200600_302600_NS6detail15normal_iteratorINS9_10device_ptrIjEEEEPS5_jNS1_19radix_merge_compareILb0ELb1EjNS0_19identity_decomposerEEEEE10hipError_tT0_T1_T2_jT3_P12ihipStream_tbPNSt15iterator_traitsISK_E10value_typeEPNSQ_ISL_E10value_typeEPSM_NS1_7vsmem_tEENKUlT_SK_SL_SM_E_clISE_PjSF_SF_EESJ_SZ_SK_SL_SM_EUlSZ_E1_NS1_11comp_targetILNS1_3genE4ELNS1_11target_archE910ELNS1_3gpuE8ELNS1_3repE0EEENS1_36merge_oddeven_config_static_selectorELNS0_4arch9wavefront6targetE1EEEvSL_.kd
    .uniform_work_group_size: 1
    .uses_dynamic_stack: false
    .vgpr_count:     11
    .vgpr_spill_count: 0
    .wavefront_size: 64
  - .agpr_count:     0
    .args:
      - .offset:         0
        .size:           48
        .value_kind:     by_value
    .group_segment_fixed_size: 0
    .kernarg_segment_align: 8
    .kernarg_segment_size: 48
    .language:       OpenCL C
    .language_version:
      - 2
      - 0
    .max_flat_workgroup_size: 256
    .name:           _ZN7rocprim17ROCPRIM_400000_NS6detail17trampoline_kernelINS0_14default_configENS1_38merge_sort_block_merge_config_selectorIjNS0_10empty_typeEEEZZNS1_27merge_sort_block_merge_implIS3_N6thrust23THRUST_200600_302600_NS6detail15normal_iteratorINS9_10device_ptrIjEEEEPS5_jNS1_19radix_merge_compareILb0ELb1EjNS0_19identity_decomposerEEEEE10hipError_tT0_T1_T2_jT3_P12ihipStream_tbPNSt15iterator_traitsISK_E10value_typeEPNSQ_ISL_E10value_typeEPSM_NS1_7vsmem_tEENKUlT_SK_SL_SM_E_clISE_PjSF_SF_EESJ_SZ_SK_SL_SM_EUlSZ_E1_NS1_11comp_targetILNS1_3genE3ELNS1_11target_archE908ELNS1_3gpuE7ELNS1_3repE0EEENS1_36merge_oddeven_config_static_selectorELNS0_4arch9wavefront6targetE1EEEvSL_
    .private_segment_fixed_size: 0
    .sgpr_count:     4
    .sgpr_spill_count: 0
    .symbol:         _ZN7rocprim17ROCPRIM_400000_NS6detail17trampoline_kernelINS0_14default_configENS1_38merge_sort_block_merge_config_selectorIjNS0_10empty_typeEEEZZNS1_27merge_sort_block_merge_implIS3_N6thrust23THRUST_200600_302600_NS6detail15normal_iteratorINS9_10device_ptrIjEEEEPS5_jNS1_19radix_merge_compareILb0ELb1EjNS0_19identity_decomposerEEEEE10hipError_tT0_T1_T2_jT3_P12ihipStream_tbPNSt15iterator_traitsISK_E10value_typeEPNSQ_ISL_E10value_typeEPSM_NS1_7vsmem_tEENKUlT_SK_SL_SM_E_clISE_PjSF_SF_EESJ_SZ_SK_SL_SM_EUlSZ_E1_NS1_11comp_targetILNS1_3genE3ELNS1_11target_archE908ELNS1_3gpuE7ELNS1_3repE0EEENS1_36merge_oddeven_config_static_selectorELNS0_4arch9wavefront6targetE1EEEvSL_.kd
    .uniform_work_group_size: 1
    .uses_dynamic_stack: false
    .vgpr_count:     0
    .vgpr_spill_count: 0
    .wavefront_size: 64
  - .agpr_count:     0
    .args:
      - .offset:         0
        .size:           48
        .value_kind:     by_value
    .group_segment_fixed_size: 0
    .kernarg_segment_align: 8
    .kernarg_segment_size: 48
    .language:       OpenCL C
    .language_version:
      - 2
      - 0
    .max_flat_workgroup_size: 256
    .name:           _ZN7rocprim17ROCPRIM_400000_NS6detail17trampoline_kernelINS0_14default_configENS1_38merge_sort_block_merge_config_selectorIjNS0_10empty_typeEEEZZNS1_27merge_sort_block_merge_implIS3_N6thrust23THRUST_200600_302600_NS6detail15normal_iteratorINS9_10device_ptrIjEEEEPS5_jNS1_19radix_merge_compareILb0ELb1EjNS0_19identity_decomposerEEEEE10hipError_tT0_T1_T2_jT3_P12ihipStream_tbPNSt15iterator_traitsISK_E10value_typeEPNSQ_ISL_E10value_typeEPSM_NS1_7vsmem_tEENKUlT_SK_SL_SM_E_clISE_PjSF_SF_EESJ_SZ_SK_SL_SM_EUlSZ_E1_NS1_11comp_targetILNS1_3genE2ELNS1_11target_archE906ELNS1_3gpuE6ELNS1_3repE0EEENS1_36merge_oddeven_config_static_selectorELNS0_4arch9wavefront6targetE1EEEvSL_
    .private_segment_fixed_size: 0
    .sgpr_count:     4
    .sgpr_spill_count: 0
    .symbol:         _ZN7rocprim17ROCPRIM_400000_NS6detail17trampoline_kernelINS0_14default_configENS1_38merge_sort_block_merge_config_selectorIjNS0_10empty_typeEEEZZNS1_27merge_sort_block_merge_implIS3_N6thrust23THRUST_200600_302600_NS6detail15normal_iteratorINS9_10device_ptrIjEEEEPS5_jNS1_19radix_merge_compareILb0ELb1EjNS0_19identity_decomposerEEEEE10hipError_tT0_T1_T2_jT3_P12ihipStream_tbPNSt15iterator_traitsISK_E10value_typeEPNSQ_ISL_E10value_typeEPSM_NS1_7vsmem_tEENKUlT_SK_SL_SM_E_clISE_PjSF_SF_EESJ_SZ_SK_SL_SM_EUlSZ_E1_NS1_11comp_targetILNS1_3genE2ELNS1_11target_archE906ELNS1_3gpuE6ELNS1_3repE0EEENS1_36merge_oddeven_config_static_selectorELNS0_4arch9wavefront6targetE1EEEvSL_.kd
    .uniform_work_group_size: 1
    .uses_dynamic_stack: false
    .vgpr_count:     0
    .vgpr_spill_count: 0
    .wavefront_size: 64
  - .agpr_count:     0
    .args:
      - .offset:         0
        .size:           48
        .value_kind:     by_value
    .group_segment_fixed_size: 0
    .kernarg_segment_align: 8
    .kernarg_segment_size: 48
    .language:       OpenCL C
    .language_version:
      - 2
      - 0
    .max_flat_workgroup_size: 256
    .name:           _ZN7rocprim17ROCPRIM_400000_NS6detail17trampoline_kernelINS0_14default_configENS1_38merge_sort_block_merge_config_selectorIjNS0_10empty_typeEEEZZNS1_27merge_sort_block_merge_implIS3_N6thrust23THRUST_200600_302600_NS6detail15normal_iteratorINS9_10device_ptrIjEEEEPS5_jNS1_19radix_merge_compareILb0ELb1EjNS0_19identity_decomposerEEEEE10hipError_tT0_T1_T2_jT3_P12ihipStream_tbPNSt15iterator_traitsISK_E10value_typeEPNSQ_ISL_E10value_typeEPSM_NS1_7vsmem_tEENKUlT_SK_SL_SM_E_clISE_PjSF_SF_EESJ_SZ_SK_SL_SM_EUlSZ_E1_NS1_11comp_targetILNS1_3genE9ELNS1_11target_archE1100ELNS1_3gpuE3ELNS1_3repE0EEENS1_36merge_oddeven_config_static_selectorELNS0_4arch9wavefront6targetE1EEEvSL_
    .private_segment_fixed_size: 0
    .sgpr_count:     4
    .sgpr_spill_count: 0
    .symbol:         _ZN7rocprim17ROCPRIM_400000_NS6detail17trampoline_kernelINS0_14default_configENS1_38merge_sort_block_merge_config_selectorIjNS0_10empty_typeEEEZZNS1_27merge_sort_block_merge_implIS3_N6thrust23THRUST_200600_302600_NS6detail15normal_iteratorINS9_10device_ptrIjEEEEPS5_jNS1_19radix_merge_compareILb0ELb1EjNS0_19identity_decomposerEEEEE10hipError_tT0_T1_T2_jT3_P12ihipStream_tbPNSt15iterator_traitsISK_E10value_typeEPNSQ_ISL_E10value_typeEPSM_NS1_7vsmem_tEENKUlT_SK_SL_SM_E_clISE_PjSF_SF_EESJ_SZ_SK_SL_SM_EUlSZ_E1_NS1_11comp_targetILNS1_3genE9ELNS1_11target_archE1100ELNS1_3gpuE3ELNS1_3repE0EEENS1_36merge_oddeven_config_static_selectorELNS0_4arch9wavefront6targetE1EEEvSL_.kd
    .uniform_work_group_size: 1
    .uses_dynamic_stack: false
    .vgpr_count:     0
    .vgpr_spill_count: 0
    .wavefront_size: 64
  - .agpr_count:     0
    .args:
      - .offset:         0
        .size:           48
        .value_kind:     by_value
    .group_segment_fixed_size: 0
    .kernarg_segment_align: 8
    .kernarg_segment_size: 48
    .language:       OpenCL C
    .language_version:
      - 2
      - 0
    .max_flat_workgroup_size: 256
    .name:           _ZN7rocprim17ROCPRIM_400000_NS6detail17trampoline_kernelINS0_14default_configENS1_38merge_sort_block_merge_config_selectorIjNS0_10empty_typeEEEZZNS1_27merge_sort_block_merge_implIS3_N6thrust23THRUST_200600_302600_NS6detail15normal_iteratorINS9_10device_ptrIjEEEEPS5_jNS1_19radix_merge_compareILb0ELb1EjNS0_19identity_decomposerEEEEE10hipError_tT0_T1_T2_jT3_P12ihipStream_tbPNSt15iterator_traitsISK_E10value_typeEPNSQ_ISL_E10value_typeEPSM_NS1_7vsmem_tEENKUlT_SK_SL_SM_E_clISE_PjSF_SF_EESJ_SZ_SK_SL_SM_EUlSZ_E1_NS1_11comp_targetILNS1_3genE8ELNS1_11target_archE1030ELNS1_3gpuE2ELNS1_3repE0EEENS1_36merge_oddeven_config_static_selectorELNS0_4arch9wavefront6targetE1EEEvSL_
    .private_segment_fixed_size: 0
    .sgpr_count:     4
    .sgpr_spill_count: 0
    .symbol:         _ZN7rocprim17ROCPRIM_400000_NS6detail17trampoline_kernelINS0_14default_configENS1_38merge_sort_block_merge_config_selectorIjNS0_10empty_typeEEEZZNS1_27merge_sort_block_merge_implIS3_N6thrust23THRUST_200600_302600_NS6detail15normal_iteratorINS9_10device_ptrIjEEEEPS5_jNS1_19radix_merge_compareILb0ELb1EjNS0_19identity_decomposerEEEEE10hipError_tT0_T1_T2_jT3_P12ihipStream_tbPNSt15iterator_traitsISK_E10value_typeEPNSQ_ISL_E10value_typeEPSM_NS1_7vsmem_tEENKUlT_SK_SL_SM_E_clISE_PjSF_SF_EESJ_SZ_SK_SL_SM_EUlSZ_E1_NS1_11comp_targetILNS1_3genE8ELNS1_11target_archE1030ELNS1_3gpuE2ELNS1_3repE0EEENS1_36merge_oddeven_config_static_selectorELNS0_4arch9wavefront6targetE1EEEvSL_.kd
    .uniform_work_group_size: 1
    .uses_dynamic_stack: false
    .vgpr_count:     0
    .vgpr_spill_count: 0
    .wavefront_size: 64
  - .agpr_count:     0
    .args:
      - .offset:         0
        .size:           40
        .value_kind:     by_value
    .group_segment_fixed_size: 0
    .kernarg_segment_align: 8
    .kernarg_segment_size: 40
    .language:       OpenCL C
    .language_version:
      - 2
      - 0
    .max_flat_workgroup_size: 512
    .name:           _ZN7rocprim17ROCPRIM_400000_NS6detail17trampoline_kernelINS0_14default_configENS1_35radix_sort_onesweep_config_selectorIjNS0_10empty_typeEEEZNS1_34radix_sort_onesweep_global_offsetsIS3_Lb0EN6thrust23THRUST_200600_302600_NS6detail15normal_iteratorINS9_10device_ptrIjEEEEPS5_jNS0_19identity_decomposerEEE10hipError_tT1_T2_PT3_SK_jT4_jjP12ihipStream_tbEUlT_E_NS1_11comp_targetILNS1_3genE0ELNS1_11target_archE4294967295ELNS1_3gpuE0ELNS1_3repE0EEENS1_52radix_sort_onesweep_histogram_config_static_selectorELNS0_4arch9wavefront6targetE1EEEvSI_
    .private_segment_fixed_size: 0
    .sgpr_count:     4
    .sgpr_spill_count: 0
    .symbol:         _ZN7rocprim17ROCPRIM_400000_NS6detail17trampoline_kernelINS0_14default_configENS1_35radix_sort_onesweep_config_selectorIjNS0_10empty_typeEEEZNS1_34radix_sort_onesweep_global_offsetsIS3_Lb0EN6thrust23THRUST_200600_302600_NS6detail15normal_iteratorINS9_10device_ptrIjEEEEPS5_jNS0_19identity_decomposerEEE10hipError_tT1_T2_PT3_SK_jT4_jjP12ihipStream_tbEUlT_E_NS1_11comp_targetILNS1_3genE0ELNS1_11target_archE4294967295ELNS1_3gpuE0ELNS1_3repE0EEENS1_52radix_sort_onesweep_histogram_config_static_selectorELNS0_4arch9wavefront6targetE1EEEvSI_.kd
    .uniform_work_group_size: 1
    .uses_dynamic_stack: false
    .vgpr_count:     0
    .vgpr_spill_count: 0
    .wavefront_size: 64
  - .agpr_count:     0
    .args:
      - .offset:         0
        .size:           40
        .value_kind:     by_value
    .group_segment_fixed_size: 0
    .kernarg_segment_align: 8
    .kernarg_segment_size: 40
    .language:       OpenCL C
    .language_version:
      - 2
      - 0
    .max_flat_workgroup_size: 1024
    .name:           _ZN7rocprim17ROCPRIM_400000_NS6detail17trampoline_kernelINS0_14default_configENS1_35radix_sort_onesweep_config_selectorIjNS0_10empty_typeEEEZNS1_34radix_sort_onesweep_global_offsetsIS3_Lb0EN6thrust23THRUST_200600_302600_NS6detail15normal_iteratorINS9_10device_ptrIjEEEEPS5_jNS0_19identity_decomposerEEE10hipError_tT1_T2_PT3_SK_jT4_jjP12ihipStream_tbEUlT_E_NS1_11comp_targetILNS1_3genE6ELNS1_11target_archE950ELNS1_3gpuE13ELNS1_3repE0EEENS1_52radix_sort_onesweep_histogram_config_static_selectorELNS0_4arch9wavefront6targetE1EEEvSI_
    .private_segment_fixed_size: 0
    .sgpr_count:     4
    .sgpr_spill_count: 0
    .symbol:         _ZN7rocprim17ROCPRIM_400000_NS6detail17trampoline_kernelINS0_14default_configENS1_35radix_sort_onesweep_config_selectorIjNS0_10empty_typeEEEZNS1_34radix_sort_onesweep_global_offsetsIS3_Lb0EN6thrust23THRUST_200600_302600_NS6detail15normal_iteratorINS9_10device_ptrIjEEEEPS5_jNS0_19identity_decomposerEEE10hipError_tT1_T2_PT3_SK_jT4_jjP12ihipStream_tbEUlT_E_NS1_11comp_targetILNS1_3genE6ELNS1_11target_archE950ELNS1_3gpuE13ELNS1_3repE0EEENS1_52radix_sort_onesweep_histogram_config_static_selectorELNS0_4arch9wavefront6targetE1EEEvSI_.kd
    .uniform_work_group_size: 1
    .uses_dynamic_stack: false
    .vgpr_count:     0
    .vgpr_spill_count: 0
    .wavefront_size: 64
  - .agpr_count:     0
    .args:
      - .offset:         0
        .size:           40
        .value_kind:     by_value
    .group_segment_fixed_size: 0
    .kernarg_segment_align: 8
    .kernarg_segment_size: 40
    .language:       OpenCL C
    .language_version:
      - 2
      - 0
    .max_flat_workgroup_size: 1024
    .name:           _ZN7rocprim17ROCPRIM_400000_NS6detail17trampoline_kernelINS0_14default_configENS1_35radix_sort_onesweep_config_selectorIjNS0_10empty_typeEEEZNS1_34radix_sort_onesweep_global_offsetsIS3_Lb0EN6thrust23THRUST_200600_302600_NS6detail15normal_iteratorINS9_10device_ptrIjEEEEPS5_jNS0_19identity_decomposerEEE10hipError_tT1_T2_PT3_SK_jT4_jjP12ihipStream_tbEUlT_E_NS1_11comp_targetILNS1_3genE5ELNS1_11target_archE942ELNS1_3gpuE9ELNS1_3repE0EEENS1_52radix_sort_onesweep_histogram_config_static_selectorELNS0_4arch9wavefront6targetE1EEEvSI_
    .private_segment_fixed_size: 0
    .sgpr_count:     4
    .sgpr_spill_count: 0
    .symbol:         _ZN7rocprim17ROCPRIM_400000_NS6detail17trampoline_kernelINS0_14default_configENS1_35radix_sort_onesweep_config_selectorIjNS0_10empty_typeEEEZNS1_34radix_sort_onesweep_global_offsetsIS3_Lb0EN6thrust23THRUST_200600_302600_NS6detail15normal_iteratorINS9_10device_ptrIjEEEEPS5_jNS0_19identity_decomposerEEE10hipError_tT1_T2_PT3_SK_jT4_jjP12ihipStream_tbEUlT_E_NS1_11comp_targetILNS1_3genE5ELNS1_11target_archE942ELNS1_3gpuE9ELNS1_3repE0EEENS1_52radix_sort_onesweep_histogram_config_static_selectorELNS0_4arch9wavefront6targetE1EEEvSI_.kd
    .uniform_work_group_size: 1
    .uses_dynamic_stack: false
    .vgpr_count:     0
    .vgpr_spill_count: 0
    .wavefront_size: 64
  - .agpr_count:     0
    .args:
      - .offset:         0
        .size:           40
        .value_kind:     by_value
    .group_segment_fixed_size: 0
    .kernarg_segment_align: 8
    .kernarg_segment_size: 40
    .language:       OpenCL C
    .language_version:
      - 2
      - 0
    .max_flat_workgroup_size: 1024
    .name:           _ZN7rocprim17ROCPRIM_400000_NS6detail17trampoline_kernelINS0_14default_configENS1_35radix_sort_onesweep_config_selectorIjNS0_10empty_typeEEEZNS1_34radix_sort_onesweep_global_offsetsIS3_Lb0EN6thrust23THRUST_200600_302600_NS6detail15normal_iteratorINS9_10device_ptrIjEEEEPS5_jNS0_19identity_decomposerEEE10hipError_tT1_T2_PT3_SK_jT4_jjP12ihipStream_tbEUlT_E_NS1_11comp_targetILNS1_3genE2ELNS1_11target_archE906ELNS1_3gpuE6ELNS1_3repE0EEENS1_52radix_sort_onesweep_histogram_config_static_selectorELNS0_4arch9wavefront6targetE1EEEvSI_
    .private_segment_fixed_size: 0
    .sgpr_count:     4
    .sgpr_spill_count: 0
    .symbol:         _ZN7rocprim17ROCPRIM_400000_NS6detail17trampoline_kernelINS0_14default_configENS1_35radix_sort_onesweep_config_selectorIjNS0_10empty_typeEEEZNS1_34radix_sort_onesweep_global_offsetsIS3_Lb0EN6thrust23THRUST_200600_302600_NS6detail15normal_iteratorINS9_10device_ptrIjEEEEPS5_jNS0_19identity_decomposerEEE10hipError_tT1_T2_PT3_SK_jT4_jjP12ihipStream_tbEUlT_E_NS1_11comp_targetILNS1_3genE2ELNS1_11target_archE906ELNS1_3gpuE6ELNS1_3repE0EEENS1_52radix_sort_onesweep_histogram_config_static_selectorELNS0_4arch9wavefront6targetE1EEEvSI_.kd
    .uniform_work_group_size: 1
    .uses_dynamic_stack: false
    .vgpr_count:     0
    .vgpr_spill_count: 0
    .wavefront_size: 64
  - .agpr_count:     0
    .args:
      - .offset:         0
        .size:           40
        .value_kind:     by_value
    .group_segment_fixed_size: 16384
    .kernarg_segment_align: 8
    .kernarg_segment_size: 40
    .language:       OpenCL C
    .language_version:
      - 2
      - 0
    .max_flat_workgroup_size: 1024
    .name:           _ZN7rocprim17ROCPRIM_400000_NS6detail17trampoline_kernelINS0_14default_configENS1_35radix_sort_onesweep_config_selectorIjNS0_10empty_typeEEEZNS1_34radix_sort_onesweep_global_offsetsIS3_Lb0EN6thrust23THRUST_200600_302600_NS6detail15normal_iteratorINS9_10device_ptrIjEEEEPS5_jNS0_19identity_decomposerEEE10hipError_tT1_T2_PT3_SK_jT4_jjP12ihipStream_tbEUlT_E_NS1_11comp_targetILNS1_3genE4ELNS1_11target_archE910ELNS1_3gpuE8ELNS1_3repE0EEENS1_52radix_sort_onesweep_histogram_config_static_selectorELNS0_4arch9wavefront6targetE1EEEvSI_
    .private_segment_fixed_size: 0
    .sgpr_count:     23
    .sgpr_spill_count: 0
    .symbol:         _ZN7rocprim17ROCPRIM_400000_NS6detail17trampoline_kernelINS0_14default_configENS1_35radix_sort_onesweep_config_selectorIjNS0_10empty_typeEEEZNS1_34radix_sort_onesweep_global_offsetsIS3_Lb0EN6thrust23THRUST_200600_302600_NS6detail15normal_iteratorINS9_10device_ptrIjEEEEPS5_jNS0_19identity_decomposerEEE10hipError_tT1_T2_PT3_SK_jT4_jjP12ihipStream_tbEUlT_E_NS1_11comp_targetILNS1_3genE4ELNS1_11target_archE910ELNS1_3gpuE8ELNS1_3repE0EEENS1_52radix_sort_onesweep_histogram_config_static_selectorELNS0_4arch9wavefront6targetE1EEEvSI_.kd
    .uniform_work_group_size: 1
    .uses_dynamic_stack: false
    .vgpr_count:     27
    .vgpr_spill_count: 0
    .wavefront_size: 64
  - .agpr_count:     0
    .args:
      - .offset:         0
        .size:           40
        .value_kind:     by_value
    .group_segment_fixed_size: 0
    .kernarg_segment_align: 8
    .kernarg_segment_size: 40
    .language:       OpenCL C
    .language_version:
      - 2
      - 0
    .max_flat_workgroup_size: 512
    .name:           _ZN7rocprim17ROCPRIM_400000_NS6detail17trampoline_kernelINS0_14default_configENS1_35radix_sort_onesweep_config_selectorIjNS0_10empty_typeEEEZNS1_34radix_sort_onesweep_global_offsetsIS3_Lb0EN6thrust23THRUST_200600_302600_NS6detail15normal_iteratorINS9_10device_ptrIjEEEEPS5_jNS0_19identity_decomposerEEE10hipError_tT1_T2_PT3_SK_jT4_jjP12ihipStream_tbEUlT_E_NS1_11comp_targetILNS1_3genE3ELNS1_11target_archE908ELNS1_3gpuE7ELNS1_3repE0EEENS1_52radix_sort_onesweep_histogram_config_static_selectorELNS0_4arch9wavefront6targetE1EEEvSI_
    .private_segment_fixed_size: 0
    .sgpr_count:     4
    .sgpr_spill_count: 0
    .symbol:         _ZN7rocprim17ROCPRIM_400000_NS6detail17trampoline_kernelINS0_14default_configENS1_35radix_sort_onesweep_config_selectorIjNS0_10empty_typeEEEZNS1_34radix_sort_onesweep_global_offsetsIS3_Lb0EN6thrust23THRUST_200600_302600_NS6detail15normal_iteratorINS9_10device_ptrIjEEEEPS5_jNS0_19identity_decomposerEEE10hipError_tT1_T2_PT3_SK_jT4_jjP12ihipStream_tbEUlT_E_NS1_11comp_targetILNS1_3genE3ELNS1_11target_archE908ELNS1_3gpuE7ELNS1_3repE0EEENS1_52radix_sort_onesweep_histogram_config_static_selectorELNS0_4arch9wavefront6targetE1EEEvSI_.kd
    .uniform_work_group_size: 1
    .uses_dynamic_stack: false
    .vgpr_count:     0
    .vgpr_spill_count: 0
    .wavefront_size: 64
  - .agpr_count:     0
    .args:
      - .offset:         0
        .size:           40
        .value_kind:     by_value
    .group_segment_fixed_size: 0
    .kernarg_segment_align: 8
    .kernarg_segment_size: 40
    .language:       OpenCL C
    .language_version:
      - 2
      - 0
    .max_flat_workgroup_size: 1024
    .name:           _ZN7rocprim17ROCPRIM_400000_NS6detail17trampoline_kernelINS0_14default_configENS1_35radix_sort_onesweep_config_selectorIjNS0_10empty_typeEEEZNS1_34radix_sort_onesweep_global_offsetsIS3_Lb0EN6thrust23THRUST_200600_302600_NS6detail15normal_iteratorINS9_10device_ptrIjEEEEPS5_jNS0_19identity_decomposerEEE10hipError_tT1_T2_PT3_SK_jT4_jjP12ihipStream_tbEUlT_E_NS1_11comp_targetILNS1_3genE10ELNS1_11target_archE1201ELNS1_3gpuE5ELNS1_3repE0EEENS1_52radix_sort_onesweep_histogram_config_static_selectorELNS0_4arch9wavefront6targetE1EEEvSI_
    .private_segment_fixed_size: 0
    .sgpr_count:     4
    .sgpr_spill_count: 0
    .symbol:         _ZN7rocprim17ROCPRIM_400000_NS6detail17trampoline_kernelINS0_14default_configENS1_35radix_sort_onesweep_config_selectorIjNS0_10empty_typeEEEZNS1_34radix_sort_onesweep_global_offsetsIS3_Lb0EN6thrust23THRUST_200600_302600_NS6detail15normal_iteratorINS9_10device_ptrIjEEEEPS5_jNS0_19identity_decomposerEEE10hipError_tT1_T2_PT3_SK_jT4_jjP12ihipStream_tbEUlT_E_NS1_11comp_targetILNS1_3genE10ELNS1_11target_archE1201ELNS1_3gpuE5ELNS1_3repE0EEENS1_52radix_sort_onesweep_histogram_config_static_selectorELNS0_4arch9wavefront6targetE1EEEvSI_.kd
    .uniform_work_group_size: 1
    .uses_dynamic_stack: false
    .vgpr_count:     0
    .vgpr_spill_count: 0
    .wavefront_size: 64
  - .agpr_count:     0
    .args:
      - .offset:         0
        .size:           40
        .value_kind:     by_value
    .group_segment_fixed_size: 0
    .kernarg_segment_align: 8
    .kernarg_segment_size: 40
    .language:       OpenCL C
    .language_version:
      - 2
      - 0
    .max_flat_workgroup_size: 1024
    .name:           _ZN7rocprim17ROCPRIM_400000_NS6detail17trampoline_kernelINS0_14default_configENS1_35radix_sort_onesweep_config_selectorIjNS0_10empty_typeEEEZNS1_34radix_sort_onesweep_global_offsetsIS3_Lb0EN6thrust23THRUST_200600_302600_NS6detail15normal_iteratorINS9_10device_ptrIjEEEEPS5_jNS0_19identity_decomposerEEE10hipError_tT1_T2_PT3_SK_jT4_jjP12ihipStream_tbEUlT_E_NS1_11comp_targetILNS1_3genE9ELNS1_11target_archE1100ELNS1_3gpuE3ELNS1_3repE0EEENS1_52radix_sort_onesweep_histogram_config_static_selectorELNS0_4arch9wavefront6targetE1EEEvSI_
    .private_segment_fixed_size: 0
    .sgpr_count:     4
    .sgpr_spill_count: 0
    .symbol:         _ZN7rocprim17ROCPRIM_400000_NS6detail17trampoline_kernelINS0_14default_configENS1_35radix_sort_onesweep_config_selectorIjNS0_10empty_typeEEEZNS1_34radix_sort_onesweep_global_offsetsIS3_Lb0EN6thrust23THRUST_200600_302600_NS6detail15normal_iteratorINS9_10device_ptrIjEEEEPS5_jNS0_19identity_decomposerEEE10hipError_tT1_T2_PT3_SK_jT4_jjP12ihipStream_tbEUlT_E_NS1_11comp_targetILNS1_3genE9ELNS1_11target_archE1100ELNS1_3gpuE3ELNS1_3repE0EEENS1_52radix_sort_onesweep_histogram_config_static_selectorELNS0_4arch9wavefront6targetE1EEEvSI_.kd
    .uniform_work_group_size: 1
    .uses_dynamic_stack: false
    .vgpr_count:     0
    .vgpr_spill_count: 0
    .wavefront_size: 64
  - .agpr_count:     0
    .args:
      - .offset:         0
        .size:           40
        .value_kind:     by_value
    .group_segment_fixed_size: 0
    .kernarg_segment_align: 8
    .kernarg_segment_size: 40
    .language:       OpenCL C
    .language_version:
      - 2
      - 0
    .max_flat_workgroup_size: 1024
    .name:           _ZN7rocprim17ROCPRIM_400000_NS6detail17trampoline_kernelINS0_14default_configENS1_35radix_sort_onesweep_config_selectorIjNS0_10empty_typeEEEZNS1_34radix_sort_onesweep_global_offsetsIS3_Lb0EN6thrust23THRUST_200600_302600_NS6detail15normal_iteratorINS9_10device_ptrIjEEEEPS5_jNS0_19identity_decomposerEEE10hipError_tT1_T2_PT3_SK_jT4_jjP12ihipStream_tbEUlT_E_NS1_11comp_targetILNS1_3genE8ELNS1_11target_archE1030ELNS1_3gpuE2ELNS1_3repE0EEENS1_52radix_sort_onesweep_histogram_config_static_selectorELNS0_4arch9wavefront6targetE1EEEvSI_
    .private_segment_fixed_size: 0
    .sgpr_count:     4
    .sgpr_spill_count: 0
    .symbol:         _ZN7rocprim17ROCPRIM_400000_NS6detail17trampoline_kernelINS0_14default_configENS1_35radix_sort_onesweep_config_selectorIjNS0_10empty_typeEEEZNS1_34radix_sort_onesweep_global_offsetsIS3_Lb0EN6thrust23THRUST_200600_302600_NS6detail15normal_iteratorINS9_10device_ptrIjEEEEPS5_jNS0_19identity_decomposerEEE10hipError_tT1_T2_PT3_SK_jT4_jjP12ihipStream_tbEUlT_E_NS1_11comp_targetILNS1_3genE8ELNS1_11target_archE1030ELNS1_3gpuE2ELNS1_3repE0EEENS1_52radix_sort_onesweep_histogram_config_static_selectorELNS0_4arch9wavefront6targetE1EEEvSI_.kd
    .uniform_work_group_size: 1
    .uses_dynamic_stack: false
    .vgpr_count:     0
    .vgpr_spill_count: 0
    .wavefront_size: 64
  - .agpr_count:     0
    .args:
      - .address_space:  global
        .offset:         0
        .size:           8
        .value_kind:     global_buffer
    .group_segment_fixed_size: 0
    .kernarg_segment_align: 8
    .kernarg_segment_size: 8
    .language:       OpenCL C
    .language_version:
      - 2
      - 0
    .max_flat_workgroup_size: 512
    .name:           _ZN7rocprim17ROCPRIM_400000_NS6detail17trampoline_kernelINS0_14default_configENS1_35radix_sort_onesweep_config_selectorIjNS0_10empty_typeEEEZNS1_34radix_sort_onesweep_global_offsetsIS3_Lb0EN6thrust23THRUST_200600_302600_NS6detail15normal_iteratorINS9_10device_ptrIjEEEEPS5_jNS0_19identity_decomposerEEE10hipError_tT1_T2_PT3_SK_jT4_jjP12ihipStream_tbEUlT_E0_NS1_11comp_targetILNS1_3genE0ELNS1_11target_archE4294967295ELNS1_3gpuE0ELNS1_3repE0EEENS1_52radix_sort_onesweep_histogram_config_static_selectorELNS0_4arch9wavefront6targetE1EEEvSI_
    .private_segment_fixed_size: 0
    .sgpr_count:     4
    .sgpr_spill_count: 0
    .symbol:         _ZN7rocprim17ROCPRIM_400000_NS6detail17trampoline_kernelINS0_14default_configENS1_35radix_sort_onesweep_config_selectorIjNS0_10empty_typeEEEZNS1_34radix_sort_onesweep_global_offsetsIS3_Lb0EN6thrust23THRUST_200600_302600_NS6detail15normal_iteratorINS9_10device_ptrIjEEEEPS5_jNS0_19identity_decomposerEEE10hipError_tT1_T2_PT3_SK_jT4_jjP12ihipStream_tbEUlT_E0_NS1_11comp_targetILNS1_3genE0ELNS1_11target_archE4294967295ELNS1_3gpuE0ELNS1_3repE0EEENS1_52radix_sort_onesweep_histogram_config_static_selectorELNS0_4arch9wavefront6targetE1EEEvSI_.kd
    .uniform_work_group_size: 1
    .uses_dynamic_stack: false
    .vgpr_count:     0
    .vgpr_spill_count: 0
    .wavefront_size: 64
  - .agpr_count:     0
    .args:
      - .address_space:  global
        .offset:         0
        .size:           8
        .value_kind:     global_buffer
    .group_segment_fixed_size: 0
    .kernarg_segment_align: 8
    .kernarg_segment_size: 8
    .language:       OpenCL C
    .language_version:
      - 2
      - 0
    .max_flat_workgroup_size: 1024
    .name:           _ZN7rocprim17ROCPRIM_400000_NS6detail17trampoline_kernelINS0_14default_configENS1_35radix_sort_onesweep_config_selectorIjNS0_10empty_typeEEEZNS1_34radix_sort_onesweep_global_offsetsIS3_Lb0EN6thrust23THRUST_200600_302600_NS6detail15normal_iteratorINS9_10device_ptrIjEEEEPS5_jNS0_19identity_decomposerEEE10hipError_tT1_T2_PT3_SK_jT4_jjP12ihipStream_tbEUlT_E0_NS1_11comp_targetILNS1_3genE6ELNS1_11target_archE950ELNS1_3gpuE13ELNS1_3repE0EEENS1_52radix_sort_onesweep_histogram_config_static_selectorELNS0_4arch9wavefront6targetE1EEEvSI_
    .private_segment_fixed_size: 0
    .sgpr_count:     4
    .sgpr_spill_count: 0
    .symbol:         _ZN7rocprim17ROCPRIM_400000_NS6detail17trampoline_kernelINS0_14default_configENS1_35radix_sort_onesweep_config_selectorIjNS0_10empty_typeEEEZNS1_34radix_sort_onesweep_global_offsetsIS3_Lb0EN6thrust23THRUST_200600_302600_NS6detail15normal_iteratorINS9_10device_ptrIjEEEEPS5_jNS0_19identity_decomposerEEE10hipError_tT1_T2_PT3_SK_jT4_jjP12ihipStream_tbEUlT_E0_NS1_11comp_targetILNS1_3genE6ELNS1_11target_archE950ELNS1_3gpuE13ELNS1_3repE0EEENS1_52radix_sort_onesweep_histogram_config_static_selectorELNS0_4arch9wavefront6targetE1EEEvSI_.kd
    .uniform_work_group_size: 1
    .uses_dynamic_stack: false
    .vgpr_count:     0
    .vgpr_spill_count: 0
    .wavefront_size: 64
  - .agpr_count:     0
    .args:
      - .address_space:  global
        .offset:         0
        .size:           8
        .value_kind:     global_buffer
    .group_segment_fixed_size: 0
    .kernarg_segment_align: 8
    .kernarg_segment_size: 8
    .language:       OpenCL C
    .language_version:
      - 2
      - 0
    .max_flat_workgroup_size: 1024
    .name:           _ZN7rocprim17ROCPRIM_400000_NS6detail17trampoline_kernelINS0_14default_configENS1_35radix_sort_onesweep_config_selectorIjNS0_10empty_typeEEEZNS1_34radix_sort_onesweep_global_offsetsIS3_Lb0EN6thrust23THRUST_200600_302600_NS6detail15normal_iteratorINS9_10device_ptrIjEEEEPS5_jNS0_19identity_decomposerEEE10hipError_tT1_T2_PT3_SK_jT4_jjP12ihipStream_tbEUlT_E0_NS1_11comp_targetILNS1_3genE5ELNS1_11target_archE942ELNS1_3gpuE9ELNS1_3repE0EEENS1_52radix_sort_onesweep_histogram_config_static_selectorELNS0_4arch9wavefront6targetE1EEEvSI_
    .private_segment_fixed_size: 0
    .sgpr_count:     4
    .sgpr_spill_count: 0
    .symbol:         _ZN7rocprim17ROCPRIM_400000_NS6detail17trampoline_kernelINS0_14default_configENS1_35radix_sort_onesweep_config_selectorIjNS0_10empty_typeEEEZNS1_34radix_sort_onesweep_global_offsetsIS3_Lb0EN6thrust23THRUST_200600_302600_NS6detail15normal_iteratorINS9_10device_ptrIjEEEEPS5_jNS0_19identity_decomposerEEE10hipError_tT1_T2_PT3_SK_jT4_jjP12ihipStream_tbEUlT_E0_NS1_11comp_targetILNS1_3genE5ELNS1_11target_archE942ELNS1_3gpuE9ELNS1_3repE0EEENS1_52radix_sort_onesweep_histogram_config_static_selectorELNS0_4arch9wavefront6targetE1EEEvSI_.kd
    .uniform_work_group_size: 1
    .uses_dynamic_stack: false
    .vgpr_count:     0
    .vgpr_spill_count: 0
    .wavefront_size: 64
  - .agpr_count:     0
    .args:
      - .address_space:  global
        .offset:         0
        .size:           8
        .value_kind:     global_buffer
    .group_segment_fixed_size: 0
    .kernarg_segment_align: 8
    .kernarg_segment_size: 8
    .language:       OpenCL C
    .language_version:
      - 2
      - 0
    .max_flat_workgroup_size: 1024
    .name:           _ZN7rocprim17ROCPRIM_400000_NS6detail17trampoline_kernelINS0_14default_configENS1_35radix_sort_onesweep_config_selectorIjNS0_10empty_typeEEEZNS1_34radix_sort_onesweep_global_offsetsIS3_Lb0EN6thrust23THRUST_200600_302600_NS6detail15normal_iteratorINS9_10device_ptrIjEEEEPS5_jNS0_19identity_decomposerEEE10hipError_tT1_T2_PT3_SK_jT4_jjP12ihipStream_tbEUlT_E0_NS1_11comp_targetILNS1_3genE2ELNS1_11target_archE906ELNS1_3gpuE6ELNS1_3repE0EEENS1_52radix_sort_onesweep_histogram_config_static_selectorELNS0_4arch9wavefront6targetE1EEEvSI_
    .private_segment_fixed_size: 0
    .sgpr_count:     4
    .sgpr_spill_count: 0
    .symbol:         _ZN7rocprim17ROCPRIM_400000_NS6detail17trampoline_kernelINS0_14default_configENS1_35radix_sort_onesweep_config_selectorIjNS0_10empty_typeEEEZNS1_34radix_sort_onesweep_global_offsetsIS3_Lb0EN6thrust23THRUST_200600_302600_NS6detail15normal_iteratorINS9_10device_ptrIjEEEEPS5_jNS0_19identity_decomposerEEE10hipError_tT1_T2_PT3_SK_jT4_jjP12ihipStream_tbEUlT_E0_NS1_11comp_targetILNS1_3genE2ELNS1_11target_archE906ELNS1_3gpuE6ELNS1_3repE0EEENS1_52radix_sort_onesweep_histogram_config_static_selectorELNS0_4arch9wavefront6targetE1EEEvSI_.kd
    .uniform_work_group_size: 1
    .uses_dynamic_stack: false
    .vgpr_count:     0
    .vgpr_spill_count: 0
    .wavefront_size: 64
  - .agpr_count:     0
    .args:
      - .address_space:  global
        .offset:         0
        .size:           8
        .value_kind:     global_buffer
    .group_segment_fixed_size: 64
    .kernarg_segment_align: 8
    .kernarg_segment_size: 8
    .language:       OpenCL C
    .language_version:
      - 2
      - 0
    .max_flat_workgroup_size: 1024
    .name:           _ZN7rocprim17ROCPRIM_400000_NS6detail17trampoline_kernelINS0_14default_configENS1_35radix_sort_onesweep_config_selectorIjNS0_10empty_typeEEEZNS1_34radix_sort_onesweep_global_offsetsIS3_Lb0EN6thrust23THRUST_200600_302600_NS6detail15normal_iteratorINS9_10device_ptrIjEEEEPS5_jNS0_19identity_decomposerEEE10hipError_tT1_T2_PT3_SK_jT4_jjP12ihipStream_tbEUlT_E0_NS1_11comp_targetILNS1_3genE4ELNS1_11target_archE910ELNS1_3gpuE8ELNS1_3repE0EEENS1_52radix_sort_onesweep_histogram_config_static_selectorELNS0_4arch9wavefront6targetE1EEEvSI_
    .private_segment_fixed_size: 0
    .sgpr_count:     18
    .sgpr_spill_count: 0
    .symbol:         _ZN7rocprim17ROCPRIM_400000_NS6detail17trampoline_kernelINS0_14default_configENS1_35radix_sort_onesweep_config_selectorIjNS0_10empty_typeEEEZNS1_34radix_sort_onesweep_global_offsetsIS3_Lb0EN6thrust23THRUST_200600_302600_NS6detail15normal_iteratorINS9_10device_ptrIjEEEEPS5_jNS0_19identity_decomposerEEE10hipError_tT1_T2_PT3_SK_jT4_jjP12ihipStream_tbEUlT_E0_NS1_11comp_targetILNS1_3genE4ELNS1_11target_archE910ELNS1_3gpuE8ELNS1_3repE0EEENS1_52radix_sort_onesweep_histogram_config_static_selectorELNS0_4arch9wavefront6targetE1EEEvSI_.kd
    .uniform_work_group_size: 1
    .uses_dynamic_stack: false
    .vgpr_count:     7
    .vgpr_spill_count: 0
    .wavefront_size: 64
  - .agpr_count:     0
    .args:
      - .address_space:  global
        .offset:         0
        .size:           8
        .value_kind:     global_buffer
    .group_segment_fixed_size: 0
    .kernarg_segment_align: 8
    .kernarg_segment_size: 8
    .language:       OpenCL C
    .language_version:
      - 2
      - 0
    .max_flat_workgroup_size: 512
    .name:           _ZN7rocprim17ROCPRIM_400000_NS6detail17trampoline_kernelINS0_14default_configENS1_35radix_sort_onesweep_config_selectorIjNS0_10empty_typeEEEZNS1_34radix_sort_onesweep_global_offsetsIS3_Lb0EN6thrust23THRUST_200600_302600_NS6detail15normal_iteratorINS9_10device_ptrIjEEEEPS5_jNS0_19identity_decomposerEEE10hipError_tT1_T2_PT3_SK_jT4_jjP12ihipStream_tbEUlT_E0_NS1_11comp_targetILNS1_3genE3ELNS1_11target_archE908ELNS1_3gpuE7ELNS1_3repE0EEENS1_52radix_sort_onesweep_histogram_config_static_selectorELNS0_4arch9wavefront6targetE1EEEvSI_
    .private_segment_fixed_size: 0
    .sgpr_count:     4
    .sgpr_spill_count: 0
    .symbol:         _ZN7rocprim17ROCPRIM_400000_NS6detail17trampoline_kernelINS0_14default_configENS1_35radix_sort_onesweep_config_selectorIjNS0_10empty_typeEEEZNS1_34radix_sort_onesweep_global_offsetsIS3_Lb0EN6thrust23THRUST_200600_302600_NS6detail15normal_iteratorINS9_10device_ptrIjEEEEPS5_jNS0_19identity_decomposerEEE10hipError_tT1_T2_PT3_SK_jT4_jjP12ihipStream_tbEUlT_E0_NS1_11comp_targetILNS1_3genE3ELNS1_11target_archE908ELNS1_3gpuE7ELNS1_3repE0EEENS1_52radix_sort_onesweep_histogram_config_static_selectorELNS0_4arch9wavefront6targetE1EEEvSI_.kd
    .uniform_work_group_size: 1
    .uses_dynamic_stack: false
    .vgpr_count:     0
    .vgpr_spill_count: 0
    .wavefront_size: 64
  - .agpr_count:     0
    .args:
      - .address_space:  global
        .offset:         0
        .size:           8
        .value_kind:     global_buffer
    .group_segment_fixed_size: 0
    .kernarg_segment_align: 8
    .kernarg_segment_size: 8
    .language:       OpenCL C
    .language_version:
      - 2
      - 0
    .max_flat_workgroup_size: 1024
    .name:           _ZN7rocprim17ROCPRIM_400000_NS6detail17trampoline_kernelINS0_14default_configENS1_35radix_sort_onesweep_config_selectorIjNS0_10empty_typeEEEZNS1_34radix_sort_onesweep_global_offsetsIS3_Lb0EN6thrust23THRUST_200600_302600_NS6detail15normal_iteratorINS9_10device_ptrIjEEEEPS5_jNS0_19identity_decomposerEEE10hipError_tT1_T2_PT3_SK_jT4_jjP12ihipStream_tbEUlT_E0_NS1_11comp_targetILNS1_3genE10ELNS1_11target_archE1201ELNS1_3gpuE5ELNS1_3repE0EEENS1_52radix_sort_onesweep_histogram_config_static_selectorELNS0_4arch9wavefront6targetE1EEEvSI_
    .private_segment_fixed_size: 0
    .sgpr_count:     4
    .sgpr_spill_count: 0
    .symbol:         _ZN7rocprim17ROCPRIM_400000_NS6detail17trampoline_kernelINS0_14default_configENS1_35radix_sort_onesweep_config_selectorIjNS0_10empty_typeEEEZNS1_34radix_sort_onesweep_global_offsetsIS3_Lb0EN6thrust23THRUST_200600_302600_NS6detail15normal_iteratorINS9_10device_ptrIjEEEEPS5_jNS0_19identity_decomposerEEE10hipError_tT1_T2_PT3_SK_jT4_jjP12ihipStream_tbEUlT_E0_NS1_11comp_targetILNS1_3genE10ELNS1_11target_archE1201ELNS1_3gpuE5ELNS1_3repE0EEENS1_52radix_sort_onesweep_histogram_config_static_selectorELNS0_4arch9wavefront6targetE1EEEvSI_.kd
    .uniform_work_group_size: 1
    .uses_dynamic_stack: false
    .vgpr_count:     0
    .vgpr_spill_count: 0
    .wavefront_size: 64
  - .agpr_count:     0
    .args:
      - .address_space:  global
        .offset:         0
        .size:           8
        .value_kind:     global_buffer
    .group_segment_fixed_size: 0
    .kernarg_segment_align: 8
    .kernarg_segment_size: 8
    .language:       OpenCL C
    .language_version:
      - 2
      - 0
    .max_flat_workgroup_size: 1024
    .name:           _ZN7rocprim17ROCPRIM_400000_NS6detail17trampoline_kernelINS0_14default_configENS1_35radix_sort_onesweep_config_selectorIjNS0_10empty_typeEEEZNS1_34radix_sort_onesweep_global_offsetsIS3_Lb0EN6thrust23THRUST_200600_302600_NS6detail15normal_iteratorINS9_10device_ptrIjEEEEPS5_jNS0_19identity_decomposerEEE10hipError_tT1_T2_PT3_SK_jT4_jjP12ihipStream_tbEUlT_E0_NS1_11comp_targetILNS1_3genE9ELNS1_11target_archE1100ELNS1_3gpuE3ELNS1_3repE0EEENS1_52radix_sort_onesweep_histogram_config_static_selectorELNS0_4arch9wavefront6targetE1EEEvSI_
    .private_segment_fixed_size: 0
    .sgpr_count:     4
    .sgpr_spill_count: 0
    .symbol:         _ZN7rocprim17ROCPRIM_400000_NS6detail17trampoline_kernelINS0_14default_configENS1_35radix_sort_onesweep_config_selectorIjNS0_10empty_typeEEEZNS1_34radix_sort_onesweep_global_offsetsIS3_Lb0EN6thrust23THRUST_200600_302600_NS6detail15normal_iteratorINS9_10device_ptrIjEEEEPS5_jNS0_19identity_decomposerEEE10hipError_tT1_T2_PT3_SK_jT4_jjP12ihipStream_tbEUlT_E0_NS1_11comp_targetILNS1_3genE9ELNS1_11target_archE1100ELNS1_3gpuE3ELNS1_3repE0EEENS1_52radix_sort_onesweep_histogram_config_static_selectorELNS0_4arch9wavefront6targetE1EEEvSI_.kd
    .uniform_work_group_size: 1
    .uses_dynamic_stack: false
    .vgpr_count:     0
    .vgpr_spill_count: 0
    .wavefront_size: 64
  - .agpr_count:     0
    .args:
      - .address_space:  global
        .offset:         0
        .size:           8
        .value_kind:     global_buffer
    .group_segment_fixed_size: 0
    .kernarg_segment_align: 8
    .kernarg_segment_size: 8
    .language:       OpenCL C
    .language_version:
      - 2
      - 0
    .max_flat_workgroup_size: 1024
    .name:           _ZN7rocprim17ROCPRIM_400000_NS6detail17trampoline_kernelINS0_14default_configENS1_35radix_sort_onesweep_config_selectorIjNS0_10empty_typeEEEZNS1_34radix_sort_onesweep_global_offsetsIS3_Lb0EN6thrust23THRUST_200600_302600_NS6detail15normal_iteratorINS9_10device_ptrIjEEEEPS5_jNS0_19identity_decomposerEEE10hipError_tT1_T2_PT3_SK_jT4_jjP12ihipStream_tbEUlT_E0_NS1_11comp_targetILNS1_3genE8ELNS1_11target_archE1030ELNS1_3gpuE2ELNS1_3repE0EEENS1_52radix_sort_onesweep_histogram_config_static_selectorELNS0_4arch9wavefront6targetE1EEEvSI_
    .private_segment_fixed_size: 0
    .sgpr_count:     4
    .sgpr_spill_count: 0
    .symbol:         _ZN7rocprim17ROCPRIM_400000_NS6detail17trampoline_kernelINS0_14default_configENS1_35radix_sort_onesweep_config_selectorIjNS0_10empty_typeEEEZNS1_34radix_sort_onesweep_global_offsetsIS3_Lb0EN6thrust23THRUST_200600_302600_NS6detail15normal_iteratorINS9_10device_ptrIjEEEEPS5_jNS0_19identity_decomposerEEE10hipError_tT1_T2_PT3_SK_jT4_jjP12ihipStream_tbEUlT_E0_NS1_11comp_targetILNS1_3genE8ELNS1_11target_archE1030ELNS1_3gpuE2ELNS1_3repE0EEENS1_52radix_sort_onesweep_histogram_config_static_selectorELNS0_4arch9wavefront6targetE1EEEvSI_.kd
    .uniform_work_group_size: 1
    .uses_dynamic_stack: false
    .vgpr_count:     0
    .vgpr_spill_count: 0
    .wavefront_size: 64
  - .agpr_count:     0
    .args:
      - .offset:         0
        .size:           40
        .value_kind:     by_value
    .group_segment_fixed_size: 0
    .kernarg_segment_align: 8
    .kernarg_segment_size: 40
    .language:       OpenCL C
    .language_version:
      - 2
      - 0
    .max_flat_workgroup_size: 128
    .name:           _ZN7rocprim17ROCPRIM_400000_NS6detail17trampoline_kernelINS0_14default_configENS1_25transform_config_selectorIjLb0EEEZNS1_14transform_implILb0ES3_S5_N6thrust23THRUST_200600_302600_NS6detail15normal_iteratorINS8_10device_ptrIjEEEEPjNS0_8identityIjEEEE10hipError_tT2_T3_mT4_P12ihipStream_tbEUlT_E_NS1_11comp_targetILNS1_3genE0ELNS1_11target_archE4294967295ELNS1_3gpuE0ELNS1_3repE0EEENS1_30default_config_static_selectorELNS0_4arch9wavefront6targetE1EEEvT1_
    .private_segment_fixed_size: 0
    .sgpr_count:     4
    .sgpr_spill_count: 0
    .symbol:         _ZN7rocprim17ROCPRIM_400000_NS6detail17trampoline_kernelINS0_14default_configENS1_25transform_config_selectorIjLb0EEEZNS1_14transform_implILb0ES3_S5_N6thrust23THRUST_200600_302600_NS6detail15normal_iteratorINS8_10device_ptrIjEEEEPjNS0_8identityIjEEEE10hipError_tT2_T3_mT4_P12ihipStream_tbEUlT_E_NS1_11comp_targetILNS1_3genE0ELNS1_11target_archE4294967295ELNS1_3gpuE0ELNS1_3repE0EEENS1_30default_config_static_selectorELNS0_4arch9wavefront6targetE1EEEvT1_.kd
    .uniform_work_group_size: 1
    .uses_dynamic_stack: false
    .vgpr_count:     0
    .vgpr_spill_count: 0
    .wavefront_size: 64
  - .agpr_count:     0
    .args:
      - .offset:         0
        .size:           40
        .value_kind:     by_value
    .group_segment_fixed_size: 0
    .kernarg_segment_align: 8
    .kernarg_segment_size: 40
    .language:       OpenCL C
    .language_version:
      - 2
      - 0
    .max_flat_workgroup_size: 512
    .name:           _ZN7rocprim17ROCPRIM_400000_NS6detail17trampoline_kernelINS0_14default_configENS1_25transform_config_selectorIjLb0EEEZNS1_14transform_implILb0ES3_S5_N6thrust23THRUST_200600_302600_NS6detail15normal_iteratorINS8_10device_ptrIjEEEEPjNS0_8identityIjEEEE10hipError_tT2_T3_mT4_P12ihipStream_tbEUlT_E_NS1_11comp_targetILNS1_3genE5ELNS1_11target_archE942ELNS1_3gpuE9ELNS1_3repE0EEENS1_30default_config_static_selectorELNS0_4arch9wavefront6targetE1EEEvT1_
    .private_segment_fixed_size: 0
    .sgpr_count:     4
    .sgpr_spill_count: 0
    .symbol:         _ZN7rocprim17ROCPRIM_400000_NS6detail17trampoline_kernelINS0_14default_configENS1_25transform_config_selectorIjLb0EEEZNS1_14transform_implILb0ES3_S5_N6thrust23THRUST_200600_302600_NS6detail15normal_iteratorINS8_10device_ptrIjEEEEPjNS0_8identityIjEEEE10hipError_tT2_T3_mT4_P12ihipStream_tbEUlT_E_NS1_11comp_targetILNS1_3genE5ELNS1_11target_archE942ELNS1_3gpuE9ELNS1_3repE0EEENS1_30default_config_static_selectorELNS0_4arch9wavefront6targetE1EEEvT1_.kd
    .uniform_work_group_size: 1
    .uses_dynamic_stack: false
    .vgpr_count:     0
    .vgpr_spill_count: 0
    .wavefront_size: 64
  - .agpr_count:     0
    .args:
      - .offset:         0
        .size:           40
        .value_kind:     by_value
      - .offset:         40
        .size:           4
        .value_kind:     hidden_block_count_x
      - .offset:         44
        .size:           4
        .value_kind:     hidden_block_count_y
      - .offset:         48
        .size:           4
        .value_kind:     hidden_block_count_z
      - .offset:         52
        .size:           2
        .value_kind:     hidden_group_size_x
      - .offset:         54
        .size:           2
        .value_kind:     hidden_group_size_y
      - .offset:         56
        .size:           2
        .value_kind:     hidden_group_size_z
      - .offset:         58
        .size:           2
        .value_kind:     hidden_remainder_x
      - .offset:         60
        .size:           2
        .value_kind:     hidden_remainder_y
      - .offset:         62
        .size:           2
        .value_kind:     hidden_remainder_z
      - .offset:         80
        .size:           8
        .value_kind:     hidden_global_offset_x
      - .offset:         88
        .size:           8
        .value_kind:     hidden_global_offset_y
      - .offset:         96
        .size:           8
        .value_kind:     hidden_global_offset_z
      - .offset:         104
        .size:           2
        .value_kind:     hidden_grid_dims
    .group_segment_fixed_size: 0
    .kernarg_segment_align: 8
    .kernarg_segment_size: 296
    .language:       OpenCL C
    .language_version:
      - 2
      - 0
    .max_flat_workgroup_size: 1024
    .name:           _ZN7rocprim17ROCPRIM_400000_NS6detail17trampoline_kernelINS0_14default_configENS1_25transform_config_selectorIjLb0EEEZNS1_14transform_implILb0ES3_S5_N6thrust23THRUST_200600_302600_NS6detail15normal_iteratorINS8_10device_ptrIjEEEEPjNS0_8identityIjEEEE10hipError_tT2_T3_mT4_P12ihipStream_tbEUlT_E_NS1_11comp_targetILNS1_3genE4ELNS1_11target_archE910ELNS1_3gpuE8ELNS1_3repE0EEENS1_30default_config_static_selectorELNS0_4arch9wavefront6targetE1EEEvT1_
    .private_segment_fixed_size: 0
    .sgpr_count:     20
    .sgpr_spill_count: 0
    .symbol:         _ZN7rocprim17ROCPRIM_400000_NS6detail17trampoline_kernelINS0_14default_configENS1_25transform_config_selectorIjLb0EEEZNS1_14transform_implILb0ES3_S5_N6thrust23THRUST_200600_302600_NS6detail15normal_iteratorINS8_10device_ptrIjEEEEPjNS0_8identityIjEEEE10hipError_tT2_T3_mT4_P12ihipStream_tbEUlT_E_NS1_11comp_targetILNS1_3genE4ELNS1_11target_archE910ELNS1_3gpuE8ELNS1_3repE0EEENS1_30default_config_static_selectorELNS0_4arch9wavefront6targetE1EEEvT1_.kd
    .uniform_work_group_size: 1
    .uses_dynamic_stack: false
    .vgpr_count:     7
    .vgpr_spill_count: 0
    .wavefront_size: 64
  - .agpr_count:     0
    .args:
      - .offset:         0
        .size:           40
        .value_kind:     by_value
    .group_segment_fixed_size: 0
    .kernarg_segment_align: 8
    .kernarg_segment_size: 40
    .language:       OpenCL C
    .language_version:
      - 2
      - 0
    .max_flat_workgroup_size: 128
    .name:           _ZN7rocprim17ROCPRIM_400000_NS6detail17trampoline_kernelINS0_14default_configENS1_25transform_config_selectorIjLb0EEEZNS1_14transform_implILb0ES3_S5_N6thrust23THRUST_200600_302600_NS6detail15normal_iteratorINS8_10device_ptrIjEEEEPjNS0_8identityIjEEEE10hipError_tT2_T3_mT4_P12ihipStream_tbEUlT_E_NS1_11comp_targetILNS1_3genE3ELNS1_11target_archE908ELNS1_3gpuE7ELNS1_3repE0EEENS1_30default_config_static_selectorELNS0_4arch9wavefront6targetE1EEEvT1_
    .private_segment_fixed_size: 0
    .sgpr_count:     4
    .sgpr_spill_count: 0
    .symbol:         _ZN7rocprim17ROCPRIM_400000_NS6detail17trampoline_kernelINS0_14default_configENS1_25transform_config_selectorIjLb0EEEZNS1_14transform_implILb0ES3_S5_N6thrust23THRUST_200600_302600_NS6detail15normal_iteratorINS8_10device_ptrIjEEEEPjNS0_8identityIjEEEE10hipError_tT2_T3_mT4_P12ihipStream_tbEUlT_E_NS1_11comp_targetILNS1_3genE3ELNS1_11target_archE908ELNS1_3gpuE7ELNS1_3repE0EEENS1_30default_config_static_selectorELNS0_4arch9wavefront6targetE1EEEvT1_.kd
    .uniform_work_group_size: 1
    .uses_dynamic_stack: false
    .vgpr_count:     0
    .vgpr_spill_count: 0
    .wavefront_size: 64
  - .agpr_count:     0
    .args:
      - .offset:         0
        .size:           40
        .value_kind:     by_value
    .group_segment_fixed_size: 0
    .kernarg_segment_align: 8
    .kernarg_segment_size: 40
    .language:       OpenCL C
    .language_version:
      - 2
      - 0
    .max_flat_workgroup_size: 1024
    .name:           _ZN7rocprim17ROCPRIM_400000_NS6detail17trampoline_kernelINS0_14default_configENS1_25transform_config_selectorIjLb0EEEZNS1_14transform_implILb0ES3_S5_N6thrust23THRUST_200600_302600_NS6detail15normal_iteratorINS8_10device_ptrIjEEEEPjNS0_8identityIjEEEE10hipError_tT2_T3_mT4_P12ihipStream_tbEUlT_E_NS1_11comp_targetILNS1_3genE2ELNS1_11target_archE906ELNS1_3gpuE6ELNS1_3repE0EEENS1_30default_config_static_selectorELNS0_4arch9wavefront6targetE1EEEvT1_
    .private_segment_fixed_size: 0
    .sgpr_count:     4
    .sgpr_spill_count: 0
    .symbol:         _ZN7rocprim17ROCPRIM_400000_NS6detail17trampoline_kernelINS0_14default_configENS1_25transform_config_selectorIjLb0EEEZNS1_14transform_implILb0ES3_S5_N6thrust23THRUST_200600_302600_NS6detail15normal_iteratorINS8_10device_ptrIjEEEEPjNS0_8identityIjEEEE10hipError_tT2_T3_mT4_P12ihipStream_tbEUlT_E_NS1_11comp_targetILNS1_3genE2ELNS1_11target_archE906ELNS1_3gpuE6ELNS1_3repE0EEENS1_30default_config_static_selectorELNS0_4arch9wavefront6targetE1EEEvT1_.kd
    .uniform_work_group_size: 1
    .uses_dynamic_stack: false
    .vgpr_count:     0
    .vgpr_spill_count: 0
    .wavefront_size: 64
  - .agpr_count:     0
    .args:
      - .offset:         0
        .size:           40
        .value_kind:     by_value
    .group_segment_fixed_size: 0
    .kernarg_segment_align: 8
    .kernarg_segment_size: 40
    .language:       OpenCL C
    .language_version:
      - 2
      - 0
    .max_flat_workgroup_size: 1024
    .name:           _ZN7rocprim17ROCPRIM_400000_NS6detail17trampoline_kernelINS0_14default_configENS1_25transform_config_selectorIjLb0EEEZNS1_14transform_implILb0ES3_S5_N6thrust23THRUST_200600_302600_NS6detail15normal_iteratorINS8_10device_ptrIjEEEEPjNS0_8identityIjEEEE10hipError_tT2_T3_mT4_P12ihipStream_tbEUlT_E_NS1_11comp_targetILNS1_3genE10ELNS1_11target_archE1201ELNS1_3gpuE5ELNS1_3repE0EEENS1_30default_config_static_selectorELNS0_4arch9wavefront6targetE1EEEvT1_
    .private_segment_fixed_size: 0
    .sgpr_count:     4
    .sgpr_spill_count: 0
    .symbol:         _ZN7rocprim17ROCPRIM_400000_NS6detail17trampoline_kernelINS0_14default_configENS1_25transform_config_selectorIjLb0EEEZNS1_14transform_implILb0ES3_S5_N6thrust23THRUST_200600_302600_NS6detail15normal_iteratorINS8_10device_ptrIjEEEEPjNS0_8identityIjEEEE10hipError_tT2_T3_mT4_P12ihipStream_tbEUlT_E_NS1_11comp_targetILNS1_3genE10ELNS1_11target_archE1201ELNS1_3gpuE5ELNS1_3repE0EEENS1_30default_config_static_selectorELNS0_4arch9wavefront6targetE1EEEvT1_.kd
    .uniform_work_group_size: 1
    .uses_dynamic_stack: false
    .vgpr_count:     0
    .vgpr_spill_count: 0
    .wavefront_size: 64
  - .agpr_count:     0
    .args:
      - .offset:         0
        .size:           40
        .value_kind:     by_value
    .group_segment_fixed_size: 0
    .kernarg_segment_align: 8
    .kernarg_segment_size: 40
    .language:       OpenCL C
    .language_version:
      - 2
      - 0
    .max_flat_workgroup_size: 512
    .name:           _ZN7rocprim17ROCPRIM_400000_NS6detail17trampoline_kernelINS0_14default_configENS1_25transform_config_selectorIjLb0EEEZNS1_14transform_implILb0ES3_S5_N6thrust23THRUST_200600_302600_NS6detail15normal_iteratorINS8_10device_ptrIjEEEEPjNS0_8identityIjEEEE10hipError_tT2_T3_mT4_P12ihipStream_tbEUlT_E_NS1_11comp_targetILNS1_3genE10ELNS1_11target_archE1200ELNS1_3gpuE4ELNS1_3repE0EEENS1_30default_config_static_selectorELNS0_4arch9wavefront6targetE1EEEvT1_
    .private_segment_fixed_size: 0
    .sgpr_count:     4
    .sgpr_spill_count: 0
    .symbol:         _ZN7rocprim17ROCPRIM_400000_NS6detail17trampoline_kernelINS0_14default_configENS1_25transform_config_selectorIjLb0EEEZNS1_14transform_implILb0ES3_S5_N6thrust23THRUST_200600_302600_NS6detail15normal_iteratorINS8_10device_ptrIjEEEEPjNS0_8identityIjEEEE10hipError_tT2_T3_mT4_P12ihipStream_tbEUlT_E_NS1_11comp_targetILNS1_3genE10ELNS1_11target_archE1200ELNS1_3gpuE4ELNS1_3repE0EEENS1_30default_config_static_selectorELNS0_4arch9wavefront6targetE1EEEvT1_.kd
    .uniform_work_group_size: 1
    .uses_dynamic_stack: false
    .vgpr_count:     0
    .vgpr_spill_count: 0
    .wavefront_size: 64
  - .agpr_count:     0
    .args:
      - .offset:         0
        .size:           40
        .value_kind:     by_value
    .group_segment_fixed_size: 0
    .kernarg_segment_align: 8
    .kernarg_segment_size: 40
    .language:       OpenCL C
    .language_version:
      - 2
      - 0
    .max_flat_workgroup_size: 64
    .name:           _ZN7rocprim17ROCPRIM_400000_NS6detail17trampoline_kernelINS0_14default_configENS1_25transform_config_selectorIjLb0EEEZNS1_14transform_implILb0ES3_S5_N6thrust23THRUST_200600_302600_NS6detail15normal_iteratorINS8_10device_ptrIjEEEEPjNS0_8identityIjEEEE10hipError_tT2_T3_mT4_P12ihipStream_tbEUlT_E_NS1_11comp_targetILNS1_3genE9ELNS1_11target_archE1100ELNS1_3gpuE3ELNS1_3repE0EEENS1_30default_config_static_selectorELNS0_4arch9wavefront6targetE1EEEvT1_
    .private_segment_fixed_size: 0
    .sgpr_count:     4
    .sgpr_spill_count: 0
    .symbol:         _ZN7rocprim17ROCPRIM_400000_NS6detail17trampoline_kernelINS0_14default_configENS1_25transform_config_selectorIjLb0EEEZNS1_14transform_implILb0ES3_S5_N6thrust23THRUST_200600_302600_NS6detail15normal_iteratorINS8_10device_ptrIjEEEEPjNS0_8identityIjEEEE10hipError_tT2_T3_mT4_P12ihipStream_tbEUlT_E_NS1_11comp_targetILNS1_3genE9ELNS1_11target_archE1100ELNS1_3gpuE3ELNS1_3repE0EEENS1_30default_config_static_selectorELNS0_4arch9wavefront6targetE1EEEvT1_.kd
    .uniform_work_group_size: 1
    .uses_dynamic_stack: false
    .vgpr_count:     0
    .vgpr_spill_count: 0
    .wavefront_size: 64
  - .agpr_count:     0
    .args:
      - .offset:         0
        .size:           40
        .value_kind:     by_value
    .group_segment_fixed_size: 0
    .kernarg_segment_align: 8
    .kernarg_segment_size: 40
    .language:       OpenCL C
    .language_version:
      - 2
      - 0
    .max_flat_workgroup_size: 256
    .name:           _ZN7rocprim17ROCPRIM_400000_NS6detail17trampoline_kernelINS0_14default_configENS1_25transform_config_selectorIjLb0EEEZNS1_14transform_implILb0ES3_S5_N6thrust23THRUST_200600_302600_NS6detail15normal_iteratorINS8_10device_ptrIjEEEEPjNS0_8identityIjEEEE10hipError_tT2_T3_mT4_P12ihipStream_tbEUlT_E_NS1_11comp_targetILNS1_3genE8ELNS1_11target_archE1030ELNS1_3gpuE2ELNS1_3repE0EEENS1_30default_config_static_selectorELNS0_4arch9wavefront6targetE1EEEvT1_
    .private_segment_fixed_size: 0
    .sgpr_count:     4
    .sgpr_spill_count: 0
    .symbol:         _ZN7rocprim17ROCPRIM_400000_NS6detail17trampoline_kernelINS0_14default_configENS1_25transform_config_selectorIjLb0EEEZNS1_14transform_implILb0ES3_S5_N6thrust23THRUST_200600_302600_NS6detail15normal_iteratorINS8_10device_ptrIjEEEEPjNS0_8identityIjEEEE10hipError_tT2_T3_mT4_P12ihipStream_tbEUlT_E_NS1_11comp_targetILNS1_3genE8ELNS1_11target_archE1030ELNS1_3gpuE2ELNS1_3repE0EEENS1_30default_config_static_selectorELNS0_4arch9wavefront6targetE1EEEvT1_.kd
    .uniform_work_group_size: 1
    .uses_dynamic_stack: false
    .vgpr_count:     0
    .vgpr_spill_count: 0
    .wavefront_size: 64
  - .agpr_count:     0
    .args:
      - .offset:         0
        .size:           88
        .value_kind:     by_value
    .group_segment_fixed_size: 0
    .kernarg_segment_align: 8
    .kernarg_segment_size: 88
    .language:       OpenCL C
    .language_version:
      - 2
      - 0
    .max_flat_workgroup_size: 512
    .name:           _ZN7rocprim17ROCPRIM_400000_NS6detail17trampoline_kernelINS0_14default_configENS1_35radix_sort_onesweep_config_selectorIjNS0_10empty_typeEEEZZNS1_29radix_sort_onesweep_iterationIS3_Lb0EN6thrust23THRUST_200600_302600_NS6detail15normal_iteratorINS9_10device_ptrIjEEEESE_PS5_SF_jNS0_19identity_decomposerENS1_16block_id_wrapperIjLb1EEEEE10hipError_tT1_PNSt15iterator_traitsISK_E10value_typeET2_T3_PNSL_ISQ_E10value_typeET4_T5_PSV_SW_PNS1_23onesweep_lookback_stateEbbT6_jjT7_P12ihipStream_tbENKUlT_T0_SK_SP_E_clISE_SE_SF_SF_EEDaS13_S14_SK_SP_EUlS13_E_NS1_11comp_targetILNS1_3genE0ELNS1_11target_archE4294967295ELNS1_3gpuE0ELNS1_3repE0EEENS1_47radix_sort_onesweep_sort_config_static_selectorELNS0_4arch9wavefront6targetE1EEEvSK_
    .private_segment_fixed_size: 0
    .sgpr_count:     4
    .sgpr_spill_count: 0
    .symbol:         _ZN7rocprim17ROCPRIM_400000_NS6detail17trampoline_kernelINS0_14default_configENS1_35radix_sort_onesweep_config_selectorIjNS0_10empty_typeEEEZZNS1_29radix_sort_onesweep_iterationIS3_Lb0EN6thrust23THRUST_200600_302600_NS6detail15normal_iteratorINS9_10device_ptrIjEEEESE_PS5_SF_jNS0_19identity_decomposerENS1_16block_id_wrapperIjLb1EEEEE10hipError_tT1_PNSt15iterator_traitsISK_E10value_typeET2_T3_PNSL_ISQ_E10value_typeET4_T5_PSV_SW_PNS1_23onesweep_lookback_stateEbbT6_jjT7_P12ihipStream_tbENKUlT_T0_SK_SP_E_clISE_SE_SF_SF_EEDaS13_S14_SK_SP_EUlS13_E_NS1_11comp_targetILNS1_3genE0ELNS1_11target_archE4294967295ELNS1_3gpuE0ELNS1_3repE0EEENS1_47radix_sort_onesweep_sort_config_static_selectorELNS0_4arch9wavefront6targetE1EEEvSK_.kd
    .uniform_work_group_size: 1
    .uses_dynamic_stack: false
    .vgpr_count:     0
    .vgpr_spill_count: 0
    .wavefront_size: 64
  - .agpr_count:     0
    .args:
      - .offset:         0
        .size:           88
        .value_kind:     by_value
    .group_segment_fixed_size: 0
    .kernarg_segment_align: 8
    .kernarg_segment_size: 88
    .language:       OpenCL C
    .language_version:
      - 2
      - 0
    .max_flat_workgroup_size: 1024
    .name:           _ZN7rocprim17ROCPRIM_400000_NS6detail17trampoline_kernelINS0_14default_configENS1_35radix_sort_onesweep_config_selectorIjNS0_10empty_typeEEEZZNS1_29radix_sort_onesweep_iterationIS3_Lb0EN6thrust23THRUST_200600_302600_NS6detail15normal_iteratorINS9_10device_ptrIjEEEESE_PS5_SF_jNS0_19identity_decomposerENS1_16block_id_wrapperIjLb1EEEEE10hipError_tT1_PNSt15iterator_traitsISK_E10value_typeET2_T3_PNSL_ISQ_E10value_typeET4_T5_PSV_SW_PNS1_23onesweep_lookback_stateEbbT6_jjT7_P12ihipStream_tbENKUlT_T0_SK_SP_E_clISE_SE_SF_SF_EEDaS13_S14_SK_SP_EUlS13_E_NS1_11comp_targetILNS1_3genE6ELNS1_11target_archE950ELNS1_3gpuE13ELNS1_3repE0EEENS1_47radix_sort_onesweep_sort_config_static_selectorELNS0_4arch9wavefront6targetE1EEEvSK_
    .private_segment_fixed_size: 0
    .sgpr_count:     4
    .sgpr_spill_count: 0
    .symbol:         _ZN7rocprim17ROCPRIM_400000_NS6detail17trampoline_kernelINS0_14default_configENS1_35radix_sort_onesweep_config_selectorIjNS0_10empty_typeEEEZZNS1_29radix_sort_onesweep_iterationIS3_Lb0EN6thrust23THRUST_200600_302600_NS6detail15normal_iteratorINS9_10device_ptrIjEEEESE_PS5_SF_jNS0_19identity_decomposerENS1_16block_id_wrapperIjLb1EEEEE10hipError_tT1_PNSt15iterator_traitsISK_E10value_typeET2_T3_PNSL_ISQ_E10value_typeET4_T5_PSV_SW_PNS1_23onesweep_lookback_stateEbbT6_jjT7_P12ihipStream_tbENKUlT_T0_SK_SP_E_clISE_SE_SF_SF_EEDaS13_S14_SK_SP_EUlS13_E_NS1_11comp_targetILNS1_3genE6ELNS1_11target_archE950ELNS1_3gpuE13ELNS1_3repE0EEENS1_47radix_sort_onesweep_sort_config_static_selectorELNS0_4arch9wavefront6targetE1EEEvSK_.kd
    .uniform_work_group_size: 1
    .uses_dynamic_stack: false
    .vgpr_count:     0
    .vgpr_spill_count: 0
    .wavefront_size: 64
  - .agpr_count:     0
    .args:
      - .offset:         0
        .size:           88
        .value_kind:     by_value
    .group_segment_fixed_size: 0
    .kernarg_segment_align: 8
    .kernarg_segment_size: 88
    .language:       OpenCL C
    .language_version:
      - 2
      - 0
    .max_flat_workgroup_size: 1024
    .name:           _ZN7rocprim17ROCPRIM_400000_NS6detail17trampoline_kernelINS0_14default_configENS1_35radix_sort_onesweep_config_selectorIjNS0_10empty_typeEEEZZNS1_29radix_sort_onesweep_iterationIS3_Lb0EN6thrust23THRUST_200600_302600_NS6detail15normal_iteratorINS9_10device_ptrIjEEEESE_PS5_SF_jNS0_19identity_decomposerENS1_16block_id_wrapperIjLb1EEEEE10hipError_tT1_PNSt15iterator_traitsISK_E10value_typeET2_T3_PNSL_ISQ_E10value_typeET4_T5_PSV_SW_PNS1_23onesweep_lookback_stateEbbT6_jjT7_P12ihipStream_tbENKUlT_T0_SK_SP_E_clISE_SE_SF_SF_EEDaS13_S14_SK_SP_EUlS13_E_NS1_11comp_targetILNS1_3genE5ELNS1_11target_archE942ELNS1_3gpuE9ELNS1_3repE0EEENS1_47radix_sort_onesweep_sort_config_static_selectorELNS0_4arch9wavefront6targetE1EEEvSK_
    .private_segment_fixed_size: 0
    .sgpr_count:     4
    .sgpr_spill_count: 0
    .symbol:         _ZN7rocprim17ROCPRIM_400000_NS6detail17trampoline_kernelINS0_14default_configENS1_35radix_sort_onesweep_config_selectorIjNS0_10empty_typeEEEZZNS1_29radix_sort_onesweep_iterationIS3_Lb0EN6thrust23THRUST_200600_302600_NS6detail15normal_iteratorINS9_10device_ptrIjEEEESE_PS5_SF_jNS0_19identity_decomposerENS1_16block_id_wrapperIjLb1EEEEE10hipError_tT1_PNSt15iterator_traitsISK_E10value_typeET2_T3_PNSL_ISQ_E10value_typeET4_T5_PSV_SW_PNS1_23onesweep_lookback_stateEbbT6_jjT7_P12ihipStream_tbENKUlT_T0_SK_SP_E_clISE_SE_SF_SF_EEDaS13_S14_SK_SP_EUlS13_E_NS1_11comp_targetILNS1_3genE5ELNS1_11target_archE942ELNS1_3gpuE9ELNS1_3repE0EEENS1_47radix_sort_onesweep_sort_config_static_selectorELNS0_4arch9wavefront6targetE1EEEvSK_.kd
    .uniform_work_group_size: 1
    .uses_dynamic_stack: false
    .vgpr_count:     0
    .vgpr_spill_count: 0
    .wavefront_size: 64
  - .agpr_count:     0
    .args:
      - .offset:         0
        .size:           88
        .value_kind:     by_value
    .group_segment_fixed_size: 0
    .kernarg_segment_align: 8
    .kernarg_segment_size: 88
    .language:       OpenCL C
    .language_version:
      - 2
      - 0
    .max_flat_workgroup_size: 1024
    .name:           _ZN7rocprim17ROCPRIM_400000_NS6detail17trampoline_kernelINS0_14default_configENS1_35radix_sort_onesweep_config_selectorIjNS0_10empty_typeEEEZZNS1_29radix_sort_onesweep_iterationIS3_Lb0EN6thrust23THRUST_200600_302600_NS6detail15normal_iteratorINS9_10device_ptrIjEEEESE_PS5_SF_jNS0_19identity_decomposerENS1_16block_id_wrapperIjLb1EEEEE10hipError_tT1_PNSt15iterator_traitsISK_E10value_typeET2_T3_PNSL_ISQ_E10value_typeET4_T5_PSV_SW_PNS1_23onesweep_lookback_stateEbbT6_jjT7_P12ihipStream_tbENKUlT_T0_SK_SP_E_clISE_SE_SF_SF_EEDaS13_S14_SK_SP_EUlS13_E_NS1_11comp_targetILNS1_3genE2ELNS1_11target_archE906ELNS1_3gpuE6ELNS1_3repE0EEENS1_47radix_sort_onesweep_sort_config_static_selectorELNS0_4arch9wavefront6targetE1EEEvSK_
    .private_segment_fixed_size: 0
    .sgpr_count:     4
    .sgpr_spill_count: 0
    .symbol:         _ZN7rocprim17ROCPRIM_400000_NS6detail17trampoline_kernelINS0_14default_configENS1_35radix_sort_onesweep_config_selectorIjNS0_10empty_typeEEEZZNS1_29radix_sort_onesweep_iterationIS3_Lb0EN6thrust23THRUST_200600_302600_NS6detail15normal_iteratorINS9_10device_ptrIjEEEESE_PS5_SF_jNS0_19identity_decomposerENS1_16block_id_wrapperIjLb1EEEEE10hipError_tT1_PNSt15iterator_traitsISK_E10value_typeET2_T3_PNSL_ISQ_E10value_typeET4_T5_PSV_SW_PNS1_23onesweep_lookback_stateEbbT6_jjT7_P12ihipStream_tbENKUlT_T0_SK_SP_E_clISE_SE_SF_SF_EEDaS13_S14_SK_SP_EUlS13_E_NS1_11comp_targetILNS1_3genE2ELNS1_11target_archE906ELNS1_3gpuE6ELNS1_3repE0EEENS1_47radix_sort_onesweep_sort_config_static_selectorELNS0_4arch9wavefront6targetE1EEEvSK_.kd
    .uniform_work_group_size: 1
    .uses_dynamic_stack: false
    .vgpr_count:     0
    .vgpr_spill_count: 0
    .wavefront_size: 64
  - .agpr_count:     0
    .args:
      - .offset:         0
        .size:           88
        .value_kind:     by_value
      - .offset:         88
        .size:           4
        .value_kind:     hidden_block_count_x
      - .offset:         92
        .size:           4
        .value_kind:     hidden_block_count_y
      - .offset:         96
        .size:           4
        .value_kind:     hidden_block_count_z
      - .offset:         100
        .size:           2
        .value_kind:     hidden_group_size_x
      - .offset:         102
        .size:           2
        .value_kind:     hidden_group_size_y
      - .offset:         104
        .size:           2
        .value_kind:     hidden_group_size_z
      - .offset:         106
        .size:           2
        .value_kind:     hidden_remainder_x
      - .offset:         108
        .size:           2
        .value_kind:     hidden_remainder_y
      - .offset:         110
        .size:           2
        .value_kind:     hidden_remainder_z
      - .offset:         128
        .size:           8
        .value_kind:     hidden_global_offset_x
      - .offset:         136
        .size:           8
        .value_kind:     hidden_global_offset_y
      - .offset:         144
        .size:           8
        .value_kind:     hidden_global_offset_z
      - .offset:         152
        .size:           2
        .value_kind:     hidden_grid_dims
    .group_segment_fixed_size: 20552
    .kernarg_segment_align: 8
    .kernarg_segment_size: 344
    .language:       OpenCL C
    .language_version:
      - 2
      - 0
    .max_flat_workgroup_size: 1024
    .name:           _ZN7rocprim17ROCPRIM_400000_NS6detail17trampoline_kernelINS0_14default_configENS1_35radix_sort_onesweep_config_selectorIjNS0_10empty_typeEEEZZNS1_29radix_sort_onesweep_iterationIS3_Lb0EN6thrust23THRUST_200600_302600_NS6detail15normal_iteratorINS9_10device_ptrIjEEEESE_PS5_SF_jNS0_19identity_decomposerENS1_16block_id_wrapperIjLb1EEEEE10hipError_tT1_PNSt15iterator_traitsISK_E10value_typeET2_T3_PNSL_ISQ_E10value_typeET4_T5_PSV_SW_PNS1_23onesweep_lookback_stateEbbT6_jjT7_P12ihipStream_tbENKUlT_T0_SK_SP_E_clISE_SE_SF_SF_EEDaS13_S14_SK_SP_EUlS13_E_NS1_11comp_targetILNS1_3genE4ELNS1_11target_archE910ELNS1_3gpuE8ELNS1_3repE0EEENS1_47radix_sort_onesweep_sort_config_static_selectorELNS0_4arch9wavefront6targetE1EEEvSK_
    .private_segment_fixed_size: 0
    .sgpr_count:     39
    .sgpr_spill_count: 0
    .symbol:         _ZN7rocprim17ROCPRIM_400000_NS6detail17trampoline_kernelINS0_14default_configENS1_35radix_sort_onesweep_config_selectorIjNS0_10empty_typeEEEZZNS1_29radix_sort_onesweep_iterationIS3_Lb0EN6thrust23THRUST_200600_302600_NS6detail15normal_iteratorINS9_10device_ptrIjEEEESE_PS5_SF_jNS0_19identity_decomposerENS1_16block_id_wrapperIjLb1EEEEE10hipError_tT1_PNSt15iterator_traitsISK_E10value_typeET2_T3_PNSL_ISQ_E10value_typeET4_T5_PSV_SW_PNS1_23onesweep_lookback_stateEbbT6_jjT7_P12ihipStream_tbENKUlT_T0_SK_SP_E_clISE_SE_SF_SF_EEDaS13_S14_SK_SP_EUlS13_E_NS1_11comp_targetILNS1_3genE4ELNS1_11target_archE910ELNS1_3gpuE8ELNS1_3repE0EEENS1_47radix_sort_onesweep_sort_config_static_selectorELNS0_4arch9wavefront6targetE1EEEvSK_.kd
    .uniform_work_group_size: 1
    .uses_dynamic_stack: false
    .vgpr_count:     62
    .vgpr_spill_count: 0
    .wavefront_size: 64
  - .agpr_count:     0
    .args:
      - .offset:         0
        .size:           88
        .value_kind:     by_value
    .group_segment_fixed_size: 0
    .kernarg_segment_align: 8
    .kernarg_segment_size: 88
    .language:       OpenCL C
    .language_version:
      - 2
      - 0
    .max_flat_workgroup_size: 512
    .name:           _ZN7rocprim17ROCPRIM_400000_NS6detail17trampoline_kernelINS0_14default_configENS1_35radix_sort_onesweep_config_selectorIjNS0_10empty_typeEEEZZNS1_29radix_sort_onesweep_iterationIS3_Lb0EN6thrust23THRUST_200600_302600_NS6detail15normal_iteratorINS9_10device_ptrIjEEEESE_PS5_SF_jNS0_19identity_decomposerENS1_16block_id_wrapperIjLb1EEEEE10hipError_tT1_PNSt15iterator_traitsISK_E10value_typeET2_T3_PNSL_ISQ_E10value_typeET4_T5_PSV_SW_PNS1_23onesweep_lookback_stateEbbT6_jjT7_P12ihipStream_tbENKUlT_T0_SK_SP_E_clISE_SE_SF_SF_EEDaS13_S14_SK_SP_EUlS13_E_NS1_11comp_targetILNS1_3genE3ELNS1_11target_archE908ELNS1_3gpuE7ELNS1_3repE0EEENS1_47radix_sort_onesweep_sort_config_static_selectorELNS0_4arch9wavefront6targetE1EEEvSK_
    .private_segment_fixed_size: 0
    .sgpr_count:     4
    .sgpr_spill_count: 0
    .symbol:         _ZN7rocprim17ROCPRIM_400000_NS6detail17trampoline_kernelINS0_14default_configENS1_35radix_sort_onesweep_config_selectorIjNS0_10empty_typeEEEZZNS1_29radix_sort_onesweep_iterationIS3_Lb0EN6thrust23THRUST_200600_302600_NS6detail15normal_iteratorINS9_10device_ptrIjEEEESE_PS5_SF_jNS0_19identity_decomposerENS1_16block_id_wrapperIjLb1EEEEE10hipError_tT1_PNSt15iterator_traitsISK_E10value_typeET2_T3_PNSL_ISQ_E10value_typeET4_T5_PSV_SW_PNS1_23onesweep_lookback_stateEbbT6_jjT7_P12ihipStream_tbENKUlT_T0_SK_SP_E_clISE_SE_SF_SF_EEDaS13_S14_SK_SP_EUlS13_E_NS1_11comp_targetILNS1_3genE3ELNS1_11target_archE908ELNS1_3gpuE7ELNS1_3repE0EEENS1_47radix_sort_onesweep_sort_config_static_selectorELNS0_4arch9wavefront6targetE1EEEvSK_.kd
    .uniform_work_group_size: 1
    .uses_dynamic_stack: false
    .vgpr_count:     0
    .vgpr_spill_count: 0
    .wavefront_size: 64
  - .agpr_count:     0
    .args:
      - .offset:         0
        .size:           88
        .value_kind:     by_value
    .group_segment_fixed_size: 0
    .kernarg_segment_align: 8
    .kernarg_segment_size: 88
    .language:       OpenCL C
    .language_version:
      - 2
      - 0
    .max_flat_workgroup_size: 1024
    .name:           _ZN7rocprim17ROCPRIM_400000_NS6detail17trampoline_kernelINS0_14default_configENS1_35radix_sort_onesweep_config_selectorIjNS0_10empty_typeEEEZZNS1_29radix_sort_onesweep_iterationIS3_Lb0EN6thrust23THRUST_200600_302600_NS6detail15normal_iteratorINS9_10device_ptrIjEEEESE_PS5_SF_jNS0_19identity_decomposerENS1_16block_id_wrapperIjLb1EEEEE10hipError_tT1_PNSt15iterator_traitsISK_E10value_typeET2_T3_PNSL_ISQ_E10value_typeET4_T5_PSV_SW_PNS1_23onesweep_lookback_stateEbbT6_jjT7_P12ihipStream_tbENKUlT_T0_SK_SP_E_clISE_SE_SF_SF_EEDaS13_S14_SK_SP_EUlS13_E_NS1_11comp_targetILNS1_3genE10ELNS1_11target_archE1201ELNS1_3gpuE5ELNS1_3repE0EEENS1_47radix_sort_onesweep_sort_config_static_selectorELNS0_4arch9wavefront6targetE1EEEvSK_
    .private_segment_fixed_size: 0
    .sgpr_count:     4
    .sgpr_spill_count: 0
    .symbol:         _ZN7rocprim17ROCPRIM_400000_NS6detail17trampoline_kernelINS0_14default_configENS1_35radix_sort_onesweep_config_selectorIjNS0_10empty_typeEEEZZNS1_29radix_sort_onesweep_iterationIS3_Lb0EN6thrust23THRUST_200600_302600_NS6detail15normal_iteratorINS9_10device_ptrIjEEEESE_PS5_SF_jNS0_19identity_decomposerENS1_16block_id_wrapperIjLb1EEEEE10hipError_tT1_PNSt15iterator_traitsISK_E10value_typeET2_T3_PNSL_ISQ_E10value_typeET4_T5_PSV_SW_PNS1_23onesweep_lookback_stateEbbT6_jjT7_P12ihipStream_tbENKUlT_T0_SK_SP_E_clISE_SE_SF_SF_EEDaS13_S14_SK_SP_EUlS13_E_NS1_11comp_targetILNS1_3genE10ELNS1_11target_archE1201ELNS1_3gpuE5ELNS1_3repE0EEENS1_47radix_sort_onesweep_sort_config_static_selectorELNS0_4arch9wavefront6targetE1EEEvSK_.kd
    .uniform_work_group_size: 1
    .uses_dynamic_stack: false
    .vgpr_count:     0
    .vgpr_spill_count: 0
    .wavefront_size: 64
  - .agpr_count:     0
    .args:
      - .offset:         0
        .size:           88
        .value_kind:     by_value
    .group_segment_fixed_size: 0
    .kernarg_segment_align: 8
    .kernarg_segment_size: 88
    .language:       OpenCL C
    .language_version:
      - 2
      - 0
    .max_flat_workgroup_size: 1024
    .name:           _ZN7rocprim17ROCPRIM_400000_NS6detail17trampoline_kernelINS0_14default_configENS1_35radix_sort_onesweep_config_selectorIjNS0_10empty_typeEEEZZNS1_29radix_sort_onesweep_iterationIS3_Lb0EN6thrust23THRUST_200600_302600_NS6detail15normal_iteratorINS9_10device_ptrIjEEEESE_PS5_SF_jNS0_19identity_decomposerENS1_16block_id_wrapperIjLb1EEEEE10hipError_tT1_PNSt15iterator_traitsISK_E10value_typeET2_T3_PNSL_ISQ_E10value_typeET4_T5_PSV_SW_PNS1_23onesweep_lookback_stateEbbT6_jjT7_P12ihipStream_tbENKUlT_T0_SK_SP_E_clISE_SE_SF_SF_EEDaS13_S14_SK_SP_EUlS13_E_NS1_11comp_targetILNS1_3genE9ELNS1_11target_archE1100ELNS1_3gpuE3ELNS1_3repE0EEENS1_47radix_sort_onesweep_sort_config_static_selectorELNS0_4arch9wavefront6targetE1EEEvSK_
    .private_segment_fixed_size: 0
    .sgpr_count:     4
    .sgpr_spill_count: 0
    .symbol:         _ZN7rocprim17ROCPRIM_400000_NS6detail17trampoline_kernelINS0_14default_configENS1_35radix_sort_onesweep_config_selectorIjNS0_10empty_typeEEEZZNS1_29radix_sort_onesweep_iterationIS3_Lb0EN6thrust23THRUST_200600_302600_NS6detail15normal_iteratorINS9_10device_ptrIjEEEESE_PS5_SF_jNS0_19identity_decomposerENS1_16block_id_wrapperIjLb1EEEEE10hipError_tT1_PNSt15iterator_traitsISK_E10value_typeET2_T3_PNSL_ISQ_E10value_typeET4_T5_PSV_SW_PNS1_23onesweep_lookback_stateEbbT6_jjT7_P12ihipStream_tbENKUlT_T0_SK_SP_E_clISE_SE_SF_SF_EEDaS13_S14_SK_SP_EUlS13_E_NS1_11comp_targetILNS1_3genE9ELNS1_11target_archE1100ELNS1_3gpuE3ELNS1_3repE0EEENS1_47radix_sort_onesweep_sort_config_static_selectorELNS0_4arch9wavefront6targetE1EEEvSK_.kd
    .uniform_work_group_size: 1
    .uses_dynamic_stack: false
    .vgpr_count:     0
    .vgpr_spill_count: 0
    .wavefront_size: 64
  - .agpr_count:     0
    .args:
      - .offset:         0
        .size:           88
        .value_kind:     by_value
    .group_segment_fixed_size: 0
    .kernarg_segment_align: 8
    .kernarg_segment_size: 88
    .language:       OpenCL C
    .language_version:
      - 2
      - 0
    .max_flat_workgroup_size: 1024
    .name:           _ZN7rocprim17ROCPRIM_400000_NS6detail17trampoline_kernelINS0_14default_configENS1_35radix_sort_onesweep_config_selectorIjNS0_10empty_typeEEEZZNS1_29radix_sort_onesweep_iterationIS3_Lb0EN6thrust23THRUST_200600_302600_NS6detail15normal_iteratorINS9_10device_ptrIjEEEESE_PS5_SF_jNS0_19identity_decomposerENS1_16block_id_wrapperIjLb1EEEEE10hipError_tT1_PNSt15iterator_traitsISK_E10value_typeET2_T3_PNSL_ISQ_E10value_typeET4_T5_PSV_SW_PNS1_23onesweep_lookback_stateEbbT6_jjT7_P12ihipStream_tbENKUlT_T0_SK_SP_E_clISE_SE_SF_SF_EEDaS13_S14_SK_SP_EUlS13_E_NS1_11comp_targetILNS1_3genE8ELNS1_11target_archE1030ELNS1_3gpuE2ELNS1_3repE0EEENS1_47radix_sort_onesweep_sort_config_static_selectorELNS0_4arch9wavefront6targetE1EEEvSK_
    .private_segment_fixed_size: 0
    .sgpr_count:     4
    .sgpr_spill_count: 0
    .symbol:         _ZN7rocprim17ROCPRIM_400000_NS6detail17trampoline_kernelINS0_14default_configENS1_35radix_sort_onesweep_config_selectorIjNS0_10empty_typeEEEZZNS1_29radix_sort_onesweep_iterationIS3_Lb0EN6thrust23THRUST_200600_302600_NS6detail15normal_iteratorINS9_10device_ptrIjEEEESE_PS5_SF_jNS0_19identity_decomposerENS1_16block_id_wrapperIjLb1EEEEE10hipError_tT1_PNSt15iterator_traitsISK_E10value_typeET2_T3_PNSL_ISQ_E10value_typeET4_T5_PSV_SW_PNS1_23onesweep_lookback_stateEbbT6_jjT7_P12ihipStream_tbENKUlT_T0_SK_SP_E_clISE_SE_SF_SF_EEDaS13_S14_SK_SP_EUlS13_E_NS1_11comp_targetILNS1_3genE8ELNS1_11target_archE1030ELNS1_3gpuE2ELNS1_3repE0EEENS1_47radix_sort_onesweep_sort_config_static_selectorELNS0_4arch9wavefront6targetE1EEEvSK_.kd
    .uniform_work_group_size: 1
    .uses_dynamic_stack: false
    .vgpr_count:     0
    .vgpr_spill_count: 0
    .wavefront_size: 64
  - .agpr_count:     0
    .args:
      - .offset:         0
        .size:           88
        .value_kind:     by_value
    .group_segment_fixed_size: 0
    .kernarg_segment_align: 8
    .kernarg_segment_size: 88
    .language:       OpenCL C
    .language_version:
      - 2
      - 0
    .max_flat_workgroup_size: 512
    .name:           _ZN7rocprim17ROCPRIM_400000_NS6detail17trampoline_kernelINS0_14default_configENS1_35radix_sort_onesweep_config_selectorIjNS0_10empty_typeEEEZZNS1_29radix_sort_onesweep_iterationIS3_Lb0EN6thrust23THRUST_200600_302600_NS6detail15normal_iteratorINS9_10device_ptrIjEEEESE_PS5_SF_jNS0_19identity_decomposerENS1_16block_id_wrapperIjLb1EEEEE10hipError_tT1_PNSt15iterator_traitsISK_E10value_typeET2_T3_PNSL_ISQ_E10value_typeET4_T5_PSV_SW_PNS1_23onesweep_lookback_stateEbbT6_jjT7_P12ihipStream_tbENKUlT_T0_SK_SP_E_clISE_PjSF_SF_EEDaS13_S14_SK_SP_EUlS13_E_NS1_11comp_targetILNS1_3genE0ELNS1_11target_archE4294967295ELNS1_3gpuE0ELNS1_3repE0EEENS1_47radix_sort_onesweep_sort_config_static_selectorELNS0_4arch9wavefront6targetE1EEEvSK_
    .private_segment_fixed_size: 0
    .sgpr_count:     4
    .sgpr_spill_count: 0
    .symbol:         _ZN7rocprim17ROCPRIM_400000_NS6detail17trampoline_kernelINS0_14default_configENS1_35radix_sort_onesweep_config_selectorIjNS0_10empty_typeEEEZZNS1_29radix_sort_onesweep_iterationIS3_Lb0EN6thrust23THRUST_200600_302600_NS6detail15normal_iteratorINS9_10device_ptrIjEEEESE_PS5_SF_jNS0_19identity_decomposerENS1_16block_id_wrapperIjLb1EEEEE10hipError_tT1_PNSt15iterator_traitsISK_E10value_typeET2_T3_PNSL_ISQ_E10value_typeET4_T5_PSV_SW_PNS1_23onesweep_lookback_stateEbbT6_jjT7_P12ihipStream_tbENKUlT_T0_SK_SP_E_clISE_PjSF_SF_EEDaS13_S14_SK_SP_EUlS13_E_NS1_11comp_targetILNS1_3genE0ELNS1_11target_archE4294967295ELNS1_3gpuE0ELNS1_3repE0EEENS1_47radix_sort_onesweep_sort_config_static_selectorELNS0_4arch9wavefront6targetE1EEEvSK_.kd
    .uniform_work_group_size: 1
    .uses_dynamic_stack: false
    .vgpr_count:     0
    .vgpr_spill_count: 0
    .wavefront_size: 64
  - .agpr_count:     0
    .args:
      - .offset:         0
        .size:           88
        .value_kind:     by_value
    .group_segment_fixed_size: 0
    .kernarg_segment_align: 8
    .kernarg_segment_size: 88
    .language:       OpenCL C
    .language_version:
      - 2
      - 0
    .max_flat_workgroup_size: 1024
    .name:           _ZN7rocprim17ROCPRIM_400000_NS6detail17trampoline_kernelINS0_14default_configENS1_35radix_sort_onesweep_config_selectorIjNS0_10empty_typeEEEZZNS1_29radix_sort_onesweep_iterationIS3_Lb0EN6thrust23THRUST_200600_302600_NS6detail15normal_iteratorINS9_10device_ptrIjEEEESE_PS5_SF_jNS0_19identity_decomposerENS1_16block_id_wrapperIjLb1EEEEE10hipError_tT1_PNSt15iterator_traitsISK_E10value_typeET2_T3_PNSL_ISQ_E10value_typeET4_T5_PSV_SW_PNS1_23onesweep_lookback_stateEbbT6_jjT7_P12ihipStream_tbENKUlT_T0_SK_SP_E_clISE_PjSF_SF_EEDaS13_S14_SK_SP_EUlS13_E_NS1_11comp_targetILNS1_3genE6ELNS1_11target_archE950ELNS1_3gpuE13ELNS1_3repE0EEENS1_47radix_sort_onesweep_sort_config_static_selectorELNS0_4arch9wavefront6targetE1EEEvSK_
    .private_segment_fixed_size: 0
    .sgpr_count:     4
    .sgpr_spill_count: 0
    .symbol:         _ZN7rocprim17ROCPRIM_400000_NS6detail17trampoline_kernelINS0_14default_configENS1_35radix_sort_onesweep_config_selectorIjNS0_10empty_typeEEEZZNS1_29radix_sort_onesweep_iterationIS3_Lb0EN6thrust23THRUST_200600_302600_NS6detail15normal_iteratorINS9_10device_ptrIjEEEESE_PS5_SF_jNS0_19identity_decomposerENS1_16block_id_wrapperIjLb1EEEEE10hipError_tT1_PNSt15iterator_traitsISK_E10value_typeET2_T3_PNSL_ISQ_E10value_typeET4_T5_PSV_SW_PNS1_23onesweep_lookback_stateEbbT6_jjT7_P12ihipStream_tbENKUlT_T0_SK_SP_E_clISE_PjSF_SF_EEDaS13_S14_SK_SP_EUlS13_E_NS1_11comp_targetILNS1_3genE6ELNS1_11target_archE950ELNS1_3gpuE13ELNS1_3repE0EEENS1_47radix_sort_onesweep_sort_config_static_selectorELNS0_4arch9wavefront6targetE1EEEvSK_.kd
    .uniform_work_group_size: 1
    .uses_dynamic_stack: false
    .vgpr_count:     0
    .vgpr_spill_count: 0
    .wavefront_size: 64
  - .agpr_count:     0
    .args:
      - .offset:         0
        .size:           88
        .value_kind:     by_value
    .group_segment_fixed_size: 0
    .kernarg_segment_align: 8
    .kernarg_segment_size: 88
    .language:       OpenCL C
    .language_version:
      - 2
      - 0
    .max_flat_workgroup_size: 1024
    .name:           _ZN7rocprim17ROCPRIM_400000_NS6detail17trampoline_kernelINS0_14default_configENS1_35radix_sort_onesweep_config_selectorIjNS0_10empty_typeEEEZZNS1_29radix_sort_onesweep_iterationIS3_Lb0EN6thrust23THRUST_200600_302600_NS6detail15normal_iteratorINS9_10device_ptrIjEEEESE_PS5_SF_jNS0_19identity_decomposerENS1_16block_id_wrapperIjLb1EEEEE10hipError_tT1_PNSt15iterator_traitsISK_E10value_typeET2_T3_PNSL_ISQ_E10value_typeET4_T5_PSV_SW_PNS1_23onesweep_lookback_stateEbbT6_jjT7_P12ihipStream_tbENKUlT_T0_SK_SP_E_clISE_PjSF_SF_EEDaS13_S14_SK_SP_EUlS13_E_NS1_11comp_targetILNS1_3genE5ELNS1_11target_archE942ELNS1_3gpuE9ELNS1_3repE0EEENS1_47radix_sort_onesweep_sort_config_static_selectorELNS0_4arch9wavefront6targetE1EEEvSK_
    .private_segment_fixed_size: 0
    .sgpr_count:     4
    .sgpr_spill_count: 0
    .symbol:         _ZN7rocprim17ROCPRIM_400000_NS6detail17trampoline_kernelINS0_14default_configENS1_35radix_sort_onesweep_config_selectorIjNS0_10empty_typeEEEZZNS1_29radix_sort_onesweep_iterationIS3_Lb0EN6thrust23THRUST_200600_302600_NS6detail15normal_iteratorINS9_10device_ptrIjEEEESE_PS5_SF_jNS0_19identity_decomposerENS1_16block_id_wrapperIjLb1EEEEE10hipError_tT1_PNSt15iterator_traitsISK_E10value_typeET2_T3_PNSL_ISQ_E10value_typeET4_T5_PSV_SW_PNS1_23onesweep_lookback_stateEbbT6_jjT7_P12ihipStream_tbENKUlT_T0_SK_SP_E_clISE_PjSF_SF_EEDaS13_S14_SK_SP_EUlS13_E_NS1_11comp_targetILNS1_3genE5ELNS1_11target_archE942ELNS1_3gpuE9ELNS1_3repE0EEENS1_47radix_sort_onesweep_sort_config_static_selectorELNS0_4arch9wavefront6targetE1EEEvSK_.kd
    .uniform_work_group_size: 1
    .uses_dynamic_stack: false
    .vgpr_count:     0
    .vgpr_spill_count: 0
    .wavefront_size: 64
  - .agpr_count:     0
    .args:
      - .offset:         0
        .size:           88
        .value_kind:     by_value
    .group_segment_fixed_size: 0
    .kernarg_segment_align: 8
    .kernarg_segment_size: 88
    .language:       OpenCL C
    .language_version:
      - 2
      - 0
    .max_flat_workgroup_size: 1024
    .name:           _ZN7rocprim17ROCPRIM_400000_NS6detail17trampoline_kernelINS0_14default_configENS1_35radix_sort_onesweep_config_selectorIjNS0_10empty_typeEEEZZNS1_29radix_sort_onesweep_iterationIS3_Lb0EN6thrust23THRUST_200600_302600_NS6detail15normal_iteratorINS9_10device_ptrIjEEEESE_PS5_SF_jNS0_19identity_decomposerENS1_16block_id_wrapperIjLb1EEEEE10hipError_tT1_PNSt15iterator_traitsISK_E10value_typeET2_T3_PNSL_ISQ_E10value_typeET4_T5_PSV_SW_PNS1_23onesweep_lookback_stateEbbT6_jjT7_P12ihipStream_tbENKUlT_T0_SK_SP_E_clISE_PjSF_SF_EEDaS13_S14_SK_SP_EUlS13_E_NS1_11comp_targetILNS1_3genE2ELNS1_11target_archE906ELNS1_3gpuE6ELNS1_3repE0EEENS1_47radix_sort_onesweep_sort_config_static_selectorELNS0_4arch9wavefront6targetE1EEEvSK_
    .private_segment_fixed_size: 0
    .sgpr_count:     4
    .sgpr_spill_count: 0
    .symbol:         _ZN7rocprim17ROCPRIM_400000_NS6detail17trampoline_kernelINS0_14default_configENS1_35radix_sort_onesweep_config_selectorIjNS0_10empty_typeEEEZZNS1_29radix_sort_onesweep_iterationIS3_Lb0EN6thrust23THRUST_200600_302600_NS6detail15normal_iteratorINS9_10device_ptrIjEEEESE_PS5_SF_jNS0_19identity_decomposerENS1_16block_id_wrapperIjLb1EEEEE10hipError_tT1_PNSt15iterator_traitsISK_E10value_typeET2_T3_PNSL_ISQ_E10value_typeET4_T5_PSV_SW_PNS1_23onesweep_lookback_stateEbbT6_jjT7_P12ihipStream_tbENKUlT_T0_SK_SP_E_clISE_PjSF_SF_EEDaS13_S14_SK_SP_EUlS13_E_NS1_11comp_targetILNS1_3genE2ELNS1_11target_archE906ELNS1_3gpuE6ELNS1_3repE0EEENS1_47radix_sort_onesweep_sort_config_static_selectorELNS0_4arch9wavefront6targetE1EEEvSK_.kd
    .uniform_work_group_size: 1
    .uses_dynamic_stack: false
    .vgpr_count:     0
    .vgpr_spill_count: 0
    .wavefront_size: 64
  - .agpr_count:     0
    .args:
      - .offset:         0
        .size:           88
        .value_kind:     by_value
      - .offset:         88
        .size:           4
        .value_kind:     hidden_block_count_x
      - .offset:         92
        .size:           4
        .value_kind:     hidden_block_count_y
      - .offset:         96
        .size:           4
        .value_kind:     hidden_block_count_z
      - .offset:         100
        .size:           2
        .value_kind:     hidden_group_size_x
      - .offset:         102
        .size:           2
        .value_kind:     hidden_group_size_y
      - .offset:         104
        .size:           2
        .value_kind:     hidden_group_size_z
      - .offset:         106
        .size:           2
        .value_kind:     hidden_remainder_x
      - .offset:         108
        .size:           2
        .value_kind:     hidden_remainder_y
      - .offset:         110
        .size:           2
        .value_kind:     hidden_remainder_z
      - .offset:         128
        .size:           8
        .value_kind:     hidden_global_offset_x
      - .offset:         136
        .size:           8
        .value_kind:     hidden_global_offset_y
      - .offset:         144
        .size:           8
        .value_kind:     hidden_global_offset_z
      - .offset:         152
        .size:           2
        .value_kind:     hidden_grid_dims
    .group_segment_fixed_size: 20552
    .kernarg_segment_align: 8
    .kernarg_segment_size: 344
    .language:       OpenCL C
    .language_version:
      - 2
      - 0
    .max_flat_workgroup_size: 1024
    .name:           _ZN7rocprim17ROCPRIM_400000_NS6detail17trampoline_kernelINS0_14default_configENS1_35radix_sort_onesweep_config_selectorIjNS0_10empty_typeEEEZZNS1_29radix_sort_onesweep_iterationIS3_Lb0EN6thrust23THRUST_200600_302600_NS6detail15normal_iteratorINS9_10device_ptrIjEEEESE_PS5_SF_jNS0_19identity_decomposerENS1_16block_id_wrapperIjLb1EEEEE10hipError_tT1_PNSt15iterator_traitsISK_E10value_typeET2_T3_PNSL_ISQ_E10value_typeET4_T5_PSV_SW_PNS1_23onesweep_lookback_stateEbbT6_jjT7_P12ihipStream_tbENKUlT_T0_SK_SP_E_clISE_PjSF_SF_EEDaS13_S14_SK_SP_EUlS13_E_NS1_11comp_targetILNS1_3genE4ELNS1_11target_archE910ELNS1_3gpuE8ELNS1_3repE0EEENS1_47radix_sort_onesweep_sort_config_static_selectorELNS0_4arch9wavefront6targetE1EEEvSK_
    .private_segment_fixed_size: 0
    .sgpr_count:     39
    .sgpr_spill_count: 0
    .symbol:         _ZN7rocprim17ROCPRIM_400000_NS6detail17trampoline_kernelINS0_14default_configENS1_35radix_sort_onesweep_config_selectorIjNS0_10empty_typeEEEZZNS1_29radix_sort_onesweep_iterationIS3_Lb0EN6thrust23THRUST_200600_302600_NS6detail15normal_iteratorINS9_10device_ptrIjEEEESE_PS5_SF_jNS0_19identity_decomposerENS1_16block_id_wrapperIjLb1EEEEE10hipError_tT1_PNSt15iterator_traitsISK_E10value_typeET2_T3_PNSL_ISQ_E10value_typeET4_T5_PSV_SW_PNS1_23onesweep_lookback_stateEbbT6_jjT7_P12ihipStream_tbENKUlT_T0_SK_SP_E_clISE_PjSF_SF_EEDaS13_S14_SK_SP_EUlS13_E_NS1_11comp_targetILNS1_3genE4ELNS1_11target_archE910ELNS1_3gpuE8ELNS1_3repE0EEENS1_47radix_sort_onesweep_sort_config_static_selectorELNS0_4arch9wavefront6targetE1EEEvSK_.kd
    .uniform_work_group_size: 1
    .uses_dynamic_stack: false
    .vgpr_count:     62
    .vgpr_spill_count: 0
    .wavefront_size: 64
  - .agpr_count:     0
    .args:
      - .offset:         0
        .size:           88
        .value_kind:     by_value
    .group_segment_fixed_size: 0
    .kernarg_segment_align: 8
    .kernarg_segment_size: 88
    .language:       OpenCL C
    .language_version:
      - 2
      - 0
    .max_flat_workgroup_size: 512
    .name:           _ZN7rocprim17ROCPRIM_400000_NS6detail17trampoline_kernelINS0_14default_configENS1_35radix_sort_onesweep_config_selectorIjNS0_10empty_typeEEEZZNS1_29radix_sort_onesweep_iterationIS3_Lb0EN6thrust23THRUST_200600_302600_NS6detail15normal_iteratorINS9_10device_ptrIjEEEESE_PS5_SF_jNS0_19identity_decomposerENS1_16block_id_wrapperIjLb1EEEEE10hipError_tT1_PNSt15iterator_traitsISK_E10value_typeET2_T3_PNSL_ISQ_E10value_typeET4_T5_PSV_SW_PNS1_23onesweep_lookback_stateEbbT6_jjT7_P12ihipStream_tbENKUlT_T0_SK_SP_E_clISE_PjSF_SF_EEDaS13_S14_SK_SP_EUlS13_E_NS1_11comp_targetILNS1_3genE3ELNS1_11target_archE908ELNS1_3gpuE7ELNS1_3repE0EEENS1_47radix_sort_onesweep_sort_config_static_selectorELNS0_4arch9wavefront6targetE1EEEvSK_
    .private_segment_fixed_size: 0
    .sgpr_count:     4
    .sgpr_spill_count: 0
    .symbol:         _ZN7rocprim17ROCPRIM_400000_NS6detail17trampoline_kernelINS0_14default_configENS1_35radix_sort_onesweep_config_selectorIjNS0_10empty_typeEEEZZNS1_29radix_sort_onesweep_iterationIS3_Lb0EN6thrust23THRUST_200600_302600_NS6detail15normal_iteratorINS9_10device_ptrIjEEEESE_PS5_SF_jNS0_19identity_decomposerENS1_16block_id_wrapperIjLb1EEEEE10hipError_tT1_PNSt15iterator_traitsISK_E10value_typeET2_T3_PNSL_ISQ_E10value_typeET4_T5_PSV_SW_PNS1_23onesweep_lookback_stateEbbT6_jjT7_P12ihipStream_tbENKUlT_T0_SK_SP_E_clISE_PjSF_SF_EEDaS13_S14_SK_SP_EUlS13_E_NS1_11comp_targetILNS1_3genE3ELNS1_11target_archE908ELNS1_3gpuE7ELNS1_3repE0EEENS1_47radix_sort_onesweep_sort_config_static_selectorELNS0_4arch9wavefront6targetE1EEEvSK_.kd
    .uniform_work_group_size: 1
    .uses_dynamic_stack: false
    .vgpr_count:     0
    .vgpr_spill_count: 0
    .wavefront_size: 64
  - .agpr_count:     0
    .args:
      - .offset:         0
        .size:           88
        .value_kind:     by_value
    .group_segment_fixed_size: 0
    .kernarg_segment_align: 8
    .kernarg_segment_size: 88
    .language:       OpenCL C
    .language_version:
      - 2
      - 0
    .max_flat_workgroup_size: 1024
    .name:           _ZN7rocprim17ROCPRIM_400000_NS6detail17trampoline_kernelINS0_14default_configENS1_35radix_sort_onesweep_config_selectorIjNS0_10empty_typeEEEZZNS1_29radix_sort_onesweep_iterationIS3_Lb0EN6thrust23THRUST_200600_302600_NS6detail15normal_iteratorINS9_10device_ptrIjEEEESE_PS5_SF_jNS0_19identity_decomposerENS1_16block_id_wrapperIjLb1EEEEE10hipError_tT1_PNSt15iterator_traitsISK_E10value_typeET2_T3_PNSL_ISQ_E10value_typeET4_T5_PSV_SW_PNS1_23onesweep_lookback_stateEbbT6_jjT7_P12ihipStream_tbENKUlT_T0_SK_SP_E_clISE_PjSF_SF_EEDaS13_S14_SK_SP_EUlS13_E_NS1_11comp_targetILNS1_3genE10ELNS1_11target_archE1201ELNS1_3gpuE5ELNS1_3repE0EEENS1_47radix_sort_onesweep_sort_config_static_selectorELNS0_4arch9wavefront6targetE1EEEvSK_
    .private_segment_fixed_size: 0
    .sgpr_count:     4
    .sgpr_spill_count: 0
    .symbol:         _ZN7rocprim17ROCPRIM_400000_NS6detail17trampoline_kernelINS0_14default_configENS1_35radix_sort_onesweep_config_selectorIjNS0_10empty_typeEEEZZNS1_29radix_sort_onesweep_iterationIS3_Lb0EN6thrust23THRUST_200600_302600_NS6detail15normal_iteratorINS9_10device_ptrIjEEEESE_PS5_SF_jNS0_19identity_decomposerENS1_16block_id_wrapperIjLb1EEEEE10hipError_tT1_PNSt15iterator_traitsISK_E10value_typeET2_T3_PNSL_ISQ_E10value_typeET4_T5_PSV_SW_PNS1_23onesweep_lookback_stateEbbT6_jjT7_P12ihipStream_tbENKUlT_T0_SK_SP_E_clISE_PjSF_SF_EEDaS13_S14_SK_SP_EUlS13_E_NS1_11comp_targetILNS1_3genE10ELNS1_11target_archE1201ELNS1_3gpuE5ELNS1_3repE0EEENS1_47radix_sort_onesweep_sort_config_static_selectorELNS0_4arch9wavefront6targetE1EEEvSK_.kd
    .uniform_work_group_size: 1
    .uses_dynamic_stack: false
    .vgpr_count:     0
    .vgpr_spill_count: 0
    .wavefront_size: 64
  - .agpr_count:     0
    .args:
      - .offset:         0
        .size:           88
        .value_kind:     by_value
    .group_segment_fixed_size: 0
    .kernarg_segment_align: 8
    .kernarg_segment_size: 88
    .language:       OpenCL C
    .language_version:
      - 2
      - 0
    .max_flat_workgroup_size: 1024
    .name:           _ZN7rocprim17ROCPRIM_400000_NS6detail17trampoline_kernelINS0_14default_configENS1_35radix_sort_onesweep_config_selectorIjNS0_10empty_typeEEEZZNS1_29radix_sort_onesweep_iterationIS3_Lb0EN6thrust23THRUST_200600_302600_NS6detail15normal_iteratorINS9_10device_ptrIjEEEESE_PS5_SF_jNS0_19identity_decomposerENS1_16block_id_wrapperIjLb1EEEEE10hipError_tT1_PNSt15iterator_traitsISK_E10value_typeET2_T3_PNSL_ISQ_E10value_typeET4_T5_PSV_SW_PNS1_23onesweep_lookback_stateEbbT6_jjT7_P12ihipStream_tbENKUlT_T0_SK_SP_E_clISE_PjSF_SF_EEDaS13_S14_SK_SP_EUlS13_E_NS1_11comp_targetILNS1_3genE9ELNS1_11target_archE1100ELNS1_3gpuE3ELNS1_3repE0EEENS1_47radix_sort_onesweep_sort_config_static_selectorELNS0_4arch9wavefront6targetE1EEEvSK_
    .private_segment_fixed_size: 0
    .sgpr_count:     4
    .sgpr_spill_count: 0
    .symbol:         _ZN7rocprim17ROCPRIM_400000_NS6detail17trampoline_kernelINS0_14default_configENS1_35radix_sort_onesweep_config_selectorIjNS0_10empty_typeEEEZZNS1_29radix_sort_onesweep_iterationIS3_Lb0EN6thrust23THRUST_200600_302600_NS6detail15normal_iteratorINS9_10device_ptrIjEEEESE_PS5_SF_jNS0_19identity_decomposerENS1_16block_id_wrapperIjLb1EEEEE10hipError_tT1_PNSt15iterator_traitsISK_E10value_typeET2_T3_PNSL_ISQ_E10value_typeET4_T5_PSV_SW_PNS1_23onesweep_lookback_stateEbbT6_jjT7_P12ihipStream_tbENKUlT_T0_SK_SP_E_clISE_PjSF_SF_EEDaS13_S14_SK_SP_EUlS13_E_NS1_11comp_targetILNS1_3genE9ELNS1_11target_archE1100ELNS1_3gpuE3ELNS1_3repE0EEENS1_47radix_sort_onesweep_sort_config_static_selectorELNS0_4arch9wavefront6targetE1EEEvSK_.kd
    .uniform_work_group_size: 1
    .uses_dynamic_stack: false
    .vgpr_count:     0
    .vgpr_spill_count: 0
    .wavefront_size: 64
  - .agpr_count:     0
    .args:
      - .offset:         0
        .size:           88
        .value_kind:     by_value
    .group_segment_fixed_size: 0
    .kernarg_segment_align: 8
    .kernarg_segment_size: 88
    .language:       OpenCL C
    .language_version:
      - 2
      - 0
    .max_flat_workgroup_size: 1024
    .name:           _ZN7rocprim17ROCPRIM_400000_NS6detail17trampoline_kernelINS0_14default_configENS1_35radix_sort_onesweep_config_selectorIjNS0_10empty_typeEEEZZNS1_29radix_sort_onesweep_iterationIS3_Lb0EN6thrust23THRUST_200600_302600_NS6detail15normal_iteratorINS9_10device_ptrIjEEEESE_PS5_SF_jNS0_19identity_decomposerENS1_16block_id_wrapperIjLb1EEEEE10hipError_tT1_PNSt15iterator_traitsISK_E10value_typeET2_T3_PNSL_ISQ_E10value_typeET4_T5_PSV_SW_PNS1_23onesweep_lookback_stateEbbT6_jjT7_P12ihipStream_tbENKUlT_T0_SK_SP_E_clISE_PjSF_SF_EEDaS13_S14_SK_SP_EUlS13_E_NS1_11comp_targetILNS1_3genE8ELNS1_11target_archE1030ELNS1_3gpuE2ELNS1_3repE0EEENS1_47radix_sort_onesweep_sort_config_static_selectorELNS0_4arch9wavefront6targetE1EEEvSK_
    .private_segment_fixed_size: 0
    .sgpr_count:     4
    .sgpr_spill_count: 0
    .symbol:         _ZN7rocprim17ROCPRIM_400000_NS6detail17trampoline_kernelINS0_14default_configENS1_35radix_sort_onesweep_config_selectorIjNS0_10empty_typeEEEZZNS1_29radix_sort_onesweep_iterationIS3_Lb0EN6thrust23THRUST_200600_302600_NS6detail15normal_iteratorINS9_10device_ptrIjEEEESE_PS5_SF_jNS0_19identity_decomposerENS1_16block_id_wrapperIjLb1EEEEE10hipError_tT1_PNSt15iterator_traitsISK_E10value_typeET2_T3_PNSL_ISQ_E10value_typeET4_T5_PSV_SW_PNS1_23onesweep_lookback_stateEbbT6_jjT7_P12ihipStream_tbENKUlT_T0_SK_SP_E_clISE_PjSF_SF_EEDaS13_S14_SK_SP_EUlS13_E_NS1_11comp_targetILNS1_3genE8ELNS1_11target_archE1030ELNS1_3gpuE2ELNS1_3repE0EEENS1_47radix_sort_onesweep_sort_config_static_selectorELNS0_4arch9wavefront6targetE1EEEvSK_.kd
    .uniform_work_group_size: 1
    .uses_dynamic_stack: false
    .vgpr_count:     0
    .vgpr_spill_count: 0
    .wavefront_size: 64
  - .agpr_count:     0
    .args:
      - .offset:         0
        .size:           88
        .value_kind:     by_value
    .group_segment_fixed_size: 0
    .kernarg_segment_align: 8
    .kernarg_segment_size: 88
    .language:       OpenCL C
    .language_version:
      - 2
      - 0
    .max_flat_workgroup_size: 512
    .name:           _ZN7rocprim17ROCPRIM_400000_NS6detail17trampoline_kernelINS0_14default_configENS1_35radix_sort_onesweep_config_selectorIjNS0_10empty_typeEEEZZNS1_29radix_sort_onesweep_iterationIS3_Lb0EN6thrust23THRUST_200600_302600_NS6detail15normal_iteratorINS9_10device_ptrIjEEEESE_PS5_SF_jNS0_19identity_decomposerENS1_16block_id_wrapperIjLb1EEEEE10hipError_tT1_PNSt15iterator_traitsISK_E10value_typeET2_T3_PNSL_ISQ_E10value_typeET4_T5_PSV_SW_PNS1_23onesweep_lookback_stateEbbT6_jjT7_P12ihipStream_tbENKUlT_T0_SK_SP_E_clIPjSE_SF_SF_EEDaS13_S14_SK_SP_EUlS13_E_NS1_11comp_targetILNS1_3genE0ELNS1_11target_archE4294967295ELNS1_3gpuE0ELNS1_3repE0EEENS1_47radix_sort_onesweep_sort_config_static_selectorELNS0_4arch9wavefront6targetE1EEEvSK_
    .private_segment_fixed_size: 0
    .sgpr_count:     4
    .sgpr_spill_count: 0
    .symbol:         _ZN7rocprim17ROCPRIM_400000_NS6detail17trampoline_kernelINS0_14default_configENS1_35radix_sort_onesweep_config_selectorIjNS0_10empty_typeEEEZZNS1_29radix_sort_onesweep_iterationIS3_Lb0EN6thrust23THRUST_200600_302600_NS6detail15normal_iteratorINS9_10device_ptrIjEEEESE_PS5_SF_jNS0_19identity_decomposerENS1_16block_id_wrapperIjLb1EEEEE10hipError_tT1_PNSt15iterator_traitsISK_E10value_typeET2_T3_PNSL_ISQ_E10value_typeET4_T5_PSV_SW_PNS1_23onesweep_lookback_stateEbbT6_jjT7_P12ihipStream_tbENKUlT_T0_SK_SP_E_clIPjSE_SF_SF_EEDaS13_S14_SK_SP_EUlS13_E_NS1_11comp_targetILNS1_3genE0ELNS1_11target_archE4294967295ELNS1_3gpuE0ELNS1_3repE0EEENS1_47radix_sort_onesweep_sort_config_static_selectorELNS0_4arch9wavefront6targetE1EEEvSK_.kd
    .uniform_work_group_size: 1
    .uses_dynamic_stack: false
    .vgpr_count:     0
    .vgpr_spill_count: 0
    .wavefront_size: 64
  - .agpr_count:     0
    .args:
      - .offset:         0
        .size:           88
        .value_kind:     by_value
    .group_segment_fixed_size: 0
    .kernarg_segment_align: 8
    .kernarg_segment_size: 88
    .language:       OpenCL C
    .language_version:
      - 2
      - 0
    .max_flat_workgroup_size: 1024
    .name:           _ZN7rocprim17ROCPRIM_400000_NS6detail17trampoline_kernelINS0_14default_configENS1_35radix_sort_onesweep_config_selectorIjNS0_10empty_typeEEEZZNS1_29radix_sort_onesweep_iterationIS3_Lb0EN6thrust23THRUST_200600_302600_NS6detail15normal_iteratorINS9_10device_ptrIjEEEESE_PS5_SF_jNS0_19identity_decomposerENS1_16block_id_wrapperIjLb1EEEEE10hipError_tT1_PNSt15iterator_traitsISK_E10value_typeET2_T3_PNSL_ISQ_E10value_typeET4_T5_PSV_SW_PNS1_23onesweep_lookback_stateEbbT6_jjT7_P12ihipStream_tbENKUlT_T0_SK_SP_E_clIPjSE_SF_SF_EEDaS13_S14_SK_SP_EUlS13_E_NS1_11comp_targetILNS1_3genE6ELNS1_11target_archE950ELNS1_3gpuE13ELNS1_3repE0EEENS1_47radix_sort_onesweep_sort_config_static_selectorELNS0_4arch9wavefront6targetE1EEEvSK_
    .private_segment_fixed_size: 0
    .sgpr_count:     4
    .sgpr_spill_count: 0
    .symbol:         _ZN7rocprim17ROCPRIM_400000_NS6detail17trampoline_kernelINS0_14default_configENS1_35radix_sort_onesweep_config_selectorIjNS0_10empty_typeEEEZZNS1_29radix_sort_onesweep_iterationIS3_Lb0EN6thrust23THRUST_200600_302600_NS6detail15normal_iteratorINS9_10device_ptrIjEEEESE_PS5_SF_jNS0_19identity_decomposerENS1_16block_id_wrapperIjLb1EEEEE10hipError_tT1_PNSt15iterator_traitsISK_E10value_typeET2_T3_PNSL_ISQ_E10value_typeET4_T5_PSV_SW_PNS1_23onesweep_lookback_stateEbbT6_jjT7_P12ihipStream_tbENKUlT_T0_SK_SP_E_clIPjSE_SF_SF_EEDaS13_S14_SK_SP_EUlS13_E_NS1_11comp_targetILNS1_3genE6ELNS1_11target_archE950ELNS1_3gpuE13ELNS1_3repE0EEENS1_47radix_sort_onesweep_sort_config_static_selectorELNS0_4arch9wavefront6targetE1EEEvSK_.kd
    .uniform_work_group_size: 1
    .uses_dynamic_stack: false
    .vgpr_count:     0
    .vgpr_spill_count: 0
    .wavefront_size: 64
  - .agpr_count:     0
    .args:
      - .offset:         0
        .size:           88
        .value_kind:     by_value
    .group_segment_fixed_size: 0
    .kernarg_segment_align: 8
    .kernarg_segment_size: 88
    .language:       OpenCL C
    .language_version:
      - 2
      - 0
    .max_flat_workgroup_size: 1024
    .name:           _ZN7rocprim17ROCPRIM_400000_NS6detail17trampoline_kernelINS0_14default_configENS1_35radix_sort_onesweep_config_selectorIjNS0_10empty_typeEEEZZNS1_29radix_sort_onesweep_iterationIS3_Lb0EN6thrust23THRUST_200600_302600_NS6detail15normal_iteratorINS9_10device_ptrIjEEEESE_PS5_SF_jNS0_19identity_decomposerENS1_16block_id_wrapperIjLb1EEEEE10hipError_tT1_PNSt15iterator_traitsISK_E10value_typeET2_T3_PNSL_ISQ_E10value_typeET4_T5_PSV_SW_PNS1_23onesweep_lookback_stateEbbT6_jjT7_P12ihipStream_tbENKUlT_T0_SK_SP_E_clIPjSE_SF_SF_EEDaS13_S14_SK_SP_EUlS13_E_NS1_11comp_targetILNS1_3genE5ELNS1_11target_archE942ELNS1_3gpuE9ELNS1_3repE0EEENS1_47radix_sort_onesweep_sort_config_static_selectorELNS0_4arch9wavefront6targetE1EEEvSK_
    .private_segment_fixed_size: 0
    .sgpr_count:     4
    .sgpr_spill_count: 0
    .symbol:         _ZN7rocprim17ROCPRIM_400000_NS6detail17trampoline_kernelINS0_14default_configENS1_35radix_sort_onesweep_config_selectorIjNS0_10empty_typeEEEZZNS1_29radix_sort_onesweep_iterationIS3_Lb0EN6thrust23THRUST_200600_302600_NS6detail15normal_iteratorINS9_10device_ptrIjEEEESE_PS5_SF_jNS0_19identity_decomposerENS1_16block_id_wrapperIjLb1EEEEE10hipError_tT1_PNSt15iterator_traitsISK_E10value_typeET2_T3_PNSL_ISQ_E10value_typeET4_T5_PSV_SW_PNS1_23onesweep_lookback_stateEbbT6_jjT7_P12ihipStream_tbENKUlT_T0_SK_SP_E_clIPjSE_SF_SF_EEDaS13_S14_SK_SP_EUlS13_E_NS1_11comp_targetILNS1_3genE5ELNS1_11target_archE942ELNS1_3gpuE9ELNS1_3repE0EEENS1_47radix_sort_onesweep_sort_config_static_selectorELNS0_4arch9wavefront6targetE1EEEvSK_.kd
    .uniform_work_group_size: 1
    .uses_dynamic_stack: false
    .vgpr_count:     0
    .vgpr_spill_count: 0
    .wavefront_size: 64
  - .agpr_count:     0
    .args:
      - .offset:         0
        .size:           88
        .value_kind:     by_value
    .group_segment_fixed_size: 0
    .kernarg_segment_align: 8
    .kernarg_segment_size: 88
    .language:       OpenCL C
    .language_version:
      - 2
      - 0
    .max_flat_workgroup_size: 1024
    .name:           _ZN7rocprim17ROCPRIM_400000_NS6detail17trampoline_kernelINS0_14default_configENS1_35radix_sort_onesweep_config_selectorIjNS0_10empty_typeEEEZZNS1_29radix_sort_onesweep_iterationIS3_Lb0EN6thrust23THRUST_200600_302600_NS6detail15normal_iteratorINS9_10device_ptrIjEEEESE_PS5_SF_jNS0_19identity_decomposerENS1_16block_id_wrapperIjLb1EEEEE10hipError_tT1_PNSt15iterator_traitsISK_E10value_typeET2_T3_PNSL_ISQ_E10value_typeET4_T5_PSV_SW_PNS1_23onesweep_lookback_stateEbbT6_jjT7_P12ihipStream_tbENKUlT_T0_SK_SP_E_clIPjSE_SF_SF_EEDaS13_S14_SK_SP_EUlS13_E_NS1_11comp_targetILNS1_3genE2ELNS1_11target_archE906ELNS1_3gpuE6ELNS1_3repE0EEENS1_47radix_sort_onesweep_sort_config_static_selectorELNS0_4arch9wavefront6targetE1EEEvSK_
    .private_segment_fixed_size: 0
    .sgpr_count:     4
    .sgpr_spill_count: 0
    .symbol:         _ZN7rocprim17ROCPRIM_400000_NS6detail17trampoline_kernelINS0_14default_configENS1_35radix_sort_onesweep_config_selectorIjNS0_10empty_typeEEEZZNS1_29radix_sort_onesweep_iterationIS3_Lb0EN6thrust23THRUST_200600_302600_NS6detail15normal_iteratorINS9_10device_ptrIjEEEESE_PS5_SF_jNS0_19identity_decomposerENS1_16block_id_wrapperIjLb1EEEEE10hipError_tT1_PNSt15iterator_traitsISK_E10value_typeET2_T3_PNSL_ISQ_E10value_typeET4_T5_PSV_SW_PNS1_23onesweep_lookback_stateEbbT6_jjT7_P12ihipStream_tbENKUlT_T0_SK_SP_E_clIPjSE_SF_SF_EEDaS13_S14_SK_SP_EUlS13_E_NS1_11comp_targetILNS1_3genE2ELNS1_11target_archE906ELNS1_3gpuE6ELNS1_3repE0EEENS1_47radix_sort_onesweep_sort_config_static_selectorELNS0_4arch9wavefront6targetE1EEEvSK_.kd
    .uniform_work_group_size: 1
    .uses_dynamic_stack: false
    .vgpr_count:     0
    .vgpr_spill_count: 0
    .wavefront_size: 64
  - .agpr_count:     0
    .args:
      - .offset:         0
        .size:           88
        .value_kind:     by_value
      - .offset:         88
        .size:           4
        .value_kind:     hidden_block_count_x
      - .offset:         92
        .size:           4
        .value_kind:     hidden_block_count_y
      - .offset:         96
        .size:           4
        .value_kind:     hidden_block_count_z
      - .offset:         100
        .size:           2
        .value_kind:     hidden_group_size_x
      - .offset:         102
        .size:           2
        .value_kind:     hidden_group_size_y
      - .offset:         104
        .size:           2
        .value_kind:     hidden_group_size_z
      - .offset:         106
        .size:           2
        .value_kind:     hidden_remainder_x
      - .offset:         108
        .size:           2
        .value_kind:     hidden_remainder_y
      - .offset:         110
        .size:           2
        .value_kind:     hidden_remainder_z
      - .offset:         128
        .size:           8
        .value_kind:     hidden_global_offset_x
      - .offset:         136
        .size:           8
        .value_kind:     hidden_global_offset_y
      - .offset:         144
        .size:           8
        .value_kind:     hidden_global_offset_z
      - .offset:         152
        .size:           2
        .value_kind:     hidden_grid_dims
    .group_segment_fixed_size: 20552
    .kernarg_segment_align: 8
    .kernarg_segment_size: 344
    .language:       OpenCL C
    .language_version:
      - 2
      - 0
    .max_flat_workgroup_size: 1024
    .name:           _ZN7rocprim17ROCPRIM_400000_NS6detail17trampoline_kernelINS0_14default_configENS1_35radix_sort_onesweep_config_selectorIjNS0_10empty_typeEEEZZNS1_29radix_sort_onesweep_iterationIS3_Lb0EN6thrust23THRUST_200600_302600_NS6detail15normal_iteratorINS9_10device_ptrIjEEEESE_PS5_SF_jNS0_19identity_decomposerENS1_16block_id_wrapperIjLb1EEEEE10hipError_tT1_PNSt15iterator_traitsISK_E10value_typeET2_T3_PNSL_ISQ_E10value_typeET4_T5_PSV_SW_PNS1_23onesweep_lookback_stateEbbT6_jjT7_P12ihipStream_tbENKUlT_T0_SK_SP_E_clIPjSE_SF_SF_EEDaS13_S14_SK_SP_EUlS13_E_NS1_11comp_targetILNS1_3genE4ELNS1_11target_archE910ELNS1_3gpuE8ELNS1_3repE0EEENS1_47radix_sort_onesweep_sort_config_static_selectorELNS0_4arch9wavefront6targetE1EEEvSK_
    .private_segment_fixed_size: 0
    .sgpr_count:     39
    .sgpr_spill_count: 0
    .symbol:         _ZN7rocprim17ROCPRIM_400000_NS6detail17trampoline_kernelINS0_14default_configENS1_35radix_sort_onesweep_config_selectorIjNS0_10empty_typeEEEZZNS1_29radix_sort_onesweep_iterationIS3_Lb0EN6thrust23THRUST_200600_302600_NS6detail15normal_iteratorINS9_10device_ptrIjEEEESE_PS5_SF_jNS0_19identity_decomposerENS1_16block_id_wrapperIjLb1EEEEE10hipError_tT1_PNSt15iterator_traitsISK_E10value_typeET2_T3_PNSL_ISQ_E10value_typeET4_T5_PSV_SW_PNS1_23onesweep_lookback_stateEbbT6_jjT7_P12ihipStream_tbENKUlT_T0_SK_SP_E_clIPjSE_SF_SF_EEDaS13_S14_SK_SP_EUlS13_E_NS1_11comp_targetILNS1_3genE4ELNS1_11target_archE910ELNS1_3gpuE8ELNS1_3repE0EEENS1_47radix_sort_onesweep_sort_config_static_selectorELNS0_4arch9wavefront6targetE1EEEvSK_.kd
    .uniform_work_group_size: 1
    .uses_dynamic_stack: false
    .vgpr_count:     62
    .vgpr_spill_count: 0
    .wavefront_size: 64
  - .agpr_count:     0
    .args:
      - .offset:         0
        .size:           88
        .value_kind:     by_value
    .group_segment_fixed_size: 0
    .kernarg_segment_align: 8
    .kernarg_segment_size: 88
    .language:       OpenCL C
    .language_version:
      - 2
      - 0
    .max_flat_workgroup_size: 512
    .name:           _ZN7rocprim17ROCPRIM_400000_NS6detail17trampoline_kernelINS0_14default_configENS1_35radix_sort_onesweep_config_selectorIjNS0_10empty_typeEEEZZNS1_29radix_sort_onesweep_iterationIS3_Lb0EN6thrust23THRUST_200600_302600_NS6detail15normal_iteratorINS9_10device_ptrIjEEEESE_PS5_SF_jNS0_19identity_decomposerENS1_16block_id_wrapperIjLb1EEEEE10hipError_tT1_PNSt15iterator_traitsISK_E10value_typeET2_T3_PNSL_ISQ_E10value_typeET4_T5_PSV_SW_PNS1_23onesweep_lookback_stateEbbT6_jjT7_P12ihipStream_tbENKUlT_T0_SK_SP_E_clIPjSE_SF_SF_EEDaS13_S14_SK_SP_EUlS13_E_NS1_11comp_targetILNS1_3genE3ELNS1_11target_archE908ELNS1_3gpuE7ELNS1_3repE0EEENS1_47radix_sort_onesweep_sort_config_static_selectorELNS0_4arch9wavefront6targetE1EEEvSK_
    .private_segment_fixed_size: 0
    .sgpr_count:     4
    .sgpr_spill_count: 0
    .symbol:         _ZN7rocprim17ROCPRIM_400000_NS6detail17trampoline_kernelINS0_14default_configENS1_35radix_sort_onesweep_config_selectorIjNS0_10empty_typeEEEZZNS1_29radix_sort_onesweep_iterationIS3_Lb0EN6thrust23THRUST_200600_302600_NS6detail15normal_iteratorINS9_10device_ptrIjEEEESE_PS5_SF_jNS0_19identity_decomposerENS1_16block_id_wrapperIjLb1EEEEE10hipError_tT1_PNSt15iterator_traitsISK_E10value_typeET2_T3_PNSL_ISQ_E10value_typeET4_T5_PSV_SW_PNS1_23onesweep_lookback_stateEbbT6_jjT7_P12ihipStream_tbENKUlT_T0_SK_SP_E_clIPjSE_SF_SF_EEDaS13_S14_SK_SP_EUlS13_E_NS1_11comp_targetILNS1_3genE3ELNS1_11target_archE908ELNS1_3gpuE7ELNS1_3repE0EEENS1_47radix_sort_onesweep_sort_config_static_selectorELNS0_4arch9wavefront6targetE1EEEvSK_.kd
    .uniform_work_group_size: 1
    .uses_dynamic_stack: false
    .vgpr_count:     0
    .vgpr_spill_count: 0
    .wavefront_size: 64
  - .agpr_count:     0
    .args:
      - .offset:         0
        .size:           88
        .value_kind:     by_value
    .group_segment_fixed_size: 0
    .kernarg_segment_align: 8
    .kernarg_segment_size: 88
    .language:       OpenCL C
    .language_version:
      - 2
      - 0
    .max_flat_workgroup_size: 1024
    .name:           _ZN7rocprim17ROCPRIM_400000_NS6detail17trampoline_kernelINS0_14default_configENS1_35radix_sort_onesweep_config_selectorIjNS0_10empty_typeEEEZZNS1_29radix_sort_onesweep_iterationIS3_Lb0EN6thrust23THRUST_200600_302600_NS6detail15normal_iteratorINS9_10device_ptrIjEEEESE_PS5_SF_jNS0_19identity_decomposerENS1_16block_id_wrapperIjLb1EEEEE10hipError_tT1_PNSt15iterator_traitsISK_E10value_typeET2_T3_PNSL_ISQ_E10value_typeET4_T5_PSV_SW_PNS1_23onesweep_lookback_stateEbbT6_jjT7_P12ihipStream_tbENKUlT_T0_SK_SP_E_clIPjSE_SF_SF_EEDaS13_S14_SK_SP_EUlS13_E_NS1_11comp_targetILNS1_3genE10ELNS1_11target_archE1201ELNS1_3gpuE5ELNS1_3repE0EEENS1_47radix_sort_onesweep_sort_config_static_selectorELNS0_4arch9wavefront6targetE1EEEvSK_
    .private_segment_fixed_size: 0
    .sgpr_count:     4
    .sgpr_spill_count: 0
    .symbol:         _ZN7rocprim17ROCPRIM_400000_NS6detail17trampoline_kernelINS0_14default_configENS1_35radix_sort_onesweep_config_selectorIjNS0_10empty_typeEEEZZNS1_29radix_sort_onesweep_iterationIS3_Lb0EN6thrust23THRUST_200600_302600_NS6detail15normal_iteratorINS9_10device_ptrIjEEEESE_PS5_SF_jNS0_19identity_decomposerENS1_16block_id_wrapperIjLb1EEEEE10hipError_tT1_PNSt15iterator_traitsISK_E10value_typeET2_T3_PNSL_ISQ_E10value_typeET4_T5_PSV_SW_PNS1_23onesweep_lookback_stateEbbT6_jjT7_P12ihipStream_tbENKUlT_T0_SK_SP_E_clIPjSE_SF_SF_EEDaS13_S14_SK_SP_EUlS13_E_NS1_11comp_targetILNS1_3genE10ELNS1_11target_archE1201ELNS1_3gpuE5ELNS1_3repE0EEENS1_47radix_sort_onesweep_sort_config_static_selectorELNS0_4arch9wavefront6targetE1EEEvSK_.kd
    .uniform_work_group_size: 1
    .uses_dynamic_stack: false
    .vgpr_count:     0
    .vgpr_spill_count: 0
    .wavefront_size: 64
  - .agpr_count:     0
    .args:
      - .offset:         0
        .size:           88
        .value_kind:     by_value
    .group_segment_fixed_size: 0
    .kernarg_segment_align: 8
    .kernarg_segment_size: 88
    .language:       OpenCL C
    .language_version:
      - 2
      - 0
    .max_flat_workgroup_size: 1024
    .name:           _ZN7rocprim17ROCPRIM_400000_NS6detail17trampoline_kernelINS0_14default_configENS1_35radix_sort_onesweep_config_selectorIjNS0_10empty_typeEEEZZNS1_29radix_sort_onesweep_iterationIS3_Lb0EN6thrust23THRUST_200600_302600_NS6detail15normal_iteratorINS9_10device_ptrIjEEEESE_PS5_SF_jNS0_19identity_decomposerENS1_16block_id_wrapperIjLb1EEEEE10hipError_tT1_PNSt15iterator_traitsISK_E10value_typeET2_T3_PNSL_ISQ_E10value_typeET4_T5_PSV_SW_PNS1_23onesweep_lookback_stateEbbT6_jjT7_P12ihipStream_tbENKUlT_T0_SK_SP_E_clIPjSE_SF_SF_EEDaS13_S14_SK_SP_EUlS13_E_NS1_11comp_targetILNS1_3genE9ELNS1_11target_archE1100ELNS1_3gpuE3ELNS1_3repE0EEENS1_47radix_sort_onesweep_sort_config_static_selectorELNS0_4arch9wavefront6targetE1EEEvSK_
    .private_segment_fixed_size: 0
    .sgpr_count:     4
    .sgpr_spill_count: 0
    .symbol:         _ZN7rocprim17ROCPRIM_400000_NS6detail17trampoline_kernelINS0_14default_configENS1_35radix_sort_onesweep_config_selectorIjNS0_10empty_typeEEEZZNS1_29radix_sort_onesweep_iterationIS3_Lb0EN6thrust23THRUST_200600_302600_NS6detail15normal_iteratorINS9_10device_ptrIjEEEESE_PS5_SF_jNS0_19identity_decomposerENS1_16block_id_wrapperIjLb1EEEEE10hipError_tT1_PNSt15iterator_traitsISK_E10value_typeET2_T3_PNSL_ISQ_E10value_typeET4_T5_PSV_SW_PNS1_23onesweep_lookback_stateEbbT6_jjT7_P12ihipStream_tbENKUlT_T0_SK_SP_E_clIPjSE_SF_SF_EEDaS13_S14_SK_SP_EUlS13_E_NS1_11comp_targetILNS1_3genE9ELNS1_11target_archE1100ELNS1_3gpuE3ELNS1_3repE0EEENS1_47radix_sort_onesweep_sort_config_static_selectorELNS0_4arch9wavefront6targetE1EEEvSK_.kd
    .uniform_work_group_size: 1
    .uses_dynamic_stack: false
    .vgpr_count:     0
    .vgpr_spill_count: 0
    .wavefront_size: 64
  - .agpr_count:     0
    .args:
      - .offset:         0
        .size:           88
        .value_kind:     by_value
    .group_segment_fixed_size: 0
    .kernarg_segment_align: 8
    .kernarg_segment_size: 88
    .language:       OpenCL C
    .language_version:
      - 2
      - 0
    .max_flat_workgroup_size: 1024
    .name:           _ZN7rocprim17ROCPRIM_400000_NS6detail17trampoline_kernelINS0_14default_configENS1_35radix_sort_onesweep_config_selectorIjNS0_10empty_typeEEEZZNS1_29radix_sort_onesweep_iterationIS3_Lb0EN6thrust23THRUST_200600_302600_NS6detail15normal_iteratorINS9_10device_ptrIjEEEESE_PS5_SF_jNS0_19identity_decomposerENS1_16block_id_wrapperIjLb1EEEEE10hipError_tT1_PNSt15iterator_traitsISK_E10value_typeET2_T3_PNSL_ISQ_E10value_typeET4_T5_PSV_SW_PNS1_23onesweep_lookback_stateEbbT6_jjT7_P12ihipStream_tbENKUlT_T0_SK_SP_E_clIPjSE_SF_SF_EEDaS13_S14_SK_SP_EUlS13_E_NS1_11comp_targetILNS1_3genE8ELNS1_11target_archE1030ELNS1_3gpuE2ELNS1_3repE0EEENS1_47radix_sort_onesweep_sort_config_static_selectorELNS0_4arch9wavefront6targetE1EEEvSK_
    .private_segment_fixed_size: 0
    .sgpr_count:     4
    .sgpr_spill_count: 0
    .symbol:         _ZN7rocprim17ROCPRIM_400000_NS6detail17trampoline_kernelINS0_14default_configENS1_35radix_sort_onesweep_config_selectorIjNS0_10empty_typeEEEZZNS1_29radix_sort_onesweep_iterationIS3_Lb0EN6thrust23THRUST_200600_302600_NS6detail15normal_iteratorINS9_10device_ptrIjEEEESE_PS5_SF_jNS0_19identity_decomposerENS1_16block_id_wrapperIjLb1EEEEE10hipError_tT1_PNSt15iterator_traitsISK_E10value_typeET2_T3_PNSL_ISQ_E10value_typeET4_T5_PSV_SW_PNS1_23onesweep_lookback_stateEbbT6_jjT7_P12ihipStream_tbENKUlT_T0_SK_SP_E_clIPjSE_SF_SF_EEDaS13_S14_SK_SP_EUlS13_E_NS1_11comp_targetILNS1_3genE8ELNS1_11target_archE1030ELNS1_3gpuE2ELNS1_3repE0EEENS1_47radix_sort_onesweep_sort_config_static_selectorELNS0_4arch9wavefront6targetE1EEEvSK_.kd
    .uniform_work_group_size: 1
    .uses_dynamic_stack: false
    .vgpr_count:     0
    .vgpr_spill_count: 0
    .wavefront_size: 64
  - .agpr_count:     0
    .args:
      - .offset:         0
        .size:           88
        .value_kind:     by_value
    .group_segment_fixed_size: 0
    .kernarg_segment_align: 8
    .kernarg_segment_size: 88
    .language:       OpenCL C
    .language_version:
      - 2
      - 0
    .max_flat_workgroup_size: 512
    .name:           _ZN7rocprim17ROCPRIM_400000_NS6detail17trampoline_kernelINS0_14default_configENS1_35radix_sort_onesweep_config_selectorIjNS0_10empty_typeEEEZZNS1_29radix_sort_onesweep_iterationIS3_Lb0EN6thrust23THRUST_200600_302600_NS6detail15normal_iteratorINS9_10device_ptrIjEEEESE_PS5_SF_jNS0_19identity_decomposerENS1_16block_id_wrapperIjLb0EEEEE10hipError_tT1_PNSt15iterator_traitsISK_E10value_typeET2_T3_PNSL_ISQ_E10value_typeET4_T5_PSV_SW_PNS1_23onesweep_lookback_stateEbbT6_jjT7_P12ihipStream_tbENKUlT_T0_SK_SP_E_clISE_SE_SF_SF_EEDaS13_S14_SK_SP_EUlS13_E_NS1_11comp_targetILNS1_3genE0ELNS1_11target_archE4294967295ELNS1_3gpuE0ELNS1_3repE0EEENS1_47radix_sort_onesweep_sort_config_static_selectorELNS0_4arch9wavefront6targetE1EEEvSK_
    .private_segment_fixed_size: 0
    .sgpr_count:     4
    .sgpr_spill_count: 0
    .symbol:         _ZN7rocprim17ROCPRIM_400000_NS6detail17trampoline_kernelINS0_14default_configENS1_35radix_sort_onesweep_config_selectorIjNS0_10empty_typeEEEZZNS1_29radix_sort_onesweep_iterationIS3_Lb0EN6thrust23THRUST_200600_302600_NS6detail15normal_iteratorINS9_10device_ptrIjEEEESE_PS5_SF_jNS0_19identity_decomposerENS1_16block_id_wrapperIjLb0EEEEE10hipError_tT1_PNSt15iterator_traitsISK_E10value_typeET2_T3_PNSL_ISQ_E10value_typeET4_T5_PSV_SW_PNS1_23onesweep_lookback_stateEbbT6_jjT7_P12ihipStream_tbENKUlT_T0_SK_SP_E_clISE_SE_SF_SF_EEDaS13_S14_SK_SP_EUlS13_E_NS1_11comp_targetILNS1_3genE0ELNS1_11target_archE4294967295ELNS1_3gpuE0ELNS1_3repE0EEENS1_47radix_sort_onesweep_sort_config_static_selectorELNS0_4arch9wavefront6targetE1EEEvSK_.kd
    .uniform_work_group_size: 1
    .uses_dynamic_stack: false
    .vgpr_count:     0
    .vgpr_spill_count: 0
    .wavefront_size: 64
  - .agpr_count:     0
    .args:
      - .offset:         0
        .size:           88
        .value_kind:     by_value
    .group_segment_fixed_size: 0
    .kernarg_segment_align: 8
    .kernarg_segment_size: 88
    .language:       OpenCL C
    .language_version:
      - 2
      - 0
    .max_flat_workgroup_size: 1024
    .name:           _ZN7rocprim17ROCPRIM_400000_NS6detail17trampoline_kernelINS0_14default_configENS1_35radix_sort_onesweep_config_selectorIjNS0_10empty_typeEEEZZNS1_29radix_sort_onesweep_iterationIS3_Lb0EN6thrust23THRUST_200600_302600_NS6detail15normal_iteratorINS9_10device_ptrIjEEEESE_PS5_SF_jNS0_19identity_decomposerENS1_16block_id_wrapperIjLb0EEEEE10hipError_tT1_PNSt15iterator_traitsISK_E10value_typeET2_T3_PNSL_ISQ_E10value_typeET4_T5_PSV_SW_PNS1_23onesweep_lookback_stateEbbT6_jjT7_P12ihipStream_tbENKUlT_T0_SK_SP_E_clISE_SE_SF_SF_EEDaS13_S14_SK_SP_EUlS13_E_NS1_11comp_targetILNS1_3genE6ELNS1_11target_archE950ELNS1_3gpuE13ELNS1_3repE0EEENS1_47radix_sort_onesweep_sort_config_static_selectorELNS0_4arch9wavefront6targetE1EEEvSK_
    .private_segment_fixed_size: 0
    .sgpr_count:     4
    .sgpr_spill_count: 0
    .symbol:         _ZN7rocprim17ROCPRIM_400000_NS6detail17trampoline_kernelINS0_14default_configENS1_35radix_sort_onesweep_config_selectorIjNS0_10empty_typeEEEZZNS1_29radix_sort_onesweep_iterationIS3_Lb0EN6thrust23THRUST_200600_302600_NS6detail15normal_iteratorINS9_10device_ptrIjEEEESE_PS5_SF_jNS0_19identity_decomposerENS1_16block_id_wrapperIjLb0EEEEE10hipError_tT1_PNSt15iterator_traitsISK_E10value_typeET2_T3_PNSL_ISQ_E10value_typeET4_T5_PSV_SW_PNS1_23onesweep_lookback_stateEbbT6_jjT7_P12ihipStream_tbENKUlT_T0_SK_SP_E_clISE_SE_SF_SF_EEDaS13_S14_SK_SP_EUlS13_E_NS1_11comp_targetILNS1_3genE6ELNS1_11target_archE950ELNS1_3gpuE13ELNS1_3repE0EEENS1_47radix_sort_onesweep_sort_config_static_selectorELNS0_4arch9wavefront6targetE1EEEvSK_.kd
    .uniform_work_group_size: 1
    .uses_dynamic_stack: false
    .vgpr_count:     0
    .vgpr_spill_count: 0
    .wavefront_size: 64
  - .agpr_count:     0
    .args:
      - .offset:         0
        .size:           88
        .value_kind:     by_value
    .group_segment_fixed_size: 0
    .kernarg_segment_align: 8
    .kernarg_segment_size: 88
    .language:       OpenCL C
    .language_version:
      - 2
      - 0
    .max_flat_workgroup_size: 1024
    .name:           _ZN7rocprim17ROCPRIM_400000_NS6detail17trampoline_kernelINS0_14default_configENS1_35radix_sort_onesweep_config_selectorIjNS0_10empty_typeEEEZZNS1_29radix_sort_onesweep_iterationIS3_Lb0EN6thrust23THRUST_200600_302600_NS6detail15normal_iteratorINS9_10device_ptrIjEEEESE_PS5_SF_jNS0_19identity_decomposerENS1_16block_id_wrapperIjLb0EEEEE10hipError_tT1_PNSt15iterator_traitsISK_E10value_typeET2_T3_PNSL_ISQ_E10value_typeET4_T5_PSV_SW_PNS1_23onesweep_lookback_stateEbbT6_jjT7_P12ihipStream_tbENKUlT_T0_SK_SP_E_clISE_SE_SF_SF_EEDaS13_S14_SK_SP_EUlS13_E_NS1_11comp_targetILNS1_3genE5ELNS1_11target_archE942ELNS1_3gpuE9ELNS1_3repE0EEENS1_47radix_sort_onesweep_sort_config_static_selectorELNS0_4arch9wavefront6targetE1EEEvSK_
    .private_segment_fixed_size: 0
    .sgpr_count:     4
    .sgpr_spill_count: 0
    .symbol:         _ZN7rocprim17ROCPRIM_400000_NS6detail17trampoline_kernelINS0_14default_configENS1_35radix_sort_onesweep_config_selectorIjNS0_10empty_typeEEEZZNS1_29radix_sort_onesweep_iterationIS3_Lb0EN6thrust23THRUST_200600_302600_NS6detail15normal_iteratorINS9_10device_ptrIjEEEESE_PS5_SF_jNS0_19identity_decomposerENS1_16block_id_wrapperIjLb0EEEEE10hipError_tT1_PNSt15iterator_traitsISK_E10value_typeET2_T3_PNSL_ISQ_E10value_typeET4_T5_PSV_SW_PNS1_23onesweep_lookback_stateEbbT6_jjT7_P12ihipStream_tbENKUlT_T0_SK_SP_E_clISE_SE_SF_SF_EEDaS13_S14_SK_SP_EUlS13_E_NS1_11comp_targetILNS1_3genE5ELNS1_11target_archE942ELNS1_3gpuE9ELNS1_3repE0EEENS1_47radix_sort_onesweep_sort_config_static_selectorELNS0_4arch9wavefront6targetE1EEEvSK_.kd
    .uniform_work_group_size: 1
    .uses_dynamic_stack: false
    .vgpr_count:     0
    .vgpr_spill_count: 0
    .wavefront_size: 64
  - .agpr_count:     0
    .args:
      - .offset:         0
        .size:           88
        .value_kind:     by_value
    .group_segment_fixed_size: 0
    .kernarg_segment_align: 8
    .kernarg_segment_size: 88
    .language:       OpenCL C
    .language_version:
      - 2
      - 0
    .max_flat_workgroup_size: 1024
    .name:           _ZN7rocprim17ROCPRIM_400000_NS6detail17trampoline_kernelINS0_14default_configENS1_35radix_sort_onesweep_config_selectorIjNS0_10empty_typeEEEZZNS1_29radix_sort_onesweep_iterationIS3_Lb0EN6thrust23THRUST_200600_302600_NS6detail15normal_iteratorINS9_10device_ptrIjEEEESE_PS5_SF_jNS0_19identity_decomposerENS1_16block_id_wrapperIjLb0EEEEE10hipError_tT1_PNSt15iterator_traitsISK_E10value_typeET2_T3_PNSL_ISQ_E10value_typeET4_T5_PSV_SW_PNS1_23onesweep_lookback_stateEbbT6_jjT7_P12ihipStream_tbENKUlT_T0_SK_SP_E_clISE_SE_SF_SF_EEDaS13_S14_SK_SP_EUlS13_E_NS1_11comp_targetILNS1_3genE2ELNS1_11target_archE906ELNS1_3gpuE6ELNS1_3repE0EEENS1_47radix_sort_onesweep_sort_config_static_selectorELNS0_4arch9wavefront6targetE1EEEvSK_
    .private_segment_fixed_size: 0
    .sgpr_count:     4
    .sgpr_spill_count: 0
    .symbol:         _ZN7rocprim17ROCPRIM_400000_NS6detail17trampoline_kernelINS0_14default_configENS1_35radix_sort_onesweep_config_selectorIjNS0_10empty_typeEEEZZNS1_29radix_sort_onesweep_iterationIS3_Lb0EN6thrust23THRUST_200600_302600_NS6detail15normal_iteratorINS9_10device_ptrIjEEEESE_PS5_SF_jNS0_19identity_decomposerENS1_16block_id_wrapperIjLb0EEEEE10hipError_tT1_PNSt15iterator_traitsISK_E10value_typeET2_T3_PNSL_ISQ_E10value_typeET4_T5_PSV_SW_PNS1_23onesweep_lookback_stateEbbT6_jjT7_P12ihipStream_tbENKUlT_T0_SK_SP_E_clISE_SE_SF_SF_EEDaS13_S14_SK_SP_EUlS13_E_NS1_11comp_targetILNS1_3genE2ELNS1_11target_archE906ELNS1_3gpuE6ELNS1_3repE0EEENS1_47radix_sort_onesweep_sort_config_static_selectorELNS0_4arch9wavefront6targetE1EEEvSK_.kd
    .uniform_work_group_size: 1
    .uses_dynamic_stack: false
    .vgpr_count:     0
    .vgpr_spill_count: 0
    .wavefront_size: 64
  - .agpr_count:     0
    .args:
      - .offset:         0
        .size:           88
        .value_kind:     by_value
      - .offset:         88
        .size:           4
        .value_kind:     hidden_block_count_x
      - .offset:         92
        .size:           4
        .value_kind:     hidden_block_count_y
      - .offset:         96
        .size:           4
        .value_kind:     hidden_block_count_z
      - .offset:         100
        .size:           2
        .value_kind:     hidden_group_size_x
      - .offset:         102
        .size:           2
        .value_kind:     hidden_group_size_y
      - .offset:         104
        .size:           2
        .value_kind:     hidden_group_size_z
      - .offset:         106
        .size:           2
        .value_kind:     hidden_remainder_x
      - .offset:         108
        .size:           2
        .value_kind:     hidden_remainder_y
      - .offset:         110
        .size:           2
        .value_kind:     hidden_remainder_z
      - .offset:         128
        .size:           8
        .value_kind:     hidden_global_offset_x
      - .offset:         136
        .size:           8
        .value_kind:     hidden_global_offset_y
      - .offset:         144
        .size:           8
        .value_kind:     hidden_global_offset_z
      - .offset:         152
        .size:           2
        .value_kind:     hidden_grid_dims
    .group_segment_fixed_size: 20552
    .kernarg_segment_align: 8
    .kernarg_segment_size: 344
    .language:       OpenCL C
    .language_version:
      - 2
      - 0
    .max_flat_workgroup_size: 1024
    .name:           _ZN7rocprim17ROCPRIM_400000_NS6detail17trampoline_kernelINS0_14default_configENS1_35radix_sort_onesweep_config_selectorIjNS0_10empty_typeEEEZZNS1_29radix_sort_onesweep_iterationIS3_Lb0EN6thrust23THRUST_200600_302600_NS6detail15normal_iteratorINS9_10device_ptrIjEEEESE_PS5_SF_jNS0_19identity_decomposerENS1_16block_id_wrapperIjLb0EEEEE10hipError_tT1_PNSt15iterator_traitsISK_E10value_typeET2_T3_PNSL_ISQ_E10value_typeET4_T5_PSV_SW_PNS1_23onesweep_lookback_stateEbbT6_jjT7_P12ihipStream_tbENKUlT_T0_SK_SP_E_clISE_SE_SF_SF_EEDaS13_S14_SK_SP_EUlS13_E_NS1_11comp_targetILNS1_3genE4ELNS1_11target_archE910ELNS1_3gpuE8ELNS1_3repE0EEENS1_47radix_sort_onesweep_sort_config_static_selectorELNS0_4arch9wavefront6targetE1EEEvSK_
    .private_segment_fixed_size: 0
    .sgpr_count:     35
    .sgpr_spill_count: 0
    .symbol:         _ZN7rocprim17ROCPRIM_400000_NS6detail17trampoline_kernelINS0_14default_configENS1_35radix_sort_onesweep_config_selectorIjNS0_10empty_typeEEEZZNS1_29radix_sort_onesweep_iterationIS3_Lb0EN6thrust23THRUST_200600_302600_NS6detail15normal_iteratorINS9_10device_ptrIjEEEESE_PS5_SF_jNS0_19identity_decomposerENS1_16block_id_wrapperIjLb0EEEEE10hipError_tT1_PNSt15iterator_traitsISK_E10value_typeET2_T3_PNSL_ISQ_E10value_typeET4_T5_PSV_SW_PNS1_23onesweep_lookback_stateEbbT6_jjT7_P12ihipStream_tbENKUlT_T0_SK_SP_E_clISE_SE_SF_SF_EEDaS13_S14_SK_SP_EUlS13_E_NS1_11comp_targetILNS1_3genE4ELNS1_11target_archE910ELNS1_3gpuE8ELNS1_3repE0EEENS1_47radix_sort_onesweep_sort_config_static_selectorELNS0_4arch9wavefront6targetE1EEEvSK_.kd
    .uniform_work_group_size: 1
    .uses_dynamic_stack: false
    .vgpr_count:     62
    .vgpr_spill_count: 0
    .wavefront_size: 64
  - .agpr_count:     0
    .args:
      - .offset:         0
        .size:           88
        .value_kind:     by_value
    .group_segment_fixed_size: 0
    .kernarg_segment_align: 8
    .kernarg_segment_size: 88
    .language:       OpenCL C
    .language_version:
      - 2
      - 0
    .max_flat_workgroup_size: 512
    .name:           _ZN7rocprim17ROCPRIM_400000_NS6detail17trampoline_kernelINS0_14default_configENS1_35radix_sort_onesweep_config_selectorIjNS0_10empty_typeEEEZZNS1_29radix_sort_onesweep_iterationIS3_Lb0EN6thrust23THRUST_200600_302600_NS6detail15normal_iteratorINS9_10device_ptrIjEEEESE_PS5_SF_jNS0_19identity_decomposerENS1_16block_id_wrapperIjLb0EEEEE10hipError_tT1_PNSt15iterator_traitsISK_E10value_typeET2_T3_PNSL_ISQ_E10value_typeET4_T5_PSV_SW_PNS1_23onesweep_lookback_stateEbbT6_jjT7_P12ihipStream_tbENKUlT_T0_SK_SP_E_clISE_SE_SF_SF_EEDaS13_S14_SK_SP_EUlS13_E_NS1_11comp_targetILNS1_3genE3ELNS1_11target_archE908ELNS1_3gpuE7ELNS1_3repE0EEENS1_47radix_sort_onesweep_sort_config_static_selectorELNS0_4arch9wavefront6targetE1EEEvSK_
    .private_segment_fixed_size: 0
    .sgpr_count:     4
    .sgpr_spill_count: 0
    .symbol:         _ZN7rocprim17ROCPRIM_400000_NS6detail17trampoline_kernelINS0_14default_configENS1_35radix_sort_onesweep_config_selectorIjNS0_10empty_typeEEEZZNS1_29radix_sort_onesweep_iterationIS3_Lb0EN6thrust23THRUST_200600_302600_NS6detail15normal_iteratorINS9_10device_ptrIjEEEESE_PS5_SF_jNS0_19identity_decomposerENS1_16block_id_wrapperIjLb0EEEEE10hipError_tT1_PNSt15iterator_traitsISK_E10value_typeET2_T3_PNSL_ISQ_E10value_typeET4_T5_PSV_SW_PNS1_23onesweep_lookback_stateEbbT6_jjT7_P12ihipStream_tbENKUlT_T0_SK_SP_E_clISE_SE_SF_SF_EEDaS13_S14_SK_SP_EUlS13_E_NS1_11comp_targetILNS1_3genE3ELNS1_11target_archE908ELNS1_3gpuE7ELNS1_3repE0EEENS1_47radix_sort_onesweep_sort_config_static_selectorELNS0_4arch9wavefront6targetE1EEEvSK_.kd
    .uniform_work_group_size: 1
    .uses_dynamic_stack: false
    .vgpr_count:     0
    .vgpr_spill_count: 0
    .wavefront_size: 64
  - .agpr_count:     0
    .args:
      - .offset:         0
        .size:           88
        .value_kind:     by_value
    .group_segment_fixed_size: 0
    .kernarg_segment_align: 8
    .kernarg_segment_size: 88
    .language:       OpenCL C
    .language_version:
      - 2
      - 0
    .max_flat_workgroup_size: 1024
    .name:           _ZN7rocprim17ROCPRIM_400000_NS6detail17trampoline_kernelINS0_14default_configENS1_35radix_sort_onesweep_config_selectorIjNS0_10empty_typeEEEZZNS1_29radix_sort_onesweep_iterationIS3_Lb0EN6thrust23THRUST_200600_302600_NS6detail15normal_iteratorINS9_10device_ptrIjEEEESE_PS5_SF_jNS0_19identity_decomposerENS1_16block_id_wrapperIjLb0EEEEE10hipError_tT1_PNSt15iterator_traitsISK_E10value_typeET2_T3_PNSL_ISQ_E10value_typeET4_T5_PSV_SW_PNS1_23onesweep_lookback_stateEbbT6_jjT7_P12ihipStream_tbENKUlT_T0_SK_SP_E_clISE_SE_SF_SF_EEDaS13_S14_SK_SP_EUlS13_E_NS1_11comp_targetILNS1_3genE10ELNS1_11target_archE1201ELNS1_3gpuE5ELNS1_3repE0EEENS1_47radix_sort_onesweep_sort_config_static_selectorELNS0_4arch9wavefront6targetE1EEEvSK_
    .private_segment_fixed_size: 0
    .sgpr_count:     4
    .sgpr_spill_count: 0
    .symbol:         _ZN7rocprim17ROCPRIM_400000_NS6detail17trampoline_kernelINS0_14default_configENS1_35radix_sort_onesweep_config_selectorIjNS0_10empty_typeEEEZZNS1_29radix_sort_onesweep_iterationIS3_Lb0EN6thrust23THRUST_200600_302600_NS6detail15normal_iteratorINS9_10device_ptrIjEEEESE_PS5_SF_jNS0_19identity_decomposerENS1_16block_id_wrapperIjLb0EEEEE10hipError_tT1_PNSt15iterator_traitsISK_E10value_typeET2_T3_PNSL_ISQ_E10value_typeET4_T5_PSV_SW_PNS1_23onesweep_lookback_stateEbbT6_jjT7_P12ihipStream_tbENKUlT_T0_SK_SP_E_clISE_SE_SF_SF_EEDaS13_S14_SK_SP_EUlS13_E_NS1_11comp_targetILNS1_3genE10ELNS1_11target_archE1201ELNS1_3gpuE5ELNS1_3repE0EEENS1_47radix_sort_onesweep_sort_config_static_selectorELNS0_4arch9wavefront6targetE1EEEvSK_.kd
    .uniform_work_group_size: 1
    .uses_dynamic_stack: false
    .vgpr_count:     0
    .vgpr_spill_count: 0
    .wavefront_size: 64
  - .agpr_count:     0
    .args:
      - .offset:         0
        .size:           88
        .value_kind:     by_value
    .group_segment_fixed_size: 0
    .kernarg_segment_align: 8
    .kernarg_segment_size: 88
    .language:       OpenCL C
    .language_version:
      - 2
      - 0
    .max_flat_workgroup_size: 1024
    .name:           _ZN7rocprim17ROCPRIM_400000_NS6detail17trampoline_kernelINS0_14default_configENS1_35radix_sort_onesweep_config_selectorIjNS0_10empty_typeEEEZZNS1_29radix_sort_onesweep_iterationIS3_Lb0EN6thrust23THRUST_200600_302600_NS6detail15normal_iteratorINS9_10device_ptrIjEEEESE_PS5_SF_jNS0_19identity_decomposerENS1_16block_id_wrapperIjLb0EEEEE10hipError_tT1_PNSt15iterator_traitsISK_E10value_typeET2_T3_PNSL_ISQ_E10value_typeET4_T5_PSV_SW_PNS1_23onesweep_lookback_stateEbbT6_jjT7_P12ihipStream_tbENKUlT_T0_SK_SP_E_clISE_SE_SF_SF_EEDaS13_S14_SK_SP_EUlS13_E_NS1_11comp_targetILNS1_3genE9ELNS1_11target_archE1100ELNS1_3gpuE3ELNS1_3repE0EEENS1_47radix_sort_onesweep_sort_config_static_selectorELNS0_4arch9wavefront6targetE1EEEvSK_
    .private_segment_fixed_size: 0
    .sgpr_count:     4
    .sgpr_spill_count: 0
    .symbol:         _ZN7rocprim17ROCPRIM_400000_NS6detail17trampoline_kernelINS0_14default_configENS1_35radix_sort_onesweep_config_selectorIjNS0_10empty_typeEEEZZNS1_29radix_sort_onesweep_iterationIS3_Lb0EN6thrust23THRUST_200600_302600_NS6detail15normal_iteratorINS9_10device_ptrIjEEEESE_PS5_SF_jNS0_19identity_decomposerENS1_16block_id_wrapperIjLb0EEEEE10hipError_tT1_PNSt15iterator_traitsISK_E10value_typeET2_T3_PNSL_ISQ_E10value_typeET4_T5_PSV_SW_PNS1_23onesweep_lookback_stateEbbT6_jjT7_P12ihipStream_tbENKUlT_T0_SK_SP_E_clISE_SE_SF_SF_EEDaS13_S14_SK_SP_EUlS13_E_NS1_11comp_targetILNS1_3genE9ELNS1_11target_archE1100ELNS1_3gpuE3ELNS1_3repE0EEENS1_47radix_sort_onesweep_sort_config_static_selectorELNS0_4arch9wavefront6targetE1EEEvSK_.kd
    .uniform_work_group_size: 1
    .uses_dynamic_stack: false
    .vgpr_count:     0
    .vgpr_spill_count: 0
    .wavefront_size: 64
  - .agpr_count:     0
    .args:
      - .offset:         0
        .size:           88
        .value_kind:     by_value
    .group_segment_fixed_size: 0
    .kernarg_segment_align: 8
    .kernarg_segment_size: 88
    .language:       OpenCL C
    .language_version:
      - 2
      - 0
    .max_flat_workgroup_size: 1024
    .name:           _ZN7rocprim17ROCPRIM_400000_NS6detail17trampoline_kernelINS0_14default_configENS1_35radix_sort_onesweep_config_selectorIjNS0_10empty_typeEEEZZNS1_29radix_sort_onesweep_iterationIS3_Lb0EN6thrust23THRUST_200600_302600_NS6detail15normal_iteratorINS9_10device_ptrIjEEEESE_PS5_SF_jNS0_19identity_decomposerENS1_16block_id_wrapperIjLb0EEEEE10hipError_tT1_PNSt15iterator_traitsISK_E10value_typeET2_T3_PNSL_ISQ_E10value_typeET4_T5_PSV_SW_PNS1_23onesweep_lookback_stateEbbT6_jjT7_P12ihipStream_tbENKUlT_T0_SK_SP_E_clISE_SE_SF_SF_EEDaS13_S14_SK_SP_EUlS13_E_NS1_11comp_targetILNS1_3genE8ELNS1_11target_archE1030ELNS1_3gpuE2ELNS1_3repE0EEENS1_47radix_sort_onesweep_sort_config_static_selectorELNS0_4arch9wavefront6targetE1EEEvSK_
    .private_segment_fixed_size: 0
    .sgpr_count:     4
    .sgpr_spill_count: 0
    .symbol:         _ZN7rocprim17ROCPRIM_400000_NS6detail17trampoline_kernelINS0_14default_configENS1_35radix_sort_onesweep_config_selectorIjNS0_10empty_typeEEEZZNS1_29radix_sort_onesweep_iterationIS3_Lb0EN6thrust23THRUST_200600_302600_NS6detail15normal_iteratorINS9_10device_ptrIjEEEESE_PS5_SF_jNS0_19identity_decomposerENS1_16block_id_wrapperIjLb0EEEEE10hipError_tT1_PNSt15iterator_traitsISK_E10value_typeET2_T3_PNSL_ISQ_E10value_typeET4_T5_PSV_SW_PNS1_23onesweep_lookback_stateEbbT6_jjT7_P12ihipStream_tbENKUlT_T0_SK_SP_E_clISE_SE_SF_SF_EEDaS13_S14_SK_SP_EUlS13_E_NS1_11comp_targetILNS1_3genE8ELNS1_11target_archE1030ELNS1_3gpuE2ELNS1_3repE0EEENS1_47radix_sort_onesweep_sort_config_static_selectorELNS0_4arch9wavefront6targetE1EEEvSK_.kd
    .uniform_work_group_size: 1
    .uses_dynamic_stack: false
    .vgpr_count:     0
    .vgpr_spill_count: 0
    .wavefront_size: 64
  - .agpr_count:     0
    .args:
      - .offset:         0
        .size:           88
        .value_kind:     by_value
    .group_segment_fixed_size: 0
    .kernarg_segment_align: 8
    .kernarg_segment_size: 88
    .language:       OpenCL C
    .language_version:
      - 2
      - 0
    .max_flat_workgroup_size: 512
    .name:           _ZN7rocprim17ROCPRIM_400000_NS6detail17trampoline_kernelINS0_14default_configENS1_35radix_sort_onesweep_config_selectorIjNS0_10empty_typeEEEZZNS1_29radix_sort_onesweep_iterationIS3_Lb0EN6thrust23THRUST_200600_302600_NS6detail15normal_iteratorINS9_10device_ptrIjEEEESE_PS5_SF_jNS0_19identity_decomposerENS1_16block_id_wrapperIjLb0EEEEE10hipError_tT1_PNSt15iterator_traitsISK_E10value_typeET2_T3_PNSL_ISQ_E10value_typeET4_T5_PSV_SW_PNS1_23onesweep_lookback_stateEbbT6_jjT7_P12ihipStream_tbENKUlT_T0_SK_SP_E_clISE_PjSF_SF_EEDaS13_S14_SK_SP_EUlS13_E_NS1_11comp_targetILNS1_3genE0ELNS1_11target_archE4294967295ELNS1_3gpuE0ELNS1_3repE0EEENS1_47radix_sort_onesweep_sort_config_static_selectorELNS0_4arch9wavefront6targetE1EEEvSK_
    .private_segment_fixed_size: 0
    .sgpr_count:     4
    .sgpr_spill_count: 0
    .symbol:         _ZN7rocprim17ROCPRIM_400000_NS6detail17trampoline_kernelINS0_14default_configENS1_35radix_sort_onesweep_config_selectorIjNS0_10empty_typeEEEZZNS1_29radix_sort_onesweep_iterationIS3_Lb0EN6thrust23THRUST_200600_302600_NS6detail15normal_iteratorINS9_10device_ptrIjEEEESE_PS5_SF_jNS0_19identity_decomposerENS1_16block_id_wrapperIjLb0EEEEE10hipError_tT1_PNSt15iterator_traitsISK_E10value_typeET2_T3_PNSL_ISQ_E10value_typeET4_T5_PSV_SW_PNS1_23onesweep_lookback_stateEbbT6_jjT7_P12ihipStream_tbENKUlT_T0_SK_SP_E_clISE_PjSF_SF_EEDaS13_S14_SK_SP_EUlS13_E_NS1_11comp_targetILNS1_3genE0ELNS1_11target_archE4294967295ELNS1_3gpuE0ELNS1_3repE0EEENS1_47radix_sort_onesweep_sort_config_static_selectorELNS0_4arch9wavefront6targetE1EEEvSK_.kd
    .uniform_work_group_size: 1
    .uses_dynamic_stack: false
    .vgpr_count:     0
    .vgpr_spill_count: 0
    .wavefront_size: 64
  - .agpr_count:     0
    .args:
      - .offset:         0
        .size:           88
        .value_kind:     by_value
    .group_segment_fixed_size: 0
    .kernarg_segment_align: 8
    .kernarg_segment_size: 88
    .language:       OpenCL C
    .language_version:
      - 2
      - 0
    .max_flat_workgroup_size: 1024
    .name:           _ZN7rocprim17ROCPRIM_400000_NS6detail17trampoline_kernelINS0_14default_configENS1_35radix_sort_onesweep_config_selectorIjNS0_10empty_typeEEEZZNS1_29radix_sort_onesweep_iterationIS3_Lb0EN6thrust23THRUST_200600_302600_NS6detail15normal_iteratorINS9_10device_ptrIjEEEESE_PS5_SF_jNS0_19identity_decomposerENS1_16block_id_wrapperIjLb0EEEEE10hipError_tT1_PNSt15iterator_traitsISK_E10value_typeET2_T3_PNSL_ISQ_E10value_typeET4_T5_PSV_SW_PNS1_23onesweep_lookback_stateEbbT6_jjT7_P12ihipStream_tbENKUlT_T0_SK_SP_E_clISE_PjSF_SF_EEDaS13_S14_SK_SP_EUlS13_E_NS1_11comp_targetILNS1_3genE6ELNS1_11target_archE950ELNS1_3gpuE13ELNS1_3repE0EEENS1_47radix_sort_onesweep_sort_config_static_selectorELNS0_4arch9wavefront6targetE1EEEvSK_
    .private_segment_fixed_size: 0
    .sgpr_count:     4
    .sgpr_spill_count: 0
    .symbol:         _ZN7rocprim17ROCPRIM_400000_NS6detail17trampoline_kernelINS0_14default_configENS1_35radix_sort_onesweep_config_selectorIjNS0_10empty_typeEEEZZNS1_29radix_sort_onesweep_iterationIS3_Lb0EN6thrust23THRUST_200600_302600_NS6detail15normal_iteratorINS9_10device_ptrIjEEEESE_PS5_SF_jNS0_19identity_decomposerENS1_16block_id_wrapperIjLb0EEEEE10hipError_tT1_PNSt15iterator_traitsISK_E10value_typeET2_T3_PNSL_ISQ_E10value_typeET4_T5_PSV_SW_PNS1_23onesweep_lookback_stateEbbT6_jjT7_P12ihipStream_tbENKUlT_T0_SK_SP_E_clISE_PjSF_SF_EEDaS13_S14_SK_SP_EUlS13_E_NS1_11comp_targetILNS1_3genE6ELNS1_11target_archE950ELNS1_3gpuE13ELNS1_3repE0EEENS1_47radix_sort_onesweep_sort_config_static_selectorELNS0_4arch9wavefront6targetE1EEEvSK_.kd
    .uniform_work_group_size: 1
    .uses_dynamic_stack: false
    .vgpr_count:     0
    .vgpr_spill_count: 0
    .wavefront_size: 64
  - .agpr_count:     0
    .args:
      - .offset:         0
        .size:           88
        .value_kind:     by_value
    .group_segment_fixed_size: 0
    .kernarg_segment_align: 8
    .kernarg_segment_size: 88
    .language:       OpenCL C
    .language_version:
      - 2
      - 0
    .max_flat_workgroup_size: 1024
    .name:           _ZN7rocprim17ROCPRIM_400000_NS6detail17trampoline_kernelINS0_14default_configENS1_35radix_sort_onesweep_config_selectorIjNS0_10empty_typeEEEZZNS1_29radix_sort_onesweep_iterationIS3_Lb0EN6thrust23THRUST_200600_302600_NS6detail15normal_iteratorINS9_10device_ptrIjEEEESE_PS5_SF_jNS0_19identity_decomposerENS1_16block_id_wrapperIjLb0EEEEE10hipError_tT1_PNSt15iterator_traitsISK_E10value_typeET2_T3_PNSL_ISQ_E10value_typeET4_T5_PSV_SW_PNS1_23onesweep_lookback_stateEbbT6_jjT7_P12ihipStream_tbENKUlT_T0_SK_SP_E_clISE_PjSF_SF_EEDaS13_S14_SK_SP_EUlS13_E_NS1_11comp_targetILNS1_3genE5ELNS1_11target_archE942ELNS1_3gpuE9ELNS1_3repE0EEENS1_47radix_sort_onesweep_sort_config_static_selectorELNS0_4arch9wavefront6targetE1EEEvSK_
    .private_segment_fixed_size: 0
    .sgpr_count:     4
    .sgpr_spill_count: 0
    .symbol:         _ZN7rocprim17ROCPRIM_400000_NS6detail17trampoline_kernelINS0_14default_configENS1_35radix_sort_onesweep_config_selectorIjNS0_10empty_typeEEEZZNS1_29radix_sort_onesweep_iterationIS3_Lb0EN6thrust23THRUST_200600_302600_NS6detail15normal_iteratorINS9_10device_ptrIjEEEESE_PS5_SF_jNS0_19identity_decomposerENS1_16block_id_wrapperIjLb0EEEEE10hipError_tT1_PNSt15iterator_traitsISK_E10value_typeET2_T3_PNSL_ISQ_E10value_typeET4_T5_PSV_SW_PNS1_23onesweep_lookback_stateEbbT6_jjT7_P12ihipStream_tbENKUlT_T0_SK_SP_E_clISE_PjSF_SF_EEDaS13_S14_SK_SP_EUlS13_E_NS1_11comp_targetILNS1_3genE5ELNS1_11target_archE942ELNS1_3gpuE9ELNS1_3repE0EEENS1_47radix_sort_onesweep_sort_config_static_selectorELNS0_4arch9wavefront6targetE1EEEvSK_.kd
    .uniform_work_group_size: 1
    .uses_dynamic_stack: false
    .vgpr_count:     0
    .vgpr_spill_count: 0
    .wavefront_size: 64
  - .agpr_count:     0
    .args:
      - .offset:         0
        .size:           88
        .value_kind:     by_value
    .group_segment_fixed_size: 0
    .kernarg_segment_align: 8
    .kernarg_segment_size: 88
    .language:       OpenCL C
    .language_version:
      - 2
      - 0
    .max_flat_workgroup_size: 1024
    .name:           _ZN7rocprim17ROCPRIM_400000_NS6detail17trampoline_kernelINS0_14default_configENS1_35radix_sort_onesweep_config_selectorIjNS0_10empty_typeEEEZZNS1_29radix_sort_onesweep_iterationIS3_Lb0EN6thrust23THRUST_200600_302600_NS6detail15normal_iteratorINS9_10device_ptrIjEEEESE_PS5_SF_jNS0_19identity_decomposerENS1_16block_id_wrapperIjLb0EEEEE10hipError_tT1_PNSt15iterator_traitsISK_E10value_typeET2_T3_PNSL_ISQ_E10value_typeET4_T5_PSV_SW_PNS1_23onesweep_lookback_stateEbbT6_jjT7_P12ihipStream_tbENKUlT_T0_SK_SP_E_clISE_PjSF_SF_EEDaS13_S14_SK_SP_EUlS13_E_NS1_11comp_targetILNS1_3genE2ELNS1_11target_archE906ELNS1_3gpuE6ELNS1_3repE0EEENS1_47radix_sort_onesweep_sort_config_static_selectorELNS0_4arch9wavefront6targetE1EEEvSK_
    .private_segment_fixed_size: 0
    .sgpr_count:     4
    .sgpr_spill_count: 0
    .symbol:         _ZN7rocprim17ROCPRIM_400000_NS6detail17trampoline_kernelINS0_14default_configENS1_35radix_sort_onesweep_config_selectorIjNS0_10empty_typeEEEZZNS1_29radix_sort_onesweep_iterationIS3_Lb0EN6thrust23THRUST_200600_302600_NS6detail15normal_iteratorINS9_10device_ptrIjEEEESE_PS5_SF_jNS0_19identity_decomposerENS1_16block_id_wrapperIjLb0EEEEE10hipError_tT1_PNSt15iterator_traitsISK_E10value_typeET2_T3_PNSL_ISQ_E10value_typeET4_T5_PSV_SW_PNS1_23onesweep_lookback_stateEbbT6_jjT7_P12ihipStream_tbENKUlT_T0_SK_SP_E_clISE_PjSF_SF_EEDaS13_S14_SK_SP_EUlS13_E_NS1_11comp_targetILNS1_3genE2ELNS1_11target_archE906ELNS1_3gpuE6ELNS1_3repE0EEENS1_47radix_sort_onesweep_sort_config_static_selectorELNS0_4arch9wavefront6targetE1EEEvSK_.kd
    .uniform_work_group_size: 1
    .uses_dynamic_stack: false
    .vgpr_count:     0
    .vgpr_spill_count: 0
    .wavefront_size: 64
  - .agpr_count:     0
    .args:
      - .offset:         0
        .size:           88
        .value_kind:     by_value
      - .offset:         88
        .size:           4
        .value_kind:     hidden_block_count_x
      - .offset:         92
        .size:           4
        .value_kind:     hidden_block_count_y
      - .offset:         96
        .size:           4
        .value_kind:     hidden_block_count_z
      - .offset:         100
        .size:           2
        .value_kind:     hidden_group_size_x
      - .offset:         102
        .size:           2
        .value_kind:     hidden_group_size_y
      - .offset:         104
        .size:           2
        .value_kind:     hidden_group_size_z
      - .offset:         106
        .size:           2
        .value_kind:     hidden_remainder_x
      - .offset:         108
        .size:           2
        .value_kind:     hidden_remainder_y
      - .offset:         110
        .size:           2
        .value_kind:     hidden_remainder_z
      - .offset:         128
        .size:           8
        .value_kind:     hidden_global_offset_x
      - .offset:         136
        .size:           8
        .value_kind:     hidden_global_offset_y
      - .offset:         144
        .size:           8
        .value_kind:     hidden_global_offset_z
      - .offset:         152
        .size:           2
        .value_kind:     hidden_grid_dims
    .group_segment_fixed_size: 20552
    .kernarg_segment_align: 8
    .kernarg_segment_size: 344
    .language:       OpenCL C
    .language_version:
      - 2
      - 0
    .max_flat_workgroup_size: 1024
    .name:           _ZN7rocprim17ROCPRIM_400000_NS6detail17trampoline_kernelINS0_14default_configENS1_35radix_sort_onesweep_config_selectorIjNS0_10empty_typeEEEZZNS1_29radix_sort_onesweep_iterationIS3_Lb0EN6thrust23THRUST_200600_302600_NS6detail15normal_iteratorINS9_10device_ptrIjEEEESE_PS5_SF_jNS0_19identity_decomposerENS1_16block_id_wrapperIjLb0EEEEE10hipError_tT1_PNSt15iterator_traitsISK_E10value_typeET2_T3_PNSL_ISQ_E10value_typeET4_T5_PSV_SW_PNS1_23onesweep_lookback_stateEbbT6_jjT7_P12ihipStream_tbENKUlT_T0_SK_SP_E_clISE_PjSF_SF_EEDaS13_S14_SK_SP_EUlS13_E_NS1_11comp_targetILNS1_3genE4ELNS1_11target_archE910ELNS1_3gpuE8ELNS1_3repE0EEENS1_47radix_sort_onesweep_sort_config_static_selectorELNS0_4arch9wavefront6targetE1EEEvSK_
    .private_segment_fixed_size: 0
    .sgpr_count:     35
    .sgpr_spill_count: 0
    .symbol:         _ZN7rocprim17ROCPRIM_400000_NS6detail17trampoline_kernelINS0_14default_configENS1_35radix_sort_onesweep_config_selectorIjNS0_10empty_typeEEEZZNS1_29radix_sort_onesweep_iterationIS3_Lb0EN6thrust23THRUST_200600_302600_NS6detail15normal_iteratorINS9_10device_ptrIjEEEESE_PS5_SF_jNS0_19identity_decomposerENS1_16block_id_wrapperIjLb0EEEEE10hipError_tT1_PNSt15iterator_traitsISK_E10value_typeET2_T3_PNSL_ISQ_E10value_typeET4_T5_PSV_SW_PNS1_23onesweep_lookback_stateEbbT6_jjT7_P12ihipStream_tbENKUlT_T0_SK_SP_E_clISE_PjSF_SF_EEDaS13_S14_SK_SP_EUlS13_E_NS1_11comp_targetILNS1_3genE4ELNS1_11target_archE910ELNS1_3gpuE8ELNS1_3repE0EEENS1_47radix_sort_onesweep_sort_config_static_selectorELNS0_4arch9wavefront6targetE1EEEvSK_.kd
    .uniform_work_group_size: 1
    .uses_dynamic_stack: false
    .vgpr_count:     62
    .vgpr_spill_count: 0
    .wavefront_size: 64
  - .agpr_count:     0
    .args:
      - .offset:         0
        .size:           88
        .value_kind:     by_value
    .group_segment_fixed_size: 0
    .kernarg_segment_align: 8
    .kernarg_segment_size: 88
    .language:       OpenCL C
    .language_version:
      - 2
      - 0
    .max_flat_workgroup_size: 512
    .name:           _ZN7rocprim17ROCPRIM_400000_NS6detail17trampoline_kernelINS0_14default_configENS1_35radix_sort_onesweep_config_selectorIjNS0_10empty_typeEEEZZNS1_29radix_sort_onesweep_iterationIS3_Lb0EN6thrust23THRUST_200600_302600_NS6detail15normal_iteratorINS9_10device_ptrIjEEEESE_PS5_SF_jNS0_19identity_decomposerENS1_16block_id_wrapperIjLb0EEEEE10hipError_tT1_PNSt15iterator_traitsISK_E10value_typeET2_T3_PNSL_ISQ_E10value_typeET4_T5_PSV_SW_PNS1_23onesweep_lookback_stateEbbT6_jjT7_P12ihipStream_tbENKUlT_T0_SK_SP_E_clISE_PjSF_SF_EEDaS13_S14_SK_SP_EUlS13_E_NS1_11comp_targetILNS1_3genE3ELNS1_11target_archE908ELNS1_3gpuE7ELNS1_3repE0EEENS1_47radix_sort_onesweep_sort_config_static_selectorELNS0_4arch9wavefront6targetE1EEEvSK_
    .private_segment_fixed_size: 0
    .sgpr_count:     4
    .sgpr_spill_count: 0
    .symbol:         _ZN7rocprim17ROCPRIM_400000_NS6detail17trampoline_kernelINS0_14default_configENS1_35radix_sort_onesweep_config_selectorIjNS0_10empty_typeEEEZZNS1_29radix_sort_onesweep_iterationIS3_Lb0EN6thrust23THRUST_200600_302600_NS6detail15normal_iteratorINS9_10device_ptrIjEEEESE_PS5_SF_jNS0_19identity_decomposerENS1_16block_id_wrapperIjLb0EEEEE10hipError_tT1_PNSt15iterator_traitsISK_E10value_typeET2_T3_PNSL_ISQ_E10value_typeET4_T5_PSV_SW_PNS1_23onesweep_lookback_stateEbbT6_jjT7_P12ihipStream_tbENKUlT_T0_SK_SP_E_clISE_PjSF_SF_EEDaS13_S14_SK_SP_EUlS13_E_NS1_11comp_targetILNS1_3genE3ELNS1_11target_archE908ELNS1_3gpuE7ELNS1_3repE0EEENS1_47radix_sort_onesweep_sort_config_static_selectorELNS0_4arch9wavefront6targetE1EEEvSK_.kd
    .uniform_work_group_size: 1
    .uses_dynamic_stack: false
    .vgpr_count:     0
    .vgpr_spill_count: 0
    .wavefront_size: 64
  - .agpr_count:     0
    .args:
      - .offset:         0
        .size:           88
        .value_kind:     by_value
    .group_segment_fixed_size: 0
    .kernarg_segment_align: 8
    .kernarg_segment_size: 88
    .language:       OpenCL C
    .language_version:
      - 2
      - 0
    .max_flat_workgroup_size: 1024
    .name:           _ZN7rocprim17ROCPRIM_400000_NS6detail17trampoline_kernelINS0_14default_configENS1_35radix_sort_onesweep_config_selectorIjNS0_10empty_typeEEEZZNS1_29radix_sort_onesweep_iterationIS3_Lb0EN6thrust23THRUST_200600_302600_NS6detail15normal_iteratorINS9_10device_ptrIjEEEESE_PS5_SF_jNS0_19identity_decomposerENS1_16block_id_wrapperIjLb0EEEEE10hipError_tT1_PNSt15iterator_traitsISK_E10value_typeET2_T3_PNSL_ISQ_E10value_typeET4_T5_PSV_SW_PNS1_23onesweep_lookback_stateEbbT6_jjT7_P12ihipStream_tbENKUlT_T0_SK_SP_E_clISE_PjSF_SF_EEDaS13_S14_SK_SP_EUlS13_E_NS1_11comp_targetILNS1_3genE10ELNS1_11target_archE1201ELNS1_3gpuE5ELNS1_3repE0EEENS1_47radix_sort_onesweep_sort_config_static_selectorELNS0_4arch9wavefront6targetE1EEEvSK_
    .private_segment_fixed_size: 0
    .sgpr_count:     4
    .sgpr_spill_count: 0
    .symbol:         _ZN7rocprim17ROCPRIM_400000_NS6detail17trampoline_kernelINS0_14default_configENS1_35radix_sort_onesweep_config_selectorIjNS0_10empty_typeEEEZZNS1_29radix_sort_onesweep_iterationIS3_Lb0EN6thrust23THRUST_200600_302600_NS6detail15normal_iteratorINS9_10device_ptrIjEEEESE_PS5_SF_jNS0_19identity_decomposerENS1_16block_id_wrapperIjLb0EEEEE10hipError_tT1_PNSt15iterator_traitsISK_E10value_typeET2_T3_PNSL_ISQ_E10value_typeET4_T5_PSV_SW_PNS1_23onesweep_lookback_stateEbbT6_jjT7_P12ihipStream_tbENKUlT_T0_SK_SP_E_clISE_PjSF_SF_EEDaS13_S14_SK_SP_EUlS13_E_NS1_11comp_targetILNS1_3genE10ELNS1_11target_archE1201ELNS1_3gpuE5ELNS1_3repE0EEENS1_47radix_sort_onesweep_sort_config_static_selectorELNS0_4arch9wavefront6targetE1EEEvSK_.kd
    .uniform_work_group_size: 1
    .uses_dynamic_stack: false
    .vgpr_count:     0
    .vgpr_spill_count: 0
    .wavefront_size: 64
  - .agpr_count:     0
    .args:
      - .offset:         0
        .size:           88
        .value_kind:     by_value
    .group_segment_fixed_size: 0
    .kernarg_segment_align: 8
    .kernarg_segment_size: 88
    .language:       OpenCL C
    .language_version:
      - 2
      - 0
    .max_flat_workgroup_size: 1024
    .name:           _ZN7rocprim17ROCPRIM_400000_NS6detail17trampoline_kernelINS0_14default_configENS1_35radix_sort_onesweep_config_selectorIjNS0_10empty_typeEEEZZNS1_29radix_sort_onesweep_iterationIS3_Lb0EN6thrust23THRUST_200600_302600_NS6detail15normal_iteratorINS9_10device_ptrIjEEEESE_PS5_SF_jNS0_19identity_decomposerENS1_16block_id_wrapperIjLb0EEEEE10hipError_tT1_PNSt15iterator_traitsISK_E10value_typeET2_T3_PNSL_ISQ_E10value_typeET4_T5_PSV_SW_PNS1_23onesweep_lookback_stateEbbT6_jjT7_P12ihipStream_tbENKUlT_T0_SK_SP_E_clISE_PjSF_SF_EEDaS13_S14_SK_SP_EUlS13_E_NS1_11comp_targetILNS1_3genE9ELNS1_11target_archE1100ELNS1_3gpuE3ELNS1_3repE0EEENS1_47radix_sort_onesweep_sort_config_static_selectorELNS0_4arch9wavefront6targetE1EEEvSK_
    .private_segment_fixed_size: 0
    .sgpr_count:     4
    .sgpr_spill_count: 0
    .symbol:         _ZN7rocprim17ROCPRIM_400000_NS6detail17trampoline_kernelINS0_14default_configENS1_35radix_sort_onesweep_config_selectorIjNS0_10empty_typeEEEZZNS1_29radix_sort_onesweep_iterationIS3_Lb0EN6thrust23THRUST_200600_302600_NS6detail15normal_iteratorINS9_10device_ptrIjEEEESE_PS5_SF_jNS0_19identity_decomposerENS1_16block_id_wrapperIjLb0EEEEE10hipError_tT1_PNSt15iterator_traitsISK_E10value_typeET2_T3_PNSL_ISQ_E10value_typeET4_T5_PSV_SW_PNS1_23onesweep_lookback_stateEbbT6_jjT7_P12ihipStream_tbENKUlT_T0_SK_SP_E_clISE_PjSF_SF_EEDaS13_S14_SK_SP_EUlS13_E_NS1_11comp_targetILNS1_3genE9ELNS1_11target_archE1100ELNS1_3gpuE3ELNS1_3repE0EEENS1_47radix_sort_onesweep_sort_config_static_selectorELNS0_4arch9wavefront6targetE1EEEvSK_.kd
    .uniform_work_group_size: 1
    .uses_dynamic_stack: false
    .vgpr_count:     0
    .vgpr_spill_count: 0
    .wavefront_size: 64
  - .agpr_count:     0
    .args:
      - .offset:         0
        .size:           88
        .value_kind:     by_value
    .group_segment_fixed_size: 0
    .kernarg_segment_align: 8
    .kernarg_segment_size: 88
    .language:       OpenCL C
    .language_version:
      - 2
      - 0
    .max_flat_workgroup_size: 1024
    .name:           _ZN7rocprim17ROCPRIM_400000_NS6detail17trampoline_kernelINS0_14default_configENS1_35radix_sort_onesweep_config_selectorIjNS0_10empty_typeEEEZZNS1_29radix_sort_onesweep_iterationIS3_Lb0EN6thrust23THRUST_200600_302600_NS6detail15normal_iteratorINS9_10device_ptrIjEEEESE_PS5_SF_jNS0_19identity_decomposerENS1_16block_id_wrapperIjLb0EEEEE10hipError_tT1_PNSt15iterator_traitsISK_E10value_typeET2_T3_PNSL_ISQ_E10value_typeET4_T5_PSV_SW_PNS1_23onesweep_lookback_stateEbbT6_jjT7_P12ihipStream_tbENKUlT_T0_SK_SP_E_clISE_PjSF_SF_EEDaS13_S14_SK_SP_EUlS13_E_NS1_11comp_targetILNS1_3genE8ELNS1_11target_archE1030ELNS1_3gpuE2ELNS1_3repE0EEENS1_47radix_sort_onesweep_sort_config_static_selectorELNS0_4arch9wavefront6targetE1EEEvSK_
    .private_segment_fixed_size: 0
    .sgpr_count:     4
    .sgpr_spill_count: 0
    .symbol:         _ZN7rocprim17ROCPRIM_400000_NS6detail17trampoline_kernelINS0_14default_configENS1_35radix_sort_onesweep_config_selectorIjNS0_10empty_typeEEEZZNS1_29radix_sort_onesweep_iterationIS3_Lb0EN6thrust23THRUST_200600_302600_NS6detail15normal_iteratorINS9_10device_ptrIjEEEESE_PS5_SF_jNS0_19identity_decomposerENS1_16block_id_wrapperIjLb0EEEEE10hipError_tT1_PNSt15iterator_traitsISK_E10value_typeET2_T3_PNSL_ISQ_E10value_typeET4_T5_PSV_SW_PNS1_23onesweep_lookback_stateEbbT6_jjT7_P12ihipStream_tbENKUlT_T0_SK_SP_E_clISE_PjSF_SF_EEDaS13_S14_SK_SP_EUlS13_E_NS1_11comp_targetILNS1_3genE8ELNS1_11target_archE1030ELNS1_3gpuE2ELNS1_3repE0EEENS1_47radix_sort_onesweep_sort_config_static_selectorELNS0_4arch9wavefront6targetE1EEEvSK_.kd
    .uniform_work_group_size: 1
    .uses_dynamic_stack: false
    .vgpr_count:     0
    .vgpr_spill_count: 0
    .wavefront_size: 64
  - .agpr_count:     0
    .args:
      - .offset:         0
        .size:           88
        .value_kind:     by_value
    .group_segment_fixed_size: 0
    .kernarg_segment_align: 8
    .kernarg_segment_size: 88
    .language:       OpenCL C
    .language_version:
      - 2
      - 0
    .max_flat_workgroup_size: 512
    .name:           _ZN7rocprim17ROCPRIM_400000_NS6detail17trampoline_kernelINS0_14default_configENS1_35radix_sort_onesweep_config_selectorIjNS0_10empty_typeEEEZZNS1_29radix_sort_onesweep_iterationIS3_Lb0EN6thrust23THRUST_200600_302600_NS6detail15normal_iteratorINS9_10device_ptrIjEEEESE_PS5_SF_jNS0_19identity_decomposerENS1_16block_id_wrapperIjLb0EEEEE10hipError_tT1_PNSt15iterator_traitsISK_E10value_typeET2_T3_PNSL_ISQ_E10value_typeET4_T5_PSV_SW_PNS1_23onesweep_lookback_stateEbbT6_jjT7_P12ihipStream_tbENKUlT_T0_SK_SP_E_clIPjSE_SF_SF_EEDaS13_S14_SK_SP_EUlS13_E_NS1_11comp_targetILNS1_3genE0ELNS1_11target_archE4294967295ELNS1_3gpuE0ELNS1_3repE0EEENS1_47radix_sort_onesweep_sort_config_static_selectorELNS0_4arch9wavefront6targetE1EEEvSK_
    .private_segment_fixed_size: 0
    .sgpr_count:     4
    .sgpr_spill_count: 0
    .symbol:         _ZN7rocprim17ROCPRIM_400000_NS6detail17trampoline_kernelINS0_14default_configENS1_35radix_sort_onesweep_config_selectorIjNS0_10empty_typeEEEZZNS1_29radix_sort_onesweep_iterationIS3_Lb0EN6thrust23THRUST_200600_302600_NS6detail15normal_iteratorINS9_10device_ptrIjEEEESE_PS5_SF_jNS0_19identity_decomposerENS1_16block_id_wrapperIjLb0EEEEE10hipError_tT1_PNSt15iterator_traitsISK_E10value_typeET2_T3_PNSL_ISQ_E10value_typeET4_T5_PSV_SW_PNS1_23onesweep_lookback_stateEbbT6_jjT7_P12ihipStream_tbENKUlT_T0_SK_SP_E_clIPjSE_SF_SF_EEDaS13_S14_SK_SP_EUlS13_E_NS1_11comp_targetILNS1_3genE0ELNS1_11target_archE4294967295ELNS1_3gpuE0ELNS1_3repE0EEENS1_47radix_sort_onesweep_sort_config_static_selectorELNS0_4arch9wavefront6targetE1EEEvSK_.kd
    .uniform_work_group_size: 1
    .uses_dynamic_stack: false
    .vgpr_count:     0
    .vgpr_spill_count: 0
    .wavefront_size: 64
  - .agpr_count:     0
    .args:
      - .offset:         0
        .size:           88
        .value_kind:     by_value
    .group_segment_fixed_size: 0
    .kernarg_segment_align: 8
    .kernarg_segment_size: 88
    .language:       OpenCL C
    .language_version:
      - 2
      - 0
    .max_flat_workgroup_size: 1024
    .name:           _ZN7rocprim17ROCPRIM_400000_NS6detail17trampoline_kernelINS0_14default_configENS1_35radix_sort_onesweep_config_selectorIjNS0_10empty_typeEEEZZNS1_29radix_sort_onesweep_iterationIS3_Lb0EN6thrust23THRUST_200600_302600_NS6detail15normal_iteratorINS9_10device_ptrIjEEEESE_PS5_SF_jNS0_19identity_decomposerENS1_16block_id_wrapperIjLb0EEEEE10hipError_tT1_PNSt15iterator_traitsISK_E10value_typeET2_T3_PNSL_ISQ_E10value_typeET4_T5_PSV_SW_PNS1_23onesweep_lookback_stateEbbT6_jjT7_P12ihipStream_tbENKUlT_T0_SK_SP_E_clIPjSE_SF_SF_EEDaS13_S14_SK_SP_EUlS13_E_NS1_11comp_targetILNS1_3genE6ELNS1_11target_archE950ELNS1_3gpuE13ELNS1_3repE0EEENS1_47radix_sort_onesweep_sort_config_static_selectorELNS0_4arch9wavefront6targetE1EEEvSK_
    .private_segment_fixed_size: 0
    .sgpr_count:     4
    .sgpr_spill_count: 0
    .symbol:         _ZN7rocprim17ROCPRIM_400000_NS6detail17trampoline_kernelINS0_14default_configENS1_35radix_sort_onesweep_config_selectorIjNS0_10empty_typeEEEZZNS1_29radix_sort_onesweep_iterationIS3_Lb0EN6thrust23THRUST_200600_302600_NS6detail15normal_iteratorINS9_10device_ptrIjEEEESE_PS5_SF_jNS0_19identity_decomposerENS1_16block_id_wrapperIjLb0EEEEE10hipError_tT1_PNSt15iterator_traitsISK_E10value_typeET2_T3_PNSL_ISQ_E10value_typeET4_T5_PSV_SW_PNS1_23onesweep_lookback_stateEbbT6_jjT7_P12ihipStream_tbENKUlT_T0_SK_SP_E_clIPjSE_SF_SF_EEDaS13_S14_SK_SP_EUlS13_E_NS1_11comp_targetILNS1_3genE6ELNS1_11target_archE950ELNS1_3gpuE13ELNS1_3repE0EEENS1_47radix_sort_onesweep_sort_config_static_selectorELNS0_4arch9wavefront6targetE1EEEvSK_.kd
    .uniform_work_group_size: 1
    .uses_dynamic_stack: false
    .vgpr_count:     0
    .vgpr_spill_count: 0
    .wavefront_size: 64
  - .agpr_count:     0
    .args:
      - .offset:         0
        .size:           88
        .value_kind:     by_value
    .group_segment_fixed_size: 0
    .kernarg_segment_align: 8
    .kernarg_segment_size: 88
    .language:       OpenCL C
    .language_version:
      - 2
      - 0
    .max_flat_workgroup_size: 1024
    .name:           _ZN7rocprim17ROCPRIM_400000_NS6detail17trampoline_kernelINS0_14default_configENS1_35radix_sort_onesweep_config_selectorIjNS0_10empty_typeEEEZZNS1_29radix_sort_onesweep_iterationIS3_Lb0EN6thrust23THRUST_200600_302600_NS6detail15normal_iteratorINS9_10device_ptrIjEEEESE_PS5_SF_jNS0_19identity_decomposerENS1_16block_id_wrapperIjLb0EEEEE10hipError_tT1_PNSt15iterator_traitsISK_E10value_typeET2_T3_PNSL_ISQ_E10value_typeET4_T5_PSV_SW_PNS1_23onesweep_lookback_stateEbbT6_jjT7_P12ihipStream_tbENKUlT_T0_SK_SP_E_clIPjSE_SF_SF_EEDaS13_S14_SK_SP_EUlS13_E_NS1_11comp_targetILNS1_3genE5ELNS1_11target_archE942ELNS1_3gpuE9ELNS1_3repE0EEENS1_47radix_sort_onesweep_sort_config_static_selectorELNS0_4arch9wavefront6targetE1EEEvSK_
    .private_segment_fixed_size: 0
    .sgpr_count:     4
    .sgpr_spill_count: 0
    .symbol:         _ZN7rocprim17ROCPRIM_400000_NS6detail17trampoline_kernelINS0_14default_configENS1_35radix_sort_onesweep_config_selectorIjNS0_10empty_typeEEEZZNS1_29radix_sort_onesweep_iterationIS3_Lb0EN6thrust23THRUST_200600_302600_NS6detail15normal_iteratorINS9_10device_ptrIjEEEESE_PS5_SF_jNS0_19identity_decomposerENS1_16block_id_wrapperIjLb0EEEEE10hipError_tT1_PNSt15iterator_traitsISK_E10value_typeET2_T3_PNSL_ISQ_E10value_typeET4_T5_PSV_SW_PNS1_23onesweep_lookback_stateEbbT6_jjT7_P12ihipStream_tbENKUlT_T0_SK_SP_E_clIPjSE_SF_SF_EEDaS13_S14_SK_SP_EUlS13_E_NS1_11comp_targetILNS1_3genE5ELNS1_11target_archE942ELNS1_3gpuE9ELNS1_3repE0EEENS1_47radix_sort_onesweep_sort_config_static_selectorELNS0_4arch9wavefront6targetE1EEEvSK_.kd
    .uniform_work_group_size: 1
    .uses_dynamic_stack: false
    .vgpr_count:     0
    .vgpr_spill_count: 0
    .wavefront_size: 64
  - .agpr_count:     0
    .args:
      - .offset:         0
        .size:           88
        .value_kind:     by_value
    .group_segment_fixed_size: 0
    .kernarg_segment_align: 8
    .kernarg_segment_size: 88
    .language:       OpenCL C
    .language_version:
      - 2
      - 0
    .max_flat_workgroup_size: 1024
    .name:           _ZN7rocprim17ROCPRIM_400000_NS6detail17trampoline_kernelINS0_14default_configENS1_35radix_sort_onesweep_config_selectorIjNS0_10empty_typeEEEZZNS1_29radix_sort_onesweep_iterationIS3_Lb0EN6thrust23THRUST_200600_302600_NS6detail15normal_iteratorINS9_10device_ptrIjEEEESE_PS5_SF_jNS0_19identity_decomposerENS1_16block_id_wrapperIjLb0EEEEE10hipError_tT1_PNSt15iterator_traitsISK_E10value_typeET2_T3_PNSL_ISQ_E10value_typeET4_T5_PSV_SW_PNS1_23onesweep_lookback_stateEbbT6_jjT7_P12ihipStream_tbENKUlT_T0_SK_SP_E_clIPjSE_SF_SF_EEDaS13_S14_SK_SP_EUlS13_E_NS1_11comp_targetILNS1_3genE2ELNS1_11target_archE906ELNS1_3gpuE6ELNS1_3repE0EEENS1_47radix_sort_onesweep_sort_config_static_selectorELNS0_4arch9wavefront6targetE1EEEvSK_
    .private_segment_fixed_size: 0
    .sgpr_count:     4
    .sgpr_spill_count: 0
    .symbol:         _ZN7rocprim17ROCPRIM_400000_NS6detail17trampoline_kernelINS0_14default_configENS1_35radix_sort_onesweep_config_selectorIjNS0_10empty_typeEEEZZNS1_29radix_sort_onesweep_iterationIS3_Lb0EN6thrust23THRUST_200600_302600_NS6detail15normal_iteratorINS9_10device_ptrIjEEEESE_PS5_SF_jNS0_19identity_decomposerENS1_16block_id_wrapperIjLb0EEEEE10hipError_tT1_PNSt15iterator_traitsISK_E10value_typeET2_T3_PNSL_ISQ_E10value_typeET4_T5_PSV_SW_PNS1_23onesweep_lookback_stateEbbT6_jjT7_P12ihipStream_tbENKUlT_T0_SK_SP_E_clIPjSE_SF_SF_EEDaS13_S14_SK_SP_EUlS13_E_NS1_11comp_targetILNS1_3genE2ELNS1_11target_archE906ELNS1_3gpuE6ELNS1_3repE0EEENS1_47radix_sort_onesweep_sort_config_static_selectorELNS0_4arch9wavefront6targetE1EEEvSK_.kd
    .uniform_work_group_size: 1
    .uses_dynamic_stack: false
    .vgpr_count:     0
    .vgpr_spill_count: 0
    .wavefront_size: 64
  - .agpr_count:     0
    .args:
      - .offset:         0
        .size:           88
        .value_kind:     by_value
      - .offset:         88
        .size:           4
        .value_kind:     hidden_block_count_x
      - .offset:         92
        .size:           4
        .value_kind:     hidden_block_count_y
      - .offset:         96
        .size:           4
        .value_kind:     hidden_block_count_z
      - .offset:         100
        .size:           2
        .value_kind:     hidden_group_size_x
      - .offset:         102
        .size:           2
        .value_kind:     hidden_group_size_y
      - .offset:         104
        .size:           2
        .value_kind:     hidden_group_size_z
      - .offset:         106
        .size:           2
        .value_kind:     hidden_remainder_x
      - .offset:         108
        .size:           2
        .value_kind:     hidden_remainder_y
      - .offset:         110
        .size:           2
        .value_kind:     hidden_remainder_z
      - .offset:         128
        .size:           8
        .value_kind:     hidden_global_offset_x
      - .offset:         136
        .size:           8
        .value_kind:     hidden_global_offset_y
      - .offset:         144
        .size:           8
        .value_kind:     hidden_global_offset_z
      - .offset:         152
        .size:           2
        .value_kind:     hidden_grid_dims
    .group_segment_fixed_size: 20552
    .kernarg_segment_align: 8
    .kernarg_segment_size: 344
    .language:       OpenCL C
    .language_version:
      - 2
      - 0
    .max_flat_workgroup_size: 1024
    .name:           _ZN7rocprim17ROCPRIM_400000_NS6detail17trampoline_kernelINS0_14default_configENS1_35radix_sort_onesweep_config_selectorIjNS0_10empty_typeEEEZZNS1_29radix_sort_onesweep_iterationIS3_Lb0EN6thrust23THRUST_200600_302600_NS6detail15normal_iteratorINS9_10device_ptrIjEEEESE_PS5_SF_jNS0_19identity_decomposerENS1_16block_id_wrapperIjLb0EEEEE10hipError_tT1_PNSt15iterator_traitsISK_E10value_typeET2_T3_PNSL_ISQ_E10value_typeET4_T5_PSV_SW_PNS1_23onesweep_lookback_stateEbbT6_jjT7_P12ihipStream_tbENKUlT_T0_SK_SP_E_clIPjSE_SF_SF_EEDaS13_S14_SK_SP_EUlS13_E_NS1_11comp_targetILNS1_3genE4ELNS1_11target_archE910ELNS1_3gpuE8ELNS1_3repE0EEENS1_47radix_sort_onesweep_sort_config_static_selectorELNS0_4arch9wavefront6targetE1EEEvSK_
    .private_segment_fixed_size: 0
    .sgpr_count:     35
    .sgpr_spill_count: 0
    .symbol:         _ZN7rocprim17ROCPRIM_400000_NS6detail17trampoline_kernelINS0_14default_configENS1_35radix_sort_onesweep_config_selectorIjNS0_10empty_typeEEEZZNS1_29radix_sort_onesweep_iterationIS3_Lb0EN6thrust23THRUST_200600_302600_NS6detail15normal_iteratorINS9_10device_ptrIjEEEESE_PS5_SF_jNS0_19identity_decomposerENS1_16block_id_wrapperIjLb0EEEEE10hipError_tT1_PNSt15iterator_traitsISK_E10value_typeET2_T3_PNSL_ISQ_E10value_typeET4_T5_PSV_SW_PNS1_23onesweep_lookback_stateEbbT6_jjT7_P12ihipStream_tbENKUlT_T0_SK_SP_E_clIPjSE_SF_SF_EEDaS13_S14_SK_SP_EUlS13_E_NS1_11comp_targetILNS1_3genE4ELNS1_11target_archE910ELNS1_3gpuE8ELNS1_3repE0EEENS1_47radix_sort_onesweep_sort_config_static_selectorELNS0_4arch9wavefront6targetE1EEEvSK_.kd
    .uniform_work_group_size: 1
    .uses_dynamic_stack: false
    .vgpr_count:     62
    .vgpr_spill_count: 0
    .wavefront_size: 64
  - .agpr_count:     0
    .args:
      - .offset:         0
        .size:           88
        .value_kind:     by_value
    .group_segment_fixed_size: 0
    .kernarg_segment_align: 8
    .kernarg_segment_size: 88
    .language:       OpenCL C
    .language_version:
      - 2
      - 0
    .max_flat_workgroup_size: 512
    .name:           _ZN7rocprim17ROCPRIM_400000_NS6detail17trampoline_kernelINS0_14default_configENS1_35radix_sort_onesweep_config_selectorIjNS0_10empty_typeEEEZZNS1_29radix_sort_onesweep_iterationIS3_Lb0EN6thrust23THRUST_200600_302600_NS6detail15normal_iteratorINS9_10device_ptrIjEEEESE_PS5_SF_jNS0_19identity_decomposerENS1_16block_id_wrapperIjLb0EEEEE10hipError_tT1_PNSt15iterator_traitsISK_E10value_typeET2_T3_PNSL_ISQ_E10value_typeET4_T5_PSV_SW_PNS1_23onesweep_lookback_stateEbbT6_jjT7_P12ihipStream_tbENKUlT_T0_SK_SP_E_clIPjSE_SF_SF_EEDaS13_S14_SK_SP_EUlS13_E_NS1_11comp_targetILNS1_3genE3ELNS1_11target_archE908ELNS1_3gpuE7ELNS1_3repE0EEENS1_47radix_sort_onesweep_sort_config_static_selectorELNS0_4arch9wavefront6targetE1EEEvSK_
    .private_segment_fixed_size: 0
    .sgpr_count:     4
    .sgpr_spill_count: 0
    .symbol:         _ZN7rocprim17ROCPRIM_400000_NS6detail17trampoline_kernelINS0_14default_configENS1_35radix_sort_onesweep_config_selectorIjNS0_10empty_typeEEEZZNS1_29radix_sort_onesweep_iterationIS3_Lb0EN6thrust23THRUST_200600_302600_NS6detail15normal_iteratorINS9_10device_ptrIjEEEESE_PS5_SF_jNS0_19identity_decomposerENS1_16block_id_wrapperIjLb0EEEEE10hipError_tT1_PNSt15iterator_traitsISK_E10value_typeET2_T3_PNSL_ISQ_E10value_typeET4_T5_PSV_SW_PNS1_23onesweep_lookback_stateEbbT6_jjT7_P12ihipStream_tbENKUlT_T0_SK_SP_E_clIPjSE_SF_SF_EEDaS13_S14_SK_SP_EUlS13_E_NS1_11comp_targetILNS1_3genE3ELNS1_11target_archE908ELNS1_3gpuE7ELNS1_3repE0EEENS1_47radix_sort_onesweep_sort_config_static_selectorELNS0_4arch9wavefront6targetE1EEEvSK_.kd
    .uniform_work_group_size: 1
    .uses_dynamic_stack: false
    .vgpr_count:     0
    .vgpr_spill_count: 0
    .wavefront_size: 64
  - .agpr_count:     0
    .args:
      - .offset:         0
        .size:           88
        .value_kind:     by_value
    .group_segment_fixed_size: 0
    .kernarg_segment_align: 8
    .kernarg_segment_size: 88
    .language:       OpenCL C
    .language_version:
      - 2
      - 0
    .max_flat_workgroup_size: 1024
    .name:           _ZN7rocprim17ROCPRIM_400000_NS6detail17trampoline_kernelINS0_14default_configENS1_35radix_sort_onesweep_config_selectorIjNS0_10empty_typeEEEZZNS1_29radix_sort_onesweep_iterationIS3_Lb0EN6thrust23THRUST_200600_302600_NS6detail15normal_iteratorINS9_10device_ptrIjEEEESE_PS5_SF_jNS0_19identity_decomposerENS1_16block_id_wrapperIjLb0EEEEE10hipError_tT1_PNSt15iterator_traitsISK_E10value_typeET2_T3_PNSL_ISQ_E10value_typeET4_T5_PSV_SW_PNS1_23onesweep_lookback_stateEbbT6_jjT7_P12ihipStream_tbENKUlT_T0_SK_SP_E_clIPjSE_SF_SF_EEDaS13_S14_SK_SP_EUlS13_E_NS1_11comp_targetILNS1_3genE10ELNS1_11target_archE1201ELNS1_3gpuE5ELNS1_3repE0EEENS1_47radix_sort_onesweep_sort_config_static_selectorELNS0_4arch9wavefront6targetE1EEEvSK_
    .private_segment_fixed_size: 0
    .sgpr_count:     4
    .sgpr_spill_count: 0
    .symbol:         _ZN7rocprim17ROCPRIM_400000_NS6detail17trampoline_kernelINS0_14default_configENS1_35radix_sort_onesweep_config_selectorIjNS0_10empty_typeEEEZZNS1_29radix_sort_onesweep_iterationIS3_Lb0EN6thrust23THRUST_200600_302600_NS6detail15normal_iteratorINS9_10device_ptrIjEEEESE_PS5_SF_jNS0_19identity_decomposerENS1_16block_id_wrapperIjLb0EEEEE10hipError_tT1_PNSt15iterator_traitsISK_E10value_typeET2_T3_PNSL_ISQ_E10value_typeET4_T5_PSV_SW_PNS1_23onesweep_lookback_stateEbbT6_jjT7_P12ihipStream_tbENKUlT_T0_SK_SP_E_clIPjSE_SF_SF_EEDaS13_S14_SK_SP_EUlS13_E_NS1_11comp_targetILNS1_3genE10ELNS1_11target_archE1201ELNS1_3gpuE5ELNS1_3repE0EEENS1_47radix_sort_onesweep_sort_config_static_selectorELNS0_4arch9wavefront6targetE1EEEvSK_.kd
    .uniform_work_group_size: 1
    .uses_dynamic_stack: false
    .vgpr_count:     0
    .vgpr_spill_count: 0
    .wavefront_size: 64
  - .agpr_count:     0
    .args:
      - .offset:         0
        .size:           88
        .value_kind:     by_value
    .group_segment_fixed_size: 0
    .kernarg_segment_align: 8
    .kernarg_segment_size: 88
    .language:       OpenCL C
    .language_version:
      - 2
      - 0
    .max_flat_workgroup_size: 1024
    .name:           _ZN7rocprim17ROCPRIM_400000_NS6detail17trampoline_kernelINS0_14default_configENS1_35radix_sort_onesweep_config_selectorIjNS0_10empty_typeEEEZZNS1_29radix_sort_onesweep_iterationIS3_Lb0EN6thrust23THRUST_200600_302600_NS6detail15normal_iteratorINS9_10device_ptrIjEEEESE_PS5_SF_jNS0_19identity_decomposerENS1_16block_id_wrapperIjLb0EEEEE10hipError_tT1_PNSt15iterator_traitsISK_E10value_typeET2_T3_PNSL_ISQ_E10value_typeET4_T5_PSV_SW_PNS1_23onesweep_lookback_stateEbbT6_jjT7_P12ihipStream_tbENKUlT_T0_SK_SP_E_clIPjSE_SF_SF_EEDaS13_S14_SK_SP_EUlS13_E_NS1_11comp_targetILNS1_3genE9ELNS1_11target_archE1100ELNS1_3gpuE3ELNS1_3repE0EEENS1_47radix_sort_onesweep_sort_config_static_selectorELNS0_4arch9wavefront6targetE1EEEvSK_
    .private_segment_fixed_size: 0
    .sgpr_count:     4
    .sgpr_spill_count: 0
    .symbol:         _ZN7rocprim17ROCPRIM_400000_NS6detail17trampoline_kernelINS0_14default_configENS1_35radix_sort_onesweep_config_selectorIjNS0_10empty_typeEEEZZNS1_29radix_sort_onesweep_iterationIS3_Lb0EN6thrust23THRUST_200600_302600_NS6detail15normal_iteratorINS9_10device_ptrIjEEEESE_PS5_SF_jNS0_19identity_decomposerENS1_16block_id_wrapperIjLb0EEEEE10hipError_tT1_PNSt15iterator_traitsISK_E10value_typeET2_T3_PNSL_ISQ_E10value_typeET4_T5_PSV_SW_PNS1_23onesweep_lookback_stateEbbT6_jjT7_P12ihipStream_tbENKUlT_T0_SK_SP_E_clIPjSE_SF_SF_EEDaS13_S14_SK_SP_EUlS13_E_NS1_11comp_targetILNS1_3genE9ELNS1_11target_archE1100ELNS1_3gpuE3ELNS1_3repE0EEENS1_47radix_sort_onesweep_sort_config_static_selectorELNS0_4arch9wavefront6targetE1EEEvSK_.kd
    .uniform_work_group_size: 1
    .uses_dynamic_stack: false
    .vgpr_count:     0
    .vgpr_spill_count: 0
    .wavefront_size: 64
  - .agpr_count:     0
    .args:
      - .offset:         0
        .size:           88
        .value_kind:     by_value
    .group_segment_fixed_size: 0
    .kernarg_segment_align: 8
    .kernarg_segment_size: 88
    .language:       OpenCL C
    .language_version:
      - 2
      - 0
    .max_flat_workgroup_size: 1024
    .name:           _ZN7rocprim17ROCPRIM_400000_NS6detail17trampoline_kernelINS0_14default_configENS1_35radix_sort_onesweep_config_selectorIjNS0_10empty_typeEEEZZNS1_29radix_sort_onesweep_iterationIS3_Lb0EN6thrust23THRUST_200600_302600_NS6detail15normal_iteratorINS9_10device_ptrIjEEEESE_PS5_SF_jNS0_19identity_decomposerENS1_16block_id_wrapperIjLb0EEEEE10hipError_tT1_PNSt15iterator_traitsISK_E10value_typeET2_T3_PNSL_ISQ_E10value_typeET4_T5_PSV_SW_PNS1_23onesweep_lookback_stateEbbT6_jjT7_P12ihipStream_tbENKUlT_T0_SK_SP_E_clIPjSE_SF_SF_EEDaS13_S14_SK_SP_EUlS13_E_NS1_11comp_targetILNS1_3genE8ELNS1_11target_archE1030ELNS1_3gpuE2ELNS1_3repE0EEENS1_47radix_sort_onesweep_sort_config_static_selectorELNS0_4arch9wavefront6targetE1EEEvSK_
    .private_segment_fixed_size: 0
    .sgpr_count:     4
    .sgpr_spill_count: 0
    .symbol:         _ZN7rocprim17ROCPRIM_400000_NS6detail17trampoline_kernelINS0_14default_configENS1_35radix_sort_onesweep_config_selectorIjNS0_10empty_typeEEEZZNS1_29radix_sort_onesweep_iterationIS3_Lb0EN6thrust23THRUST_200600_302600_NS6detail15normal_iteratorINS9_10device_ptrIjEEEESE_PS5_SF_jNS0_19identity_decomposerENS1_16block_id_wrapperIjLb0EEEEE10hipError_tT1_PNSt15iterator_traitsISK_E10value_typeET2_T3_PNSL_ISQ_E10value_typeET4_T5_PSV_SW_PNS1_23onesweep_lookback_stateEbbT6_jjT7_P12ihipStream_tbENKUlT_T0_SK_SP_E_clIPjSE_SF_SF_EEDaS13_S14_SK_SP_EUlS13_E_NS1_11comp_targetILNS1_3genE8ELNS1_11target_archE1030ELNS1_3gpuE2ELNS1_3repE0EEENS1_47radix_sort_onesweep_sort_config_static_selectorELNS0_4arch9wavefront6targetE1EEEvSK_.kd
    .uniform_work_group_size: 1
    .uses_dynamic_stack: false
    .vgpr_count:     0
    .vgpr_spill_count: 0
    .wavefront_size: 64
  - .agpr_count:     0
    .args:
      - .offset:         0
        .size:           16
        .value_kind:     by_value
      - .offset:         16
        .size:           8
        .value_kind:     by_value
      - .offset:         24
        .size:           8
        .value_kind:     by_value
    .group_segment_fixed_size: 0
    .kernarg_segment_align: 8
    .kernarg_segment_size: 32
    .language:       OpenCL C
    .language_version:
      - 2
      - 0
    .max_flat_workgroup_size: 256
    .name:           _ZN6thrust23THRUST_200600_302600_NS11hip_rocprim14__parallel_for6kernelILj256ENS1_20__uninitialized_copy7functorINS0_6detail15normal_iteratorINS0_10device_ptrItEEEENS7_INS0_7pointerItNS1_3tagENS0_11use_defaultESD_EEEEEElLj1EEEvT0_T1_SI_
    .private_segment_fixed_size: 0
    .sgpr_count:     20
    .sgpr_spill_count: 0
    .symbol:         _ZN6thrust23THRUST_200600_302600_NS11hip_rocprim14__parallel_for6kernelILj256ENS1_20__uninitialized_copy7functorINS0_6detail15normal_iteratorINS0_10device_ptrItEEEENS7_INS0_7pointerItNS1_3tagENS0_11use_defaultESD_EEEEEElLj1EEEvT0_T1_SI_.kd
    .uniform_work_group_size: 1
    .uses_dynamic_stack: false
    .vgpr_count:     6
    .vgpr_spill_count: 0
    .wavefront_size: 64
  - .agpr_count:     0
    .args:
      - .offset:         0
        .size:           120
        .value_kind:     by_value
    .group_segment_fixed_size: 0
    .kernarg_segment_align: 8
    .kernarg_segment_size: 120
    .language:       OpenCL C
    .language_version:
      - 2
      - 0
    .max_flat_workgroup_size: 256
    .name:           _ZN7rocprim17ROCPRIM_400000_NS6detail17trampoline_kernelINS0_14default_configENS1_25partition_config_selectorILNS1_17partition_subalgoE3EtNS0_10empty_typeEbEEZZNS1_14partition_implILS5_3ELb0ES3_jN6thrust23THRUST_200600_302600_NS6detail15normal_iteratorINSA_7pointerItNSA_11hip_rocprim3tagENSA_11use_defaultESG_EEEEPS6_SJ_NS0_5tupleIJPtSJ_EEENSK_IJSJ_SJ_EEES6_PlJ7is_evenItEEEE10hipError_tPvRmT3_T4_T5_T6_T7_T9_mT8_P12ihipStream_tbDpT10_ENKUlT_T0_E_clISt17integral_constantIbLb0EES1A_EEDaS15_S16_EUlS15_E_NS1_11comp_targetILNS1_3genE0ELNS1_11target_archE4294967295ELNS1_3gpuE0ELNS1_3repE0EEENS1_30default_config_static_selectorELNS0_4arch9wavefront6targetE1EEEvT1_
    .private_segment_fixed_size: 0
    .sgpr_count:     4
    .sgpr_spill_count: 0
    .symbol:         _ZN7rocprim17ROCPRIM_400000_NS6detail17trampoline_kernelINS0_14default_configENS1_25partition_config_selectorILNS1_17partition_subalgoE3EtNS0_10empty_typeEbEEZZNS1_14partition_implILS5_3ELb0ES3_jN6thrust23THRUST_200600_302600_NS6detail15normal_iteratorINSA_7pointerItNSA_11hip_rocprim3tagENSA_11use_defaultESG_EEEEPS6_SJ_NS0_5tupleIJPtSJ_EEENSK_IJSJ_SJ_EEES6_PlJ7is_evenItEEEE10hipError_tPvRmT3_T4_T5_T6_T7_T9_mT8_P12ihipStream_tbDpT10_ENKUlT_T0_E_clISt17integral_constantIbLb0EES1A_EEDaS15_S16_EUlS15_E_NS1_11comp_targetILNS1_3genE0ELNS1_11target_archE4294967295ELNS1_3gpuE0ELNS1_3repE0EEENS1_30default_config_static_selectorELNS0_4arch9wavefront6targetE1EEEvT1_.kd
    .uniform_work_group_size: 1
    .uses_dynamic_stack: false
    .vgpr_count:     0
    .vgpr_spill_count: 0
    .wavefront_size: 64
  - .agpr_count:     0
    .args:
      - .offset:         0
        .size:           120
        .value_kind:     by_value
    .group_segment_fixed_size: 0
    .kernarg_segment_align: 8
    .kernarg_segment_size: 120
    .language:       OpenCL C
    .language_version:
      - 2
      - 0
    .max_flat_workgroup_size: 512
    .name:           _ZN7rocprim17ROCPRIM_400000_NS6detail17trampoline_kernelINS0_14default_configENS1_25partition_config_selectorILNS1_17partition_subalgoE3EtNS0_10empty_typeEbEEZZNS1_14partition_implILS5_3ELb0ES3_jN6thrust23THRUST_200600_302600_NS6detail15normal_iteratorINSA_7pointerItNSA_11hip_rocprim3tagENSA_11use_defaultESG_EEEEPS6_SJ_NS0_5tupleIJPtSJ_EEENSK_IJSJ_SJ_EEES6_PlJ7is_evenItEEEE10hipError_tPvRmT3_T4_T5_T6_T7_T9_mT8_P12ihipStream_tbDpT10_ENKUlT_T0_E_clISt17integral_constantIbLb0EES1A_EEDaS15_S16_EUlS15_E_NS1_11comp_targetILNS1_3genE5ELNS1_11target_archE942ELNS1_3gpuE9ELNS1_3repE0EEENS1_30default_config_static_selectorELNS0_4arch9wavefront6targetE1EEEvT1_
    .private_segment_fixed_size: 0
    .sgpr_count:     4
    .sgpr_spill_count: 0
    .symbol:         _ZN7rocprim17ROCPRIM_400000_NS6detail17trampoline_kernelINS0_14default_configENS1_25partition_config_selectorILNS1_17partition_subalgoE3EtNS0_10empty_typeEbEEZZNS1_14partition_implILS5_3ELb0ES3_jN6thrust23THRUST_200600_302600_NS6detail15normal_iteratorINSA_7pointerItNSA_11hip_rocprim3tagENSA_11use_defaultESG_EEEEPS6_SJ_NS0_5tupleIJPtSJ_EEENSK_IJSJ_SJ_EEES6_PlJ7is_evenItEEEE10hipError_tPvRmT3_T4_T5_T6_T7_T9_mT8_P12ihipStream_tbDpT10_ENKUlT_T0_E_clISt17integral_constantIbLb0EES1A_EEDaS15_S16_EUlS15_E_NS1_11comp_targetILNS1_3genE5ELNS1_11target_archE942ELNS1_3gpuE9ELNS1_3repE0EEENS1_30default_config_static_selectorELNS0_4arch9wavefront6targetE1EEEvT1_.kd
    .uniform_work_group_size: 1
    .uses_dynamic_stack: false
    .vgpr_count:     0
    .vgpr_spill_count: 0
    .wavefront_size: 64
  - .agpr_count:     0
    .args:
      - .offset:         0
        .size:           120
        .value_kind:     by_value
    .group_segment_fixed_size: 10248
    .kernarg_segment_align: 8
    .kernarg_segment_size: 120
    .language:       OpenCL C
    .language_version:
      - 2
      - 0
    .max_flat_workgroup_size: 256
    .name:           _ZN7rocprim17ROCPRIM_400000_NS6detail17trampoline_kernelINS0_14default_configENS1_25partition_config_selectorILNS1_17partition_subalgoE3EtNS0_10empty_typeEbEEZZNS1_14partition_implILS5_3ELb0ES3_jN6thrust23THRUST_200600_302600_NS6detail15normal_iteratorINSA_7pointerItNSA_11hip_rocprim3tagENSA_11use_defaultESG_EEEEPS6_SJ_NS0_5tupleIJPtSJ_EEENSK_IJSJ_SJ_EEES6_PlJ7is_evenItEEEE10hipError_tPvRmT3_T4_T5_T6_T7_T9_mT8_P12ihipStream_tbDpT10_ENKUlT_T0_E_clISt17integral_constantIbLb0EES1A_EEDaS15_S16_EUlS15_E_NS1_11comp_targetILNS1_3genE4ELNS1_11target_archE910ELNS1_3gpuE8ELNS1_3repE0EEENS1_30default_config_static_selectorELNS0_4arch9wavefront6targetE1EEEvT1_
    .private_segment_fixed_size: 0
    .sgpr_count:     50
    .sgpr_spill_count: 0
    .symbol:         _ZN7rocprim17ROCPRIM_400000_NS6detail17trampoline_kernelINS0_14default_configENS1_25partition_config_selectorILNS1_17partition_subalgoE3EtNS0_10empty_typeEbEEZZNS1_14partition_implILS5_3ELb0ES3_jN6thrust23THRUST_200600_302600_NS6detail15normal_iteratorINSA_7pointerItNSA_11hip_rocprim3tagENSA_11use_defaultESG_EEEEPS6_SJ_NS0_5tupleIJPtSJ_EEENSK_IJSJ_SJ_EEES6_PlJ7is_evenItEEEE10hipError_tPvRmT3_T4_T5_T6_T7_T9_mT8_P12ihipStream_tbDpT10_ENKUlT_T0_E_clISt17integral_constantIbLb0EES1A_EEDaS15_S16_EUlS15_E_NS1_11comp_targetILNS1_3genE4ELNS1_11target_archE910ELNS1_3gpuE8ELNS1_3repE0EEENS1_30default_config_static_selectorELNS0_4arch9wavefront6targetE1EEEvT1_.kd
    .uniform_work_group_size: 1
    .uses_dynamic_stack: false
    .vgpr_count:     90
    .vgpr_spill_count: 0
    .wavefront_size: 64
  - .agpr_count:     0
    .args:
      - .offset:         0
        .size:           120
        .value_kind:     by_value
    .group_segment_fixed_size: 0
    .kernarg_segment_align: 8
    .kernarg_segment_size: 120
    .language:       OpenCL C
    .language_version:
      - 2
      - 0
    .max_flat_workgroup_size: 256
    .name:           _ZN7rocprim17ROCPRIM_400000_NS6detail17trampoline_kernelINS0_14default_configENS1_25partition_config_selectorILNS1_17partition_subalgoE3EtNS0_10empty_typeEbEEZZNS1_14partition_implILS5_3ELb0ES3_jN6thrust23THRUST_200600_302600_NS6detail15normal_iteratorINSA_7pointerItNSA_11hip_rocprim3tagENSA_11use_defaultESG_EEEEPS6_SJ_NS0_5tupleIJPtSJ_EEENSK_IJSJ_SJ_EEES6_PlJ7is_evenItEEEE10hipError_tPvRmT3_T4_T5_T6_T7_T9_mT8_P12ihipStream_tbDpT10_ENKUlT_T0_E_clISt17integral_constantIbLb0EES1A_EEDaS15_S16_EUlS15_E_NS1_11comp_targetILNS1_3genE3ELNS1_11target_archE908ELNS1_3gpuE7ELNS1_3repE0EEENS1_30default_config_static_selectorELNS0_4arch9wavefront6targetE1EEEvT1_
    .private_segment_fixed_size: 0
    .sgpr_count:     4
    .sgpr_spill_count: 0
    .symbol:         _ZN7rocprim17ROCPRIM_400000_NS6detail17trampoline_kernelINS0_14default_configENS1_25partition_config_selectorILNS1_17partition_subalgoE3EtNS0_10empty_typeEbEEZZNS1_14partition_implILS5_3ELb0ES3_jN6thrust23THRUST_200600_302600_NS6detail15normal_iteratorINSA_7pointerItNSA_11hip_rocprim3tagENSA_11use_defaultESG_EEEEPS6_SJ_NS0_5tupleIJPtSJ_EEENSK_IJSJ_SJ_EEES6_PlJ7is_evenItEEEE10hipError_tPvRmT3_T4_T5_T6_T7_T9_mT8_P12ihipStream_tbDpT10_ENKUlT_T0_E_clISt17integral_constantIbLb0EES1A_EEDaS15_S16_EUlS15_E_NS1_11comp_targetILNS1_3genE3ELNS1_11target_archE908ELNS1_3gpuE7ELNS1_3repE0EEENS1_30default_config_static_selectorELNS0_4arch9wavefront6targetE1EEEvT1_.kd
    .uniform_work_group_size: 1
    .uses_dynamic_stack: false
    .vgpr_count:     0
    .vgpr_spill_count: 0
    .wavefront_size: 64
  - .agpr_count:     0
    .args:
      - .offset:         0
        .size:           120
        .value_kind:     by_value
    .group_segment_fixed_size: 0
    .kernarg_segment_align: 8
    .kernarg_segment_size: 120
    .language:       OpenCL C
    .language_version:
      - 2
      - 0
    .max_flat_workgroup_size: 256
    .name:           _ZN7rocprim17ROCPRIM_400000_NS6detail17trampoline_kernelINS0_14default_configENS1_25partition_config_selectorILNS1_17partition_subalgoE3EtNS0_10empty_typeEbEEZZNS1_14partition_implILS5_3ELb0ES3_jN6thrust23THRUST_200600_302600_NS6detail15normal_iteratorINSA_7pointerItNSA_11hip_rocprim3tagENSA_11use_defaultESG_EEEEPS6_SJ_NS0_5tupleIJPtSJ_EEENSK_IJSJ_SJ_EEES6_PlJ7is_evenItEEEE10hipError_tPvRmT3_T4_T5_T6_T7_T9_mT8_P12ihipStream_tbDpT10_ENKUlT_T0_E_clISt17integral_constantIbLb0EES1A_EEDaS15_S16_EUlS15_E_NS1_11comp_targetILNS1_3genE2ELNS1_11target_archE906ELNS1_3gpuE6ELNS1_3repE0EEENS1_30default_config_static_selectorELNS0_4arch9wavefront6targetE1EEEvT1_
    .private_segment_fixed_size: 0
    .sgpr_count:     4
    .sgpr_spill_count: 0
    .symbol:         _ZN7rocprim17ROCPRIM_400000_NS6detail17trampoline_kernelINS0_14default_configENS1_25partition_config_selectorILNS1_17partition_subalgoE3EtNS0_10empty_typeEbEEZZNS1_14partition_implILS5_3ELb0ES3_jN6thrust23THRUST_200600_302600_NS6detail15normal_iteratorINSA_7pointerItNSA_11hip_rocprim3tagENSA_11use_defaultESG_EEEEPS6_SJ_NS0_5tupleIJPtSJ_EEENSK_IJSJ_SJ_EEES6_PlJ7is_evenItEEEE10hipError_tPvRmT3_T4_T5_T6_T7_T9_mT8_P12ihipStream_tbDpT10_ENKUlT_T0_E_clISt17integral_constantIbLb0EES1A_EEDaS15_S16_EUlS15_E_NS1_11comp_targetILNS1_3genE2ELNS1_11target_archE906ELNS1_3gpuE6ELNS1_3repE0EEENS1_30default_config_static_selectorELNS0_4arch9wavefront6targetE1EEEvT1_.kd
    .uniform_work_group_size: 1
    .uses_dynamic_stack: false
    .vgpr_count:     0
    .vgpr_spill_count: 0
    .wavefront_size: 64
  - .agpr_count:     0
    .args:
      - .offset:         0
        .size:           120
        .value_kind:     by_value
    .group_segment_fixed_size: 0
    .kernarg_segment_align: 8
    .kernarg_segment_size: 120
    .language:       OpenCL C
    .language_version:
      - 2
      - 0
    .max_flat_workgroup_size: 512
    .name:           _ZN7rocprim17ROCPRIM_400000_NS6detail17trampoline_kernelINS0_14default_configENS1_25partition_config_selectorILNS1_17partition_subalgoE3EtNS0_10empty_typeEbEEZZNS1_14partition_implILS5_3ELb0ES3_jN6thrust23THRUST_200600_302600_NS6detail15normal_iteratorINSA_7pointerItNSA_11hip_rocprim3tagENSA_11use_defaultESG_EEEEPS6_SJ_NS0_5tupleIJPtSJ_EEENSK_IJSJ_SJ_EEES6_PlJ7is_evenItEEEE10hipError_tPvRmT3_T4_T5_T6_T7_T9_mT8_P12ihipStream_tbDpT10_ENKUlT_T0_E_clISt17integral_constantIbLb0EES1A_EEDaS15_S16_EUlS15_E_NS1_11comp_targetILNS1_3genE10ELNS1_11target_archE1200ELNS1_3gpuE4ELNS1_3repE0EEENS1_30default_config_static_selectorELNS0_4arch9wavefront6targetE1EEEvT1_
    .private_segment_fixed_size: 0
    .sgpr_count:     4
    .sgpr_spill_count: 0
    .symbol:         _ZN7rocprim17ROCPRIM_400000_NS6detail17trampoline_kernelINS0_14default_configENS1_25partition_config_selectorILNS1_17partition_subalgoE3EtNS0_10empty_typeEbEEZZNS1_14partition_implILS5_3ELb0ES3_jN6thrust23THRUST_200600_302600_NS6detail15normal_iteratorINSA_7pointerItNSA_11hip_rocprim3tagENSA_11use_defaultESG_EEEEPS6_SJ_NS0_5tupleIJPtSJ_EEENSK_IJSJ_SJ_EEES6_PlJ7is_evenItEEEE10hipError_tPvRmT3_T4_T5_T6_T7_T9_mT8_P12ihipStream_tbDpT10_ENKUlT_T0_E_clISt17integral_constantIbLb0EES1A_EEDaS15_S16_EUlS15_E_NS1_11comp_targetILNS1_3genE10ELNS1_11target_archE1200ELNS1_3gpuE4ELNS1_3repE0EEENS1_30default_config_static_selectorELNS0_4arch9wavefront6targetE1EEEvT1_.kd
    .uniform_work_group_size: 1
    .uses_dynamic_stack: false
    .vgpr_count:     0
    .vgpr_spill_count: 0
    .wavefront_size: 64
  - .agpr_count:     0
    .args:
      - .offset:         0
        .size:           120
        .value_kind:     by_value
    .group_segment_fixed_size: 0
    .kernarg_segment_align: 8
    .kernarg_segment_size: 120
    .language:       OpenCL C
    .language_version:
      - 2
      - 0
    .max_flat_workgroup_size: 128
    .name:           _ZN7rocprim17ROCPRIM_400000_NS6detail17trampoline_kernelINS0_14default_configENS1_25partition_config_selectorILNS1_17partition_subalgoE3EtNS0_10empty_typeEbEEZZNS1_14partition_implILS5_3ELb0ES3_jN6thrust23THRUST_200600_302600_NS6detail15normal_iteratorINSA_7pointerItNSA_11hip_rocprim3tagENSA_11use_defaultESG_EEEEPS6_SJ_NS0_5tupleIJPtSJ_EEENSK_IJSJ_SJ_EEES6_PlJ7is_evenItEEEE10hipError_tPvRmT3_T4_T5_T6_T7_T9_mT8_P12ihipStream_tbDpT10_ENKUlT_T0_E_clISt17integral_constantIbLb0EES1A_EEDaS15_S16_EUlS15_E_NS1_11comp_targetILNS1_3genE9ELNS1_11target_archE1100ELNS1_3gpuE3ELNS1_3repE0EEENS1_30default_config_static_selectorELNS0_4arch9wavefront6targetE1EEEvT1_
    .private_segment_fixed_size: 0
    .sgpr_count:     4
    .sgpr_spill_count: 0
    .symbol:         _ZN7rocprim17ROCPRIM_400000_NS6detail17trampoline_kernelINS0_14default_configENS1_25partition_config_selectorILNS1_17partition_subalgoE3EtNS0_10empty_typeEbEEZZNS1_14partition_implILS5_3ELb0ES3_jN6thrust23THRUST_200600_302600_NS6detail15normal_iteratorINSA_7pointerItNSA_11hip_rocprim3tagENSA_11use_defaultESG_EEEEPS6_SJ_NS0_5tupleIJPtSJ_EEENSK_IJSJ_SJ_EEES6_PlJ7is_evenItEEEE10hipError_tPvRmT3_T4_T5_T6_T7_T9_mT8_P12ihipStream_tbDpT10_ENKUlT_T0_E_clISt17integral_constantIbLb0EES1A_EEDaS15_S16_EUlS15_E_NS1_11comp_targetILNS1_3genE9ELNS1_11target_archE1100ELNS1_3gpuE3ELNS1_3repE0EEENS1_30default_config_static_selectorELNS0_4arch9wavefront6targetE1EEEvT1_.kd
    .uniform_work_group_size: 1
    .uses_dynamic_stack: false
    .vgpr_count:     0
    .vgpr_spill_count: 0
    .wavefront_size: 64
  - .agpr_count:     0
    .args:
      - .offset:         0
        .size:           120
        .value_kind:     by_value
    .group_segment_fixed_size: 0
    .kernarg_segment_align: 8
    .kernarg_segment_size: 120
    .language:       OpenCL C
    .language_version:
      - 2
      - 0
    .max_flat_workgroup_size: 256
    .name:           _ZN7rocprim17ROCPRIM_400000_NS6detail17trampoline_kernelINS0_14default_configENS1_25partition_config_selectorILNS1_17partition_subalgoE3EtNS0_10empty_typeEbEEZZNS1_14partition_implILS5_3ELb0ES3_jN6thrust23THRUST_200600_302600_NS6detail15normal_iteratorINSA_7pointerItNSA_11hip_rocprim3tagENSA_11use_defaultESG_EEEEPS6_SJ_NS0_5tupleIJPtSJ_EEENSK_IJSJ_SJ_EEES6_PlJ7is_evenItEEEE10hipError_tPvRmT3_T4_T5_T6_T7_T9_mT8_P12ihipStream_tbDpT10_ENKUlT_T0_E_clISt17integral_constantIbLb0EES1A_EEDaS15_S16_EUlS15_E_NS1_11comp_targetILNS1_3genE8ELNS1_11target_archE1030ELNS1_3gpuE2ELNS1_3repE0EEENS1_30default_config_static_selectorELNS0_4arch9wavefront6targetE1EEEvT1_
    .private_segment_fixed_size: 0
    .sgpr_count:     4
    .sgpr_spill_count: 0
    .symbol:         _ZN7rocprim17ROCPRIM_400000_NS6detail17trampoline_kernelINS0_14default_configENS1_25partition_config_selectorILNS1_17partition_subalgoE3EtNS0_10empty_typeEbEEZZNS1_14partition_implILS5_3ELb0ES3_jN6thrust23THRUST_200600_302600_NS6detail15normal_iteratorINSA_7pointerItNSA_11hip_rocprim3tagENSA_11use_defaultESG_EEEEPS6_SJ_NS0_5tupleIJPtSJ_EEENSK_IJSJ_SJ_EEES6_PlJ7is_evenItEEEE10hipError_tPvRmT3_T4_T5_T6_T7_T9_mT8_P12ihipStream_tbDpT10_ENKUlT_T0_E_clISt17integral_constantIbLb0EES1A_EEDaS15_S16_EUlS15_E_NS1_11comp_targetILNS1_3genE8ELNS1_11target_archE1030ELNS1_3gpuE2ELNS1_3repE0EEENS1_30default_config_static_selectorELNS0_4arch9wavefront6targetE1EEEvT1_.kd
    .uniform_work_group_size: 1
    .uses_dynamic_stack: false
    .vgpr_count:     0
    .vgpr_spill_count: 0
    .wavefront_size: 64
  - .agpr_count:     0
    .args:
      - .offset:         0
        .size:           136
        .value_kind:     by_value
    .group_segment_fixed_size: 0
    .kernarg_segment_align: 8
    .kernarg_segment_size: 136
    .language:       OpenCL C
    .language_version:
      - 2
      - 0
    .max_flat_workgroup_size: 256
    .name:           _ZN7rocprim17ROCPRIM_400000_NS6detail17trampoline_kernelINS0_14default_configENS1_25partition_config_selectorILNS1_17partition_subalgoE3EtNS0_10empty_typeEbEEZZNS1_14partition_implILS5_3ELb0ES3_jN6thrust23THRUST_200600_302600_NS6detail15normal_iteratorINSA_7pointerItNSA_11hip_rocprim3tagENSA_11use_defaultESG_EEEEPS6_SJ_NS0_5tupleIJPtSJ_EEENSK_IJSJ_SJ_EEES6_PlJ7is_evenItEEEE10hipError_tPvRmT3_T4_T5_T6_T7_T9_mT8_P12ihipStream_tbDpT10_ENKUlT_T0_E_clISt17integral_constantIbLb1EES1A_EEDaS15_S16_EUlS15_E_NS1_11comp_targetILNS1_3genE0ELNS1_11target_archE4294967295ELNS1_3gpuE0ELNS1_3repE0EEENS1_30default_config_static_selectorELNS0_4arch9wavefront6targetE1EEEvT1_
    .private_segment_fixed_size: 0
    .sgpr_count:     4
    .sgpr_spill_count: 0
    .symbol:         _ZN7rocprim17ROCPRIM_400000_NS6detail17trampoline_kernelINS0_14default_configENS1_25partition_config_selectorILNS1_17partition_subalgoE3EtNS0_10empty_typeEbEEZZNS1_14partition_implILS5_3ELb0ES3_jN6thrust23THRUST_200600_302600_NS6detail15normal_iteratorINSA_7pointerItNSA_11hip_rocprim3tagENSA_11use_defaultESG_EEEEPS6_SJ_NS0_5tupleIJPtSJ_EEENSK_IJSJ_SJ_EEES6_PlJ7is_evenItEEEE10hipError_tPvRmT3_T4_T5_T6_T7_T9_mT8_P12ihipStream_tbDpT10_ENKUlT_T0_E_clISt17integral_constantIbLb1EES1A_EEDaS15_S16_EUlS15_E_NS1_11comp_targetILNS1_3genE0ELNS1_11target_archE4294967295ELNS1_3gpuE0ELNS1_3repE0EEENS1_30default_config_static_selectorELNS0_4arch9wavefront6targetE1EEEvT1_.kd
    .uniform_work_group_size: 1
    .uses_dynamic_stack: false
    .vgpr_count:     0
    .vgpr_spill_count: 0
    .wavefront_size: 64
  - .agpr_count:     0
    .args:
      - .offset:         0
        .size:           136
        .value_kind:     by_value
    .group_segment_fixed_size: 0
    .kernarg_segment_align: 8
    .kernarg_segment_size: 136
    .language:       OpenCL C
    .language_version:
      - 2
      - 0
    .max_flat_workgroup_size: 512
    .name:           _ZN7rocprim17ROCPRIM_400000_NS6detail17trampoline_kernelINS0_14default_configENS1_25partition_config_selectorILNS1_17partition_subalgoE3EtNS0_10empty_typeEbEEZZNS1_14partition_implILS5_3ELb0ES3_jN6thrust23THRUST_200600_302600_NS6detail15normal_iteratorINSA_7pointerItNSA_11hip_rocprim3tagENSA_11use_defaultESG_EEEEPS6_SJ_NS0_5tupleIJPtSJ_EEENSK_IJSJ_SJ_EEES6_PlJ7is_evenItEEEE10hipError_tPvRmT3_T4_T5_T6_T7_T9_mT8_P12ihipStream_tbDpT10_ENKUlT_T0_E_clISt17integral_constantIbLb1EES1A_EEDaS15_S16_EUlS15_E_NS1_11comp_targetILNS1_3genE5ELNS1_11target_archE942ELNS1_3gpuE9ELNS1_3repE0EEENS1_30default_config_static_selectorELNS0_4arch9wavefront6targetE1EEEvT1_
    .private_segment_fixed_size: 0
    .sgpr_count:     4
    .sgpr_spill_count: 0
    .symbol:         _ZN7rocprim17ROCPRIM_400000_NS6detail17trampoline_kernelINS0_14default_configENS1_25partition_config_selectorILNS1_17partition_subalgoE3EtNS0_10empty_typeEbEEZZNS1_14partition_implILS5_3ELb0ES3_jN6thrust23THRUST_200600_302600_NS6detail15normal_iteratorINSA_7pointerItNSA_11hip_rocprim3tagENSA_11use_defaultESG_EEEEPS6_SJ_NS0_5tupleIJPtSJ_EEENSK_IJSJ_SJ_EEES6_PlJ7is_evenItEEEE10hipError_tPvRmT3_T4_T5_T6_T7_T9_mT8_P12ihipStream_tbDpT10_ENKUlT_T0_E_clISt17integral_constantIbLb1EES1A_EEDaS15_S16_EUlS15_E_NS1_11comp_targetILNS1_3genE5ELNS1_11target_archE942ELNS1_3gpuE9ELNS1_3repE0EEENS1_30default_config_static_selectorELNS0_4arch9wavefront6targetE1EEEvT1_.kd
    .uniform_work_group_size: 1
    .uses_dynamic_stack: false
    .vgpr_count:     0
    .vgpr_spill_count: 0
    .wavefront_size: 64
  - .agpr_count:     0
    .args:
      - .offset:         0
        .size:           136
        .value_kind:     by_value
    .group_segment_fixed_size: 10248
    .kernarg_segment_align: 8
    .kernarg_segment_size: 136
    .language:       OpenCL C
    .language_version:
      - 2
      - 0
    .max_flat_workgroup_size: 256
    .name:           _ZN7rocprim17ROCPRIM_400000_NS6detail17trampoline_kernelINS0_14default_configENS1_25partition_config_selectorILNS1_17partition_subalgoE3EtNS0_10empty_typeEbEEZZNS1_14partition_implILS5_3ELb0ES3_jN6thrust23THRUST_200600_302600_NS6detail15normal_iteratorINSA_7pointerItNSA_11hip_rocprim3tagENSA_11use_defaultESG_EEEEPS6_SJ_NS0_5tupleIJPtSJ_EEENSK_IJSJ_SJ_EEES6_PlJ7is_evenItEEEE10hipError_tPvRmT3_T4_T5_T6_T7_T9_mT8_P12ihipStream_tbDpT10_ENKUlT_T0_E_clISt17integral_constantIbLb1EES1A_EEDaS15_S16_EUlS15_E_NS1_11comp_targetILNS1_3genE4ELNS1_11target_archE910ELNS1_3gpuE8ELNS1_3repE0EEENS1_30default_config_static_selectorELNS0_4arch9wavefront6targetE1EEEvT1_
    .private_segment_fixed_size: 0
    .sgpr_count:     48
    .sgpr_spill_count: 0
    .symbol:         _ZN7rocprim17ROCPRIM_400000_NS6detail17trampoline_kernelINS0_14default_configENS1_25partition_config_selectorILNS1_17partition_subalgoE3EtNS0_10empty_typeEbEEZZNS1_14partition_implILS5_3ELb0ES3_jN6thrust23THRUST_200600_302600_NS6detail15normal_iteratorINSA_7pointerItNSA_11hip_rocprim3tagENSA_11use_defaultESG_EEEEPS6_SJ_NS0_5tupleIJPtSJ_EEENSK_IJSJ_SJ_EEES6_PlJ7is_evenItEEEE10hipError_tPvRmT3_T4_T5_T6_T7_T9_mT8_P12ihipStream_tbDpT10_ENKUlT_T0_E_clISt17integral_constantIbLb1EES1A_EEDaS15_S16_EUlS15_E_NS1_11comp_targetILNS1_3genE4ELNS1_11target_archE910ELNS1_3gpuE8ELNS1_3repE0EEENS1_30default_config_static_selectorELNS0_4arch9wavefront6targetE1EEEvT1_.kd
    .uniform_work_group_size: 1
    .uses_dynamic_stack: false
    .vgpr_count:     93
    .vgpr_spill_count: 0
    .wavefront_size: 64
  - .agpr_count:     0
    .args:
      - .offset:         0
        .size:           136
        .value_kind:     by_value
    .group_segment_fixed_size: 0
    .kernarg_segment_align: 8
    .kernarg_segment_size: 136
    .language:       OpenCL C
    .language_version:
      - 2
      - 0
    .max_flat_workgroup_size: 256
    .name:           _ZN7rocprim17ROCPRIM_400000_NS6detail17trampoline_kernelINS0_14default_configENS1_25partition_config_selectorILNS1_17partition_subalgoE3EtNS0_10empty_typeEbEEZZNS1_14partition_implILS5_3ELb0ES3_jN6thrust23THRUST_200600_302600_NS6detail15normal_iteratorINSA_7pointerItNSA_11hip_rocprim3tagENSA_11use_defaultESG_EEEEPS6_SJ_NS0_5tupleIJPtSJ_EEENSK_IJSJ_SJ_EEES6_PlJ7is_evenItEEEE10hipError_tPvRmT3_T4_T5_T6_T7_T9_mT8_P12ihipStream_tbDpT10_ENKUlT_T0_E_clISt17integral_constantIbLb1EES1A_EEDaS15_S16_EUlS15_E_NS1_11comp_targetILNS1_3genE3ELNS1_11target_archE908ELNS1_3gpuE7ELNS1_3repE0EEENS1_30default_config_static_selectorELNS0_4arch9wavefront6targetE1EEEvT1_
    .private_segment_fixed_size: 0
    .sgpr_count:     4
    .sgpr_spill_count: 0
    .symbol:         _ZN7rocprim17ROCPRIM_400000_NS6detail17trampoline_kernelINS0_14default_configENS1_25partition_config_selectorILNS1_17partition_subalgoE3EtNS0_10empty_typeEbEEZZNS1_14partition_implILS5_3ELb0ES3_jN6thrust23THRUST_200600_302600_NS6detail15normal_iteratorINSA_7pointerItNSA_11hip_rocprim3tagENSA_11use_defaultESG_EEEEPS6_SJ_NS0_5tupleIJPtSJ_EEENSK_IJSJ_SJ_EEES6_PlJ7is_evenItEEEE10hipError_tPvRmT3_T4_T5_T6_T7_T9_mT8_P12ihipStream_tbDpT10_ENKUlT_T0_E_clISt17integral_constantIbLb1EES1A_EEDaS15_S16_EUlS15_E_NS1_11comp_targetILNS1_3genE3ELNS1_11target_archE908ELNS1_3gpuE7ELNS1_3repE0EEENS1_30default_config_static_selectorELNS0_4arch9wavefront6targetE1EEEvT1_.kd
    .uniform_work_group_size: 1
    .uses_dynamic_stack: false
    .vgpr_count:     0
    .vgpr_spill_count: 0
    .wavefront_size: 64
  - .agpr_count:     0
    .args:
      - .offset:         0
        .size:           136
        .value_kind:     by_value
    .group_segment_fixed_size: 0
    .kernarg_segment_align: 8
    .kernarg_segment_size: 136
    .language:       OpenCL C
    .language_version:
      - 2
      - 0
    .max_flat_workgroup_size: 256
    .name:           _ZN7rocprim17ROCPRIM_400000_NS6detail17trampoline_kernelINS0_14default_configENS1_25partition_config_selectorILNS1_17partition_subalgoE3EtNS0_10empty_typeEbEEZZNS1_14partition_implILS5_3ELb0ES3_jN6thrust23THRUST_200600_302600_NS6detail15normal_iteratorINSA_7pointerItNSA_11hip_rocprim3tagENSA_11use_defaultESG_EEEEPS6_SJ_NS0_5tupleIJPtSJ_EEENSK_IJSJ_SJ_EEES6_PlJ7is_evenItEEEE10hipError_tPvRmT3_T4_T5_T6_T7_T9_mT8_P12ihipStream_tbDpT10_ENKUlT_T0_E_clISt17integral_constantIbLb1EES1A_EEDaS15_S16_EUlS15_E_NS1_11comp_targetILNS1_3genE2ELNS1_11target_archE906ELNS1_3gpuE6ELNS1_3repE0EEENS1_30default_config_static_selectorELNS0_4arch9wavefront6targetE1EEEvT1_
    .private_segment_fixed_size: 0
    .sgpr_count:     4
    .sgpr_spill_count: 0
    .symbol:         _ZN7rocprim17ROCPRIM_400000_NS6detail17trampoline_kernelINS0_14default_configENS1_25partition_config_selectorILNS1_17partition_subalgoE3EtNS0_10empty_typeEbEEZZNS1_14partition_implILS5_3ELb0ES3_jN6thrust23THRUST_200600_302600_NS6detail15normal_iteratorINSA_7pointerItNSA_11hip_rocprim3tagENSA_11use_defaultESG_EEEEPS6_SJ_NS0_5tupleIJPtSJ_EEENSK_IJSJ_SJ_EEES6_PlJ7is_evenItEEEE10hipError_tPvRmT3_T4_T5_T6_T7_T9_mT8_P12ihipStream_tbDpT10_ENKUlT_T0_E_clISt17integral_constantIbLb1EES1A_EEDaS15_S16_EUlS15_E_NS1_11comp_targetILNS1_3genE2ELNS1_11target_archE906ELNS1_3gpuE6ELNS1_3repE0EEENS1_30default_config_static_selectorELNS0_4arch9wavefront6targetE1EEEvT1_.kd
    .uniform_work_group_size: 1
    .uses_dynamic_stack: false
    .vgpr_count:     0
    .vgpr_spill_count: 0
    .wavefront_size: 64
  - .agpr_count:     0
    .args:
      - .offset:         0
        .size:           136
        .value_kind:     by_value
    .group_segment_fixed_size: 0
    .kernarg_segment_align: 8
    .kernarg_segment_size: 136
    .language:       OpenCL C
    .language_version:
      - 2
      - 0
    .max_flat_workgroup_size: 512
    .name:           _ZN7rocprim17ROCPRIM_400000_NS6detail17trampoline_kernelINS0_14default_configENS1_25partition_config_selectorILNS1_17partition_subalgoE3EtNS0_10empty_typeEbEEZZNS1_14partition_implILS5_3ELb0ES3_jN6thrust23THRUST_200600_302600_NS6detail15normal_iteratorINSA_7pointerItNSA_11hip_rocprim3tagENSA_11use_defaultESG_EEEEPS6_SJ_NS0_5tupleIJPtSJ_EEENSK_IJSJ_SJ_EEES6_PlJ7is_evenItEEEE10hipError_tPvRmT3_T4_T5_T6_T7_T9_mT8_P12ihipStream_tbDpT10_ENKUlT_T0_E_clISt17integral_constantIbLb1EES1A_EEDaS15_S16_EUlS15_E_NS1_11comp_targetILNS1_3genE10ELNS1_11target_archE1200ELNS1_3gpuE4ELNS1_3repE0EEENS1_30default_config_static_selectorELNS0_4arch9wavefront6targetE1EEEvT1_
    .private_segment_fixed_size: 0
    .sgpr_count:     4
    .sgpr_spill_count: 0
    .symbol:         _ZN7rocprim17ROCPRIM_400000_NS6detail17trampoline_kernelINS0_14default_configENS1_25partition_config_selectorILNS1_17partition_subalgoE3EtNS0_10empty_typeEbEEZZNS1_14partition_implILS5_3ELb0ES3_jN6thrust23THRUST_200600_302600_NS6detail15normal_iteratorINSA_7pointerItNSA_11hip_rocprim3tagENSA_11use_defaultESG_EEEEPS6_SJ_NS0_5tupleIJPtSJ_EEENSK_IJSJ_SJ_EEES6_PlJ7is_evenItEEEE10hipError_tPvRmT3_T4_T5_T6_T7_T9_mT8_P12ihipStream_tbDpT10_ENKUlT_T0_E_clISt17integral_constantIbLb1EES1A_EEDaS15_S16_EUlS15_E_NS1_11comp_targetILNS1_3genE10ELNS1_11target_archE1200ELNS1_3gpuE4ELNS1_3repE0EEENS1_30default_config_static_selectorELNS0_4arch9wavefront6targetE1EEEvT1_.kd
    .uniform_work_group_size: 1
    .uses_dynamic_stack: false
    .vgpr_count:     0
    .vgpr_spill_count: 0
    .wavefront_size: 64
  - .agpr_count:     0
    .args:
      - .offset:         0
        .size:           136
        .value_kind:     by_value
    .group_segment_fixed_size: 0
    .kernarg_segment_align: 8
    .kernarg_segment_size: 136
    .language:       OpenCL C
    .language_version:
      - 2
      - 0
    .max_flat_workgroup_size: 128
    .name:           _ZN7rocprim17ROCPRIM_400000_NS6detail17trampoline_kernelINS0_14default_configENS1_25partition_config_selectorILNS1_17partition_subalgoE3EtNS0_10empty_typeEbEEZZNS1_14partition_implILS5_3ELb0ES3_jN6thrust23THRUST_200600_302600_NS6detail15normal_iteratorINSA_7pointerItNSA_11hip_rocprim3tagENSA_11use_defaultESG_EEEEPS6_SJ_NS0_5tupleIJPtSJ_EEENSK_IJSJ_SJ_EEES6_PlJ7is_evenItEEEE10hipError_tPvRmT3_T4_T5_T6_T7_T9_mT8_P12ihipStream_tbDpT10_ENKUlT_T0_E_clISt17integral_constantIbLb1EES1A_EEDaS15_S16_EUlS15_E_NS1_11comp_targetILNS1_3genE9ELNS1_11target_archE1100ELNS1_3gpuE3ELNS1_3repE0EEENS1_30default_config_static_selectorELNS0_4arch9wavefront6targetE1EEEvT1_
    .private_segment_fixed_size: 0
    .sgpr_count:     4
    .sgpr_spill_count: 0
    .symbol:         _ZN7rocprim17ROCPRIM_400000_NS6detail17trampoline_kernelINS0_14default_configENS1_25partition_config_selectorILNS1_17partition_subalgoE3EtNS0_10empty_typeEbEEZZNS1_14partition_implILS5_3ELb0ES3_jN6thrust23THRUST_200600_302600_NS6detail15normal_iteratorINSA_7pointerItNSA_11hip_rocprim3tagENSA_11use_defaultESG_EEEEPS6_SJ_NS0_5tupleIJPtSJ_EEENSK_IJSJ_SJ_EEES6_PlJ7is_evenItEEEE10hipError_tPvRmT3_T4_T5_T6_T7_T9_mT8_P12ihipStream_tbDpT10_ENKUlT_T0_E_clISt17integral_constantIbLb1EES1A_EEDaS15_S16_EUlS15_E_NS1_11comp_targetILNS1_3genE9ELNS1_11target_archE1100ELNS1_3gpuE3ELNS1_3repE0EEENS1_30default_config_static_selectorELNS0_4arch9wavefront6targetE1EEEvT1_.kd
    .uniform_work_group_size: 1
    .uses_dynamic_stack: false
    .vgpr_count:     0
    .vgpr_spill_count: 0
    .wavefront_size: 64
  - .agpr_count:     0
    .args:
      - .offset:         0
        .size:           136
        .value_kind:     by_value
    .group_segment_fixed_size: 0
    .kernarg_segment_align: 8
    .kernarg_segment_size: 136
    .language:       OpenCL C
    .language_version:
      - 2
      - 0
    .max_flat_workgroup_size: 256
    .name:           _ZN7rocprim17ROCPRIM_400000_NS6detail17trampoline_kernelINS0_14default_configENS1_25partition_config_selectorILNS1_17partition_subalgoE3EtNS0_10empty_typeEbEEZZNS1_14partition_implILS5_3ELb0ES3_jN6thrust23THRUST_200600_302600_NS6detail15normal_iteratorINSA_7pointerItNSA_11hip_rocprim3tagENSA_11use_defaultESG_EEEEPS6_SJ_NS0_5tupleIJPtSJ_EEENSK_IJSJ_SJ_EEES6_PlJ7is_evenItEEEE10hipError_tPvRmT3_T4_T5_T6_T7_T9_mT8_P12ihipStream_tbDpT10_ENKUlT_T0_E_clISt17integral_constantIbLb1EES1A_EEDaS15_S16_EUlS15_E_NS1_11comp_targetILNS1_3genE8ELNS1_11target_archE1030ELNS1_3gpuE2ELNS1_3repE0EEENS1_30default_config_static_selectorELNS0_4arch9wavefront6targetE1EEEvT1_
    .private_segment_fixed_size: 0
    .sgpr_count:     4
    .sgpr_spill_count: 0
    .symbol:         _ZN7rocprim17ROCPRIM_400000_NS6detail17trampoline_kernelINS0_14default_configENS1_25partition_config_selectorILNS1_17partition_subalgoE3EtNS0_10empty_typeEbEEZZNS1_14partition_implILS5_3ELb0ES3_jN6thrust23THRUST_200600_302600_NS6detail15normal_iteratorINSA_7pointerItNSA_11hip_rocprim3tagENSA_11use_defaultESG_EEEEPS6_SJ_NS0_5tupleIJPtSJ_EEENSK_IJSJ_SJ_EEES6_PlJ7is_evenItEEEE10hipError_tPvRmT3_T4_T5_T6_T7_T9_mT8_P12ihipStream_tbDpT10_ENKUlT_T0_E_clISt17integral_constantIbLb1EES1A_EEDaS15_S16_EUlS15_E_NS1_11comp_targetILNS1_3genE8ELNS1_11target_archE1030ELNS1_3gpuE2ELNS1_3repE0EEENS1_30default_config_static_selectorELNS0_4arch9wavefront6targetE1EEEvT1_.kd
    .uniform_work_group_size: 1
    .uses_dynamic_stack: false
    .vgpr_count:     0
    .vgpr_spill_count: 0
    .wavefront_size: 64
  - .agpr_count:     0
    .args:
      - .offset:         0
        .size:           120
        .value_kind:     by_value
    .group_segment_fixed_size: 0
    .kernarg_segment_align: 8
    .kernarg_segment_size: 120
    .language:       OpenCL C
    .language_version:
      - 2
      - 0
    .max_flat_workgroup_size: 256
    .name:           _ZN7rocprim17ROCPRIM_400000_NS6detail17trampoline_kernelINS0_14default_configENS1_25partition_config_selectorILNS1_17partition_subalgoE3EtNS0_10empty_typeEbEEZZNS1_14partition_implILS5_3ELb0ES3_jN6thrust23THRUST_200600_302600_NS6detail15normal_iteratorINSA_7pointerItNSA_11hip_rocprim3tagENSA_11use_defaultESG_EEEEPS6_SJ_NS0_5tupleIJPtSJ_EEENSK_IJSJ_SJ_EEES6_PlJ7is_evenItEEEE10hipError_tPvRmT3_T4_T5_T6_T7_T9_mT8_P12ihipStream_tbDpT10_ENKUlT_T0_E_clISt17integral_constantIbLb1EES19_IbLb0EEEEDaS15_S16_EUlS15_E_NS1_11comp_targetILNS1_3genE0ELNS1_11target_archE4294967295ELNS1_3gpuE0ELNS1_3repE0EEENS1_30default_config_static_selectorELNS0_4arch9wavefront6targetE1EEEvT1_
    .private_segment_fixed_size: 0
    .sgpr_count:     4
    .sgpr_spill_count: 0
    .symbol:         _ZN7rocprim17ROCPRIM_400000_NS6detail17trampoline_kernelINS0_14default_configENS1_25partition_config_selectorILNS1_17partition_subalgoE3EtNS0_10empty_typeEbEEZZNS1_14partition_implILS5_3ELb0ES3_jN6thrust23THRUST_200600_302600_NS6detail15normal_iteratorINSA_7pointerItNSA_11hip_rocprim3tagENSA_11use_defaultESG_EEEEPS6_SJ_NS0_5tupleIJPtSJ_EEENSK_IJSJ_SJ_EEES6_PlJ7is_evenItEEEE10hipError_tPvRmT3_T4_T5_T6_T7_T9_mT8_P12ihipStream_tbDpT10_ENKUlT_T0_E_clISt17integral_constantIbLb1EES19_IbLb0EEEEDaS15_S16_EUlS15_E_NS1_11comp_targetILNS1_3genE0ELNS1_11target_archE4294967295ELNS1_3gpuE0ELNS1_3repE0EEENS1_30default_config_static_selectorELNS0_4arch9wavefront6targetE1EEEvT1_.kd
    .uniform_work_group_size: 1
    .uses_dynamic_stack: false
    .vgpr_count:     0
    .vgpr_spill_count: 0
    .wavefront_size: 64
  - .agpr_count:     0
    .args:
      - .offset:         0
        .size:           120
        .value_kind:     by_value
    .group_segment_fixed_size: 0
    .kernarg_segment_align: 8
    .kernarg_segment_size: 120
    .language:       OpenCL C
    .language_version:
      - 2
      - 0
    .max_flat_workgroup_size: 512
    .name:           _ZN7rocprim17ROCPRIM_400000_NS6detail17trampoline_kernelINS0_14default_configENS1_25partition_config_selectorILNS1_17partition_subalgoE3EtNS0_10empty_typeEbEEZZNS1_14partition_implILS5_3ELb0ES3_jN6thrust23THRUST_200600_302600_NS6detail15normal_iteratorINSA_7pointerItNSA_11hip_rocprim3tagENSA_11use_defaultESG_EEEEPS6_SJ_NS0_5tupleIJPtSJ_EEENSK_IJSJ_SJ_EEES6_PlJ7is_evenItEEEE10hipError_tPvRmT3_T4_T5_T6_T7_T9_mT8_P12ihipStream_tbDpT10_ENKUlT_T0_E_clISt17integral_constantIbLb1EES19_IbLb0EEEEDaS15_S16_EUlS15_E_NS1_11comp_targetILNS1_3genE5ELNS1_11target_archE942ELNS1_3gpuE9ELNS1_3repE0EEENS1_30default_config_static_selectorELNS0_4arch9wavefront6targetE1EEEvT1_
    .private_segment_fixed_size: 0
    .sgpr_count:     4
    .sgpr_spill_count: 0
    .symbol:         _ZN7rocprim17ROCPRIM_400000_NS6detail17trampoline_kernelINS0_14default_configENS1_25partition_config_selectorILNS1_17partition_subalgoE3EtNS0_10empty_typeEbEEZZNS1_14partition_implILS5_3ELb0ES3_jN6thrust23THRUST_200600_302600_NS6detail15normal_iteratorINSA_7pointerItNSA_11hip_rocprim3tagENSA_11use_defaultESG_EEEEPS6_SJ_NS0_5tupleIJPtSJ_EEENSK_IJSJ_SJ_EEES6_PlJ7is_evenItEEEE10hipError_tPvRmT3_T4_T5_T6_T7_T9_mT8_P12ihipStream_tbDpT10_ENKUlT_T0_E_clISt17integral_constantIbLb1EES19_IbLb0EEEEDaS15_S16_EUlS15_E_NS1_11comp_targetILNS1_3genE5ELNS1_11target_archE942ELNS1_3gpuE9ELNS1_3repE0EEENS1_30default_config_static_selectorELNS0_4arch9wavefront6targetE1EEEvT1_.kd
    .uniform_work_group_size: 1
    .uses_dynamic_stack: false
    .vgpr_count:     0
    .vgpr_spill_count: 0
    .wavefront_size: 64
  - .agpr_count:     0
    .args:
      - .offset:         0
        .size:           120
        .value_kind:     by_value
    .group_segment_fixed_size: 10248
    .kernarg_segment_align: 8
    .kernarg_segment_size: 120
    .language:       OpenCL C
    .language_version:
      - 2
      - 0
    .max_flat_workgroup_size: 256
    .name:           _ZN7rocprim17ROCPRIM_400000_NS6detail17trampoline_kernelINS0_14default_configENS1_25partition_config_selectorILNS1_17partition_subalgoE3EtNS0_10empty_typeEbEEZZNS1_14partition_implILS5_3ELb0ES3_jN6thrust23THRUST_200600_302600_NS6detail15normal_iteratorINSA_7pointerItNSA_11hip_rocprim3tagENSA_11use_defaultESG_EEEEPS6_SJ_NS0_5tupleIJPtSJ_EEENSK_IJSJ_SJ_EEES6_PlJ7is_evenItEEEE10hipError_tPvRmT3_T4_T5_T6_T7_T9_mT8_P12ihipStream_tbDpT10_ENKUlT_T0_E_clISt17integral_constantIbLb1EES19_IbLb0EEEEDaS15_S16_EUlS15_E_NS1_11comp_targetILNS1_3genE4ELNS1_11target_archE910ELNS1_3gpuE8ELNS1_3repE0EEENS1_30default_config_static_selectorELNS0_4arch9wavefront6targetE1EEEvT1_
    .private_segment_fixed_size: 0
    .sgpr_count:     50
    .sgpr_spill_count: 0
    .symbol:         _ZN7rocprim17ROCPRIM_400000_NS6detail17trampoline_kernelINS0_14default_configENS1_25partition_config_selectorILNS1_17partition_subalgoE3EtNS0_10empty_typeEbEEZZNS1_14partition_implILS5_3ELb0ES3_jN6thrust23THRUST_200600_302600_NS6detail15normal_iteratorINSA_7pointerItNSA_11hip_rocprim3tagENSA_11use_defaultESG_EEEEPS6_SJ_NS0_5tupleIJPtSJ_EEENSK_IJSJ_SJ_EEES6_PlJ7is_evenItEEEE10hipError_tPvRmT3_T4_T5_T6_T7_T9_mT8_P12ihipStream_tbDpT10_ENKUlT_T0_E_clISt17integral_constantIbLb1EES19_IbLb0EEEEDaS15_S16_EUlS15_E_NS1_11comp_targetILNS1_3genE4ELNS1_11target_archE910ELNS1_3gpuE8ELNS1_3repE0EEENS1_30default_config_static_selectorELNS0_4arch9wavefront6targetE1EEEvT1_.kd
    .uniform_work_group_size: 1
    .uses_dynamic_stack: false
    .vgpr_count:     90
    .vgpr_spill_count: 0
    .wavefront_size: 64
  - .agpr_count:     0
    .args:
      - .offset:         0
        .size:           120
        .value_kind:     by_value
    .group_segment_fixed_size: 0
    .kernarg_segment_align: 8
    .kernarg_segment_size: 120
    .language:       OpenCL C
    .language_version:
      - 2
      - 0
    .max_flat_workgroup_size: 256
    .name:           _ZN7rocprim17ROCPRIM_400000_NS6detail17trampoline_kernelINS0_14default_configENS1_25partition_config_selectorILNS1_17partition_subalgoE3EtNS0_10empty_typeEbEEZZNS1_14partition_implILS5_3ELb0ES3_jN6thrust23THRUST_200600_302600_NS6detail15normal_iteratorINSA_7pointerItNSA_11hip_rocprim3tagENSA_11use_defaultESG_EEEEPS6_SJ_NS0_5tupleIJPtSJ_EEENSK_IJSJ_SJ_EEES6_PlJ7is_evenItEEEE10hipError_tPvRmT3_T4_T5_T6_T7_T9_mT8_P12ihipStream_tbDpT10_ENKUlT_T0_E_clISt17integral_constantIbLb1EES19_IbLb0EEEEDaS15_S16_EUlS15_E_NS1_11comp_targetILNS1_3genE3ELNS1_11target_archE908ELNS1_3gpuE7ELNS1_3repE0EEENS1_30default_config_static_selectorELNS0_4arch9wavefront6targetE1EEEvT1_
    .private_segment_fixed_size: 0
    .sgpr_count:     4
    .sgpr_spill_count: 0
    .symbol:         _ZN7rocprim17ROCPRIM_400000_NS6detail17trampoline_kernelINS0_14default_configENS1_25partition_config_selectorILNS1_17partition_subalgoE3EtNS0_10empty_typeEbEEZZNS1_14partition_implILS5_3ELb0ES3_jN6thrust23THRUST_200600_302600_NS6detail15normal_iteratorINSA_7pointerItNSA_11hip_rocprim3tagENSA_11use_defaultESG_EEEEPS6_SJ_NS0_5tupleIJPtSJ_EEENSK_IJSJ_SJ_EEES6_PlJ7is_evenItEEEE10hipError_tPvRmT3_T4_T5_T6_T7_T9_mT8_P12ihipStream_tbDpT10_ENKUlT_T0_E_clISt17integral_constantIbLb1EES19_IbLb0EEEEDaS15_S16_EUlS15_E_NS1_11comp_targetILNS1_3genE3ELNS1_11target_archE908ELNS1_3gpuE7ELNS1_3repE0EEENS1_30default_config_static_selectorELNS0_4arch9wavefront6targetE1EEEvT1_.kd
    .uniform_work_group_size: 1
    .uses_dynamic_stack: false
    .vgpr_count:     0
    .vgpr_spill_count: 0
    .wavefront_size: 64
  - .agpr_count:     0
    .args:
      - .offset:         0
        .size:           120
        .value_kind:     by_value
    .group_segment_fixed_size: 0
    .kernarg_segment_align: 8
    .kernarg_segment_size: 120
    .language:       OpenCL C
    .language_version:
      - 2
      - 0
    .max_flat_workgroup_size: 256
    .name:           _ZN7rocprim17ROCPRIM_400000_NS6detail17trampoline_kernelINS0_14default_configENS1_25partition_config_selectorILNS1_17partition_subalgoE3EtNS0_10empty_typeEbEEZZNS1_14partition_implILS5_3ELb0ES3_jN6thrust23THRUST_200600_302600_NS6detail15normal_iteratorINSA_7pointerItNSA_11hip_rocprim3tagENSA_11use_defaultESG_EEEEPS6_SJ_NS0_5tupleIJPtSJ_EEENSK_IJSJ_SJ_EEES6_PlJ7is_evenItEEEE10hipError_tPvRmT3_T4_T5_T6_T7_T9_mT8_P12ihipStream_tbDpT10_ENKUlT_T0_E_clISt17integral_constantIbLb1EES19_IbLb0EEEEDaS15_S16_EUlS15_E_NS1_11comp_targetILNS1_3genE2ELNS1_11target_archE906ELNS1_3gpuE6ELNS1_3repE0EEENS1_30default_config_static_selectorELNS0_4arch9wavefront6targetE1EEEvT1_
    .private_segment_fixed_size: 0
    .sgpr_count:     4
    .sgpr_spill_count: 0
    .symbol:         _ZN7rocprim17ROCPRIM_400000_NS6detail17trampoline_kernelINS0_14default_configENS1_25partition_config_selectorILNS1_17partition_subalgoE3EtNS0_10empty_typeEbEEZZNS1_14partition_implILS5_3ELb0ES3_jN6thrust23THRUST_200600_302600_NS6detail15normal_iteratorINSA_7pointerItNSA_11hip_rocprim3tagENSA_11use_defaultESG_EEEEPS6_SJ_NS0_5tupleIJPtSJ_EEENSK_IJSJ_SJ_EEES6_PlJ7is_evenItEEEE10hipError_tPvRmT3_T4_T5_T6_T7_T9_mT8_P12ihipStream_tbDpT10_ENKUlT_T0_E_clISt17integral_constantIbLb1EES19_IbLb0EEEEDaS15_S16_EUlS15_E_NS1_11comp_targetILNS1_3genE2ELNS1_11target_archE906ELNS1_3gpuE6ELNS1_3repE0EEENS1_30default_config_static_selectorELNS0_4arch9wavefront6targetE1EEEvT1_.kd
    .uniform_work_group_size: 1
    .uses_dynamic_stack: false
    .vgpr_count:     0
    .vgpr_spill_count: 0
    .wavefront_size: 64
  - .agpr_count:     0
    .args:
      - .offset:         0
        .size:           120
        .value_kind:     by_value
    .group_segment_fixed_size: 0
    .kernarg_segment_align: 8
    .kernarg_segment_size: 120
    .language:       OpenCL C
    .language_version:
      - 2
      - 0
    .max_flat_workgroup_size: 512
    .name:           _ZN7rocprim17ROCPRIM_400000_NS6detail17trampoline_kernelINS0_14default_configENS1_25partition_config_selectorILNS1_17partition_subalgoE3EtNS0_10empty_typeEbEEZZNS1_14partition_implILS5_3ELb0ES3_jN6thrust23THRUST_200600_302600_NS6detail15normal_iteratorINSA_7pointerItNSA_11hip_rocprim3tagENSA_11use_defaultESG_EEEEPS6_SJ_NS0_5tupleIJPtSJ_EEENSK_IJSJ_SJ_EEES6_PlJ7is_evenItEEEE10hipError_tPvRmT3_T4_T5_T6_T7_T9_mT8_P12ihipStream_tbDpT10_ENKUlT_T0_E_clISt17integral_constantIbLb1EES19_IbLb0EEEEDaS15_S16_EUlS15_E_NS1_11comp_targetILNS1_3genE10ELNS1_11target_archE1200ELNS1_3gpuE4ELNS1_3repE0EEENS1_30default_config_static_selectorELNS0_4arch9wavefront6targetE1EEEvT1_
    .private_segment_fixed_size: 0
    .sgpr_count:     4
    .sgpr_spill_count: 0
    .symbol:         _ZN7rocprim17ROCPRIM_400000_NS6detail17trampoline_kernelINS0_14default_configENS1_25partition_config_selectorILNS1_17partition_subalgoE3EtNS0_10empty_typeEbEEZZNS1_14partition_implILS5_3ELb0ES3_jN6thrust23THRUST_200600_302600_NS6detail15normal_iteratorINSA_7pointerItNSA_11hip_rocprim3tagENSA_11use_defaultESG_EEEEPS6_SJ_NS0_5tupleIJPtSJ_EEENSK_IJSJ_SJ_EEES6_PlJ7is_evenItEEEE10hipError_tPvRmT3_T4_T5_T6_T7_T9_mT8_P12ihipStream_tbDpT10_ENKUlT_T0_E_clISt17integral_constantIbLb1EES19_IbLb0EEEEDaS15_S16_EUlS15_E_NS1_11comp_targetILNS1_3genE10ELNS1_11target_archE1200ELNS1_3gpuE4ELNS1_3repE0EEENS1_30default_config_static_selectorELNS0_4arch9wavefront6targetE1EEEvT1_.kd
    .uniform_work_group_size: 1
    .uses_dynamic_stack: false
    .vgpr_count:     0
    .vgpr_spill_count: 0
    .wavefront_size: 64
  - .agpr_count:     0
    .args:
      - .offset:         0
        .size:           120
        .value_kind:     by_value
    .group_segment_fixed_size: 0
    .kernarg_segment_align: 8
    .kernarg_segment_size: 120
    .language:       OpenCL C
    .language_version:
      - 2
      - 0
    .max_flat_workgroup_size: 128
    .name:           _ZN7rocprim17ROCPRIM_400000_NS6detail17trampoline_kernelINS0_14default_configENS1_25partition_config_selectorILNS1_17partition_subalgoE3EtNS0_10empty_typeEbEEZZNS1_14partition_implILS5_3ELb0ES3_jN6thrust23THRUST_200600_302600_NS6detail15normal_iteratorINSA_7pointerItNSA_11hip_rocprim3tagENSA_11use_defaultESG_EEEEPS6_SJ_NS0_5tupleIJPtSJ_EEENSK_IJSJ_SJ_EEES6_PlJ7is_evenItEEEE10hipError_tPvRmT3_T4_T5_T6_T7_T9_mT8_P12ihipStream_tbDpT10_ENKUlT_T0_E_clISt17integral_constantIbLb1EES19_IbLb0EEEEDaS15_S16_EUlS15_E_NS1_11comp_targetILNS1_3genE9ELNS1_11target_archE1100ELNS1_3gpuE3ELNS1_3repE0EEENS1_30default_config_static_selectorELNS0_4arch9wavefront6targetE1EEEvT1_
    .private_segment_fixed_size: 0
    .sgpr_count:     4
    .sgpr_spill_count: 0
    .symbol:         _ZN7rocprim17ROCPRIM_400000_NS6detail17trampoline_kernelINS0_14default_configENS1_25partition_config_selectorILNS1_17partition_subalgoE3EtNS0_10empty_typeEbEEZZNS1_14partition_implILS5_3ELb0ES3_jN6thrust23THRUST_200600_302600_NS6detail15normal_iteratorINSA_7pointerItNSA_11hip_rocprim3tagENSA_11use_defaultESG_EEEEPS6_SJ_NS0_5tupleIJPtSJ_EEENSK_IJSJ_SJ_EEES6_PlJ7is_evenItEEEE10hipError_tPvRmT3_T4_T5_T6_T7_T9_mT8_P12ihipStream_tbDpT10_ENKUlT_T0_E_clISt17integral_constantIbLb1EES19_IbLb0EEEEDaS15_S16_EUlS15_E_NS1_11comp_targetILNS1_3genE9ELNS1_11target_archE1100ELNS1_3gpuE3ELNS1_3repE0EEENS1_30default_config_static_selectorELNS0_4arch9wavefront6targetE1EEEvT1_.kd
    .uniform_work_group_size: 1
    .uses_dynamic_stack: false
    .vgpr_count:     0
    .vgpr_spill_count: 0
    .wavefront_size: 64
  - .agpr_count:     0
    .args:
      - .offset:         0
        .size:           120
        .value_kind:     by_value
    .group_segment_fixed_size: 0
    .kernarg_segment_align: 8
    .kernarg_segment_size: 120
    .language:       OpenCL C
    .language_version:
      - 2
      - 0
    .max_flat_workgroup_size: 256
    .name:           _ZN7rocprim17ROCPRIM_400000_NS6detail17trampoline_kernelINS0_14default_configENS1_25partition_config_selectorILNS1_17partition_subalgoE3EtNS0_10empty_typeEbEEZZNS1_14partition_implILS5_3ELb0ES3_jN6thrust23THRUST_200600_302600_NS6detail15normal_iteratorINSA_7pointerItNSA_11hip_rocprim3tagENSA_11use_defaultESG_EEEEPS6_SJ_NS0_5tupleIJPtSJ_EEENSK_IJSJ_SJ_EEES6_PlJ7is_evenItEEEE10hipError_tPvRmT3_T4_T5_T6_T7_T9_mT8_P12ihipStream_tbDpT10_ENKUlT_T0_E_clISt17integral_constantIbLb1EES19_IbLb0EEEEDaS15_S16_EUlS15_E_NS1_11comp_targetILNS1_3genE8ELNS1_11target_archE1030ELNS1_3gpuE2ELNS1_3repE0EEENS1_30default_config_static_selectorELNS0_4arch9wavefront6targetE1EEEvT1_
    .private_segment_fixed_size: 0
    .sgpr_count:     4
    .sgpr_spill_count: 0
    .symbol:         _ZN7rocprim17ROCPRIM_400000_NS6detail17trampoline_kernelINS0_14default_configENS1_25partition_config_selectorILNS1_17partition_subalgoE3EtNS0_10empty_typeEbEEZZNS1_14partition_implILS5_3ELb0ES3_jN6thrust23THRUST_200600_302600_NS6detail15normal_iteratorINSA_7pointerItNSA_11hip_rocprim3tagENSA_11use_defaultESG_EEEEPS6_SJ_NS0_5tupleIJPtSJ_EEENSK_IJSJ_SJ_EEES6_PlJ7is_evenItEEEE10hipError_tPvRmT3_T4_T5_T6_T7_T9_mT8_P12ihipStream_tbDpT10_ENKUlT_T0_E_clISt17integral_constantIbLb1EES19_IbLb0EEEEDaS15_S16_EUlS15_E_NS1_11comp_targetILNS1_3genE8ELNS1_11target_archE1030ELNS1_3gpuE2ELNS1_3repE0EEENS1_30default_config_static_selectorELNS0_4arch9wavefront6targetE1EEEvT1_.kd
    .uniform_work_group_size: 1
    .uses_dynamic_stack: false
    .vgpr_count:     0
    .vgpr_spill_count: 0
    .wavefront_size: 64
  - .agpr_count:     0
    .args:
      - .offset:         0
        .size:           136
        .value_kind:     by_value
    .group_segment_fixed_size: 0
    .kernarg_segment_align: 8
    .kernarg_segment_size: 136
    .language:       OpenCL C
    .language_version:
      - 2
      - 0
    .max_flat_workgroup_size: 256
    .name:           _ZN7rocprim17ROCPRIM_400000_NS6detail17trampoline_kernelINS0_14default_configENS1_25partition_config_selectorILNS1_17partition_subalgoE3EtNS0_10empty_typeEbEEZZNS1_14partition_implILS5_3ELb0ES3_jN6thrust23THRUST_200600_302600_NS6detail15normal_iteratorINSA_7pointerItNSA_11hip_rocprim3tagENSA_11use_defaultESG_EEEEPS6_SJ_NS0_5tupleIJPtSJ_EEENSK_IJSJ_SJ_EEES6_PlJ7is_evenItEEEE10hipError_tPvRmT3_T4_T5_T6_T7_T9_mT8_P12ihipStream_tbDpT10_ENKUlT_T0_E_clISt17integral_constantIbLb0EES19_IbLb1EEEEDaS15_S16_EUlS15_E_NS1_11comp_targetILNS1_3genE0ELNS1_11target_archE4294967295ELNS1_3gpuE0ELNS1_3repE0EEENS1_30default_config_static_selectorELNS0_4arch9wavefront6targetE1EEEvT1_
    .private_segment_fixed_size: 0
    .sgpr_count:     4
    .sgpr_spill_count: 0
    .symbol:         _ZN7rocprim17ROCPRIM_400000_NS6detail17trampoline_kernelINS0_14default_configENS1_25partition_config_selectorILNS1_17partition_subalgoE3EtNS0_10empty_typeEbEEZZNS1_14partition_implILS5_3ELb0ES3_jN6thrust23THRUST_200600_302600_NS6detail15normal_iteratorINSA_7pointerItNSA_11hip_rocprim3tagENSA_11use_defaultESG_EEEEPS6_SJ_NS0_5tupleIJPtSJ_EEENSK_IJSJ_SJ_EEES6_PlJ7is_evenItEEEE10hipError_tPvRmT3_T4_T5_T6_T7_T9_mT8_P12ihipStream_tbDpT10_ENKUlT_T0_E_clISt17integral_constantIbLb0EES19_IbLb1EEEEDaS15_S16_EUlS15_E_NS1_11comp_targetILNS1_3genE0ELNS1_11target_archE4294967295ELNS1_3gpuE0ELNS1_3repE0EEENS1_30default_config_static_selectorELNS0_4arch9wavefront6targetE1EEEvT1_.kd
    .uniform_work_group_size: 1
    .uses_dynamic_stack: false
    .vgpr_count:     0
    .vgpr_spill_count: 0
    .wavefront_size: 64
  - .agpr_count:     0
    .args:
      - .offset:         0
        .size:           136
        .value_kind:     by_value
    .group_segment_fixed_size: 0
    .kernarg_segment_align: 8
    .kernarg_segment_size: 136
    .language:       OpenCL C
    .language_version:
      - 2
      - 0
    .max_flat_workgroup_size: 512
    .name:           _ZN7rocprim17ROCPRIM_400000_NS6detail17trampoline_kernelINS0_14default_configENS1_25partition_config_selectorILNS1_17partition_subalgoE3EtNS0_10empty_typeEbEEZZNS1_14partition_implILS5_3ELb0ES3_jN6thrust23THRUST_200600_302600_NS6detail15normal_iteratorINSA_7pointerItNSA_11hip_rocprim3tagENSA_11use_defaultESG_EEEEPS6_SJ_NS0_5tupleIJPtSJ_EEENSK_IJSJ_SJ_EEES6_PlJ7is_evenItEEEE10hipError_tPvRmT3_T4_T5_T6_T7_T9_mT8_P12ihipStream_tbDpT10_ENKUlT_T0_E_clISt17integral_constantIbLb0EES19_IbLb1EEEEDaS15_S16_EUlS15_E_NS1_11comp_targetILNS1_3genE5ELNS1_11target_archE942ELNS1_3gpuE9ELNS1_3repE0EEENS1_30default_config_static_selectorELNS0_4arch9wavefront6targetE1EEEvT1_
    .private_segment_fixed_size: 0
    .sgpr_count:     4
    .sgpr_spill_count: 0
    .symbol:         _ZN7rocprim17ROCPRIM_400000_NS6detail17trampoline_kernelINS0_14default_configENS1_25partition_config_selectorILNS1_17partition_subalgoE3EtNS0_10empty_typeEbEEZZNS1_14partition_implILS5_3ELb0ES3_jN6thrust23THRUST_200600_302600_NS6detail15normal_iteratorINSA_7pointerItNSA_11hip_rocprim3tagENSA_11use_defaultESG_EEEEPS6_SJ_NS0_5tupleIJPtSJ_EEENSK_IJSJ_SJ_EEES6_PlJ7is_evenItEEEE10hipError_tPvRmT3_T4_T5_T6_T7_T9_mT8_P12ihipStream_tbDpT10_ENKUlT_T0_E_clISt17integral_constantIbLb0EES19_IbLb1EEEEDaS15_S16_EUlS15_E_NS1_11comp_targetILNS1_3genE5ELNS1_11target_archE942ELNS1_3gpuE9ELNS1_3repE0EEENS1_30default_config_static_selectorELNS0_4arch9wavefront6targetE1EEEvT1_.kd
    .uniform_work_group_size: 1
    .uses_dynamic_stack: false
    .vgpr_count:     0
    .vgpr_spill_count: 0
    .wavefront_size: 64
  - .agpr_count:     0
    .args:
      - .offset:         0
        .size:           136
        .value_kind:     by_value
    .group_segment_fixed_size: 10248
    .kernarg_segment_align: 8
    .kernarg_segment_size: 136
    .language:       OpenCL C
    .language_version:
      - 2
      - 0
    .max_flat_workgroup_size: 256
    .name:           _ZN7rocprim17ROCPRIM_400000_NS6detail17trampoline_kernelINS0_14default_configENS1_25partition_config_selectorILNS1_17partition_subalgoE3EtNS0_10empty_typeEbEEZZNS1_14partition_implILS5_3ELb0ES3_jN6thrust23THRUST_200600_302600_NS6detail15normal_iteratorINSA_7pointerItNSA_11hip_rocprim3tagENSA_11use_defaultESG_EEEEPS6_SJ_NS0_5tupleIJPtSJ_EEENSK_IJSJ_SJ_EEES6_PlJ7is_evenItEEEE10hipError_tPvRmT3_T4_T5_T6_T7_T9_mT8_P12ihipStream_tbDpT10_ENKUlT_T0_E_clISt17integral_constantIbLb0EES19_IbLb1EEEEDaS15_S16_EUlS15_E_NS1_11comp_targetILNS1_3genE4ELNS1_11target_archE910ELNS1_3gpuE8ELNS1_3repE0EEENS1_30default_config_static_selectorELNS0_4arch9wavefront6targetE1EEEvT1_
    .private_segment_fixed_size: 0
    .sgpr_count:     48
    .sgpr_spill_count: 0
    .symbol:         _ZN7rocprim17ROCPRIM_400000_NS6detail17trampoline_kernelINS0_14default_configENS1_25partition_config_selectorILNS1_17partition_subalgoE3EtNS0_10empty_typeEbEEZZNS1_14partition_implILS5_3ELb0ES3_jN6thrust23THRUST_200600_302600_NS6detail15normal_iteratorINSA_7pointerItNSA_11hip_rocprim3tagENSA_11use_defaultESG_EEEEPS6_SJ_NS0_5tupleIJPtSJ_EEENSK_IJSJ_SJ_EEES6_PlJ7is_evenItEEEE10hipError_tPvRmT3_T4_T5_T6_T7_T9_mT8_P12ihipStream_tbDpT10_ENKUlT_T0_E_clISt17integral_constantIbLb0EES19_IbLb1EEEEDaS15_S16_EUlS15_E_NS1_11comp_targetILNS1_3genE4ELNS1_11target_archE910ELNS1_3gpuE8ELNS1_3repE0EEENS1_30default_config_static_selectorELNS0_4arch9wavefront6targetE1EEEvT1_.kd
    .uniform_work_group_size: 1
    .uses_dynamic_stack: false
    .vgpr_count:     93
    .vgpr_spill_count: 0
    .wavefront_size: 64
  - .agpr_count:     0
    .args:
      - .offset:         0
        .size:           136
        .value_kind:     by_value
    .group_segment_fixed_size: 0
    .kernarg_segment_align: 8
    .kernarg_segment_size: 136
    .language:       OpenCL C
    .language_version:
      - 2
      - 0
    .max_flat_workgroup_size: 256
    .name:           _ZN7rocprim17ROCPRIM_400000_NS6detail17trampoline_kernelINS0_14default_configENS1_25partition_config_selectorILNS1_17partition_subalgoE3EtNS0_10empty_typeEbEEZZNS1_14partition_implILS5_3ELb0ES3_jN6thrust23THRUST_200600_302600_NS6detail15normal_iteratorINSA_7pointerItNSA_11hip_rocprim3tagENSA_11use_defaultESG_EEEEPS6_SJ_NS0_5tupleIJPtSJ_EEENSK_IJSJ_SJ_EEES6_PlJ7is_evenItEEEE10hipError_tPvRmT3_T4_T5_T6_T7_T9_mT8_P12ihipStream_tbDpT10_ENKUlT_T0_E_clISt17integral_constantIbLb0EES19_IbLb1EEEEDaS15_S16_EUlS15_E_NS1_11comp_targetILNS1_3genE3ELNS1_11target_archE908ELNS1_3gpuE7ELNS1_3repE0EEENS1_30default_config_static_selectorELNS0_4arch9wavefront6targetE1EEEvT1_
    .private_segment_fixed_size: 0
    .sgpr_count:     4
    .sgpr_spill_count: 0
    .symbol:         _ZN7rocprim17ROCPRIM_400000_NS6detail17trampoline_kernelINS0_14default_configENS1_25partition_config_selectorILNS1_17partition_subalgoE3EtNS0_10empty_typeEbEEZZNS1_14partition_implILS5_3ELb0ES3_jN6thrust23THRUST_200600_302600_NS6detail15normal_iteratorINSA_7pointerItNSA_11hip_rocprim3tagENSA_11use_defaultESG_EEEEPS6_SJ_NS0_5tupleIJPtSJ_EEENSK_IJSJ_SJ_EEES6_PlJ7is_evenItEEEE10hipError_tPvRmT3_T4_T5_T6_T7_T9_mT8_P12ihipStream_tbDpT10_ENKUlT_T0_E_clISt17integral_constantIbLb0EES19_IbLb1EEEEDaS15_S16_EUlS15_E_NS1_11comp_targetILNS1_3genE3ELNS1_11target_archE908ELNS1_3gpuE7ELNS1_3repE0EEENS1_30default_config_static_selectorELNS0_4arch9wavefront6targetE1EEEvT1_.kd
    .uniform_work_group_size: 1
    .uses_dynamic_stack: false
    .vgpr_count:     0
    .vgpr_spill_count: 0
    .wavefront_size: 64
  - .agpr_count:     0
    .args:
      - .offset:         0
        .size:           136
        .value_kind:     by_value
    .group_segment_fixed_size: 0
    .kernarg_segment_align: 8
    .kernarg_segment_size: 136
    .language:       OpenCL C
    .language_version:
      - 2
      - 0
    .max_flat_workgroup_size: 256
    .name:           _ZN7rocprim17ROCPRIM_400000_NS6detail17trampoline_kernelINS0_14default_configENS1_25partition_config_selectorILNS1_17partition_subalgoE3EtNS0_10empty_typeEbEEZZNS1_14partition_implILS5_3ELb0ES3_jN6thrust23THRUST_200600_302600_NS6detail15normal_iteratorINSA_7pointerItNSA_11hip_rocprim3tagENSA_11use_defaultESG_EEEEPS6_SJ_NS0_5tupleIJPtSJ_EEENSK_IJSJ_SJ_EEES6_PlJ7is_evenItEEEE10hipError_tPvRmT3_T4_T5_T6_T7_T9_mT8_P12ihipStream_tbDpT10_ENKUlT_T0_E_clISt17integral_constantIbLb0EES19_IbLb1EEEEDaS15_S16_EUlS15_E_NS1_11comp_targetILNS1_3genE2ELNS1_11target_archE906ELNS1_3gpuE6ELNS1_3repE0EEENS1_30default_config_static_selectorELNS0_4arch9wavefront6targetE1EEEvT1_
    .private_segment_fixed_size: 0
    .sgpr_count:     4
    .sgpr_spill_count: 0
    .symbol:         _ZN7rocprim17ROCPRIM_400000_NS6detail17trampoline_kernelINS0_14default_configENS1_25partition_config_selectorILNS1_17partition_subalgoE3EtNS0_10empty_typeEbEEZZNS1_14partition_implILS5_3ELb0ES3_jN6thrust23THRUST_200600_302600_NS6detail15normal_iteratorINSA_7pointerItNSA_11hip_rocprim3tagENSA_11use_defaultESG_EEEEPS6_SJ_NS0_5tupleIJPtSJ_EEENSK_IJSJ_SJ_EEES6_PlJ7is_evenItEEEE10hipError_tPvRmT3_T4_T5_T6_T7_T9_mT8_P12ihipStream_tbDpT10_ENKUlT_T0_E_clISt17integral_constantIbLb0EES19_IbLb1EEEEDaS15_S16_EUlS15_E_NS1_11comp_targetILNS1_3genE2ELNS1_11target_archE906ELNS1_3gpuE6ELNS1_3repE0EEENS1_30default_config_static_selectorELNS0_4arch9wavefront6targetE1EEEvT1_.kd
    .uniform_work_group_size: 1
    .uses_dynamic_stack: false
    .vgpr_count:     0
    .vgpr_spill_count: 0
    .wavefront_size: 64
  - .agpr_count:     0
    .args:
      - .offset:         0
        .size:           136
        .value_kind:     by_value
    .group_segment_fixed_size: 0
    .kernarg_segment_align: 8
    .kernarg_segment_size: 136
    .language:       OpenCL C
    .language_version:
      - 2
      - 0
    .max_flat_workgroup_size: 512
    .name:           _ZN7rocprim17ROCPRIM_400000_NS6detail17trampoline_kernelINS0_14default_configENS1_25partition_config_selectorILNS1_17partition_subalgoE3EtNS0_10empty_typeEbEEZZNS1_14partition_implILS5_3ELb0ES3_jN6thrust23THRUST_200600_302600_NS6detail15normal_iteratorINSA_7pointerItNSA_11hip_rocprim3tagENSA_11use_defaultESG_EEEEPS6_SJ_NS0_5tupleIJPtSJ_EEENSK_IJSJ_SJ_EEES6_PlJ7is_evenItEEEE10hipError_tPvRmT3_T4_T5_T6_T7_T9_mT8_P12ihipStream_tbDpT10_ENKUlT_T0_E_clISt17integral_constantIbLb0EES19_IbLb1EEEEDaS15_S16_EUlS15_E_NS1_11comp_targetILNS1_3genE10ELNS1_11target_archE1200ELNS1_3gpuE4ELNS1_3repE0EEENS1_30default_config_static_selectorELNS0_4arch9wavefront6targetE1EEEvT1_
    .private_segment_fixed_size: 0
    .sgpr_count:     4
    .sgpr_spill_count: 0
    .symbol:         _ZN7rocprim17ROCPRIM_400000_NS6detail17trampoline_kernelINS0_14default_configENS1_25partition_config_selectorILNS1_17partition_subalgoE3EtNS0_10empty_typeEbEEZZNS1_14partition_implILS5_3ELb0ES3_jN6thrust23THRUST_200600_302600_NS6detail15normal_iteratorINSA_7pointerItNSA_11hip_rocprim3tagENSA_11use_defaultESG_EEEEPS6_SJ_NS0_5tupleIJPtSJ_EEENSK_IJSJ_SJ_EEES6_PlJ7is_evenItEEEE10hipError_tPvRmT3_T4_T5_T6_T7_T9_mT8_P12ihipStream_tbDpT10_ENKUlT_T0_E_clISt17integral_constantIbLb0EES19_IbLb1EEEEDaS15_S16_EUlS15_E_NS1_11comp_targetILNS1_3genE10ELNS1_11target_archE1200ELNS1_3gpuE4ELNS1_3repE0EEENS1_30default_config_static_selectorELNS0_4arch9wavefront6targetE1EEEvT1_.kd
    .uniform_work_group_size: 1
    .uses_dynamic_stack: false
    .vgpr_count:     0
    .vgpr_spill_count: 0
    .wavefront_size: 64
  - .agpr_count:     0
    .args:
      - .offset:         0
        .size:           136
        .value_kind:     by_value
    .group_segment_fixed_size: 0
    .kernarg_segment_align: 8
    .kernarg_segment_size: 136
    .language:       OpenCL C
    .language_version:
      - 2
      - 0
    .max_flat_workgroup_size: 128
    .name:           _ZN7rocprim17ROCPRIM_400000_NS6detail17trampoline_kernelINS0_14default_configENS1_25partition_config_selectorILNS1_17partition_subalgoE3EtNS0_10empty_typeEbEEZZNS1_14partition_implILS5_3ELb0ES3_jN6thrust23THRUST_200600_302600_NS6detail15normal_iteratorINSA_7pointerItNSA_11hip_rocprim3tagENSA_11use_defaultESG_EEEEPS6_SJ_NS0_5tupleIJPtSJ_EEENSK_IJSJ_SJ_EEES6_PlJ7is_evenItEEEE10hipError_tPvRmT3_T4_T5_T6_T7_T9_mT8_P12ihipStream_tbDpT10_ENKUlT_T0_E_clISt17integral_constantIbLb0EES19_IbLb1EEEEDaS15_S16_EUlS15_E_NS1_11comp_targetILNS1_3genE9ELNS1_11target_archE1100ELNS1_3gpuE3ELNS1_3repE0EEENS1_30default_config_static_selectorELNS0_4arch9wavefront6targetE1EEEvT1_
    .private_segment_fixed_size: 0
    .sgpr_count:     4
    .sgpr_spill_count: 0
    .symbol:         _ZN7rocprim17ROCPRIM_400000_NS6detail17trampoline_kernelINS0_14default_configENS1_25partition_config_selectorILNS1_17partition_subalgoE3EtNS0_10empty_typeEbEEZZNS1_14partition_implILS5_3ELb0ES3_jN6thrust23THRUST_200600_302600_NS6detail15normal_iteratorINSA_7pointerItNSA_11hip_rocprim3tagENSA_11use_defaultESG_EEEEPS6_SJ_NS0_5tupleIJPtSJ_EEENSK_IJSJ_SJ_EEES6_PlJ7is_evenItEEEE10hipError_tPvRmT3_T4_T5_T6_T7_T9_mT8_P12ihipStream_tbDpT10_ENKUlT_T0_E_clISt17integral_constantIbLb0EES19_IbLb1EEEEDaS15_S16_EUlS15_E_NS1_11comp_targetILNS1_3genE9ELNS1_11target_archE1100ELNS1_3gpuE3ELNS1_3repE0EEENS1_30default_config_static_selectorELNS0_4arch9wavefront6targetE1EEEvT1_.kd
    .uniform_work_group_size: 1
    .uses_dynamic_stack: false
    .vgpr_count:     0
    .vgpr_spill_count: 0
    .wavefront_size: 64
  - .agpr_count:     0
    .args:
      - .offset:         0
        .size:           136
        .value_kind:     by_value
    .group_segment_fixed_size: 0
    .kernarg_segment_align: 8
    .kernarg_segment_size: 136
    .language:       OpenCL C
    .language_version:
      - 2
      - 0
    .max_flat_workgroup_size: 256
    .name:           _ZN7rocprim17ROCPRIM_400000_NS6detail17trampoline_kernelINS0_14default_configENS1_25partition_config_selectorILNS1_17partition_subalgoE3EtNS0_10empty_typeEbEEZZNS1_14partition_implILS5_3ELb0ES3_jN6thrust23THRUST_200600_302600_NS6detail15normal_iteratorINSA_7pointerItNSA_11hip_rocprim3tagENSA_11use_defaultESG_EEEEPS6_SJ_NS0_5tupleIJPtSJ_EEENSK_IJSJ_SJ_EEES6_PlJ7is_evenItEEEE10hipError_tPvRmT3_T4_T5_T6_T7_T9_mT8_P12ihipStream_tbDpT10_ENKUlT_T0_E_clISt17integral_constantIbLb0EES19_IbLb1EEEEDaS15_S16_EUlS15_E_NS1_11comp_targetILNS1_3genE8ELNS1_11target_archE1030ELNS1_3gpuE2ELNS1_3repE0EEENS1_30default_config_static_selectorELNS0_4arch9wavefront6targetE1EEEvT1_
    .private_segment_fixed_size: 0
    .sgpr_count:     4
    .sgpr_spill_count: 0
    .symbol:         _ZN7rocprim17ROCPRIM_400000_NS6detail17trampoline_kernelINS0_14default_configENS1_25partition_config_selectorILNS1_17partition_subalgoE3EtNS0_10empty_typeEbEEZZNS1_14partition_implILS5_3ELb0ES3_jN6thrust23THRUST_200600_302600_NS6detail15normal_iteratorINSA_7pointerItNSA_11hip_rocprim3tagENSA_11use_defaultESG_EEEEPS6_SJ_NS0_5tupleIJPtSJ_EEENSK_IJSJ_SJ_EEES6_PlJ7is_evenItEEEE10hipError_tPvRmT3_T4_T5_T6_T7_T9_mT8_P12ihipStream_tbDpT10_ENKUlT_T0_E_clISt17integral_constantIbLb0EES19_IbLb1EEEEDaS15_S16_EUlS15_E_NS1_11comp_targetILNS1_3genE8ELNS1_11target_archE1030ELNS1_3gpuE2ELNS1_3repE0EEENS1_30default_config_static_selectorELNS0_4arch9wavefront6targetE1EEEvT1_.kd
    .uniform_work_group_size: 1
    .uses_dynamic_stack: false
    .vgpr_count:     0
    .vgpr_spill_count: 0
    .wavefront_size: 64
  - .agpr_count:     0
    .args:
      - .offset:         0
        .size:           48
        .value_kind:     by_value
    .group_segment_fixed_size: 0
    .kernarg_segment_align: 8
    .kernarg_segment_size: 48
    .language:       OpenCL C
    .language_version:
      - 2
      - 0
    .max_flat_workgroup_size: 256
    .name:           _ZN7rocprim17ROCPRIM_400000_NS6detail17trampoline_kernelINS0_13kernel_configILj256ELj4ELj4294967295EEENS1_37radix_sort_block_sort_config_selectorItNS0_10empty_typeEEEZNS1_21radix_sort_block_sortIS4_Lb0EN6thrust23THRUST_200600_302600_NS6detail15normal_iteratorINSA_10device_ptrItEEEESF_PS6_SG_NS0_19identity_decomposerEEE10hipError_tT1_T2_T3_T4_jRjT5_jjP12ihipStream_tbEUlT_E_NS1_11comp_targetILNS1_3genE0ELNS1_11target_archE4294967295ELNS1_3gpuE0ELNS1_3repE0EEENS1_44radix_sort_block_sort_config_static_selectorELNS0_4arch9wavefront6targetE1EEEvSJ_
    .private_segment_fixed_size: 0
    .sgpr_count:     4
    .sgpr_spill_count: 0
    .symbol:         _ZN7rocprim17ROCPRIM_400000_NS6detail17trampoline_kernelINS0_13kernel_configILj256ELj4ELj4294967295EEENS1_37radix_sort_block_sort_config_selectorItNS0_10empty_typeEEEZNS1_21radix_sort_block_sortIS4_Lb0EN6thrust23THRUST_200600_302600_NS6detail15normal_iteratorINSA_10device_ptrItEEEESF_PS6_SG_NS0_19identity_decomposerEEE10hipError_tT1_T2_T3_T4_jRjT5_jjP12ihipStream_tbEUlT_E_NS1_11comp_targetILNS1_3genE0ELNS1_11target_archE4294967295ELNS1_3gpuE0ELNS1_3repE0EEENS1_44radix_sort_block_sort_config_static_selectorELNS0_4arch9wavefront6targetE1EEEvSJ_.kd
    .uniform_work_group_size: 1
    .uses_dynamic_stack: false
    .vgpr_count:     0
    .vgpr_spill_count: 0
    .wavefront_size: 64
  - .agpr_count:     0
    .args:
      - .offset:         0
        .size:           48
        .value_kind:     by_value
    .group_segment_fixed_size: 0
    .kernarg_segment_align: 8
    .kernarg_segment_size: 48
    .language:       OpenCL C
    .language_version:
      - 2
      - 0
    .max_flat_workgroup_size: 256
    .name:           _ZN7rocprim17ROCPRIM_400000_NS6detail17trampoline_kernelINS0_13kernel_configILj256ELj4ELj4294967295EEENS1_37radix_sort_block_sort_config_selectorItNS0_10empty_typeEEEZNS1_21radix_sort_block_sortIS4_Lb0EN6thrust23THRUST_200600_302600_NS6detail15normal_iteratorINSA_10device_ptrItEEEESF_PS6_SG_NS0_19identity_decomposerEEE10hipError_tT1_T2_T3_T4_jRjT5_jjP12ihipStream_tbEUlT_E_NS1_11comp_targetILNS1_3genE5ELNS1_11target_archE942ELNS1_3gpuE9ELNS1_3repE0EEENS1_44radix_sort_block_sort_config_static_selectorELNS0_4arch9wavefront6targetE1EEEvSJ_
    .private_segment_fixed_size: 0
    .sgpr_count:     4
    .sgpr_spill_count: 0
    .symbol:         _ZN7rocprim17ROCPRIM_400000_NS6detail17trampoline_kernelINS0_13kernel_configILj256ELj4ELj4294967295EEENS1_37radix_sort_block_sort_config_selectorItNS0_10empty_typeEEEZNS1_21radix_sort_block_sortIS4_Lb0EN6thrust23THRUST_200600_302600_NS6detail15normal_iteratorINSA_10device_ptrItEEEESF_PS6_SG_NS0_19identity_decomposerEEE10hipError_tT1_T2_T3_T4_jRjT5_jjP12ihipStream_tbEUlT_E_NS1_11comp_targetILNS1_3genE5ELNS1_11target_archE942ELNS1_3gpuE9ELNS1_3repE0EEENS1_44radix_sort_block_sort_config_static_selectorELNS0_4arch9wavefront6targetE1EEEvSJ_.kd
    .uniform_work_group_size: 1
    .uses_dynamic_stack: false
    .vgpr_count:     0
    .vgpr_spill_count: 0
    .wavefront_size: 64
  - .agpr_count:     0
    .args:
      - .offset:         0
        .size:           48
        .value_kind:     by_value
      - .offset:         48
        .size:           4
        .value_kind:     hidden_block_count_x
      - .offset:         52
        .size:           4
        .value_kind:     hidden_block_count_y
      - .offset:         56
        .size:           4
        .value_kind:     hidden_block_count_z
      - .offset:         60
        .size:           2
        .value_kind:     hidden_group_size_x
      - .offset:         62
        .size:           2
        .value_kind:     hidden_group_size_y
      - .offset:         64
        .size:           2
        .value_kind:     hidden_group_size_z
      - .offset:         66
        .size:           2
        .value_kind:     hidden_remainder_x
      - .offset:         68
        .size:           2
        .value_kind:     hidden_remainder_y
      - .offset:         70
        .size:           2
        .value_kind:     hidden_remainder_z
      - .offset:         88
        .size:           8
        .value_kind:     hidden_global_offset_x
      - .offset:         96
        .size:           8
        .value_kind:     hidden_global_offset_y
      - .offset:         104
        .size:           8
        .value_kind:     hidden_global_offset_z
      - .offset:         112
        .size:           2
        .value_kind:     hidden_grid_dims
    .group_segment_fixed_size: 4112
    .kernarg_segment_align: 8
    .kernarg_segment_size: 304
    .language:       OpenCL C
    .language_version:
      - 2
      - 0
    .max_flat_workgroup_size: 256
    .name:           _ZN7rocprim17ROCPRIM_400000_NS6detail17trampoline_kernelINS0_13kernel_configILj256ELj4ELj4294967295EEENS1_37radix_sort_block_sort_config_selectorItNS0_10empty_typeEEEZNS1_21radix_sort_block_sortIS4_Lb0EN6thrust23THRUST_200600_302600_NS6detail15normal_iteratorINSA_10device_ptrItEEEESF_PS6_SG_NS0_19identity_decomposerEEE10hipError_tT1_T2_T3_T4_jRjT5_jjP12ihipStream_tbEUlT_E_NS1_11comp_targetILNS1_3genE4ELNS1_11target_archE910ELNS1_3gpuE8ELNS1_3repE0EEENS1_44radix_sort_block_sort_config_static_selectorELNS0_4arch9wavefront6targetE1EEEvSJ_
    .private_segment_fixed_size: 0
    .sgpr_count:     48
    .sgpr_spill_count: 0
    .symbol:         _ZN7rocprim17ROCPRIM_400000_NS6detail17trampoline_kernelINS0_13kernel_configILj256ELj4ELj4294967295EEENS1_37radix_sort_block_sort_config_selectorItNS0_10empty_typeEEEZNS1_21radix_sort_block_sortIS4_Lb0EN6thrust23THRUST_200600_302600_NS6detail15normal_iteratorINSA_10device_ptrItEEEESF_PS6_SG_NS0_19identity_decomposerEEE10hipError_tT1_T2_T3_T4_jRjT5_jjP12ihipStream_tbEUlT_E_NS1_11comp_targetILNS1_3genE4ELNS1_11target_archE910ELNS1_3gpuE8ELNS1_3repE0EEENS1_44radix_sort_block_sort_config_static_selectorELNS0_4arch9wavefront6targetE1EEEvSJ_.kd
    .uniform_work_group_size: 1
    .uses_dynamic_stack: false
    .vgpr_count:     38
    .vgpr_spill_count: 0
    .wavefront_size: 64
  - .agpr_count:     0
    .args:
      - .offset:         0
        .size:           48
        .value_kind:     by_value
    .group_segment_fixed_size: 0
    .kernarg_segment_align: 8
    .kernarg_segment_size: 48
    .language:       OpenCL C
    .language_version:
      - 2
      - 0
    .max_flat_workgroup_size: 256
    .name:           _ZN7rocprim17ROCPRIM_400000_NS6detail17trampoline_kernelINS0_13kernel_configILj256ELj4ELj4294967295EEENS1_37radix_sort_block_sort_config_selectorItNS0_10empty_typeEEEZNS1_21radix_sort_block_sortIS4_Lb0EN6thrust23THRUST_200600_302600_NS6detail15normal_iteratorINSA_10device_ptrItEEEESF_PS6_SG_NS0_19identity_decomposerEEE10hipError_tT1_T2_T3_T4_jRjT5_jjP12ihipStream_tbEUlT_E_NS1_11comp_targetILNS1_3genE3ELNS1_11target_archE908ELNS1_3gpuE7ELNS1_3repE0EEENS1_44radix_sort_block_sort_config_static_selectorELNS0_4arch9wavefront6targetE1EEEvSJ_
    .private_segment_fixed_size: 0
    .sgpr_count:     4
    .sgpr_spill_count: 0
    .symbol:         _ZN7rocprim17ROCPRIM_400000_NS6detail17trampoline_kernelINS0_13kernel_configILj256ELj4ELj4294967295EEENS1_37radix_sort_block_sort_config_selectorItNS0_10empty_typeEEEZNS1_21radix_sort_block_sortIS4_Lb0EN6thrust23THRUST_200600_302600_NS6detail15normal_iteratorINSA_10device_ptrItEEEESF_PS6_SG_NS0_19identity_decomposerEEE10hipError_tT1_T2_T3_T4_jRjT5_jjP12ihipStream_tbEUlT_E_NS1_11comp_targetILNS1_3genE3ELNS1_11target_archE908ELNS1_3gpuE7ELNS1_3repE0EEENS1_44radix_sort_block_sort_config_static_selectorELNS0_4arch9wavefront6targetE1EEEvSJ_.kd
    .uniform_work_group_size: 1
    .uses_dynamic_stack: false
    .vgpr_count:     0
    .vgpr_spill_count: 0
    .wavefront_size: 64
  - .agpr_count:     0
    .args:
      - .offset:         0
        .size:           48
        .value_kind:     by_value
    .group_segment_fixed_size: 0
    .kernarg_segment_align: 8
    .kernarg_segment_size: 48
    .language:       OpenCL C
    .language_version:
      - 2
      - 0
    .max_flat_workgroup_size: 256
    .name:           _ZN7rocprim17ROCPRIM_400000_NS6detail17trampoline_kernelINS0_13kernel_configILj256ELj4ELj4294967295EEENS1_37radix_sort_block_sort_config_selectorItNS0_10empty_typeEEEZNS1_21radix_sort_block_sortIS4_Lb0EN6thrust23THRUST_200600_302600_NS6detail15normal_iteratorINSA_10device_ptrItEEEESF_PS6_SG_NS0_19identity_decomposerEEE10hipError_tT1_T2_T3_T4_jRjT5_jjP12ihipStream_tbEUlT_E_NS1_11comp_targetILNS1_3genE2ELNS1_11target_archE906ELNS1_3gpuE6ELNS1_3repE0EEENS1_44radix_sort_block_sort_config_static_selectorELNS0_4arch9wavefront6targetE1EEEvSJ_
    .private_segment_fixed_size: 0
    .sgpr_count:     4
    .sgpr_spill_count: 0
    .symbol:         _ZN7rocprim17ROCPRIM_400000_NS6detail17trampoline_kernelINS0_13kernel_configILj256ELj4ELj4294967295EEENS1_37radix_sort_block_sort_config_selectorItNS0_10empty_typeEEEZNS1_21radix_sort_block_sortIS4_Lb0EN6thrust23THRUST_200600_302600_NS6detail15normal_iteratorINSA_10device_ptrItEEEESF_PS6_SG_NS0_19identity_decomposerEEE10hipError_tT1_T2_T3_T4_jRjT5_jjP12ihipStream_tbEUlT_E_NS1_11comp_targetILNS1_3genE2ELNS1_11target_archE906ELNS1_3gpuE6ELNS1_3repE0EEENS1_44radix_sort_block_sort_config_static_selectorELNS0_4arch9wavefront6targetE1EEEvSJ_.kd
    .uniform_work_group_size: 1
    .uses_dynamic_stack: false
    .vgpr_count:     0
    .vgpr_spill_count: 0
    .wavefront_size: 64
  - .agpr_count:     0
    .args:
      - .offset:         0
        .size:           48
        .value_kind:     by_value
    .group_segment_fixed_size: 0
    .kernarg_segment_align: 8
    .kernarg_segment_size: 48
    .language:       OpenCL C
    .language_version:
      - 2
      - 0
    .max_flat_workgroup_size: 256
    .name:           _ZN7rocprim17ROCPRIM_400000_NS6detail17trampoline_kernelINS0_13kernel_configILj256ELj4ELj4294967295EEENS1_37radix_sort_block_sort_config_selectorItNS0_10empty_typeEEEZNS1_21radix_sort_block_sortIS4_Lb0EN6thrust23THRUST_200600_302600_NS6detail15normal_iteratorINSA_10device_ptrItEEEESF_PS6_SG_NS0_19identity_decomposerEEE10hipError_tT1_T2_T3_T4_jRjT5_jjP12ihipStream_tbEUlT_E_NS1_11comp_targetILNS1_3genE10ELNS1_11target_archE1201ELNS1_3gpuE5ELNS1_3repE0EEENS1_44radix_sort_block_sort_config_static_selectorELNS0_4arch9wavefront6targetE1EEEvSJ_
    .private_segment_fixed_size: 0
    .sgpr_count:     4
    .sgpr_spill_count: 0
    .symbol:         _ZN7rocprim17ROCPRIM_400000_NS6detail17trampoline_kernelINS0_13kernel_configILj256ELj4ELj4294967295EEENS1_37radix_sort_block_sort_config_selectorItNS0_10empty_typeEEEZNS1_21radix_sort_block_sortIS4_Lb0EN6thrust23THRUST_200600_302600_NS6detail15normal_iteratorINSA_10device_ptrItEEEESF_PS6_SG_NS0_19identity_decomposerEEE10hipError_tT1_T2_T3_T4_jRjT5_jjP12ihipStream_tbEUlT_E_NS1_11comp_targetILNS1_3genE10ELNS1_11target_archE1201ELNS1_3gpuE5ELNS1_3repE0EEENS1_44radix_sort_block_sort_config_static_selectorELNS0_4arch9wavefront6targetE1EEEvSJ_.kd
    .uniform_work_group_size: 1
    .uses_dynamic_stack: false
    .vgpr_count:     0
    .vgpr_spill_count: 0
    .wavefront_size: 64
  - .agpr_count:     0
    .args:
      - .offset:         0
        .size:           48
        .value_kind:     by_value
    .group_segment_fixed_size: 0
    .kernarg_segment_align: 8
    .kernarg_segment_size: 48
    .language:       OpenCL C
    .language_version:
      - 2
      - 0
    .max_flat_workgroup_size: 256
    .name:           _ZN7rocprim17ROCPRIM_400000_NS6detail17trampoline_kernelINS0_13kernel_configILj256ELj4ELj4294967295EEENS1_37radix_sort_block_sort_config_selectorItNS0_10empty_typeEEEZNS1_21radix_sort_block_sortIS4_Lb0EN6thrust23THRUST_200600_302600_NS6detail15normal_iteratorINSA_10device_ptrItEEEESF_PS6_SG_NS0_19identity_decomposerEEE10hipError_tT1_T2_T3_T4_jRjT5_jjP12ihipStream_tbEUlT_E_NS1_11comp_targetILNS1_3genE10ELNS1_11target_archE1200ELNS1_3gpuE4ELNS1_3repE0EEENS1_44radix_sort_block_sort_config_static_selectorELNS0_4arch9wavefront6targetE1EEEvSJ_
    .private_segment_fixed_size: 0
    .sgpr_count:     4
    .sgpr_spill_count: 0
    .symbol:         _ZN7rocprim17ROCPRIM_400000_NS6detail17trampoline_kernelINS0_13kernel_configILj256ELj4ELj4294967295EEENS1_37radix_sort_block_sort_config_selectorItNS0_10empty_typeEEEZNS1_21radix_sort_block_sortIS4_Lb0EN6thrust23THRUST_200600_302600_NS6detail15normal_iteratorINSA_10device_ptrItEEEESF_PS6_SG_NS0_19identity_decomposerEEE10hipError_tT1_T2_T3_T4_jRjT5_jjP12ihipStream_tbEUlT_E_NS1_11comp_targetILNS1_3genE10ELNS1_11target_archE1200ELNS1_3gpuE4ELNS1_3repE0EEENS1_44radix_sort_block_sort_config_static_selectorELNS0_4arch9wavefront6targetE1EEEvSJ_.kd
    .uniform_work_group_size: 1
    .uses_dynamic_stack: false
    .vgpr_count:     0
    .vgpr_spill_count: 0
    .wavefront_size: 64
  - .agpr_count:     0
    .args:
      - .offset:         0
        .size:           48
        .value_kind:     by_value
    .group_segment_fixed_size: 0
    .kernarg_segment_align: 8
    .kernarg_segment_size: 48
    .language:       OpenCL C
    .language_version:
      - 2
      - 0
    .max_flat_workgroup_size: 256
    .name:           _ZN7rocprim17ROCPRIM_400000_NS6detail17trampoline_kernelINS0_13kernel_configILj256ELj4ELj4294967295EEENS1_37radix_sort_block_sort_config_selectorItNS0_10empty_typeEEEZNS1_21radix_sort_block_sortIS4_Lb0EN6thrust23THRUST_200600_302600_NS6detail15normal_iteratorINSA_10device_ptrItEEEESF_PS6_SG_NS0_19identity_decomposerEEE10hipError_tT1_T2_T3_T4_jRjT5_jjP12ihipStream_tbEUlT_E_NS1_11comp_targetILNS1_3genE9ELNS1_11target_archE1100ELNS1_3gpuE3ELNS1_3repE0EEENS1_44radix_sort_block_sort_config_static_selectorELNS0_4arch9wavefront6targetE1EEEvSJ_
    .private_segment_fixed_size: 0
    .sgpr_count:     4
    .sgpr_spill_count: 0
    .symbol:         _ZN7rocprim17ROCPRIM_400000_NS6detail17trampoline_kernelINS0_13kernel_configILj256ELj4ELj4294967295EEENS1_37radix_sort_block_sort_config_selectorItNS0_10empty_typeEEEZNS1_21radix_sort_block_sortIS4_Lb0EN6thrust23THRUST_200600_302600_NS6detail15normal_iteratorINSA_10device_ptrItEEEESF_PS6_SG_NS0_19identity_decomposerEEE10hipError_tT1_T2_T3_T4_jRjT5_jjP12ihipStream_tbEUlT_E_NS1_11comp_targetILNS1_3genE9ELNS1_11target_archE1100ELNS1_3gpuE3ELNS1_3repE0EEENS1_44radix_sort_block_sort_config_static_selectorELNS0_4arch9wavefront6targetE1EEEvSJ_.kd
    .uniform_work_group_size: 1
    .uses_dynamic_stack: false
    .vgpr_count:     0
    .vgpr_spill_count: 0
    .wavefront_size: 64
  - .agpr_count:     0
    .args:
      - .offset:         0
        .size:           48
        .value_kind:     by_value
    .group_segment_fixed_size: 0
    .kernarg_segment_align: 8
    .kernarg_segment_size: 48
    .language:       OpenCL C
    .language_version:
      - 2
      - 0
    .max_flat_workgroup_size: 256
    .name:           _ZN7rocprim17ROCPRIM_400000_NS6detail17trampoline_kernelINS0_13kernel_configILj256ELj4ELj4294967295EEENS1_37radix_sort_block_sort_config_selectorItNS0_10empty_typeEEEZNS1_21radix_sort_block_sortIS4_Lb0EN6thrust23THRUST_200600_302600_NS6detail15normal_iteratorINSA_10device_ptrItEEEESF_PS6_SG_NS0_19identity_decomposerEEE10hipError_tT1_T2_T3_T4_jRjT5_jjP12ihipStream_tbEUlT_E_NS1_11comp_targetILNS1_3genE8ELNS1_11target_archE1030ELNS1_3gpuE2ELNS1_3repE0EEENS1_44radix_sort_block_sort_config_static_selectorELNS0_4arch9wavefront6targetE1EEEvSJ_
    .private_segment_fixed_size: 0
    .sgpr_count:     4
    .sgpr_spill_count: 0
    .symbol:         _ZN7rocprim17ROCPRIM_400000_NS6detail17trampoline_kernelINS0_13kernel_configILj256ELj4ELj4294967295EEENS1_37radix_sort_block_sort_config_selectorItNS0_10empty_typeEEEZNS1_21radix_sort_block_sortIS4_Lb0EN6thrust23THRUST_200600_302600_NS6detail15normal_iteratorINSA_10device_ptrItEEEESF_PS6_SG_NS0_19identity_decomposerEEE10hipError_tT1_T2_T3_T4_jRjT5_jjP12ihipStream_tbEUlT_E_NS1_11comp_targetILNS1_3genE8ELNS1_11target_archE1030ELNS1_3gpuE2ELNS1_3repE0EEENS1_44radix_sort_block_sort_config_static_selectorELNS0_4arch9wavefront6targetE1EEEvSJ_.kd
    .uniform_work_group_size: 1
    .uses_dynamic_stack: false
    .vgpr_count:     0
    .vgpr_spill_count: 0
    .wavefront_size: 64
  - .agpr_count:     0
    .args:           []
    .group_segment_fixed_size: 0
    .kernarg_segment_align: 4
    .kernarg_segment_size: 0
    .language:       OpenCL C
    .language_version:
      - 2
      - 0
    .max_flat_workgroup_size: 1024
    .name:           _ZN7rocprim17ROCPRIM_400000_NS6detail44device_merge_sort_compile_time_verifier_archINS1_11comp_targetILNS1_3genE0ELNS1_11target_archE4294967295ELNS1_3gpuE0ELNS1_3repE0EEES8_NS1_28merge_sort_block_sort_configILj256ELj4ELNS0_20block_sort_algorithmE0EEENS0_14default_configENS1_37merge_sort_block_sort_config_selectorItNS0_10empty_typeEEENS1_38merge_sort_block_merge_config_selectorItSE_EEEEvv
    .private_segment_fixed_size: 0
    .sgpr_count:     4
    .sgpr_spill_count: 0
    .symbol:         _ZN7rocprim17ROCPRIM_400000_NS6detail44device_merge_sort_compile_time_verifier_archINS1_11comp_targetILNS1_3genE0ELNS1_11target_archE4294967295ELNS1_3gpuE0ELNS1_3repE0EEES8_NS1_28merge_sort_block_sort_configILj256ELj4ELNS0_20block_sort_algorithmE0EEENS0_14default_configENS1_37merge_sort_block_sort_config_selectorItNS0_10empty_typeEEENS1_38merge_sort_block_merge_config_selectorItSE_EEEEvv.kd
    .uniform_work_group_size: 1
    .uses_dynamic_stack: false
    .vgpr_count:     0
    .vgpr_spill_count: 0
    .wavefront_size: 64
  - .agpr_count:     0
    .args:           []
    .group_segment_fixed_size: 0
    .kernarg_segment_align: 4
    .kernarg_segment_size: 0
    .language:       OpenCL C
    .language_version:
      - 2
      - 0
    .max_flat_workgroup_size: 1024
    .name:           _ZN7rocprim17ROCPRIM_400000_NS6detail44device_merge_sort_compile_time_verifier_archINS1_11comp_targetILNS1_3genE5ELNS1_11target_archE942ELNS1_3gpuE9ELNS1_3repE0EEES8_NS1_28merge_sort_block_sort_configILj256ELj4ELNS0_20block_sort_algorithmE0EEENS0_14default_configENS1_37merge_sort_block_sort_config_selectorItNS0_10empty_typeEEENS1_38merge_sort_block_merge_config_selectorItSE_EEEEvv
    .private_segment_fixed_size: 0
    .sgpr_count:     4
    .sgpr_spill_count: 0
    .symbol:         _ZN7rocprim17ROCPRIM_400000_NS6detail44device_merge_sort_compile_time_verifier_archINS1_11comp_targetILNS1_3genE5ELNS1_11target_archE942ELNS1_3gpuE9ELNS1_3repE0EEES8_NS1_28merge_sort_block_sort_configILj256ELj4ELNS0_20block_sort_algorithmE0EEENS0_14default_configENS1_37merge_sort_block_sort_config_selectorItNS0_10empty_typeEEENS1_38merge_sort_block_merge_config_selectorItSE_EEEEvv.kd
    .uniform_work_group_size: 1
    .uses_dynamic_stack: false
    .vgpr_count:     0
    .vgpr_spill_count: 0
    .wavefront_size: 64
  - .agpr_count:     0
    .args:           []
    .group_segment_fixed_size: 0
    .kernarg_segment_align: 4
    .kernarg_segment_size: 0
    .language:       OpenCL C
    .language_version:
      - 2
      - 0
    .max_flat_workgroup_size: 1024
    .name:           _ZN7rocprim17ROCPRIM_400000_NS6detail44device_merge_sort_compile_time_verifier_archINS1_11comp_targetILNS1_3genE4ELNS1_11target_archE910ELNS1_3gpuE8ELNS1_3repE0EEES8_NS1_28merge_sort_block_sort_configILj256ELj4ELNS0_20block_sort_algorithmE0EEENS0_14default_configENS1_37merge_sort_block_sort_config_selectorItNS0_10empty_typeEEENS1_38merge_sort_block_merge_config_selectorItSE_EEEEvv
    .private_segment_fixed_size: 0
    .sgpr_count:     4
    .sgpr_spill_count: 0
    .symbol:         _ZN7rocprim17ROCPRIM_400000_NS6detail44device_merge_sort_compile_time_verifier_archINS1_11comp_targetILNS1_3genE4ELNS1_11target_archE910ELNS1_3gpuE8ELNS1_3repE0EEES8_NS1_28merge_sort_block_sort_configILj256ELj4ELNS0_20block_sort_algorithmE0EEENS0_14default_configENS1_37merge_sort_block_sort_config_selectorItNS0_10empty_typeEEENS1_38merge_sort_block_merge_config_selectorItSE_EEEEvv.kd
    .uniform_work_group_size: 1
    .uses_dynamic_stack: false
    .vgpr_count:     0
    .vgpr_spill_count: 0
    .wavefront_size: 64
  - .agpr_count:     0
    .args:           []
    .group_segment_fixed_size: 0
    .kernarg_segment_align: 4
    .kernarg_segment_size: 0
    .language:       OpenCL C
    .language_version:
      - 2
      - 0
    .max_flat_workgroup_size: 1024
    .name:           _ZN7rocprim17ROCPRIM_400000_NS6detail44device_merge_sort_compile_time_verifier_archINS1_11comp_targetILNS1_3genE3ELNS1_11target_archE908ELNS1_3gpuE7ELNS1_3repE0EEES8_NS1_28merge_sort_block_sort_configILj256ELj4ELNS0_20block_sort_algorithmE0EEENS0_14default_configENS1_37merge_sort_block_sort_config_selectorItNS0_10empty_typeEEENS1_38merge_sort_block_merge_config_selectorItSE_EEEEvv
    .private_segment_fixed_size: 0
    .sgpr_count:     4
    .sgpr_spill_count: 0
    .symbol:         _ZN7rocprim17ROCPRIM_400000_NS6detail44device_merge_sort_compile_time_verifier_archINS1_11comp_targetILNS1_3genE3ELNS1_11target_archE908ELNS1_3gpuE7ELNS1_3repE0EEES8_NS1_28merge_sort_block_sort_configILj256ELj4ELNS0_20block_sort_algorithmE0EEENS0_14default_configENS1_37merge_sort_block_sort_config_selectorItNS0_10empty_typeEEENS1_38merge_sort_block_merge_config_selectorItSE_EEEEvv.kd
    .uniform_work_group_size: 1
    .uses_dynamic_stack: false
    .vgpr_count:     0
    .vgpr_spill_count: 0
    .wavefront_size: 64
  - .agpr_count:     0
    .args:           []
    .group_segment_fixed_size: 0
    .kernarg_segment_align: 4
    .kernarg_segment_size: 0
    .language:       OpenCL C
    .language_version:
      - 2
      - 0
    .max_flat_workgroup_size: 1024
    .name:           _ZN7rocprim17ROCPRIM_400000_NS6detail44device_merge_sort_compile_time_verifier_archINS1_11comp_targetILNS1_3genE2ELNS1_11target_archE906ELNS1_3gpuE6ELNS1_3repE0EEES8_NS1_28merge_sort_block_sort_configILj256ELj4ELNS0_20block_sort_algorithmE0EEENS0_14default_configENS1_37merge_sort_block_sort_config_selectorItNS0_10empty_typeEEENS1_38merge_sort_block_merge_config_selectorItSE_EEEEvv
    .private_segment_fixed_size: 0
    .sgpr_count:     4
    .sgpr_spill_count: 0
    .symbol:         _ZN7rocprim17ROCPRIM_400000_NS6detail44device_merge_sort_compile_time_verifier_archINS1_11comp_targetILNS1_3genE2ELNS1_11target_archE906ELNS1_3gpuE6ELNS1_3repE0EEES8_NS1_28merge_sort_block_sort_configILj256ELj4ELNS0_20block_sort_algorithmE0EEENS0_14default_configENS1_37merge_sort_block_sort_config_selectorItNS0_10empty_typeEEENS1_38merge_sort_block_merge_config_selectorItSE_EEEEvv.kd
    .uniform_work_group_size: 1
    .uses_dynamic_stack: false
    .vgpr_count:     0
    .vgpr_spill_count: 0
    .wavefront_size: 64
  - .agpr_count:     0
    .args:           []
    .group_segment_fixed_size: 0
    .kernarg_segment_align: 4
    .kernarg_segment_size: 0
    .language:       OpenCL C
    .language_version:
      - 2
      - 0
    .max_flat_workgroup_size: 1024
    .name:           _ZN7rocprim17ROCPRIM_400000_NS6detail44device_merge_sort_compile_time_verifier_archINS1_11comp_targetILNS1_3genE10ELNS1_11target_archE1201ELNS1_3gpuE5ELNS1_3repE0EEES8_NS1_28merge_sort_block_sort_configILj256ELj4ELNS0_20block_sort_algorithmE0EEENS0_14default_configENS1_37merge_sort_block_sort_config_selectorItNS0_10empty_typeEEENS1_38merge_sort_block_merge_config_selectorItSE_EEEEvv
    .private_segment_fixed_size: 0
    .sgpr_count:     4
    .sgpr_spill_count: 0
    .symbol:         _ZN7rocprim17ROCPRIM_400000_NS6detail44device_merge_sort_compile_time_verifier_archINS1_11comp_targetILNS1_3genE10ELNS1_11target_archE1201ELNS1_3gpuE5ELNS1_3repE0EEES8_NS1_28merge_sort_block_sort_configILj256ELj4ELNS0_20block_sort_algorithmE0EEENS0_14default_configENS1_37merge_sort_block_sort_config_selectorItNS0_10empty_typeEEENS1_38merge_sort_block_merge_config_selectorItSE_EEEEvv.kd
    .uniform_work_group_size: 1
    .uses_dynamic_stack: false
    .vgpr_count:     0
    .vgpr_spill_count: 0
    .wavefront_size: 64
  - .agpr_count:     0
    .args:           []
    .group_segment_fixed_size: 0
    .kernarg_segment_align: 4
    .kernarg_segment_size: 0
    .language:       OpenCL C
    .language_version:
      - 2
      - 0
    .max_flat_workgroup_size: 1024
    .name:           _ZN7rocprim17ROCPRIM_400000_NS6detail44device_merge_sort_compile_time_verifier_archINS1_11comp_targetILNS1_3genE10ELNS1_11target_archE1200ELNS1_3gpuE4ELNS1_3repE0EEENS3_ILS4_10ELS5_1201ELS6_5ELS7_0EEENS1_28merge_sort_block_sort_configILj256ELj4ELNS0_20block_sort_algorithmE0EEENS0_14default_configENS1_37merge_sort_block_sort_config_selectorItNS0_10empty_typeEEENS1_38merge_sort_block_merge_config_selectorItSF_EEEEvv
    .private_segment_fixed_size: 0
    .sgpr_count:     4
    .sgpr_spill_count: 0
    .symbol:         _ZN7rocprim17ROCPRIM_400000_NS6detail44device_merge_sort_compile_time_verifier_archINS1_11comp_targetILNS1_3genE10ELNS1_11target_archE1200ELNS1_3gpuE4ELNS1_3repE0EEENS3_ILS4_10ELS5_1201ELS6_5ELS7_0EEENS1_28merge_sort_block_sort_configILj256ELj4ELNS0_20block_sort_algorithmE0EEENS0_14default_configENS1_37merge_sort_block_sort_config_selectorItNS0_10empty_typeEEENS1_38merge_sort_block_merge_config_selectorItSF_EEEEvv.kd
    .uniform_work_group_size: 1
    .uses_dynamic_stack: false
    .vgpr_count:     0
    .vgpr_spill_count: 0
    .wavefront_size: 64
  - .agpr_count:     0
    .args:           []
    .group_segment_fixed_size: 0
    .kernarg_segment_align: 4
    .kernarg_segment_size: 0
    .language:       OpenCL C
    .language_version:
      - 2
      - 0
    .max_flat_workgroup_size: 1024
    .name:           _ZN7rocprim17ROCPRIM_400000_NS6detail44device_merge_sort_compile_time_verifier_archINS1_11comp_targetILNS1_3genE9ELNS1_11target_archE1100ELNS1_3gpuE3ELNS1_3repE0EEES8_NS1_28merge_sort_block_sort_configILj256ELj4ELNS0_20block_sort_algorithmE0EEENS0_14default_configENS1_37merge_sort_block_sort_config_selectorItNS0_10empty_typeEEENS1_38merge_sort_block_merge_config_selectorItSE_EEEEvv
    .private_segment_fixed_size: 0
    .sgpr_count:     4
    .sgpr_spill_count: 0
    .symbol:         _ZN7rocprim17ROCPRIM_400000_NS6detail44device_merge_sort_compile_time_verifier_archINS1_11comp_targetILNS1_3genE9ELNS1_11target_archE1100ELNS1_3gpuE3ELNS1_3repE0EEES8_NS1_28merge_sort_block_sort_configILj256ELj4ELNS0_20block_sort_algorithmE0EEENS0_14default_configENS1_37merge_sort_block_sort_config_selectorItNS0_10empty_typeEEENS1_38merge_sort_block_merge_config_selectorItSE_EEEEvv.kd
    .uniform_work_group_size: 1
    .uses_dynamic_stack: false
    .vgpr_count:     0
    .vgpr_spill_count: 0
    .wavefront_size: 64
  - .agpr_count:     0
    .args:           []
    .group_segment_fixed_size: 0
    .kernarg_segment_align: 4
    .kernarg_segment_size: 0
    .language:       OpenCL C
    .language_version:
      - 2
      - 0
    .max_flat_workgroup_size: 1024
    .name:           _ZN7rocprim17ROCPRIM_400000_NS6detail44device_merge_sort_compile_time_verifier_archINS1_11comp_targetILNS1_3genE8ELNS1_11target_archE1030ELNS1_3gpuE2ELNS1_3repE0EEES8_NS1_28merge_sort_block_sort_configILj256ELj4ELNS0_20block_sort_algorithmE0EEENS0_14default_configENS1_37merge_sort_block_sort_config_selectorItNS0_10empty_typeEEENS1_38merge_sort_block_merge_config_selectorItSE_EEEEvv
    .private_segment_fixed_size: 0
    .sgpr_count:     4
    .sgpr_spill_count: 0
    .symbol:         _ZN7rocprim17ROCPRIM_400000_NS6detail44device_merge_sort_compile_time_verifier_archINS1_11comp_targetILNS1_3genE8ELNS1_11target_archE1030ELNS1_3gpuE2ELNS1_3repE0EEES8_NS1_28merge_sort_block_sort_configILj256ELj4ELNS0_20block_sort_algorithmE0EEENS0_14default_configENS1_37merge_sort_block_sort_config_selectorItNS0_10empty_typeEEENS1_38merge_sort_block_merge_config_selectorItSE_EEEEvv.kd
    .uniform_work_group_size: 1
    .uses_dynamic_stack: false
    .vgpr_count:     0
    .vgpr_spill_count: 0
    .wavefront_size: 64
  - .agpr_count:     0
    .args:
      - .offset:         0
        .size:           40
        .value_kind:     by_value
    .group_segment_fixed_size: 0
    .kernarg_segment_align: 8
    .kernarg_segment_size: 40
    .language:       OpenCL C
    .language_version:
      - 2
      - 0
    .max_flat_workgroup_size: 128
    .name:           _ZN7rocprim17ROCPRIM_400000_NS6detail17trampoline_kernelINS0_14default_configENS1_38merge_sort_block_merge_config_selectorItNS0_10empty_typeEEEZZNS1_27merge_sort_block_merge_implIS3_N6thrust23THRUST_200600_302600_NS6detail15normal_iteratorINS9_10device_ptrItEEEEPS5_jNS1_19radix_merge_compareILb0ELb0EtNS0_19identity_decomposerEEEEE10hipError_tT0_T1_T2_jT3_P12ihipStream_tbPNSt15iterator_traitsISK_E10value_typeEPNSQ_ISL_E10value_typeEPSM_NS1_7vsmem_tEENKUlT_SK_SL_SM_E_clIPtSE_SF_SF_EESJ_SZ_SK_SL_SM_EUlSZ_E_NS1_11comp_targetILNS1_3genE0ELNS1_11target_archE4294967295ELNS1_3gpuE0ELNS1_3repE0EEENS1_48merge_mergepath_partition_config_static_selectorELNS0_4arch9wavefront6targetE1EEEvSL_
    .private_segment_fixed_size: 0
    .sgpr_count:     4
    .sgpr_spill_count: 0
    .symbol:         _ZN7rocprim17ROCPRIM_400000_NS6detail17trampoline_kernelINS0_14default_configENS1_38merge_sort_block_merge_config_selectorItNS0_10empty_typeEEEZZNS1_27merge_sort_block_merge_implIS3_N6thrust23THRUST_200600_302600_NS6detail15normal_iteratorINS9_10device_ptrItEEEEPS5_jNS1_19radix_merge_compareILb0ELb0EtNS0_19identity_decomposerEEEEE10hipError_tT0_T1_T2_jT3_P12ihipStream_tbPNSt15iterator_traitsISK_E10value_typeEPNSQ_ISL_E10value_typeEPSM_NS1_7vsmem_tEENKUlT_SK_SL_SM_E_clIPtSE_SF_SF_EESJ_SZ_SK_SL_SM_EUlSZ_E_NS1_11comp_targetILNS1_3genE0ELNS1_11target_archE4294967295ELNS1_3gpuE0ELNS1_3repE0EEENS1_48merge_mergepath_partition_config_static_selectorELNS0_4arch9wavefront6targetE1EEEvSL_.kd
    .uniform_work_group_size: 1
    .uses_dynamic_stack: false
    .vgpr_count:     0
    .vgpr_spill_count: 0
    .wavefront_size: 64
  - .agpr_count:     0
    .args:
      - .offset:         0
        .size:           40
        .value_kind:     by_value
    .group_segment_fixed_size: 0
    .kernarg_segment_align: 8
    .kernarg_segment_size: 40
    .language:       OpenCL C
    .language_version:
      - 2
      - 0
    .max_flat_workgroup_size: 128
    .name:           _ZN7rocprim17ROCPRIM_400000_NS6detail17trampoline_kernelINS0_14default_configENS1_38merge_sort_block_merge_config_selectorItNS0_10empty_typeEEEZZNS1_27merge_sort_block_merge_implIS3_N6thrust23THRUST_200600_302600_NS6detail15normal_iteratorINS9_10device_ptrItEEEEPS5_jNS1_19radix_merge_compareILb0ELb0EtNS0_19identity_decomposerEEEEE10hipError_tT0_T1_T2_jT3_P12ihipStream_tbPNSt15iterator_traitsISK_E10value_typeEPNSQ_ISL_E10value_typeEPSM_NS1_7vsmem_tEENKUlT_SK_SL_SM_E_clIPtSE_SF_SF_EESJ_SZ_SK_SL_SM_EUlSZ_E_NS1_11comp_targetILNS1_3genE10ELNS1_11target_archE1201ELNS1_3gpuE5ELNS1_3repE0EEENS1_48merge_mergepath_partition_config_static_selectorELNS0_4arch9wavefront6targetE1EEEvSL_
    .private_segment_fixed_size: 0
    .sgpr_count:     4
    .sgpr_spill_count: 0
    .symbol:         _ZN7rocprim17ROCPRIM_400000_NS6detail17trampoline_kernelINS0_14default_configENS1_38merge_sort_block_merge_config_selectorItNS0_10empty_typeEEEZZNS1_27merge_sort_block_merge_implIS3_N6thrust23THRUST_200600_302600_NS6detail15normal_iteratorINS9_10device_ptrItEEEEPS5_jNS1_19radix_merge_compareILb0ELb0EtNS0_19identity_decomposerEEEEE10hipError_tT0_T1_T2_jT3_P12ihipStream_tbPNSt15iterator_traitsISK_E10value_typeEPNSQ_ISL_E10value_typeEPSM_NS1_7vsmem_tEENKUlT_SK_SL_SM_E_clIPtSE_SF_SF_EESJ_SZ_SK_SL_SM_EUlSZ_E_NS1_11comp_targetILNS1_3genE10ELNS1_11target_archE1201ELNS1_3gpuE5ELNS1_3repE0EEENS1_48merge_mergepath_partition_config_static_selectorELNS0_4arch9wavefront6targetE1EEEvSL_.kd
    .uniform_work_group_size: 1
    .uses_dynamic_stack: false
    .vgpr_count:     0
    .vgpr_spill_count: 0
    .wavefront_size: 64
  - .agpr_count:     0
    .args:
      - .offset:         0
        .size:           40
        .value_kind:     by_value
    .group_segment_fixed_size: 0
    .kernarg_segment_align: 8
    .kernarg_segment_size: 40
    .language:       OpenCL C
    .language_version:
      - 2
      - 0
    .max_flat_workgroup_size: 128
    .name:           _ZN7rocprim17ROCPRIM_400000_NS6detail17trampoline_kernelINS0_14default_configENS1_38merge_sort_block_merge_config_selectorItNS0_10empty_typeEEEZZNS1_27merge_sort_block_merge_implIS3_N6thrust23THRUST_200600_302600_NS6detail15normal_iteratorINS9_10device_ptrItEEEEPS5_jNS1_19radix_merge_compareILb0ELb0EtNS0_19identity_decomposerEEEEE10hipError_tT0_T1_T2_jT3_P12ihipStream_tbPNSt15iterator_traitsISK_E10value_typeEPNSQ_ISL_E10value_typeEPSM_NS1_7vsmem_tEENKUlT_SK_SL_SM_E_clIPtSE_SF_SF_EESJ_SZ_SK_SL_SM_EUlSZ_E_NS1_11comp_targetILNS1_3genE5ELNS1_11target_archE942ELNS1_3gpuE9ELNS1_3repE0EEENS1_48merge_mergepath_partition_config_static_selectorELNS0_4arch9wavefront6targetE1EEEvSL_
    .private_segment_fixed_size: 0
    .sgpr_count:     4
    .sgpr_spill_count: 0
    .symbol:         _ZN7rocprim17ROCPRIM_400000_NS6detail17trampoline_kernelINS0_14default_configENS1_38merge_sort_block_merge_config_selectorItNS0_10empty_typeEEEZZNS1_27merge_sort_block_merge_implIS3_N6thrust23THRUST_200600_302600_NS6detail15normal_iteratorINS9_10device_ptrItEEEEPS5_jNS1_19radix_merge_compareILb0ELb0EtNS0_19identity_decomposerEEEEE10hipError_tT0_T1_T2_jT3_P12ihipStream_tbPNSt15iterator_traitsISK_E10value_typeEPNSQ_ISL_E10value_typeEPSM_NS1_7vsmem_tEENKUlT_SK_SL_SM_E_clIPtSE_SF_SF_EESJ_SZ_SK_SL_SM_EUlSZ_E_NS1_11comp_targetILNS1_3genE5ELNS1_11target_archE942ELNS1_3gpuE9ELNS1_3repE0EEENS1_48merge_mergepath_partition_config_static_selectorELNS0_4arch9wavefront6targetE1EEEvSL_.kd
    .uniform_work_group_size: 1
    .uses_dynamic_stack: false
    .vgpr_count:     0
    .vgpr_spill_count: 0
    .wavefront_size: 64
  - .agpr_count:     0
    .args:
      - .offset:         0
        .size:           40
        .value_kind:     by_value
    .group_segment_fixed_size: 0
    .kernarg_segment_align: 8
    .kernarg_segment_size: 40
    .language:       OpenCL C
    .language_version:
      - 2
      - 0
    .max_flat_workgroup_size: 128
    .name:           _ZN7rocprim17ROCPRIM_400000_NS6detail17trampoline_kernelINS0_14default_configENS1_38merge_sort_block_merge_config_selectorItNS0_10empty_typeEEEZZNS1_27merge_sort_block_merge_implIS3_N6thrust23THRUST_200600_302600_NS6detail15normal_iteratorINS9_10device_ptrItEEEEPS5_jNS1_19radix_merge_compareILb0ELb0EtNS0_19identity_decomposerEEEEE10hipError_tT0_T1_T2_jT3_P12ihipStream_tbPNSt15iterator_traitsISK_E10value_typeEPNSQ_ISL_E10value_typeEPSM_NS1_7vsmem_tEENKUlT_SK_SL_SM_E_clIPtSE_SF_SF_EESJ_SZ_SK_SL_SM_EUlSZ_E_NS1_11comp_targetILNS1_3genE4ELNS1_11target_archE910ELNS1_3gpuE8ELNS1_3repE0EEENS1_48merge_mergepath_partition_config_static_selectorELNS0_4arch9wavefront6targetE1EEEvSL_
    .private_segment_fixed_size: 0
    .sgpr_count:     12
    .sgpr_spill_count: 0
    .symbol:         _ZN7rocprim17ROCPRIM_400000_NS6detail17trampoline_kernelINS0_14default_configENS1_38merge_sort_block_merge_config_selectorItNS0_10empty_typeEEEZZNS1_27merge_sort_block_merge_implIS3_N6thrust23THRUST_200600_302600_NS6detail15normal_iteratorINS9_10device_ptrItEEEEPS5_jNS1_19radix_merge_compareILb0ELb0EtNS0_19identity_decomposerEEEEE10hipError_tT0_T1_T2_jT3_P12ihipStream_tbPNSt15iterator_traitsISK_E10value_typeEPNSQ_ISL_E10value_typeEPSM_NS1_7vsmem_tEENKUlT_SK_SL_SM_E_clIPtSE_SF_SF_EESJ_SZ_SK_SL_SM_EUlSZ_E_NS1_11comp_targetILNS1_3genE4ELNS1_11target_archE910ELNS1_3gpuE8ELNS1_3repE0EEENS1_48merge_mergepath_partition_config_static_selectorELNS0_4arch9wavefront6targetE1EEEvSL_.kd
    .uniform_work_group_size: 1
    .uses_dynamic_stack: false
    .vgpr_count:     15
    .vgpr_spill_count: 0
    .wavefront_size: 64
  - .agpr_count:     0
    .args:
      - .offset:         0
        .size:           40
        .value_kind:     by_value
    .group_segment_fixed_size: 0
    .kernarg_segment_align: 8
    .kernarg_segment_size: 40
    .language:       OpenCL C
    .language_version:
      - 2
      - 0
    .max_flat_workgroup_size: 128
    .name:           _ZN7rocprim17ROCPRIM_400000_NS6detail17trampoline_kernelINS0_14default_configENS1_38merge_sort_block_merge_config_selectorItNS0_10empty_typeEEEZZNS1_27merge_sort_block_merge_implIS3_N6thrust23THRUST_200600_302600_NS6detail15normal_iteratorINS9_10device_ptrItEEEEPS5_jNS1_19radix_merge_compareILb0ELb0EtNS0_19identity_decomposerEEEEE10hipError_tT0_T1_T2_jT3_P12ihipStream_tbPNSt15iterator_traitsISK_E10value_typeEPNSQ_ISL_E10value_typeEPSM_NS1_7vsmem_tEENKUlT_SK_SL_SM_E_clIPtSE_SF_SF_EESJ_SZ_SK_SL_SM_EUlSZ_E_NS1_11comp_targetILNS1_3genE3ELNS1_11target_archE908ELNS1_3gpuE7ELNS1_3repE0EEENS1_48merge_mergepath_partition_config_static_selectorELNS0_4arch9wavefront6targetE1EEEvSL_
    .private_segment_fixed_size: 0
    .sgpr_count:     4
    .sgpr_spill_count: 0
    .symbol:         _ZN7rocprim17ROCPRIM_400000_NS6detail17trampoline_kernelINS0_14default_configENS1_38merge_sort_block_merge_config_selectorItNS0_10empty_typeEEEZZNS1_27merge_sort_block_merge_implIS3_N6thrust23THRUST_200600_302600_NS6detail15normal_iteratorINS9_10device_ptrItEEEEPS5_jNS1_19radix_merge_compareILb0ELb0EtNS0_19identity_decomposerEEEEE10hipError_tT0_T1_T2_jT3_P12ihipStream_tbPNSt15iterator_traitsISK_E10value_typeEPNSQ_ISL_E10value_typeEPSM_NS1_7vsmem_tEENKUlT_SK_SL_SM_E_clIPtSE_SF_SF_EESJ_SZ_SK_SL_SM_EUlSZ_E_NS1_11comp_targetILNS1_3genE3ELNS1_11target_archE908ELNS1_3gpuE7ELNS1_3repE0EEENS1_48merge_mergepath_partition_config_static_selectorELNS0_4arch9wavefront6targetE1EEEvSL_.kd
    .uniform_work_group_size: 1
    .uses_dynamic_stack: false
    .vgpr_count:     0
    .vgpr_spill_count: 0
    .wavefront_size: 64
  - .agpr_count:     0
    .args:
      - .offset:         0
        .size:           40
        .value_kind:     by_value
    .group_segment_fixed_size: 0
    .kernarg_segment_align: 8
    .kernarg_segment_size: 40
    .language:       OpenCL C
    .language_version:
      - 2
      - 0
    .max_flat_workgroup_size: 128
    .name:           _ZN7rocprim17ROCPRIM_400000_NS6detail17trampoline_kernelINS0_14default_configENS1_38merge_sort_block_merge_config_selectorItNS0_10empty_typeEEEZZNS1_27merge_sort_block_merge_implIS3_N6thrust23THRUST_200600_302600_NS6detail15normal_iteratorINS9_10device_ptrItEEEEPS5_jNS1_19radix_merge_compareILb0ELb0EtNS0_19identity_decomposerEEEEE10hipError_tT0_T1_T2_jT3_P12ihipStream_tbPNSt15iterator_traitsISK_E10value_typeEPNSQ_ISL_E10value_typeEPSM_NS1_7vsmem_tEENKUlT_SK_SL_SM_E_clIPtSE_SF_SF_EESJ_SZ_SK_SL_SM_EUlSZ_E_NS1_11comp_targetILNS1_3genE2ELNS1_11target_archE906ELNS1_3gpuE6ELNS1_3repE0EEENS1_48merge_mergepath_partition_config_static_selectorELNS0_4arch9wavefront6targetE1EEEvSL_
    .private_segment_fixed_size: 0
    .sgpr_count:     4
    .sgpr_spill_count: 0
    .symbol:         _ZN7rocprim17ROCPRIM_400000_NS6detail17trampoline_kernelINS0_14default_configENS1_38merge_sort_block_merge_config_selectorItNS0_10empty_typeEEEZZNS1_27merge_sort_block_merge_implIS3_N6thrust23THRUST_200600_302600_NS6detail15normal_iteratorINS9_10device_ptrItEEEEPS5_jNS1_19radix_merge_compareILb0ELb0EtNS0_19identity_decomposerEEEEE10hipError_tT0_T1_T2_jT3_P12ihipStream_tbPNSt15iterator_traitsISK_E10value_typeEPNSQ_ISL_E10value_typeEPSM_NS1_7vsmem_tEENKUlT_SK_SL_SM_E_clIPtSE_SF_SF_EESJ_SZ_SK_SL_SM_EUlSZ_E_NS1_11comp_targetILNS1_3genE2ELNS1_11target_archE906ELNS1_3gpuE6ELNS1_3repE0EEENS1_48merge_mergepath_partition_config_static_selectorELNS0_4arch9wavefront6targetE1EEEvSL_.kd
    .uniform_work_group_size: 1
    .uses_dynamic_stack: false
    .vgpr_count:     0
    .vgpr_spill_count: 0
    .wavefront_size: 64
  - .agpr_count:     0
    .args:
      - .offset:         0
        .size:           40
        .value_kind:     by_value
    .group_segment_fixed_size: 0
    .kernarg_segment_align: 8
    .kernarg_segment_size: 40
    .language:       OpenCL C
    .language_version:
      - 2
      - 0
    .max_flat_workgroup_size: 128
    .name:           _ZN7rocprim17ROCPRIM_400000_NS6detail17trampoline_kernelINS0_14default_configENS1_38merge_sort_block_merge_config_selectorItNS0_10empty_typeEEEZZNS1_27merge_sort_block_merge_implIS3_N6thrust23THRUST_200600_302600_NS6detail15normal_iteratorINS9_10device_ptrItEEEEPS5_jNS1_19radix_merge_compareILb0ELb0EtNS0_19identity_decomposerEEEEE10hipError_tT0_T1_T2_jT3_P12ihipStream_tbPNSt15iterator_traitsISK_E10value_typeEPNSQ_ISL_E10value_typeEPSM_NS1_7vsmem_tEENKUlT_SK_SL_SM_E_clIPtSE_SF_SF_EESJ_SZ_SK_SL_SM_EUlSZ_E_NS1_11comp_targetILNS1_3genE9ELNS1_11target_archE1100ELNS1_3gpuE3ELNS1_3repE0EEENS1_48merge_mergepath_partition_config_static_selectorELNS0_4arch9wavefront6targetE1EEEvSL_
    .private_segment_fixed_size: 0
    .sgpr_count:     4
    .sgpr_spill_count: 0
    .symbol:         _ZN7rocprim17ROCPRIM_400000_NS6detail17trampoline_kernelINS0_14default_configENS1_38merge_sort_block_merge_config_selectorItNS0_10empty_typeEEEZZNS1_27merge_sort_block_merge_implIS3_N6thrust23THRUST_200600_302600_NS6detail15normal_iteratorINS9_10device_ptrItEEEEPS5_jNS1_19radix_merge_compareILb0ELb0EtNS0_19identity_decomposerEEEEE10hipError_tT0_T1_T2_jT3_P12ihipStream_tbPNSt15iterator_traitsISK_E10value_typeEPNSQ_ISL_E10value_typeEPSM_NS1_7vsmem_tEENKUlT_SK_SL_SM_E_clIPtSE_SF_SF_EESJ_SZ_SK_SL_SM_EUlSZ_E_NS1_11comp_targetILNS1_3genE9ELNS1_11target_archE1100ELNS1_3gpuE3ELNS1_3repE0EEENS1_48merge_mergepath_partition_config_static_selectorELNS0_4arch9wavefront6targetE1EEEvSL_.kd
    .uniform_work_group_size: 1
    .uses_dynamic_stack: false
    .vgpr_count:     0
    .vgpr_spill_count: 0
    .wavefront_size: 64
  - .agpr_count:     0
    .args:
      - .offset:         0
        .size:           40
        .value_kind:     by_value
    .group_segment_fixed_size: 0
    .kernarg_segment_align: 8
    .kernarg_segment_size: 40
    .language:       OpenCL C
    .language_version:
      - 2
      - 0
    .max_flat_workgroup_size: 128
    .name:           _ZN7rocprim17ROCPRIM_400000_NS6detail17trampoline_kernelINS0_14default_configENS1_38merge_sort_block_merge_config_selectorItNS0_10empty_typeEEEZZNS1_27merge_sort_block_merge_implIS3_N6thrust23THRUST_200600_302600_NS6detail15normal_iteratorINS9_10device_ptrItEEEEPS5_jNS1_19radix_merge_compareILb0ELb0EtNS0_19identity_decomposerEEEEE10hipError_tT0_T1_T2_jT3_P12ihipStream_tbPNSt15iterator_traitsISK_E10value_typeEPNSQ_ISL_E10value_typeEPSM_NS1_7vsmem_tEENKUlT_SK_SL_SM_E_clIPtSE_SF_SF_EESJ_SZ_SK_SL_SM_EUlSZ_E_NS1_11comp_targetILNS1_3genE8ELNS1_11target_archE1030ELNS1_3gpuE2ELNS1_3repE0EEENS1_48merge_mergepath_partition_config_static_selectorELNS0_4arch9wavefront6targetE1EEEvSL_
    .private_segment_fixed_size: 0
    .sgpr_count:     4
    .sgpr_spill_count: 0
    .symbol:         _ZN7rocprim17ROCPRIM_400000_NS6detail17trampoline_kernelINS0_14default_configENS1_38merge_sort_block_merge_config_selectorItNS0_10empty_typeEEEZZNS1_27merge_sort_block_merge_implIS3_N6thrust23THRUST_200600_302600_NS6detail15normal_iteratorINS9_10device_ptrItEEEEPS5_jNS1_19radix_merge_compareILb0ELb0EtNS0_19identity_decomposerEEEEE10hipError_tT0_T1_T2_jT3_P12ihipStream_tbPNSt15iterator_traitsISK_E10value_typeEPNSQ_ISL_E10value_typeEPSM_NS1_7vsmem_tEENKUlT_SK_SL_SM_E_clIPtSE_SF_SF_EESJ_SZ_SK_SL_SM_EUlSZ_E_NS1_11comp_targetILNS1_3genE8ELNS1_11target_archE1030ELNS1_3gpuE2ELNS1_3repE0EEENS1_48merge_mergepath_partition_config_static_selectorELNS0_4arch9wavefront6targetE1EEEvSL_.kd
    .uniform_work_group_size: 1
    .uses_dynamic_stack: false
    .vgpr_count:     0
    .vgpr_spill_count: 0
    .wavefront_size: 64
  - .agpr_count:     0
    .args:
      - .offset:         0
        .size:           64
        .value_kind:     by_value
    .group_segment_fixed_size: 0
    .kernarg_segment_align: 8
    .kernarg_segment_size: 64
    .language:       OpenCL C
    .language_version:
      - 2
      - 0
    .max_flat_workgroup_size: 128
    .name:           _ZN7rocprim17ROCPRIM_400000_NS6detail17trampoline_kernelINS0_14default_configENS1_38merge_sort_block_merge_config_selectorItNS0_10empty_typeEEEZZNS1_27merge_sort_block_merge_implIS3_N6thrust23THRUST_200600_302600_NS6detail15normal_iteratorINS9_10device_ptrItEEEEPS5_jNS1_19radix_merge_compareILb0ELb0EtNS0_19identity_decomposerEEEEE10hipError_tT0_T1_T2_jT3_P12ihipStream_tbPNSt15iterator_traitsISK_E10value_typeEPNSQ_ISL_E10value_typeEPSM_NS1_7vsmem_tEENKUlT_SK_SL_SM_E_clIPtSE_SF_SF_EESJ_SZ_SK_SL_SM_EUlSZ_E0_NS1_11comp_targetILNS1_3genE0ELNS1_11target_archE4294967295ELNS1_3gpuE0ELNS1_3repE0EEENS1_38merge_mergepath_config_static_selectorELNS0_4arch9wavefront6targetE1EEEvSL_
    .private_segment_fixed_size: 0
    .sgpr_count:     4
    .sgpr_spill_count: 0
    .symbol:         _ZN7rocprim17ROCPRIM_400000_NS6detail17trampoline_kernelINS0_14default_configENS1_38merge_sort_block_merge_config_selectorItNS0_10empty_typeEEEZZNS1_27merge_sort_block_merge_implIS3_N6thrust23THRUST_200600_302600_NS6detail15normal_iteratorINS9_10device_ptrItEEEEPS5_jNS1_19radix_merge_compareILb0ELb0EtNS0_19identity_decomposerEEEEE10hipError_tT0_T1_T2_jT3_P12ihipStream_tbPNSt15iterator_traitsISK_E10value_typeEPNSQ_ISL_E10value_typeEPSM_NS1_7vsmem_tEENKUlT_SK_SL_SM_E_clIPtSE_SF_SF_EESJ_SZ_SK_SL_SM_EUlSZ_E0_NS1_11comp_targetILNS1_3genE0ELNS1_11target_archE4294967295ELNS1_3gpuE0ELNS1_3repE0EEENS1_38merge_mergepath_config_static_selectorELNS0_4arch9wavefront6targetE1EEEvSL_.kd
    .uniform_work_group_size: 1
    .uses_dynamic_stack: false
    .vgpr_count:     0
    .vgpr_spill_count: 0
    .wavefront_size: 64
  - .agpr_count:     0
    .args:
      - .offset:         0
        .size:           64
        .value_kind:     by_value
    .group_segment_fixed_size: 0
    .kernarg_segment_align: 8
    .kernarg_segment_size: 64
    .language:       OpenCL C
    .language_version:
      - 2
      - 0
    .max_flat_workgroup_size: 128
    .name:           _ZN7rocprim17ROCPRIM_400000_NS6detail17trampoline_kernelINS0_14default_configENS1_38merge_sort_block_merge_config_selectorItNS0_10empty_typeEEEZZNS1_27merge_sort_block_merge_implIS3_N6thrust23THRUST_200600_302600_NS6detail15normal_iteratorINS9_10device_ptrItEEEEPS5_jNS1_19radix_merge_compareILb0ELb0EtNS0_19identity_decomposerEEEEE10hipError_tT0_T1_T2_jT3_P12ihipStream_tbPNSt15iterator_traitsISK_E10value_typeEPNSQ_ISL_E10value_typeEPSM_NS1_7vsmem_tEENKUlT_SK_SL_SM_E_clIPtSE_SF_SF_EESJ_SZ_SK_SL_SM_EUlSZ_E0_NS1_11comp_targetILNS1_3genE10ELNS1_11target_archE1201ELNS1_3gpuE5ELNS1_3repE0EEENS1_38merge_mergepath_config_static_selectorELNS0_4arch9wavefront6targetE1EEEvSL_
    .private_segment_fixed_size: 0
    .sgpr_count:     4
    .sgpr_spill_count: 0
    .symbol:         _ZN7rocprim17ROCPRIM_400000_NS6detail17trampoline_kernelINS0_14default_configENS1_38merge_sort_block_merge_config_selectorItNS0_10empty_typeEEEZZNS1_27merge_sort_block_merge_implIS3_N6thrust23THRUST_200600_302600_NS6detail15normal_iteratorINS9_10device_ptrItEEEEPS5_jNS1_19radix_merge_compareILb0ELb0EtNS0_19identity_decomposerEEEEE10hipError_tT0_T1_T2_jT3_P12ihipStream_tbPNSt15iterator_traitsISK_E10value_typeEPNSQ_ISL_E10value_typeEPSM_NS1_7vsmem_tEENKUlT_SK_SL_SM_E_clIPtSE_SF_SF_EESJ_SZ_SK_SL_SM_EUlSZ_E0_NS1_11comp_targetILNS1_3genE10ELNS1_11target_archE1201ELNS1_3gpuE5ELNS1_3repE0EEENS1_38merge_mergepath_config_static_selectorELNS0_4arch9wavefront6targetE1EEEvSL_.kd
    .uniform_work_group_size: 1
    .uses_dynamic_stack: false
    .vgpr_count:     0
    .vgpr_spill_count: 0
    .wavefront_size: 64
  - .agpr_count:     0
    .args:
      - .offset:         0
        .size:           64
        .value_kind:     by_value
    .group_segment_fixed_size: 0
    .kernarg_segment_align: 8
    .kernarg_segment_size: 64
    .language:       OpenCL C
    .language_version:
      - 2
      - 0
    .max_flat_workgroup_size: 128
    .name:           _ZN7rocprim17ROCPRIM_400000_NS6detail17trampoline_kernelINS0_14default_configENS1_38merge_sort_block_merge_config_selectorItNS0_10empty_typeEEEZZNS1_27merge_sort_block_merge_implIS3_N6thrust23THRUST_200600_302600_NS6detail15normal_iteratorINS9_10device_ptrItEEEEPS5_jNS1_19radix_merge_compareILb0ELb0EtNS0_19identity_decomposerEEEEE10hipError_tT0_T1_T2_jT3_P12ihipStream_tbPNSt15iterator_traitsISK_E10value_typeEPNSQ_ISL_E10value_typeEPSM_NS1_7vsmem_tEENKUlT_SK_SL_SM_E_clIPtSE_SF_SF_EESJ_SZ_SK_SL_SM_EUlSZ_E0_NS1_11comp_targetILNS1_3genE5ELNS1_11target_archE942ELNS1_3gpuE9ELNS1_3repE0EEENS1_38merge_mergepath_config_static_selectorELNS0_4arch9wavefront6targetE1EEEvSL_
    .private_segment_fixed_size: 0
    .sgpr_count:     4
    .sgpr_spill_count: 0
    .symbol:         _ZN7rocprim17ROCPRIM_400000_NS6detail17trampoline_kernelINS0_14default_configENS1_38merge_sort_block_merge_config_selectorItNS0_10empty_typeEEEZZNS1_27merge_sort_block_merge_implIS3_N6thrust23THRUST_200600_302600_NS6detail15normal_iteratorINS9_10device_ptrItEEEEPS5_jNS1_19radix_merge_compareILb0ELb0EtNS0_19identity_decomposerEEEEE10hipError_tT0_T1_T2_jT3_P12ihipStream_tbPNSt15iterator_traitsISK_E10value_typeEPNSQ_ISL_E10value_typeEPSM_NS1_7vsmem_tEENKUlT_SK_SL_SM_E_clIPtSE_SF_SF_EESJ_SZ_SK_SL_SM_EUlSZ_E0_NS1_11comp_targetILNS1_3genE5ELNS1_11target_archE942ELNS1_3gpuE9ELNS1_3repE0EEENS1_38merge_mergepath_config_static_selectorELNS0_4arch9wavefront6targetE1EEEvSL_.kd
    .uniform_work_group_size: 1
    .uses_dynamic_stack: false
    .vgpr_count:     0
    .vgpr_spill_count: 0
    .wavefront_size: 64
  - .agpr_count:     0
    .args:
      - .offset:         0
        .size:           64
        .value_kind:     by_value
      - .offset:         64
        .size:           4
        .value_kind:     hidden_block_count_x
      - .offset:         68
        .size:           4
        .value_kind:     hidden_block_count_y
      - .offset:         72
        .size:           4
        .value_kind:     hidden_block_count_z
      - .offset:         76
        .size:           2
        .value_kind:     hidden_group_size_x
      - .offset:         78
        .size:           2
        .value_kind:     hidden_group_size_y
      - .offset:         80
        .size:           2
        .value_kind:     hidden_group_size_z
      - .offset:         82
        .size:           2
        .value_kind:     hidden_remainder_x
      - .offset:         84
        .size:           2
        .value_kind:     hidden_remainder_y
      - .offset:         86
        .size:           2
        .value_kind:     hidden_remainder_z
      - .offset:         104
        .size:           8
        .value_kind:     hidden_global_offset_x
      - .offset:         112
        .size:           8
        .value_kind:     hidden_global_offset_y
      - .offset:         120
        .size:           8
        .value_kind:     hidden_global_offset_z
      - .offset:         128
        .size:           2
        .value_kind:     hidden_grid_dims
    .group_segment_fixed_size: 2112
    .kernarg_segment_align: 8
    .kernarg_segment_size: 320
    .language:       OpenCL C
    .language_version:
      - 2
      - 0
    .max_flat_workgroup_size: 128
    .name:           _ZN7rocprim17ROCPRIM_400000_NS6detail17trampoline_kernelINS0_14default_configENS1_38merge_sort_block_merge_config_selectorItNS0_10empty_typeEEEZZNS1_27merge_sort_block_merge_implIS3_N6thrust23THRUST_200600_302600_NS6detail15normal_iteratorINS9_10device_ptrItEEEEPS5_jNS1_19radix_merge_compareILb0ELb0EtNS0_19identity_decomposerEEEEE10hipError_tT0_T1_T2_jT3_P12ihipStream_tbPNSt15iterator_traitsISK_E10value_typeEPNSQ_ISL_E10value_typeEPSM_NS1_7vsmem_tEENKUlT_SK_SL_SM_E_clIPtSE_SF_SF_EESJ_SZ_SK_SL_SM_EUlSZ_E0_NS1_11comp_targetILNS1_3genE4ELNS1_11target_archE910ELNS1_3gpuE8ELNS1_3repE0EEENS1_38merge_mergepath_config_static_selectorELNS0_4arch9wavefront6targetE1EEEvSL_
    .private_segment_fixed_size: 0
    .sgpr_count:     28
    .sgpr_spill_count: 0
    .symbol:         _ZN7rocprim17ROCPRIM_400000_NS6detail17trampoline_kernelINS0_14default_configENS1_38merge_sort_block_merge_config_selectorItNS0_10empty_typeEEEZZNS1_27merge_sort_block_merge_implIS3_N6thrust23THRUST_200600_302600_NS6detail15normal_iteratorINS9_10device_ptrItEEEEPS5_jNS1_19radix_merge_compareILb0ELb0EtNS0_19identity_decomposerEEEEE10hipError_tT0_T1_T2_jT3_P12ihipStream_tbPNSt15iterator_traitsISK_E10value_typeEPNSQ_ISL_E10value_typeEPSM_NS1_7vsmem_tEENKUlT_SK_SL_SM_E_clIPtSE_SF_SF_EESJ_SZ_SK_SL_SM_EUlSZ_E0_NS1_11comp_targetILNS1_3genE4ELNS1_11target_archE910ELNS1_3gpuE8ELNS1_3repE0EEENS1_38merge_mergepath_config_static_selectorELNS0_4arch9wavefront6targetE1EEEvSL_.kd
    .uniform_work_group_size: 1
    .uses_dynamic_stack: false
    .vgpr_count:     26
    .vgpr_spill_count: 0
    .wavefront_size: 64
  - .agpr_count:     0
    .args:
      - .offset:         0
        .size:           64
        .value_kind:     by_value
    .group_segment_fixed_size: 0
    .kernarg_segment_align: 8
    .kernarg_segment_size: 64
    .language:       OpenCL C
    .language_version:
      - 2
      - 0
    .max_flat_workgroup_size: 128
    .name:           _ZN7rocprim17ROCPRIM_400000_NS6detail17trampoline_kernelINS0_14default_configENS1_38merge_sort_block_merge_config_selectorItNS0_10empty_typeEEEZZNS1_27merge_sort_block_merge_implIS3_N6thrust23THRUST_200600_302600_NS6detail15normal_iteratorINS9_10device_ptrItEEEEPS5_jNS1_19radix_merge_compareILb0ELb0EtNS0_19identity_decomposerEEEEE10hipError_tT0_T1_T2_jT3_P12ihipStream_tbPNSt15iterator_traitsISK_E10value_typeEPNSQ_ISL_E10value_typeEPSM_NS1_7vsmem_tEENKUlT_SK_SL_SM_E_clIPtSE_SF_SF_EESJ_SZ_SK_SL_SM_EUlSZ_E0_NS1_11comp_targetILNS1_3genE3ELNS1_11target_archE908ELNS1_3gpuE7ELNS1_3repE0EEENS1_38merge_mergepath_config_static_selectorELNS0_4arch9wavefront6targetE1EEEvSL_
    .private_segment_fixed_size: 0
    .sgpr_count:     4
    .sgpr_spill_count: 0
    .symbol:         _ZN7rocprim17ROCPRIM_400000_NS6detail17trampoline_kernelINS0_14default_configENS1_38merge_sort_block_merge_config_selectorItNS0_10empty_typeEEEZZNS1_27merge_sort_block_merge_implIS3_N6thrust23THRUST_200600_302600_NS6detail15normal_iteratorINS9_10device_ptrItEEEEPS5_jNS1_19radix_merge_compareILb0ELb0EtNS0_19identity_decomposerEEEEE10hipError_tT0_T1_T2_jT3_P12ihipStream_tbPNSt15iterator_traitsISK_E10value_typeEPNSQ_ISL_E10value_typeEPSM_NS1_7vsmem_tEENKUlT_SK_SL_SM_E_clIPtSE_SF_SF_EESJ_SZ_SK_SL_SM_EUlSZ_E0_NS1_11comp_targetILNS1_3genE3ELNS1_11target_archE908ELNS1_3gpuE7ELNS1_3repE0EEENS1_38merge_mergepath_config_static_selectorELNS0_4arch9wavefront6targetE1EEEvSL_.kd
    .uniform_work_group_size: 1
    .uses_dynamic_stack: false
    .vgpr_count:     0
    .vgpr_spill_count: 0
    .wavefront_size: 64
  - .agpr_count:     0
    .args:
      - .offset:         0
        .size:           64
        .value_kind:     by_value
    .group_segment_fixed_size: 0
    .kernarg_segment_align: 8
    .kernarg_segment_size: 64
    .language:       OpenCL C
    .language_version:
      - 2
      - 0
    .max_flat_workgroup_size: 128
    .name:           _ZN7rocprim17ROCPRIM_400000_NS6detail17trampoline_kernelINS0_14default_configENS1_38merge_sort_block_merge_config_selectorItNS0_10empty_typeEEEZZNS1_27merge_sort_block_merge_implIS3_N6thrust23THRUST_200600_302600_NS6detail15normal_iteratorINS9_10device_ptrItEEEEPS5_jNS1_19radix_merge_compareILb0ELb0EtNS0_19identity_decomposerEEEEE10hipError_tT0_T1_T2_jT3_P12ihipStream_tbPNSt15iterator_traitsISK_E10value_typeEPNSQ_ISL_E10value_typeEPSM_NS1_7vsmem_tEENKUlT_SK_SL_SM_E_clIPtSE_SF_SF_EESJ_SZ_SK_SL_SM_EUlSZ_E0_NS1_11comp_targetILNS1_3genE2ELNS1_11target_archE906ELNS1_3gpuE6ELNS1_3repE0EEENS1_38merge_mergepath_config_static_selectorELNS0_4arch9wavefront6targetE1EEEvSL_
    .private_segment_fixed_size: 0
    .sgpr_count:     4
    .sgpr_spill_count: 0
    .symbol:         _ZN7rocprim17ROCPRIM_400000_NS6detail17trampoline_kernelINS0_14default_configENS1_38merge_sort_block_merge_config_selectorItNS0_10empty_typeEEEZZNS1_27merge_sort_block_merge_implIS3_N6thrust23THRUST_200600_302600_NS6detail15normal_iteratorINS9_10device_ptrItEEEEPS5_jNS1_19radix_merge_compareILb0ELb0EtNS0_19identity_decomposerEEEEE10hipError_tT0_T1_T2_jT3_P12ihipStream_tbPNSt15iterator_traitsISK_E10value_typeEPNSQ_ISL_E10value_typeEPSM_NS1_7vsmem_tEENKUlT_SK_SL_SM_E_clIPtSE_SF_SF_EESJ_SZ_SK_SL_SM_EUlSZ_E0_NS1_11comp_targetILNS1_3genE2ELNS1_11target_archE906ELNS1_3gpuE6ELNS1_3repE0EEENS1_38merge_mergepath_config_static_selectorELNS0_4arch9wavefront6targetE1EEEvSL_.kd
    .uniform_work_group_size: 1
    .uses_dynamic_stack: false
    .vgpr_count:     0
    .vgpr_spill_count: 0
    .wavefront_size: 64
  - .agpr_count:     0
    .args:
      - .offset:         0
        .size:           64
        .value_kind:     by_value
    .group_segment_fixed_size: 0
    .kernarg_segment_align: 8
    .kernarg_segment_size: 64
    .language:       OpenCL C
    .language_version:
      - 2
      - 0
    .max_flat_workgroup_size: 128
    .name:           _ZN7rocprim17ROCPRIM_400000_NS6detail17trampoline_kernelINS0_14default_configENS1_38merge_sort_block_merge_config_selectorItNS0_10empty_typeEEEZZNS1_27merge_sort_block_merge_implIS3_N6thrust23THRUST_200600_302600_NS6detail15normal_iteratorINS9_10device_ptrItEEEEPS5_jNS1_19radix_merge_compareILb0ELb0EtNS0_19identity_decomposerEEEEE10hipError_tT0_T1_T2_jT3_P12ihipStream_tbPNSt15iterator_traitsISK_E10value_typeEPNSQ_ISL_E10value_typeEPSM_NS1_7vsmem_tEENKUlT_SK_SL_SM_E_clIPtSE_SF_SF_EESJ_SZ_SK_SL_SM_EUlSZ_E0_NS1_11comp_targetILNS1_3genE9ELNS1_11target_archE1100ELNS1_3gpuE3ELNS1_3repE0EEENS1_38merge_mergepath_config_static_selectorELNS0_4arch9wavefront6targetE1EEEvSL_
    .private_segment_fixed_size: 0
    .sgpr_count:     4
    .sgpr_spill_count: 0
    .symbol:         _ZN7rocprim17ROCPRIM_400000_NS6detail17trampoline_kernelINS0_14default_configENS1_38merge_sort_block_merge_config_selectorItNS0_10empty_typeEEEZZNS1_27merge_sort_block_merge_implIS3_N6thrust23THRUST_200600_302600_NS6detail15normal_iteratorINS9_10device_ptrItEEEEPS5_jNS1_19radix_merge_compareILb0ELb0EtNS0_19identity_decomposerEEEEE10hipError_tT0_T1_T2_jT3_P12ihipStream_tbPNSt15iterator_traitsISK_E10value_typeEPNSQ_ISL_E10value_typeEPSM_NS1_7vsmem_tEENKUlT_SK_SL_SM_E_clIPtSE_SF_SF_EESJ_SZ_SK_SL_SM_EUlSZ_E0_NS1_11comp_targetILNS1_3genE9ELNS1_11target_archE1100ELNS1_3gpuE3ELNS1_3repE0EEENS1_38merge_mergepath_config_static_selectorELNS0_4arch9wavefront6targetE1EEEvSL_.kd
    .uniform_work_group_size: 1
    .uses_dynamic_stack: false
    .vgpr_count:     0
    .vgpr_spill_count: 0
    .wavefront_size: 64
  - .agpr_count:     0
    .args:
      - .offset:         0
        .size:           64
        .value_kind:     by_value
    .group_segment_fixed_size: 0
    .kernarg_segment_align: 8
    .kernarg_segment_size: 64
    .language:       OpenCL C
    .language_version:
      - 2
      - 0
    .max_flat_workgroup_size: 128
    .name:           _ZN7rocprim17ROCPRIM_400000_NS6detail17trampoline_kernelINS0_14default_configENS1_38merge_sort_block_merge_config_selectorItNS0_10empty_typeEEEZZNS1_27merge_sort_block_merge_implIS3_N6thrust23THRUST_200600_302600_NS6detail15normal_iteratorINS9_10device_ptrItEEEEPS5_jNS1_19radix_merge_compareILb0ELb0EtNS0_19identity_decomposerEEEEE10hipError_tT0_T1_T2_jT3_P12ihipStream_tbPNSt15iterator_traitsISK_E10value_typeEPNSQ_ISL_E10value_typeEPSM_NS1_7vsmem_tEENKUlT_SK_SL_SM_E_clIPtSE_SF_SF_EESJ_SZ_SK_SL_SM_EUlSZ_E0_NS1_11comp_targetILNS1_3genE8ELNS1_11target_archE1030ELNS1_3gpuE2ELNS1_3repE0EEENS1_38merge_mergepath_config_static_selectorELNS0_4arch9wavefront6targetE1EEEvSL_
    .private_segment_fixed_size: 0
    .sgpr_count:     4
    .sgpr_spill_count: 0
    .symbol:         _ZN7rocprim17ROCPRIM_400000_NS6detail17trampoline_kernelINS0_14default_configENS1_38merge_sort_block_merge_config_selectorItNS0_10empty_typeEEEZZNS1_27merge_sort_block_merge_implIS3_N6thrust23THRUST_200600_302600_NS6detail15normal_iteratorINS9_10device_ptrItEEEEPS5_jNS1_19radix_merge_compareILb0ELb0EtNS0_19identity_decomposerEEEEE10hipError_tT0_T1_T2_jT3_P12ihipStream_tbPNSt15iterator_traitsISK_E10value_typeEPNSQ_ISL_E10value_typeEPSM_NS1_7vsmem_tEENKUlT_SK_SL_SM_E_clIPtSE_SF_SF_EESJ_SZ_SK_SL_SM_EUlSZ_E0_NS1_11comp_targetILNS1_3genE8ELNS1_11target_archE1030ELNS1_3gpuE2ELNS1_3repE0EEENS1_38merge_mergepath_config_static_selectorELNS0_4arch9wavefront6targetE1EEEvSL_.kd
    .uniform_work_group_size: 1
    .uses_dynamic_stack: false
    .vgpr_count:     0
    .vgpr_spill_count: 0
    .wavefront_size: 64
  - .agpr_count:     0
    .args:
      - .offset:         0
        .size:           48
        .value_kind:     by_value
    .group_segment_fixed_size: 0
    .kernarg_segment_align: 8
    .kernarg_segment_size: 48
    .language:       OpenCL C
    .language_version:
      - 2
      - 0
    .max_flat_workgroup_size: 256
    .name:           _ZN7rocprim17ROCPRIM_400000_NS6detail17trampoline_kernelINS0_14default_configENS1_38merge_sort_block_merge_config_selectorItNS0_10empty_typeEEEZZNS1_27merge_sort_block_merge_implIS3_N6thrust23THRUST_200600_302600_NS6detail15normal_iteratorINS9_10device_ptrItEEEEPS5_jNS1_19radix_merge_compareILb0ELb0EtNS0_19identity_decomposerEEEEE10hipError_tT0_T1_T2_jT3_P12ihipStream_tbPNSt15iterator_traitsISK_E10value_typeEPNSQ_ISL_E10value_typeEPSM_NS1_7vsmem_tEENKUlT_SK_SL_SM_E_clIPtSE_SF_SF_EESJ_SZ_SK_SL_SM_EUlSZ_E1_NS1_11comp_targetILNS1_3genE0ELNS1_11target_archE4294967295ELNS1_3gpuE0ELNS1_3repE0EEENS1_36merge_oddeven_config_static_selectorELNS0_4arch9wavefront6targetE1EEEvSL_
    .private_segment_fixed_size: 0
    .sgpr_count:     4
    .sgpr_spill_count: 0
    .symbol:         _ZN7rocprim17ROCPRIM_400000_NS6detail17trampoline_kernelINS0_14default_configENS1_38merge_sort_block_merge_config_selectorItNS0_10empty_typeEEEZZNS1_27merge_sort_block_merge_implIS3_N6thrust23THRUST_200600_302600_NS6detail15normal_iteratorINS9_10device_ptrItEEEEPS5_jNS1_19radix_merge_compareILb0ELb0EtNS0_19identity_decomposerEEEEE10hipError_tT0_T1_T2_jT3_P12ihipStream_tbPNSt15iterator_traitsISK_E10value_typeEPNSQ_ISL_E10value_typeEPSM_NS1_7vsmem_tEENKUlT_SK_SL_SM_E_clIPtSE_SF_SF_EESJ_SZ_SK_SL_SM_EUlSZ_E1_NS1_11comp_targetILNS1_3genE0ELNS1_11target_archE4294967295ELNS1_3gpuE0ELNS1_3repE0EEENS1_36merge_oddeven_config_static_selectorELNS0_4arch9wavefront6targetE1EEEvSL_.kd
    .uniform_work_group_size: 1
    .uses_dynamic_stack: false
    .vgpr_count:     0
    .vgpr_spill_count: 0
    .wavefront_size: 64
  - .agpr_count:     0
    .args:
      - .offset:         0
        .size:           48
        .value_kind:     by_value
    .group_segment_fixed_size: 0
    .kernarg_segment_align: 8
    .kernarg_segment_size: 48
    .language:       OpenCL C
    .language_version:
      - 2
      - 0
    .max_flat_workgroup_size: 256
    .name:           _ZN7rocprim17ROCPRIM_400000_NS6detail17trampoline_kernelINS0_14default_configENS1_38merge_sort_block_merge_config_selectorItNS0_10empty_typeEEEZZNS1_27merge_sort_block_merge_implIS3_N6thrust23THRUST_200600_302600_NS6detail15normal_iteratorINS9_10device_ptrItEEEEPS5_jNS1_19radix_merge_compareILb0ELb0EtNS0_19identity_decomposerEEEEE10hipError_tT0_T1_T2_jT3_P12ihipStream_tbPNSt15iterator_traitsISK_E10value_typeEPNSQ_ISL_E10value_typeEPSM_NS1_7vsmem_tEENKUlT_SK_SL_SM_E_clIPtSE_SF_SF_EESJ_SZ_SK_SL_SM_EUlSZ_E1_NS1_11comp_targetILNS1_3genE10ELNS1_11target_archE1201ELNS1_3gpuE5ELNS1_3repE0EEENS1_36merge_oddeven_config_static_selectorELNS0_4arch9wavefront6targetE1EEEvSL_
    .private_segment_fixed_size: 0
    .sgpr_count:     4
    .sgpr_spill_count: 0
    .symbol:         _ZN7rocprim17ROCPRIM_400000_NS6detail17trampoline_kernelINS0_14default_configENS1_38merge_sort_block_merge_config_selectorItNS0_10empty_typeEEEZZNS1_27merge_sort_block_merge_implIS3_N6thrust23THRUST_200600_302600_NS6detail15normal_iteratorINS9_10device_ptrItEEEEPS5_jNS1_19radix_merge_compareILb0ELb0EtNS0_19identity_decomposerEEEEE10hipError_tT0_T1_T2_jT3_P12ihipStream_tbPNSt15iterator_traitsISK_E10value_typeEPNSQ_ISL_E10value_typeEPSM_NS1_7vsmem_tEENKUlT_SK_SL_SM_E_clIPtSE_SF_SF_EESJ_SZ_SK_SL_SM_EUlSZ_E1_NS1_11comp_targetILNS1_3genE10ELNS1_11target_archE1201ELNS1_3gpuE5ELNS1_3repE0EEENS1_36merge_oddeven_config_static_selectorELNS0_4arch9wavefront6targetE1EEEvSL_.kd
    .uniform_work_group_size: 1
    .uses_dynamic_stack: false
    .vgpr_count:     0
    .vgpr_spill_count: 0
    .wavefront_size: 64
  - .agpr_count:     0
    .args:
      - .offset:         0
        .size:           48
        .value_kind:     by_value
    .group_segment_fixed_size: 0
    .kernarg_segment_align: 8
    .kernarg_segment_size: 48
    .language:       OpenCL C
    .language_version:
      - 2
      - 0
    .max_flat_workgroup_size: 256
    .name:           _ZN7rocprim17ROCPRIM_400000_NS6detail17trampoline_kernelINS0_14default_configENS1_38merge_sort_block_merge_config_selectorItNS0_10empty_typeEEEZZNS1_27merge_sort_block_merge_implIS3_N6thrust23THRUST_200600_302600_NS6detail15normal_iteratorINS9_10device_ptrItEEEEPS5_jNS1_19radix_merge_compareILb0ELb0EtNS0_19identity_decomposerEEEEE10hipError_tT0_T1_T2_jT3_P12ihipStream_tbPNSt15iterator_traitsISK_E10value_typeEPNSQ_ISL_E10value_typeEPSM_NS1_7vsmem_tEENKUlT_SK_SL_SM_E_clIPtSE_SF_SF_EESJ_SZ_SK_SL_SM_EUlSZ_E1_NS1_11comp_targetILNS1_3genE5ELNS1_11target_archE942ELNS1_3gpuE9ELNS1_3repE0EEENS1_36merge_oddeven_config_static_selectorELNS0_4arch9wavefront6targetE1EEEvSL_
    .private_segment_fixed_size: 0
    .sgpr_count:     4
    .sgpr_spill_count: 0
    .symbol:         _ZN7rocprim17ROCPRIM_400000_NS6detail17trampoline_kernelINS0_14default_configENS1_38merge_sort_block_merge_config_selectorItNS0_10empty_typeEEEZZNS1_27merge_sort_block_merge_implIS3_N6thrust23THRUST_200600_302600_NS6detail15normal_iteratorINS9_10device_ptrItEEEEPS5_jNS1_19radix_merge_compareILb0ELb0EtNS0_19identity_decomposerEEEEE10hipError_tT0_T1_T2_jT3_P12ihipStream_tbPNSt15iterator_traitsISK_E10value_typeEPNSQ_ISL_E10value_typeEPSM_NS1_7vsmem_tEENKUlT_SK_SL_SM_E_clIPtSE_SF_SF_EESJ_SZ_SK_SL_SM_EUlSZ_E1_NS1_11comp_targetILNS1_3genE5ELNS1_11target_archE942ELNS1_3gpuE9ELNS1_3repE0EEENS1_36merge_oddeven_config_static_selectorELNS0_4arch9wavefront6targetE1EEEvSL_.kd
    .uniform_work_group_size: 1
    .uses_dynamic_stack: false
    .vgpr_count:     0
    .vgpr_spill_count: 0
    .wavefront_size: 64
  - .agpr_count:     0
    .args:
      - .offset:         0
        .size:           48
        .value_kind:     by_value
    .group_segment_fixed_size: 0
    .kernarg_segment_align: 8
    .kernarg_segment_size: 48
    .language:       OpenCL C
    .language_version:
      - 2
      - 0
    .max_flat_workgroup_size: 256
    .name:           _ZN7rocprim17ROCPRIM_400000_NS6detail17trampoline_kernelINS0_14default_configENS1_38merge_sort_block_merge_config_selectorItNS0_10empty_typeEEEZZNS1_27merge_sort_block_merge_implIS3_N6thrust23THRUST_200600_302600_NS6detail15normal_iteratorINS9_10device_ptrItEEEEPS5_jNS1_19radix_merge_compareILb0ELb0EtNS0_19identity_decomposerEEEEE10hipError_tT0_T1_T2_jT3_P12ihipStream_tbPNSt15iterator_traitsISK_E10value_typeEPNSQ_ISL_E10value_typeEPSM_NS1_7vsmem_tEENKUlT_SK_SL_SM_E_clIPtSE_SF_SF_EESJ_SZ_SK_SL_SM_EUlSZ_E1_NS1_11comp_targetILNS1_3genE4ELNS1_11target_archE910ELNS1_3gpuE8ELNS1_3repE0EEENS1_36merge_oddeven_config_static_selectorELNS0_4arch9wavefront6targetE1EEEvSL_
    .private_segment_fixed_size: 0
    .sgpr_count:     25
    .sgpr_spill_count: 0
    .symbol:         _ZN7rocprim17ROCPRIM_400000_NS6detail17trampoline_kernelINS0_14default_configENS1_38merge_sort_block_merge_config_selectorItNS0_10empty_typeEEEZZNS1_27merge_sort_block_merge_implIS3_N6thrust23THRUST_200600_302600_NS6detail15normal_iteratorINS9_10device_ptrItEEEEPS5_jNS1_19radix_merge_compareILb0ELb0EtNS0_19identity_decomposerEEEEE10hipError_tT0_T1_T2_jT3_P12ihipStream_tbPNSt15iterator_traitsISK_E10value_typeEPNSQ_ISL_E10value_typeEPSM_NS1_7vsmem_tEENKUlT_SK_SL_SM_E_clIPtSE_SF_SF_EESJ_SZ_SK_SL_SM_EUlSZ_E1_NS1_11comp_targetILNS1_3genE4ELNS1_11target_archE910ELNS1_3gpuE8ELNS1_3repE0EEENS1_36merge_oddeven_config_static_selectorELNS0_4arch9wavefront6targetE1EEEvSL_.kd
    .uniform_work_group_size: 1
    .uses_dynamic_stack: false
    .vgpr_count:     8
    .vgpr_spill_count: 0
    .wavefront_size: 64
  - .agpr_count:     0
    .args:
      - .offset:         0
        .size:           48
        .value_kind:     by_value
    .group_segment_fixed_size: 0
    .kernarg_segment_align: 8
    .kernarg_segment_size: 48
    .language:       OpenCL C
    .language_version:
      - 2
      - 0
    .max_flat_workgroup_size: 256
    .name:           _ZN7rocprim17ROCPRIM_400000_NS6detail17trampoline_kernelINS0_14default_configENS1_38merge_sort_block_merge_config_selectorItNS0_10empty_typeEEEZZNS1_27merge_sort_block_merge_implIS3_N6thrust23THRUST_200600_302600_NS6detail15normal_iteratorINS9_10device_ptrItEEEEPS5_jNS1_19radix_merge_compareILb0ELb0EtNS0_19identity_decomposerEEEEE10hipError_tT0_T1_T2_jT3_P12ihipStream_tbPNSt15iterator_traitsISK_E10value_typeEPNSQ_ISL_E10value_typeEPSM_NS1_7vsmem_tEENKUlT_SK_SL_SM_E_clIPtSE_SF_SF_EESJ_SZ_SK_SL_SM_EUlSZ_E1_NS1_11comp_targetILNS1_3genE3ELNS1_11target_archE908ELNS1_3gpuE7ELNS1_3repE0EEENS1_36merge_oddeven_config_static_selectorELNS0_4arch9wavefront6targetE1EEEvSL_
    .private_segment_fixed_size: 0
    .sgpr_count:     4
    .sgpr_spill_count: 0
    .symbol:         _ZN7rocprim17ROCPRIM_400000_NS6detail17trampoline_kernelINS0_14default_configENS1_38merge_sort_block_merge_config_selectorItNS0_10empty_typeEEEZZNS1_27merge_sort_block_merge_implIS3_N6thrust23THRUST_200600_302600_NS6detail15normal_iteratorINS9_10device_ptrItEEEEPS5_jNS1_19radix_merge_compareILb0ELb0EtNS0_19identity_decomposerEEEEE10hipError_tT0_T1_T2_jT3_P12ihipStream_tbPNSt15iterator_traitsISK_E10value_typeEPNSQ_ISL_E10value_typeEPSM_NS1_7vsmem_tEENKUlT_SK_SL_SM_E_clIPtSE_SF_SF_EESJ_SZ_SK_SL_SM_EUlSZ_E1_NS1_11comp_targetILNS1_3genE3ELNS1_11target_archE908ELNS1_3gpuE7ELNS1_3repE0EEENS1_36merge_oddeven_config_static_selectorELNS0_4arch9wavefront6targetE1EEEvSL_.kd
    .uniform_work_group_size: 1
    .uses_dynamic_stack: false
    .vgpr_count:     0
    .vgpr_spill_count: 0
    .wavefront_size: 64
  - .agpr_count:     0
    .args:
      - .offset:         0
        .size:           48
        .value_kind:     by_value
    .group_segment_fixed_size: 0
    .kernarg_segment_align: 8
    .kernarg_segment_size: 48
    .language:       OpenCL C
    .language_version:
      - 2
      - 0
    .max_flat_workgroup_size: 256
    .name:           _ZN7rocprim17ROCPRIM_400000_NS6detail17trampoline_kernelINS0_14default_configENS1_38merge_sort_block_merge_config_selectorItNS0_10empty_typeEEEZZNS1_27merge_sort_block_merge_implIS3_N6thrust23THRUST_200600_302600_NS6detail15normal_iteratorINS9_10device_ptrItEEEEPS5_jNS1_19radix_merge_compareILb0ELb0EtNS0_19identity_decomposerEEEEE10hipError_tT0_T1_T2_jT3_P12ihipStream_tbPNSt15iterator_traitsISK_E10value_typeEPNSQ_ISL_E10value_typeEPSM_NS1_7vsmem_tEENKUlT_SK_SL_SM_E_clIPtSE_SF_SF_EESJ_SZ_SK_SL_SM_EUlSZ_E1_NS1_11comp_targetILNS1_3genE2ELNS1_11target_archE906ELNS1_3gpuE6ELNS1_3repE0EEENS1_36merge_oddeven_config_static_selectorELNS0_4arch9wavefront6targetE1EEEvSL_
    .private_segment_fixed_size: 0
    .sgpr_count:     4
    .sgpr_spill_count: 0
    .symbol:         _ZN7rocprim17ROCPRIM_400000_NS6detail17trampoline_kernelINS0_14default_configENS1_38merge_sort_block_merge_config_selectorItNS0_10empty_typeEEEZZNS1_27merge_sort_block_merge_implIS3_N6thrust23THRUST_200600_302600_NS6detail15normal_iteratorINS9_10device_ptrItEEEEPS5_jNS1_19radix_merge_compareILb0ELb0EtNS0_19identity_decomposerEEEEE10hipError_tT0_T1_T2_jT3_P12ihipStream_tbPNSt15iterator_traitsISK_E10value_typeEPNSQ_ISL_E10value_typeEPSM_NS1_7vsmem_tEENKUlT_SK_SL_SM_E_clIPtSE_SF_SF_EESJ_SZ_SK_SL_SM_EUlSZ_E1_NS1_11comp_targetILNS1_3genE2ELNS1_11target_archE906ELNS1_3gpuE6ELNS1_3repE0EEENS1_36merge_oddeven_config_static_selectorELNS0_4arch9wavefront6targetE1EEEvSL_.kd
    .uniform_work_group_size: 1
    .uses_dynamic_stack: false
    .vgpr_count:     0
    .vgpr_spill_count: 0
    .wavefront_size: 64
  - .agpr_count:     0
    .args:
      - .offset:         0
        .size:           48
        .value_kind:     by_value
    .group_segment_fixed_size: 0
    .kernarg_segment_align: 8
    .kernarg_segment_size: 48
    .language:       OpenCL C
    .language_version:
      - 2
      - 0
    .max_flat_workgroup_size: 256
    .name:           _ZN7rocprim17ROCPRIM_400000_NS6detail17trampoline_kernelINS0_14default_configENS1_38merge_sort_block_merge_config_selectorItNS0_10empty_typeEEEZZNS1_27merge_sort_block_merge_implIS3_N6thrust23THRUST_200600_302600_NS6detail15normal_iteratorINS9_10device_ptrItEEEEPS5_jNS1_19radix_merge_compareILb0ELb0EtNS0_19identity_decomposerEEEEE10hipError_tT0_T1_T2_jT3_P12ihipStream_tbPNSt15iterator_traitsISK_E10value_typeEPNSQ_ISL_E10value_typeEPSM_NS1_7vsmem_tEENKUlT_SK_SL_SM_E_clIPtSE_SF_SF_EESJ_SZ_SK_SL_SM_EUlSZ_E1_NS1_11comp_targetILNS1_3genE9ELNS1_11target_archE1100ELNS1_3gpuE3ELNS1_3repE0EEENS1_36merge_oddeven_config_static_selectorELNS0_4arch9wavefront6targetE1EEEvSL_
    .private_segment_fixed_size: 0
    .sgpr_count:     4
    .sgpr_spill_count: 0
    .symbol:         _ZN7rocprim17ROCPRIM_400000_NS6detail17trampoline_kernelINS0_14default_configENS1_38merge_sort_block_merge_config_selectorItNS0_10empty_typeEEEZZNS1_27merge_sort_block_merge_implIS3_N6thrust23THRUST_200600_302600_NS6detail15normal_iteratorINS9_10device_ptrItEEEEPS5_jNS1_19radix_merge_compareILb0ELb0EtNS0_19identity_decomposerEEEEE10hipError_tT0_T1_T2_jT3_P12ihipStream_tbPNSt15iterator_traitsISK_E10value_typeEPNSQ_ISL_E10value_typeEPSM_NS1_7vsmem_tEENKUlT_SK_SL_SM_E_clIPtSE_SF_SF_EESJ_SZ_SK_SL_SM_EUlSZ_E1_NS1_11comp_targetILNS1_3genE9ELNS1_11target_archE1100ELNS1_3gpuE3ELNS1_3repE0EEENS1_36merge_oddeven_config_static_selectorELNS0_4arch9wavefront6targetE1EEEvSL_.kd
    .uniform_work_group_size: 1
    .uses_dynamic_stack: false
    .vgpr_count:     0
    .vgpr_spill_count: 0
    .wavefront_size: 64
  - .agpr_count:     0
    .args:
      - .offset:         0
        .size:           48
        .value_kind:     by_value
    .group_segment_fixed_size: 0
    .kernarg_segment_align: 8
    .kernarg_segment_size: 48
    .language:       OpenCL C
    .language_version:
      - 2
      - 0
    .max_flat_workgroup_size: 256
    .name:           _ZN7rocprim17ROCPRIM_400000_NS6detail17trampoline_kernelINS0_14default_configENS1_38merge_sort_block_merge_config_selectorItNS0_10empty_typeEEEZZNS1_27merge_sort_block_merge_implIS3_N6thrust23THRUST_200600_302600_NS6detail15normal_iteratorINS9_10device_ptrItEEEEPS5_jNS1_19radix_merge_compareILb0ELb0EtNS0_19identity_decomposerEEEEE10hipError_tT0_T1_T2_jT3_P12ihipStream_tbPNSt15iterator_traitsISK_E10value_typeEPNSQ_ISL_E10value_typeEPSM_NS1_7vsmem_tEENKUlT_SK_SL_SM_E_clIPtSE_SF_SF_EESJ_SZ_SK_SL_SM_EUlSZ_E1_NS1_11comp_targetILNS1_3genE8ELNS1_11target_archE1030ELNS1_3gpuE2ELNS1_3repE0EEENS1_36merge_oddeven_config_static_selectorELNS0_4arch9wavefront6targetE1EEEvSL_
    .private_segment_fixed_size: 0
    .sgpr_count:     4
    .sgpr_spill_count: 0
    .symbol:         _ZN7rocprim17ROCPRIM_400000_NS6detail17trampoline_kernelINS0_14default_configENS1_38merge_sort_block_merge_config_selectorItNS0_10empty_typeEEEZZNS1_27merge_sort_block_merge_implIS3_N6thrust23THRUST_200600_302600_NS6detail15normal_iteratorINS9_10device_ptrItEEEEPS5_jNS1_19radix_merge_compareILb0ELb0EtNS0_19identity_decomposerEEEEE10hipError_tT0_T1_T2_jT3_P12ihipStream_tbPNSt15iterator_traitsISK_E10value_typeEPNSQ_ISL_E10value_typeEPSM_NS1_7vsmem_tEENKUlT_SK_SL_SM_E_clIPtSE_SF_SF_EESJ_SZ_SK_SL_SM_EUlSZ_E1_NS1_11comp_targetILNS1_3genE8ELNS1_11target_archE1030ELNS1_3gpuE2ELNS1_3repE0EEENS1_36merge_oddeven_config_static_selectorELNS0_4arch9wavefront6targetE1EEEvSL_.kd
    .uniform_work_group_size: 1
    .uses_dynamic_stack: false
    .vgpr_count:     0
    .vgpr_spill_count: 0
    .wavefront_size: 64
  - .agpr_count:     0
    .args:
      - .offset:         0
        .size:           40
        .value_kind:     by_value
    .group_segment_fixed_size: 0
    .kernarg_segment_align: 8
    .kernarg_segment_size: 40
    .language:       OpenCL C
    .language_version:
      - 2
      - 0
    .max_flat_workgroup_size: 128
    .name:           _ZN7rocprim17ROCPRIM_400000_NS6detail17trampoline_kernelINS0_14default_configENS1_38merge_sort_block_merge_config_selectorItNS0_10empty_typeEEEZZNS1_27merge_sort_block_merge_implIS3_N6thrust23THRUST_200600_302600_NS6detail15normal_iteratorINS9_10device_ptrItEEEEPS5_jNS1_19radix_merge_compareILb0ELb0EtNS0_19identity_decomposerEEEEE10hipError_tT0_T1_T2_jT3_P12ihipStream_tbPNSt15iterator_traitsISK_E10value_typeEPNSQ_ISL_E10value_typeEPSM_NS1_7vsmem_tEENKUlT_SK_SL_SM_E_clISE_PtSF_SF_EESJ_SZ_SK_SL_SM_EUlSZ_E_NS1_11comp_targetILNS1_3genE0ELNS1_11target_archE4294967295ELNS1_3gpuE0ELNS1_3repE0EEENS1_48merge_mergepath_partition_config_static_selectorELNS0_4arch9wavefront6targetE1EEEvSL_
    .private_segment_fixed_size: 0
    .sgpr_count:     4
    .sgpr_spill_count: 0
    .symbol:         _ZN7rocprim17ROCPRIM_400000_NS6detail17trampoline_kernelINS0_14default_configENS1_38merge_sort_block_merge_config_selectorItNS0_10empty_typeEEEZZNS1_27merge_sort_block_merge_implIS3_N6thrust23THRUST_200600_302600_NS6detail15normal_iteratorINS9_10device_ptrItEEEEPS5_jNS1_19radix_merge_compareILb0ELb0EtNS0_19identity_decomposerEEEEE10hipError_tT0_T1_T2_jT3_P12ihipStream_tbPNSt15iterator_traitsISK_E10value_typeEPNSQ_ISL_E10value_typeEPSM_NS1_7vsmem_tEENKUlT_SK_SL_SM_E_clISE_PtSF_SF_EESJ_SZ_SK_SL_SM_EUlSZ_E_NS1_11comp_targetILNS1_3genE0ELNS1_11target_archE4294967295ELNS1_3gpuE0ELNS1_3repE0EEENS1_48merge_mergepath_partition_config_static_selectorELNS0_4arch9wavefront6targetE1EEEvSL_.kd
    .uniform_work_group_size: 1
    .uses_dynamic_stack: false
    .vgpr_count:     0
    .vgpr_spill_count: 0
    .wavefront_size: 64
  - .agpr_count:     0
    .args:
      - .offset:         0
        .size:           40
        .value_kind:     by_value
    .group_segment_fixed_size: 0
    .kernarg_segment_align: 8
    .kernarg_segment_size: 40
    .language:       OpenCL C
    .language_version:
      - 2
      - 0
    .max_flat_workgroup_size: 128
    .name:           _ZN7rocprim17ROCPRIM_400000_NS6detail17trampoline_kernelINS0_14default_configENS1_38merge_sort_block_merge_config_selectorItNS0_10empty_typeEEEZZNS1_27merge_sort_block_merge_implIS3_N6thrust23THRUST_200600_302600_NS6detail15normal_iteratorINS9_10device_ptrItEEEEPS5_jNS1_19radix_merge_compareILb0ELb0EtNS0_19identity_decomposerEEEEE10hipError_tT0_T1_T2_jT3_P12ihipStream_tbPNSt15iterator_traitsISK_E10value_typeEPNSQ_ISL_E10value_typeEPSM_NS1_7vsmem_tEENKUlT_SK_SL_SM_E_clISE_PtSF_SF_EESJ_SZ_SK_SL_SM_EUlSZ_E_NS1_11comp_targetILNS1_3genE10ELNS1_11target_archE1201ELNS1_3gpuE5ELNS1_3repE0EEENS1_48merge_mergepath_partition_config_static_selectorELNS0_4arch9wavefront6targetE1EEEvSL_
    .private_segment_fixed_size: 0
    .sgpr_count:     4
    .sgpr_spill_count: 0
    .symbol:         _ZN7rocprim17ROCPRIM_400000_NS6detail17trampoline_kernelINS0_14default_configENS1_38merge_sort_block_merge_config_selectorItNS0_10empty_typeEEEZZNS1_27merge_sort_block_merge_implIS3_N6thrust23THRUST_200600_302600_NS6detail15normal_iteratorINS9_10device_ptrItEEEEPS5_jNS1_19radix_merge_compareILb0ELb0EtNS0_19identity_decomposerEEEEE10hipError_tT0_T1_T2_jT3_P12ihipStream_tbPNSt15iterator_traitsISK_E10value_typeEPNSQ_ISL_E10value_typeEPSM_NS1_7vsmem_tEENKUlT_SK_SL_SM_E_clISE_PtSF_SF_EESJ_SZ_SK_SL_SM_EUlSZ_E_NS1_11comp_targetILNS1_3genE10ELNS1_11target_archE1201ELNS1_3gpuE5ELNS1_3repE0EEENS1_48merge_mergepath_partition_config_static_selectorELNS0_4arch9wavefront6targetE1EEEvSL_.kd
    .uniform_work_group_size: 1
    .uses_dynamic_stack: false
    .vgpr_count:     0
    .vgpr_spill_count: 0
    .wavefront_size: 64
  - .agpr_count:     0
    .args:
      - .offset:         0
        .size:           40
        .value_kind:     by_value
    .group_segment_fixed_size: 0
    .kernarg_segment_align: 8
    .kernarg_segment_size: 40
    .language:       OpenCL C
    .language_version:
      - 2
      - 0
    .max_flat_workgroup_size: 128
    .name:           _ZN7rocprim17ROCPRIM_400000_NS6detail17trampoline_kernelINS0_14default_configENS1_38merge_sort_block_merge_config_selectorItNS0_10empty_typeEEEZZNS1_27merge_sort_block_merge_implIS3_N6thrust23THRUST_200600_302600_NS6detail15normal_iteratorINS9_10device_ptrItEEEEPS5_jNS1_19radix_merge_compareILb0ELb0EtNS0_19identity_decomposerEEEEE10hipError_tT0_T1_T2_jT3_P12ihipStream_tbPNSt15iterator_traitsISK_E10value_typeEPNSQ_ISL_E10value_typeEPSM_NS1_7vsmem_tEENKUlT_SK_SL_SM_E_clISE_PtSF_SF_EESJ_SZ_SK_SL_SM_EUlSZ_E_NS1_11comp_targetILNS1_3genE5ELNS1_11target_archE942ELNS1_3gpuE9ELNS1_3repE0EEENS1_48merge_mergepath_partition_config_static_selectorELNS0_4arch9wavefront6targetE1EEEvSL_
    .private_segment_fixed_size: 0
    .sgpr_count:     4
    .sgpr_spill_count: 0
    .symbol:         _ZN7rocprim17ROCPRIM_400000_NS6detail17trampoline_kernelINS0_14default_configENS1_38merge_sort_block_merge_config_selectorItNS0_10empty_typeEEEZZNS1_27merge_sort_block_merge_implIS3_N6thrust23THRUST_200600_302600_NS6detail15normal_iteratorINS9_10device_ptrItEEEEPS5_jNS1_19radix_merge_compareILb0ELb0EtNS0_19identity_decomposerEEEEE10hipError_tT0_T1_T2_jT3_P12ihipStream_tbPNSt15iterator_traitsISK_E10value_typeEPNSQ_ISL_E10value_typeEPSM_NS1_7vsmem_tEENKUlT_SK_SL_SM_E_clISE_PtSF_SF_EESJ_SZ_SK_SL_SM_EUlSZ_E_NS1_11comp_targetILNS1_3genE5ELNS1_11target_archE942ELNS1_3gpuE9ELNS1_3repE0EEENS1_48merge_mergepath_partition_config_static_selectorELNS0_4arch9wavefront6targetE1EEEvSL_.kd
    .uniform_work_group_size: 1
    .uses_dynamic_stack: false
    .vgpr_count:     0
    .vgpr_spill_count: 0
    .wavefront_size: 64
  - .agpr_count:     0
    .args:
      - .offset:         0
        .size:           40
        .value_kind:     by_value
    .group_segment_fixed_size: 0
    .kernarg_segment_align: 8
    .kernarg_segment_size: 40
    .language:       OpenCL C
    .language_version:
      - 2
      - 0
    .max_flat_workgroup_size: 128
    .name:           _ZN7rocprim17ROCPRIM_400000_NS6detail17trampoline_kernelINS0_14default_configENS1_38merge_sort_block_merge_config_selectorItNS0_10empty_typeEEEZZNS1_27merge_sort_block_merge_implIS3_N6thrust23THRUST_200600_302600_NS6detail15normal_iteratorINS9_10device_ptrItEEEEPS5_jNS1_19radix_merge_compareILb0ELb0EtNS0_19identity_decomposerEEEEE10hipError_tT0_T1_T2_jT3_P12ihipStream_tbPNSt15iterator_traitsISK_E10value_typeEPNSQ_ISL_E10value_typeEPSM_NS1_7vsmem_tEENKUlT_SK_SL_SM_E_clISE_PtSF_SF_EESJ_SZ_SK_SL_SM_EUlSZ_E_NS1_11comp_targetILNS1_3genE4ELNS1_11target_archE910ELNS1_3gpuE8ELNS1_3repE0EEENS1_48merge_mergepath_partition_config_static_selectorELNS0_4arch9wavefront6targetE1EEEvSL_
    .private_segment_fixed_size: 0
    .sgpr_count:     12
    .sgpr_spill_count: 0
    .symbol:         _ZN7rocprim17ROCPRIM_400000_NS6detail17trampoline_kernelINS0_14default_configENS1_38merge_sort_block_merge_config_selectorItNS0_10empty_typeEEEZZNS1_27merge_sort_block_merge_implIS3_N6thrust23THRUST_200600_302600_NS6detail15normal_iteratorINS9_10device_ptrItEEEEPS5_jNS1_19radix_merge_compareILb0ELb0EtNS0_19identity_decomposerEEEEE10hipError_tT0_T1_T2_jT3_P12ihipStream_tbPNSt15iterator_traitsISK_E10value_typeEPNSQ_ISL_E10value_typeEPSM_NS1_7vsmem_tEENKUlT_SK_SL_SM_E_clISE_PtSF_SF_EESJ_SZ_SK_SL_SM_EUlSZ_E_NS1_11comp_targetILNS1_3genE4ELNS1_11target_archE910ELNS1_3gpuE8ELNS1_3repE0EEENS1_48merge_mergepath_partition_config_static_selectorELNS0_4arch9wavefront6targetE1EEEvSL_.kd
    .uniform_work_group_size: 1
    .uses_dynamic_stack: false
    .vgpr_count:     15
    .vgpr_spill_count: 0
    .wavefront_size: 64
  - .agpr_count:     0
    .args:
      - .offset:         0
        .size:           40
        .value_kind:     by_value
    .group_segment_fixed_size: 0
    .kernarg_segment_align: 8
    .kernarg_segment_size: 40
    .language:       OpenCL C
    .language_version:
      - 2
      - 0
    .max_flat_workgroup_size: 128
    .name:           _ZN7rocprim17ROCPRIM_400000_NS6detail17trampoline_kernelINS0_14default_configENS1_38merge_sort_block_merge_config_selectorItNS0_10empty_typeEEEZZNS1_27merge_sort_block_merge_implIS3_N6thrust23THRUST_200600_302600_NS6detail15normal_iteratorINS9_10device_ptrItEEEEPS5_jNS1_19radix_merge_compareILb0ELb0EtNS0_19identity_decomposerEEEEE10hipError_tT0_T1_T2_jT3_P12ihipStream_tbPNSt15iterator_traitsISK_E10value_typeEPNSQ_ISL_E10value_typeEPSM_NS1_7vsmem_tEENKUlT_SK_SL_SM_E_clISE_PtSF_SF_EESJ_SZ_SK_SL_SM_EUlSZ_E_NS1_11comp_targetILNS1_3genE3ELNS1_11target_archE908ELNS1_3gpuE7ELNS1_3repE0EEENS1_48merge_mergepath_partition_config_static_selectorELNS0_4arch9wavefront6targetE1EEEvSL_
    .private_segment_fixed_size: 0
    .sgpr_count:     4
    .sgpr_spill_count: 0
    .symbol:         _ZN7rocprim17ROCPRIM_400000_NS6detail17trampoline_kernelINS0_14default_configENS1_38merge_sort_block_merge_config_selectorItNS0_10empty_typeEEEZZNS1_27merge_sort_block_merge_implIS3_N6thrust23THRUST_200600_302600_NS6detail15normal_iteratorINS9_10device_ptrItEEEEPS5_jNS1_19radix_merge_compareILb0ELb0EtNS0_19identity_decomposerEEEEE10hipError_tT0_T1_T2_jT3_P12ihipStream_tbPNSt15iterator_traitsISK_E10value_typeEPNSQ_ISL_E10value_typeEPSM_NS1_7vsmem_tEENKUlT_SK_SL_SM_E_clISE_PtSF_SF_EESJ_SZ_SK_SL_SM_EUlSZ_E_NS1_11comp_targetILNS1_3genE3ELNS1_11target_archE908ELNS1_3gpuE7ELNS1_3repE0EEENS1_48merge_mergepath_partition_config_static_selectorELNS0_4arch9wavefront6targetE1EEEvSL_.kd
    .uniform_work_group_size: 1
    .uses_dynamic_stack: false
    .vgpr_count:     0
    .vgpr_spill_count: 0
    .wavefront_size: 64
  - .agpr_count:     0
    .args:
      - .offset:         0
        .size:           40
        .value_kind:     by_value
    .group_segment_fixed_size: 0
    .kernarg_segment_align: 8
    .kernarg_segment_size: 40
    .language:       OpenCL C
    .language_version:
      - 2
      - 0
    .max_flat_workgroup_size: 128
    .name:           _ZN7rocprim17ROCPRIM_400000_NS6detail17trampoline_kernelINS0_14default_configENS1_38merge_sort_block_merge_config_selectorItNS0_10empty_typeEEEZZNS1_27merge_sort_block_merge_implIS3_N6thrust23THRUST_200600_302600_NS6detail15normal_iteratorINS9_10device_ptrItEEEEPS5_jNS1_19radix_merge_compareILb0ELb0EtNS0_19identity_decomposerEEEEE10hipError_tT0_T1_T2_jT3_P12ihipStream_tbPNSt15iterator_traitsISK_E10value_typeEPNSQ_ISL_E10value_typeEPSM_NS1_7vsmem_tEENKUlT_SK_SL_SM_E_clISE_PtSF_SF_EESJ_SZ_SK_SL_SM_EUlSZ_E_NS1_11comp_targetILNS1_3genE2ELNS1_11target_archE906ELNS1_3gpuE6ELNS1_3repE0EEENS1_48merge_mergepath_partition_config_static_selectorELNS0_4arch9wavefront6targetE1EEEvSL_
    .private_segment_fixed_size: 0
    .sgpr_count:     4
    .sgpr_spill_count: 0
    .symbol:         _ZN7rocprim17ROCPRIM_400000_NS6detail17trampoline_kernelINS0_14default_configENS1_38merge_sort_block_merge_config_selectorItNS0_10empty_typeEEEZZNS1_27merge_sort_block_merge_implIS3_N6thrust23THRUST_200600_302600_NS6detail15normal_iteratorINS9_10device_ptrItEEEEPS5_jNS1_19radix_merge_compareILb0ELb0EtNS0_19identity_decomposerEEEEE10hipError_tT0_T1_T2_jT3_P12ihipStream_tbPNSt15iterator_traitsISK_E10value_typeEPNSQ_ISL_E10value_typeEPSM_NS1_7vsmem_tEENKUlT_SK_SL_SM_E_clISE_PtSF_SF_EESJ_SZ_SK_SL_SM_EUlSZ_E_NS1_11comp_targetILNS1_3genE2ELNS1_11target_archE906ELNS1_3gpuE6ELNS1_3repE0EEENS1_48merge_mergepath_partition_config_static_selectorELNS0_4arch9wavefront6targetE1EEEvSL_.kd
    .uniform_work_group_size: 1
    .uses_dynamic_stack: false
    .vgpr_count:     0
    .vgpr_spill_count: 0
    .wavefront_size: 64
  - .agpr_count:     0
    .args:
      - .offset:         0
        .size:           40
        .value_kind:     by_value
    .group_segment_fixed_size: 0
    .kernarg_segment_align: 8
    .kernarg_segment_size: 40
    .language:       OpenCL C
    .language_version:
      - 2
      - 0
    .max_flat_workgroup_size: 128
    .name:           _ZN7rocprim17ROCPRIM_400000_NS6detail17trampoline_kernelINS0_14default_configENS1_38merge_sort_block_merge_config_selectorItNS0_10empty_typeEEEZZNS1_27merge_sort_block_merge_implIS3_N6thrust23THRUST_200600_302600_NS6detail15normal_iteratorINS9_10device_ptrItEEEEPS5_jNS1_19radix_merge_compareILb0ELb0EtNS0_19identity_decomposerEEEEE10hipError_tT0_T1_T2_jT3_P12ihipStream_tbPNSt15iterator_traitsISK_E10value_typeEPNSQ_ISL_E10value_typeEPSM_NS1_7vsmem_tEENKUlT_SK_SL_SM_E_clISE_PtSF_SF_EESJ_SZ_SK_SL_SM_EUlSZ_E_NS1_11comp_targetILNS1_3genE9ELNS1_11target_archE1100ELNS1_3gpuE3ELNS1_3repE0EEENS1_48merge_mergepath_partition_config_static_selectorELNS0_4arch9wavefront6targetE1EEEvSL_
    .private_segment_fixed_size: 0
    .sgpr_count:     4
    .sgpr_spill_count: 0
    .symbol:         _ZN7rocprim17ROCPRIM_400000_NS6detail17trampoline_kernelINS0_14default_configENS1_38merge_sort_block_merge_config_selectorItNS0_10empty_typeEEEZZNS1_27merge_sort_block_merge_implIS3_N6thrust23THRUST_200600_302600_NS6detail15normal_iteratorINS9_10device_ptrItEEEEPS5_jNS1_19radix_merge_compareILb0ELb0EtNS0_19identity_decomposerEEEEE10hipError_tT0_T1_T2_jT3_P12ihipStream_tbPNSt15iterator_traitsISK_E10value_typeEPNSQ_ISL_E10value_typeEPSM_NS1_7vsmem_tEENKUlT_SK_SL_SM_E_clISE_PtSF_SF_EESJ_SZ_SK_SL_SM_EUlSZ_E_NS1_11comp_targetILNS1_3genE9ELNS1_11target_archE1100ELNS1_3gpuE3ELNS1_3repE0EEENS1_48merge_mergepath_partition_config_static_selectorELNS0_4arch9wavefront6targetE1EEEvSL_.kd
    .uniform_work_group_size: 1
    .uses_dynamic_stack: false
    .vgpr_count:     0
    .vgpr_spill_count: 0
    .wavefront_size: 64
  - .agpr_count:     0
    .args:
      - .offset:         0
        .size:           40
        .value_kind:     by_value
    .group_segment_fixed_size: 0
    .kernarg_segment_align: 8
    .kernarg_segment_size: 40
    .language:       OpenCL C
    .language_version:
      - 2
      - 0
    .max_flat_workgroup_size: 128
    .name:           _ZN7rocprim17ROCPRIM_400000_NS6detail17trampoline_kernelINS0_14default_configENS1_38merge_sort_block_merge_config_selectorItNS0_10empty_typeEEEZZNS1_27merge_sort_block_merge_implIS3_N6thrust23THRUST_200600_302600_NS6detail15normal_iteratorINS9_10device_ptrItEEEEPS5_jNS1_19radix_merge_compareILb0ELb0EtNS0_19identity_decomposerEEEEE10hipError_tT0_T1_T2_jT3_P12ihipStream_tbPNSt15iterator_traitsISK_E10value_typeEPNSQ_ISL_E10value_typeEPSM_NS1_7vsmem_tEENKUlT_SK_SL_SM_E_clISE_PtSF_SF_EESJ_SZ_SK_SL_SM_EUlSZ_E_NS1_11comp_targetILNS1_3genE8ELNS1_11target_archE1030ELNS1_3gpuE2ELNS1_3repE0EEENS1_48merge_mergepath_partition_config_static_selectorELNS0_4arch9wavefront6targetE1EEEvSL_
    .private_segment_fixed_size: 0
    .sgpr_count:     4
    .sgpr_spill_count: 0
    .symbol:         _ZN7rocprim17ROCPRIM_400000_NS6detail17trampoline_kernelINS0_14default_configENS1_38merge_sort_block_merge_config_selectorItNS0_10empty_typeEEEZZNS1_27merge_sort_block_merge_implIS3_N6thrust23THRUST_200600_302600_NS6detail15normal_iteratorINS9_10device_ptrItEEEEPS5_jNS1_19radix_merge_compareILb0ELb0EtNS0_19identity_decomposerEEEEE10hipError_tT0_T1_T2_jT3_P12ihipStream_tbPNSt15iterator_traitsISK_E10value_typeEPNSQ_ISL_E10value_typeEPSM_NS1_7vsmem_tEENKUlT_SK_SL_SM_E_clISE_PtSF_SF_EESJ_SZ_SK_SL_SM_EUlSZ_E_NS1_11comp_targetILNS1_3genE8ELNS1_11target_archE1030ELNS1_3gpuE2ELNS1_3repE0EEENS1_48merge_mergepath_partition_config_static_selectorELNS0_4arch9wavefront6targetE1EEEvSL_.kd
    .uniform_work_group_size: 1
    .uses_dynamic_stack: false
    .vgpr_count:     0
    .vgpr_spill_count: 0
    .wavefront_size: 64
  - .agpr_count:     0
    .args:
      - .offset:         0
        .size:           64
        .value_kind:     by_value
    .group_segment_fixed_size: 0
    .kernarg_segment_align: 8
    .kernarg_segment_size: 64
    .language:       OpenCL C
    .language_version:
      - 2
      - 0
    .max_flat_workgroup_size: 128
    .name:           _ZN7rocprim17ROCPRIM_400000_NS6detail17trampoline_kernelINS0_14default_configENS1_38merge_sort_block_merge_config_selectorItNS0_10empty_typeEEEZZNS1_27merge_sort_block_merge_implIS3_N6thrust23THRUST_200600_302600_NS6detail15normal_iteratorINS9_10device_ptrItEEEEPS5_jNS1_19radix_merge_compareILb0ELb0EtNS0_19identity_decomposerEEEEE10hipError_tT0_T1_T2_jT3_P12ihipStream_tbPNSt15iterator_traitsISK_E10value_typeEPNSQ_ISL_E10value_typeEPSM_NS1_7vsmem_tEENKUlT_SK_SL_SM_E_clISE_PtSF_SF_EESJ_SZ_SK_SL_SM_EUlSZ_E0_NS1_11comp_targetILNS1_3genE0ELNS1_11target_archE4294967295ELNS1_3gpuE0ELNS1_3repE0EEENS1_38merge_mergepath_config_static_selectorELNS0_4arch9wavefront6targetE1EEEvSL_
    .private_segment_fixed_size: 0
    .sgpr_count:     4
    .sgpr_spill_count: 0
    .symbol:         _ZN7rocprim17ROCPRIM_400000_NS6detail17trampoline_kernelINS0_14default_configENS1_38merge_sort_block_merge_config_selectorItNS0_10empty_typeEEEZZNS1_27merge_sort_block_merge_implIS3_N6thrust23THRUST_200600_302600_NS6detail15normal_iteratorINS9_10device_ptrItEEEEPS5_jNS1_19radix_merge_compareILb0ELb0EtNS0_19identity_decomposerEEEEE10hipError_tT0_T1_T2_jT3_P12ihipStream_tbPNSt15iterator_traitsISK_E10value_typeEPNSQ_ISL_E10value_typeEPSM_NS1_7vsmem_tEENKUlT_SK_SL_SM_E_clISE_PtSF_SF_EESJ_SZ_SK_SL_SM_EUlSZ_E0_NS1_11comp_targetILNS1_3genE0ELNS1_11target_archE4294967295ELNS1_3gpuE0ELNS1_3repE0EEENS1_38merge_mergepath_config_static_selectorELNS0_4arch9wavefront6targetE1EEEvSL_.kd
    .uniform_work_group_size: 1
    .uses_dynamic_stack: false
    .vgpr_count:     0
    .vgpr_spill_count: 0
    .wavefront_size: 64
  - .agpr_count:     0
    .args:
      - .offset:         0
        .size:           64
        .value_kind:     by_value
    .group_segment_fixed_size: 0
    .kernarg_segment_align: 8
    .kernarg_segment_size: 64
    .language:       OpenCL C
    .language_version:
      - 2
      - 0
    .max_flat_workgroup_size: 128
    .name:           _ZN7rocprim17ROCPRIM_400000_NS6detail17trampoline_kernelINS0_14default_configENS1_38merge_sort_block_merge_config_selectorItNS0_10empty_typeEEEZZNS1_27merge_sort_block_merge_implIS3_N6thrust23THRUST_200600_302600_NS6detail15normal_iteratorINS9_10device_ptrItEEEEPS5_jNS1_19radix_merge_compareILb0ELb0EtNS0_19identity_decomposerEEEEE10hipError_tT0_T1_T2_jT3_P12ihipStream_tbPNSt15iterator_traitsISK_E10value_typeEPNSQ_ISL_E10value_typeEPSM_NS1_7vsmem_tEENKUlT_SK_SL_SM_E_clISE_PtSF_SF_EESJ_SZ_SK_SL_SM_EUlSZ_E0_NS1_11comp_targetILNS1_3genE10ELNS1_11target_archE1201ELNS1_3gpuE5ELNS1_3repE0EEENS1_38merge_mergepath_config_static_selectorELNS0_4arch9wavefront6targetE1EEEvSL_
    .private_segment_fixed_size: 0
    .sgpr_count:     4
    .sgpr_spill_count: 0
    .symbol:         _ZN7rocprim17ROCPRIM_400000_NS6detail17trampoline_kernelINS0_14default_configENS1_38merge_sort_block_merge_config_selectorItNS0_10empty_typeEEEZZNS1_27merge_sort_block_merge_implIS3_N6thrust23THRUST_200600_302600_NS6detail15normal_iteratorINS9_10device_ptrItEEEEPS5_jNS1_19radix_merge_compareILb0ELb0EtNS0_19identity_decomposerEEEEE10hipError_tT0_T1_T2_jT3_P12ihipStream_tbPNSt15iterator_traitsISK_E10value_typeEPNSQ_ISL_E10value_typeEPSM_NS1_7vsmem_tEENKUlT_SK_SL_SM_E_clISE_PtSF_SF_EESJ_SZ_SK_SL_SM_EUlSZ_E0_NS1_11comp_targetILNS1_3genE10ELNS1_11target_archE1201ELNS1_3gpuE5ELNS1_3repE0EEENS1_38merge_mergepath_config_static_selectorELNS0_4arch9wavefront6targetE1EEEvSL_.kd
    .uniform_work_group_size: 1
    .uses_dynamic_stack: false
    .vgpr_count:     0
    .vgpr_spill_count: 0
    .wavefront_size: 64
  - .agpr_count:     0
    .args:
      - .offset:         0
        .size:           64
        .value_kind:     by_value
    .group_segment_fixed_size: 0
    .kernarg_segment_align: 8
    .kernarg_segment_size: 64
    .language:       OpenCL C
    .language_version:
      - 2
      - 0
    .max_flat_workgroup_size: 128
    .name:           _ZN7rocprim17ROCPRIM_400000_NS6detail17trampoline_kernelINS0_14default_configENS1_38merge_sort_block_merge_config_selectorItNS0_10empty_typeEEEZZNS1_27merge_sort_block_merge_implIS3_N6thrust23THRUST_200600_302600_NS6detail15normal_iteratorINS9_10device_ptrItEEEEPS5_jNS1_19radix_merge_compareILb0ELb0EtNS0_19identity_decomposerEEEEE10hipError_tT0_T1_T2_jT3_P12ihipStream_tbPNSt15iterator_traitsISK_E10value_typeEPNSQ_ISL_E10value_typeEPSM_NS1_7vsmem_tEENKUlT_SK_SL_SM_E_clISE_PtSF_SF_EESJ_SZ_SK_SL_SM_EUlSZ_E0_NS1_11comp_targetILNS1_3genE5ELNS1_11target_archE942ELNS1_3gpuE9ELNS1_3repE0EEENS1_38merge_mergepath_config_static_selectorELNS0_4arch9wavefront6targetE1EEEvSL_
    .private_segment_fixed_size: 0
    .sgpr_count:     4
    .sgpr_spill_count: 0
    .symbol:         _ZN7rocprim17ROCPRIM_400000_NS6detail17trampoline_kernelINS0_14default_configENS1_38merge_sort_block_merge_config_selectorItNS0_10empty_typeEEEZZNS1_27merge_sort_block_merge_implIS3_N6thrust23THRUST_200600_302600_NS6detail15normal_iteratorINS9_10device_ptrItEEEEPS5_jNS1_19radix_merge_compareILb0ELb0EtNS0_19identity_decomposerEEEEE10hipError_tT0_T1_T2_jT3_P12ihipStream_tbPNSt15iterator_traitsISK_E10value_typeEPNSQ_ISL_E10value_typeEPSM_NS1_7vsmem_tEENKUlT_SK_SL_SM_E_clISE_PtSF_SF_EESJ_SZ_SK_SL_SM_EUlSZ_E0_NS1_11comp_targetILNS1_3genE5ELNS1_11target_archE942ELNS1_3gpuE9ELNS1_3repE0EEENS1_38merge_mergepath_config_static_selectorELNS0_4arch9wavefront6targetE1EEEvSL_.kd
    .uniform_work_group_size: 1
    .uses_dynamic_stack: false
    .vgpr_count:     0
    .vgpr_spill_count: 0
    .wavefront_size: 64
  - .agpr_count:     0
    .args:
      - .offset:         0
        .size:           64
        .value_kind:     by_value
      - .offset:         64
        .size:           4
        .value_kind:     hidden_block_count_x
      - .offset:         68
        .size:           4
        .value_kind:     hidden_block_count_y
      - .offset:         72
        .size:           4
        .value_kind:     hidden_block_count_z
      - .offset:         76
        .size:           2
        .value_kind:     hidden_group_size_x
      - .offset:         78
        .size:           2
        .value_kind:     hidden_group_size_y
      - .offset:         80
        .size:           2
        .value_kind:     hidden_group_size_z
      - .offset:         82
        .size:           2
        .value_kind:     hidden_remainder_x
      - .offset:         84
        .size:           2
        .value_kind:     hidden_remainder_y
      - .offset:         86
        .size:           2
        .value_kind:     hidden_remainder_z
      - .offset:         104
        .size:           8
        .value_kind:     hidden_global_offset_x
      - .offset:         112
        .size:           8
        .value_kind:     hidden_global_offset_y
      - .offset:         120
        .size:           8
        .value_kind:     hidden_global_offset_z
      - .offset:         128
        .size:           2
        .value_kind:     hidden_grid_dims
    .group_segment_fixed_size: 2112
    .kernarg_segment_align: 8
    .kernarg_segment_size: 320
    .language:       OpenCL C
    .language_version:
      - 2
      - 0
    .max_flat_workgroup_size: 128
    .name:           _ZN7rocprim17ROCPRIM_400000_NS6detail17trampoline_kernelINS0_14default_configENS1_38merge_sort_block_merge_config_selectorItNS0_10empty_typeEEEZZNS1_27merge_sort_block_merge_implIS3_N6thrust23THRUST_200600_302600_NS6detail15normal_iteratorINS9_10device_ptrItEEEEPS5_jNS1_19radix_merge_compareILb0ELb0EtNS0_19identity_decomposerEEEEE10hipError_tT0_T1_T2_jT3_P12ihipStream_tbPNSt15iterator_traitsISK_E10value_typeEPNSQ_ISL_E10value_typeEPSM_NS1_7vsmem_tEENKUlT_SK_SL_SM_E_clISE_PtSF_SF_EESJ_SZ_SK_SL_SM_EUlSZ_E0_NS1_11comp_targetILNS1_3genE4ELNS1_11target_archE910ELNS1_3gpuE8ELNS1_3repE0EEENS1_38merge_mergepath_config_static_selectorELNS0_4arch9wavefront6targetE1EEEvSL_
    .private_segment_fixed_size: 0
    .sgpr_count:     28
    .sgpr_spill_count: 0
    .symbol:         _ZN7rocprim17ROCPRIM_400000_NS6detail17trampoline_kernelINS0_14default_configENS1_38merge_sort_block_merge_config_selectorItNS0_10empty_typeEEEZZNS1_27merge_sort_block_merge_implIS3_N6thrust23THRUST_200600_302600_NS6detail15normal_iteratorINS9_10device_ptrItEEEEPS5_jNS1_19radix_merge_compareILb0ELb0EtNS0_19identity_decomposerEEEEE10hipError_tT0_T1_T2_jT3_P12ihipStream_tbPNSt15iterator_traitsISK_E10value_typeEPNSQ_ISL_E10value_typeEPSM_NS1_7vsmem_tEENKUlT_SK_SL_SM_E_clISE_PtSF_SF_EESJ_SZ_SK_SL_SM_EUlSZ_E0_NS1_11comp_targetILNS1_3genE4ELNS1_11target_archE910ELNS1_3gpuE8ELNS1_3repE0EEENS1_38merge_mergepath_config_static_selectorELNS0_4arch9wavefront6targetE1EEEvSL_.kd
    .uniform_work_group_size: 1
    .uses_dynamic_stack: false
    .vgpr_count:     26
    .vgpr_spill_count: 0
    .wavefront_size: 64
  - .agpr_count:     0
    .args:
      - .offset:         0
        .size:           64
        .value_kind:     by_value
    .group_segment_fixed_size: 0
    .kernarg_segment_align: 8
    .kernarg_segment_size: 64
    .language:       OpenCL C
    .language_version:
      - 2
      - 0
    .max_flat_workgroup_size: 128
    .name:           _ZN7rocprim17ROCPRIM_400000_NS6detail17trampoline_kernelINS0_14default_configENS1_38merge_sort_block_merge_config_selectorItNS0_10empty_typeEEEZZNS1_27merge_sort_block_merge_implIS3_N6thrust23THRUST_200600_302600_NS6detail15normal_iteratorINS9_10device_ptrItEEEEPS5_jNS1_19radix_merge_compareILb0ELb0EtNS0_19identity_decomposerEEEEE10hipError_tT0_T1_T2_jT3_P12ihipStream_tbPNSt15iterator_traitsISK_E10value_typeEPNSQ_ISL_E10value_typeEPSM_NS1_7vsmem_tEENKUlT_SK_SL_SM_E_clISE_PtSF_SF_EESJ_SZ_SK_SL_SM_EUlSZ_E0_NS1_11comp_targetILNS1_3genE3ELNS1_11target_archE908ELNS1_3gpuE7ELNS1_3repE0EEENS1_38merge_mergepath_config_static_selectorELNS0_4arch9wavefront6targetE1EEEvSL_
    .private_segment_fixed_size: 0
    .sgpr_count:     4
    .sgpr_spill_count: 0
    .symbol:         _ZN7rocprim17ROCPRIM_400000_NS6detail17trampoline_kernelINS0_14default_configENS1_38merge_sort_block_merge_config_selectorItNS0_10empty_typeEEEZZNS1_27merge_sort_block_merge_implIS3_N6thrust23THRUST_200600_302600_NS6detail15normal_iteratorINS9_10device_ptrItEEEEPS5_jNS1_19radix_merge_compareILb0ELb0EtNS0_19identity_decomposerEEEEE10hipError_tT0_T1_T2_jT3_P12ihipStream_tbPNSt15iterator_traitsISK_E10value_typeEPNSQ_ISL_E10value_typeEPSM_NS1_7vsmem_tEENKUlT_SK_SL_SM_E_clISE_PtSF_SF_EESJ_SZ_SK_SL_SM_EUlSZ_E0_NS1_11comp_targetILNS1_3genE3ELNS1_11target_archE908ELNS1_3gpuE7ELNS1_3repE0EEENS1_38merge_mergepath_config_static_selectorELNS0_4arch9wavefront6targetE1EEEvSL_.kd
    .uniform_work_group_size: 1
    .uses_dynamic_stack: false
    .vgpr_count:     0
    .vgpr_spill_count: 0
    .wavefront_size: 64
  - .agpr_count:     0
    .args:
      - .offset:         0
        .size:           64
        .value_kind:     by_value
    .group_segment_fixed_size: 0
    .kernarg_segment_align: 8
    .kernarg_segment_size: 64
    .language:       OpenCL C
    .language_version:
      - 2
      - 0
    .max_flat_workgroup_size: 128
    .name:           _ZN7rocprim17ROCPRIM_400000_NS6detail17trampoline_kernelINS0_14default_configENS1_38merge_sort_block_merge_config_selectorItNS0_10empty_typeEEEZZNS1_27merge_sort_block_merge_implIS3_N6thrust23THRUST_200600_302600_NS6detail15normal_iteratorINS9_10device_ptrItEEEEPS5_jNS1_19radix_merge_compareILb0ELb0EtNS0_19identity_decomposerEEEEE10hipError_tT0_T1_T2_jT3_P12ihipStream_tbPNSt15iterator_traitsISK_E10value_typeEPNSQ_ISL_E10value_typeEPSM_NS1_7vsmem_tEENKUlT_SK_SL_SM_E_clISE_PtSF_SF_EESJ_SZ_SK_SL_SM_EUlSZ_E0_NS1_11comp_targetILNS1_3genE2ELNS1_11target_archE906ELNS1_3gpuE6ELNS1_3repE0EEENS1_38merge_mergepath_config_static_selectorELNS0_4arch9wavefront6targetE1EEEvSL_
    .private_segment_fixed_size: 0
    .sgpr_count:     4
    .sgpr_spill_count: 0
    .symbol:         _ZN7rocprim17ROCPRIM_400000_NS6detail17trampoline_kernelINS0_14default_configENS1_38merge_sort_block_merge_config_selectorItNS0_10empty_typeEEEZZNS1_27merge_sort_block_merge_implIS3_N6thrust23THRUST_200600_302600_NS6detail15normal_iteratorINS9_10device_ptrItEEEEPS5_jNS1_19radix_merge_compareILb0ELb0EtNS0_19identity_decomposerEEEEE10hipError_tT0_T1_T2_jT3_P12ihipStream_tbPNSt15iterator_traitsISK_E10value_typeEPNSQ_ISL_E10value_typeEPSM_NS1_7vsmem_tEENKUlT_SK_SL_SM_E_clISE_PtSF_SF_EESJ_SZ_SK_SL_SM_EUlSZ_E0_NS1_11comp_targetILNS1_3genE2ELNS1_11target_archE906ELNS1_3gpuE6ELNS1_3repE0EEENS1_38merge_mergepath_config_static_selectorELNS0_4arch9wavefront6targetE1EEEvSL_.kd
    .uniform_work_group_size: 1
    .uses_dynamic_stack: false
    .vgpr_count:     0
    .vgpr_spill_count: 0
    .wavefront_size: 64
  - .agpr_count:     0
    .args:
      - .offset:         0
        .size:           64
        .value_kind:     by_value
    .group_segment_fixed_size: 0
    .kernarg_segment_align: 8
    .kernarg_segment_size: 64
    .language:       OpenCL C
    .language_version:
      - 2
      - 0
    .max_flat_workgroup_size: 128
    .name:           _ZN7rocprim17ROCPRIM_400000_NS6detail17trampoline_kernelINS0_14default_configENS1_38merge_sort_block_merge_config_selectorItNS0_10empty_typeEEEZZNS1_27merge_sort_block_merge_implIS3_N6thrust23THRUST_200600_302600_NS6detail15normal_iteratorINS9_10device_ptrItEEEEPS5_jNS1_19radix_merge_compareILb0ELb0EtNS0_19identity_decomposerEEEEE10hipError_tT0_T1_T2_jT3_P12ihipStream_tbPNSt15iterator_traitsISK_E10value_typeEPNSQ_ISL_E10value_typeEPSM_NS1_7vsmem_tEENKUlT_SK_SL_SM_E_clISE_PtSF_SF_EESJ_SZ_SK_SL_SM_EUlSZ_E0_NS1_11comp_targetILNS1_3genE9ELNS1_11target_archE1100ELNS1_3gpuE3ELNS1_3repE0EEENS1_38merge_mergepath_config_static_selectorELNS0_4arch9wavefront6targetE1EEEvSL_
    .private_segment_fixed_size: 0
    .sgpr_count:     4
    .sgpr_spill_count: 0
    .symbol:         _ZN7rocprim17ROCPRIM_400000_NS6detail17trampoline_kernelINS0_14default_configENS1_38merge_sort_block_merge_config_selectorItNS0_10empty_typeEEEZZNS1_27merge_sort_block_merge_implIS3_N6thrust23THRUST_200600_302600_NS6detail15normal_iteratorINS9_10device_ptrItEEEEPS5_jNS1_19radix_merge_compareILb0ELb0EtNS0_19identity_decomposerEEEEE10hipError_tT0_T1_T2_jT3_P12ihipStream_tbPNSt15iterator_traitsISK_E10value_typeEPNSQ_ISL_E10value_typeEPSM_NS1_7vsmem_tEENKUlT_SK_SL_SM_E_clISE_PtSF_SF_EESJ_SZ_SK_SL_SM_EUlSZ_E0_NS1_11comp_targetILNS1_3genE9ELNS1_11target_archE1100ELNS1_3gpuE3ELNS1_3repE0EEENS1_38merge_mergepath_config_static_selectorELNS0_4arch9wavefront6targetE1EEEvSL_.kd
    .uniform_work_group_size: 1
    .uses_dynamic_stack: false
    .vgpr_count:     0
    .vgpr_spill_count: 0
    .wavefront_size: 64
  - .agpr_count:     0
    .args:
      - .offset:         0
        .size:           64
        .value_kind:     by_value
    .group_segment_fixed_size: 0
    .kernarg_segment_align: 8
    .kernarg_segment_size: 64
    .language:       OpenCL C
    .language_version:
      - 2
      - 0
    .max_flat_workgroup_size: 128
    .name:           _ZN7rocprim17ROCPRIM_400000_NS6detail17trampoline_kernelINS0_14default_configENS1_38merge_sort_block_merge_config_selectorItNS0_10empty_typeEEEZZNS1_27merge_sort_block_merge_implIS3_N6thrust23THRUST_200600_302600_NS6detail15normal_iteratorINS9_10device_ptrItEEEEPS5_jNS1_19radix_merge_compareILb0ELb0EtNS0_19identity_decomposerEEEEE10hipError_tT0_T1_T2_jT3_P12ihipStream_tbPNSt15iterator_traitsISK_E10value_typeEPNSQ_ISL_E10value_typeEPSM_NS1_7vsmem_tEENKUlT_SK_SL_SM_E_clISE_PtSF_SF_EESJ_SZ_SK_SL_SM_EUlSZ_E0_NS1_11comp_targetILNS1_3genE8ELNS1_11target_archE1030ELNS1_3gpuE2ELNS1_3repE0EEENS1_38merge_mergepath_config_static_selectorELNS0_4arch9wavefront6targetE1EEEvSL_
    .private_segment_fixed_size: 0
    .sgpr_count:     4
    .sgpr_spill_count: 0
    .symbol:         _ZN7rocprim17ROCPRIM_400000_NS6detail17trampoline_kernelINS0_14default_configENS1_38merge_sort_block_merge_config_selectorItNS0_10empty_typeEEEZZNS1_27merge_sort_block_merge_implIS3_N6thrust23THRUST_200600_302600_NS6detail15normal_iteratorINS9_10device_ptrItEEEEPS5_jNS1_19radix_merge_compareILb0ELb0EtNS0_19identity_decomposerEEEEE10hipError_tT0_T1_T2_jT3_P12ihipStream_tbPNSt15iterator_traitsISK_E10value_typeEPNSQ_ISL_E10value_typeEPSM_NS1_7vsmem_tEENKUlT_SK_SL_SM_E_clISE_PtSF_SF_EESJ_SZ_SK_SL_SM_EUlSZ_E0_NS1_11comp_targetILNS1_3genE8ELNS1_11target_archE1030ELNS1_3gpuE2ELNS1_3repE0EEENS1_38merge_mergepath_config_static_selectorELNS0_4arch9wavefront6targetE1EEEvSL_.kd
    .uniform_work_group_size: 1
    .uses_dynamic_stack: false
    .vgpr_count:     0
    .vgpr_spill_count: 0
    .wavefront_size: 64
  - .agpr_count:     0
    .args:
      - .offset:         0
        .size:           48
        .value_kind:     by_value
    .group_segment_fixed_size: 0
    .kernarg_segment_align: 8
    .kernarg_segment_size: 48
    .language:       OpenCL C
    .language_version:
      - 2
      - 0
    .max_flat_workgroup_size: 256
    .name:           _ZN7rocprim17ROCPRIM_400000_NS6detail17trampoline_kernelINS0_14default_configENS1_38merge_sort_block_merge_config_selectorItNS0_10empty_typeEEEZZNS1_27merge_sort_block_merge_implIS3_N6thrust23THRUST_200600_302600_NS6detail15normal_iteratorINS9_10device_ptrItEEEEPS5_jNS1_19radix_merge_compareILb0ELb0EtNS0_19identity_decomposerEEEEE10hipError_tT0_T1_T2_jT3_P12ihipStream_tbPNSt15iterator_traitsISK_E10value_typeEPNSQ_ISL_E10value_typeEPSM_NS1_7vsmem_tEENKUlT_SK_SL_SM_E_clISE_PtSF_SF_EESJ_SZ_SK_SL_SM_EUlSZ_E1_NS1_11comp_targetILNS1_3genE0ELNS1_11target_archE4294967295ELNS1_3gpuE0ELNS1_3repE0EEENS1_36merge_oddeven_config_static_selectorELNS0_4arch9wavefront6targetE1EEEvSL_
    .private_segment_fixed_size: 0
    .sgpr_count:     4
    .sgpr_spill_count: 0
    .symbol:         _ZN7rocprim17ROCPRIM_400000_NS6detail17trampoline_kernelINS0_14default_configENS1_38merge_sort_block_merge_config_selectorItNS0_10empty_typeEEEZZNS1_27merge_sort_block_merge_implIS3_N6thrust23THRUST_200600_302600_NS6detail15normal_iteratorINS9_10device_ptrItEEEEPS5_jNS1_19radix_merge_compareILb0ELb0EtNS0_19identity_decomposerEEEEE10hipError_tT0_T1_T2_jT3_P12ihipStream_tbPNSt15iterator_traitsISK_E10value_typeEPNSQ_ISL_E10value_typeEPSM_NS1_7vsmem_tEENKUlT_SK_SL_SM_E_clISE_PtSF_SF_EESJ_SZ_SK_SL_SM_EUlSZ_E1_NS1_11comp_targetILNS1_3genE0ELNS1_11target_archE4294967295ELNS1_3gpuE0ELNS1_3repE0EEENS1_36merge_oddeven_config_static_selectorELNS0_4arch9wavefront6targetE1EEEvSL_.kd
    .uniform_work_group_size: 1
    .uses_dynamic_stack: false
    .vgpr_count:     0
    .vgpr_spill_count: 0
    .wavefront_size: 64
  - .agpr_count:     0
    .args:
      - .offset:         0
        .size:           48
        .value_kind:     by_value
    .group_segment_fixed_size: 0
    .kernarg_segment_align: 8
    .kernarg_segment_size: 48
    .language:       OpenCL C
    .language_version:
      - 2
      - 0
    .max_flat_workgroup_size: 256
    .name:           _ZN7rocprim17ROCPRIM_400000_NS6detail17trampoline_kernelINS0_14default_configENS1_38merge_sort_block_merge_config_selectorItNS0_10empty_typeEEEZZNS1_27merge_sort_block_merge_implIS3_N6thrust23THRUST_200600_302600_NS6detail15normal_iteratorINS9_10device_ptrItEEEEPS5_jNS1_19radix_merge_compareILb0ELb0EtNS0_19identity_decomposerEEEEE10hipError_tT0_T1_T2_jT3_P12ihipStream_tbPNSt15iterator_traitsISK_E10value_typeEPNSQ_ISL_E10value_typeEPSM_NS1_7vsmem_tEENKUlT_SK_SL_SM_E_clISE_PtSF_SF_EESJ_SZ_SK_SL_SM_EUlSZ_E1_NS1_11comp_targetILNS1_3genE10ELNS1_11target_archE1201ELNS1_3gpuE5ELNS1_3repE0EEENS1_36merge_oddeven_config_static_selectorELNS0_4arch9wavefront6targetE1EEEvSL_
    .private_segment_fixed_size: 0
    .sgpr_count:     4
    .sgpr_spill_count: 0
    .symbol:         _ZN7rocprim17ROCPRIM_400000_NS6detail17trampoline_kernelINS0_14default_configENS1_38merge_sort_block_merge_config_selectorItNS0_10empty_typeEEEZZNS1_27merge_sort_block_merge_implIS3_N6thrust23THRUST_200600_302600_NS6detail15normal_iteratorINS9_10device_ptrItEEEEPS5_jNS1_19radix_merge_compareILb0ELb0EtNS0_19identity_decomposerEEEEE10hipError_tT0_T1_T2_jT3_P12ihipStream_tbPNSt15iterator_traitsISK_E10value_typeEPNSQ_ISL_E10value_typeEPSM_NS1_7vsmem_tEENKUlT_SK_SL_SM_E_clISE_PtSF_SF_EESJ_SZ_SK_SL_SM_EUlSZ_E1_NS1_11comp_targetILNS1_3genE10ELNS1_11target_archE1201ELNS1_3gpuE5ELNS1_3repE0EEENS1_36merge_oddeven_config_static_selectorELNS0_4arch9wavefront6targetE1EEEvSL_.kd
    .uniform_work_group_size: 1
    .uses_dynamic_stack: false
    .vgpr_count:     0
    .vgpr_spill_count: 0
    .wavefront_size: 64
  - .agpr_count:     0
    .args:
      - .offset:         0
        .size:           48
        .value_kind:     by_value
    .group_segment_fixed_size: 0
    .kernarg_segment_align: 8
    .kernarg_segment_size: 48
    .language:       OpenCL C
    .language_version:
      - 2
      - 0
    .max_flat_workgroup_size: 256
    .name:           _ZN7rocprim17ROCPRIM_400000_NS6detail17trampoline_kernelINS0_14default_configENS1_38merge_sort_block_merge_config_selectorItNS0_10empty_typeEEEZZNS1_27merge_sort_block_merge_implIS3_N6thrust23THRUST_200600_302600_NS6detail15normal_iteratorINS9_10device_ptrItEEEEPS5_jNS1_19radix_merge_compareILb0ELb0EtNS0_19identity_decomposerEEEEE10hipError_tT0_T1_T2_jT3_P12ihipStream_tbPNSt15iterator_traitsISK_E10value_typeEPNSQ_ISL_E10value_typeEPSM_NS1_7vsmem_tEENKUlT_SK_SL_SM_E_clISE_PtSF_SF_EESJ_SZ_SK_SL_SM_EUlSZ_E1_NS1_11comp_targetILNS1_3genE5ELNS1_11target_archE942ELNS1_3gpuE9ELNS1_3repE0EEENS1_36merge_oddeven_config_static_selectorELNS0_4arch9wavefront6targetE1EEEvSL_
    .private_segment_fixed_size: 0
    .sgpr_count:     4
    .sgpr_spill_count: 0
    .symbol:         _ZN7rocprim17ROCPRIM_400000_NS6detail17trampoline_kernelINS0_14default_configENS1_38merge_sort_block_merge_config_selectorItNS0_10empty_typeEEEZZNS1_27merge_sort_block_merge_implIS3_N6thrust23THRUST_200600_302600_NS6detail15normal_iteratorINS9_10device_ptrItEEEEPS5_jNS1_19radix_merge_compareILb0ELb0EtNS0_19identity_decomposerEEEEE10hipError_tT0_T1_T2_jT3_P12ihipStream_tbPNSt15iterator_traitsISK_E10value_typeEPNSQ_ISL_E10value_typeEPSM_NS1_7vsmem_tEENKUlT_SK_SL_SM_E_clISE_PtSF_SF_EESJ_SZ_SK_SL_SM_EUlSZ_E1_NS1_11comp_targetILNS1_3genE5ELNS1_11target_archE942ELNS1_3gpuE9ELNS1_3repE0EEENS1_36merge_oddeven_config_static_selectorELNS0_4arch9wavefront6targetE1EEEvSL_.kd
    .uniform_work_group_size: 1
    .uses_dynamic_stack: false
    .vgpr_count:     0
    .vgpr_spill_count: 0
    .wavefront_size: 64
  - .agpr_count:     0
    .args:
      - .offset:         0
        .size:           48
        .value_kind:     by_value
    .group_segment_fixed_size: 0
    .kernarg_segment_align: 8
    .kernarg_segment_size: 48
    .language:       OpenCL C
    .language_version:
      - 2
      - 0
    .max_flat_workgroup_size: 256
    .name:           _ZN7rocprim17ROCPRIM_400000_NS6detail17trampoline_kernelINS0_14default_configENS1_38merge_sort_block_merge_config_selectorItNS0_10empty_typeEEEZZNS1_27merge_sort_block_merge_implIS3_N6thrust23THRUST_200600_302600_NS6detail15normal_iteratorINS9_10device_ptrItEEEEPS5_jNS1_19radix_merge_compareILb0ELb0EtNS0_19identity_decomposerEEEEE10hipError_tT0_T1_T2_jT3_P12ihipStream_tbPNSt15iterator_traitsISK_E10value_typeEPNSQ_ISL_E10value_typeEPSM_NS1_7vsmem_tEENKUlT_SK_SL_SM_E_clISE_PtSF_SF_EESJ_SZ_SK_SL_SM_EUlSZ_E1_NS1_11comp_targetILNS1_3genE4ELNS1_11target_archE910ELNS1_3gpuE8ELNS1_3repE0EEENS1_36merge_oddeven_config_static_selectorELNS0_4arch9wavefront6targetE1EEEvSL_
    .private_segment_fixed_size: 0
    .sgpr_count:     25
    .sgpr_spill_count: 0
    .symbol:         _ZN7rocprim17ROCPRIM_400000_NS6detail17trampoline_kernelINS0_14default_configENS1_38merge_sort_block_merge_config_selectorItNS0_10empty_typeEEEZZNS1_27merge_sort_block_merge_implIS3_N6thrust23THRUST_200600_302600_NS6detail15normal_iteratorINS9_10device_ptrItEEEEPS5_jNS1_19radix_merge_compareILb0ELb0EtNS0_19identity_decomposerEEEEE10hipError_tT0_T1_T2_jT3_P12ihipStream_tbPNSt15iterator_traitsISK_E10value_typeEPNSQ_ISL_E10value_typeEPSM_NS1_7vsmem_tEENKUlT_SK_SL_SM_E_clISE_PtSF_SF_EESJ_SZ_SK_SL_SM_EUlSZ_E1_NS1_11comp_targetILNS1_3genE4ELNS1_11target_archE910ELNS1_3gpuE8ELNS1_3repE0EEENS1_36merge_oddeven_config_static_selectorELNS0_4arch9wavefront6targetE1EEEvSL_.kd
    .uniform_work_group_size: 1
    .uses_dynamic_stack: false
    .vgpr_count:     8
    .vgpr_spill_count: 0
    .wavefront_size: 64
  - .agpr_count:     0
    .args:
      - .offset:         0
        .size:           48
        .value_kind:     by_value
    .group_segment_fixed_size: 0
    .kernarg_segment_align: 8
    .kernarg_segment_size: 48
    .language:       OpenCL C
    .language_version:
      - 2
      - 0
    .max_flat_workgroup_size: 256
    .name:           _ZN7rocprim17ROCPRIM_400000_NS6detail17trampoline_kernelINS0_14default_configENS1_38merge_sort_block_merge_config_selectorItNS0_10empty_typeEEEZZNS1_27merge_sort_block_merge_implIS3_N6thrust23THRUST_200600_302600_NS6detail15normal_iteratorINS9_10device_ptrItEEEEPS5_jNS1_19radix_merge_compareILb0ELb0EtNS0_19identity_decomposerEEEEE10hipError_tT0_T1_T2_jT3_P12ihipStream_tbPNSt15iterator_traitsISK_E10value_typeEPNSQ_ISL_E10value_typeEPSM_NS1_7vsmem_tEENKUlT_SK_SL_SM_E_clISE_PtSF_SF_EESJ_SZ_SK_SL_SM_EUlSZ_E1_NS1_11comp_targetILNS1_3genE3ELNS1_11target_archE908ELNS1_3gpuE7ELNS1_3repE0EEENS1_36merge_oddeven_config_static_selectorELNS0_4arch9wavefront6targetE1EEEvSL_
    .private_segment_fixed_size: 0
    .sgpr_count:     4
    .sgpr_spill_count: 0
    .symbol:         _ZN7rocprim17ROCPRIM_400000_NS6detail17trampoline_kernelINS0_14default_configENS1_38merge_sort_block_merge_config_selectorItNS0_10empty_typeEEEZZNS1_27merge_sort_block_merge_implIS3_N6thrust23THRUST_200600_302600_NS6detail15normal_iteratorINS9_10device_ptrItEEEEPS5_jNS1_19radix_merge_compareILb0ELb0EtNS0_19identity_decomposerEEEEE10hipError_tT0_T1_T2_jT3_P12ihipStream_tbPNSt15iterator_traitsISK_E10value_typeEPNSQ_ISL_E10value_typeEPSM_NS1_7vsmem_tEENKUlT_SK_SL_SM_E_clISE_PtSF_SF_EESJ_SZ_SK_SL_SM_EUlSZ_E1_NS1_11comp_targetILNS1_3genE3ELNS1_11target_archE908ELNS1_3gpuE7ELNS1_3repE0EEENS1_36merge_oddeven_config_static_selectorELNS0_4arch9wavefront6targetE1EEEvSL_.kd
    .uniform_work_group_size: 1
    .uses_dynamic_stack: false
    .vgpr_count:     0
    .vgpr_spill_count: 0
    .wavefront_size: 64
  - .agpr_count:     0
    .args:
      - .offset:         0
        .size:           48
        .value_kind:     by_value
    .group_segment_fixed_size: 0
    .kernarg_segment_align: 8
    .kernarg_segment_size: 48
    .language:       OpenCL C
    .language_version:
      - 2
      - 0
    .max_flat_workgroup_size: 256
    .name:           _ZN7rocprim17ROCPRIM_400000_NS6detail17trampoline_kernelINS0_14default_configENS1_38merge_sort_block_merge_config_selectorItNS0_10empty_typeEEEZZNS1_27merge_sort_block_merge_implIS3_N6thrust23THRUST_200600_302600_NS6detail15normal_iteratorINS9_10device_ptrItEEEEPS5_jNS1_19radix_merge_compareILb0ELb0EtNS0_19identity_decomposerEEEEE10hipError_tT0_T1_T2_jT3_P12ihipStream_tbPNSt15iterator_traitsISK_E10value_typeEPNSQ_ISL_E10value_typeEPSM_NS1_7vsmem_tEENKUlT_SK_SL_SM_E_clISE_PtSF_SF_EESJ_SZ_SK_SL_SM_EUlSZ_E1_NS1_11comp_targetILNS1_3genE2ELNS1_11target_archE906ELNS1_3gpuE6ELNS1_3repE0EEENS1_36merge_oddeven_config_static_selectorELNS0_4arch9wavefront6targetE1EEEvSL_
    .private_segment_fixed_size: 0
    .sgpr_count:     4
    .sgpr_spill_count: 0
    .symbol:         _ZN7rocprim17ROCPRIM_400000_NS6detail17trampoline_kernelINS0_14default_configENS1_38merge_sort_block_merge_config_selectorItNS0_10empty_typeEEEZZNS1_27merge_sort_block_merge_implIS3_N6thrust23THRUST_200600_302600_NS6detail15normal_iteratorINS9_10device_ptrItEEEEPS5_jNS1_19radix_merge_compareILb0ELb0EtNS0_19identity_decomposerEEEEE10hipError_tT0_T1_T2_jT3_P12ihipStream_tbPNSt15iterator_traitsISK_E10value_typeEPNSQ_ISL_E10value_typeEPSM_NS1_7vsmem_tEENKUlT_SK_SL_SM_E_clISE_PtSF_SF_EESJ_SZ_SK_SL_SM_EUlSZ_E1_NS1_11comp_targetILNS1_3genE2ELNS1_11target_archE906ELNS1_3gpuE6ELNS1_3repE0EEENS1_36merge_oddeven_config_static_selectorELNS0_4arch9wavefront6targetE1EEEvSL_.kd
    .uniform_work_group_size: 1
    .uses_dynamic_stack: false
    .vgpr_count:     0
    .vgpr_spill_count: 0
    .wavefront_size: 64
  - .agpr_count:     0
    .args:
      - .offset:         0
        .size:           48
        .value_kind:     by_value
    .group_segment_fixed_size: 0
    .kernarg_segment_align: 8
    .kernarg_segment_size: 48
    .language:       OpenCL C
    .language_version:
      - 2
      - 0
    .max_flat_workgroup_size: 256
    .name:           _ZN7rocprim17ROCPRIM_400000_NS6detail17trampoline_kernelINS0_14default_configENS1_38merge_sort_block_merge_config_selectorItNS0_10empty_typeEEEZZNS1_27merge_sort_block_merge_implIS3_N6thrust23THRUST_200600_302600_NS6detail15normal_iteratorINS9_10device_ptrItEEEEPS5_jNS1_19radix_merge_compareILb0ELb0EtNS0_19identity_decomposerEEEEE10hipError_tT0_T1_T2_jT3_P12ihipStream_tbPNSt15iterator_traitsISK_E10value_typeEPNSQ_ISL_E10value_typeEPSM_NS1_7vsmem_tEENKUlT_SK_SL_SM_E_clISE_PtSF_SF_EESJ_SZ_SK_SL_SM_EUlSZ_E1_NS1_11comp_targetILNS1_3genE9ELNS1_11target_archE1100ELNS1_3gpuE3ELNS1_3repE0EEENS1_36merge_oddeven_config_static_selectorELNS0_4arch9wavefront6targetE1EEEvSL_
    .private_segment_fixed_size: 0
    .sgpr_count:     4
    .sgpr_spill_count: 0
    .symbol:         _ZN7rocprim17ROCPRIM_400000_NS6detail17trampoline_kernelINS0_14default_configENS1_38merge_sort_block_merge_config_selectorItNS0_10empty_typeEEEZZNS1_27merge_sort_block_merge_implIS3_N6thrust23THRUST_200600_302600_NS6detail15normal_iteratorINS9_10device_ptrItEEEEPS5_jNS1_19radix_merge_compareILb0ELb0EtNS0_19identity_decomposerEEEEE10hipError_tT0_T1_T2_jT3_P12ihipStream_tbPNSt15iterator_traitsISK_E10value_typeEPNSQ_ISL_E10value_typeEPSM_NS1_7vsmem_tEENKUlT_SK_SL_SM_E_clISE_PtSF_SF_EESJ_SZ_SK_SL_SM_EUlSZ_E1_NS1_11comp_targetILNS1_3genE9ELNS1_11target_archE1100ELNS1_3gpuE3ELNS1_3repE0EEENS1_36merge_oddeven_config_static_selectorELNS0_4arch9wavefront6targetE1EEEvSL_.kd
    .uniform_work_group_size: 1
    .uses_dynamic_stack: false
    .vgpr_count:     0
    .vgpr_spill_count: 0
    .wavefront_size: 64
  - .agpr_count:     0
    .args:
      - .offset:         0
        .size:           48
        .value_kind:     by_value
    .group_segment_fixed_size: 0
    .kernarg_segment_align: 8
    .kernarg_segment_size: 48
    .language:       OpenCL C
    .language_version:
      - 2
      - 0
    .max_flat_workgroup_size: 256
    .name:           _ZN7rocprim17ROCPRIM_400000_NS6detail17trampoline_kernelINS0_14default_configENS1_38merge_sort_block_merge_config_selectorItNS0_10empty_typeEEEZZNS1_27merge_sort_block_merge_implIS3_N6thrust23THRUST_200600_302600_NS6detail15normal_iteratorINS9_10device_ptrItEEEEPS5_jNS1_19radix_merge_compareILb0ELb0EtNS0_19identity_decomposerEEEEE10hipError_tT0_T1_T2_jT3_P12ihipStream_tbPNSt15iterator_traitsISK_E10value_typeEPNSQ_ISL_E10value_typeEPSM_NS1_7vsmem_tEENKUlT_SK_SL_SM_E_clISE_PtSF_SF_EESJ_SZ_SK_SL_SM_EUlSZ_E1_NS1_11comp_targetILNS1_3genE8ELNS1_11target_archE1030ELNS1_3gpuE2ELNS1_3repE0EEENS1_36merge_oddeven_config_static_selectorELNS0_4arch9wavefront6targetE1EEEvSL_
    .private_segment_fixed_size: 0
    .sgpr_count:     4
    .sgpr_spill_count: 0
    .symbol:         _ZN7rocprim17ROCPRIM_400000_NS6detail17trampoline_kernelINS0_14default_configENS1_38merge_sort_block_merge_config_selectorItNS0_10empty_typeEEEZZNS1_27merge_sort_block_merge_implIS3_N6thrust23THRUST_200600_302600_NS6detail15normal_iteratorINS9_10device_ptrItEEEEPS5_jNS1_19radix_merge_compareILb0ELb0EtNS0_19identity_decomposerEEEEE10hipError_tT0_T1_T2_jT3_P12ihipStream_tbPNSt15iterator_traitsISK_E10value_typeEPNSQ_ISL_E10value_typeEPSM_NS1_7vsmem_tEENKUlT_SK_SL_SM_E_clISE_PtSF_SF_EESJ_SZ_SK_SL_SM_EUlSZ_E1_NS1_11comp_targetILNS1_3genE8ELNS1_11target_archE1030ELNS1_3gpuE2ELNS1_3repE0EEENS1_36merge_oddeven_config_static_selectorELNS0_4arch9wavefront6targetE1EEEvSL_.kd
    .uniform_work_group_size: 1
    .uses_dynamic_stack: false
    .vgpr_count:     0
    .vgpr_spill_count: 0
    .wavefront_size: 64
  - .agpr_count:     0
    .args:
      - .offset:         0
        .size:           40
        .value_kind:     by_value
    .group_segment_fixed_size: 0
    .kernarg_segment_align: 8
    .kernarg_segment_size: 40
    .language:       OpenCL C
    .language_version:
      - 2
      - 0
    .max_flat_workgroup_size: 128
    .name:           _ZN7rocprim17ROCPRIM_400000_NS6detail17trampoline_kernelINS0_14default_configENS1_25transform_config_selectorItLb0EEEZNS1_14transform_implILb0ES3_S5_PtN6thrust23THRUST_200600_302600_NS6detail15normal_iteratorINS9_10device_ptrItEEEENS0_8identityItEEEE10hipError_tT2_T3_mT4_P12ihipStream_tbEUlT_E_NS1_11comp_targetILNS1_3genE0ELNS1_11target_archE4294967295ELNS1_3gpuE0ELNS1_3repE0EEENS1_30default_config_static_selectorELNS0_4arch9wavefront6targetE1EEEvT1_
    .private_segment_fixed_size: 0
    .sgpr_count:     4
    .sgpr_spill_count: 0
    .symbol:         _ZN7rocprim17ROCPRIM_400000_NS6detail17trampoline_kernelINS0_14default_configENS1_25transform_config_selectorItLb0EEEZNS1_14transform_implILb0ES3_S5_PtN6thrust23THRUST_200600_302600_NS6detail15normal_iteratorINS9_10device_ptrItEEEENS0_8identityItEEEE10hipError_tT2_T3_mT4_P12ihipStream_tbEUlT_E_NS1_11comp_targetILNS1_3genE0ELNS1_11target_archE4294967295ELNS1_3gpuE0ELNS1_3repE0EEENS1_30default_config_static_selectorELNS0_4arch9wavefront6targetE1EEEvT1_.kd
    .uniform_work_group_size: 1
    .uses_dynamic_stack: false
    .vgpr_count:     0
    .vgpr_spill_count: 0
    .wavefront_size: 64
  - .agpr_count:     0
    .args:
      - .offset:         0
        .size:           40
        .value_kind:     by_value
    .group_segment_fixed_size: 0
    .kernarg_segment_align: 8
    .kernarg_segment_size: 40
    .language:       OpenCL C
    .language_version:
      - 2
      - 0
    .max_flat_workgroup_size: 256
    .name:           _ZN7rocprim17ROCPRIM_400000_NS6detail17trampoline_kernelINS0_14default_configENS1_25transform_config_selectorItLb0EEEZNS1_14transform_implILb0ES3_S5_PtN6thrust23THRUST_200600_302600_NS6detail15normal_iteratorINS9_10device_ptrItEEEENS0_8identityItEEEE10hipError_tT2_T3_mT4_P12ihipStream_tbEUlT_E_NS1_11comp_targetILNS1_3genE5ELNS1_11target_archE942ELNS1_3gpuE9ELNS1_3repE0EEENS1_30default_config_static_selectorELNS0_4arch9wavefront6targetE1EEEvT1_
    .private_segment_fixed_size: 0
    .sgpr_count:     4
    .sgpr_spill_count: 0
    .symbol:         _ZN7rocprim17ROCPRIM_400000_NS6detail17trampoline_kernelINS0_14default_configENS1_25transform_config_selectorItLb0EEEZNS1_14transform_implILb0ES3_S5_PtN6thrust23THRUST_200600_302600_NS6detail15normal_iteratorINS9_10device_ptrItEEEENS0_8identityItEEEE10hipError_tT2_T3_mT4_P12ihipStream_tbEUlT_E_NS1_11comp_targetILNS1_3genE5ELNS1_11target_archE942ELNS1_3gpuE9ELNS1_3repE0EEENS1_30default_config_static_selectorELNS0_4arch9wavefront6targetE1EEEvT1_.kd
    .uniform_work_group_size: 1
    .uses_dynamic_stack: false
    .vgpr_count:     0
    .vgpr_spill_count: 0
    .wavefront_size: 64
  - .agpr_count:     0
    .args:
      - .offset:         0
        .size:           40
        .value_kind:     by_value
      - .offset:         40
        .size:           4
        .value_kind:     hidden_block_count_x
      - .offset:         44
        .size:           4
        .value_kind:     hidden_block_count_y
      - .offset:         48
        .size:           4
        .value_kind:     hidden_block_count_z
      - .offset:         52
        .size:           2
        .value_kind:     hidden_group_size_x
      - .offset:         54
        .size:           2
        .value_kind:     hidden_group_size_y
      - .offset:         56
        .size:           2
        .value_kind:     hidden_group_size_z
      - .offset:         58
        .size:           2
        .value_kind:     hidden_remainder_x
      - .offset:         60
        .size:           2
        .value_kind:     hidden_remainder_y
      - .offset:         62
        .size:           2
        .value_kind:     hidden_remainder_z
      - .offset:         80
        .size:           8
        .value_kind:     hidden_global_offset_x
      - .offset:         88
        .size:           8
        .value_kind:     hidden_global_offset_y
      - .offset:         96
        .size:           8
        .value_kind:     hidden_global_offset_z
      - .offset:         104
        .size:           2
        .value_kind:     hidden_grid_dims
    .group_segment_fixed_size: 0
    .kernarg_segment_align: 8
    .kernarg_segment_size: 296
    .language:       OpenCL C
    .language_version:
      - 2
      - 0
    .max_flat_workgroup_size: 64
    .name:           _ZN7rocprim17ROCPRIM_400000_NS6detail17trampoline_kernelINS0_14default_configENS1_25transform_config_selectorItLb0EEEZNS1_14transform_implILb0ES3_S5_PtN6thrust23THRUST_200600_302600_NS6detail15normal_iteratorINS9_10device_ptrItEEEENS0_8identityItEEEE10hipError_tT2_T3_mT4_P12ihipStream_tbEUlT_E_NS1_11comp_targetILNS1_3genE4ELNS1_11target_archE910ELNS1_3gpuE8ELNS1_3repE0EEENS1_30default_config_static_selectorELNS0_4arch9wavefront6targetE1EEEvT1_
    .private_segment_fixed_size: 0
    .sgpr_count:     30
    .sgpr_spill_count: 0
    .symbol:         _ZN7rocprim17ROCPRIM_400000_NS6detail17trampoline_kernelINS0_14default_configENS1_25transform_config_selectorItLb0EEEZNS1_14transform_implILb0ES3_S5_PtN6thrust23THRUST_200600_302600_NS6detail15normal_iteratorINS9_10device_ptrItEEEENS0_8identityItEEEE10hipError_tT2_T3_mT4_P12ihipStream_tbEUlT_E_NS1_11comp_targetILNS1_3genE4ELNS1_11target_archE910ELNS1_3gpuE8ELNS1_3repE0EEENS1_30default_config_static_selectorELNS0_4arch9wavefront6targetE1EEEvT1_.kd
    .uniform_work_group_size: 1
    .uses_dynamic_stack: false
    .vgpr_count:     12
    .vgpr_spill_count: 0
    .wavefront_size: 64
  - .agpr_count:     0
    .args:
      - .offset:         0
        .size:           40
        .value_kind:     by_value
    .group_segment_fixed_size: 0
    .kernarg_segment_align: 8
    .kernarg_segment_size: 40
    .language:       OpenCL C
    .language_version:
      - 2
      - 0
    .max_flat_workgroup_size: 128
    .name:           _ZN7rocprim17ROCPRIM_400000_NS6detail17trampoline_kernelINS0_14default_configENS1_25transform_config_selectorItLb0EEEZNS1_14transform_implILb0ES3_S5_PtN6thrust23THRUST_200600_302600_NS6detail15normal_iteratorINS9_10device_ptrItEEEENS0_8identityItEEEE10hipError_tT2_T3_mT4_P12ihipStream_tbEUlT_E_NS1_11comp_targetILNS1_3genE3ELNS1_11target_archE908ELNS1_3gpuE7ELNS1_3repE0EEENS1_30default_config_static_selectorELNS0_4arch9wavefront6targetE1EEEvT1_
    .private_segment_fixed_size: 0
    .sgpr_count:     4
    .sgpr_spill_count: 0
    .symbol:         _ZN7rocprim17ROCPRIM_400000_NS6detail17trampoline_kernelINS0_14default_configENS1_25transform_config_selectorItLb0EEEZNS1_14transform_implILb0ES3_S5_PtN6thrust23THRUST_200600_302600_NS6detail15normal_iteratorINS9_10device_ptrItEEEENS0_8identityItEEEE10hipError_tT2_T3_mT4_P12ihipStream_tbEUlT_E_NS1_11comp_targetILNS1_3genE3ELNS1_11target_archE908ELNS1_3gpuE7ELNS1_3repE0EEENS1_30default_config_static_selectorELNS0_4arch9wavefront6targetE1EEEvT1_.kd
    .uniform_work_group_size: 1
    .uses_dynamic_stack: false
    .vgpr_count:     0
    .vgpr_spill_count: 0
    .wavefront_size: 64
  - .agpr_count:     0
    .args:
      - .offset:         0
        .size:           40
        .value_kind:     by_value
    .group_segment_fixed_size: 0
    .kernarg_segment_align: 8
    .kernarg_segment_size: 40
    .language:       OpenCL C
    .language_version:
      - 2
      - 0
    .max_flat_workgroup_size: 512
    .name:           _ZN7rocprim17ROCPRIM_400000_NS6detail17trampoline_kernelINS0_14default_configENS1_25transform_config_selectorItLb0EEEZNS1_14transform_implILb0ES3_S5_PtN6thrust23THRUST_200600_302600_NS6detail15normal_iteratorINS9_10device_ptrItEEEENS0_8identityItEEEE10hipError_tT2_T3_mT4_P12ihipStream_tbEUlT_E_NS1_11comp_targetILNS1_3genE2ELNS1_11target_archE906ELNS1_3gpuE6ELNS1_3repE0EEENS1_30default_config_static_selectorELNS0_4arch9wavefront6targetE1EEEvT1_
    .private_segment_fixed_size: 0
    .sgpr_count:     4
    .sgpr_spill_count: 0
    .symbol:         _ZN7rocprim17ROCPRIM_400000_NS6detail17trampoline_kernelINS0_14default_configENS1_25transform_config_selectorItLb0EEEZNS1_14transform_implILb0ES3_S5_PtN6thrust23THRUST_200600_302600_NS6detail15normal_iteratorINS9_10device_ptrItEEEENS0_8identityItEEEE10hipError_tT2_T3_mT4_P12ihipStream_tbEUlT_E_NS1_11comp_targetILNS1_3genE2ELNS1_11target_archE906ELNS1_3gpuE6ELNS1_3repE0EEENS1_30default_config_static_selectorELNS0_4arch9wavefront6targetE1EEEvT1_.kd
    .uniform_work_group_size: 1
    .uses_dynamic_stack: false
    .vgpr_count:     0
    .vgpr_spill_count: 0
    .wavefront_size: 64
  - .agpr_count:     0
    .args:
      - .offset:         0
        .size:           40
        .value_kind:     by_value
    .group_segment_fixed_size: 0
    .kernarg_segment_align: 8
    .kernarg_segment_size: 40
    .language:       OpenCL C
    .language_version:
      - 2
      - 0
    .max_flat_workgroup_size: 1024
    .name:           _ZN7rocprim17ROCPRIM_400000_NS6detail17trampoline_kernelINS0_14default_configENS1_25transform_config_selectorItLb0EEEZNS1_14transform_implILb0ES3_S5_PtN6thrust23THRUST_200600_302600_NS6detail15normal_iteratorINS9_10device_ptrItEEEENS0_8identityItEEEE10hipError_tT2_T3_mT4_P12ihipStream_tbEUlT_E_NS1_11comp_targetILNS1_3genE10ELNS1_11target_archE1201ELNS1_3gpuE5ELNS1_3repE0EEENS1_30default_config_static_selectorELNS0_4arch9wavefront6targetE1EEEvT1_
    .private_segment_fixed_size: 0
    .sgpr_count:     4
    .sgpr_spill_count: 0
    .symbol:         _ZN7rocprim17ROCPRIM_400000_NS6detail17trampoline_kernelINS0_14default_configENS1_25transform_config_selectorItLb0EEEZNS1_14transform_implILb0ES3_S5_PtN6thrust23THRUST_200600_302600_NS6detail15normal_iteratorINS9_10device_ptrItEEEENS0_8identityItEEEE10hipError_tT2_T3_mT4_P12ihipStream_tbEUlT_E_NS1_11comp_targetILNS1_3genE10ELNS1_11target_archE1201ELNS1_3gpuE5ELNS1_3repE0EEENS1_30default_config_static_selectorELNS0_4arch9wavefront6targetE1EEEvT1_.kd
    .uniform_work_group_size: 1
    .uses_dynamic_stack: false
    .vgpr_count:     0
    .vgpr_spill_count: 0
    .wavefront_size: 64
  - .agpr_count:     0
    .args:
      - .offset:         0
        .size:           40
        .value_kind:     by_value
    .group_segment_fixed_size: 0
    .kernarg_segment_align: 8
    .kernarg_segment_size: 40
    .language:       OpenCL C
    .language_version:
      - 2
      - 0
    .max_flat_workgroup_size: 512
    .name:           _ZN7rocprim17ROCPRIM_400000_NS6detail17trampoline_kernelINS0_14default_configENS1_25transform_config_selectorItLb0EEEZNS1_14transform_implILb0ES3_S5_PtN6thrust23THRUST_200600_302600_NS6detail15normal_iteratorINS9_10device_ptrItEEEENS0_8identityItEEEE10hipError_tT2_T3_mT4_P12ihipStream_tbEUlT_E_NS1_11comp_targetILNS1_3genE10ELNS1_11target_archE1200ELNS1_3gpuE4ELNS1_3repE0EEENS1_30default_config_static_selectorELNS0_4arch9wavefront6targetE1EEEvT1_
    .private_segment_fixed_size: 0
    .sgpr_count:     4
    .sgpr_spill_count: 0
    .symbol:         _ZN7rocprim17ROCPRIM_400000_NS6detail17trampoline_kernelINS0_14default_configENS1_25transform_config_selectorItLb0EEEZNS1_14transform_implILb0ES3_S5_PtN6thrust23THRUST_200600_302600_NS6detail15normal_iteratorINS9_10device_ptrItEEEENS0_8identityItEEEE10hipError_tT2_T3_mT4_P12ihipStream_tbEUlT_E_NS1_11comp_targetILNS1_3genE10ELNS1_11target_archE1200ELNS1_3gpuE4ELNS1_3repE0EEENS1_30default_config_static_selectorELNS0_4arch9wavefront6targetE1EEEvT1_.kd
    .uniform_work_group_size: 1
    .uses_dynamic_stack: false
    .vgpr_count:     0
    .vgpr_spill_count: 0
    .wavefront_size: 64
  - .agpr_count:     0
    .args:
      - .offset:         0
        .size:           40
        .value_kind:     by_value
    .group_segment_fixed_size: 0
    .kernarg_segment_align: 8
    .kernarg_segment_size: 40
    .language:       OpenCL C
    .language_version:
      - 2
      - 0
    .max_flat_workgroup_size: 1024
    .name:           _ZN7rocprim17ROCPRIM_400000_NS6detail17trampoline_kernelINS0_14default_configENS1_25transform_config_selectorItLb0EEEZNS1_14transform_implILb0ES3_S5_PtN6thrust23THRUST_200600_302600_NS6detail15normal_iteratorINS9_10device_ptrItEEEENS0_8identityItEEEE10hipError_tT2_T3_mT4_P12ihipStream_tbEUlT_E_NS1_11comp_targetILNS1_3genE9ELNS1_11target_archE1100ELNS1_3gpuE3ELNS1_3repE0EEENS1_30default_config_static_selectorELNS0_4arch9wavefront6targetE1EEEvT1_
    .private_segment_fixed_size: 0
    .sgpr_count:     4
    .sgpr_spill_count: 0
    .symbol:         _ZN7rocprim17ROCPRIM_400000_NS6detail17trampoline_kernelINS0_14default_configENS1_25transform_config_selectorItLb0EEEZNS1_14transform_implILb0ES3_S5_PtN6thrust23THRUST_200600_302600_NS6detail15normal_iteratorINS9_10device_ptrItEEEENS0_8identityItEEEE10hipError_tT2_T3_mT4_P12ihipStream_tbEUlT_E_NS1_11comp_targetILNS1_3genE9ELNS1_11target_archE1100ELNS1_3gpuE3ELNS1_3repE0EEENS1_30default_config_static_selectorELNS0_4arch9wavefront6targetE1EEEvT1_.kd
    .uniform_work_group_size: 1
    .uses_dynamic_stack: false
    .vgpr_count:     0
    .vgpr_spill_count: 0
    .wavefront_size: 64
  - .agpr_count:     0
    .args:
      - .offset:         0
        .size:           40
        .value_kind:     by_value
    .group_segment_fixed_size: 0
    .kernarg_segment_align: 8
    .kernarg_segment_size: 40
    .language:       OpenCL C
    .language_version:
      - 2
      - 0
    .max_flat_workgroup_size: 1024
    .name:           _ZN7rocprim17ROCPRIM_400000_NS6detail17trampoline_kernelINS0_14default_configENS1_25transform_config_selectorItLb0EEEZNS1_14transform_implILb0ES3_S5_PtN6thrust23THRUST_200600_302600_NS6detail15normal_iteratorINS9_10device_ptrItEEEENS0_8identityItEEEE10hipError_tT2_T3_mT4_P12ihipStream_tbEUlT_E_NS1_11comp_targetILNS1_3genE8ELNS1_11target_archE1030ELNS1_3gpuE2ELNS1_3repE0EEENS1_30default_config_static_selectorELNS0_4arch9wavefront6targetE1EEEvT1_
    .private_segment_fixed_size: 0
    .sgpr_count:     4
    .sgpr_spill_count: 0
    .symbol:         _ZN7rocprim17ROCPRIM_400000_NS6detail17trampoline_kernelINS0_14default_configENS1_25transform_config_selectorItLb0EEEZNS1_14transform_implILb0ES3_S5_PtN6thrust23THRUST_200600_302600_NS6detail15normal_iteratorINS9_10device_ptrItEEEENS0_8identityItEEEE10hipError_tT2_T3_mT4_P12ihipStream_tbEUlT_E_NS1_11comp_targetILNS1_3genE8ELNS1_11target_archE1030ELNS1_3gpuE2ELNS1_3repE0EEENS1_30default_config_static_selectorELNS0_4arch9wavefront6targetE1EEEvT1_.kd
    .uniform_work_group_size: 1
    .uses_dynamic_stack: false
    .vgpr_count:     0
    .vgpr_spill_count: 0
    .wavefront_size: 64
  - .agpr_count:     0
    .args:
      - .offset:         0
        .size:           40
        .value_kind:     by_value
    .group_segment_fixed_size: 0
    .kernarg_segment_align: 8
    .kernarg_segment_size: 40
    .language:       OpenCL C
    .language_version:
      - 2
      - 0
    .max_flat_workgroup_size: 128
    .name:           _ZN7rocprim17ROCPRIM_400000_NS6detail17trampoline_kernelINS0_14default_configENS1_38merge_sort_block_merge_config_selectorItNS0_10empty_typeEEEZZNS1_27merge_sort_block_merge_implIS3_N6thrust23THRUST_200600_302600_NS6detail15normal_iteratorINS9_10device_ptrItEEEEPS5_jNS1_19radix_merge_compareILb0ELb1EtNS0_19identity_decomposerEEEEE10hipError_tT0_T1_T2_jT3_P12ihipStream_tbPNSt15iterator_traitsISK_E10value_typeEPNSQ_ISL_E10value_typeEPSM_NS1_7vsmem_tEENKUlT_SK_SL_SM_E_clIPtSE_SF_SF_EESJ_SZ_SK_SL_SM_EUlSZ_E_NS1_11comp_targetILNS1_3genE0ELNS1_11target_archE4294967295ELNS1_3gpuE0ELNS1_3repE0EEENS1_48merge_mergepath_partition_config_static_selectorELNS0_4arch9wavefront6targetE1EEEvSL_
    .private_segment_fixed_size: 0
    .sgpr_count:     4
    .sgpr_spill_count: 0
    .symbol:         _ZN7rocprim17ROCPRIM_400000_NS6detail17trampoline_kernelINS0_14default_configENS1_38merge_sort_block_merge_config_selectorItNS0_10empty_typeEEEZZNS1_27merge_sort_block_merge_implIS3_N6thrust23THRUST_200600_302600_NS6detail15normal_iteratorINS9_10device_ptrItEEEEPS5_jNS1_19radix_merge_compareILb0ELb1EtNS0_19identity_decomposerEEEEE10hipError_tT0_T1_T2_jT3_P12ihipStream_tbPNSt15iterator_traitsISK_E10value_typeEPNSQ_ISL_E10value_typeEPSM_NS1_7vsmem_tEENKUlT_SK_SL_SM_E_clIPtSE_SF_SF_EESJ_SZ_SK_SL_SM_EUlSZ_E_NS1_11comp_targetILNS1_3genE0ELNS1_11target_archE4294967295ELNS1_3gpuE0ELNS1_3repE0EEENS1_48merge_mergepath_partition_config_static_selectorELNS0_4arch9wavefront6targetE1EEEvSL_.kd
    .uniform_work_group_size: 1
    .uses_dynamic_stack: false
    .vgpr_count:     0
    .vgpr_spill_count: 0
    .wavefront_size: 64
  - .agpr_count:     0
    .args:
      - .offset:         0
        .size:           40
        .value_kind:     by_value
    .group_segment_fixed_size: 0
    .kernarg_segment_align: 8
    .kernarg_segment_size: 40
    .language:       OpenCL C
    .language_version:
      - 2
      - 0
    .max_flat_workgroup_size: 128
    .name:           _ZN7rocprim17ROCPRIM_400000_NS6detail17trampoline_kernelINS0_14default_configENS1_38merge_sort_block_merge_config_selectorItNS0_10empty_typeEEEZZNS1_27merge_sort_block_merge_implIS3_N6thrust23THRUST_200600_302600_NS6detail15normal_iteratorINS9_10device_ptrItEEEEPS5_jNS1_19radix_merge_compareILb0ELb1EtNS0_19identity_decomposerEEEEE10hipError_tT0_T1_T2_jT3_P12ihipStream_tbPNSt15iterator_traitsISK_E10value_typeEPNSQ_ISL_E10value_typeEPSM_NS1_7vsmem_tEENKUlT_SK_SL_SM_E_clIPtSE_SF_SF_EESJ_SZ_SK_SL_SM_EUlSZ_E_NS1_11comp_targetILNS1_3genE10ELNS1_11target_archE1201ELNS1_3gpuE5ELNS1_3repE0EEENS1_48merge_mergepath_partition_config_static_selectorELNS0_4arch9wavefront6targetE1EEEvSL_
    .private_segment_fixed_size: 0
    .sgpr_count:     4
    .sgpr_spill_count: 0
    .symbol:         _ZN7rocprim17ROCPRIM_400000_NS6detail17trampoline_kernelINS0_14default_configENS1_38merge_sort_block_merge_config_selectorItNS0_10empty_typeEEEZZNS1_27merge_sort_block_merge_implIS3_N6thrust23THRUST_200600_302600_NS6detail15normal_iteratorINS9_10device_ptrItEEEEPS5_jNS1_19radix_merge_compareILb0ELb1EtNS0_19identity_decomposerEEEEE10hipError_tT0_T1_T2_jT3_P12ihipStream_tbPNSt15iterator_traitsISK_E10value_typeEPNSQ_ISL_E10value_typeEPSM_NS1_7vsmem_tEENKUlT_SK_SL_SM_E_clIPtSE_SF_SF_EESJ_SZ_SK_SL_SM_EUlSZ_E_NS1_11comp_targetILNS1_3genE10ELNS1_11target_archE1201ELNS1_3gpuE5ELNS1_3repE0EEENS1_48merge_mergepath_partition_config_static_selectorELNS0_4arch9wavefront6targetE1EEEvSL_.kd
    .uniform_work_group_size: 1
    .uses_dynamic_stack: false
    .vgpr_count:     0
    .vgpr_spill_count: 0
    .wavefront_size: 64
  - .agpr_count:     0
    .args:
      - .offset:         0
        .size:           40
        .value_kind:     by_value
    .group_segment_fixed_size: 0
    .kernarg_segment_align: 8
    .kernarg_segment_size: 40
    .language:       OpenCL C
    .language_version:
      - 2
      - 0
    .max_flat_workgroup_size: 128
    .name:           _ZN7rocprim17ROCPRIM_400000_NS6detail17trampoline_kernelINS0_14default_configENS1_38merge_sort_block_merge_config_selectorItNS0_10empty_typeEEEZZNS1_27merge_sort_block_merge_implIS3_N6thrust23THRUST_200600_302600_NS6detail15normal_iteratorINS9_10device_ptrItEEEEPS5_jNS1_19radix_merge_compareILb0ELb1EtNS0_19identity_decomposerEEEEE10hipError_tT0_T1_T2_jT3_P12ihipStream_tbPNSt15iterator_traitsISK_E10value_typeEPNSQ_ISL_E10value_typeEPSM_NS1_7vsmem_tEENKUlT_SK_SL_SM_E_clIPtSE_SF_SF_EESJ_SZ_SK_SL_SM_EUlSZ_E_NS1_11comp_targetILNS1_3genE5ELNS1_11target_archE942ELNS1_3gpuE9ELNS1_3repE0EEENS1_48merge_mergepath_partition_config_static_selectorELNS0_4arch9wavefront6targetE1EEEvSL_
    .private_segment_fixed_size: 0
    .sgpr_count:     4
    .sgpr_spill_count: 0
    .symbol:         _ZN7rocprim17ROCPRIM_400000_NS6detail17trampoline_kernelINS0_14default_configENS1_38merge_sort_block_merge_config_selectorItNS0_10empty_typeEEEZZNS1_27merge_sort_block_merge_implIS3_N6thrust23THRUST_200600_302600_NS6detail15normal_iteratorINS9_10device_ptrItEEEEPS5_jNS1_19radix_merge_compareILb0ELb1EtNS0_19identity_decomposerEEEEE10hipError_tT0_T1_T2_jT3_P12ihipStream_tbPNSt15iterator_traitsISK_E10value_typeEPNSQ_ISL_E10value_typeEPSM_NS1_7vsmem_tEENKUlT_SK_SL_SM_E_clIPtSE_SF_SF_EESJ_SZ_SK_SL_SM_EUlSZ_E_NS1_11comp_targetILNS1_3genE5ELNS1_11target_archE942ELNS1_3gpuE9ELNS1_3repE0EEENS1_48merge_mergepath_partition_config_static_selectorELNS0_4arch9wavefront6targetE1EEEvSL_.kd
    .uniform_work_group_size: 1
    .uses_dynamic_stack: false
    .vgpr_count:     0
    .vgpr_spill_count: 0
    .wavefront_size: 64
  - .agpr_count:     0
    .args:
      - .offset:         0
        .size:           40
        .value_kind:     by_value
    .group_segment_fixed_size: 0
    .kernarg_segment_align: 8
    .kernarg_segment_size: 40
    .language:       OpenCL C
    .language_version:
      - 2
      - 0
    .max_flat_workgroup_size: 128
    .name:           _ZN7rocprim17ROCPRIM_400000_NS6detail17trampoline_kernelINS0_14default_configENS1_38merge_sort_block_merge_config_selectorItNS0_10empty_typeEEEZZNS1_27merge_sort_block_merge_implIS3_N6thrust23THRUST_200600_302600_NS6detail15normal_iteratorINS9_10device_ptrItEEEEPS5_jNS1_19radix_merge_compareILb0ELb1EtNS0_19identity_decomposerEEEEE10hipError_tT0_T1_T2_jT3_P12ihipStream_tbPNSt15iterator_traitsISK_E10value_typeEPNSQ_ISL_E10value_typeEPSM_NS1_7vsmem_tEENKUlT_SK_SL_SM_E_clIPtSE_SF_SF_EESJ_SZ_SK_SL_SM_EUlSZ_E_NS1_11comp_targetILNS1_3genE4ELNS1_11target_archE910ELNS1_3gpuE8ELNS1_3repE0EEENS1_48merge_mergepath_partition_config_static_selectorELNS0_4arch9wavefront6targetE1EEEvSL_
    .private_segment_fixed_size: 0
    .sgpr_count:     14
    .sgpr_spill_count: 0
    .symbol:         _ZN7rocprim17ROCPRIM_400000_NS6detail17trampoline_kernelINS0_14default_configENS1_38merge_sort_block_merge_config_selectorItNS0_10empty_typeEEEZZNS1_27merge_sort_block_merge_implIS3_N6thrust23THRUST_200600_302600_NS6detail15normal_iteratorINS9_10device_ptrItEEEEPS5_jNS1_19radix_merge_compareILb0ELb1EtNS0_19identity_decomposerEEEEE10hipError_tT0_T1_T2_jT3_P12ihipStream_tbPNSt15iterator_traitsISK_E10value_typeEPNSQ_ISL_E10value_typeEPSM_NS1_7vsmem_tEENKUlT_SK_SL_SM_E_clIPtSE_SF_SF_EESJ_SZ_SK_SL_SM_EUlSZ_E_NS1_11comp_targetILNS1_3genE4ELNS1_11target_archE910ELNS1_3gpuE8ELNS1_3repE0EEENS1_48merge_mergepath_partition_config_static_selectorELNS0_4arch9wavefront6targetE1EEEvSL_.kd
    .uniform_work_group_size: 1
    .uses_dynamic_stack: false
    .vgpr_count:     15
    .vgpr_spill_count: 0
    .wavefront_size: 64
  - .agpr_count:     0
    .args:
      - .offset:         0
        .size:           40
        .value_kind:     by_value
    .group_segment_fixed_size: 0
    .kernarg_segment_align: 8
    .kernarg_segment_size: 40
    .language:       OpenCL C
    .language_version:
      - 2
      - 0
    .max_flat_workgroup_size: 128
    .name:           _ZN7rocprim17ROCPRIM_400000_NS6detail17trampoline_kernelINS0_14default_configENS1_38merge_sort_block_merge_config_selectorItNS0_10empty_typeEEEZZNS1_27merge_sort_block_merge_implIS3_N6thrust23THRUST_200600_302600_NS6detail15normal_iteratorINS9_10device_ptrItEEEEPS5_jNS1_19radix_merge_compareILb0ELb1EtNS0_19identity_decomposerEEEEE10hipError_tT0_T1_T2_jT3_P12ihipStream_tbPNSt15iterator_traitsISK_E10value_typeEPNSQ_ISL_E10value_typeEPSM_NS1_7vsmem_tEENKUlT_SK_SL_SM_E_clIPtSE_SF_SF_EESJ_SZ_SK_SL_SM_EUlSZ_E_NS1_11comp_targetILNS1_3genE3ELNS1_11target_archE908ELNS1_3gpuE7ELNS1_3repE0EEENS1_48merge_mergepath_partition_config_static_selectorELNS0_4arch9wavefront6targetE1EEEvSL_
    .private_segment_fixed_size: 0
    .sgpr_count:     4
    .sgpr_spill_count: 0
    .symbol:         _ZN7rocprim17ROCPRIM_400000_NS6detail17trampoline_kernelINS0_14default_configENS1_38merge_sort_block_merge_config_selectorItNS0_10empty_typeEEEZZNS1_27merge_sort_block_merge_implIS3_N6thrust23THRUST_200600_302600_NS6detail15normal_iteratorINS9_10device_ptrItEEEEPS5_jNS1_19radix_merge_compareILb0ELb1EtNS0_19identity_decomposerEEEEE10hipError_tT0_T1_T2_jT3_P12ihipStream_tbPNSt15iterator_traitsISK_E10value_typeEPNSQ_ISL_E10value_typeEPSM_NS1_7vsmem_tEENKUlT_SK_SL_SM_E_clIPtSE_SF_SF_EESJ_SZ_SK_SL_SM_EUlSZ_E_NS1_11comp_targetILNS1_3genE3ELNS1_11target_archE908ELNS1_3gpuE7ELNS1_3repE0EEENS1_48merge_mergepath_partition_config_static_selectorELNS0_4arch9wavefront6targetE1EEEvSL_.kd
    .uniform_work_group_size: 1
    .uses_dynamic_stack: false
    .vgpr_count:     0
    .vgpr_spill_count: 0
    .wavefront_size: 64
  - .agpr_count:     0
    .args:
      - .offset:         0
        .size:           40
        .value_kind:     by_value
    .group_segment_fixed_size: 0
    .kernarg_segment_align: 8
    .kernarg_segment_size: 40
    .language:       OpenCL C
    .language_version:
      - 2
      - 0
    .max_flat_workgroup_size: 128
    .name:           _ZN7rocprim17ROCPRIM_400000_NS6detail17trampoline_kernelINS0_14default_configENS1_38merge_sort_block_merge_config_selectorItNS0_10empty_typeEEEZZNS1_27merge_sort_block_merge_implIS3_N6thrust23THRUST_200600_302600_NS6detail15normal_iteratorINS9_10device_ptrItEEEEPS5_jNS1_19radix_merge_compareILb0ELb1EtNS0_19identity_decomposerEEEEE10hipError_tT0_T1_T2_jT3_P12ihipStream_tbPNSt15iterator_traitsISK_E10value_typeEPNSQ_ISL_E10value_typeEPSM_NS1_7vsmem_tEENKUlT_SK_SL_SM_E_clIPtSE_SF_SF_EESJ_SZ_SK_SL_SM_EUlSZ_E_NS1_11comp_targetILNS1_3genE2ELNS1_11target_archE906ELNS1_3gpuE6ELNS1_3repE0EEENS1_48merge_mergepath_partition_config_static_selectorELNS0_4arch9wavefront6targetE1EEEvSL_
    .private_segment_fixed_size: 0
    .sgpr_count:     4
    .sgpr_spill_count: 0
    .symbol:         _ZN7rocprim17ROCPRIM_400000_NS6detail17trampoline_kernelINS0_14default_configENS1_38merge_sort_block_merge_config_selectorItNS0_10empty_typeEEEZZNS1_27merge_sort_block_merge_implIS3_N6thrust23THRUST_200600_302600_NS6detail15normal_iteratorINS9_10device_ptrItEEEEPS5_jNS1_19radix_merge_compareILb0ELb1EtNS0_19identity_decomposerEEEEE10hipError_tT0_T1_T2_jT3_P12ihipStream_tbPNSt15iterator_traitsISK_E10value_typeEPNSQ_ISL_E10value_typeEPSM_NS1_7vsmem_tEENKUlT_SK_SL_SM_E_clIPtSE_SF_SF_EESJ_SZ_SK_SL_SM_EUlSZ_E_NS1_11comp_targetILNS1_3genE2ELNS1_11target_archE906ELNS1_3gpuE6ELNS1_3repE0EEENS1_48merge_mergepath_partition_config_static_selectorELNS0_4arch9wavefront6targetE1EEEvSL_.kd
    .uniform_work_group_size: 1
    .uses_dynamic_stack: false
    .vgpr_count:     0
    .vgpr_spill_count: 0
    .wavefront_size: 64
  - .agpr_count:     0
    .args:
      - .offset:         0
        .size:           40
        .value_kind:     by_value
    .group_segment_fixed_size: 0
    .kernarg_segment_align: 8
    .kernarg_segment_size: 40
    .language:       OpenCL C
    .language_version:
      - 2
      - 0
    .max_flat_workgroup_size: 128
    .name:           _ZN7rocprim17ROCPRIM_400000_NS6detail17trampoline_kernelINS0_14default_configENS1_38merge_sort_block_merge_config_selectorItNS0_10empty_typeEEEZZNS1_27merge_sort_block_merge_implIS3_N6thrust23THRUST_200600_302600_NS6detail15normal_iteratorINS9_10device_ptrItEEEEPS5_jNS1_19radix_merge_compareILb0ELb1EtNS0_19identity_decomposerEEEEE10hipError_tT0_T1_T2_jT3_P12ihipStream_tbPNSt15iterator_traitsISK_E10value_typeEPNSQ_ISL_E10value_typeEPSM_NS1_7vsmem_tEENKUlT_SK_SL_SM_E_clIPtSE_SF_SF_EESJ_SZ_SK_SL_SM_EUlSZ_E_NS1_11comp_targetILNS1_3genE9ELNS1_11target_archE1100ELNS1_3gpuE3ELNS1_3repE0EEENS1_48merge_mergepath_partition_config_static_selectorELNS0_4arch9wavefront6targetE1EEEvSL_
    .private_segment_fixed_size: 0
    .sgpr_count:     4
    .sgpr_spill_count: 0
    .symbol:         _ZN7rocprim17ROCPRIM_400000_NS6detail17trampoline_kernelINS0_14default_configENS1_38merge_sort_block_merge_config_selectorItNS0_10empty_typeEEEZZNS1_27merge_sort_block_merge_implIS3_N6thrust23THRUST_200600_302600_NS6detail15normal_iteratorINS9_10device_ptrItEEEEPS5_jNS1_19radix_merge_compareILb0ELb1EtNS0_19identity_decomposerEEEEE10hipError_tT0_T1_T2_jT3_P12ihipStream_tbPNSt15iterator_traitsISK_E10value_typeEPNSQ_ISL_E10value_typeEPSM_NS1_7vsmem_tEENKUlT_SK_SL_SM_E_clIPtSE_SF_SF_EESJ_SZ_SK_SL_SM_EUlSZ_E_NS1_11comp_targetILNS1_3genE9ELNS1_11target_archE1100ELNS1_3gpuE3ELNS1_3repE0EEENS1_48merge_mergepath_partition_config_static_selectorELNS0_4arch9wavefront6targetE1EEEvSL_.kd
    .uniform_work_group_size: 1
    .uses_dynamic_stack: false
    .vgpr_count:     0
    .vgpr_spill_count: 0
    .wavefront_size: 64
  - .agpr_count:     0
    .args:
      - .offset:         0
        .size:           40
        .value_kind:     by_value
    .group_segment_fixed_size: 0
    .kernarg_segment_align: 8
    .kernarg_segment_size: 40
    .language:       OpenCL C
    .language_version:
      - 2
      - 0
    .max_flat_workgroup_size: 128
    .name:           _ZN7rocprim17ROCPRIM_400000_NS6detail17trampoline_kernelINS0_14default_configENS1_38merge_sort_block_merge_config_selectorItNS0_10empty_typeEEEZZNS1_27merge_sort_block_merge_implIS3_N6thrust23THRUST_200600_302600_NS6detail15normal_iteratorINS9_10device_ptrItEEEEPS5_jNS1_19radix_merge_compareILb0ELb1EtNS0_19identity_decomposerEEEEE10hipError_tT0_T1_T2_jT3_P12ihipStream_tbPNSt15iterator_traitsISK_E10value_typeEPNSQ_ISL_E10value_typeEPSM_NS1_7vsmem_tEENKUlT_SK_SL_SM_E_clIPtSE_SF_SF_EESJ_SZ_SK_SL_SM_EUlSZ_E_NS1_11comp_targetILNS1_3genE8ELNS1_11target_archE1030ELNS1_3gpuE2ELNS1_3repE0EEENS1_48merge_mergepath_partition_config_static_selectorELNS0_4arch9wavefront6targetE1EEEvSL_
    .private_segment_fixed_size: 0
    .sgpr_count:     4
    .sgpr_spill_count: 0
    .symbol:         _ZN7rocprim17ROCPRIM_400000_NS6detail17trampoline_kernelINS0_14default_configENS1_38merge_sort_block_merge_config_selectorItNS0_10empty_typeEEEZZNS1_27merge_sort_block_merge_implIS3_N6thrust23THRUST_200600_302600_NS6detail15normal_iteratorINS9_10device_ptrItEEEEPS5_jNS1_19radix_merge_compareILb0ELb1EtNS0_19identity_decomposerEEEEE10hipError_tT0_T1_T2_jT3_P12ihipStream_tbPNSt15iterator_traitsISK_E10value_typeEPNSQ_ISL_E10value_typeEPSM_NS1_7vsmem_tEENKUlT_SK_SL_SM_E_clIPtSE_SF_SF_EESJ_SZ_SK_SL_SM_EUlSZ_E_NS1_11comp_targetILNS1_3genE8ELNS1_11target_archE1030ELNS1_3gpuE2ELNS1_3repE0EEENS1_48merge_mergepath_partition_config_static_selectorELNS0_4arch9wavefront6targetE1EEEvSL_.kd
    .uniform_work_group_size: 1
    .uses_dynamic_stack: false
    .vgpr_count:     0
    .vgpr_spill_count: 0
    .wavefront_size: 64
  - .agpr_count:     0
    .args:
      - .offset:         0
        .size:           64
        .value_kind:     by_value
    .group_segment_fixed_size: 0
    .kernarg_segment_align: 8
    .kernarg_segment_size: 64
    .language:       OpenCL C
    .language_version:
      - 2
      - 0
    .max_flat_workgroup_size: 128
    .name:           _ZN7rocprim17ROCPRIM_400000_NS6detail17trampoline_kernelINS0_14default_configENS1_38merge_sort_block_merge_config_selectorItNS0_10empty_typeEEEZZNS1_27merge_sort_block_merge_implIS3_N6thrust23THRUST_200600_302600_NS6detail15normal_iteratorINS9_10device_ptrItEEEEPS5_jNS1_19radix_merge_compareILb0ELb1EtNS0_19identity_decomposerEEEEE10hipError_tT0_T1_T2_jT3_P12ihipStream_tbPNSt15iterator_traitsISK_E10value_typeEPNSQ_ISL_E10value_typeEPSM_NS1_7vsmem_tEENKUlT_SK_SL_SM_E_clIPtSE_SF_SF_EESJ_SZ_SK_SL_SM_EUlSZ_E0_NS1_11comp_targetILNS1_3genE0ELNS1_11target_archE4294967295ELNS1_3gpuE0ELNS1_3repE0EEENS1_38merge_mergepath_config_static_selectorELNS0_4arch9wavefront6targetE1EEEvSL_
    .private_segment_fixed_size: 0
    .sgpr_count:     4
    .sgpr_spill_count: 0
    .symbol:         _ZN7rocprim17ROCPRIM_400000_NS6detail17trampoline_kernelINS0_14default_configENS1_38merge_sort_block_merge_config_selectorItNS0_10empty_typeEEEZZNS1_27merge_sort_block_merge_implIS3_N6thrust23THRUST_200600_302600_NS6detail15normal_iteratorINS9_10device_ptrItEEEEPS5_jNS1_19radix_merge_compareILb0ELb1EtNS0_19identity_decomposerEEEEE10hipError_tT0_T1_T2_jT3_P12ihipStream_tbPNSt15iterator_traitsISK_E10value_typeEPNSQ_ISL_E10value_typeEPSM_NS1_7vsmem_tEENKUlT_SK_SL_SM_E_clIPtSE_SF_SF_EESJ_SZ_SK_SL_SM_EUlSZ_E0_NS1_11comp_targetILNS1_3genE0ELNS1_11target_archE4294967295ELNS1_3gpuE0ELNS1_3repE0EEENS1_38merge_mergepath_config_static_selectorELNS0_4arch9wavefront6targetE1EEEvSL_.kd
    .uniform_work_group_size: 1
    .uses_dynamic_stack: false
    .vgpr_count:     0
    .vgpr_spill_count: 0
    .wavefront_size: 64
  - .agpr_count:     0
    .args:
      - .offset:         0
        .size:           64
        .value_kind:     by_value
    .group_segment_fixed_size: 0
    .kernarg_segment_align: 8
    .kernarg_segment_size: 64
    .language:       OpenCL C
    .language_version:
      - 2
      - 0
    .max_flat_workgroup_size: 128
    .name:           _ZN7rocprim17ROCPRIM_400000_NS6detail17trampoline_kernelINS0_14default_configENS1_38merge_sort_block_merge_config_selectorItNS0_10empty_typeEEEZZNS1_27merge_sort_block_merge_implIS3_N6thrust23THRUST_200600_302600_NS6detail15normal_iteratorINS9_10device_ptrItEEEEPS5_jNS1_19radix_merge_compareILb0ELb1EtNS0_19identity_decomposerEEEEE10hipError_tT0_T1_T2_jT3_P12ihipStream_tbPNSt15iterator_traitsISK_E10value_typeEPNSQ_ISL_E10value_typeEPSM_NS1_7vsmem_tEENKUlT_SK_SL_SM_E_clIPtSE_SF_SF_EESJ_SZ_SK_SL_SM_EUlSZ_E0_NS1_11comp_targetILNS1_3genE10ELNS1_11target_archE1201ELNS1_3gpuE5ELNS1_3repE0EEENS1_38merge_mergepath_config_static_selectorELNS0_4arch9wavefront6targetE1EEEvSL_
    .private_segment_fixed_size: 0
    .sgpr_count:     4
    .sgpr_spill_count: 0
    .symbol:         _ZN7rocprim17ROCPRIM_400000_NS6detail17trampoline_kernelINS0_14default_configENS1_38merge_sort_block_merge_config_selectorItNS0_10empty_typeEEEZZNS1_27merge_sort_block_merge_implIS3_N6thrust23THRUST_200600_302600_NS6detail15normal_iteratorINS9_10device_ptrItEEEEPS5_jNS1_19radix_merge_compareILb0ELb1EtNS0_19identity_decomposerEEEEE10hipError_tT0_T1_T2_jT3_P12ihipStream_tbPNSt15iterator_traitsISK_E10value_typeEPNSQ_ISL_E10value_typeEPSM_NS1_7vsmem_tEENKUlT_SK_SL_SM_E_clIPtSE_SF_SF_EESJ_SZ_SK_SL_SM_EUlSZ_E0_NS1_11comp_targetILNS1_3genE10ELNS1_11target_archE1201ELNS1_3gpuE5ELNS1_3repE0EEENS1_38merge_mergepath_config_static_selectorELNS0_4arch9wavefront6targetE1EEEvSL_.kd
    .uniform_work_group_size: 1
    .uses_dynamic_stack: false
    .vgpr_count:     0
    .vgpr_spill_count: 0
    .wavefront_size: 64
  - .agpr_count:     0
    .args:
      - .offset:         0
        .size:           64
        .value_kind:     by_value
    .group_segment_fixed_size: 0
    .kernarg_segment_align: 8
    .kernarg_segment_size: 64
    .language:       OpenCL C
    .language_version:
      - 2
      - 0
    .max_flat_workgroup_size: 128
    .name:           _ZN7rocprim17ROCPRIM_400000_NS6detail17trampoline_kernelINS0_14default_configENS1_38merge_sort_block_merge_config_selectorItNS0_10empty_typeEEEZZNS1_27merge_sort_block_merge_implIS3_N6thrust23THRUST_200600_302600_NS6detail15normal_iteratorINS9_10device_ptrItEEEEPS5_jNS1_19radix_merge_compareILb0ELb1EtNS0_19identity_decomposerEEEEE10hipError_tT0_T1_T2_jT3_P12ihipStream_tbPNSt15iterator_traitsISK_E10value_typeEPNSQ_ISL_E10value_typeEPSM_NS1_7vsmem_tEENKUlT_SK_SL_SM_E_clIPtSE_SF_SF_EESJ_SZ_SK_SL_SM_EUlSZ_E0_NS1_11comp_targetILNS1_3genE5ELNS1_11target_archE942ELNS1_3gpuE9ELNS1_3repE0EEENS1_38merge_mergepath_config_static_selectorELNS0_4arch9wavefront6targetE1EEEvSL_
    .private_segment_fixed_size: 0
    .sgpr_count:     4
    .sgpr_spill_count: 0
    .symbol:         _ZN7rocprim17ROCPRIM_400000_NS6detail17trampoline_kernelINS0_14default_configENS1_38merge_sort_block_merge_config_selectorItNS0_10empty_typeEEEZZNS1_27merge_sort_block_merge_implIS3_N6thrust23THRUST_200600_302600_NS6detail15normal_iteratorINS9_10device_ptrItEEEEPS5_jNS1_19radix_merge_compareILb0ELb1EtNS0_19identity_decomposerEEEEE10hipError_tT0_T1_T2_jT3_P12ihipStream_tbPNSt15iterator_traitsISK_E10value_typeEPNSQ_ISL_E10value_typeEPSM_NS1_7vsmem_tEENKUlT_SK_SL_SM_E_clIPtSE_SF_SF_EESJ_SZ_SK_SL_SM_EUlSZ_E0_NS1_11comp_targetILNS1_3genE5ELNS1_11target_archE942ELNS1_3gpuE9ELNS1_3repE0EEENS1_38merge_mergepath_config_static_selectorELNS0_4arch9wavefront6targetE1EEEvSL_.kd
    .uniform_work_group_size: 1
    .uses_dynamic_stack: false
    .vgpr_count:     0
    .vgpr_spill_count: 0
    .wavefront_size: 64
  - .agpr_count:     0
    .args:
      - .offset:         0
        .size:           64
        .value_kind:     by_value
      - .offset:         64
        .size:           4
        .value_kind:     hidden_block_count_x
      - .offset:         68
        .size:           4
        .value_kind:     hidden_block_count_y
      - .offset:         72
        .size:           4
        .value_kind:     hidden_block_count_z
      - .offset:         76
        .size:           2
        .value_kind:     hidden_group_size_x
      - .offset:         78
        .size:           2
        .value_kind:     hidden_group_size_y
      - .offset:         80
        .size:           2
        .value_kind:     hidden_group_size_z
      - .offset:         82
        .size:           2
        .value_kind:     hidden_remainder_x
      - .offset:         84
        .size:           2
        .value_kind:     hidden_remainder_y
      - .offset:         86
        .size:           2
        .value_kind:     hidden_remainder_z
      - .offset:         104
        .size:           8
        .value_kind:     hidden_global_offset_x
      - .offset:         112
        .size:           8
        .value_kind:     hidden_global_offset_y
      - .offset:         120
        .size:           8
        .value_kind:     hidden_global_offset_z
      - .offset:         128
        .size:           2
        .value_kind:     hidden_grid_dims
    .group_segment_fixed_size: 2112
    .kernarg_segment_align: 8
    .kernarg_segment_size: 320
    .language:       OpenCL C
    .language_version:
      - 2
      - 0
    .max_flat_workgroup_size: 128
    .name:           _ZN7rocprim17ROCPRIM_400000_NS6detail17trampoline_kernelINS0_14default_configENS1_38merge_sort_block_merge_config_selectorItNS0_10empty_typeEEEZZNS1_27merge_sort_block_merge_implIS3_N6thrust23THRUST_200600_302600_NS6detail15normal_iteratorINS9_10device_ptrItEEEEPS5_jNS1_19radix_merge_compareILb0ELb1EtNS0_19identity_decomposerEEEEE10hipError_tT0_T1_T2_jT3_P12ihipStream_tbPNSt15iterator_traitsISK_E10value_typeEPNSQ_ISL_E10value_typeEPSM_NS1_7vsmem_tEENKUlT_SK_SL_SM_E_clIPtSE_SF_SF_EESJ_SZ_SK_SL_SM_EUlSZ_E0_NS1_11comp_targetILNS1_3genE4ELNS1_11target_archE910ELNS1_3gpuE8ELNS1_3repE0EEENS1_38merge_mergepath_config_static_selectorELNS0_4arch9wavefront6targetE1EEEvSL_
    .private_segment_fixed_size: 0
    .sgpr_count:     29
    .sgpr_spill_count: 0
    .symbol:         _ZN7rocprim17ROCPRIM_400000_NS6detail17trampoline_kernelINS0_14default_configENS1_38merge_sort_block_merge_config_selectorItNS0_10empty_typeEEEZZNS1_27merge_sort_block_merge_implIS3_N6thrust23THRUST_200600_302600_NS6detail15normal_iteratorINS9_10device_ptrItEEEEPS5_jNS1_19radix_merge_compareILb0ELb1EtNS0_19identity_decomposerEEEEE10hipError_tT0_T1_T2_jT3_P12ihipStream_tbPNSt15iterator_traitsISK_E10value_typeEPNSQ_ISL_E10value_typeEPSM_NS1_7vsmem_tEENKUlT_SK_SL_SM_E_clIPtSE_SF_SF_EESJ_SZ_SK_SL_SM_EUlSZ_E0_NS1_11comp_targetILNS1_3genE4ELNS1_11target_archE910ELNS1_3gpuE8ELNS1_3repE0EEENS1_38merge_mergepath_config_static_selectorELNS0_4arch9wavefront6targetE1EEEvSL_.kd
    .uniform_work_group_size: 1
    .uses_dynamic_stack: false
    .vgpr_count:     26
    .vgpr_spill_count: 0
    .wavefront_size: 64
  - .agpr_count:     0
    .args:
      - .offset:         0
        .size:           64
        .value_kind:     by_value
    .group_segment_fixed_size: 0
    .kernarg_segment_align: 8
    .kernarg_segment_size: 64
    .language:       OpenCL C
    .language_version:
      - 2
      - 0
    .max_flat_workgroup_size: 128
    .name:           _ZN7rocprim17ROCPRIM_400000_NS6detail17trampoline_kernelINS0_14default_configENS1_38merge_sort_block_merge_config_selectorItNS0_10empty_typeEEEZZNS1_27merge_sort_block_merge_implIS3_N6thrust23THRUST_200600_302600_NS6detail15normal_iteratorINS9_10device_ptrItEEEEPS5_jNS1_19radix_merge_compareILb0ELb1EtNS0_19identity_decomposerEEEEE10hipError_tT0_T1_T2_jT3_P12ihipStream_tbPNSt15iterator_traitsISK_E10value_typeEPNSQ_ISL_E10value_typeEPSM_NS1_7vsmem_tEENKUlT_SK_SL_SM_E_clIPtSE_SF_SF_EESJ_SZ_SK_SL_SM_EUlSZ_E0_NS1_11comp_targetILNS1_3genE3ELNS1_11target_archE908ELNS1_3gpuE7ELNS1_3repE0EEENS1_38merge_mergepath_config_static_selectorELNS0_4arch9wavefront6targetE1EEEvSL_
    .private_segment_fixed_size: 0
    .sgpr_count:     4
    .sgpr_spill_count: 0
    .symbol:         _ZN7rocprim17ROCPRIM_400000_NS6detail17trampoline_kernelINS0_14default_configENS1_38merge_sort_block_merge_config_selectorItNS0_10empty_typeEEEZZNS1_27merge_sort_block_merge_implIS3_N6thrust23THRUST_200600_302600_NS6detail15normal_iteratorINS9_10device_ptrItEEEEPS5_jNS1_19radix_merge_compareILb0ELb1EtNS0_19identity_decomposerEEEEE10hipError_tT0_T1_T2_jT3_P12ihipStream_tbPNSt15iterator_traitsISK_E10value_typeEPNSQ_ISL_E10value_typeEPSM_NS1_7vsmem_tEENKUlT_SK_SL_SM_E_clIPtSE_SF_SF_EESJ_SZ_SK_SL_SM_EUlSZ_E0_NS1_11comp_targetILNS1_3genE3ELNS1_11target_archE908ELNS1_3gpuE7ELNS1_3repE0EEENS1_38merge_mergepath_config_static_selectorELNS0_4arch9wavefront6targetE1EEEvSL_.kd
    .uniform_work_group_size: 1
    .uses_dynamic_stack: false
    .vgpr_count:     0
    .vgpr_spill_count: 0
    .wavefront_size: 64
  - .agpr_count:     0
    .args:
      - .offset:         0
        .size:           64
        .value_kind:     by_value
    .group_segment_fixed_size: 0
    .kernarg_segment_align: 8
    .kernarg_segment_size: 64
    .language:       OpenCL C
    .language_version:
      - 2
      - 0
    .max_flat_workgroup_size: 128
    .name:           _ZN7rocprim17ROCPRIM_400000_NS6detail17trampoline_kernelINS0_14default_configENS1_38merge_sort_block_merge_config_selectorItNS0_10empty_typeEEEZZNS1_27merge_sort_block_merge_implIS3_N6thrust23THRUST_200600_302600_NS6detail15normal_iteratorINS9_10device_ptrItEEEEPS5_jNS1_19radix_merge_compareILb0ELb1EtNS0_19identity_decomposerEEEEE10hipError_tT0_T1_T2_jT3_P12ihipStream_tbPNSt15iterator_traitsISK_E10value_typeEPNSQ_ISL_E10value_typeEPSM_NS1_7vsmem_tEENKUlT_SK_SL_SM_E_clIPtSE_SF_SF_EESJ_SZ_SK_SL_SM_EUlSZ_E0_NS1_11comp_targetILNS1_3genE2ELNS1_11target_archE906ELNS1_3gpuE6ELNS1_3repE0EEENS1_38merge_mergepath_config_static_selectorELNS0_4arch9wavefront6targetE1EEEvSL_
    .private_segment_fixed_size: 0
    .sgpr_count:     4
    .sgpr_spill_count: 0
    .symbol:         _ZN7rocprim17ROCPRIM_400000_NS6detail17trampoline_kernelINS0_14default_configENS1_38merge_sort_block_merge_config_selectorItNS0_10empty_typeEEEZZNS1_27merge_sort_block_merge_implIS3_N6thrust23THRUST_200600_302600_NS6detail15normal_iteratorINS9_10device_ptrItEEEEPS5_jNS1_19radix_merge_compareILb0ELb1EtNS0_19identity_decomposerEEEEE10hipError_tT0_T1_T2_jT3_P12ihipStream_tbPNSt15iterator_traitsISK_E10value_typeEPNSQ_ISL_E10value_typeEPSM_NS1_7vsmem_tEENKUlT_SK_SL_SM_E_clIPtSE_SF_SF_EESJ_SZ_SK_SL_SM_EUlSZ_E0_NS1_11comp_targetILNS1_3genE2ELNS1_11target_archE906ELNS1_3gpuE6ELNS1_3repE0EEENS1_38merge_mergepath_config_static_selectorELNS0_4arch9wavefront6targetE1EEEvSL_.kd
    .uniform_work_group_size: 1
    .uses_dynamic_stack: false
    .vgpr_count:     0
    .vgpr_spill_count: 0
    .wavefront_size: 64
  - .agpr_count:     0
    .args:
      - .offset:         0
        .size:           64
        .value_kind:     by_value
    .group_segment_fixed_size: 0
    .kernarg_segment_align: 8
    .kernarg_segment_size: 64
    .language:       OpenCL C
    .language_version:
      - 2
      - 0
    .max_flat_workgroup_size: 128
    .name:           _ZN7rocprim17ROCPRIM_400000_NS6detail17trampoline_kernelINS0_14default_configENS1_38merge_sort_block_merge_config_selectorItNS0_10empty_typeEEEZZNS1_27merge_sort_block_merge_implIS3_N6thrust23THRUST_200600_302600_NS6detail15normal_iteratorINS9_10device_ptrItEEEEPS5_jNS1_19radix_merge_compareILb0ELb1EtNS0_19identity_decomposerEEEEE10hipError_tT0_T1_T2_jT3_P12ihipStream_tbPNSt15iterator_traitsISK_E10value_typeEPNSQ_ISL_E10value_typeEPSM_NS1_7vsmem_tEENKUlT_SK_SL_SM_E_clIPtSE_SF_SF_EESJ_SZ_SK_SL_SM_EUlSZ_E0_NS1_11comp_targetILNS1_3genE9ELNS1_11target_archE1100ELNS1_3gpuE3ELNS1_3repE0EEENS1_38merge_mergepath_config_static_selectorELNS0_4arch9wavefront6targetE1EEEvSL_
    .private_segment_fixed_size: 0
    .sgpr_count:     4
    .sgpr_spill_count: 0
    .symbol:         _ZN7rocprim17ROCPRIM_400000_NS6detail17trampoline_kernelINS0_14default_configENS1_38merge_sort_block_merge_config_selectorItNS0_10empty_typeEEEZZNS1_27merge_sort_block_merge_implIS3_N6thrust23THRUST_200600_302600_NS6detail15normal_iteratorINS9_10device_ptrItEEEEPS5_jNS1_19radix_merge_compareILb0ELb1EtNS0_19identity_decomposerEEEEE10hipError_tT0_T1_T2_jT3_P12ihipStream_tbPNSt15iterator_traitsISK_E10value_typeEPNSQ_ISL_E10value_typeEPSM_NS1_7vsmem_tEENKUlT_SK_SL_SM_E_clIPtSE_SF_SF_EESJ_SZ_SK_SL_SM_EUlSZ_E0_NS1_11comp_targetILNS1_3genE9ELNS1_11target_archE1100ELNS1_3gpuE3ELNS1_3repE0EEENS1_38merge_mergepath_config_static_selectorELNS0_4arch9wavefront6targetE1EEEvSL_.kd
    .uniform_work_group_size: 1
    .uses_dynamic_stack: false
    .vgpr_count:     0
    .vgpr_spill_count: 0
    .wavefront_size: 64
  - .agpr_count:     0
    .args:
      - .offset:         0
        .size:           64
        .value_kind:     by_value
    .group_segment_fixed_size: 0
    .kernarg_segment_align: 8
    .kernarg_segment_size: 64
    .language:       OpenCL C
    .language_version:
      - 2
      - 0
    .max_flat_workgroup_size: 128
    .name:           _ZN7rocprim17ROCPRIM_400000_NS6detail17trampoline_kernelINS0_14default_configENS1_38merge_sort_block_merge_config_selectorItNS0_10empty_typeEEEZZNS1_27merge_sort_block_merge_implIS3_N6thrust23THRUST_200600_302600_NS6detail15normal_iteratorINS9_10device_ptrItEEEEPS5_jNS1_19radix_merge_compareILb0ELb1EtNS0_19identity_decomposerEEEEE10hipError_tT0_T1_T2_jT3_P12ihipStream_tbPNSt15iterator_traitsISK_E10value_typeEPNSQ_ISL_E10value_typeEPSM_NS1_7vsmem_tEENKUlT_SK_SL_SM_E_clIPtSE_SF_SF_EESJ_SZ_SK_SL_SM_EUlSZ_E0_NS1_11comp_targetILNS1_3genE8ELNS1_11target_archE1030ELNS1_3gpuE2ELNS1_3repE0EEENS1_38merge_mergepath_config_static_selectorELNS0_4arch9wavefront6targetE1EEEvSL_
    .private_segment_fixed_size: 0
    .sgpr_count:     4
    .sgpr_spill_count: 0
    .symbol:         _ZN7rocprim17ROCPRIM_400000_NS6detail17trampoline_kernelINS0_14default_configENS1_38merge_sort_block_merge_config_selectorItNS0_10empty_typeEEEZZNS1_27merge_sort_block_merge_implIS3_N6thrust23THRUST_200600_302600_NS6detail15normal_iteratorINS9_10device_ptrItEEEEPS5_jNS1_19radix_merge_compareILb0ELb1EtNS0_19identity_decomposerEEEEE10hipError_tT0_T1_T2_jT3_P12ihipStream_tbPNSt15iterator_traitsISK_E10value_typeEPNSQ_ISL_E10value_typeEPSM_NS1_7vsmem_tEENKUlT_SK_SL_SM_E_clIPtSE_SF_SF_EESJ_SZ_SK_SL_SM_EUlSZ_E0_NS1_11comp_targetILNS1_3genE8ELNS1_11target_archE1030ELNS1_3gpuE2ELNS1_3repE0EEENS1_38merge_mergepath_config_static_selectorELNS0_4arch9wavefront6targetE1EEEvSL_.kd
    .uniform_work_group_size: 1
    .uses_dynamic_stack: false
    .vgpr_count:     0
    .vgpr_spill_count: 0
    .wavefront_size: 64
  - .agpr_count:     0
    .args:
      - .offset:         0
        .size:           48
        .value_kind:     by_value
    .group_segment_fixed_size: 0
    .kernarg_segment_align: 8
    .kernarg_segment_size: 48
    .language:       OpenCL C
    .language_version:
      - 2
      - 0
    .max_flat_workgroup_size: 256
    .name:           _ZN7rocprim17ROCPRIM_400000_NS6detail17trampoline_kernelINS0_14default_configENS1_38merge_sort_block_merge_config_selectorItNS0_10empty_typeEEEZZNS1_27merge_sort_block_merge_implIS3_N6thrust23THRUST_200600_302600_NS6detail15normal_iteratorINS9_10device_ptrItEEEEPS5_jNS1_19radix_merge_compareILb0ELb1EtNS0_19identity_decomposerEEEEE10hipError_tT0_T1_T2_jT3_P12ihipStream_tbPNSt15iterator_traitsISK_E10value_typeEPNSQ_ISL_E10value_typeEPSM_NS1_7vsmem_tEENKUlT_SK_SL_SM_E_clIPtSE_SF_SF_EESJ_SZ_SK_SL_SM_EUlSZ_E1_NS1_11comp_targetILNS1_3genE0ELNS1_11target_archE4294967295ELNS1_3gpuE0ELNS1_3repE0EEENS1_36merge_oddeven_config_static_selectorELNS0_4arch9wavefront6targetE1EEEvSL_
    .private_segment_fixed_size: 0
    .sgpr_count:     4
    .sgpr_spill_count: 0
    .symbol:         _ZN7rocprim17ROCPRIM_400000_NS6detail17trampoline_kernelINS0_14default_configENS1_38merge_sort_block_merge_config_selectorItNS0_10empty_typeEEEZZNS1_27merge_sort_block_merge_implIS3_N6thrust23THRUST_200600_302600_NS6detail15normal_iteratorINS9_10device_ptrItEEEEPS5_jNS1_19radix_merge_compareILb0ELb1EtNS0_19identity_decomposerEEEEE10hipError_tT0_T1_T2_jT3_P12ihipStream_tbPNSt15iterator_traitsISK_E10value_typeEPNSQ_ISL_E10value_typeEPSM_NS1_7vsmem_tEENKUlT_SK_SL_SM_E_clIPtSE_SF_SF_EESJ_SZ_SK_SL_SM_EUlSZ_E1_NS1_11comp_targetILNS1_3genE0ELNS1_11target_archE4294967295ELNS1_3gpuE0ELNS1_3repE0EEENS1_36merge_oddeven_config_static_selectorELNS0_4arch9wavefront6targetE1EEEvSL_.kd
    .uniform_work_group_size: 1
    .uses_dynamic_stack: false
    .vgpr_count:     0
    .vgpr_spill_count: 0
    .wavefront_size: 64
  - .agpr_count:     0
    .args:
      - .offset:         0
        .size:           48
        .value_kind:     by_value
    .group_segment_fixed_size: 0
    .kernarg_segment_align: 8
    .kernarg_segment_size: 48
    .language:       OpenCL C
    .language_version:
      - 2
      - 0
    .max_flat_workgroup_size: 256
    .name:           _ZN7rocprim17ROCPRIM_400000_NS6detail17trampoline_kernelINS0_14default_configENS1_38merge_sort_block_merge_config_selectorItNS0_10empty_typeEEEZZNS1_27merge_sort_block_merge_implIS3_N6thrust23THRUST_200600_302600_NS6detail15normal_iteratorINS9_10device_ptrItEEEEPS5_jNS1_19radix_merge_compareILb0ELb1EtNS0_19identity_decomposerEEEEE10hipError_tT0_T1_T2_jT3_P12ihipStream_tbPNSt15iterator_traitsISK_E10value_typeEPNSQ_ISL_E10value_typeEPSM_NS1_7vsmem_tEENKUlT_SK_SL_SM_E_clIPtSE_SF_SF_EESJ_SZ_SK_SL_SM_EUlSZ_E1_NS1_11comp_targetILNS1_3genE10ELNS1_11target_archE1201ELNS1_3gpuE5ELNS1_3repE0EEENS1_36merge_oddeven_config_static_selectorELNS0_4arch9wavefront6targetE1EEEvSL_
    .private_segment_fixed_size: 0
    .sgpr_count:     4
    .sgpr_spill_count: 0
    .symbol:         _ZN7rocprim17ROCPRIM_400000_NS6detail17trampoline_kernelINS0_14default_configENS1_38merge_sort_block_merge_config_selectorItNS0_10empty_typeEEEZZNS1_27merge_sort_block_merge_implIS3_N6thrust23THRUST_200600_302600_NS6detail15normal_iteratorINS9_10device_ptrItEEEEPS5_jNS1_19radix_merge_compareILb0ELb1EtNS0_19identity_decomposerEEEEE10hipError_tT0_T1_T2_jT3_P12ihipStream_tbPNSt15iterator_traitsISK_E10value_typeEPNSQ_ISL_E10value_typeEPSM_NS1_7vsmem_tEENKUlT_SK_SL_SM_E_clIPtSE_SF_SF_EESJ_SZ_SK_SL_SM_EUlSZ_E1_NS1_11comp_targetILNS1_3genE10ELNS1_11target_archE1201ELNS1_3gpuE5ELNS1_3repE0EEENS1_36merge_oddeven_config_static_selectorELNS0_4arch9wavefront6targetE1EEEvSL_.kd
    .uniform_work_group_size: 1
    .uses_dynamic_stack: false
    .vgpr_count:     0
    .vgpr_spill_count: 0
    .wavefront_size: 64
  - .agpr_count:     0
    .args:
      - .offset:         0
        .size:           48
        .value_kind:     by_value
    .group_segment_fixed_size: 0
    .kernarg_segment_align: 8
    .kernarg_segment_size: 48
    .language:       OpenCL C
    .language_version:
      - 2
      - 0
    .max_flat_workgroup_size: 256
    .name:           _ZN7rocprim17ROCPRIM_400000_NS6detail17trampoline_kernelINS0_14default_configENS1_38merge_sort_block_merge_config_selectorItNS0_10empty_typeEEEZZNS1_27merge_sort_block_merge_implIS3_N6thrust23THRUST_200600_302600_NS6detail15normal_iteratorINS9_10device_ptrItEEEEPS5_jNS1_19radix_merge_compareILb0ELb1EtNS0_19identity_decomposerEEEEE10hipError_tT0_T1_T2_jT3_P12ihipStream_tbPNSt15iterator_traitsISK_E10value_typeEPNSQ_ISL_E10value_typeEPSM_NS1_7vsmem_tEENKUlT_SK_SL_SM_E_clIPtSE_SF_SF_EESJ_SZ_SK_SL_SM_EUlSZ_E1_NS1_11comp_targetILNS1_3genE5ELNS1_11target_archE942ELNS1_3gpuE9ELNS1_3repE0EEENS1_36merge_oddeven_config_static_selectorELNS0_4arch9wavefront6targetE1EEEvSL_
    .private_segment_fixed_size: 0
    .sgpr_count:     4
    .sgpr_spill_count: 0
    .symbol:         _ZN7rocprim17ROCPRIM_400000_NS6detail17trampoline_kernelINS0_14default_configENS1_38merge_sort_block_merge_config_selectorItNS0_10empty_typeEEEZZNS1_27merge_sort_block_merge_implIS3_N6thrust23THRUST_200600_302600_NS6detail15normal_iteratorINS9_10device_ptrItEEEEPS5_jNS1_19radix_merge_compareILb0ELb1EtNS0_19identity_decomposerEEEEE10hipError_tT0_T1_T2_jT3_P12ihipStream_tbPNSt15iterator_traitsISK_E10value_typeEPNSQ_ISL_E10value_typeEPSM_NS1_7vsmem_tEENKUlT_SK_SL_SM_E_clIPtSE_SF_SF_EESJ_SZ_SK_SL_SM_EUlSZ_E1_NS1_11comp_targetILNS1_3genE5ELNS1_11target_archE942ELNS1_3gpuE9ELNS1_3repE0EEENS1_36merge_oddeven_config_static_selectorELNS0_4arch9wavefront6targetE1EEEvSL_.kd
    .uniform_work_group_size: 1
    .uses_dynamic_stack: false
    .vgpr_count:     0
    .vgpr_spill_count: 0
    .wavefront_size: 64
  - .agpr_count:     0
    .args:
      - .offset:         0
        .size:           48
        .value_kind:     by_value
    .group_segment_fixed_size: 0
    .kernarg_segment_align: 8
    .kernarg_segment_size: 48
    .language:       OpenCL C
    .language_version:
      - 2
      - 0
    .max_flat_workgroup_size: 256
    .name:           _ZN7rocprim17ROCPRIM_400000_NS6detail17trampoline_kernelINS0_14default_configENS1_38merge_sort_block_merge_config_selectorItNS0_10empty_typeEEEZZNS1_27merge_sort_block_merge_implIS3_N6thrust23THRUST_200600_302600_NS6detail15normal_iteratorINS9_10device_ptrItEEEEPS5_jNS1_19radix_merge_compareILb0ELb1EtNS0_19identity_decomposerEEEEE10hipError_tT0_T1_T2_jT3_P12ihipStream_tbPNSt15iterator_traitsISK_E10value_typeEPNSQ_ISL_E10value_typeEPSM_NS1_7vsmem_tEENKUlT_SK_SL_SM_E_clIPtSE_SF_SF_EESJ_SZ_SK_SL_SM_EUlSZ_E1_NS1_11comp_targetILNS1_3genE4ELNS1_11target_archE910ELNS1_3gpuE8ELNS1_3repE0EEENS1_36merge_oddeven_config_static_selectorELNS0_4arch9wavefront6targetE1EEEvSL_
    .private_segment_fixed_size: 0
    .sgpr_count:     25
    .sgpr_spill_count: 0
    .symbol:         _ZN7rocprim17ROCPRIM_400000_NS6detail17trampoline_kernelINS0_14default_configENS1_38merge_sort_block_merge_config_selectorItNS0_10empty_typeEEEZZNS1_27merge_sort_block_merge_implIS3_N6thrust23THRUST_200600_302600_NS6detail15normal_iteratorINS9_10device_ptrItEEEEPS5_jNS1_19radix_merge_compareILb0ELb1EtNS0_19identity_decomposerEEEEE10hipError_tT0_T1_T2_jT3_P12ihipStream_tbPNSt15iterator_traitsISK_E10value_typeEPNSQ_ISL_E10value_typeEPSM_NS1_7vsmem_tEENKUlT_SK_SL_SM_E_clIPtSE_SF_SF_EESJ_SZ_SK_SL_SM_EUlSZ_E1_NS1_11comp_targetILNS1_3genE4ELNS1_11target_archE910ELNS1_3gpuE8ELNS1_3repE0EEENS1_36merge_oddeven_config_static_selectorELNS0_4arch9wavefront6targetE1EEEvSL_.kd
    .uniform_work_group_size: 1
    .uses_dynamic_stack: false
    .vgpr_count:     9
    .vgpr_spill_count: 0
    .wavefront_size: 64
  - .agpr_count:     0
    .args:
      - .offset:         0
        .size:           48
        .value_kind:     by_value
    .group_segment_fixed_size: 0
    .kernarg_segment_align: 8
    .kernarg_segment_size: 48
    .language:       OpenCL C
    .language_version:
      - 2
      - 0
    .max_flat_workgroup_size: 256
    .name:           _ZN7rocprim17ROCPRIM_400000_NS6detail17trampoline_kernelINS0_14default_configENS1_38merge_sort_block_merge_config_selectorItNS0_10empty_typeEEEZZNS1_27merge_sort_block_merge_implIS3_N6thrust23THRUST_200600_302600_NS6detail15normal_iteratorINS9_10device_ptrItEEEEPS5_jNS1_19radix_merge_compareILb0ELb1EtNS0_19identity_decomposerEEEEE10hipError_tT0_T1_T2_jT3_P12ihipStream_tbPNSt15iterator_traitsISK_E10value_typeEPNSQ_ISL_E10value_typeEPSM_NS1_7vsmem_tEENKUlT_SK_SL_SM_E_clIPtSE_SF_SF_EESJ_SZ_SK_SL_SM_EUlSZ_E1_NS1_11comp_targetILNS1_3genE3ELNS1_11target_archE908ELNS1_3gpuE7ELNS1_3repE0EEENS1_36merge_oddeven_config_static_selectorELNS0_4arch9wavefront6targetE1EEEvSL_
    .private_segment_fixed_size: 0
    .sgpr_count:     4
    .sgpr_spill_count: 0
    .symbol:         _ZN7rocprim17ROCPRIM_400000_NS6detail17trampoline_kernelINS0_14default_configENS1_38merge_sort_block_merge_config_selectorItNS0_10empty_typeEEEZZNS1_27merge_sort_block_merge_implIS3_N6thrust23THRUST_200600_302600_NS6detail15normal_iteratorINS9_10device_ptrItEEEEPS5_jNS1_19radix_merge_compareILb0ELb1EtNS0_19identity_decomposerEEEEE10hipError_tT0_T1_T2_jT3_P12ihipStream_tbPNSt15iterator_traitsISK_E10value_typeEPNSQ_ISL_E10value_typeEPSM_NS1_7vsmem_tEENKUlT_SK_SL_SM_E_clIPtSE_SF_SF_EESJ_SZ_SK_SL_SM_EUlSZ_E1_NS1_11comp_targetILNS1_3genE3ELNS1_11target_archE908ELNS1_3gpuE7ELNS1_3repE0EEENS1_36merge_oddeven_config_static_selectorELNS0_4arch9wavefront6targetE1EEEvSL_.kd
    .uniform_work_group_size: 1
    .uses_dynamic_stack: false
    .vgpr_count:     0
    .vgpr_spill_count: 0
    .wavefront_size: 64
  - .agpr_count:     0
    .args:
      - .offset:         0
        .size:           48
        .value_kind:     by_value
    .group_segment_fixed_size: 0
    .kernarg_segment_align: 8
    .kernarg_segment_size: 48
    .language:       OpenCL C
    .language_version:
      - 2
      - 0
    .max_flat_workgroup_size: 256
    .name:           _ZN7rocprim17ROCPRIM_400000_NS6detail17trampoline_kernelINS0_14default_configENS1_38merge_sort_block_merge_config_selectorItNS0_10empty_typeEEEZZNS1_27merge_sort_block_merge_implIS3_N6thrust23THRUST_200600_302600_NS6detail15normal_iteratorINS9_10device_ptrItEEEEPS5_jNS1_19radix_merge_compareILb0ELb1EtNS0_19identity_decomposerEEEEE10hipError_tT0_T1_T2_jT3_P12ihipStream_tbPNSt15iterator_traitsISK_E10value_typeEPNSQ_ISL_E10value_typeEPSM_NS1_7vsmem_tEENKUlT_SK_SL_SM_E_clIPtSE_SF_SF_EESJ_SZ_SK_SL_SM_EUlSZ_E1_NS1_11comp_targetILNS1_3genE2ELNS1_11target_archE906ELNS1_3gpuE6ELNS1_3repE0EEENS1_36merge_oddeven_config_static_selectorELNS0_4arch9wavefront6targetE1EEEvSL_
    .private_segment_fixed_size: 0
    .sgpr_count:     4
    .sgpr_spill_count: 0
    .symbol:         _ZN7rocprim17ROCPRIM_400000_NS6detail17trampoline_kernelINS0_14default_configENS1_38merge_sort_block_merge_config_selectorItNS0_10empty_typeEEEZZNS1_27merge_sort_block_merge_implIS3_N6thrust23THRUST_200600_302600_NS6detail15normal_iteratorINS9_10device_ptrItEEEEPS5_jNS1_19radix_merge_compareILb0ELb1EtNS0_19identity_decomposerEEEEE10hipError_tT0_T1_T2_jT3_P12ihipStream_tbPNSt15iterator_traitsISK_E10value_typeEPNSQ_ISL_E10value_typeEPSM_NS1_7vsmem_tEENKUlT_SK_SL_SM_E_clIPtSE_SF_SF_EESJ_SZ_SK_SL_SM_EUlSZ_E1_NS1_11comp_targetILNS1_3genE2ELNS1_11target_archE906ELNS1_3gpuE6ELNS1_3repE0EEENS1_36merge_oddeven_config_static_selectorELNS0_4arch9wavefront6targetE1EEEvSL_.kd
    .uniform_work_group_size: 1
    .uses_dynamic_stack: false
    .vgpr_count:     0
    .vgpr_spill_count: 0
    .wavefront_size: 64
  - .agpr_count:     0
    .args:
      - .offset:         0
        .size:           48
        .value_kind:     by_value
    .group_segment_fixed_size: 0
    .kernarg_segment_align: 8
    .kernarg_segment_size: 48
    .language:       OpenCL C
    .language_version:
      - 2
      - 0
    .max_flat_workgroup_size: 256
    .name:           _ZN7rocprim17ROCPRIM_400000_NS6detail17trampoline_kernelINS0_14default_configENS1_38merge_sort_block_merge_config_selectorItNS0_10empty_typeEEEZZNS1_27merge_sort_block_merge_implIS3_N6thrust23THRUST_200600_302600_NS6detail15normal_iteratorINS9_10device_ptrItEEEEPS5_jNS1_19radix_merge_compareILb0ELb1EtNS0_19identity_decomposerEEEEE10hipError_tT0_T1_T2_jT3_P12ihipStream_tbPNSt15iterator_traitsISK_E10value_typeEPNSQ_ISL_E10value_typeEPSM_NS1_7vsmem_tEENKUlT_SK_SL_SM_E_clIPtSE_SF_SF_EESJ_SZ_SK_SL_SM_EUlSZ_E1_NS1_11comp_targetILNS1_3genE9ELNS1_11target_archE1100ELNS1_3gpuE3ELNS1_3repE0EEENS1_36merge_oddeven_config_static_selectorELNS0_4arch9wavefront6targetE1EEEvSL_
    .private_segment_fixed_size: 0
    .sgpr_count:     4
    .sgpr_spill_count: 0
    .symbol:         _ZN7rocprim17ROCPRIM_400000_NS6detail17trampoline_kernelINS0_14default_configENS1_38merge_sort_block_merge_config_selectorItNS0_10empty_typeEEEZZNS1_27merge_sort_block_merge_implIS3_N6thrust23THRUST_200600_302600_NS6detail15normal_iteratorINS9_10device_ptrItEEEEPS5_jNS1_19radix_merge_compareILb0ELb1EtNS0_19identity_decomposerEEEEE10hipError_tT0_T1_T2_jT3_P12ihipStream_tbPNSt15iterator_traitsISK_E10value_typeEPNSQ_ISL_E10value_typeEPSM_NS1_7vsmem_tEENKUlT_SK_SL_SM_E_clIPtSE_SF_SF_EESJ_SZ_SK_SL_SM_EUlSZ_E1_NS1_11comp_targetILNS1_3genE9ELNS1_11target_archE1100ELNS1_3gpuE3ELNS1_3repE0EEENS1_36merge_oddeven_config_static_selectorELNS0_4arch9wavefront6targetE1EEEvSL_.kd
    .uniform_work_group_size: 1
    .uses_dynamic_stack: false
    .vgpr_count:     0
    .vgpr_spill_count: 0
    .wavefront_size: 64
  - .agpr_count:     0
    .args:
      - .offset:         0
        .size:           48
        .value_kind:     by_value
    .group_segment_fixed_size: 0
    .kernarg_segment_align: 8
    .kernarg_segment_size: 48
    .language:       OpenCL C
    .language_version:
      - 2
      - 0
    .max_flat_workgroup_size: 256
    .name:           _ZN7rocprim17ROCPRIM_400000_NS6detail17trampoline_kernelINS0_14default_configENS1_38merge_sort_block_merge_config_selectorItNS0_10empty_typeEEEZZNS1_27merge_sort_block_merge_implIS3_N6thrust23THRUST_200600_302600_NS6detail15normal_iteratorINS9_10device_ptrItEEEEPS5_jNS1_19radix_merge_compareILb0ELb1EtNS0_19identity_decomposerEEEEE10hipError_tT0_T1_T2_jT3_P12ihipStream_tbPNSt15iterator_traitsISK_E10value_typeEPNSQ_ISL_E10value_typeEPSM_NS1_7vsmem_tEENKUlT_SK_SL_SM_E_clIPtSE_SF_SF_EESJ_SZ_SK_SL_SM_EUlSZ_E1_NS1_11comp_targetILNS1_3genE8ELNS1_11target_archE1030ELNS1_3gpuE2ELNS1_3repE0EEENS1_36merge_oddeven_config_static_selectorELNS0_4arch9wavefront6targetE1EEEvSL_
    .private_segment_fixed_size: 0
    .sgpr_count:     4
    .sgpr_spill_count: 0
    .symbol:         _ZN7rocprim17ROCPRIM_400000_NS6detail17trampoline_kernelINS0_14default_configENS1_38merge_sort_block_merge_config_selectorItNS0_10empty_typeEEEZZNS1_27merge_sort_block_merge_implIS3_N6thrust23THRUST_200600_302600_NS6detail15normal_iteratorINS9_10device_ptrItEEEEPS5_jNS1_19radix_merge_compareILb0ELb1EtNS0_19identity_decomposerEEEEE10hipError_tT0_T1_T2_jT3_P12ihipStream_tbPNSt15iterator_traitsISK_E10value_typeEPNSQ_ISL_E10value_typeEPSM_NS1_7vsmem_tEENKUlT_SK_SL_SM_E_clIPtSE_SF_SF_EESJ_SZ_SK_SL_SM_EUlSZ_E1_NS1_11comp_targetILNS1_3genE8ELNS1_11target_archE1030ELNS1_3gpuE2ELNS1_3repE0EEENS1_36merge_oddeven_config_static_selectorELNS0_4arch9wavefront6targetE1EEEvSL_.kd
    .uniform_work_group_size: 1
    .uses_dynamic_stack: false
    .vgpr_count:     0
    .vgpr_spill_count: 0
    .wavefront_size: 64
  - .agpr_count:     0
    .args:
      - .offset:         0
        .size:           40
        .value_kind:     by_value
    .group_segment_fixed_size: 0
    .kernarg_segment_align: 8
    .kernarg_segment_size: 40
    .language:       OpenCL C
    .language_version:
      - 2
      - 0
    .max_flat_workgroup_size: 128
    .name:           _ZN7rocprim17ROCPRIM_400000_NS6detail17trampoline_kernelINS0_14default_configENS1_38merge_sort_block_merge_config_selectorItNS0_10empty_typeEEEZZNS1_27merge_sort_block_merge_implIS3_N6thrust23THRUST_200600_302600_NS6detail15normal_iteratorINS9_10device_ptrItEEEEPS5_jNS1_19radix_merge_compareILb0ELb1EtNS0_19identity_decomposerEEEEE10hipError_tT0_T1_T2_jT3_P12ihipStream_tbPNSt15iterator_traitsISK_E10value_typeEPNSQ_ISL_E10value_typeEPSM_NS1_7vsmem_tEENKUlT_SK_SL_SM_E_clISE_PtSF_SF_EESJ_SZ_SK_SL_SM_EUlSZ_E_NS1_11comp_targetILNS1_3genE0ELNS1_11target_archE4294967295ELNS1_3gpuE0ELNS1_3repE0EEENS1_48merge_mergepath_partition_config_static_selectorELNS0_4arch9wavefront6targetE1EEEvSL_
    .private_segment_fixed_size: 0
    .sgpr_count:     4
    .sgpr_spill_count: 0
    .symbol:         _ZN7rocprim17ROCPRIM_400000_NS6detail17trampoline_kernelINS0_14default_configENS1_38merge_sort_block_merge_config_selectorItNS0_10empty_typeEEEZZNS1_27merge_sort_block_merge_implIS3_N6thrust23THRUST_200600_302600_NS6detail15normal_iteratorINS9_10device_ptrItEEEEPS5_jNS1_19radix_merge_compareILb0ELb1EtNS0_19identity_decomposerEEEEE10hipError_tT0_T1_T2_jT3_P12ihipStream_tbPNSt15iterator_traitsISK_E10value_typeEPNSQ_ISL_E10value_typeEPSM_NS1_7vsmem_tEENKUlT_SK_SL_SM_E_clISE_PtSF_SF_EESJ_SZ_SK_SL_SM_EUlSZ_E_NS1_11comp_targetILNS1_3genE0ELNS1_11target_archE4294967295ELNS1_3gpuE0ELNS1_3repE0EEENS1_48merge_mergepath_partition_config_static_selectorELNS0_4arch9wavefront6targetE1EEEvSL_.kd
    .uniform_work_group_size: 1
    .uses_dynamic_stack: false
    .vgpr_count:     0
    .vgpr_spill_count: 0
    .wavefront_size: 64
  - .agpr_count:     0
    .args:
      - .offset:         0
        .size:           40
        .value_kind:     by_value
    .group_segment_fixed_size: 0
    .kernarg_segment_align: 8
    .kernarg_segment_size: 40
    .language:       OpenCL C
    .language_version:
      - 2
      - 0
    .max_flat_workgroup_size: 128
    .name:           _ZN7rocprim17ROCPRIM_400000_NS6detail17trampoline_kernelINS0_14default_configENS1_38merge_sort_block_merge_config_selectorItNS0_10empty_typeEEEZZNS1_27merge_sort_block_merge_implIS3_N6thrust23THRUST_200600_302600_NS6detail15normal_iteratorINS9_10device_ptrItEEEEPS5_jNS1_19radix_merge_compareILb0ELb1EtNS0_19identity_decomposerEEEEE10hipError_tT0_T1_T2_jT3_P12ihipStream_tbPNSt15iterator_traitsISK_E10value_typeEPNSQ_ISL_E10value_typeEPSM_NS1_7vsmem_tEENKUlT_SK_SL_SM_E_clISE_PtSF_SF_EESJ_SZ_SK_SL_SM_EUlSZ_E_NS1_11comp_targetILNS1_3genE10ELNS1_11target_archE1201ELNS1_3gpuE5ELNS1_3repE0EEENS1_48merge_mergepath_partition_config_static_selectorELNS0_4arch9wavefront6targetE1EEEvSL_
    .private_segment_fixed_size: 0
    .sgpr_count:     4
    .sgpr_spill_count: 0
    .symbol:         _ZN7rocprim17ROCPRIM_400000_NS6detail17trampoline_kernelINS0_14default_configENS1_38merge_sort_block_merge_config_selectorItNS0_10empty_typeEEEZZNS1_27merge_sort_block_merge_implIS3_N6thrust23THRUST_200600_302600_NS6detail15normal_iteratorINS9_10device_ptrItEEEEPS5_jNS1_19radix_merge_compareILb0ELb1EtNS0_19identity_decomposerEEEEE10hipError_tT0_T1_T2_jT3_P12ihipStream_tbPNSt15iterator_traitsISK_E10value_typeEPNSQ_ISL_E10value_typeEPSM_NS1_7vsmem_tEENKUlT_SK_SL_SM_E_clISE_PtSF_SF_EESJ_SZ_SK_SL_SM_EUlSZ_E_NS1_11comp_targetILNS1_3genE10ELNS1_11target_archE1201ELNS1_3gpuE5ELNS1_3repE0EEENS1_48merge_mergepath_partition_config_static_selectorELNS0_4arch9wavefront6targetE1EEEvSL_.kd
    .uniform_work_group_size: 1
    .uses_dynamic_stack: false
    .vgpr_count:     0
    .vgpr_spill_count: 0
    .wavefront_size: 64
  - .agpr_count:     0
    .args:
      - .offset:         0
        .size:           40
        .value_kind:     by_value
    .group_segment_fixed_size: 0
    .kernarg_segment_align: 8
    .kernarg_segment_size: 40
    .language:       OpenCL C
    .language_version:
      - 2
      - 0
    .max_flat_workgroup_size: 128
    .name:           _ZN7rocprim17ROCPRIM_400000_NS6detail17trampoline_kernelINS0_14default_configENS1_38merge_sort_block_merge_config_selectorItNS0_10empty_typeEEEZZNS1_27merge_sort_block_merge_implIS3_N6thrust23THRUST_200600_302600_NS6detail15normal_iteratorINS9_10device_ptrItEEEEPS5_jNS1_19radix_merge_compareILb0ELb1EtNS0_19identity_decomposerEEEEE10hipError_tT0_T1_T2_jT3_P12ihipStream_tbPNSt15iterator_traitsISK_E10value_typeEPNSQ_ISL_E10value_typeEPSM_NS1_7vsmem_tEENKUlT_SK_SL_SM_E_clISE_PtSF_SF_EESJ_SZ_SK_SL_SM_EUlSZ_E_NS1_11comp_targetILNS1_3genE5ELNS1_11target_archE942ELNS1_3gpuE9ELNS1_3repE0EEENS1_48merge_mergepath_partition_config_static_selectorELNS0_4arch9wavefront6targetE1EEEvSL_
    .private_segment_fixed_size: 0
    .sgpr_count:     4
    .sgpr_spill_count: 0
    .symbol:         _ZN7rocprim17ROCPRIM_400000_NS6detail17trampoline_kernelINS0_14default_configENS1_38merge_sort_block_merge_config_selectorItNS0_10empty_typeEEEZZNS1_27merge_sort_block_merge_implIS3_N6thrust23THRUST_200600_302600_NS6detail15normal_iteratorINS9_10device_ptrItEEEEPS5_jNS1_19radix_merge_compareILb0ELb1EtNS0_19identity_decomposerEEEEE10hipError_tT0_T1_T2_jT3_P12ihipStream_tbPNSt15iterator_traitsISK_E10value_typeEPNSQ_ISL_E10value_typeEPSM_NS1_7vsmem_tEENKUlT_SK_SL_SM_E_clISE_PtSF_SF_EESJ_SZ_SK_SL_SM_EUlSZ_E_NS1_11comp_targetILNS1_3genE5ELNS1_11target_archE942ELNS1_3gpuE9ELNS1_3repE0EEENS1_48merge_mergepath_partition_config_static_selectorELNS0_4arch9wavefront6targetE1EEEvSL_.kd
    .uniform_work_group_size: 1
    .uses_dynamic_stack: false
    .vgpr_count:     0
    .vgpr_spill_count: 0
    .wavefront_size: 64
  - .agpr_count:     0
    .args:
      - .offset:         0
        .size:           40
        .value_kind:     by_value
    .group_segment_fixed_size: 0
    .kernarg_segment_align: 8
    .kernarg_segment_size: 40
    .language:       OpenCL C
    .language_version:
      - 2
      - 0
    .max_flat_workgroup_size: 128
    .name:           _ZN7rocprim17ROCPRIM_400000_NS6detail17trampoline_kernelINS0_14default_configENS1_38merge_sort_block_merge_config_selectorItNS0_10empty_typeEEEZZNS1_27merge_sort_block_merge_implIS3_N6thrust23THRUST_200600_302600_NS6detail15normal_iteratorINS9_10device_ptrItEEEEPS5_jNS1_19radix_merge_compareILb0ELb1EtNS0_19identity_decomposerEEEEE10hipError_tT0_T1_T2_jT3_P12ihipStream_tbPNSt15iterator_traitsISK_E10value_typeEPNSQ_ISL_E10value_typeEPSM_NS1_7vsmem_tEENKUlT_SK_SL_SM_E_clISE_PtSF_SF_EESJ_SZ_SK_SL_SM_EUlSZ_E_NS1_11comp_targetILNS1_3genE4ELNS1_11target_archE910ELNS1_3gpuE8ELNS1_3repE0EEENS1_48merge_mergepath_partition_config_static_selectorELNS0_4arch9wavefront6targetE1EEEvSL_
    .private_segment_fixed_size: 0
    .sgpr_count:     14
    .sgpr_spill_count: 0
    .symbol:         _ZN7rocprim17ROCPRIM_400000_NS6detail17trampoline_kernelINS0_14default_configENS1_38merge_sort_block_merge_config_selectorItNS0_10empty_typeEEEZZNS1_27merge_sort_block_merge_implIS3_N6thrust23THRUST_200600_302600_NS6detail15normal_iteratorINS9_10device_ptrItEEEEPS5_jNS1_19radix_merge_compareILb0ELb1EtNS0_19identity_decomposerEEEEE10hipError_tT0_T1_T2_jT3_P12ihipStream_tbPNSt15iterator_traitsISK_E10value_typeEPNSQ_ISL_E10value_typeEPSM_NS1_7vsmem_tEENKUlT_SK_SL_SM_E_clISE_PtSF_SF_EESJ_SZ_SK_SL_SM_EUlSZ_E_NS1_11comp_targetILNS1_3genE4ELNS1_11target_archE910ELNS1_3gpuE8ELNS1_3repE0EEENS1_48merge_mergepath_partition_config_static_selectorELNS0_4arch9wavefront6targetE1EEEvSL_.kd
    .uniform_work_group_size: 1
    .uses_dynamic_stack: false
    .vgpr_count:     15
    .vgpr_spill_count: 0
    .wavefront_size: 64
  - .agpr_count:     0
    .args:
      - .offset:         0
        .size:           40
        .value_kind:     by_value
    .group_segment_fixed_size: 0
    .kernarg_segment_align: 8
    .kernarg_segment_size: 40
    .language:       OpenCL C
    .language_version:
      - 2
      - 0
    .max_flat_workgroup_size: 128
    .name:           _ZN7rocprim17ROCPRIM_400000_NS6detail17trampoline_kernelINS0_14default_configENS1_38merge_sort_block_merge_config_selectorItNS0_10empty_typeEEEZZNS1_27merge_sort_block_merge_implIS3_N6thrust23THRUST_200600_302600_NS6detail15normal_iteratorINS9_10device_ptrItEEEEPS5_jNS1_19radix_merge_compareILb0ELb1EtNS0_19identity_decomposerEEEEE10hipError_tT0_T1_T2_jT3_P12ihipStream_tbPNSt15iterator_traitsISK_E10value_typeEPNSQ_ISL_E10value_typeEPSM_NS1_7vsmem_tEENKUlT_SK_SL_SM_E_clISE_PtSF_SF_EESJ_SZ_SK_SL_SM_EUlSZ_E_NS1_11comp_targetILNS1_3genE3ELNS1_11target_archE908ELNS1_3gpuE7ELNS1_3repE0EEENS1_48merge_mergepath_partition_config_static_selectorELNS0_4arch9wavefront6targetE1EEEvSL_
    .private_segment_fixed_size: 0
    .sgpr_count:     4
    .sgpr_spill_count: 0
    .symbol:         _ZN7rocprim17ROCPRIM_400000_NS6detail17trampoline_kernelINS0_14default_configENS1_38merge_sort_block_merge_config_selectorItNS0_10empty_typeEEEZZNS1_27merge_sort_block_merge_implIS3_N6thrust23THRUST_200600_302600_NS6detail15normal_iteratorINS9_10device_ptrItEEEEPS5_jNS1_19radix_merge_compareILb0ELb1EtNS0_19identity_decomposerEEEEE10hipError_tT0_T1_T2_jT3_P12ihipStream_tbPNSt15iterator_traitsISK_E10value_typeEPNSQ_ISL_E10value_typeEPSM_NS1_7vsmem_tEENKUlT_SK_SL_SM_E_clISE_PtSF_SF_EESJ_SZ_SK_SL_SM_EUlSZ_E_NS1_11comp_targetILNS1_3genE3ELNS1_11target_archE908ELNS1_3gpuE7ELNS1_3repE0EEENS1_48merge_mergepath_partition_config_static_selectorELNS0_4arch9wavefront6targetE1EEEvSL_.kd
    .uniform_work_group_size: 1
    .uses_dynamic_stack: false
    .vgpr_count:     0
    .vgpr_spill_count: 0
    .wavefront_size: 64
  - .agpr_count:     0
    .args:
      - .offset:         0
        .size:           40
        .value_kind:     by_value
    .group_segment_fixed_size: 0
    .kernarg_segment_align: 8
    .kernarg_segment_size: 40
    .language:       OpenCL C
    .language_version:
      - 2
      - 0
    .max_flat_workgroup_size: 128
    .name:           _ZN7rocprim17ROCPRIM_400000_NS6detail17trampoline_kernelINS0_14default_configENS1_38merge_sort_block_merge_config_selectorItNS0_10empty_typeEEEZZNS1_27merge_sort_block_merge_implIS3_N6thrust23THRUST_200600_302600_NS6detail15normal_iteratorINS9_10device_ptrItEEEEPS5_jNS1_19radix_merge_compareILb0ELb1EtNS0_19identity_decomposerEEEEE10hipError_tT0_T1_T2_jT3_P12ihipStream_tbPNSt15iterator_traitsISK_E10value_typeEPNSQ_ISL_E10value_typeEPSM_NS1_7vsmem_tEENKUlT_SK_SL_SM_E_clISE_PtSF_SF_EESJ_SZ_SK_SL_SM_EUlSZ_E_NS1_11comp_targetILNS1_3genE2ELNS1_11target_archE906ELNS1_3gpuE6ELNS1_3repE0EEENS1_48merge_mergepath_partition_config_static_selectorELNS0_4arch9wavefront6targetE1EEEvSL_
    .private_segment_fixed_size: 0
    .sgpr_count:     4
    .sgpr_spill_count: 0
    .symbol:         _ZN7rocprim17ROCPRIM_400000_NS6detail17trampoline_kernelINS0_14default_configENS1_38merge_sort_block_merge_config_selectorItNS0_10empty_typeEEEZZNS1_27merge_sort_block_merge_implIS3_N6thrust23THRUST_200600_302600_NS6detail15normal_iteratorINS9_10device_ptrItEEEEPS5_jNS1_19radix_merge_compareILb0ELb1EtNS0_19identity_decomposerEEEEE10hipError_tT0_T1_T2_jT3_P12ihipStream_tbPNSt15iterator_traitsISK_E10value_typeEPNSQ_ISL_E10value_typeEPSM_NS1_7vsmem_tEENKUlT_SK_SL_SM_E_clISE_PtSF_SF_EESJ_SZ_SK_SL_SM_EUlSZ_E_NS1_11comp_targetILNS1_3genE2ELNS1_11target_archE906ELNS1_3gpuE6ELNS1_3repE0EEENS1_48merge_mergepath_partition_config_static_selectorELNS0_4arch9wavefront6targetE1EEEvSL_.kd
    .uniform_work_group_size: 1
    .uses_dynamic_stack: false
    .vgpr_count:     0
    .vgpr_spill_count: 0
    .wavefront_size: 64
  - .agpr_count:     0
    .args:
      - .offset:         0
        .size:           40
        .value_kind:     by_value
    .group_segment_fixed_size: 0
    .kernarg_segment_align: 8
    .kernarg_segment_size: 40
    .language:       OpenCL C
    .language_version:
      - 2
      - 0
    .max_flat_workgroup_size: 128
    .name:           _ZN7rocprim17ROCPRIM_400000_NS6detail17trampoline_kernelINS0_14default_configENS1_38merge_sort_block_merge_config_selectorItNS0_10empty_typeEEEZZNS1_27merge_sort_block_merge_implIS3_N6thrust23THRUST_200600_302600_NS6detail15normal_iteratorINS9_10device_ptrItEEEEPS5_jNS1_19radix_merge_compareILb0ELb1EtNS0_19identity_decomposerEEEEE10hipError_tT0_T1_T2_jT3_P12ihipStream_tbPNSt15iterator_traitsISK_E10value_typeEPNSQ_ISL_E10value_typeEPSM_NS1_7vsmem_tEENKUlT_SK_SL_SM_E_clISE_PtSF_SF_EESJ_SZ_SK_SL_SM_EUlSZ_E_NS1_11comp_targetILNS1_3genE9ELNS1_11target_archE1100ELNS1_3gpuE3ELNS1_3repE0EEENS1_48merge_mergepath_partition_config_static_selectorELNS0_4arch9wavefront6targetE1EEEvSL_
    .private_segment_fixed_size: 0
    .sgpr_count:     4
    .sgpr_spill_count: 0
    .symbol:         _ZN7rocprim17ROCPRIM_400000_NS6detail17trampoline_kernelINS0_14default_configENS1_38merge_sort_block_merge_config_selectorItNS0_10empty_typeEEEZZNS1_27merge_sort_block_merge_implIS3_N6thrust23THRUST_200600_302600_NS6detail15normal_iteratorINS9_10device_ptrItEEEEPS5_jNS1_19radix_merge_compareILb0ELb1EtNS0_19identity_decomposerEEEEE10hipError_tT0_T1_T2_jT3_P12ihipStream_tbPNSt15iterator_traitsISK_E10value_typeEPNSQ_ISL_E10value_typeEPSM_NS1_7vsmem_tEENKUlT_SK_SL_SM_E_clISE_PtSF_SF_EESJ_SZ_SK_SL_SM_EUlSZ_E_NS1_11comp_targetILNS1_3genE9ELNS1_11target_archE1100ELNS1_3gpuE3ELNS1_3repE0EEENS1_48merge_mergepath_partition_config_static_selectorELNS0_4arch9wavefront6targetE1EEEvSL_.kd
    .uniform_work_group_size: 1
    .uses_dynamic_stack: false
    .vgpr_count:     0
    .vgpr_spill_count: 0
    .wavefront_size: 64
  - .agpr_count:     0
    .args:
      - .offset:         0
        .size:           40
        .value_kind:     by_value
    .group_segment_fixed_size: 0
    .kernarg_segment_align: 8
    .kernarg_segment_size: 40
    .language:       OpenCL C
    .language_version:
      - 2
      - 0
    .max_flat_workgroup_size: 128
    .name:           _ZN7rocprim17ROCPRIM_400000_NS6detail17trampoline_kernelINS0_14default_configENS1_38merge_sort_block_merge_config_selectorItNS0_10empty_typeEEEZZNS1_27merge_sort_block_merge_implIS3_N6thrust23THRUST_200600_302600_NS6detail15normal_iteratorINS9_10device_ptrItEEEEPS5_jNS1_19radix_merge_compareILb0ELb1EtNS0_19identity_decomposerEEEEE10hipError_tT0_T1_T2_jT3_P12ihipStream_tbPNSt15iterator_traitsISK_E10value_typeEPNSQ_ISL_E10value_typeEPSM_NS1_7vsmem_tEENKUlT_SK_SL_SM_E_clISE_PtSF_SF_EESJ_SZ_SK_SL_SM_EUlSZ_E_NS1_11comp_targetILNS1_3genE8ELNS1_11target_archE1030ELNS1_3gpuE2ELNS1_3repE0EEENS1_48merge_mergepath_partition_config_static_selectorELNS0_4arch9wavefront6targetE1EEEvSL_
    .private_segment_fixed_size: 0
    .sgpr_count:     4
    .sgpr_spill_count: 0
    .symbol:         _ZN7rocprim17ROCPRIM_400000_NS6detail17trampoline_kernelINS0_14default_configENS1_38merge_sort_block_merge_config_selectorItNS0_10empty_typeEEEZZNS1_27merge_sort_block_merge_implIS3_N6thrust23THRUST_200600_302600_NS6detail15normal_iteratorINS9_10device_ptrItEEEEPS5_jNS1_19radix_merge_compareILb0ELb1EtNS0_19identity_decomposerEEEEE10hipError_tT0_T1_T2_jT3_P12ihipStream_tbPNSt15iterator_traitsISK_E10value_typeEPNSQ_ISL_E10value_typeEPSM_NS1_7vsmem_tEENKUlT_SK_SL_SM_E_clISE_PtSF_SF_EESJ_SZ_SK_SL_SM_EUlSZ_E_NS1_11comp_targetILNS1_3genE8ELNS1_11target_archE1030ELNS1_3gpuE2ELNS1_3repE0EEENS1_48merge_mergepath_partition_config_static_selectorELNS0_4arch9wavefront6targetE1EEEvSL_.kd
    .uniform_work_group_size: 1
    .uses_dynamic_stack: false
    .vgpr_count:     0
    .vgpr_spill_count: 0
    .wavefront_size: 64
  - .agpr_count:     0
    .args:
      - .offset:         0
        .size:           64
        .value_kind:     by_value
    .group_segment_fixed_size: 0
    .kernarg_segment_align: 8
    .kernarg_segment_size: 64
    .language:       OpenCL C
    .language_version:
      - 2
      - 0
    .max_flat_workgroup_size: 128
    .name:           _ZN7rocprim17ROCPRIM_400000_NS6detail17trampoline_kernelINS0_14default_configENS1_38merge_sort_block_merge_config_selectorItNS0_10empty_typeEEEZZNS1_27merge_sort_block_merge_implIS3_N6thrust23THRUST_200600_302600_NS6detail15normal_iteratorINS9_10device_ptrItEEEEPS5_jNS1_19radix_merge_compareILb0ELb1EtNS0_19identity_decomposerEEEEE10hipError_tT0_T1_T2_jT3_P12ihipStream_tbPNSt15iterator_traitsISK_E10value_typeEPNSQ_ISL_E10value_typeEPSM_NS1_7vsmem_tEENKUlT_SK_SL_SM_E_clISE_PtSF_SF_EESJ_SZ_SK_SL_SM_EUlSZ_E0_NS1_11comp_targetILNS1_3genE0ELNS1_11target_archE4294967295ELNS1_3gpuE0ELNS1_3repE0EEENS1_38merge_mergepath_config_static_selectorELNS0_4arch9wavefront6targetE1EEEvSL_
    .private_segment_fixed_size: 0
    .sgpr_count:     4
    .sgpr_spill_count: 0
    .symbol:         _ZN7rocprim17ROCPRIM_400000_NS6detail17trampoline_kernelINS0_14default_configENS1_38merge_sort_block_merge_config_selectorItNS0_10empty_typeEEEZZNS1_27merge_sort_block_merge_implIS3_N6thrust23THRUST_200600_302600_NS6detail15normal_iteratorINS9_10device_ptrItEEEEPS5_jNS1_19radix_merge_compareILb0ELb1EtNS0_19identity_decomposerEEEEE10hipError_tT0_T1_T2_jT3_P12ihipStream_tbPNSt15iterator_traitsISK_E10value_typeEPNSQ_ISL_E10value_typeEPSM_NS1_7vsmem_tEENKUlT_SK_SL_SM_E_clISE_PtSF_SF_EESJ_SZ_SK_SL_SM_EUlSZ_E0_NS1_11comp_targetILNS1_3genE0ELNS1_11target_archE4294967295ELNS1_3gpuE0ELNS1_3repE0EEENS1_38merge_mergepath_config_static_selectorELNS0_4arch9wavefront6targetE1EEEvSL_.kd
    .uniform_work_group_size: 1
    .uses_dynamic_stack: false
    .vgpr_count:     0
    .vgpr_spill_count: 0
    .wavefront_size: 64
  - .agpr_count:     0
    .args:
      - .offset:         0
        .size:           64
        .value_kind:     by_value
    .group_segment_fixed_size: 0
    .kernarg_segment_align: 8
    .kernarg_segment_size: 64
    .language:       OpenCL C
    .language_version:
      - 2
      - 0
    .max_flat_workgroup_size: 128
    .name:           _ZN7rocprim17ROCPRIM_400000_NS6detail17trampoline_kernelINS0_14default_configENS1_38merge_sort_block_merge_config_selectorItNS0_10empty_typeEEEZZNS1_27merge_sort_block_merge_implIS3_N6thrust23THRUST_200600_302600_NS6detail15normal_iteratorINS9_10device_ptrItEEEEPS5_jNS1_19radix_merge_compareILb0ELb1EtNS0_19identity_decomposerEEEEE10hipError_tT0_T1_T2_jT3_P12ihipStream_tbPNSt15iterator_traitsISK_E10value_typeEPNSQ_ISL_E10value_typeEPSM_NS1_7vsmem_tEENKUlT_SK_SL_SM_E_clISE_PtSF_SF_EESJ_SZ_SK_SL_SM_EUlSZ_E0_NS1_11comp_targetILNS1_3genE10ELNS1_11target_archE1201ELNS1_3gpuE5ELNS1_3repE0EEENS1_38merge_mergepath_config_static_selectorELNS0_4arch9wavefront6targetE1EEEvSL_
    .private_segment_fixed_size: 0
    .sgpr_count:     4
    .sgpr_spill_count: 0
    .symbol:         _ZN7rocprim17ROCPRIM_400000_NS6detail17trampoline_kernelINS0_14default_configENS1_38merge_sort_block_merge_config_selectorItNS0_10empty_typeEEEZZNS1_27merge_sort_block_merge_implIS3_N6thrust23THRUST_200600_302600_NS6detail15normal_iteratorINS9_10device_ptrItEEEEPS5_jNS1_19radix_merge_compareILb0ELb1EtNS0_19identity_decomposerEEEEE10hipError_tT0_T1_T2_jT3_P12ihipStream_tbPNSt15iterator_traitsISK_E10value_typeEPNSQ_ISL_E10value_typeEPSM_NS1_7vsmem_tEENKUlT_SK_SL_SM_E_clISE_PtSF_SF_EESJ_SZ_SK_SL_SM_EUlSZ_E0_NS1_11comp_targetILNS1_3genE10ELNS1_11target_archE1201ELNS1_3gpuE5ELNS1_3repE0EEENS1_38merge_mergepath_config_static_selectorELNS0_4arch9wavefront6targetE1EEEvSL_.kd
    .uniform_work_group_size: 1
    .uses_dynamic_stack: false
    .vgpr_count:     0
    .vgpr_spill_count: 0
    .wavefront_size: 64
  - .agpr_count:     0
    .args:
      - .offset:         0
        .size:           64
        .value_kind:     by_value
    .group_segment_fixed_size: 0
    .kernarg_segment_align: 8
    .kernarg_segment_size: 64
    .language:       OpenCL C
    .language_version:
      - 2
      - 0
    .max_flat_workgroup_size: 128
    .name:           _ZN7rocprim17ROCPRIM_400000_NS6detail17trampoline_kernelINS0_14default_configENS1_38merge_sort_block_merge_config_selectorItNS0_10empty_typeEEEZZNS1_27merge_sort_block_merge_implIS3_N6thrust23THRUST_200600_302600_NS6detail15normal_iteratorINS9_10device_ptrItEEEEPS5_jNS1_19radix_merge_compareILb0ELb1EtNS0_19identity_decomposerEEEEE10hipError_tT0_T1_T2_jT3_P12ihipStream_tbPNSt15iterator_traitsISK_E10value_typeEPNSQ_ISL_E10value_typeEPSM_NS1_7vsmem_tEENKUlT_SK_SL_SM_E_clISE_PtSF_SF_EESJ_SZ_SK_SL_SM_EUlSZ_E0_NS1_11comp_targetILNS1_3genE5ELNS1_11target_archE942ELNS1_3gpuE9ELNS1_3repE0EEENS1_38merge_mergepath_config_static_selectorELNS0_4arch9wavefront6targetE1EEEvSL_
    .private_segment_fixed_size: 0
    .sgpr_count:     4
    .sgpr_spill_count: 0
    .symbol:         _ZN7rocprim17ROCPRIM_400000_NS6detail17trampoline_kernelINS0_14default_configENS1_38merge_sort_block_merge_config_selectorItNS0_10empty_typeEEEZZNS1_27merge_sort_block_merge_implIS3_N6thrust23THRUST_200600_302600_NS6detail15normal_iteratorINS9_10device_ptrItEEEEPS5_jNS1_19radix_merge_compareILb0ELb1EtNS0_19identity_decomposerEEEEE10hipError_tT0_T1_T2_jT3_P12ihipStream_tbPNSt15iterator_traitsISK_E10value_typeEPNSQ_ISL_E10value_typeEPSM_NS1_7vsmem_tEENKUlT_SK_SL_SM_E_clISE_PtSF_SF_EESJ_SZ_SK_SL_SM_EUlSZ_E0_NS1_11comp_targetILNS1_3genE5ELNS1_11target_archE942ELNS1_3gpuE9ELNS1_3repE0EEENS1_38merge_mergepath_config_static_selectorELNS0_4arch9wavefront6targetE1EEEvSL_.kd
    .uniform_work_group_size: 1
    .uses_dynamic_stack: false
    .vgpr_count:     0
    .vgpr_spill_count: 0
    .wavefront_size: 64
  - .agpr_count:     0
    .args:
      - .offset:         0
        .size:           64
        .value_kind:     by_value
      - .offset:         64
        .size:           4
        .value_kind:     hidden_block_count_x
      - .offset:         68
        .size:           4
        .value_kind:     hidden_block_count_y
      - .offset:         72
        .size:           4
        .value_kind:     hidden_block_count_z
      - .offset:         76
        .size:           2
        .value_kind:     hidden_group_size_x
      - .offset:         78
        .size:           2
        .value_kind:     hidden_group_size_y
      - .offset:         80
        .size:           2
        .value_kind:     hidden_group_size_z
      - .offset:         82
        .size:           2
        .value_kind:     hidden_remainder_x
      - .offset:         84
        .size:           2
        .value_kind:     hidden_remainder_y
      - .offset:         86
        .size:           2
        .value_kind:     hidden_remainder_z
      - .offset:         104
        .size:           8
        .value_kind:     hidden_global_offset_x
      - .offset:         112
        .size:           8
        .value_kind:     hidden_global_offset_y
      - .offset:         120
        .size:           8
        .value_kind:     hidden_global_offset_z
      - .offset:         128
        .size:           2
        .value_kind:     hidden_grid_dims
    .group_segment_fixed_size: 2112
    .kernarg_segment_align: 8
    .kernarg_segment_size: 320
    .language:       OpenCL C
    .language_version:
      - 2
      - 0
    .max_flat_workgroup_size: 128
    .name:           _ZN7rocprim17ROCPRIM_400000_NS6detail17trampoline_kernelINS0_14default_configENS1_38merge_sort_block_merge_config_selectorItNS0_10empty_typeEEEZZNS1_27merge_sort_block_merge_implIS3_N6thrust23THRUST_200600_302600_NS6detail15normal_iteratorINS9_10device_ptrItEEEEPS5_jNS1_19radix_merge_compareILb0ELb1EtNS0_19identity_decomposerEEEEE10hipError_tT0_T1_T2_jT3_P12ihipStream_tbPNSt15iterator_traitsISK_E10value_typeEPNSQ_ISL_E10value_typeEPSM_NS1_7vsmem_tEENKUlT_SK_SL_SM_E_clISE_PtSF_SF_EESJ_SZ_SK_SL_SM_EUlSZ_E0_NS1_11comp_targetILNS1_3genE4ELNS1_11target_archE910ELNS1_3gpuE8ELNS1_3repE0EEENS1_38merge_mergepath_config_static_selectorELNS0_4arch9wavefront6targetE1EEEvSL_
    .private_segment_fixed_size: 0
    .sgpr_count:     28
    .sgpr_spill_count: 0
    .symbol:         _ZN7rocprim17ROCPRIM_400000_NS6detail17trampoline_kernelINS0_14default_configENS1_38merge_sort_block_merge_config_selectorItNS0_10empty_typeEEEZZNS1_27merge_sort_block_merge_implIS3_N6thrust23THRUST_200600_302600_NS6detail15normal_iteratorINS9_10device_ptrItEEEEPS5_jNS1_19radix_merge_compareILb0ELb1EtNS0_19identity_decomposerEEEEE10hipError_tT0_T1_T2_jT3_P12ihipStream_tbPNSt15iterator_traitsISK_E10value_typeEPNSQ_ISL_E10value_typeEPSM_NS1_7vsmem_tEENKUlT_SK_SL_SM_E_clISE_PtSF_SF_EESJ_SZ_SK_SL_SM_EUlSZ_E0_NS1_11comp_targetILNS1_3genE4ELNS1_11target_archE910ELNS1_3gpuE8ELNS1_3repE0EEENS1_38merge_mergepath_config_static_selectorELNS0_4arch9wavefront6targetE1EEEvSL_.kd
    .uniform_work_group_size: 1
    .uses_dynamic_stack: false
    .vgpr_count:     26
    .vgpr_spill_count: 0
    .wavefront_size: 64
  - .agpr_count:     0
    .args:
      - .offset:         0
        .size:           64
        .value_kind:     by_value
    .group_segment_fixed_size: 0
    .kernarg_segment_align: 8
    .kernarg_segment_size: 64
    .language:       OpenCL C
    .language_version:
      - 2
      - 0
    .max_flat_workgroup_size: 128
    .name:           _ZN7rocprim17ROCPRIM_400000_NS6detail17trampoline_kernelINS0_14default_configENS1_38merge_sort_block_merge_config_selectorItNS0_10empty_typeEEEZZNS1_27merge_sort_block_merge_implIS3_N6thrust23THRUST_200600_302600_NS6detail15normal_iteratorINS9_10device_ptrItEEEEPS5_jNS1_19radix_merge_compareILb0ELb1EtNS0_19identity_decomposerEEEEE10hipError_tT0_T1_T2_jT3_P12ihipStream_tbPNSt15iterator_traitsISK_E10value_typeEPNSQ_ISL_E10value_typeEPSM_NS1_7vsmem_tEENKUlT_SK_SL_SM_E_clISE_PtSF_SF_EESJ_SZ_SK_SL_SM_EUlSZ_E0_NS1_11comp_targetILNS1_3genE3ELNS1_11target_archE908ELNS1_3gpuE7ELNS1_3repE0EEENS1_38merge_mergepath_config_static_selectorELNS0_4arch9wavefront6targetE1EEEvSL_
    .private_segment_fixed_size: 0
    .sgpr_count:     4
    .sgpr_spill_count: 0
    .symbol:         _ZN7rocprim17ROCPRIM_400000_NS6detail17trampoline_kernelINS0_14default_configENS1_38merge_sort_block_merge_config_selectorItNS0_10empty_typeEEEZZNS1_27merge_sort_block_merge_implIS3_N6thrust23THRUST_200600_302600_NS6detail15normal_iteratorINS9_10device_ptrItEEEEPS5_jNS1_19radix_merge_compareILb0ELb1EtNS0_19identity_decomposerEEEEE10hipError_tT0_T1_T2_jT3_P12ihipStream_tbPNSt15iterator_traitsISK_E10value_typeEPNSQ_ISL_E10value_typeEPSM_NS1_7vsmem_tEENKUlT_SK_SL_SM_E_clISE_PtSF_SF_EESJ_SZ_SK_SL_SM_EUlSZ_E0_NS1_11comp_targetILNS1_3genE3ELNS1_11target_archE908ELNS1_3gpuE7ELNS1_3repE0EEENS1_38merge_mergepath_config_static_selectorELNS0_4arch9wavefront6targetE1EEEvSL_.kd
    .uniform_work_group_size: 1
    .uses_dynamic_stack: false
    .vgpr_count:     0
    .vgpr_spill_count: 0
    .wavefront_size: 64
  - .agpr_count:     0
    .args:
      - .offset:         0
        .size:           64
        .value_kind:     by_value
    .group_segment_fixed_size: 0
    .kernarg_segment_align: 8
    .kernarg_segment_size: 64
    .language:       OpenCL C
    .language_version:
      - 2
      - 0
    .max_flat_workgroup_size: 128
    .name:           _ZN7rocprim17ROCPRIM_400000_NS6detail17trampoline_kernelINS0_14default_configENS1_38merge_sort_block_merge_config_selectorItNS0_10empty_typeEEEZZNS1_27merge_sort_block_merge_implIS3_N6thrust23THRUST_200600_302600_NS6detail15normal_iteratorINS9_10device_ptrItEEEEPS5_jNS1_19radix_merge_compareILb0ELb1EtNS0_19identity_decomposerEEEEE10hipError_tT0_T1_T2_jT3_P12ihipStream_tbPNSt15iterator_traitsISK_E10value_typeEPNSQ_ISL_E10value_typeEPSM_NS1_7vsmem_tEENKUlT_SK_SL_SM_E_clISE_PtSF_SF_EESJ_SZ_SK_SL_SM_EUlSZ_E0_NS1_11comp_targetILNS1_3genE2ELNS1_11target_archE906ELNS1_3gpuE6ELNS1_3repE0EEENS1_38merge_mergepath_config_static_selectorELNS0_4arch9wavefront6targetE1EEEvSL_
    .private_segment_fixed_size: 0
    .sgpr_count:     4
    .sgpr_spill_count: 0
    .symbol:         _ZN7rocprim17ROCPRIM_400000_NS6detail17trampoline_kernelINS0_14default_configENS1_38merge_sort_block_merge_config_selectorItNS0_10empty_typeEEEZZNS1_27merge_sort_block_merge_implIS3_N6thrust23THRUST_200600_302600_NS6detail15normal_iteratorINS9_10device_ptrItEEEEPS5_jNS1_19radix_merge_compareILb0ELb1EtNS0_19identity_decomposerEEEEE10hipError_tT0_T1_T2_jT3_P12ihipStream_tbPNSt15iterator_traitsISK_E10value_typeEPNSQ_ISL_E10value_typeEPSM_NS1_7vsmem_tEENKUlT_SK_SL_SM_E_clISE_PtSF_SF_EESJ_SZ_SK_SL_SM_EUlSZ_E0_NS1_11comp_targetILNS1_3genE2ELNS1_11target_archE906ELNS1_3gpuE6ELNS1_3repE0EEENS1_38merge_mergepath_config_static_selectorELNS0_4arch9wavefront6targetE1EEEvSL_.kd
    .uniform_work_group_size: 1
    .uses_dynamic_stack: false
    .vgpr_count:     0
    .vgpr_spill_count: 0
    .wavefront_size: 64
  - .agpr_count:     0
    .args:
      - .offset:         0
        .size:           64
        .value_kind:     by_value
    .group_segment_fixed_size: 0
    .kernarg_segment_align: 8
    .kernarg_segment_size: 64
    .language:       OpenCL C
    .language_version:
      - 2
      - 0
    .max_flat_workgroup_size: 128
    .name:           _ZN7rocprim17ROCPRIM_400000_NS6detail17trampoline_kernelINS0_14default_configENS1_38merge_sort_block_merge_config_selectorItNS0_10empty_typeEEEZZNS1_27merge_sort_block_merge_implIS3_N6thrust23THRUST_200600_302600_NS6detail15normal_iteratorINS9_10device_ptrItEEEEPS5_jNS1_19radix_merge_compareILb0ELb1EtNS0_19identity_decomposerEEEEE10hipError_tT0_T1_T2_jT3_P12ihipStream_tbPNSt15iterator_traitsISK_E10value_typeEPNSQ_ISL_E10value_typeEPSM_NS1_7vsmem_tEENKUlT_SK_SL_SM_E_clISE_PtSF_SF_EESJ_SZ_SK_SL_SM_EUlSZ_E0_NS1_11comp_targetILNS1_3genE9ELNS1_11target_archE1100ELNS1_3gpuE3ELNS1_3repE0EEENS1_38merge_mergepath_config_static_selectorELNS0_4arch9wavefront6targetE1EEEvSL_
    .private_segment_fixed_size: 0
    .sgpr_count:     4
    .sgpr_spill_count: 0
    .symbol:         _ZN7rocprim17ROCPRIM_400000_NS6detail17trampoline_kernelINS0_14default_configENS1_38merge_sort_block_merge_config_selectorItNS0_10empty_typeEEEZZNS1_27merge_sort_block_merge_implIS3_N6thrust23THRUST_200600_302600_NS6detail15normal_iteratorINS9_10device_ptrItEEEEPS5_jNS1_19radix_merge_compareILb0ELb1EtNS0_19identity_decomposerEEEEE10hipError_tT0_T1_T2_jT3_P12ihipStream_tbPNSt15iterator_traitsISK_E10value_typeEPNSQ_ISL_E10value_typeEPSM_NS1_7vsmem_tEENKUlT_SK_SL_SM_E_clISE_PtSF_SF_EESJ_SZ_SK_SL_SM_EUlSZ_E0_NS1_11comp_targetILNS1_3genE9ELNS1_11target_archE1100ELNS1_3gpuE3ELNS1_3repE0EEENS1_38merge_mergepath_config_static_selectorELNS0_4arch9wavefront6targetE1EEEvSL_.kd
    .uniform_work_group_size: 1
    .uses_dynamic_stack: false
    .vgpr_count:     0
    .vgpr_spill_count: 0
    .wavefront_size: 64
  - .agpr_count:     0
    .args:
      - .offset:         0
        .size:           64
        .value_kind:     by_value
    .group_segment_fixed_size: 0
    .kernarg_segment_align: 8
    .kernarg_segment_size: 64
    .language:       OpenCL C
    .language_version:
      - 2
      - 0
    .max_flat_workgroup_size: 128
    .name:           _ZN7rocprim17ROCPRIM_400000_NS6detail17trampoline_kernelINS0_14default_configENS1_38merge_sort_block_merge_config_selectorItNS0_10empty_typeEEEZZNS1_27merge_sort_block_merge_implIS3_N6thrust23THRUST_200600_302600_NS6detail15normal_iteratorINS9_10device_ptrItEEEEPS5_jNS1_19radix_merge_compareILb0ELb1EtNS0_19identity_decomposerEEEEE10hipError_tT0_T1_T2_jT3_P12ihipStream_tbPNSt15iterator_traitsISK_E10value_typeEPNSQ_ISL_E10value_typeEPSM_NS1_7vsmem_tEENKUlT_SK_SL_SM_E_clISE_PtSF_SF_EESJ_SZ_SK_SL_SM_EUlSZ_E0_NS1_11comp_targetILNS1_3genE8ELNS1_11target_archE1030ELNS1_3gpuE2ELNS1_3repE0EEENS1_38merge_mergepath_config_static_selectorELNS0_4arch9wavefront6targetE1EEEvSL_
    .private_segment_fixed_size: 0
    .sgpr_count:     4
    .sgpr_spill_count: 0
    .symbol:         _ZN7rocprim17ROCPRIM_400000_NS6detail17trampoline_kernelINS0_14default_configENS1_38merge_sort_block_merge_config_selectorItNS0_10empty_typeEEEZZNS1_27merge_sort_block_merge_implIS3_N6thrust23THRUST_200600_302600_NS6detail15normal_iteratorINS9_10device_ptrItEEEEPS5_jNS1_19radix_merge_compareILb0ELb1EtNS0_19identity_decomposerEEEEE10hipError_tT0_T1_T2_jT3_P12ihipStream_tbPNSt15iterator_traitsISK_E10value_typeEPNSQ_ISL_E10value_typeEPSM_NS1_7vsmem_tEENKUlT_SK_SL_SM_E_clISE_PtSF_SF_EESJ_SZ_SK_SL_SM_EUlSZ_E0_NS1_11comp_targetILNS1_3genE8ELNS1_11target_archE1030ELNS1_3gpuE2ELNS1_3repE0EEENS1_38merge_mergepath_config_static_selectorELNS0_4arch9wavefront6targetE1EEEvSL_.kd
    .uniform_work_group_size: 1
    .uses_dynamic_stack: false
    .vgpr_count:     0
    .vgpr_spill_count: 0
    .wavefront_size: 64
  - .agpr_count:     0
    .args:
      - .offset:         0
        .size:           48
        .value_kind:     by_value
    .group_segment_fixed_size: 0
    .kernarg_segment_align: 8
    .kernarg_segment_size: 48
    .language:       OpenCL C
    .language_version:
      - 2
      - 0
    .max_flat_workgroup_size: 256
    .name:           _ZN7rocprim17ROCPRIM_400000_NS6detail17trampoline_kernelINS0_14default_configENS1_38merge_sort_block_merge_config_selectorItNS0_10empty_typeEEEZZNS1_27merge_sort_block_merge_implIS3_N6thrust23THRUST_200600_302600_NS6detail15normal_iteratorINS9_10device_ptrItEEEEPS5_jNS1_19radix_merge_compareILb0ELb1EtNS0_19identity_decomposerEEEEE10hipError_tT0_T1_T2_jT3_P12ihipStream_tbPNSt15iterator_traitsISK_E10value_typeEPNSQ_ISL_E10value_typeEPSM_NS1_7vsmem_tEENKUlT_SK_SL_SM_E_clISE_PtSF_SF_EESJ_SZ_SK_SL_SM_EUlSZ_E1_NS1_11comp_targetILNS1_3genE0ELNS1_11target_archE4294967295ELNS1_3gpuE0ELNS1_3repE0EEENS1_36merge_oddeven_config_static_selectorELNS0_4arch9wavefront6targetE1EEEvSL_
    .private_segment_fixed_size: 0
    .sgpr_count:     4
    .sgpr_spill_count: 0
    .symbol:         _ZN7rocprim17ROCPRIM_400000_NS6detail17trampoline_kernelINS0_14default_configENS1_38merge_sort_block_merge_config_selectorItNS0_10empty_typeEEEZZNS1_27merge_sort_block_merge_implIS3_N6thrust23THRUST_200600_302600_NS6detail15normal_iteratorINS9_10device_ptrItEEEEPS5_jNS1_19radix_merge_compareILb0ELb1EtNS0_19identity_decomposerEEEEE10hipError_tT0_T1_T2_jT3_P12ihipStream_tbPNSt15iterator_traitsISK_E10value_typeEPNSQ_ISL_E10value_typeEPSM_NS1_7vsmem_tEENKUlT_SK_SL_SM_E_clISE_PtSF_SF_EESJ_SZ_SK_SL_SM_EUlSZ_E1_NS1_11comp_targetILNS1_3genE0ELNS1_11target_archE4294967295ELNS1_3gpuE0ELNS1_3repE0EEENS1_36merge_oddeven_config_static_selectorELNS0_4arch9wavefront6targetE1EEEvSL_.kd
    .uniform_work_group_size: 1
    .uses_dynamic_stack: false
    .vgpr_count:     0
    .vgpr_spill_count: 0
    .wavefront_size: 64
  - .agpr_count:     0
    .args:
      - .offset:         0
        .size:           48
        .value_kind:     by_value
    .group_segment_fixed_size: 0
    .kernarg_segment_align: 8
    .kernarg_segment_size: 48
    .language:       OpenCL C
    .language_version:
      - 2
      - 0
    .max_flat_workgroup_size: 256
    .name:           _ZN7rocprim17ROCPRIM_400000_NS6detail17trampoline_kernelINS0_14default_configENS1_38merge_sort_block_merge_config_selectorItNS0_10empty_typeEEEZZNS1_27merge_sort_block_merge_implIS3_N6thrust23THRUST_200600_302600_NS6detail15normal_iteratorINS9_10device_ptrItEEEEPS5_jNS1_19radix_merge_compareILb0ELb1EtNS0_19identity_decomposerEEEEE10hipError_tT0_T1_T2_jT3_P12ihipStream_tbPNSt15iterator_traitsISK_E10value_typeEPNSQ_ISL_E10value_typeEPSM_NS1_7vsmem_tEENKUlT_SK_SL_SM_E_clISE_PtSF_SF_EESJ_SZ_SK_SL_SM_EUlSZ_E1_NS1_11comp_targetILNS1_3genE10ELNS1_11target_archE1201ELNS1_3gpuE5ELNS1_3repE0EEENS1_36merge_oddeven_config_static_selectorELNS0_4arch9wavefront6targetE1EEEvSL_
    .private_segment_fixed_size: 0
    .sgpr_count:     4
    .sgpr_spill_count: 0
    .symbol:         _ZN7rocprim17ROCPRIM_400000_NS6detail17trampoline_kernelINS0_14default_configENS1_38merge_sort_block_merge_config_selectorItNS0_10empty_typeEEEZZNS1_27merge_sort_block_merge_implIS3_N6thrust23THRUST_200600_302600_NS6detail15normal_iteratorINS9_10device_ptrItEEEEPS5_jNS1_19radix_merge_compareILb0ELb1EtNS0_19identity_decomposerEEEEE10hipError_tT0_T1_T2_jT3_P12ihipStream_tbPNSt15iterator_traitsISK_E10value_typeEPNSQ_ISL_E10value_typeEPSM_NS1_7vsmem_tEENKUlT_SK_SL_SM_E_clISE_PtSF_SF_EESJ_SZ_SK_SL_SM_EUlSZ_E1_NS1_11comp_targetILNS1_3genE10ELNS1_11target_archE1201ELNS1_3gpuE5ELNS1_3repE0EEENS1_36merge_oddeven_config_static_selectorELNS0_4arch9wavefront6targetE1EEEvSL_.kd
    .uniform_work_group_size: 1
    .uses_dynamic_stack: false
    .vgpr_count:     0
    .vgpr_spill_count: 0
    .wavefront_size: 64
  - .agpr_count:     0
    .args:
      - .offset:         0
        .size:           48
        .value_kind:     by_value
    .group_segment_fixed_size: 0
    .kernarg_segment_align: 8
    .kernarg_segment_size: 48
    .language:       OpenCL C
    .language_version:
      - 2
      - 0
    .max_flat_workgroup_size: 256
    .name:           _ZN7rocprim17ROCPRIM_400000_NS6detail17trampoline_kernelINS0_14default_configENS1_38merge_sort_block_merge_config_selectorItNS0_10empty_typeEEEZZNS1_27merge_sort_block_merge_implIS3_N6thrust23THRUST_200600_302600_NS6detail15normal_iteratorINS9_10device_ptrItEEEEPS5_jNS1_19radix_merge_compareILb0ELb1EtNS0_19identity_decomposerEEEEE10hipError_tT0_T1_T2_jT3_P12ihipStream_tbPNSt15iterator_traitsISK_E10value_typeEPNSQ_ISL_E10value_typeEPSM_NS1_7vsmem_tEENKUlT_SK_SL_SM_E_clISE_PtSF_SF_EESJ_SZ_SK_SL_SM_EUlSZ_E1_NS1_11comp_targetILNS1_3genE5ELNS1_11target_archE942ELNS1_3gpuE9ELNS1_3repE0EEENS1_36merge_oddeven_config_static_selectorELNS0_4arch9wavefront6targetE1EEEvSL_
    .private_segment_fixed_size: 0
    .sgpr_count:     4
    .sgpr_spill_count: 0
    .symbol:         _ZN7rocprim17ROCPRIM_400000_NS6detail17trampoline_kernelINS0_14default_configENS1_38merge_sort_block_merge_config_selectorItNS0_10empty_typeEEEZZNS1_27merge_sort_block_merge_implIS3_N6thrust23THRUST_200600_302600_NS6detail15normal_iteratorINS9_10device_ptrItEEEEPS5_jNS1_19radix_merge_compareILb0ELb1EtNS0_19identity_decomposerEEEEE10hipError_tT0_T1_T2_jT3_P12ihipStream_tbPNSt15iterator_traitsISK_E10value_typeEPNSQ_ISL_E10value_typeEPSM_NS1_7vsmem_tEENKUlT_SK_SL_SM_E_clISE_PtSF_SF_EESJ_SZ_SK_SL_SM_EUlSZ_E1_NS1_11comp_targetILNS1_3genE5ELNS1_11target_archE942ELNS1_3gpuE9ELNS1_3repE0EEENS1_36merge_oddeven_config_static_selectorELNS0_4arch9wavefront6targetE1EEEvSL_.kd
    .uniform_work_group_size: 1
    .uses_dynamic_stack: false
    .vgpr_count:     0
    .vgpr_spill_count: 0
    .wavefront_size: 64
  - .agpr_count:     0
    .args:
      - .offset:         0
        .size:           48
        .value_kind:     by_value
    .group_segment_fixed_size: 0
    .kernarg_segment_align: 8
    .kernarg_segment_size: 48
    .language:       OpenCL C
    .language_version:
      - 2
      - 0
    .max_flat_workgroup_size: 256
    .name:           _ZN7rocprim17ROCPRIM_400000_NS6detail17trampoline_kernelINS0_14default_configENS1_38merge_sort_block_merge_config_selectorItNS0_10empty_typeEEEZZNS1_27merge_sort_block_merge_implIS3_N6thrust23THRUST_200600_302600_NS6detail15normal_iteratorINS9_10device_ptrItEEEEPS5_jNS1_19radix_merge_compareILb0ELb1EtNS0_19identity_decomposerEEEEE10hipError_tT0_T1_T2_jT3_P12ihipStream_tbPNSt15iterator_traitsISK_E10value_typeEPNSQ_ISL_E10value_typeEPSM_NS1_7vsmem_tEENKUlT_SK_SL_SM_E_clISE_PtSF_SF_EESJ_SZ_SK_SL_SM_EUlSZ_E1_NS1_11comp_targetILNS1_3genE4ELNS1_11target_archE910ELNS1_3gpuE8ELNS1_3repE0EEENS1_36merge_oddeven_config_static_selectorELNS0_4arch9wavefront6targetE1EEEvSL_
    .private_segment_fixed_size: 0
    .sgpr_count:     25
    .sgpr_spill_count: 0
    .symbol:         _ZN7rocprim17ROCPRIM_400000_NS6detail17trampoline_kernelINS0_14default_configENS1_38merge_sort_block_merge_config_selectorItNS0_10empty_typeEEEZZNS1_27merge_sort_block_merge_implIS3_N6thrust23THRUST_200600_302600_NS6detail15normal_iteratorINS9_10device_ptrItEEEEPS5_jNS1_19radix_merge_compareILb0ELb1EtNS0_19identity_decomposerEEEEE10hipError_tT0_T1_T2_jT3_P12ihipStream_tbPNSt15iterator_traitsISK_E10value_typeEPNSQ_ISL_E10value_typeEPSM_NS1_7vsmem_tEENKUlT_SK_SL_SM_E_clISE_PtSF_SF_EESJ_SZ_SK_SL_SM_EUlSZ_E1_NS1_11comp_targetILNS1_3genE4ELNS1_11target_archE910ELNS1_3gpuE8ELNS1_3repE0EEENS1_36merge_oddeven_config_static_selectorELNS0_4arch9wavefront6targetE1EEEvSL_.kd
    .uniform_work_group_size: 1
    .uses_dynamic_stack: false
    .vgpr_count:     9
    .vgpr_spill_count: 0
    .wavefront_size: 64
  - .agpr_count:     0
    .args:
      - .offset:         0
        .size:           48
        .value_kind:     by_value
    .group_segment_fixed_size: 0
    .kernarg_segment_align: 8
    .kernarg_segment_size: 48
    .language:       OpenCL C
    .language_version:
      - 2
      - 0
    .max_flat_workgroup_size: 256
    .name:           _ZN7rocprim17ROCPRIM_400000_NS6detail17trampoline_kernelINS0_14default_configENS1_38merge_sort_block_merge_config_selectorItNS0_10empty_typeEEEZZNS1_27merge_sort_block_merge_implIS3_N6thrust23THRUST_200600_302600_NS6detail15normal_iteratorINS9_10device_ptrItEEEEPS5_jNS1_19radix_merge_compareILb0ELb1EtNS0_19identity_decomposerEEEEE10hipError_tT0_T1_T2_jT3_P12ihipStream_tbPNSt15iterator_traitsISK_E10value_typeEPNSQ_ISL_E10value_typeEPSM_NS1_7vsmem_tEENKUlT_SK_SL_SM_E_clISE_PtSF_SF_EESJ_SZ_SK_SL_SM_EUlSZ_E1_NS1_11comp_targetILNS1_3genE3ELNS1_11target_archE908ELNS1_3gpuE7ELNS1_3repE0EEENS1_36merge_oddeven_config_static_selectorELNS0_4arch9wavefront6targetE1EEEvSL_
    .private_segment_fixed_size: 0
    .sgpr_count:     4
    .sgpr_spill_count: 0
    .symbol:         _ZN7rocprim17ROCPRIM_400000_NS6detail17trampoline_kernelINS0_14default_configENS1_38merge_sort_block_merge_config_selectorItNS0_10empty_typeEEEZZNS1_27merge_sort_block_merge_implIS3_N6thrust23THRUST_200600_302600_NS6detail15normal_iteratorINS9_10device_ptrItEEEEPS5_jNS1_19radix_merge_compareILb0ELb1EtNS0_19identity_decomposerEEEEE10hipError_tT0_T1_T2_jT3_P12ihipStream_tbPNSt15iterator_traitsISK_E10value_typeEPNSQ_ISL_E10value_typeEPSM_NS1_7vsmem_tEENKUlT_SK_SL_SM_E_clISE_PtSF_SF_EESJ_SZ_SK_SL_SM_EUlSZ_E1_NS1_11comp_targetILNS1_3genE3ELNS1_11target_archE908ELNS1_3gpuE7ELNS1_3repE0EEENS1_36merge_oddeven_config_static_selectorELNS0_4arch9wavefront6targetE1EEEvSL_.kd
    .uniform_work_group_size: 1
    .uses_dynamic_stack: false
    .vgpr_count:     0
    .vgpr_spill_count: 0
    .wavefront_size: 64
  - .agpr_count:     0
    .args:
      - .offset:         0
        .size:           48
        .value_kind:     by_value
    .group_segment_fixed_size: 0
    .kernarg_segment_align: 8
    .kernarg_segment_size: 48
    .language:       OpenCL C
    .language_version:
      - 2
      - 0
    .max_flat_workgroup_size: 256
    .name:           _ZN7rocprim17ROCPRIM_400000_NS6detail17trampoline_kernelINS0_14default_configENS1_38merge_sort_block_merge_config_selectorItNS0_10empty_typeEEEZZNS1_27merge_sort_block_merge_implIS3_N6thrust23THRUST_200600_302600_NS6detail15normal_iteratorINS9_10device_ptrItEEEEPS5_jNS1_19radix_merge_compareILb0ELb1EtNS0_19identity_decomposerEEEEE10hipError_tT0_T1_T2_jT3_P12ihipStream_tbPNSt15iterator_traitsISK_E10value_typeEPNSQ_ISL_E10value_typeEPSM_NS1_7vsmem_tEENKUlT_SK_SL_SM_E_clISE_PtSF_SF_EESJ_SZ_SK_SL_SM_EUlSZ_E1_NS1_11comp_targetILNS1_3genE2ELNS1_11target_archE906ELNS1_3gpuE6ELNS1_3repE0EEENS1_36merge_oddeven_config_static_selectorELNS0_4arch9wavefront6targetE1EEEvSL_
    .private_segment_fixed_size: 0
    .sgpr_count:     4
    .sgpr_spill_count: 0
    .symbol:         _ZN7rocprim17ROCPRIM_400000_NS6detail17trampoline_kernelINS0_14default_configENS1_38merge_sort_block_merge_config_selectorItNS0_10empty_typeEEEZZNS1_27merge_sort_block_merge_implIS3_N6thrust23THRUST_200600_302600_NS6detail15normal_iteratorINS9_10device_ptrItEEEEPS5_jNS1_19radix_merge_compareILb0ELb1EtNS0_19identity_decomposerEEEEE10hipError_tT0_T1_T2_jT3_P12ihipStream_tbPNSt15iterator_traitsISK_E10value_typeEPNSQ_ISL_E10value_typeEPSM_NS1_7vsmem_tEENKUlT_SK_SL_SM_E_clISE_PtSF_SF_EESJ_SZ_SK_SL_SM_EUlSZ_E1_NS1_11comp_targetILNS1_3genE2ELNS1_11target_archE906ELNS1_3gpuE6ELNS1_3repE0EEENS1_36merge_oddeven_config_static_selectorELNS0_4arch9wavefront6targetE1EEEvSL_.kd
    .uniform_work_group_size: 1
    .uses_dynamic_stack: false
    .vgpr_count:     0
    .vgpr_spill_count: 0
    .wavefront_size: 64
  - .agpr_count:     0
    .args:
      - .offset:         0
        .size:           48
        .value_kind:     by_value
    .group_segment_fixed_size: 0
    .kernarg_segment_align: 8
    .kernarg_segment_size: 48
    .language:       OpenCL C
    .language_version:
      - 2
      - 0
    .max_flat_workgroup_size: 256
    .name:           _ZN7rocprim17ROCPRIM_400000_NS6detail17trampoline_kernelINS0_14default_configENS1_38merge_sort_block_merge_config_selectorItNS0_10empty_typeEEEZZNS1_27merge_sort_block_merge_implIS3_N6thrust23THRUST_200600_302600_NS6detail15normal_iteratorINS9_10device_ptrItEEEEPS5_jNS1_19radix_merge_compareILb0ELb1EtNS0_19identity_decomposerEEEEE10hipError_tT0_T1_T2_jT3_P12ihipStream_tbPNSt15iterator_traitsISK_E10value_typeEPNSQ_ISL_E10value_typeEPSM_NS1_7vsmem_tEENKUlT_SK_SL_SM_E_clISE_PtSF_SF_EESJ_SZ_SK_SL_SM_EUlSZ_E1_NS1_11comp_targetILNS1_3genE9ELNS1_11target_archE1100ELNS1_3gpuE3ELNS1_3repE0EEENS1_36merge_oddeven_config_static_selectorELNS0_4arch9wavefront6targetE1EEEvSL_
    .private_segment_fixed_size: 0
    .sgpr_count:     4
    .sgpr_spill_count: 0
    .symbol:         _ZN7rocprim17ROCPRIM_400000_NS6detail17trampoline_kernelINS0_14default_configENS1_38merge_sort_block_merge_config_selectorItNS0_10empty_typeEEEZZNS1_27merge_sort_block_merge_implIS3_N6thrust23THRUST_200600_302600_NS6detail15normal_iteratorINS9_10device_ptrItEEEEPS5_jNS1_19radix_merge_compareILb0ELb1EtNS0_19identity_decomposerEEEEE10hipError_tT0_T1_T2_jT3_P12ihipStream_tbPNSt15iterator_traitsISK_E10value_typeEPNSQ_ISL_E10value_typeEPSM_NS1_7vsmem_tEENKUlT_SK_SL_SM_E_clISE_PtSF_SF_EESJ_SZ_SK_SL_SM_EUlSZ_E1_NS1_11comp_targetILNS1_3genE9ELNS1_11target_archE1100ELNS1_3gpuE3ELNS1_3repE0EEENS1_36merge_oddeven_config_static_selectorELNS0_4arch9wavefront6targetE1EEEvSL_.kd
    .uniform_work_group_size: 1
    .uses_dynamic_stack: false
    .vgpr_count:     0
    .vgpr_spill_count: 0
    .wavefront_size: 64
  - .agpr_count:     0
    .args:
      - .offset:         0
        .size:           48
        .value_kind:     by_value
    .group_segment_fixed_size: 0
    .kernarg_segment_align: 8
    .kernarg_segment_size: 48
    .language:       OpenCL C
    .language_version:
      - 2
      - 0
    .max_flat_workgroup_size: 256
    .name:           _ZN7rocprim17ROCPRIM_400000_NS6detail17trampoline_kernelINS0_14default_configENS1_38merge_sort_block_merge_config_selectorItNS0_10empty_typeEEEZZNS1_27merge_sort_block_merge_implIS3_N6thrust23THRUST_200600_302600_NS6detail15normal_iteratorINS9_10device_ptrItEEEEPS5_jNS1_19radix_merge_compareILb0ELb1EtNS0_19identity_decomposerEEEEE10hipError_tT0_T1_T2_jT3_P12ihipStream_tbPNSt15iterator_traitsISK_E10value_typeEPNSQ_ISL_E10value_typeEPSM_NS1_7vsmem_tEENKUlT_SK_SL_SM_E_clISE_PtSF_SF_EESJ_SZ_SK_SL_SM_EUlSZ_E1_NS1_11comp_targetILNS1_3genE8ELNS1_11target_archE1030ELNS1_3gpuE2ELNS1_3repE0EEENS1_36merge_oddeven_config_static_selectorELNS0_4arch9wavefront6targetE1EEEvSL_
    .private_segment_fixed_size: 0
    .sgpr_count:     4
    .sgpr_spill_count: 0
    .symbol:         _ZN7rocprim17ROCPRIM_400000_NS6detail17trampoline_kernelINS0_14default_configENS1_38merge_sort_block_merge_config_selectorItNS0_10empty_typeEEEZZNS1_27merge_sort_block_merge_implIS3_N6thrust23THRUST_200600_302600_NS6detail15normal_iteratorINS9_10device_ptrItEEEEPS5_jNS1_19radix_merge_compareILb0ELb1EtNS0_19identity_decomposerEEEEE10hipError_tT0_T1_T2_jT3_P12ihipStream_tbPNSt15iterator_traitsISK_E10value_typeEPNSQ_ISL_E10value_typeEPSM_NS1_7vsmem_tEENKUlT_SK_SL_SM_E_clISE_PtSF_SF_EESJ_SZ_SK_SL_SM_EUlSZ_E1_NS1_11comp_targetILNS1_3genE8ELNS1_11target_archE1030ELNS1_3gpuE2ELNS1_3repE0EEENS1_36merge_oddeven_config_static_selectorELNS0_4arch9wavefront6targetE1EEEvSL_.kd
    .uniform_work_group_size: 1
    .uses_dynamic_stack: false
    .vgpr_count:     0
    .vgpr_spill_count: 0
    .wavefront_size: 64
  - .agpr_count:     0
    .args:
      - .offset:         0
        .size:           40
        .value_kind:     by_value
    .group_segment_fixed_size: 0
    .kernarg_segment_align: 8
    .kernarg_segment_size: 40
    .language:       OpenCL C
    .language_version:
      - 2
      - 0
    .max_flat_workgroup_size: 512
    .name:           _ZN7rocprim17ROCPRIM_400000_NS6detail17trampoline_kernelINS0_14default_configENS1_35radix_sort_onesweep_config_selectorItNS0_10empty_typeEEEZNS1_34radix_sort_onesweep_global_offsetsIS3_Lb0EN6thrust23THRUST_200600_302600_NS6detail15normal_iteratorINS9_10device_ptrItEEEEPS5_jNS0_19identity_decomposerEEE10hipError_tT1_T2_PT3_SK_jT4_jjP12ihipStream_tbEUlT_E_NS1_11comp_targetILNS1_3genE0ELNS1_11target_archE4294967295ELNS1_3gpuE0ELNS1_3repE0EEENS1_52radix_sort_onesweep_histogram_config_static_selectorELNS0_4arch9wavefront6targetE1EEEvSI_
    .private_segment_fixed_size: 0
    .sgpr_count:     4
    .sgpr_spill_count: 0
    .symbol:         _ZN7rocprim17ROCPRIM_400000_NS6detail17trampoline_kernelINS0_14default_configENS1_35radix_sort_onesweep_config_selectorItNS0_10empty_typeEEEZNS1_34radix_sort_onesweep_global_offsetsIS3_Lb0EN6thrust23THRUST_200600_302600_NS6detail15normal_iteratorINS9_10device_ptrItEEEEPS5_jNS0_19identity_decomposerEEE10hipError_tT1_T2_PT3_SK_jT4_jjP12ihipStream_tbEUlT_E_NS1_11comp_targetILNS1_3genE0ELNS1_11target_archE4294967295ELNS1_3gpuE0ELNS1_3repE0EEENS1_52radix_sort_onesweep_histogram_config_static_selectorELNS0_4arch9wavefront6targetE1EEEvSI_.kd
    .uniform_work_group_size: 1
    .uses_dynamic_stack: false
    .vgpr_count:     0
    .vgpr_spill_count: 0
    .wavefront_size: 64
  - .agpr_count:     0
    .args:
      - .offset:         0
        .size:           40
        .value_kind:     by_value
    .group_segment_fixed_size: 0
    .kernarg_segment_align: 8
    .kernarg_segment_size: 40
    .language:       OpenCL C
    .language_version:
      - 2
      - 0
    .max_flat_workgroup_size: 1024
    .name:           _ZN7rocprim17ROCPRIM_400000_NS6detail17trampoline_kernelINS0_14default_configENS1_35radix_sort_onesweep_config_selectorItNS0_10empty_typeEEEZNS1_34radix_sort_onesweep_global_offsetsIS3_Lb0EN6thrust23THRUST_200600_302600_NS6detail15normal_iteratorINS9_10device_ptrItEEEEPS5_jNS0_19identity_decomposerEEE10hipError_tT1_T2_PT3_SK_jT4_jjP12ihipStream_tbEUlT_E_NS1_11comp_targetILNS1_3genE6ELNS1_11target_archE950ELNS1_3gpuE13ELNS1_3repE0EEENS1_52radix_sort_onesweep_histogram_config_static_selectorELNS0_4arch9wavefront6targetE1EEEvSI_
    .private_segment_fixed_size: 0
    .sgpr_count:     4
    .sgpr_spill_count: 0
    .symbol:         _ZN7rocprim17ROCPRIM_400000_NS6detail17trampoline_kernelINS0_14default_configENS1_35radix_sort_onesweep_config_selectorItNS0_10empty_typeEEEZNS1_34radix_sort_onesweep_global_offsetsIS3_Lb0EN6thrust23THRUST_200600_302600_NS6detail15normal_iteratorINS9_10device_ptrItEEEEPS5_jNS0_19identity_decomposerEEE10hipError_tT1_T2_PT3_SK_jT4_jjP12ihipStream_tbEUlT_E_NS1_11comp_targetILNS1_3genE6ELNS1_11target_archE950ELNS1_3gpuE13ELNS1_3repE0EEENS1_52radix_sort_onesweep_histogram_config_static_selectorELNS0_4arch9wavefront6targetE1EEEvSI_.kd
    .uniform_work_group_size: 1
    .uses_dynamic_stack: false
    .vgpr_count:     0
    .vgpr_spill_count: 0
    .wavefront_size: 64
  - .agpr_count:     0
    .args:
      - .offset:         0
        .size:           40
        .value_kind:     by_value
    .group_segment_fixed_size: 0
    .kernarg_segment_align: 8
    .kernarg_segment_size: 40
    .language:       OpenCL C
    .language_version:
      - 2
      - 0
    .max_flat_workgroup_size: 1024
    .name:           _ZN7rocprim17ROCPRIM_400000_NS6detail17trampoline_kernelINS0_14default_configENS1_35radix_sort_onesweep_config_selectorItNS0_10empty_typeEEEZNS1_34radix_sort_onesweep_global_offsetsIS3_Lb0EN6thrust23THRUST_200600_302600_NS6detail15normal_iteratorINS9_10device_ptrItEEEEPS5_jNS0_19identity_decomposerEEE10hipError_tT1_T2_PT3_SK_jT4_jjP12ihipStream_tbEUlT_E_NS1_11comp_targetILNS1_3genE5ELNS1_11target_archE942ELNS1_3gpuE9ELNS1_3repE0EEENS1_52radix_sort_onesweep_histogram_config_static_selectorELNS0_4arch9wavefront6targetE1EEEvSI_
    .private_segment_fixed_size: 0
    .sgpr_count:     4
    .sgpr_spill_count: 0
    .symbol:         _ZN7rocprim17ROCPRIM_400000_NS6detail17trampoline_kernelINS0_14default_configENS1_35radix_sort_onesweep_config_selectorItNS0_10empty_typeEEEZNS1_34radix_sort_onesweep_global_offsetsIS3_Lb0EN6thrust23THRUST_200600_302600_NS6detail15normal_iteratorINS9_10device_ptrItEEEEPS5_jNS0_19identity_decomposerEEE10hipError_tT1_T2_PT3_SK_jT4_jjP12ihipStream_tbEUlT_E_NS1_11comp_targetILNS1_3genE5ELNS1_11target_archE942ELNS1_3gpuE9ELNS1_3repE0EEENS1_52radix_sort_onesweep_histogram_config_static_selectorELNS0_4arch9wavefront6targetE1EEEvSI_.kd
    .uniform_work_group_size: 1
    .uses_dynamic_stack: false
    .vgpr_count:     0
    .vgpr_spill_count: 0
    .wavefront_size: 64
  - .agpr_count:     0
    .args:
      - .offset:         0
        .size:           40
        .value_kind:     by_value
    .group_segment_fixed_size: 0
    .kernarg_segment_align: 8
    .kernarg_segment_size: 40
    .language:       OpenCL C
    .language_version:
      - 2
      - 0
    .max_flat_workgroup_size: 512
    .name:           _ZN7rocprim17ROCPRIM_400000_NS6detail17trampoline_kernelINS0_14default_configENS1_35radix_sort_onesweep_config_selectorItNS0_10empty_typeEEEZNS1_34radix_sort_onesweep_global_offsetsIS3_Lb0EN6thrust23THRUST_200600_302600_NS6detail15normal_iteratorINS9_10device_ptrItEEEEPS5_jNS0_19identity_decomposerEEE10hipError_tT1_T2_PT3_SK_jT4_jjP12ihipStream_tbEUlT_E_NS1_11comp_targetILNS1_3genE2ELNS1_11target_archE906ELNS1_3gpuE6ELNS1_3repE0EEENS1_52radix_sort_onesweep_histogram_config_static_selectorELNS0_4arch9wavefront6targetE1EEEvSI_
    .private_segment_fixed_size: 0
    .sgpr_count:     4
    .sgpr_spill_count: 0
    .symbol:         _ZN7rocprim17ROCPRIM_400000_NS6detail17trampoline_kernelINS0_14default_configENS1_35radix_sort_onesweep_config_selectorItNS0_10empty_typeEEEZNS1_34radix_sort_onesweep_global_offsetsIS3_Lb0EN6thrust23THRUST_200600_302600_NS6detail15normal_iteratorINS9_10device_ptrItEEEEPS5_jNS0_19identity_decomposerEEE10hipError_tT1_T2_PT3_SK_jT4_jjP12ihipStream_tbEUlT_E_NS1_11comp_targetILNS1_3genE2ELNS1_11target_archE906ELNS1_3gpuE6ELNS1_3repE0EEENS1_52radix_sort_onesweep_histogram_config_static_selectorELNS0_4arch9wavefront6targetE1EEEvSI_.kd
    .uniform_work_group_size: 1
    .uses_dynamic_stack: false
    .vgpr_count:     0
    .vgpr_spill_count: 0
    .wavefront_size: 64
  - .agpr_count:     0
    .args:
      - .offset:         0
        .size:           40
        .value_kind:     by_value
    .group_segment_fixed_size: 8192
    .kernarg_segment_align: 8
    .kernarg_segment_size: 40
    .language:       OpenCL C
    .language_version:
      - 2
      - 0
    .max_flat_workgroup_size: 1024
    .name:           _ZN7rocprim17ROCPRIM_400000_NS6detail17trampoline_kernelINS0_14default_configENS1_35radix_sort_onesweep_config_selectorItNS0_10empty_typeEEEZNS1_34radix_sort_onesweep_global_offsetsIS3_Lb0EN6thrust23THRUST_200600_302600_NS6detail15normal_iteratorINS9_10device_ptrItEEEEPS5_jNS0_19identity_decomposerEEE10hipError_tT1_T2_PT3_SK_jT4_jjP12ihipStream_tbEUlT_E_NS1_11comp_targetILNS1_3genE4ELNS1_11target_archE910ELNS1_3gpuE8ELNS1_3repE0EEENS1_52radix_sort_onesweep_histogram_config_static_selectorELNS0_4arch9wavefront6targetE1EEEvSI_
    .private_segment_fixed_size: 0
    .sgpr_count:     24
    .sgpr_spill_count: 0
    .symbol:         _ZN7rocprim17ROCPRIM_400000_NS6detail17trampoline_kernelINS0_14default_configENS1_35radix_sort_onesweep_config_selectorItNS0_10empty_typeEEEZNS1_34radix_sort_onesweep_global_offsetsIS3_Lb0EN6thrust23THRUST_200600_302600_NS6detail15normal_iteratorINS9_10device_ptrItEEEEPS5_jNS0_19identity_decomposerEEE10hipError_tT1_T2_PT3_SK_jT4_jjP12ihipStream_tbEUlT_E_NS1_11comp_targetILNS1_3genE4ELNS1_11target_archE910ELNS1_3gpuE8ELNS1_3repE0EEENS1_52radix_sort_onesweep_histogram_config_static_selectorELNS0_4arch9wavefront6targetE1EEEvSI_.kd
    .uniform_work_group_size: 1
    .uses_dynamic_stack: false
    .vgpr_count:     27
    .vgpr_spill_count: 0
    .wavefront_size: 64
  - .agpr_count:     0
    .args:
      - .offset:         0
        .size:           40
        .value_kind:     by_value
    .group_segment_fixed_size: 0
    .kernarg_segment_align: 8
    .kernarg_segment_size: 40
    .language:       OpenCL C
    .language_version:
      - 2
      - 0
    .max_flat_workgroup_size: 512
    .name:           _ZN7rocprim17ROCPRIM_400000_NS6detail17trampoline_kernelINS0_14default_configENS1_35radix_sort_onesweep_config_selectorItNS0_10empty_typeEEEZNS1_34radix_sort_onesweep_global_offsetsIS3_Lb0EN6thrust23THRUST_200600_302600_NS6detail15normal_iteratorINS9_10device_ptrItEEEEPS5_jNS0_19identity_decomposerEEE10hipError_tT1_T2_PT3_SK_jT4_jjP12ihipStream_tbEUlT_E_NS1_11comp_targetILNS1_3genE3ELNS1_11target_archE908ELNS1_3gpuE7ELNS1_3repE0EEENS1_52radix_sort_onesweep_histogram_config_static_selectorELNS0_4arch9wavefront6targetE1EEEvSI_
    .private_segment_fixed_size: 0
    .sgpr_count:     4
    .sgpr_spill_count: 0
    .symbol:         _ZN7rocprim17ROCPRIM_400000_NS6detail17trampoline_kernelINS0_14default_configENS1_35radix_sort_onesweep_config_selectorItNS0_10empty_typeEEEZNS1_34radix_sort_onesweep_global_offsetsIS3_Lb0EN6thrust23THRUST_200600_302600_NS6detail15normal_iteratorINS9_10device_ptrItEEEEPS5_jNS0_19identity_decomposerEEE10hipError_tT1_T2_PT3_SK_jT4_jjP12ihipStream_tbEUlT_E_NS1_11comp_targetILNS1_3genE3ELNS1_11target_archE908ELNS1_3gpuE7ELNS1_3repE0EEENS1_52radix_sort_onesweep_histogram_config_static_selectorELNS0_4arch9wavefront6targetE1EEEvSI_.kd
    .uniform_work_group_size: 1
    .uses_dynamic_stack: false
    .vgpr_count:     0
    .vgpr_spill_count: 0
    .wavefront_size: 64
  - .agpr_count:     0
    .args:
      - .offset:         0
        .size:           40
        .value_kind:     by_value
    .group_segment_fixed_size: 0
    .kernarg_segment_align: 8
    .kernarg_segment_size: 40
    .language:       OpenCL C
    .language_version:
      - 2
      - 0
    .max_flat_workgroup_size: 256
    .name:           _ZN7rocprim17ROCPRIM_400000_NS6detail17trampoline_kernelINS0_14default_configENS1_35radix_sort_onesweep_config_selectorItNS0_10empty_typeEEEZNS1_34radix_sort_onesweep_global_offsetsIS3_Lb0EN6thrust23THRUST_200600_302600_NS6detail15normal_iteratorINS9_10device_ptrItEEEEPS5_jNS0_19identity_decomposerEEE10hipError_tT1_T2_PT3_SK_jT4_jjP12ihipStream_tbEUlT_E_NS1_11comp_targetILNS1_3genE10ELNS1_11target_archE1201ELNS1_3gpuE5ELNS1_3repE0EEENS1_52radix_sort_onesweep_histogram_config_static_selectorELNS0_4arch9wavefront6targetE1EEEvSI_
    .private_segment_fixed_size: 0
    .sgpr_count:     4
    .sgpr_spill_count: 0
    .symbol:         _ZN7rocprim17ROCPRIM_400000_NS6detail17trampoline_kernelINS0_14default_configENS1_35radix_sort_onesweep_config_selectorItNS0_10empty_typeEEEZNS1_34radix_sort_onesweep_global_offsetsIS3_Lb0EN6thrust23THRUST_200600_302600_NS6detail15normal_iteratorINS9_10device_ptrItEEEEPS5_jNS0_19identity_decomposerEEE10hipError_tT1_T2_PT3_SK_jT4_jjP12ihipStream_tbEUlT_E_NS1_11comp_targetILNS1_3genE10ELNS1_11target_archE1201ELNS1_3gpuE5ELNS1_3repE0EEENS1_52radix_sort_onesweep_histogram_config_static_selectorELNS0_4arch9wavefront6targetE1EEEvSI_.kd
    .uniform_work_group_size: 1
    .uses_dynamic_stack: false
    .vgpr_count:     0
    .vgpr_spill_count: 0
    .wavefront_size: 64
  - .agpr_count:     0
    .args:
      - .offset:         0
        .size:           40
        .value_kind:     by_value
    .group_segment_fixed_size: 0
    .kernarg_segment_align: 8
    .kernarg_segment_size: 40
    .language:       OpenCL C
    .language_version:
      - 2
      - 0
    .max_flat_workgroup_size: 256
    .name:           _ZN7rocprim17ROCPRIM_400000_NS6detail17trampoline_kernelINS0_14default_configENS1_35radix_sort_onesweep_config_selectorItNS0_10empty_typeEEEZNS1_34radix_sort_onesweep_global_offsetsIS3_Lb0EN6thrust23THRUST_200600_302600_NS6detail15normal_iteratorINS9_10device_ptrItEEEEPS5_jNS0_19identity_decomposerEEE10hipError_tT1_T2_PT3_SK_jT4_jjP12ihipStream_tbEUlT_E_NS1_11comp_targetILNS1_3genE9ELNS1_11target_archE1100ELNS1_3gpuE3ELNS1_3repE0EEENS1_52radix_sort_onesweep_histogram_config_static_selectorELNS0_4arch9wavefront6targetE1EEEvSI_
    .private_segment_fixed_size: 0
    .sgpr_count:     4
    .sgpr_spill_count: 0
    .symbol:         _ZN7rocprim17ROCPRIM_400000_NS6detail17trampoline_kernelINS0_14default_configENS1_35radix_sort_onesweep_config_selectorItNS0_10empty_typeEEEZNS1_34radix_sort_onesweep_global_offsetsIS3_Lb0EN6thrust23THRUST_200600_302600_NS6detail15normal_iteratorINS9_10device_ptrItEEEEPS5_jNS0_19identity_decomposerEEE10hipError_tT1_T2_PT3_SK_jT4_jjP12ihipStream_tbEUlT_E_NS1_11comp_targetILNS1_3genE9ELNS1_11target_archE1100ELNS1_3gpuE3ELNS1_3repE0EEENS1_52radix_sort_onesweep_histogram_config_static_selectorELNS0_4arch9wavefront6targetE1EEEvSI_.kd
    .uniform_work_group_size: 1
    .uses_dynamic_stack: false
    .vgpr_count:     0
    .vgpr_spill_count: 0
    .wavefront_size: 64
  - .agpr_count:     0
    .args:
      - .offset:         0
        .size:           40
        .value_kind:     by_value
    .group_segment_fixed_size: 0
    .kernarg_segment_align: 8
    .kernarg_segment_size: 40
    .language:       OpenCL C
    .language_version:
      - 2
      - 0
    .max_flat_workgroup_size: 256
    .name:           _ZN7rocprim17ROCPRIM_400000_NS6detail17trampoline_kernelINS0_14default_configENS1_35radix_sort_onesweep_config_selectorItNS0_10empty_typeEEEZNS1_34radix_sort_onesweep_global_offsetsIS3_Lb0EN6thrust23THRUST_200600_302600_NS6detail15normal_iteratorINS9_10device_ptrItEEEEPS5_jNS0_19identity_decomposerEEE10hipError_tT1_T2_PT3_SK_jT4_jjP12ihipStream_tbEUlT_E_NS1_11comp_targetILNS1_3genE8ELNS1_11target_archE1030ELNS1_3gpuE2ELNS1_3repE0EEENS1_52radix_sort_onesweep_histogram_config_static_selectorELNS0_4arch9wavefront6targetE1EEEvSI_
    .private_segment_fixed_size: 0
    .sgpr_count:     4
    .sgpr_spill_count: 0
    .symbol:         _ZN7rocprim17ROCPRIM_400000_NS6detail17trampoline_kernelINS0_14default_configENS1_35radix_sort_onesweep_config_selectorItNS0_10empty_typeEEEZNS1_34radix_sort_onesweep_global_offsetsIS3_Lb0EN6thrust23THRUST_200600_302600_NS6detail15normal_iteratorINS9_10device_ptrItEEEEPS5_jNS0_19identity_decomposerEEE10hipError_tT1_T2_PT3_SK_jT4_jjP12ihipStream_tbEUlT_E_NS1_11comp_targetILNS1_3genE8ELNS1_11target_archE1030ELNS1_3gpuE2ELNS1_3repE0EEENS1_52radix_sort_onesweep_histogram_config_static_selectorELNS0_4arch9wavefront6targetE1EEEvSI_.kd
    .uniform_work_group_size: 1
    .uses_dynamic_stack: false
    .vgpr_count:     0
    .vgpr_spill_count: 0
    .wavefront_size: 64
  - .agpr_count:     0
    .args:
      - .address_space:  global
        .offset:         0
        .size:           8
        .value_kind:     global_buffer
    .group_segment_fixed_size: 0
    .kernarg_segment_align: 8
    .kernarg_segment_size: 8
    .language:       OpenCL C
    .language_version:
      - 2
      - 0
    .max_flat_workgroup_size: 512
    .name:           _ZN7rocprim17ROCPRIM_400000_NS6detail17trampoline_kernelINS0_14default_configENS1_35radix_sort_onesweep_config_selectorItNS0_10empty_typeEEEZNS1_34radix_sort_onesweep_global_offsetsIS3_Lb0EN6thrust23THRUST_200600_302600_NS6detail15normal_iteratorINS9_10device_ptrItEEEEPS5_jNS0_19identity_decomposerEEE10hipError_tT1_T2_PT3_SK_jT4_jjP12ihipStream_tbEUlT_E0_NS1_11comp_targetILNS1_3genE0ELNS1_11target_archE4294967295ELNS1_3gpuE0ELNS1_3repE0EEENS1_52radix_sort_onesweep_histogram_config_static_selectorELNS0_4arch9wavefront6targetE1EEEvSI_
    .private_segment_fixed_size: 0
    .sgpr_count:     4
    .sgpr_spill_count: 0
    .symbol:         _ZN7rocprim17ROCPRIM_400000_NS6detail17trampoline_kernelINS0_14default_configENS1_35radix_sort_onesweep_config_selectorItNS0_10empty_typeEEEZNS1_34radix_sort_onesweep_global_offsetsIS3_Lb0EN6thrust23THRUST_200600_302600_NS6detail15normal_iteratorINS9_10device_ptrItEEEEPS5_jNS0_19identity_decomposerEEE10hipError_tT1_T2_PT3_SK_jT4_jjP12ihipStream_tbEUlT_E0_NS1_11comp_targetILNS1_3genE0ELNS1_11target_archE4294967295ELNS1_3gpuE0ELNS1_3repE0EEENS1_52radix_sort_onesweep_histogram_config_static_selectorELNS0_4arch9wavefront6targetE1EEEvSI_.kd
    .uniform_work_group_size: 1
    .uses_dynamic_stack: false
    .vgpr_count:     0
    .vgpr_spill_count: 0
    .wavefront_size: 64
  - .agpr_count:     0
    .args:
      - .address_space:  global
        .offset:         0
        .size:           8
        .value_kind:     global_buffer
    .group_segment_fixed_size: 0
    .kernarg_segment_align: 8
    .kernarg_segment_size: 8
    .language:       OpenCL C
    .language_version:
      - 2
      - 0
    .max_flat_workgroup_size: 1024
    .name:           _ZN7rocprim17ROCPRIM_400000_NS6detail17trampoline_kernelINS0_14default_configENS1_35radix_sort_onesweep_config_selectorItNS0_10empty_typeEEEZNS1_34radix_sort_onesweep_global_offsetsIS3_Lb0EN6thrust23THRUST_200600_302600_NS6detail15normal_iteratorINS9_10device_ptrItEEEEPS5_jNS0_19identity_decomposerEEE10hipError_tT1_T2_PT3_SK_jT4_jjP12ihipStream_tbEUlT_E0_NS1_11comp_targetILNS1_3genE6ELNS1_11target_archE950ELNS1_3gpuE13ELNS1_3repE0EEENS1_52radix_sort_onesweep_histogram_config_static_selectorELNS0_4arch9wavefront6targetE1EEEvSI_
    .private_segment_fixed_size: 0
    .sgpr_count:     4
    .sgpr_spill_count: 0
    .symbol:         _ZN7rocprim17ROCPRIM_400000_NS6detail17trampoline_kernelINS0_14default_configENS1_35radix_sort_onesweep_config_selectorItNS0_10empty_typeEEEZNS1_34radix_sort_onesweep_global_offsetsIS3_Lb0EN6thrust23THRUST_200600_302600_NS6detail15normal_iteratorINS9_10device_ptrItEEEEPS5_jNS0_19identity_decomposerEEE10hipError_tT1_T2_PT3_SK_jT4_jjP12ihipStream_tbEUlT_E0_NS1_11comp_targetILNS1_3genE6ELNS1_11target_archE950ELNS1_3gpuE13ELNS1_3repE0EEENS1_52radix_sort_onesweep_histogram_config_static_selectorELNS0_4arch9wavefront6targetE1EEEvSI_.kd
    .uniform_work_group_size: 1
    .uses_dynamic_stack: false
    .vgpr_count:     0
    .vgpr_spill_count: 0
    .wavefront_size: 64
  - .agpr_count:     0
    .args:
      - .address_space:  global
        .offset:         0
        .size:           8
        .value_kind:     global_buffer
    .group_segment_fixed_size: 0
    .kernarg_segment_align: 8
    .kernarg_segment_size: 8
    .language:       OpenCL C
    .language_version:
      - 2
      - 0
    .max_flat_workgroup_size: 1024
    .name:           _ZN7rocprim17ROCPRIM_400000_NS6detail17trampoline_kernelINS0_14default_configENS1_35radix_sort_onesweep_config_selectorItNS0_10empty_typeEEEZNS1_34radix_sort_onesweep_global_offsetsIS3_Lb0EN6thrust23THRUST_200600_302600_NS6detail15normal_iteratorINS9_10device_ptrItEEEEPS5_jNS0_19identity_decomposerEEE10hipError_tT1_T2_PT3_SK_jT4_jjP12ihipStream_tbEUlT_E0_NS1_11comp_targetILNS1_3genE5ELNS1_11target_archE942ELNS1_3gpuE9ELNS1_3repE0EEENS1_52radix_sort_onesweep_histogram_config_static_selectorELNS0_4arch9wavefront6targetE1EEEvSI_
    .private_segment_fixed_size: 0
    .sgpr_count:     4
    .sgpr_spill_count: 0
    .symbol:         _ZN7rocprim17ROCPRIM_400000_NS6detail17trampoline_kernelINS0_14default_configENS1_35radix_sort_onesweep_config_selectorItNS0_10empty_typeEEEZNS1_34radix_sort_onesweep_global_offsetsIS3_Lb0EN6thrust23THRUST_200600_302600_NS6detail15normal_iteratorINS9_10device_ptrItEEEEPS5_jNS0_19identity_decomposerEEE10hipError_tT1_T2_PT3_SK_jT4_jjP12ihipStream_tbEUlT_E0_NS1_11comp_targetILNS1_3genE5ELNS1_11target_archE942ELNS1_3gpuE9ELNS1_3repE0EEENS1_52radix_sort_onesweep_histogram_config_static_selectorELNS0_4arch9wavefront6targetE1EEEvSI_.kd
    .uniform_work_group_size: 1
    .uses_dynamic_stack: false
    .vgpr_count:     0
    .vgpr_spill_count: 0
    .wavefront_size: 64
  - .agpr_count:     0
    .args:
      - .address_space:  global
        .offset:         0
        .size:           8
        .value_kind:     global_buffer
    .group_segment_fixed_size: 0
    .kernarg_segment_align: 8
    .kernarg_segment_size: 8
    .language:       OpenCL C
    .language_version:
      - 2
      - 0
    .max_flat_workgroup_size: 512
    .name:           _ZN7rocprim17ROCPRIM_400000_NS6detail17trampoline_kernelINS0_14default_configENS1_35radix_sort_onesweep_config_selectorItNS0_10empty_typeEEEZNS1_34radix_sort_onesweep_global_offsetsIS3_Lb0EN6thrust23THRUST_200600_302600_NS6detail15normal_iteratorINS9_10device_ptrItEEEEPS5_jNS0_19identity_decomposerEEE10hipError_tT1_T2_PT3_SK_jT4_jjP12ihipStream_tbEUlT_E0_NS1_11comp_targetILNS1_3genE2ELNS1_11target_archE906ELNS1_3gpuE6ELNS1_3repE0EEENS1_52radix_sort_onesweep_histogram_config_static_selectorELNS0_4arch9wavefront6targetE1EEEvSI_
    .private_segment_fixed_size: 0
    .sgpr_count:     4
    .sgpr_spill_count: 0
    .symbol:         _ZN7rocprim17ROCPRIM_400000_NS6detail17trampoline_kernelINS0_14default_configENS1_35radix_sort_onesweep_config_selectorItNS0_10empty_typeEEEZNS1_34radix_sort_onesweep_global_offsetsIS3_Lb0EN6thrust23THRUST_200600_302600_NS6detail15normal_iteratorINS9_10device_ptrItEEEEPS5_jNS0_19identity_decomposerEEE10hipError_tT1_T2_PT3_SK_jT4_jjP12ihipStream_tbEUlT_E0_NS1_11comp_targetILNS1_3genE2ELNS1_11target_archE906ELNS1_3gpuE6ELNS1_3repE0EEENS1_52radix_sort_onesweep_histogram_config_static_selectorELNS0_4arch9wavefront6targetE1EEEvSI_.kd
    .uniform_work_group_size: 1
    .uses_dynamic_stack: false
    .vgpr_count:     0
    .vgpr_spill_count: 0
    .wavefront_size: 64
  - .agpr_count:     0
    .args:
      - .address_space:  global
        .offset:         0
        .size:           8
        .value_kind:     global_buffer
    .group_segment_fixed_size: 64
    .kernarg_segment_align: 8
    .kernarg_segment_size: 8
    .language:       OpenCL C
    .language_version:
      - 2
      - 0
    .max_flat_workgroup_size: 1024
    .name:           _ZN7rocprim17ROCPRIM_400000_NS6detail17trampoline_kernelINS0_14default_configENS1_35radix_sort_onesweep_config_selectorItNS0_10empty_typeEEEZNS1_34radix_sort_onesweep_global_offsetsIS3_Lb0EN6thrust23THRUST_200600_302600_NS6detail15normal_iteratorINS9_10device_ptrItEEEEPS5_jNS0_19identity_decomposerEEE10hipError_tT1_T2_PT3_SK_jT4_jjP12ihipStream_tbEUlT_E0_NS1_11comp_targetILNS1_3genE4ELNS1_11target_archE910ELNS1_3gpuE8ELNS1_3repE0EEENS1_52radix_sort_onesweep_histogram_config_static_selectorELNS0_4arch9wavefront6targetE1EEEvSI_
    .private_segment_fixed_size: 0
    .sgpr_count:     18
    .sgpr_spill_count: 0
    .symbol:         _ZN7rocprim17ROCPRIM_400000_NS6detail17trampoline_kernelINS0_14default_configENS1_35radix_sort_onesweep_config_selectorItNS0_10empty_typeEEEZNS1_34radix_sort_onesweep_global_offsetsIS3_Lb0EN6thrust23THRUST_200600_302600_NS6detail15normal_iteratorINS9_10device_ptrItEEEEPS5_jNS0_19identity_decomposerEEE10hipError_tT1_T2_PT3_SK_jT4_jjP12ihipStream_tbEUlT_E0_NS1_11comp_targetILNS1_3genE4ELNS1_11target_archE910ELNS1_3gpuE8ELNS1_3repE0EEENS1_52radix_sort_onesweep_histogram_config_static_selectorELNS0_4arch9wavefront6targetE1EEEvSI_.kd
    .uniform_work_group_size: 1
    .uses_dynamic_stack: false
    .vgpr_count:     7
    .vgpr_spill_count: 0
    .wavefront_size: 64
  - .agpr_count:     0
    .args:
      - .address_space:  global
        .offset:         0
        .size:           8
        .value_kind:     global_buffer
    .group_segment_fixed_size: 0
    .kernarg_segment_align: 8
    .kernarg_segment_size: 8
    .language:       OpenCL C
    .language_version:
      - 2
      - 0
    .max_flat_workgroup_size: 512
    .name:           _ZN7rocprim17ROCPRIM_400000_NS6detail17trampoline_kernelINS0_14default_configENS1_35radix_sort_onesweep_config_selectorItNS0_10empty_typeEEEZNS1_34radix_sort_onesweep_global_offsetsIS3_Lb0EN6thrust23THRUST_200600_302600_NS6detail15normal_iteratorINS9_10device_ptrItEEEEPS5_jNS0_19identity_decomposerEEE10hipError_tT1_T2_PT3_SK_jT4_jjP12ihipStream_tbEUlT_E0_NS1_11comp_targetILNS1_3genE3ELNS1_11target_archE908ELNS1_3gpuE7ELNS1_3repE0EEENS1_52radix_sort_onesweep_histogram_config_static_selectorELNS0_4arch9wavefront6targetE1EEEvSI_
    .private_segment_fixed_size: 0
    .sgpr_count:     4
    .sgpr_spill_count: 0
    .symbol:         _ZN7rocprim17ROCPRIM_400000_NS6detail17trampoline_kernelINS0_14default_configENS1_35radix_sort_onesweep_config_selectorItNS0_10empty_typeEEEZNS1_34radix_sort_onesweep_global_offsetsIS3_Lb0EN6thrust23THRUST_200600_302600_NS6detail15normal_iteratorINS9_10device_ptrItEEEEPS5_jNS0_19identity_decomposerEEE10hipError_tT1_T2_PT3_SK_jT4_jjP12ihipStream_tbEUlT_E0_NS1_11comp_targetILNS1_3genE3ELNS1_11target_archE908ELNS1_3gpuE7ELNS1_3repE0EEENS1_52radix_sort_onesweep_histogram_config_static_selectorELNS0_4arch9wavefront6targetE1EEEvSI_.kd
    .uniform_work_group_size: 1
    .uses_dynamic_stack: false
    .vgpr_count:     0
    .vgpr_spill_count: 0
    .wavefront_size: 64
  - .agpr_count:     0
    .args:
      - .address_space:  global
        .offset:         0
        .size:           8
        .value_kind:     global_buffer
    .group_segment_fixed_size: 0
    .kernarg_segment_align: 8
    .kernarg_segment_size: 8
    .language:       OpenCL C
    .language_version:
      - 2
      - 0
    .max_flat_workgroup_size: 256
    .name:           _ZN7rocprim17ROCPRIM_400000_NS6detail17trampoline_kernelINS0_14default_configENS1_35radix_sort_onesweep_config_selectorItNS0_10empty_typeEEEZNS1_34radix_sort_onesweep_global_offsetsIS3_Lb0EN6thrust23THRUST_200600_302600_NS6detail15normal_iteratorINS9_10device_ptrItEEEEPS5_jNS0_19identity_decomposerEEE10hipError_tT1_T2_PT3_SK_jT4_jjP12ihipStream_tbEUlT_E0_NS1_11comp_targetILNS1_3genE10ELNS1_11target_archE1201ELNS1_3gpuE5ELNS1_3repE0EEENS1_52radix_sort_onesweep_histogram_config_static_selectorELNS0_4arch9wavefront6targetE1EEEvSI_
    .private_segment_fixed_size: 0
    .sgpr_count:     4
    .sgpr_spill_count: 0
    .symbol:         _ZN7rocprim17ROCPRIM_400000_NS6detail17trampoline_kernelINS0_14default_configENS1_35radix_sort_onesweep_config_selectorItNS0_10empty_typeEEEZNS1_34radix_sort_onesweep_global_offsetsIS3_Lb0EN6thrust23THRUST_200600_302600_NS6detail15normal_iteratorINS9_10device_ptrItEEEEPS5_jNS0_19identity_decomposerEEE10hipError_tT1_T2_PT3_SK_jT4_jjP12ihipStream_tbEUlT_E0_NS1_11comp_targetILNS1_3genE10ELNS1_11target_archE1201ELNS1_3gpuE5ELNS1_3repE0EEENS1_52radix_sort_onesweep_histogram_config_static_selectorELNS0_4arch9wavefront6targetE1EEEvSI_.kd
    .uniform_work_group_size: 1
    .uses_dynamic_stack: false
    .vgpr_count:     0
    .vgpr_spill_count: 0
    .wavefront_size: 64
  - .agpr_count:     0
    .args:
      - .address_space:  global
        .offset:         0
        .size:           8
        .value_kind:     global_buffer
    .group_segment_fixed_size: 0
    .kernarg_segment_align: 8
    .kernarg_segment_size: 8
    .language:       OpenCL C
    .language_version:
      - 2
      - 0
    .max_flat_workgroup_size: 256
    .name:           _ZN7rocprim17ROCPRIM_400000_NS6detail17trampoline_kernelINS0_14default_configENS1_35radix_sort_onesweep_config_selectorItNS0_10empty_typeEEEZNS1_34radix_sort_onesweep_global_offsetsIS3_Lb0EN6thrust23THRUST_200600_302600_NS6detail15normal_iteratorINS9_10device_ptrItEEEEPS5_jNS0_19identity_decomposerEEE10hipError_tT1_T2_PT3_SK_jT4_jjP12ihipStream_tbEUlT_E0_NS1_11comp_targetILNS1_3genE9ELNS1_11target_archE1100ELNS1_3gpuE3ELNS1_3repE0EEENS1_52radix_sort_onesweep_histogram_config_static_selectorELNS0_4arch9wavefront6targetE1EEEvSI_
    .private_segment_fixed_size: 0
    .sgpr_count:     4
    .sgpr_spill_count: 0
    .symbol:         _ZN7rocprim17ROCPRIM_400000_NS6detail17trampoline_kernelINS0_14default_configENS1_35radix_sort_onesweep_config_selectorItNS0_10empty_typeEEEZNS1_34radix_sort_onesweep_global_offsetsIS3_Lb0EN6thrust23THRUST_200600_302600_NS6detail15normal_iteratorINS9_10device_ptrItEEEEPS5_jNS0_19identity_decomposerEEE10hipError_tT1_T2_PT3_SK_jT4_jjP12ihipStream_tbEUlT_E0_NS1_11comp_targetILNS1_3genE9ELNS1_11target_archE1100ELNS1_3gpuE3ELNS1_3repE0EEENS1_52radix_sort_onesweep_histogram_config_static_selectorELNS0_4arch9wavefront6targetE1EEEvSI_.kd
    .uniform_work_group_size: 1
    .uses_dynamic_stack: false
    .vgpr_count:     0
    .vgpr_spill_count: 0
    .wavefront_size: 64
  - .agpr_count:     0
    .args:
      - .address_space:  global
        .offset:         0
        .size:           8
        .value_kind:     global_buffer
    .group_segment_fixed_size: 0
    .kernarg_segment_align: 8
    .kernarg_segment_size: 8
    .language:       OpenCL C
    .language_version:
      - 2
      - 0
    .max_flat_workgroup_size: 256
    .name:           _ZN7rocprim17ROCPRIM_400000_NS6detail17trampoline_kernelINS0_14default_configENS1_35radix_sort_onesweep_config_selectorItNS0_10empty_typeEEEZNS1_34radix_sort_onesweep_global_offsetsIS3_Lb0EN6thrust23THRUST_200600_302600_NS6detail15normal_iteratorINS9_10device_ptrItEEEEPS5_jNS0_19identity_decomposerEEE10hipError_tT1_T2_PT3_SK_jT4_jjP12ihipStream_tbEUlT_E0_NS1_11comp_targetILNS1_3genE8ELNS1_11target_archE1030ELNS1_3gpuE2ELNS1_3repE0EEENS1_52radix_sort_onesweep_histogram_config_static_selectorELNS0_4arch9wavefront6targetE1EEEvSI_
    .private_segment_fixed_size: 0
    .sgpr_count:     4
    .sgpr_spill_count: 0
    .symbol:         _ZN7rocprim17ROCPRIM_400000_NS6detail17trampoline_kernelINS0_14default_configENS1_35radix_sort_onesweep_config_selectorItNS0_10empty_typeEEEZNS1_34radix_sort_onesweep_global_offsetsIS3_Lb0EN6thrust23THRUST_200600_302600_NS6detail15normal_iteratorINS9_10device_ptrItEEEEPS5_jNS0_19identity_decomposerEEE10hipError_tT1_T2_PT3_SK_jT4_jjP12ihipStream_tbEUlT_E0_NS1_11comp_targetILNS1_3genE8ELNS1_11target_archE1030ELNS1_3gpuE2ELNS1_3repE0EEENS1_52radix_sort_onesweep_histogram_config_static_selectorELNS0_4arch9wavefront6targetE1EEEvSI_.kd
    .uniform_work_group_size: 1
    .uses_dynamic_stack: false
    .vgpr_count:     0
    .vgpr_spill_count: 0
    .wavefront_size: 64
  - .agpr_count:     0
    .args:
      - .offset:         0
        .size:           40
        .value_kind:     by_value
    .group_segment_fixed_size: 0
    .kernarg_segment_align: 8
    .kernarg_segment_size: 40
    .language:       OpenCL C
    .language_version:
      - 2
      - 0
    .max_flat_workgroup_size: 128
    .name:           _ZN7rocprim17ROCPRIM_400000_NS6detail17trampoline_kernelINS0_14default_configENS1_25transform_config_selectorItLb0EEEZNS1_14transform_implILb0ES3_S5_N6thrust23THRUST_200600_302600_NS6detail15normal_iteratorINS8_10device_ptrItEEEEPtNS0_8identityItEEEE10hipError_tT2_T3_mT4_P12ihipStream_tbEUlT_E_NS1_11comp_targetILNS1_3genE0ELNS1_11target_archE4294967295ELNS1_3gpuE0ELNS1_3repE0EEENS1_30default_config_static_selectorELNS0_4arch9wavefront6targetE1EEEvT1_
    .private_segment_fixed_size: 0
    .sgpr_count:     4
    .sgpr_spill_count: 0
    .symbol:         _ZN7rocprim17ROCPRIM_400000_NS6detail17trampoline_kernelINS0_14default_configENS1_25transform_config_selectorItLb0EEEZNS1_14transform_implILb0ES3_S5_N6thrust23THRUST_200600_302600_NS6detail15normal_iteratorINS8_10device_ptrItEEEEPtNS0_8identityItEEEE10hipError_tT2_T3_mT4_P12ihipStream_tbEUlT_E_NS1_11comp_targetILNS1_3genE0ELNS1_11target_archE4294967295ELNS1_3gpuE0ELNS1_3repE0EEENS1_30default_config_static_selectorELNS0_4arch9wavefront6targetE1EEEvT1_.kd
    .uniform_work_group_size: 1
    .uses_dynamic_stack: false
    .vgpr_count:     0
    .vgpr_spill_count: 0
    .wavefront_size: 64
  - .agpr_count:     0
    .args:
      - .offset:         0
        .size:           40
        .value_kind:     by_value
    .group_segment_fixed_size: 0
    .kernarg_segment_align: 8
    .kernarg_segment_size: 40
    .language:       OpenCL C
    .language_version:
      - 2
      - 0
    .max_flat_workgroup_size: 256
    .name:           _ZN7rocprim17ROCPRIM_400000_NS6detail17trampoline_kernelINS0_14default_configENS1_25transform_config_selectorItLb0EEEZNS1_14transform_implILb0ES3_S5_N6thrust23THRUST_200600_302600_NS6detail15normal_iteratorINS8_10device_ptrItEEEEPtNS0_8identityItEEEE10hipError_tT2_T3_mT4_P12ihipStream_tbEUlT_E_NS1_11comp_targetILNS1_3genE5ELNS1_11target_archE942ELNS1_3gpuE9ELNS1_3repE0EEENS1_30default_config_static_selectorELNS0_4arch9wavefront6targetE1EEEvT1_
    .private_segment_fixed_size: 0
    .sgpr_count:     4
    .sgpr_spill_count: 0
    .symbol:         _ZN7rocprim17ROCPRIM_400000_NS6detail17trampoline_kernelINS0_14default_configENS1_25transform_config_selectorItLb0EEEZNS1_14transform_implILb0ES3_S5_N6thrust23THRUST_200600_302600_NS6detail15normal_iteratorINS8_10device_ptrItEEEEPtNS0_8identityItEEEE10hipError_tT2_T3_mT4_P12ihipStream_tbEUlT_E_NS1_11comp_targetILNS1_3genE5ELNS1_11target_archE942ELNS1_3gpuE9ELNS1_3repE0EEENS1_30default_config_static_selectorELNS0_4arch9wavefront6targetE1EEEvT1_.kd
    .uniform_work_group_size: 1
    .uses_dynamic_stack: false
    .vgpr_count:     0
    .vgpr_spill_count: 0
    .wavefront_size: 64
  - .agpr_count:     0
    .args:
      - .offset:         0
        .size:           40
        .value_kind:     by_value
      - .offset:         40
        .size:           4
        .value_kind:     hidden_block_count_x
      - .offset:         44
        .size:           4
        .value_kind:     hidden_block_count_y
      - .offset:         48
        .size:           4
        .value_kind:     hidden_block_count_z
      - .offset:         52
        .size:           2
        .value_kind:     hidden_group_size_x
      - .offset:         54
        .size:           2
        .value_kind:     hidden_group_size_y
      - .offset:         56
        .size:           2
        .value_kind:     hidden_group_size_z
      - .offset:         58
        .size:           2
        .value_kind:     hidden_remainder_x
      - .offset:         60
        .size:           2
        .value_kind:     hidden_remainder_y
      - .offset:         62
        .size:           2
        .value_kind:     hidden_remainder_z
      - .offset:         80
        .size:           8
        .value_kind:     hidden_global_offset_x
      - .offset:         88
        .size:           8
        .value_kind:     hidden_global_offset_y
      - .offset:         96
        .size:           8
        .value_kind:     hidden_global_offset_z
      - .offset:         104
        .size:           2
        .value_kind:     hidden_grid_dims
    .group_segment_fixed_size: 0
    .kernarg_segment_align: 8
    .kernarg_segment_size: 296
    .language:       OpenCL C
    .language_version:
      - 2
      - 0
    .max_flat_workgroup_size: 64
    .name:           _ZN7rocprim17ROCPRIM_400000_NS6detail17trampoline_kernelINS0_14default_configENS1_25transform_config_selectorItLb0EEEZNS1_14transform_implILb0ES3_S5_N6thrust23THRUST_200600_302600_NS6detail15normal_iteratorINS8_10device_ptrItEEEEPtNS0_8identityItEEEE10hipError_tT2_T3_mT4_P12ihipStream_tbEUlT_E_NS1_11comp_targetILNS1_3genE4ELNS1_11target_archE910ELNS1_3gpuE8ELNS1_3repE0EEENS1_30default_config_static_selectorELNS0_4arch9wavefront6targetE1EEEvT1_
    .private_segment_fixed_size: 0
    .sgpr_count:     30
    .sgpr_spill_count: 0
    .symbol:         _ZN7rocprim17ROCPRIM_400000_NS6detail17trampoline_kernelINS0_14default_configENS1_25transform_config_selectorItLb0EEEZNS1_14transform_implILb0ES3_S5_N6thrust23THRUST_200600_302600_NS6detail15normal_iteratorINS8_10device_ptrItEEEEPtNS0_8identityItEEEE10hipError_tT2_T3_mT4_P12ihipStream_tbEUlT_E_NS1_11comp_targetILNS1_3genE4ELNS1_11target_archE910ELNS1_3gpuE8ELNS1_3repE0EEENS1_30default_config_static_selectorELNS0_4arch9wavefront6targetE1EEEvT1_.kd
    .uniform_work_group_size: 1
    .uses_dynamic_stack: false
    .vgpr_count:     14
    .vgpr_spill_count: 0
    .wavefront_size: 64
  - .agpr_count:     0
    .args:
      - .offset:         0
        .size:           40
        .value_kind:     by_value
    .group_segment_fixed_size: 0
    .kernarg_segment_align: 8
    .kernarg_segment_size: 40
    .language:       OpenCL C
    .language_version:
      - 2
      - 0
    .max_flat_workgroup_size: 128
    .name:           _ZN7rocprim17ROCPRIM_400000_NS6detail17trampoline_kernelINS0_14default_configENS1_25transform_config_selectorItLb0EEEZNS1_14transform_implILb0ES3_S5_N6thrust23THRUST_200600_302600_NS6detail15normal_iteratorINS8_10device_ptrItEEEEPtNS0_8identityItEEEE10hipError_tT2_T3_mT4_P12ihipStream_tbEUlT_E_NS1_11comp_targetILNS1_3genE3ELNS1_11target_archE908ELNS1_3gpuE7ELNS1_3repE0EEENS1_30default_config_static_selectorELNS0_4arch9wavefront6targetE1EEEvT1_
    .private_segment_fixed_size: 0
    .sgpr_count:     4
    .sgpr_spill_count: 0
    .symbol:         _ZN7rocprim17ROCPRIM_400000_NS6detail17trampoline_kernelINS0_14default_configENS1_25transform_config_selectorItLb0EEEZNS1_14transform_implILb0ES3_S5_N6thrust23THRUST_200600_302600_NS6detail15normal_iteratorINS8_10device_ptrItEEEEPtNS0_8identityItEEEE10hipError_tT2_T3_mT4_P12ihipStream_tbEUlT_E_NS1_11comp_targetILNS1_3genE3ELNS1_11target_archE908ELNS1_3gpuE7ELNS1_3repE0EEENS1_30default_config_static_selectorELNS0_4arch9wavefront6targetE1EEEvT1_.kd
    .uniform_work_group_size: 1
    .uses_dynamic_stack: false
    .vgpr_count:     0
    .vgpr_spill_count: 0
    .wavefront_size: 64
  - .agpr_count:     0
    .args:
      - .offset:         0
        .size:           40
        .value_kind:     by_value
    .group_segment_fixed_size: 0
    .kernarg_segment_align: 8
    .kernarg_segment_size: 40
    .language:       OpenCL C
    .language_version:
      - 2
      - 0
    .max_flat_workgroup_size: 512
    .name:           _ZN7rocprim17ROCPRIM_400000_NS6detail17trampoline_kernelINS0_14default_configENS1_25transform_config_selectorItLb0EEEZNS1_14transform_implILb0ES3_S5_N6thrust23THRUST_200600_302600_NS6detail15normal_iteratorINS8_10device_ptrItEEEEPtNS0_8identityItEEEE10hipError_tT2_T3_mT4_P12ihipStream_tbEUlT_E_NS1_11comp_targetILNS1_3genE2ELNS1_11target_archE906ELNS1_3gpuE6ELNS1_3repE0EEENS1_30default_config_static_selectorELNS0_4arch9wavefront6targetE1EEEvT1_
    .private_segment_fixed_size: 0
    .sgpr_count:     4
    .sgpr_spill_count: 0
    .symbol:         _ZN7rocprim17ROCPRIM_400000_NS6detail17trampoline_kernelINS0_14default_configENS1_25transform_config_selectorItLb0EEEZNS1_14transform_implILb0ES3_S5_N6thrust23THRUST_200600_302600_NS6detail15normal_iteratorINS8_10device_ptrItEEEEPtNS0_8identityItEEEE10hipError_tT2_T3_mT4_P12ihipStream_tbEUlT_E_NS1_11comp_targetILNS1_3genE2ELNS1_11target_archE906ELNS1_3gpuE6ELNS1_3repE0EEENS1_30default_config_static_selectorELNS0_4arch9wavefront6targetE1EEEvT1_.kd
    .uniform_work_group_size: 1
    .uses_dynamic_stack: false
    .vgpr_count:     0
    .vgpr_spill_count: 0
    .wavefront_size: 64
  - .agpr_count:     0
    .args:
      - .offset:         0
        .size:           40
        .value_kind:     by_value
    .group_segment_fixed_size: 0
    .kernarg_segment_align: 8
    .kernarg_segment_size: 40
    .language:       OpenCL C
    .language_version:
      - 2
      - 0
    .max_flat_workgroup_size: 1024
    .name:           _ZN7rocprim17ROCPRIM_400000_NS6detail17trampoline_kernelINS0_14default_configENS1_25transform_config_selectorItLb0EEEZNS1_14transform_implILb0ES3_S5_N6thrust23THRUST_200600_302600_NS6detail15normal_iteratorINS8_10device_ptrItEEEEPtNS0_8identityItEEEE10hipError_tT2_T3_mT4_P12ihipStream_tbEUlT_E_NS1_11comp_targetILNS1_3genE10ELNS1_11target_archE1201ELNS1_3gpuE5ELNS1_3repE0EEENS1_30default_config_static_selectorELNS0_4arch9wavefront6targetE1EEEvT1_
    .private_segment_fixed_size: 0
    .sgpr_count:     4
    .sgpr_spill_count: 0
    .symbol:         _ZN7rocprim17ROCPRIM_400000_NS6detail17trampoline_kernelINS0_14default_configENS1_25transform_config_selectorItLb0EEEZNS1_14transform_implILb0ES3_S5_N6thrust23THRUST_200600_302600_NS6detail15normal_iteratorINS8_10device_ptrItEEEEPtNS0_8identityItEEEE10hipError_tT2_T3_mT4_P12ihipStream_tbEUlT_E_NS1_11comp_targetILNS1_3genE10ELNS1_11target_archE1201ELNS1_3gpuE5ELNS1_3repE0EEENS1_30default_config_static_selectorELNS0_4arch9wavefront6targetE1EEEvT1_.kd
    .uniform_work_group_size: 1
    .uses_dynamic_stack: false
    .vgpr_count:     0
    .vgpr_spill_count: 0
    .wavefront_size: 64
  - .agpr_count:     0
    .args:
      - .offset:         0
        .size:           40
        .value_kind:     by_value
    .group_segment_fixed_size: 0
    .kernarg_segment_align: 8
    .kernarg_segment_size: 40
    .language:       OpenCL C
    .language_version:
      - 2
      - 0
    .max_flat_workgroup_size: 512
    .name:           _ZN7rocprim17ROCPRIM_400000_NS6detail17trampoline_kernelINS0_14default_configENS1_25transform_config_selectorItLb0EEEZNS1_14transform_implILb0ES3_S5_N6thrust23THRUST_200600_302600_NS6detail15normal_iteratorINS8_10device_ptrItEEEEPtNS0_8identityItEEEE10hipError_tT2_T3_mT4_P12ihipStream_tbEUlT_E_NS1_11comp_targetILNS1_3genE10ELNS1_11target_archE1200ELNS1_3gpuE4ELNS1_3repE0EEENS1_30default_config_static_selectorELNS0_4arch9wavefront6targetE1EEEvT1_
    .private_segment_fixed_size: 0
    .sgpr_count:     4
    .sgpr_spill_count: 0
    .symbol:         _ZN7rocprim17ROCPRIM_400000_NS6detail17trampoline_kernelINS0_14default_configENS1_25transform_config_selectorItLb0EEEZNS1_14transform_implILb0ES3_S5_N6thrust23THRUST_200600_302600_NS6detail15normal_iteratorINS8_10device_ptrItEEEEPtNS0_8identityItEEEE10hipError_tT2_T3_mT4_P12ihipStream_tbEUlT_E_NS1_11comp_targetILNS1_3genE10ELNS1_11target_archE1200ELNS1_3gpuE4ELNS1_3repE0EEENS1_30default_config_static_selectorELNS0_4arch9wavefront6targetE1EEEvT1_.kd
    .uniform_work_group_size: 1
    .uses_dynamic_stack: false
    .vgpr_count:     0
    .vgpr_spill_count: 0
    .wavefront_size: 64
  - .agpr_count:     0
    .args:
      - .offset:         0
        .size:           40
        .value_kind:     by_value
    .group_segment_fixed_size: 0
    .kernarg_segment_align: 8
    .kernarg_segment_size: 40
    .language:       OpenCL C
    .language_version:
      - 2
      - 0
    .max_flat_workgroup_size: 1024
    .name:           _ZN7rocprim17ROCPRIM_400000_NS6detail17trampoline_kernelINS0_14default_configENS1_25transform_config_selectorItLb0EEEZNS1_14transform_implILb0ES3_S5_N6thrust23THRUST_200600_302600_NS6detail15normal_iteratorINS8_10device_ptrItEEEEPtNS0_8identityItEEEE10hipError_tT2_T3_mT4_P12ihipStream_tbEUlT_E_NS1_11comp_targetILNS1_3genE9ELNS1_11target_archE1100ELNS1_3gpuE3ELNS1_3repE0EEENS1_30default_config_static_selectorELNS0_4arch9wavefront6targetE1EEEvT1_
    .private_segment_fixed_size: 0
    .sgpr_count:     4
    .sgpr_spill_count: 0
    .symbol:         _ZN7rocprim17ROCPRIM_400000_NS6detail17trampoline_kernelINS0_14default_configENS1_25transform_config_selectorItLb0EEEZNS1_14transform_implILb0ES3_S5_N6thrust23THRUST_200600_302600_NS6detail15normal_iteratorINS8_10device_ptrItEEEEPtNS0_8identityItEEEE10hipError_tT2_T3_mT4_P12ihipStream_tbEUlT_E_NS1_11comp_targetILNS1_3genE9ELNS1_11target_archE1100ELNS1_3gpuE3ELNS1_3repE0EEENS1_30default_config_static_selectorELNS0_4arch9wavefront6targetE1EEEvT1_.kd
    .uniform_work_group_size: 1
    .uses_dynamic_stack: false
    .vgpr_count:     0
    .vgpr_spill_count: 0
    .wavefront_size: 64
  - .agpr_count:     0
    .args:
      - .offset:         0
        .size:           40
        .value_kind:     by_value
    .group_segment_fixed_size: 0
    .kernarg_segment_align: 8
    .kernarg_segment_size: 40
    .language:       OpenCL C
    .language_version:
      - 2
      - 0
    .max_flat_workgroup_size: 1024
    .name:           _ZN7rocprim17ROCPRIM_400000_NS6detail17trampoline_kernelINS0_14default_configENS1_25transform_config_selectorItLb0EEEZNS1_14transform_implILb0ES3_S5_N6thrust23THRUST_200600_302600_NS6detail15normal_iteratorINS8_10device_ptrItEEEEPtNS0_8identityItEEEE10hipError_tT2_T3_mT4_P12ihipStream_tbEUlT_E_NS1_11comp_targetILNS1_3genE8ELNS1_11target_archE1030ELNS1_3gpuE2ELNS1_3repE0EEENS1_30default_config_static_selectorELNS0_4arch9wavefront6targetE1EEEvT1_
    .private_segment_fixed_size: 0
    .sgpr_count:     4
    .sgpr_spill_count: 0
    .symbol:         _ZN7rocprim17ROCPRIM_400000_NS6detail17trampoline_kernelINS0_14default_configENS1_25transform_config_selectorItLb0EEEZNS1_14transform_implILb0ES3_S5_N6thrust23THRUST_200600_302600_NS6detail15normal_iteratorINS8_10device_ptrItEEEEPtNS0_8identityItEEEE10hipError_tT2_T3_mT4_P12ihipStream_tbEUlT_E_NS1_11comp_targetILNS1_3genE8ELNS1_11target_archE1030ELNS1_3gpuE2ELNS1_3repE0EEENS1_30default_config_static_selectorELNS0_4arch9wavefront6targetE1EEEvT1_.kd
    .uniform_work_group_size: 1
    .uses_dynamic_stack: false
    .vgpr_count:     0
    .vgpr_spill_count: 0
    .wavefront_size: 64
  - .agpr_count:     0
    .args:
      - .offset:         0
        .size:           88
        .value_kind:     by_value
    .group_segment_fixed_size: 0
    .kernarg_segment_align: 8
    .kernarg_segment_size: 88
    .language:       OpenCL C
    .language_version:
      - 2
      - 0
    .max_flat_workgroup_size: 512
    .name:           _ZN7rocprim17ROCPRIM_400000_NS6detail17trampoline_kernelINS0_14default_configENS1_35radix_sort_onesweep_config_selectorItNS0_10empty_typeEEEZZNS1_29radix_sort_onesweep_iterationIS3_Lb0EN6thrust23THRUST_200600_302600_NS6detail15normal_iteratorINS9_10device_ptrItEEEESE_PS5_SF_jNS0_19identity_decomposerENS1_16block_id_wrapperIjLb1EEEEE10hipError_tT1_PNSt15iterator_traitsISK_E10value_typeET2_T3_PNSL_ISQ_E10value_typeET4_T5_PSV_SW_PNS1_23onesweep_lookback_stateEbbT6_jjT7_P12ihipStream_tbENKUlT_T0_SK_SP_E_clISE_SE_SF_SF_EEDaS13_S14_SK_SP_EUlS13_E_NS1_11comp_targetILNS1_3genE0ELNS1_11target_archE4294967295ELNS1_3gpuE0ELNS1_3repE0EEENS1_47radix_sort_onesweep_sort_config_static_selectorELNS0_4arch9wavefront6targetE1EEEvSK_
    .private_segment_fixed_size: 0
    .sgpr_count:     4
    .sgpr_spill_count: 0
    .symbol:         _ZN7rocprim17ROCPRIM_400000_NS6detail17trampoline_kernelINS0_14default_configENS1_35radix_sort_onesweep_config_selectorItNS0_10empty_typeEEEZZNS1_29radix_sort_onesweep_iterationIS3_Lb0EN6thrust23THRUST_200600_302600_NS6detail15normal_iteratorINS9_10device_ptrItEEEESE_PS5_SF_jNS0_19identity_decomposerENS1_16block_id_wrapperIjLb1EEEEE10hipError_tT1_PNSt15iterator_traitsISK_E10value_typeET2_T3_PNSL_ISQ_E10value_typeET4_T5_PSV_SW_PNS1_23onesweep_lookback_stateEbbT6_jjT7_P12ihipStream_tbENKUlT_T0_SK_SP_E_clISE_SE_SF_SF_EEDaS13_S14_SK_SP_EUlS13_E_NS1_11comp_targetILNS1_3genE0ELNS1_11target_archE4294967295ELNS1_3gpuE0ELNS1_3repE0EEENS1_47radix_sort_onesweep_sort_config_static_selectorELNS0_4arch9wavefront6targetE1EEEvSK_.kd
    .uniform_work_group_size: 1
    .uses_dynamic_stack: false
    .vgpr_count:     0
    .vgpr_spill_count: 0
    .wavefront_size: 64
  - .agpr_count:     0
    .args:
      - .offset:         0
        .size:           88
        .value_kind:     by_value
    .group_segment_fixed_size: 0
    .kernarg_segment_align: 8
    .kernarg_segment_size: 88
    .language:       OpenCL C
    .language_version:
      - 2
      - 0
    .max_flat_workgroup_size: 1024
    .name:           _ZN7rocprim17ROCPRIM_400000_NS6detail17trampoline_kernelINS0_14default_configENS1_35radix_sort_onesweep_config_selectorItNS0_10empty_typeEEEZZNS1_29radix_sort_onesweep_iterationIS3_Lb0EN6thrust23THRUST_200600_302600_NS6detail15normal_iteratorINS9_10device_ptrItEEEESE_PS5_SF_jNS0_19identity_decomposerENS1_16block_id_wrapperIjLb1EEEEE10hipError_tT1_PNSt15iterator_traitsISK_E10value_typeET2_T3_PNSL_ISQ_E10value_typeET4_T5_PSV_SW_PNS1_23onesweep_lookback_stateEbbT6_jjT7_P12ihipStream_tbENKUlT_T0_SK_SP_E_clISE_SE_SF_SF_EEDaS13_S14_SK_SP_EUlS13_E_NS1_11comp_targetILNS1_3genE6ELNS1_11target_archE950ELNS1_3gpuE13ELNS1_3repE0EEENS1_47radix_sort_onesweep_sort_config_static_selectorELNS0_4arch9wavefront6targetE1EEEvSK_
    .private_segment_fixed_size: 0
    .sgpr_count:     4
    .sgpr_spill_count: 0
    .symbol:         _ZN7rocprim17ROCPRIM_400000_NS6detail17trampoline_kernelINS0_14default_configENS1_35radix_sort_onesweep_config_selectorItNS0_10empty_typeEEEZZNS1_29radix_sort_onesweep_iterationIS3_Lb0EN6thrust23THRUST_200600_302600_NS6detail15normal_iteratorINS9_10device_ptrItEEEESE_PS5_SF_jNS0_19identity_decomposerENS1_16block_id_wrapperIjLb1EEEEE10hipError_tT1_PNSt15iterator_traitsISK_E10value_typeET2_T3_PNSL_ISQ_E10value_typeET4_T5_PSV_SW_PNS1_23onesweep_lookback_stateEbbT6_jjT7_P12ihipStream_tbENKUlT_T0_SK_SP_E_clISE_SE_SF_SF_EEDaS13_S14_SK_SP_EUlS13_E_NS1_11comp_targetILNS1_3genE6ELNS1_11target_archE950ELNS1_3gpuE13ELNS1_3repE0EEENS1_47radix_sort_onesweep_sort_config_static_selectorELNS0_4arch9wavefront6targetE1EEEvSK_.kd
    .uniform_work_group_size: 1
    .uses_dynamic_stack: false
    .vgpr_count:     0
    .vgpr_spill_count: 0
    .wavefront_size: 64
  - .agpr_count:     0
    .args:
      - .offset:         0
        .size:           88
        .value_kind:     by_value
    .group_segment_fixed_size: 0
    .kernarg_segment_align: 8
    .kernarg_segment_size: 88
    .language:       OpenCL C
    .language_version:
      - 2
      - 0
    .max_flat_workgroup_size: 1024
    .name:           _ZN7rocprim17ROCPRIM_400000_NS6detail17trampoline_kernelINS0_14default_configENS1_35radix_sort_onesweep_config_selectorItNS0_10empty_typeEEEZZNS1_29radix_sort_onesweep_iterationIS3_Lb0EN6thrust23THRUST_200600_302600_NS6detail15normal_iteratorINS9_10device_ptrItEEEESE_PS5_SF_jNS0_19identity_decomposerENS1_16block_id_wrapperIjLb1EEEEE10hipError_tT1_PNSt15iterator_traitsISK_E10value_typeET2_T3_PNSL_ISQ_E10value_typeET4_T5_PSV_SW_PNS1_23onesweep_lookback_stateEbbT6_jjT7_P12ihipStream_tbENKUlT_T0_SK_SP_E_clISE_SE_SF_SF_EEDaS13_S14_SK_SP_EUlS13_E_NS1_11comp_targetILNS1_3genE5ELNS1_11target_archE942ELNS1_3gpuE9ELNS1_3repE0EEENS1_47radix_sort_onesweep_sort_config_static_selectorELNS0_4arch9wavefront6targetE1EEEvSK_
    .private_segment_fixed_size: 0
    .sgpr_count:     4
    .sgpr_spill_count: 0
    .symbol:         _ZN7rocprim17ROCPRIM_400000_NS6detail17trampoline_kernelINS0_14default_configENS1_35radix_sort_onesweep_config_selectorItNS0_10empty_typeEEEZZNS1_29radix_sort_onesweep_iterationIS3_Lb0EN6thrust23THRUST_200600_302600_NS6detail15normal_iteratorINS9_10device_ptrItEEEESE_PS5_SF_jNS0_19identity_decomposerENS1_16block_id_wrapperIjLb1EEEEE10hipError_tT1_PNSt15iterator_traitsISK_E10value_typeET2_T3_PNSL_ISQ_E10value_typeET4_T5_PSV_SW_PNS1_23onesweep_lookback_stateEbbT6_jjT7_P12ihipStream_tbENKUlT_T0_SK_SP_E_clISE_SE_SF_SF_EEDaS13_S14_SK_SP_EUlS13_E_NS1_11comp_targetILNS1_3genE5ELNS1_11target_archE942ELNS1_3gpuE9ELNS1_3repE0EEENS1_47radix_sort_onesweep_sort_config_static_selectorELNS0_4arch9wavefront6targetE1EEEvSK_.kd
    .uniform_work_group_size: 1
    .uses_dynamic_stack: false
    .vgpr_count:     0
    .vgpr_spill_count: 0
    .wavefront_size: 64
  - .agpr_count:     0
    .args:
      - .offset:         0
        .size:           88
        .value_kind:     by_value
    .group_segment_fixed_size: 0
    .kernarg_segment_align: 8
    .kernarg_segment_size: 88
    .language:       OpenCL C
    .language_version:
      - 2
      - 0
    .max_flat_workgroup_size: 512
    .name:           _ZN7rocprim17ROCPRIM_400000_NS6detail17trampoline_kernelINS0_14default_configENS1_35radix_sort_onesweep_config_selectorItNS0_10empty_typeEEEZZNS1_29radix_sort_onesweep_iterationIS3_Lb0EN6thrust23THRUST_200600_302600_NS6detail15normal_iteratorINS9_10device_ptrItEEEESE_PS5_SF_jNS0_19identity_decomposerENS1_16block_id_wrapperIjLb1EEEEE10hipError_tT1_PNSt15iterator_traitsISK_E10value_typeET2_T3_PNSL_ISQ_E10value_typeET4_T5_PSV_SW_PNS1_23onesweep_lookback_stateEbbT6_jjT7_P12ihipStream_tbENKUlT_T0_SK_SP_E_clISE_SE_SF_SF_EEDaS13_S14_SK_SP_EUlS13_E_NS1_11comp_targetILNS1_3genE2ELNS1_11target_archE906ELNS1_3gpuE6ELNS1_3repE0EEENS1_47radix_sort_onesweep_sort_config_static_selectorELNS0_4arch9wavefront6targetE1EEEvSK_
    .private_segment_fixed_size: 0
    .sgpr_count:     4
    .sgpr_spill_count: 0
    .symbol:         _ZN7rocprim17ROCPRIM_400000_NS6detail17trampoline_kernelINS0_14default_configENS1_35radix_sort_onesweep_config_selectorItNS0_10empty_typeEEEZZNS1_29radix_sort_onesweep_iterationIS3_Lb0EN6thrust23THRUST_200600_302600_NS6detail15normal_iteratorINS9_10device_ptrItEEEESE_PS5_SF_jNS0_19identity_decomposerENS1_16block_id_wrapperIjLb1EEEEE10hipError_tT1_PNSt15iterator_traitsISK_E10value_typeET2_T3_PNSL_ISQ_E10value_typeET4_T5_PSV_SW_PNS1_23onesweep_lookback_stateEbbT6_jjT7_P12ihipStream_tbENKUlT_T0_SK_SP_E_clISE_SE_SF_SF_EEDaS13_S14_SK_SP_EUlS13_E_NS1_11comp_targetILNS1_3genE2ELNS1_11target_archE906ELNS1_3gpuE6ELNS1_3repE0EEENS1_47radix_sort_onesweep_sort_config_static_selectorELNS0_4arch9wavefront6targetE1EEEvSK_.kd
    .uniform_work_group_size: 1
    .uses_dynamic_stack: false
    .vgpr_count:     0
    .vgpr_spill_count: 0
    .wavefront_size: 64
  - .agpr_count:     0
    .args:
      - .offset:         0
        .size:           88
        .value_kind:     by_value
      - .offset:         88
        .size:           4
        .value_kind:     hidden_block_count_x
      - .offset:         92
        .size:           4
        .value_kind:     hidden_block_count_y
      - .offset:         96
        .size:           4
        .value_kind:     hidden_block_count_z
      - .offset:         100
        .size:           2
        .value_kind:     hidden_group_size_x
      - .offset:         102
        .size:           2
        .value_kind:     hidden_group_size_y
      - .offset:         104
        .size:           2
        .value_kind:     hidden_group_size_z
      - .offset:         106
        .size:           2
        .value_kind:     hidden_remainder_x
      - .offset:         108
        .size:           2
        .value_kind:     hidden_remainder_y
      - .offset:         110
        .size:           2
        .value_kind:     hidden_remainder_z
      - .offset:         128
        .size:           8
        .value_kind:     hidden_global_offset_x
      - .offset:         136
        .size:           8
        .value_kind:     hidden_global_offset_y
      - .offset:         144
        .size:           8
        .value_kind:     hidden_global_offset_z
      - .offset:         152
        .size:           2
        .value_kind:     hidden_grid_dims
    .group_segment_fixed_size: 25608
    .kernarg_segment_align: 8
    .kernarg_segment_size: 344
    .language:       OpenCL C
    .language_version:
      - 2
      - 0
    .max_flat_workgroup_size: 1024
    .name:           _ZN7rocprim17ROCPRIM_400000_NS6detail17trampoline_kernelINS0_14default_configENS1_35radix_sort_onesweep_config_selectorItNS0_10empty_typeEEEZZNS1_29radix_sort_onesweep_iterationIS3_Lb0EN6thrust23THRUST_200600_302600_NS6detail15normal_iteratorINS9_10device_ptrItEEEESE_PS5_SF_jNS0_19identity_decomposerENS1_16block_id_wrapperIjLb1EEEEE10hipError_tT1_PNSt15iterator_traitsISK_E10value_typeET2_T3_PNSL_ISQ_E10value_typeET4_T5_PSV_SW_PNS1_23onesweep_lookback_stateEbbT6_jjT7_P12ihipStream_tbENKUlT_T0_SK_SP_E_clISE_SE_SF_SF_EEDaS13_S14_SK_SP_EUlS13_E_NS1_11comp_targetILNS1_3genE4ELNS1_11target_archE910ELNS1_3gpuE8ELNS1_3repE0EEENS1_47radix_sort_onesweep_sort_config_static_selectorELNS0_4arch9wavefront6targetE1EEEvSK_
    .private_segment_fixed_size: 0
    .sgpr_count:     39
    .sgpr_spill_count: 0
    .symbol:         _ZN7rocprim17ROCPRIM_400000_NS6detail17trampoline_kernelINS0_14default_configENS1_35radix_sort_onesweep_config_selectorItNS0_10empty_typeEEEZZNS1_29radix_sort_onesweep_iterationIS3_Lb0EN6thrust23THRUST_200600_302600_NS6detail15normal_iteratorINS9_10device_ptrItEEEESE_PS5_SF_jNS0_19identity_decomposerENS1_16block_id_wrapperIjLb1EEEEE10hipError_tT1_PNSt15iterator_traitsISK_E10value_typeET2_T3_PNSL_ISQ_E10value_typeET4_T5_PSV_SW_PNS1_23onesweep_lookback_stateEbbT6_jjT7_P12ihipStream_tbENKUlT_T0_SK_SP_E_clISE_SE_SF_SF_EEDaS13_S14_SK_SP_EUlS13_E_NS1_11comp_targetILNS1_3genE4ELNS1_11target_archE910ELNS1_3gpuE8ELNS1_3repE0EEENS1_47radix_sort_onesweep_sort_config_static_selectorELNS0_4arch9wavefront6targetE1EEEvSK_.kd
    .uniform_work_group_size: 1
    .uses_dynamic_stack: false
    .vgpr_count:     62
    .vgpr_spill_count: 0
    .wavefront_size: 64
  - .agpr_count:     0
    .args:
      - .offset:         0
        .size:           88
        .value_kind:     by_value
    .group_segment_fixed_size: 0
    .kernarg_segment_align: 8
    .kernarg_segment_size: 88
    .language:       OpenCL C
    .language_version:
      - 2
      - 0
    .max_flat_workgroup_size: 512
    .name:           _ZN7rocprim17ROCPRIM_400000_NS6detail17trampoline_kernelINS0_14default_configENS1_35radix_sort_onesweep_config_selectorItNS0_10empty_typeEEEZZNS1_29radix_sort_onesweep_iterationIS3_Lb0EN6thrust23THRUST_200600_302600_NS6detail15normal_iteratorINS9_10device_ptrItEEEESE_PS5_SF_jNS0_19identity_decomposerENS1_16block_id_wrapperIjLb1EEEEE10hipError_tT1_PNSt15iterator_traitsISK_E10value_typeET2_T3_PNSL_ISQ_E10value_typeET4_T5_PSV_SW_PNS1_23onesweep_lookback_stateEbbT6_jjT7_P12ihipStream_tbENKUlT_T0_SK_SP_E_clISE_SE_SF_SF_EEDaS13_S14_SK_SP_EUlS13_E_NS1_11comp_targetILNS1_3genE3ELNS1_11target_archE908ELNS1_3gpuE7ELNS1_3repE0EEENS1_47radix_sort_onesweep_sort_config_static_selectorELNS0_4arch9wavefront6targetE1EEEvSK_
    .private_segment_fixed_size: 0
    .sgpr_count:     4
    .sgpr_spill_count: 0
    .symbol:         _ZN7rocprim17ROCPRIM_400000_NS6detail17trampoline_kernelINS0_14default_configENS1_35radix_sort_onesweep_config_selectorItNS0_10empty_typeEEEZZNS1_29radix_sort_onesweep_iterationIS3_Lb0EN6thrust23THRUST_200600_302600_NS6detail15normal_iteratorINS9_10device_ptrItEEEESE_PS5_SF_jNS0_19identity_decomposerENS1_16block_id_wrapperIjLb1EEEEE10hipError_tT1_PNSt15iterator_traitsISK_E10value_typeET2_T3_PNSL_ISQ_E10value_typeET4_T5_PSV_SW_PNS1_23onesweep_lookback_stateEbbT6_jjT7_P12ihipStream_tbENKUlT_T0_SK_SP_E_clISE_SE_SF_SF_EEDaS13_S14_SK_SP_EUlS13_E_NS1_11comp_targetILNS1_3genE3ELNS1_11target_archE908ELNS1_3gpuE7ELNS1_3repE0EEENS1_47radix_sort_onesweep_sort_config_static_selectorELNS0_4arch9wavefront6targetE1EEEvSK_.kd
    .uniform_work_group_size: 1
    .uses_dynamic_stack: false
    .vgpr_count:     0
    .vgpr_spill_count: 0
    .wavefront_size: 64
  - .agpr_count:     0
    .args:
      - .offset:         0
        .size:           88
        .value_kind:     by_value
    .group_segment_fixed_size: 0
    .kernarg_segment_align: 8
    .kernarg_segment_size: 88
    .language:       OpenCL C
    .language_version:
      - 2
      - 0
    .max_flat_workgroup_size: 256
    .name:           _ZN7rocprim17ROCPRIM_400000_NS6detail17trampoline_kernelINS0_14default_configENS1_35radix_sort_onesweep_config_selectorItNS0_10empty_typeEEEZZNS1_29radix_sort_onesweep_iterationIS3_Lb0EN6thrust23THRUST_200600_302600_NS6detail15normal_iteratorINS9_10device_ptrItEEEESE_PS5_SF_jNS0_19identity_decomposerENS1_16block_id_wrapperIjLb1EEEEE10hipError_tT1_PNSt15iterator_traitsISK_E10value_typeET2_T3_PNSL_ISQ_E10value_typeET4_T5_PSV_SW_PNS1_23onesweep_lookback_stateEbbT6_jjT7_P12ihipStream_tbENKUlT_T0_SK_SP_E_clISE_SE_SF_SF_EEDaS13_S14_SK_SP_EUlS13_E_NS1_11comp_targetILNS1_3genE10ELNS1_11target_archE1201ELNS1_3gpuE5ELNS1_3repE0EEENS1_47radix_sort_onesweep_sort_config_static_selectorELNS0_4arch9wavefront6targetE1EEEvSK_
    .private_segment_fixed_size: 0
    .sgpr_count:     4
    .sgpr_spill_count: 0
    .symbol:         _ZN7rocprim17ROCPRIM_400000_NS6detail17trampoline_kernelINS0_14default_configENS1_35radix_sort_onesweep_config_selectorItNS0_10empty_typeEEEZZNS1_29radix_sort_onesweep_iterationIS3_Lb0EN6thrust23THRUST_200600_302600_NS6detail15normal_iteratorINS9_10device_ptrItEEEESE_PS5_SF_jNS0_19identity_decomposerENS1_16block_id_wrapperIjLb1EEEEE10hipError_tT1_PNSt15iterator_traitsISK_E10value_typeET2_T3_PNSL_ISQ_E10value_typeET4_T5_PSV_SW_PNS1_23onesweep_lookback_stateEbbT6_jjT7_P12ihipStream_tbENKUlT_T0_SK_SP_E_clISE_SE_SF_SF_EEDaS13_S14_SK_SP_EUlS13_E_NS1_11comp_targetILNS1_3genE10ELNS1_11target_archE1201ELNS1_3gpuE5ELNS1_3repE0EEENS1_47radix_sort_onesweep_sort_config_static_selectorELNS0_4arch9wavefront6targetE1EEEvSK_.kd
    .uniform_work_group_size: 1
    .uses_dynamic_stack: false
    .vgpr_count:     0
    .vgpr_spill_count: 0
    .wavefront_size: 64
  - .agpr_count:     0
    .args:
      - .offset:         0
        .size:           88
        .value_kind:     by_value
    .group_segment_fixed_size: 0
    .kernarg_segment_align: 8
    .kernarg_segment_size: 88
    .language:       OpenCL C
    .language_version:
      - 2
      - 0
    .max_flat_workgroup_size: 256
    .name:           _ZN7rocprim17ROCPRIM_400000_NS6detail17trampoline_kernelINS0_14default_configENS1_35radix_sort_onesweep_config_selectorItNS0_10empty_typeEEEZZNS1_29radix_sort_onesweep_iterationIS3_Lb0EN6thrust23THRUST_200600_302600_NS6detail15normal_iteratorINS9_10device_ptrItEEEESE_PS5_SF_jNS0_19identity_decomposerENS1_16block_id_wrapperIjLb1EEEEE10hipError_tT1_PNSt15iterator_traitsISK_E10value_typeET2_T3_PNSL_ISQ_E10value_typeET4_T5_PSV_SW_PNS1_23onesweep_lookback_stateEbbT6_jjT7_P12ihipStream_tbENKUlT_T0_SK_SP_E_clISE_SE_SF_SF_EEDaS13_S14_SK_SP_EUlS13_E_NS1_11comp_targetILNS1_3genE9ELNS1_11target_archE1100ELNS1_3gpuE3ELNS1_3repE0EEENS1_47radix_sort_onesweep_sort_config_static_selectorELNS0_4arch9wavefront6targetE1EEEvSK_
    .private_segment_fixed_size: 0
    .sgpr_count:     4
    .sgpr_spill_count: 0
    .symbol:         _ZN7rocprim17ROCPRIM_400000_NS6detail17trampoline_kernelINS0_14default_configENS1_35radix_sort_onesweep_config_selectorItNS0_10empty_typeEEEZZNS1_29radix_sort_onesweep_iterationIS3_Lb0EN6thrust23THRUST_200600_302600_NS6detail15normal_iteratorINS9_10device_ptrItEEEESE_PS5_SF_jNS0_19identity_decomposerENS1_16block_id_wrapperIjLb1EEEEE10hipError_tT1_PNSt15iterator_traitsISK_E10value_typeET2_T3_PNSL_ISQ_E10value_typeET4_T5_PSV_SW_PNS1_23onesweep_lookback_stateEbbT6_jjT7_P12ihipStream_tbENKUlT_T0_SK_SP_E_clISE_SE_SF_SF_EEDaS13_S14_SK_SP_EUlS13_E_NS1_11comp_targetILNS1_3genE9ELNS1_11target_archE1100ELNS1_3gpuE3ELNS1_3repE0EEENS1_47radix_sort_onesweep_sort_config_static_selectorELNS0_4arch9wavefront6targetE1EEEvSK_.kd
    .uniform_work_group_size: 1
    .uses_dynamic_stack: false
    .vgpr_count:     0
    .vgpr_spill_count: 0
    .wavefront_size: 64
  - .agpr_count:     0
    .args:
      - .offset:         0
        .size:           88
        .value_kind:     by_value
    .group_segment_fixed_size: 0
    .kernarg_segment_align: 8
    .kernarg_segment_size: 88
    .language:       OpenCL C
    .language_version:
      - 2
      - 0
    .max_flat_workgroup_size: 256
    .name:           _ZN7rocprim17ROCPRIM_400000_NS6detail17trampoline_kernelINS0_14default_configENS1_35radix_sort_onesweep_config_selectorItNS0_10empty_typeEEEZZNS1_29radix_sort_onesweep_iterationIS3_Lb0EN6thrust23THRUST_200600_302600_NS6detail15normal_iteratorINS9_10device_ptrItEEEESE_PS5_SF_jNS0_19identity_decomposerENS1_16block_id_wrapperIjLb1EEEEE10hipError_tT1_PNSt15iterator_traitsISK_E10value_typeET2_T3_PNSL_ISQ_E10value_typeET4_T5_PSV_SW_PNS1_23onesweep_lookback_stateEbbT6_jjT7_P12ihipStream_tbENKUlT_T0_SK_SP_E_clISE_SE_SF_SF_EEDaS13_S14_SK_SP_EUlS13_E_NS1_11comp_targetILNS1_3genE8ELNS1_11target_archE1030ELNS1_3gpuE2ELNS1_3repE0EEENS1_47radix_sort_onesweep_sort_config_static_selectorELNS0_4arch9wavefront6targetE1EEEvSK_
    .private_segment_fixed_size: 0
    .sgpr_count:     4
    .sgpr_spill_count: 0
    .symbol:         _ZN7rocprim17ROCPRIM_400000_NS6detail17trampoline_kernelINS0_14default_configENS1_35radix_sort_onesweep_config_selectorItNS0_10empty_typeEEEZZNS1_29radix_sort_onesweep_iterationIS3_Lb0EN6thrust23THRUST_200600_302600_NS6detail15normal_iteratorINS9_10device_ptrItEEEESE_PS5_SF_jNS0_19identity_decomposerENS1_16block_id_wrapperIjLb1EEEEE10hipError_tT1_PNSt15iterator_traitsISK_E10value_typeET2_T3_PNSL_ISQ_E10value_typeET4_T5_PSV_SW_PNS1_23onesweep_lookback_stateEbbT6_jjT7_P12ihipStream_tbENKUlT_T0_SK_SP_E_clISE_SE_SF_SF_EEDaS13_S14_SK_SP_EUlS13_E_NS1_11comp_targetILNS1_3genE8ELNS1_11target_archE1030ELNS1_3gpuE2ELNS1_3repE0EEENS1_47radix_sort_onesweep_sort_config_static_selectorELNS0_4arch9wavefront6targetE1EEEvSK_.kd
    .uniform_work_group_size: 1
    .uses_dynamic_stack: false
    .vgpr_count:     0
    .vgpr_spill_count: 0
    .wavefront_size: 64
  - .agpr_count:     0
    .args:
      - .offset:         0
        .size:           88
        .value_kind:     by_value
    .group_segment_fixed_size: 0
    .kernarg_segment_align: 8
    .kernarg_segment_size: 88
    .language:       OpenCL C
    .language_version:
      - 2
      - 0
    .max_flat_workgroup_size: 512
    .name:           _ZN7rocprim17ROCPRIM_400000_NS6detail17trampoline_kernelINS0_14default_configENS1_35radix_sort_onesweep_config_selectorItNS0_10empty_typeEEEZZNS1_29radix_sort_onesweep_iterationIS3_Lb0EN6thrust23THRUST_200600_302600_NS6detail15normal_iteratorINS9_10device_ptrItEEEESE_PS5_SF_jNS0_19identity_decomposerENS1_16block_id_wrapperIjLb1EEEEE10hipError_tT1_PNSt15iterator_traitsISK_E10value_typeET2_T3_PNSL_ISQ_E10value_typeET4_T5_PSV_SW_PNS1_23onesweep_lookback_stateEbbT6_jjT7_P12ihipStream_tbENKUlT_T0_SK_SP_E_clISE_PtSF_SF_EEDaS13_S14_SK_SP_EUlS13_E_NS1_11comp_targetILNS1_3genE0ELNS1_11target_archE4294967295ELNS1_3gpuE0ELNS1_3repE0EEENS1_47radix_sort_onesweep_sort_config_static_selectorELNS0_4arch9wavefront6targetE1EEEvSK_
    .private_segment_fixed_size: 0
    .sgpr_count:     4
    .sgpr_spill_count: 0
    .symbol:         _ZN7rocprim17ROCPRIM_400000_NS6detail17trampoline_kernelINS0_14default_configENS1_35radix_sort_onesweep_config_selectorItNS0_10empty_typeEEEZZNS1_29radix_sort_onesweep_iterationIS3_Lb0EN6thrust23THRUST_200600_302600_NS6detail15normal_iteratorINS9_10device_ptrItEEEESE_PS5_SF_jNS0_19identity_decomposerENS1_16block_id_wrapperIjLb1EEEEE10hipError_tT1_PNSt15iterator_traitsISK_E10value_typeET2_T3_PNSL_ISQ_E10value_typeET4_T5_PSV_SW_PNS1_23onesweep_lookback_stateEbbT6_jjT7_P12ihipStream_tbENKUlT_T0_SK_SP_E_clISE_PtSF_SF_EEDaS13_S14_SK_SP_EUlS13_E_NS1_11comp_targetILNS1_3genE0ELNS1_11target_archE4294967295ELNS1_3gpuE0ELNS1_3repE0EEENS1_47radix_sort_onesweep_sort_config_static_selectorELNS0_4arch9wavefront6targetE1EEEvSK_.kd
    .uniform_work_group_size: 1
    .uses_dynamic_stack: false
    .vgpr_count:     0
    .vgpr_spill_count: 0
    .wavefront_size: 64
  - .agpr_count:     0
    .args:
      - .offset:         0
        .size:           88
        .value_kind:     by_value
    .group_segment_fixed_size: 0
    .kernarg_segment_align: 8
    .kernarg_segment_size: 88
    .language:       OpenCL C
    .language_version:
      - 2
      - 0
    .max_flat_workgroup_size: 1024
    .name:           _ZN7rocprim17ROCPRIM_400000_NS6detail17trampoline_kernelINS0_14default_configENS1_35radix_sort_onesweep_config_selectorItNS0_10empty_typeEEEZZNS1_29radix_sort_onesweep_iterationIS3_Lb0EN6thrust23THRUST_200600_302600_NS6detail15normal_iteratorINS9_10device_ptrItEEEESE_PS5_SF_jNS0_19identity_decomposerENS1_16block_id_wrapperIjLb1EEEEE10hipError_tT1_PNSt15iterator_traitsISK_E10value_typeET2_T3_PNSL_ISQ_E10value_typeET4_T5_PSV_SW_PNS1_23onesweep_lookback_stateEbbT6_jjT7_P12ihipStream_tbENKUlT_T0_SK_SP_E_clISE_PtSF_SF_EEDaS13_S14_SK_SP_EUlS13_E_NS1_11comp_targetILNS1_3genE6ELNS1_11target_archE950ELNS1_3gpuE13ELNS1_3repE0EEENS1_47radix_sort_onesweep_sort_config_static_selectorELNS0_4arch9wavefront6targetE1EEEvSK_
    .private_segment_fixed_size: 0
    .sgpr_count:     4
    .sgpr_spill_count: 0
    .symbol:         _ZN7rocprim17ROCPRIM_400000_NS6detail17trampoline_kernelINS0_14default_configENS1_35radix_sort_onesweep_config_selectorItNS0_10empty_typeEEEZZNS1_29radix_sort_onesweep_iterationIS3_Lb0EN6thrust23THRUST_200600_302600_NS6detail15normal_iteratorINS9_10device_ptrItEEEESE_PS5_SF_jNS0_19identity_decomposerENS1_16block_id_wrapperIjLb1EEEEE10hipError_tT1_PNSt15iterator_traitsISK_E10value_typeET2_T3_PNSL_ISQ_E10value_typeET4_T5_PSV_SW_PNS1_23onesweep_lookback_stateEbbT6_jjT7_P12ihipStream_tbENKUlT_T0_SK_SP_E_clISE_PtSF_SF_EEDaS13_S14_SK_SP_EUlS13_E_NS1_11comp_targetILNS1_3genE6ELNS1_11target_archE950ELNS1_3gpuE13ELNS1_3repE0EEENS1_47radix_sort_onesweep_sort_config_static_selectorELNS0_4arch9wavefront6targetE1EEEvSK_.kd
    .uniform_work_group_size: 1
    .uses_dynamic_stack: false
    .vgpr_count:     0
    .vgpr_spill_count: 0
    .wavefront_size: 64
  - .agpr_count:     0
    .args:
      - .offset:         0
        .size:           88
        .value_kind:     by_value
    .group_segment_fixed_size: 0
    .kernarg_segment_align: 8
    .kernarg_segment_size: 88
    .language:       OpenCL C
    .language_version:
      - 2
      - 0
    .max_flat_workgroup_size: 1024
    .name:           _ZN7rocprim17ROCPRIM_400000_NS6detail17trampoline_kernelINS0_14default_configENS1_35radix_sort_onesweep_config_selectorItNS0_10empty_typeEEEZZNS1_29radix_sort_onesweep_iterationIS3_Lb0EN6thrust23THRUST_200600_302600_NS6detail15normal_iteratorINS9_10device_ptrItEEEESE_PS5_SF_jNS0_19identity_decomposerENS1_16block_id_wrapperIjLb1EEEEE10hipError_tT1_PNSt15iterator_traitsISK_E10value_typeET2_T3_PNSL_ISQ_E10value_typeET4_T5_PSV_SW_PNS1_23onesweep_lookback_stateEbbT6_jjT7_P12ihipStream_tbENKUlT_T0_SK_SP_E_clISE_PtSF_SF_EEDaS13_S14_SK_SP_EUlS13_E_NS1_11comp_targetILNS1_3genE5ELNS1_11target_archE942ELNS1_3gpuE9ELNS1_3repE0EEENS1_47radix_sort_onesweep_sort_config_static_selectorELNS0_4arch9wavefront6targetE1EEEvSK_
    .private_segment_fixed_size: 0
    .sgpr_count:     4
    .sgpr_spill_count: 0
    .symbol:         _ZN7rocprim17ROCPRIM_400000_NS6detail17trampoline_kernelINS0_14default_configENS1_35radix_sort_onesweep_config_selectorItNS0_10empty_typeEEEZZNS1_29radix_sort_onesweep_iterationIS3_Lb0EN6thrust23THRUST_200600_302600_NS6detail15normal_iteratorINS9_10device_ptrItEEEESE_PS5_SF_jNS0_19identity_decomposerENS1_16block_id_wrapperIjLb1EEEEE10hipError_tT1_PNSt15iterator_traitsISK_E10value_typeET2_T3_PNSL_ISQ_E10value_typeET4_T5_PSV_SW_PNS1_23onesweep_lookback_stateEbbT6_jjT7_P12ihipStream_tbENKUlT_T0_SK_SP_E_clISE_PtSF_SF_EEDaS13_S14_SK_SP_EUlS13_E_NS1_11comp_targetILNS1_3genE5ELNS1_11target_archE942ELNS1_3gpuE9ELNS1_3repE0EEENS1_47radix_sort_onesweep_sort_config_static_selectorELNS0_4arch9wavefront6targetE1EEEvSK_.kd
    .uniform_work_group_size: 1
    .uses_dynamic_stack: false
    .vgpr_count:     0
    .vgpr_spill_count: 0
    .wavefront_size: 64
  - .agpr_count:     0
    .args:
      - .offset:         0
        .size:           88
        .value_kind:     by_value
    .group_segment_fixed_size: 0
    .kernarg_segment_align: 8
    .kernarg_segment_size: 88
    .language:       OpenCL C
    .language_version:
      - 2
      - 0
    .max_flat_workgroup_size: 512
    .name:           _ZN7rocprim17ROCPRIM_400000_NS6detail17trampoline_kernelINS0_14default_configENS1_35radix_sort_onesweep_config_selectorItNS0_10empty_typeEEEZZNS1_29radix_sort_onesweep_iterationIS3_Lb0EN6thrust23THRUST_200600_302600_NS6detail15normal_iteratorINS9_10device_ptrItEEEESE_PS5_SF_jNS0_19identity_decomposerENS1_16block_id_wrapperIjLb1EEEEE10hipError_tT1_PNSt15iterator_traitsISK_E10value_typeET2_T3_PNSL_ISQ_E10value_typeET4_T5_PSV_SW_PNS1_23onesweep_lookback_stateEbbT6_jjT7_P12ihipStream_tbENKUlT_T0_SK_SP_E_clISE_PtSF_SF_EEDaS13_S14_SK_SP_EUlS13_E_NS1_11comp_targetILNS1_3genE2ELNS1_11target_archE906ELNS1_3gpuE6ELNS1_3repE0EEENS1_47radix_sort_onesweep_sort_config_static_selectorELNS0_4arch9wavefront6targetE1EEEvSK_
    .private_segment_fixed_size: 0
    .sgpr_count:     4
    .sgpr_spill_count: 0
    .symbol:         _ZN7rocprim17ROCPRIM_400000_NS6detail17trampoline_kernelINS0_14default_configENS1_35radix_sort_onesweep_config_selectorItNS0_10empty_typeEEEZZNS1_29radix_sort_onesweep_iterationIS3_Lb0EN6thrust23THRUST_200600_302600_NS6detail15normal_iteratorINS9_10device_ptrItEEEESE_PS5_SF_jNS0_19identity_decomposerENS1_16block_id_wrapperIjLb1EEEEE10hipError_tT1_PNSt15iterator_traitsISK_E10value_typeET2_T3_PNSL_ISQ_E10value_typeET4_T5_PSV_SW_PNS1_23onesweep_lookback_stateEbbT6_jjT7_P12ihipStream_tbENKUlT_T0_SK_SP_E_clISE_PtSF_SF_EEDaS13_S14_SK_SP_EUlS13_E_NS1_11comp_targetILNS1_3genE2ELNS1_11target_archE906ELNS1_3gpuE6ELNS1_3repE0EEENS1_47radix_sort_onesweep_sort_config_static_selectorELNS0_4arch9wavefront6targetE1EEEvSK_.kd
    .uniform_work_group_size: 1
    .uses_dynamic_stack: false
    .vgpr_count:     0
    .vgpr_spill_count: 0
    .wavefront_size: 64
  - .agpr_count:     0
    .args:
      - .offset:         0
        .size:           88
        .value_kind:     by_value
      - .offset:         88
        .size:           4
        .value_kind:     hidden_block_count_x
      - .offset:         92
        .size:           4
        .value_kind:     hidden_block_count_y
      - .offset:         96
        .size:           4
        .value_kind:     hidden_block_count_z
      - .offset:         100
        .size:           2
        .value_kind:     hidden_group_size_x
      - .offset:         102
        .size:           2
        .value_kind:     hidden_group_size_y
      - .offset:         104
        .size:           2
        .value_kind:     hidden_group_size_z
      - .offset:         106
        .size:           2
        .value_kind:     hidden_remainder_x
      - .offset:         108
        .size:           2
        .value_kind:     hidden_remainder_y
      - .offset:         110
        .size:           2
        .value_kind:     hidden_remainder_z
      - .offset:         128
        .size:           8
        .value_kind:     hidden_global_offset_x
      - .offset:         136
        .size:           8
        .value_kind:     hidden_global_offset_y
      - .offset:         144
        .size:           8
        .value_kind:     hidden_global_offset_z
      - .offset:         152
        .size:           2
        .value_kind:     hidden_grid_dims
    .group_segment_fixed_size: 25608
    .kernarg_segment_align: 8
    .kernarg_segment_size: 344
    .language:       OpenCL C
    .language_version:
      - 2
      - 0
    .max_flat_workgroup_size: 1024
    .name:           _ZN7rocprim17ROCPRIM_400000_NS6detail17trampoline_kernelINS0_14default_configENS1_35radix_sort_onesweep_config_selectorItNS0_10empty_typeEEEZZNS1_29radix_sort_onesweep_iterationIS3_Lb0EN6thrust23THRUST_200600_302600_NS6detail15normal_iteratorINS9_10device_ptrItEEEESE_PS5_SF_jNS0_19identity_decomposerENS1_16block_id_wrapperIjLb1EEEEE10hipError_tT1_PNSt15iterator_traitsISK_E10value_typeET2_T3_PNSL_ISQ_E10value_typeET4_T5_PSV_SW_PNS1_23onesweep_lookback_stateEbbT6_jjT7_P12ihipStream_tbENKUlT_T0_SK_SP_E_clISE_PtSF_SF_EEDaS13_S14_SK_SP_EUlS13_E_NS1_11comp_targetILNS1_3genE4ELNS1_11target_archE910ELNS1_3gpuE8ELNS1_3repE0EEENS1_47radix_sort_onesweep_sort_config_static_selectorELNS0_4arch9wavefront6targetE1EEEvSK_
    .private_segment_fixed_size: 0
    .sgpr_count:     39
    .sgpr_spill_count: 0
    .symbol:         _ZN7rocprim17ROCPRIM_400000_NS6detail17trampoline_kernelINS0_14default_configENS1_35radix_sort_onesweep_config_selectorItNS0_10empty_typeEEEZZNS1_29radix_sort_onesweep_iterationIS3_Lb0EN6thrust23THRUST_200600_302600_NS6detail15normal_iteratorINS9_10device_ptrItEEEESE_PS5_SF_jNS0_19identity_decomposerENS1_16block_id_wrapperIjLb1EEEEE10hipError_tT1_PNSt15iterator_traitsISK_E10value_typeET2_T3_PNSL_ISQ_E10value_typeET4_T5_PSV_SW_PNS1_23onesweep_lookback_stateEbbT6_jjT7_P12ihipStream_tbENKUlT_T0_SK_SP_E_clISE_PtSF_SF_EEDaS13_S14_SK_SP_EUlS13_E_NS1_11comp_targetILNS1_3genE4ELNS1_11target_archE910ELNS1_3gpuE8ELNS1_3repE0EEENS1_47radix_sort_onesweep_sort_config_static_selectorELNS0_4arch9wavefront6targetE1EEEvSK_.kd
    .uniform_work_group_size: 1
    .uses_dynamic_stack: false
    .vgpr_count:     62
    .vgpr_spill_count: 0
    .wavefront_size: 64
  - .agpr_count:     0
    .args:
      - .offset:         0
        .size:           88
        .value_kind:     by_value
    .group_segment_fixed_size: 0
    .kernarg_segment_align: 8
    .kernarg_segment_size: 88
    .language:       OpenCL C
    .language_version:
      - 2
      - 0
    .max_flat_workgroup_size: 512
    .name:           _ZN7rocprim17ROCPRIM_400000_NS6detail17trampoline_kernelINS0_14default_configENS1_35radix_sort_onesweep_config_selectorItNS0_10empty_typeEEEZZNS1_29radix_sort_onesweep_iterationIS3_Lb0EN6thrust23THRUST_200600_302600_NS6detail15normal_iteratorINS9_10device_ptrItEEEESE_PS5_SF_jNS0_19identity_decomposerENS1_16block_id_wrapperIjLb1EEEEE10hipError_tT1_PNSt15iterator_traitsISK_E10value_typeET2_T3_PNSL_ISQ_E10value_typeET4_T5_PSV_SW_PNS1_23onesweep_lookback_stateEbbT6_jjT7_P12ihipStream_tbENKUlT_T0_SK_SP_E_clISE_PtSF_SF_EEDaS13_S14_SK_SP_EUlS13_E_NS1_11comp_targetILNS1_3genE3ELNS1_11target_archE908ELNS1_3gpuE7ELNS1_3repE0EEENS1_47radix_sort_onesweep_sort_config_static_selectorELNS0_4arch9wavefront6targetE1EEEvSK_
    .private_segment_fixed_size: 0
    .sgpr_count:     4
    .sgpr_spill_count: 0
    .symbol:         _ZN7rocprim17ROCPRIM_400000_NS6detail17trampoline_kernelINS0_14default_configENS1_35radix_sort_onesweep_config_selectorItNS0_10empty_typeEEEZZNS1_29radix_sort_onesweep_iterationIS3_Lb0EN6thrust23THRUST_200600_302600_NS6detail15normal_iteratorINS9_10device_ptrItEEEESE_PS5_SF_jNS0_19identity_decomposerENS1_16block_id_wrapperIjLb1EEEEE10hipError_tT1_PNSt15iterator_traitsISK_E10value_typeET2_T3_PNSL_ISQ_E10value_typeET4_T5_PSV_SW_PNS1_23onesweep_lookback_stateEbbT6_jjT7_P12ihipStream_tbENKUlT_T0_SK_SP_E_clISE_PtSF_SF_EEDaS13_S14_SK_SP_EUlS13_E_NS1_11comp_targetILNS1_3genE3ELNS1_11target_archE908ELNS1_3gpuE7ELNS1_3repE0EEENS1_47radix_sort_onesweep_sort_config_static_selectorELNS0_4arch9wavefront6targetE1EEEvSK_.kd
    .uniform_work_group_size: 1
    .uses_dynamic_stack: false
    .vgpr_count:     0
    .vgpr_spill_count: 0
    .wavefront_size: 64
  - .agpr_count:     0
    .args:
      - .offset:         0
        .size:           88
        .value_kind:     by_value
    .group_segment_fixed_size: 0
    .kernarg_segment_align: 8
    .kernarg_segment_size: 88
    .language:       OpenCL C
    .language_version:
      - 2
      - 0
    .max_flat_workgroup_size: 256
    .name:           _ZN7rocprim17ROCPRIM_400000_NS6detail17trampoline_kernelINS0_14default_configENS1_35radix_sort_onesweep_config_selectorItNS0_10empty_typeEEEZZNS1_29radix_sort_onesweep_iterationIS3_Lb0EN6thrust23THRUST_200600_302600_NS6detail15normal_iteratorINS9_10device_ptrItEEEESE_PS5_SF_jNS0_19identity_decomposerENS1_16block_id_wrapperIjLb1EEEEE10hipError_tT1_PNSt15iterator_traitsISK_E10value_typeET2_T3_PNSL_ISQ_E10value_typeET4_T5_PSV_SW_PNS1_23onesweep_lookback_stateEbbT6_jjT7_P12ihipStream_tbENKUlT_T0_SK_SP_E_clISE_PtSF_SF_EEDaS13_S14_SK_SP_EUlS13_E_NS1_11comp_targetILNS1_3genE10ELNS1_11target_archE1201ELNS1_3gpuE5ELNS1_3repE0EEENS1_47radix_sort_onesweep_sort_config_static_selectorELNS0_4arch9wavefront6targetE1EEEvSK_
    .private_segment_fixed_size: 0
    .sgpr_count:     4
    .sgpr_spill_count: 0
    .symbol:         _ZN7rocprim17ROCPRIM_400000_NS6detail17trampoline_kernelINS0_14default_configENS1_35radix_sort_onesweep_config_selectorItNS0_10empty_typeEEEZZNS1_29radix_sort_onesweep_iterationIS3_Lb0EN6thrust23THRUST_200600_302600_NS6detail15normal_iteratorINS9_10device_ptrItEEEESE_PS5_SF_jNS0_19identity_decomposerENS1_16block_id_wrapperIjLb1EEEEE10hipError_tT1_PNSt15iterator_traitsISK_E10value_typeET2_T3_PNSL_ISQ_E10value_typeET4_T5_PSV_SW_PNS1_23onesweep_lookback_stateEbbT6_jjT7_P12ihipStream_tbENKUlT_T0_SK_SP_E_clISE_PtSF_SF_EEDaS13_S14_SK_SP_EUlS13_E_NS1_11comp_targetILNS1_3genE10ELNS1_11target_archE1201ELNS1_3gpuE5ELNS1_3repE0EEENS1_47radix_sort_onesweep_sort_config_static_selectorELNS0_4arch9wavefront6targetE1EEEvSK_.kd
    .uniform_work_group_size: 1
    .uses_dynamic_stack: false
    .vgpr_count:     0
    .vgpr_spill_count: 0
    .wavefront_size: 64
  - .agpr_count:     0
    .args:
      - .offset:         0
        .size:           88
        .value_kind:     by_value
    .group_segment_fixed_size: 0
    .kernarg_segment_align: 8
    .kernarg_segment_size: 88
    .language:       OpenCL C
    .language_version:
      - 2
      - 0
    .max_flat_workgroup_size: 256
    .name:           _ZN7rocprim17ROCPRIM_400000_NS6detail17trampoline_kernelINS0_14default_configENS1_35radix_sort_onesweep_config_selectorItNS0_10empty_typeEEEZZNS1_29radix_sort_onesweep_iterationIS3_Lb0EN6thrust23THRUST_200600_302600_NS6detail15normal_iteratorINS9_10device_ptrItEEEESE_PS5_SF_jNS0_19identity_decomposerENS1_16block_id_wrapperIjLb1EEEEE10hipError_tT1_PNSt15iterator_traitsISK_E10value_typeET2_T3_PNSL_ISQ_E10value_typeET4_T5_PSV_SW_PNS1_23onesweep_lookback_stateEbbT6_jjT7_P12ihipStream_tbENKUlT_T0_SK_SP_E_clISE_PtSF_SF_EEDaS13_S14_SK_SP_EUlS13_E_NS1_11comp_targetILNS1_3genE9ELNS1_11target_archE1100ELNS1_3gpuE3ELNS1_3repE0EEENS1_47radix_sort_onesweep_sort_config_static_selectorELNS0_4arch9wavefront6targetE1EEEvSK_
    .private_segment_fixed_size: 0
    .sgpr_count:     4
    .sgpr_spill_count: 0
    .symbol:         _ZN7rocprim17ROCPRIM_400000_NS6detail17trampoline_kernelINS0_14default_configENS1_35radix_sort_onesweep_config_selectorItNS0_10empty_typeEEEZZNS1_29radix_sort_onesweep_iterationIS3_Lb0EN6thrust23THRUST_200600_302600_NS6detail15normal_iteratorINS9_10device_ptrItEEEESE_PS5_SF_jNS0_19identity_decomposerENS1_16block_id_wrapperIjLb1EEEEE10hipError_tT1_PNSt15iterator_traitsISK_E10value_typeET2_T3_PNSL_ISQ_E10value_typeET4_T5_PSV_SW_PNS1_23onesweep_lookback_stateEbbT6_jjT7_P12ihipStream_tbENKUlT_T0_SK_SP_E_clISE_PtSF_SF_EEDaS13_S14_SK_SP_EUlS13_E_NS1_11comp_targetILNS1_3genE9ELNS1_11target_archE1100ELNS1_3gpuE3ELNS1_3repE0EEENS1_47radix_sort_onesweep_sort_config_static_selectorELNS0_4arch9wavefront6targetE1EEEvSK_.kd
    .uniform_work_group_size: 1
    .uses_dynamic_stack: false
    .vgpr_count:     0
    .vgpr_spill_count: 0
    .wavefront_size: 64
  - .agpr_count:     0
    .args:
      - .offset:         0
        .size:           88
        .value_kind:     by_value
    .group_segment_fixed_size: 0
    .kernarg_segment_align: 8
    .kernarg_segment_size: 88
    .language:       OpenCL C
    .language_version:
      - 2
      - 0
    .max_flat_workgroup_size: 256
    .name:           _ZN7rocprim17ROCPRIM_400000_NS6detail17trampoline_kernelINS0_14default_configENS1_35radix_sort_onesweep_config_selectorItNS0_10empty_typeEEEZZNS1_29radix_sort_onesweep_iterationIS3_Lb0EN6thrust23THRUST_200600_302600_NS6detail15normal_iteratorINS9_10device_ptrItEEEESE_PS5_SF_jNS0_19identity_decomposerENS1_16block_id_wrapperIjLb1EEEEE10hipError_tT1_PNSt15iterator_traitsISK_E10value_typeET2_T3_PNSL_ISQ_E10value_typeET4_T5_PSV_SW_PNS1_23onesweep_lookback_stateEbbT6_jjT7_P12ihipStream_tbENKUlT_T0_SK_SP_E_clISE_PtSF_SF_EEDaS13_S14_SK_SP_EUlS13_E_NS1_11comp_targetILNS1_3genE8ELNS1_11target_archE1030ELNS1_3gpuE2ELNS1_3repE0EEENS1_47radix_sort_onesweep_sort_config_static_selectorELNS0_4arch9wavefront6targetE1EEEvSK_
    .private_segment_fixed_size: 0
    .sgpr_count:     4
    .sgpr_spill_count: 0
    .symbol:         _ZN7rocprim17ROCPRIM_400000_NS6detail17trampoline_kernelINS0_14default_configENS1_35radix_sort_onesweep_config_selectorItNS0_10empty_typeEEEZZNS1_29radix_sort_onesweep_iterationIS3_Lb0EN6thrust23THRUST_200600_302600_NS6detail15normal_iteratorINS9_10device_ptrItEEEESE_PS5_SF_jNS0_19identity_decomposerENS1_16block_id_wrapperIjLb1EEEEE10hipError_tT1_PNSt15iterator_traitsISK_E10value_typeET2_T3_PNSL_ISQ_E10value_typeET4_T5_PSV_SW_PNS1_23onesweep_lookback_stateEbbT6_jjT7_P12ihipStream_tbENKUlT_T0_SK_SP_E_clISE_PtSF_SF_EEDaS13_S14_SK_SP_EUlS13_E_NS1_11comp_targetILNS1_3genE8ELNS1_11target_archE1030ELNS1_3gpuE2ELNS1_3repE0EEENS1_47radix_sort_onesweep_sort_config_static_selectorELNS0_4arch9wavefront6targetE1EEEvSK_.kd
    .uniform_work_group_size: 1
    .uses_dynamic_stack: false
    .vgpr_count:     0
    .vgpr_spill_count: 0
    .wavefront_size: 64
  - .agpr_count:     0
    .args:
      - .offset:         0
        .size:           88
        .value_kind:     by_value
    .group_segment_fixed_size: 0
    .kernarg_segment_align: 8
    .kernarg_segment_size: 88
    .language:       OpenCL C
    .language_version:
      - 2
      - 0
    .max_flat_workgroup_size: 512
    .name:           _ZN7rocprim17ROCPRIM_400000_NS6detail17trampoline_kernelINS0_14default_configENS1_35radix_sort_onesweep_config_selectorItNS0_10empty_typeEEEZZNS1_29radix_sort_onesweep_iterationIS3_Lb0EN6thrust23THRUST_200600_302600_NS6detail15normal_iteratorINS9_10device_ptrItEEEESE_PS5_SF_jNS0_19identity_decomposerENS1_16block_id_wrapperIjLb1EEEEE10hipError_tT1_PNSt15iterator_traitsISK_E10value_typeET2_T3_PNSL_ISQ_E10value_typeET4_T5_PSV_SW_PNS1_23onesweep_lookback_stateEbbT6_jjT7_P12ihipStream_tbENKUlT_T0_SK_SP_E_clIPtSE_SF_SF_EEDaS13_S14_SK_SP_EUlS13_E_NS1_11comp_targetILNS1_3genE0ELNS1_11target_archE4294967295ELNS1_3gpuE0ELNS1_3repE0EEENS1_47radix_sort_onesweep_sort_config_static_selectorELNS0_4arch9wavefront6targetE1EEEvSK_
    .private_segment_fixed_size: 0
    .sgpr_count:     4
    .sgpr_spill_count: 0
    .symbol:         _ZN7rocprim17ROCPRIM_400000_NS6detail17trampoline_kernelINS0_14default_configENS1_35radix_sort_onesweep_config_selectorItNS0_10empty_typeEEEZZNS1_29radix_sort_onesweep_iterationIS3_Lb0EN6thrust23THRUST_200600_302600_NS6detail15normal_iteratorINS9_10device_ptrItEEEESE_PS5_SF_jNS0_19identity_decomposerENS1_16block_id_wrapperIjLb1EEEEE10hipError_tT1_PNSt15iterator_traitsISK_E10value_typeET2_T3_PNSL_ISQ_E10value_typeET4_T5_PSV_SW_PNS1_23onesweep_lookback_stateEbbT6_jjT7_P12ihipStream_tbENKUlT_T0_SK_SP_E_clIPtSE_SF_SF_EEDaS13_S14_SK_SP_EUlS13_E_NS1_11comp_targetILNS1_3genE0ELNS1_11target_archE4294967295ELNS1_3gpuE0ELNS1_3repE0EEENS1_47radix_sort_onesweep_sort_config_static_selectorELNS0_4arch9wavefront6targetE1EEEvSK_.kd
    .uniform_work_group_size: 1
    .uses_dynamic_stack: false
    .vgpr_count:     0
    .vgpr_spill_count: 0
    .wavefront_size: 64
  - .agpr_count:     0
    .args:
      - .offset:         0
        .size:           88
        .value_kind:     by_value
    .group_segment_fixed_size: 0
    .kernarg_segment_align: 8
    .kernarg_segment_size: 88
    .language:       OpenCL C
    .language_version:
      - 2
      - 0
    .max_flat_workgroup_size: 1024
    .name:           _ZN7rocprim17ROCPRIM_400000_NS6detail17trampoline_kernelINS0_14default_configENS1_35radix_sort_onesweep_config_selectorItNS0_10empty_typeEEEZZNS1_29radix_sort_onesweep_iterationIS3_Lb0EN6thrust23THRUST_200600_302600_NS6detail15normal_iteratorINS9_10device_ptrItEEEESE_PS5_SF_jNS0_19identity_decomposerENS1_16block_id_wrapperIjLb1EEEEE10hipError_tT1_PNSt15iterator_traitsISK_E10value_typeET2_T3_PNSL_ISQ_E10value_typeET4_T5_PSV_SW_PNS1_23onesweep_lookback_stateEbbT6_jjT7_P12ihipStream_tbENKUlT_T0_SK_SP_E_clIPtSE_SF_SF_EEDaS13_S14_SK_SP_EUlS13_E_NS1_11comp_targetILNS1_3genE6ELNS1_11target_archE950ELNS1_3gpuE13ELNS1_3repE0EEENS1_47radix_sort_onesweep_sort_config_static_selectorELNS0_4arch9wavefront6targetE1EEEvSK_
    .private_segment_fixed_size: 0
    .sgpr_count:     4
    .sgpr_spill_count: 0
    .symbol:         _ZN7rocprim17ROCPRIM_400000_NS6detail17trampoline_kernelINS0_14default_configENS1_35radix_sort_onesweep_config_selectorItNS0_10empty_typeEEEZZNS1_29radix_sort_onesweep_iterationIS3_Lb0EN6thrust23THRUST_200600_302600_NS6detail15normal_iteratorINS9_10device_ptrItEEEESE_PS5_SF_jNS0_19identity_decomposerENS1_16block_id_wrapperIjLb1EEEEE10hipError_tT1_PNSt15iterator_traitsISK_E10value_typeET2_T3_PNSL_ISQ_E10value_typeET4_T5_PSV_SW_PNS1_23onesweep_lookback_stateEbbT6_jjT7_P12ihipStream_tbENKUlT_T0_SK_SP_E_clIPtSE_SF_SF_EEDaS13_S14_SK_SP_EUlS13_E_NS1_11comp_targetILNS1_3genE6ELNS1_11target_archE950ELNS1_3gpuE13ELNS1_3repE0EEENS1_47radix_sort_onesweep_sort_config_static_selectorELNS0_4arch9wavefront6targetE1EEEvSK_.kd
    .uniform_work_group_size: 1
    .uses_dynamic_stack: false
    .vgpr_count:     0
    .vgpr_spill_count: 0
    .wavefront_size: 64
  - .agpr_count:     0
    .args:
      - .offset:         0
        .size:           88
        .value_kind:     by_value
    .group_segment_fixed_size: 0
    .kernarg_segment_align: 8
    .kernarg_segment_size: 88
    .language:       OpenCL C
    .language_version:
      - 2
      - 0
    .max_flat_workgroup_size: 1024
    .name:           _ZN7rocprim17ROCPRIM_400000_NS6detail17trampoline_kernelINS0_14default_configENS1_35radix_sort_onesweep_config_selectorItNS0_10empty_typeEEEZZNS1_29radix_sort_onesweep_iterationIS3_Lb0EN6thrust23THRUST_200600_302600_NS6detail15normal_iteratorINS9_10device_ptrItEEEESE_PS5_SF_jNS0_19identity_decomposerENS1_16block_id_wrapperIjLb1EEEEE10hipError_tT1_PNSt15iterator_traitsISK_E10value_typeET2_T3_PNSL_ISQ_E10value_typeET4_T5_PSV_SW_PNS1_23onesweep_lookback_stateEbbT6_jjT7_P12ihipStream_tbENKUlT_T0_SK_SP_E_clIPtSE_SF_SF_EEDaS13_S14_SK_SP_EUlS13_E_NS1_11comp_targetILNS1_3genE5ELNS1_11target_archE942ELNS1_3gpuE9ELNS1_3repE0EEENS1_47radix_sort_onesweep_sort_config_static_selectorELNS0_4arch9wavefront6targetE1EEEvSK_
    .private_segment_fixed_size: 0
    .sgpr_count:     4
    .sgpr_spill_count: 0
    .symbol:         _ZN7rocprim17ROCPRIM_400000_NS6detail17trampoline_kernelINS0_14default_configENS1_35radix_sort_onesweep_config_selectorItNS0_10empty_typeEEEZZNS1_29radix_sort_onesweep_iterationIS3_Lb0EN6thrust23THRUST_200600_302600_NS6detail15normal_iteratorINS9_10device_ptrItEEEESE_PS5_SF_jNS0_19identity_decomposerENS1_16block_id_wrapperIjLb1EEEEE10hipError_tT1_PNSt15iterator_traitsISK_E10value_typeET2_T3_PNSL_ISQ_E10value_typeET4_T5_PSV_SW_PNS1_23onesweep_lookback_stateEbbT6_jjT7_P12ihipStream_tbENKUlT_T0_SK_SP_E_clIPtSE_SF_SF_EEDaS13_S14_SK_SP_EUlS13_E_NS1_11comp_targetILNS1_3genE5ELNS1_11target_archE942ELNS1_3gpuE9ELNS1_3repE0EEENS1_47radix_sort_onesweep_sort_config_static_selectorELNS0_4arch9wavefront6targetE1EEEvSK_.kd
    .uniform_work_group_size: 1
    .uses_dynamic_stack: false
    .vgpr_count:     0
    .vgpr_spill_count: 0
    .wavefront_size: 64
  - .agpr_count:     0
    .args:
      - .offset:         0
        .size:           88
        .value_kind:     by_value
    .group_segment_fixed_size: 0
    .kernarg_segment_align: 8
    .kernarg_segment_size: 88
    .language:       OpenCL C
    .language_version:
      - 2
      - 0
    .max_flat_workgroup_size: 512
    .name:           _ZN7rocprim17ROCPRIM_400000_NS6detail17trampoline_kernelINS0_14default_configENS1_35radix_sort_onesweep_config_selectorItNS0_10empty_typeEEEZZNS1_29radix_sort_onesweep_iterationIS3_Lb0EN6thrust23THRUST_200600_302600_NS6detail15normal_iteratorINS9_10device_ptrItEEEESE_PS5_SF_jNS0_19identity_decomposerENS1_16block_id_wrapperIjLb1EEEEE10hipError_tT1_PNSt15iterator_traitsISK_E10value_typeET2_T3_PNSL_ISQ_E10value_typeET4_T5_PSV_SW_PNS1_23onesweep_lookback_stateEbbT6_jjT7_P12ihipStream_tbENKUlT_T0_SK_SP_E_clIPtSE_SF_SF_EEDaS13_S14_SK_SP_EUlS13_E_NS1_11comp_targetILNS1_3genE2ELNS1_11target_archE906ELNS1_3gpuE6ELNS1_3repE0EEENS1_47radix_sort_onesweep_sort_config_static_selectorELNS0_4arch9wavefront6targetE1EEEvSK_
    .private_segment_fixed_size: 0
    .sgpr_count:     4
    .sgpr_spill_count: 0
    .symbol:         _ZN7rocprim17ROCPRIM_400000_NS6detail17trampoline_kernelINS0_14default_configENS1_35radix_sort_onesweep_config_selectorItNS0_10empty_typeEEEZZNS1_29radix_sort_onesweep_iterationIS3_Lb0EN6thrust23THRUST_200600_302600_NS6detail15normal_iteratorINS9_10device_ptrItEEEESE_PS5_SF_jNS0_19identity_decomposerENS1_16block_id_wrapperIjLb1EEEEE10hipError_tT1_PNSt15iterator_traitsISK_E10value_typeET2_T3_PNSL_ISQ_E10value_typeET4_T5_PSV_SW_PNS1_23onesweep_lookback_stateEbbT6_jjT7_P12ihipStream_tbENKUlT_T0_SK_SP_E_clIPtSE_SF_SF_EEDaS13_S14_SK_SP_EUlS13_E_NS1_11comp_targetILNS1_3genE2ELNS1_11target_archE906ELNS1_3gpuE6ELNS1_3repE0EEENS1_47radix_sort_onesweep_sort_config_static_selectorELNS0_4arch9wavefront6targetE1EEEvSK_.kd
    .uniform_work_group_size: 1
    .uses_dynamic_stack: false
    .vgpr_count:     0
    .vgpr_spill_count: 0
    .wavefront_size: 64
  - .agpr_count:     0
    .args:
      - .offset:         0
        .size:           88
        .value_kind:     by_value
      - .offset:         88
        .size:           4
        .value_kind:     hidden_block_count_x
      - .offset:         92
        .size:           4
        .value_kind:     hidden_block_count_y
      - .offset:         96
        .size:           4
        .value_kind:     hidden_block_count_z
      - .offset:         100
        .size:           2
        .value_kind:     hidden_group_size_x
      - .offset:         102
        .size:           2
        .value_kind:     hidden_group_size_y
      - .offset:         104
        .size:           2
        .value_kind:     hidden_group_size_z
      - .offset:         106
        .size:           2
        .value_kind:     hidden_remainder_x
      - .offset:         108
        .size:           2
        .value_kind:     hidden_remainder_y
      - .offset:         110
        .size:           2
        .value_kind:     hidden_remainder_z
      - .offset:         128
        .size:           8
        .value_kind:     hidden_global_offset_x
      - .offset:         136
        .size:           8
        .value_kind:     hidden_global_offset_y
      - .offset:         144
        .size:           8
        .value_kind:     hidden_global_offset_z
      - .offset:         152
        .size:           2
        .value_kind:     hidden_grid_dims
    .group_segment_fixed_size: 25608
    .kernarg_segment_align: 8
    .kernarg_segment_size: 344
    .language:       OpenCL C
    .language_version:
      - 2
      - 0
    .max_flat_workgroup_size: 1024
    .name:           _ZN7rocprim17ROCPRIM_400000_NS6detail17trampoline_kernelINS0_14default_configENS1_35radix_sort_onesweep_config_selectorItNS0_10empty_typeEEEZZNS1_29radix_sort_onesweep_iterationIS3_Lb0EN6thrust23THRUST_200600_302600_NS6detail15normal_iteratorINS9_10device_ptrItEEEESE_PS5_SF_jNS0_19identity_decomposerENS1_16block_id_wrapperIjLb1EEEEE10hipError_tT1_PNSt15iterator_traitsISK_E10value_typeET2_T3_PNSL_ISQ_E10value_typeET4_T5_PSV_SW_PNS1_23onesweep_lookback_stateEbbT6_jjT7_P12ihipStream_tbENKUlT_T0_SK_SP_E_clIPtSE_SF_SF_EEDaS13_S14_SK_SP_EUlS13_E_NS1_11comp_targetILNS1_3genE4ELNS1_11target_archE910ELNS1_3gpuE8ELNS1_3repE0EEENS1_47radix_sort_onesweep_sort_config_static_selectorELNS0_4arch9wavefront6targetE1EEEvSK_
    .private_segment_fixed_size: 0
    .sgpr_count:     39
    .sgpr_spill_count: 0
    .symbol:         _ZN7rocprim17ROCPRIM_400000_NS6detail17trampoline_kernelINS0_14default_configENS1_35radix_sort_onesweep_config_selectorItNS0_10empty_typeEEEZZNS1_29radix_sort_onesweep_iterationIS3_Lb0EN6thrust23THRUST_200600_302600_NS6detail15normal_iteratorINS9_10device_ptrItEEEESE_PS5_SF_jNS0_19identity_decomposerENS1_16block_id_wrapperIjLb1EEEEE10hipError_tT1_PNSt15iterator_traitsISK_E10value_typeET2_T3_PNSL_ISQ_E10value_typeET4_T5_PSV_SW_PNS1_23onesweep_lookback_stateEbbT6_jjT7_P12ihipStream_tbENKUlT_T0_SK_SP_E_clIPtSE_SF_SF_EEDaS13_S14_SK_SP_EUlS13_E_NS1_11comp_targetILNS1_3genE4ELNS1_11target_archE910ELNS1_3gpuE8ELNS1_3repE0EEENS1_47radix_sort_onesweep_sort_config_static_selectorELNS0_4arch9wavefront6targetE1EEEvSK_.kd
    .uniform_work_group_size: 1
    .uses_dynamic_stack: false
    .vgpr_count:     62
    .vgpr_spill_count: 0
    .wavefront_size: 64
  - .agpr_count:     0
    .args:
      - .offset:         0
        .size:           88
        .value_kind:     by_value
    .group_segment_fixed_size: 0
    .kernarg_segment_align: 8
    .kernarg_segment_size: 88
    .language:       OpenCL C
    .language_version:
      - 2
      - 0
    .max_flat_workgroup_size: 512
    .name:           _ZN7rocprim17ROCPRIM_400000_NS6detail17trampoline_kernelINS0_14default_configENS1_35radix_sort_onesweep_config_selectorItNS0_10empty_typeEEEZZNS1_29radix_sort_onesweep_iterationIS3_Lb0EN6thrust23THRUST_200600_302600_NS6detail15normal_iteratorINS9_10device_ptrItEEEESE_PS5_SF_jNS0_19identity_decomposerENS1_16block_id_wrapperIjLb1EEEEE10hipError_tT1_PNSt15iterator_traitsISK_E10value_typeET2_T3_PNSL_ISQ_E10value_typeET4_T5_PSV_SW_PNS1_23onesweep_lookback_stateEbbT6_jjT7_P12ihipStream_tbENKUlT_T0_SK_SP_E_clIPtSE_SF_SF_EEDaS13_S14_SK_SP_EUlS13_E_NS1_11comp_targetILNS1_3genE3ELNS1_11target_archE908ELNS1_3gpuE7ELNS1_3repE0EEENS1_47radix_sort_onesweep_sort_config_static_selectorELNS0_4arch9wavefront6targetE1EEEvSK_
    .private_segment_fixed_size: 0
    .sgpr_count:     4
    .sgpr_spill_count: 0
    .symbol:         _ZN7rocprim17ROCPRIM_400000_NS6detail17trampoline_kernelINS0_14default_configENS1_35radix_sort_onesweep_config_selectorItNS0_10empty_typeEEEZZNS1_29radix_sort_onesweep_iterationIS3_Lb0EN6thrust23THRUST_200600_302600_NS6detail15normal_iteratorINS9_10device_ptrItEEEESE_PS5_SF_jNS0_19identity_decomposerENS1_16block_id_wrapperIjLb1EEEEE10hipError_tT1_PNSt15iterator_traitsISK_E10value_typeET2_T3_PNSL_ISQ_E10value_typeET4_T5_PSV_SW_PNS1_23onesweep_lookback_stateEbbT6_jjT7_P12ihipStream_tbENKUlT_T0_SK_SP_E_clIPtSE_SF_SF_EEDaS13_S14_SK_SP_EUlS13_E_NS1_11comp_targetILNS1_3genE3ELNS1_11target_archE908ELNS1_3gpuE7ELNS1_3repE0EEENS1_47radix_sort_onesweep_sort_config_static_selectorELNS0_4arch9wavefront6targetE1EEEvSK_.kd
    .uniform_work_group_size: 1
    .uses_dynamic_stack: false
    .vgpr_count:     0
    .vgpr_spill_count: 0
    .wavefront_size: 64
  - .agpr_count:     0
    .args:
      - .offset:         0
        .size:           88
        .value_kind:     by_value
    .group_segment_fixed_size: 0
    .kernarg_segment_align: 8
    .kernarg_segment_size: 88
    .language:       OpenCL C
    .language_version:
      - 2
      - 0
    .max_flat_workgroup_size: 256
    .name:           _ZN7rocprim17ROCPRIM_400000_NS6detail17trampoline_kernelINS0_14default_configENS1_35radix_sort_onesweep_config_selectorItNS0_10empty_typeEEEZZNS1_29radix_sort_onesweep_iterationIS3_Lb0EN6thrust23THRUST_200600_302600_NS6detail15normal_iteratorINS9_10device_ptrItEEEESE_PS5_SF_jNS0_19identity_decomposerENS1_16block_id_wrapperIjLb1EEEEE10hipError_tT1_PNSt15iterator_traitsISK_E10value_typeET2_T3_PNSL_ISQ_E10value_typeET4_T5_PSV_SW_PNS1_23onesweep_lookback_stateEbbT6_jjT7_P12ihipStream_tbENKUlT_T0_SK_SP_E_clIPtSE_SF_SF_EEDaS13_S14_SK_SP_EUlS13_E_NS1_11comp_targetILNS1_3genE10ELNS1_11target_archE1201ELNS1_3gpuE5ELNS1_3repE0EEENS1_47radix_sort_onesweep_sort_config_static_selectorELNS0_4arch9wavefront6targetE1EEEvSK_
    .private_segment_fixed_size: 0
    .sgpr_count:     4
    .sgpr_spill_count: 0
    .symbol:         _ZN7rocprim17ROCPRIM_400000_NS6detail17trampoline_kernelINS0_14default_configENS1_35radix_sort_onesweep_config_selectorItNS0_10empty_typeEEEZZNS1_29radix_sort_onesweep_iterationIS3_Lb0EN6thrust23THRUST_200600_302600_NS6detail15normal_iteratorINS9_10device_ptrItEEEESE_PS5_SF_jNS0_19identity_decomposerENS1_16block_id_wrapperIjLb1EEEEE10hipError_tT1_PNSt15iterator_traitsISK_E10value_typeET2_T3_PNSL_ISQ_E10value_typeET4_T5_PSV_SW_PNS1_23onesweep_lookback_stateEbbT6_jjT7_P12ihipStream_tbENKUlT_T0_SK_SP_E_clIPtSE_SF_SF_EEDaS13_S14_SK_SP_EUlS13_E_NS1_11comp_targetILNS1_3genE10ELNS1_11target_archE1201ELNS1_3gpuE5ELNS1_3repE0EEENS1_47radix_sort_onesweep_sort_config_static_selectorELNS0_4arch9wavefront6targetE1EEEvSK_.kd
    .uniform_work_group_size: 1
    .uses_dynamic_stack: false
    .vgpr_count:     0
    .vgpr_spill_count: 0
    .wavefront_size: 64
  - .agpr_count:     0
    .args:
      - .offset:         0
        .size:           88
        .value_kind:     by_value
    .group_segment_fixed_size: 0
    .kernarg_segment_align: 8
    .kernarg_segment_size: 88
    .language:       OpenCL C
    .language_version:
      - 2
      - 0
    .max_flat_workgroup_size: 256
    .name:           _ZN7rocprim17ROCPRIM_400000_NS6detail17trampoline_kernelINS0_14default_configENS1_35radix_sort_onesweep_config_selectorItNS0_10empty_typeEEEZZNS1_29radix_sort_onesweep_iterationIS3_Lb0EN6thrust23THRUST_200600_302600_NS6detail15normal_iteratorINS9_10device_ptrItEEEESE_PS5_SF_jNS0_19identity_decomposerENS1_16block_id_wrapperIjLb1EEEEE10hipError_tT1_PNSt15iterator_traitsISK_E10value_typeET2_T3_PNSL_ISQ_E10value_typeET4_T5_PSV_SW_PNS1_23onesweep_lookback_stateEbbT6_jjT7_P12ihipStream_tbENKUlT_T0_SK_SP_E_clIPtSE_SF_SF_EEDaS13_S14_SK_SP_EUlS13_E_NS1_11comp_targetILNS1_3genE9ELNS1_11target_archE1100ELNS1_3gpuE3ELNS1_3repE0EEENS1_47radix_sort_onesweep_sort_config_static_selectorELNS0_4arch9wavefront6targetE1EEEvSK_
    .private_segment_fixed_size: 0
    .sgpr_count:     4
    .sgpr_spill_count: 0
    .symbol:         _ZN7rocprim17ROCPRIM_400000_NS6detail17trampoline_kernelINS0_14default_configENS1_35radix_sort_onesweep_config_selectorItNS0_10empty_typeEEEZZNS1_29radix_sort_onesweep_iterationIS3_Lb0EN6thrust23THRUST_200600_302600_NS6detail15normal_iteratorINS9_10device_ptrItEEEESE_PS5_SF_jNS0_19identity_decomposerENS1_16block_id_wrapperIjLb1EEEEE10hipError_tT1_PNSt15iterator_traitsISK_E10value_typeET2_T3_PNSL_ISQ_E10value_typeET4_T5_PSV_SW_PNS1_23onesweep_lookback_stateEbbT6_jjT7_P12ihipStream_tbENKUlT_T0_SK_SP_E_clIPtSE_SF_SF_EEDaS13_S14_SK_SP_EUlS13_E_NS1_11comp_targetILNS1_3genE9ELNS1_11target_archE1100ELNS1_3gpuE3ELNS1_3repE0EEENS1_47radix_sort_onesweep_sort_config_static_selectorELNS0_4arch9wavefront6targetE1EEEvSK_.kd
    .uniform_work_group_size: 1
    .uses_dynamic_stack: false
    .vgpr_count:     0
    .vgpr_spill_count: 0
    .wavefront_size: 64
  - .agpr_count:     0
    .args:
      - .offset:         0
        .size:           88
        .value_kind:     by_value
    .group_segment_fixed_size: 0
    .kernarg_segment_align: 8
    .kernarg_segment_size: 88
    .language:       OpenCL C
    .language_version:
      - 2
      - 0
    .max_flat_workgroup_size: 256
    .name:           _ZN7rocprim17ROCPRIM_400000_NS6detail17trampoline_kernelINS0_14default_configENS1_35radix_sort_onesweep_config_selectorItNS0_10empty_typeEEEZZNS1_29radix_sort_onesweep_iterationIS3_Lb0EN6thrust23THRUST_200600_302600_NS6detail15normal_iteratorINS9_10device_ptrItEEEESE_PS5_SF_jNS0_19identity_decomposerENS1_16block_id_wrapperIjLb1EEEEE10hipError_tT1_PNSt15iterator_traitsISK_E10value_typeET2_T3_PNSL_ISQ_E10value_typeET4_T5_PSV_SW_PNS1_23onesweep_lookback_stateEbbT6_jjT7_P12ihipStream_tbENKUlT_T0_SK_SP_E_clIPtSE_SF_SF_EEDaS13_S14_SK_SP_EUlS13_E_NS1_11comp_targetILNS1_3genE8ELNS1_11target_archE1030ELNS1_3gpuE2ELNS1_3repE0EEENS1_47radix_sort_onesweep_sort_config_static_selectorELNS0_4arch9wavefront6targetE1EEEvSK_
    .private_segment_fixed_size: 0
    .sgpr_count:     4
    .sgpr_spill_count: 0
    .symbol:         _ZN7rocprim17ROCPRIM_400000_NS6detail17trampoline_kernelINS0_14default_configENS1_35radix_sort_onesweep_config_selectorItNS0_10empty_typeEEEZZNS1_29radix_sort_onesweep_iterationIS3_Lb0EN6thrust23THRUST_200600_302600_NS6detail15normal_iteratorINS9_10device_ptrItEEEESE_PS5_SF_jNS0_19identity_decomposerENS1_16block_id_wrapperIjLb1EEEEE10hipError_tT1_PNSt15iterator_traitsISK_E10value_typeET2_T3_PNSL_ISQ_E10value_typeET4_T5_PSV_SW_PNS1_23onesweep_lookback_stateEbbT6_jjT7_P12ihipStream_tbENKUlT_T0_SK_SP_E_clIPtSE_SF_SF_EEDaS13_S14_SK_SP_EUlS13_E_NS1_11comp_targetILNS1_3genE8ELNS1_11target_archE1030ELNS1_3gpuE2ELNS1_3repE0EEENS1_47radix_sort_onesweep_sort_config_static_selectorELNS0_4arch9wavefront6targetE1EEEvSK_.kd
    .uniform_work_group_size: 1
    .uses_dynamic_stack: false
    .vgpr_count:     0
    .vgpr_spill_count: 0
    .wavefront_size: 64
  - .agpr_count:     0
    .args:
      - .offset:         0
        .size:           88
        .value_kind:     by_value
    .group_segment_fixed_size: 0
    .kernarg_segment_align: 8
    .kernarg_segment_size: 88
    .language:       OpenCL C
    .language_version:
      - 2
      - 0
    .max_flat_workgroup_size: 512
    .name:           _ZN7rocprim17ROCPRIM_400000_NS6detail17trampoline_kernelINS0_14default_configENS1_35radix_sort_onesweep_config_selectorItNS0_10empty_typeEEEZZNS1_29radix_sort_onesweep_iterationIS3_Lb0EN6thrust23THRUST_200600_302600_NS6detail15normal_iteratorINS9_10device_ptrItEEEESE_PS5_SF_jNS0_19identity_decomposerENS1_16block_id_wrapperIjLb0EEEEE10hipError_tT1_PNSt15iterator_traitsISK_E10value_typeET2_T3_PNSL_ISQ_E10value_typeET4_T5_PSV_SW_PNS1_23onesweep_lookback_stateEbbT6_jjT7_P12ihipStream_tbENKUlT_T0_SK_SP_E_clISE_SE_SF_SF_EEDaS13_S14_SK_SP_EUlS13_E_NS1_11comp_targetILNS1_3genE0ELNS1_11target_archE4294967295ELNS1_3gpuE0ELNS1_3repE0EEENS1_47radix_sort_onesweep_sort_config_static_selectorELNS0_4arch9wavefront6targetE1EEEvSK_
    .private_segment_fixed_size: 0
    .sgpr_count:     4
    .sgpr_spill_count: 0
    .symbol:         _ZN7rocprim17ROCPRIM_400000_NS6detail17trampoline_kernelINS0_14default_configENS1_35radix_sort_onesweep_config_selectorItNS0_10empty_typeEEEZZNS1_29radix_sort_onesweep_iterationIS3_Lb0EN6thrust23THRUST_200600_302600_NS6detail15normal_iteratorINS9_10device_ptrItEEEESE_PS5_SF_jNS0_19identity_decomposerENS1_16block_id_wrapperIjLb0EEEEE10hipError_tT1_PNSt15iterator_traitsISK_E10value_typeET2_T3_PNSL_ISQ_E10value_typeET4_T5_PSV_SW_PNS1_23onesweep_lookback_stateEbbT6_jjT7_P12ihipStream_tbENKUlT_T0_SK_SP_E_clISE_SE_SF_SF_EEDaS13_S14_SK_SP_EUlS13_E_NS1_11comp_targetILNS1_3genE0ELNS1_11target_archE4294967295ELNS1_3gpuE0ELNS1_3repE0EEENS1_47radix_sort_onesweep_sort_config_static_selectorELNS0_4arch9wavefront6targetE1EEEvSK_.kd
    .uniform_work_group_size: 1
    .uses_dynamic_stack: false
    .vgpr_count:     0
    .vgpr_spill_count: 0
    .wavefront_size: 64
  - .agpr_count:     0
    .args:
      - .offset:         0
        .size:           88
        .value_kind:     by_value
    .group_segment_fixed_size: 0
    .kernarg_segment_align: 8
    .kernarg_segment_size: 88
    .language:       OpenCL C
    .language_version:
      - 2
      - 0
    .max_flat_workgroup_size: 1024
    .name:           _ZN7rocprim17ROCPRIM_400000_NS6detail17trampoline_kernelINS0_14default_configENS1_35radix_sort_onesweep_config_selectorItNS0_10empty_typeEEEZZNS1_29radix_sort_onesweep_iterationIS3_Lb0EN6thrust23THRUST_200600_302600_NS6detail15normal_iteratorINS9_10device_ptrItEEEESE_PS5_SF_jNS0_19identity_decomposerENS1_16block_id_wrapperIjLb0EEEEE10hipError_tT1_PNSt15iterator_traitsISK_E10value_typeET2_T3_PNSL_ISQ_E10value_typeET4_T5_PSV_SW_PNS1_23onesweep_lookback_stateEbbT6_jjT7_P12ihipStream_tbENKUlT_T0_SK_SP_E_clISE_SE_SF_SF_EEDaS13_S14_SK_SP_EUlS13_E_NS1_11comp_targetILNS1_3genE6ELNS1_11target_archE950ELNS1_3gpuE13ELNS1_3repE0EEENS1_47radix_sort_onesweep_sort_config_static_selectorELNS0_4arch9wavefront6targetE1EEEvSK_
    .private_segment_fixed_size: 0
    .sgpr_count:     4
    .sgpr_spill_count: 0
    .symbol:         _ZN7rocprim17ROCPRIM_400000_NS6detail17trampoline_kernelINS0_14default_configENS1_35radix_sort_onesweep_config_selectorItNS0_10empty_typeEEEZZNS1_29radix_sort_onesweep_iterationIS3_Lb0EN6thrust23THRUST_200600_302600_NS6detail15normal_iteratorINS9_10device_ptrItEEEESE_PS5_SF_jNS0_19identity_decomposerENS1_16block_id_wrapperIjLb0EEEEE10hipError_tT1_PNSt15iterator_traitsISK_E10value_typeET2_T3_PNSL_ISQ_E10value_typeET4_T5_PSV_SW_PNS1_23onesweep_lookback_stateEbbT6_jjT7_P12ihipStream_tbENKUlT_T0_SK_SP_E_clISE_SE_SF_SF_EEDaS13_S14_SK_SP_EUlS13_E_NS1_11comp_targetILNS1_3genE6ELNS1_11target_archE950ELNS1_3gpuE13ELNS1_3repE0EEENS1_47radix_sort_onesweep_sort_config_static_selectorELNS0_4arch9wavefront6targetE1EEEvSK_.kd
    .uniform_work_group_size: 1
    .uses_dynamic_stack: false
    .vgpr_count:     0
    .vgpr_spill_count: 0
    .wavefront_size: 64
  - .agpr_count:     0
    .args:
      - .offset:         0
        .size:           88
        .value_kind:     by_value
    .group_segment_fixed_size: 0
    .kernarg_segment_align: 8
    .kernarg_segment_size: 88
    .language:       OpenCL C
    .language_version:
      - 2
      - 0
    .max_flat_workgroup_size: 1024
    .name:           _ZN7rocprim17ROCPRIM_400000_NS6detail17trampoline_kernelINS0_14default_configENS1_35radix_sort_onesweep_config_selectorItNS0_10empty_typeEEEZZNS1_29radix_sort_onesweep_iterationIS3_Lb0EN6thrust23THRUST_200600_302600_NS6detail15normal_iteratorINS9_10device_ptrItEEEESE_PS5_SF_jNS0_19identity_decomposerENS1_16block_id_wrapperIjLb0EEEEE10hipError_tT1_PNSt15iterator_traitsISK_E10value_typeET2_T3_PNSL_ISQ_E10value_typeET4_T5_PSV_SW_PNS1_23onesweep_lookback_stateEbbT6_jjT7_P12ihipStream_tbENKUlT_T0_SK_SP_E_clISE_SE_SF_SF_EEDaS13_S14_SK_SP_EUlS13_E_NS1_11comp_targetILNS1_3genE5ELNS1_11target_archE942ELNS1_3gpuE9ELNS1_3repE0EEENS1_47radix_sort_onesweep_sort_config_static_selectorELNS0_4arch9wavefront6targetE1EEEvSK_
    .private_segment_fixed_size: 0
    .sgpr_count:     4
    .sgpr_spill_count: 0
    .symbol:         _ZN7rocprim17ROCPRIM_400000_NS6detail17trampoline_kernelINS0_14default_configENS1_35radix_sort_onesweep_config_selectorItNS0_10empty_typeEEEZZNS1_29radix_sort_onesweep_iterationIS3_Lb0EN6thrust23THRUST_200600_302600_NS6detail15normal_iteratorINS9_10device_ptrItEEEESE_PS5_SF_jNS0_19identity_decomposerENS1_16block_id_wrapperIjLb0EEEEE10hipError_tT1_PNSt15iterator_traitsISK_E10value_typeET2_T3_PNSL_ISQ_E10value_typeET4_T5_PSV_SW_PNS1_23onesweep_lookback_stateEbbT6_jjT7_P12ihipStream_tbENKUlT_T0_SK_SP_E_clISE_SE_SF_SF_EEDaS13_S14_SK_SP_EUlS13_E_NS1_11comp_targetILNS1_3genE5ELNS1_11target_archE942ELNS1_3gpuE9ELNS1_3repE0EEENS1_47radix_sort_onesweep_sort_config_static_selectorELNS0_4arch9wavefront6targetE1EEEvSK_.kd
    .uniform_work_group_size: 1
    .uses_dynamic_stack: false
    .vgpr_count:     0
    .vgpr_spill_count: 0
    .wavefront_size: 64
  - .agpr_count:     0
    .args:
      - .offset:         0
        .size:           88
        .value_kind:     by_value
    .group_segment_fixed_size: 0
    .kernarg_segment_align: 8
    .kernarg_segment_size: 88
    .language:       OpenCL C
    .language_version:
      - 2
      - 0
    .max_flat_workgroup_size: 512
    .name:           _ZN7rocprim17ROCPRIM_400000_NS6detail17trampoline_kernelINS0_14default_configENS1_35radix_sort_onesweep_config_selectorItNS0_10empty_typeEEEZZNS1_29radix_sort_onesweep_iterationIS3_Lb0EN6thrust23THRUST_200600_302600_NS6detail15normal_iteratorINS9_10device_ptrItEEEESE_PS5_SF_jNS0_19identity_decomposerENS1_16block_id_wrapperIjLb0EEEEE10hipError_tT1_PNSt15iterator_traitsISK_E10value_typeET2_T3_PNSL_ISQ_E10value_typeET4_T5_PSV_SW_PNS1_23onesweep_lookback_stateEbbT6_jjT7_P12ihipStream_tbENKUlT_T0_SK_SP_E_clISE_SE_SF_SF_EEDaS13_S14_SK_SP_EUlS13_E_NS1_11comp_targetILNS1_3genE2ELNS1_11target_archE906ELNS1_3gpuE6ELNS1_3repE0EEENS1_47radix_sort_onesweep_sort_config_static_selectorELNS0_4arch9wavefront6targetE1EEEvSK_
    .private_segment_fixed_size: 0
    .sgpr_count:     4
    .sgpr_spill_count: 0
    .symbol:         _ZN7rocprim17ROCPRIM_400000_NS6detail17trampoline_kernelINS0_14default_configENS1_35radix_sort_onesweep_config_selectorItNS0_10empty_typeEEEZZNS1_29radix_sort_onesweep_iterationIS3_Lb0EN6thrust23THRUST_200600_302600_NS6detail15normal_iteratorINS9_10device_ptrItEEEESE_PS5_SF_jNS0_19identity_decomposerENS1_16block_id_wrapperIjLb0EEEEE10hipError_tT1_PNSt15iterator_traitsISK_E10value_typeET2_T3_PNSL_ISQ_E10value_typeET4_T5_PSV_SW_PNS1_23onesweep_lookback_stateEbbT6_jjT7_P12ihipStream_tbENKUlT_T0_SK_SP_E_clISE_SE_SF_SF_EEDaS13_S14_SK_SP_EUlS13_E_NS1_11comp_targetILNS1_3genE2ELNS1_11target_archE906ELNS1_3gpuE6ELNS1_3repE0EEENS1_47radix_sort_onesweep_sort_config_static_selectorELNS0_4arch9wavefront6targetE1EEEvSK_.kd
    .uniform_work_group_size: 1
    .uses_dynamic_stack: false
    .vgpr_count:     0
    .vgpr_spill_count: 0
    .wavefront_size: 64
  - .agpr_count:     0
    .args:
      - .offset:         0
        .size:           88
        .value_kind:     by_value
      - .offset:         88
        .size:           4
        .value_kind:     hidden_block_count_x
      - .offset:         92
        .size:           4
        .value_kind:     hidden_block_count_y
      - .offset:         96
        .size:           4
        .value_kind:     hidden_block_count_z
      - .offset:         100
        .size:           2
        .value_kind:     hidden_group_size_x
      - .offset:         102
        .size:           2
        .value_kind:     hidden_group_size_y
      - .offset:         104
        .size:           2
        .value_kind:     hidden_group_size_z
      - .offset:         106
        .size:           2
        .value_kind:     hidden_remainder_x
      - .offset:         108
        .size:           2
        .value_kind:     hidden_remainder_y
      - .offset:         110
        .size:           2
        .value_kind:     hidden_remainder_z
      - .offset:         128
        .size:           8
        .value_kind:     hidden_global_offset_x
      - .offset:         136
        .size:           8
        .value_kind:     hidden_global_offset_y
      - .offset:         144
        .size:           8
        .value_kind:     hidden_global_offset_z
      - .offset:         152
        .size:           2
        .value_kind:     hidden_grid_dims
    .group_segment_fixed_size: 25608
    .kernarg_segment_align: 8
    .kernarg_segment_size: 344
    .language:       OpenCL C
    .language_version:
      - 2
      - 0
    .max_flat_workgroup_size: 1024
    .name:           _ZN7rocprim17ROCPRIM_400000_NS6detail17trampoline_kernelINS0_14default_configENS1_35radix_sort_onesweep_config_selectorItNS0_10empty_typeEEEZZNS1_29radix_sort_onesweep_iterationIS3_Lb0EN6thrust23THRUST_200600_302600_NS6detail15normal_iteratorINS9_10device_ptrItEEEESE_PS5_SF_jNS0_19identity_decomposerENS1_16block_id_wrapperIjLb0EEEEE10hipError_tT1_PNSt15iterator_traitsISK_E10value_typeET2_T3_PNSL_ISQ_E10value_typeET4_T5_PSV_SW_PNS1_23onesweep_lookback_stateEbbT6_jjT7_P12ihipStream_tbENKUlT_T0_SK_SP_E_clISE_SE_SF_SF_EEDaS13_S14_SK_SP_EUlS13_E_NS1_11comp_targetILNS1_3genE4ELNS1_11target_archE910ELNS1_3gpuE8ELNS1_3repE0EEENS1_47radix_sort_onesweep_sort_config_static_selectorELNS0_4arch9wavefront6targetE1EEEvSK_
    .private_segment_fixed_size: 0
    .sgpr_count:     35
    .sgpr_spill_count: 0
    .symbol:         _ZN7rocprim17ROCPRIM_400000_NS6detail17trampoline_kernelINS0_14default_configENS1_35radix_sort_onesweep_config_selectorItNS0_10empty_typeEEEZZNS1_29radix_sort_onesweep_iterationIS3_Lb0EN6thrust23THRUST_200600_302600_NS6detail15normal_iteratorINS9_10device_ptrItEEEESE_PS5_SF_jNS0_19identity_decomposerENS1_16block_id_wrapperIjLb0EEEEE10hipError_tT1_PNSt15iterator_traitsISK_E10value_typeET2_T3_PNSL_ISQ_E10value_typeET4_T5_PSV_SW_PNS1_23onesweep_lookback_stateEbbT6_jjT7_P12ihipStream_tbENKUlT_T0_SK_SP_E_clISE_SE_SF_SF_EEDaS13_S14_SK_SP_EUlS13_E_NS1_11comp_targetILNS1_3genE4ELNS1_11target_archE910ELNS1_3gpuE8ELNS1_3repE0EEENS1_47radix_sort_onesweep_sort_config_static_selectorELNS0_4arch9wavefront6targetE1EEEvSK_.kd
    .uniform_work_group_size: 1
    .uses_dynamic_stack: false
    .vgpr_count:     62
    .vgpr_spill_count: 0
    .wavefront_size: 64
  - .agpr_count:     0
    .args:
      - .offset:         0
        .size:           88
        .value_kind:     by_value
    .group_segment_fixed_size: 0
    .kernarg_segment_align: 8
    .kernarg_segment_size: 88
    .language:       OpenCL C
    .language_version:
      - 2
      - 0
    .max_flat_workgroup_size: 512
    .name:           _ZN7rocprim17ROCPRIM_400000_NS6detail17trampoline_kernelINS0_14default_configENS1_35radix_sort_onesweep_config_selectorItNS0_10empty_typeEEEZZNS1_29radix_sort_onesweep_iterationIS3_Lb0EN6thrust23THRUST_200600_302600_NS6detail15normal_iteratorINS9_10device_ptrItEEEESE_PS5_SF_jNS0_19identity_decomposerENS1_16block_id_wrapperIjLb0EEEEE10hipError_tT1_PNSt15iterator_traitsISK_E10value_typeET2_T3_PNSL_ISQ_E10value_typeET4_T5_PSV_SW_PNS1_23onesweep_lookback_stateEbbT6_jjT7_P12ihipStream_tbENKUlT_T0_SK_SP_E_clISE_SE_SF_SF_EEDaS13_S14_SK_SP_EUlS13_E_NS1_11comp_targetILNS1_3genE3ELNS1_11target_archE908ELNS1_3gpuE7ELNS1_3repE0EEENS1_47radix_sort_onesweep_sort_config_static_selectorELNS0_4arch9wavefront6targetE1EEEvSK_
    .private_segment_fixed_size: 0
    .sgpr_count:     4
    .sgpr_spill_count: 0
    .symbol:         _ZN7rocprim17ROCPRIM_400000_NS6detail17trampoline_kernelINS0_14default_configENS1_35radix_sort_onesweep_config_selectorItNS0_10empty_typeEEEZZNS1_29radix_sort_onesweep_iterationIS3_Lb0EN6thrust23THRUST_200600_302600_NS6detail15normal_iteratorINS9_10device_ptrItEEEESE_PS5_SF_jNS0_19identity_decomposerENS1_16block_id_wrapperIjLb0EEEEE10hipError_tT1_PNSt15iterator_traitsISK_E10value_typeET2_T3_PNSL_ISQ_E10value_typeET4_T5_PSV_SW_PNS1_23onesweep_lookback_stateEbbT6_jjT7_P12ihipStream_tbENKUlT_T0_SK_SP_E_clISE_SE_SF_SF_EEDaS13_S14_SK_SP_EUlS13_E_NS1_11comp_targetILNS1_3genE3ELNS1_11target_archE908ELNS1_3gpuE7ELNS1_3repE0EEENS1_47radix_sort_onesweep_sort_config_static_selectorELNS0_4arch9wavefront6targetE1EEEvSK_.kd
    .uniform_work_group_size: 1
    .uses_dynamic_stack: false
    .vgpr_count:     0
    .vgpr_spill_count: 0
    .wavefront_size: 64
  - .agpr_count:     0
    .args:
      - .offset:         0
        .size:           88
        .value_kind:     by_value
    .group_segment_fixed_size: 0
    .kernarg_segment_align: 8
    .kernarg_segment_size: 88
    .language:       OpenCL C
    .language_version:
      - 2
      - 0
    .max_flat_workgroup_size: 256
    .name:           _ZN7rocprim17ROCPRIM_400000_NS6detail17trampoline_kernelINS0_14default_configENS1_35radix_sort_onesweep_config_selectorItNS0_10empty_typeEEEZZNS1_29radix_sort_onesweep_iterationIS3_Lb0EN6thrust23THRUST_200600_302600_NS6detail15normal_iteratorINS9_10device_ptrItEEEESE_PS5_SF_jNS0_19identity_decomposerENS1_16block_id_wrapperIjLb0EEEEE10hipError_tT1_PNSt15iterator_traitsISK_E10value_typeET2_T3_PNSL_ISQ_E10value_typeET4_T5_PSV_SW_PNS1_23onesweep_lookback_stateEbbT6_jjT7_P12ihipStream_tbENKUlT_T0_SK_SP_E_clISE_SE_SF_SF_EEDaS13_S14_SK_SP_EUlS13_E_NS1_11comp_targetILNS1_3genE10ELNS1_11target_archE1201ELNS1_3gpuE5ELNS1_3repE0EEENS1_47radix_sort_onesweep_sort_config_static_selectorELNS0_4arch9wavefront6targetE1EEEvSK_
    .private_segment_fixed_size: 0
    .sgpr_count:     4
    .sgpr_spill_count: 0
    .symbol:         _ZN7rocprim17ROCPRIM_400000_NS6detail17trampoline_kernelINS0_14default_configENS1_35radix_sort_onesweep_config_selectorItNS0_10empty_typeEEEZZNS1_29radix_sort_onesweep_iterationIS3_Lb0EN6thrust23THRUST_200600_302600_NS6detail15normal_iteratorINS9_10device_ptrItEEEESE_PS5_SF_jNS0_19identity_decomposerENS1_16block_id_wrapperIjLb0EEEEE10hipError_tT1_PNSt15iterator_traitsISK_E10value_typeET2_T3_PNSL_ISQ_E10value_typeET4_T5_PSV_SW_PNS1_23onesweep_lookback_stateEbbT6_jjT7_P12ihipStream_tbENKUlT_T0_SK_SP_E_clISE_SE_SF_SF_EEDaS13_S14_SK_SP_EUlS13_E_NS1_11comp_targetILNS1_3genE10ELNS1_11target_archE1201ELNS1_3gpuE5ELNS1_3repE0EEENS1_47radix_sort_onesweep_sort_config_static_selectorELNS0_4arch9wavefront6targetE1EEEvSK_.kd
    .uniform_work_group_size: 1
    .uses_dynamic_stack: false
    .vgpr_count:     0
    .vgpr_spill_count: 0
    .wavefront_size: 64
  - .agpr_count:     0
    .args:
      - .offset:         0
        .size:           88
        .value_kind:     by_value
    .group_segment_fixed_size: 0
    .kernarg_segment_align: 8
    .kernarg_segment_size: 88
    .language:       OpenCL C
    .language_version:
      - 2
      - 0
    .max_flat_workgroup_size: 256
    .name:           _ZN7rocprim17ROCPRIM_400000_NS6detail17trampoline_kernelINS0_14default_configENS1_35radix_sort_onesweep_config_selectorItNS0_10empty_typeEEEZZNS1_29radix_sort_onesweep_iterationIS3_Lb0EN6thrust23THRUST_200600_302600_NS6detail15normal_iteratorINS9_10device_ptrItEEEESE_PS5_SF_jNS0_19identity_decomposerENS1_16block_id_wrapperIjLb0EEEEE10hipError_tT1_PNSt15iterator_traitsISK_E10value_typeET2_T3_PNSL_ISQ_E10value_typeET4_T5_PSV_SW_PNS1_23onesweep_lookback_stateEbbT6_jjT7_P12ihipStream_tbENKUlT_T0_SK_SP_E_clISE_SE_SF_SF_EEDaS13_S14_SK_SP_EUlS13_E_NS1_11comp_targetILNS1_3genE9ELNS1_11target_archE1100ELNS1_3gpuE3ELNS1_3repE0EEENS1_47radix_sort_onesweep_sort_config_static_selectorELNS0_4arch9wavefront6targetE1EEEvSK_
    .private_segment_fixed_size: 0
    .sgpr_count:     4
    .sgpr_spill_count: 0
    .symbol:         _ZN7rocprim17ROCPRIM_400000_NS6detail17trampoline_kernelINS0_14default_configENS1_35radix_sort_onesweep_config_selectorItNS0_10empty_typeEEEZZNS1_29radix_sort_onesweep_iterationIS3_Lb0EN6thrust23THRUST_200600_302600_NS6detail15normal_iteratorINS9_10device_ptrItEEEESE_PS5_SF_jNS0_19identity_decomposerENS1_16block_id_wrapperIjLb0EEEEE10hipError_tT1_PNSt15iterator_traitsISK_E10value_typeET2_T3_PNSL_ISQ_E10value_typeET4_T5_PSV_SW_PNS1_23onesweep_lookback_stateEbbT6_jjT7_P12ihipStream_tbENKUlT_T0_SK_SP_E_clISE_SE_SF_SF_EEDaS13_S14_SK_SP_EUlS13_E_NS1_11comp_targetILNS1_3genE9ELNS1_11target_archE1100ELNS1_3gpuE3ELNS1_3repE0EEENS1_47radix_sort_onesweep_sort_config_static_selectorELNS0_4arch9wavefront6targetE1EEEvSK_.kd
    .uniform_work_group_size: 1
    .uses_dynamic_stack: false
    .vgpr_count:     0
    .vgpr_spill_count: 0
    .wavefront_size: 64
  - .agpr_count:     0
    .args:
      - .offset:         0
        .size:           88
        .value_kind:     by_value
    .group_segment_fixed_size: 0
    .kernarg_segment_align: 8
    .kernarg_segment_size: 88
    .language:       OpenCL C
    .language_version:
      - 2
      - 0
    .max_flat_workgroup_size: 256
    .name:           _ZN7rocprim17ROCPRIM_400000_NS6detail17trampoline_kernelINS0_14default_configENS1_35radix_sort_onesweep_config_selectorItNS0_10empty_typeEEEZZNS1_29radix_sort_onesweep_iterationIS3_Lb0EN6thrust23THRUST_200600_302600_NS6detail15normal_iteratorINS9_10device_ptrItEEEESE_PS5_SF_jNS0_19identity_decomposerENS1_16block_id_wrapperIjLb0EEEEE10hipError_tT1_PNSt15iterator_traitsISK_E10value_typeET2_T3_PNSL_ISQ_E10value_typeET4_T5_PSV_SW_PNS1_23onesweep_lookback_stateEbbT6_jjT7_P12ihipStream_tbENKUlT_T0_SK_SP_E_clISE_SE_SF_SF_EEDaS13_S14_SK_SP_EUlS13_E_NS1_11comp_targetILNS1_3genE8ELNS1_11target_archE1030ELNS1_3gpuE2ELNS1_3repE0EEENS1_47radix_sort_onesweep_sort_config_static_selectorELNS0_4arch9wavefront6targetE1EEEvSK_
    .private_segment_fixed_size: 0
    .sgpr_count:     4
    .sgpr_spill_count: 0
    .symbol:         _ZN7rocprim17ROCPRIM_400000_NS6detail17trampoline_kernelINS0_14default_configENS1_35radix_sort_onesweep_config_selectorItNS0_10empty_typeEEEZZNS1_29radix_sort_onesweep_iterationIS3_Lb0EN6thrust23THRUST_200600_302600_NS6detail15normal_iteratorINS9_10device_ptrItEEEESE_PS5_SF_jNS0_19identity_decomposerENS1_16block_id_wrapperIjLb0EEEEE10hipError_tT1_PNSt15iterator_traitsISK_E10value_typeET2_T3_PNSL_ISQ_E10value_typeET4_T5_PSV_SW_PNS1_23onesweep_lookback_stateEbbT6_jjT7_P12ihipStream_tbENKUlT_T0_SK_SP_E_clISE_SE_SF_SF_EEDaS13_S14_SK_SP_EUlS13_E_NS1_11comp_targetILNS1_3genE8ELNS1_11target_archE1030ELNS1_3gpuE2ELNS1_3repE0EEENS1_47radix_sort_onesweep_sort_config_static_selectorELNS0_4arch9wavefront6targetE1EEEvSK_.kd
    .uniform_work_group_size: 1
    .uses_dynamic_stack: false
    .vgpr_count:     0
    .vgpr_spill_count: 0
    .wavefront_size: 64
  - .agpr_count:     0
    .args:
      - .offset:         0
        .size:           88
        .value_kind:     by_value
    .group_segment_fixed_size: 0
    .kernarg_segment_align: 8
    .kernarg_segment_size: 88
    .language:       OpenCL C
    .language_version:
      - 2
      - 0
    .max_flat_workgroup_size: 512
    .name:           _ZN7rocprim17ROCPRIM_400000_NS6detail17trampoline_kernelINS0_14default_configENS1_35radix_sort_onesweep_config_selectorItNS0_10empty_typeEEEZZNS1_29radix_sort_onesweep_iterationIS3_Lb0EN6thrust23THRUST_200600_302600_NS6detail15normal_iteratorINS9_10device_ptrItEEEESE_PS5_SF_jNS0_19identity_decomposerENS1_16block_id_wrapperIjLb0EEEEE10hipError_tT1_PNSt15iterator_traitsISK_E10value_typeET2_T3_PNSL_ISQ_E10value_typeET4_T5_PSV_SW_PNS1_23onesweep_lookback_stateEbbT6_jjT7_P12ihipStream_tbENKUlT_T0_SK_SP_E_clISE_PtSF_SF_EEDaS13_S14_SK_SP_EUlS13_E_NS1_11comp_targetILNS1_3genE0ELNS1_11target_archE4294967295ELNS1_3gpuE0ELNS1_3repE0EEENS1_47radix_sort_onesweep_sort_config_static_selectorELNS0_4arch9wavefront6targetE1EEEvSK_
    .private_segment_fixed_size: 0
    .sgpr_count:     4
    .sgpr_spill_count: 0
    .symbol:         _ZN7rocprim17ROCPRIM_400000_NS6detail17trampoline_kernelINS0_14default_configENS1_35radix_sort_onesweep_config_selectorItNS0_10empty_typeEEEZZNS1_29radix_sort_onesweep_iterationIS3_Lb0EN6thrust23THRUST_200600_302600_NS6detail15normal_iteratorINS9_10device_ptrItEEEESE_PS5_SF_jNS0_19identity_decomposerENS1_16block_id_wrapperIjLb0EEEEE10hipError_tT1_PNSt15iterator_traitsISK_E10value_typeET2_T3_PNSL_ISQ_E10value_typeET4_T5_PSV_SW_PNS1_23onesweep_lookback_stateEbbT6_jjT7_P12ihipStream_tbENKUlT_T0_SK_SP_E_clISE_PtSF_SF_EEDaS13_S14_SK_SP_EUlS13_E_NS1_11comp_targetILNS1_3genE0ELNS1_11target_archE4294967295ELNS1_3gpuE0ELNS1_3repE0EEENS1_47radix_sort_onesweep_sort_config_static_selectorELNS0_4arch9wavefront6targetE1EEEvSK_.kd
    .uniform_work_group_size: 1
    .uses_dynamic_stack: false
    .vgpr_count:     0
    .vgpr_spill_count: 0
    .wavefront_size: 64
  - .agpr_count:     0
    .args:
      - .offset:         0
        .size:           88
        .value_kind:     by_value
    .group_segment_fixed_size: 0
    .kernarg_segment_align: 8
    .kernarg_segment_size: 88
    .language:       OpenCL C
    .language_version:
      - 2
      - 0
    .max_flat_workgroup_size: 1024
    .name:           _ZN7rocprim17ROCPRIM_400000_NS6detail17trampoline_kernelINS0_14default_configENS1_35radix_sort_onesweep_config_selectorItNS0_10empty_typeEEEZZNS1_29radix_sort_onesweep_iterationIS3_Lb0EN6thrust23THRUST_200600_302600_NS6detail15normal_iteratorINS9_10device_ptrItEEEESE_PS5_SF_jNS0_19identity_decomposerENS1_16block_id_wrapperIjLb0EEEEE10hipError_tT1_PNSt15iterator_traitsISK_E10value_typeET2_T3_PNSL_ISQ_E10value_typeET4_T5_PSV_SW_PNS1_23onesweep_lookback_stateEbbT6_jjT7_P12ihipStream_tbENKUlT_T0_SK_SP_E_clISE_PtSF_SF_EEDaS13_S14_SK_SP_EUlS13_E_NS1_11comp_targetILNS1_3genE6ELNS1_11target_archE950ELNS1_3gpuE13ELNS1_3repE0EEENS1_47radix_sort_onesweep_sort_config_static_selectorELNS0_4arch9wavefront6targetE1EEEvSK_
    .private_segment_fixed_size: 0
    .sgpr_count:     4
    .sgpr_spill_count: 0
    .symbol:         _ZN7rocprim17ROCPRIM_400000_NS6detail17trampoline_kernelINS0_14default_configENS1_35radix_sort_onesweep_config_selectorItNS0_10empty_typeEEEZZNS1_29radix_sort_onesweep_iterationIS3_Lb0EN6thrust23THRUST_200600_302600_NS6detail15normal_iteratorINS9_10device_ptrItEEEESE_PS5_SF_jNS0_19identity_decomposerENS1_16block_id_wrapperIjLb0EEEEE10hipError_tT1_PNSt15iterator_traitsISK_E10value_typeET2_T3_PNSL_ISQ_E10value_typeET4_T5_PSV_SW_PNS1_23onesweep_lookback_stateEbbT6_jjT7_P12ihipStream_tbENKUlT_T0_SK_SP_E_clISE_PtSF_SF_EEDaS13_S14_SK_SP_EUlS13_E_NS1_11comp_targetILNS1_3genE6ELNS1_11target_archE950ELNS1_3gpuE13ELNS1_3repE0EEENS1_47radix_sort_onesweep_sort_config_static_selectorELNS0_4arch9wavefront6targetE1EEEvSK_.kd
    .uniform_work_group_size: 1
    .uses_dynamic_stack: false
    .vgpr_count:     0
    .vgpr_spill_count: 0
    .wavefront_size: 64
  - .agpr_count:     0
    .args:
      - .offset:         0
        .size:           88
        .value_kind:     by_value
    .group_segment_fixed_size: 0
    .kernarg_segment_align: 8
    .kernarg_segment_size: 88
    .language:       OpenCL C
    .language_version:
      - 2
      - 0
    .max_flat_workgroup_size: 1024
    .name:           _ZN7rocprim17ROCPRIM_400000_NS6detail17trampoline_kernelINS0_14default_configENS1_35radix_sort_onesweep_config_selectorItNS0_10empty_typeEEEZZNS1_29radix_sort_onesweep_iterationIS3_Lb0EN6thrust23THRUST_200600_302600_NS6detail15normal_iteratorINS9_10device_ptrItEEEESE_PS5_SF_jNS0_19identity_decomposerENS1_16block_id_wrapperIjLb0EEEEE10hipError_tT1_PNSt15iterator_traitsISK_E10value_typeET2_T3_PNSL_ISQ_E10value_typeET4_T5_PSV_SW_PNS1_23onesweep_lookback_stateEbbT6_jjT7_P12ihipStream_tbENKUlT_T0_SK_SP_E_clISE_PtSF_SF_EEDaS13_S14_SK_SP_EUlS13_E_NS1_11comp_targetILNS1_3genE5ELNS1_11target_archE942ELNS1_3gpuE9ELNS1_3repE0EEENS1_47radix_sort_onesweep_sort_config_static_selectorELNS0_4arch9wavefront6targetE1EEEvSK_
    .private_segment_fixed_size: 0
    .sgpr_count:     4
    .sgpr_spill_count: 0
    .symbol:         _ZN7rocprim17ROCPRIM_400000_NS6detail17trampoline_kernelINS0_14default_configENS1_35radix_sort_onesweep_config_selectorItNS0_10empty_typeEEEZZNS1_29radix_sort_onesweep_iterationIS3_Lb0EN6thrust23THRUST_200600_302600_NS6detail15normal_iteratorINS9_10device_ptrItEEEESE_PS5_SF_jNS0_19identity_decomposerENS1_16block_id_wrapperIjLb0EEEEE10hipError_tT1_PNSt15iterator_traitsISK_E10value_typeET2_T3_PNSL_ISQ_E10value_typeET4_T5_PSV_SW_PNS1_23onesweep_lookback_stateEbbT6_jjT7_P12ihipStream_tbENKUlT_T0_SK_SP_E_clISE_PtSF_SF_EEDaS13_S14_SK_SP_EUlS13_E_NS1_11comp_targetILNS1_3genE5ELNS1_11target_archE942ELNS1_3gpuE9ELNS1_3repE0EEENS1_47radix_sort_onesweep_sort_config_static_selectorELNS0_4arch9wavefront6targetE1EEEvSK_.kd
    .uniform_work_group_size: 1
    .uses_dynamic_stack: false
    .vgpr_count:     0
    .vgpr_spill_count: 0
    .wavefront_size: 64
  - .agpr_count:     0
    .args:
      - .offset:         0
        .size:           88
        .value_kind:     by_value
    .group_segment_fixed_size: 0
    .kernarg_segment_align: 8
    .kernarg_segment_size: 88
    .language:       OpenCL C
    .language_version:
      - 2
      - 0
    .max_flat_workgroup_size: 512
    .name:           _ZN7rocprim17ROCPRIM_400000_NS6detail17trampoline_kernelINS0_14default_configENS1_35radix_sort_onesweep_config_selectorItNS0_10empty_typeEEEZZNS1_29radix_sort_onesweep_iterationIS3_Lb0EN6thrust23THRUST_200600_302600_NS6detail15normal_iteratorINS9_10device_ptrItEEEESE_PS5_SF_jNS0_19identity_decomposerENS1_16block_id_wrapperIjLb0EEEEE10hipError_tT1_PNSt15iterator_traitsISK_E10value_typeET2_T3_PNSL_ISQ_E10value_typeET4_T5_PSV_SW_PNS1_23onesweep_lookback_stateEbbT6_jjT7_P12ihipStream_tbENKUlT_T0_SK_SP_E_clISE_PtSF_SF_EEDaS13_S14_SK_SP_EUlS13_E_NS1_11comp_targetILNS1_3genE2ELNS1_11target_archE906ELNS1_3gpuE6ELNS1_3repE0EEENS1_47radix_sort_onesweep_sort_config_static_selectorELNS0_4arch9wavefront6targetE1EEEvSK_
    .private_segment_fixed_size: 0
    .sgpr_count:     4
    .sgpr_spill_count: 0
    .symbol:         _ZN7rocprim17ROCPRIM_400000_NS6detail17trampoline_kernelINS0_14default_configENS1_35radix_sort_onesweep_config_selectorItNS0_10empty_typeEEEZZNS1_29radix_sort_onesweep_iterationIS3_Lb0EN6thrust23THRUST_200600_302600_NS6detail15normal_iteratorINS9_10device_ptrItEEEESE_PS5_SF_jNS0_19identity_decomposerENS1_16block_id_wrapperIjLb0EEEEE10hipError_tT1_PNSt15iterator_traitsISK_E10value_typeET2_T3_PNSL_ISQ_E10value_typeET4_T5_PSV_SW_PNS1_23onesweep_lookback_stateEbbT6_jjT7_P12ihipStream_tbENKUlT_T0_SK_SP_E_clISE_PtSF_SF_EEDaS13_S14_SK_SP_EUlS13_E_NS1_11comp_targetILNS1_3genE2ELNS1_11target_archE906ELNS1_3gpuE6ELNS1_3repE0EEENS1_47radix_sort_onesweep_sort_config_static_selectorELNS0_4arch9wavefront6targetE1EEEvSK_.kd
    .uniform_work_group_size: 1
    .uses_dynamic_stack: false
    .vgpr_count:     0
    .vgpr_spill_count: 0
    .wavefront_size: 64
  - .agpr_count:     0
    .args:
      - .offset:         0
        .size:           88
        .value_kind:     by_value
      - .offset:         88
        .size:           4
        .value_kind:     hidden_block_count_x
      - .offset:         92
        .size:           4
        .value_kind:     hidden_block_count_y
      - .offset:         96
        .size:           4
        .value_kind:     hidden_block_count_z
      - .offset:         100
        .size:           2
        .value_kind:     hidden_group_size_x
      - .offset:         102
        .size:           2
        .value_kind:     hidden_group_size_y
      - .offset:         104
        .size:           2
        .value_kind:     hidden_group_size_z
      - .offset:         106
        .size:           2
        .value_kind:     hidden_remainder_x
      - .offset:         108
        .size:           2
        .value_kind:     hidden_remainder_y
      - .offset:         110
        .size:           2
        .value_kind:     hidden_remainder_z
      - .offset:         128
        .size:           8
        .value_kind:     hidden_global_offset_x
      - .offset:         136
        .size:           8
        .value_kind:     hidden_global_offset_y
      - .offset:         144
        .size:           8
        .value_kind:     hidden_global_offset_z
      - .offset:         152
        .size:           2
        .value_kind:     hidden_grid_dims
    .group_segment_fixed_size: 25608
    .kernarg_segment_align: 8
    .kernarg_segment_size: 344
    .language:       OpenCL C
    .language_version:
      - 2
      - 0
    .max_flat_workgroup_size: 1024
    .name:           _ZN7rocprim17ROCPRIM_400000_NS6detail17trampoline_kernelINS0_14default_configENS1_35radix_sort_onesweep_config_selectorItNS0_10empty_typeEEEZZNS1_29radix_sort_onesweep_iterationIS3_Lb0EN6thrust23THRUST_200600_302600_NS6detail15normal_iteratorINS9_10device_ptrItEEEESE_PS5_SF_jNS0_19identity_decomposerENS1_16block_id_wrapperIjLb0EEEEE10hipError_tT1_PNSt15iterator_traitsISK_E10value_typeET2_T3_PNSL_ISQ_E10value_typeET4_T5_PSV_SW_PNS1_23onesweep_lookback_stateEbbT6_jjT7_P12ihipStream_tbENKUlT_T0_SK_SP_E_clISE_PtSF_SF_EEDaS13_S14_SK_SP_EUlS13_E_NS1_11comp_targetILNS1_3genE4ELNS1_11target_archE910ELNS1_3gpuE8ELNS1_3repE0EEENS1_47radix_sort_onesweep_sort_config_static_selectorELNS0_4arch9wavefront6targetE1EEEvSK_
    .private_segment_fixed_size: 0
    .sgpr_count:     35
    .sgpr_spill_count: 0
    .symbol:         _ZN7rocprim17ROCPRIM_400000_NS6detail17trampoline_kernelINS0_14default_configENS1_35radix_sort_onesweep_config_selectorItNS0_10empty_typeEEEZZNS1_29radix_sort_onesweep_iterationIS3_Lb0EN6thrust23THRUST_200600_302600_NS6detail15normal_iteratorINS9_10device_ptrItEEEESE_PS5_SF_jNS0_19identity_decomposerENS1_16block_id_wrapperIjLb0EEEEE10hipError_tT1_PNSt15iterator_traitsISK_E10value_typeET2_T3_PNSL_ISQ_E10value_typeET4_T5_PSV_SW_PNS1_23onesweep_lookback_stateEbbT6_jjT7_P12ihipStream_tbENKUlT_T0_SK_SP_E_clISE_PtSF_SF_EEDaS13_S14_SK_SP_EUlS13_E_NS1_11comp_targetILNS1_3genE4ELNS1_11target_archE910ELNS1_3gpuE8ELNS1_3repE0EEENS1_47radix_sort_onesweep_sort_config_static_selectorELNS0_4arch9wavefront6targetE1EEEvSK_.kd
    .uniform_work_group_size: 1
    .uses_dynamic_stack: false
    .vgpr_count:     62
    .vgpr_spill_count: 0
    .wavefront_size: 64
  - .agpr_count:     0
    .args:
      - .offset:         0
        .size:           88
        .value_kind:     by_value
    .group_segment_fixed_size: 0
    .kernarg_segment_align: 8
    .kernarg_segment_size: 88
    .language:       OpenCL C
    .language_version:
      - 2
      - 0
    .max_flat_workgroup_size: 512
    .name:           _ZN7rocprim17ROCPRIM_400000_NS6detail17trampoline_kernelINS0_14default_configENS1_35radix_sort_onesweep_config_selectorItNS0_10empty_typeEEEZZNS1_29radix_sort_onesweep_iterationIS3_Lb0EN6thrust23THRUST_200600_302600_NS6detail15normal_iteratorINS9_10device_ptrItEEEESE_PS5_SF_jNS0_19identity_decomposerENS1_16block_id_wrapperIjLb0EEEEE10hipError_tT1_PNSt15iterator_traitsISK_E10value_typeET2_T3_PNSL_ISQ_E10value_typeET4_T5_PSV_SW_PNS1_23onesweep_lookback_stateEbbT6_jjT7_P12ihipStream_tbENKUlT_T0_SK_SP_E_clISE_PtSF_SF_EEDaS13_S14_SK_SP_EUlS13_E_NS1_11comp_targetILNS1_3genE3ELNS1_11target_archE908ELNS1_3gpuE7ELNS1_3repE0EEENS1_47radix_sort_onesweep_sort_config_static_selectorELNS0_4arch9wavefront6targetE1EEEvSK_
    .private_segment_fixed_size: 0
    .sgpr_count:     4
    .sgpr_spill_count: 0
    .symbol:         _ZN7rocprim17ROCPRIM_400000_NS6detail17trampoline_kernelINS0_14default_configENS1_35radix_sort_onesweep_config_selectorItNS0_10empty_typeEEEZZNS1_29radix_sort_onesweep_iterationIS3_Lb0EN6thrust23THRUST_200600_302600_NS6detail15normal_iteratorINS9_10device_ptrItEEEESE_PS5_SF_jNS0_19identity_decomposerENS1_16block_id_wrapperIjLb0EEEEE10hipError_tT1_PNSt15iterator_traitsISK_E10value_typeET2_T3_PNSL_ISQ_E10value_typeET4_T5_PSV_SW_PNS1_23onesweep_lookback_stateEbbT6_jjT7_P12ihipStream_tbENKUlT_T0_SK_SP_E_clISE_PtSF_SF_EEDaS13_S14_SK_SP_EUlS13_E_NS1_11comp_targetILNS1_3genE3ELNS1_11target_archE908ELNS1_3gpuE7ELNS1_3repE0EEENS1_47radix_sort_onesweep_sort_config_static_selectorELNS0_4arch9wavefront6targetE1EEEvSK_.kd
    .uniform_work_group_size: 1
    .uses_dynamic_stack: false
    .vgpr_count:     0
    .vgpr_spill_count: 0
    .wavefront_size: 64
  - .agpr_count:     0
    .args:
      - .offset:         0
        .size:           88
        .value_kind:     by_value
    .group_segment_fixed_size: 0
    .kernarg_segment_align: 8
    .kernarg_segment_size: 88
    .language:       OpenCL C
    .language_version:
      - 2
      - 0
    .max_flat_workgroup_size: 256
    .name:           _ZN7rocprim17ROCPRIM_400000_NS6detail17trampoline_kernelINS0_14default_configENS1_35radix_sort_onesweep_config_selectorItNS0_10empty_typeEEEZZNS1_29radix_sort_onesweep_iterationIS3_Lb0EN6thrust23THRUST_200600_302600_NS6detail15normal_iteratorINS9_10device_ptrItEEEESE_PS5_SF_jNS0_19identity_decomposerENS1_16block_id_wrapperIjLb0EEEEE10hipError_tT1_PNSt15iterator_traitsISK_E10value_typeET2_T3_PNSL_ISQ_E10value_typeET4_T5_PSV_SW_PNS1_23onesweep_lookback_stateEbbT6_jjT7_P12ihipStream_tbENKUlT_T0_SK_SP_E_clISE_PtSF_SF_EEDaS13_S14_SK_SP_EUlS13_E_NS1_11comp_targetILNS1_3genE10ELNS1_11target_archE1201ELNS1_3gpuE5ELNS1_3repE0EEENS1_47radix_sort_onesweep_sort_config_static_selectorELNS0_4arch9wavefront6targetE1EEEvSK_
    .private_segment_fixed_size: 0
    .sgpr_count:     4
    .sgpr_spill_count: 0
    .symbol:         _ZN7rocprim17ROCPRIM_400000_NS6detail17trampoline_kernelINS0_14default_configENS1_35radix_sort_onesweep_config_selectorItNS0_10empty_typeEEEZZNS1_29radix_sort_onesweep_iterationIS3_Lb0EN6thrust23THRUST_200600_302600_NS6detail15normal_iteratorINS9_10device_ptrItEEEESE_PS5_SF_jNS0_19identity_decomposerENS1_16block_id_wrapperIjLb0EEEEE10hipError_tT1_PNSt15iterator_traitsISK_E10value_typeET2_T3_PNSL_ISQ_E10value_typeET4_T5_PSV_SW_PNS1_23onesweep_lookback_stateEbbT6_jjT7_P12ihipStream_tbENKUlT_T0_SK_SP_E_clISE_PtSF_SF_EEDaS13_S14_SK_SP_EUlS13_E_NS1_11comp_targetILNS1_3genE10ELNS1_11target_archE1201ELNS1_3gpuE5ELNS1_3repE0EEENS1_47radix_sort_onesweep_sort_config_static_selectorELNS0_4arch9wavefront6targetE1EEEvSK_.kd
    .uniform_work_group_size: 1
    .uses_dynamic_stack: false
    .vgpr_count:     0
    .vgpr_spill_count: 0
    .wavefront_size: 64
  - .agpr_count:     0
    .args:
      - .offset:         0
        .size:           88
        .value_kind:     by_value
    .group_segment_fixed_size: 0
    .kernarg_segment_align: 8
    .kernarg_segment_size: 88
    .language:       OpenCL C
    .language_version:
      - 2
      - 0
    .max_flat_workgroup_size: 256
    .name:           _ZN7rocprim17ROCPRIM_400000_NS6detail17trampoline_kernelINS0_14default_configENS1_35radix_sort_onesweep_config_selectorItNS0_10empty_typeEEEZZNS1_29radix_sort_onesweep_iterationIS3_Lb0EN6thrust23THRUST_200600_302600_NS6detail15normal_iteratorINS9_10device_ptrItEEEESE_PS5_SF_jNS0_19identity_decomposerENS1_16block_id_wrapperIjLb0EEEEE10hipError_tT1_PNSt15iterator_traitsISK_E10value_typeET2_T3_PNSL_ISQ_E10value_typeET4_T5_PSV_SW_PNS1_23onesweep_lookback_stateEbbT6_jjT7_P12ihipStream_tbENKUlT_T0_SK_SP_E_clISE_PtSF_SF_EEDaS13_S14_SK_SP_EUlS13_E_NS1_11comp_targetILNS1_3genE9ELNS1_11target_archE1100ELNS1_3gpuE3ELNS1_3repE0EEENS1_47radix_sort_onesweep_sort_config_static_selectorELNS0_4arch9wavefront6targetE1EEEvSK_
    .private_segment_fixed_size: 0
    .sgpr_count:     4
    .sgpr_spill_count: 0
    .symbol:         _ZN7rocprim17ROCPRIM_400000_NS6detail17trampoline_kernelINS0_14default_configENS1_35radix_sort_onesweep_config_selectorItNS0_10empty_typeEEEZZNS1_29radix_sort_onesweep_iterationIS3_Lb0EN6thrust23THRUST_200600_302600_NS6detail15normal_iteratorINS9_10device_ptrItEEEESE_PS5_SF_jNS0_19identity_decomposerENS1_16block_id_wrapperIjLb0EEEEE10hipError_tT1_PNSt15iterator_traitsISK_E10value_typeET2_T3_PNSL_ISQ_E10value_typeET4_T5_PSV_SW_PNS1_23onesweep_lookback_stateEbbT6_jjT7_P12ihipStream_tbENKUlT_T0_SK_SP_E_clISE_PtSF_SF_EEDaS13_S14_SK_SP_EUlS13_E_NS1_11comp_targetILNS1_3genE9ELNS1_11target_archE1100ELNS1_3gpuE3ELNS1_3repE0EEENS1_47radix_sort_onesweep_sort_config_static_selectorELNS0_4arch9wavefront6targetE1EEEvSK_.kd
    .uniform_work_group_size: 1
    .uses_dynamic_stack: false
    .vgpr_count:     0
    .vgpr_spill_count: 0
    .wavefront_size: 64
  - .agpr_count:     0
    .args:
      - .offset:         0
        .size:           88
        .value_kind:     by_value
    .group_segment_fixed_size: 0
    .kernarg_segment_align: 8
    .kernarg_segment_size: 88
    .language:       OpenCL C
    .language_version:
      - 2
      - 0
    .max_flat_workgroup_size: 256
    .name:           _ZN7rocprim17ROCPRIM_400000_NS6detail17trampoline_kernelINS0_14default_configENS1_35radix_sort_onesweep_config_selectorItNS0_10empty_typeEEEZZNS1_29radix_sort_onesweep_iterationIS3_Lb0EN6thrust23THRUST_200600_302600_NS6detail15normal_iteratorINS9_10device_ptrItEEEESE_PS5_SF_jNS0_19identity_decomposerENS1_16block_id_wrapperIjLb0EEEEE10hipError_tT1_PNSt15iterator_traitsISK_E10value_typeET2_T3_PNSL_ISQ_E10value_typeET4_T5_PSV_SW_PNS1_23onesweep_lookback_stateEbbT6_jjT7_P12ihipStream_tbENKUlT_T0_SK_SP_E_clISE_PtSF_SF_EEDaS13_S14_SK_SP_EUlS13_E_NS1_11comp_targetILNS1_3genE8ELNS1_11target_archE1030ELNS1_3gpuE2ELNS1_3repE0EEENS1_47radix_sort_onesweep_sort_config_static_selectorELNS0_4arch9wavefront6targetE1EEEvSK_
    .private_segment_fixed_size: 0
    .sgpr_count:     4
    .sgpr_spill_count: 0
    .symbol:         _ZN7rocprim17ROCPRIM_400000_NS6detail17trampoline_kernelINS0_14default_configENS1_35radix_sort_onesweep_config_selectorItNS0_10empty_typeEEEZZNS1_29radix_sort_onesweep_iterationIS3_Lb0EN6thrust23THRUST_200600_302600_NS6detail15normal_iteratorINS9_10device_ptrItEEEESE_PS5_SF_jNS0_19identity_decomposerENS1_16block_id_wrapperIjLb0EEEEE10hipError_tT1_PNSt15iterator_traitsISK_E10value_typeET2_T3_PNSL_ISQ_E10value_typeET4_T5_PSV_SW_PNS1_23onesweep_lookback_stateEbbT6_jjT7_P12ihipStream_tbENKUlT_T0_SK_SP_E_clISE_PtSF_SF_EEDaS13_S14_SK_SP_EUlS13_E_NS1_11comp_targetILNS1_3genE8ELNS1_11target_archE1030ELNS1_3gpuE2ELNS1_3repE0EEENS1_47radix_sort_onesweep_sort_config_static_selectorELNS0_4arch9wavefront6targetE1EEEvSK_.kd
    .uniform_work_group_size: 1
    .uses_dynamic_stack: false
    .vgpr_count:     0
    .vgpr_spill_count: 0
    .wavefront_size: 64
  - .agpr_count:     0
    .args:
      - .offset:         0
        .size:           88
        .value_kind:     by_value
    .group_segment_fixed_size: 0
    .kernarg_segment_align: 8
    .kernarg_segment_size: 88
    .language:       OpenCL C
    .language_version:
      - 2
      - 0
    .max_flat_workgroup_size: 512
    .name:           _ZN7rocprim17ROCPRIM_400000_NS6detail17trampoline_kernelINS0_14default_configENS1_35radix_sort_onesweep_config_selectorItNS0_10empty_typeEEEZZNS1_29radix_sort_onesweep_iterationIS3_Lb0EN6thrust23THRUST_200600_302600_NS6detail15normal_iteratorINS9_10device_ptrItEEEESE_PS5_SF_jNS0_19identity_decomposerENS1_16block_id_wrapperIjLb0EEEEE10hipError_tT1_PNSt15iterator_traitsISK_E10value_typeET2_T3_PNSL_ISQ_E10value_typeET4_T5_PSV_SW_PNS1_23onesweep_lookback_stateEbbT6_jjT7_P12ihipStream_tbENKUlT_T0_SK_SP_E_clIPtSE_SF_SF_EEDaS13_S14_SK_SP_EUlS13_E_NS1_11comp_targetILNS1_3genE0ELNS1_11target_archE4294967295ELNS1_3gpuE0ELNS1_3repE0EEENS1_47radix_sort_onesweep_sort_config_static_selectorELNS0_4arch9wavefront6targetE1EEEvSK_
    .private_segment_fixed_size: 0
    .sgpr_count:     4
    .sgpr_spill_count: 0
    .symbol:         _ZN7rocprim17ROCPRIM_400000_NS6detail17trampoline_kernelINS0_14default_configENS1_35radix_sort_onesweep_config_selectorItNS0_10empty_typeEEEZZNS1_29radix_sort_onesweep_iterationIS3_Lb0EN6thrust23THRUST_200600_302600_NS6detail15normal_iteratorINS9_10device_ptrItEEEESE_PS5_SF_jNS0_19identity_decomposerENS1_16block_id_wrapperIjLb0EEEEE10hipError_tT1_PNSt15iterator_traitsISK_E10value_typeET2_T3_PNSL_ISQ_E10value_typeET4_T5_PSV_SW_PNS1_23onesweep_lookback_stateEbbT6_jjT7_P12ihipStream_tbENKUlT_T0_SK_SP_E_clIPtSE_SF_SF_EEDaS13_S14_SK_SP_EUlS13_E_NS1_11comp_targetILNS1_3genE0ELNS1_11target_archE4294967295ELNS1_3gpuE0ELNS1_3repE0EEENS1_47radix_sort_onesweep_sort_config_static_selectorELNS0_4arch9wavefront6targetE1EEEvSK_.kd
    .uniform_work_group_size: 1
    .uses_dynamic_stack: false
    .vgpr_count:     0
    .vgpr_spill_count: 0
    .wavefront_size: 64
  - .agpr_count:     0
    .args:
      - .offset:         0
        .size:           88
        .value_kind:     by_value
    .group_segment_fixed_size: 0
    .kernarg_segment_align: 8
    .kernarg_segment_size: 88
    .language:       OpenCL C
    .language_version:
      - 2
      - 0
    .max_flat_workgroup_size: 1024
    .name:           _ZN7rocprim17ROCPRIM_400000_NS6detail17trampoline_kernelINS0_14default_configENS1_35radix_sort_onesweep_config_selectorItNS0_10empty_typeEEEZZNS1_29radix_sort_onesweep_iterationIS3_Lb0EN6thrust23THRUST_200600_302600_NS6detail15normal_iteratorINS9_10device_ptrItEEEESE_PS5_SF_jNS0_19identity_decomposerENS1_16block_id_wrapperIjLb0EEEEE10hipError_tT1_PNSt15iterator_traitsISK_E10value_typeET2_T3_PNSL_ISQ_E10value_typeET4_T5_PSV_SW_PNS1_23onesweep_lookback_stateEbbT6_jjT7_P12ihipStream_tbENKUlT_T0_SK_SP_E_clIPtSE_SF_SF_EEDaS13_S14_SK_SP_EUlS13_E_NS1_11comp_targetILNS1_3genE6ELNS1_11target_archE950ELNS1_3gpuE13ELNS1_3repE0EEENS1_47radix_sort_onesweep_sort_config_static_selectorELNS0_4arch9wavefront6targetE1EEEvSK_
    .private_segment_fixed_size: 0
    .sgpr_count:     4
    .sgpr_spill_count: 0
    .symbol:         _ZN7rocprim17ROCPRIM_400000_NS6detail17trampoline_kernelINS0_14default_configENS1_35radix_sort_onesweep_config_selectorItNS0_10empty_typeEEEZZNS1_29radix_sort_onesweep_iterationIS3_Lb0EN6thrust23THRUST_200600_302600_NS6detail15normal_iteratorINS9_10device_ptrItEEEESE_PS5_SF_jNS0_19identity_decomposerENS1_16block_id_wrapperIjLb0EEEEE10hipError_tT1_PNSt15iterator_traitsISK_E10value_typeET2_T3_PNSL_ISQ_E10value_typeET4_T5_PSV_SW_PNS1_23onesweep_lookback_stateEbbT6_jjT7_P12ihipStream_tbENKUlT_T0_SK_SP_E_clIPtSE_SF_SF_EEDaS13_S14_SK_SP_EUlS13_E_NS1_11comp_targetILNS1_3genE6ELNS1_11target_archE950ELNS1_3gpuE13ELNS1_3repE0EEENS1_47radix_sort_onesweep_sort_config_static_selectorELNS0_4arch9wavefront6targetE1EEEvSK_.kd
    .uniform_work_group_size: 1
    .uses_dynamic_stack: false
    .vgpr_count:     0
    .vgpr_spill_count: 0
    .wavefront_size: 64
  - .agpr_count:     0
    .args:
      - .offset:         0
        .size:           88
        .value_kind:     by_value
    .group_segment_fixed_size: 0
    .kernarg_segment_align: 8
    .kernarg_segment_size: 88
    .language:       OpenCL C
    .language_version:
      - 2
      - 0
    .max_flat_workgroup_size: 1024
    .name:           _ZN7rocprim17ROCPRIM_400000_NS6detail17trampoline_kernelINS0_14default_configENS1_35radix_sort_onesweep_config_selectorItNS0_10empty_typeEEEZZNS1_29radix_sort_onesweep_iterationIS3_Lb0EN6thrust23THRUST_200600_302600_NS6detail15normal_iteratorINS9_10device_ptrItEEEESE_PS5_SF_jNS0_19identity_decomposerENS1_16block_id_wrapperIjLb0EEEEE10hipError_tT1_PNSt15iterator_traitsISK_E10value_typeET2_T3_PNSL_ISQ_E10value_typeET4_T5_PSV_SW_PNS1_23onesweep_lookback_stateEbbT6_jjT7_P12ihipStream_tbENKUlT_T0_SK_SP_E_clIPtSE_SF_SF_EEDaS13_S14_SK_SP_EUlS13_E_NS1_11comp_targetILNS1_3genE5ELNS1_11target_archE942ELNS1_3gpuE9ELNS1_3repE0EEENS1_47radix_sort_onesweep_sort_config_static_selectorELNS0_4arch9wavefront6targetE1EEEvSK_
    .private_segment_fixed_size: 0
    .sgpr_count:     4
    .sgpr_spill_count: 0
    .symbol:         _ZN7rocprim17ROCPRIM_400000_NS6detail17trampoline_kernelINS0_14default_configENS1_35radix_sort_onesweep_config_selectorItNS0_10empty_typeEEEZZNS1_29radix_sort_onesweep_iterationIS3_Lb0EN6thrust23THRUST_200600_302600_NS6detail15normal_iteratorINS9_10device_ptrItEEEESE_PS5_SF_jNS0_19identity_decomposerENS1_16block_id_wrapperIjLb0EEEEE10hipError_tT1_PNSt15iterator_traitsISK_E10value_typeET2_T3_PNSL_ISQ_E10value_typeET4_T5_PSV_SW_PNS1_23onesweep_lookback_stateEbbT6_jjT7_P12ihipStream_tbENKUlT_T0_SK_SP_E_clIPtSE_SF_SF_EEDaS13_S14_SK_SP_EUlS13_E_NS1_11comp_targetILNS1_3genE5ELNS1_11target_archE942ELNS1_3gpuE9ELNS1_3repE0EEENS1_47radix_sort_onesweep_sort_config_static_selectorELNS0_4arch9wavefront6targetE1EEEvSK_.kd
    .uniform_work_group_size: 1
    .uses_dynamic_stack: false
    .vgpr_count:     0
    .vgpr_spill_count: 0
    .wavefront_size: 64
  - .agpr_count:     0
    .args:
      - .offset:         0
        .size:           88
        .value_kind:     by_value
    .group_segment_fixed_size: 0
    .kernarg_segment_align: 8
    .kernarg_segment_size: 88
    .language:       OpenCL C
    .language_version:
      - 2
      - 0
    .max_flat_workgroup_size: 512
    .name:           _ZN7rocprim17ROCPRIM_400000_NS6detail17trampoline_kernelINS0_14default_configENS1_35radix_sort_onesweep_config_selectorItNS0_10empty_typeEEEZZNS1_29radix_sort_onesweep_iterationIS3_Lb0EN6thrust23THRUST_200600_302600_NS6detail15normal_iteratorINS9_10device_ptrItEEEESE_PS5_SF_jNS0_19identity_decomposerENS1_16block_id_wrapperIjLb0EEEEE10hipError_tT1_PNSt15iterator_traitsISK_E10value_typeET2_T3_PNSL_ISQ_E10value_typeET4_T5_PSV_SW_PNS1_23onesweep_lookback_stateEbbT6_jjT7_P12ihipStream_tbENKUlT_T0_SK_SP_E_clIPtSE_SF_SF_EEDaS13_S14_SK_SP_EUlS13_E_NS1_11comp_targetILNS1_3genE2ELNS1_11target_archE906ELNS1_3gpuE6ELNS1_3repE0EEENS1_47radix_sort_onesweep_sort_config_static_selectorELNS0_4arch9wavefront6targetE1EEEvSK_
    .private_segment_fixed_size: 0
    .sgpr_count:     4
    .sgpr_spill_count: 0
    .symbol:         _ZN7rocprim17ROCPRIM_400000_NS6detail17trampoline_kernelINS0_14default_configENS1_35radix_sort_onesweep_config_selectorItNS0_10empty_typeEEEZZNS1_29radix_sort_onesweep_iterationIS3_Lb0EN6thrust23THRUST_200600_302600_NS6detail15normal_iteratorINS9_10device_ptrItEEEESE_PS5_SF_jNS0_19identity_decomposerENS1_16block_id_wrapperIjLb0EEEEE10hipError_tT1_PNSt15iterator_traitsISK_E10value_typeET2_T3_PNSL_ISQ_E10value_typeET4_T5_PSV_SW_PNS1_23onesweep_lookback_stateEbbT6_jjT7_P12ihipStream_tbENKUlT_T0_SK_SP_E_clIPtSE_SF_SF_EEDaS13_S14_SK_SP_EUlS13_E_NS1_11comp_targetILNS1_3genE2ELNS1_11target_archE906ELNS1_3gpuE6ELNS1_3repE0EEENS1_47radix_sort_onesweep_sort_config_static_selectorELNS0_4arch9wavefront6targetE1EEEvSK_.kd
    .uniform_work_group_size: 1
    .uses_dynamic_stack: false
    .vgpr_count:     0
    .vgpr_spill_count: 0
    .wavefront_size: 64
  - .agpr_count:     0
    .args:
      - .offset:         0
        .size:           88
        .value_kind:     by_value
      - .offset:         88
        .size:           4
        .value_kind:     hidden_block_count_x
      - .offset:         92
        .size:           4
        .value_kind:     hidden_block_count_y
      - .offset:         96
        .size:           4
        .value_kind:     hidden_block_count_z
      - .offset:         100
        .size:           2
        .value_kind:     hidden_group_size_x
      - .offset:         102
        .size:           2
        .value_kind:     hidden_group_size_y
      - .offset:         104
        .size:           2
        .value_kind:     hidden_group_size_z
      - .offset:         106
        .size:           2
        .value_kind:     hidden_remainder_x
      - .offset:         108
        .size:           2
        .value_kind:     hidden_remainder_y
      - .offset:         110
        .size:           2
        .value_kind:     hidden_remainder_z
      - .offset:         128
        .size:           8
        .value_kind:     hidden_global_offset_x
      - .offset:         136
        .size:           8
        .value_kind:     hidden_global_offset_y
      - .offset:         144
        .size:           8
        .value_kind:     hidden_global_offset_z
      - .offset:         152
        .size:           2
        .value_kind:     hidden_grid_dims
    .group_segment_fixed_size: 25608
    .kernarg_segment_align: 8
    .kernarg_segment_size: 344
    .language:       OpenCL C
    .language_version:
      - 2
      - 0
    .max_flat_workgroup_size: 1024
    .name:           _ZN7rocprim17ROCPRIM_400000_NS6detail17trampoline_kernelINS0_14default_configENS1_35radix_sort_onesweep_config_selectorItNS0_10empty_typeEEEZZNS1_29radix_sort_onesweep_iterationIS3_Lb0EN6thrust23THRUST_200600_302600_NS6detail15normal_iteratorINS9_10device_ptrItEEEESE_PS5_SF_jNS0_19identity_decomposerENS1_16block_id_wrapperIjLb0EEEEE10hipError_tT1_PNSt15iterator_traitsISK_E10value_typeET2_T3_PNSL_ISQ_E10value_typeET4_T5_PSV_SW_PNS1_23onesweep_lookback_stateEbbT6_jjT7_P12ihipStream_tbENKUlT_T0_SK_SP_E_clIPtSE_SF_SF_EEDaS13_S14_SK_SP_EUlS13_E_NS1_11comp_targetILNS1_3genE4ELNS1_11target_archE910ELNS1_3gpuE8ELNS1_3repE0EEENS1_47radix_sort_onesweep_sort_config_static_selectorELNS0_4arch9wavefront6targetE1EEEvSK_
    .private_segment_fixed_size: 0
    .sgpr_count:     35
    .sgpr_spill_count: 0
    .symbol:         _ZN7rocprim17ROCPRIM_400000_NS6detail17trampoline_kernelINS0_14default_configENS1_35radix_sort_onesweep_config_selectorItNS0_10empty_typeEEEZZNS1_29radix_sort_onesweep_iterationIS3_Lb0EN6thrust23THRUST_200600_302600_NS6detail15normal_iteratorINS9_10device_ptrItEEEESE_PS5_SF_jNS0_19identity_decomposerENS1_16block_id_wrapperIjLb0EEEEE10hipError_tT1_PNSt15iterator_traitsISK_E10value_typeET2_T3_PNSL_ISQ_E10value_typeET4_T5_PSV_SW_PNS1_23onesweep_lookback_stateEbbT6_jjT7_P12ihipStream_tbENKUlT_T0_SK_SP_E_clIPtSE_SF_SF_EEDaS13_S14_SK_SP_EUlS13_E_NS1_11comp_targetILNS1_3genE4ELNS1_11target_archE910ELNS1_3gpuE8ELNS1_3repE0EEENS1_47radix_sort_onesweep_sort_config_static_selectorELNS0_4arch9wavefront6targetE1EEEvSK_.kd
    .uniform_work_group_size: 1
    .uses_dynamic_stack: false
    .vgpr_count:     62
    .vgpr_spill_count: 0
    .wavefront_size: 64
  - .agpr_count:     0
    .args:
      - .offset:         0
        .size:           88
        .value_kind:     by_value
    .group_segment_fixed_size: 0
    .kernarg_segment_align: 8
    .kernarg_segment_size: 88
    .language:       OpenCL C
    .language_version:
      - 2
      - 0
    .max_flat_workgroup_size: 512
    .name:           _ZN7rocprim17ROCPRIM_400000_NS6detail17trampoline_kernelINS0_14default_configENS1_35radix_sort_onesweep_config_selectorItNS0_10empty_typeEEEZZNS1_29radix_sort_onesweep_iterationIS3_Lb0EN6thrust23THRUST_200600_302600_NS6detail15normal_iteratorINS9_10device_ptrItEEEESE_PS5_SF_jNS0_19identity_decomposerENS1_16block_id_wrapperIjLb0EEEEE10hipError_tT1_PNSt15iterator_traitsISK_E10value_typeET2_T3_PNSL_ISQ_E10value_typeET4_T5_PSV_SW_PNS1_23onesweep_lookback_stateEbbT6_jjT7_P12ihipStream_tbENKUlT_T0_SK_SP_E_clIPtSE_SF_SF_EEDaS13_S14_SK_SP_EUlS13_E_NS1_11comp_targetILNS1_3genE3ELNS1_11target_archE908ELNS1_3gpuE7ELNS1_3repE0EEENS1_47radix_sort_onesweep_sort_config_static_selectorELNS0_4arch9wavefront6targetE1EEEvSK_
    .private_segment_fixed_size: 0
    .sgpr_count:     4
    .sgpr_spill_count: 0
    .symbol:         _ZN7rocprim17ROCPRIM_400000_NS6detail17trampoline_kernelINS0_14default_configENS1_35radix_sort_onesweep_config_selectorItNS0_10empty_typeEEEZZNS1_29radix_sort_onesweep_iterationIS3_Lb0EN6thrust23THRUST_200600_302600_NS6detail15normal_iteratorINS9_10device_ptrItEEEESE_PS5_SF_jNS0_19identity_decomposerENS1_16block_id_wrapperIjLb0EEEEE10hipError_tT1_PNSt15iterator_traitsISK_E10value_typeET2_T3_PNSL_ISQ_E10value_typeET4_T5_PSV_SW_PNS1_23onesweep_lookback_stateEbbT6_jjT7_P12ihipStream_tbENKUlT_T0_SK_SP_E_clIPtSE_SF_SF_EEDaS13_S14_SK_SP_EUlS13_E_NS1_11comp_targetILNS1_3genE3ELNS1_11target_archE908ELNS1_3gpuE7ELNS1_3repE0EEENS1_47radix_sort_onesweep_sort_config_static_selectorELNS0_4arch9wavefront6targetE1EEEvSK_.kd
    .uniform_work_group_size: 1
    .uses_dynamic_stack: false
    .vgpr_count:     0
    .vgpr_spill_count: 0
    .wavefront_size: 64
  - .agpr_count:     0
    .args:
      - .offset:         0
        .size:           88
        .value_kind:     by_value
    .group_segment_fixed_size: 0
    .kernarg_segment_align: 8
    .kernarg_segment_size: 88
    .language:       OpenCL C
    .language_version:
      - 2
      - 0
    .max_flat_workgroup_size: 256
    .name:           _ZN7rocprim17ROCPRIM_400000_NS6detail17trampoline_kernelINS0_14default_configENS1_35radix_sort_onesweep_config_selectorItNS0_10empty_typeEEEZZNS1_29radix_sort_onesweep_iterationIS3_Lb0EN6thrust23THRUST_200600_302600_NS6detail15normal_iteratorINS9_10device_ptrItEEEESE_PS5_SF_jNS0_19identity_decomposerENS1_16block_id_wrapperIjLb0EEEEE10hipError_tT1_PNSt15iterator_traitsISK_E10value_typeET2_T3_PNSL_ISQ_E10value_typeET4_T5_PSV_SW_PNS1_23onesweep_lookback_stateEbbT6_jjT7_P12ihipStream_tbENKUlT_T0_SK_SP_E_clIPtSE_SF_SF_EEDaS13_S14_SK_SP_EUlS13_E_NS1_11comp_targetILNS1_3genE10ELNS1_11target_archE1201ELNS1_3gpuE5ELNS1_3repE0EEENS1_47radix_sort_onesweep_sort_config_static_selectorELNS0_4arch9wavefront6targetE1EEEvSK_
    .private_segment_fixed_size: 0
    .sgpr_count:     4
    .sgpr_spill_count: 0
    .symbol:         _ZN7rocprim17ROCPRIM_400000_NS6detail17trampoline_kernelINS0_14default_configENS1_35radix_sort_onesweep_config_selectorItNS0_10empty_typeEEEZZNS1_29radix_sort_onesweep_iterationIS3_Lb0EN6thrust23THRUST_200600_302600_NS6detail15normal_iteratorINS9_10device_ptrItEEEESE_PS5_SF_jNS0_19identity_decomposerENS1_16block_id_wrapperIjLb0EEEEE10hipError_tT1_PNSt15iterator_traitsISK_E10value_typeET2_T3_PNSL_ISQ_E10value_typeET4_T5_PSV_SW_PNS1_23onesweep_lookback_stateEbbT6_jjT7_P12ihipStream_tbENKUlT_T0_SK_SP_E_clIPtSE_SF_SF_EEDaS13_S14_SK_SP_EUlS13_E_NS1_11comp_targetILNS1_3genE10ELNS1_11target_archE1201ELNS1_3gpuE5ELNS1_3repE0EEENS1_47radix_sort_onesweep_sort_config_static_selectorELNS0_4arch9wavefront6targetE1EEEvSK_.kd
    .uniform_work_group_size: 1
    .uses_dynamic_stack: false
    .vgpr_count:     0
    .vgpr_spill_count: 0
    .wavefront_size: 64
  - .agpr_count:     0
    .args:
      - .offset:         0
        .size:           88
        .value_kind:     by_value
    .group_segment_fixed_size: 0
    .kernarg_segment_align: 8
    .kernarg_segment_size: 88
    .language:       OpenCL C
    .language_version:
      - 2
      - 0
    .max_flat_workgroup_size: 256
    .name:           _ZN7rocprim17ROCPRIM_400000_NS6detail17trampoline_kernelINS0_14default_configENS1_35radix_sort_onesweep_config_selectorItNS0_10empty_typeEEEZZNS1_29radix_sort_onesweep_iterationIS3_Lb0EN6thrust23THRUST_200600_302600_NS6detail15normal_iteratorINS9_10device_ptrItEEEESE_PS5_SF_jNS0_19identity_decomposerENS1_16block_id_wrapperIjLb0EEEEE10hipError_tT1_PNSt15iterator_traitsISK_E10value_typeET2_T3_PNSL_ISQ_E10value_typeET4_T5_PSV_SW_PNS1_23onesweep_lookback_stateEbbT6_jjT7_P12ihipStream_tbENKUlT_T0_SK_SP_E_clIPtSE_SF_SF_EEDaS13_S14_SK_SP_EUlS13_E_NS1_11comp_targetILNS1_3genE9ELNS1_11target_archE1100ELNS1_3gpuE3ELNS1_3repE0EEENS1_47radix_sort_onesweep_sort_config_static_selectorELNS0_4arch9wavefront6targetE1EEEvSK_
    .private_segment_fixed_size: 0
    .sgpr_count:     4
    .sgpr_spill_count: 0
    .symbol:         _ZN7rocprim17ROCPRIM_400000_NS6detail17trampoline_kernelINS0_14default_configENS1_35radix_sort_onesweep_config_selectorItNS0_10empty_typeEEEZZNS1_29radix_sort_onesweep_iterationIS3_Lb0EN6thrust23THRUST_200600_302600_NS6detail15normal_iteratorINS9_10device_ptrItEEEESE_PS5_SF_jNS0_19identity_decomposerENS1_16block_id_wrapperIjLb0EEEEE10hipError_tT1_PNSt15iterator_traitsISK_E10value_typeET2_T3_PNSL_ISQ_E10value_typeET4_T5_PSV_SW_PNS1_23onesweep_lookback_stateEbbT6_jjT7_P12ihipStream_tbENKUlT_T0_SK_SP_E_clIPtSE_SF_SF_EEDaS13_S14_SK_SP_EUlS13_E_NS1_11comp_targetILNS1_3genE9ELNS1_11target_archE1100ELNS1_3gpuE3ELNS1_3repE0EEENS1_47radix_sort_onesweep_sort_config_static_selectorELNS0_4arch9wavefront6targetE1EEEvSK_.kd
    .uniform_work_group_size: 1
    .uses_dynamic_stack: false
    .vgpr_count:     0
    .vgpr_spill_count: 0
    .wavefront_size: 64
  - .agpr_count:     0
    .args:
      - .offset:         0
        .size:           88
        .value_kind:     by_value
    .group_segment_fixed_size: 0
    .kernarg_segment_align: 8
    .kernarg_segment_size: 88
    .language:       OpenCL C
    .language_version:
      - 2
      - 0
    .max_flat_workgroup_size: 256
    .name:           _ZN7rocprim17ROCPRIM_400000_NS6detail17trampoline_kernelINS0_14default_configENS1_35radix_sort_onesweep_config_selectorItNS0_10empty_typeEEEZZNS1_29radix_sort_onesweep_iterationIS3_Lb0EN6thrust23THRUST_200600_302600_NS6detail15normal_iteratorINS9_10device_ptrItEEEESE_PS5_SF_jNS0_19identity_decomposerENS1_16block_id_wrapperIjLb0EEEEE10hipError_tT1_PNSt15iterator_traitsISK_E10value_typeET2_T3_PNSL_ISQ_E10value_typeET4_T5_PSV_SW_PNS1_23onesweep_lookback_stateEbbT6_jjT7_P12ihipStream_tbENKUlT_T0_SK_SP_E_clIPtSE_SF_SF_EEDaS13_S14_SK_SP_EUlS13_E_NS1_11comp_targetILNS1_3genE8ELNS1_11target_archE1030ELNS1_3gpuE2ELNS1_3repE0EEENS1_47radix_sort_onesweep_sort_config_static_selectorELNS0_4arch9wavefront6targetE1EEEvSK_
    .private_segment_fixed_size: 0
    .sgpr_count:     4
    .sgpr_spill_count: 0
    .symbol:         _ZN7rocprim17ROCPRIM_400000_NS6detail17trampoline_kernelINS0_14default_configENS1_35radix_sort_onesweep_config_selectorItNS0_10empty_typeEEEZZNS1_29radix_sort_onesweep_iterationIS3_Lb0EN6thrust23THRUST_200600_302600_NS6detail15normal_iteratorINS9_10device_ptrItEEEESE_PS5_SF_jNS0_19identity_decomposerENS1_16block_id_wrapperIjLb0EEEEE10hipError_tT1_PNSt15iterator_traitsISK_E10value_typeET2_T3_PNSL_ISQ_E10value_typeET4_T5_PSV_SW_PNS1_23onesweep_lookback_stateEbbT6_jjT7_P12ihipStream_tbENKUlT_T0_SK_SP_E_clIPtSE_SF_SF_EEDaS13_S14_SK_SP_EUlS13_E_NS1_11comp_targetILNS1_3genE8ELNS1_11target_archE1030ELNS1_3gpuE2ELNS1_3repE0EEENS1_47radix_sort_onesweep_sort_config_static_selectorELNS0_4arch9wavefront6targetE1EEEvSK_.kd
    .uniform_work_group_size: 1
    .uses_dynamic_stack: false
    .vgpr_count:     0
    .vgpr_spill_count: 0
    .wavefront_size: 64
  - .agpr_count:     0
    .args:
      - .offset:         0
        .size:           48
        .value_kind:     by_value
    .group_segment_fixed_size: 0
    .kernarg_segment_align: 8
    .kernarg_segment_size: 48
    .language:       OpenCL C
    .language_version:
      - 2
      - 0
    .max_flat_workgroup_size: 256
    .name:           _ZN7rocprim17ROCPRIM_400000_NS6detail17trampoline_kernelINS0_13kernel_configILj256ELj4ELj4294967295EEENS1_37radix_sort_block_sort_config_selectorIxNS0_10empty_typeEEEZNS1_21radix_sort_block_sortIS4_Lb0EN6thrust23THRUST_200600_302600_NS6detail15normal_iteratorINSA_10device_ptrIxEEEESF_PS6_SG_NS0_19identity_decomposerEEE10hipError_tT1_T2_T3_T4_jRjT5_jjP12ihipStream_tbEUlT_E_NS1_11comp_targetILNS1_3genE0ELNS1_11target_archE4294967295ELNS1_3gpuE0ELNS1_3repE0EEENS1_44radix_sort_block_sort_config_static_selectorELNS0_4arch9wavefront6targetE1EEEvSJ_
    .private_segment_fixed_size: 0
    .sgpr_count:     4
    .sgpr_spill_count: 0
    .symbol:         _ZN7rocprim17ROCPRIM_400000_NS6detail17trampoline_kernelINS0_13kernel_configILj256ELj4ELj4294967295EEENS1_37radix_sort_block_sort_config_selectorIxNS0_10empty_typeEEEZNS1_21radix_sort_block_sortIS4_Lb0EN6thrust23THRUST_200600_302600_NS6detail15normal_iteratorINSA_10device_ptrIxEEEESF_PS6_SG_NS0_19identity_decomposerEEE10hipError_tT1_T2_T3_T4_jRjT5_jjP12ihipStream_tbEUlT_E_NS1_11comp_targetILNS1_3genE0ELNS1_11target_archE4294967295ELNS1_3gpuE0ELNS1_3repE0EEENS1_44radix_sort_block_sort_config_static_selectorELNS0_4arch9wavefront6targetE1EEEvSJ_.kd
    .uniform_work_group_size: 1
    .uses_dynamic_stack: false
    .vgpr_count:     0
    .vgpr_spill_count: 0
    .wavefront_size: 64
  - .agpr_count:     0
    .args:
      - .offset:         0
        .size:           48
        .value_kind:     by_value
    .group_segment_fixed_size: 0
    .kernarg_segment_align: 8
    .kernarg_segment_size: 48
    .language:       OpenCL C
    .language_version:
      - 2
      - 0
    .max_flat_workgroup_size: 256
    .name:           _ZN7rocprim17ROCPRIM_400000_NS6detail17trampoline_kernelINS0_13kernel_configILj256ELj4ELj4294967295EEENS1_37radix_sort_block_sort_config_selectorIxNS0_10empty_typeEEEZNS1_21radix_sort_block_sortIS4_Lb0EN6thrust23THRUST_200600_302600_NS6detail15normal_iteratorINSA_10device_ptrIxEEEESF_PS6_SG_NS0_19identity_decomposerEEE10hipError_tT1_T2_T3_T4_jRjT5_jjP12ihipStream_tbEUlT_E_NS1_11comp_targetILNS1_3genE5ELNS1_11target_archE942ELNS1_3gpuE9ELNS1_3repE0EEENS1_44radix_sort_block_sort_config_static_selectorELNS0_4arch9wavefront6targetE1EEEvSJ_
    .private_segment_fixed_size: 0
    .sgpr_count:     4
    .sgpr_spill_count: 0
    .symbol:         _ZN7rocprim17ROCPRIM_400000_NS6detail17trampoline_kernelINS0_13kernel_configILj256ELj4ELj4294967295EEENS1_37radix_sort_block_sort_config_selectorIxNS0_10empty_typeEEEZNS1_21radix_sort_block_sortIS4_Lb0EN6thrust23THRUST_200600_302600_NS6detail15normal_iteratorINSA_10device_ptrIxEEEESF_PS6_SG_NS0_19identity_decomposerEEE10hipError_tT1_T2_T3_T4_jRjT5_jjP12ihipStream_tbEUlT_E_NS1_11comp_targetILNS1_3genE5ELNS1_11target_archE942ELNS1_3gpuE9ELNS1_3repE0EEENS1_44radix_sort_block_sort_config_static_selectorELNS0_4arch9wavefront6targetE1EEEvSJ_.kd
    .uniform_work_group_size: 1
    .uses_dynamic_stack: false
    .vgpr_count:     0
    .vgpr_spill_count: 0
    .wavefront_size: 64
  - .agpr_count:     0
    .args:
      - .offset:         0
        .size:           48
        .value_kind:     by_value
      - .offset:         48
        .size:           4
        .value_kind:     hidden_block_count_x
      - .offset:         52
        .size:           4
        .value_kind:     hidden_block_count_y
      - .offset:         56
        .size:           4
        .value_kind:     hidden_block_count_z
      - .offset:         60
        .size:           2
        .value_kind:     hidden_group_size_x
      - .offset:         62
        .size:           2
        .value_kind:     hidden_group_size_y
      - .offset:         64
        .size:           2
        .value_kind:     hidden_group_size_z
      - .offset:         66
        .size:           2
        .value_kind:     hidden_remainder_x
      - .offset:         68
        .size:           2
        .value_kind:     hidden_remainder_y
      - .offset:         70
        .size:           2
        .value_kind:     hidden_remainder_z
      - .offset:         88
        .size:           8
        .value_kind:     hidden_global_offset_x
      - .offset:         96
        .size:           8
        .value_kind:     hidden_global_offset_y
      - .offset:         104
        .size:           8
        .value_kind:     hidden_global_offset_z
      - .offset:         112
        .size:           2
        .value_kind:     hidden_grid_dims
    .group_segment_fixed_size: 8192
    .kernarg_segment_align: 8
    .kernarg_segment_size: 304
    .language:       OpenCL C
    .language_version:
      - 2
      - 0
    .max_flat_workgroup_size: 256
    .name:           _ZN7rocprim17ROCPRIM_400000_NS6detail17trampoline_kernelINS0_13kernel_configILj256ELj4ELj4294967295EEENS1_37radix_sort_block_sort_config_selectorIxNS0_10empty_typeEEEZNS1_21radix_sort_block_sortIS4_Lb0EN6thrust23THRUST_200600_302600_NS6detail15normal_iteratorINSA_10device_ptrIxEEEESF_PS6_SG_NS0_19identity_decomposerEEE10hipError_tT1_T2_T3_T4_jRjT5_jjP12ihipStream_tbEUlT_E_NS1_11comp_targetILNS1_3genE4ELNS1_11target_archE910ELNS1_3gpuE8ELNS1_3repE0EEENS1_44radix_sort_block_sort_config_static_selectorELNS0_4arch9wavefront6targetE1EEEvSJ_
    .private_segment_fixed_size: 0
    .sgpr_count:     48
    .sgpr_spill_count: 0
    .symbol:         _ZN7rocprim17ROCPRIM_400000_NS6detail17trampoline_kernelINS0_13kernel_configILj256ELj4ELj4294967295EEENS1_37radix_sort_block_sort_config_selectorIxNS0_10empty_typeEEEZNS1_21radix_sort_block_sortIS4_Lb0EN6thrust23THRUST_200600_302600_NS6detail15normal_iteratorINSA_10device_ptrIxEEEESF_PS6_SG_NS0_19identity_decomposerEEE10hipError_tT1_T2_T3_T4_jRjT5_jjP12ihipStream_tbEUlT_E_NS1_11comp_targetILNS1_3genE4ELNS1_11target_archE910ELNS1_3gpuE8ELNS1_3repE0EEENS1_44radix_sort_block_sort_config_static_selectorELNS0_4arch9wavefront6targetE1EEEvSJ_.kd
    .uniform_work_group_size: 1
    .uses_dynamic_stack: false
    .vgpr_count:     42
    .vgpr_spill_count: 0
    .wavefront_size: 64
  - .agpr_count:     0
    .args:
      - .offset:         0
        .size:           48
        .value_kind:     by_value
    .group_segment_fixed_size: 0
    .kernarg_segment_align: 8
    .kernarg_segment_size: 48
    .language:       OpenCL C
    .language_version:
      - 2
      - 0
    .max_flat_workgroup_size: 256
    .name:           _ZN7rocprim17ROCPRIM_400000_NS6detail17trampoline_kernelINS0_13kernel_configILj256ELj4ELj4294967295EEENS1_37radix_sort_block_sort_config_selectorIxNS0_10empty_typeEEEZNS1_21radix_sort_block_sortIS4_Lb0EN6thrust23THRUST_200600_302600_NS6detail15normal_iteratorINSA_10device_ptrIxEEEESF_PS6_SG_NS0_19identity_decomposerEEE10hipError_tT1_T2_T3_T4_jRjT5_jjP12ihipStream_tbEUlT_E_NS1_11comp_targetILNS1_3genE3ELNS1_11target_archE908ELNS1_3gpuE7ELNS1_3repE0EEENS1_44radix_sort_block_sort_config_static_selectorELNS0_4arch9wavefront6targetE1EEEvSJ_
    .private_segment_fixed_size: 0
    .sgpr_count:     4
    .sgpr_spill_count: 0
    .symbol:         _ZN7rocprim17ROCPRIM_400000_NS6detail17trampoline_kernelINS0_13kernel_configILj256ELj4ELj4294967295EEENS1_37radix_sort_block_sort_config_selectorIxNS0_10empty_typeEEEZNS1_21radix_sort_block_sortIS4_Lb0EN6thrust23THRUST_200600_302600_NS6detail15normal_iteratorINSA_10device_ptrIxEEEESF_PS6_SG_NS0_19identity_decomposerEEE10hipError_tT1_T2_T3_T4_jRjT5_jjP12ihipStream_tbEUlT_E_NS1_11comp_targetILNS1_3genE3ELNS1_11target_archE908ELNS1_3gpuE7ELNS1_3repE0EEENS1_44radix_sort_block_sort_config_static_selectorELNS0_4arch9wavefront6targetE1EEEvSJ_.kd
    .uniform_work_group_size: 1
    .uses_dynamic_stack: false
    .vgpr_count:     0
    .vgpr_spill_count: 0
    .wavefront_size: 64
  - .agpr_count:     0
    .args:
      - .offset:         0
        .size:           48
        .value_kind:     by_value
    .group_segment_fixed_size: 0
    .kernarg_segment_align: 8
    .kernarg_segment_size: 48
    .language:       OpenCL C
    .language_version:
      - 2
      - 0
    .max_flat_workgroup_size: 256
    .name:           _ZN7rocprim17ROCPRIM_400000_NS6detail17trampoline_kernelINS0_13kernel_configILj256ELj4ELj4294967295EEENS1_37radix_sort_block_sort_config_selectorIxNS0_10empty_typeEEEZNS1_21radix_sort_block_sortIS4_Lb0EN6thrust23THRUST_200600_302600_NS6detail15normal_iteratorINSA_10device_ptrIxEEEESF_PS6_SG_NS0_19identity_decomposerEEE10hipError_tT1_T2_T3_T4_jRjT5_jjP12ihipStream_tbEUlT_E_NS1_11comp_targetILNS1_3genE2ELNS1_11target_archE906ELNS1_3gpuE6ELNS1_3repE0EEENS1_44radix_sort_block_sort_config_static_selectorELNS0_4arch9wavefront6targetE1EEEvSJ_
    .private_segment_fixed_size: 0
    .sgpr_count:     4
    .sgpr_spill_count: 0
    .symbol:         _ZN7rocprim17ROCPRIM_400000_NS6detail17trampoline_kernelINS0_13kernel_configILj256ELj4ELj4294967295EEENS1_37radix_sort_block_sort_config_selectorIxNS0_10empty_typeEEEZNS1_21radix_sort_block_sortIS4_Lb0EN6thrust23THRUST_200600_302600_NS6detail15normal_iteratorINSA_10device_ptrIxEEEESF_PS6_SG_NS0_19identity_decomposerEEE10hipError_tT1_T2_T3_T4_jRjT5_jjP12ihipStream_tbEUlT_E_NS1_11comp_targetILNS1_3genE2ELNS1_11target_archE906ELNS1_3gpuE6ELNS1_3repE0EEENS1_44radix_sort_block_sort_config_static_selectorELNS0_4arch9wavefront6targetE1EEEvSJ_.kd
    .uniform_work_group_size: 1
    .uses_dynamic_stack: false
    .vgpr_count:     0
    .vgpr_spill_count: 0
    .wavefront_size: 64
  - .agpr_count:     0
    .args:
      - .offset:         0
        .size:           48
        .value_kind:     by_value
    .group_segment_fixed_size: 0
    .kernarg_segment_align: 8
    .kernarg_segment_size: 48
    .language:       OpenCL C
    .language_version:
      - 2
      - 0
    .max_flat_workgroup_size: 256
    .name:           _ZN7rocprim17ROCPRIM_400000_NS6detail17trampoline_kernelINS0_13kernel_configILj256ELj4ELj4294967295EEENS1_37radix_sort_block_sort_config_selectorIxNS0_10empty_typeEEEZNS1_21radix_sort_block_sortIS4_Lb0EN6thrust23THRUST_200600_302600_NS6detail15normal_iteratorINSA_10device_ptrIxEEEESF_PS6_SG_NS0_19identity_decomposerEEE10hipError_tT1_T2_T3_T4_jRjT5_jjP12ihipStream_tbEUlT_E_NS1_11comp_targetILNS1_3genE10ELNS1_11target_archE1201ELNS1_3gpuE5ELNS1_3repE0EEENS1_44radix_sort_block_sort_config_static_selectorELNS0_4arch9wavefront6targetE1EEEvSJ_
    .private_segment_fixed_size: 0
    .sgpr_count:     4
    .sgpr_spill_count: 0
    .symbol:         _ZN7rocprim17ROCPRIM_400000_NS6detail17trampoline_kernelINS0_13kernel_configILj256ELj4ELj4294967295EEENS1_37radix_sort_block_sort_config_selectorIxNS0_10empty_typeEEEZNS1_21radix_sort_block_sortIS4_Lb0EN6thrust23THRUST_200600_302600_NS6detail15normal_iteratorINSA_10device_ptrIxEEEESF_PS6_SG_NS0_19identity_decomposerEEE10hipError_tT1_T2_T3_T4_jRjT5_jjP12ihipStream_tbEUlT_E_NS1_11comp_targetILNS1_3genE10ELNS1_11target_archE1201ELNS1_3gpuE5ELNS1_3repE0EEENS1_44radix_sort_block_sort_config_static_selectorELNS0_4arch9wavefront6targetE1EEEvSJ_.kd
    .uniform_work_group_size: 1
    .uses_dynamic_stack: false
    .vgpr_count:     0
    .vgpr_spill_count: 0
    .wavefront_size: 64
  - .agpr_count:     0
    .args:
      - .offset:         0
        .size:           48
        .value_kind:     by_value
    .group_segment_fixed_size: 0
    .kernarg_segment_align: 8
    .kernarg_segment_size: 48
    .language:       OpenCL C
    .language_version:
      - 2
      - 0
    .max_flat_workgroup_size: 256
    .name:           _ZN7rocprim17ROCPRIM_400000_NS6detail17trampoline_kernelINS0_13kernel_configILj256ELj4ELj4294967295EEENS1_37radix_sort_block_sort_config_selectorIxNS0_10empty_typeEEEZNS1_21radix_sort_block_sortIS4_Lb0EN6thrust23THRUST_200600_302600_NS6detail15normal_iteratorINSA_10device_ptrIxEEEESF_PS6_SG_NS0_19identity_decomposerEEE10hipError_tT1_T2_T3_T4_jRjT5_jjP12ihipStream_tbEUlT_E_NS1_11comp_targetILNS1_3genE10ELNS1_11target_archE1200ELNS1_3gpuE4ELNS1_3repE0EEENS1_44radix_sort_block_sort_config_static_selectorELNS0_4arch9wavefront6targetE1EEEvSJ_
    .private_segment_fixed_size: 0
    .sgpr_count:     4
    .sgpr_spill_count: 0
    .symbol:         _ZN7rocprim17ROCPRIM_400000_NS6detail17trampoline_kernelINS0_13kernel_configILj256ELj4ELj4294967295EEENS1_37radix_sort_block_sort_config_selectorIxNS0_10empty_typeEEEZNS1_21radix_sort_block_sortIS4_Lb0EN6thrust23THRUST_200600_302600_NS6detail15normal_iteratorINSA_10device_ptrIxEEEESF_PS6_SG_NS0_19identity_decomposerEEE10hipError_tT1_T2_T3_T4_jRjT5_jjP12ihipStream_tbEUlT_E_NS1_11comp_targetILNS1_3genE10ELNS1_11target_archE1200ELNS1_3gpuE4ELNS1_3repE0EEENS1_44radix_sort_block_sort_config_static_selectorELNS0_4arch9wavefront6targetE1EEEvSJ_.kd
    .uniform_work_group_size: 1
    .uses_dynamic_stack: false
    .vgpr_count:     0
    .vgpr_spill_count: 0
    .wavefront_size: 64
  - .agpr_count:     0
    .args:
      - .offset:         0
        .size:           48
        .value_kind:     by_value
    .group_segment_fixed_size: 0
    .kernarg_segment_align: 8
    .kernarg_segment_size: 48
    .language:       OpenCL C
    .language_version:
      - 2
      - 0
    .max_flat_workgroup_size: 256
    .name:           _ZN7rocprim17ROCPRIM_400000_NS6detail17trampoline_kernelINS0_13kernel_configILj256ELj4ELj4294967295EEENS1_37radix_sort_block_sort_config_selectorIxNS0_10empty_typeEEEZNS1_21radix_sort_block_sortIS4_Lb0EN6thrust23THRUST_200600_302600_NS6detail15normal_iteratorINSA_10device_ptrIxEEEESF_PS6_SG_NS0_19identity_decomposerEEE10hipError_tT1_T2_T3_T4_jRjT5_jjP12ihipStream_tbEUlT_E_NS1_11comp_targetILNS1_3genE9ELNS1_11target_archE1100ELNS1_3gpuE3ELNS1_3repE0EEENS1_44radix_sort_block_sort_config_static_selectorELNS0_4arch9wavefront6targetE1EEEvSJ_
    .private_segment_fixed_size: 0
    .sgpr_count:     4
    .sgpr_spill_count: 0
    .symbol:         _ZN7rocprim17ROCPRIM_400000_NS6detail17trampoline_kernelINS0_13kernel_configILj256ELj4ELj4294967295EEENS1_37radix_sort_block_sort_config_selectorIxNS0_10empty_typeEEEZNS1_21radix_sort_block_sortIS4_Lb0EN6thrust23THRUST_200600_302600_NS6detail15normal_iteratorINSA_10device_ptrIxEEEESF_PS6_SG_NS0_19identity_decomposerEEE10hipError_tT1_T2_T3_T4_jRjT5_jjP12ihipStream_tbEUlT_E_NS1_11comp_targetILNS1_3genE9ELNS1_11target_archE1100ELNS1_3gpuE3ELNS1_3repE0EEENS1_44radix_sort_block_sort_config_static_selectorELNS0_4arch9wavefront6targetE1EEEvSJ_.kd
    .uniform_work_group_size: 1
    .uses_dynamic_stack: false
    .vgpr_count:     0
    .vgpr_spill_count: 0
    .wavefront_size: 64
  - .agpr_count:     0
    .args:
      - .offset:         0
        .size:           48
        .value_kind:     by_value
    .group_segment_fixed_size: 0
    .kernarg_segment_align: 8
    .kernarg_segment_size: 48
    .language:       OpenCL C
    .language_version:
      - 2
      - 0
    .max_flat_workgroup_size: 256
    .name:           _ZN7rocprim17ROCPRIM_400000_NS6detail17trampoline_kernelINS0_13kernel_configILj256ELj4ELj4294967295EEENS1_37radix_sort_block_sort_config_selectorIxNS0_10empty_typeEEEZNS1_21radix_sort_block_sortIS4_Lb0EN6thrust23THRUST_200600_302600_NS6detail15normal_iteratorINSA_10device_ptrIxEEEESF_PS6_SG_NS0_19identity_decomposerEEE10hipError_tT1_T2_T3_T4_jRjT5_jjP12ihipStream_tbEUlT_E_NS1_11comp_targetILNS1_3genE8ELNS1_11target_archE1030ELNS1_3gpuE2ELNS1_3repE0EEENS1_44radix_sort_block_sort_config_static_selectorELNS0_4arch9wavefront6targetE1EEEvSJ_
    .private_segment_fixed_size: 0
    .sgpr_count:     4
    .sgpr_spill_count: 0
    .symbol:         _ZN7rocprim17ROCPRIM_400000_NS6detail17trampoline_kernelINS0_13kernel_configILj256ELj4ELj4294967295EEENS1_37radix_sort_block_sort_config_selectorIxNS0_10empty_typeEEEZNS1_21radix_sort_block_sortIS4_Lb0EN6thrust23THRUST_200600_302600_NS6detail15normal_iteratorINSA_10device_ptrIxEEEESF_PS6_SG_NS0_19identity_decomposerEEE10hipError_tT1_T2_T3_T4_jRjT5_jjP12ihipStream_tbEUlT_E_NS1_11comp_targetILNS1_3genE8ELNS1_11target_archE1030ELNS1_3gpuE2ELNS1_3repE0EEENS1_44radix_sort_block_sort_config_static_selectorELNS0_4arch9wavefront6targetE1EEEvSJ_.kd
    .uniform_work_group_size: 1
    .uses_dynamic_stack: false
    .vgpr_count:     0
    .vgpr_spill_count: 0
    .wavefront_size: 64
  - .agpr_count:     0
    .args:           []
    .group_segment_fixed_size: 0
    .kernarg_segment_align: 4
    .kernarg_segment_size: 0
    .language:       OpenCL C
    .language_version:
      - 2
      - 0
    .max_flat_workgroup_size: 1024
    .name:           _ZN7rocprim17ROCPRIM_400000_NS6detail44device_merge_sort_compile_time_verifier_archINS1_11comp_targetILNS1_3genE0ELNS1_11target_archE4294967295ELNS1_3gpuE0ELNS1_3repE0EEES8_NS1_28merge_sort_block_sort_configILj256ELj4ELNS0_20block_sort_algorithmE0EEENS0_14default_configENS1_37merge_sort_block_sort_config_selectorIxNS0_10empty_typeEEENS1_38merge_sort_block_merge_config_selectorIxSE_EEEEvv
    .private_segment_fixed_size: 0
    .sgpr_count:     4
    .sgpr_spill_count: 0
    .symbol:         _ZN7rocprim17ROCPRIM_400000_NS6detail44device_merge_sort_compile_time_verifier_archINS1_11comp_targetILNS1_3genE0ELNS1_11target_archE4294967295ELNS1_3gpuE0ELNS1_3repE0EEES8_NS1_28merge_sort_block_sort_configILj256ELj4ELNS0_20block_sort_algorithmE0EEENS0_14default_configENS1_37merge_sort_block_sort_config_selectorIxNS0_10empty_typeEEENS1_38merge_sort_block_merge_config_selectorIxSE_EEEEvv.kd
    .uniform_work_group_size: 1
    .uses_dynamic_stack: false
    .vgpr_count:     0
    .vgpr_spill_count: 0
    .wavefront_size: 64
  - .agpr_count:     0
    .args:           []
    .group_segment_fixed_size: 0
    .kernarg_segment_align: 4
    .kernarg_segment_size: 0
    .language:       OpenCL C
    .language_version:
      - 2
      - 0
    .max_flat_workgroup_size: 1024
    .name:           _ZN7rocprim17ROCPRIM_400000_NS6detail44device_merge_sort_compile_time_verifier_archINS1_11comp_targetILNS1_3genE5ELNS1_11target_archE942ELNS1_3gpuE9ELNS1_3repE0EEES8_NS1_28merge_sort_block_sort_configILj256ELj4ELNS0_20block_sort_algorithmE0EEENS0_14default_configENS1_37merge_sort_block_sort_config_selectorIxNS0_10empty_typeEEENS1_38merge_sort_block_merge_config_selectorIxSE_EEEEvv
    .private_segment_fixed_size: 0
    .sgpr_count:     4
    .sgpr_spill_count: 0
    .symbol:         _ZN7rocprim17ROCPRIM_400000_NS6detail44device_merge_sort_compile_time_verifier_archINS1_11comp_targetILNS1_3genE5ELNS1_11target_archE942ELNS1_3gpuE9ELNS1_3repE0EEES8_NS1_28merge_sort_block_sort_configILj256ELj4ELNS0_20block_sort_algorithmE0EEENS0_14default_configENS1_37merge_sort_block_sort_config_selectorIxNS0_10empty_typeEEENS1_38merge_sort_block_merge_config_selectorIxSE_EEEEvv.kd
    .uniform_work_group_size: 1
    .uses_dynamic_stack: false
    .vgpr_count:     0
    .vgpr_spill_count: 0
    .wavefront_size: 64
  - .agpr_count:     0
    .args:           []
    .group_segment_fixed_size: 0
    .kernarg_segment_align: 4
    .kernarg_segment_size: 0
    .language:       OpenCL C
    .language_version:
      - 2
      - 0
    .max_flat_workgroup_size: 1024
    .name:           _ZN7rocprim17ROCPRIM_400000_NS6detail44device_merge_sort_compile_time_verifier_archINS1_11comp_targetILNS1_3genE4ELNS1_11target_archE910ELNS1_3gpuE8ELNS1_3repE0EEES8_NS1_28merge_sort_block_sort_configILj256ELj4ELNS0_20block_sort_algorithmE0EEENS0_14default_configENS1_37merge_sort_block_sort_config_selectorIxNS0_10empty_typeEEENS1_38merge_sort_block_merge_config_selectorIxSE_EEEEvv
    .private_segment_fixed_size: 0
    .sgpr_count:     4
    .sgpr_spill_count: 0
    .symbol:         _ZN7rocprim17ROCPRIM_400000_NS6detail44device_merge_sort_compile_time_verifier_archINS1_11comp_targetILNS1_3genE4ELNS1_11target_archE910ELNS1_3gpuE8ELNS1_3repE0EEES8_NS1_28merge_sort_block_sort_configILj256ELj4ELNS0_20block_sort_algorithmE0EEENS0_14default_configENS1_37merge_sort_block_sort_config_selectorIxNS0_10empty_typeEEENS1_38merge_sort_block_merge_config_selectorIxSE_EEEEvv.kd
    .uniform_work_group_size: 1
    .uses_dynamic_stack: false
    .vgpr_count:     0
    .vgpr_spill_count: 0
    .wavefront_size: 64
  - .agpr_count:     0
    .args:           []
    .group_segment_fixed_size: 0
    .kernarg_segment_align: 4
    .kernarg_segment_size: 0
    .language:       OpenCL C
    .language_version:
      - 2
      - 0
    .max_flat_workgroup_size: 1024
    .name:           _ZN7rocprim17ROCPRIM_400000_NS6detail44device_merge_sort_compile_time_verifier_archINS1_11comp_targetILNS1_3genE3ELNS1_11target_archE908ELNS1_3gpuE7ELNS1_3repE0EEES8_NS1_28merge_sort_block_sort_configILj256ELj4ELNS0_20block_sort_algorithmE0EEENS0_14default_configENS1_37merge_sort_block_sort_config_selectorIxNS0_10empty_typeEEENS1_38merge_sort_block_merge_config_selectorIxSE_EEEEvv
    .private_segment_fixed_size: 0
    .sgpr_count:     4
    .sgpr_spill_count: 0
    .symbol:         _ZN7rocprim17ROCPRIM_400000_NS6detail44device_merge_sort_compile_time_verifier_archINS1_11comp_targetILNS1_3genE3ELNS1_11target_archE908ELNS1_3gpuE7ELNS1_3repE0EEES8_NS1_28merge_sort_block_sort_configILj256ELj4ELNS0_20block_sort_algorithmE0EEENS0_14default_configENS1_37merge_sort_block_sort_config_selectorIxNS0_10empty_typeEEENS1_38merge_sort_block_merge_config_selectorIxSE_EEEEvv.kd
    .uniform_work_group_size: 1
    .uses_dynamic_stack: false
    .vgpr_count:     0
    .vgpr_spill_count: 0
    .wavefront_size: 64
  - .agpr_count:     0
    .args:           []
    .group_segment_fixed_size: 0
    .kernarg_segment_align: 4
    .kernarg_segment_size: 0
    .language:       OpenCL C
    .language_version:
      - 2
      - 0
    .max_flat_workgroup_size: 1024
    .name:           _ZN7rocprim17ROCPRIM_400000_NS6detail44device_merge_sort_compile_time_verifier_archINS1_11comp_targetILNS1_3genE2ELNS1_11target_archE906ELNS1_3gpuE6ELNS1_3repE0EEES8_NS1_28merge_sort_block_sort_configILj256ELj4ELNS0_20block_sort_algorithmE0EEENS0_14default_configENS1_37merge_sort_block_sort_config_selectorIxNS0_10empty_typeEEENS1_38merge_sort_block_merge_config_selectorIxSE_EEEEvv
    .private_segment_fixed_size: 0
    .sgpr_count:     4
    .sgpr_spill_count: 0
    .symbol:         _ZN7rocprim17ROCPRIM_400000_NS6detail44device_merge_sort_compile_time_verifier_archINS1_11comp_targetILNS1_3genE2ELNS1_11target_archE906ELNS1_3gpuE6ELNS1_3repE0EEES8_NS1_28merge_sort_block_sort_configILj256ELj4ELNS0_20block_sort_algorithmE0EEENS0_14default_configENS1_37merge_sort_block_sort_config_selectorIxNS0_10empty_typeEEENS1_38merge_sort_block_merge_config_selectorIxSE_EEEEvv.kd
    .uniform_work_group_size: 1
    .uses_dynamic_stack: false
    .vgpr_count:     0
    .vgpr_spill_count: 0
    .wavefront_size: 64
  - .agpr_count:     0
    .args:           []
    .group_segment_fixed_size: 0
    .kernarg_segment_align: 4
    .kernarg_segment_size: 0
    .language:       OpenCL C
    .language_version:
      - 2
      - 0
    .max_flat_workgroup_size: 1024
    .name:           _ZN7rocprim17ROCPRIM_400000_NS6detail44device_merge_sort_compile_time_verifier_archINS1_11comp_targetILNS1_3genE10ELNS1_11target_archE1201ELNS1_3gpuE5ELNS1_3repE0EEES8_NS1_28merge_sort_block_sort_configILj256ELj4ELNS0_20block_sort_algorithmE0EEENS0_14default_configENS1_37merge_sort_block_sort_config_selectorIxNS0_10empty_typeEEENS1_38merge_sort_block_merge_config_selectorIxSE_EEEEvv
    .private_segment_fixed_size: 0
    .sgpr_count:     4
    .sgpr_spill_count: 0
    .symbol:         _ZN7rocprim17ROCPRIM_400000_NS6detail44device_merge_sort_compile_time_verifier_archINS1_11comp_targetILNS1_3genE10ELNS1_11target_archE1201ELNS1_3gpuE5ELNS1_3repE0EEES8_NS1_28merge_sort_block_sort_configILj256ELj4ELNS0_20block_sort_algorithmE0EEENS0_14default_configENS1_37merge_sort_block_sort_config_selectorIxNS0_10empty_typeEEENS1_38merge_sort_block_merge_config_selectorIxSE_EEEEvv.kd
    .uniform_work_group_size: 1
    .uses_dynamic_stack: false
    .vgpr_count:     0
    .vgpr_spill_count: 0
    .wavefront_size: 64
  - .agpr_count:     0
    .args:           []
    .group_segment_fixed_size: 0
    .kernarg_segment_align: 4
    .kernarg_segment_size: 0
    .language:       OpenCL C
    .language_version:
      - 2
      - 0
    .max_flat_workgroup_size: 1024
    .name:           _ZN7rocprim17ROCPRIM_400000_NS6detail44device_merge_sort_compile_time_verifier_archINS1_11comp_targetILNS1_3genE10ELNS1_11target_archE1200ELNS1_3gpuE4ELNS1_3repE0EEENS3_ILS4_10ELS5_1201ELS6_5ELS7_0EEENS1_28merge_sort_block_sort_configILj256ELj4ELNS0_20block_sort_algorithmE0EEENS0_14default_configENS1_37merge_sort_block_sort_config_selectorIxNS0_10empty_typeEEENS1_38merge_sort_block_merge_config_selectorIxSF_EEEEvv
    .private_segment_fixed_size: 0
    .sgpr_count:     4
    .sgpr_spill_count: 0
    .symbol:         _ZN7rocprim17ROCPRIM_400000_NS6detail44device_merge_sort_compile_time_verifier_archINS1_11comp_targetILNS1_3genE10ELNS1_11target_archE1200ELNS1_3gpuE4ELNS1_3repE0EEENS3_ILS4_10ELS5_1201ELS6_5ELS7_0EEENS1_28merge_sort_block_sort_configILj256ELj4ELNS0_20block_sort_algorithmE0EEENS0_14default_configENS1_37merge_sort_block_sort_config_selectorIxNS0_10empty_typeEEENS1_38merge_sort_block_merge_config_selectorIxSF_EEEEvv.kd
    .uniform_work_group_size: 1
    .uses_dynamic_stack: false
    .vgpr_count:     0
    .vgpr_spill_count: 0
    .wavefront_size: 64
  - .agpr_count:     0
    .args:           []
    .group_segment_fixed_size: 0
    .kernarg_segment_align: 4
    .kernarg_segment_size: 0
    .language:       OpenCL C
    .language_version:
      - 2
      - 0
    .max_flat_workgroup_size: 1024
    .name:           _ZN7rocprim17ROCPRIM_400000_NS6detail44device_merge_sort_compile_time_verifier_archINS1_11comp_targetILNS1_3genE9ELNS1_11target_archE1100ELNS1_3gpuE3ELNS1_3repE0EEES8_NS1_28merge_sort_block_sort_configILj256ELj4ELNS0_20block_sort_algorithmE0EEENS0_14default_configENS1_37merge_sort_block_sort_config_selectorIxNS0_10empty_typeEEENS1_38merge_sort_block_merge_config_selectorIxSE_EEEEvv
    .private_segment_fixed_size: 0
    .sgpr_count:     4
    .sgpr_spill_count: 0
    .symbol:         _ZN7rocprim17ROCPRIM_400000_NS6detail44device_merge_sort_compile_time_verifier_archINS1_11comp_targetILNS1_3genE9ELNS1_11target_archE1100ELNS1_3gpuE3ELNS1_3repE0EEES8_NS1_28merge_sort_block_sort_configILj256ELj4ELNS0_20block_sort_algorithmE0EEENS0_14default_configENS1_37merge_sort_block_sort_config_selectorIxNS0_10empty_typeEEENS1_38merge_sort_block_merge_config_selectorIxSE_EEEEvv.kd
    .uniform_work_group_size: 1
    .uses_dynamic_stack: false
    .vgpr_count:     0
    .vgpr_spill_count: 0
    .wavefront_size: 64
  - .agpr_count:     0
    .args:           []
    .group_segment_fixed_size: 0
    .kernarg_segment_align: 4
    .kernarg_segment_size: 0
    .language:       OpenCL C
    .language_version:
      - 2
      - 0
    .max_flat_workgroup_size: 1024
    .name:           _ZN7rocprim17ROCPRIM_400000_NS6detail44device_merge_sort_compile_time_verifier_archINS1_11comp_targetILNS1_3genE8ELNS1_11target_archE1030ELNS1_3gpuE2ELNS1_3repE0EEES8_NS1_28merge_sort_block_sort_configILj256ELj4ELNS0_20block_sort_algorithmE0EEENS0_14default_configENS1_37merge_sort_block_sort_config_selectorIxNS0_10empty_typeEEENS1_38merge_sort_block_merge_config_selectorIxSE_EEEEvv
    .private_segment_fixed_size: 0
    .sgpr_count:     4
    .sgpr_spill_count: 0
    .symbol:         _ZN7rocprim17ROCPRIM_400000_NS6detail44device_merge_sort_compile_time_verifier_archINS1_11comp_targetILNS1_3genE8ELNS1_11target_archE1030ELNS1_3gpuE2ELNS1_3repE0EEES8_NS1_28merge_sort_block_sort_configILj256ELj4ELNS0_20block_sort_algorithmE0EEENS0_14default_configENS1_37merge_sort_block_sort_config_selectorIxNS0_10empty_typeEEENS1_38merge_sort_block_merge_config_selectorIxSE_EEEEvv.kd
    .uniform_work_group_size: 1
    .uses_dynamic_stack: false
    .vgpr_count:     0
    .vgpr_spill_count: 0
    .wavefront_size: 64
  - .agpr_count:     0
    .args:
      - .offset:         0
        .size:           40
        .value_kind:     by_value
    .group_segment_fixed_size: 0
    .kernarg_segment_align: 8
    .kernarg_segment_size: 40
    .language:       OpenCL C
    .language_version:
      - 2
      - 0
    .max_flat_workgroup_size: 128
    .name:           _ZN7rocprim17ROCPRIM_400000_NS6detail17trampoline_kernelINS0_14default_configENS1_38merge_sort_block_merge_config_selectorIxNS0_10empty_typeEEEZZNS1_27merge_sort_block_merge_implIS3_N6thrust23THRUST_200600_302600_NS6detail15normal_iteratorINS9_10device_ptrIxEEEEPS5_jNS1_19radix_merge_compareILb0ELb0ExNS0_19identity_decomposerEEEEE10hipError_tT0_T1_T2_jT3_P12ihipStream_tbPNSt15iterator_traitsISK_E10value_typeEPNSQ_ISL_E10value_typeEPSM_NS1_7vsmem_tEENKUlT_SK_SL_SM_E_clIPxSE_SF_SF_EESJ_SZ_SK_SL_SM_EUlSZ_E_NS1_11comp_targetILNS1_3genE0ELNS1_11target_archE4294967295ELNS1_3gpuE0ELNS1_3repE0EEENS1_48merge_mergepath_partition_config_static_selectorELNS0_4arch9wavefront6targetE1EEEvSL_
    .private_segment_fixed_size: 0
    .sgpr_count:     4
    .sgpr_spill_count: 0
    .symbol:         _ZN7rocprim17ROCPRIM_400000_NS6detail17trampoline_kernelINS0_14default_configENS1_38merge_sort_block_merge_config_selectorIxNS0_10empty_typeEEEZZNS1_27merge_sort_block_merge_implIS3_N6thrust23THRUST_200600_302600_NS6detail15normal_iteratorINS9_10device_ptrIxEEEEPS5_jNS1_19radix_merge_compareILb0ELb0ExNS0_19identity_decomposerEEEEE10hipError_tT0_T1_T2_jT3_P12ihipStream_tbPNSt15iterator_traitsISK_E10value_typeEPNSQ_ISL_E10value_typeEPSM_NS1_7vsmem_tEENKUlT_SK_SL_SM_E_clIPxSE_SF_SF_EESJ_SZ_SK_SL_SM_EUlSZ_E_NS1_11comp_targetILNS1_3genE0ELNS1_11target_archE4294967295ELNS1_3gpuE0ELNS1_3repE0EEENS1_48merge_mergepath_partition_config_static_selectorELNS0_4arch9wavefront6targetE1EEEvSL_.kd
    .uniform_work_group_size: 1
    .uses_dynamic_stack: false
    .vgpr_count:     0
    .vgpr_spill_count: 0
    .wavefront_size: 64
  - .agpr_count:     0
    .args:
      - .offset:         0
        .size:           40
        .value_kind:     by_value
    .group_segment_fixed_size: 0
    .kernarg_segment_align: 8
    .kernarg_segment_size: 40
    .language:       OpenCL C
    .language_version:
      - 2
      - 0
    .max_flat_workgroup_size: 128
    .name:           _ZN7rocprim17ROCPRIM_400000_NS6detail17trampoline_kernelINS0_14default_configENS1_38merge_sort_block_merge_config_selectorIxNS0_10empty_typeEEEZZNS1_27merge_sort_block_merge_implIS3_N6thrust23THRUST_200600_302600_NS6detail15normal_iteratorINS9_10device_ptrIxEEEEPS5_jNS1_19radix_merge_compareILb0ELb0ExNS0_19identity_decomposerEEEEE10hipError_tT0_T1_T2_jT3_P12ihipStream_tbPNSt15iterator_traitsISK_E10value_typeEPNSQ_ISL_E10value_typeEPSM_NS1_7vsmem_tEENKUlT_SK_SL_SM_E_clIPxSE_SF_SF_EESJ_SZ_SK_SL_SM_EUlSZ_E_NS1_11comp_targetILNS1_3genE10ELNS1_11target_archE1201ELNS1_3gpuE5ELNS1_3repE0EEENS1_48merge_mergepath_partition_config_static_selectorELNS0_4arch9wavefront6targetE1EEEvSL_
    .private_segment_fixed_size: 0
    .sgpr_count:     4
    .sgpr_spill_count: 0
    .symbol:         _ZN7rocprim17ROCPRIM_400000_NS6detail17trampoline_kernelINS0_14default_configENS1_38merge_sort_block_merge_config_selectorIxNS0_10empty_typeEEEZZNS1_27merge_sort_block_merge_implIS3_N6thrust23THRUST_200600_302600_NS6detail15normal_iteratorINS9_10device_ptrIxEEEEPS5_jNS1_19radix_merge_compareILb0ELb0ExNS0_19identity_decomposerEEEEE10hipError_tT0_T1_T2_jT3_P12ihipStream_tbPNSt15iterator_traitsISK_E10value_typeEPNSQ_ISL_E10value_typeEPSM_NS1_7vsmem_tEENKUlT_SK_SL_SM_E_clIPxSE_SF_SF_EESJ_SZ_SK_SL_SM_EUlSZ_E_NS1_11comp_targetILNS1_3genE10ELNS1_11target_archE1201ELNS1_3gpuE5ELNS1_3repE0EEENS1_48merge_mergepath_partition_config_static_selectorELNS0_4arch9wavefront6targetE1EEEvSL_.kd
    .uniform_work_group_size: 1
    .uses_dynamic_stack: false
    .vgpr_count:     0
    .vgpr_spill_count: 0
    .wavefront_size: 64
  - .agpr_count:     0
    .args:
      - .offset:         0
        .size:           40
        .value_kind:     by_value
    .group_segment_fixed_size: 0
    .kernarg_segment_align: 8
    .kernarg_segment_size: 40
    .language:       OpenCL C
    .language_version:
      - 2
      - 0
    .max_flat_workgroup_size: 128
    .name:           _ZN7rocprim17ROCPRIM_400000_NS6detail17trampoline_kernelINS0_14default_configENS1_38merge_sort_block_merge_config_selectorIxNS0_10empty_typeEEEZZNS1_27merge_sort_block_merge_implIS3_N6thrust23THRUST_200600_302600_NS6detail15normal_iteratorINS9_10device_ptrIxEEEEPS5_jNS1_19radix_merge_compareILb0ELb0ExNS0_19identity_decomposerEEEEE10hipError_tT0_T1_T2_jT3_P12ihipStream_tbPNSt15iterator_traitsISK_E10value_typeEPNSQ_ISL_E10value_typeEPSM_NS1_7vsmem_tEENKUlT_SK_SL_SM_E_clIPxSE_SF_SF_EESJ_SZ_SK_SL_SM_EUlSZ_E_NS1_11comp_targetILNS1_3genE5ELNS1_11target_archE942ELNS1_3gpuE9ELNS1_3repE0EEENS1_48merge_mergepath_partition_config_static_selectorELNS0_4arch9wavefront6targetE1EEEvSL_
    .private_segment_fixed_size: 0
    .sgpr_count:     4
    .sgpr_spill_count: 0
    .symbol:         _ZN7rocprim17ROCPRIM_400000_NS6detail17trampoline_kernelINS0_14default_configENS1_38merge_sort_block_merge_config_selectorIxNS0_10empty_typeEEEZZNS1_27merge_sort_block_merge_implIS3_N6thrust23THRUST_200600_302600_NS6detail15normal_iteratorINS9_10device_ptrIxEEEEPS5_jNS1_19radix_merge_compareILb0ELb0ExNS0_19identity_decomposerEEEEE10hipError_tT0_T1_T2_jT3_P12ihipStream_tbPNSt15iterator_traitsISK_E10value_typeEPNSQ_ISL_E10value_typeEPSM_NS1_7vsmem_tEENKUlT_SK_SL_SM_E_clIPxSE_SF_SF_EESJ_SZ_SK_SL_SM_EUlSZ_E_NS1_11comp_targetILNS1_3genE5ELNS1_11target_archE942ELNS1_3gpuE9ELNS1_3repE0EEENS1_48merge_mergepath_partition_config_static_selectorELNS0_4arch9wavefront6targetE1EEEvSL_.kd
    .uniform_work_group_size: 1
    .uses_dynamic_stack: false
    .vgpr_count:     0
    .vgpr_spill_count: 0
    .wavefront_size: 64
  - .agpr_count:     0
    .args:
      - .offset:         0
        .size:           40
        .value_kind:     by_value
    .group_segment_fixed_size: 0
    .kernarg_segment_align: 8
    .kernarg_segment_size: 40
    .language:       OpenCL C
    .language_version:
      - 2
      - 0
    .max_flat_workgroup_size: 128
    .name:           _ZN7rocprim17ROCPRIM_400000_NS6detail17trampoline_kernelINS0_14default_configENS1_38merge_sort_block_merge_config_selectorIxNS0_10empty_typeEEEZZNS1_27merge_sort_block_merge_implIS3_N6thrust23THRUST_200600_302600_NS6detail15normal_iteratorINS9_10device_ptrIxEEEEPS5_jNS1_19radix_merge_compareILb0ELb0ExNS0_19identity_decomposerEEEEE10hipError_tT0_T1_T2_jT3_P12ihipStream_tbPNSt15iterator_traitsISK_E10value_typeEPNSQ_ISL_E10value_typeEPSM_NS1_7vsmem_tEENKUlT_SK_SL_SM_E_clIPxSE_SF_SF_EESJ_SZ_SK_SL_SM_EUlSZ_E_NS1_11comp_targetILNS1_3genE4ELNS1_11target_archE910ELNS1_3gpuE8ELNS1_3repE0EEENS1_48merge_mergepath_partition_config_static_selectorELNS0_4arch9wavefront6targetE1EEEvSL_
    .private_segment_fixed_size: 0
    .sgpr_count:     12
    .sgpr_spill_count: 0
    .symbol:         _ZN7rocprim17ROCPRIM_400000_NS6detail17trampoline_kernelINS0_14default_configENS1_38merge_sort_block_merge_config_selectorIxNS0_10empty_typeEEEZZNS1_27merge_sort_block_merge_implIS3_N6thrust23THRUST_200600_302600_NS6detail15normal_iteratorINS9_10device_ptrIxEEEEPS5_jNS1_19radix_merge_compareILb0ELb0ExNS0_19identity_decomposerEEEEE10hipError_tT0_T1_T2_jT3_P12ihipStream_tbPNSt15iterator_traitsISK_E10value_typeEPNSQ_ISL_E10value_typeEPSM_NS1_7vsmem_tEENKUlT_SK_SL_SM_E_clIPxSE_SF_SF_EESJ_SZ_SK_SL_SM_EUlSZ_E_NS1_11comp_targetILNS1_3genE4ELNS1_11target_archE910ELNS1_3gpuE8ELNS1_3repE0EEENS1_48merge_mergepath_partition_config_static_selectorELNS0_4arch9wavefront6targetE1EEEvSL_.kd
    .uniform_work_group_size: 1
    .uses_dynamic_stack: false
    .vgpr_count:     20
    .vgpr_spill_count: 0
    .wavefront_size: 64
  - .agpr_count:     0
    .args:
      - .offset:         0
        .size:           40
        .value_kind:     by_value
    .group_segment_fixed_size: 0
    .kernarg_segment_align: 8
    .kernarg_segment_size: 40
    .language:       OpenCL C
    .language_version:
      - 2
      - 0
    .max_flat_workgroup_size: 128
    .name:           _ZN7rocprim17ROCPRIM_400000_NS6detail17trampoline_kernelINS0_14default_configENS1_38merge_sort_block_merge_config_selectorIxNS0_10empty_typeEEEZZNS1_27merge_sort_block_merge_implIS3_N6thrust23THRUST_200600_302600_NS6detail15normal_iteratorINS9_10device_ptrIxEEEEPS5_jNS1_19radix_merge_compareILb0ELb0ExNS0_19identity_decomposerEEEEE10hipError_tT0_T1_T2_jT3_P12ihipStream_tbPNSt15iterator_traitsISK_E10value_typeEPNSQ_ISL_E10value_typeEPSM_NS1_7vsmem_tEENKUlT_SK_SL_SM_E_clIPxSE_SF_SF_EESJ_SZ_SK_SL_SM_EUlSZ_E_NS1_11comp_targetILNS1_3genE3ELNS1_11target_archE908ELNS1_3gpuE7ELNS1_3repE0EEENS1_48merge_mergepath_partition_config_static_selectorELNS0_4arch9wavefront6targetE1EEEvSL_
    .private_segment_fixed_size: 0
    .sgpr_count:     4
    .sgpr_spill_count: 0
    .symbol:         _ZN7rocprim17ROCPRIM_400000_NS6detail17trampoline_kernelINS0_14default_configENS1_38merge_sort_block_merge_config_selectorIxNS0_10empty_typeEEEZZNS1_27merge_sort_block_merge_implIS3_N6thrust23THRUST_200600_302600_NS6detail15normal_iteratorINS9_10device_ptrIxEEEEPS5_jNS1_19radix_merge_compareILb0ELb0ExNS0_19identity_decomposerEEEEE10hipError_tT0_T1_T2_jT3_P12ihipStream_tbPNSt15iterator_traitsISK_E10value_typeEPNSQ_ISL_E10value_typeEPSM_NS1_7vsmem_tEENKUlT_SK_SL_SM_E_clIPxSE_SF_SF_EESJ_SZ_SK_SL_SM_EUlSZ_E_NS1_11comp_targetILNS1_3genE3ELNS1_11target_archE908ELNS1_3gpuE7ELNS1_3repE0EEENS1_48merge_mergepath_partition_config_static_selectorELNS0_4arch9wavefront6targetE1EEEvSL_.kd
    .uniform_work_group_size: 1
    .uses_dynamic_stack: false
    .vgpr_count:     0
    .vgpr_spill_count: 0
    .wavefront_size: 64
  - .agpr_count:     0
    .args:
      - .offset:         0
        .size:           40
        .value_kind:     by_value
    .group_segment_fixed_size: 0
    .kernarg_segment_align: 8
    .kernarg_segment_size: 40
    .language:       OpenCL C
    .language_version:
      - 2
      - 0
    .max_flat_workgroup_size: 128
    .name:           _ZN7rocprim17ROCPRIM_400000_NS6detail17trampoline_kernelINS0_14default_configENS1_38merge_sort_block_merge_config_selectorIxNS0_10empty_typeEEEZZNS1_27merge_sort_block_merge_implIS3_N6thrust23THRUST_200600_302600_NS6detail15normal_iteratorINS9_10device_ptrIxEEEEPS5_jNS1_19radix_merge_compareILb0ELb0ExNS0_19identity_decomposerEEEEE10hipError_tT0_T1_T2_jT3_P12ihipStream_tbPNSt15iterator_traitsISK_E10value_typeEPNSQ_ISL_E10value_typeEPSM_NS1_7vsmem_tEENKUlT_SK_SL_SM_E_clIPxSE_SF_SF_EESJ_SZ_SK_SL_SM_EUlSZ_E_NS1_11comp_targetILNS1_3genE2ELNS1_11target_archE906ELNS1_3gpuE6ELNS1_3repE0EEENS1_48merge_mergepath_partition_config_static_selectorELNS0_4arch9wavefront6targetE1EEEvSL_
    .private_segment_fixed_size: 0
    .sgpr_count:     4
    .sgpr_spill_count: 0
    .symbol:         _ZN7rocprim17ROCPRIM_400000_NS6detail17trampoline_kernelINS0_14default_configENS1_38merge_sort_block_merge_config_selectorIxNS0_10empty_typeEEEZZNS1_27merge_sort_block_merge_implIS3_N6thrust23THRUST_200600_302600_NS6detail15normal_iteratorINS9_10device_ptrIxEEEEPS5_jNS1_19radix_merge_compareILb0ELb0ExNS0_19identity_decomposerEEEEE10hipError_tT0_T1_T2_jT3_P12ihipStream_tbPNSt15iterator_traitsISK_E10value_typeEPNSQ_ISL_E10value_typeEPSM_NS1_7vsmem_tEENKUlT_SK_SL_SM_E_clIPxSE_SF_SF_EESJ_SZ_SK_SL_SM_EUlSZ_E_NS1_11comp_targetILNS1_3genE2ELNS1_11target_archE906ELNS1_3gpuE6ELNS1_3repE0EEENS1_48merge_mergepath_partition_config_static_selectorELNS0_4arch9wavefront6targetE1EEEvSL_.kd
    .uniform_work_group_size: 1
    .uses_dynamic_stack: false
    .vgpr_count:     0
    .vgpr_spill_count: 0
    .wavefront_size: 64
  - .agpr_count:     0
    .args:
      - .offset:         0
        .size:           40
        .value_kind:     by_value
    .group_segment_fixed_size: 0
    .kernarg_segment_align: 8
    .kernarg_segment_size: 40
    .language:       OpenCL C
    .language_version:
      - 2
      - 0
    .max_flat_workgroup_size: 128
    .name:           _ZN7rocprim17ROCPRIM_400000_NS6detail17trampoline_kernelINS0_14default_configENS1_38merge_sort_block_merge_config_selectorIxNS0_10empty_typeEEEZZNS1_27merge_sort_block_merge_implIS3_N6thrust23THRUST_200600_302600_NS6detail15normal_iteratorINS9_10device_ptrIxEEEEPS5_jNS1_19radix_merge_compareILb0ELb0ExNS0_19identity_decomposerEEEEE10hipError_tT0_T1_T2_jT3_P12ihipStream_tbPNSt15iterator_traitsISK_E10value_typeEPNSQ_ISL_E10value_typeEPSM_NS1_7vsmem_tEENKUlT_SK_SL_SM_E_clIPxSE_SF_SF_EESJ_SZ_SK_SL_SM_EUlSZ_E_NS1_11comp_targetILNS1_3genE9ELNS1_11target_archE1100ELNS1_3gpuE3ELNS1_3repE0EEENS1_48merge_mergepath_partition_config_static_selectorELNS0_4arch9wavefront6targetE1EEEvSL_
    .private_segment_fixed_size: 0
    .sgpr_count:     4
    .sgpr_spill_count: 0
    .symbol:         _ZN7rocprim17ROCPRIM_400000_NS6detail17trampoline_kernelINS0_14default_configENS1_38merge_sort_block_merge_config_selectorIxNS0_10empty_typeEEEZZNS1_27merge_sort_block_merge_implIS3_N6thrust23THRUST_200600_302600_NS6detail15normal_iteratorINS9_10device_ptrIxEEEEPS5_jNS1_19radix_merge_compareILb0ELb0ExNS0_19identity_decomposerEEEEE10hipError_tT0_T1_T2_jT3_P12ihipStream_tbPNSt15iterator_traitsISK_E10value_typeEPNSQ_ISL_E10value_typeEPSM_NS1_7vsmem_tEENKUlT_SK_SL_SM_E_clIPxSE_SF_SF_EESJ_SZ_SK_SL_SM_EUlSZ_E_NS1_11comp_targetILNS1_3genE9ELNS1_11target_archE1100ELNS1_3gpuE3ELNS1_3repE0EEENS1_48merge_mergepath_partition_config_static_selectorELNS0_4arch9wavefront6targetE1EEEvSL_.kd
    .uniform_work_group_size: 1
    .uses_dynamic_stack: false
    .vgpr_count:     0
    .vgpr_spill_count: 0
    .wavefront_size: 64
  - .agpr_count:     0
    .args:
      - .offset:         0
        .size:           40
        .value_kind:     by_value
    .group_segment_fixed_size: 0
    .kernarg_segment_align: 8
    .kernarg_segment_size: 40
    .language:       OpenCL C
    .language_version:
      - 2
      - 0
    .max_flat_workgroup_size: 128
    .name:           _ZN7rocprim17ROCPRIM_400000_NS6detail17trampoline_kernelINS0_14default_configENS1_38merge_sort_block_merge_config_selectorIxNS0_10empty_typeEEEZZNS1_27merge_sort_block_merge_implIS3_N6thrust23THRUST_200600_302600_NS6detail15normal_iteratorINS9_10device_ptrIxEEEEPS5_jNS1_19radix_merge_compareILb0ELb0ExNS0_19identity_decomposerEEEEE10hipError_tT0_T1_T2_jT3_P12ihipStream_tbPNSt15iterator_traitsISK_E10value_typeEPNSQ_ISL_E10value_typeEPSM_NS1_7vsmem_tEENKUlT_SK_SL_SM_E_clIPxSE_SF_SF_EESJ_SZ_SK_SL_SM_EUlSZ_E_NS1_11comp_targetILNS1_3genE8ELNS1_11target_archE1030ELNS1_3gpuE2ELNS1_3repE0EEENS1_48merge_mergepath_partition_config_static_selectorELNS0_4arch9wavefront6targetE1EEEvSL_
    .private_segment_fixed_size: 0
    .sgpr_count:     4
    .sgpr_spill_count: 0
    .symbol:         _ZN7rocprim17ROCPRIM_400000_NS6detail17trampoline_kernelINS0_14default_configENS1_38merge_sort_block_merge_config_selectorIxNS0_10empty_typeEEEZZNS1_27merge_sort_block_merge_implIS3_N6thrust23THRUST_200600_302600_NS6detail15normal_iteratorINS9_10device_ptrIxEEEEPS5_jNS1_19radix_merge_compareILb0ELb0ExNS0_19identity_decomposerEEEEE10hipError_tT0_T1_T2_jT3_P12ihipStream_tbPNSt15iterator_traitsISK_E10value_typeEPNSQ_ISL_E10value_typeEPSM_NS1_7vsmem_tEENKUlT_SK_SL_SM_E_clIPxSE_SF_SF_EESJ_SZ_SK_SL_SM_EUlSZ_E_NS1_11comp_targetILNS1_3genE8ELNS1_11target_archE1030ELNS1_3gpuE2ELNS1_3repE0EEENS1_48merge_mergepath_partition_config_static_selectorELNS0_4arch9wavefront6targetE1EEEvSL_.kd
    .uniform_work_group_size: 1
    .uses_dynamic_stack: false
    .vgpr_count:     0
    .vgpr_spill_count: 0
    .wavefront_size: 64
  - .agpr_count:     0
    .args:
      - .offset:         0
        .size:           64
        .value_kind:     by_value
    .group_segment_fixed_size: 0
    .kernarg_segment_align: 8
    .kernarg_segment_size: 64
    .language:       OpenCL C
    .language_version:
      - 2
      - 0
    .max_flat_workgroup_size: 128
    .name:           _ZN7rocprim17ROCPRIM_400000_NS6detail17trampoline_kernelINS0_14default_configENS1_38merge_sort_block_merge_config_selectorIxNS0_10empty_typeEEEZZNS1_27merge_sort_block_merge_implIS3_N6thrust23THRUST_200600_302600_NS6detail15normal_iteratorINS9_10device_ptrIxEEEEPS5_jNS1_19radix_merge_compareILb0ELb0ExNS0_19identity_decomposerEEEEE10hipError_tT0_T1_T2_jT3_P12ihipStream_tbPNSt15iterator_traitsISK_E10value_typeEPNSQ_ISL_E10value_typeEPSM_NS1_7vsmem_tEENKUlT_SK_SL_SM_E_clIPxSE_SF_SF_EESJ_SZ_SK_SL_SM_EUlSZ_E0_NS1_11comp_targetILNS1_3genE0ELNS1_11target_archE4294967295ELNS1_3gpuE0ELNS1_3repE0EEENS1_38merge_mergepath_config_static_selectorELNS0_4arch9wavefront6targetE1EEEvSL_
    .private_segment_fixed_size: 0
    .sgpr_count:     4
    .sgpr_spill_count: 0
    .symbol:         _ZN7rocprim17ROCPRIM_400000_NS6detail17trampoline_kernelINS0_14default_configENS1_38merge_sort_block_merge_config_selectorIxNS0_10empty_typeEEEZZNS1_27merge_sort_block_merge_implIS3_N6thrust23THRUST_200600_302600_NS6detail15normal_iteratorINS9_10device_ptrIxEEEEPS5_jNS1_19radix_merge_compareILb0ELb0ExNS0_19identity_decomposerEEEEE10hipError_tT0_T1_T2_jT3_P12ihipStream_tbPNSt15iterator_traitsISK_E10value_typeEPNSQ_ISL_E10value_typeEPSM_NS1_7vsmem_tEENKUlT_SK_SL_SM_E_clIPxSE_SF_SF_EESJ_SZ_SK_SL_SM_EUlSZ_E0_NS1_11comp_targetILNS1_3genE0ELNS1_11target_archE4294967295ELNS1_3gpuE0ELNS1_3repE0EEENS1_38merge_mergepath_config_static_selectorELNS0_4arch9wavefront6targetE1EEEvSL_.kd
    .uniform_work_group_size: 1
    .uses_dynamic_stack: false
    .vgpr_count:     0
    .vgpr_spill_count: 0
    .wavefront_size: 64
  - .agpr_count:     0
    .args:
      - .offset:         0
        .size:           64
        .value_kind:     by_value
    .group_segment_fixed_size: 0
    .kernarg_segment_align: 8
    .kernarg_segment_size: 64
    .language:       OpenCL C
    .language_version:
      - 2
      - 0
    .max_flat_workgroup_size: 512
    .name:           _ZN7rocprim17ROCPRIM_400000_NS6detail17trampoline_kernelINS0_14default_configENS1_38merge_sort_block_merge_config_selectorIxNS0_10empty_typeEEEZZNS1_27merge_sort_block_merge_implIS3_N6thrust23THRUST_200600_302600_NS6detail15normal_iteratorINS9_10device_ptrIxEEEEPS5_jNS1_19radix_merge_compareILb0ELb0ExNS0_19identity_decomposerEEEEE10hipError_tT0_T1_T2_jT3_P12ihipStream_tbPNSt15iterator_traitsISK_E10value_typeEPNSQ_ISL_E10value_typeEPSM_NS1_7vsmem_tEENKUlT_SK_SL_SM_E_clIPxSE_SF_SF_EESJ_SZ_SK_SL_SM_EUlSZ_E0_NS1_11comp_targetILNS1_3genE10ELNS1_11target_archE1201ELNS1_3gpuE5ELNS1_3repE0EEENS1_38merge_mergepath_config_static_selectorELNS0_4arch9wavefront6targetE1EEEvSL_
    .private_segment_fixed_size: 0
    .sgpr_count:     4
    .sgpr_spill_count: 0
    .symbol:         _ZN7rocprim17ROCPRIM_400000_NS6detail17trampoline_kernelINS0_14default_configENS1_38merge_sort_block_merge_config_selectorIxNS0_10empty_typeEEEZZNS1_27merge_sort_block_merge_implIS3_N6thrust23THRUST_200600_302600_NS6detail15normal_iteratorINS9_10device_ptrIxEEEEPS5_jNS1_19radix_merge_compareILb0ELb0ExNS0_19identity_decomposerEEEEE10hipError_tT0_T1_T2_jT3_P12ihipStream_tbPNSt15iterator_traitsISK_E10value_typeEPNSQ_ISL_E10value_typeEPSM_NS1_7vsmem_tEENKUlT_SK_SL_SM_E_clIPxSE_SF_SF_EESJ_SZ_SK_SL_SM_EUlSZ_E0_NS1_11comp_targetILNS1_3genE10ELNS1_11target_archE1201ELNS1_3gpuE5ELNS1_3repE0EEENS1_38merge_mergepath_config_static_selectorELNS0_4arch9wavefront6targetE1EEEvSL_.kd
    .uniform_work_group_size: 1
    .uses_dynamic_stack: false
    .vgpr_count:     0
    .vgpr_spill_count: 0
    .wavefront_size: 64
  - .agpr_count:     0
    .args:
      - .offset:         0
        .size:           64
        .value_kind:     by_value
    .group_segment_fixed_size: 0
    .kernarg_segment_align: 8
    .kernarg_segment_size: 64
    .language:       OpenCL C
    .language_version:
      - 2
      - 0
    .max_flat_workgroup_size: 128
    .name:           _ZN7rocprim17ROCPRIM_400000_NS6detail17trampoline_kernelINS0_14default_configENS1_38merge_sort_block_merge_config_selectorIxNS0_10empty_typeEEEZZNS1_27merge_sort_block_merge_implIS3_N6thrust23THRUST_200600_302600_NS6detail15normal_iteratorINS9_10device_ptrIxEEEEPS5_jNS1_19radix_merge_compareILb0ELb0ExNS0_19identity_decomposerEEEEE10hipError_tT0_T1_T2_jT3_P12ihipStream_tbPNSt15iterator_traitsISK_E10value_typeEPNSQ_ISL_E10value_typeEPSM_NS1_7vsmem_tEENKUlT_SK_SL_SM_E_clIPxSE_SF_SF_EESJ_SZ_SK_SL_SM_EUlSZ_E0_NS1_11comp_targetILNS1_3genE5ELNS1_11target_archE942ELNS1_3gpuE9ELNS1_3repE0EEENS1_38merge_mergepath_config_static_selectorELNS0_4arch9wavefront6targetE1EEEvSL_
    .private_segment_fixed_size: 0
    .sgpr_count:     4
    .sgpr_spill_count: 0
    .symbol:         _ZN7rocprim17ROCPRIM_400000_NS6detail17trampoline_kernelINS0_14default_configENS1_38merge_sort_block_merge_config_selectorIxNS0_10empty_typeEEEZZNS1_27merge_sort_block_merge_implIS3_N6thrust23THRUST_200600_302600_NS6detail15normal_iteratorINS9_10device_ptrIxEEEEPS5_jNS1_19radix_merge_compareILb0ELb0ExNS0_19identity_decomposerEEEEE10hipError_tT0_T1_T2_jT3_P12ihipStream_tbPNSt15iterator_traitsISK_E10value_typeEPNSQ_ISL_E10value_typeEPSM_NS1_7vsmem_tEENKUlT_SK_SL_SM_E_clIPxSE_SF_SF_EESJ_SZ_SK_SL_SM_EUlSZ_E0_NS1_11comp_targetILNS1_3genE5ELNS1_11target_archE942ELNS1_3gpuE9ELNS1_3repE0EEENS1_38merge_mergepath_config_static_selectorELNS0_4arch9wavefront6targetE1EEEvSL_.kd
    .uniform_work_group_size: 1
    .uses_dynamic_stack: false
    .vgpr_count:     0
    .vgpr_spill_count: 0
    .wavefront_size: 64
  - .agpr_count:     0
    .args:
      - .offset:         0
        .size:           64
        .value_kind:     by_value
      - .offset:         64
        .size:           4
        .value_kind:     hidden_block_count_x
      - .offset:         68
        .size:           4
        .value_kind:     hidden_block_count_y
      - .offset:         72
        .size:           4
        .value_kind:     hidden_block_count_z
      - .offset:         76
        .size:           2
        .value_kind:     hidden_group_size_x
      - .offset:         78
        .size:           2
        .value_kind:     hidden_group_size_y
      - .offset:         80
        .size:           2
        .value_kind:     hidden_group_size_z
      - .offset:         82
        .size:           2
        .value_kind:     hidden_remainder_x
      - .offset:         84
        .size:           2
        .value_kind:     hidden_remainder_y
      - .offset:         86
        .size:           2
        .value_kind:     hidden_remainder_z
      - .offset:         104
        .size:           8
        .value_kind:     hidden_global_offset_x
      - .offset:         112
        .size:           8
        .value_kind:     hidden_global_offset_y
      - .offset:         120
        .size:           8
        .value_kind:     hidden_global_offset_z
      - .offset:         128
        .size:           2
        .value_kind:     hidden_grid_dims
    .group_segment_fixed_size: 8448
    .kernarg_segment_align: 8
    .kernarg_segment_size: 320
    .language:       OpenCL C
    .language_version:
      - 2
      - 0
    .max_flat_workgroup_size: 256
    .name:           _ZN7rocprim17ROCPRIM_400000_NS6detail17trampoline_kernelINS0_14default_configENS1_38merge_sort_block_merge_config_selectorIxNS0_10empty_typeEEEZZNS1_27merge_sort_block_merge_implIS3_N6thrust23THRUST_200600_302600_NS6detail15normal_iteratorINS9_10device_ptrIxEEEEPS5_jNS1_19radix_merge_compareILb0ELb0ExNS0_19identity_decomposerEEEEE10hipError_tT0_T1_T2_jT3_P12ihipStream_tbPNSt15iterator_traitsISK_E10value_typeEPNSQ_ISL_E10value_typeEPSM_NS1_7vsmem_tEENKUlT_SK_SL_SM_E_clIPxSE_SF_SF_EESJ_SZ_SK_SL_SM_EUlSZ_E0_NS1_11comp_targetILNS1_3genE4ELNS1_11target_archE910ELNS1_3gpuE8ELNS1_3repE0EEENS1_38merge_mergepath_config_static_selectorELNS0_4arch9wavefront6targetE1EEEvSL_
    .private_segment_fixed_size: 0
    .sgpr_count:     27
    .sgpr_spill_count: 0
    .symbol:         _ZN7rocprim17ROCPRIM_400000_NS6detail17trampoline_kernelINS0_14default_configENS1_38merge_sort_block_merge_config_selectorIxNS0_10empty_typeEEEZZNS1_27merge_sort_block_merge_implIS3_N6thrust23THRUST_200600_302600_NS6detail15normal_iteratorINS9_10device_ptrIxEEEEPS5_jNS1_19radix_merge_compareILb0ELb0ExNS0_19identity_decomposerEEEEE10hipError_tT0_T1_T2_jT3_P12ihipStream_tbPNSt15iterator_traitsISK_E10value_typeEPNSQ_ISL_E10value_typeEPSM_NS1_7vsmem_tEENKUlT_SK_SL_SM_E_clIPxSE_SF_SF_EESJ_SZ_SK_SL_SM_EUlSZ_E0_NS1_11comp_targetILNS1_3genE4ELNS1_11target_archE910ELNS1_3gpuE8ELNS1_3repE0EEENS1_38merge_mergepath_config_static_selectorELNS0_4arch9wavefront6targetE1EEEvSL_.kd
    .uniform_work_group_size: 1
    .uses_dynamic_stack: false
    .vgpr_count:     21
    .vgpr_spill_count: 0
    .wavefront_size: 64
  - .agpr_count:     0
    .args:
      - .offset:         0
        .size:           64
        .value_kind:     by_value
    .group_segment_fixed_size: 0
    .kernarg_segment_align: 8
    .kernarg_segment_size: 64
    .language:       OpenCL C
    .language_version:
      - 2
      - 0
    .max_flat_workgroup_size: 128
    .name:           _ZN7rocprim17ROCPRIM_400000_NS6detail17trampoline_kernelINS0_14default_configENS1_38merge_sort_block_merge_config_selectorIxNS0_10empty_typeEEEZZNS1_27merge_sort_block_merge_implIS3_N6thrust23THRUST_200600_302600_NS6detail15normal_iteratorINS9_10device_ptrIxEEEEPS5_jNS1_19radix_merge_compareILb0ELb0ExNS0_19identity_decomposerEEEEE10hipError_tT0_T1_T2_jT3_P12ihipStream_tbPNSt15iterator_traitsISK_E10value_typeEPNSQ_ISL_E10value_typeEPSM_NS1_7vsmem_tEENKUlT_SK_SL_SM_E_clIPxSE_SF_SF_EESJ_SZ_SK_SL_SM_EUlSZ_E0_NS1_11comp_targetILNS1_3genE3ELNS1_11target_archE908ELNS1_3gpuE7ELNS1_3repE0EEENS1_38merge_mergepath_config_static_selectorELNS0_4arch9wavefront6targetE1EEEvSL_
    .private_segment_fixed_size: 0
    .sgpr_count:     4
    .sgpr_spill_count: 0
    .symbol:         _ZN7rocprim17ROCPRIM_400000_NS6detail17trampoline_kernelINS0_14default_configENS1_38merge_sort_block_merge_config_selectorIxNS0_10empty_typeEEEZZNS1_27merge_sort_block_merge_implIS3_N6thrust23THRUST_200600_302600_NS6detail15normal_iteratorINS9_10device_ptrIxEEEEPS5_jNS1_19radix_merge_compareILb0ELb0ExNS0_19identity_decomposerEEEEE10hipError_tT0_T1_T2_jT3_P12ihipStream_tbPNSt15iterator_traitsISK_E10value_typeEPNSQ_ISL_E10value_typeEPSM_NS1_7vsmem_tEENKUlT_SK_SL_SM_E_clIPxSE_SF_SF_EESJ_SZ_SK_SL_SM_EUlSZ_E0_NS1_11comp_targetILNS1_3genE3ELNS1_11target_archE908ELNS1_3gpuE7ELNS1_3repE0EEENS1_38merge_mergepath_config_static_selectorELNS0_4arch9wavefront6targetE1EEEvSL_.kd
    .uniform_work_group_size: 1
    .uses_dynamic_stack: false
    .vgpr_count:     0
    .vgpr_spill_count: 0
    .wavefront_size: 64
  - .agpr_count:     0
    .args:
      - .offset:         0
        .size:           64
        .value_kind:     by_value
    .group_segment_fixed_size: 0
    .kernarg_segment_align: 8
    .kernarg_segment_size: 64
    .language:       OpenCL C
    .language_version:
      - 2
      - 0
    .max_flat_workgroup_size: 256
    .name:           _ZN7rocprim17ROCPRIM_400000_NS6detail17trampoline_kernelINS0_14default_configENS1_38merge_sort_block_merge_config_selectorIxNS0_10empty_typeEEEZZNS1_27merge_sort_block_merge_implIS3_N6thrust23THRUST_200600_302600_NS6detail15normal_iteratorINS9_10device_ptrIxEEEEPS5_jNS1_19radix_merge_compareILb0ELb0ExNS0_19identity_decomposerEEEEE10hipError_tT0_T1_T2_jT3_P12ihipStream_tbPNSt15iterator_traitsISK_E10value_typeEPNSQ_ISL_E10value_typeEPSM_NS1_7vsmem_tEENKUlT_SK_SL_SM_E_clIPxSE_SF_SF_EESJ_SZ_SK_SL_SM_EUlSZ_E0_NS1_11comp_targetILNS1_3genE2ELNS1_11target_archE906ELNS1_3gpuE6ELNS1_3repE0EEENS1_38merge_mergepath_config_static_selectorELNS0_4arch9wavefront6targetE1EEEvSL_
    .private_segment_fixed_size: 0
    .sgpr_count:     4
    .sgpr_spill_count: 0
    .symbol:         _ZN7rocprim17ROCPRIM_400000_NS6detail17trampoline_kernelINS0_14default_configENS1_38merge_sort_block_merge_config_selectorIxNS0_10empty_typeEEEZZNS1_27merge_sort_block_merge_implIS3_N6thrust23THRUST_200600_302600_NS6detail15normal_iteratorINS9_10device_ptrIxEEEEPS5_jNS1_19radix_merge_compareILb0ELb0ExNS0_19identity_decomposerEEEEE10hipError_tT0_T1_T2_jT3_P12ihipStream_tbPNSt15iterator_traitsISK_E10value_typeEPNSQ_ISL_E10value_typeEPSM_NS1_7vsmem_tEENKUlT_SK_SL_SM_E_clIPxSE_SF_SF_EESJ_SZ_SK_SL_SM_EUlSZ_E0_NS1_11comp_targetILNS1_3genE2ELNS1_11target_archE906ELNS1_3gpuE6ELNS1_3repE0EEENS1_38merge_mergepath_config_static_selectorELNS0_4arch9wavefront6targetE1EEEvSL_.kd
    .uniform_work_group_size: 1
    .uses_dynamic_stack: false
    .vgpr_count:     0
    .vgpr_spill_count: 0
    .wavefront_size: 64
  - .agpr_count:     0
    .args:
      - .offset:         0
        .size:           64
        .value_kind:     by_value
    .group_segment_fixed_size: 0
    .kernarg_segment_align: 8
    .kernarg_segment_size: 64
    .language:       OpenCL C
    .language_version:
      - 2
      - 0
    .max_flat_workgroup_size: 512
    .name:           _ZN7rocprim17ROCPRIM_400000_NS6detail17trampoline_kernelINS0_14default_configENS1_38merge_sort_block_merge_config_selectorIxNS0_10empty_typeEEEZZNS1_27merge_sort_block_merge_implIS3_N6thrust23THRUST_200600_302600_NS6detail15normal_iteratorINS9_10device_ptrIxEEEEPS5_jNS1_19radix_merge_compareILb0ELb0ExNS0_19identity_decomposerEEEEE10hipError_tT0_T1_T2_jT3_P12ihipStream_tbPNSt15iterator_traitsISK_E10value_typeEPNSQ_ISL_E10value_typeEPSM_NS1_7vsmem_tEENKUlT_SK_SL_SM_E_clIPxSE_SF_SF_EESJ_SZ_SK_SL_SM_EUlSZ_E0_NS1_11comp_targetILNS1_3genE9ELNS1_11target_archE1100ELNS1_3gpuE3ELNS1_3repE0EEENS1_38merge_mergepath_config_static_selectorELNS0_4arch9wavefront6targetE1EEEvSL_
    .private_segment_fixed_size: 0
    .sgpr_count:     4
    .sgpr_spill_count: 0
    .symbol:         _ZN7rocprim17ROCPRIM_400000_NS6detail17trampoline_kernelINS0_14default_configENS1_38merge_sort_block_merge_config_selectorIxNS0_10empty_typeEEEZZNS1_27merge_sort_block_merge_implIS3_N6thrust23THRUST_200600_302600_NS6detail15normal_iteratorINS9_10device_ptrIxEEEEPS5_jNS1_19radix_merge_compareILb0ELb0ExNS0_19identity_decomposerEEEEE10hipError_tT0_T1_T2_jT3_P12ihipStream_tbPNSt15iterator_traitsISK_E10value_typeEPNSQ_ISL_E10value_typeEPSM_NS1_7vsmem_tEENKUlT_SK_SL_SM_E_clIPxSE_SF_SF_EESJ_SZ_SK_SL_SM_EUlSZ_E0_NS1_11comp_targetILNS1_3genE9ELNS1_11target_archE1100ELNS1_3gpuE3ELNS1_3repE0EEENS1_38merge_mergepath_config_static_selectorELNS0_4arch9wavefront6targetE1EEEvSL_.kd
    .uniform_work_group_size: 1
    .uses_dynamic_stack: false
    .vgpr_count:     0
    .vgpr_spill_count: 0
    .wavefront_size: 64
  - .agpr_count:     0
    .args:
      - .offset:         0
        .size:           64
        .value_kind:     by_value
    .group_segment_fixed_size: 0
    .kernarg_segment_align: 8
    .kernarg_segment_size: 64
    .language:       OpenCL C
    .language_version:
      - 2
      - 0
    .max_flat_workgroup_size: 1024
    .name:           _ZN7rocprim17ROCPRIM_400000_NS6detail17trampoline_kernelINS0_14default_configENS1_38merge_sort_block_merge_config_selectorIxNS0_10empty_typeEEEZZNS1_27merge_sort_block_merge_implIS3_N6thrust23THRUST_200600_302600_NS6detail15normal_iteratorINS9_10device_ptrIxEEEEPS5_jNS1_19radix_merge_compareILb0ELb0ExNS0_19identity_decomposerEEEEE10hipError_tT0_T1_T2_jT3_P12ihipStream_tbPNSt15iterator_traitsISK_E10value_typeEPNSQ_ISL_E10value_typeEPSM_NS1_7vsmem_tEENKUlT_SK_SL_SM_E_clIPxSE_SF_SF_EESJ_SZ_SK_SL_SM_EUlSZ_E0_NS1_11comp_targetILNS1_3genE8ELNS1_11target_archE1030ELNS1_3gpuE2ELNS1_3repE0EEENS1_38merge_mergepath_config_static_selectorELNS0_4arch9wavefront6targetE1EEEvSL_
    .private_segment_fixed_size: 0
    .sgpr_count:     4
    .sgpr_spill_count: 0
    .symbol:         _ZN7rocprim17ROCPRIM_400000_NS6detail17trampoline_kernelINS0_14default_configENS1_38merge_sort_block_merge_config_selectorIxNS0_10empty_typeEEEZZNS1_27merge_sort_block_merge_implIS3_N6thrust23THRUST_200600_302600_NS6detail15normal_iteratorINS9_10device_ptrIxEEEEPS5_jNS1_19radix_merge_compareILb0ELb0ExNS0_19identity_decomposerEEEEE10hipError_tT0_T1_T2_jT3_P12ihipStream_tbPNSt15iterator_traitsISK_E10value_typeEPNSQ_ISL_E10value_typeEPSM_NS1_7vsmem_tEENKUlT_SK_SL_SM_E_clIPxSE_SF_SF_EESJ_SZ_SK_SL_SM_EUlSZ_E0_NS1_11comp_targetILNS1_3genE8ELNS1_11target_archE1030ELNS1_3gpuE2ELNS1_3repE0EEENS1_38merge_mergepath_config_static_selectorELNS0_4arch9wavefront6targetE1EEEvSL_.kd
    .uniform_work_group_size: 1
    .uses_dynamic_stack: false
    .vgpr_count:     0
    .vgpr_spill_count: 0
    .wavefront_size: 64
  - .agpr_count:     0
    .args:
      - .offset:         0
        .size:           48
        .value_kind:     by_value
    .group_segment_fixed_size: 0
    .kernarg_segment_align: 8
    .kernarg_segment_size: 48
    .language:       OpenCL C
    .language_version:
      - 2
      - 0
    .max_flat_workgroup_size: 256
    .name:           _ZN7rocprim17ROCPRIM_400000_NS6detail17trampoline_kernelINS0_14default_configENS1_38merge_sort_block_merge_config_selectorIxNS0_10empty_typeEEEZZNS1_27merge_sort_block_merge_implIS3_N6thrust23THRUST_200600_302600_NS6detail15normal_iteratorINS9_10device_ptrIxEEEEPS5_jNS1_19radix_merge_compareILb0ELb0ExNS0_19identity_decomposerEEEEE10hipError_tT0_T1_T2_jT3_P12ihipStream_tbPNSt15iterator_traitsISK_E10value_typeEPNSQ_ISL_E10value_typeEPSM_NS1_7vsmem_tEENKUlT_SK_SL_SM_E_clIPxSE_SF_SF_EESJ_SZ_SK_SL_SM_EUlSZ_E1_NS1_11comp_targetILNS1_3genE0ELNS1_11target_archE4294967295ELNS1_3gpuE0ELNS1_3repE0EEENS1_36merge_oddeven_config_static_selectorELNS0_4arch9wavefront6targetE1EEEvSL_
    .private_segment_fixed_size: 0
    .sgpr_count:     4
    .sgpr_spill_count: 0
    .symbol:         _ZN7rocprim17ROCPRIM_400000_NS6detail17trampoline_kernelINS0_14default_configENS1_38merge_sort_block_merge_config_selectorIxNS0_10empty_typeEEEZZNS1_27merge_sort_block_merge_implIS3_N6thrust23THRUST_200600_302600_NS6detail15normal_iteratorINS9_10device_ptrIxEEEEPS5_jNS1_19radix_merge_compareILb0ELb0ExNS0_19identity_decomposerEEEEE10hipError_tT0_T1_T2_jT3_P12ihipStream_tbPNSt15iterator_traitsISK_E10value_typeEPNSQ_ISL_E10value_typeEPSM_NS1_7vsmem_tEENKUlT_SK_SL_SM_E_clIPxSE_SF_SF_EESJ_SZ_SK_SL_SM_EUlSZ_E1_NS1_11comp_targetILNS1_3genE0ELNS1_11target_archE4294967295ELNS1_3gpuE0ELNS1_3repE0EEENS1_36merge_oddeven_config_static_selectorELNS0_4arch9wavefront6targetE1EEEvSL_.kd
    .uniform_work_group_size: 1
    .uses_dynamic_stack: false
    .vgpr_count:     0
    .vgpr_spill_count: 0
    .wavefront_size: 64
  - .agpr_count:     0
    .args:
      - .offset:         0
        .size:           48
        .value_kind:     by_value
    .group_segment_fixed_size: 0
    .kernarg_segment_align: 8
    .kernarg_segment_size: 48
    .language:       OpenCL C
    .language_version:
      - 2
      - 0
    .max_flat_workgroup_size: 256
    .name:           _ZN7rocprim17ROCPRIM_400000_NS6detail17trampoline_kernelINS0_14default_configENS1_38merge_sort_block_merge_config_selectorIxNS0_10empty_typeEEEZZNS1_27merge_sort_block_merge_implIS3_N6thrust23THRUST_200600_302600_NS6detail15normal_iteratorINS9_10device_ptrIxEEEEPS5_jNS1_19radix_merge_compareILb0ELb0ExNS0_19identity_decomposerEEEEE10hipError_tT0_T1_T2_jT3_P12ihipStream_tbPNSt15iterator_traitsISK_E10value_typeEPNSQ_ISL_E10value_typeEPSM_NS1_7vsmem_tEENKUlT_SK_SL_SM_E_clIPxSE_SF_SF_EESJ_SZ_SK_SL_SM_EUlSZ_E1_NS1_11comp_targetILNS1_3genE10ELNS1_11target_archE1201ELNS1_3gpuE5ELNS1_3repE0EEENS1_36merge_oddeven_config_static_selectorELNS0_4arch9wavefront6targetE1EEEvSL_
    .private_segment_fixed_size: 0
    .sgpr_count:     4
    .sgpr_spill_count: 0
    .symbol:         _ZN7rocprim17ROCPRIM_400000_NS6detail17trampoline_kernelINS0_14default_configENS1_38merge_sort_block_merge_config_selectorIxNS0_10empty_typeEEEZZNS1_27merge_sort_block_merge_implIS3_N6thrust23THRUST_200600_302600_NS6detail15normal_iteratorINS9_10device_ptrIxEEEEPS5_jNS1_19radix_merge_compareILb0ELb0ExNS0_19identity_decomposerEEEEE10hipError_tT0_T1_T2_jT3_P12ihipStream_tbPNSt15iterator_traitsISK_E10value_typeEPNSQ_ISL_E10value_typeEPSM_NS1_7vsmem_tEENKUlT_SK_SL_SM_E_clIPxSE_SF_SF_EESJ_SZ_SK_SL_SM_EUlSZ_E1_NS1_11comp_targetILNS1_3genE10ELNS1_11target_archE1201ELNS1_3gpuE5ELNS1_3repE0EEENS1_36merge_oddeven_config_static_selectorELNS0_4arch9wavefront6targetE1EEEvSL_.kd
    .uniform_work_group_size: 1
    .uses_dynamic_stack: false
    .vgpr_count:     0
    .vgpr_spill_count: 0
    .wavefront_size: 64
  - .agpr_count:     0
    .args:
      - .offset:         0
        .size:           48
        .value_kind:     by_value
    .group_segment_fixed_size: 0
    .kernarg_segment_align: 8
    .kernarg_segment_size: 48
    .language:       OpenCL C
    .language_version:
      - 2
      - 0
    .max_flat_workgroup_size: 256
    .name:           _ZN7rocprim17ROCPRIM_400000_NS6detail17trampoline_kernelINS0_14default_configENS1_38merge_sort_block_merge_config_selectorIxNS0_10empty_typeEEEZZNS1_27merge_sort_block_merge_implIS3_N6thrust23THRUST_200600_302600_NS6detail15normal_iteratorINS9_10device_ptrIxEEEEPS5_jNS1_19radix_merge_compareILb0ELb0ExNS0_19identity_decomposerEEEEE10hipError_tT0_T1_T2_jT3_P12ihipStream_tbPNSt15iterator_traitsISK_E10value_typeEPNSQ_ISL_E10value_typeEPSM_NS1_7vsmem_tEENKUlT_SK_SL_SM_E_clIPxSE_SF_SF_EESJ_SZ_SK_SL_SM_EUlSZ_E1_NS1_11comp_targetILNS1_3genE5ELNS1_11target_archE942ELNS1_3gpuE9ELNS1_3repE0EEENS1_36merge_oddeven_config_static_selectorELNS0_4arch9wavefront6targetE1EEEvSL_
    .private_segment_fixed_size: 0
    .sgpr_count:     4
    .sgpr_spill_count: 0
    .symbol:         _ZN7rocprim17ROCPRIM_400000_NS6detail17trampoline_kernelINS0_14default_configENS1_38merge_sort_block_merge_config_selectorIxNS0_10empty_typeEEEZZNS1_27merge_sort_block_merge_implIS3_N6thrust23THRUST_200600_302600_NS6detail15normal_iteratorINS9_10device_ptrIxEEEEPS5_jNS1_19radix_merge_compareILb0ELb0ExNS0_19identity_decomposerEEEEE10hipError_tT0_T1_T2_jT3_P12ihipStream_tbPNSt15iterator_traitsISK_E10value_typeEPNSQ_ISL_E10value_typeEPSM_NS1_7vsmem_tEENKUlT_SK_SL_SM_E_clIPxSE_SF_SF_EESJ_SZ_SK_SL_SM_EUlSZ_E1_NS1_11comp_targetILNS1_3genE5ELNS1_11target_archE942ELNS1_3gpuE9ELNS1_3repE0EEENS1_36merge_oddeven_config_static_selectorELNS0_4arch9wavefront6targetE1EEEvSL_.kd
    .uniform_work_group_size: 1
    .uses_dynamic_stack: false
    .vgpr_count:     0
    .vgpr_spill_count: 0
    .wavefront_size: 64
  - .agpr_count:     0
    .args:
      - .offset:         0
        .size:           48
        .value_kind:     by_value
    .group_segment_fixed_size: 0
    .kernarg_segment_align: 8
    .kernarg_segment_size: 48
    .language:       OpenCL C
    .language_version:
      - 2
      - 0
    .max_flat_workgroup_size: 256
    .name:           _ZN7rocprim17ROCPRIM_400000_NS6detail17trampoline_kernelINS0_14default_configENS1_38merge_sort_block_merge_config_selectorIxNS0_10empty_typeEEEZZNS1_27merge_sort_block_merge_implIS3_N6thrust23THRUST_200600_302600_NS6detail15normal_iteratorINS9_10device_ptrIxEEEEPS5_jNS1_19radix_merge_compareILb0ELb0ExNS0_19identity_decomposerEEEEE10hipError_tT0_T1_T2_jT3_P12ihipStream_tbPNSt15iterator_traitsISK_E10value_typeEPNSQ_ISL_E10value_typeEPSM_NS1_7vsmem_tEENKUlT_SK_SL_SM_E_clIPxSE_SF_SF_EESJ_SZ_SK_SL_SM_EUlSZ_E1_NS1_11comp_targetILNS1_3genE4ELNS1_11target_archE910ELNS1_3gpuE8ELNS1_3repE0EEENS1_36merge_oddeven_config_static_selectorELNS0_4arch9wavefront6targetE1EEEvSL_
    .private_segment_fixed_size: 0
    .sgpr_count:     25
    .sgpr_spill_count: 0
    .symbol:         _ZN7rocprim17ROCPRIM_400000_NS6detail17trampoline_kernelINS0_14default_configENS1_38merge_sort_block_merge_config_selectorIxNS0_10empty_typeEEEZZNS1_27merge_sort_block_merge_implIS3_N6thrust23THRUST_200600_302600_NS6detail15normal_iteratorINS9_10device_ptrIxEEEEPS5_jNS1_19radix_merge_compareILb0ELb0ExNS0_19identity_decomposerEEEEE10hipError_tT0_T1_T2_jT3_P12ihipStream_tbPNSt15iterator_traitsISK_E10value_typeEPNSQ_ISL_E10value_typeEPSM_NS1_7vsmem_tEENKUlT_SK_SL_SM_E_clIPxSE_SF_SF_EESJ_SZ_SK_SL_SM_EUlSZ_E1_NS1_11comp_targetILNS1_3genE4ELNS1_11target_archE910ELNS1_3gpuE8ELNS1_3repE0EEENS1_36merge_oddeven_config_static_selectorELNS0_4arch9wavefront6targetE1EEEvSL_.kd
    .uniform_work_group_size: 1
    .uses_dynamic_stack: false
    .vgpr_count:     12
    .vgpr_spill_count: 0
    .wavefront_size: 64
  - .agpr_count:     0
    .args:
      - .offset:         0
        .size:           48
        .value_kind:     by_value
    .group_segment_fixed_size: 0
    .kernarg_segment_align: 8
    .kernarg_segment_size: 48
    .language:       OpenCL C
    .language_version:
      - 2
      - 0
    .max_flat_workgroup_size: 256
    .name:           _ZN7rocprim17ROCPRIM_400000_NS6detail17trampoline_kernelINS0_14default_configENS1_38merge_sort_block_merge_config_selectorIxNS0_10empty_typeEEEZZNS1_27merge_sort_block_merge_implIS3_N6thrust23THRUST_200600_302600_NS6detail15normal_iteratorINS9_10device_ptrIxEEEEPS5_jNS1_19radix_merge_compareILb0ELb0ExNS0_19identity_decomposerEEEEE10hipError_tT0_T1_T2_jT3_P12ihipStream_tbPNSt15iterator_traitsISK_E10value_typeEPNSQ_ISL_E10value_typeEPSM_NS1_7vsmem_tEENKUlT_SK_SL_SM_E_clIPxSE_SF_SF_EESJ_SZ_SK_SL_SM_EUlSZ_E1_NS1_11comp_targetILNS1_3genE3ELNS1_11target_archE908ELNS1_3gpuE7ELNS1_3repE0EEENS1_36merge_oddeven_config_static_selectorELNS0_4arch9wavefront6targetE1EEEvSL_
    .private_segment_fixed_size: 0
    .sgpr_count:     4
    .sgpr_spill_count: 0
    .symbol:         _ZN7rocprim17ROCPRIM_400000_NS6detail17trampoline_kernelINS0_14default_configENS1_38merge_sort_block_merge_config_selectorIxNS0_10empty_typeEEEZZNS1_27merge_sort_block_merge_implIS3_N6thrust23THRUST_200600_302600_NS6detail15normal_iteratorINS9_10device_ptrIxEEEEPS5_jNS1_19radix_merge_compareILb0ELb0ExNS0_19identity_decomposerEEEEE10hipError_tT0_T1_T2_jT3_P12ihipStream_tbPNSt15iterator_traitsISK_E10value_typeEPNSQ_ISL_E10value_typeEPSM_NS1_7vsmem_tEENKUlT_SK_SL_SM_E_clIPxSE_SF_SF_EESJ_SZ_SK_SL_SM_EUlSZ_E1_NS1_11comp_targetILNS1_3genE3ELNS1_11target_archE908ELNS1_3gpuE7ELNS1_3repE0EEENS1_36merge_oddeven_config_static_selectorELNS0_4arch9wavefront6targetE1EEEvSL_.kd
    .uniform_work_group_size: 1
    .uses_dynamic_stack: false
    .vgpr_count:     0
    .vgpr_spill_count: 0
    .wavefront_size: 64
  - .agpr_count:     0
    .args:
      - .offset:         0
        .size:           48
        .value_kind:     by_value
    .group_segment_fixed_size: 0
    .kernarg_segment_align: 8
    .kernarg_segment_size: 48
    .language:       OpenCL C
    .language_version:
      - 2
      - 0
    .max_flat_workgroup_size: 256
    .name:           _ZN7rocprim17ROCPRIM_400000_NS6detail17trampoline_kernelINS0_14default_configENS1_38merge_sort_block_merge_config_selectorIxNS0_10empty_typeEEEZZNS1_27merge_sort_block_merge_implIS3_N6thrust23THRUST_200600_302600_NS6detail15normal_iteratorINS9_10device_ptrIxEEEEPS5_jNS1_19radix_merge_compareILb0ELb0ExNS0_19identity_decomposerEEEEE10hipError_tT0_T1_T2_jT3_P12ihipStream_tbPNSt15iterator_traitsISK_E10value_typeEPNSQ_ISL_E10value_typeEPSM_NS1_7vsmem_tEENKUlT_SK_SL_SM_E_clIPxSE_SF_SF_EESJ_SZ_SK_SL_SM_EUlSZ_E1_NS1_11comp_targetILNS1_3genE2ELNS1_11target_archE906ELNS1_3gpuE6ELNS1_3repE0EEENS1_36merge_oddeven_config_static_selectorELNS0_4arch9wavefront6targetE1EEEvSL_
    .private_segment_fixed_size: 0
    .sgpr_count:     4
    .sgpr_spill_count: 0
    .symbol:         _ZN7rocprim17ROCPRIM_400000_NS6detail17trampoline_kernelINS0_14default_configENS1_38merge_sort_block_merge_config_selectorIxNS0_10empty_typeEEEZZNS1_27merge_sort_block_merge_implIS3_N6thrust23THRUST_200600_302600_NS6detail15normal_iteratorINS9_10device_ptrIxEEEEPS5_jNS1_19radix_merge_compareILb0ELb0ExNS0_19identity_decomposerEEEEE10hipError_tT0_T1_T2_jT3_P12ihipStream_tbPNSt15iterator_traitsISK_E10value_typeEPNSQ_ISL_E10value_typeEPSM_NS1_7vsmem_tEENKUlT_SK_SL_SM_E_clIPxSE_SF_SF_EESJ_SZ_SK_SL_SM_EUlSZ_E1_NS1_11comp_targetILNS1_3genE2ELNS1_11target_archE906ELNS1_3gpuE6ELNS1_3repE0EEENS1_36merge_oddeven_config_static_selectorELNS0_4arch9wavefront6targetE1EEEvSL_.kd
    .uniform_work_group_size: 1
    .uses_dynamic_stack: false
    .vgpr_count:     0
    .vgpr_spill_count: 0
    .wavefront_size: 64
  - .agpr_count:     0
    .args:
      - .offset:         0
        .size:           48
        .value_kind:     by_value
    .group_segment_fixed_size: 0
    .kernarg_segment_align: 8
    .kernarg_segment_size: 48
    .language:       OpenCL C
    .language_version:
      - 2
      - 0
    .max_flat_workgroup_size: 256
    .name:           _ZN7rocprim17ROCPRIM_400000_NS6detail17trampoline_kernelINS0_14default_configENS1_38merge_sort_block_merge_config_selectorIxNS0_10empty_typeEEEZZNS1_27merge_sort_block_merge_implIS3_N6thrust23THRUST_200600_302600_NS6detail15normal_iteratorINS9_10device_ptrIxEEEEPS5_jNS1_19radix_merge_compareILb0ELb0ExNS0_19identity_decomposerEEEEE10hipError_tT0_T1_T2_jT3_P12ihipStream_tbPNSt15iterator_traitsISK_E10value_typeEPNSQ_ISL_E10value_typeEPSM_NS1_7vsmem_tEENKUlT_SK_SL_SM_E_clIPxSE_SF_SF_EESJ_SZ_SK_SL_SM_EUlSZ_E1_NS1_11comp_targetILNS1_3genE9ELNS1_11target_archE1100ELNS1_3gpuE3ELNS1_3repE0EEENS1_36merge_oddeven_config_static_selectorELNS0_4arch9wavefront6targetE1EEEvSL_
    .private_segment_fixed_size: 0
    .sgpr_count:     4
    .sgpr_spill_count: 0
    .symbol:         _ZN7rocprim17ROCPRIM_400000_NS6detail17trampoline_kernelINS0_14default_configENS1_38merge_sort_block_merge_config_selectorIxNS0_10empty_typeEEEZZNS1_27merge_sort_block_merge_implIS3_N6thrust23THRUST_200600_302600_NS6detail15normal_iteratorINS9_10device_ptrIxEEEEPS5_jNS1_19radix_merge_compareILb0ELb0ExNS0_19identity_decomposerEEEEE10hipError_tT0_T1_T2_jT3_P12ihipStream_tbPNSt15iterator_traitsISK_E10value_typeEPNSQ_ISL_E10value_typeEPSM_NS1_7vsmem_tEENKUlT_SK_SL_SM_E_clIPxSE_SF_SF_EESJ_SZ_SK_SL_SM_EUlSZ_E1_NS1_11comp_targetILNS1_3genE9ELNS1_11target_archE1100ELNS1_3gpuE3ELNS1_3repE0EEENS1_36merge_oddeven_config_static_selectorELNS0_4arch9wavefront6targetE1EEEvSL_.kd
    .uniform_work_group_size: 1
    .uses_dynamic_stack: false
    .vgpr_count:     0
    .vgpr_spill_count: 0
    .wavefront_size: 64
  - .agpr_count:     0
    .args:
      - .offset:         0
        .size:           48
        .value_kind:     by_value
    .group_segment_fixed_size: 0
    .kernarg_segment_align: 8
    .kernarg_segment_size: 48
    .language:       OpenCL C
    .language_version:
      - 2
      - 0
    .max_flat_workgroup_size: 256
    .name:           _ZN7rocprim17ROCPRIM_400000_NS6detail17trampoline_kernelINS0_14default_configENS1_38merge_sort_block_merge_config_selectorIxNS0_10empty_typeEEEZZNS1_27merge_sort_block_merge_implIS3_N6thrust23THRUST_200600_302600_NS6detail15normal_iteratorINS9_10device_ptrIxEEEEPS5_jNS1_19radix_merge_compareILb0ELb0ExNS0_19identity_decomposerEEEEE10hipError_tT0_T1_T2_jT3_P12ihipStream_tbPNSt15iterator_traitsISK_E10value_typeEPNSQ_ISL_E10value_typeEPSM_NS1_7vsmem_tEENKUlT_SK_SL_SM_E_clIPxSE_SF_SF_EESJ_SZ_SK_SL_SM_EUlSZ_E1_NS1_11comp_targetILNS1_3genE8ELNS1_11target_archE1030ELNS1_3gpuE2ELNS1_3repE0EEENS1_36merge_oddeven_config_static_selectorELNS0_4arch9wavefront6targetE1EEEvSL_
    .private_segment_fixed_size: 0
    .sgpr_count:     4
    .sgpr_spill_count: 0
    .symbol:         _ZN7rocprim17ROCPRIM_400000_NS6detail17trampoline_kernelINS0_14default_configENS1_38merge_sort_block_merge_config_selectorIxNS0_10empty_typeEEEZZNS1_27merge_sort_block_merge_implIS3_N6thrust23THRUST_200600_302600_NS6detail15normal_iteratorINS9_10device_ptrIxEEEEPS5_jNS1_19radix_merge_compareILb0ELb0ExNS0_19identity_decomposerEEEEE10hipError_tT0_T1_T2_jT3_P12ihipStream_tbPNSt15iterator_traitsISK_E10value_typeEPNSQ_ISL_E10value_typeEPSM_NS1_7vsmem_tEENKUlT_SK_SL_SM_E_clIPxSE_SF_SF_EESJ_SZ_SK_SL_SM_EUlSZ_E1_NS1_11comp_targetILNS1_3genE8ELNS1_11target_archE1030ELNS1_3gpuE2ELNS1_3repE0EEENS1_36merge_oddeven_config_static_selectorELNS0_4arch9wavefront6targetE1EEEvSL_.kd
    .uniform_work_group_size: 1
    .uses_dynamic_stack: false
    .vgpr_count:     0
    .vgpr_spill_count: 0
    .wavefront_size: 64
  - .agpr_count:     0
    .args:
      - .offset:         0
        .size:           40
        .value_kind:     by_value
    .group_segment_fixed_size: 0
    .kernarg_segment_align: 8
    .kernarg_segment_size: 40
    .language:       OpenCL C
    .language_version:
      - 2
      - 0
    .max_flat_workgroup_size: 128
    .name:           _ZN7rocprim17ROCPRIM_400000_NS6detail17trampoline_kernelINS0_14default_configENS1_38merge_sort_block_merge_config_selectorIxNS0_10empty_typeEEEZZNS1_27merge_sort_block_merge_implIS3_N6thrust23THRUST_200600_302600_NS6detail15normal_iteratorINS9_10device_ptrIxEEEEPS5_jNS1_19radix_merge_compareILb0ELb0ExNS0_19identity_decomposerEEEEE10hipError_tT0_T1_T2_jT3_P12ihipStream_tbPNSt15iterator_traitsISK_E10value_typeEPNSQ_ISL_E10value_typeEPSM_NS1_7vsmem_tEENKUlT_SK_SL_SM_E_clISE_PxSF_SF_EESJ_SZ_SK_SL_SM_EUlSZ_E_NS1_11comp_targetILNS1_3genE0ELNS1_11target_archE4294967295ELNS1_3gpuE0ELNS1_3repE0EEENS1_48merge_mergepath_partition_config_static_selectorELNS0_4arch9wavefront6targetE1EEEvSL_
    .private_segment_fixed_size: 0
    .sgpr_count:     4
    .sgpr_spill_count: 0
    .symbol:         _ZN7rocprim17ROCPRIM_400000_NS6detail17trampoline_kernelINS0_14default_configENS1_38merge_sort_block_merge_config_selectorIxNS0_10empty_typeEEEZZNS1_27merge_sort_block_merge_implIS3_N6thrust23THRUST_200600_302600_NS6detail15normal_iteratorINS9_10device_ptrIxEEEEPS5_jNS1_19radix_merge_compareILb0ELb0ExNS0_19identity_decomposerEEEEE10hipError_tT0_T1_T2_jT3_P12ihipStream_tbPNSt15iterator_traitsISK_E10value_typeEPNSQ_ISL_E10value_typeEPSM_NS1_7vsmem_tEENKUlT_SK_SL_SM_E_clISE_PxSF_SF_EESJ_SZ_SK_SL_SM_EUlSZ_E_NS1_11comp_targetILNS1_3genE0ELNS1_11target_archE4294967295ELNS1_3gpuE0ELNS1_3repE0EEENS1_48merge_mergepath_partition_config_static_selectorELNS0_4arch9wavefront6targetE1EEEvSL_.kd
    .uniform_work_group_size: 1
    .uses_dynamic_stack: false
    .vgpr_count:     0
    .vgpr_spill_count: 0
    .wavefront_size: 64
  - .agpr_count:     0
    .args:
      - .offset:         0
        .size:           40
        .value_kind:     by_value
    .group_segment_fixed_size: 0
    .kernarg_segment_align: 8
    .kernarg_segment_size: 40
    .language:       OpenCL C
    .language_version:
      - 2
      - 0
    .max_flat_workgroup_size: 128
    .name:           _ZN7rocprim17ROCPRIM_400000_NS6detail17trampoline_kernelINS0_14default_configENS1_38merge_sort_block_merge_config_selectorIxNS0_10empty_typeEEEZZNS1_27merge_sort_block_merge_implIS3_N6thrust23THRUST_200600_302600_NS6detail15normal_iteratorINS9_10device_ptrIxEEEEPS5_jNS1_19radix_merge_compareILb0ELb0ExNS0_19identity_decomposerEEEEE10hipError_tT0_T1_T2_jT3_P12ihipStream_tbPNSt15iterator_traitsISK_E10value_typeEPNSQ_ISL_E10value_typeEPSM_NS1_7vsmem_tEENKUlT_SK_SL_SM_E_clISE_PxSF_SF_EESJ_SZ_SK_SL_SM_EUlSZ_E_NS1_11comp_targetILNS1_3genE10ELNS1_11target_archE1201ELNS1_3gpuE5ELNS1_3repE0EEENS1_48merge_mergepath_partition_config_static_selectorELNS0_4arch9wavefront6targetE1EEEvSL_
    .private_segment_fixed_size: 0
    .sgpr_count:     4
    .sgpr_spill_count: 0
    .symbol:         _ZN7rocprim17ROCPRIM_400000_NS6detail17trampoline_kernelINS0_14default_configENS1_38merge_sort_block_merge_config_selectorIxNS0_10empty_typeEEEZZNS1_27merge_sort_block_merge_implIS3_N6thrust23THRUST_200600_302600_NS6detail15normal_iteratorINS9_10device_ptrIxEEEEPS5_jNS1_19radix_merge_compareILb0ELb0ExNS0_19identity_decomposerEEEEE10hipError_tT0_T1_T2_jT3_P12ihipStream_tbPNSt15iterator_traitsISK_E10value_typeEPNSQ_ISL_E10value_typeEPSM_NS1_7vsmem_tEENKUlT_SK_SL_SM_E_clISE_PxSF_SF_EESJ_SZ_SK_SL_SM_EUlSZ_E_NS1_11comp_targetILNS1_3genE10ELNS1_11target_archE1201ELNS1_3gpuE5ELNS1_3repE0EEENS1_48merge_mergepath_partition_config_static_selectorELNS0_4arch9wavefront6targetE1EEEvSL_.kd
    .uniform_work_group_size: 1
    .uses_dynamic_stack: false
    .vgpr_count:     0
    .vgpr_spill_count: 0
    .wavefront_size: 64
  - .agpr_count:     0
    .args:
      - .offset:         0
        .size:           40
        .value_kind:     by_value
    .group_segment_fixed_size: 0
    .kernarg_segment_align: 8
    .kernarg_segment_size: 40
    .language:       OpenCL C
    .language_version:
      - 2
      - 0
    .max_flat_workgroup_size: 128
    .name:           _ZN7rocprim17ROCPRIM_400000_NS6detail17trampoline_kernelINS0_14default_configENS1_38merge_sort_block_merge_config_selectorIxNS0_10empty_typeEEEZZNS1_27merge_sort_block_merge_implIS3_N6thrust23THRUST_200600_302600_NS6detail15normal_iteratorINS9_10device_ptrIxEEEEPS5_jNS1_19radix_merge_compareILb0ELb0ExNS0_19identity_decomposerEEEEE10hipError_tT0_T1_T2_jT3_P12ihipStream_tbPNSt15iterator_traitsISK_E10value_typeEPNSQ_ISL_E10value_typeEPSM_NS1_7vsmem_tEENKUlT_SK_SL_SM_E_clISE_PxSF_SF_EESJ_SZ_SK_SL_SM_EUlSZ_E_NS1_11comp_targetILNS1_3genE5ELNS1_11target_archE942ELNS1_3gpuE9ELNS1_3repE0EEENS1_48merge_mergepath_partition_config_static_selectorELNS0_4arch9wavefront6targetE1EEEvSL_
    .private_segment_fixed_size: 0
    .sgpr_count:     4
    .sgpr_spill_count: 0
    .symbol:         _ZN7rocprim17ROCPRIM_400000_NS6detail17trampoline_kernelINS0_14default_configENS1_38merge_sort_block_merge_config_selectorIxNS0_10empty_typeEEEZZNS1_27merge_sort_block_merge_implIS3_N6thrust23THRUST_200600_302600_NS6detail15normal_iteratorINS9_10device_ptrIxEEEEPS5_jNS1_19radix_merge_compareILb0ELb0ExNS0_19identity_decomposerEEEEE10hipError_tT0_T1_T2_jT3_P12ihipStream_tbPNSt15iterator_traitsISK_E10value_typeEPNSQ_ISL_E10value_typeEPSM_NS1_7vsmem_tEENKUlT_SK_SL_SM_E_clISE_PxSF_SF_EESJ_SZ_SK_SL_SM_EUlSZ_E_NS1_11comp_targetILNS1_3genE5ELNS1_11target_archE942ELNS1_3gpuE9ELNS1_3repE0EEENS1_48merge_mergepath_partition_config_static_selectorELNS0_4arch9wavefront6targetE1EEEvSL_.kd
    .uniform_work_group_size: 1
    .uses_dynamic_stack: false
    .vgpr_count:     0
    .vgpr_spill_count: 0
    .wavefront_size: 64
  - .agpr_count:     0
    .args:
      - .offset:         0
        .size:           40
        .value_kind:     by_value
    .group_segment_fixed_size: 0
    .kernarg_segment_align: 8
    .kernarg_segment_size: 40
    .language:       OpenCL C
    .language_version:
      - 2
      - 0
    .max_flat_workgroup_size: 128
    .name:           _ZN7rocprim17ROCPRIM_400000_NS6detail17trampoline_kernelINS0_14default_configENS1_38merge_sort_block_merge_config_selectorIxNS0_10empty_typeEEEZZNS1_27merge_sort_block_merge_implIS3_N6thrust23THRUST_200600_302600_NS6detail15normal_iteratorINS9_10device_ptrIxEEEEPS5_jNS1_19radix_merge_compareILb0ELb0ExNS0_19identity_decomposerEEEEE10hipError_tT0_T1_T2_jT3_P12ihipStream_tbPNSt15iterator_traitsISK_E10value_typeEPNSQ_ISL_E10value_typeEPSM_NS1_7vsmem_tEENKUlT_SK_SL_SM_E_clISE_PxSF_SF_EESJ_SZ_SK_SL_SM_EUlSZ_E_NS1_11comp_targetILNS1_3genE4ELNS1_11target_archE910ELNS1_3gpuE8ELNS1_3repE0EEENS1_48merge_mergepath_partition_config_static_selectorELNS0_4arch9wavefront6targetE1EEEvSL_
    .private_segment_fixed_size: 0
    .sgpr_count:     12
    .sgpr_spill_count: 0
    .symbol:         _ZN7rocprim17ROCPRIM_400000_NS6detail17trampoline_kernelINS0_14default_configENS1_38merge_sort_block_merge_config_selectorIxNS0_10empty_typeEEEZZNS1_27merge_sort_block_merge_implIS3_N6thrust23THRUST_200600_302600_NS6detail15normal_iteratorINS9_10device_ptrIxEEEEPS5_jNS1_19radix_merge_compareILb0ELb0ExNS0_19identity_decomposerEEEEE10hipError_tT0_T1_T2_jT3_P12ihipStream_tbPNSt15iterator_traitsISK_E10value_typeEPNSQ_ISL_E10value_typeEPSM_NS1_7vsmem_tEENKUlT_SK_SL_SM_E_clISE_PxSF_SF_EESJ_SZ_SK_SL_SM_EUlSZ_E_NS1_11comp_targetILNS1_3genE4ELNS1_11target_archE910ELNS1_3gpuE8ELNS1_3repE0EEENS1_48merge_mergepath_partition_config_static_selectorELNS0_4arch9wavefront6targetE1EEEvSL_.kd
    .uniform_work_group_size: 1
    .uses_dynamic_stack: false
    .vgpr_count:     20
    .vgpr_spill_count: 0
    .wavefront_size: 64
  - .agpr_count:     0
    .args:
      - .offset:         0
        .size:           40
        .value_kind:     by_value
    .group_segment_fixed_size: 0
    .kernarg_segment_align: 8
    .kernarg_segment_size: 40
    .language:       OpenCL C
    .language_version:
      - 2
      - 0
    .max_flat_workgroup_size: 128
    .name:           _ZN7rocprim17ROCPRIM_400000_NS6detail17trampoline_kernelINS0_14default_configENS1_38merge_sort_block_merge_config_selectorIxNS0_10empty_typeEEEZZNS1_27merge_sort_block_merge_implIS3_N6thrust23THRUST_200600_302600_NS6detail15normal_iteratorINS9_10device_ptrIxEEEEPS5_jNS1_19radix_merge_compareILb0ELb0ExNS0_19identity_decomposerEEEEE10hipError_tT0_T1_T2_jT3_P12ihipStream_tbPNSt15iterator_traitsISK_E10value_typeEPNSQ_ISL_E10value_typeEPSM_NS1_7vsmem_tEENKUlT_SK_SL_SM_E_clISE_PxSF_SF_EESJ_SZ_SK_SL_SM_EUlSZ_E_NS1_11comp_targetILNS1_3genE3ELNS1_11target_archE908ELNS1_3gpuE7ELNS1_3repE0EEENS1_48merge_mergepath_partition_config_static_selectorELNS0_4arch9wavefront6targetE1EEEvSL_
    .private_segment_fixed_size: 0
    .sgpr_count:     4
    .sgpr_spill_count: 0
    .symbol:         _ZN7rocprim17ROCPRIM_400000_NS6detail17trampoline_kernelINS0_14default_configENS1_38merge_sort_block_merge_config_selectorIxNS0_10empty_typeEEEZZNS1_27merge_sort_block_merge_implIS3_N6thrust23THRUST_200600_302600_NS6detail15normal_iteratorINS9_10device_ptrIxEEEEPS5_jNS1_19radix_merge_compareILb0ELb0ExNS0_19identity_decomposerEEEEE10hipError_tT0_T1_T2_jT3_P12ihipStream_tbPNSt15iterator_traitsISK_E10value_typeEPNSQ_ISL_E10value_typeEPSM_NS1_7vsmem_tEENKUlT_SK_SL_SM_E_clISE_PxSF_SF_EESJ_SZ_SK_SL_SM_EUlSZ_E_NS1_11comp_targetILNS1_3genE3ELNS1_11target_archE908ELNS1_3gpuE7ELNS1_3repE0EEENS1_48merge_mergepath_partition_config_static_selectorELNS0_4arch9wavefront6targetE1EEEvSL_.kd
    .uniform_work_group_size: 1
    .uses_dynamic_stack: false
    .vgpr_count:     0
    .vgpr_spill_count: 0
    .wavefront_size: 64
  - .agpr_count:     0
    .args:
      - .offset:         0
        .size:           40
        .value_kind:     by_value
    .group_segment_fixed_size: 0
    .kernarg_segment_align: 8
    .kernarg_segment_size: 40
    .language:       OpenCL C
    .language_version:
      - 2
      - 0
    .max_flat_workgroup_size: 128
    .name:           _ZN7rocprim17ROCPRIM_400000_NS6detail17trampoline_kernelINS0_14default_configENS1_38merge_sort_block_merge_config_selectorIxNS0_10empty_typeEEEZZNS1_27merge_sort_block_merge_implIS3_N6thrust23THRUST_200600_302600_NS6detail15normal_iteratorINS9_10device_ptrIxEEEEPS5_jNS1_19radix_merge_compareILb0ELb0ExNS0_19identity_decomposerEEEEE10hipError_tT0_T1_T2_jT3_P12ihipStream_tbPNSt15iterator_traitsISK_E10value_typeEPNSQ_ISL_E10value_typeEPSM_NS1_7vsmem_tEENKUlT_SK_SL_SM_E_clISE_PxSF_SF_EESJ_SZ_SK_SL_SM_EUlSZ_E_NS1_11comp_targetILNS1_3genE2ELNS1_11target_archE906ELNS1_3gpuE6ELNS1_3repE0EEENS1_48merge_mergepath_partition_config_static_selectorELNS0_4arch9wavefront6targetE1EEEvSL_
    .private_segment_fixed_size: 0
    .sgpr_count:     4
    .sgpr_spill_count: 0
    .symbol:         _ZN7rocprim17ROCPRIM_400000_NS6detail17trampoline_kernelINS0_14default_configENS1_38merge_sort_block_merge_config_selectorIxNS0_10empty_typeEEEZZNS1_27merge_sort_block_merge_implIS3_N6thrust23THRUST_200600_302600_NS6detail15normal_iteratorINS9_10device_ptrIxEEEEPS5_jNS1_19radix_merge_compareILb0ELb0ExNS0_19identity_decomposerEEEEE10hipError_tT0_T1_T2_jT3_P12ihipStream_tbPNSt15iterator_traitsISK_E10value_typeEPNSQ_ISL_E10value_typeEPSM_NS1_7vsmem_tEENKUlT_SK_SL_SM_E_clISE_PxSF_SF_EESJ_SZ_SK_SL_SM_EUlSZ_E_NS1_11comp_targetILNS1_3genE2ELNS1_11target_archE906ELNS1_3gpuE6ELNS1_3repE0EEENS1_48merge_mergepath_partition_config_static_selectorELNS0_4arch9wavefront6targetE1EEEvSL_.kd
    .uniform_work_group_size: 1
    .uses_dynamic_stack: false
    .vgpr_count:     0
    .vgpr_spill_count: 0
    .wavefront_size: 64
  - .agpr_count:     0
    .args:
      - .offset:         0
        .size:           40
        .value_kind:     by_value
    .group_segment_fixed_size: 0
    .kernarg_segment_align: 8
    .kernarg_segment_size: 40
    .language:       OpenCL C
    .language_version:
      - 2
      - 0
    .max_flat_workgroup_size: 128
    .name:           _ZN7rocprim17ROCPRIM_400000_NS6detail17trampoline_kernelINS0_14default_configENS1_38merge_sort_block_merge_config_selectorIxNS0_10empty_typeEEEZZNS1_27merge_sort_block_merge_implIS3_N6thrust23THRUST_200600_302600_NS6detail15normal_iteratorINS9_10device_ptrIxEEEEPS5_jNS1_19radix_merge_compareILb0ELb0ExNS0_19identity_decomposerEEEEE10hipError_tT0_T1_T2_jT3_P12ihipStream_tbPNSt15iterator_traitsISK_E10value_typeEPNSQ_ISL_E10value_typeEPSM_NS1_7vsmem_tEENKUlT_SK_SL_SM_E_clISE_PxSF_SF_EESJ_SZ_SK_SL_SM_EUlSZ_E_NS1_11comp_targetILNS1_3genE9ELNS1_11target_archE1100ELNS1_3gpuE3ELNS1_3repE0EEENS1_48merge_mergepath_partition_config_static_selectorELNS0_4arch9wavefront6targetE1EEEvSL_
    .private_segment_fixed_size: 0
    .sgpr_count:     4
    .sgpr_spill_count: 0
    .symbol:         _ZN7rocprim17ROCPRIM_400000_NS6detail17trampoline_kernelINS0_14default_configENS1_38merge_sort_block_merge_config_selectorIxNS0_10empty_typeEEEZZNS1_27merge_sort_block_merge_implIS3_N6thrust23THRUST_200600_302600_NS6detail15normal_iteratorINS9_10device_ptrIxEEEEPS5_jNS1_19radix_merge_compareILb0ELb0ExNS0_19identity_decomposerEEEEE10hipError_tT0_T1_T2_jT3_P12ihipStream_tbPNSt15iterator_traitsISK_E10value_typeEPNSQ_ISL_E10value_typeEPSM_NS1_7vsmem_tEENKUlT_SK_SL_SM_E_clISE_PxSF_SF_EESJ_SZ_SK_SL_SM_EUlSZ_E_NS1_11comp_targetILNS1_3genE9ELNS1_11target_archE1100ELNS1_3gpuE3ELNS1_3repE0EEENS1_48merge_mergepath_partition_config_static_selectorELNS0_4arch9wavefront6targetE1EEEvSL_.kd
    .uniform_work_group_size: 1
    .uses_dynamic_stack: false
    .vgpr_count:     0
    .vgpr_spill_count: 0
    .wavefront_size: 64
  - .agpr_count:     0
    .args:
      - .offset:         0
        .size:           40
        .value_kind:     by_value
    .group_segment_fixed_size: 0
    .kernarg_segment_align: 8
    .kernarg_segment_size: 40
    .language:       OpenCL C
    .language_version:
      - 2
      - 0
    .max_flat_workgroup_size: 128
    .name:           _ZN7rocprim17ROCPRIM_400000_NS6detail17trampoline_kernelINS0_14default_configENS1_38merge_sort_block_merge_config_selectorIxNS0_10empty_typeEEEZZNS1_27merge_sort_block_merge_implIS3_N6thrust23THRUST_200600_302600_NS6detail15normal_iteratorINS9_10device_ptrIxEEEEPS5_jNS1_19radix_merge_compareILb0ELb0ExNS0_19identity_decomposerEEEEE10hipError_tT0_T1_T2_jT3_P12ihipStream_tbPNSt15iterator_traitsISK_E10value_typeEPNSQ_ISL_E10value_typeEPSM_NS1_7vsmem_tEENKUlT_SK_SL_SM_E_clISE_PxSF_SF_EESJ_SZ_SK_SL_SM_EUlSZ_E_NS1_11comp_targetILNS1_3genE8ELNS1_11target_archE1030ELNS1_3gpuE2ELNS1_3repE0EEENS1_48merge_mergepath_partition_config_static_selectorELNS0_4arch9wavefront6targetE1EEEvSL_
    .private_segment_fixed_size: 0
    .sgpr_count:     4
    .sgpr_spill_count: 0
    .symbol:         _ZN7rocprim17ROCPRIM_400000_NS6detail17trampoline_kernelINS0_14default_configENS1_38merge_sort_block_merge_config_selectorIxNS0_10empty_typeEEEZZNS1_27merge_sort_block_merge_implIS3_N6thrust23THRUST_200600_302600_NS6detail15normal_iteratorINS9_10device_ptrIxEEEEPS5_jNS1_19radix_merge_compareILb0ELb0ExNS0_19identity_decomposerEEEEE10hipError_tT0_T1_T2_jT3_P12ihipStream_tbPNSt15iterator_traitsISK_E10value_typeEPNSQ_ISL_E10value_typeEPSM_NS1_7vsmem_tEENKUlT_SK_SL_SM_E_clISE_PxSF_SF_EESJ_SZ_SK_SL_SM_EUlSZ_E_NS1_11comp_targetILNS1_3genE8ELNS1_11target_archE1030ELNS1_3gpuE2ELNS1_3repE0EEENS1_48merge_mergepath_partition_config_static_selectorELNS0_4arch9wavefront6targetE1EEEvSL_.kd
    .uniform_work_group_size: 1
    .uses_dynamic_stack: false
    .vgpr_count:     0
    .vgpr_spill_count: 0
    .wavefront_size: 64
  - .agpr_count:     0
    .args:
      - .offset:         0
        .size:           64
        .value_kind:     by_value
    .group_segment_fixed_size: 0
    .kernarg_segment_align: 8
    .kernarg_segment_size: 64
    .language:       OpenCL C
    .language_version:
      - 2
      - 0
    .max_flat_workgroup_size: 128
    .name:           _ZN7rocprim17ROCPRIM_400000_NS6detail17trampoline_kernelINS0_14default_configENS1_38merge_sort_block_merge_config_selectorIxNS0_10empty_typeEEEZZNS1_27merge_sort_block_merge_implIS3_N6thrust23THRUST_200600_302600_NS6detail15normal_iteratorINS9_10device_ptrIxEEEEPS5_jNS1_19radix_merge_compareILb0ELb0ExNS0_19identity_decomposerEEEEE10hipError_tT0_T1_T2_jT3_P12ihipStream_tbPNSt15iterator_traitsISK_E10value_typeEPNSQ_ISL_E10value_typeEPSM_NS1_7vsmem_tEENKUlT_SK_SL_SM_E_clISE_PxSF_SF_EESJ_SZ_SK_SL_SM_EUlSZ_E0_NS1_11comp_targetILNS1_3genE0ELNS1_11target_archE4294967295ELNS1_3gpuE0ELNS1_3repE0EEENS1_38merge_mergepath_config_static_selectorELNS0_4arch9wavefront6targetE1EEEvSL_
    .private_segment_fixed_size: 0
    .sgpr_count:     4
    .sgpr_spill_count: 0
    .symbol:         _ZN7rocprim17ROCPRIM_400000_NS6detail17trampoline_kernelINS0_14default_configENS1_38merge_sort_block_merge_config_selectorIxNS0_10empty_typeEEEZZNS1_27merge_sort_block_merge_implIS3_N6thrust23THRUST_200600_302600_NS6detail15normal_iteratorINS9_10device_ptrIxEEEEPS5_jNS1_19radix_merge_compareILb0ELb0ExNS0_19identity_decomposerEEEEE10hipError_tT0_T1_T2_jT3_P12ihipStream_tbPNSt15iterator_traitsISK_E10value_typeEPNSQ_ISL_E10value_typeEPSM_NS1_7vsmem_tEENKUlT_SK_SL_SM_E_clISE_PxSF_SF_EESJ_SZ_SK_SL_SM_EUlSZ_E0_NS1_11comp_targetILNS1_3genE0ELNS1_11target_archE4294967295ELNS1_3gpuE0ELNS1_3repE0EEENS1_38merge_mergepath_config_static_selectorELNS0_4arch9wavefront6targetE1EEEvSL_.kd
    .uniform_work_group_size: 1
    .uses_dynamic_stack: false
    .vgpr_count:     0
    .vgpr_spill_count: 0
    .wavefront_size: 64
  - .agpr_count:     0
    .args:
      - .offset:         0
        .size:           64
        .value_kind:     by_value
    .group_segment_fixed_size: 0
    .kernarg_segment_align: 8
    .kernarg_segment_size: 64
    .language:       OpenCL C
    .language_version:
      - 2
      - 0
    .max_flat_workgroup_size: 512
    .name:           _ZN7rocprim17ROCPRIM_400000_NS6detail17trampoline_kernelINS0_14default_configENS1_38merge_sort_block_merge_config_selectorIxNS0_10empty_typeEEEZZNS1_27merge_sort_block_merge_implIS3_N6thrust23THRUST_200600_302600_NS6detail15normal_iteratorINS9_10device_ptrIxEEEEPS5_jNS1_19radix_merge_compareILb0ELb0ExNS0_19identity_decomposerEEEEE10hipError_tT0_T1_T2_jT3_P12ihipStream_tbPNSt15iterator_traitsISK_E10value_typeEPNSQ_ISL_E10value_typeEPSM_NS1_7vsmem_tEENKUlT_SK_SL_SM_E_clISE_PxSF_SF_EESJ_SZ_SK_SL_SM_EUlSZ_E0_NS1_11comp_targetILNS1_3genE10ELNS1_11target_archE1201ELNS1_3gpuE5ELNS1_3repE0EEENS1_38merge_mergepath_config_static_selectorELNS0_4arch9wavefront6targetE1EEEvSL_
    .private_segment_fixed_size: 0
    .sgpr_count:     4
    .sgpr_spill_count: 0
    .symbol:         _ZN7rocprim17ROCPRIM_400000_NS6detail17trampoline_kernelINS0_14default_configENS1_38merge_sort_block_merge_config_selectorIxNS0_10empty_typeEEEZZNS1_27merge_sort_block_merge_implIS3_N6thrust23THRUST_200600_302600_NS6detail15normal_iteratorINS9_10device_ptrIxEEEEPS5_jNS1_19radix_merge_compareILb0ELb0ExNS0_19identity_decomposerEEEEE10hipError_tT0_T1_T2_jT3_P12ihipStream_tbPNSt15iterator_traitsISK_E10value_typeEPNSQ_ISL_E10value_typeEPSM_NS1_7vsmem_tEENKUlT_SK_SL_SM_E_clISE_PxSF_SF_EESJ_SZ_SK_SL_SM_EUlSZ_E0_NS1_11comp_targetILNS1_3genE10ELNS1_11target_archE1201ELNS1_3gpuE5ELNS1_3repE0EEENS1_38merge_mergepath_config_static_selectorELNS0_4arch9wavefront6targetE1EEEvSL_.kd
    .uniform_work_group_size: 1
    .uses_dynamic_stack: false
    .vgpr_count:     0
    .vgpr_spill_count: 0
    .wavefront_size: 64
  - .agpr_count:     0
    .args:
      - .offset:         0
        .size:           64
        .value_kind:     by_value
    .group_segment_fixed_size: 0
    .kernarg_segment_align: 8
    .kernarg_segment_size: 64
    .language:       OpenCL C
    .language_version:
      - 2
      - 0
    .max_flat_workgroup_size: 128
    .name:           _ZN7rocprim17ROCPRIM_400000_NS6detail17trampoline_kernelINS0_14default_configENS1_38merge_sort_block_merge_config_selectorIxNS0_10empty_typeEEEZZNS1_27merge_sort_block_merge_implIS3_N6thrust23THRUST_200600_302600_NS6detail15normal_iteratorINS9_10device_ptrIxEEEEPS5_jNS1_19radix_merge_compareILb0ELb0ExNS0_19identity_decomposerEEEEE10hipError_tT0_T1_T2_jT3_P12ihipStream_tbPNSt15iterator_traitsISK_E10value_typeEPNSQ_ISL_E10value_typeEPSM_NS1_7vsmem_tEENKUlT_SK_SL_SM_E_clISE_PxSF_SF_EESJ_SZ_SK_SL_SM_EUlSZ_E0_NS1_11comp_targetILNS1_3genE5ELNS1_11target_archE942ELNS1_3gpuE9ELNS1_3repE0EEENS1_38merge_mergepath_config_static_selectorELNS0_4arch9wavefront6targetE1EEEvSL_
    .private_segment_fixed_size: 0
    .sgpr_count:     4
    .sgpr_spill_count: 0
    .symbol:         _ZN7rocprim17ROCPRIM_400000_NS6detail17trampoline_kernelINS0_14default_configENS1_38merge_sort_block_merge_config_selectorIxNS0_10empty_typeEEEZZNS1_27merge_sort_block_merge_implIS3_N6thrust23THRUST_200600_302600_NS6detail15normal_iteratorINS9_10device_ptrIxEEEEPS5_jNS1_19radix_merge_compareILb0ELb0ExNS0_19identity_decomposerEEEEE10hipError_tT0_T1_T2_jT3_P12ihipStream_tbPNSt15iterator_traitsISK_E10value_typeEPNSQ_ISL_E10value_typeEPSM_NS1_7vsmem_tEENKUlT_SK_SL_SM_E_clISE_PxSF_SF_EESJ_SZ_SK_SL_SM_EUlSZ_E0_NS1_11comp_targetILNS1_3genE5ELNS1_11target_archE942ELNS1_3gpuE9ELNS1_3repE0EEENS1_38merge_mergepath_config_static_selectorELNS0_4arch9wavefront6targetE1EEEvSL_.kd
    .uniform_work_group_size: 1
    .uses_dynamic_stack: false
    .vgpr_count:     0
    .vgpr_spill_count: 0
    .wavefront_size: 64
  - .agpr_count:     0
    .args:
      - .offset:         0
        .size:           64
        .value_kind:     by_value
      - .offset:         64
        .size:           4
        .value_kind:     hidden_block_count_x
      - .offset:         68
        .size:           4
        .value_kind:     hidden_block_count_y
      - .offset:         72
        .size:           4
        .value_kind:     hidden_block_count_z
      - .offset:         76
        .size:           2
        .value_kind:     hidden_group_size_x
      - .offset:         78
        .size:           2
        .value_kind:     hidden_group_size_y
      - .offset:         80
        .size:           2
        .value_kind:     hidden_group_size_z
      - .offset:         82
        .size:           2
        .value_kind:     hidden_remainder_x
      - .offset:         84
        .size:           2
        .value_kind:     hidden_remainder_y
      - .offset:         86
        .size:           2
        .value_kind:     hidden_remainder_z
      - .offset:         104
        .size:           8
        .value_kind:     hidden_global_offset_x
      - .offset:         112
        .size:           8
        .value_kind:     hidden_global_offset_y
      - .offset:         120
        .size:           8
        .value_kind:     hidden_global_offset_z
      - .offset:         128
        .size:           2
        .value_kind:     hidden_grid_dims
    .group_segment_fixed_size: 8448
    .kernarg_segment_align: 8
    .kernarg_segment_size: 320
    .language:       OpenCL C
    .language_version:
      - 2
      - 0
    .max_flat_workgroup_size: 256
    .name:           _ZN7rocprim17ROCPRIM_400000_NS6detail17trampoline_kernelINS0_14default_configENS1_38merge_sort_block_merge_config_selectorIxNS0_10empty_typeEEEZZNS1_27merge_sort_block_merge_implIS3_N6thrust23THRUST_200600_302600_NS6detail15normal_iteratorINS9_10device_ptrIxEEEEPS5_jNS1_19radix_merge_compareILb0ELb0ExNS0_19identity_decomposerEEEEE10hipError_tT0_T1_T2_jT3_P12ihipStream_tbPNSt15iterator_traitsISK_E10value_typeEPNSQ_ISL_E10value_typeEPSM_NS1_7vsmem_tEENKUlT_SK_SL_SM_E_clISE_PxSF_SF_EESJ_SZ_SK_SL_SM_EUlSZ_E0_NS1_11comp_targetILNS1_3genE4ELNS1_11target_archE910ELNS1_3gpuE8ELNS1_3repE0EEENS1_38merge_mergepath_config_static_selectorELNS0_4arch9wavefront6targetE1EEEvSL_
    .private_segment_fixed_size: 0
    .sgpr_count:     27
    .sgpr_spill_count: 0
    .symbol:         _ZN7rocprim17ROCPRIM_400000_NS6detail17trampoline_kernelINS0_14default_configENS1_38merge_sort_block_merge_config_selectorIxNS0_10empty_typeEEEZZNS1_27merge_sort_block_merge_implIS3_N6thrust23THRUST_200600_302600_NS6detail15normal_iteratorINS9_10device_ptrIxEEEEPS5_jNS1_19radix_merge_compareILb0ELb0ExNS0_19identity_decomposerEEEEE10hipError_tT0_T1_T2_jT3_P12ihipStream_tbPNSt15iterator_traitsISK_E10value_typeEPNSQ_ISL_E10value_typeEPSM_NS1_7vsmem_tEENKUlT_SK_SL_SM_E_clISE_PxSF_SF_EESJ_SZ_SK_SL_SM_EUlSZ_E0_NS1_11comp_targetILNS1_3genE4ELNS1_11target_archE910ELNS1_3gpuE8ELNS1_3repE0EEENS1_38merge_mergepath_config_static_selectorELNS0_4arch9wavefront6targetE1EEEvSL_.kd
    .uniform_work_group_size: 1
    .uses_dynamic_stack: false
    .vgpr_count:     22
    .vgpr_spill_count: 0
    .wavefront_size: 64
  - .agpr_count:     0
    .args:
      - .offset:         0
        .size:           64
        .value_kind:     by_value
    .group_segment_fixed_size: 0
    .kernarg_segment_align: 8
    .kernarg_segment_size: 64
    .language:       OpenCL C
    .language_version:
      - 2
      - 0
    .max_flat_workgroup_size: 128
    .name:           _ZN7rocprim17ROCPRIM_400000_NS6detail17trampoline_kernelINS0_14default_configENS1_38merge_sort_block_merge_config_selectorIxNS0_10empty_typeEEEZZNS1_27merge_sort_block_merge_implIS3_N6thrust23THRUST_200600_302600_NS6detail15normal_iteratorINS9_10device_ptrIxEEEEPS5_jNS1_19radix_merge_compareILb0ELb0ExNS0_19identity_decomposerEEEEE10hipError_tT0_T1_T2_jT3_P12ihipStream_tbPNSt15iterator_traitsISK_E10value_typeEPNSQ_ISL_E10value_typeEPSM_NS1_7vsmem_tEENKUlT_SK_SL_SM_E_clISE_PxSF_SF_EESJ_SZ_SK_SL_SM_EUlSZ_E0_NS1_11comp_targetILNS1_3genE3ELNS1_11target_archE908ELNS1_3gpuE7ELNS1_3repE0EEENS1_38merge_mergepath_config_static_selectorELNS0_4arch9wavefront6targetE1EEEvSL_
    .private_segment_fixed_size: 0
    .sgpr_count:     4
    .sgpr_spill_count: 0
    .symbol:         _ZN7rocprim17ROCPRIM_400000_NS6detail17trampoline_kernelINS0_14default_configENS1_38merge_sort_block_merge_config_selectorIxNS0_10empty_typeEEEZZNS1_27merge_sort_block_merge_implIS3_N6thrust23THRUST_200600_302600_NS6detail15normal_iteratorINS9_10device_ptrIxEEEEPS5_jNS1_19radix_merge_compareILb0ELb0ExNS0_19identity_decomposerEEEEE10hipError_tT0_T1_T2_jT3_P12ihipStream_tbPNSt15iterator_traitsISK_E10value_typeEPNSQ_ISL_E10value_typeEPSM_NS1_7vsmem_tEENKUlT_SK_SL_SM_E_clISE_PxSF_SF_EESJ_SZ_SK_SL_SM_EUlSZ_E0_NS1_11comp_targetILNS1_3genE3ELNS1_11target_archE908ELNS1_3gpuE7ELNS1_3repE0EEENS1_38merge_mergepath_config_static_selectorELNS0_4arch9wavefront6targetE1EEEvSL_.kd
    .uniform_work_group_size: 1
    .uses_dynamic_stack: false
    .vgpr_count:     0
    .vgpr_spill_count: 0
    .wavefront_size: 64
  - .agpr_count:     0
    .args:
      - .offset:         0
        .size:           64
        .value_kind:     by_value
    .group_segment_fixed_size: 0
    .kernarg_segment_align: 8
    .kernarg_segment_size: 64
    .language:       OpenCL C
    .language_version:
      - 2
      - 0
    .max_flat_workgroup_size: 256
    .name:           _ZN7rocprim17ROCPRIM_400000_NS6detail17trampoline_kernelINS0_14default_configENS1_38merge_sort_block_merge_config_selectorIxNS0_10empty_typeEEEZZNS1_27merge_sort_block_merge_implIS3_N6thrust23THRUST_200600_302600_NS6detail15normal_iteratorINS9_10device_ptrIxEEEEPS5_jNS1_19radix_merge_compareILb0ELb0ExNS0_19identity_decomposerEEEEE10hipError_tT0_T1_T2_jT3_P12ihipStream_tbPNSt15iterator_traitsISK_E10value_typeEPNSQ_ISL_E10value_typeEPSM_NS1_7vsmem_tEENKUlT_SK_SL_SM_E_clISE_PxSF_SF_EESJ_SZ_SK_SL_SM_EUlSZ_E0_NS1_11comp_targetILNS1_3genE2ELNS1_11target_archE906ELNS1_3gpuE6ELNS1_3repE0EEENS1_38merge_mergepath_config_static_selectorELNS0_4arch9wavefront6targetE1EEEvSL_
    .private_segment_fixed_size: 0
    .sgpr_count:     4
    .sgpr_spill_count: 0
    .symbol:         _ZN7rocprim17ROCPRIM_400000_NS6detail17trampoline_kernelINS0_14default_configENS1_38merge_sort_block_merge_config_selectorIxNS0_10empty_typeEEEZZNS1_27merge_sort_block_merge_implIS3_N6thrust23THRUST_200600_302600_NS6detail15normal_iteratorINS9_10device_ptrIxEEEEPS5_jNS1_19radix_merge_compareILb0ELb0ExNS0_19identity_decomposerEEEEE10hipError_tT0_T1_T2_jT3_P12ihipStream_tbPNSt15iterator_traitsISK_E10value_typeEPNSQ_ISL_E10value_typeEPSM_NS1_7vsmem_tEENKUlT_SK_SL_SM_E_clISE_PxSF_SF_EESJ_SZ_SK_SL_SM_EUlSZ_E0_NS1_11comp_targetILNS1_3genE2ELNS1_11target_archE906ELNS1_3gpuE6ELNS1_3repE0EEENS1_38merge_mergepath_config_static_selectorELNS0_4arch9wavefront6targetE1EEEvSL_.kd
    .uniform_work_group_size: 1
    .uses_dynamic_stack: false
    .vgpr_count:     0
    .vgpr_spill_count: 0
    .wavefront_size: 64
  - .agpr_count:     0
    .args:
      - .offset:         0
        .size:           64
        .value_kind:     by_value
    .group_segment_fixed_size: 0
    .kernarg_segment_align: 8
    .kernarg_segment_size: 64
    .language:       OpenCL C
    .language_version:
      - 2
      - 0
    .max_flat_workgroup_size: 512
    .name:           _ZN7rocprim17ROCPRIM_400000_NS6detail17trampoline_kernelINS0_14default_configENS1_38merge_sort_block_merge_config_selectorIxNS0_10empty_typeEEEZZNS1_27merge_sort_block_merge_implIS3_N6thrust23THRUST_200600_302600_NS6detail15normal_iteratorINS9_10device_ptrIxEEEEPS5_jNS1_19radix_merge_compareILb0ELb0ExNS0_19identity_decomposerEEEEE10hipError_tT0_T1_T2_jT3_P12ihipStream_tbPNSt15iterator_traitsISK_E10value_typeEPNSQ_ISL_E10value_typeEPSM_NS1_7vsmem_tEENKUlT_SK_SL_SM_E_clISE_PxSF_SF_EESJ_SZ_SK_SL_SM_EUlSZ_E0_NS1_11comp_targetILNS1_3genE9ELNS1_11target_archE1100ELNS1_3gpuE3ELNS1_3repE0EEENS1_38merge_mergepath_config_static_selectorELNS0_4arch9wavefront6targetE1EEEvSL_
    .private_segment_fixed_size: 0
    .sgpr_count:     4
    .sgpr_spill_count: 0
    .symbol:         _ZN7rocprim17ROCPRIM_400000_NS6detail17trampoline_kernelINS0_14default_configENS1_38merge_sort_block_merge_config_selectorIxNS0_10empty_typeEEEZZNS1_27merge_sort_block_merge_implIS3_N6thrust23THRUST_200600_302600_NS6detail15normal_iteratorINS9_10device_ptrIxEEEEPS5_jNS1_19radix_merge_compareILb0ELb0ExNS0_19identity_decomposerEEEEE10hipError_tT0_T1_T2_jT3_P12ihipStream_tbPNSt15iterator_traitsISK_E10value_typeEPNSQ_ISL_E10value_typeEPSM_NS1_7vsmem_tEENKUlT_SK_SL_SM_E_clISE_PxSF_SF_EESJ_SZ_SK_SL_SM_EUlSZ_E0_NS1_11comp_targetILNS1_3genE9ELNS1_11target_archE1100ELNS1_3gpuE3ELNS1_3repE0EEENS1_38merge_mergepath_config_static_selectorELNS0_4arch9wavefront6targetE1EEEvSL_.kd
    .uniform_work_group_size: 1
    .uses_dynamic_stack: false
    .vgpr_count:     0
    .vgpr_spill_count: 0
    .wavefront_size: 64
  - .agpr_count:     0
    .args:
      - .offset:         0
        .size:           64
        .value_kind:     by_value
    .group_segment_fixed_size: 0
    .kernarg_segment_align: 8
    .kernarg_segment_size: 64
    .language:       OpenCL C
    .language_version:
      - 2
      - 0
    .max_flat_workgroup_size: 1024
    .name:           _ZN7rocprim17ROCPRIM_400000_NS6detail17trampoline_kernelINS0_14default_configENS1_38merge_sort_block_merge_config_selectorIxNS0_10empty_typeEEEZZNS1_27merge_sort_block_merge_implIS3_N6thrust23THRUST_200600_302600_NS6detail15normal_iteratorINS9_10device_ptrIxEEEEPS5_jNS1_19radix_merge_compareILb0ELb0ExNS0_19identity_decomposerEEEEE10hipError_tT0_T1_T2_jT3_P12ihipStream_tbPNSt15iterator_traitsISK_E10value_typeEPNSQ_ISL_E10value_typeEPSM_NS1_7vsmem_tEENKUlT_SK_SL_SM_E_clISE_PxSF_SF_EESJ_SZ_SK_SL_SM_EUlSZ_E0_NS1_11comp_targetILNS1_3genE8ELNS1_11target_archE1030ELNS1_3gpuE2ELNS1_3repE0EEENS1_38merge_mergepath_config_static_selectorELNS0_4arch9wavefront6targetE1EEEvSL_
    .private_segment_fixed_size: 0
    .sgpr_count:     4
    .sgpr_spill_count: 0
    .symbol:         _ZN7rocprim17ROCPRIM_400000_NS6detail17trampoline_kernelINS0_14default_configENS1_38merge_sort_block_merge_config_selectorIxNS0_10empty_typeEEEZZNS1_27merge_sort_block_merge_implIS3_N6thrust23THRUST_200600_302600_NS6detail15normal_iteratorINS9_10device_ptrIxEEEEPS5_jNS1_19radix_merge_compareILb0ELb0ExNS0_19identity_decomposerEEEEE10hipError_tT0_T1_T2_jT3_P12ihipStream_tbPNSt15iterator_traitsISK_E10value_typeEPNSQ_ISL_E10value_typeEPSM_NS1_7vsmem_tEENKUlT_SK_SL_SM_E_clISE_PxSF_SF_EESJ_SZ_SK_SL_SM_EUlSZ_E0_NS1_11comp_targetILNS1_3genE8ELNS1_11target_archE1030ELNS1_3gpuE2ELNS1_3repE0EEENS1_38merge_mergepath_config_static_selectorELNS0_4arch9wavefront6targetE1EEEvSL_.kd
    .uniform_work_group_size: 1
    .uses_dynamic_stack: false
    .vgpr_count:     0
    .vgpr_spill_count: 0
    .wavefront_size: 64
  - .agpr_count:     0
    .args:
      - .offset:         0
        .size:           48
        .value_kind:     by_value
    .group_segment_fixed_size: 0
    .kernarg_segment_align: 8
    .kernarg_segment_size: 48
    .language:       OpenCL C
    .language_version:
      - 2
      - 0
    .max_flat_workgroup_size: 256
    .name:           _ZN7rocprim17ROCPRIM_400000_NS6detail17trampoline_kernelINS0_14default_configENS1_38merge_sort_block_merge_config_selectorIxNS0_10empty_typeEEEZZNS1_27merge_sort_block_merge_implIS3_N6thrust23THRUST_200600_302600_NS6detail15normal_iteratorINS9_10device_ptrIxEEEEPS5_jNS1_19radix_merge_compareILb0ELb0ExNS0_19identity_decomposerEEEEE10hipError_tT0_T1_T2_jT3_P12ihipStream_tbPNSt15iterator_traitsISK_E10value_typeEPNSQ_ISL_E10value_typeEPSM_NS1_7vsmem_tEENKUlT_SK_SL_SM_E_clISE_PxSF_SF_EESJ_SZ_SK_SL_SM_EUlSZ_E1_NS1_11comp_targetILNS1_3genE0ELNS1_11target_archE4294967295ELNS1_3gpuE0ELNS1_3repE0EEENS1_36merge_oddeven_config_static_selectorELNS0_4arch9wavefront6targetE1EEEvSL_
    .private_segment_fixed_size: 0
    .sgpr_count:     4
    .sgpr_spill_count: 0
    .symbol:         _ZN7rocprim17ROCPRIM_400000_NS6detail17trampoline_kernelINS0_14default_configENS1_38merge_sort_block_merge_config_selectorIxNS0_10empty_typeEEEZZNS1_27merge_sort_block_merge_implIS3_N6thrust23THRUST_200600_302600_NS6detail15normal_iteratorINS9_10device_ptrIxEEEEPS5_jNS1_19radix_merge_compareILb0ELb0ExNS0_19identity_decomposerEEEEE10hipError_tT0_T1_T2_jT3_P12ihipStream_tbPNSt15iterator_traitsISK_E10value_typeEPNSQ_ISL_E10value_typeEPSM_NS1_7vsmem_tEENKUlT_SK_SL_SM_E_clISE_PxSF_SF_EESJ_SZ_SK_SL_SM_EUlSZ_E1_NS1_11comp_targetILNS1_3genE0ELNS1_11target_archE4294967295ELNS1_3gpuE0ELNS1_3repE0EEENS1_36merge_oddeven_config_static_selectorELNS0_4arch9wavefront6targetE1EEEvSL_.kd
    .uniform_work_group_size: 1
    .uses_dynamic_stack: false
    .vgpr_count:     0
    .vgpr_spill_count: 0
    .wavefront_size: 64
  - .agpr_count:     0
    .args:
      - .offset:         0
        .size:           48
        .value_kind:     by_value
    .group_segment_fixed_size: 0
    .kernarg_segment_align: 8
    .kernarg_segment_size: 48
    .language:       OpenCL C
    .language_version:
      - 2
      - 0
    .max_flat_workgroup_size: 256
    .name:           _ZN7rocprim17ROCPRIM_400000_NS6detail17trampoline_kernelINS0_14default_configENS1_38merge_sort_block_merge_config_selectorIxNS0_10empty_typeEEEZZNS1_27merge_sort_block_merge_implIS3_N6thrust23THRUST_200600_302600_NS6detail15normal_iteratorINS9_10device_ptrIxEEEEPS5_jNS1_19radix_merge_compareILb0ELb0ExNS0_19identity_decomposerEEEEE10hipError_tT0_T1_T2_jT3_P12ihipStream_tbPNSt15iterator_traitsISK_E10value_typeEPNSQ_ISL_E10value_typeEPSM_NS1_7vsmem_tEENKUlT_SK_SL_SM_E_clISE_PxSF_SF_EESJ_SZ_SK_SL_SM_EUlSZ_E1_NS1_11comp_targetILNS1_3genE10ELNS1_11target_archE1201ELNS1_3gpuE5ELNS1_3repE0EEENS1_36merge_oddeven_config_static_selectorELNS0_4arch9wavefront6targetE1EEEvSL_
    .private_segment_fixed_size: 0
    .sgpr_count:     4
    .sgpr_spill_count: 0
    .symbol:         _ZN7rocprim17ROCPRIM_400000_NS6detail17trampoline_kernelINS0_14default_configENS1_38merge_sort_block_merge_config_selectorIxNS0_10empty_typeEEEZZNS1_27merge_sort_block_merge_implIS3_N6thrust23THRUST_200600_302600_NS6detail15normal_iteratorINS9_10device_ptrIxEEEEPS5_jNS1_19radix_merge_compareILb0ELb0ExNS0_19identity_decomposerEEEEE10hipError_tT0_T1_T2_jT3_P12ihipStream_tbPNSt15iterator_traitsISK_E10value_typeEPNSQ_ISL_E10value_typeEPSM_NS1_7vsmem_tEENKUlT_SK_SL_SM_E_clISE_PxSF_SF_EESJ_SZ_SK_SL_SM_EUlSZ_E1_NS1_11comp_targetILNS1_3genE10ELNS1_11target_archE1201ELNS1_3gpuE5ELNS1_3repE0EEENS1_36merge_oddeven_config_static_selectorELNS0_4arch9wavefront6targetE1EEEvSL_.kd
    .uniform_work_group_size: 1
    .uses_dynamic_stack: false
    .vgpr_count:     0
    .vgpr_spill_count: 0
    .wavefront_size: 64
  - .agpr_count:     0
    .args:
      - .offset:         0
        .size:           48
        .value_kind:     by_value
    .group_segment_fixed_size: 0
    .kernarg_segment_align: 8
    .kernarg_segment_size: 48
    .language:       OpenCL C
    .language_version:
      - 2
      - 0
    .max_flat_workgroup_size: 256
    .name:           _ZN7rocprim17ROCPRIM_400000_NS6detail17trampoline_kernelINS0_14default_configENS1_38merge_sort_block_merge_config_selectorIxNS0_10empty_typeEEEZZNS1_27merge_sort_block_merge_implIS3_N6thrust23THRUST_200600_302600_NS6detail15normal_iteratorINS9_10device_ptrIxEEEEPS5_jNS1_19radix_merge_compareILb0ELb0ExNS0_19identity_decomposerEEEEE10hipError_tT0_T1_T2_jT3_P12ihipStream_tbPNSt15iterator_traitsISK_E10value_typeEPNSQ_ISL_E10value_typeEPSM_NS1_7vsmem_tEENKUlT_SK_SL_SM_E_clISE_PxSF_SF_EESJ_SZ_SK_SL_SM_EUlSZ_E1_NS1_11comp_targetILNS1_3genE5ELNS1_11target_archE942ELNS1_3gpuE9ELNS1_3repE0EEENS1_36merge_oddeven_config_static_selectorELNS0_4arch9wavefront6targetE1EEEvSL_
    .private_segment_fixed_size: 0
    .sgpr_count:     4
    .sgpr_spill_count: 0
    .symbol:         _ZN7rocprim17ROCPRIM_400000_NS6detail17trampoline_kernelINS0_14default_configENS1_38merge_sort_block_merge_config_selectorIxNS0_10empty_typeEEEZZNS1_27merge_sort_block_merge_implIS3_N6thrust23THRUST_200600_302600_NS6detail15normal_iteratorINS9_10device_ptrIxEEEEPS5_jNS1_19radix_merge_compareILb0ELb0ExNS0_19identity_decomposerEEEEE10hipError_tT0_T1_T2_jT3_P12ihipStream_tbPNSt15iterator_traitsISK_E10value_typeEPNSQ_ISL_E10value_typeEPSM_NS1_7vsmem_tEENKUlT_SK_SL_SM_E_clISE_PxSF_SF_EESJ_SZ_SK_SL_SM_EUlSZ_E1_NS1_11comp_targetILNS1_3genE5ELNS1_11target_archE942ELNS1_3gpuE9ELNS1_3repE0EEENS1_36merge_oddeven_config_static_selectorELNS0_4arch9wavefront6targetE1EEEvSL_.kd
    .uniform_work_group_size: 1
    .uses_dynamic_stack: false
    .vgpr_count:     0
    .vgpr_spill_count: 0
    .wavefront_size: 64
  - .agpr_count:     0
    .args:
      - .offset:         0
        .size:           48
        .value_kind:     by_value
    .group_segment_fixed_size: 0
    .kernarg_segment_align: 8
    .kernarg_segment_size: 48
    .language:       OpenCL C
    .language_version:
      - 2
      - 0
    .max_flat_workgroup_size: 256
    .name:           _ZN7rocprim17ROCPRIM_400000_NS6detail17trampoline_kernelINS0_14default_configENS1_38merge_sort_block_merge_config_selectorIxNS0_10empty_typeEEEZZNS1_27merge_sort_block_merge_implIS3_N6thrust23THRUST_200600_302600_NS6detail15normal_iteratorINS9_10device_ptrIxEEEEPS5_jNS1_19radix_merge_compareILb0ELb0ExNS0_19identity_decomposerEEEEE10hipError_tT0_T1_T2_jT3_P12ihipStream_tbPNSt15iterator_traitsISK_E10value_typeEPNSQ_ISL_E10value_typeEPSM_NS1_7vsmem_tEENKUlT_SK_SL_SM_E_clISE_PxSF_SF_EESJ_SZ_SK_SL_SM_EUlSZ_E1_NS1_11comp_targetILNS1_3genE4ELNS1_11target_archE910ELNS1_3gpuE8ELNS1_3repE0EEENS1_36merge_oddeven_config_static_selectorELNS0_4arch9wavefront6targetE1EEEvSL_
    .private_segment_fixed_size: 0
    .sgpr_count:     25
    .sgpr_spill_count: 0
    .symbol:         _ZN7rocprim17ROCPRIM_400000_NS6detail17trampoline_kernelINS0_14default_configENS1_38merge_sort_block_merge_config_selectorIxNS0_10empty_typeEEEZZNS1_27merge_sort_block_merge_implIS3_N6thrust23THRUST_200600_302600_NS6detail15normal_iteratorINS9_10device_ptrIxEEEEPS5_jNS1_19radix_merge_compareILb0ELb0ExNS0_19identity_decomposerEEEEE10hipError_tT0_T1_T2_jT3_P12ihipStream_tbPNSt15iterator_traitsISK_E10value_typeEPNSQ_ISL_E10value_typeEPSM_NS1_7vsmem_tEENKUlT_SK_SL_SM_E_clISE_PxSF_SF_EESJ_SZ_SK_SL_SM_EUlSZ_E1_NS1_11comp_targetILNS1_3genE4ELNS1_11target_archE910ELNS1_3gpuE8ELNS1_3repE0EEENS1_36merge_oddeven_config_static_selectorELNS0_4arch9wavefront6targetE1EEEvSL_.kd
    .uniform_work_group_size: 1
    .uses_dynamic_stack: false
    .vgpr_count:     12
    .vgpr_spill_count: 0
    .wavefront_size: 64
  - .agpr_count:     0
    .args:
      - .offset:         0
        .size:           48
        .value_kind:     by_value
    .group_segment_fixed_size: 0
    .kernarg_segment_align: 8
    .kernarg_segment_size: 48
    .language:       OpenCL C
    .language_version:
      - 2
      - 0
    .max_flat_workgroup_size: 256
    .name:           _ZN7rocprim17ROCPRIM_400000_NS6detail17trampoline_kernelINS0_14default_configENS1_38merge_sort_block_merge_config_selectorIxNS0_10empty_typeEEEZZNS1_27merge_sort_block_merge_implIS3_N6thrust23THRUST_200600_302600_NS6detail15normal_iteratorINS9_10device_ptrIxEEEEPS5_jNS1_19radix_merge_compareILb0ELb0ExNS0_19identity_decomposerEEEEE10hipError_tT0_T1_T2_jT3_P12ihipStream_tbPNSt15iterator_traitsISK_E10value_typeEPNSQ_ISL_E10value_typeEPSM_NS1_7vsmem_tEENKUlT_SK_SL_SM_E_clISE_PxSF_SF_EESJ_SZ_SK_SL_SM_EUlSZ_E1_NS1_11comp_targetILNS1_3genE3ELNS1_11target_archE908ELNS1_3gpuE7ELNS1_3repE0EEENS1_36merge_oddeven_config_static_selectorELNS0_4arch9wavefront6targetE1EEEvSL_
    .private_segment_fixed_size: 0
    .sgpr_count:     4
    .sgpr_spill_count: 0
    .symbol:         _ZN7rocprim17ROCPRIM_400000_NS6detail17trampoline_kernelINS0_14default_configENS1_38merge_sort_block_merge_config_selectorIxNS0_10empty_typeEEEZZNS1_27merge_sort_block_merge_implIS3_N6thrust23THRUST_200600_302600_NS6detail15normal_iteratorINS9_10device_ptrIxEEEEPS5_jNS1_19radix_merge_compareILb0ELb0ExNS0_19identity_decomposerEEEEE10hipError_tT0_T1_T2_jT3_P12ihipStream_tbPNSt15iterator_traitsISK_E10value_typeEPNSQ_ISL_E10value_typeEPSM_NS1_7vsmem_tEENKUlT_SK_SL_SM_E_clISE_PxSF_SF_EESJ_SZ_SK_SL_SM_EUlSZ_E1_NS1_11comp_targetILNS1_3genE3ELNS1_11target_archE908ELNS1_3gpuE7ELNS1_3repE0EEENS1_36merge_oddeven_config_static_selectorELNS0_4arch9wavefront6targetE1EEEvSL_.kd
    .uniform_work_group_size: 1
    .uses_dynamic_stack: false
    .vgpr_count:     0
    .vgpr_spill_count: 0
    .wavefront_size: 64
  - .agpr_count:     0
    .args:
      - .offset:         0
        .size:           48
        .value_kind:     by_value
    .group_segment_fixed_size: 0
    .kernarg_segment_align: 8
    .kernarg_segment_size: 48
    .language:       OpenCL C
    .language_version:
      - 2
      - 0
    .max_flat_workgroup_size: 256
    .name:           _ZN7rocprim17ROCPRIM_400000_NS6detail17trampoline_kernelINS0_14default_configENS1_38merge_sort_block_merge_config_selectorIxNS0_10empty_typeEEEZZNS1_27merge_sort_block_merge_implIS3_N6thrust23THRUST_200600_302600_NS6detail15normal_iteratorINS9_10device_ptrIxEEEEPS5_jNS1_19radix_merge_compareILb0ELb0ExNS0_19identity_decomposerEEEEE10hipError_tT0_T1_T2_jT3_P12ihipStream_tbPNSt15iterator_traitsISK_E10value_typeEPNSQ_ISL_E10value_typeEPSM_NS1_7vsmem_tEENKUlT_SK_SL_SM_E_clISE_PxSF_SF_EESJ_SZ_SK_SL_SM_EUlSZ_E1_NS1_11comp_targetILNS1_3genE2ELNS1_11target_archE906ELNS1_3gpuE6ELNS1_3repE0EEENS1_36merge_oddeven_config_static_selectorELNS0_4arch9wavefront6targetE1EEEvSL_
    .private_segment_fixed_size: 0
    .sgpr_count:     4
    .sgpr_spill_count: 0
    .symbol:         _ZN7rocprim17ROCPRIM_400000_NS6detail17trampoline_kernelINS0_14default_configENS1_38merge_sort_block_merge_config_selectorIxNS0_10empty_typeEEEZZNS1_27merge_sort_block_merge_implIS3_N6thrust23THRUST_200600_302600_NS6detail15normal_iteratorINS9_10device_ptrIxEEEEPS5_jNS1_19radix_merge_compareILb0ELb0ExNS0_19identity_decomposerEEEEE10hipError_tT0_T1_T2_jT3_P12ihipStream_tbPNSt15iterator_traitsISK_E10value_typeEPNSQ_ISL_E10value_typeEPSM_NS1_7vsmem_tEENKUlT_SK_SL_SM_E_clISE_PxSF_SF_EESJ_SZ_SK_SL_SM_EUlSZ_E1_NS1_11comp_targetILNS1_3genE2ELNS1_11target_archE906ELNS1_3gpuE6ELNS1_3repE0EEENS1_36merge_oddeven_config_static_selectorELNS0_4arch9wavefront6targetE1EEEvSL_.kd
    .uniform_work_group_size: 1
    .uses_dynamic_stack: false
    .vgpr_count:     0
    .vgpr_spill_count: 0
    .wavefront_size: 64
  - .agpr_count:     0
    .args:
      - .offset:         0
        .size:           48
        .value_kind:     by_value
    .group_segment_fixed_size: 0
    .kernarg_segment_align: 8
    .kernarg_segment_size: 48
    .language:       OpenCL C
    .language_version:
      - 2
      - 0
    .max_flat_workgroup_size: 256
    .name:           _ZN7rocprim17ROCPRIM_400000_NS6detail17trampoline_kernelINS0_14default_configENS1_38merge_sort_block_merge_config_selectorIxNS0_10empty_typeEEEZZNS1_27merge_sort_block_merge_implIS3_N6thrust23THRUST_200600_302600_NS6detail15normal_iteratorINS9_10device_ptrIxEEEEPS5_jNS1_19radix_merge_compareILb0ELb0ExNS0_19identity_decomposerEEEEE10hipError_tT0_T1_T2_jT3_P12ihipStream_tbPNSt15iterator_traitsISK_E10value_typeEPNSQ_ISL_E10value_typeEPSM_NS1_7vsmem_tEENKUlT_SK_SL_SM_E_clISE_PxSF_SF_EESJ_SZ_SK_SL_SM_EUlSZ_E1_NS1_11comp_targetILNS1_3genE9ELNS1_11target_archE1100ELNS1_3gpuE3ELNS1_3repE0EEENS1_36merge_oddeven_config_static_selectorELNS0_4arch9wavefront6targetE1EEEvSL_
    .private_segment_fixed_size: 0
    .sgpr_count:     4
    .sgpr_spill_count: 0
    .symbol:         _ZN7rocprim17ROCPRIM_400000_NS6detail17trampoline_kernelINS0_14default_configENS1_38merge_sort_block_merge_config_selectorIxNS0_10empty_typeEEEZZNS1_27merge_sort_block_merge_implIS3_N6thrust23THRUST_200600_302600_NS6detail15normal_iteratorINS9_10device_ptrIxEEEEPS5_jNS1_19radix_merge_compareILb0ELb0ExNS0_19identity_decomposerEEEEE10hipError_tT0_T1_T2_jT3_P12ihipStream_tbPNSt15iterator_traitsISK_E10value_typeEPNSQ_ISL_E10value_typeEPSM_NS1_7vsmem_tEENKUlT_SK_SL_SM_E_clISE_PxSF_SF_EESJ_SZ_SK_SL_SM_EUlSZ_E1_NS1_11comp_targetILNS1_3genE9ELNS1_11target_archE1100ELNS1_3gpuE3ELNS1_3repE0EEENS1_36merge_oddeven_config_static_selectorELNS0_4arch9wavefront6targetE1EEEvSL_.kd
    .uniform_work_group_size: 1
    .uses_dynamic_stack: false
    .vgpr_count:     0
    .vgpr_spill_count: 0
    .wavefront_size: 64
  - .agpr_count:     0
    .args:
      - .offset:         0
        .size:           48
        .value_kind:     by_value
    .group_segment_fixed_size: 0
    .kernarg_segment_align: 8
    .kernarg_segment_size: 48
    .language:       OpenCL C
    .language_version:
      - 2
      - 0
    .max_flat_workgroup_size: 256
    .name:           _ZN7rocprim17ROCPRIM_400000_NS6detail17trampoline_kernelINS0_14default_configENS1_38merge_sort_block_merge_config_selectorIxNS0_10empty_typeEEEZZNS1_27merge_sort_block_merge_implIS3_N6thrust23THRUST_200600_302600_NS6detail15normal_iteratorINS9_10device_ptrIxEEEEPS5_jNS1_19radix_merge_compareILb0ELb0ExNS0_19identity_decomposerEEEEE10hipError_tT0_T1_T2_jT3_P12ihipStream_tbPNSt15iterator_traitsISK_E10value_typeEPNSQ_ISL_E10value_typeEPSM_NS1_7vsmem_tEENKUlT_SK_SL_SM_E_clISE_PxSF_SF_EESJ_SZ_SK_SL_SM_EUlSZ_E1_NS1_11comp_targetILNS1_3genE8ELNS1_11target_archE1030ELNS1_3gpuE2ELNS1_3repE0EEENS1_36merge_oddeven_config_static_selectorELNS0_4arch9wavefront6targetE1EEEvSL_
    .private_segment_fixed_size: 0
    .sgpr_count:     4
    .sgpr_spill_count: 0
    .symbol:         _ZN7rocprim17ROCPRIM_400000_NS6detail17trampoline_kernelINS0_14default_configENS1_38merge_sort_block_merge_config_selectorIxNS0_10empty_typeEEEZZNS1_27merge_sort_block_merge_implIS3_N6thrust23THRUST_200600_302600_NS6detail15normal_iteratorINS9_10device_ptrIxEEEEPS5_jNS1_19radix_merge_compareILb0ELb0ExNS0_19identity_decomposerEEEEE10hipError_tT0_T1_T2_jT3_P12ihipStream_tbPNSt15iterator_traitsISK_E10value_typeEPNSQ_ISL_E10value_typeEPSM_NS1_7vsmem_tEENKUlT_SK_SL_SM_E_clISE_PxSF_SF_EESJ_SZ_SK_SL_SM_EUlSZ_E1_NS1_11comp_targetILNS1_3genE8ELNS1_11target_archE1030ELNS1_3gpuE2ELNS1_3repE0EEENS1_36merge_oddeven_config_static_selectorELNS0_4arch9wavefront6targetE1EEEvSL_.kd
    .uniform_work_group_size: 1
    .uses_dynamic_stack: false
    .vgpr_count:     0
    .vgpr_spill_count: 0
    .wavefront_size: 64
  - .agpr_count:     0
    .args:
      - .offset:         0
        .size:           40
        .value_kind:     by_value
    .group_segment_fixed_size: 0
    .kernarg_segment_align: 8
    .kernarg_segment_size: 40
    .language:       OpenCL C
    .language_version:
      - 2
      - 0
    .max_flat_workgroup_size: 128
    .name:           _ZN7rocprim17ROCPRIM_400000_NS6detail17trampoline_kernelINS0_14default_configENS1_25transform_config_selectorIxLb0EEEZNS1_14transform_implILb0ES3_S5_PxN6thrust23THRUST_200600_302600_NS6detail15normal_iteratorINS9_10device_ptrIxEEEENS0_8identityIxEEEE10hipError_tT2_T3_mT4_P12ihipStream_tbEUlT_E_NS1_11comp_targetILNS1_3genE0ELNS1_11target_archE4294967295ELNS1_3gpuE0ELNS1_3repE0EEENS1_30default_config_static_selectorELNS0_4arch9wavefront6targetE1EEEvT1_
    .private_segment_fixed_size: 0
    .sgpr_count:     4
    .sgpr_spill_count: 0
    .symbol:         _ZN7rocprim17ROCPRIM_400000_NS6detail17trampoline_kernelINS0_14default_configENS1_25transform_config_selectorIxLb0EEEZNS1_14transform_implILb0ES3_S5_PxN6thrust23THRUST_200600_302600_NS6detail15normal_iteratorINS9_10device_ptrIxEEEENS0_8identityIxEEEE10hipError_tT2_T3_mT4_P12ihipStream_tbEUlT_E_NS1_11comp_targetILNS1_3genE0ELNS1_11target_archE4294967295ELNS1_3gpuE0ELNS1_3repE0EEENS1_30default_config_static_selectorELNS0_4arch9wavefront6targetE1EEEvT1_.kd
    .uniform_work_group_size: 1
    .uses_dynamic_stack: false
    .vgpr_count:     0
    .vgpr_spill_count: 0
    .wavefront_size: 64
  - .agpr_count:     0
    .args:
      - .offset:         0
        .size:           40
        .value_kind:     by_value
    .group_segment_fixed_size: 0
    .kernarg_segment_align: 8
    .kernarg_segment_size: 40
    .language:       OpenCL C
    .language_version:
      - 2
      - 0
    .max_flat_workgroup_size: 512
    .name:           _ZN7rocprim17ROCPRIM_400000_NS6detail17trampoline_kernelINS0_14default_configENS1_25transform_config_selectorIxLb0EEEZNS1_14transform_implILb0ES3_S5_PxN6thrust23THRUST_200600_302600_NS6detail15normal_iteratorINS9_10device_ptrIxEEEENS0_8identityIxEEEE10hipError_tT2_T3_mT4_P12ihipStream_tbEUlT_E_NS1_11comp_targetILNS1_3genE5ELNS1_11target_archE942ELNS1_3gpuE9ELNS1_3repE0EEENS1_30default_config_static_selectorELNS0_4arch9wavefront6targetE1EEEvT1_
    .private_segment_fixed_size: 0
    .sgpr_count:     4
    .sgpr_spill_count: 0
    .symbol:         _ZN7rocprim17ROCPRIM_400000_NS6detail17trampoline_kernelINS0_14default_configENS1_25transform_config_selectorIxLb0EEEZNS1_14transform_implILb0ES3_S5_PxN6thrust23THRUST_200600_302600_NS6detail15normal_iteratorINS9_10device_ptrIxEEEENS0_8identityIxEEEE10hipError_tT2_T3_mT4_P12ihipStream_tbEUlT_E_NS1_11comp_targetILNS1_3genE5ELNS1_11target_archE942ELNS1_3gpuE9ELNS1_3repE0EEENS1_30default_config_static_selectorELNS0_4arch9wavefront6targetE1EEEvT1_.kd
    .uniform_work_group_size: 1
    .uses_dynamic_stack: false
    .vgpr_count:     0
    .vgpr_spill_count: 0
    .wavefront_size: 64
  - .agpr_count:     0
    .args:
      - .offset:         0
        .size:           40
        .value_kind:     by_value
      - .offset:         40
        .size:           4
        .value_kind:     hidden_block_count_x
      - .offset:         44
        .size:           4
        .value_kind:     hidden_block_count_y
      - .offset:         48
        .size:           4
        .value_kind:     hidden_block_count_z
      - .offset:         52
        .size:           2
        .value_kind:     hidden_group_size_x
      - .offset:         54
        .size:           2
        .value_kind:     hidden_group_size_y
      - .offset:         56
        .size:           2
        .value_kind:     hidden_group_size_z
      - .offset:         58
        .size:           2
        .value_kind:     hidden_remainder_x
      - .offset:         60
        .size:           2
        .value_kind:     hidden_remainder_y
      - .offset:         62
        .size:           2
        .value_kind:     hidden_remainder_z
      - .offset:         80
        .size:           8
        .value_kind:     hidden_global_offset_x
      - .offset:         88
        .size:           8
        .value_kind:     hidden_global_offset_y
      - .offset:         96
        .size:           8
        .value_kind:     hidden_global_offset_z
      - .offset:         104
        .size:           2
        .value_kind:     hidden_grid_dims
    .group_segment_fixed_size: 0
    .kernarg_segment_align: 8
    .kernarg_segment_size: 296
    .language:       OpenCL C
    .language_version:
      - 2
      - 0
    .max_flat_workgroup_size: 256
    .name:           _ZN7rocprim17ROCPRIM_400000_NS6detail17trampoline_kernelINS0_14default_configENS1_25transform_config_selectorIxLb0EEEZNS1_14transform_implILb0ES3_S5_PxN6thrust23THRUST_200600_302600_NS6detail15normal_iteratorINS9_10device_ptrIxEEEENS0_8identityIxEEEE10hipError_tT2_T3_mT4_P12ihipStream_tbEUlT_E_NS1_11comp_targetILNS1_3genE4ELNS1_11target_archE910ELNS1_3gpuE8ELNS1_3repE0EEENS1_30default_config_static_selectorELNS0_4arch9wavefront6targetE1EEEvT1_
    .private_segment_fixed_size: 0
    .sgpr_count:     20
    .sgpr_spill_count: 0
    .symbol:         _ZN7rocprim17ROCPRIM_400000_NS6detail17trampoline_kernelINS0_14default_configENS1_25transform_config_selectorIxLb0EEEZNS1_14transform_implILb0ES3_S5_PxN6thrust23THRUST_200600_302600_NS6detail15normal_iteratorINS9_10device_ptrIxEEEENS0_8identityIxEEEE10hipError_tT2_T3_mT4_P12ihipStream_tbEUlT_E_NS1_11comp_targetILNS1_3genE4ELNS1_11target_archE910ELNS1_3gpuE8ELNS1_3repE0EEENS1_30default_config_static_selectorELNS0_4arch9wavefront6targetE1EEEvT1_.kd
    .uniform_work_group_size: 1
    .uses_dynamic_stack: false
    .vgpr_count:     9
    .vgpr_spill_count: 0
    .wavefront_size: 64
  - .agpr_count:     0
    .args:
      - .offset:         0
        .size:           40
        .value_kind:     by_value
    .group_segment_fixed_size: 0
    .kernarg_segment_align: 8
    .kernarg_segment_size: 40
    .language:       OpenCL C
    .language_version:
      - 2
      - 0
    .max_flat_workgroup_size: 128
    .name:           _ZN7rocprim17ROCPRIM_400000_NS6detail17trampoline_kernelINS0_14default_configENS1_25transform_config_selectorIxLb0EEEZNS1_14transform_implILb0ES3_S5_PxN6thrust23THRUST_200600_302600_NS6detail15normal_iteratorINS9_10device_ptrIxEEEENS0_8identityIxEEEE10hipError_tT2_T3_mT4_P12ihipStream_tbEUlT_E_NS1_11comp_targetILNS1_3genE3ELNS1_11target_archE908ELNS1_3gpuE7ELNS1_3repE0EEENS1_30default_config_static_selectorELNS0_4arch9wavefront6targetE1EEEvT1_
    .private_segment_fixed_size: 0
    .sgpr_count:     4
    .sgpr_spill_count: 0
    .symbol:         _ZN7rocprim17ROCPRIM_400000_NS6detail17trampoline_kernelINS0_14default_configENS1_25transform_config_selectorIxLb0EEEZNS1_14transform_implILb0ES3_S5_PxN6thrust23THRUST_200600_302600_NS6detail15normal_iteratorINS9_10device_ptrIxEEEENS0_8identityIxEEEE10hipError_tT2_T3_mT4_P12ihipStream_tbEUlT_E_NS1_11comp_targetILNS1_3genE3ELNS1_11target_archE908ELNS1_3gpuE7ELNS1_3repE0EEENS1_30default_config_static_selectorELNS0_4arch9wavefront6targetE1EEEvT1_.kd
    .uniform_work_group_size: 1
    .uses_dynamic_stack: false
    .vgpr_count:     0
    .vgpr_spill_count: 0
    .wavefront_size: 64
  - .agpr_count:     0
    .args:
      - .offset:         0
        .size:           40
        .value_kind:     by_value
    .group_segment_fixed_size: 0
    .kernarg_segment_align: 8
    .kernarg_segment_size: 40
    .language:       OpenCL C
    .language_version:
      - 2
      - 0
    .max_flat_workgroup_size: 512
    .name:           _ZN7rocprim17ROCPRIM_400000_NS6detail17trampoline_kernelINS0_14default_configENS1_25transform_config_selectorIxLb0EEEZNS1_14transform_implILb0ES3_S5_PxN6thrust23THRUST_200600_302600_NS6detail15normal_iteratorINS9_10device_ptrIxEEEENS0_8identityIxEEEE10hipError_tT2_T3_mT4_P12ihipStream_tbEUlT_E_NS1_11comp_targetILNS1_3genE2ELNS1_11target_archE906ELNS1_3gpuE6ELNS1_3repE0EEENS1_30default_config_static_selectorELNS0_4arch9wavefront6targetE1EEEvT1_
    .private_segment_fixed_size: 0
    .sgpr_count:     4
    .sgpr_spill_count: 0
    .symbol:         _ZN7rocprim17ROCPRIM_400000_NS6detail17trampoline_kernelINS0_14default_configENS1_25transform_config_selectorIxLb0EEEZNS1_14transform_implILb0ES3_S5_PxN6thrust23THRUST_200600_302600_NS6detail15normal_iteratorINS9_10device_ptrIxEEEENS0_8identityIxEEEE10hipError_tT2_T3_mT4_P12ihipStream_tbEUlT_E_NS1_11comp_targetILNS1_3genE2ELNS1_11target_archE906ELNS1_3gpuE6ELNS1_3repE0EEENS1_30default_config_static_selectorELNS0_4arch9wavefront6targetE1EEEvT1_.kd
    .uniform_work_group_size: 1
    .uses_dynamic_stack: false
    .vgpr_count:     0
    .vgpr_spill_count: 0
    .wavefront_size: 64
  - .agpr_count:     0
    .args:
      - .offset:         0
        .size:           40
        .value_kind:     by_value
    .group_segment_fixed_size: 0
    .kernarg_segment_align: 8
    .kernarg_segment_size: 40
    .language:       OpenCL C
    .language_version:
      - 2
      - 0
    .max_flat_workgroup_size: 1024
    .name:           _ZN7rocprim17ROCPRIM_400000_NS6detail17trampoline_kernelINS0_14default_configENS1_25transform_config_selectorIxLb0EEEZNS1_14transform_implILb0ES3_S5_PxN6thrust23THRUST_200600_302600_NS6detail15normal_iteratorINS9_10device_ptrIxEEEENS0_8identityIxEEEE10hipError_tT2_T3_mT4_P12ihipStream_tbEUlT_E_NS1_11comp_targetILNS1_3genE10ELNS1_11target_archE1201ELNS1_3gpuE5ELNS1_3repE0EEENS1_30default_config_static_selectorELNS0_4arch9wavefront6targetE1EEEvT1_
    .private_segment_fixed_size: 0
    .sgpr_count:     4
    .sgpr_spill_count: 0
    .symbol:         _ZN7rocprim17ROCPRIM_400000_NS6detail17trampoline_kernelINS0_14default_configENS1_25transform_config_selectorIxLb0EEEZNS1_14transform_implILb0ES3_S5_PxN6thrust23THRUST_200600_302600_NS6detail15normal_iteratorINS9_10device_ptrIxEEEENS0_8identityIxEEEE10hipError_tT2_T3_mT4_P12ihipStream_tbEUlT_E_NS1_11comp_targetILNS1_3genE10ELNS1_11target_archE1201ELNS1_3gpuE5ELNS1_3repE0EEENS1_30default_config_static_selectorELNS0_4arch9wavefront6targetE1EEEvT1_.kd
    .uniform_work_group_size: 1
    .uses_dynamic_stack: false
    .vgpr_count:     0
    .vgpr_spill_count: 0
    .wavefront_size: 64
  - .agpr_count:     0
    .args:
      - .offset:         0
        .size:           40
        .value_kind:     by_value
    .group_segment_fixed_size: 0
    .kernarg_segment_align: 8
    .kernarg_segment_size: 40
    .language:       OpenCL C
    .language_version:
      - 2
      - 0
    .max_flat_workgroup_size: 512
    .name:           _ZN7rocprim17ROCPRIM_400000_NS6detail17trampoline_kernelINS0_14default_configENS1_25transform_config_selectorIxLb0EEEZNS1_14transform_implILb0ES3_S5_PxN6thrust23THRUST_200600_302600_NS6detail15normal_iteratorINS9_10device_ptrIxEEEENS0_8identityIxEEEE10hipError_tT2_T3_mT4_P12ihipStream_tbEUlT_E_NS1_11comp_targetILNS1_3genE10ELNS1_11target_archE1200ELNS1_3gpuE4ELNS1_3repE0EEENS1_30default_config_static_selectorELNS0_4arch9wavefront6targetE1EEEvT1_
    .private_segment_fixed_size: 0
    .sgpr_count:     4
    .sgpr_spill_count: 0
    .symbol:         _ZN7rocprim17ROCPRIM_400000_NS6detail17trampoline_kernelINS0_14default_configENS1_25transform_config_selectorIxLb0EEEZNS1_14transform_implILb0ES3_S5_PxN6thrust23THRUST_200600_302600_NS6detail15normal_iteratorINS9_10device_ptrIxEEEENS0_8identityIxEEEE10hipError_tT2_T3_mT4_P12ihipStream_tbEUlT_E_NS1_11comp_targetILNS1_3genE10ELNS1_11target_archE1200ELNS1_3gpuE4ELNS1_3repE0EEENS1_30default_config_static_selectorELNS0_4arch9wavefront6targetE1EEEvT1_.kd
    .uniform_work_group_size: 1
    .uses_dynamic_stack: false
    .vgpr_count:     0
    .vgpr_spill_count: 0
    .wavefront_size: 64
  - .agpr_count:     0
    .args:
      - .offset:         0
        .size:           40
        .value_kind:     by_value
    .group_segment_fixed_size: 0
    .kernarg_segment_align: 8
    .kernarg_segment_size: 40
    .language:       OpenCL C
    .language_version:
      - 2
      - 0
    .max_flat_workgroup_size: 512
    .name:           _ZN7rocprim17ROCPRIM_400000_NS6detail17trampoline_kernelINS0_14default_configENS1_25transform_config_selectorIxLb0EEEZNS1_14transform_implILb0ES3_S5_PxN6thrust23THRUST_200600_302600_NS6detail15normal_iteratorINS9_10device_ptrIxEEEENS0_8identityIxEEEE10hipError_tT2_T3_mT4_P12ihipStream_tbEUlT_E_NS1_11comp_targetILNS1_3genE9ELNS1_11target_archE1100ELNS1_3gpuE3ELNS1_3repE0EEENS1_30default_config_static_selectorELNS0_4arch9wavefront6targetE1EEEvT1_
    .private_segment_fixed_size: 0
    .sgpr_count:     4
    .sgpr_spill_count: 0
    .symbol:         _ZN7rocprim17ROCPRIM_400000_NS6detail17trampoline_kernelINS0_14default_configENS1_25transform_config_selectorIxLb0EEEZNS1_14transform_implILb0ES3_S5_PxN6thrust23THRUST_200600_302600_NS6detail15normal_iteratorINS9_10device_ptrIxEEEENS0_8identityIxEEEE10hipError_tT2_T3_mT4_P12ihipStream_tbEUlT_E_NS1_11comp_targetILNS1_3genE9ELNS1_11target_archE1100ELNS1_3gpuE3ELNS1_3repE0EEENS1_30default_config_static_selectorELNS0_4arch9wavefront6targetE1EEEvT1_.kd
    .uniform_work_group_size: 1
    .uses_dynamic_stack: false
    .vgpr_count:     0
    .vgpr_spill_count: 0
    .wavefront_size: 64
  - .agpr_count:     0
    .args:
      - .offset:         0
        .size:           40
        .value_kind:     by_value
    .group_segment_fixed_size: 0
    .kernarg_segment_align: 8
    .kernarg_segment_size: 40
    .language:       OpenCL C
    .language_version:
      - 2
      - 0
    .max_flat_workgroup_size: 512
    .name:           _ZN7rocprim17ROCPRIM_400000_NS6detail17trampoline_kernelINS0_14default_configENS1_25transform_config_selectorIxLb0EEEZNS1_14transform_implILb0ES3_S5_PxN6thrust23THRUST_200600_302600_NS6detail15normal_iteratorINS9_10device_ptrIxEEEENS0_8identityIxEEEE10hipError_tT2_T3_mT4_P12ihipStream_tbEUlT_E_NS1_11comp_targetILNS1_3genE8ELNS1_11target_archE1030ELNS1_3gpuE2ELNS1_3repE0EEENS1_30default_config_static_selectorELNS0_4arch9wavefront6targetE1EEEvT1_
    .private_segment_fixed_size: 0
    .sgpr_count:     4
    .sgpr_spill_count: 0
    .symbol:         _ZN7rocprim17ROCPRIM_400000_NS6detail17trampoline_kernelINS0_14default_configENS1_25transform_config_selectorIxLb0EEEZNS1_14transform_implILb0ES3_S5_PxN6thrust23THRUST_200600_302600_NS6detail15normal_iteratorINS9_10device_ptrIxEEEENS0_8identityIxEEEE10hipError_tT2_T3_mT4_P12ihipStream_tbEUlT_E_NS1_11comp_targetILNS1_3genE8ELNS1_11target_archE1030ELNS1_3gpuE2ELNS1_3repE0EEENS1_30default_config_static_selectorELNS0_4arch9wavefront6targetE1EEEvT1_.kd
    .uniform_work_group_size: 1
    .uses_dynamic_stack: false
    .vgpr_count:     0
    .vgpr_spill_count: 0
    .wavefront_size: 64
  - .agpr_count:     0
    .args:
      - .offset:         0
        .size:           40
        .value_kind:     by_value
    .group_segment_fixed_size: 0
    .kernarg_segment_align: 8
    .kernarg_segment_size: 40
    .language:       OpenCL C
    .language_version:
      - 2
      - 0
    .max_flat_workgroup_size: 128
    .name:           _ZN7rocprim17ROCPRIM_400000_NS6detail17trampoline_kernelINS0_14default_configENS1_38merge_sort_block_merge_config_selectorIxNS0_10empty_typeEEEZZNS1_27merge_sort_block_merge_implIS3_N6thrust23THRUST_200600_302600_NS6detail15normal_iteratorINS9_10device_ptrIxEEEEPS5_jNS1_19radix_merge_compareILb0ELb1ExNS0_19identity_decomposerEEEEE10hipError_tT0_T1_T2_jT3_P12ihipStream_tbPNSt15iterator_traitsISK_E10value_typeEPNSQ_ISL_E10value_typeEPSM_NS1_7vsmem_tEENKUlT_SK_SL_SM_E_clIPxSE_SF_SF_EESJ_SZ_SK_SL_SM_EUlSZ_E_NS1_11comp_targetILNS1_3genE0ELNS1_11target_archE4294967295ELNS1_3gpuE0ELNS1_3repE0EEENS1_48merge_mergepath_partition_config_static_selectorELNS0_4arch9wavefront6targetE1EEEvSL_
    .private_segment_fixed_size: 0
    .sgpr_count:     4
    .sgpr_spill_count: 0
    .symbol:         _ZN7rocprim17ROCPRIM_400000_NS6detail17trampoline_kernelINS0_14default_configENS1_38merge_sort_block_merge_config_selectorIxNS0_10empty_typeEEEZZNS1_27merge_sort_block_merge_implIS3_N6thrust23THRUST_200600_302600_NS6detail15normal_iteratorINS9_10device_ptrIxEEEEPS5_jNS1_19radix_merge_compareILb0ELb1ExNS0_19identity_decomposerEEEEE10hipError_tT0_T1_T2_jT3_P12ihipStream_tbPNSt15iterator_traitsISK_E10value_typeEPNSQ_ISL_E10value_typeEPSM_NS1_7vsmem_tEENKUlT_SK_SL_SM_E_clIPxSE_SF_SF_EESJ_SZ_SK_SL_SM_EUlSZ_E_NS1_11comp_targetILNS1_3genE0ELNS1_11target_archE4294967295ELNS1_3gpuE0ELNS1_3repE0EEENS1_48merge_mergepath_partition_config_static_selectorELNS0_4arch9wavefront6targetE1EEEvSL_.kd
    .uniform_work_group_size: 1
    .uses_dynamic_stack: false
    .vgpr_count:     0
    .vgpr_spill_count: 0
    .wavefront_size: 64
  - .agpr_count:     0
    .args:
      - .offset:         0
        .size:           40
        .value_kind:     by_value
    .group_segment_fixed_size: 0
    .kernarg_segment_align: 8
    .kernarg_segment_size: 40
    .language:       OpenCL C
    .language_version:
      - 2
      - 0
    .max_flat_workgroup_size: 128
    .name:           _ZN7rocprim17ROCPRIM_400000_NS6detail17trampoline_kernelINS0_14default_configENS1_38merge_sort_block_merge_config_selectorIxNS0_10empty_typeEEEZZNS1_27merge_sort_block_merge_implIS3_N6thrust23THRUST_200600_302600_NS6detail15normal_iteratorINS9_10device_ptrIxEEEEPS5_jNS1_19radix_merge_compareILb0ELb1ExNS0_19identity_decomposerEEEEE10hipError_tT0_T1_T2_jT3_P12ihipStream_tbPNSt15iterator_traitsISK_E10value_typeEPNSQ_ISL_E10value_typeEPSM_NS1_7vsmem_tEENKUlT_SK_SL_SM_E_clIPxSE_SF_SF_EESJ_SZ_SK_SL_SM_EUlSZ_E_NS1_11comp_targetILNS1_3genE10ELNS1_11target_archE1201ELNS1_3gpuE5ELNS1_3repE0EEENS1_48merge_mergepath_partition_config_static_selectorELNS0_4arch9wavefront6targetE1EEEvSL_
    .private_segment_fixed_size: 0
    .sgpr_count:     4
    .sgpr_spill_count: 0
    .symbol:         _ZN7rocprim17ROCPRIM_400000_NS6detail17trampoline_kernelINS0_14default_configENS1_38merge_sort_block_merge_config_selectorIxNS0_10empty_typeEEEZZNS1_27merge_sort_block_merge_implIS3_N6thrust23THRUST_200600_302600_NS6detail15normal_iteratorINS9_10device_ptrIxEEEEPS5_jNS1_19radix_merge_compareILb0ELb1ExNS0_19identity_decomposerEEEEE10hipError_tT0_T1_T2_jT3_P12ihipStream_tbPNSt15iterator_traitsISK_E10value_typeEPNSQ_ISL_E10value_typeEPSM_NS1_7vsmem_tEENKUlT_SK_SL_SM_E_clIPxSE_SF_SF_EESJ_SZ_SK_SL_SM_EUlSZ_E_NS1_11comp_targetILNS1_3genE10ELNS1_11target_archE1201ELNS1_3gpuE5ELNS1_3repE0EEENS1_48merge_mergepath_partition_config_static_selectorELNS0_4arch9wavefront6targetE1EEEvSL_.kd
    .uniform_work_group_size: 1
    .uses_dynamic_stack: false
    .vgpr_count:     0
    .vgpr_spill_count: 0
    .wavefront_size: 64
  - .agpr_count:     0
    .args:
      - .offset:         0
        .size:           40
        .value_kind:     by_value
    .group_segment_fixed_size: 0
    .kernarg_segment_align: 8
    .kernarg_segment_size: 40
    .language:       OpenCL C
    .language_version:
      - 2
      - 0
    .max_flat_workgroup_size: 128
    .name:           _ZN7rocprim17ROCPRIM_400000_NS6detail17trampoline_kernelINS0_14default_configENS1_38merge_sort_block_merge_config_selectorIxNS0_10empty_typeEEEZZNS1_27merge_sort_block_merge_implIS3_N6thrust23THRUST_200600_302600_NS6detail15normal_iteratorINS9_10device_ptrIxEEEEPS5_jNS1_19radix_merge_compareILb0ELb1ExNS0_19identity_decomposerEEEEE10hipError_tT0_T1_T2_jT3_P12ihipStream_tbPNSt15iterator_traitsISK_E10value_typeEPNSQ_ISL_E10value_typeEPSM_NS1_7vsmem_tEENKUlT_SK_SL_SM_E_clIPxSE_SF_SF_EESJ_SZ_SK_SL_SM_EUlSZ_E_NS1_11comp_targetILNS1_3genE5ELNS1_11target_archE942ELNS1_3gpuE9ELNS1_3repE0EEENS1_48merge_mergepath_partition_config_static_selectorELNS0_4arch9wavefront6targetE1EEEvSL_
    .private_segment_fixed_size: 0
    .sgpr_count:     4
    .sgpr_spill_count: 0
    .symbol:         _ZN7rocprim17ROCPRIM_400000_NS6detail17trampoline_kernelINS0_14default_configENS1_38merge_sort_block_merge_config_selectorIxNS0_10empty_typeEEEZZNS1_27merge_sort_block_merge_implIS3_N6thrust23THRUST_200600_302600_NS6detail15normal_iteratorINS9_10device_ptrIxEEEEPS5_jNS1_19radix_merge_compareILb0ELb1ExNS0_19identity_decomposerEEEEE10hipError_tT0_T1_T2_jT3_P12ihipStream_tbPNSt15iterator_traitsISK_E10value_typeEPNSQ_ISL_E10value_typeEPSM_NS1_7vsmem_tEENKUlT_SK_SL_SM_E_clIPxSE_SF_SF_EESJ_SZ_SK_SL_SM_EUlSZ_E_NS1_11comp_targetILNS1_3genE5ELNS1_11target_archE942ELNS1_3gpuE9ELNS1_3repE0EEENS1_48merge_mergepath_partition_config_static_selectorELNS0_4arch9wavefront6targetE1EEEvSL_.kd
    .uniform_work_group_size: 1
    .uses_dynamic_stack: false
    .vgpr_count:     0
    .vgpr_spill_count: 0
    .wavefront_size: 64
  - .agpr_count:     0
    .args:
      - .offset:         0
        .size:           40
        .value_kind:     by_value
    .group_segment_fixed_size: 0
    .kernarg_segment_align: 8
    .kernarg_segment_size: 40
    .language:       OpenCL C
    .language_version:
      - 2
      - 0
    .max_flat_workgroup_size: 128
    .name:           _ZN7rocprim17ROCPRIM_400000_NS6detail17trampoline_kernelINS0_14default_configENS1_38merge_sort_block_merge_config_selectorIxNS0_10empty_typeEEEZZNS1_27merge_sort_block_merge_implIS3_N6thrust23THRUST_200600_302600_NS6detail15normal_iteratorINS9_10device_ptrIxEEEEPS5_jNS1_19radix_merge_compareILb0ELb1ExNS0_19identity_decomposerEEEEE10hipError_tT0_T1_T2_jT3_P12ihipStream_tbPNSt15iterator_traitsISK_E10value_typeEPNSQ_ISL_E10value_typeEPSM_NS1_7vsmem_tEENKUlT_SK_SL_SM_E_clIPxSE_SF_SF_EESJ_SZ_SK_SL_SM_EUlSZ_E_NS1_11comp_targetILNS1_3genE4ELNS1_11target_archE910ELNS1_3gpuE8ELNS1_3repE0EEENS1_48merge_mergepath_partition_config_static_selectorELNS0_4arch9wavefront6targetE1EEEvSL_
    .private_segment_fixed_size: 0
    .sgpr_count:     14
    .sgpr_spill_count: 0
    .symbol:         _ZN7rocprim17ROCPRIM_400000_NS6detail17trampoline_kernelINS0_14default_configENS1_38merge_sort_block_merge_config_selectorIxNS0_10empty_typeEEEZZNS1_27merge_sort_block_merge_implIS3_N6thrust23THRUST_200600_302600_NS6detail15normal_iteratorINS9_10device_ptrIxEEEEPS5_jNS1_19radix_merge_compareILb0ELb1ExNS0_19identity_decomposerEEEEE10hipError_tT0_T1_T2_jT3_P12ihipStream_tbPNSt15iterator_traitsISK_E10value_typeEPNSQ_ISL_E10value_typeEPSM_NS1_7vsmem_tEENKUlT_SK_SL_SM_E_clIPxSE_SF_SF_EESJ_SZ_SK_SL_SM_EUlSZ_E_NS1_11comp_targetILNS1_3genE4ELNS1_11target_archE910ELNS1_3gpuE8ELNS1_3repE0EEENS1_48merge_mergepath_partition_config_static_selectorELNS0_4arch9wavefront6targetE1EEEvSL_.kd
    .uniform_work_group_size: 1
    .uses_dynamic_stack: false
    .vgpr_count:     16
    .vgpr_spill_count: 0
    .wavefront_size: 64
  - .agpr_count:     0
    .args:
      - .offset:         0
        .size:           40
        .value_kind:     by_value
    .group_segment_fixed_size: 0
    .kernarg_segment_align: 8
    .kernarg_segment_size: 40
    .language:       OpenCL C
    .language_version:
      - 2
      - 0
    .max_flat_workgroup_size: 128
    .name:           _ZN7rocprim17ROCPRIM_400000_NS6detail17trampoline_kernelINS0_14default_configENS1_38merge_sort_block_merge_config_selectorIxNS0_10empty_typeEEEZZNS1_27merge_sort_block_merge_implIS3_N6thrust23THRUST_200600_302600_NS6detail15normal_iteratorINS9_10device_ptrIxEEEEPS5_jNS1_19radix_merge_compareILb0ELb1ExNS0_19identity_decomposerEEEEE10hipError_tT0_T1_T2_jT3_P12ihipStream_tbPNSt15iterator_traitsISK_E10value_typeEPNSQ_ISL_E10value_typeEPSM_NS1_7vsmem_tEENKUlT_SK_SL_SM_E_clIPxSE_SF_SF_EESJ_SZ_SK_SL_SM_EUlSZ_E_NS1_11comp_targetILNS1_3genE3ELNS1_11target_archE908ELNS1_3gpuE7ELNS1_3repE0EEENS1_48merge_mergepath_partition_config_static_selectorELNS0_4arch9wavefront6targetE1EEEvSL_
    .private_segment_fixed_size: 0
    .sgpr_count:     4
    .sgpr_spill_count: 0
    .symbol:         _ZN7rocprim17ROCPRIM_400000_NS6detail17trampoline_kernelINS0_14default_configENS1_38merge_sort_block_merge_config_selectorIxNS0_10empty_typeEEEZZNS1_27merge_sort_block_merge_implIS3_N6thrust23THRUST_200600_302600_NS6detail15normal_iteratorINS9_10device_ptrIxEEEEPS5_jNS1_19radix_merge_compareILb0ELb1ExNS0_19identity_decomposerEEEEE10hipError_tT0_T1_T2_jT3_P12ihipStream_tbPNSt15iterator_traitsISK_E10value_typeEPNSQ_ISL_E10value_typeEPSM_NS1_7vsmem_tEENKUlT_SK_SL_SM_E_clIPxSE_SF_SF_EESJ_SZ_SK_SL_SM_EUlSZ_E_NS1_11comp_targetILNS1_3genE3ELNS1_11target_archE908ELNS1_3gpuE7ELNS1_3repE0EEENS1_48merge_mergepath_partition_config_static_selectorELNS0_4arch9wavefront6targetE1EEEvSL_.kd
    .uniform_work_group_size: 1
    .uses_dynamic_stack: false
    .vgpr_count:     0
    .vgpr_spill_count: 0
    .wavefront_size: 64
  - .agpr_count:     0
    .args:
      - .offset:         0
        .size:           40
        .value_kind:     by_value
    .group_segment_fixed_size: 0
    .kernarg_segment_align: 8
    .kernarg_segment_size: 40
    .language:       OpenCL C
    .language_version:
      - 2
      - 0
    .max_flat_workgroup_size: 128
    .name:           _ZN7rocprim17ROCPRIM_400000_NS6detail17trampoline_kernelINS0_14default_configENS1_38merge_sort_block_merge_config_selectorIxNS0_10empty_typeEEEZZNS1_27merge_sort_block_merge_implIS3_N6thrust23THRUST_200600_302600_NS6detail15normal_iteratorINS9_10device_ptrIxEEEEPS5_jNS1_19radix_merge_compareILb0ELb1ExNS0_19identity_decomposerEEEEE10hipError_tT0_T1_T2_jT3_P12ihipStream_tbPNSt15iterator_traitsISK_E10value_typeEPNSQ_ISL_E10value_typeEPSM_NS1_7vsmem_tEENKUlT_SK_SL_SM_E_clIPxSE_SF_SF_EESJ_SZ_SK_SL_SM_EUlSZ_E_NS1_11comp_targetILNS1_3genE2ELNS1_11target_archE906ELNS1_3gpuE6ELNS1_3repE0EEENS1_48merge_mergepath_partition_config_static_selectorELNS0_4arch9wavefront6targetE1EEEvSL_
    .private_segment_fixed_size: 0
    .sgpr_count:     4
    .sgpr_spill_count: 0
    .symbol:         _ZN7rocprim17ROCPRIM_400000_NS6detail17trampoline_kernelINS0_14default_configENS1_38merge_sort_block_merge_config_selectorIxNS0_10empty_typeEEEZZNS1_27merge_sort_block_merge_implIS3_N6thrust23THRUST_200600_302600_NS6detail15normal_iteratorINS9_10device_ptrIxEEEEPS5_jNS1_19radix_merge_compareILb0ELb1ExNS0_19identity_decomposerEEEEE10hipError_tT0_T1_T2_jT3_P12ihipStream_tbPNSt15iterator_traitsISK_E10value_typeEPNSQ_ISL_E10value_typeEPSM_NS1_7vsmem_tEENKUlT_SK_SL_SM_E_clIPxSE_SF_SF_EESJ_SZ_SK_SL_SM_EUlSZ_E_NS1_11comp_targetILNS1_3genE2ELNS1_11target_archE906ELNS1_3gpuE6ELNS1_3repE0EEENS1_48merge_mergepath_partition_config_static_selectorELNS0_4arch9wavefront6targetE1EEEvSL_.kd
    .uniform_work_group_size: 1
    .uses_dynamic_stack: false
    .vgpr_count:     0
    .vgpr_spill_count: 0
    .wavefront_size: 64
  - .agpr_count:     0
    .args:
      - .offset:         0
        .size:           40
        .value_kind:     by_value
    .group_segment_fixed_size: 0
    .kernarg_segment_align: 8
    .kernarg_segment_size: 40
    .language:       OpenCL C
    .language_version:
      - 2
      - 0
    .max_flat_workgroup_size: 128
    .name:           _ZN7rocprim17ROCPRIM_400000_NS6detail17trampoline_kernelINS0_14default_configENS1_38merge_sort_block_merge_config_selectorIxNS0_10empty_typeEEEZZNS1_27merge_sort_block_merge_implIS3_N6thrust23THRUST_200600_302600_NS6detail15normal_iteratorINS9_10device_ptrIxEEEEPS5_jNS1_19radix_merge_compareILb0ELb1ExNS0_19identity_decomposerEEEEE10hipError_tT0_T1_T2_jT3_P12ihipStream_tbPNSt15iterator_traitsISK_E10value_typeEPNSQ_ISL_E10value_typeEPSM_NS1_7vsmem_tEENKUlT_SK_SL_SM_E_clIPxSE_SF_SF_EESJ_SZ_SK_SL_SM_EUlSZ_E_NS1_11comp_targetILNS1_3genE9ELNS1_11target_archE1100ELNS1_3gpuE3ELNS1_3repE0EEENS1_48merge_mergepath_partition_config_static_selectorELNS0_4arch9wavefront6targetE1EEEvSL_
    .private_segment_fixed_size: 0
    .sgpr_count:     4
    .sgpr_spill_count: 0
    .symbol:         _ZN7rocprim17ROCPRIM_400000_NS6detail17trampoline_kernelINS0_14default_configENS1_38merge_sort_block_merge_config_selectorIxNS0_10empty_typeEEEZZNS1_27merge_sort_block_merge_implIS3_N6thrust23THRUST_200600_302600_NS6detail15normal_iteratorINS9_10device_ptrIxEEEEPS5_jNS1_19radix_merge_compareILb0ELb1ExNS0_19identity_decomposerEEEEE10hipError_tT0_T1_T2_jT3_P12ihipStream_tbPNSt15iterator_traitsISK_E10value_typeEPNSQ_ISL_E10value_typeEPSM_NS1_7vsmem_tEENKUlT_SK_SL_SM_E_clIPxSE_SF_SF_EESJ_SZ_SK_SL_SM_EUlSZ_E_NS1_11comp_targetILNS1_3genE9ELNS1_11target_archE1100ELNS1_3gpuE3ELNS1_3repE0EEENS1_48merge_mergepath_partition_config_static_selectorELNS0_4arch9wavefront6targetE1EEEvSL_.kd
    .uniform_work_group_size: 1
    .uses_dynamic_stack: false
    .vgpr_count:     0
    .vgpr_spill_count: 0
    .wavefront_size: 64
  - .agpr_count:     0
    .args:
      - .offset:         0
        .size:           40
        .value_kind:     by_value
    .group_segment_fixed_size: 0
    .kernarg_segment_align: 8
    .kernarg_segment_size: 40
    .language:       OpenCL C
    .language_version:
      - 2
      - 0
    .max_flat_workgroup_size: 128
    .name:           _ZN7rocprim17ROCPRIM_400000_NS6detail17trampoline_kernelINS0_14default_configENS1_38merge_sort_block_merge_config_selectorIxNS0_10empty_typeEEEZZNS1_27merge_sort_block_merge_implIS3_N6thrust23THRUST_200600_302600_NS6detail15normal_iteratorINS9_10device_ptrIxEEEEPS5_jNS1_19radix_merge_compareILb0ELb1ExNS0_19identity_decomposerEEEEE10hipError_tT0_T1_T2_jT3_P12ihipStream_tbPNSt15iterator_traitsISK_E10value_typeEPNSQ_ISL_E10value_typeEPSM_NS1_7vsmem_tEENKUlT_SK_SL_SM_E_clIPxSE_SF_SF_EESJ_SZ_SK_SL_SM_EUlSZ_E_NS1_11comp_targetILNS1_3genE8ELNS1_11target_archE1030ELNS1_3gpuE2ELNS1_3repE0EEENS1_48merge_mergepath_partition_config_static_selectorELNS0_4arch9wavefront6targetE1EEEvSL_
    .private_segment_fixed_size: 0
    .sgpr_count:     4
    .sgpr_spill_count: 0
    .symbol:         _ZN7rocprim17ROCPRIM_400000_NS6detail17trampoline_kernelINS0_14default_configENS1_38merge_sort_block_merge_config_selectorIxNS0_10empty_typeEEEZZNS1_27merge_sort_block_merge_implIS3_N6thrust23THRUST_200600_302600_NS6detail15normal_iteratorINS9_10device_ptrIxEEEEPS5_jNS1_19radix_merge_compareILb0ELb1ExNS0_19identity_decomposerEEEEE10hipError_tT0_T1_T2_jT3_P12ihipStream_tbPNSt15iterator_traitsISK_E10value_typeEPNSQ_ISL_E10value_typeEPSM_NS1_7vsmem_tEENKUlT_SK_SL_SM_E_clIPxSE_SF_SF_EESJ_SZ_SK_SL_SM_EUlSZ_E_NS1_11comp_targetILNS1_3genE8ELNS1_11target_archE1030ELNS1_3gpuE2ELNS1_3repE0EEENS1_48merge_mergepath_partition_config_static_selectorELNS0_4arch9wavefront6targetE1EEEvSL_.kd
    .uniform_work_group_size: 1
    .uses_dynamic_stack: false
    .vgpr_count:     0
    .vgpr_spill_count: 0
    .wavefront_size: 64
  - .agpr_count:     0
    .args:
      - .offset:         0
        .size:           72
        .value_kind:     by_value
    .group_segment_fixed_size: 0
    .kernarg_segment_align: 8
    .kernarg_segment_size: 72
    .language:       OpenCL C
    .language_version:
      - 2
      - 0
    .max_flat_workgroup_size: 128
    .name:           _ZN7rocprim17ROCPRIM_400000_NS6detail17trampoline_kernelINS0_14default_configENS1_38merge_sort_block_merge_config_selectorIxNS0_10empty_typeEEEZZNS1_27merge_sort_block_merge_implIS3_N6thrust23THRUST_200600_302600_NS6detail15normal_iteratorINS9_10device_ptrIxEEEEPS5_jNS1_19radix_merge_compareILb0ELb1ExNS0_19identity_decomposerEEEEE10hipError_tT0_T1_T2_jT3_P12ihipStream_tbPNSt15iterator_traitsISK_E10value_typeEPNSQ_ISL_E10value_typeEPSM_NS1_7vsmem_tEENKUlT_SK_SL_SM_E_clIPxSE_SF_SF_EESJ_SZ_SK_SL_SM_EUlSZ_E0_NS1_11comp_targetILNS1_3genE0ELNS1_11target_archE4294967295ELNS1_3gpuE0ELNS1_3repE0EEENS1_38merge_mergepath_config_static_selectorELNS0_4arch9wavefront6targetE1EEEvSL_
    .private_segment_fixed_size: 0
    .sgpr_count:     4
    .sgpr_spill_count: 0
    .symbol:         _ZN7rocprim17ROCPRIM_400000_NS6detail17trampoline_kernelINS0_14default_configENS1_38merge_sort_block_merge_config_selectorIxNS0_10empty_typeEEEZZNS1_27merge_sort_block_merge_implIS3_N6thrust23THRUST_200600_302600_NS6detail15normal_iteratorINS9_10device_ptrIxEEEEPS5_jNS1_19radix_merge_compareILb0ELb1ExNS0_19identity_decomposerEEEEE10hipError_tT0_T1_T2_jT3_P12ihipStream_tbPNSt15iterator_traitsISK_E10value_typeEPNSQ_ISL_E10value_typeEPSM_NS1_7vsmem_tEENKUlT_SK_SL_SM_E_clIPxSE_SF_SF_EESJ_SZ_SK_SL_SM_EUlSZ_E0_NS1_11comp_targetILNS1_3genE0ELNS1_11target_archE4294967295ELNS1_3gpuE0ELNS1_3repE0EEENS1_38merge_mergepath_config_static_selectorELNS0_4arch9wavefront6targetE1EEEvSL_.kd
    .uniform_work_group_size: 1
    .uses_dynamic_stack: false
    .vgpr_count:     0
    .vgpr_spill_count: 0
    .wavefront_size: 64
  - .agpr_count:     0
    .args:
      - .offset:         0
        .size:           72
        .value_kind:     by_value
    .group_segment_fixed_size: 0
    .kernarg_segment_align: 8
    .kernarg_segment_size: 72
    .language:       OpenCL C
    .language_version:
      - 2
      - 0
    .max_flat_workgroup_size: 512
    .name:           _ZN7rocprim17ROCPRIM_400000_NS6detail17trampoline_kernelINS0_14default_configENS1_38merge_sort_block_merge_config_selectorIxNS0_10empty_typeEEEZZNS1_27merge_sort_block_merge_implIS3_N6thrust23THRUST_200600_302600_NS6detail15normal_iteratorINS9_10device_ptrIxEEEEPS5_jNS1_19radix_merge_compareILb0ELb1ExNS0_19identity_decomposerEEEEE10hipError_tT0_T1_T2_jT3_P12ihipStream_tbPNSt15iterator_traitsISK_E10value_typeEPNSQ_ISL_E10value_typeEPSM_NS1_7vsmem_tEENKUlT_SK_SL_SM_E_clIPxSE_SF_SF_EESJ_SZ_SK_SL_SM_EUlSZ_E0_NS1_11comp_targetILNS1_3genE10ELNS1_11target_archE1201ELNS1_3gpuE5ELNS1_3repE0EEENS1_38merge_mergepath_config_static_selectorELNS0_4arch9wavefront6targetE1EEEvSL_
    .private_segment_fixed_size: 0
    .sgpr_count:     4
    .sgpr_spill_count: 0
    .symbol:         _ZN7rocprim17ROCPRIM_400000_NS6detail17trampoline_kernelINS0_14default_configENS1_38merge_sort_block_merge_config_selectorIxNS0_10empty_typeEEEZZNS1_27merge_sort_block_merge_implIS3_N6thrust23THRUST_200600_302600_NS6detail15normal_iteratorINS9_10device_ptrIxEEEEPS5_jNS1_19radix_merge_compareILb0ELb1ExNS0_19identity_decomposerEEEEE10hipError_tT0_T1_T2_jT3_P12ihipStream_tbPNSt15iterator_traitsISK_E10value_typeEPNSQ_ISL_E10value_typeEPSM_NS1_7vsmem_tEENKUlT_SK_SL_SM_E_clIPxSE_SF_SF_EESJ_SZ_SK_SL_SM_EUlSZ_E0_NS1_11comp_targetILNS1_3genE10ELNS1_11target_archE1201ELNS1_3gpuE5ELNS1_3repE0EEENS1_38merge_mergepath_config_static_selectorELNS0_4arch9wavefront6targetE1EEEvSL_.kd
    .uniform_work_group_size: 1
    .uses_dynamic_stack: false
    .vgpr_count:     0
    .vgpr_spill_count: 0
    .wavefront_size: 64
  - .agpr_count:     0
    .args:
      - .offset:         0
        .size:           72
        .value_kind:     by_value
    .group_segment_fixed_size: 0
    .kernarg_segment_align: 8
    .kernarg_segment_size: 72
    .language:       OpenCL C
    .language_version:
      - 2
      - 0
    .max_flat_workgroup_size: 128
    .name:           _ZN7rocprim17ROCPRIM_400000_NS6detail17trampoline_kernelINS0_14default_configENS1_38merge_sort_block_merge_config_selectorIxNS0_10empty_typeEEEZZNS1_27merge_sort_block_merge_implIS3_N6thrust23THRUST_200600_302600_NS6detail15normal_iteratorINS9_10device_ptrIxEEEEPS5_jNS1_19radix_merge_compareILb0ELb1ExNS0_19identity_decomposerEEEEE10hipError_tT0_T1_T2_jT3_P12ihipStream_tbPNSt15iterator_traitsISK_E10value_typeEPNSQ_ISL_E10value_typeEPSM_NS1_7vsmem_tEENKUlT_SK_SL_SM_E_clIPxSE_SF_SF_EESJ_SZ_SK_SL_SM_EUlSZ_E0_NS1_11comp_targetILNS1_3genE5ELNS1_11target_archE942ELNS1_3gpuE9ELNS1_3repE0EEENS1_38merge_mergepath_config_static_selectorELNS0_4arch9wavefront6targetE1EEEvSL_
    .private_segment_fixed_size: 0
    .sgpr_count:     4
    .sgpr_spill_count: 0
    .symbol:         _ZN7rocprim17ROCPRIM_400000_NS6detail17trampoline_kernelINS0_14default_configENS1_38merge_sort_block_merge_config_selectorIxNS0_10empty_typeEEEZZNS1_27merge_sort_block_merge_implIS3_N6thrust23THRUST_200600_302600_NS6detail15normal_iteratorINS9_10device_ptrIxEEEEPS5_jNS1_19radix_merge_compareILb0ELb1ExNS0_19identity_decomposerEEEEE10hipError_tT0_T1_T2_jT3_P12ihipStream_tbPNSt15iterator_traitsISK_E10value_typeEPNSQ_ISL_E10value_typeEPSM_NS1_7vsmem_tEENKUlT_SK_SL_SM_E_clIPxSE_SF_SF_EESJ_SZ_SK_SL_SM_EUlSZ_E0_NS1_11comp_targetILNS1_3genE5ELNS1_11target_archE942ELNS1_3gpuE9ELNS1_3repE0EEENS1_38merge_mergepath_config_static_selectorELNS0_4arch9wavefront6targetE1EEEvSL_.kd
    .uniform_work_group_size: 1
    .uses_dynamic_stack: false
    .vgpr_count:     0
    .vgpr_spill_count: 0
    .wavefront_size: 64
  - .agpr_count:     0
    .args:
      - .offset:         0
        .size:           72
        .value_kind:     by_value
      - .offset:         72
        .size:           4
        .value_kind:     hidden_block_count_x
      - .offset:         76
        .size:           4
        .value_kind:     hidden_block_count_y
      - .offset:         80
        .size:           4
        .value_kind:     hidden_block_count_z
      - .offset:         84
        .size:           2
        .value_kind:     hidden_group_size_x
      - .offset:         86
        .size:           2
        .value_kind:     hidden_group_size_y
      - .offset:         88
        .size:           2
        .value_kind:     hidden_group_size_z
      - .offset:         90
        .size:           2
        .value_kind:     hidden_remainder_x
      - .offset:         92
        .size:           2
        .value_kind:     hidden_remainder_y
      - .offset:         94
        .size:           2
        .value_kind:     hidden_remainder_z
      - .offset:         112
        .size:           8
        .value_kind:     hidden_global_offset_x
      - .offset:         120
        .size:           8
        .value_kind:     hidden_global_offset_y
      - .offset:         128
        .size:           8
        .value_kind:     hidden_global_offset_z
      - .offset:         136
        .size:           2
        .value_kind:     hidden_grid_dims
    .group_segment_fixed_size: 8448
    .kernarg_segment_align: 8
    .kernarg_segment_size: 328
    .language:       OpenCL C
    .language_version:
      - 2
      - 0
    .max_flat_workgroup_size: 256
    .name:           _ZN7rocprim17ROCPRIM_400000_NS6detail17trampoline_kernelINS0_14default_configENS1_38merge_sort_block_merge_config_selectorIxNS0_10empty_typeEEEZZNS1_27merge_sort_block_merge_implIS3_N6thrust23THRUST_200600_302600_NS6detail15normal_iteratorINS9_10device_ptrIxEEEEPS5_jNS1_19radix_merge_compareILb0ELb1ExNS0_19identity_decomposerEEEEE10hipError_tT0_T1_T2_jT3_P12ihipStream_tbPNSt15iterator_traitsISK_E10value_typeEPNSQ_ISL_E10value_typeEPSM_NS1_7vsmem_tEENKUlT_SK_SL_SM_E_clIPxSE_SF_SF_EESJ_SZ_SK_SL_SM_EUlSZ_E0_NS1_11comp_targetILNS1_3genE4ELNS1_11target_archE910ELNS1_3gpuE8ELNS1_3repE0EEENS1_38merge_mergepath_config_static_selectorELNS0_4arch9wavefront6targetE1EEEvSL_
    .private_segment_fixed_size: 0
    .sgpr_count:     30
    .sgpr_spill_count: 0
    .symbol:         _ZN7rocprim17ROCPRIM_400000_NS6detail17trampoline_kernelINS0_14default_configENS1_38merge_sort_block_merge_config_selectorIxNS0_10empty_typeEEEZZNS1_27merge_sort_block_merge_implIS3_N6thrust23THRUST_200600_302600_NS6detail15normal_iteratorINS9_10device_ptrIxEEEEPS5_jNS1_19radix_merge_compareILb0ELb1ExNS0_19identity_decomposerEEEEE10hipError_tT0_T1_T2_jT3_P12ihipStream_tbPNSt15iterator_traitsISK_E10value_typeEPNSQ_ISL_E10value_typeEPSM_NS1_7vsmem_tEENKUlT_SK_SL_SM_E_clIPxSE_SF_SF_EESJ_SZ_SK_SL_SM_EUlSZ_E0_NS1_11comp_targetILNS1_3genE4ELNS1_11target_archE910ELNS1_3gpuE8ELNS1_3repE0EEENS1_38merge_mergepath_config_static_selectorELNS0_4arch9wavefront6targetE1EEEvSL_.kd
    .uniform_work_group_size: 1
    .uses_dynamic_stack: false
    .vgpr_count:     23
    .vgpr_spill_count: 0
    .wavefront_size: 64
  - .agpr_count:     0
    .args:
      - .offset:         0
        .size:           72
        .value_kind:     by_value
    .group_segment_fixed_size: 0
    .kernarg_segment_align: 8
    .kernarg_segment_size: 72
    .language:       OpenCL C
    .language_version:
      - 2
      - 0
    .max_flat_workgroup_size: 128
    .name:           _ZN7rocprim17ROCPRIM_400000_NS6detail17trampoline_kernelINS0_14default_configENS1_38merge_sort_block_merge_config_selectorIxNS0_10empty_typeEEEZZNS1_27merge_sort_block_merge_implIS3_N6thrust23THRUST_200600_302600_NS6detail15normal_iteratorINS9_10device_ptrIxEEEEPS5_jNS1_19radix_merge_compareILb0ELb1ExNS0_19identity_decomposerEEEEE10hipError_tT0_T1_T2_jT3_P12ihipStream_tbPNSt15iterator_traitsISK_E10value_typeEPNSQ_ISL_E10value_typeEPSM_NS1_7vsmem_tEENKUlT_SK_SL_SM_E_clIPxSE_SF_SF_EESJ_SZ_SK_SL_SM_EUlSZ_E0_NS1_11comp_targetILNS1_3genE3ELNS1_11target_archE908ELNS1_3gpuE7ELNS1_3repE0EEENS1_38merge_mergepath_config_static_selectorELNS0_4arch9wavefront6targetE1EEEvSL_
    .private_segment_fixed_size: 0
    .sgpr_count:     4
    .sgpr_spill_count: 0
    .symbol:         _ZN7rocprim17ROCPRIM_400000_NS6detail17trampoline_kernelINS0_14default_configENS1_38merge_sort_block_merge_config_selectorIxNS0_10empty_typeEEEZZNS1_27merge_sort_block_merge_implIS3_N6thrust23THRUST_200600_302600_NS6detail15normal_iteratorINS9_10device_ptrIxEEEEPS5_jNS1_19radix_merge_compareILb0ELb1ExNS0_19identity_decomposerEEEEE10hipError_tT0_T1_T2_jT3_P12ihipStream_tbPNSt15iterator_traitsISK_E10value_typeEPNSQ_ISL_E10value_typeEPSM_NS1_7vsmem_tEENKUlT_SK_SL_SM_E_clIPxSE_SF_SF_EESJ_SZ_SK_SL_SM_EUlSZ_E0_NS1_11comp_targetILNS1_3genE3ELNS1_11target_archE908ELNS1_3gpuE7ELNS1_3repE0EEENS1_38merge_mergepath_config_static_selectorELNS0_4arch9wavefront6targetE1EEEvSL_.kd
    .uniform_work_group_size: 1
    .uses_dynamic_stack: false
    .vgpr_count:     0
    .vgpr_spill_count: 0
    .wavefront_size: 64
  - .agpr_count:     0
    .args:
      - .offset:         0
        .size:           72
        .value_kind:     by_value
    .group_segment_fixed_size: 0
    .kernarg_segment_align: 8
    .kernarg_segment_size: 72
    .language:       OpenCL C
    .language_version:
      - 2
      - 0
    .max_flat_workgroup_size: 256
    .name:           _ZN7rocprim17ROCPRIM_400000_NS6detail17trampoline_kernelINS0_14default_configENS1_38merge_sort_block_merge_config_selectorIxNS0_10empty_typeEEEZZNS1_27merge_sort_block_merge_implIS3_N6thrust23THRUST_200600_302600_NS6detail15normal_iteratorINS9_10device_ptrIxEEEEPS5_jNS1_19radix_merge_compareILb0ELb1ExNS0_19identity_decomposerEEEEE10hipError_tT0_T1_T2_jT3_P12ihipStream_tbPNSt15iterator_traitsISK_E10value_typeEPNSQ_ISL_E10value_typeEPSM_NS1_7vsmem_tEENKUlT_SK_SL_SM_E_clIPxSE_SF_SF_EESJ_SZ_SK_SL_SM_EUlSZ_E0_NS1_11comp_targetILNS1_3genE2ELNS1_11target_archE906ELNS1_3gpuE6ELNS1_3repE0EEENS1_38merge_mergepath_config_static_selectorELNS0_4arch9wavefront6targetE1EEEvSL_
    .private_segment_fixed_size: 0
    .sgpr_count:     4
    .sgpr_spill_count: 0
    .symbol:         _ZN7rocprim17ROCPRIM_400000_NS6detail17trampoline_kernelINS0_14default_configENS1_38merge_sort_block_merge_config_selectorIxNS0_10empty_typeEEEZZNS1_27merge_sort_block_merge_implIS3_N6thrust23THRUST_200600_302600_NS6detail15normal_iteratorINS9_10device_ptrIxEEEEPS5_jNS1_19radix_merge_compareILb0ELb1ExNS0_19identity_decomposerEEEEE10hipError_tT0_T1_T2_jT3_P12ihipStream_tbPNSt15iterator_traitsISK_E10value_typeEPNSQ_ISL_E10value_typeEPSM_NS1_7vsmem_tEENKUlT_SK_SL_SM_E_clIPxSE_SF_SF_EESJ_SZ_SK_SL_SM_EUlSZ_E0_NS1_11comp_targetILNS1_3genE2ELNS1_11target_archE906ELNS1_3gpuE6ELNS1_3repE0EEENS1_38merge_mergepath_config_static_selectorELNS0_4arch9wavefront6targetE1EEEvSL_.kd
    .uniform_work_group_size: 1
    .uses_dynamic_stack: false
    .vgpr_count:     0
    .vgpr_spill_count: 0
    .wavefront_size: 64
  - .agpr_count:     0
    .args:
      - .offset:         0
        .size:           72
        .value_kind:     by_value
    .group_segment_fixed_size: 0
    .kernarg_segment_align: 8
    .kernarg_segment_size: 72
    .language:       OpenCL C
    .language_version:
      - 2
      - 0
    .max_flat_workgroup_size: 512
    .name:           _ZN7rocprim17ROCPRIM_400000_NS6detail17trampoline_kernelINS0_14default_configENS1_38merge_sort_block_merge_config_selectorIxNS0_10empty_typeEEEZZNS1_27merge_sort_block_merge_implIS3_N6thrust23THRUST_200600_302600_NS6detail15normal_iteratorINS9_10device_ptrIxEEEEPS5_jNS1_19radix_merge_compareILb0ELb1ExNS0_19identity_decomposerEEEEE10hipError_tT0_T1_T2_jT3_P12ihipStream_tbPNSt15iterator_traitsISK_E10value_typeEPNSQ_ISL_E10value_typeEPSM_NS1_7vsmem_tEENKUlT_SK_SL_SM_E_clIPxSE_SF_SF_EESJ_SZ_SK_SL_SM_EUlSZ_E0_NS1_11comp_targetILNS1_3genE9ELNS1_11target_archE1100ELNS1_3gpuE3ELNS1_3repE0EEENS1_38merge_mergepath_config_static_selectorELNS0_4arch9wavefront6targetE1EEEvSL_
    .private_segment_fixed_size: 0
    .sgpr_count:     4
    .sgpr_spill_count: 0
    .symbol:         _ZN7rocprim17ROCPRIM_400000_NS6detail17trampoline_kernelINS0_14default_configENS1_38merge_sort_block_merge_config_selectorIxNS0_10empty_typeEEEZZNS1_27merge_sort_block_merge_implIS3_N6thrust23THRUST_200600_302600_NS6detail15normal_iteratorINS9_10device_ptrIxEEEEPS5_jNS1_19radix_merge_compareILb0ELb1ExNS0_19identity_decomposerEEEEE10hipError_tT0_T1_T2_jT3_P12ihipStream_tbPNSt15iterator_traitsISK_E10value_typeEPNSQ_ISL_E10value_typeEPSM_NS1_7vsmem_tEENKUlT_SK_SL_SM_E_clIPxSE_SF_SF_EESJ_SZ_SK_SL_SM_EUlSZ_E0_NS1_11comp_targetILNS1_3genE9ELNS1_11target_archE1100ELNS1_3gpuE3ELNS1_3repE0EEENS1_38merge_mergepath_config_static_selectorELNS0_4arch9wavefront6targetE1EEEvSL_.kd
    .uniform_work_group_size: 1
    .uses_dynamic_stack: false
    .vgpr_count:     0
    .vgpr_spill_count: 0
    .wavefront_size: 64
  - .agpr_count:     0
    .args:
      - .offset:         0
        .size:           72
        .value_kind:     by_value
    .group_segment_fixed_size: 0
    .kernarg_segment_align: 8
    .kernarg_segment_size: 72
    .language:       OpenCL C
    .language_version:
      - 2
      - 0
    .max_flat_workgroup_size: 1024
    .name:           _ZN7rocprim17ROCPRIM_400000_NS6detail17trampoline_kernelINS0_14default_configENS1_38merge_sort_block_merge_config_selectorIxNS0_10empty_typeEEEZZNS1_27merge_sort_block_merge_implIS3_N6thrust23THRUST_200600_302600_NS6detail15normal_iteratorINS9_10device_ptrIxEEEEPS5_jNS1_19radix_merge_compareILb0ELb1ExNS0_19identity_decomposerEEEEE10hipError_tT0_T1_T2_jT3_P12ihipStream_tbPNSt15iterator_traitsISK_E10value_typeEPNSQ_ISL_E10value_typeEPSM_NS1_7vsmem_tEENKUlT_SK_SL_SM_E_clIPxSE_SF_SF_EESJ_SZ_SK_SL_SM_EUlSZ_E0_NS1_11comp_targetILNS1_3genE8ELNS1_11target_archE1030ELNS1_3gpuE2ELNS1_3repE0EEENS1_38merge_mergepath_config_static_selectorELNS0_4arch9wavefront6targetE1EEEvSL_
    .private_segment_fixed_size: 0
    .sgpr_count:     4
    .sgpr_spill_count: 0
    .symbol:         _ZN7rocprim17ROCPRIM_400000_NS6detail17trampoline_kernelINS0_14default_configENS1_38merge_sort_block_merge_config_selectorIxNS0_10empty_typeEEEZZNS1_27merge_sort_block_merge_implIS3_N6thrust23THRUST_200600_302600_NS6detail15normal_iteratorINS9_10device_ptrIxEEEEPS5_jNS1_19radix_merge_compareILb0ELb1ExNS0_19identity_decomposerEEEEE10hipError_tT0_T1_T2_jT3_P12ihipStream_tbPNSt15iterator_traitsISK_E10value_typeEPNSQ_ISL_E10value_typeEPSM_NS1_7vsmem_tEENKUlT_SK_SL_SM_E_clIPxSE_SF_SF_EESJ_SZ_SK_SL_SM_EUlSZ_E0_NS1_11comp_targetILNS1_3genE8ELNS1_11target_archE1030ELNS1_3gpuE2ELNS1_3repE0EEENS1_38merge_mergepath_config_static_selectorELNS0_4arch9wavefront6targetE1EEEvSL_.kd
    .uniform_work_group_size: 1
    .uses_dynamic_stack: false
    .vgpr_count:     0
    .vgpr_spill_count: 0
    .wavefront_size: 64
  - .agpr_count:     0
    .args:
      - .offset:         0
        .size:           48
        .value_kind:     by_value
    .group_segment_fixed_size: 0
    .kernarg_segment_align: 8
    .kernarg_segment_size: 48
    .language:       OpenCL C
    .language_version:
      - 2
      - 0
    .max_flat_workgroup_size: 256
    .name:           _ZN7rocprim17ROCPRIM_400000_NS6detail17trampoline_kernelINS0_14default_configENS1_38merge_sort_block_merge_config_selectorIxNS0_10empty_typeEEEZZNS1_27merge_sort_block_merge_implIS3_N6thrust23THRUST_200600_302600_NS6detail15normal_iteratorINS9_10device_ptrIxEEEEPS5_jNS1_19radix_merge_compareILb0ELb1ExNS0_19identity_decomposerEEEEE10hipError_tT0_T1_T2_jT3_P12ihipStream_tbPNSt15iterator_traitsISK_E10value_typeEPNSQ_ISL_E10value_typeEPSM_NS1_7vsmem_tEENKUlT_SK_SL_SM_E_clIPxSE_SF_SF_EESJ_SZ_SK_SL_SM_EUlSZ_E1_NS1_11comp_targetILNS1_3genE0ELNS1_11target_archE4294967295ELNS1_3gpuE0ELNS1_3repE0EEENS1_36merge_oddeven_config_static_selectorELNS0_4arch9wavefront6targetE1EEEvSL_
    .private_segment_fixed_size: 0
    .sgpr_count:     4
    .sgpr_spill_count: 0
    .symbol:         _ZN7rocprim17ROCPRIM_400000_NS6detail17trampoline_kernelINS0_14default_configENS1_38merge_sort_block_merge_config_selectorIxNS0_10empty_typeEEEZZNS1_27merge_sort_block_merge_implIS3_N6thrust23THRUST_200600_302600_NS6detail15normal_iteratorINS9_10device_ptrIxEEEEPS5_jNS1_19radix_merge_compareILb0ELb1ExNS0_19identity_decomposerEEEEE10hipError_tT0_T1_T2_jT3_P12ihipStream_tbPNSt15iterator_traitsISK_E10value_typeEPNSQ_ISL_E10value_typeEPSM_NS1_7vsmem_tEENKUlT_SK_SL_SM_E_clIPxSE_SF_SF_EESJ_SZ_SK_SL_SM_EUlSZ_E1_NS1_11comp_targetILNS1_3genE0ELNS1_11target_archE4294967295ELNS1_3gpuE0ELNS1_3repE0EEENS1_36merge_oddeven_config_static_selectorELNS0_4arch9wavefront6targetE1EEEvSL_.kd
    .uniform_work_group_size: 1
    .uses_dynamic_stack: false
    .vgpr_count:     0
    .vgpr_spill_count: 0
    .wavefront_size: 64
  - .agpr_count:     0
    .args:
      - .offset:         0
        .size:           48
        .value_kind:     by_value
    .group_segment_fixed_size: 0
    .kernarg_segment_align: 8
    .kernarg_segment_size: 48
    .language:       OpenCL C
    .language_version:
      - 2
      - 0
    .max_flat_workgroup_size: 256
    .name:           _ZN7rocprim17ROCPRIM_400000_NS6detail17trampoline_kernelINS0_14default_configENS1_38merge_sort_block_merge_config_selectorIxNS0_10empty_typeEEEZZNS1_27merge_sort_block_merge_implIS3_N6thrust23THRUST_200600_302600_NS6detail15normal_iteratorINS9_10device_ptrIxEEEEPS5_jNS1_19radix_merge_compareILb0ELb1ExNS0_19identity_decomposerEEEEE10hipError_tT0_T1_T2_jT3_P12ihipStream_tbPNSt15iterator_traitsISK_E10value_typeEPNSQ_ISL_E10value_typeEPSM_NS1_7vsmem_tEENKUlT_SK_SL_SM_E_clIPxSE_SF_SF_EESJ_SZ_SK_SL_SM_EUlSZ_E1_NS1_11comp_targetILNS1_3genE10ELNS1_11target_archE1201ELNS1_3gpuE5ELNS1_3repE0EEENS1_36merge_oddeven_config_static_selectorELNS0_4arch9wavefront6targetE1EEEvSL_
    .private_segment_fixed_size: 0
    .sgpr_count:     4
    .sgpr_spill_count: 0
    .symbol:         _ZN7rocprim17ROCPRIM_400000_NS6detail17trampoline_kernelINS0_14default_configENS1_38merge_sort_block_merge_config_selectorIxNS0_10empty_typeEEEZZNS1_27merge_sort_block_merge_implIS3_N6thrust23THRUST_200600_302600_NS6detail15normal_iteratorINS9_10device_ptrIxEEEEPS5_jNS1_19radix_merge_compareILb0ELb1ExNS0_19identity_decomposerEEEEE10hipError_tT0_T1_T2_jT3_P12ihipStream_tbPNSt15iterator_traitsISK_E10value_typeEPNSQ_ISL_E10value_typeEPSM_NS1_7vsmem_tEENKUlT_SK_SL_SM_E_clIPxSE_SF_SF_EESJ_SZ_SK_SL_SM_EUlSZ_E1_NS1_11comp_targetILNS1_3genE10ELNS1_11target_archE1201ELNS1_3gpuE5ELNS1_3repE0EEENS1_36merge_oddeven_config_static_selectorELNS0_4arch9wavefront6targetE1EEEvSL_.kd
    .uniform_work_group_size: 1
    .uses_dynamic_stack: false
    .vgpr_count:     0
    .vgpr_spill_count: 0
    .wavefront_size: 64
  - .agpr_count:     0
    .args:
      - .offset:         0
        .size:           48
        .value_kind:     by_value
    .group_segment_fixed_size: 0
    .kernarg_segment_align: 8
    .kernarg_segment_size: 48
    .language:       OpenCL C
    .language_version:
      - 2
      - 0
    .max_flat_workgroup_size: 256
    .name:           _ZN7rocprim17ROCPRIM_400000_NS6detail17trampoline_kernelINS0_14default_configENS1_38merge_sort_block_merge_config_selectorIxNS0_10empty_typeEEEZZNS1_27merge_sort_block_merge_implIS3_N6thrust23THRUST_200600_302600_NS6detail15normal_iteratorINS9_10device_ptrIxEEEEPS5_jNS1_19radix_merge_compareILb0ELb1ExNS0_19identity_decomposerEEEEE10hipError_tT0_T1_T2_jT3_P12ihipStream_tbPNSt15iterator_traitsISK_E10value_typeEPNSQ_ISL_E10value_typeEPSM_NS1_7vsmem_tEENKUlT_SK_SL_SM_E_clIPxSE_SF_SF_EESJ_SZ_SK_SL_SM_EUlSZ_E1_NS1_11comp_targetILNS1_3genE5ELNS1_11target_archE942ELNS1_3gpuE9ELNS1_3repE0EEENS1_36merge_oddeven_config_static_selectorELNS0_4arch9wavefront6targetE1EEEvSL_
    .private_segment_fixed_size: 0
    .sgpr_count:     4
    .sgpr_spill_count: 0
    .symbol:         _ZN7rocprim17ROCPRIM_400000_NS6detail17trampoline_kernelINS0_14default_configENS1_38merge_sort_block_merge_config_selectorIxNS0_10empty_typeEEEZZNS1_27merge_sort_block_merge_implIS3_N6thrust23THRUST_200600_302600_NS6detail15normal_iteratorINS9_10device_ptrIxEEEEPS5_jNS1_19radix_merge_compareILb0ELb1ExNS0_19identity_decomposerEEEEE10hipError_tT0_T1_T2_jT3_P12ihipStream_tbPNSt15iterator_traitsISK_E10value_typeEPNSQ_ISL_E10value_typeEPSM_NS1_7vsmem_tEENKUlT_SK_SL_SM_E_clIPxSE_SF_SF_EESJ_SZ_SK_SL_SM_EUlSZ_E1_NS1_11comp_targetILNS1_3genE5ELNS1_11target_archE942ELNS1_3gpuE9ELNS1_3repE0EEENS1_36merge_oddeven_config_static_selectorELNS0_4arch9wavefront6targetE1EEEvSL_.kd
    .uniform_work_group_size: 1
    .uses_dynamic_stack: false
    .vgpr_count:     0
    .vgpr_spill_count: 0
    .wavefront_size: 64
  - .agpr_count:     0
    .args:
      - .offset:         0
        .size:           48
        .value_kind:     by_value
    .group_segment_fixed_size: 0
    .kernarg_segment_align: 8
    .kernarg_segment_size: 48
    .language:       OpenCL C
    .language_version:
      - 2
      - 0
    .max_flat_workgroup_size: 256
    .name:           _ZN7rocprim17ROCPRIM_400000_NS6detail17trampoline_kernelINS0_14default_configENS1_38merge_sort_block_merge_config_selectorIxNS0_10empty_typeEEEZZNS1_27merge_sort_block_merge_implIS3_N6thrust23THRUST_200600_302600_NS6detail15normal_iteratorINS9_10device_ptrIxEEEEPS5_jNS1_19radix_merge_compareILb0ELb1ExNS0_19identity_decomposerEEEEE10hipError_tT0_T1_T2_jT3_P12ihipStream_tbPNSt15iterator_traitsISK_E10value_typeEPNSQ_ISL_E10value_typeEPSM_NS1_7vsmem_tEENKUlT_SK_SL_SM_E_clIPxSE_SF_SF_EESJ_SZ_SK_SL_SM_EUlSZ_E1_NS1_11comp_targetILNS1_3genE4ELNS1_11target_archE910ELNS1_3gpuE8ELNS1_3repE0EEENS1_36merge_oddeven_config_static_selectorELNS0_4arch9wavefront6targetE1EEEvSL_
    .private_segment_fixed_size: 0
    .sgpr_count:     25
    .sgpr_spill_count: 0
    .symbol:         _ZN7rocprim17ROCPRIM_400000_NS6detail17trampoline_kernelINS0_14default_configENS1_38merge_sort_block_merge_config_selectorIxNS0_10empty_typeEEEZZNS1_27merge_sort_block_merge_implIS3_N6thrust23THRUST_200600_302600_NS6detail15normal_iteratorINS9_10device_ptrIxEEEEPS5_jNS1_19radix_merge_compareILb0ELb1ExNS0_19identity_decomposerEEEEE10hipError_tT0_T1_T2_jT3_P12ihipStream_tbPNSt15iterator_traitsISK_E10value_typeEPNSQ_ISL_E10value_typeEPSM_NS1_7vsmem_tEENKUlT_SK_SL_SM_E_clIPxSE_SF_SF_EESJ_SZ_SK_SL_SM_EUlSZ_E1_NS1_11comp_targetILNS1_3genE4ELNS1_11target_archE910ELNS1_3gpuE8ELNS1_3repE0EEENS1_36merge_oddeven_config_static_selectorELNS0_4arch9wavefront6targetE1EEEvSL_.kd
    .uniform_work_group_size: 1
    .uses_dynamic_stack: false
    .vgpr_count:     14
    .vgpr_spill_count: 0
    .wavefront_size: 64
  - .agpr_count:     0
    .args:
      - .offset:         0
        .size:           48
        .value_kind:     by_value
    .group_segment_fixed_size: 0
    .kernarg_segment_align: 8
    .kernarg_segment_size: 48
    .language:       OpenCL C
    .language_version:
      - 2
      - 0
    .max_flat_workgroup_size: 256
    .name:           _ZN7rocprim17ROCPRIM_400000_NS6detail17trampoline_kernelINS0_14default_configENS1_38merge_sort_block_merge_config_selectorIxNS0_10empty_typeEEEZZNS1_27merge_sort_block_merge_implIS3_N6thrust23THRUST_200600_302600_NS6detail15normal_iteratorINS9_10device_ptrIxEEEEPS5_jNS1_19radix_merge_compareILb0ELb1ExNS0_19identity_decomposerEEEEE10hipError_tT0_T1_T2_jT3_P12ihipStream_tbPNSt15iterator_traitsISK_E10value_typeEPNSQ_ISL_E10value_typeEPSM_NS1_7vsmem_tEENKUlT_SK_SL_SM_E_clIPxSE_SF_SF_EESJ_SZ_SK_SL_SM_EUlSZ_E1_NS1_11comp_targetILNS1_3genE3ELNS1_11target_archE908ELNS1_3gpuE7ELNS1_3repE0EEENS1_36merge_oddeven_config_static_selectorELNS0_4arch9wavefront6targetE1EEEvSL_
    .private_segment_fixed_size: 0
    .sgpr_count:     4
    .sgpr_spill_count: 0
    .symbol:         _ZN7rocprim17ROCPRIM_400000_NS6detail17trampoline_kernelINS0_14default_configENS1_38merge_sort_block_merge_config_selectorIxNS0_10empty_typeEEEZZNS1_27merge_sort_block_merge_implIS3_N6thrust23THRUST_200600_302600_NS6detail15normal_iteratorINS9_10device_ptrIxEEEEPS5_jNS1_19radix_merge_compareILb0ELb1ExNS0_19identity_decomposerEEEEE10hipError_tT0_T1_T2_jT3_P12ihipStream_tbPNSt15iterator_traitsISK_E10value_typeEPNSQ_ISL_E10value_typeEPSM_NS1_7vsmem_tEENKUlT_SK_SL_SM_E_clIPxSE_SF_SF_EESJ_SZ_SK_SL_SM_EUlSZ_E1_NS1_11comp_targetILNS1_3genE3ELNS1_11target_archE908ELNS1_3gpuE7ELNS1_3repE0EEENS1_36merge_oddeven_config_static_selectorELNS0_4arch9wavefront6targetE1EEEvSL_.kd
    .uniform_work_group_size: 1
    .uses_dynamic_stack: false
    .vgpr_count:     0
    .vgpr_spill_count: 0
    .wavefront_size: 64
  - .agpr_count:     0
    .args:
      - .offset:         0
        .size:           48
        .value_kind:     by_value
    .group_segment_fixed_size: 0
    .kernarg_segment_align: 8
    .kernarg_segment_size: 48
    .language:       OpenCL C
    .language_version:
      - 2
      - 0
    .max_flat_workgroup_size: 256
    .name:           _ZN7rocprim17ROCPRIM_400000_NS6detail17trampoline_kernelINS0_14default_configENS1_38merge_sort_block_merge_config_selectorIxNS0_10empty_typeEEEZZNS1_27merge_sort_block_merge_implIS3_N6thrust23THRUST_200600_302600_NS6detail15normal_iteratorINS9_10device_ptrIxEEEEPS5_jNS1_19radix_merge_compareILb0ELb1ExNS0_19identity_decomposerEEEEE10hipError_tT0_T1_T2_jT3_P12ihipStream_tbPNSt15iterator_traitsISK_E10value_typeEPNSQ_ISL_E10value_typeEPSM_NS1_7vsmem_tEENKUlT_SK_SL_SM_E_clIPxSE_SF_SF_EESJ_SZ_SK_SL_SM_EUlSZ_E1_NS1_11comp_targetILNS1_3genE2ELNS1_11target_archE906ELNS1_3gpuE6ELNS1_3repE0EEENS1_36merge_oddeven_config_static_selectorELNS0_4arch9wavefront6targetE1EEEvSL_
    .private_segment_fixed_size: 0
    .sgpr_count:     4
    .sgpr_spill_count: 0
    .symbol:         _ZN7rocprim17ROCPRIM_400000_NS6detail17trampoline_kernelINS0_14default_configENS1_38merge_sort_block_merge_config_selectorIxNS0_10empty_typeEEEZZNS1_27merge_sort_block_merge_implIS3_N6thrust23THRUST_200600_302600_NS6detail15normal_iteratorINS9_10device_ptrIxEEEEPS5_jNS1_19radix_merge_compareILb0ELb1ExNS0_19identity_decomposerEEEEE10hipError_tT0_T1_T2_jT3_P12ihipStream_tbPNSt15iterator_traitsISK_E10value_typeEPNSQ_ISL_E10value_typeEPSM_NS1_7vsmem_tEENKUlT_SK_SL_SM_E_clIPxSE_SF_SF_EESJ_SZ_SK_SL_SM_EUlSZ_E1_NS1_11comp_targetILNS1_3genE2ELNS1_11target_archE906ELNS1_3gpuE6ELNS1_3repE0EEENS1_36merge_oddeven_config_static_selectorELNS0_4arch9wavefront6targetE1EEEvSL_.kd
    .uniform_work_group_size: 1
    .uses_dynamic_stack: false
    .vgpr_count:     0
    .vgpr_spill_count: 0
    .wavefront_size: 64
  - .agpr_count:     0
    .args:
      - .offset:         0
        .size:           48
        .value_kind:     by_value
    .group_segment_fixed_size: 0
    .kernarg_segment_align: 8
    .kernarg_segment_size: 48
    .language:       OpenCL C
    .language_version:
      - 2
      - 0
    .max_flat_workgroup_size: 256
    .name:           _ZN7rocprim17ROCPRIM_400000_NS6detail17trampoline_kernelINS0_14default_configENS1_38merge_sort_block_merge_config_selectorIxNS0_10empty_typeEEEZZNS1_27merge_sort_block_merge_implIS3_N6thrust23THRUST_200600_302600_NS6detail15normal_iteratorINS9_10device_ptrIxEEEEPS5_jNS1_19radix_merge_compareILb0ELb1ExNS0_19identity_decomposerEEEEE10hipError_tT0_T1_T2_jT3_P12ihipStream_tbPNSt15iterator_traitsISK_E10value_typeEPNSQ_ISL_E10value_typeEPSM_NS1_7vsmem_tEENKUlT_SK_SL_SM_E_clIPxSE_SF_SF_EESJ_SZ_SK_SL_SM_EUlSZ_E1_NS1_11comp_targetILNS1_3genE9ELNS1_11target_archE1100ELNS1_3gpuE3ELNS1_3repE0EEENS1_36merge_oddeven_config_static_selectorELNS0_4arch9wavefront6targetE1EEEvSL_
    .private_segment_fixed_size: 0
    .sgpr_count:     4
    .sgpr_spill_count: 0
    .symbol:         _ZN7rocprim17ROCPRIM_400000_NS6detail17trampoline_kernelINS0_14default_configENS1_38merge_sort_block_merge_config_selectorIxNS0_10empty_typeEEEZZNS1_27merge_sort_block_merge_implIS3_N6thrust23THRUST_200600_302600_NS6detail15normal_iteratorINS9_10device_ptrIxEEEEPS5_jNS1_19radix_merge_compareILb0ELb1ExNS0_19identity_decomposerEEEEE10hipError_tT0_T1_T2_jT3_P12ihipStream_tbPNSt15iterator_traitsISK_E10value_typeEPNSQ_ISL_E10value_typeEPSM_NS1_7vsmem_tEENKUlT_SK_SL_SM_E_clIPxSE_SF_SF_EESJ_SZ_SK_SL_SM_EUlSZ_E1_NS1_11comp_targetILNS1_3genE9ELNS1_11target_archE1100ELNS1_3gpuE3ELNS1_3repE0EEENS1_36merge_oddeven_config_static_selectorELNS0_4arch9wavefront6targetE1EEEvSL_.kd
    .uniform_work_group_size: 1
    .uses_dynamic_stack: false
    .vgpr_count:     0
    .vgpr_spill_count: 0
    .wavefront_size: 64
  - .agpr_count:     0
    .args:
      - .offset:         0
        .size:           48
        .value_kind:     by_value
    .group_segment_fixed_size: 0
    .kernarg_segment_align: 8
    .kernarg_segment_size: 48
    .language:       OpenCL C
    .language_version:
      - 2
      - 0
    .max_flat_workgroup_size: 256
    .name:           _ZN7rocprim17ROCPRIM_400000_NS6detail17trampoline_kernelINS0_14default_configENS1_38merge_sort_block_merge_config_selectorIxNS0_10empty_typeEEEZZNS1_27merge_sort_block_merge_implIS3_N6thrust23THRUST_200600_302600_NS6detail15normal_iteratorINS9_10device_ptrIxEEEEPS5_jNS1_19radix_merge_compareILb0ELb1ExNS0_19identity_decomposerEEEEE10hipError_tT0_T1_T2_jT3_P12ihipStream_tbPNSt15iterator_traitsISK_E10value_typeEPNSQ_ISL_E10value_typeEPSM_NS1_7vsmem_tEENKUlT_SK_SL_SM_E_clIPxSE_SF_SF_EESJ_SZ_SK_SL_SM_EUlSZ_E1_NS1_11comp_targetILNS1_3genE8ELNS1_11target_archE1030ELNS1_3gpuE2ELNS1_3repE0EEENS1_36merge_oddeven_config_static_selectorELNS0_4arch9wavefront6targetE1EEEvSL_
    .private_segment_fixed_size: 0
    .sgpr_count:     4
    .sgpr_spill_count: 0
    .symbol:         _ZN7rocprim17ROCPRIM_400000_NS6detail17trampoline_kernelINS0_14default_configENS1_38merge_sort_block_merge_config_selectorIxNS0_10empty_typeEEEZZNS1_27merge_sort_block_merge_implIS3_N6thrust23THRUST_200600_302600_NS6detail15normal_iteratorINS9_10device_ptrIxEEEEPS5_jNS1_19radix_merge_compareILb0ELb1ExNS0_19identity_decomposerEEEEE10hipError_tT0_T1_T2_jT3_P12ihipStream_tbPNSt15iterator_traitsISK_E10value_typeEPNSQ_ISL_E10value_typeEPSM_NS1_7vsmem_tEENKUlT_SK_SL_SM_E_clIPxSE_SF_SF_EESJ_SZ_SK_SL_SM_EUlSZ_E1_NS1_11comp_targetILNS1_3genE8ELNS1_11target_archE1030ELNS1_3gpuE2ELNS1_3repE0EEENS1_36merge_oddeven_config_static_selectorELNS0_4arch9wavefront6targetE1EEEvSL_.kd
    .uniform_work_group_size: 1
    .uses_dynamic_stack: false
    .vgpr_count:     0
    .vgpr_spill_count: 0
    .wavefront_size: 64
  - .agpr_count:     0
    .args:
      - .offset:         0
        .size:           40
        .value_kind:     by_value
    .group_segment_fixed_size: 0
    .kernarg_segment_align: 8
    .kernarg_segment_size: 40
    .language:       OpenCL C
    .language_version:
      - 2
      - 0
    .max_flat_workgroup_size: 128
    .name:           _ZN7rocprim17ROCPRIM_400000_NS6detail17trampoline_kernelINS0_14default_configENS1_38merge_sort_block_merge_config_selectorIxNS0_10empty_typeEEEZZNS1_27merge_sort_block_merge_implIS3_N6thrust23THRUST_200600_302600_NS6detail15normal_iteratorINS9_10device_ptrIxEEEEPS5_jNS1_19radix_merge_compareILb0ELb1ExNS0_19identity_decomposerEEEEE10hipError_tT0_T1_T2_jT3_P12ihipStream_tbPNSt15iterator_traitsISK_E10value_typeEPNSQ_ISL_E10value_typeEPSM_NS1_7vsmem_tEENKUlT_SK_SL_SM_E_clISE_PxSF_SF_EESJ_SZ_SK_SL_SM_EUlSZ_E_NS1_11comp_targetILNS1_3genE0ELNS1_11target_archE4294967295ELNS1_3gpuE0ELNS1_3repE0EEENS1_48merge_mergepath_partition_config_static_selectorELNS0_4arch9wavefront6targetE1EEEvSL_
    .private_segment_fixed_size: 0
    .sgpr_count:     4
    .sgpr_spill_count: 0
    .symbol:         _ZN7rocprim17ROCPRIM_400000_NS6detail17trampoline_kernelINS0_14default_configENS1_38merge_sort_block_merge_config_selectorIxNS0_10empty_typeEEEZZNS1_27merge_sort_block_merge_implIS3_N6thrust23THRUST_200600_302600_NS6detail15normal_iteratorINS9_10device_ptrIxEEEEPS5_jNS1_19radix_merge_compareILb0ELb1ExNS0_19identity_decomposerEEEEE10hipError_tT0_T1_T2_jT3_P12ihipStream_tbPNSt15iterator_traitsISK_E10value_typeEPNSQ_ISL_E10value_typeEPSM_NS1_7vsmem_tEENKUlT_SK_SL_SM_E_clISE_PxSF_SF_EESJ_SZ_SK_SL_SM_EUlSZ_E_NS1_11comp_targetILNS1_3genE0ELNS1_11target_archE4294967295ELNS1_3gpuE0ELNS1_3repE0EEENS1_48merge_mergepath_partition_config_static_selectorELNS0_4arch9wavefront6targetE1EEEvSL_.kd
    .uniform_work_group_size: 1
    .uses_dynamic_stack: false
    .vgpr_count:     0
    .vgpr_spill_count: 0
    .wavefront_size: 64
  - .agpr_count:     0
    .args:
      - .offset:         0
        .size:           40
        .value_kind:     by_value
    .group_segment_fixed_size: 0
    .kernarg_segment_align: 8
    .kernarg_segment_size: 40
    .language:       OpenCL C
    .language_version:
      - 2
      - 0
    .max_flat_workgroup_size: 128
    .name:           _ZN7rocprim17ROCPRIM_400000_NS6detail17trampoline_kernelINS0_14default_configENS1_38merge_sort_block_merge_config_selectorIxNS0_10empty_typeEEEZZNS1_27merge_sort_block_merge_implIS3_N6thrust23THRUST_200600_302600_NS6detail15normal_iteratorINS9_10device_ptrIxEEEEPS5_jNS1_19radix_merge_compareILb0ELb1ExNS0_19identity_decomposerEEEEE10hipError_tT0_T1_T2_jT3_P12ihipStream_tbPNSt15iterator_traitsISK_E10value_typeEPNSQ_ISL_E10value_typeEPSM_NS1_7vsmem_tEENKUlT_SK_SL_SM_E_clISE_PxSF_SF_EESJ_SZ_SK_SL_SM_EUlSZ_E_NS1_11comp_targetILNS1_3genE10ELNS1_11target_archE1201ELNS1_3gpuE5ELNS1_3repE0EEENS1_48merge_mergepath_partition_config_static_selectorELNS0_4arch9wavefront6targetE1EEEvSL_
    .private_segment_fixed_size: 0
    .sgpr_count:     4
    .sgpr_spill_count: 0
    .symbol:         _ZN7rocprim17ROCPRIM_400000_NS6detail17trampoline_kernelINS0_14default_configENS1_38merge_sort_block_merge_config_selectorIxNS0_10empty_typeEEEZZNS1_27merge_sort_block_merge_implIS3_N6thrust23THRUST_200600_302600_NS6detail15normal_iteratorINS9_10device_ptrIxEEEEPS5_jNS1_19radix_merge_compareILb0ELb1ExNS0_19identity_decomposerEEEEE10hipError_tT0_T1_T2_jT3_P12ihipStream_tbPNSt15iterator_traitsISK_E10value_typeEPNSQ_ISL_E10value_typeEPSM_NS1_7vsmem_tEENKUlT_SK_SL_SM_E_clISE_PxSF_SF_EESJ_SZ_SK_SL_SM_EUlSZ_E_NS1_11comp_targetILNS1_3genE10ELNS1_11target_archE1201ELNS1_3gpuE5ELNS1_3repE0EEENS1_48merge_mergepath_partition_config_static_selectorELNS0_4arch9wavefront6targetE1EEEvSL_.kd
    .uniform_work_group_size: 1
    .uses_dynamic_stack: false
    .vgpr_count:     0
    .vgpr_spill_count: 0
    .wavefront_size: 64
  - .agpr_count:     0
    .args:
      - .offset:         0
        .size:           40
        .value_kind:     by_value
    .group_segment_fixed_size: 0
    .kernarg_segment_align: 8
    .kernarg_segment_size: 40
    .language:       OpenCL C
    .language_version:
      - 2
      - 0
    .max_flat_workgroup_size: 128
    .name:           _ZN7rocprim17ROCPRIM_400000_NS6detail17trampoline_kernelINS0_14default_configENS1_38merge_sort_block_merge_config_selectorIxNS0_10empty_typeEEEZZNS1_27merge_sort_block_merge_implIS3_N6thrust23THRUST_200600_302600_NS6detail15normal_iteratorINS9_10device_ptrIxEEEEPS5_jNS1_19radix_merge_compareILb0ELb1ExNS0_19identity_decomposerEEEEE10hipError_tT0_T1_T2_jT3_P12ihipStream_tbPNSt15iterator_traitsISK_E10value_typeEPNSQ_ISL_E10value_typeEPSM_NS1_7vsmem_tEENKUlT_SK_SL_SM_E_clISE_PxSF_SF_EESJ_SZ_SK_SL_SM_EUlSZ_E_NS1_11comp_targetILNS1_3genE5ELNS1_11target_archE942ELNS1_3gpuE9ELNS1_3repE0EEENS1_48merge_mergepath_partition_config_static_selectorELNS0_4arch9wavefront6targetE1EEEvSL_
    .private_segment_fixed_size: 0
    .sgpr_count:     4
    .sgpr_spill_count: 0
    .symbol:         _ZN7rocprim17ROCPRIM_400000_NS6detail17trampoline_kernelINS0_14default_configENS1_38merge_sort_block_merge_config_selectorIxNS0_10empty_typeEEEZZNS1_27merge_sort_block_merge_implIS3_N6thrust23THRUST_200600_302600_NS6detail15normal_iteratorINS9_10device_ptrIxEEEEPS5_jNS1_19radix_merge_compareILb0ELb1ExNS0_19identity_decomposerEEEEE10hipError_tT0_T1_T2_jT3_P12ihipStream_tbPNSt15iterator_traitsISK_E10value_typeEPNSQ_ISL_E10value_typeEPSM_NS1_7vsmem_tEENKUlT_SK_SL_SM_E_clISE_PxSF_SF_EESJ_SZ_SK_SL_SM_EUlSZ_E_NS1_11comp_targetILNS1_3genE5ELNS1_11target_archE942ELNS1_3gpuE9ELNS1_3repE0EEENS1_48merge_mergepath_partition_config_static_selectorELNS0_4arch9wavefront6targetE1EEEvSL_.kd
    .uniform_work_group_size: 1
    .uses_dynamic_stack: false
    .vgpr_count:     0
    .vgpr_spill_count: 0
    .wavefront_size: 64
  - .agpr_count:     0
    .args:
      - .offset:         0
        .size:           40
        .value_kind:     by_value
    .group_segment_fixed_size: 0
    .kernarg_segment_align: 8
    .kernarg_segment_size: 40
    .language:       OpenCL C
    .language_version:
      - 2
      - 0
    .max_flat_workgroup_size: 128
    .name:           _ZN7rocprim17ROCPRIM_400000_NS6detail17trampoline_kernelINS0_14default_configENS1_38merge_sort_block_merge_config_selectorIxNS0_10empty_typeEEEZZNS1_27merge_sort_block_merge_implIS3_N6thrust23THRUST_200600_302600_NS6detail15normal_iteratorINS9_10device_ptrIxEEEEPS5_jNS1_19radix_merge_compareILb0ELb1ExNS0_19identity_decomposerEEEEE10hipError_tT0_T1_T2_jT3_P12ihipStream_tbPNSt15iterator_traitsISK_E10value_typeEPNSQ_ISL_E10value_typeEPSM_NS1_7vsmem_tEENKUlT_SK_SL_SM_E_clISE_PxSF_SF_EESJ_SZ_SK_SL_SM_EUlSZ_E_NS1_11comp_targetILNS1_3genE4ELNS1_11target_archE910ELNS1_3gpuE8ELNS1_3repE0EEENS1_48merge_mergepath_partition_config_static_selectorELNS0_4arch9wavefront6targetE1EEEvSL_
    .private_segment_fixed_size: 0
    .sgpr_count:     14
    .sgpr_spill_count: 0
    .symbol:         _ZN7rocprim17ROCPRIM_400000_NS6detail17trampoline_kernelINS0_14default_configENS1_38merge_sort_block_merge_config_selectorIxNS0_10empty_typeEEEZZNS1_27merge_sort_block_merge_implIS3_N6thrust23THRUST_200600_302600_NS6detail15normal_iteratorINS9_10device_ptrIxEEEEPS5_jNS1_19radix_merge_compareILb0ELb1ExNS0_19identity_decomposerEEEEE10hipError_tT0_T1_T2_jT3_P12ihipStream_tbPNSt15iterator_traitsISK_E10value_typeEPNSQ_ISL_E10value_typeEPSM_NS1_7vsmem_tEENKUlT_SK_SL_SM_E_clISE_PxSF_SF_EESJ_SZ_SK_SL_SM_EUlSZ_E_NS1_11comp_targetILNS1_3genE4ELNS1_11target_archE910ELNS1_3gpuE8ELNS1_3repE0EEENS1_48merge_mergepath_partition_config_static_selectorELNS0_4arch9wavefront6targetE1EEEvSL_.kd
    .uniform_work_group_size: 1
    .uses_dynamic_stack: false
    .vgpr_count:     16
    .vgpr_spill_count: 0
    .wavefront_size: 64
  - .agpr_count:     0
    .args:
      - .offset:         0
        .size:           40
        .value_kind:     by_value
    .group_segment_fixed_size: 0
    .kernarg_segment_align: 8
    .kernarg_segment_size: 40
    .language:       OpenCL C
    .language_version:
      - 2
      - 0
    .max_flat_workgroup_size: 128
    .name:           _ZN7rocprim17ROCPRIM_400000_NS6detail17trampoline_kernelINS0_14default_configENS1_38merge_sort_block_merge_config_selectorIxNS0_10empty_typeEEEZZNS1_27merge_sort_block_merge_implIS3_N6thrust23THRUST_200600_302600_NS6detail15normal_iteratorINS9_10device_ptrIxEEEEPS5_jNS1_19radix_merge_compareILb0ELb1ExNS0_19identity_decomposerEEEEE10hipError_tT0_T1_T2_jT3_P12ihipStream_tbPNSt15iterator_traitsISK_E10value_typeEPNSQ_ISL_E10value_typeEPSM_NS1_7vsmem_tEENKUlT_SK_SL_SM_E_clISE_PxSF_SF_EESJ_SZ_SK_SL_SM_EUlSZ_E_NS1_11comp_targetILNS1_3genE3ELNS1_11target_archE908ELNS1_3gpuE7ELNS1_3repE0EEENS1_48merge_mergepath_partition_config_static_selectorELNS0_4arch9wavefront6targetE1EEEvSL_
    .private_segment_fixed_size: 0
    .sgpr_count:     4
    .sgpr_spill_count: 0
    .symbol:         _ZN7rocprim17ROCPRIM_400000_NS6detail17trampoline_kernelINS0_14default_configENS1_38merge_sort_block_merge_config_selectorIxNS0_10empty_typeEEEZZNS1_27merge_sort_block_merge_implIS3_N6thrust23THRUST_200600_302600_NS6detail15normal_iteratorINS9_10device_ptrIxEEEEPS5_jNS1_19radix_merge_compareILb0ELb1ExNS0_19identity_decomposerEEEEE10hipError_tT0_T1_T2_jT3_P12ihipStream_tbPNSt15iterator_traitsISK_E10value_typeEPNSQ_ISL_E10value_typeEPSM_NS1_7vsmem_tEENKUlT_SK_SL_SM_E_clISE_PxSF_SF_EESJ_SZ_SK_SL_SM_EUlSZ_E_NS1_11comp_targetILNS1_3genE3ELNS1_11target_archE908ELNS1_3gpuE7ELNS1_3repE0EEENS1_48merge_mergepath_partition_config_static_selectorELNS0_4arch9wavefront6targetE1EEEvSL_.kd
    .uniform_work_group_size: 1
    .uses_dynamic_stack: false
    .vgpr_count:     0
    .vgpr_spill_count: 0
    .wavefront_size: 64
  - .agpr_count:     0
    .args:
      - .offset:         0
        .size:           40
        .value_kind:     by_value
    .group_segment_fixed_size: 0
    .kernarg_segment_align: 8
    .kernarg_segment_size: 40
    .language:       OpenCL C
    .language_version:
      - 2
      - 0
    .max_flat_workgroup_size: 128
    .name:           _ZN7rocprim17ROCPRIM_400000_NS6detail17trampoline_kernelINS0_14default_configENS1_38merge_sort_block_merge_config_selectorIxNS0_10empty_typeEEEZZNS1_27merge_sort_block_merge_implIS3_N6thrust23THRUST_200600_302600_NS6detail15normal_iteratorINS9_10device_ptrIxEEEEPS5_jNS1_19radix_merge_compareILb0ELb1ExNS0_19identity_decomposerEEEEE10hipError_tT0_T1_T2_jT3_P12ihipStream_tbPNSt15iterator_traitsISK_E10value_typeEPNSQ_ISL_E10value_typeEPSM_NS1_7vsmem_tEENKUlT_SK_SL_SM_E_clISE_PxSF_SF_EESJ_SZ_SK_SL_SM_EUlSZ_E_NS1_11comp_targetILNS1_3genE2ELNS1_11target_archE906ELNS1_3gpuE6ELNS1_3repE0EEENS1_48merge_mergepath_partition_config_static_selectorELNS0_4arch9wavefront6targetE1EEEvSL_
    .private_segment_fixed_size: 0
    .sgpr_count:     4
    .sgpr_spill_count: 0
    .symbol:         _ZN7rocprim17ROCPRIM_400000_NS6detail17trampoline_kernelINS0_14default_configENS1_38merge_sort_block_merge_config_selectorIxNS0_10empty_typeEEEZZNS1_27merge_sort_block_merge_implIS3_N6thrust23THRUST_200600_302600_NS6detail15normal_iteratorINS9_10device_ptrIxEEEEPS5_jNS1_19radix_merge_compareILb0ELb1ExNS0_19identity_decomposerEEEEE10hipError_tT0_T1_T2_jT3_P12ihipStream_tbPNSt15iterator_traitsISK_E10value_typeEPNSQ_ISL_E10value_typeEPSM_NS1_7vsmem_tEENKUlT_SK_SL_SM_E_clISE_PxSF_SF_EESJ_SZ_SK_SL_SM_EUlSZ_E_NS1_11comp_targetILNS1_3genE2ELNS1_11target_archE906ELNS1_3gpuE6ELNS1_3repE0EEENS1_48merge_mergepath_partition_config_static_selectorELNS0_4arch9wavefront6targetE1EEEvSL_.kd
    .uniform_work_group_size: 1
    .uses_dynamic_stack: false
    .vgpr_count:     0
    .vgpr_spill_count: 0
    .wavefront_size: 64
  - .agpr_count:     0
    .args:
      - .offset:         0
        .size:           40
        .value_kind:     by_value
    .group_segment_fixed_size: 0
    .kernarg_segment_align: 8
    .kernarg_segment_size: 40
    .language:       OpenCL C
    .language_version:
      - 2
      - 0
    .max_flat_workgroup_size: 128
    .name:           _ZN7rocprim17ROCPRIM_400000_NS6detail17trampoline_kernelINS0_14default_configENS1_38merge_sort_block_merge_config_selectorIxNS0_10empty_typeEEEZZNS1_27merge_sort_block_merge_implIS3_N6thrust23THRUST_200600_302600_NS6detail15normal_iteratorINS9_10device_ptrIxEEEEPS5_jNS1_19radix_merge_compareILb0ELb1ExNS0_19identity_decomposerEEEEE10hipError_tT0_T1_T2_jT3_P12ihipStream_tbPNSt15iterator_traitsISK_E10value_typeEPNSQ_ISL_E10value_typeEPSM_NS1_7vsmem_tEENKUlT_SK_SL_SM_E_clISE_PxSF_SF_EESJ_SZ_SK_SL_SM_EUlSZ_E_NS1_11comp_targetILNS1_3genE9ELNS1_11target_archE1100ELNS1_3gpuE3ELNS1_3repE0EEENS1_48merge_mergepath_partition_config_static_selectorELNS0_4arch9wavefront6targetE1EEEvSL_
    .private_segment_fixed_size: 0
    .sgpr_count:     4
    .sgpr_spill_count: 0
    .symbol:         _ZN7rocprim17ROCPRIM_400000_NS6detail17trampoline_kernelINS0_14default_configENS1_38merge_sort_block_merge_config_selectorIxNS0_10empty_typeEEEZZNS1_27merge_sort_block_merge_implIS3_N6thrust23THRUST_200600_302600_NS6detail15normal_iteratorINS9_10device_ptrIxEEEEPS5_jNS1_19radix_merge_compareILb0ELb1ExNS0_19identity_decomposerEEEEE10hipError_tT0_T1_T2_jT3_P12ihipStream_tbPNSt15iterator_traitsISK_E10value_typeEPNSQ_ISL_E10value_typeEPSM_NS1_7vsmem_tEENKUlT_SK_SL_SM_E_clISE_PxSF_SF_EESJ_SZ_SK_SL_SM_EUlSZ_E_NS1_11comp_targetILNS1_3genE9ELNS1_11target_archE1100ELNS1_3gpuE3ELNS1_3repE0EEENS1_48merge_mergepath_partition_config_static_selectorELNS0_4arch9wavefront6targetE1EEEvSL_.kd
    .uniform_work_group_size: 1
    .uses_dynamic_stack: false
    .vgpr_count:     0
    .vgpr_spill_count: 0
    .wavefront_size: 64
  - .agpr_count:     0
    .args:
      - .offset:         0
        .size:           40
        .value_kind:     by_value
    .group_segment_fixed_size: 0
    .kernarg_segment_align: 8
    .kernarg_segment_size: 40
    .language:       OpenCL C
    .language_version:
      - 2
      - 0
    .max_flat_workgroup_size: 128
    .name:           _ZN7rocprim17ROCPRIM_400000_NS6detail17trampoline_kernelINS0_14default_configENS1_38merge_sort_block_merge_config_selectorIxNS0_10empty_typeEEEZZNS1_27merge_sort_block_merge_implIS3_N6thrust23THRUST_200600_302600_NS6detail15normal_iteratorINS9_10device_ptrIxEEEEPS5_jNS1_19radix_merge_compareILb0ELb1ExNS0_19identity_decomposerEEEEE10hipError_tT0_T1_T2_jT3_P12ihipStream_tbPNSt15iterator_traitsISK_E10value_typeEPNSQ_ISL_E10value_typeEPSM_NS1_7vsmem_tEENKUlT_SK_SL_SM_E_clISE_PxSF_SF_EESJ_SZ_SK_SL_SM_EUlSZ_E_NS1_11comp_targetILNS1_3genE8ELNS1_11target_archE1030ELNS1_3gpuE2ELNS1_3repE0EEENS1_48merge_mergepath_partition_config_static_selectorELNS0_4arch9wavefront6targetE1EEEvSL_
    .private_segment_fixed_size: 0
    .sgpr_count:     4
    .sgpr_spill_count: 0
    .symbol:         _ZN7rocprim17ROCPRIM_400000_NS6detail17trampoline_kernelINS0_14default_configENS1_38merge_sort_block_merge_config_selectorIxNS0_10empty_typeEEEZZNS1_27merge_sort_block_merge_implIS3_N6thrust23THRUST_200600_302600_NS6detail15normal_iteratorINS9_10device_ptrIxEEEEPS5_jNS1_19radix_merge_compareILb0ELb1ExNS0_19identity_decomposerEEEEE10hipError_tT0_T1_T2_jT3_P12ihipStream_tbPNSt15iterator_traitsISK_E10value_typeEPNSQ_ISL_E10value_typeEPSM_NS1_7vsmem_tEENKUlT_SK_SL_SM_E_clISE_PxSF_SF_EESJ_SZ_SK_SL_SM_EUlSZ_E_NS1_11comp_targetILNS1_3genE8ELNS1_11target_archE1030ELNS1_3gpuE2ELNS1_3repE0EEENS1_48merge_mergepath_partition_config_static_selectorELNS0_4arch9wavefront6targetE1EEEvSL_.kd
    .uniform_work_group_size: 1
    .uses_dynamic_stack: false
    .vgpr_count:     0
    .vgpr_spill_count: 0
    .wavefront_size: 64
  - .agpr_count:     0
    .args:
      - .offset:         0
        .size:           72
        .value_kind:     by_value
    .group_segment_fixed_size: 0
    .kernarg_segment_align: 8
    .kernarg_segment_size: 72
    .language:       OpenCL C
    .language_version:
      - 2
      - 0
    .max_flat_workgroup_size: 128
    .name:           _ZN7rocprim17ROCPRIM_400000_NS6detail17trampoline_kernelINS0_14default_configENS1_38merge_sort_block_merge_config_selectorIxNS0_10empty_typeEEEZZNS1_27merge_sort_block_merge_implIS3_N6thrust23THRUST_200600_302600_NS6detail15normal_iteratorINS9_10device_ptrIxEEEEPS5_jNS1_19radix_merge_compareILb0ELb1ExNS0_19identity_decomposerEEEEE10hipError_tT0_T1_T2_jT3_P12ihipStream_tbPNSt15iterator_traitsISK_E10value_typeEPNSQ_ISL_E10value_typeEPSM_NS1_7vsmem_tEENKUlT_SK_SL_SM_E_clISE_PxSF_SF_EESJ_SZ_SK_SL_SM_EUlSZ_E0_NS1_11comp_targetILNS1_3genE0ELNS1_11target_archE4294967295ELNS1_3gpuE0ELNS1_3repE0EEENS1_38merge_mergepath_config_static_selectorELNS0_4arch9wavefront6targetE1EEEvSL_
    .private_segment_fixed_size: 0
    .sgpr_count:     4
    .sgpr_spill_count: 0
    .symbol:         _ZN7rocprim17ROCPRIM_400000_NS6detail17trampoline_kernelINS0_14default_configENS1_38merge_sort_block_merge_config_selectorIxNS0_10empty_typeEEEZZNS1_27merge_sort_block_merge_implIS3_N6thrust23THRUST_200600_302600_NS6detail15normal_iteratorINS9_10device_ptrIxEEEEPS5_jNS1_19radix_merge_compareILb0ELb1ExNS0_19identity_decomposerEEEEE10hipError_tT0_T1_T2_jT3_P12ihipStream_tbPNSt15iterator_traitsISK_E10value_typeEPNSQ_ISL_E10value_typeEPSM_NS1_7vsmem_tEENKUlT_SK_SL_SM_E_clISE_PxSF_SF_EESJ_SZ_SK_SL_SM_EUlSZ_E0_NS1_11comp_targetILNS1_3genE0ELNS1_11target_archE4294967295ELNS1_3gpuE0ELNS1_3repE0EEENS1_38merge_mergepath_config_static_selectorELNS0_4arch9wavefront6targetE1EEEvSL_.kd
    .uniform_work_group_size: 1
    .uses_dynamic_stack: false
    .vgpr_count:     0
    .vgpr_spill_count: 0
    .wavefront_size: 64
  - .agpr_count:     0
    .args:
      - .offset:         0
        .size:           72
        .value_kind:     by_value
    .group_segment_fixed_size: 0
    .kernarg_segment_align: 8
    .kernarg_segment_size: 72
    .language:       OpenCL C
    .language_version:
      - 2
      - 0
    .max_flat_workgroup_size: 512
    .name:           _ZN7rocprim17ROCPRIM_400000_NS6detail17trampoline_kernelINS0_14default_configENS1_38merge_sort_block_merge_config_selectorIxNS0_10empty_typeEEEZZNS1_27merge_sort_block_merge_implIS3_N6thrust23THRUST_200600_302600_NS6detail15normal_iteratorINS9_10device_ptrIxEEEEPS5_jNS1_19radix_merge_compareILb0ELb1ExNS0_19identity_decomposerEEEEE10hipError_tT0_T1_T2_jT3_P12ihipStream_tbPNSt15iterator_traitsISK_E10value_typeEPNSQ_ISL_E10value_typeEPSM_NS1_7vsmem_tEENKUlT_SK_SL_SM_E_clISE_PxSF_SF_EESJ_SZ_SK_SL_SM_EUlSZ_E0_NS1_11comp_targetILNS1_3genE10ELNS1_11target_archE1201ELNS1_3gpuE5ELNS1_3repE0EEENS1_38merge_mergepath_config_static_selectorELNS0_4arch9wavefront6targetE1EEEvSL_
    .private_segment_fixed_size: 0
    .sgpr_count:     4
    .sgpr_spill_count: 0
    .symbol:         _ZN7rocprim17ROCPRIM_400000_NS6detail17trampoline_kernelINS0_14default_configENS1_38merge_sort_block_merge_config_selectorIxNS0_10empty_typeEEEZZNS1_27merge_sort_block_merge_implIS3_N6thrust23THRUST_200600_302600_NS6detail15normal_iteratorINS9_10device_ptrIxEEEEPS5_jNS1_19radix_merge_compareILb0ELb1ExNS0_19identity_decomposerEEEEE10hipError_tT0_T1_T2_jT3_P12ihipStream_tbPNSt15iterator_traitsISK_E10value_typeEPNSQ_ISL_E10value_typeEPSM_NS1_7vsmem_tEENKUlT_SK_SL_SM_E_clISE_PxSF_SF_EESJ_SZ_SK_SL_SM_EUlSZ_E0_NS1_11comp_targetILNS1_3genE10ELNS1_11target_archE1201ELNS1_3gpuE5ELNS1_3repE0EEENS1_38merge_mergepath_config_static_selectorELNS0_4arch9wavefront6targetE1EEEvSL_.kd
    .uniform_work_group_size: 1
    .uses_dynamic_stack: false
    .vgpr_count:     0
    .vgpr_spill_count: 0
    .wavefront_size: 64
  - .agpr_count:     0
    .args:
      - .offset:         0
        .size:           72
        .value_kind:     by_value
    .group_segment_fixed_size: 0
    .kernarg_segment_align: 8
    .kernarg_segment_size: 72
    .language:       OpenCL C
    .language_version:
      - 2
      - 0
    .max_flat_workgroup_size: 128
    .name:           _ZN7rocprim17ROCPRIM_400000_NS6detail17trampoline_kernelINS0_14default_configENS1_38merge_sort_block_merge_config_selectorIxNS0_10empty_typeEEEZZNS1_27merge_sort_block_merge_implIS3_N6thrust23THRUST_200600_302600_NS6detail15normal_iteratorINS9_10device_ptrIxEEEEPS5_jNS1_19radix_merge_compareILb0ELb1ExNS0_19identity_decomposerEEEEE10hipError_tT0_T1_T2_jT3_P12ihipStream_tbPNSt15iterator_traitsISK_E10value_typeEPNSQ_ISL_E10value_typeEPSM_NS1_7vsmem_tEENKUlT_SK_SL_SM_E_clISE_PxSF_SF_EESJ_SZ_SK_SL_SM_EUlSZ_E0_NS1_11comp_targetILNS1_3genE5ELNS1_11target_archE942ELNS1_3gpuE9ELNS1_3repE0EEENS1_38merge_mergepath_config_static_selectorELNS0_4arch9wavefront6targetE1EEEvSL_
    .private_segment_fixed_size: 0
    .sgpr_count:     4
    .sgpr_spill_count: 0
    .symbol:         _ZN7rocprim17ROCPRIM_400000_NS6detail17trampoline_kernelINS0_14default_configENS1_38merge_sort_block_merge_config_selectorIxNS0_10empty_typeEEEZZNS1_27merge_sort_block_merge_implIS3_N6thrust23THRUST_200600_302600_NS6detail15normal_iteratorINS9_10device_ptrIxEEEEPS5_jNS1_19radix_merge_compareILb0ELb1ExNS0_19identity_decomposerEEEEE10hipError_tT0_T1_T2_jT3_P12ihipStream_tbPNSt15iterator_traitsISK_E10value_typeEPNSQ_ISL_E10value_typeEPSM_NS1_7vsmem_tEENKUlT_SK_SL_SM_E_clISE_PxSF_SF_EESJ_SZ_SK_SL_SM_EUlSZ_E0_NS1_11comp_targetILNS1_3genE5ELNS1_11target_archE942ELNS1_3gpuE9ELNS1_3repE0EEENS1_38merge_mergepath_config_static_selectorELNS0_4arch9wavefront6targetE1EEEvSL_.kd
    .uniform_work_group_size: 1
    .uses_dynamic_stack: false
    .vgpr_count:     0
    .vgpr_spill_count: 0
    .wavefront_size: 64
  - .agpr_count:     0
    .args:
      - .offset:         0
        .size:           72
        .value_kind:     by_value
      - .offset:         72
        .size:           4
        .value_kind:     hidden_block_count_x
      - .offset:         76
        .size:           4
        .value_kind:     hidden_block_count_y
      - .offset:         80
        .size:           4
        .value_kind:     hidden_block_count_z
      - .offset:         84
        .size:           2
        .value_kind:     hidden_group_size_x
      - .offset:         86
        .size:           2
        .value_kind:     hidden_group_size_y
      - .offset:         88
        .size:           2
        .value_kind:     hidden_group_size_z
      - .offset:         90
        .size:           2
        .value_kind:     hidden_remainder_x
      - .offset:         92
        .size:           2
        .value_kind:     hidden_remainder_y
      - .offset:         94
        .size:           2
        .value_kind:     hidden_remainder_z
      - .offset:         112
        .size:           8
        .value_kind:     hidden_global_offset_x
      - .offset:         120
        .size:           8
        .value_kind:     hidden_global_offset_y
      - .offset:         128
        .size:           8
        .value_kind:     hidden_global_offset_z
      - .offset:         136
        .size:           2
        .value_kind:     hidden_grid_dims
    .group_segment_fixed_size: 8448
    .kernarg_segment_align: 8
    .kernarg_segment_size: 328
    .language:       OpenCL C
    .language_version:
      - 2
      - 0
    .max_flat_workgroup_size: 256
    .name:           _ZN7rocprim17ROCPRIM_400000_NS6detail17trampoline_kernelINS0_14default_configENS1_38merge_sort_block_merge_config_selectorIxNS0_10empty_typeEEEZZNS1_27merge_sort_block_merge_implIS3_N6thrust23THRUST_200600_302600_NS6detail15normal_iteratorINS9_10device_ptrIxEEEEPS5_jNS1_19radix_merge_compareILb0ELb1ExNS0_19identity_decomposerEEEEE10hipError_tT0_T1_T2_jT3_P12ihipStream_tbPNSt15iterator_traitsISK_E10value_typeEPNSQ_ISL_E10value_typeEPSM_NS1_7vsmem_tEENKUlT_SK_SL_SM_E_clISE_PxSF_SF_EESJ_SZ_SK_SL_SM_EUlSZ_E0_NS1_11comp_targetILNS1_3genE4ELNS1_11target_archE910ELNS1_3gpuE8ELNS1_3repE0EEENS1_38merge_mergepath_config_static_selectorELNS0_4arch9wavefront6targetE1EEEvSL_
    .private_segment_fixed_size: 0
    .sgpr_count:     27
    .sgpr_spill_count: 0
    .symbol:         _ZN7rocprim17ROCPRIM_400000_NS6detail17trampoline_kernelINS0_14default_configENS1_38merge_sort_block_merge_config_selectorIxNS0_10empty_typeEEEZZNS1_27merge_sort_block_merge_implIS3_N6thrust23THRUST_200600_302600_NS6detail15normal_iteratorINS9_10device_ptrIxEEEEPS5_jNS1_19radix_merge_compareILb0ELb1ExNS0_19identity_decomposerEEEEE10hipError_tT0_T1_T2_jT3_P12ihipStream_tbPNSt15iterator_traitsISK_E10value_typeEPNSQ_ISL_E10value_typeEPSM_NS1_7vsmem_tEENKUlT_SK_SL_SM_E_clISE_PxSF_SF_EESJ_SZ_SK_SL_SM_EUlSZ_E0_NS1_11comp_targetILNS1_3genE4ELNS1_11target_archE910ELNS1_3gpuE8ELNS1_3repE0EEENS1_38merge_mergepath_config_static_selectorELNS0_4arch9wavefront6targetE1EEEvSL_.kd
    .uniform_work_group_size: 1
    .uses_dynamic_stack: false
    .vgpr_count:     23
    .vgpr_spill_count: 0
    .wavefront_size: 64
  - .agpr_count:     0
    .args:
      - .offset:         0
        .size:           72
        .value_kind:     by_value
    .group_segment_fixed_size: 0
    .kernarg_segment_align: 8
    .kernarg_segment_size: 72
    .language:       OpenCL C
    .language_version:
      - 2
      - 0
    .max_flat_workgroup_size: 128
    .name:           _ZN7rocprim17ROCPRIM_400000_NS6detail17trampoline_kernelINS0_14default_configENS1_38merge_sort_block_merge_config_selectorIxNS0_10empty_typeEEEZZNS1_27merge_sort_block_merge_implIS3_N6thrust23THRUST_200600_302600_NS6detail15normal_iteratorINS9_10device_ptrIxEEEEPS5_jNS1_19radix_merge_compareILb0ELb1ExNS0_19identity_decomposerEEEEE10hipError_tT0_T1_T2_jT3_P12ihipStream_tbPNSt15iterator_traitsISK_E10value_typeEPNSQ_ISL_E10value_typeEPSM_NS1_7vsmem_tEENKUlT_SK_SL_SM_E_clISE_PxSF_SF_EESJ_SZ_SK_SL_SM_EUlSZ_E0_NS1_11comp_targetILNS1_3genE3ELNS1_11target_archE908ELNS1_3gpuE7ELNS1_3repE0EEENS1_38merge_mergepath_config_static_selectorELNS0_4arch9wavefront6targetE1EEEvSL_
    .private_segment_fixed_size: 0
    .sgpr_count:     4
    .sgpr_spill_count: 0
    .symbol:         _ZN7rocprim17ROCPRIM_400000_NS6detail17trampoline_kernelINS0_14default_configENS1_38merge_sort_block_merge_config_selectorIxNS0_10empty_typeEEEZZNS1_27merge_sort_block_merge_implIS3_N6thrust23THRUST_200600_302600_NS6detail15normal_iteratorINS9_10device_ptrIxEEEEPS5_jNS1_19radix_merge_compareILb0ELb1ExNS0_19identity_decomposerEEEEE10hipError_tT0_T1_T2_jT3_P12ihipStream_tbPNSt15iterator_traitsISK_E10value_typeEPNSQ_ISL_E10value_typeEPSM_NS1_7vsmem_tEENKUlT_SK_SL_SM_E_clISE_PxSF_SF_EESJ_SZ_SK_SL_SM_EUlSZ_E0_NS1_11comp_targetILNS1_3genE3ELNS1_11target_archE908ELNS1_3gpuE7ELNS1_3repE0EEENS1_38merge_mergepath_config_static_selectorELNS0_4arch9wavefront6targetE1EEEvSL_.kd
    .uniform_work_group_size: 1
    .uses_dynamic_stack: false
    .vgpr_count:     0
    .vgpr_spill_count: 0
    .wavefront_size: 64
  - .agpr_count:     0
    .args:
      - .offset:         0
        .size:           72
        .value_kind:     by_value
    .group_segment_fixed_size: 0
    .kernarg_segment_align: 8
    .kernarg_segment_size: 72
    .language:       OpenCL C
    .language_version:
      - 2
      - 0
    .max_flat_workgroup_size: 256
    .name:           _ZN7rocprim17ROCPRIM_400000_NS6detail17trampoline_kernelINS0_14default_configENS1_38merge_sort_block_merge_config_selectorIxNS0_10empty_typeEEEZZNS1_27merge_sort_block_merge_implIS3_N6thrust23THRUST_200600_302600_NS6detail15normal_iteratorINS9_10device_ptrIxEEEEPS5_jNS1_19radix_merge_compareILb0ELb1ExNS0_19identity_decomposerEEEEE10hipError_tT0_T1_T2_jT3_P12ihipStream_tbPNSt15iterator_traitsISK_E10value_typeEPNSQ_ISL_E10value_typeEPSM_NS1_7vsmem_tEENKUlT_SK_SL_SM_E_clISE_PxSF_SF_EESJ_SZ_SK_SL_SM_EUlSZ_E0_NS1_11comp_targetILNS1_3genE2ELNS1_11target_archE906ELNS1_3gpuE6ELNS1_3repE0EEENS1_38merge_mergepath_config_static_selectorELNS0_4arch9wavefront6targetE1EEEvSL_
    .private_segment_fixed_size: 0
    .sgpr_count:     4
    .sgpr_spill_count: 0
    .symbol:         _ZN7rocprim17ROCPRIM_400000_NS6detail17trampoline_kernelINS0_14default_configENS1_38merge_sort_block_merge_config_selectorIxNS0_10empty_typeEEEZZNS1_27merge_sort_block_merge_implIS3_N6thrust23THRUST_200600_302600_NS6detail15normal_iteratorINS9_10device_ptrIxEEEEPS5_jNS1_19radix_merge_compareILb0ELb1ExNS0_19identity_decomposerEEEEE10hipError_tT0_T1_T2_jT3_P12ihipStream_tbPNSt15iterator_traitsISK_E10value_typeEPNSQ_ISL_E10value_typeEPSM_NS1_7vsmem_tEENKUlT_SK_SL_SM_E_clISE_PxSF_SF_EESJ_SZ_SK_SL_SM_EUlSZ_E0_NS1_11comp_targetILNS1_3genE2ELNS1_11target_archE906ELNS1_3gpuE6ELNS1_3repE0EEENS1_38merge_mergepath_config_static_selectorELNS0_4arch9wavefront6targetE1EEEvSL_.kd
    .uniform_work_group_size: 1
    .uses_dynamic_stack: false
    .vgpr_count:     0
    .vgpr_spill_count: 0
    .wavefront_size: 64
  - .agpr_count:     0
    .args:
      - .offset:         0
        .size:           72
        .value_kind:     by_value
    .group_segment_fixed_size: 0
    .kernarg_segment_align: 8
    .kernarg_segment_size: 72
    .language:       OpenCL C
    .language_version:
      - 2
      - 0
    .max_flat_workgroup_size: 512
    .name:           _ZN7rocprim17ROCPRIM_400000_NS6detail17trampoline_kernelINS0_14default_configENS1_38merge_sort_block_merge_config_selectorIxNS0_10empty_typeEEEZZNS1_27merge_sort_block_merge_implIS3_N6thrust23THRUST_200600_302600_NS6detail15normal_iteratorINS9_10device_ptrIxEEEEPS5_jNS1_19radix_merge_compareILb0ELb1ExNS0_19identity_decomposerEEEEE10hipError_tT0_T1_T2_jT3_P12ihipStream_tbPNSt15iterator_traitsISK_E10value_typeEPNSQ_ISL_E10value_typeEPSM_NS1_7vsmem_tEENKUlT_SK_SL_SM_E_clISE_PxSF_SF_EESJ_SZ_SK_SL_SM_EUlSZ_E0_NS1_11comp_targetILNS1_3genE9ELNS1_11target_archE1100ELNS1_3gpuE3ELNS1_3repE0EEENS1_38merge_mergepath_config_static_selectorELNS0_4arch9wavefront6targetE1EEEvSL_
    .private_segment_fixed_size: 0
    .sgpr_count:     4
    .sgpr_spill_count: 0
    .symbol:         _ZN7rocprim17ROCPRIM_400000_NS6detail17trampoline_kernelINS0_14default_configENS1_38merge_sort_block_merge_config_selectorIxNS0_10empty_typeEEEZZNS1_27merge_sort_block_merge_implIS3_N6thrust23THRUST_200600_302600_NS6detail15normal_iteratorINS9_10device_ptrIxEEEEPS5_jNS1_19radix_merge_compareILb0ELb1ExNS0_19identity_decomposerEEEEE10hipError_tT0_T1_T2_jT3_P12ihipStream_tbPNSt15iterator_traitsISK_E10value_typeEPNSQ_ISL_E10value_typeEPSM_NS1_7vsmem_tEENKUlT_SK_SL_SM_E_clISE_PxSF_SF_EESJ_SZ_SK_SL_SM_EUlSZ_E0_NS1_11comp_targetILNS1_3genE9ELNS1_11target_archE1100ELNS1_3gpuE3ELNS1_3repE0EEENS1_38merge_mergepath_config_static_selectorELNS0_4arch9wavefront6targetE1EEEvSL_.kd
    .uniform_work_group_size: 1
    .uses_dynamic_stack: false
    .vgpr_count:     0
    .vgpr_spill_count: 0
    .wavefront_size: 64
  - .agpr_count:     0
    .args:
      - .offset:         0
        .size:           72
        .value_kind:     by_value
    .group_segment_fixed_size: 0
    .kernarg_segment_align: 8
    .kernarg_segment_size: 72
    .language:       OpenCL C
    .language_version:
      - 2
      - 0
    .max_flat_workgroup_size: 1024
    .name:           _ZN7rocprim17ROCPRIM_400000_NS6detail17trampoline_kernelINS0_14default_configENS1_38merge_sort_block_merge_config_selectorIxNS0_10empty_typeEEEZZNS1_27merge_sort_block_merge_implIS3_N6thrust23THRUST_200600_302600_NS6detail15normal_iteratorINS9_10device_ptrIxEEEEPS5_jNS1_19radix_merge_compareILb0ELb1ExNS0_19identity_decomposerEEEEE10hipError_tT0_T1_T2_jT3_P12ihipStream_tbPNSt15iterator_traitsISK_E10value_typeEPNSQ_ISL_E10value_typeEPSM_NS1_7vsmem_tEENKUlT_SK_SL_SM_E_clISE_PxSF_SF_EESJ_SZ_SK_SL_SM_EUlSZ_E0_NS1_11comp_targetILNS1_3genE8ELNS1_11target_archE1030ELNS1_3gpuE2ELNS1_3repE0EEENS1_38merge_mergepath_config_static_selectorELNS0_4arch9wavefront6targetE1EEEvSL_
    .private_segment_fixed_size: 0
    .sgpr_count:     4
    .sgpr_spill_count: 0
    .symbol:         _ZN7rocprim17ROCPRIM_400000_NS6detail17trampoline_kernelINS0_14default_configENS1_38merge_sort_block_merge_config_selectorIxNS0_10empty_typeEEEZZNS1_27merge_sort_block_merge_implIS3_N6thrust23THRUST_200600_302600_NS6detail15normal_iteratorINS9_10device_ptrIxEEEEPS5_jNS1_19radix_merge_compareILb0ELb1ExNS0_19identity_decomposerEEEEE10hipError_tT0_T1_T2_jT3_P12ihipStream_tbPNSt15iterator_traitsISK_E10value_typeEPNSQ_ISL_E10value_typeEPSM_NS1_7vsmem_tEENKUlT_SK_SL_SM_E_clISE_PxSF_SF_EESJ_SZ_SK_SL_SM_EUlSZ_E0_NS1_11comp_targetILNS1_3genE8ELNS1_11target_archE1030ELNS1_3gpuE2ELNS1_3repE0EEENS1_38merge_mergepath_config_static_selectorELNS0_4arch9wavefront6targetE1EEEvSL_.kd
    .uniform_work_group_size: 1
    .uses_dynamic_stack: false
    .vgpr_count:     0
    .vgpr_spill_count: 0
    .wavefront_size: 64
  - .agpr_count:     0
    .args:
      - .offset:         0
        .size:           48
        .value_kind:     by_value
    .group_segment_fixed_size: 0
    .kernarg_segment_align: 8
    .kernarg_segment_size: 48
    .language:       OpenCL C
    .language_version:
      - 2
      - 0
    .max_flat_workgroup_size: 256
    .name:           _ZN7rocprim17ROCPRIM_400000_NS6detail17trampoline_kernelINS0_14default_configENS1_38merge_sort_block_merge_config_selectorIxNS0_10empty_typeEEEZZNS1_27merge_sort_block_merge_implIS3_N6thrust23THRUST_200600_302600_NS6detail15normal_iteratorINS9_10device_ptrIxEEEEPS5_jNS1_19radix_merge_compareILb0ELb1ExNS0_19identity_decomposerEEEEE10hipError_tT0_T1_T2_jT3_P12ihipStream_tbPNSt15iterator_traitsISK_E10value_typeEPNSQ_ISL_E10value_typeEPSM_NS1_7vsmem_tEENKUlT_SK_SL_SM_E_clISE_PxSF_SF_EESJ_SZ_SK_SL_SM_EUlSZ_E1_NS1_11comp_targetILNS1_3genE0ELNS1_11target_archE4294967295ELNS1_3gpuE0ELNS1_3repE0EEENS1_36merge_oddeven_config_static_selectorELNS0_4arch9wavefront6targetE1EEEvSL_
    .private_segment_fixed_size: 0
    .sgpr_count:     4
    .sgpr_spill_count: 0
    .symbol:         _ZN7rocprim17ROCPRIM_400000_NS6detail17trampoline_kernelINS0_14default_configENS1_38merge_sort_block_merge_config_selectorIxNS0_10empty_typeEEEZZNS1_27merge_sort_block_merge_implIS3_N6thrust23THRUST_200600_302600_NS6detail15normal_iteratorINS9_10device_ptrIxEEEEPS5_jNS1_19radix_merge_compareILb0ELb1ExNS0_19identity_decomposerEEEEE10hipError_tT0_T1_T2_jT3_P12ihipStream_tbPNSt15iterator_traitsISK_E10value_typeEPNSQ_ISL_E10value_typeEPSM_NS1_7vsmem_tEENKUlT_SK_SL_SM_E_clISE_PxSF_SF_EESJ_SZ_SK_SL_SM_EUlSZ_E1_NS1_11comp_targetILNS1_3genE0ELNS1_11target_archE4294967295ELNS1_3gpuE0ELNS1_3repE0EEENS1_36merge_oddeven_config_static_selectorELNS0_4arch9wavefront6targetE1EEEvSL_.kd
    .uniform_work_group_size: 1
    .uses_dynamic_stack: false
    .vgpr_count:     0
    .vgpr_spill_count: 0
    .wavefront_size: 64
  - .agpr_count:     0
    .args:
      - .offset:         0
        .size:           48
        .value_kind:     by_value
    .group_segment_fixed_size: 0
    .kernarg_segment_align: 8
    .kernarg_segment_size: 48
    .language:       OpenCL C
    .language_version:
      - 2
      - 0
    .max_flat_workgroup_size: 256
    .name:           _ZN7rocprim17ROCPRIM_400000_NS6detail17trampoline_kernelINS0_14default_configENS1_38merge_sort_block_merge_config_selectorIxNS0_10empty_typeEEEZZNS1_27merge_sort_block_merge_implIS3_N6thrust23THRUST_200600_302600_NS6detail15normal_iteratorINS9_10device_ptrIxEEEEPS5_jNS1_19radix_merge_compareILb0ELb1ExNS0_19identity_decomposerEEEEE10hipError_tT0_T1_T2_jT3_P12ihipStream_tbPNSt15iterator_traitsISK_E10value_typeEPNSQ_ISL_E10value_typeEPSM_NS1_7vsmem_tEENKUlT_SK_SL_SM_E_clISE_PxSF_SF_EESJ_SZ_SK_SL_SM_EUlSZ_E1_NS1_11comp_targetILNS1_3genE10ELNS1_11target_archE1201ELNS1_3gpuE5ELNS1_3repE0EEENS1_36merge_oddeven_config_static_selectorELNS0_4arch9wavefront6targetE1EEEvSL_
    .private_segment_fixed_size: 0
    .sgpr_count:     4
    .sgpr_spill_count: 0
    .symbol:         _ZN7rocprim17ROCPRIM_400000_NS6detail17trampoline_kernelINS0_14default_configENS1_38merge_sort_block_merge_config_selectorIxNS0_10empty_typeEEEZZNS1_27merge_sort_block_merge_implIS3_N6thrust23THRUST_200600_302600_NS6detail15normal_iteratorINS9_10device_ptrIxEEEEPS5_jNS1_19radix_merge_compareILb0ELb1ExNS0_19identity_decomposerEEEEE10hipError_tT0_T1_T2_jT3_P12ihipStream_tbPNSt15iterator_traitsISK_E10value_typeEPNSQ_ISL_E10value_typeEPSM_NS1_7vsmem_tEENKUlT_SK_SL_SM_E_clISE_PxSF_SF_EESJ_SZ_SK_SL_SM_EUlSZ_E1_NS1_11comp_targetILNS1_3genE10ELNS1_11target_archE1201ELNS1_3gpuE5ELNS1_3repE0EEENS1_36merge_oddeven_config_static_selectorELNS0_4arch9wavefront6targetE1EEEvSL_.kd
    .uniform_work_group_size: 1
    .uses_dynamic_stack: false
    .vgpr_count:     0
    .vgpr_spill_count: 0
    .wavefront_size: 64
  - .agpr_count:     0
    .args:
      - .offset:         0
        .size:           48
        .value_kind:     by_value
    .group_segment_fixed_size: 0
    .kernarg_segment_align: 8
    .kernarg_segment_size: 48
    .language:       OpenCL C
    .language_version:
      - 2
      - 0
    .max_flat_workgroup_size: 256
    .name:           _ZN7rocprim17ROCPRIM_400000_NS6detail17trampoline_kernelINS0_14default_configENS1_38merge_sort_block_merge_config_selectorIxNS0_10empty_typeEEEZZNS1_27merge_sort_block_merge_implIS3_N6thrust23THRUST_200600_302600_NS6detail15normal_iteratorINS9_10device_ptrIxEEEEPS5_jNS1_19radix_merge_compareILb0ELb1ExNS0_19identity_decomposerEEEEE10hipError_tT0_T1_T2_jT3_P12ihipStream_tbPNSt15iterator_traitsISK_E10value_typeEPNSQ_ISL_E10value_typeEPSM_NS1_7vsmem_tEENKUlT_SK_SL_SM_E_clISE_PxSF_SF_EESJ_SZ_SK_SL_SM_EUlSZ_E1_NS1_11comp_targetILNS1_3genE5ELNS1_11target_archE942ELNS1_3gpuE9ELNS1_3repE0EEENS1_36merge_oddeven_config_static_selectorELNS0_4arch9wavefront6targetE1EEEvSL_
    .private_segment_fixed_size: 0
    .sgpr_count:     4
    .sgpr_spill_count: 0
    .symbol:         _ZN7rocprim17ROCPRIM_400000_NS6detail17trampoline_kernelINS0_14default_configENS1_38merge_sort_block_merge_config_selectorIxNS0_10empty_typeEEEZZNS1_27merge_sort_block_merge_implIS3_N6thrust23THRUST_200600_302600_NS6detail15normal_iteratorINS9_10device_ptrIxEEEEPS5_jNS1_19radix_merge_compareILb0ELb1ExNS0_19identity_decomposerEEEEE10hipError_tT0_T1_T2_jT3_P12ihipStream_tbPNSt15iterator_traitsISK_E10value_typeEPNSQ_ISL_E10value_typeEPSM_NS1_7vsmem_tEENKUlT_SK_SL_SM_E_clISE_PxSF_SF_EESJ_SZ_SK_SL_SM_EUlSZ_E1_NS1_11comp_targetILNS1_3genE5ELNS1_11target_archE942ELNS1_3gpuE9ELNS1_3repE0EEENS1_36merge_oddeven_config_static_selectorELNS0_4arch9wavefront6targetE1EEEvSL_.kd
    .uniform_work_group_size: 1
    .uses_dynamic_stack: false
    .vgpr_count:     0
    .vgpr_spill_count: 0
    .wavefront_size: 64
  - .agpr_count:     0
    .args:
      - .offset:         0
        .size:           48
        .value_kind:     by_value
    .group_segment_fixed_size: 0
    .kernarg_segment_align: 8
    .kernarg_segment_size: 48
    .language:       OpenCL C
    .language_version:
      - 2
      - 0
    .max_flat_workgroup_size: 256
    .name:           _ZN7rocprim17ROCPRIM_400000_NS6detail17trampoline_kernelINS0_14default_configENS1_38merge_sort_block_merge_config_selectorIxNS0_10empty_typeEEEZZNS1_27merge_sort_block_merge_implIS3_N6thrust23THRUST_200600_302600_NS6detail15normal_iteratorINS9_10device_ptrIxEEEEPS5_jNS1_19radix_merge_compareILb0ELb1ExNS0_19identity_decomposerEEEEE10hipError_tT0_T1_T2_jT3_P12ihipStream_tbPNSt15iterator_traitsISK_E10value_typeEPNSQ_ISL_E10value_typeEPSM_NS1_7vsmem_tEENKUlT_SK_SL_SM_E_clISE_PxSF_SF_EESJ_SZ_SK_SL_SM_EUlSZ_E1_NS1_11comp_targetILNS1_3genE4ELNS1_11target_archE910ELNS1_3gpuE8ELNS1_3repE0EEENS1_36merge_oddeven_config_static_selectorELNS0_4arch9wavefront6targetE1EEEvSL_
    .private_segment_fixed_size: 0
    .sgpr_count:     25
    .sgpr_spill_count: 0
    .symbol:         _ZN7rocprim17ROCPRIM_400000_NS6detail17trampoline_kernelINS0_14default_configENS1_38merge_sort_block_merge_config_selectorIxNS0_10empty_typeEEEZZNS1_27merge_sort_block_merge_implIS3_N6thrust23THRUST_200600_302600_NS6detail15normal_iteratorINS9_10device_ptrIxEEEEPS5_jNS1_19radix_merge_compareILb0ELb1ExNS0_19identity_decomposerEEEEE10hipError_tT0_T1_T2_jT3_P12ihipStream_tbPNSt15iterator_traitsISK_E10value_typeEPNSQ_ISL_E10value_typeEPSM_NS1_7vsmem_tEENKUlT_SK_SL_SM_E_clISE_PxSF_SF_EESJ_SZ_SK_SL_SM_EUlSZ_E1_NS1_11comp_targetILNS1_3genE4ELNS1_11target_archE910ELNS1_3gpuE8ELNS1_3repE0EEENS1_36merge_oddeven_config_static_selectorELNS0_4arch9wavefront6targetE1EEEvSL_.kd
    .uniform_work_group_size: 1
    .uses_dynamic_stack: false
    .vgpr_count:     14
    .vgpr_spill_count: 0
    .wavefront_size: 64
  - .agpr_count:     0
    .args:
      - .offset:         0
        .size:           48
        .value_kind:     by_value
    .group_segment_fixed_size: 0
    .kernarg_segment_align: 8
    .kernarg_segment_size: 48
    .language:       OpenCL C
    .language_version:
      - 2
      - 0
    .max_flat_workgroup_size: 256
    .name:           _ZN7rocprim17ROCPRIM_400000_NS6detail17trampoline_kernelINS0_14default_configENS1_38merge_sort_block_merge_config_selectorIxNS0_10empty_typeEEEZZNS1_27merge_sort_block_merge_implIS3_N6thrust23THRUST_200600_302600_NS6detail15normal_iteratorINS9_10device_ptrIxEEEEPS5_jNS1_19radix_merge_compareILb0ELb1ExNS0_19identity_decomposerEEEEE10hipError_tT0_T1_T2_jT3_P12ihipStream_tbPNSt15iterator_traitsISK_E10value_typeEPNSQ_ISL_E10value_typeEPSM_NS1_7vsmem_tEENKUlT_SK_SL_SM_E_clISE_PxSF_SF_EESJ_SZ_SK_SL_SM_EUlSZ_E1_NS1_11comp_targetILNS1_3genE3ELNS1_11target_archE908ELNS1_3gpuE7ELNS1_3repE0EEENS1_36merge_oddeven_config_static_selectorELNS0_4arch9wavefront6targetE1EEEvSL_
    .private_segment_fixed_size: 0
    .sgpr_count:     4
    .sgpr_spill_count: 0
    .symbol:         _ZN7rocprim17ROCPRIM_400000_NS6detail17trampoline_kernelINS0_14default_configENS1_38merge_sort_block_merge_config_selectorIxNS0_10empty_typeEEEZZNS1_27merge_sort_block_merge_implIS3_N6thrust23THRUST_200600_302600_NS6detail15normal_iteratorINS9_10device_ptrIxEEEEPS5_jNS1_19radix_merge_compareILb0ELb1ExNS0_19identity_decomposerEEEEE10hipError_tT0_T1_T2_jT3_P12ihipStream_tbPNSt15iterator_traitsISK_E10value_typeEPNSQ_ISL_E10value_typeEPSM_NS1_7vsmem_tEENKUlT_SK_SL_SM_E_clISE_PxSF_SF_EESJ_SZ_SK_SL_SM_EUlSZ_E1_NS1_11comp_targetILNS1_3genE3ELNS1_11target_archE908ELNS1_3gpuE7ELNS1_3repE0EEENS1_36merge_oddeven_config_static_selectorELNS0_4arch9wavefront6targetE1EEEvSL_.kd
    .uniform_work_group_size: 1
    .uses_dynamic_stack: false
    .vgpr_count:     0
    .vgpr_spill_count: 0
    .wavefront_size: 64
  - .agpr_count:     0
    .args:
      - .offset:         0
        .size:           48
        .value_kind:     by_value
    .group_segment_fixed_size: 0
    .kernarg_segment_align: 8
    .kernarg_segment_size: 48
    .language:       OpenCL C
    .language_version:
      - 2
      - 0
    .max_flat_workgroup_size: 256
    .name:           _ZN7rocprim17ROCPRIM_400000_NS6detail17trampoline_kernelINS0_14default_configENS1_38merge_sort_block_merge_config_selectorIxNS0_10empty_typeEEEZZNS1_27merge_sort_block_merge_implIS3_N6thrust23THRUST_200600_302600_NS6detail15normal_iteratorINS9_10device_ptrIxEEEEPS5_jNS1_19radix_merge_compareILb0ELb1ExNS0_19identity_decomposerEEEEE10hipError_tT0_T1_T2_jT3_P12ihipStream_tbPNSt15iterator_traitsISK_E10value_typeEPNSQ_ISL_E10value_typeEPSM_NS1_7vsmem_tEENKUlT_SK_SL_SM_E_clISE_PxSF_SF_EESJ_SZ_SK_SL_SM_EUlSZ_E1_NS1_11comp_targetILNS1_3genE2ELNS1_11target_archE906ELNS1_3gpuE6ELNS1_3repE0EEENS1_36merge_oddeven_config_static_selectorELNS0_4arch9wavefront6targetE1EEEvSL_
    .private_segment_fixed_size: 0
    .sgpr_count:     4
    .sgpr_spill_count: 0
    .symbol:         _ZN7rocprim17ROCPRIM_400000_NS6detail17trampoline_kernelINS0_14default_configENS1_38merge_sort_block_merge_config_selectorIxNS0_10empty_typeEEEZZNS1_27merge_sort_block_merge_implIS3_N6thrust23THRUST_200600_302600_NS6detail15normal_iteratorINS9_10device_ptrIxEEEEPS5_jNS1_19radix_merge_compareILb0ELb1ExNS0_19identity_decomposerEEEEE10hipError_tT0_T1_T2_jT3_P12ihipStream_tbPNSt15iterator_traitsISK_E10value_typeEPNSQ_ISL_E10value_typeEPSM_NS1_7vsmem_tEENKUlT_SK_SL_SM_E_clISE_PxSF_SF_EESJ_SZ_SK_SL_SM_EUlSZ_E1_NS1_11comp_targetILNS1_3genE2ELNS1_11target_archE906ELNS1_3gpuE6ELNS1_3repE0EEENS1_36merge_oddeven_config_static_selectorELNS0_4arch9wavefront6targetE1EEEvSL_.kd
    .uniform_work_group_size: 1
    .uses_dynamic_stack: false
    .vgpr_count:     0
    .vgpr_spill_count: 0
    .wavefront_size: 64
  - .agpr_count:     0
    .args:
      - .offset:         0
        .size:           48
        .value_kind:     by_value
    .group_segment_fixed_size: 0
    .kernarg_segment_align: 8
    .kernarg_segment_size: 48
    .language:       OpenCL C
    .language_version:
      - 2
      - 0
    .max_flat_workgroup_size: 256
    .name:           _ZN7rocprim17ROCPRIM_400000_NS6detail17trampoline_kernelINS0_14default_configENS1_38merge_sort_block_merge_config_selectorIxNS0_10empty_typeEEEZZNS1_27merge_sort_block_merge_implIS3_N6thrust23THRUST_200600_302600_NS6detail15normal_iteratorINS9_10device_ptrIxEEEEPS5_jNS1_19radix_merge_compareILb0ELb1ExNS0_19identity_decomposerEEEEE10hipError_tT0_T1_T2_jT3_P12ihipStream_tbPNSt15iterator_traitsISK_E10value_typeEPNSQ_ISL_E10value_typeEPSM_NS1_7vsmem_tEENKUlT_SK_SL_SM_E_clISE_PxSF_SF_EESJ_SZ_SK_SL_SM_EUlSZ_E1_NS1_11comp_targetILNS1_3genE9ELNS1_11target_archE1100ELNS1_3gpuE3ELNS1_3repE0EEENS1_36merge_oddeven_config_static_selectorELNS0_4arch9wavefront6targetE1EEEvSL_
    .private_segment_fixed_size: 0
    .sgpr_count:     4
    .sgpr_spill_count: 0
    .symbol:         _ZN7rocprim17ROCPRIM_400000_NS6detail17trampoline_kernelINS0_14default_configENS1_38merge_sort_block_merge_config_selectorIxNS0_10empty_typeEEEZZNS1_27merge_sort_block_merge_implIS3_N6thrust23THRUST_200600_302600_NS6detail15normal_iteratorINS9_10device_ptrIxEEEEPS5_jNS1_19radix_merge_compareILb0ELb1ExNS0_19identity_decomposerEEEEE10hipError_tT0_T1_T2_jT3_P12ihipStream_tbPNSt15iterator_traitsISK_E10value_typeEPNSQ_ISL_E10value_typeEPSM_NS1_7vsmem_tEENKUlT_SK_SL_SM_E_clISE_PxSF_SF_EESJ_SZ_SK_SL_SM_EUlSZ_E1_NS1_11comp_targetILNS1_3genE9ELNS1_11target_archE1100ELNS1_3gpuE3ELNS1_3repE0EEENS1_36merge_oddeven_config_static_selectorELNS0_4arch9wavefront6targetE1EEEvSL_.kd
    .uniform_work_group_size: 1
    .uses_dynamic_stack: false
    .vgpr_count:     0
    .vgpr_spill_count: 0
    .wavefront_size: 64
  - .agpr_count:     0
    .args:
      - .offset:         0
        .size:           48
        .value_kind:     by_value
    .group_segment_fixed_size: 0
    .kernarg_segment_align: 8
    .kernarg_segment_size: 48
    .language:       OpenCL C
    .language_version:
      - 2
      - 0
    .max_flat_workgroup_size: 256
    .name:           _ZN7rocprim17ROCPRIM_400000_NS6detail17trampoline_kernelINS0_14default_configENS1_38merge_sort_block_merge_config_selectorIxNS0_10empty_typeEEEZZNS1_27merge_sort_block_merge_implIS3_N6thrust23THRUST_200600_302600_NS6detail15normal_iteratorINS9_10device_ptrIxEEEEPS5_jNS1_19radix_merge_compareILb0ELb1ExNS0_19identity_decomposerEEEEE10hipError_tT0_T1_T2_jT3_P12ihipStream_tbPNSt15iterator_traitsISK_E10value_typeEPNSQ_ISL_E10value_typeEPSM_NS1_7vsmem_tEENKUlT_SK_SL_SM_E_clISE_PxSF_SF_EESJ_SZ_SK_SL_SM_EUlSZ_E1_NS1_11comp_targetILNS1_3genE8ELNS1_11target_archE1030ELNS1_3gpuE2ELNS1_3repE0EEENS1_36merge_oddeven_config_static_selectorELNS0_4arch9wavefront6targetE1EEEvSL_
    .private_segment_fixed_size: 0
    .sgpr_count:     4
    .sgpr_spill_count: 0
    .symbol:         _ZN7rocprim17ROCPRIM_400000_NS6detail17trampoline_kernelINS0_14default_configENS1_38merge_sort_block_merge_config_selectorIxNS0_10empty_typeEEEZZNS1_27merge_sort_block_merge_implIS3_N6thrust23THRUST_200600_302600_NS6detail15normal_iteratorINS9_10device_ptrIxEEEEPS5_jNS1_19radix_merge_compareILb0ELb1ExNS0_19identity_decomposerEEEEE10hipError_tT0_T1_T2_jT3_P12ihipStream_tbPNSt15iterator_traitsISK_E10value_typeEPNSQ_ISL_E10value_typeEPSM_NS1_7vsmem_tEENKUlT_SK_SL_SM_E_clISE_PxSF_SF_EESJ_SZ_SK_SL_SM_EUlSZ_E1_NS1_11comp_targetILNS1_3genE8ELNS1_11target_archE1030ELNS1_3gpuE2ELNS1_3repE0EEENS1_36merge_oddeven_config_static_selectorELNS0_4arch9wavefront6targetE1EEEvSL_.kd
    .uniform_work_group_size: 1
    .uses_dynamic_stack: false
    .vgpr_count:     0
    .vgpr_spill_count: 0
    .wavefront_size: 64
  - .agpr_count:     0
    .args:
      - .offset:         0
        .size:           40
        .value_kind:     by_value
    .group_segment_fixed_size: 0
    .kernarg_segment_align: 8
    .kernarg_segment_size: 40
    .language:       OpenCL C
    .language_version:
      - 2
      - 0
    .max_flat_workgroup_size: 512
    .name:           _ZN7rocprim17ROCPRIM_400000_NS6detail17trampoline_kernelINS0_14default_configENS1_35radix_sort_onesweep_config_selectorIxNS0_10empty_typeEEEZNS1_34radix_sort_onesweep_global_offsetsIS3_Lb0EN6thrust23THRUST_200600_302600_NS6detail15normal_iteratorINS9_10device_ptrIxEEEEPS5_jNS0_19identity_decomposerEEE10hipError_tT1_T2_PT3_SK_jT4_jjP12ihipStream_tbEUlT_E_NS1_11comp_targetILNS1_3genE0ELNS1_11target_archE4294967295ELNS1_3gpuE0ELNS1_3repE0EEENS1_52radix_sort_onesweep_histogram_config_static_selectorELNS0_4arch9wavefront6targetE1EEEvSI_
    .private_segment_fixed_size: 0
    .sgpr_count:     4
    .sgpr_spill_count: 0
    .symbol:         _ZN7rocprim17ROCPRIM_400000_NS6detail17trampoline_kernelINS0_14default_configENS1_35radix_sort_onesweep_config_selectorIxNS0_10empty_typeEEEZNS1_34radix_sort_onesweep_global_offsetsIS3_Lb0EN6thrust23THRUST_200600_302600_NS6detail15normal_iteratorINS9_10device_ptrIxEEEEPS5_jNS0_19identity_decomposerEEE10hipError_tT1_T2_PT3_SK_jT4_jjP12ihipStream_tbEUlT_E_NS1_11comp_targetILNS1_3genE0ELNS1_11target_archE4294967295ELNS1_3gpuE0ELNS1_3repE0EEENS1_52radix_sort_onesweep_histogram_config_static_selectorELNS0_4arch9wavefront6targetE1EEEvSI_.kd
    .uniform_work_group_size: 1
    .uses_dynamic_stack: false
    .vgpr_count:     0
    .vgpr_spill_count: 0
    .wavefront_size: 64
  - .agpr_count:     0
    .args:
      - .offset:         0
        .size:           40
        .value_kind:     by_value
    .group_segment_fixed_size: 0
    .kernarg_segment_align: 8
    .kernarg_segment_size: 40
    .language:       OpenCL C
    .language_version:
      - 2
      - 0
    .max_flat_workgroup_size: 512
    .name:           _ZN7rocprim17ROCPRIM_400000_NS6detail17trampoline_kernelINS0_14default_configENS1_35radix_sort_onesweep_config_selectorIxNS0_10empty_typeEEEZNS1_34radix_sort_onesweep_global_offsetsIS3_Lb0EN6thrust23THRUST_200600_302600_NS6detail15normal_iteratorINS9_10device_ptrIxEEEEPS5_jNS0_19identity_decomposerEEE10hipError_tT1_T2_PT3_SK_jT4_jjP12ihipStream_tbEUlT_E_NS1_11comp_targetILNS1_3genE6ELNS1_11target_archE950ELNS1_3gpuE13ELNS1_3repE0EEENS1_52radix_sort_onesweep_histogram_config_static_selectorELNS0_4arch9wavefront6targetE1EEEvSI_
    .private_segment_fixed_size: 0
    .sgpr_count:     4
    .sgpr_spill_count: 0
    .symbol:         _ZN7rocprim17ROCPRIM_400000_NS6detail17trampoline_kernelINS0_14default_configENS1_35radix_sort_onesweep_config_selectorIxNS0_10empty_typeEEEZNS1_34radix_sort_onesweep_global_offsetsIS3_Lb0EN6thrust23THRUST_200600_302600_NS6detail15normal_iteratorINS9_10device_ptrIxEEEEPS5_jNS0_19identity_decomposerEEE10hipError_tT1_T2_PT3_SK_jT4_jjP12ihipStream_tbEUlT_E_NS1_11comp_targetILNS1_3genE6ELNS1_11target_archE950ELNS1_3gpuE13ELNS1_3repE0EEENS1_52radix_sort_onesweep_histogram_config_static_selectorELNS0_4arch9wavefront6targetE1EEEvSI_.kd
    .uniform_work_group_size: 1
    .uses_dynamic_stack: false
    .vgpr_count:     0
    .vgpr_spill_count: 0
    .wavefront_size: 64
  - .agpr_count:     0
    .args:
      - .offset:         0
        .size:           40
        .value_kind:     by_value
    .group_segment_fixed_size: 0
    .kernarg_segment_align: 8
    .kernarg_segment_size: 40
    .language:       OpenCL C
    .language_version:
      - 2
      - 0
    .max_flat_workgroup_size: 512
    .name:           _ZN7rocprim17ROCPRIM_400000_NS6detail17trampoline_kernelINS0_14default_configENS1_35radix_sort_onesweep_config_selectorIxNS0_10empty_typeEEEZNS1_34radix_sort_onesweep_global_offsetsIS3_Lb0EN6thrust23THRUST_200600_302600_NS6detail15normal_iteratorINS9_10device_ptrIxEEEEPS5_jNS0_19identity_decomposerEEE10hipError_tT1_T2_PT3_SK_jT4_jjP12ihipStream_tbEUlT_E_NS1_11comp_targetILNS1_3genE5ELNS1_11target_archE942ELNS1_3gpuE9ELNS1_3repE0EEENS1_52radix_sort_onesweep_histogram_config_static_selectorELNS0_4arch9wavefront6targetE1EEEvSI_
    .private_segment_fixed_size: 0
    .sgpr_count:     4
    .sgpr_spill_count: 0
    .symbol:         _ZN7rocprim17ROCPRIM_400000_NS6detail17trampoline_kernelINS0_14default_configENS1_35radix_sort_onesweep_config_selectorIxNS0_10empty_typeEEEZNS1_34radix_sort_onesweep_global_offsetsIS3_Lb0EN6thrust23THRUST_200600_302600_NS6detail15normal_iteratorINS9_10device_ptrIxEEEEPS5_jNS0_19identity_decomposerEEE10hipError_tT1_T2_PT3_SK_jT4_jjP12ihipStream_tbEUlT_E_NS1_11comp_targetILNS1_3genE5ELNS1_11target_archE942ELNS1_3gpuE9ELNS1_3repE0EEENS1_52radix_sort_onesweep_histogram_config_static_selectorELNS0_4arch9wavefront6targetE1EEEvSI_.kd
    .uniform_work_group_size: 1
    .uses_dynamic_stack: false
    .vgpr_count:     0
    .vgpr_spill_count: 0
    .wavefront_size: 64
  - .agpr_count:     0
    .args:
      - .offset:         0
        .size:           40
        .value_kind:     by_value
    .group_segment_fixed_size: 0
    .kernarg_segment_align: 8
    .kernarg_segment_size: 40
    .language:       OpenCL C
    .language_version:
      - 2
      - 0
    .max_flat_workgroup_size: 512
    .name:           _ZN7rocprim17ROCPRIM_400000_NS6detail17trampoline_kernelINS0_14default_configENS1_35radix_sort_onesweep_config_selectorIxNS0_10empty_typeEEEZNS1_34radix_sort_onesweep_global_offsetsIS3_Lb0EN6thrust23THRUST_200600_302600_NS6detail15normal_iteratorINS9_10device_ptrIxEEEEPS5_jNS0_19identity_decomposerEEE10hipError_tT1_T2_PT3_SK_jT4_jjP12ihipStream_tbEUlT_E_NS1_11comp_targetILNS1_3genE2ELNS1_11target_archE906ELNS1_3gpuE6ELNS1_3repE0EEENS1_52radix_sort_onesweep_histogram_config_static_selectorELNS0_4arch9wavefront6targetE1EEEvSI_
    .private_segment_fixed_size: 0
    .sgpr_count:     4
    .sgpr_spill_count: 0
    .symbol:         _ZN7rocprim17ROCPRIM_400000_NS6detail17trampoline_kernelINS0_14default_configENS1_35radix_sort_onesweep_config_selectorIxNS0_10empty_typeEEEZNS1_34radix_sort_onesweep_global_offsetsIS3_Lb0EN6thrust23THRUST_200600_302600_NS6detail15normal_iteratorINS9_10device_ptrIxEEEEPS5_jNS0_19identity_decomposerEEE10hipError_tT1_T2_PT3_SK_jT4_jjP12ihipStream_tbEUlT_E_NS1_11comp_targetILNS1_3genE2ELNS1_11target_archE906ELNS1_3gpuE6ELNS1_3repE0EEENS1_52radix_sort_onesweep_histogram_config_static_selectorELNS0_4arch9wavefront6targetE1EEEvSI_.kd
    .uniform_work_group_size: 1
    .uses_dynamic_stack: false
    .vgpr_count:     0
    .vgpr_spill_count: 0
    .wavefront_size: 64
  - .agpr_count:     0
    .args:
      - .offset:         0
        .size:           40
        .value_kind:     by_value
    .group_segment_fixed_size: 32768
    .kernarg_segment_align: 8
    .kernarg_segment_size: 40
    .language:       OpenCL C
    .language_version:
      - 2
      - 0
    .max_flat_workgroup_size: 1024
    .name:           _ZN7rocprim17ROCPRIM_400000_NS6detail17trampoline_kernelINS0_14default_configENS1_35radix_sort_onesweep_config_selectorIxNS0_10empty_typeEEEZNS1_34radix_sort_onesweep_global_offsetsIS3_Lb0EN6thrust23THRUST_200600_302600_NS6detail15normal_iteratorINS9_10device_ptrIxEEEEPS5_jNS0_19identity_decomposerEEE10hipError_tT1_T2_PT3_SK_jT4_jjP12ihipStream_tbEUlT_E_NS1_11comp_targetILNS1_3genE4ELNS1_11target_archE910ELNS1_3gpuE8ELNS1_3repE0EEENS1_52radix_sort_onesweep_histogram_config_static_selectorELNS0_4arch9wavefront6targetE1EEEvSI_
    .private_segment_fixed_size: 0
    .sgpr_count:     23
    .sgpr_spill_count: 0
    .symbol:         _ZN7rocprim17ROCPRIM_400000_NS6detail17trampoline_kernelINS0_14default_configENS1_35radix_sort_onesweep_config_selectorIxNS0_10empty_typeEEEZNS1_34radix_sort_onesweep_global_offsetsIS3_Lb0EN6thrust23THRUST_200600_302600_NS6detail15normal_iteratorINS9_10device_ptrIxEEEEPS5_jNS0_19identity_decomposerEEE10hipError_tT1_T2_PT3_SK_jT4_jjP12ihipStream_tbEUlT_E_NS1_11comp_targetILNS1_3genE4ELNS1_11target_archE910ELNS1_3gpuE8ELNS1_3repE0EEENS1_52radix_sort_onesweep_histogram_config_static_selectorELNS0_4arch9wavefront6targetE1EEEvSI_.kd
    .uniform_work_group_size: 1
    .uses_dynamic_stack: false
    .vgpr_count:     30
    .vgpr_spill_count: 0
    .wavefront_size: 64
  - .agpr_count:     0
    .args:
      - .offset:         0
        .size:           40
        .value_kind:     by_value
    .group_segment_fixed_size: 0
    .kernarg_segment_align: 8
    .kernarg_segment_size: 40
    .language:       OpenCL C
    .language_version:
      - 2
      - 0
    .max_flat_workgroup_size: 512
    .name:           _ZN7rocprim17ROCPRIM_400000_NS6detail17trampoline_kernelINS0_14default_configENS1_35radix_sort_onesweep_config_selectorIxNS0_10empty_typeEEEZNS1_34radix_sort_onesweep_global_offsetsIS3_Lb0EN6thrust23THRUST_200600_302600_NS6detail15normal_iteratorINS9_10device_ptrIxEEEEPS5_jNS0_19identity_decomposerEEE10hipError_tT1_T2_PT3_SK_jT4_jjP12ihipStream_tbEUlT_E_NS1_11comp_targetILNS1_3genE3ELNS1_11target_archE908ELNS1_3gpuE7ELNS1_3repE0EEENS1_52radix_sort_onesweep_histogram_config_static_selectorELNS0_4arch9wavefront6targetE1EEEvSI_
    .private_segment_fixed_size: 0
    .sgpr_count:     4
    .sgpr_spill_count: 0
    .symbol:         _ZN7rocprim17ROCPRIM_400000_NS6detail17trampoline_kernelINS0_14default_configENS1_35radix_sort_onesweep_config_selectorIxNS0_10empty_typeEEEZNS1_34radix_sort_onesweep_global_offsetsIS3_Lb0EN6thrust23THRUST_200600_302600_NS6detail15normal_iteratorINS9_10device_ptrIxEEEEPS5_jNS0_19identity_decomposerEEE10hipError_tT1_T2_PT3_SK_jT4_jjP12ihipStream_tbEUlT_E_NS1_11comp_targetILNS1_3genE3ELNS1_11target_archE908ELNS1_3gpuE7ELNS1_3repE0EEENS1_52radix_sort_onesweep_histogram_config_static_selectorELNS0_4arch9wavefront6targetE1EEEvSI_.kd
    .uniform_work_group_size: 1
    .uses_dynamic_stack: false
    .vgpr_count:     0
    .vgpr_spill_count: 0
    .wavefront_size: 64
  - .agpr_count:     0
    .args:
      - .offset:         0
        .size:           40
        .value_kind:     by_value
    .group_segment_fixed_size: 0
    .kernarg_segment_align: 8
    .kernarg_segment_size: 40
    .language:       OpenCL C
    .language_version:
      - 2
      - 0
    .max_flat_workgroup_size: 512
    .name:           _ZN7rocprim17ROCPRIM_400000_NS6detail17trampoline_kernelINS0_14default_configENS1_35radix_sort_onesweep_config_selectorIxNS0_10empty_typeEEEZNS1_34radix_sort_onesweep_global_offsetsIS3_Lb0EN6thrust23THRUST_200600_302600_NS6detail15normal_iteratorINS9_10device_ptrIxEEEEPS5_jNS0_19identity_decomposerEEE10hipError_tT1_T2_PT3_SK_jT4_jjP12ihipStream_tbEUlT_E_NS1_11comp_targetILNS1_3genE10ELNS1_11target_archE1201ELNS1_3gpuE5ELNS1_3repE0EEENS1_52radix_sort_onesweep_histogram_config_static_selectorELNS0_4arch9wavefront6targetE1EEEvSI_
    .private_segment_fixed_size: 0
    .sgpr_count:     4
    .sgpr_spill_count: 0
    .symbol:         _ZN7rocprim17ROCPRIM_400000_NS6detail17trampoline_kernelINS0_14default_configENS1_35radix_sort_onesweep_config_selectorIxNS0_10empty_typeEEEZNS1_34radix_sort_onesweep_global_offsetsIS3_Lb0EN6thrust23THRUST_200600_302600_NS6detail15normal_iteratorINS9_10device_ptrIxEEEEPS5_jNS0_19identity_decomposerEEE10hipError_tT1_T2_PT3_SK_jT4_jjP12ihipStream_tbEUlT_E_NS1_11comp_targetILNS1_3genE10ELNS1_11target_archE1201ELNS1_3gpuE5ELNS1_3repE0EEENS1_52radix_sort_onesweep_histogram_config_static_selectorELNS0_4arch9wavefront6targetE1EEEvSI_.kd
    .uniform_work_group_size: 1
    .uses_dynamic_stack: false
    .vgpr_count:     0
    .vgpr_spill_count: 0
    .wavefront_size: 64
  - .agpr_count:     0
    .args:
      - .offset:         0
        .size:           40
        .value_kind:     by_value
    .group_segment_fixed_size: 0
    .kernarg_segment_align: 8
    .kernarg_segment_size: 40
    .language:       OpenCL C
    .language_version:
      - 2
      - 0
    .max_flat_workgroup_size: 1024
    .name:           _ZN7rocprim17ROCPRIM_400000_NS6detail17trampoline_kernelINS0_14default_configENS1_35radix_sort_onesweep_config_selectorIxNS0_10empty_typeEEEZNS1_34radix_sort_onesweep_global_offsetsIS3_Lb0EN6thrust23THRUST_200600_302600_NS6detail15normal_iteratorINS9_10device_ptrIxEEEEPS5_jNS0_19identity_decomposerEEE10hipError_tT1_T2_PT3_SK_jT4_jjP12ihipStream_tbEUlT_E_NS1_11comp_targetILNS1_3genE9ELNS1_11target_archE1100ELNS1_3gpuE3ELNS1_3repE0EEENS1_52radix_sort_onesweep_histogram_config_static_selectorELNS0_4arch9wavefront6targetE1EEEvSI_
    .private_segment_fixed_size: 0
    .sgpr_count:     4
    .sgpr_spill_count: 0
    .symbol:         _ZN7rocprim17ROCPRIM_400000_NS6detail17trampoline_kernelINS0_14default_configENS1_35radix_sort_onesweep_config_selectorIxNS0_10empty_typeEEEZNS1_34radix_sort_onesweep_global_offsetsIS3_Lb0EN6thrust23THRUST_200600_302600_NS6detail15normal_iteratorINS9_10device_ptrIxEEEEPS5_jNS0_19identity_decomposerEEE10hipError_tT1_T2_PT3_SK_jT4_jjP12ihipStream_tbEUlT_E_NS1_11comp_targetILNS1_3genE9ELNS1_11target_archE1100ELNS1_3gpuE3ELNS1_3repE0EEENS1_52radix_sort_onesweep_histogram_config_static_selectorELNS0_4arch9wavefront6targetE1EEEvSI_.kd
    .uniform_work_group_size: 1
    .uses_dynamic_stack: false
    .vgpr_count:     0
    .vgpr_spill_count: 0
    .wavefront_size: 64
  - .agpr_count:     0
    .args:
      - .offset:         0
        .size:           40
        .value_kind:     by_value
    .group_segment_fixed_size: 0
    .kernarg_segment_align: 8
    .kernarg_segment_size: 40
    .language:       OpenCL C
    .language_version:
      - 2
      - 0
    .max_flat_workgroup_size: 1024
    .name:           _ZN7rocprim17ROCPRIM_400000_NS6detail17trampoline_kernelINS0_14default_configENS1_35radix_sort_onesweep_config_selectorIxNS0_10empty_typeEEEZNS1_34radix_sort_onesweep_global_offsetsIS3_Lb0EN6thrust23THRUST_200600_302600_NS6detail15normal_iteratorINS9_10device_ptrIxEEEEPS5_jNS0_19identity_decomposerEEE10hipError_tT1_T2_PT3_SK_jT4_jjP12ihipStream_tbEUlT_E_NS1_11comp_targetILNS1_3genE8ELNS1_11target_archE1030ELNS1_3gpuE2ELNS1_3repE0EEENS1_52radix_sort_onesweep_histogram_config_static_selectorELNS0_4arch9wavefront6targetE1EEEvSI_
    .private_segment_fixed_size: 0
    .sgpr_count:     4
    .sgpr_spill_count: 0
    .symbol:         _ZN7rocprim17ROCPRIM_400000_NS6detail17trampoline_kernelINS0_14default_configENS1_35radix_sort_onesweep_config_selectorIxNS0_10empty_typeEEEZNS1_34radix_sort_onesweep_global_offsetsIS3_Lb0EN6thrust23THRUST_200600_302600_NS6detail15normal_iteratorINS9_10device_ptrIxEEEEPS5_jNS0_19identity_decomposerEEE10hipError_tT1_T2_PT3_SK_jT4_jjP12ihipStream_tbEUlT_E_NS1_11comp_targetILNS1_3genE8ELNS1_11target_archE1030ELNS1_3gpuE2ELNS1_3repE0EEENS1_52radix_sort_onesweep_histogram_config_static_selectorELNS0_4arch9wavefront6targetE1EEEvSI_.kd
    .uniform_work_group_size: 1
    .uses_dynamic_stack: false
    .vgpr_count:     0
    .vgpr_spill_count: 0
    .wavefront_size: 64
  - .agpr_count:     0
    .args:
      - .address_space:  global
        .offset:         0
        .size:           8
        .value_kind:     global_buffer
    .group_segment_fixed_size: 0
    .kernarg_segment_align: 8
    .kernarg_segment_size: 8
    .language:       OpenCL C
    .language_version:
      - 2
      - 0
    .max_flat_workgroup_size: 512
    .name:           _ZN7rocprim17ROCPRIM_400000_NS6detail17trampoline_kernelINS0_14default_configENS1_35radix_sort_onesweep_config_selectorIxNS0_10empty_typeEEEZNS1_34radix_sort_onesweep_global_offsetsIS3_Lb0EN6thrust23THRUST_200600_302600_NS6detail15normal_iteratorINS9_10device_ptrIxEEEEPS5_jNS0_19identity_decomposerEEE10hipError_tT1_T2_PT3_SK_jT4_jjP12ihipStream_tbEUlT_E0_NS1_11comp_targetILNS1_3genE0ELNS1_11target_archE4294967295ELNS1_3gpuE0ELNS1_3repE0EEENS1_52radix_sort_onesweep_histogram_config_static_selectorELNS0_4arch9wavefront6targetE1EEEvSI_
    .private_segment_fixed_size: 0
    .sgpr_count:     4
    .sgpr_spill_count: 0
    .symbol:         _ZN7rocprim17ROCPRIM_400000_NS6detail17trampoline_kernelINS0_14default_configENS1_35radix_sort_onesweep_config_selectorIxNS0_10empty_typeEEEZNS1_34radix_sort_onesweep_global_offsetsIS3_Lb0EN6thrust23THRUST_200600_302600_NS6detail15normal_iteratorINS9_10device_ptrIxEEEEPS5_jNS0_19identity_decomposerEEE10hipError_tT1_T2_PT3_SK_jT4_jjP12ihipStream_tbEUlT_E0_NS1_11comp_targetILNS1_3genE0ELNS1_11target_archE4294967295ELNS1_3gpuE0ELNS1_3repE0EEENS1_52radix_sort_onesweep_histogram_config_static_selectorELNS0_4arch9wavefront6targetE1EEEvSI_.kd
    .uniform_work_group_size: 1
    .uses_dynamic_stack: false
    .vgpr_count:     0
    .vgpr_spill_count: 0
    .wavefront_size: 64
  - .agpr_count:     0
    .args:
      - .address_space:  global
        .offset:         0
        .size:           8
        .value_kind:     global_buffer
    .group_segment_fixed_size: 0
    .kernarg_segment_align: 8
    .kernarg_segment_size: 8
    .language:       OpenCL C
    .language_version:
      - 2
      - 0
    .max_flat_workgroup_size: 512
    .name:           _ZN7rocprim17ROCPRIM_400000_NS6detail17trampoline_kernelINS0_14default_configENS1_35radix_sort_onesweep_config_selectorIxNS0_10empty_typeEEEZNS1_34radix_sort_onesweep_global_offsetsIS3_Lb0EN6thrust23THRUST_200600_302600_NS6detail15normal_iteratorINS9_10device_ptrIxEEEEPS5_jNS0_19identity_decomposerEEE10hipError_tT1_T2_PT3_SK_jT4_jjP12ihipStream_tbEUlT_E0_NS1_11comp_targetILNS1_3genE6ELNS1_11target_archE950ELNS1_3gpuE13ELNS1_3repE0EEENS1_52radix_sort_onesweep_histogram_config_static_selectorELNS0_4arch9wavefront6targetE1EEEvSI_
    .private_segment_fixed_size: 0
    .sgpr_count:     4
    .sgpr_spill_count: 0
    .symbol:         _ZN7rocprim17ROCPRIM_400000_NS6detail17trampoline_kernelINS0_14default_configENS1_35radix_sort_onesweep_config_selectorIxNS0_10empty_typeEEEZNS1_34radix_sort_onesweep_global_offsetsIS3_Lb0EN6thrust23THRUST_200600_302600_NS6detail15normal_iteratorINS9_10device_ptrIxEEEEPS5_jNS0_19identity_decomposerEEE10hipError_tT1_T2_PT3_SK_jT4_jjP12ihipStream_tbEUlT_E0_NS1_11comp_targetILNS1_3genE6ELNS1_11target_archE950ELNS1_3gpuE13ELNS1_3repE0EEENS1_52radix_sort_onesweep_histogram_config_static_selectorELNS0_4arch9wavefront6targetE1EEEvSI_.kd
    .uniform_work_group_size: 1
    .uses_dynamic_stack: false
    .vgpr_count:     0
    .vgpr_spill_count: 0
    .wavefront_size: 64
  - .agpr_count:     0
    .args:
      - .address_space:  global
        .offset:         0
        .size:           8
        .value_kind:     global_buffer
    .group_segment_fixed_size: 0
    .kernarg_segment_align: 8
    .kernarg_segment_size: 8
    .language:       OpenCL C
    .language_version:
      - 2
      - 0
    .max_flat_workgroup_size: 512
    .name:           _ZN7rocprim17ROCPRIM_400000_NS6detail17trampoline_kernelINS0_14default_configENS1_35radix_sort_onesweep_config_selectorIxNS0_10empty_typeEEEZNS1_34radix_sort_onesweep_global_offsetsIS3_Lb0EN6thrust23THRUST_200600_302600_NS6detail15normal_iteratorINS9_10device_ptrIxEEEEPS5_jNS0_19identity_decomposerEEE10hipError_tT1_T2_PT3_SK_jT4_jjP12ihipStream_tbEUlT_E0_NS1_11comp_targetILNS1_3genE5ELNS1_11target_archE942ELNS1_3gpuE9ELNS1_3repE0EEENS1_52radix_sort_onesweep_histogram_config_static_selectorELNS0_4arch9wavefront6targetE1EEEvSI_
    .private_segment_fixed_size: 0
    .sgpr_count:     4
    .sgpr_spill_count: 0
    .symbol:         _ZN7rocprim17ROCPRIM_400000_NS6detail17trampoline_kernelINS0_14default_configENS1_35radix_sort_onesweep_config_selectorIxNS0_10empty_typeEEEZNS1_34radix_sort_onesweep_global_offsetsIS3_Lb0EN6thrust23THRUST_200600_302600_NS6detail15normal_iteratorINS9_10device_ptrIxEEEEPS5_jNS0_19identity_decomposerEEE10hipError_tT1_T2_PT3_SK_jT4_jjP12ihipStream_tbEUlT_E0_NS1_11comp_targetILNS1_3genE5ELNS1_11target_archE942ELNS1_3gpuE9ELNS1_3repE0EEENS1_52radix_sort_onesweep_histogram_config_static_selectorELNS0_4arch9wavefront6targetE1EEEvSI_.kd
    .uniform_work_group_size: 1
    .uses_dynamic_stack: false
    .vgpr_count:     0
    .vgpr_spill_count: 0
    .wavefront_size: 64
  - .agpr_count:     0
    .args:
      - .address_space:  global
        .offset:         0
        .size:           8
        .value_kind:     global_buffer
    .group_segment_fixed_size: 0
    .kernarg_segment_align: 8
    .kernarg_segment_size: 8
    .language:       OpenCL C
    .language_version:
      - 2
      - 0
    .max_flat_workgroup_size: 512
    .name:           _ZN7rocprim17ROCPRIM_400000_NS6detail17trampoline_kernelINS0_14default_configENS1_35radix_sort_onesweep_config_selectorIxNS0_10empty_typeEEEZNS1_34radix_sort_onesweep_global_offsetsIS3_Lb0EN6thrust23THRUST_200600_302600_NS6detail15normal_iteratorINS9_10device_ptrIxEEEEPS5_jNS0_19identity_decomposerEEE10hipError_tT1_T2_PT3_SK_jT4_jjP12ihipStream_tbEUlT_E0_NS1_11comp_targetILNS1_3genE2ELNS1_11target_archE906ELNS1_3gpuE6ELNS1_3repE0EEENS1_52radix_sort_onesweep_histogram_config_static_selectorELNS0_4arch9wavefront6targetE1EEEvSI_
    .private_segment_fixed_size: 0
    .sgpr_count:     4
    .sgpr_spill_count: 0
    .symbol:         _ZN7rocprim17ROCPRIM_400000_NS6detail17trampoline_kernelINS0_14default_configENS1_35radix_sort_onesweep_config_selectorIxNS0_10empty_typeEEEZNS1_34radix_sort_onesweep_global_offsetsIS3_Lb0EN6thrust23THRUST_200600_302600_NS6detail15normal_iteratorINS9_10device_ptrIxEEEEPS5_jNS0_19identity_decomposerEEE10hipError_tT1_T2_PT3_SK_jT4_jjP12ihipStream_tbEUlT_E0_NS1_11comp_targetILNS1_3genE2ELNS1_11target_archE906ELNS1_3gpuE6ELNS1_3repE0EEENS1_52radix_sort_onesweep_histogram_config_static_selectorELNS0_4arch9wavefront6targetE1EEEvSI_.kd
    .uniform_work_group_size: 1
    .uses_dynamic_stack: false
    .vgpr_count:     0
    .vgpr_spill_count: 0
    .wavefront_size: 64
  - .agpr_count:     0
    .args:
      - .address_space:  global
        .offset:         0
        .size:           8
        .value_kind:     global_buffer
    .group_segment_fixed_size: 64
    .kernarg_segment_align: 8
    .kernarg_segment_size: 8
    .language:       OpenCL C
    .language_version:
      - 2
      - 0
    .max_flat_workgroup_size: 1024
    .name:           _ZN7rocprim17ROCPRIM_400000_NS6detail17trampoline_kernelINS0_14default_configENS1_35radix_sort_onesweep_config_selectorIxNS0_10empty_typeEEEZNS1_34radix_sort_onesweep_global_offsetsIS3_Lb0EN6thrust23THRUST_200600_302600_NS6detail15normal_iteratorINS9_10device_ptrIxEEEEPS5_jNS0_19identity_decomposerEEE10hipError_tT1_T2_PT3_SK_jT4_jjP12ihipStream_tbEUlT_E0_NS1_11comp_targetILNS1_3genE4ELNS1_11target_archE910ELNS1_3gpuE8ELNS1_3repE0EEENS1_52radix_sort_onesweep_histogram_config_static_selectorELNS0_4arch9wavefront6targetE1EEEvSI_
    .private_segment_fixed_size: 0
    .sgpr_count:     18
    .sgpr_spill_count: 0
    .symbol:         _ZN7rocprim17ROCPRIM_400000_NS6detail17trampoline_kernelINS0_14default_configENS1_35radix_sort_onesweep_config_selectorIxNS0_10empty_typeEEEZNS1_34radix_sort_onesweep_global_offsetsIS3_Lb0EN6thrust23THRUST_200600_302600_NS6detail15normal_iteratorINS9_10device_ptrIxEEEEPS5_jNS0_19identity_decomposerEEE10hipError_tT1_T2_PT3_SK_jT4_jjP12ihipStream_tbEUlT_E0_NS1_11comp_targetILNS1_3genE4ELNS1_11target_archE910ELNS1_3gpuE8ELNS1_3repE0EEENS1_52radix_sort_onesweep_histogram_config_static_selectorELNS0_4arch9wavefront6targetE1EEEvSI_.kd
    .uniform_work_group_size: 1
    .uses_dynamic_stack: false
    .vgpr_count:     7
    .vgpr_spill_count: 0
    .wavefront_size: 64
  - .agpr_count:     0
    .args:
      - .address_space:  global
        .offset:         0
        .size:           8
        .value_kind:     global_buffer
    .group_segment_fixed_size: 0
    .kernarg_segment_align: 8
    .kernarg_segment_size: 8
    .language:       OpenCL C
    .language_version:
      - 2
      - 0
    .max_flat_workgroup_size: 512
    .name:           _ZN7rocprim17ROCPRIM_400000_NS6detail17trampoline_kernelINS0_14default_configENS1_35radix_sort_onesweep_config_selectorIxNS0_10empty_typeEEEZNS1_34radix_sort_onesweep_global_offsetsIS3_Lb0EN6thrust23THRUST_200600_302600_NS6detail15normal_iteratorINS9_10device_ptrIxEEEEPS5_jNS0_19identity_decomposerEEE10hipError_tT1_T2_PT3_SK_jT4_jjP12ihipStream_tbEUlT_E0_NS1_11comp_targetILNS1_3genE3ELNS1_11target_archE908ELNS1_3gpuE7ELNS1_3repE0EEENS1_52radix_sort_onesweep_histogram_config_static_selectorELNS0_4arch9wavefront6targetE1EEEvSI_
    .private_segment_fixed_size: 0
    .sgpr_count:     4
    .sgpr_spill_count: 0
    .symbol:         _ZN7rocprim17ROCPRIM_400000_NS6detail17trampoline_kernelINS0_14default_configENS1_35radix_sort_onesweep_config_selectorIxNS0_10empty_typeEEEZNS1_34radix_sort_onesweep_global_offsetsIS3_Lb0EN6thrust23THRUST_200600_302600_NS6detail15normal_iteratorINS9_10device_ptrIxEEEEPS5_jNS0_19identity_decomposerEEE10hipError_tT1_T2_PT3_SK_jT4_jjP12ihipStream_tbEUlT_E0_NS1_11comp_targetILNS1_3genE3ELNS1_11target_archE908ELNS1_3gpuE7ELNS1_3repE0EEENS1_52radix_sort_onesweep_histogram_config_static_selectorELNS0_4arch9wavefront6targetE1EEEvSI_.kd
    .uniform_work_group_size: 1
    .uses_dynamic_stack: false
    .vgpr_count:     0
    .vgpr_spill_count: 0
    .wavefront_size: 64
  - .agpr_count:     0
    .args:
      - .address_space:  global
        .offset:         0
        .size:           8
        .value_kind:     global_buffer
    .group_segment_fixed_size: 0
    .kernarg_segment_align: 8
    .kernarg_segment_size: 8
    .language:       OpenCL C
    .language_version:
      - 2
      - 0
    .max_flat_workgroup_size: 512
    .name:           _ZN7rocprim17ROCPRIM_400000_NS6detail17trampoline_kernelINS0_14default_configENS1_35radix_sort_onesweep_config_selectorIxNS0_10empty_typeEEEZNS1_34radix_sort_onesweep_global_offsetsIS3_Lb0EN6thrust23THRUST_200600_302600_NS6detail15normal_iteratorINS9_10device_ptrIxEEEEPS5_jNS0_19identity_decomposerEEE10hipError_tT1_T2_PT3_SK_jT4_jjP12ihipStream_tbEUlT_E0_NS1_11comp_targetILNS1_3genE10ELNS1_11target_archE1201ELNS1_3gpuE5ELNS1_3repE0EEENS1_52radix_sort_onesweep_histogram_config_static_selectorELNS0_4arch9wavefront6targetE1EEEvSI_
    .private_segment_fixed_size: 0
    .sgpr_count:     4
    .sgpr_spill_count: 0
    .symbol:         _ZN7rocprim17ROCPRIM_400000_NS6detail17trampoline_kernelINS0_14default_configENS1_35radix_sort_onesweep_config_selectorIxNS0_10empty_typeEEEZNS1_34radix_sort_onesweep_global_offsetsIS3_Lb0EN6thrust23THRUST_200600_302600_NS6detail15normal_iteratorINS9_10device_ptrIxEEEEPS5_jNS0_19identity_decomposerEEE10hipError_tT1_T2_PT3_SK_jT4_jjP12ihipStream_tbEUlT_E0_NS1_11comp_targetILNS1_3genE10ELNS1_11target_archE1201ELNS1_3gpuE5ELNS1_3repE0EEENS1_52radix_sort_onesweep_histogram_config_static_selectorELNS0_4arch9wavefront6targetE1EEEvSI_.kd
    .uniform_work_group_size: 1
    .uses_dynamic_stack: false
    .vgpr_count:     0
    .vgpr_spill_count: 0
    .wavefront_size: 64
  - .agpr_count:     0
    .args:
      - .address_space:  global
        .offset:         0
        .size:           8
        .value_kind:     global_buffer
    .group_segment_fixed_size: 0
    .kernarg_segment_align: 8
    .kernarg_segment_size: 8
    .language:       OpenCL C
    .language_version:
      - 2
      - 0
    .max_flat_workgroup_size: 1024
    .name:           _ZN7rocprim17ROCPRIM_400000_NS6detail17trampoline_kernelINS0_14default_configENS1_35radix_sort_onesweep_config_selectorIxNS0_10empty_typeEEEZNS1_34radix_sort_onesweep_global_offsetsIS3_Lb0EN6thrust23THRUST_200600_302600_NS6detail15normal_iteratorINS9_10device_ptrIxEEEEPS5_jNS0_19identity_decomposerEEE10hipError_tT1_T2_PT3_SK_jT4_jjP12ihipStream_tbEUlT_E0_NS1_11comp_targetILNS1_3genE9ELNS1_11target_archE1100ELNS1_3gpuE3ELNS1_3repE0EEENS1_52radix_sort_onesweep_histogram_config_static_selectorELNS0_4arch9wavefront6targetE1EEEvSI_
    .private_segment_fixed_size: 0
    .sgpr_count:     4
    .sgpr_spill_count: 0
    .symbol:         _ZN7rocprim17ROCPRIM_400000_NS6detail17trampoline_kernelINS0_14default_configENS1_35radix_sort_onesweep_config_selectorIxNS0_10empty_typeEEEZNS1_34radix_sort_onesweep_global_offsetsIS3_Lb0EN6thrust23THRUST_200600_302600_NS6detail15normal_iteratorINS9_10device_ptrIxEEEEPS5_jNS0_19identity_decomposerEEE10hipError_tT1_T2_PT3_SK_jT4_jjP12ihipStream_tbEUlT_E0_NS1_11comp_targetILNS1_3genE9ELNS1_11target_archE1100ELNS1_3gpuE3ELNS1_3repE0EEENS1_52radix_sort_onesweep_histogram_config_static_selectorELNS0_4arch9wavefront6targetE1EEEvSI_.kd
    .uniform_work_group_size: 1
    .uses_dynamic_stack: false
    .vgpr_count:     0
    .vgpr_spill_count: 0
    .wavefront_size: 64
  - .agpr_count:     0
    .args:
      - .address_space:  global
        .offset:         0
        .size:           8
        .value_kind:     global_buffer
    .group_segment_fixed_size: 0
    .kernarg_segment_align: 8
    .kernarg_segment_size: 8
    .language:       OpenCL C
    .language_version:
      - 2
      - 0
    .max_flat_workgroup_size: 1024
    .name:           _ZN7rocprim17ROCPRIM_400000_NS6detail17trampoline_kernelINS0_14default_configENS1_35radix_sort_onesweep_config_selectorIxNS0_10empty_typeEEEZNS1_34radix_sort_onesweep_global_offsetsIS3_Lb0EN6thrust23THRUST_200600_302600_NS6detail15normal_iteratorINS9_10device_ptrIxEEEEPS5_jNS0_19identity_decomposerEEE10hipError_tT1_T2_PT3_SK_jT4_jjP12ihipStream_tbEUlT_E0_NS1_11comp_targetILNS1_3genE8ELNS1_11target_archE1030ELNS1_3gpuE2ELNS1_3repE0EEENS1_52radix_sort_onesweep_histogram_config_static_selectorELNS0_4arch9wavefront6targetE1EEEvSI_
    .private_segment_fixed_size: 0
    .sgpr_count:     4
    .sgpr_spill_count: 0
    .symbol:         _ZN7rocprim17ROCPRIM_400000_NS6detail17trampoline_kernelINS0_14default_configENS1_35radix_sort_onesweep_config_selectorIxNS0_10empty_typeEEEZNS1_34radix_sort_onesweep_global_offsetsIS3_Lb0EN6thrust23THRUST_200600_302600_NS6detail15normal_iteratorINS9_10device_ptrIxEEEEPS5_jNS0_19identity_decomposerEEE10hipError_tT1_T2_PT3_SK_jT4_jjP12ihipStream_tbEUlT_E0_NS1_11comp_targetILNS1_3genE8ELNS1_11target_archE1030ELNS1_3gpuE2ELNS1_3repE0EEENS1_52radix_sort_onesweep_histogram_config_static_selectorELNS0_4arch9wavefront6targetE1EEEvSI_.kd
    .uniform_work_group_size: 1
    .uses_dynamic_stack: false
    .vgpr_count:     0
    .vgpr_spill_count: 0
    .wavefront_size: 64
  - .agpr_count:     0
    .args:
      - .offset:         0
        .size:           40
        .value_kind:     by_value
    .group_segment_fixed_size: 0
    .kernarg_segment_align: 8
    .kernarg_segment_size: 40
    .language:       OpenCL C
    .language_version:
      - 2
      - 0
    .max_flat_workgroup_size: 128
    .name:           _ZN7rocprim17ROCPRIM_400000_NS6detail17trampoline_kernelINS0_14default_configENS1_25transform_config_selectorIxLb0EEEZNS1_14transform_implILb0ES3_S5_N6thrust23THRUST_200600_302600_NS6detail15normal_iteratorINS8_10device_ptrIxEEEEPxNS0_8identityIxEEEE10hipError_tT2_T3_mT4_P12ihipStream_tbEUlT_E_NS1_11comp_targetILNS1_3genE0ELNS1_11target_archE4294967295ELNS1_3gpuE0ELNS1_3repE0EEENS1_30default_config_static_selectorELNS0_4arch9wavefront6targetE1EEEvT1_
    .private_segment_fixed_size: 0
    .sgpr_count:     4
    .sgpr_spill_count: 0
    .symbol:         _ZN7rocprim17ROCPRIM_400000_NS6detail17trampoline_kernelINS0_14default_configENS1_25transform_config_selectorIxLb0EEEZNS1_14transform_implILb0ES3_S5_N6thrust23THRUST_200600_302600_NS6detail15normal_iteratorINS8_10device_ptrIxEEEEPxNS0_8identityIxEEEE10hipError_tT2_T3_mT4_P12ihipStream_tbEUlT_E_NS1_11comp_targetILNS1_3genE0ELNS1_11target_archE4294967295ELNS1_3gpuE0ELNS1_3repE0EEENS1_30default_config_static_selectorELNS0_4arch9wavefront6targetE1EEEvT1_.kd
    .uniform_work_group_size: 1
    .uses_dynamic_stack: false
    .vgpr_count:     0
    .vgpr_spill_count: 0
    .wavefront_size: 64
  - .agpr_count:     0
    .args:
      - .offset:         0
        .size:           40
        .value_kind:     by_value
    .group_segment_fixed_size: 0
    .kernarg_segment_align: 8
    .kernarg_segment_size: 40
    .language:       OpenCL C
    .language_version:
      - 2
      - 0
    .max_flat_workgroup_size: 512
    .name:           _ZN7rocprim17ROCPRIM_400000_NS6detail17trampoline_kernelINS0_14default_configENS1_25transform_config_selectorIxLb0EEEZNS1_14transform_implILb0ES3_S5_N6thrust23THRUST_200600_302600_NS6detail15normal_iteratorINS8_10device_ptrIxEEEEPxNS0_8identityIxEEEE10hipError_tT2_T3_mT4_P12ihipStream_tbEUlT_E_NS1_11comp_targetILNS1_3genE5ELNS1_11target_archE942ELNS1_3gpuE9ELNS1_3repE0EEENS1_30default_config_static_selectorELNS0_4arch9wavefront6targetE1EEEvT1_
    .private_segment_fixed_size: 0
    .sgpr_count:     4
    .sgpr_spill_count: 0
    .symbol:         _ZN7rocprim17ROCPRIM_400000_NS6detail17trampoline_kernelINS0_14default_configENS1_25transform_config_selectorIxLb0EEEZNS1_14transform_implILb0ES3_S5_N6thrust23THRUST_200600_302600_NS6detail15normal_iteratorINS8_10device_ptrIxEEEEPxNS0_8identityIxEEEE10hipError_tT2_T3_mT4_P12ihipStream_tbEUlT_E_NS1_11comp_targetILNS1_3genE5ELNS1_11target_archE942ELNS1_3gpuE9ELNS1_3repE0EEENS1_30default_config_static_selectorELNS0_4arch9wavefront6targetE1EEEvT1_.kd
    .uniform_work_group_size: 1
    .uses_dynamic_stack: false
    .vgpr_count:     0
    .vgpr_spill_count: 0
    .wavefront_size: 64
  - .agpr_count:     0
    .args:
      - .offset:         0
        .size:           40
        .value_kind:     by_value
      - .offset:         40
        .size:           4
        .value_kind:     hidden_block_count_x
      - .offset:         44
        .size:           4
        .value_kind:     hidden_block_count_y
      - .offset:         48
        .size:           4
        .value_kind:     hidden_block_count_z
      - .offset:         52
        .size:           2
        .value_kind:     hidden_group_size_x
      - .offset:         54
        .size:           2
        .value_kind:     hidden_group_size_y
      - .offset:         56
        .size:           2
        .value_kind:     hidden_group_size_z
      - .offset:         58
        .size:           2
        .value_kind:     hidden_remainder_x
      - .offset:         60
        .size:           2
        .value_kind:     hidden_remainder_y
      - .offset:         62
        .size:           2
        .value_kind:     hidden_remainder_z
      - .offset:         80
        .size:           8
        .value_kind:     hidden_global_offset_x
      - .offset:         88
        .size:           8
        .value_kind:     hidden_global_offset_y
      - .offset:         96
        .size:           8
        .value_kind:     hidden_global_offset_z
      - .offset:         104
        .size:           2
        .value_kind:     hidden_grid_dims
    .group_segment_fixed_size: 0
    .kernarg_segment_align: 8
    .kernarg_segment_size: 296
    .language:       OpenCL C
    .language_version:
      - 2
      - 0
    .max_flat_workgroup_size: 256
    .name:           _ZN7rocprim17ROCPRIM_400000_NS6detail17trampoline_kernelINS0_14default_configENS1_25transform_config_selectorIxLb0EEEZNS1_14transform_implILb0ES3_S5_N6thrust23THRUST_200600_302600_NS6detail15normal_iteratorINS8_10device_ptrIxEEEEPxNS0_8identityIxEEEE10hipError_tT2_T3_mT4_P12ihipStream_tbEUlT_E_NS1_11comp_targetILNS1_3genE4ELNS1_11target_archE910ELNS1_3gpuE8ELNS1_3repE0EEENS1_30default_config_static_selectorELNS0_4arch9wavefront6targetE1EEEvT1_
    .private_segment_fixed_size: 0
    .sgpr_count:     20
    .sgpr_spill_count: 0
    .symbol:         _ZN7rocprim17ROCPRIM_400000_NS6detail17trampoline_kernelINS0_14default_configENS1_25transform_config_selectorIxLb0EEEZNS1_14transform_implILb0ES3_S5_N6thrust23THRUST_200600_302600_NS6detail15normal_iteratorINS8_10device_ptrIxEEEEPxNS0_8identityIxEEEE10hipError_tT2_T3_mT4_P12ihipStream_tbEUlT_E_NS1_11comp_targetILNS1_3genE4ELNS1_11target_archE910ELNS1_3gpuE8ELNS1_3repE0EEENS1_30default_config_static_selectorELNS0_4arch9wavefront6targetE1EEEvT1_.kd
    .uniform_work_group_size: 1
    .uses_dynamic_stack: false
    .vgpr_count:     12
    .vgpr_spill_count: 0
    .wavefront_size: 64
  - .agpr_count:     0
    .args:
      - .offset:         0
        .size:           40
        .value_kind:     by_value
    .group_segment_fixed_size: 0
    .kernarg_segment_align: 8
    .kernarg_segment_size: 40
    .language:       OpenCL C
    .language_version:
      - 2
      - 0
    .max_flat_workgroup_size: 128
    .name:           _ZN7rocprim17ROCPRIM_400000_NS6detail17trampoline_kernelINS0_14default_configENS1_25transform_config_selectorIxLb0EEEZNS1_14transform_implILb0ES3_S5_N6thrust23THRUST_200600_302600_NS6detail15normal_iteratorINS8_10device_ptrIxEEEEPxNS0_8identityIxEEEE10hipError_tT2_T3_mT4_P12ihipStream_tbEUlT_E_NS1_11comp_targetILNS1_3genE3ELNS1_11target_archE908ELNS1_3gpuE7ELNS1_3repE0EEENS1_30default_config_static_selectorELNS0_4arch9wavefront6targetE1EEEvT1_
    .private_segment_fixed_size: 0
    .sgpr_count:     4
    .sgpr_spill_count: 0
    .symbol:         _ZN7rocprim17ROCPRIM_400000_NS6detail17trampoline_kernelINS0_14default_configENS1_25transform_config_selectorIxLb0EEEZNS1_14transform_implILb0ES3_S5_N6thrust23THRUST_200600_302600_NS6detail15normal_iteratorINS8_10device_ptrIxEEEEPxNS0_8identityIxEEEE10hipError_tT2_T3_mT4_P12ihipStream_tbEUlT_E_NS1_11comp_targetILNS1_3genE3ELNS1_11target_archE908ELNS1_3gpuE7ELNS1_3repE0EEENS1_30default_config_static_selectorELNS0_4arch9wavefront6targetE1EEEvT1_.kd
    .uniform_work_group_size: 1
    .uses_dynamic_stack: false
    .vgpr_count:     0
    .vgpr_spill_count: 0
    .wavefront_size: 64
  - .agpr_count:     0
    .args:
      - .offset:         0
        .size:           40
        .value_kind:     by_value
    .group_segment_fixed_size: 0
    .kernarg_segment_align: 8
    .kernarg_segment_size: 40
    .language:       OpenCL C
    .language_version:
      - 2
      - 0
    .max_flat_workgroup_size: 512
    .name:           _ZN7rocprim17ROCPRIM_400000_NS6detail17trampoline_kernelINS0_14default_configENS1_25transform_config_selectorIxLb0EEEZNS1_14transform_implILb0ES3_S5_N6thrust23THRUST_200600_302600_NS6detail15normal_iteratorINS8_10device_ptrIxEEEEPxNS0_8identityIxEEEE10hipError_tT2_T3_mT4_P12ihipStream_tbEUlT_E_NS1_11comp_targetILNS1_3genE2ELNS1_11target_archE906ELNS1_3gpuE6ELNS1_3repE0EEENS1_30default_config_static_selectorELNS0_4arch9wavefront6targetE1EEEvT1_
    .private_segment_fixed_size: 0
    .sgpr_count:     4
    .sgpr_spill_count: 0
    .symbol:         _ZN7rocprim17ROCPRIM_400000_NS6detail17trampoline_kernelINS0_14default_configENS1_25transform_config_selectorIxLb0EEEZNS1_14transform_implILb0ES3_S5_N6thrust23THRUST_200600_302600_NS6detail15normal_iteratorINS8_10device_ptrIxEEEEPxNS0_8identityIxEEEE10hipError_tT2_T3_mT4_P12ihipStream_tbEUlT_E_NS1_11comp_targetILNS1_3genE2ELNS1_11target_archE906ELNS1_3gpuE6ELNS1_3repE0EEENS1_30default_config_static_selectorELNS0_4arch9wavefront6targetE1EEEvT1_.kd
    .uniform_work_group_size: 1
    .uses_dynamic_stack: false
    .vgpr_count:     0
    .vgpr_spill_count: 0
    .wavefront_size: 64
  - .agpr_count:     0
    .args:
      - .offset:         0
        .size:           40
        .value_kind:     by_value
    .group_segment_fixed_size: 0
    .kernarg_segment_align: 8
    .kernarg_segment_size: 40
    .language:       OpenCL C
    .language_version:
      - 2
      - 0
    .max_flat_workgroup_size: 1024
    .name:           _ZN7rocprim17ROCPRIM_400000_NS6detail17trampoline_kernelINS0_14default_configENS1_25transform_config_selectorIxLb0EEEZNS1_14transform_implILb0ES3_S5_N6thrust23THRUST_200600_302600_NS6detail15normal_iteratorINS8_10device_ptrIxEEEEPxNS0_8identityIxEEEE10hipError_tT2_T3_mT4_P12ihipStream_tbEUlT_E_NS1_11comp_targetILNS1_3genE10ELNS1_11target_archE1201ELNS1_3gpuE5ELNS1_3repE0EEENS1_30default_config_static_selectorELNS0_4arch9wavefront6targetE1EEEvT1_
    .private_segment_fixed_size: 0
    .sgpr_count:     4
    .sgpr_spill_count: 0
    .symbol:         _ZN7rocprim17ROCPRIM_400000_NS6detail17trampoline_kernelINS0_14default_configENS1_25transform_config_selectorIxLb0EEEZNS1_14transform_implILb0ES3_S5_N6thrust23THRUST_200600_302600_NS6detail15normal_iteratorINS8_10device_ptrIxEEEEPxNS0_8identityIxEEEE10hipError_tT2_T3_mT4_P12ihipStream_tbEUlT_E_NS1_11comp_targetILNS1_3genE10ELNS1_11target_archE1201ELNS1_3gpuE5ELNS1_3repE0EEENS1_30default_config_static_selectorELNS0_4arch9wavefront6targetE1EEEvT1_.kd
    .uniform_work_group_size: 1
    .uses_dynamic_stack: false
    .vgpr_count:     0
    .vgpr_spill_count: 0
    .wavefront_size: 64
  - .agpr_count:     0
    .args:
      - .offset:         0
        .size:           40
        .value_kind:     by_value
    .group_segment_fixed_size: 0
    .kernarg_segment_align: 8
    .kernarg_segment_size: 40
    .language:       OpenCL C
    .language_version:
      - 2
      - 0
    .max_flat_workgroup_size: 512
    .name:           _ZN7rocprim17ROCPRIM_400000_NS6detail17trampoline_kernelINS0_14default_configENS1_25transform_config_selectorIxLb0EEEZNS1_14transform_implILb0ES3_S5_N6thrust23THRUST_200600_302600_NS6detail15normal_iteratorINS8_10device_ptrIxEEEEPxNS0_8identityIxEEEE10hipError_tT2_T3_mT4_P12ihipStream_tbEUlT_E_NS1_11comp_targetILNS1_3genE10ELNS1_11target_archE1200ELNS1_3gpuE4ELNS1_3repE0EEENS1_30default_config_static_selectorELNS0_4arch9wavefront6targetE1EEEvT1_
    .private_segment_fixed_size: 0
    .sgpr_count:     4
    .sgpr_spill_count: 0
    .symbol:         _ZN7rocprim17ROCPRIM_400000_NS6detail17trampoline_kernelINS0_14default_configENS1_25transform_config_selectorIxLb0EEEZNS1_14transform_implILb0ES3_S5_N6thrust23THRUST_200600_302600_NS6detail15normal_iteratorINS8_10device_ptrIxEEEEPxNS0_8identityIxEEEE10hipError_tT2_T3_mT4_P12ihipStream_tbEUlT_E_NS1_11comp_targetILNS1_3genE10ELNS1_11target_archE1200ELNS1_3gpuE4ELNS1_3repE0EEENS1_30default_config_static_selectorELNS0_4arch9wavefront6targetE1EEEvT1_.kd
    .uniform_work_group_size: 1
    .uses_dynamic_stack: false
    .vgpr_count:     0
    .vgpr_spill_count: 0
    .wavefront_size: 64
  - .agpr_count:     0
    .args:
      - .offset:         0
        .size:           40
        .value_kind:     by_value
    .group_segment_fixed_size: 0
    .kernarg_segment_align: 8
    .kernarg_segment_size: 40
    .language:       OpenCL C
    .language_version:
      - 2
      - 0
    .max_flat_workgroup_size: 512
    .name:           _ZN7rocprim17ROCPRIM_400000_NS6detail17trampoline_kernelINS0_14default_configENS1_25transform_config_selectorIxLb0EEEZNS1_14transform_implILb0ES3_S5_N6thrust23THRUST_200600_302600_NS6detail15normal_iteratorINS8_10device_ptrIxEEEEPxNS0_8identityIxEEEE10hipError_tT2_T3_mT4_P12ihipStream_tbEUlT_E_NS1_11comp_targetILNS1_3genE9ELNS1_11target_archE1100ELNS1_3gpuE3ELNS1_3repE0EEENS1_30default_config_static_selectorELNS0_4arch9wavefront6targetE1EEEvT1_
    .private_segment_fixed_size: 0
    .sgpr_count:     4
    .sgpr_spill_count: 0
    .symbol:         _ZN7rocprim17ROCPRIM_400000_NS6detail17trampoline_kernelINS0_14default_configENS1_25transform_config_selectorIxLb0EEEZNS1_14transform_implILb0ES3_S5_N6thrust23THRUST_200600_302600_NS6detail15normal_iteratorINS8_10device_ptrIxEEEEPxNS0_8identityIxEEEE10hipError_tT2_T3_mT4_P12ihipStream_tbEUlT_E_NS1_11comp_targetILNS1_3genE9ELNS1_11target_archE1100ELNS1_3gpuE3ELNS1_3repE0EEENS1_30default_config_static_selectorELNS0_4arch9wavefront6targetE1EEEvT1_.kd
    .uniform_work_group_size: 1
    .uses_dynamic_stack: false
    .vgpr_count:     0
    .vgpr_spill_count: 0
    .wavefront_size: 64
  - .agpr_count:     0
    .args:
      - .offset:         0
        .size:           40
        .value_kind:     by_value
    .group_segment_fixed_size: 0
    .kernarg_segment_align: 8
    .kernarg_segment_size: 40
    .language:       OpenCL C
    .language_version:
      - 2
      - 0
    .max_flat_workgroup_size: 512
    .name:           _ZN7rocprim17ROCPRIM_400000_NS6detail17trampoline_kernelINS0_14default_configENS1_25transform_config_selectorIxLb0EEEZNS1_14transform_implILb0ES3_S5_N6thrust23THRUST_200600_302600_NS6detail15normal_iteratorINS8_10device_ptrIxEEEEPxNS0_8identityIxEEEE10hipError_tT2_T3_mT4_P12ihipStream_tbEUlT_E_NS1_11comp_targetILNS1_3genE8ELNS1_11target_archE1030ELNS1_3gpuE2ELNS1_3repE0EEENS1_30default_config_static_selectorELNS0_4arch9wavefront6targetE1EEEvT1_
    .private_segment_fixed_size: 0
    .sgpr_count:     4
    .sgpr_spill_count: 0
    .symbol:         _ZN7rocprim17ROCPRIM_400000_NS6detail17trampoline_kernelINS0_14default_configENS1_25transform_config_selectorIxLb0EEEZNS1_14transform_implILb0ES3_S5_N6thrust23THRUST_200600_302600_NS6detail15normal_iteratorINS8_10device_ptrIxEEEEPxNS0_8identityIxEEEE10hipError_tT2_T3_mT4_P12ihipStream_tbEUlT_E_NS1_11comp_targetILNS1_3genE8ELNS1_11target_archE1030ELNS1_3gpuE2ELNS1_3repE0EEENS1_30default_config_static_selectorELNS0_4arch9wavefront6targetE1EEEvT1_.kd
    .uniform_work_group_size: 1
    .uses_dynamic_stack: false
    .vgpr_count:     0
    .vgpr_spill_count: 0
    .wavefront_size: 64
  - .agpr_count:     0
    .args:
      - .offset:         0
        .size:           88
        .value_kind:     by_value
    .group_segment_fixed_size: 0
    .kernarg_segment_align: 8
    .kernarg_segment_size: 88
    .language:       OpenCL C
    .language_version:
      - 2
      - 0
    .max_flat_workgroup_size: 512
    .name:           _ZN7rocprim17ROCPRIM_400000_NS6detail17trampoline_kernelINS0_14default_configENS1_35radix_sort_onesweep_config_selectorIxNS0_10empty_typeEEEZZNS1_29radix_sort_onesweep_iterationIS3_Lb0EN6thrust23THRUST_200600_302600_NS6detail15normal_iteratorINS9_10device_ptrIxEEEESE_PS5_SF_jNS0_19identity_decomposerENS1_16block_id_wrapperIjLb1EEEEE10hipError_tT1_PNSt15iterator_traitsISK_E10value_typeET2_T3_PNSL_ISQ_E10value_typeET4_T5_PSV_SW_PNS1_23onesweep_lookback_stateEbbT6_jjT7_P12ihipStream_tbENKUlT_T0_SK_SP_E_clISE_SE_SF_SF_EEDaS13_S14_SK_SP_EUlS13_E_NS1_11comp_targetILNS1_3genE0ELNS1_11target_archE4294967295ELNS1_3gpuE0ELNS1_3repE0EEENS1_47radix_sort_onesweep_sort_config_static_selectorELNS0_4arch9wavefront6targetE1EEEvSK_
    .private_segment_fixed_size: 0
    .sgpr_count:     4
    .sgpr_spill_count: 0
    .symbol:         _ZN7rocprim17ROCPRIM_400000_NS6detail17trampoline_kernelINS0_14default_configENS1_35radix_sort_onesweep_config_selectorIxNS0_10empty_typeEEEZZNS1_29radix_sort_onesweep_iterationIS3_Lb0EN6thrust23THRUST_200600_302600_NS6detail15normal_iteratorINS9_10device_ptrIxEEEESE_PS5_SF_jNS0_19identity_decomposerENS1_16block_id_wrapperIjLb1EEEEE10hipError_tT1_PNSt15iterator_traitsISK_E10value_typeET2_T3_PNSL_ISQ_E10value_typeET4_T5_PSV_SW_PNS1_23onesweep_lookback_stateEbbT6_jjT7_P12ihipStream_tbENKUlT_T0_SK_SP_E_clISE_SE_SF_SF_EEDaS13_S14_SK_SP_EUlS13_E_NS1_11comp_targetILNS1_3genE0ELNS1_11target_archE4294967295ELNS1_3gpuE0ELNS1_3repE0EEENS1_47radix_sort_onesweep_sort_config_static_selectorELNS0_4arch9wavefront6targetE1EEEvSK_.kd
    .uniform_work_group_size: 1
    .uses_dynamic_stack: false
    .vgpr_count:     0
    .vgpr_spill_count: 0
    .wavefront_size: 64
  - .agpr_count:     0
    .args:
      - .offset:         0
        .size:           88
        .value_kind:     by_value
    .group_segment_fixed_size: 0
    .kernarg_segment_align: 8
    .kernarg_segment_size: 88
    .language:       OpenCL C
    .language_version:
      - 2
      - 0
    .max_flat_workgroup_size: 512
    .name:           _ZN7rocprim17ROCPRIM_400000_NS6detail17trampoline_kernelINS0_14default_configENS1_35radix_sort_onesweep_config_selectorIxNS0_10empty_typeEEEZZNS1_29radix_sort_onesweep_iterationIS3_Lb0EN6thrust23THRUST_200600_302600_NS6detail15normal_iteratorINS9_10device_ptrIxEEEESE_PS5_SF_jNS0_19identity_decomposerENS1_16block_id_wrapperIjLb1EEEEE10hipError_tT1_PNSt15iterator_traitsISK_E10value_typeET2_T3_PNSL_ISQ_E10value_typeET4_T5_PSV_SW_PNS1_23onesweep_lookback_stateEbbT6_jjT7_P12ihipStream_tbENKUlT_T0_SK_SP_E_clISE_SE_SF_SF_EEDaS13_S14_SK_SP_EUlS13_E_NS1_11comp_targetILNS1_3genE6ELNS1_11target_archE950ELNS1_3gpuE13ELNS1_3repE0EEENS1_47radix_sort_onesweep_sort_config_static_selectorELNS0_4arch9wavefront6targetE1EEEvSK_
    .private_segment_fixed_size: 0
    .sgpr_count:     4
    .sgpr_spill_count: 0
    .symbol:         _ZN7rocprim17ROCPRIM_400000_NS6detail17trampoline_kernelINS0_14default_configENS1_35radix_sort_onesweep_config_selectorIxNS0_10empty_typeEEEZZNS1_29radix_sort_onesweep_iterationIS3_Lb0EN6thrust23THRUST_200600_302600_NS6detail15normal_iteratorINS9_10device_ptrIxEEEESE_PS5_SF_jNS0_19identity_decomposerENS1_16block_id_wrapperIjLb1EEEEE10hipError_tT1_PNSt15iterator_traitsISK_E10value_typeET2_T3_PNSL_ISQ_E10value_typeET4_T5_PSV_SW_PNS1_23onesweep_lookback_stateEbbT6_jjT7_P12ihipStream_tbENKUlT_T0_SK_SP_E_clISE_SE_SF_SF_EEDaS13_S14_SK_SP_EUlS13_E_NS1_11comp_targetILNS1_3genE6ELNS1_11target_archE950ELNS1_3gpuE13ELNS1_3repE0EEENS1_47radix_sort_onesweep_sort_config_static_selectorELNS0_4arch9wavefront6targetE1EEEvSK_.kd
    .uniform_work_group_size: 1
    .uses_dynamic_stack: false
    .vgpr_count:     0
    .vgpr_spill_count: 0
    .wavefront_size: 64
  - .agpr_count:     0
    .args:
      - .offset:         0
        .size:           88
        .value_kind:     by_value
    .group_segment_fixed_size: 0
    .kernarg_segment_align: 8
    .kernarg_segment_size: 88
    .language:       OpenCL C
    .language_version:
      - 2
      - 0
    .max_flat_workgroup_size: 512
    .name:           _ZN7rocprim17ROCPRIM_400000_NS6detail17trampoline_kernelINS0_14default_configENS1_35radix_sort_onesweep_config_selectorIxNS0_10empty_typeEEEZZNS1_29radix_sort_onesweep_iterationIS3_Lb0EN6thrust23THRUST_200600_302600_NS6detail15normal_iteratorINS9_10device_ptrIxEEEESE_PS5_SF_jNS0_19identity_decomposerENS1_16block_id_wrapperIjLb1EEEEE10hipError_tT1_PNSt15iterator_traitsISK_E10value_typeET2_T3_PNSL_ISQ_E10value_typeET4_T5_PSV_SW_PNS1_23onesweep_lookback_stateEbbT6_jjT7_P12ihipStream_tbENKUlT_T0_SK_SP_E_clISE_SE_SF_SF_EEDaS13_S14_SK_SP_EUlS13_E_NS1_11comp_targetILNS1_3genE5ELNS1_11target_archE942ELNS1_3gpuE9ELNS1_3repE0EEENS1_47radix_sort_onesweep_sort_config_static_selectorELNS0_4arch9wavefront6targetE1EEEvSK_
    .private_segment_fixed_size: 0
    .sgpr_count:     4
    .sgpr_spill_count: 0
    .symbol:         _ZN7rocprim17ROCPRIM_400000_NS6detail17trampoline_kernelINS0_14default_configENS1_35radix_sort_onesweep_config_selectorIxNS0_10empty_typeEEEZZNS1_29radix_sort_onesweep_iterationIS3_Lb0EN6thrust23THRUST_200600_302600_NS6detail15normal_iteratorINS9_10device_ptrIxEEEESE_PS5_SF_jNS0_19identity_decomposerENS1_16block_id_wrapperIjLb1EEEEE10hipError_tT1_PNSt15iterator_traitsISK_E10value_typeET2_T3_PNSL_ISQ_E10value_typeET4_T5_PSV_SW_PNS1_23onesweep_lookback_stateEbbT6_jjT7_P12ihipStream_tbENKUlT_T0_SK_SP_E_clISE_SE_SF_SF_EEDaS13_S14_SK_SP_EUlS13_E_NS1_11comp_targetILNS1_3genE5ELNS1_11target_archE942ELNS1_3gpuE9ELNS1_3repE0EEENS1_47radix_sort_onesweep_sort_config_static_selectorELNS0_4arch9wavefront6targetE1EEEvSK_.kd
    .uniform_work_group_size: 1
    .uses_dynamic_stack: false
    .vgpr_count:     0
    .vgpr_spill_count: 0
    .wavefront_size: 64
  - .agpr_count:     0
    .args:
      - .offset:         0
        .size:           88
        .value_kind:     by_value
    .group_segment_fixed_size: 0
    .kernarg_segment_align: 8
    .kernarg_segment_size: 88
    .language:       OpenCL C
    .language_version:
      - 2
      - 0
    .max_flat_workgroup_size: 512
    .name:           _ZN7rocprim17ROCPRIM_400000_NS6detail17trampoline_kernelINS0_14default_configENS1_35radix_sort_onesweep_config_selectorIxNS0_10empty_typeEEEZZNS1_29radix_sort_onesweep_iterationIS3_Lb0EN6thrust23THRUST_200600_302600_NS6detail15normal_iteratorINS9_10device_ptrIxEEEESE_PS5_SF_jNS0_19identity_decomposerENS1_16block_id_wrapperIjLb1EEEEE10hipError_tT1_PNSt15iterator_traitsISK_E10value_typeET2_T3_PNSL_ISQ_E10value_typeET4_T5_PSV_SW_PNS1_23onesweep_lookback_stateEbbT6_jjT7_P12ihipStream_tbENKUlT_T0_SK_SP_E_clISE_SE_SF_SF_EEDaS13_S14_SK_SP_EUlS13_E_NS1_11comp_targetILNS1_3genE2ELNS1_11target_archE906ELNS1_3gpuE6ELNS1_3repE0EEENS1_47radix_sort_onesweep_sort_config_static_selectorELNS0_4arch9wavefront6targetE1EEEvSK_
    .private_segment_fixed_size: 0
    .sgpr_count:     4
    .sgpr_spill_count: 0
    .symbol:         _ZN7rocprim17ROCPRIM_400000_NS6detail17trampoline_kernelINS0_14default_configENS1_35radix_sort_onesweep_config_selectorIxNS0_10empty_typeEEEZZNS1_29radix_sort_onesweep_iterationIS3_Lb0EN6thrust23THRUST_200600_302600_NS6detail15normal_iteratorINS9_10device_ptrIxEEEESE_PS5_SF_jNS0_19identity_decomposerENS1_16block_id_wrapperIjLb1EEEEE10hipError_tT1_PNSt15iterator_traitsISK_E10value_typeET2_T3_PNSL_ISQ_E10value_typeET4_T5_PSV_SW_PNS1_23onesweep_lookback_stateEbbT6_jjT7_P12ihipStream_tbENKUlT_T0_SK_SP_E_clISE_SE_SF_SF_EEDaS13_S14_SK_SP_EUlS13_E_NS1_11comp_targetILNS1_3genE2ELNS1_11target_archE906ELNS1_3gpuE6ELNS1_3repE0EEENS1_47radix_sort_onesweep_sort_config_static_selectorELNS0_4arch9wavefront6targetE1EEEvSK_.kd
    .uniform_work_group_size: 1
    .uses_dynamic_stack: false
    .vgpr_count:     0
    .vgpr_spill_count: 0
    .wavefront_size: 64
  - .agpr_count:     0
    .args:
      - .offset:         0
        .size:           88
        .value_kind:     by_value
      - .offset:         88
        .size:           4
        .value_kind:     hidden_block_count_x
      - .offset:         92
        .size:           4
        .value_kind:     hidden_block_count_y
      - .offset:         96
        .size:           4
        .value_kind:     hidden_block_count_z
      - .offset:         100
        .size:           2
        .value_kind:     hidden_group_size_x
      - .offset:         102
        .size:           2
        .value_kind:     hidden_group_size_y
      - .offset:         104
        .size:           2
        .value_kind:     hidden_group_size_z
      - .offset:         106
        .size:           2
        .value_kind:     hidden_remainder_x
      - .offset:         108
        .size:           2
        .value_kind:     hidden_remainder_y
      - .offset:         110
        .size:           2
        .value_kind:     hidden_remainder_z
      - .offset:         128
        .size:           8
        .value_kind:     hidden_global_offset_x
      - .offset:         136
        .size:           8
        .value_kind:     hidden_global_offset_y
      - .offset:         144
        .size:           8
        .value_kind:     hidden_global_offset_z
      - .offset:         152
        .size:           2
        .value_kind:     hidden_grid_dims
    .group_segment_fixed_size: 20552
    .kernarg_segment_align: 8
    .kernarg_segment_size: 344
    .language:       OpenCL C
    .language_version:
      - 2
      - 0
    .max_flat_workgroup_size: 1024
    .name:           _ZN7rocprim17ROCPRIM_400000_NS6detail17trampoline_kernelINS0_14default_configENS1_35radix_sort_onesweep_config_selectorIxNS0_10empty_typeEEEZZNS1_29radix_sort_onesweep_iterationIS3_Lb0EN6thrust23THRUST_200600_302600_NS6detail15normal_iteratorINS9_10device_ptrIxEEEESE_PS5_SF_jNS0_19identity_decomposerENS1_16block_id_wrapperIjLb1EEEEE10hipError_tT1_PNSt15iterator_traitsISK_E10value_typeET2_T3_PNSL_ISQ_E10value_typeET4_T5_PSV_SW_PNS1_23onesweep_lookback_stateEbbT6_jjT7_P12ihipStream_tbENKUlT_T0_SK_SP_E_clISE_SE_SF_SF_EEDaS13_S14_SK_SP_EUlS13_E_NS1_11comp_targetILNS1_3genE4ELNS1_11target_archE910ELNS1_3gpuE8ELNS1_3repE0EEENS1_47radix_sort_onesweep_sort_config_static_selectorELNS0_4arch9wavefront6targetE1EEEvSK_
    .private_segment_fixed_size: 0
    .sgpr_count:     38
    .sgpr_spill_count: 0
    .symbol:         _ZN7rocprim17ROCPRIM_400000_NS6detail17trampoline_kernelINS0_14default_configENS1_35radix_sort_onesweep_config_selectorIxNS0_10empty_typeEEEZZNS1_29radix_sort_onesweep_iterationIS3_Lb0EN6thrust23THRUST_200600_302600_NS6detail15normal_iteratorINS9_10device_ptrIxEEEESE_PS5_SF_jNS0_19identity_decomposerENS1_16block_id_wrapperIjLb1EEEEE10hipError_tT1_PNSt15iterator_traitsISK_E10value_typeET2_T3_PNSL_ISQ_E10value_typeET4_T5_PSV_SW_PNS1_23onesweep_lookback_stateEbbT6_jjT7_P12ihipStream_tbENKUlT_T0_SK_SP_E_clISE_SE_SF_SF_EEDaS13_S14_SK_SP_EUlS13_E_NS1_11comp_targetILNS1_3genE4ELNS1_11target_archE910ELNS1_3gpuE8ELNS1_3repE0EEENS1_47radix_sort_onesweep_sort_config_static_selectorELNS0_4arch9wavefront6targetE1EEEvSK_.kd
    .uniform_work_group_size: 1
    .uses_dynamic_stack: false
    .vgpr_count:     55
    .vgpr_spill_count: 0
    .wavefront_size: 64
  - .agpr_count:     0
    .args:
      - .offset:         0
        .size:           88
        .value_kind:     by_value
    .group_segment_fixed_size: 0
    .kernarg_segment_align: 8
    .kernarg_segment_size: 88
    .language:       OpenCL C
    .language_version:
      - 2
      - 0
    .max_flat_workgroup_size: 512
    .name:           _ZN7rocprim17ROCPRIM_400000_NS6detail17trampoline_kernelINS0_14default_configENS1_35radix_sort_onesweep_config_selectorIxNS0_10empty_typeEEEZZNS1_29radix_sort_onesweep_iterationIS3_Lb0EN6thrust23THRUST_200600_302600_NS6detail15normal_iteratorINS9_10device_ptrIxEEEESE_PS5_SF_jNS0_19identity_decomposerENS1_16block_id_wrapperIjLb1EEEEE10hipError_tT1_PNSt15iterator_traitsISK_E10value_typeET2_T3_PNSL_ISQ_E10value_typeET4_T5_PSV_SW_PNS1_23onesweep_lookback_stateEbbT6_jjT7_P12ihipStream_tbENKUlT_T0_SK_SP_E_clISE_SE_SF_SF_EEDaS13_S14_SK_SP_EUlS13_E_NS1_11comp_targetILNS1_3genE3ELNS1_11target_archE908ELNS1_3gpuE7ELNS1_3repE0EEENS1_47radix_sort_onesweep_sort_config_static_selectorELNS0_4arch9wavefront6targetE1EEEvSK_
    .private_segment_fixed_size: 0
    .sgpr_count:     4
    .sgpr_spill_count: 0
    .symbol:         _ZN7rocprim17ROCPRIM_400000_NS6detail17trampoline_kernelINS0_14default_configENS1_35radix_sort_onesweep_config_selectorIxNS0_10empty_typeEEEZZNS1_29radix_sort_onesweep_iterationIS3_Lb0EN6thrust23THRUST_200600_302600_NS6detail15normal_iteratorINS9_10device_ptrIxEEEESE_PS5_SF_jNS0_19identity_decomposerENS1_16block_id_wrapperIjLb1EEEEE10hipError_tT1_PNSt15iterator_traitsISK_E10value_typeET2_T3_PNSL_ISQ_E10value_typeET4_T5_PSV_SW_PNS1_23onesweep_lookback_stateEbbT6_jjT7_P12ihipStream_tbENKUlT_T0_SK_SP_E_clISE_SE_SF_SF_EEDaS13_S14_SK_SP_EUlS13_E_NS1_11comp_targetILNS1_3genE3ELNS1_11target_archE908ELNS1_3gpuE7ELNS1_3repE0EEENS1_47radix_sort_onesweep_sort_config_static_selectorELNS0_4arch9wavefront6targetE1EEEvSK_.kd
    .uniform_work_group_size: 1
    .uses_dynamic_stack: false
    .vgpr_count:     0
    .vgpr_spill_count: 0
    .wavefront_size: 64
  - .agpr_count:     0
    .args:
      - .offset:         0
        .size:           88
        .value_kind:     by_value
    .group_segment_fixed_size: 0
    .kernarg_segment_align: 8
    .kernarg_segment_size: 88
    .language:       OpenCL C
    .language_version:
      - 2
      - 0
    .max_flat_workgroup_size: 512
    .name:           _ZN7rocprim17ROCPRIM_400000_NS6detail17trampoline_kernelINS0_14default_configENS1_35radix_sort_onesweep_config_selectorIxNS0_10empty_typeEEEZZNS1_29radix_sort_onesweep_iterationIS3_Lb0EN6thrust23THRUST_200600_302600_NS6detail15normal_iteratorINS9_10device_ptrIxEEEESE_PS5_SF_jNS0_19identity_decomposerENS1_16block_id_wrapperIjLb1EEEEE10hipError_tT1_PNSt15iterator_traitsISK_E10value_typeET2_T3_PNSL_ISQ_E10value_typeET4_T5_PSV_SW_PNS1_23onesweep_lookback_stateEbbT6_jjT7_P12ihipStream_tbENKUlT_T0_SK_SP_E_clISE_SE_SF_SF_EEDaS13_S14_SK_SP_EUlS13_E_NS1_11comp_targetILNS1_3genE10ELNS1_11target_archE1201ELNS1_3gpuE5ELNS1_3repE0EEENS1_47radix_sort_onesweep_sort_config_static_selectorELNS0_4arch9wavefront6targetE1EEEvSK_
    .private_segment_fixed_size: 0
    .sgpr_count:     4
    .sgpr_spill_count: 0
    .symbol:         _ZN7rocprim17ROCPRIM_400000_NS6detail17trampoline_kernelINS0_14default_configENS1_35radix_sort_onesweep_config_selectorIxNS0_10empty_typeEEEZZNS1_29radix_sort_onesweep_iterationIS3_Lb0EN6thrust23THRUST_200600_302600_NS6detail15normal_iteratorINS9_10device_ptrIxEEEESE_PS5_SF_jNS0_19identity_decomposerENS1_16block_id_wrapperIjLb1EEEEE10hipError_tT1_PNSt15iterator_traitsISK_E10value_typeET2_T3_PNSL_ISQ_E10value_typeET4_T5_PSV_SW_PNS1_23onesweep_lookback_stateEbbT6_jjT7_P12ihipStream_tbENKUlT_T0_SK_SP_E_clISE_SE_SF_SF_EEDaS13_S14_SK_SP_EUlS13_E_NS1_11comp_targetILNS1_3genE10ELNS1_11target_archE1201ELNS1_3gpuE5ELNS1_3repE0EEENS1_47radix_sort_onesweep_sort_config_static_selectorELNS0_4arch9wavefront6targetE1EEEvSK_.kd
    .uniform_work_group_size: 1
    .uses_dynamic_stack: false
    .vgpr_count:     0
    .vgpr_spill_count: 0
    .wavefront_size: 64
  - .agpr_count:     0
    .args:
      - .offset:         0
        .size:           88
        .value_kind:     by_value
    .group_segment_fixed_size: 0
    .kernarg_segment_align: 8
    .kernarg_segment_size: 88
    .language:       OpenCL C
    .language_version:
      - 2
      - 0
    .max_flat_workgroup_size: 1024
    .name:           _ZN7rocprim17ROCPRIM_400000_NS6detail17trampoline_kernelINS0_14default_configENS1_35radix_sort_onesweep_config_selectorIxNS0_10empty_typeEEEZZNS1_29radix_sort_onesweep_iterationIS3_Lb0EN6thrust23THRUST_200600_302600_NS6detail15normal_iteratorINS9_10device_ptrIxEEEESE_PS5_SF_jNS0_19identity_decomposerENS1_16block_id_wrapperIjLb1EEEEE10hipError_tT1_PNSt15iterator_traitsISK_E10value_typeET2_T3_PNSL_ISQ_E10value_typeET4_T5_PSV_SW_PNS1_23onesweep_lookback_stateEbbT6_jjT7_P12ihipStream_tbENKUlT_T0_SK_SP_E_clISE_SE_SF_SF_EEDaS13_S14_SK_SP_EUlS13_E_NS1_11comp_targetILNS1_3genE9ELNS1_11target_archE1100ELNS1_3gpuE3ELNS1_3repE0EEENS1_47radix_sort_onesweep_sort_config_static_selectorELNS0_4arch9wavefront6targetE1EEEvSK_
    .private_segment_fixed_size: 0
    .sgpr_count:     4
    .sgpr_spill_count: 0
    .symbol:         _ZN7rocprim17ROCPRIM_400000_NS6detail17trampoline_kernelINS0_14default_configENS1_35radix_sort_onesweep_config_selectorIxNS0_10empty_typeEEEZZNS1_29radix_sort_onesweep_iterationIS3_Lb0EN6thrust23THRUST_200600_302600_NS6detail15normal_iteratorINS9_10device_ptrIxEEEESE_PS5_SF_jNS0_19identity_decomposerENS1_16block_id_wrapperIjLb1EEEEE10hipError_tT1_PNSt15iterator_traitsISK_E10value_typeET2_T3_PNSL_ISQ_E10value_typeET4_T5_PSV_SW_PNS1_23onesweep_lookback_stateEbbT6_jjT7_P12ihipStream_tbENKUlT_T0_SK_SP_E_clISE_SE_SF_SF_EEDaS13_S14_SK_SP_EUlS13_E_NS1_11comp_targetILNS1_3genE9ELNS1_11target_archE1100ELNS1_3gpuE3ELNS1_3repE0EEENS1_47radix_sort_onesweep_sort_config_static_selectorELNS0_4arch9wavefront6targetE1EEEvSK_.kd
    .uniform_work_group_size: 1
    .uses_dynamic_stack: false
    .vgpr_count:     0
    .vgpr_spill_count: 0
    .wavefront_size: 64
  - .agpr_count:     0
    .args:
      - .offset:         0
        .size:           88
        .value_kind:     by_value
    .group_segment_fixed_size: 0
    .kernarg_segment_align: 8
    .kernarg_segment_size: 88
    .language:       OpenCL C
    .language_version:
      - 2
      - 0
    .max_flat_workgroup_size: 1024
    .name:           _ZN7rocprim17ROCPRIM_400000_NS6detail17trampoline_kernelINS0_14default_configENS1_35radix_sort_onesweep_config_selectorIxNS0_10empty_typeEEEZZNS1_29radix_sort_onesweep_iterationIS3_Lb0EN6thrust23THRUST_200600_302600_NS6detail15normal_iteratorINS9_10device_ptrIxEEEESE_PS5_SF_jNS0_19identity_decomposerENS1_16block_id_wrapperIjLb1EEEEE10hipError_tT1_PNSt15iterator_traitsISK_E10value_typeET2_T3_PNSL_ISQ_E10value_typeET4_T5_PSV_SW_PNS1_23onesweep_lookback_stateEbbT6_jjT7_P12ihipStream_tbENKUlT_T0_SK_SP_E_clISE_SE_SF_SF_EEDaS13_S14_SK_SP_EUlS13_E_NS1_11comp_targetILNS1_3genE8ELNS1_11target_archE1030ELNS1_3gpuE2ELNS1_3repE0EEENS1_47radix_sort_onesweep_sort_config_static_selectorELNS0_4arch9wavefront6targetE1EEEvSK_
    .private_segment_fixed_size: 0
    .sgpr_count:     4
    .sgpr_spill_count: 0
    .symbol:         _ZN7rocprim17ROCPRIM_400000_NS6detail17trampoline_kernelINS0_14default_configENS1_35radix_sort_onesweep_config_selectorIxNS0_10empty_typeEEEZZNS1_29radix_sort_onesweep_iterationIS3_Lb0EN6thrust23THRUST_200600_302600_NS6detail15normal_iteratorINS9_10device_ptrIxEEEESE_PS5_SF_jNS0_19identity_decomposerENS1_16block_id_wrapperIjLb1EEEEE10hipError_tT1_PNSt15iterator_traitsISK_E10value_typeET2_T3_PNSL_ISQ_E10value_typeET4_T5_PSV_SW_PNS1_23onesweep_lookback_stateEbbT6_jjT7_P12ihipStream_tbENKUlT_T0_SK_SP_E_clISE_SE_SF_SF_EEDaS13_S14_SK_SP_EUlS13_E_NS1_11comp_targetILNS1_3genE8ELNS1_11target_archE1030ELNS1_3gpuE2ELNS1_3repE0EEENS1_47radix_sort_onesweep_sort_config_static_selectorELNS0_4arch9wavefront6targetE1EEEvSK_.kd
    .uniform_work_group_size: 1
    .uses_dynamic_stack: false
    .vgpr_count:     0
    .vgpr_spill_count: 0
    .wavefront_size: 64
  - .agpr_count:     0
    .args:
      - .offset:         0
        .size:           88
        .value_kind:     by_value
    .group_segment_fixed_size: 0
    .kernarg_segment_align: 8
    .kernarg_segment_size: 88
    .language:       OpenCL C
    .language_version:
      - 2
      - 0
    .max_flat_workgroup_size: 512
    .name:           _ZN7rocprim17ROCPRIM_400000_NS6detail17trampoline_kernelINS0_14default_configENS1_35radix_sort_onesweep_config_selectorIxNS0_10empty_typeEEEZZNS1_29radix_sort_onesweep_iterationIS3_Lb0EN6thrust23THRUST_200600_302600_NS6detail15normal_iteratorINS9_10device_ptrIxEEEESE_PS5_SF_jNS0_19identity_decomposerENS1_16block_id_wrapperIjLb1EEEEE10hipError_tT1_PNSt15iterator_traitsISK_E10value_typeET2_T3_PNSL_ISQ_E10value_typeET4_T5_PSV_SW_PNS1_23onesweep_lookback_stateEbbT6_jjT7_P12ihipStream_tbENKUlT_T0_SK_SP_E_clISE_PxSF_SF_EEDaS13_S14_SK_SP_EUlS13_E_NS1_11comp_targetILNS1_3genE0ELNS1_11target_archE4294967295ELNS1_3gpuE0ELNS1_3repE0EEENS1_47radix_sort_onesweep_sort_config_static_selectorELNS0_4arch9wavefront6targetE1EEEvSK_
    .private_segment_fixed_size: 0
    .sgpr_count:     4
    .sgpr_spill_count: 0
    .symbol:         _ZN7rocprim17ROCPRIM_400000_NS6detail17trampoline_kernelINS0_14default_configENS1_35radix_sort_onesweep_config_selectorIxNS0_10empty_typeEEEZZNS1_29radix_sort_onesweep_iterationIS3_Lb0EN6thrust23THRUST_200600_302600_NS6detail15normal_iteratorINS9_10device_ptrIxEEEESE_PS5_SF_jNS0_19identity_decomposerENS1_16block_id_wrapperIjLb1EEEEE10hipError_tT1_PNSt15iterator_traitsISK_E10value_typeET2_T3_PNSL_ISQ_E10value_typeET4_T5_PSV_SW_PNS1_23onesweep_lookback_stateEbbT6_jjT7_P12ihipStream_tbENKUlT_T0_SK_SP_E_clISE_PxSF_SF_EEDaS13_S14_SK_SP_EUlS13_E_NS1_11comp_targetILNS1_3genE0ELNS1_11target_archE4294967295ELNS1_3gpuE0ELNS1_3repE0EEENS1_47radix_sort_onesweep_sort_config_static_selectorELNS0_4arch9wavefront6targetE1EEEvSK_.kd
    .uniform_work_group_size: 1
    .uses_dynamic_stack: false
    .vgpr_count:     0
    .vgpr_spill_count: 0
    .wavefront_size: 64
  - .agpr_count:     0
    .args:
      - .offset:         0
        .size:           88
        .value_kind:     by_value
    .group_segment_fixed_size: 0
    .kernarg_segment_align: 8
    .kernarg_segment_size: 88
    .language:       OpenCL C
    .language_version:
      - 2
      - 0
    .max_flat_workgroup_size: 512
    .name:           _ZN7rocprim17ROCPRIM_400000_NS6detail17trampoline_kernelINS0_14default_configENS1_35radix_sort_onesweep_config_selectorIxNS0_10empty_typeEEEZZNS1_29radix_sort_onesweep_iterationIS3_Lb0EN6thrust23THRUST_200600_302600_NS6detail15normal_iteratorINS9_10device_ptrIxEEEESE_PS5_SF_jNS0_19identity_decomposerENS1_16block_id_wrapperIjLb1EEEEE10hipError_tT1_PNSt15iterator_traitsISK_E10value_typeET2_T3_PNSL_ISQ_E10value_typeET4_T5_PSV_SW_PNS1_23onesweep_lookback_stateEbbT6_jjT7_P12ihipStream_tbENKUlT_T0_SK_SP_E_clISE_PxSF_SF_EEDaS13_S14_SK_SP_EUlS13_E_NS1_11comp_targetILNS1_3genE6ELNS1_11target_archE950ELNS1_3gpuE13ELNS1_3repE0EEENS1_47radix_sort_onesweep_sort_config_static_selectorELNS0_4arch9wavefront6targetE1EEEvSK_
    .private_segment_fixed_size: 0
    .sgpr_count:     4
    .sgpr_spill_count: 0
    .symbol:         _ZN7rocprim17ROCPRIM_400000_NS6detail17trampoline_kernelINS0_14default_configENS1_35radix_sort_onesweep_config_selectorIxNS0_10empty_typeEEEZZNS1_29radix_sort_onesweep_iterationIS3_Lb0EN6thrust23THRUST_200600_302600_NS6detail15normal_iteratorINS9_10device_ptrIxEEEESE_PS5_SF_jNS0_19identity_decomposerENS1_16block_id_wrapperIjLb1EEEEE10hipError_tT1_PNSt15iterator_traitsISK_E10value_typeET2_T3_PNSL_ISQ_E10value_typeET4_T5_PSV_SW_PNS1_23onesweep_lookback_stateEbbT6_jjT7_P12ihipStream_tbENKUlT_T0_SK_SP_E_clISE_PxSF_SF_EEDaS13_S14_SK_SP_EUlS13_E_NS1_11comp_targetILNS1_3genE6ELNS1_11target_archE950ELNS1_3gpuE13ELNS1_3repE0EEENS1_47radix_sort_onesweep_sort_config_static_selectorELNS0_4arch9wavefront6targetE1EEEvSK_.kd
    .uniform_work_group_size: 1
    .uses_dynamic_stack: false
    .vgpr_count:     0
    .vgpr_spill_count: 0
    .wavefront_size: 64
  - .agpr_count:     0
    .args:
      - .offset:         0
        .size:           88
        .value_kind:     by_value
    .group_segment_fixed_size: 0
    .kernarg_segment_align: 8
    .kernarg_segment_size: 88
    .language:       OpenCL C
    .language_version:
      - 2
      - 0
    .max_flat_workgroup_size: 512
    .name:           _ZN7rocprim17ROCPRIM_400000_NS6detail17trampoline_kernelINS0_14default_configENS1_35radix_sort_onesweep_config_selectorIxNS0_10empty_typeEEEZZNS1_29radix_sort_onesweep_iterationIS3_Lb0EN6thrust23THRUST_200600_302600_NS6detail15normal_iteratorINS9_10device_ptrIxEEEESE_PS5_SF_jNS0_19identity_decomposerENS1_16block_id_wrapperIjLb1EEEEE10hipError_tT1_PNSt15iterator_traitsISK_E10value_typeET2_T3_PNSL_ISQ_E10value_typeET4_T5_PSV_SW_PNS1_23onesweep_lookback_stateEbbT6_jjT7_P12ihipStream_tbENKUlT_T0_SK_SP_E_clISE_PxSF_SF_EEDaS13_S14_SK_SP_EUlS13_E_NS1_11comp_targetILNS1_3genE5ELNS1_11target_archE942ELNS1_3gpuE9ELNS1_3repE0EEENS1_47radix_sort_onesweep_sort_config_static_selectorELNS0_4arch9wavefront6targetE1EEEvSK_
    .private_segment_fixed_size: 0
    .sgpr_count:     4
    .sgpr_spill_count: 0
    .symbol:         _ZN7rocprim17ROCPRIM_400000_NS6detail17trampoline_kernelINS0_14default_configENS1_35radix_sort_onesweep_config_selectorIxNS0_10empty_typeEEEZZNS1_29radix_sort_onesweep_iterationIS3_Lb0EN6thrust23THRUST_200600_302600_NS6detail15normal_iteratorINS9_10device_ptrIxEEEESE_PS5_SF_jNS0_19identity_decomposerENS1_16block_id_wrapperIjLb1EEEEE10hipError_tT1_PNSt15iterator_traitsISK_E10value_typeET2_T3_PNSL_ISQ_E10value_typeET4_T5_PSV_SW_PNS1_23onesweep_lookback_stateEbbT6_jjT7_P12ihipStream_tbENKUlT_T0_SK_SP_E_clISE_PxSF_SF_EEDaS13_S14_SK_SP_EUlS13_E_NS1_11comp_targetILNS1_3genE5ELNS1_11target_archE942ELNS1_3gpuE9ELNS1_3repE0EEENS1_47radix_sort_onesweep_sort_config_static_selectorELNS0_4arch9wavefront6targetE1EEEvSK_.kd
    .uniform_work_group_size: 1
    .uses_dynamic_stack: false
    .vgpr_count:     0
    .vgpr_spill_count: 0
    .wavefront_size: 64
  - .agpr_count:     0
    .args:
      - .offset:         0
        .size:           88
        .value_kind:     by_value
    .group_segment_fixed_size: 0
    .kernarg_segment_align: 8
    .kernarg_segment_size: 88
    .language:       OpenCL C
    .language_version:
      - 2
      - 0
    .max_flat_workgroup_size: 512
    .name:           _ZN7rocprim17ROCPRIM_400000_NS6detail17trampoline_kernelINS0_14default_configENS1_35radix_sort_onesweep_config_selectorIxNS0_10empty_typeEEEZZNS1_29radix_sort_onesweep_iterationIS3_Lb0EN6thrust23THRUST_200600_302600_NS6detail15normal_iteratorINS9_10device_ptrIxEEEESE_PS5_SF_jNS0_19identity_decomposerENS1_16block_id_wrapperIjLb1EEEEE10hipError_tT1_PNSt15iterator_traitsISK_E10value_typeET2_T3_PNSL_ISQ_E10value_typeET4_T5_PSV_SW_PNS1_23onesweep_lookback_stateEbbT6_jjT7_P12ihipStream_tbENKUlT_T0_SK_SP_E_clISE_PxSF_SF_EEDaS13_S14_SK_SP_EUlS13_E_NS1_11comp_targetILNS1_3genE2ELNS1_11target_archE906ELNS1_3gpuE6ELNS1_3repE0EEENS1_47radix_sort_onesweep_sort_config_static_selectorELNS0_4arch9wavefront6targetE1EEEvSK_
    .private_segment_fixed_size: 0
    .sgpr_count:     4
    .sgpr_spill_count: 0
    .symbol:         _ZN7rocprim17ROCPRIM_400000_NS6detail17trampoline_kernelINS0_14default_configENS1_35radix_sort_onesweep_config_selectorIxNS0_10empty_typeEEEZZNS1_29radix_sort_onesweep_iterationIS3_Lb0EN6thrust23THRUST_200600_302600_NS6detail15normal_iteratorINS9_10device_ptrIxEEEESE_PS5_SF_jNS0_19identity_decomposerENS1_16block_id_wrapperIjLb1EEEEE10hipError_tT1_PNSt15iterator_traitsISK_E10value_typeET2_T3_PNSL_ISQ_E10value_typeET4_T5_PSV_SW_PNS1_23onesweep_lookback_stateEbbT6_jjT7_P12ihipStream_tbENKUlT_T0_SK_SP_E_clISE_PxSF_SF_EEDaS13_S14_SK_SP_EUlS13_E_NS1_11comp_targetILNS1_3genE2ELNS1_11target_archE906ELNS1_3gpuE6ELNS1_3repE0EEENS1_47radix_sort_onesweep_sort_config_static_selectorELNS0_4arch9wavefront6targetE1EEEvSK_.kd
    .uniform_work_group_size: 1
    .uses_dynamic_stack: false
    .vgpr_count:     0
    .vgpr_spill_count: 0
    .wavefront_size: 64
  - .agpr_count:     0
    .args:
      - .offset:         0
        .size:           88
        .value_kind:     by_value
      - .offset:         88
        .size:           4
        .value_kind:     hidden_block_count_x
      - .offset:         92
        .size:           4
        .value_kind:     hidden_block_count_y
      - .offset:         96
        .size:           4
        .value_kind:     hidden_block_count_z
      - .offset:         100
        .size:           2
        .value_kind:     hidden_group_size_x
      - .offset:         102
        .size:           2
        .value_kind:     hidden_group_size_y
      - .offset:         104
        .size:           2
        .value_kind:     hidden_group_size_z
      - .offset:         106
        .size:           2
        .value_kind:     hidden_remainder_x
      - .offset:         108
        .size:           2
        .value_kind:     hidden_remainder_y
      - .offset:         110
        .size:           2
        .value_kind:     hidden_remainder_z
      - .offset:         128
        .size:           8
        .value_kind:     hidden_global_offset_x
      - .offset:         136
        .size:           8
        .value_kind:     hidden_global_offset_y
      - .offset:         144
        .size:           8
        .value_kind:     hidden_global_offset_z
      - .offset:         152
        .size:           2
        .value_kind:     hidden_grid_dims
    .group_segment_fixed_size: 20552
    .kernarg_segment_align: 8
    .kernarg_segment_size: 344
    .language:       OpenCL C
    .language_version:
      - 2
      - 0
    .max_flat_workgroup_size: 1024
    .name:           _ZN7rocprim17ROCPRIM_400000_NS6detail17trampoline_kernelINS0_14default_configENS1_35radix_sort_onesweep_config_selectorIxNS0_10empty_typeEEEZZNS1_29radix_sort_onesweep_iterationIS3_Lb0EN6thrust23THRUST_200600_302600_NS6detail15normal_iteratorINS9_10device_ptrIxEEEESE_PS5_SF_jNS0_19identity_decomposerENS1_16block_id_wrapperIjLb1EEEEE10hipError_tT1_PNSt15iterator_traitsISK_E10value_typeET2_T3_PNSL_ISQ_E10value_typeET4_T5_PSV_SW_PNS1_23onesweep_lookback_stateEbbT6_jjT7_P12ihipStream_tbENKUlT_T0_SK_SP_E_clISE_PxSF_SF_EEDaS13_S14_SK_SP_EUlS13_E_NS1_11comp_targetILNS1_3genE4ELNS1_11target_archE910ELNS1_3gpuE8ELNS1_3repE0EEENS1_47radix_sort_onesweep_sort_config_static_selectorELNS0_4arch9wavefront6targetE1EEEvSK_
    .private_segment_fixed_size: 0
    .sgpr_count:     38
    .sgpr_spill_count: 0
    .symbol:         _ZN7rocprim17ROCPRIM_400000_NS6detail17trampoline_kernelINS0_14default_configENS1_35radix_sort_onesweep_config_selectorIxNS0_10empty_typeEEEZZNS1_29radix_sort_onesweep_iterationIS3_Lb0EN6thrust23THRUST_200600_302600_NS6detail15normal_iteratorINS9_10device_ptrIxEEEESE_PS5_SF_jNS0_19identity_decomposerENS1_16block_id_wrapperIjLb1EEEEE10hipError_tT1_PNSt15iterator_traitsISK_E10value_typeET2_T3_PNSL_ISQ_E10value_typeET4_T5_PSV_SW_PNS1_23onesweep_lookback_stateEbbT6_jjT7_P12ihipStream_tbENKUlT_T0_SK_SP_E_clISE_PxSF_SF_EEDaS13_S14_SK_SP_EUlS13_E_NS1_11comp_targetILNS1_3genE4ELNS1_11target_archE910ELNS1_3gpuE8ELNS1_3repE0EEENS1_47radix_sort_onesweep_sort_config_static_selectorELNS0_4arch9wavefront6targetE1EEEvSK_.kd
    .uniform_work_group_size: 1
    .uses_dynamic_stack: false
    .vgpr_count:     55
    .vgpr_spill_count: 0
    .wavefront_size: 64
  - .agpr_count:     0
    .args:
      - .offset:         0
        .size:           88
        .value_kind:     by_value
    .group_segment_fixed_size: 0
    .kernarg_segment_align: 8
    .kernarg_segment_size: 88
    .language:       OpenCL C
    .language_version:
      - 2
      - 0
    .max_flat_workgroup_size: 512
    .name:           _ZN7rocprim17ROCPRIM_400000_NS6detail17trampoline_kernelINS0_14default_configENS1_35radix_sort_onesweep_config_selectorIxNS0_10empty_typeEEEZZNS1_29radix_sort_onesweep_iterationIS3_Lb0EN6thrust23THRUST_200600_302600_NS6detail15normal_iteratorINS9_10device_ptrIxEEEESE_PS5_SF_jNS0_19identity_decomposerENS1_16block_id_wrapperIjLb1EEEEE10hipError_tT1_PNSt15iterator_traitsISK_E10value_typeET2_T3_PNSL_ISQ_E10value_typeET4_T5_PSV_SW_PNS1_23onesweep_lookback_stateEbbT6_jjT7_P12ihipStream_tbENKUlT_T0_SK_SP_E_clISE_PxSF_SF_EEDaS13_S14_SK_SP_EUlS13_E_NS1_11comp_targetILNS1_3genE3ELNS1_11target_archE908ELNS1_3gpuE7ELNS1_3repE0EEENS1_47radix_sort_onesweep_sort_config_static_selectorELNS0_4arch9wavefront6targetE1EEEvSK_
    .private_segment_fixed_size: 0
    .sgpr_count:     4
    .sgpr_spill_count: 0
    .symbol:         _ZN7rocprim17ROCPRIM_400000_NS6detail17trampoline_kernelINS0_14default_configENS1_35radix_sort_onesweep_config_selectorIxNS0_10empty_typeEEEZZNS1_29radix_sort_onesweep_iterationIS3_Lb0EN6thrust23THRUST_200600_302600_NS6detail15normal_iteratorINS9_10device_ptrIxEEEESE_PS5_SF_jNS0_19identity_decomposerENS1_16block_id_wrapperIjLb1EEEEE10hipError_tT1_PNSt15iterator_traitsISK_E10value_typeET2_T3_PNSL_ISQ_E10value_typeET4_T5_PSV_SW_PNS1_23onesweep_lookback_stateEbbT6_jjT7_P12ihipStream_tbENKUlT_T0_SK_SP_E_clISE_PxSF_SF_EEDaS13_S14_SK_SP_EUlS13_E_NS1_11comp_targetILNS1_3genE3ELNS1_11target_archE908ELNS1_3gpuE7ELNS1_3repE0EEENS1_47radix_sort_onesweep_sort_config_static_selectorELNS0_4arch9wavefront6targetE1EEEvSK_.kd
    .uniform_work_group_size: 1
    .uses_dynamic_stack: false
    .vgpr_count:     0
    .vgpr_spill_count: 0
    .wavefront_size: 64
  - .agpr_count:     0
    .args:
      - .offset:         0
        .size:           88
        .value_kind:     by_value
    .group_segment_fixed_size: 0
    .kernarg_segment_align: 8
    .kernarg_segment_size: 88
    .language:       OpenCL C
    .language_version:
      - 2
      - 0
    .max_flat_workgroup_size: 512
    .name:           _ZN7rocprim17ROCPRIM_400000_NS6detail17trampoline_kernelINS0_14default_configENS1_35radix_sort_onesweep_config_selectorIxNS0_10empty_typeEEEZZNS1_29radix_sort_onesweep_iterationIS3_Lb0EN6thrust23THRUST_200600_302600_NS6detail15normal_iteratorINS9_10device_ptrIxEEEESE_PS5_SF_jNS0_19identity_decomposerENS1_16block_id_wrapperIjLb1EEEEE10hipError_tT1_PNSt15iterator_traitsISK_E10value_typeET2_T3_PNSL_ISQ_E10value_typeET4_T5_PSV_SW_PNS1_23onesweep_lookback_stateEbbT6_jjT7_P12ihipStream_tbENKUlT_T0_SK_SP_E_clISE_PxSF_SF_EEDaS13_S14_SK_SP_EUlS13_E_NS1_11comp_targetILNS1_3genE10ELNS1_11target_archE1201ELNS1_3gpuE5ELNS1_3repE0EEENS1_47radix_sort_onesweep_sort_config_static_selectorELNS0_4arch9wavefront6targetE1EEEvSK_
    .private_segment_fixed_size: 0
    .sgpr_count:     4
    .sgpr_spill_count: 0
    .symbol:         _ZN7rocprim17ROCPRIM_400000_NS6detail17trampoline_kernelINS0_14default_configENS1_35radix_sort_onesweep_config_selectorIxNS0_10empty_typeEEEZZNS1_29radix_sort_onesweep_iterationIS3_Lb0EN6thrust23THRUST_200600_302600_NS6detail15normal_iteratorINS9_10device_ptrIxEEEESE_PS5_SF_jNS0_19identity_decomposerENS1_16block_id_wrapperIjLb1EEEEE10hipError_tT1_PNSt15iterator_traitsISK_E10value_typeET2_T3_PNSL_ISQ_E10value_typeET4_T5_PSV_SW_PNS1_23onesweep_lookback_stateEbbT6_jjT7_P12ihipStream_tbENKUlT_T0_SK_SP_E_clISE_PxSF_SF_EEDaS13_S14_SK_SP_EUlS13_E_NS1_11comp_targetILNS1_3genE10ELNS1_11target_archE1201ELNS1_3gpuE5ELNS1_3repE0EEENS1_47radix_sort_onesweep_sort_config_static_selectorELNS0_4arch9wavefront6targetE1EEEvSK_.kd
    .uniform_work_group_size: 1
    .uses_dynamic_stack: false
    .vgpr_count:     0
    .vgpr_spill_count: 0
    .wavefront_size: 64
  - .agpr_count:     0
    .args:
      - .offset:         0
        .size:           88
        .value_kind:     by_value
    .group_segment_fixed_size: 0
    .kernarg_segment_align: 8
    .kernarg_segment_size: 88
    .language:       OpenCL C
    .language_version:
      - 2
      - 0
    .max_flat_workgroup_size: 1024
    .name:           _ZN7rocprim17ROCPRIM_400000_NS6detail17trampoline_kernelINS0_14default_configENS1_35radix_sort_onesweep_config_selectorIxNS0_10empty_typeEEEZZNS1_29radix_sort_onesweep_iterationIS3_Lb0EN6thrust23THRUST_200600_302600_NS6detail15normal_iteratorINS9_10device_ptrIxEEEESE_PS5_SF_jNS0_19identity_decomposerENS1_16block_id_wrapperIjLb1EEEEE10hipError_tT1_PNSt15iterator_traitsISK_E10value_typeET2_T3_PNSL_ISQ_E10value_typeET4_T5_PSV_SW_PNS1_23onesweep_lookback_stateEbbT6_jjT7_P12ihipStream_tbENKUlT_T0_SK_SP_E_clISE_PxSF_SF_EEDaS13_S14_SK_SP_EUlS13_E_NS1_11comp_targetILNS1_3genE9ELNS1_11target_archE1100ELNS1_3gpuE3ELNS1_3repE0EEENS1_47radix_sort_onesweep_sort_config_static_selectorELNS0_4arch9wavefront6targetE1EEEvSK_
    .private_segment_fixed_size: 0
    .sgpr_count:     4
    .sgpr_spill_count: 0
    .symbol:         _ZN7rocprim17ROCPRIM_400000_NS6detail17trampoline_kernelINS0_14default_configENS1_35radix_sort_onesweep_config_selectorIxNS0_10empty_typeEEEZZNS1_29radix_sort_onesweep_iterationIS3_Lb0EN6thrust23THRUST_200600_302600_NS6detail15normal_iteratorINS9_10device_ptrIxEEEESE_PS5_SF_jNS0_19identity_decomposerENS1_16block_id_wrapperIjLb1EEEEE10hipError_tT1_PNSt15iterator_traitsISK_E10value_typeET2_T3_PNSL_ISQ_E10value_typeET4_T5_PSV_SW_PNS1_23onesweep_lookback_stateEbbT6_jjT7_P12ihipStream_tbENKUlT_T0_SK_SP_E_clISE_PxSF_SF_EEDaS13_S14_SK_SP_EUlS13_E_NS1_11comp_targetILNS1_3genE9ELNS1_11target_archE1100ELNS1_3gpuE3ELNS1_3repE0EEENS1_47radix_sort_onesweep_sort_config_static_selectorELNS0_4arch9wavefront6targetE1EEEvSK_.kd
    .uniform_work_group_size: 1
    .uses_dynamic_stack: false
    .vgpr_count:     0
    .vgpr_spill_count: 0
    .wavefront_size: 64
  - .agpr_count:     0
    .args:
      - .offset:         0
        .size:           88
        .value_kind:     by_value
    .group_segment_fixed_size: 0
    .kernarg_segment_align: 8
    .kernarg_segment_size: 88
    .language:       OpenCL C
    .language_version:
      - 2
      - 0
    .max_flat_workgroup_size: 1024
    .name:           _ZN7rocprim17ROCPRIM_400000_NS6detail17trampoline_kernelINS0_14default_configENS1_35radix_sort_onesweep_config_selectorIxNS0_10empty_typeEEEZZNS1_29radix_sort_onesweep_iterationIS3_Lb0EN6thrust23THRUST_200600_302600_NS6detail15normal_iteratorINS9_10device_ptrIxEEEESE_PS5_SF_jNS0_19identity_decomposerENS1_16block_id_wrapperIjLb1EEEEE10hipError_tT1_PNSt15iterator_traitsISK_E10value_typeET2_T3_PNSL_ISQ_E10value_typeET4_T5_PSV_SW_PNS1_23onesweep_lookback_stateEbbT6_jjT7_P12ihipStream_tbENKUlT_T0_SK_SP_E_clISE_PxSF_SF_EEDaS13_S14_SK_SP_EUlS13_E_NS1_11comp_targetILNS1_3genE8ELNS1_11target_archE1030ELNS1_3gpuE2ELNS1_3repE0EEENS1_47radix_sort_onesweep_sort_config_static_selectorELNS0_4arch9wavefront6targetE1EEEvSK_
    .private_segment_fixed_size: 0
    .sgpr_count:     4
    .sgpr_spill_count: 0
    .symbol:         _ZN7rocprim17ROCPRIM_400000_NS6detail17trampoline_kernelINS0_14default_configENS1_35radix_sort_onesweep_config_selectorIxNS0_10empty_typeEEEZZNS1_29radix_sort_onesweep_iterationIS3_Lb0EN6thrust23THRUST_200600_302600_NS6detail15normal_iteratorINS9_10device_ptrIxEEEESE_PS5_SF_jNS0_19identity_decomposerENS1_16block_id_wrapperIjLb1EEEEE10hipError_tT1_PNSt15iterator_traitsISK_E10value_typeET2_T3_PNSL_ISQ_E10value_typeET4_T5_PSV_SW_PNS1_23onesweep_lookback_stateEbbT6_jjT7_P12ihipStream_tbENKUlT_T0_SK_SP_E_clISE_PxSF_SF_EEDaS13_S14_SK_SP_EUlS13_E_NS1_11comp_targetILNS1_3genE8ELNS1_11target_archE1030ELNS1_3gpuE2ELNS1_3repE0EEENS1_47radix_sort_onesweep_sort_config_static_selectorELNS0_4arch9wavefront6targetE1EEEvSK_.kd
    .uniform_work_group_size: 1
    .uses_dynamic_stack: false
    .vgpr_count:     0
    .vgpr_spill_count: 0
    .wavefront_size: 64
  - .agpr_count:     0
    .args:
      - .offset:         0
        .size:           88
        .value_kind:     by_value
    .group_segment_fixed_size: 0
    .kernarg_segment_align: 8
    .kernarg_segment_size: 88
    .language:       OpenCL C
    .language_version:
      - 2
      - 0
    .max_flat_workgroup_size: 512
    .name:           _ZN7rocprim17ROCPRIM_400000_NS6detail17trampoline_kernelINS0_14default_configENS1_35radix_sort_onesweep_config_selectorIxNS0_10empty_typeEEEZZNS1_29radix_sort_onesweep_iterationIS3_Lb0EN6thrust23THRUST_200600_302600_NS6detail15normal_iteratorINS9_10device_ptrIxEEEESE_PS5_SF_jNS0_19identity_decomposerENS1_16block_id_wrapperIjLb1EEEEE10hipError_tT1_PNSt15iterator_traitsISK_E10value_typeET2_T3_PNSL_ISQ_E10value_typeET4_T5_PSV_SW_PNS1_23onesweep_lookback_stateEbbT6_jjT7_P12ihipStream_tbENKUlT_T0_SK_SP_E_clIPxSE_SF_SF_EEDaS13_S14_SK_SP_EUlS13_E_NS1_11comp_targetILNS1_3genE0ELNS1_11target_archE4294967295ELNS1_3gpuE0ELNS1_3repE0EEENS1_47radix_sort_onesweep_sort_config_static_selectorELNS0_4arch9wavefront6targetE1EEEvSK_
    .private_segment_fixed_size: 0
    .sgpr_count:     4
    .sgpr_spill_count: 0
    .symbol:         _ZN7rocprim17ROCPRIM_400000_NS6detail17trampoline_kernelINS0_14default_configENS1_35radix_sort_onesweep_config_selectorIxNS0_10empty_typeEEEZZNS1_29radix_sort_onesweep_iterationIS3_Lb0EN6thrust23THRUST_200600_302600_NS6detail15normal_iteratorINS9_10device_ptrIxEEEESE_PS5_SF_jNS0_19identity_decomposerENS1_16block_id_wrapperIjLb1EEEEE10hipError_tT1_PNSt15iterator_traitsISK_E10value_typeET2_T3_PNSL_ISQ_E10value_typeET4_T5_PSV_SW_PNS1_23onesweep_lookback_stateEbbT6_jjT7_P12ihipStream_tbENKUlT_T0_SK_SP_E_clIPxSE_SF_SF_EEDaS13_S14_SK_SP_EUlS13_E_NS1_11comp_targetILNS1_3genE0ELNS1_11target_archE4294967295ELNS1_3gpuE0ELNS1_3repE0EEENS1_47radix_sort_onesweep_sort_config_static_selectorELNS0_4arch9wavefront6targetE1EEEvSK_.kd
    .uniform_work_group_size: 1
    .uses_dynamic_stack: false
    .vgpr_count:     0
    .vgpr_spill_count: 0
    .wavefront_size: 64
  - .agpr_count:     0
    .args:
      - .offset:         0
        .size:           88
        .value_kind:     by_value
    .group_segment_fixed_size: 0
    .kernarg_segment_align: 8
    .kernarg_segment_size: 88
    .language:       OpenCL C
    .language_version:
      - 2
      - 0
    .max_flat_workgroup_size: 512
    .name:           _ZN7rocprim17ROCPRIM_400000_NS6detail17trampoline_kernelINS0_14default_configENS1_35radix_sort_onesweep_config_selectorIxNS0_10empty_typeEEEZZNS1_29radix_sort_onesweep_iterationIS3_Lb0EN6thrust23THRUST_200600_302600_NS6detail15normal_iteratorINS9_10device_ptrIxEEEESE_PS5_SF_jNS0_19identity_decomposerENS1_16block_id_wrapperIjLb1EEEEE10hipError_tT1_PNSt15iterator_traitsISK_E10value_typeET2_T3_PNSL_ISQ_E10value_typeET4_T5_PSV_SW_PNS1_23onesweep_lookback_stateEbbT6_jjT7_P12ihipStream_tbENKUlT_T0_SK_SP_E_clIPxSE_SF_SF_EEDaS13_S14_SK_SP_EUlS13_E_NS1_11comp_targetILNS1_3genE6ELNS1_11target_archE950ELNS1_3gpuE13ELNS1_3repE0EEENS1_47radix_sort_onesweep_sort_config_static_selectorELNS0_4arch9wavefront6targetE1EEEvSK_
    .private_segment_fixed_size: 0
    .sgpr_count:     4
    .sgpr_spill_count: 0
    .symbol:         _ZN7rocprim17ROCPRIM_400000_NS6detail17trampoline_kernelINS0_14default_configENS1_35radix_sort_onesweep_config_selectorIxNS0_10empty_typeEEEZZNS1_29radix_sort_onesweep_iterationIS3_Lb0EN6thrust23THRUST_200600_302600_NS6detail15normal_iteratorINS9_10device_ptrIxEEEESE_PS5_SF_jNS0_19identity_decomposerENS1_16block_id_wrapperIjLb1EEEEE10hipError_tT1_PNSt15iterator_traitsISK_E10value_typeET2_T3_PNSL_ISQ_E10value_typeET4_T5_PSV_SW_PNS1_23onesweep_lookback_stateEbbT6_jjT7_P12ihipStream_tbENKUlT_T0_SK_SP_E_clIPxSE_SF_SF_EEDaS13_S14_SK_SP_EUlS13_E_NS1_11comp_targetILNS1_3genE6ELNS1_11target_archE950ELNS1_3gpuE13ELNS1_3repE0EEENS1_47radix_sort_onesweep_sort_config_static_selectorELNS0_4arch9wavefront6targetE1EEEvSK_.kd
    .uniform_work_group_size: 1
    .uses_dynamic_stack: false
    .vgpr_count:     0
    .vgpr_spill_count: 0
    .wavefront_size: 64
  - .agpr_count:     0
    .args:
      - .offset:         0
        .size:           88
        .value_kind:     by_value
    .group_segment_fixed_size: 0
    .kernarg_segment_align: 8
    .kernarg_segment_size: 88
    .language:       OpenCL C
    .language_version:
      - 2
      - 0
    .max_flat_workgroup_size: 512
    .name:           _ZN7rocprim17ROCPRIM_400000_NS6detail17trampoline_kernelINS0_14default_configENS1_35radix_sort_onesweep_config_selectorIxNS0_10empty_typeEEEZZNS1_29radix_sort_onesweep_iterationIS3_Lb0EN6thrust23THRUST_200600_302600_NS6detail15normal_iteratorINS9_10device_ptrIxEEEESE_PS5_SF_jNS0_19identity_decomposerENS1_16block_id_wrapperIjLb1EEEEE10hipError_tT1_PNSt15iterator_traitsISK_E10value_typeET2_T3_PNSL_ISQ_E10value_typeET4_T5_PSV_SW_PNS1_23onesweep_lookback_stateEbbT6_jjT7_P12ihipStream_tbENKUlT_T0_SK_SP_E_clIPxSE_SF_SF_EEDaS13_S14_SK_SP_EUlS13_E_NS1_11comp_targetILNS1_3genE5ELNS1_11target_archE942ELNS1_3gpuE9ELNS1_3repE0EEENS1_47radix_sort_onesweep_sort_config_static_selectorELNS0_4arch9wavefront6targetE1EEEvSK_
    .private_segment_fixed_size: 0
    .sgpr_count:     4
    .sgpr_spill_count: 0
    .symbol:         _ZN7rocprim17ROCPRIM_400000_NS6detail17trampoline_kernelINS0_14default_configENS1_35radix_sort_onesweep_config_selectorIxNS0_10empty_typeEEEZZNS1_29radix_sort_onesweep_iterationIS3_Lb0EN6thrust23THRUST_200600_302600_NS6detail15normal_iteratorINS9_10device_ptrIxEEEESE_PS5_SF_jNS0_19identity_decomposerENS1_16block_id_wrapperIjLb1EEEEE10hipError_tT1_PNSt15iterator_traitsISK_E10value_typeET2_T3_PNSL_ISQ_E10value_typeET4_T5_PSV_SW_PNS1_23onesweep_lookback_stateEbbT6_jjT7_P12ihipStream_tbENKUlT_T0_SK_SP_E_clIPxSE_SF_SF_EEDaS13_S14_SK_SP_EUlS13_E_NS1_11comp_targetILNS1_3genE5ELNS1_11target_archE942ELNS1_3gpuE9ELNS1_3repE0EEENS1_47radix_sort_onesweep_sort_config_static_selectorELNS0_4arch9wavefront6targetE1EEEvSK_.kd
    .uniform_work_group_size: 1
    .uses_dynamic_stack: false
    .vgpr_count:     0
    .vgpr_spill_count: 0
    .wavefront_size: 64
  - .agpr_count:     0
    .args:
      - .offset:         0
        .size:           88
        .value_kind:     by_value
    .group_segment_fixed_size: 0
    .kernarg_segment_align: 8
    .kernarg_segment_size: 88
    .language:       OpenCL C
    .language_version:
      - 2
      - 0
    .max_flat_workgroup_size: 512
    .name:           _ZN7rocprim17ROCPRIM_400000_NS6detail17trampoline_kernelINS0_14default_configENS1_35radix_sort_onesweep_config_selectorIxNS0_10empty_typeEEEZZNS1_29radix_sort_onesweep_iterationIS3_Lb0EN6thrust23THRUST_200600_302600_NS6detail15normal_iteratorINS9_10device_ptrIxEEEESE_PS5_SF_jNS0_19identity_decomposerENS1_16block_id_wrapperIjLb1EEEEE10hipError_tT1_PNSt15iterator_traitsISK_E10value_typeET2_T3_PNSL_ISQ_E10value_typeET4_T5_PSV_SW_PNS1_23onesweep_lookback_stateEbbT6_jjT7_P12ihipStream_tbENKUlT_T0_SK_SP_E_clIPxSE_SF_SF_EEDaS13_S14_SK_SP_EUlS13_E_NS1_11comp_targetILNS1_3genE2ELNS1_11target_archE906ELNS1_3gpuE6ELNS1_3repE0EEENS1_47radix_sort_onesweep_sort_config_static_selectorELNS0_4arch9wavefront6targetE1EEEvSK_
    .private_segment_fixed_size: 0
    .sgpr_count:     4
    .sgpr_spill_count: 0
    .symbol:         _ZN7rocprim17ROCPRIM_400000_NS6detail17trampoline_kernelINS0_14default_configENS1_35radix_sort_onesweep_config_selectorIxNS0_10empty_typeEEEZZNS1_29radix_sort_onesweep_iterationIS3_Lb0EN6thrust23THRUST_200600_302600_NS6detail15normal_iteratorINS9_10device_ptrIxEEEESE_PS5_SF_jNS0_19identity_decomposerENS1_16block_id_wrapperIjLb1EEEEE10hipError_tT1_PNSt15iterator_traitsISK_E10value_typeET2_T3_PNSL_ISQ_E10value_typeET4_T5_PSV_SW_PNS1_23onesweep_lookback_stateEbbT6_jjT7_P12ihipStream_tbENKUlT_T0_SK_SP_E_clIPxSE_SF_SF_EEDaS13_S14_SK_SP_EUlS13_E_NS1_11comp_targetILNS1_3genE2ELNS1_11target_archE906ELNS1_3gpuE6ELNS1_3repE0EEENS1_47radix_sort_onesweep_sort_config_static_selectorELNS0_4arch9wavefront6targetE1EEEvSK_.kd
    .uniform_work_group_size: 1
    .uses_dynamic_stack: false
    .vgpr_count:     0
    .vgpr_spill_count: 0
    .wavefront_size: 64
  - .agpr_count:     0
    .args:
      - .offset:         0
        .size:           88
        .value_kind:     by_value
      - .offset:         88
        .size:           4
        .value_kind:     hidden_block_count_x
      - .offset:         92
        .size:           4
        .value_kind:     hidden_block_count_y
      - .offset:         96
        .size:           4
        .value_kind:     hidden_block_count_z
      - .offset:         100
        .size:           2
        .value_kind:     hidden_group_size_x
      - .offset:         102
        .size:           2
        .value_kind:     hidden_group_size_y
      - .offset:         104
        .size:           2
        .value_kind:     hidden_group_size_z
      - .offset:         106
        .size:           2
        .value_kind:     hidden_remainder_x
      - .offset:         108
        .size:           2
        .value_kind:     hidden_remainder_y
      - .offset:         110
        .size:           2
        .value_kind:     hidden_remainder_z
      - .offset:         128
        .size:           8
        .value_kind:     hidden_global_offset_x
      - .offset:         136
        .size:           8
        .value_kind:     hidden_global_offset_y
      - .offset:         144
        .size:           8
        .value_kind:     hidden_global_offset_z
      - .offset:         152
        .size:           2
        .value_kind:     hidden_grid_dims
    .group_segment_fixed_size: 20552
    .kernarg_segment_align: 8
    .kernarg_segment_size: 344
    .language:       OpenCL C
    .language_version:
      - 2
      - 0
    .max_flat_workgroup_size: 1024
    .name:           _ZN7rocprim17ROCPRIM_400000_NS6detail17trampoline_kernelINS0_14default_configENS1_35radix_sort_onesweep_config_selectorIxNS0_10empty_typeEEEZZNS1_29radix_sort_onesweep_iterationIS3_Lb0EN6thrust23THRUST_200600_302600_NS6detail15normal_iteratorINS9_10device_ptrIxEEEESE_PS5_SF_jNS0_19identity_decomposerENS1_16block_id_wrapperIjLb1EEEEE10hipError_tT1_PNSt15iterator_traitsISK_E10value_typeET2_T3_PNSL_ISQ_E10value_typeET4_T5_PSV_SW_PNS1_23onesweep_lookback_stateEbbT6_jjT7_P12ihipStream_tbENKUlT_T0_SK_SP_E_clIPxSE_SF_SF_EEDaS13_S14_SK_SP_EUlS13_E_NS1_11comp_targetILNS1_3genE4ELNS1_11target_archE910ELNS1_3gpuE8ELNS1_3repE0EEENS1_47radix_sort_onesweep_sort_config_static_selectorELNS0_4arch9wavefront6targetE1EEEvSK_
    .private_segment_fixed_size: 0
    .sgpr_count:     38
    .sgpr_spill_count: 0
    .symbol:         _ZN7rocprim17ROCPRIM_400000_NS6detail17trampoline_kernelINS0_14default_configENS1_35radix_sort_onesweep_config_selectorIxNS0_10empty_typeEEEZZNS1_29radix_sort_onesweep_iterationIS3_Lb0EN6thrust23THRUST_200600_302600_NS6detail15normal_iteratorINS9_10device_ptrIxEEEESE_PS5_SF_jNS0_19identity_decomposerENS1_16block_id_wrapperIjLb1EEEEE10hipError_tT1_PNSt15iterator_traitsISK_E10value_typeET2_T3_PNSL_ISQ_E10value_typeET4_T5_PSV_SW_PNS1_23onesweep_lookback_stateEbbT6_jjT7_P12ihipStream_tbENKUlT_T0_SK_SP_E_clIPxSE_SF_SF_EEDaS13_S14_SK_SP_EUlS13_E_NS1_11comp_targetILNS1_3genE4ELNS1_11target_archE910ELNS1_3gpuE8ELNS1_3repE0EEENS1_47radix_sort_onesweep_sort_config_static_selectorELNS0_4arch9wavefront6targetE1EEEvSK_.kd
    .uniform_work_group_size: 1
    .uses_dynamic_stack: false
    .vgpr_count:     55
    .vgpr_spill_count: 0
    .wavefront_size: 64
  - .agpr_count:     0
    .args:
      - .offset:         0
        .size:           88
        .value_kind:     by_value
    .group_segment_fixed_size: 0
    .kernarg_segment_align: 8
    .kernarg_segment_size: 88
    .language:       OpenCL C
    .language_version:
      - 2
      - 0
    .max_flat_workgroup_size: 512
    .name:           _ZN7rocprim17ROCPRIM_400000_NS6detail17trampoline_kernelINS0_14default_configENS1_35radix_sort_onesweep_config_selectorIxNS0_10empty_typeEEEZZNS1_29radix_sort_onesweep_iterationIS3_Lb0EN6thrust23THRUST_200600_302600_NS6detail15normal_iteratorINS9_10device_ptrIxEEEESE_PS5_SF_jNS0_19identity_decomposerENS1_16block_id_wrapperIjLb1EEEEE10hipError_tT1_PNSt15iterator_traitsISK_E10value_typeET2_T3_PNSL_ISQ_E10value_typeET4_T5_PSV_SW_PNS1_23onesweep_lookback_stateEbbT6_jjT7_P12ihipStream_tbENKUlT_T0_SK_SP_E_clIPxSE_SF_SF_EEDaS13_S14_SK_SP_EUlS13_E_NS1_11comp_targetILNS1_3genE3ELNS1_11target_archE908ELNS1_3gpuE7ELNS1_3repE0EEENS1_47radix_sort_onesweep_sort_config_static_selectorELNS0_4arch9wavefront6targetE1EEEvSK_
    .private_segment_fixed_size: 0
    .sgpr_count:     4
    .sgpr_spill_count: 0
    .symbol:         _ZN7rocprim17ROCPRIM_400000_NS6detail17trampoline_kernelINS0_14default_configENS1_35radix_sort_onesweep_config_selectorIxNS0_10empty_typeEEEZZNS1_29radix_sort_onesweep_iterationIS3_Lb0EN6thrust23THRUST_200600_302600_NS6detail15normal_iteratorINS9_10device_ptrIxEEEESE_PS5_SF_jNS0_19identity_decomposerENS1_16block_id_wrapperIjLb1EEEEE10hipError_tT1_PNSt15iterator_traitsISK_E10value_typeET2_T3_PNSL_ISQ_E10value_typeET4_T5_PSV_SW_PNS1_23onesweep_lookback_stateEbbT6_jjT7_P12ihipStream_tbENKUlT_T0_SK_SP_E_clIPxSE_SF_SF_EEDaS13_S14_SK_SP_EUlS13_E_NS1_11comp_targetILNS1_3genE3ELNS1_11target_archE908ELNS1_3gpuE7ELNS1_3repE0EEENS1_47radix_sort_onesweep_sort_config_static_selectorELNS0_4arch9wavefront6targetE1EEEvSK_.kd
    .uniform_work_group_size: 1
    .uses_dynamic_stack: false
    .vgpr_count:     0
    .vgpr_spill_count: 0
    .wavefront_size: 64
  - .agpr_count:     0
    .args:
      - .offset:         0
        .size:           88
        .value_kind:     by_value
    .group_segment_fixed_size: 0
    .kernarg_segment_align: 8
    .kernarg_segment_size: 88
    .language:       OpenCL C
    .language_version:
      - 2
      - 0
    .max_flat_workgroup_size: 512
    .name:           _ZN7rocprim17ROCPRIM_400000_NS6detail17trampoline_kernelINS0_14default_configENS1_35radix_sort_onesweep_config_selectorIxNS0_10empty_typeEEEZZNS1_29radix_sort_onesweep_iterationIS3_Lb0EN6thrust23THRUST_200600_302600_NS6detail15normal_iteratorINS9_10device_ptrIxEEEESE_PS5_SF_jNS0_19identity_decomposerENS1_16block_id_wrapperIjLb1EEEEE10hipError_tT1_PNSt15iterator_traitsISK_E10value_typeET2_T3_PNSL_ISQ_E10value_typeET4_T5_PSV_SW_PNS1_23onesweep_lookback_stateEbbT6_jjT7_P12ihipStream_tbENKUlT_T0_SK_SP_E_clIPxSE_SF_SF_EEDaS13_S14_SK_SP_EUlS13_E_NS1_11comp_targetILNS1_3genE10ELNS1_11target_archE1201ELNS1_3gpuE5ELNS1_3repE0EEENS1_47radix_sort_onesweep_sort_config_static_selectorELNS0_4arch9wavefront6targetE1EEEvSK_
    .private_segment_fixed_size: 0
    .sgpr_count:     4
    .sgpr_spill_count: 0
    .symbol:         _ZN7rocprim17ROCPRIM_400000_NS6detail17trampoline_kernelINS0_14default_configENS1_35radix_sort_onesweep_config_selectorIxNS0_10empty_typeEEEZZNS1_29radix_sort_onesweep_iterationIS3_Lb0EN6thrust23THRUST_200600_302600_NS6detail15normal_iteratorINS9_10device_ptrIxEEEESE_PS5_SF_jNS0_19identity_decomposerENS1_16block_id_wrapperIjLb1EEEEE10hipError_tT1_PNSt15iterator_traitsISK_E10value_typeET2_T3_PNSL_ISQ_E10value_typeET4_T5_PSV_SW_PNS1_23onesweep_lookback_stateEbbT6_jjT7_P12ihipStream_tbENKUlT_T0_SK_SP_E_clIPxSE_SF_SF_EEDaS13_S14_SK_SP_EUlS13_E_NS1_11comp_targetILNS1_3genE10ELNS1_11target_archE1201ELNS1_3gpuE5ELNS1_3repE0EEENS1_47radix_sort_onesweep_sort_config_static_selectorELNS0_4arch9wavefront6targetE1EEEvSK_.kd
    .uniform_work_group_size: 1
    .uses_dynamic_stack: false
    .vgpr_count:     0
    .vgpr_spill_count: 0
    .wavefront_size: 64
  - .agpr_count:     0
    .args:
      - .offset:         0
        .size:           88
        .value_kind:     by_value
    .group_segment_fixed_size: 0
    .kernarg_segment_align: 8
    .kernarg_segment_size: 88
    .language:       OpenCL C
    .language_version:
      - 2
      - 0
    .max_flat_workgroup_size: 1024
    .name:           _ZN7rocprim17ROCPRIM_400000_NS6detail17trampoline_kernelINS0_14default_configENS1_35radix_sort_onesweep_config_selectorIxNS0_10empty_typeEEEZZNS1_29radix_sort_onesweep_iterationIS3_Lb0EN6thrust23THRUST_200600_302600_NS6detail15normal_iteratorINS9_10device_ptrIxEEEESE_PS5_SF_jNS0_19identity_decomposerENS1_16block_id_wrapperIjLb1EEEEE10hipError_tT1_PNSt15iterator_traitsISK_E10value_typeET2_T3_PNSL_ISQ_E10value_typeET4_T5_PSV_SW_PNS1_23onesweep_lookback_stateEbbT6_jjT7_P12ihipStream_tbENKUlT_T0_SK_SP_E_clIPxSE_SF_SF_EEDaS13_S14_SK_SP_EUlS13_E_NS1_11comp_targetILNS1_3genE9ELNS1_11target_archE1100ELNS1_3gpuE3ELNS1_3repE0EEENS1_47radix_sort_onesweep_sort_config_static_selectorELNS0_4arch9wavefront6targetE1EEEvSK_
    .private_segment_fixed_size: 0
    .sgpr_count:     4
    .sgpr_spill_count: 0
    .symbol:         _ZN7rocprim17ROCPRIM_400000_NS6detail17trampoline_kernelINS0_14default_configENS1_35radix_sort_onesweep_config_selectorIxNS0_10empty_typeEEEZZNS1_29radix_sort_onesweep_iterationIS3_Lb0EN6thrust23THRUST_200600_302600_NS6detail15normal_iteratorINS9_10device_ptrIxEEEESE_PS5_SF_jNS0_19identity_decomposerENS1_16block_id_wrapperIjLb1EEEEE10hipError_tT1_PNSt15iterator_traitsISK_E10value_typeET2_T3_PNSL_ISQ_E10value_typeET4_T5_PSV_SW_PNS1_23onesweep_lookback_stateEbbT6_jjT7_P12ihipStream_tbENKUlT_T0_SK_SP_E_clIPxSE_SF_SF_EEDaS13_S14_SK_SP_EUlS13_E_NS1_11comp_targetILNS1_3genE9ELNS1_11target_archE1100ELNS1_3gpuE3ELNS1_3repE0EEENS1_47radix_sort_onesweep_sort_config_static_selectorELNS0_4arch9wavefront6targetE1EEEvSK_.kd
    .uniform_work_group_size: 1
    .uses_dynamic_stack: false
    .vgpr_count:     0
    .vgpr_spill_count: 0
    .wavefront_size: 64
  - .agpr_count:     0
    .args:
      - .offset:         0
        .size:           88
        .value_kind:     by_value
    .group_segment_fixed_size: 0
    .kernarg_segment_align: 8
    .kernarg_segment_size: 88
    .language:       OpenCL C
    .language_version:
      - 2
      - 0
    .max_flat_workgroup_size: 1024
    .name:           _ZN7rocprim17ROCPRIM_400000_NS6detail17trampoline_kernelINS0_14default_configENS1_35radix_sort_onesweep_config_selectorIxNS0_10empty_typeEEEZZNS1_29radix_sort_onesweep_iterationIS3_Lb0EN6thrust23THRUST_200600_302600_NS6detail15normal_iteratorINS9_10device_ptrIxEEEESE_PS5_SF_jNS0_19identity_decomposerENS1_16block_id_wrapperIjLb1EEEEE10hipError_tT1_PNSt15iterator_traitsISK_E10value_typeET2_T3_PNSL_ISQ_E10value_typeET4_T5_PSV_SW_PNS1_23onesweep_lookback_stateEbbT6_jjT7_P12ihipStream_tbENKUlT_T0_SK_SP_E_clIPxSE_SF_SF_EEDaS13_S14_SK_SP_EUlS13_E_NS1_11comp_targetILNS1_3genE8ELNS1_11target_archE1030ELNS1_3gpuE2ELNS1_3repE0EEENS1_47radix_sort_onesweep_sort_config_static_selectorELNS0_4arch9wavefront6targetE1EEEvSK_
    .private_segment_fixed_size: 0
    .sgpr_count:     4
    .sgpr_spill_count: 0
    .symbol:         _ZN7rocprim17ROCPRIM_400000_NS6detail17trampoline_kernelINS0_14default_configENS1_35radix_sort_onesweep_config_selectorIxNS0_10empty_typeEEEZZNS1_29radix_sort_onesweep_iterationIS3_Lb0EN6thrust23THRUST_200600_302600_NS6detail15normal_iteratorINS9_10device_ptrIxEEEESE_PS5_SF_jNS0_19identity_decomposerENS1_16block_id_wrapperIjLb1EEEEE10hipError_tT1_PNSt15iterator_traitsISK_E10value_typeET2_T3_PNSL_ISQ_E10value_typeET4_T5_PSV_SW_PNS1_23onesweep_lookback_stateEbbT6_jjT7_P12ihipStream_tbENKUlT_T0_SK_SP_E_clIPxSE_SF_SF_EEDaS13_S14_SK_SP_EUlS13_E_NS1_11comp_targetILNS1_3genE8ELNS1_11target_archE1030ELNS1_3gpuE2ELNS1_3repE0EEENS1_47radix_sort_onesweep_sort_config_static_selectorELNS0_4arch9wavefront6targetE1EEEvSK_.kd
    .uniform_work_group_size: 1
    .uses_dynamic_stack: false
    .vgpr_count:     0
    .vgpr_spill_count: 0
    .wavefront_size: 64
  - .agpr_count:     0
    .args:
      - .offset:         0
        .size:           88
        .value_kind:     by_value
    .group_segment_fixed_size: 0
    .kernarg_segment_align: 8
    .kernarg_segment_size: 88
    .language:       OpenCL C
    .language_version:
      - 2
      - 0
    .max_flat_workgroup_size: 512
    .name:           _ZN7rocprim17ROCPRIM_400000_NS6detail17trampoline_kernelINS0_14default_configENS1_35radix_sort_onesweep_config_selectorIxNS0_10empty_typeEEEZZNS1_29radix_sort_onesweep_iterationIS3_Lb0EN6thrust23THRUST_200600_302600_NS6detail15normal_iteratorINS9_10device_ptrIxEEEESE_PS5_SF_jNS0_19identity_decomposerENS1_16block_id_wrapperIjLb0EEEEE10hipError_tT1_PNSt15iterator_traitsISK_E10value_typeET2_T3_PNSL_ISQ_E10value_typeET4_T5_PSV_SW_PNS1_23onesweep_lookback_stateEbbT6_jjT7_P12ihipStream_tbENKUlT_T0_SK_SP_E_clISE_SE_SF_SF_EEDaS13_S14_SK_SP_EUlS13_E_NS1_11comp_targetILNS1_3genE0ELNS1_11target_archE4294967295ELNS1_3gpuE0ELNS1_3repE0EEENS1_47radix_sort_onesweep_sort_config_static_selectorELNS0_4arch9wavefront6targetE1EEEvSK_
    .private_segment_fixed_size: 0
    .sgpr_count:     4
    .sgpr_spill_count: 0
    .symbol:         _ZN7rocprim17ROCPRIM_400000_NS6detail17trampoline_kernelINS0_14default_configENS1_35radix_sort_onesweep_config_selectorIxNS0_10empty_typeEEEZZNS1_29radix_sort_onesweep_iterationIS3_Lb0EN6thrust23THRUST_200600_302600_NS6detail15normal_iteratorINS9_10device_ptrIxEEEESE_PS5_SF_jNS0_19identity_decomposerENS1_16block_id_wrapperIjLb0EEEEE10hipError_tT1_PNSt15iterator_traitsISK_E10value_typeET2_T3_PNSL_ISQ_E10value_typeET4_T5_PSV_SW_PNS1_23onesweep_lookback_stateEbbT6_jjT7_P12ihipStream_tbENKUlT_T0_SK_SP_E_clISE_SE_SF_SF_EEDaS13_S14_SK_SP_EUlS13_E_NS1_11comp_targetILNS1_3genE0ELNS1_11target_archE4294967295ELNS1_3gpuE0ELNS1_3repE0EEENS1_47radix_sort_onesweep_sort_config_static_selectorELNS0_4arch9wavefront6targetE1EEEvSK_.kd
    .uniform_work_group_size: 1
    .uses_dynamic_stack: false
    .vgpr_count:     0
    .vgpr_spill_count: 0
    .wavefront_size: 64
  - .agpr_count:     0
    .args:
      - .offset:         0
        .size:           88
        .value_kind:     by_value
    .group_segment_fixed_size: 0
    .kernarg_segment_align: 8
    .kernarg_segment_size: 88
    .language:       OpenCL C
    .language_version:
      - 2
      - 0
    .max_flat_workgroup_size: 512
    .name:           _ZN7rocprim17ROCPRIM_400000_NS6detail17trampoline_kernelINS0_14default_configENS1_35radix_sort_onesweep_config_selectorIxNS0_10empty_typeEEEZZNS1_29radix_sort_onesweep_iterationIS3_Lb0EN6thrust23THRUST_200600_302600_NS6detail15normal_iteratorINS9_10device_ptrIxEEEESE_PS5_SF_jNS0_19identity_decomposerENS1_16block_id_wrapperIjLb0EEEEE10hipError_tT1_PNSt15iterator_traitsISK_E10value_typeET2_T3_PNSL_ISQ_E10value_typeET4_T5_PSV_SW_PNS1_23onesweep_lookback_stateEbbT6_jjT7_P12ihipStream_tbENKUlT_T0_SK_SP_E_clISE_SE_SF_SF_EEDaS13_S14_SK_SP_EUlS13_E_NS1_11comp_targetILNS1_3genE6ELNS1_11target_archE950ELNS1_3gpuE13ELNS1_3repE0EEENS1_47radix_sort_onesweep_sort_config_static_selectorELNS0_4arch9wavefront6targetE1EEEvSK_
    .private_segment_fixed_size: 0
    .sgpr_count:     4
    .sgpr_spill_count: 0
    .symbol:         _ZN7rocprim17ROCPRIM_400000_NS6detail17trampoline_kernelINS0_14default_configENS1_35radix_sort_onesweep_config_selectorIxNS0_10empty_typeEEEZZNS1_29radix_sort_onesweep_iterationIS3_Lb0EN6thrust23THRUST_200600_302600_NS6detail15normal_iteratorINS9_10device_ptrIxEEEESE_PS5_SF_jNS0_19identity_decomposerENS1_16block_id_wrapperIjLb0EEEEE10hipError_tT1_PNSt15iterator_traitsISK_E10value_typeET2_T3_PNSL_ISQ_E10value_typeET4_T5_PSV_SW_PNS1_23onesweep_lookback_stateEbbT6_jjT7_P12ihipStream_tbENKUlT_T0_SK_SP_E_clISE_SE_SF_SF_EEDaS13_S14_SK_SP_EUlS13_E_NS1_11comp_targetILNS1_3genE6ELNS1_11target_archE950ELNS1_3gpuE13ELNS1_3repE0EEENS1_47radix_sort_onesweep_sort_config_static_selectorELNS0_4arch9wavefront6targetE1EEEvSK_.kd
    .uniform_work_group_size: 1
    .uses_dynamic_stack: false
    .vgpr_count:     0
    .vgpr_spill_count: 0
    .wavefront_size: 64
  - .agpr_count:     0
    .args:
      - .offset:         0
        .size:           88
        .value_kind:     by_value
    .group_segment_fixed_size: 0
    .kernarg_segment_align: 8
    .kernarg_segment_size: 88
    .language:       OpenCL C
    .language_version:
      - 2
      - 0
    .max_flat_workgroup_size: 512
    .name:           _ZN7rocprim17ROCPRIM_400000_NS6detail17trampoline_kernelINS0_14default_configENS1_35radix_sort_onesweep_config_selectorIxNS0_10empty_typeEEEZZNS1_29radix_sort_onesweep_iterationIS3_Lb0EN6thrust23THRUST_200600_302600_NS6detail15normal_iteratorINS9_10device_ptrIxEEEESE_PS5_SF_jNS0_19identity_decomposerENS1_16block_id_wrapperIjLb0EEEEE10hipError_tT1_PNSt15iterator_traitsISK_E10value_typeET2_T3_PNSL_ISQ_E10value_typeET4_T5_PSV_SW_PNS1_23onesweep_lookback_stateEbbT6_jjT7_P12ihipStream_tbENKUlT_T0_SK_SP_E_clISE_SE_SF_SF_EEDaS13_S14_SK_SP_EUlS13_E_NS1_11comp_targetILNS1_3genE5ELNS1_11target_archE942ELNS1_3gpuE9ELNS1_3repE0EEENS1_47radix_sort_onesweep_sort_config_static_selectorELNS0_4arch9wavefront6targetE1EEEvSK_
    .private_segment_fixed_size: 0
    .sgpr_count:     4
    .sgpr_spill_count: 0
    .symbol:         _ZN7rocprim17ROCPRIM_400000_NS6detail17trampoline_kernelINS0_14default_configENS1_35radix_sort_onesweep_config_selectorIxNS0_10empty_typeEEEZZNS1_29radix_sort_onesweep_iterationIS3_Lb0EN6thrust23THRUST_200600_302600_NS6detail15normal_iteratorINS9_10device_ptrIxEEEESE_PS5_SF_jNS0_19identity_decomposerENS1_16block_id_wrapperIjLb0EEEEE10hipError_tT1_PNSt15iterator_traitsISK_E10value_typeET2_T3_PNSL_ISQ_E10value_typeET4_T5_PSV_SW_PNS1_23onesweep_lookback_stateEbbT6_jjT7_P12ihipStream_tbENKUlT_T0_SK_SP_E_clISE_SE_SF_SF_EEDaS13_S14_SK_SP_EUlS13_E_NS1_11comp_targetILNS1_3genE5ELNS1_11target_archE942ELNS1_3gpuE9ELNS1_3repE0EEENS1_47radix_sort_onesweep_sort_config_static_selectorELNS0_4arch9wavefront6targetE1EEEvSK_.kd
    .uniform_work_group_size: 1
    .uses_dynamic_stack: false
    .vgpr_count:     0
    .vgpr_spill_count: 0
    .wavefront_size: 64
  - .agpr_count:     0
    .args:
      - .offset:         0
        .size:           88
        .value_kind:     by_value
    .group_segment_fixed_size: 0
    .kernarg_segment_align: 8
    .kernarg_segment_size: 88
    .language:       OpenCL C
    .language_version:
      - 2
      - 0
    .max_flat_workgroup_size: 512
    .name:           _ZN7rocprim17ROCPRIM_400000_NS6detail17trampoline_kernelINS0_14default_configENS1_35radix_sort_onesweep_config_selectorIxNS0_10empty_typeEEEZZNS1_29radix_sort_onesweep_iterationIS3_Lb0EN6thrust23THRUST_200600_302600_NS6detail15normal_iteratorINS9_10device_ptrIxEEEESE_PS5_SF_jNS0_19identity_decomposerENS1_16block_id_wrapperIjLb0EEEEE10hipError_tT1_PNSt15iterator_traitsISK_E10value_typeET2_T3_PNSL_ISQ_E10value_typeET4_T5_PSV_SW_PNS1_23onesweep_lookback_stateEbbT6_jjT7_P12ihipStream_tbENKUlT_T0_SK_SP_E_clISE_SE_SF_SF_EEDaS13_S14_SK_SP_EUlS13_E_NS1_11comp_targetILNS1_3genE2ELNS1_11target_archE906ELNS1_3gpuE6ELNS1_3repE0EEENS1_47radix_sort_onesweep_sort_config_static_selectorELNS0_4arch9wavefront6targetE1EEEvSK_
    .private_segment_fixed_size: 0
    .sgpr_count:     4
    .sgpr_spill_count: 0
    .symbol:         _ZN7rocprim17ROCPRIM_400000_NS6detail17trampoline_kernelINS0_14default_configENS1_35radix_sort_onesweep_config_selectorIxNS0_10empty_typeEEEZZNS1_29radix_sort_onesweep_iterationIS3_Lb0EN6thrust23THRUST_200600_302600_NS6detail15normal_iteratorINS9_10device_ptrIxEEEESE_PS5_SF_jNS0_19identity_decomposerENS1_16block_id_wrapperIjLb0EEEEE10hipError_tT1_PNSt15iterator_traitsISK_E10value_typeET2_T3_PNSL_ISQ_E10value_typeET4_T5_PSV_SW_PNS1_23onesweep_lookback_stateEbbT6_jjT7_P12ihipStream_tbENKUlT_T0_SK_SP_E_clISE_SE_SF_SF_EEDaS13_S14_SK_SP_EUlS13_E_NS1_11comp_targetILNS1_3genE2ELNS1_11target_archE906ELNS1_3gpuE6ELNS1_3repE0EEENS1_47radix_sort_onesweep_sort_config_static_selectorELNS0_4arch9wavefront6targetE1EEEvSK_.kd
    .uniform_work_group_size: 1
    .uses_dynamic_stack: false
    .vgpr_count:     0
    .vgpr_spill_count: 0
    .wavefront_size: 64
  - .agpr_count:     0
    .args:
      - .offset:         0
        .size:           88
        .value_kind:     by_value
      - .offset:         88
        .size:           4
        .value_kind:     hidden_block_count_x
      - .offset:         92
        .size:           4
        .value_kind:     hidden_block_count_y
      - .offset:         96
        .size:           4
        .value_kind:     hidden_block_count_z
      - .offset:         100
        .size:           2
        .value_kind:     hidden_group_size_x
      - .offset:         102
        .size:           2
        .value_kind:     hidden_group_size_y
      - .offset:         104
        .size:           2
        .value_kind:     hidden_group_size_z
      - .offset:         106
        .size:           2
        .value_kind:     hidden_remainder_x
      - .offset:         108
        .size:           2
        .value_kind:     hidden_remainder_y
      - .offset:         110
        .size:           2
        .value_kind:     hidden_remainder_z
      - .offset:         128
        .size:           8
        .value_kind:     hidden_global_offset_x
      - .offset:         136
        .size:           8
        .value_kind:     hidden_global_offset_y
      - .offset:         144
        .size:           8
        .value_kind:     hidden_global_offset_z
      - .offset:         152
        .size:           2
        .value_kind:     hidden_grid_dims
    .group_segment_fixed_size: 20552
    .kernarg_segment_align: 8
    .kernarg_segment_size: 344
    .language:       OpenCL C
    .language_version:
      - 2
      - 0
    .max_flat_workgroup_size: 1024
    .name:           _ZN7rocprim17ROCPRIM_400000_NS6detail17trampoline_kernelINS0_14default_configENS1_35radix_sort_onesweep_config_selectorIxNS0_10empty_typeEEEZZNS1_29radix_sort_onesweep_iterationIS3_Lb0EN6thrust23THRUST_200600_302600_NS6detail15normal_iteratorINS9_10device_ptrIxEEEESE_PS5_SF_jNS0_19identity_decomposerENS1_16block_id_wrapperIjLb0EEEEE10hipError_tT1_PNSt15iterator_traitsISK_E10value_typeET2_T3_PNSL_ISQ_E10value_typeET4_T5_PSV_SW_PNS1_23onesweep_lookback_stateEbbT6_jjT7_P12ihipStream_tbENKUlT_T0_SK_SP_E_clISE_SE_SF_SF_EEDaS13_S14_SK_SP_EUlS13_E_NS1_11comp_targetILNS1_3genE4ELNS1_11target_archE910ELNS1_3gpuE8ELNS1_3repE0EEENS1_47radix_sort_onesweep_sort_config_static_selectorELNS0_4arch9wavefront6targetE1EEEvSK_
    .private_segment_fixed_size: 0
    .sgpr_count:     34
    .sgpr_spill_count: 0
    .symbol:         _ZN7rocprim17ROCPRIM_400000_NS6detail17trampoline_kernelINS0_14default_configENS1_35radix_sort_onesweep_config_selectorIxNS0_10empty_typeEEEZZNS1_29radix_sort_onesweep_iterationIS3_Lb0EN6thrust23THRUST_200600_302600_NS6detail15normal_iteratorINS9_10device_ptrIxEEEESE_PS5_SF_jNS0_19identity_decomposerENS1_16block_id_wrapperIjLb0EEEEE10hipError_tT1_PNSt15iterator_traitsISK_E10value_typeET2_T3_PNSL_ISQ_E10value_typeET4_T5_PSV_SW_PNS1_23onesweep_lookback_stateEbbT6_jjT7_P12ihipStream_tbENKUlT_T0_SK_SP_E_clISE_SE_SF_SF_EEDaS13_S14_SK_SP_EUlS13_E_NS1_11comp_targetILNS1_3genE4ELNS1_11target_archE910ELNS1_3gpuE8ELNS1_3repE0EEENS1_47radix_sort_onesweep_sort_config_static_selectorELNS0_4arch9wavefront6targetE1EEEvSK_.kd
    .uniform_work_group_size: 1
    .uses_dynamic_stack: false
    .vgpr_count:     55
    .vgpr_spill_count: 0
    .wavefront_size: 64
  - .agpr_count:     0
    .args:
      - .offset:         0
        .size:           88
        .value_kind:     by_value
    .group_segment_fixed_size: 0
    .kernarg_segment_align: 8
    .kernarg_segment_size: 88
    .language:       OpenCL C
    .language_version:
      - 2
      - 0
    .max_flat_workgroup_size: 512
    .name:           _ZN7rocprim17ROCPRIM_400000_NS6detail17trampoline_kernelINS0_14default_configENS1_35radix_sort_onesweep_config_selectorIxNS0_10empty_typeEEEZZNS1_29radix_sort_onesweep_iterationIS3_Lb0EN6thrust23THRUST_200600_302600_NS6detail15normal_iteratorINS9_10device_ptrIxEEEESE_PS5_SF_jNS0_19identity_decomposerENS1_16block_id_wrapperIjLb0EEEEE10hipError_tT1_PNSt15iterator_traitsISK_E10value_typeET2_T3_PNSL_ISQ_E10value_typeET4_T5_PSV_SW_PNS1_23onesweep_lookback_stateEbbT6_jjT7_P12ihipStream_tbENKUlT_T0_SK_SP_E_clISE_SE_SF_SF_EEDaS13_S14_SK_SP_EUlS13_E_NS1_11comp_targetILNS1_3genE3ELNS1_11target_archE908ELNS1_3gpuE7ELNS1_3repE0EEENS1_47radix_sort_onesweep_sort_config_static_selectorELNS0_4arch9wavefront6targetE1EEEvSK_
    .private_segment_fixed_size: 0
    .sgpr_count:     4
    .sgpr_spill_count: 0
    .symbol:         _ZN7rocprim17ROCPRIM_400000_NS6detail17trampoline_kernelINS0_14default_configENS1_35radix_sort_onesweep_config_selectorIxNS0_10empty_typeEEEZZNS1_29radix_sort_onesweep_iterationIS3_Lb0EN6thrust23THRUST_200600_302600_NS6detail15normal_iteratorINS9_10device_ptrIxEEEESE_PS5_SF_jNS0_19identity_decomposerENS1_16block_id_wrapperIjLb0EEEEE10hipError_tT1_PNSt15iterator_traitsISK_E10value_typeET2_T3_PNSL_ISQ_E10value_typeET4_T5_PSV_SW_PNS1_23onesweep_lookback_stateEbbT6_jjT7_P12ihipStream_tbENKUlT_T0_SK_SP_E_clISE_SE_SF_SF_EEDaS13_S14_SK_SP_EUlS13_E_NS1_11comp_targetILNS1_3genE3ELNS1_11target_archE908ELNS1_3gpuE7ELNS1_3repE0EEENS1_47radix_sort_onesweep_sort_config_static_selectorELNS0_4arch9wavefront6targetE1EEEvSK_.kd
    .uniform_work_group_size: 1
    .uses_dynamic_stack: false
    .vgpr_count:     0
    .vgpr_spill_count: 0
    .wavefront_size: 64
  - .agpr_count:     0
    .args:
      - .offset:         0
        .size:           88
        .value_kind:     by_value
    .group_segment_fixed_size: 0
    .kernarg_segment_align: 8
    .kernarg_segment_size: 88
    .language:       OpenCL C
    .language_version:
      - 2
      - 0
    .max_flat_workgroup_size: 512
    .name:           _ZN7rocprim17ROCPRIM_400000_NS6detail17trampoline_kernelINS0_14default_configENS1_35radix_sort_onesweep_config_selectorIxNS0_10empty_typeEEEZZNS1_29radix_sort_onesweep_iterationIS3_Lb0EN6thrust23THRUST_200600_302600_NS6detail15normal_iteratorINS9_10device_ptrIxEEEESE_PS5_SF_jNS0_19identity_decomposerENS1_16block_id_wrapperIjLb0EEEEE10hipError_tT1_PNSt15iterator_traitsISK_E10value_typeET2_T3_PNSL_ISQ_E10value_typeET4_T5_PSV_SW_PNS1_23onesweep_lookback_stateEbbT6_jjT7_P12ihipStream_tbENKUlT_T0_SK_SP_E_clISE_SE_SF_SF_EEDaS13_S14_SK_SP_EUlS13_E_NS1_11comp_targetILNS1_3genE10ELNS1_11target_archE1201ELNS1_3gpuE5ELNS1_3repE0EEENS1_47radix_sort_onesweep_sort_config_static_selectorELNS0_4arch9wavefront6targetE1EEEvSK_
    .private_segment_fixed_size: 0
    .sgpr_count:     4
    .sgpr_spill_count: 0
    .symbol:         _ZN7rocprim17ROCPRIM_400000_NS6detail17trampoline_kernelINS0_14default_configENS1_35radix_sort_onesweep_config_selectorIxNS0_10empty_typeEEEZZNS1_29radix_sort_onesweep_iterationIS3_Lb0EN6thrust23THRUST_200600_302600_NS6detail15normal_iteratorINS9_10device_ptrIxEEEESE_PS5_SF_jNS0_19identity_decomposerENS1_16block_id_wrapperIjLb0EEEEE10hipError_tT1_PNSt15iterator_traitsISK_E10value_typeET2_T3_PNSL_ISQ_E10value_typeET4_T5_PSV_SW_PNS1_23onesweep_lookback_stateEbbT6_jjT7_P12ihipStream_tbENKUlT_T0_SK_SP_E_clISE_SE_SF_SF_EEDaS13_S14_SK_SP_EUlS13_E_NS1_11comp_targetILNS1_3genE10ELNS1_11target_archE1201ELNS1_3gpuE5ELNS1_3repE0EEENS1_47radix_sort_onesweep_sort_config_static_selectorELNS0_4arch9wavefront6targetE1EEEvSK_.kd
    .uniform_work_group_size: 1
    .uses_dynamic_stack: false
    .vgpr_count:     0
    .vgpr_spill_count: 0
    .wavefront_size: 64
  - .agpr_count:     0
    .args:
      - .offset:         0
        .size:           88
        .value_kind:     by_value
    .group_segment_fixed_size: 0
    .kernarg_segment_align: 8
    .kernarg_segment_size: 88
    .language:       OpenCL C
    .language_version:
      - 2
      - 0
    .max_flat_workgroup_size: 1024
    .name:           _ZN7rocprim17ROCPRIM_400000_NS6detail17trampoline_kernelINS0_14default_configENS1_35radix_sort_onesweep_config_selectorIxNS0_10empty_typeEEEZZNS1_29radix_sort_onesweep_iterationIS3_Lb0EN6thrust23THRUST_200600_302600_NS6detail15normal_iteratorINS9_10device_ptrIxEEEESE_PS5_SF_jNS0_19identity_decomposerENS1_16block_id_wrapperIjLb0EEEEE10hipError_tT1_PNSt15iterator_traitsISK_E10value_typeET2_T3_PNSL_ISQ_E10value_typeET4_T5_PSV_SW_PNS1_23onesweep_lookback_stateEbbT6_jjT7_P12ihipStream_tbENKUlT_T0_SK_SP_E_clISE_SE_SF_SF_EEDaS13_S14_SK_SP_EUlS13_E_NS1_11comp_targetILNS1_3genE9ELNS1_11target_archE1100ELNS1_3gpuE3ELNS1_3repE0EEENS1_47radix_sort_onesweep_sort_config_static_selectorELNS0_4arch9wavefront6targetE1EEEvSK_
    .private_segment_fixed_size: 0
    .sgpr_count:     4
    .sgpr_spill_count: 0
    .symbol:         _ZN7rocprim17ROCPRIM_400000_NS6detail17trampoline_kernelINS0_14default_configENS1_35radix_sort_onesweep_config_selectorIxNS0_10empty_typeEEEZZNS1_29radix_sort_onesweep_iterationIS3_Lb0EN6thrust23THRUST_200600_302600_NS6detail15normal_iteratorINS9_10device_ptrIxEEEESE_PS5_SF_jNS0_19identity_decomposerENS1_16block_id_wrapperIjLb0EEEEE10hipError_tT1_PNSt15iterator_traitsISK_E10value_typeET2_T3_PNSL_ISQ_E10value_typeET4_T5_PSV_SW_PNS1_23onesweep_lookback_stateEbbT6_jjT7_P12ihipStream_tbENKUlT_T0_SK_SP_E_clISE_SE_SF_SF_EEDaS13_S14_SK_SP_EUlS13_E_NS1_11comp_targetILNS1_3genE9ELNS1_11target_archE1100ELNS1_3gpuE3ELNS1_3repE0EEENS1_47radix_sort_onesweep_sort_config_static_selectorELNS0_4arch9wavefront6targetE1EEEvSK_.kd
    .uniform_work_group_size: 1
    .uses_dynamic_stack: false
    .vgpr_count:     0
    .vgpr_spill_count: 0
    .wavefront_size: 64
  - .agpr_count:     0
    .args:
      - .offset:         0
        .size:           88
        .value_kind:     by_value
    .group_segment_fixed_size: 0
    .kernarg_segment_align: 8
    .kernarg_segment_size: 88
    .language:       OpenCL C
    .language_version:
      - 2
      - 0
    .max_flat_workgroup_size: 1024
    .name:           _ZN7rocprim17ROCPRIM_400000_NS6detail17trampoline_kernelINS0_14default_configENS1_35radix_sort_onesweep_config_selectorIxNS0_10empty_typeEEEZZNS1_29radix_sort_onesweep_iterationIS3_Lb0EN6thrust23THRUST_200600_302600_NS6detail15normal_iteratorINS9_10device_ptrIxEEEESE_PS5_SF_jNS0_19identity_decomposerENS1_16block_id_wrapperIjLb0EEEEE10hipError_tT1_PNSt15iterator_traitsISK_E10value_typeET2_T3_PNSL_ISQ_E10value_typeET4_T5_PSV_SW_PNS1_23onesweep_lookback_stateEbbT6_jjT7_P12ihipStream_tbENKUlT_T0_SK_SP_E_clISE_SE_SF_SF_EEDaS13_S14_SK_SP_EUlS13_E_NS1_11comp_targetILNS1_3genE8ELNS1_11target_archE1030ELNS1_3gpuE2ELNS1_3repE0EEENS1_47radix_sort_onesweep_sort_config_static_selectorELNS0_4arch9wavefront6targetE1EEEvSK_
    .private_segment_fixed_size: 0
    .sgpr_count:     4
    .sgpr_spill_count: 0
    .symbol:         _ZN7rocprim17ROCPRIM_400000_NS6detail17trampoline_kernelINS0_14default_configENS1_35radix_sort_onesweep_config_selectorIxNS0_10empty_typeEEEZZNS1_29radix_sort_onesweep_iterationIS3_Lb0EN6thrust23THRUST_200600_302600_NS6detail15normal_iteratorINS9_10device_ptrIxEEEESE_PS5_SF_jNS0_19identity_decomposerENS1_16block_id_wrapperIjLb0EEEEE10hipError_tT1_PNSt15iterator_traitsISK_E10value_typeET2_T3_PNSL_ISQ_E10value_typeET4_T5_PSV_SW_PNS1_23onesweep_lookback_stateEbbT6_jjT7_P12ihipStream_tbENKUlT_T0_SK_SP_E_clISE_SE_SF_SF_EEDaS13_S14_SK_SP_EUlS13_E_NS1_11comp_targetILNS1_3genE8ELNS1_11target_archE1030ELNS1_3gpuE2ELNS1_3repE0EEENS1_47radix_sort_onesweep_sort_config_static_selectorELNS0_4arch9wavefront6targetE1EEEvSK_.kd
    .uniform_work_group_size: 1
    .uses_dynamic_stack: false
    .vgpr_count:     0
    .vgpr_spill_count: 0
    .wavefront_size: 64
  - .agpr_count:     0
    .args:
      - .offset:         0
        .size:           88
        .value_kind:     by_value
    .group_segment_fixed_size: 0
    .kernarg_segment_align: 8
    .kernarg_segment_size: 88
    .language:       OpenCL C
    .language_version:
      - 2
      - 0
    .max_flat_workgroup_size: 512
    .name:           _ZN7rocprim17ROCPRIM_400000_NS6detail17trampoline_kernelINS0_14default_configENS1_35radix_sort_onesweep_config_selectorIxNS0_10empty_typeEEEZZNS1_29radix_sort_onesweep_iterationIS3_Lb0EN6thrust23THRUST_200600_302600_NS6detail15normal_iteratorINS9_10device_ptrIxEEEESE_PS5_SF_jNS0_19identity_decomposerENS1_16block_id_wrapperIjLb0EEEEE10hipError_tT1_PNSt15iterator_traitsISK_E10value_typeET2_T3_PNSL_ISQ_E10value_typeET4_T5_PSV_SW_PNS1_23onesweep_lookback_stateEbbT6_jjT7_P12ihipStream_tbENKUlT_T0_SK_SP_E_clISE_PxSF_SF_EEDaS13_S14_SK_SP_EUlS13_E_NS1_11comp_targetILNS1_3genE0ELNS1_11target_archE4294967295ELNS1_3gpuE0ELNS1_3repE0EEENS1_47radix_sort_onesweep_sort_config_static_selectorELNS0_4arch9wavefront6targetE1EEEvSK_
    .private_segment_fixed_size: 0
    .sgpr_count:     4
    .sgpr_spill_count: 0
    .symbol:         _ZN7rocprim17ROCPRIM_400000_NS6detail17trampoline_kernelINS0_14default_configENS1_35radix_sort_onesweep_config_selectorIxNS0_10empty_typeEEEZZNS1_29radix_sort_onesweep_iterationIS3_Lb0EN6thrust23THRUST_200600_302600_NS6detail15normal_iteratorINS9_10device_ptrIxEEEESE_PS5_SF_jNS0_19identity_decomposerENS1_16block_id_wrapperIjLb0EEEEE10hipError_tT1_PNSt15iterator_traitsISK_E10value_typeET2_T3_PNSL_ISQ_E10value_typeET4_T5_PSV_SW_PNS1_23onesweep_lookback_stateEbbT6_jjT7_P12ihipStream_tbENKUlT_T0_SK_SP_E_clISE_PxSF_SF_EEDaS13_S14_SK_SP_EUlS13_E_NS1_11comp_targetILNS1_3genE0ELNS1_11target_archE4294967295ELNS1_3gpuE0ELNS1_3repE0EEENS1_47radix_sort_onesweep_sort_config_static_selectorELNS0_4arch9wavefront6targetE1EEEvSK_.kd
    .uniform_work_group_size: 1
    .uses_dynamic_stack: false
    .vgpr_count:     0
    .vgpr_spill_count: 0
    .wavefront_size: 64
  - .agpr_count:     0
    .args:
      - .offset:         0
        .size:           88
        .value_kind:     by_value
    .group_segment_fixed_size: 0
    .kernarg_segment_align: 8
    .kernarg_segment_size: 88
    .language:       OpenCL C
    .language_version:
      - 2
      - 0
    .max_flat_workgroup_size: 512
    .name:           _ZN7rocprim17ROCPRIM_400000_NS6detail17trampoline_kernelINS0_14default_configENS1_35radix_sort_onesweep_config_selectorIxNS0_10empty_typeEEEZZNS1_29radix_sort_onesweep_iterationIS3_Lb0EN6thrust23THRUST_200600_302600_NS6detail15normal_iteratorINS9_10device_ptrIxEEEESE_PS5_SF_jNS0_19identity_decomposerENS1_16block_id_wrapperIjLb0EEEEE10hipError_tT1_PNSt15iterator_traitsISK_E10value_typeET2_T3_PNSL_ISQ_E10value_typeET4_T5_PSV_SW_PNS1_23onesweep_lookback_stateEbbT6_jjT7_P12ihipStream_tbENKUlT_T0_SK_SP_E_clISE_PxSF_SF_EEDaS13_S14_SK_SP_EUlS13_E_NS1_11comp_targetILNS1_3genE6ELNS1_11target_archE950ELNS1_3gpuE13ELNS1_3repE0EEENS1_47radix_sort_onesweep_sort_config_static_selectorELNS0_4arch9wavefront6targetE1EEEvSK_
    .private_segment_fixed_size: 0
    .sgpr_count:     4
    .sgpr_spill_count: 0
    .symbol:         _ZN7rocprim17ROCPRIM_400000_NS6detail17trampoline_kernelINS0_14default_configENS1_35radix_sort_onesweep_config_selectorIxNS0_10empty_typeEEEZZNS1_29radix_sort_onesweep_iterationIS3_Lb0EN6thrust23THRUST_200600_302600_NS6detail15normal_iteratorINS9_10device_ptrIxEEEESE_PS5_SF_jNS0_19identity_decomposerENS1_16block_id_wrapperIjLb0EEEEE10hipError_tT1_PNSt15iterator_traitsISK_E10value_typeET2_T3_PNSL_ISQ_E10value_typeET4_T5_PSV_SW_PNS1_23onesweep_lookback_stateEbbT6_jjT7_P12ihipStream_tbENKUlT_T0_SK_SP_E_clISE_PxSF_SF_EEDaS13_S14_SK_SP_EUlS13_E_NS1_11comp_targetILNS1_3genE6ELNS1_11target_archE950ELNS1_3gpuE13ELNS1_3repE0EEENS1_47radix_sort_onesweep_sort_config_static_selectorELNS0_4arch9wavefront6targetE1EEEvSK_.kd
    .uniform_work_group_size: 1
    .uses_dynamic_stack: false
    .vgpr_count:     0
    .vgpr_spill_count: 0
    .wavefront_size: 64
  - .agpr_count:     0
    .args:
      - .offset:         0
        .size:           88
        .value_kind:     by_value
    .group_segment_fixed_size: 0
    .kernarg_segment_align: 8
    .kernarg_segment_size: 88
    .language:       OpenCL C
    .language_version:
      - 2
      - 0
    .max_flat_workgroup_size: 512
    .name:           _ZN7rocprim17ROCPRIM_400000_NS6detail17trampoline_kernelINS0_14default_configENS1_35radix_sort_onesweep_config_selectorIxNS0_10empty_typeEEEZZNS1_29radix_sort_onesweep_iterationIS3_Lb0EN6thrust23THRUST_200600_302600_NS6detail15normal_iteratorINS9_10device_ptrIxEEEESE_PS5_SF_jNS0_19identity_decomposerENS1_16block_id_wrapperIjLb0EEEEE10hipError_tT1_PNSt15iterator_traitsISK_E10value_typeET2_T3_PNSL_ISQ_E10value_typeET4_T5_PSV_SW_PNS1_23onesweep_lookback_stateEbbT6_jjT7_P12ihipStream_tbENKUlT_T0_SK_SP_E_clISE_PxSF_SF_EEDaS13_S14_SK_SP_EUlS13_E_NS1_11comp_targetILNS1_3genE5ELNS1_11target_archE942ELNS1_3gpuE9ELNS1_3repE0EEENS1_47radix_sort_onesweep_sort_config_static_selectorELNS0_4arch9wavefront6targetE1EEEvSK_
    .private_segment_fixed_size: 0
    .sgpr_count:     4
    .sgpr_spill_count: 0
    .symbol:         _ZN7rocprim17ROCPRIM_400000_NS6detail17trampoline_kernelINS0_14default_configENS1_35radix_sort_onesweep_config_selectorIxNS0_10empty_typeEEEZZNS1_29radix_sort_onesweep_iterationIS3_Lb0EN6thrust23THRUST_200600_302600_NS6detail15normal_iteratorINS9_10device_ptrIxEEEESE_PS5_SF_jNS0_19identity_decomposerENS1_16block_id_wrapperIjLb0EEEEE10hipError_tT1_PNSt15iterator_traitsISK_E10value_typeET2_T3_PNSL_ISQ_E10value_typeET4_T5_PSV_SW_PNS1_23onesweep_lookback_stateEbbT6_jjT7_P12ihipStream_tbENKUlT_T0_SK_SP_E_clISE_PxSF_SF_EEDaS13_S14_SK_SP_EUlS13_E_NS1_11comp_targetILNS1_3genE5ELNS1_11target_archE942ELNS1_3gpuE9ELNS1_3repE0EEENS1_47radix_sort_onesweep_sort_config_static_selectorELNS0_4arch9wavefront6targetE1EEEvSK_.kd
    .uniform_work_group_size: 1
    .uses_dynamic_stack: false
    .vgpr_count:     0
    .vgpr_spill_count: 0
    .wavefront_size: 64
  - .agpr_count:     0
    .args:
      - .offset:         0
        .size:           88
        .value_kind:     by_value
    .group_segment_fixed_size: 0
    .kernarg_segment_align: 8
    .kernarg_segment_size: 88
    .language:       OpenCL C
    .language_version:
      - 2
      - 0
    .max_flat_workgroup_size: 512
    .name:           _ZN7rocprim17ROCPRIM_400000_NS6detail17trampoline_kernelINS0_14default_configENS1_35radix_sort_onesweep_config_selectorIxNS0_10empty_typeEEEZZNS1_29radix_sort_onesweep_iterationIS3_Lb0EN6thrust23THRUST_200600_302600_NS6detail15normal_iteratorINS9_10device_ptrIxEEEESE_PS5_SF_jNS0_19identity_decomposerENS1_16block_id_wrapperIjLb0EEEEE10hipError_tT1_PNSt15iterator_traitsISK_E10value_typeET2_T3_PNSL_ISQ_E10value_typeET4_T5_PSV_SW_PNS1_23onesweep_lookback_stateEbbT6_jjT7_P12ihipStream_tbENKUlT_T0_SK_SP_E_clISE_PxSF_SF_EEDaS13_S14_SK_SP_EUlS13_E_NS1_11comp_targetILNS1_3genE2ELNS1_11target_archE906ELNS1_3gpuE6ELNS1_3repE0EEENS1_47radix_sort_onesweep_sort_config_static_selectorELNS0_4arch9wavefront6targetE1EEEvSK_
    .private_segment_fixed_size: 0
    .sgpr_count:     4
    .sgpr_spill_count: 0
    .symbol:         _ZN7rocprim17ROCPRIM_400000_NS6detail17trampoline_kernelINS0_14default_configENS1_35radix_sort_onesweep_config_selectorIxNS0_10empty_typeEEEZZNS1_29radix_sort_onesweep_iterationIS3_Lb0EN6thrust23THRUST_200600_302600_NS6detail15normal_iteratorINS9_10device_ptrIxEEEESE_PS5_SF_jNS0_19identity_decomposerENS1_16block_id_wrapperIjLb0EEEEE10hipError_tT1_PNSt15iterator_traitsISK_E10value_typeET2_T3_PNSL_ISQ_E10value_typeET4_T5_PSV_SW_PNS1_23onesweep_lookback_stateEbbT6_jjT7_P12ihipStream_tbENKUlT_T0_SK_SP_E_clISE_PxSF_SF_EEDaS13_S14_SK_SP_EUlS13_E_NS1_11comp_targetILNS1_3genE2ELNS1_11target_archE906ELNS1_3gpuE6ELNS1_3repE0EEENS1_47radix_sort_onesweep_sort_config_static_selectorELNS0_4arch9wavefront6targetE1EEEvSK_.kd
    .uniform_work_group_size: 1
    .uses_dynamic_stack: false
    .vgpr_count:     0
    .vgpr_spill_count: 0
    .wavefront_size: 64
  - .agpr_count:     0
    .args:
      - .offset:         0
        .size:           88
        .value_kind:     by_value
      - .offset:         88
        .size:           4
        .value_kind:     hidden_block_count_x
      - .offset:         92
        .size:           4
        .value_kind:     hidden_block_count_y
      - .offset:         96
        .size:           4
        .value_kind:     hidden_block_count_z
      - .offset:         100
        .size:           2
        .value_kind:     hidden_group_size_x
      - .offset:         102
        .size:           2
        .value_kind:     hidden_group_size_y
      - .offset:         104
        .size:           2
        .value_kind:     hidden_group_size_z
      - .offset:         106
        .size:           2
        .value_kind:     hidden_remainder_x
      - .offset:         108
        .size:           2
        .value_kind:     hidden_remainder_y
      - .offset:         110
        .size:           2
        .value_kind:     hidden_remainder_z
      - .offset:         128
        .size:           8
        .value_kind:     hidden_global_offset_x
      - .offset:         136
        .size:           8
        .value_kind:     hidden_global_offset_y
      - .offset:         144
        .size:           8
        .value_kind:     hidden_global_offset_z
      - .offset:         152
        .size:           2
        .value_kind:     hidden_grid_dims
    .group_segment_fixed_size: 20552
    .kernarg_segment_align: 8
    .kernarg_segment_size: 344
    .language:       OpenCL C
    .language_version:
      - 2
      - 0
    .max_flat_workgroup_size: 1024
    .name:           _ZN7rocprim17ROCPRIM_400000_NS6detail17trampoline_kernelINS0_14default_configENS1_35radix_sort_onesweep_config_selectorIxNS0_10empty_typeEEEZZNS1_29radix_sort_onesweep_iterationIS3_Lb0EN6thrust23THRUST_200600_302600_NS6detail15normal_iteratorINS9_10device_ptrIxEEEESE_PS5_SF_jNS0_19identity_decomposerENS1_16block_id_wrapperIjLb0EEEEE10hipError_tT1_PNSt15iterator_traitsISK_E10value_typeET2_T3_PNSL_ISQ_E10value_typeET4_T5_PSV_SW_PNS1_23onesweep_lookback_stateEbbT6_jjT7_P12ihipStream_tbENKUlT_T0_SK_SP_E_clISE_PxSF_SF_EEDaS13_S14_SK_SP_EUlS13_E_NS1_11comp_targetILNS1_3genE4ELNS1_11target_archE910ELNS1_3gpuE8ELNS1_3repE0EEENS1_47radix_sort_onesweep_sort_config_static_selectorELNS0_4arch9wavefront6targetE1EEEvSK_
    .private_segment_fixed_size: 0
    .sgpr_count:     34
    .sgpr_spill_count: 0
    .symbol:         _ZN7rocprim17ROCPRIM_400000_NS6detail17trampoline_kernelINS0_14default_configENS1_35radix_sort_onesweep_config_selectorIxNS0_10empty_typeEEEZZNS1_29radix_sort_onesweep_iterationIS3_Lb0EN6thrust23THRUST_200600_302600_NS6detail15normal_iteratorINS9_10device_ptrIxEEEESE_PS5_SF_jNS0_19identity_decomposerENS1_16block_id_wrapperIjLb0EEEEE10hipError_tT1_PNSt15iterator_traitsISK_E10value_typeET2_T3_PNSL_ISQ_E10value_typeET4_T5_PSV_SW_PNS1_23onesweep_lookback_stateEbbT6_jjT7_P12ihipStream_tbENKUlT_T0_SK_SP_E_clISE_PxSF_SF_EEDaS13_S14_SK_SP_EUlS13_E_NS1_11comp_targetILNS1_3genE4ELNS1_11target_archE910ELNS1_3gpuE8ELNS1_3repE0EEENS1_47radix_sort_onesweep_sort_config_static_selectorELNS0_4arch9wavefront6targetE1EEEvSK_.kd
    .uniform_work_group_size: 1
    .uses_dynamic_stack: false
    .vgpr_count:     55
    .vgpr_spill_count: 0
    .wavefront_size: 64
  - .agpr_count:     0
    .args:
      - .offset:         0
        .size:           88
        .value_kind:     by_value
    .group_segment_fixed_size: 0
    .kernarg_segment_align: 8
    .kernarg_segment_size: 88
    .language:       OpenCL C
    .language_version:
      - 2
      - 0
    .max_flat_workgroup_size: 512
    .name:           _ZN7rocprim17ROCPRIM_400000_NS6detail17trampoline_kernelINS0_14default_configENS1_35radix_sort_onesweep_config_selectorIxNS0_10empty_typeEEEZZNS1_29radix_sort_onesweep_iterationIS3_Lb0EN6thrust23THRUST_200600_302600_NS6detail15normal_iteratorINS9_10device_ptrIxEEEESE_PS5_SF_jNS0_19identity_decomposerENS1_16block_id_wrapperIjLb0EEEEE10hipError_tT1_PNSt15iterator_traitsISK_E10value_typeET2_T3_PNSL_ISQ_E10value_typeET4_T5_PSV_SW_PNS1_23onesweep_lookback_stateEbbT6_jjT7_P12ihipStream_tbENKUlT_T0_SK_SP_E_clISE_PxSF_SF_EEDaS13_S14_SK_SP_EUlS13_E_NS1_11comp_targetILNS1_3genE3ELNS1_11target_archE908ELNS1_3gpuE7ELNS1_3repE0EEENS1_47radix_sort_onesweep_sort_config_static_selectorELNS0_4arch9wavefront6targetE1EEEvSK_
    .private_segment_fixed_size: 0
    .sgpr_count:     4
    .sgpr_spill_count: 0
    .symbol:         _ZN7rocprim17ROCPRIM_400000_NS6detail17trampoline_kernelINS0_14default_configENS1_35radix_sort_onesweep_config_selectorIxNS0_10empty_typeEEEZZNS1_29radix_sort_onesweep_iterationIS3_Lb0EN6thrust23THRUST_200600_302600_NS6detail15normal_iteratorINS9_10device_ptrIxEEEESE_PS5_SF_jNS0_19identity_decomposerENS1_16block_id_wrapperIjLb0EEEEE10hipError_tT1_PNSt15iterator_traitsISK_E10value_typeET2_T3_PNSL_ISQ_E10value_typeET4_T5_PSV_SW_PNS1_23onesweep_lookback_stateEbbT6_jjT7_P12ihipStream_tbENKUlT_T0_SK_SP_E_clISE_PxSF_SF_EEDaS13_S14_SK_SP_EUlS13_E_NS1_11comp_targetILNS1_3genE3ELNS1_11target_archE908ELNS1_3gpuE7ELNS1_3repE0EEENS1_47radix_sort_onesweep_sort_config_static_selectorELNS0_4arch9wavefront6targetE1EEEvSK_.kd
    .uniform_work_group_size: 1
    .uses_dynamic_stack: false
    .vgpr_count:     0
    .vgpr_spill_count: 0
    .wavefront_size: 64
  - .agpr_count:     0
    .args:
      - .offset:         0
        .size:           88
        .value_kind:     by_value
    .group_segment_fixed_size: 0
    .kernarg_segment_align: 8
    .kernarg_segment_size: 88
    .language:       OpenCL C
    .language_version:
      - 2
      - 0
    .max_flat_workgroup_size: 512
    .name:           _ZN7rocprim17ROCPRIM_400000_NS6detail17trampoline_kernelINS0_14default_configENS1_35radix_sort_onesweep_config_selectorIxNS0_10empty_typeEEEZZNS1_29radix_sort_onesweep_iterationIS3_Lb0EN6thrust23THRUST_200600_302600_NS6detail15normal_iteratorINS9_10device_ptrIxEEEESE_PS5_SF_jNS0_19identity_decomposerENS1_16block_id_wrapperIjLb0EEEEE10hipError_tT1_PNSt15iterator_traitsISK_E10value_typeET2_T3_PNSL_ISQ_E10value_typeET4_T5_PSV_SW_PNS1_23onesweep_lookback_stateEbbT6_jjT7_P12ihipStream_tbENKUlT_T0_SK_SP_E_clISE_PxSF_SF_EEDaS13_S14_SK_SP_EUlS13_E_NS1_11comp_targetILNS1_3genE10ELNS1_11target_archE1201ELNS1_3gpuE5ELNS1_3repE0EEENS1_47radix_sort_onesweep_sort_config_static_selectorELNS0_4arch9wavefront6targetE1EEEvSK_
    .private_segment_fixed_size: 0
    .sgpr_count:     4
    .sgpr_spill_count: 0
    .symbol:         _ZN7rocprim17ROCPRIM_400000_NS6detail17trampoline_kernelINS0_14default_configENS1_35radix_sort_onesweep_config_selectorIxNS0_10empty_typeEEEZZNS1_29radix_sort_onesweep_iterationIS3_Lb0EN6thrust23THRUST_200600_302600_NS6detail15normal_iteratorINS9_10device_ptrIxEEEESE_PS5_SF_jNS0_19identity_decomposerENS1_16block_id_wrapperIjLb0EEEEE10hipError_tT1_PNSt15iterator_traitsISK_E10value_typeET2_T3_PNSL_ISQ_E10value_typeET4_T5_PSV_SW_PNS1_23onesweep_lookback_stateEbbT6_jjT7_P12ihipStream_tbENKUlT_T0_SK_SP_E_clISE_PxSF_SF_EEDaS13_S14_SK_SP_EUlS13_E_NS1_11comp_targetILNS1_3genE10ELNS1_11target_archE1201ELNS1_3gpuE5ELNS1_3repE0EEENS1_47radix_sort_onesweep_sort_config_static_selectorELNS0_4arch9wavefront6targetE1EEEvSK_.kd
    .uniform_work_group_size: 1
    .uses_dynamic_stack: false
    .vgpr_count:     0
    .vgpr_spill_count: 0
    .wavefront_size: 64
  - .agpr_count:     0
    .args:
      - .offset:         0
        .size:           88
        .value_kind:     by_value
    .group_segment_fixed_size: 0
    .kernarg_segment_align: 8
    .kernarg_segment_size: 88
    .language:       OpenCL C
    .language_version:
      - 2
      - 0
    .max_flat_workgroup_size: 1024
    .name:           _ZN7rocprim17ROCPRIM_400000_NS6detail17trampoline_kernelINS0_14default_configENS1_35radix_sort_onesweep_config_selectorIxNS0_10empty_typeEEEZZNS1_29radix_sort_onesweep_iterationIS3_Lb0EN6thrust23THRUST_200600_302600_NS6detail15normal_iteratorINS9_10device_ptrIxEEEESE_PS5_SF_jNS0_19identity_decomposerENS1_16block_id_wrapperIjLb0EEEEE10hipError_tT1_PNSt15iterator_traitsISK_E10value_typeET2_T3_PNSL_ISQ_E10value_typeET4_T5_PSV_SW_PNS1_23onesweep_lookback_stateEbbT6_jjT7_P12ihipStream_tbENKUlT_T0_SK_SP_E_clISE_PxSF_SF_EEDaS13_S14_SK_SP_EUlS13_E_NS1_11comp_targetILNS1_3genE9ELNS1_11target_archE1100ELNS1_3gpuE3ELNS1_3repE0EEENS1_47radix_sort_onesweep_sort_config_static_selectorELNS0_4arch9wavefront6targetE1EEEvSK_
    .private_segment_fixed_size: 0
    .sgpr_count:     4
    .sgpr_spill_count: 0
    .symbol:         _ZN7rocprim17ROCPRIM_400000_NS6detail17trampoline_kernelINS0_14default_configENS1_35radix_sort_onesweep_config_selectorIxNS0_10empty_typeEEEZZNS1_29radix_sort_onesweep_iterationIS3_Lb0EN6thrust23THRUST_200600_302600_NS6detail15normal_iteratorINS9_10device_ptrIxEEEESE_PS5_SF_jNS0_19identity_decomposerENS1_16block_id_wrapperIjLb0EEEEE10hipError_tT1_PNSt15iterator_traitsISK_E10value_typeET2_T3_PNSL_ISQ_E10value_typeET4_T5_PSV_SW_PNS1_23onesweep_lookback_stateEbbT6_jjT7_P12ihipStream_tbENKUlT_T0_SK_SP_E_clISE_PxSF_SF_EEDaS13_S14_SK_SP_EUlS13_E_NS1_11comp_targetILNS1_3genE9ELNS1_11target_archE1100ELNS1_3gpuE3ELNS1_3repE0EEENS1_47radix_sort_onesweep_sort_config_static_selectorELNS0_4arch9wavefront6targetE1EEEvSK_.kd
    .uniform_work_group_size: 1
    .uses_dynamic_stack: false
    .vgpr_count:     0
    .vgpr_spill_count: 0
    .wavefront_size: 64
  - .agpr_count:     0
    .args:
      - .offset:         0
        .size:           88
        .value_kind:     by_value
    .group_segment_fixed_size: 0
    .kernarg_segment_align: 8
    .kernarg_segment_size: 88
    .language:       OpenCL C
    .language_version:
      - 2
      - 0
    .max_flat_workgroup_size: 1024
    .name:           _ZN7rocprim17ROCPRIM_400000_NS6detail17trampoline_kernelINS0_14default_configENS1_35radix_sort_onesweep_config_selectorIxNS0_10empty_typeEEEZZNS1_29radix_sort_onesweep_iterationIS3_Lb0EN6thrust23THRUST_200600_302600_NS6detail15normal_iteratorINS9_10device_ptrIxEEEESE_PS5_SF_jNS0_19identity_decomposerENS1_16block_id_wrapperIjLb0EEEEE10hipError_tT1_PNSt15iterator_traitsISK_E10value_typeET2_T3_PNSL_ISQ_E10value_typeET4_T5_PSV_SW_PNS1_23onesweep_lookback_stateEbbT6_jjT7_P12ihipStream_tbENKUlT_T0_SK_SP_E_clISE_PxSF_SF_EEDaS13_S14_SK_SP_EUlS13_E_NS1_11comp_targetILNS1_3genE8ELNS1_11target_archE1030ELNS1_3gpuE2ELNS1_3repE0EEENS1_47radix_sort_onesweep_sort_config_static_selectorELNS0_4arch9wavefront6targetE1EEEvSK_
    .private_segment_fixed_size: 0
    .sgpr_count:     4
    .sgpr_spill_count: 0
    .symbol:         _ZN7rocprim17ROCPRIM_400000_NS6detail17trampoline_kernelINS0_14default_configENS1_35radix_sort_onesweep_config_selectorIxNS0_10empty_typeEEEZZNS1_29radix_sort_onesweep_iterationIS3_Lb0EN6thrust23THRUST_200600_302600_NS6detail15normal_iteratorINS9_10device_ptrIxEEEESE_PS5_SF_jNS0_19identity_decomposerENS1_16block_id_wrapperIjLb0EEEEE10hipError_tT1_PNSt15iterator_traitsISK_E10value_typeET2_T3_PNSL_ISQ_E10value_typeET4_T5_PSV_SW_PNS1_23onesweep_lookback_stateEbbT6_jjT7_P12ihipStream_tbENKUlT_T0_SK_SP_E_clISE_PxSF_SF_EEDaS13_S14_SK_SP_EUlS13_E_NS1_11comp_targetILNS1_3genE8ELNS1_11target_archE1030ELNS1_3gpuE2ELNS1_3repE0EEENS1_47radix_sort_onesweep_sort_config_static_selectorELNS0_4arch9wavefront6targetE1EEEvSK_.kd
    .uniform_work_group_size: 1
    .uses_dynamic_stack: false
    .vgpr_count:     0
    .vgpr_spill_count: 0
    .wavefront_size: 64
  - .agpr_count:     0
    .args:
      - .offset:         0
        .size:           88
        .value_kind:     by_value
    .group_segment_fixed_size: 0
    .kernarg_segment_align: 8
    .kernarg_segment_size: 88
    .language:       OpenCL C
    .language_version:
      - 2
      - 0
    .max_flat_workgroup_size: 512
    .name:           _ZN7rocprim17ROCPRIM_400000_NS6detail17trampoline_kernelINS0_14default_configENS1_35radix_sort_onesweep_config_selectorIxNS0_10empty_typeEEEZZNS1_29radix_sort_onesweep_iterationIS3_Lb0EN6thrust23THRUST_200600_302600_NS6detail15normal_iteratorINS9_10device_ptrIxEEEESE_PS5_SF_jNS0_19identity_decomposerENS1_16block_id_wrapperIjLb0EEEEE10hipError_tT1_PNSt15iterator_traitsISK_E10value_typeET2_T3_PNSL_ISQ_E10value_typeET4_T5_PSV_SW_PNS1_23onesweep_lookback_stateEbbT6_jjT7_P12ihipStream_tbENKUlT_T0_SK_SP_E_clIPxSE_SF_SF_EEDaS13_S14_SK_SP_EUlS13_E_NS1_11comp_targetILNS1_3genE0ELNS1_11target_archE4294967295ELNS1_3gpuE0ELNS1_3repE0EEENS1_47radix_sort_onesweep_sort_config_static_selectorELNS0_4arch9wavefront6targetE1EEEvSK_
    .private_segment_fixed_size: 0
    .sgpr_count:     4
    .sgpr_spill_count: 0
    .symbol:         _ZN7rocprim17ROCPRIM_400000_NS6detail17trampoline_kernelINS0_14default_configENS1_35radix_sort_onesweep_config_selectorIxNS0_10empty_typeEEEZZNS1_29radix_sort_onesweep_iterationIS3_Lb0EN6thrust23THRUST_200600_302600_NS6detail15normal_iteratorINS9_10device_ptrIxEEEESE_PS5_SF_jNS0_19identity_decomposerENS1_16block_id_wrapperIjLb0EEEEE10hipError_tT1_PNSt15iterator_traitsISK_E10value_typeET2_T3_PNSL_ISQ_E10value_typeET4_T5_PSV_SW_PNS1_23onesweep_lookback_stateEbbT6_jjT7_P12ihipStream_tbENKUlT_T0_SK_SP_E_clIPxSE_SF_SF_EEDaS13_S14_SK_SP_EUlS13_E_NS1_11comp_targetILNS1_3genE0ELNS1_11target_archE4294967295ELNS1_3gpuE0ELNS1_3repE0EEENS1_47radix_sort_onesweep_sort_config_static_selectorELNS0_4arch9wavefront6targetE1EEEvSK_.kd
    .uniform_work_group_size: 1
    .uses_dynamic_stack: false
    .vgpr_count:     0
    .vgpr_spill_count: 0
    .wavefront_size: 64
  - .agpr_count:     0
    .args:
      - .offset:         0
        .size:           88
        .value_kind:     by_value
    .group_segment_fixed_size: 0
    .kernarg_segment_align: 8
    .kernarg_segment_size: 88
    .language:       OpenCL C
    .language_version:
      - 2
      - 0
    .max_flat_workgroup_size: 512
    .name:           _ZN7rocprim17ROCPRIM_400000_NS6detail17trampoline_kernelINS0_14default_configENS1_35radix_sort_onesweep_config_selectorIxNS0_10empty_typeEEEZZNS1_29radix_sort_onesweep_iterationIS3_Lb0EN6thrust23THRUST_200600_302600_NS6detail15normal_iteratorINS9_10device_ptrIxEEEESE_PS5_SF_jNS0_19identity_decomposerENS1_16block_id_wrapperIjLb0EEEEE10hipError_tT1_PNSt15iterator_traitsISK_E10value_typeET2_T3_PNSL_ISQ_E10value_typeET4_T5_PSV_SW_PNS1_23onesweep_lookback_stateEbbT6_jjT7_P12ihipStream_tbENKUlT_T0_SK_SP_E_clIPxSE_SF_SF_EEDaS13_S14_SK_SP_EUlS13_E_NS1_11comp_targetILNS1_3genE6ELNS1_11target_archE950ELNS1_3gpuE13ELNS1_3repE0EEENS1_47radix_sort_onesweep_sort_config_static_selectorELNS0_4arch9wavefront6targetE1EEEvSK_
    .private_segment_fixed_size: 0
    .sgpr_count:     4
    .sgpr_spill_count: 0
    .symbol:         _ZN7rocprim17ROCPRIM_400000_NS6detail17trampoline_kernelINS0_14default_configENS1_35radix_sort_onesweep_config_selectorIxNS0_10empty_typeEEEZZNS1_29radix_sort_onesweep_iterationIS3_Lb0EN6thrust23THRUST_200600_302600_NS6detail15normal_iteratorINS9_10device_ptrIxEEEESE_PS5_SF_jNS0_19identity_decomposerENS1_16block_id_wrapperIjLb0EEEEE10hipError_tT1_PNSt15iterator_traitsISK_E10value_typeET2_T3_PNSL_ISQ_E10value_typeET4_T5_PSV_SW_PNS1_23onesweep_lookback_stateEbbT6_jjT7_P12ihipStream_tbENKUlT_T0_SK_SP_E_clIPxSE_SF_SF_EEDaS13_S14_SK_SP_EUlS13_E_NS1_11comp_targetILNS1_3genE6ELNS1_11target_archE950ELNS1_3gpuE13ELNS1_3repE0EEENS1_47radix_sort_onesweep_sort_config_static_selectorELNS0_4arch9wavefront6targetE1EEEvSK_.kd
    .uniform_work_group_size: 1
    .uses_dynamic_stack: false
    .vgpr_count:     0
    .vgpr_spill_count: 0
    .wavefront_size: 64
  - .agpr_count:     0
    .args:
      - .offset:         0
        .size:           88
        .value_kind:     by_value
    .group_segment_fixed_size: 0
    .kernarg_segment_align: 8
    .kernarg_segment_size: 88
    .language:       OpenCL C
    .language_version:
      - 2
      - 0
    .max_flat_workgroup_size: 512
    .name:           _ZN7rocprim17ROCPRIM_400000_NS6detail17trampoline_kernelINS0_14default_configENS1_35radix_sort_onesweep_config_selectorIxNS0_10empty_typeEEEZZNS1_29radix_sort_onesweep_iterationIS3_Lb0EN6thrust23THRUST_200600_302600_NS6detail15normal_iteratorINS9_10device_ptrIxEEEESE_PS5_SF_jNS0_19identity_decomposerENS1_16block_id_wrapperIjLb0EEEEE10hipError_tT1_PNSt15iterator_traitsISK_E10value_typeET2_T3_PNSL_ISQ_E10value_typeET4_T5_PSV_SW_PNS1_23onesweep_lookback_stateEbbT6_jjT7_P12ihipStream_tbENKUlT_T0_SK_SP_E_clIPxSE_SF_SF_EEDaS13_S14_SK_SP_EUlS13_E_NS1_11comp_targetILNS1_3genE5ELNS1_11target_archE942ELNS1_3gpuE9ELNS1_3repE0EEENS1_47radix_sort_onesweep_sort_config_static_selectorELNS0_4arch9wavefront6targetE1EEEvSK_
    .private_segment_fixed_size: 0
    .sgpr_count:     4
    .sgpr_spill_count: 0
    .symbol:         _ZN7rocprim17ROCPRIM_400000_NS6detail17trampoline_kernelINS0_14default_configENS1_35radix_sort_onesweep_config_selectorIxNS0_10empty_typeEEEZZNS1_29radix_sort_onesweep_iterationIS3_Lb0EN6thrust23THRUST_200600_302600_NS6detail15normal_iteratorINS9_10device_ptrIxEEEESE_PS5_SF_jNS0_19identity_decomposerENS1_16block_id_wrapperIjLb0EEEEE10hipError_tT1_PNSt15iterator_traitsISK_E10value_typeET2_T3_PNSL_ISQ_E10value_typeET4_T5_PSV_SW_PNS1_23onesweep_lookback_stateEbbT6_jjT7_P12ihipStream_tbENKUlT_T0_SK_SP_E_clIPxSE_SF_SF_EEDaS13_S14_SK_SP_EUlS13_E_NS1_11comp_targetILNS1_3genE5ELNS1_11target_archE942ELNS1_3gpuE9ELNS1_3repE0EEENS1_47radix_sort_onesweep_sort_config_static_selectorELNS0_4arch9wavefront6targetE1EEEvSK_.kd
    .uniform_work_group_size: 1
    .uses_dynamic_stack: false
    .vgpr_count:     0
    .vgpr_spill_count: 0
    .wavefront_size: 64
  - .agpr_count:     0
    .args:
      - .offset:         0
        .size:           88
        .value_kind:     by_value
    .group_segment_fixed_size: 0
    .kernarg_segment_align: 8
    .kernarg_segment_size: 88
    .language:       OpenCL C
    .language_version:
      - 2
      - 0
    .max_flat_workgroup_size: 512
    .name:           _ZN7rocprim17ROCPRIM_400000_NS6detail17trampoline_kernelINS0_14default_configENS1_35radix_sort_onesweep_config_selectorIxNS0_10empty_typeEEEZZNS1_29radix_sort_onesweep_iterationIS3_Lb0EN6thrust23THRUST_200600_302600_NS6detail15normal_iteratorINS9_10device_ptrIxEEEESE_PS5_SF_jNS0_19identity_decomposerENS1_16block_id_wrapperIjLb0EEEEE10hipError_tT1_PNSt15iterator_traitsISK_E10value_typeET2_T3_PNSL_ISQ_E10value_typeET4_T5_PSV_SW_PNS1_23onesweep_lookback_stateEbbT6_jjT7_P12ihipStream_tbENKUlT_T0_SK_SP_E_clIPxSE_SF_SF_EEDaS13_S14_SK_SP_EUlS13_E_NS1_11comp_targetILNS1_3genE2ELNS1_11target_archE906ELNS1_3gpuE6ELNS1_3repE0EEENS1_47radix_sort_onesweep_sort_config_static_selectorELNS0_4arch9wavefront6targetE1EEEvSK_
    .private_segment_fixed_size: 0
    .sgpr_count:     4
    .sgpr_spill_count: 0
    .symbol:         _ZN7rocprim17ROCPRIM_400000_NS6detail17trampoline_kernelINS0_14default_configENS1_35radix_sort_onesweep_config_selectorIxNS0_10empty_typeEEEZZNS1_29radix_sort_onesweep_iterationIS3_Lb0EN6thrust23THRUST_200600_302600_NS6detail15normal_iteratorINS9_10device_ptrIxEEEESE_PS5_SF_jNS0_19identity_decomposerENS1_16block_id_wrapperIjLb0EEEEE10hipError_tT1_PNSt15iterator_traitsISK_E10value_typeET2_T3_PNSL_ISQ_E10value_typeET4_T5_PSV_SW_PNS1_23onesweep_lookback_stateEbbT6_jjT7_P12ihipStream_tbENKUlT_T0_SK_SP_E_clIPxSE_SF_SF_EEDaS13_S14_SK_SP_EUlS13_E_NS1_11comp_targetILNS1_3genE2ELNS1_11target_archE906ELNS1_3gpuE6ELNS1_3repE0EEENS1_47radix_sort_onesweep_sort_config_static_selectorELNS0_4arch9wavefront6targetE1EEEvSK_.kd
    .uniform_work_group_size: 1
    .uses_dynamic_stack: false
    .vgpr_count:     0
    .vgpr_spill_count: 0
    .wavefront_size: 64
  - .agpr_count:     0
    .args:
      - .offset:         0
        .size:           88
        .value_kind:     by_value
      - .offset:         88
        .size:           4
        .value_kind:     hidden_block_count_x
      - .offset:         92
        .size:           4
        .value_kind:     hidden_block_count_y
      - .offset:         96
        .size:           4
        .value_kind:     hidden_block_count_z
      - .offset:         100
        .size:           2
        .value_kind:     hidden_group_size_x
      - .offset:         102
        .size:           2
        .value_kind:     hidden_group_size_y
      - .offset:         104
        .size:           2
        .value_kind:     hidden_group_size_z
      - .offset:         106
        .size:           2
        .value_kind:     hidden_remainder_x
      - .offset:         108
        .size:           2
        .value_kind:     hidden_remainder_y
      - .offset:         110
        .size:           2
        .value_kind:     hidden_remainder_z
      - .offset:         128
        .size:           8
        .value_kind:     hidden_global_offset_x
      - .offset:         136
        .size:           8
        .value_kind:     hidden_global_offset_y
      - .offset:         144
        .size:           8
        .value_kind:     hidden_global_offset_z
      - .offset:         152
        .size:           2
        .value_kind:     hidden_grid_dims
    .group_segment_fixed_size: 20552
    .kernarg_segment_align: 8
    .kernarg_segment_size: 344
    .language:       OpenCL C
    .language_version:
      - 2
      - 0
    .max_flat_workgroup_size: 1024
    .name:           _ZN7rocprim17ROCPRIM_400000_NS6detail17trampoline_kernelINS0_14default_configENS1_35radix_sort_onesweep_config_selectorIxNS0_10empty_typeEEEZZNS1_29radix_sort_onesweep_iterationIS3_Lb0EN6thrust23THRUST_200600_302600_NS6detail15normal_iteratorINS9_10device_ptrIxEEEESE_PS5_SF_jNS0_19identity_decomposerENS1_16block_id_wrapperIjLb0EEEEE10hipError_tT1_PNSt15iterator_traitsISK_E10value_typeET2_T3_PNSL_ISQ_E10value_typeET4_T5_PSV_SW_PNS1_23onesweep_lookback_stateEbbT6_jjT7_P12ihipStream_tbENKUlT_T0_SK_SP_E_clIPxSE_SF_SF_EEDaS13_S14_SK_SP_EUlS13_E_NS1_11comp_targetILNS1_3genE4ELNS1_11target_archE910ELNS1_3gpuE8ELNS1_3repE0EEENS1_47radix_sort_onesweep_sort_config_static_selectorELNS0_4arch9wavefront6targetE1EEEvSK_
    .private_segment_fixed_size: 0
    .sgpr_count:     34
    .sgpr_spill_count: 0
    .symbol:         _ZN7rocprim17ROCPRIM_400000_NS6detail17trampoline_kernelINS0_14default_configENS1_35radix_sort_onesweep_config_selectorIxNS0_10empty_typeEEEZZNS1_29radix_sort_onesweep_iterationIS3_Lb0EN6thrust23THRUST_200600_302600_NS6detail15normal_iteratorINS9_10device_ptrIxEEEESE_PS5_SF_jNS0_19identity_decomposerENS1_16block_id_wrapperIjLb0EEEEE10hipError_tT1_PNSt15iterator_traitsISK_E10value_typeET2_T3_PNSL_ISQ_E10value_typeET4_T5_PSV_SW_PNS1_23onesweep_lookback_stateEbbT6_jjT7_P12ihipStream_tbENKUlT_T0_SK_SP_E_clIPxSE_SF_SF_EEDaS13_S14_SK_SP_EUlS13_E_NS1_11comp_targetILNS1_3genE4ELNS1_11target_archE910ELNS1_3gpuE8ELNS1_3repE0EEENS1_47radix_sort_onesweep_sort_config_static_selectorELNS0_4arch9wavefront6targetE1EEEvSK_.kd
    .uniform_work_group_size: 1
    .uses_dynamic_stack: false
    .vgpr_count:     55
    .vgpr_spill_count: 0
    .wavefront_size: 64
  - .agpr_count:     0
    .args:
      - .offset:         0
        .size:           88
        .value_kind:     by_value
    .group_segment_fixed_size: 0
    .kernarg_segment_align: 8
    .kernarg_segment_size: 88
    .language:       OpenCL C
    .language_version:
      - 2
      - 0
    .max_flat_workgroup_size: 512
    .name:           _ZN7rocprim17ROCPRIM_400000_NS6detail17trampoline_kernelINS0_14default_configENS1_35radix_sort_onesweep_config_selectorIxNS0_10empty_typeEEEZZNS1_29radix_sort_onesweep_iterationIS3_Lb0EN6thrust23THRUST_200600_302600_NS6detail15normal_iteratorINS9_10device_ptrIxEEEESE_PS5_SF_jNS0_19identity_decomposerENS1_16block_id_wrapperIjLb0EEEEE10hipError_tT1_PNSt15iterator_traitsISK_E10value_typeET2_T3_PNSL_ISQ_E10value_typeET4_T5_PSV_SW_PNS1_23onesweep_lookback_stateEbbT6_jjT7_P12ihipStream_tbENKUlT_T0_SK_SP_E_clIPxSE_SF_SF_EEDaS13_S14_SK_SP_EUlS13_E_NS1_11comp_targetILNS1_3genE3ELNS1_11target_archE908ELNS1_3gpuE7ELNS1_3repE0EEENS1_47radix_sort_onesweep_sort_config_static_selectorELNS0_4arch9wavefront6targetE1EEEvSK_
    .private_segment_fixed_size: 0
    .sgpr_count:     4
    .sgpr_spill_count: 0
    .symbol:         _ZN7rocprim17ROCPRIM_400000_NS6detail17trampoline_kernelINS0_14default_configENS1_35radix_sort_onesweep_config_selectorIxNS0_10empty_typeEEEZZNS1_29radix_sort_onesweep_iterationIS3_Lb0EN6thrust23THRUST_200600_302600_NS6detail15normal_iteratorINS9_10device_ptrIxEEEESE_PS5_SF_jNS0_19identity_decomposerENS1_16block_id_wrapperIjLb0EEEEE10hipError_tT1_PNSt15iterator_traitsISK_E10value_typeET2_T3_PNSL_ISQ_E10value_typeET4_T5_PSV_SW_PNS1_23onesweep_lookback_stateEbbT6_jjT7_P12ihipStream_tbENKUlT_T0_SK_SP_E_clIPxSE_SF_SF_EEDaS13_S14_SK_SP_EUlS13_E_NS1_11comp_targetILNS1_3genE3ELNS1_11target_archE908ELNS1_3gpuE7ELNS1_3repE0EEENS1_47radix_sort_onesweep_sort_config_static_selectorELNS0_4arch9wavefront6targetE1EEEvSK_.kd
    .uniform_work_group_size: 1
    .uses_dynamic_stack: false
    .vgpr_count:     0
    .vgpr_spill_count: 0
    .wavefront_size: 64
  - .agpr_count:     0
    .args:
      - .offset:         0
        .size:           88
        .value_kind:     by_value
    .group_segment_fixed_size: 0
    .kernarg_segment_align: 8
    .kernarg_segment_size: 88
    .language:       OpenCL C
    .language_version:
      - 2
      - 0
    .max_flat_workgroup_size: 512
    .name:           _ZN7rocprim17ROCPRIM_400000_NS6detail17trampoline_kernelINS0_14default_configENS1_35radix_sort_onesweep_config_selectorIxNS0_10empty_typeEEEZZNS1_29radix_sort_onesweep_iterationIS3_Lb0EN6thrust23THRUST_200600_302600_NS6detail15normal_iteratorINS9_10device_ptrIxEEEESE_PS5_SF_jNS0_19identity_decomposerENS1_16block_id_wrapperIjLb0EEEEE10hipError_tT1_PNSt15iterator_traitsISK_E10value_typeET2_T3_PNSL_ISQ_E10value_typeET4_T5_PSV_SW_PNS1_23onesweep_lookback_stateEbbT6_jjT7_P12ihipStream_tbENKUlT_T0_SK_SP_E_clIPxSE_SF_SF_EEDaS13_S14_SK_SP_EUlS13_E_NS1_11comp_targetILNS1_3genE10ELNS1_11target_archE1201ELNS1_3gpuE5ELNS1_3repE0EEENS1_47radix_sort_onesweep_sort_config_static_selectorELNS0_4arch9wavefront6targetE1EEEvSK_
    .private_segment_fixed_size: 0
    .sgpr_count:     4
    .sgpr_spill_count: 0
    .symbol:         _ZN7rocprim17ROCPRIM_400000_NS6detail17trampoline_kernelINS0_14default_configENS1_35radix_sort_onesweep_config_selectorIxNS0_10empty_typeEEEZZNS1_29radix_sort_onesweep_iterationIS3_Lb0EN6thrust23THRUST_200600_302600_NS6detail15normal_iteratorINS9_10device_ptrIxEEEESE_PS5_SF_jNS0_19identity_decomposerENS1_16block_id_wrapperIjLb0EEEEE10hipError_tT1_PNSt15iterator_traitsISK_E10value_typeET2_T3_PNSL_ISQ_E10value_typeET4_T5_PSV_SW_PNS1_23onesweep_lookback_stateEbbT6_jjT7_P12ihipStream_tbENKUlT_T0_SK_SP_E_clIPxSE_SF_SF_EEDaS13_S14_SK_SP_EUlS13_E_NS1_11comp_targetILNS1_3genE10ELNS1_11target_archE1201ELNS1_3gpuE5ELNS1_3repE0EEENS1_47radix_sort_onesweep_sort_config_static_selectorELNS0_4arch9wavefront6targetE1EEEvSK_.kd
    .uniform_work_group_size: 1
    .uses_dynamic_stack: false
    .vgpr_count:     0
    .vgpr_spill_count: 0
    .wavefront_size: 64
  - .agpr_count:     0
    .args:
      - .offset:         0
        .size:           88
        .value_kind:     by_value
    .group_segment_fixed_size: 0
    .kernarg_segment_align: 8
    .kernarg_segment_size: 88
    .language:       OpenCL C
    .language_version:
      - 2
      - 0
    .max_flat_workgroup_size: 1024
    .name:           _ZN7rocprim17ROCPRIM_400000_NS6detail17trampoline_kernelINS0_14default_configENS1_35radix_sort_onesweep_config_selectorIxNS0_10empty_typeEEEZZNS1_29radix_sort_onesweep_iterationIS3_Lb0EN6thrust23THRUST_200600_302600_NS6detail15normal_iteratorINS9_10device_ptrIxEEEESE_PS5_SF_jNS0_19identity_decomposerENS1_16block_id_wrapperIjLb0EEEEE10hipError_tT1_PNSt15iterator_traitsISK_E10value_typeET2_T3_PNSL_ISQ_E10value_typeET4_T5_PSV_SW_PNS1_23onesweep_lookback_stateEbbT6_jjT7_P12ihipStream_tbENKUlT_T0_SK_SP_E_clIPxSE_SF_SF_EEDaS13_S14_SK_SP_EUlS13_E_NS1_11comp_targetILNS1_3genE9ELNS1_11target_archE1100ELNS1_3gpuE3ELNS1_3repE0EEENS1_47radix_sort_onesweep_sort_config_static_selectorELNS0_4arch9wavefront6targetE1EEEvSK_
    .private_segment_fixed_size: 0
    .sgpr_count:     4
    .sgpr_spill_count: 0
    .symbol:         _ZN7rocprim17ROCPRIM_400000_NS6detail17trampoline_kernelINS0_14default_configENS1_35radix_sort_onesweep_config_selectorIxNS0_10empty_typeEEEZZNS1_29radix_sort_onesweep_iterationIS3_Lb0EN6thrust23THRUST_200600_302600_NS6detail15normal_iteratorINS9_10device_ptrIxEEEESE_PS5_SF_jNS0_19identity_decomposerENS1_16block_id_wrapperIjLb0EEEEE10hipError_tT1_PNSt15iterator_traitsISK_E10value_typeET2_T3_PNSL_ISQ_E10value_typeET4_T5_PSV_SW_PNS1_23onesweep_lookback_stateEbbT6_jjT7_P12ihipStream_tbENKUlT_T0_SK_SP_E_clIPxSE_SF_SF_EEDaS13_S14_SK_SP_EUlS13_E_NS1_11comp_targetILNS1_3genE9ELNS1_11target_archE1100ELNS1_3gpuE3ELNS1_3repE0EEENS1_47radix_sort_onesweep_sort_config_static_selectorELNS0_4arch9wavefront6targetE1EEEvSK_.kd
    .uniform_work_group_size: 1
    .uses_dynamic_stack: false
    .vgpr_count:     0
    .vgpr_spill_count: 0
    .wavefront_size: 64
  - .agpr_count:     0
    .args:
      - .offset:         0
        .size:           88
        .value_kind:     by_value
    .group_segment_fixed_size: 0
    .kernarg_segment_align: 8
    .kernarg_segment_size: 88
    .language:       OpenCL C
    .language_version:
      - 2
      - 0
    .max_flat_workgroup_size: 1024
    .name:           _ZN7rocprim17ROCPRIM_400000_NS6detail17trampoline_kernelINS0_14default_configENS1_35radix_sort_onesweep_config_selectorIxNS0_10empty_typeEEEZZNS1_29radix_sort_onesweep_iterationIS3_Lb0EN6thrust23THRUST_200600_302600_NS6detail15normal_iteratorINS9_10device_ptrIxEEEESE_PS5_SF_jNS0_19identity_decomposerENS1_16block_id_wrapperIjLb0EEEEE10hipError_tT1_PNSt15iterator_traitsISK_E10value_typeET2_T3_PNSL_ISQ_E10value_typeET4_T5_PSV_SW_PNS1_23onesweep_lookback_stateEbbT6_jjT7_P12ihipStream_tbENKUlT_T0_SK_SP_E_clIPxSE_SF_SF_EEDaS13_S14_SK_SP_EUlS13_E_NS1_11comp_targetILNS1_3genE8ELNS1_11target_archE1030ELNS1_3gpuE2ELNS1_3repE0EEENS1_47radix_sort_onesweep_sort_config_static_selectorELNS0_4arch9wavefront6targetE1EEEvSK_
    .private_segment_fixed_size: 0
    .sgpr_count:     4
    .sgpr_spill_count: 0
    .symbol:         _ZN7rocprim17ROCPRIM_400000_NS6detail17trampoline_kernelINS0_14default_configENS1_35radix_sort_onesweep_config_selectorIxNS0_10empty_typeEEEZZNS1_29radix_sort_onesweep_iterationIS3_Lb0EN6thrust23THRUST_200600_302600_NS6detail15normal_iteratorINS9_10device_ptrIxEEEESE_PS5_SF_jNS0_19identity_decomposerENS1_16block_id_wrapperIjLb0EEEEE10hipError_tT1_PNSt15iterator_traitsISK_E10value_typeET2_T3_PNSL_ISQ_E10value_typeET4_T5_PSV_SW_PNS1_23onesweep_lookback_stateEbbT6_jjT7_P12ihipStream_tbENKUlT_T0_SK_SP_E_clIPxSE_SF_SF_EEDaS13_S14_SK_SP_EUlS13_E_NS1_11comp_targetILNS1_3genE8ELNS1_11target_archE1030ELNS1_3gpuE2ELNS1_3repE0EEENS1_47radix_sort_onesweep_sort_config_static_selectorELNS0_4arch9wavefront6targetE1EEEvSK_.kd
    .uniform_work_group_size: 1
    .uses_dynamic_stack: false
    .vgpr_count:     0
    .vgpr_spill_count: 0
    .wavefront_size: 64
  - .agpr_count:     0
    .args:
      - .offset:         0
        .size:           48
        .value_kind:     by_value
    .group_segment_fixed_size: 0
    .kernarg_segment_align: 8
    .kernarg_segment_size: 48
    .language:       OpenCL C
    .language_version:
      - 2
      - 0
    .max_flat_workgroup_size: 256
    .name:           _ZN7rocprim17ROCPRIM_400000_NS6detail17trampoline_kernelINS0_13kernel_configILj256ELj4ELj4294967295EEENS1_37radix_sort_block_sort_config_selectorIiNS0_10empty_typeEEEZNS1_21radix_sort_block_sortIS4_Lb0EN6thrust23THRUST_200600_302600_NS6detail15normal_iteratorINSA_10device_ptrIiEEEESF_PS6_SG_NS0_19identity_decomposerEEE10hipError_tT1_T2_T3_T4_jRjT5_jjP12ihipStream_tbEUlT_E_NS1_11comp_targetILNS1_3genE0ELNS1_11target_archE4294967295ELNS1_3gpuE0ELNS1_3repE0EEENS1_44radix_sort_block_sort_config_static_selectorELNS0_4arch9wavefront6targetE1EEEvSJ_
    .private_segment_fixed_size: 0
    .sgpr_count:     4
    .sgpr_spill_count: 0
    .symbol:         _ZN7rocprim17ROCPRIM_400000_NS6detail17trampoline_kernelINS0_13kernel_configILj256ELj4ELj4294967295EEENS1_37radix_sort_block_sort_config_selectorIiNS0_10empty_typeEEEZNS1_21radix_sort_block_sortIS4_Lb0EN6thrust23THRUST_200600_302600_NS6detail15normal_iteratorINSA_10device_ptrIiEEEESF_PS6_SG_NS0_19identity_decomposerEEE10hipError_tT1_T2_T3_T4_jRjT5_jjP12ihipStream_tbEUlT_E_NS1_11comp_targetILNS1_3genE0ELNS1_11target_archE4294967295ELNS1_3gpuE0ELNS1_3repE0EEENS1_44radix_sort_block_sort_config_static_selectorELNS0_4arch9wavefront6targetE1EEEvSJ_.kd
    .uniform_work_group_size: 1
    .uses_dynamic_stack: false
    .vgpr_count:     0
    .vgpr_spill_count: 0
    .wavefront_size: 64
  - .agpr_count:     0
    .args:
      - .offset:         0
        .size:           48
        .value_kind:     by_value
    .group_segment_fixed_size: 0
    .kernarg_segment_align: 8
    .kernarg_segment_size: 48
    .language:       OpenCL C
    .language_version:
      - 2
      - 0
    .max_flat_workgroup_size: 256
    .name:           _ZN7rocprim17ROCPRIM_400000_NS6detail17trampoline_kernelINS0_13kernel_configILj256ELj4ELj4294967295EEENS1_37radix_sort_block_sort_config_selectorIiNS0_10empty_typeEEEZNS1_21radix_sort_block_sortIS4_Lb0EN6thrust23THRUST_200600_302600_NS6detail15normal_iteratorINSA_10device_ptrIiEEEESF_PS6_SG_NS0_19identity_decomposerEEE10hipError_tT1_T2_T3_T4_jRjT5_jjP12ihipStream_tbEUlT_E_NS1_11comp_targetILNS1_3genE5ELNS1_11target_archE942ELNS1_3gpuE9ELNS1_3repE0EEENS1_44radix_sort_block_sort_config_static_selectorELNS0_4arch9wavefront6targetE1EEEvSJ_
    .private_segment_fixed_size: 0
    .sgpr_count:     4
    .sgpr_spill_count: 0
    .symbol:         _ZN7rocprim17ROCPRIM_400000_NS6detail17trampoline_kernelINS0_13kernel_configILj256ELj4ELj4294967295EEENS1_37radix_sort_block_sort_config_selectorIiNS0_10empty_typeEEEZNS1_21radix_sort_block_sortIS4_Lb0EN6thrust23THRUST_200600_302600_NS6detail15normal_iteratorINSA_10device_ptrIiEEEESF_PS6_SG_NS0_19identity_decomposerEEE10hipError_tT1_T2_T3_T4_jRjT5_jjP12ihipStream_tbEUlT_E_NS1_11comp_targetILNS1_3genE5ELNS1_11target_archE942ELNS1_3gpuE9ELNS1_3repE0EEENS1_44radix_sort_block_sort_config_static_selectorELNS0_4arch9wavefront6targetE1EEEvSJ_.kd
    .uniform_work_group_size: 1
    .uses_dynamic_stack: false
    .vgpr_count:     0
    .vgpr_spill_count: 0
    .wavefront_size: 64
  - .agpr_count:     0
    .args:
      - .offset:         0
        .size:           48
        .value_kind:     by_value
      - .offset:         48
        .size:           4
        .value_kind:     hidden_block_count_x
      - .offset:         52
        .size:           4
        .value_kind:     hidden_block_count_y
      - .offset:         56
        .size:           4
        .value_kind:     hidden_block_count_z
      - .offset:         60
        .size:           2
        .value_kind:     hidden_group_size_x
      - .offset:         62
        .size:           2
        .value_kind:     hidden_group_size_y
      - .offset:         64
        .size:           2
        .value_kind:     hidden_group_size_z
      - .offset:         66
        .size:           2
        .value_kind:     hidden_remainder_x
      - .offset:         68
        .size:           2
        .value_kind:     hidden_remainder_y
      - .offset:         70
        .size:           2
        .value_kind:     hidden_remainder_z
      - .offset:         88
        .size:           8
        .value_kind:     hidden_global_offset_x
      - .offset:         96
        .size:           8
        .value_kind:     hidden_global_offset_y
      - .offset:         104
        .size:           8
        .value_kind:     hidden_global_offset_z
      - .offset:         112
        .size:           2
        .value_kind:     hidden_grid_dims
    .group_segment_fixed_size: 4112
    .kernarg_segment_align: 8
    .kernarg_segment_size: 304
    .language:       OpenCL C
    .language_version:
      - 2
      - 0
    .max_flat_workgroup_size: 256
    .name:           _ZN7rocprim17ROCPRIM_400000_NS6detail17trampoline_kernelINS0_13kernel_configILj256ELj4ELj4294967295EEENS1_37radix_sort_block_sort_config_selectorIiNS0_10empty_typeEEEZNS1_21radix_sort_block_sortIS4_Lb0EN6thrust23THRUST_200600_302600_NS6detail15normal_iteratorINSA_10device_ptrIiEEEESF_PS6_SG_NS0_19identity_decomposerEEE10hipError_tT1_T2_T3_T4_jRjT5_jjP12ihipStream_tbEUlT_E_NS1_11comp_targetILNS1_3genE4ELNS1_11target_archE910ELNS1_3gpuE8ELNS1_3repE0EEENS1_44radix_sort_block_sort_config_static_selectorELNS0_4arch9wavefront6targetE1EEEvSJ_
    .private_segment_fixed_size: 0
    .sgpr_count:     48
    .sgpr_spill_count: 0
    .symbol:         _ZN7rocprim17ROCPRIM_400000_NS6detail17trampoline_kernelINS0_13kernel_configILj256ELj4ELj4294967295EEENS1_37radix_sort_block_sort_config_selectorIiNS0_10empty_typeEEEZNS1_21radix_sort_block_sortIS4_Lb0EN6thrust23THRUST_200600_302600_NS6detail15normal_iteratorINSA_10device_ptrIiEEEESF_PS6_SG_NS0_19identity_decomposerEEE10hipError_tT1_T2_T3_T4_jRjT5_jjP12ihipStream_tbEUlT_E_NS1_11comp_targetILNS1_3genE4ELNS1_11target_archE910ELNS1_3gpuE8ELNS1_3repE0EEENS1_44radix_sort_block_sort_config_static_selectorELNS0_4arch9wavefront6targetE1EEEvSJ_.kd
    .uniform_work_group_size: 1
    .uses_dynamic_stack: false
    .vgpr_count:     39
    .vgpr_spill_count: 0
    .wavefront_size: 64
  - .agpr_count:     0
    .args:
      - .offset:         0
        .size:           48
        .value_kind:     by_value
    .group_segment_fixed_size: 0
    .kernarg_segment_align: 8
    .kernarg_segment_size: 48
    .language:       OpenCL C
    .language_version:
      - 2
      - 0
    .max_flat_workgroup_size: 256
    .name:           _ZN7rocprim17ROCPRIM_400000_NS6detail17trampoline_kernelINS0_13kernel_configILj256ELj4ELj4294967295EEENS1_37radix_sort_block_sort_config_selectorIiNS0_10empty_typeEEEZNS1_21radix_sort_block_sortIS4_Lb0EN6thrust23THRUST_200600_302600_NS6detail15normal_iteratorINSA_10device_ptrIiEEEESF_PS6_SG_NS0_19identity_decomposerEEE10hipError_tT1_T2_T3_T4_jRjT5_jjP12ihipStream_tbEUlT_E_NS1_11comp_targetILNS1_3genE3ELNS1_11target_archE908ELNS1_3gpuE7ELNS1_3repE0EEENS1_44radix_sort_block_sort_config_static_selectorELNS0_4arch9wavefront6targetE1EEEvSJ_
    .private_segment_fixed_size: 0
    .sgpr_count:     4
    .sgpr_spill_count: 0
    .symbol:         _ZN7rocprim17ROCPRIM_400000_NS6detail17trampoline_kernelINS0_13kernel_configILj256ELj4ELj4294967295EEENS1_37radix_sort_block_sort_config_selectorIiNS0_10empty_typeEEEZNS1_21radix_sort_block_sortIS4_Lb0EN6thrust23THRUST_200600_302600_NS6detail15normal_iteratorINSA_10device_ptrIiEEEESF_PS6_SG_NS0_19identity_decomposerEEE10hipError_tT1_T2_T3_T4_jRjT5_jjP12ihipStream_tbEUlT_E_NS1_11comp_targetILNS1_3genE3ELNS1_11target_archE908ELNS1_3gpuE7ELNS1_3repE0EEENS1_44radix_sort_block_sort_config_static_selectorELNS0_4arch9wavefront6targetE1EEEvSJ_.kd
    .uniform_work_group_size: 1
    .uses_dynamic_stack: false
    .vgpr_count:     0
    .vgpr_spill_count: 0
    .wavefront_size: 64
  - .agpr_count:     0
    .args:
      - .offset:         0
        .size:           48
        .value_kind:     by_value
    .group_segment_fixed_size: 0
    .kernarg_segment_align: 8
    .kernarg_segment_size: 48
    .language:       OpenCL C
    .language_version:
      - 2
      - 0
    .max_flat_workgroup_size: 256
    .name:           _ZN7rocprim17ROCPRIM_400000_NS6detail17trampoline_kernelINS0_13kernel_configILj256ELj4ELj4294967295EEENS1_37radix_sort_block_sort_config_selectorIiNS0_10empty_typeEEEZNS1_21radix_sort_block_sortIS4_Lb0EN6thrust23THRUST_200600_302600_NS6detail15normal_iteratorINSA_10device_ptrIiEEEESF_PS6_SG_NS0_19identity_decomposerEEE10hipError_tT1_T2_T3_T4_jRjT5_jjP12ihipStream_tbEUlT_E_NS1_11comp_targetILNS1_3genE2ELNS1_11target_archE906ELNS1_3gpuE6ELNS1_3repE0EEENS1_44radix_sort_block_sort_config_static_selectorELNS0_4arch9wavefront6targetE1EEEvSJ_
    .private_segment_fixed_size: 0
    .sgpr_count:     4
    .sgpr_spill_count: 0
    .symbol:         _ZN7rocprim17ROCPRIM_400000_NS6detail17trampoline_kernelINS0_13kernel_configILj256ELj4ELj4294967295EEENS1_37radix_sort_block_sort_config_selectorIiNS0_10empty_typeEEEZNS1_21radix_sort_block_sortIS4_Lb0EN6thrust23THRUST_200600_302600_NS6detail15normal_iteratorINSA_10device_ptrIiEEEESF_PS6_SG_NS0_19identity_decomposerEEE10hipError_tT1_T2_T3_T4_jRjT5_jjP12ihipStream_tbEUlT_E_NS1_11comp_targetILNS1_3genE2ELNS1_11target_archE906ELNS1_3gpuE6ELNS1_3repE0EEENS1_44radix_sort_block_sort_config_static_selectorELNS0_4arch9wavefront6targetE1EEEvSJ_.kd
    .uniform_work_group_size: 1
    .uses_dynamic_stack: false
    .vgpr_count:     0
    .vgpr_spill_count: 0
    .wavefront_size: 64
  - .agpr_count:     0
    .args:
      - .offset:         0
        .size:           48
        .value_kind:     by_value
    .group_segment_fixed_size: 0
    .kernarg_segment_align: 8
    .kernarg_segment_size: 48
    .language:       OpenCL C
    .language_version:
      - 2
      - 0
    .max_flat_workgroup_size: 256
    .name:           _ZN7rocprim17ROCPRIM_400000_NS6detail17trampoline_kernelINS0_13kernel_configILj256ELj4ELj4294967295EEENS1_37radix_sort_block_sort_config_selectorIiNS0_10empty_typeEEEZNS1_21radix_sort_block_sortIS4_Lb0EN6thrust23THRUST_200600_302600_NS6detail15normal_iteratorINSA_10device_ptrIiEEEESF_PS6_SG_NS0_19identity_decomposerEEE10hipError_tT1_T2_T3_T4_jRjT5_jjP12ihipStream_tbEUlT_E_NS1_11comp_targetILNS1_3genE10ELNS1_11target_archE1201ELNS1_3gpuE5ELNS1_3repE0EEENS1_44radix_sort_block_sort_config_static_selectorELNS0_4arch9wavefront6targetE1EEEvSJ_
    .private_segment_fixed_size: 0
    .sgpr_count:     4
    .sgpr_spill_count: 0
    .symbol:         _ZN7rocprim17ROCPRIM_400000_NS6detail17trampoline_kernelINS0_13kernel_configILj256ELj4ELj4294967295EEENS1_37radix_sort_block_sort_config_selectorIiNS0_10empty_typeEEEZNS1_21radix_sort_block_sortIS4_Lb0EN6thrust23THRUST_200600_302600_NS6detail15normal_iteratorINSA_10device_ptrIiEEEESF_PS6_SG_NS0_19identity_decomposerEEE10hipError_tT1_T2_T3_T4_jRjT5_jjP12ihipStream_tbEUlT_E_NS1_11comp_targetILNS1_3genE10ELNS1_11target_archE1201ELNS1_3gpuE5ELNS1_3repE0EEENS1_44radix_sort_block_sort_config_static_selectorELNS0_4arch9wavefront6targetE1EEEvSJ_.kd
    .uniform_work_group_size: 1
    .uses_dynamic_stack: false
    .vgpr_count:     0
    .vgpr_spill_count: 0
    .wavefront_size: 64
  - .agpr_count:     0
    .args:
      - .offset:         0
        .size:           48
        .value_kind:     by_value
    .group_segment_fixed_size: 0
    .kernarg_segment_align: 8
    .kernarg_segment_size: 48
    .language:       OpenCL C
    .language_version:
      - 2
      - 0
    .max_flat_workgroup_size: 256
    .name:           _ZN7rocprim17ROCPRIM_400000_NS6detail17trampoline_kernelINS0_13kernel_configILj256ELj4ELj4294967295EEENS1_37radix_sort_block_sort_config_selectorIiNS0_10empty_typeEEEZNS1_21radix_sort_block_sortIS4_Lb0EN6thrust23THRUST_200600_302600_NS6detail15normal_iteratorINSA_10device_ptrIiEEEESF_PS6_SG_NS0_19identity_decomposerEEE10hipError_tT1_T2_T3_T4_jRjT5_jjP12ihipStream_tbEUlT_E_NS1_11comp_targetILNS1_3genE10ELNS1_11target_archE1200ELNS1_3gpuE4ELNS1_3repE0EEENS1_44radix_sort_block_sort_config_static_selectorELNS0_4arch9wavefront6targetE1EEEvSJ_
    .private_segment_fixed_size: 0
    .sgpr_count:     4
    .sgpr_spill_count: 0
    .symbol:         _ZN7rocprim17ROCPRIM_400000_NS6detail17trampoline_kernelINS0_13kernel_configILj256ELj4ELj4294967295EEENS1_37radix_sort_block_sort_config_selectorIiNS0_10empty_typeEEEZNS1_21radix_sort_block_sortIS4_Lb0EN6thrust23THRUST_200600_302600_NS6detail15normal_iteratorINSA_10device_ptrIiEEEESF_PS6_SG_NS0_19identity_decomposerEEE10hipError_tT1_T2_T3_T4_jRjT5_jjP12ihipStream_tbEUlT_E_NS1_11comp_targetILNS1_3genE10ELNS1_11target_archE1200ELNS1_3gpuE4ELNS1_3repE0EEENS1_44radix_sort_block_sort_config_static_selectorELNS0_4arch9wavefront6targetE1EEEvSJ_.kd
    .uniform_work_group_size: 1
    .uses_dynamic_stack: false
    .vgpr_count:     0
    .vgpr_spill_count: 0
    .wavefront_size: 64
  - .agpr_count:     0
    .args:
      - .offset:         0
        .size:           48
        .value_kind:     by_value
    .group_segment_fixed_size: 0
    .kernarg_segment_align: 8
    .kernarg_segment_size: 48
    .language:       OpenCL C
    .language_version:
      - 2
      - 0
    .max_flat_workgroup_size: 256
    .name:           _ZN7rocprim17ROCPRIM_400000_NS6detail17trampoline_kernelINS0_13kernel_configILj256ELj4ELj4294967295EEENS1_37radix_sort_block_sort_config_selectorIiNS0_10empty_typeEEEZNS1_21radix_sort_block_sortIS4_Lb0EN6thrust23THRUST_200600_302600_NS6detail15normal_iteratorINSA_10device_ptrIiEEEESF_PS6_SG_NS0_19identity_decomposerEEE10hipError_tT1_T2_T3_T4_jRjT5_jjP12ihipStream_tbEUlT_E_NS1_11comp_targetILNS1_3genE9ELNS1_11target_archE1100ELNS1_3gpuE3ELNS1_3repE0EEENS1_44radix_sort_block_sort_config_static_selectorELNS0_4arch9wavefront6targetE1EEEvSJ_
    .private_segment_fixed_size: 0
    .sgpr_count:     4
    .sgpr_spill_count: 0
    .symbol:         _ZN7rocprim17ROCPRIM_400000_NS6detail17trampoline_kernelINS0_13kernel_configILj256ELj4ELj4294967295EEENS1_37radix_sort_block_sort_config_selectorIiNS0_10empty_typeEEEZNS1_21radix_sort_block_sortIS4_Lb0EN6thrust23THRUST_200600_302600_NS6detail15normal_iteratorINSA_10device_ptrIiEEEESF_PS6_SG_NS0_19identity_decomposerEEE10hipError_tT1_T2_T3_T4_jRjT5_jjP12ihipStream_tbEUlT_E_NS1_11comp_targetILNS1_3genE9ELNS1_11target_archE1100ELNS1_3gpuE3ELNS1_3repE0EEENS1_44radix_sort_block_sort_config_static_selectorELNS0_4arch9wavefront6targetE1EEEvSJ_.kd
    .uniform_work_group_size: 1
    .uses_dynamic_stack: false
    .vgpr_count:     0
    .vgpr_spill_count: 0
    .wavefront_size: 64
  - .agpr_count:     0
    .args:
      - .offset:         0
        .size:           48
        .value_kind:     by_value
    .group_segment_fixed_size: 0
    .kernarg_segment_align: 8
    .kernarg_segment_size: 48
    .language:       OpenCL C
    .language_version:
      - 2
      - 0
    .max_flat_workgroup_size: 256
    .name:           _ZN7rocprim17ROCPRIM_400000_NS6detail17trampoline_kernelINS0_13kernel_configILj256ELj4ELj4294967295EEENS1_37radix_sort_block_sort_config_selectorIiNS0_10empty_typeEEEZNS1_21radix_sort_block_sortIS4_Lb0EN6thrust23THRUST_200600_302600_NS6detail15normal_iteratorINSA_10device_ptrIiEEEESF_PS6_SG_NS0_19identity_decomposerEEE10hipError_tT1_T2_T3_T4_jRjT5_jjP12ihipStream_tbEUlT_E_NS1_11comp_targetILNS1_3genE8ELNS1_11target_archE1030ELNS1_3gpuE2ELNS1_3repE0EEENS1_44radix_sort_block_sort_config_static_selectorELNS0_4arch9wavefront6targetE1EEEvSJ_
    .private_segment_fixed_size: 0
    .sgpr_count:     4
    .sgpr_spill_count: 0
    .symbol:         _ZN7rocprim17ROCPRIM_400000_NS6detail17trampoline_kernelINS0_13kernel_configILj256ELj4ELj4294967295EEENS1_37radix_sort_block_sort_config_selectorIiNS0_10empty_typeEEEZNS1_21radix_sort_block_sortIS4_Lb0EN6thrust23THRUST_200600_302600_NS6detail15normal_iteratorINSA_10device_ptrIiEEEESF_PS6_SG_NS0_19identity_decomposerEEE10hipError_tT1_T2_T3_T4_jRjT5_jjP12ihipStream_tbEUlT_E_NS1_11comp_targetILNS1_3genE8ELNS1_11target_archE1030ELNS1_3gpuE2ELNS1_3repE0EEENS1_44radix_sort_block_sort_config_static_selectorELNS0_4arch9wavefront6targetE1EEEvSJ_.kd
    .uniform_work_group_size: 1
    .uses_dynamic_stack: false
    .vgpr_count:     0
    .vgpr_spill_count: 0
    .wavefront_size: 64
  - .agpr_count:     0
    .args:           []
    .group_segment_fixed_size: 0
    .kernarg_segment_align: 4
    .kernarg_segment_size: 0
    .language:       OpenCL C
    .language_version:
      - 2
      - 0
    .max_flat_workgroup_size: 1024
    .name:           _ZN7rocprim17ROCPRIM_400000_NS6detail44device_merge_sort_compile_time_verifier_archINS1_11comp_targetILNS1_3genE0ELNS1_11target_archE4294967295ELNS1_3gpuE0ELNS1_3repE0EEES8_NS1_28merge_sort_block_sort_configILj256ELj4ELNS0_20block_sort_algorithmE0EEENS0_14default_configENS1_37merge_sort_block_sort_config_selectorIiNS0_10empty_typeEEENS1_38merge_sort_block_merge_config_selectorIiSE_EEEEvv
    .private_segment_fixed_size: 0
    .sgpr_count:     4
    .sgpr_spill_count: 0
    .symbol:         _ZN7rocprim17ROCPRIM_400000_NS6detail44device_merge_sort_compile_time_verifier_archINS1_11comp_targetILNS1_3genE0ELNS1_11target_archE4294967295ELNS1_3gpuE0ELNS1_3repE0EEES8_NS1_28merge_sort_block_sort_configILj256ELj4ELNS0_20block_sort_algorithmE0EEENS0_14default_configENS1_37merge_sort_block_sort_config_selectorIiNS0_10empty_typeEEENS1_38merge_sort_block_merge_config_selectorIiSE_EEEEvv.kd
    .uniform_work_group_size: 1
    .uses_dynamic_stack: false
    .vgpr_count:     0
    .vgpr_spill_count: 0
    .wavefront_size: 64
  - .agpr_count:     0
    .args:           []
    .group_segment_fixed_size: 0
    .kernarg_segment_align: 4
    .kernarg_segment_size: 0
    .language:       OpenCL C
    .language_version:
      - 2
      - 0
    .max_flat_workgroup_size: 1024
    .name:           _ZN7rocprim17ROCPRIM_400000_NS6detail44device_merge_sort_compile_time_verifier_archINS1_11comp_targetILNS1_3genE5ELNS1_11target_archE942ELNS1_3gpuE9ELNS1_3repE0EEES8_NS1_28merge_sort_block_sort_configILj256ELj4ELNS0_20block_sort_algorithmE0EEENS0_14default_configENS1_37merge_sort_block_sort_config_selectorIiNS0_10empty_typeEEENS1_38merge_sort_block_merge_config_selectorIiSE_EEEEvv
    .private_segment_fixed_size: 0
    .sgpr_count:     4
    .sgpr_spill_count: 0
    .symbol:         _ZN7rocprim17ROCPRIM_400000_NS6detail44device_merge_sort_compile_time_verifier_archINS1_11comp_targetILNS1_3genE5ELNS1_11target_archE942ELNS1_3gpuE9ELNS1_3repE0EEES8_NS1_28merge_sort_block_sort_configILj256ELj4ELNS0_20block_sort_algorithmE0EEENS0_14default_configENS1_37merge_sort_block_sort_config_selectorIiNS0_10empty_typeEEENS1_38merge_sort_block_merge_config_selectorIiSE_EEEEvv.kd
    .uniform_work_group_size: 1
    .uses_dynamic_stack: false
    .vgpr_count:     0
    .vgpr_spill_count: 0
    .wavefront_size: 64
  - .agpr_count:     0
    .args:           []
    .group_segment_fixed_size: 0
    .kernarg_segment_align: 4
    .kernarg_segment_size: 0
    .language:       OpenCL C
    .language_version:
      - 2
      - 0
    .max_flat_workgroup_size: 1024
    .name:           _ZN7rocprim17ROCPRIM_400000_NS6detail44device_merge_sort_compile_time_verifier_archINS1_11comp_targetILNS1_3genE4ELNS1_11target_archE910ELNS1_3gpuE8ELNS1_3repE0EEES8_NS1_28merge_sort_block_sort_configILj256ELj4ELNS0_20block_sort_algorithmE0EEENS0_14default_configENS1_37merge_sort_block_sort_config_selectorIiNS0_10empty_typeEEENS1_38merge_sort_block_merge_config_selectorIiSE_EEEEvv
    .private_segment_fixed_size: 0
    .sgpr_count:     4
    .sgpr_spill_count: 0
    .symbol:         _ZN7rocprim17ROCPRIM_400000_NS6detail44device_merge_sort_compile_time_verifier_archINS1_11comp_targetILNS1_3genE4ELNS1_11target_archE910ELNS1_3gpuE8ELNS1_3repE0EEES8_NS1_28merge_sort_block_sort_configILj256ELj4ELNS0_20block_sort_algorithmE0EEENS0_14default_configENS1_37merge_sort_block_sort_config_selectorIiNS0_10empty_typeEEENS1_38merge_sort_block_merge_config_selectorIiSE_EEEEvv.kd
    .uniform_work_group_size: 1
    .uses_dynamic_stack: false
    .vgpr_count:     0
    .vgpr_spill_count: 0
    .wavefront_size: 64
  - .agpr_count:     0
    .args:           []
    .group_segment_fixed_size: 0
    .kernarg_segment_align: 4
    .kernarg_segment_size: 0
    .language:       OpenCL C
    .language_version:
      - 2
      - 0
    .max_flat_workgroup_size: 1024
    .name:           _ZN7rocprim17ROCPRIM_400000_NS6detail44device_merge_sort_compile_time_verifier_archINS1_11comp_targetILNS1_3genE3ELNS1_11target_archE908ELNS1_3gpuE7ELNS1_3repE0EEES8_NS1_28merge_sort_block_sort_configILj256ELj4ELNS0_20block_sort_algorithmE0EEENS0_14default_configENS1_37merge_sort_block_sort_config_selectorIiNS0_10empty_typeEEENS1_38merge_sort_block_merge_config_selectorIiSE_EEEEvv
    .private_segment_fixed_size: 0
    .sgpr_count:     4
    .sgpr_spill_count: 0
    .symbol:         _ZN7rocprim17ROCPRIM_400000_NS6detail44device_merge_sort_compile_time_verifier_archINS1_11comp_targetILNS1_3genE3ELNS1_11target_archE908ELNS1_3gpuE7ELNS1_3repE0EEES8_NS1_28merge_sort_block_sort_configILj256ELj4ELNS0_20block_sort_algorithmE0EEENS0_14default_configENS1_37merge_sort_block_sort_config_selectorIiNS0_10empty_typeEEENS1_38merge_sort_block_merge_config_selectorIiSE_EEEEvv.kd
    .uniform_work_group_size: 1
    .uses_dynamic_stack: false
    .vgpr_count:     0
    .vgpr_spill_count: 0
    .wavefront_size: 64
  - .agpr_count:     0
    .args:           []
    .group_segment_fixed_size: 0
    .kernarg_segment_align: 4
    .kernarg_segment_size: 0
    .language:       OpenCL C
    .language_version:
      - 2
      - 0
    .max_flat_workgroup_size: 1024
    .name:           _ZN7rocprim17ROCPRIM_400000_NS6detail44device_merge_sort_compile_time_verifier_archINS1_11comp_targetILNS1_3genE2ELNS1_11target_archE906ELNS1_3gpuE6ELNS1_3repE0EEES8_NS1_28merge_sort_block_sort_configILj256ELj4ELNS0_20block_sort_algorithmE0EEENS0_14default_configENS1_37merge_sort_block_sort_config_selectorIiNS0_10empty_typeEEENS1_38merge_sort_block_merge_config_selectorIiSE_EEEEvv
    .private_segment_fixed_size: 0
    .sgpr_count:     4
    .sgpr_spill_count: 0
    .symbol:         _ZN7rocprim17ROCPRIM_400000_NS6detail44device_merge_sort_compile_time_verifier_archINS1_11comp_targetILNS1_3genE2ELNS1_11target_archE906ELNS1_3gpuE6ELNS1_3repE0EEES8_NS1_28merge_sort_block_sort_configILj256ELj4ELNS0_20block_sort_algorithmE0EEENS0_14default_configENS1_37merge_sort_block_sort_config_selectorIiNS0_10empty_typeEEENS1_38merge_sort_block_merge_config_selectorIiSE_EEEEvv.kd
    .uniform_work_group_size: 1
    .uses_dynamic_stack: false
    .vgpr_count:     0
    .vgpr_spill_count: 0
    .wavefront_size: 64
  - .agpr_count:     0
    .args:           []
    .group_segment_fixed_size: 0
    .kernarg_segment_align: 4
    .kernarg_segment_size: 0
    .language:       OpenCL C
    .language_version:
      - 2
      - 0
    .max_flat_workgroup_size: 1024
    .name:           _ZN7rocprim17ROCPRIM_400000_NS6detail44device_merge_sort_compile_time_verifier_archINS1_11comp_targetILNS1_3genE10ELNS1_11target_archE1201ELNS1_3gpuE5ELNS1_3repE0EEES8_NS1_28merge_sort_block_sort_configILj256ELj4ELNS0_20block_sort_algorithmE0EEENS0_14default_configENS1_37merge_sort_block_sort_config_selectorIiNS0_10empty_typeEEENS1_38merge_sort_block_merge_config_selectorIiSE_EEEEvv
    .private_segment_fixed_size: 0
    .sgpr_count:     4
    .sgpr_spill_count: 0
    .symbol:         _ZN7rocprim17ROCPRIM_400000_NS6detail44device_merge_sort_compile_time_verifier_archINS1_11comp_targetILNS1_3genE10ELNS1_11target_archE1201ELNS1_3gpuE5ELNS1_3repE0EEES8_NS1_28merge_sort_block_sort_configILj256ELj4ELNS0_20block_sort_algorithmE0EEENS0_14default_configENS1_37merge_sort_block_sort_config_selectorIiNS0_10empty_typeEEENS1_38merge_sort_block_merge_config_selectorIiSE_EEEEvv.kd
    .uniform_work_group_size: 1
    .uses_dynamic_stack: false
    .vgpr_count:     0
    .vgpr_spill_count: 0
    .wavefront_size: 64
  - .agpr_count:     0
    .args:           []
    .group_segment_fixed_size: 0
    .kernarg_segment_align: 4
    .kernarg_segment_size: 0
    .language:       OpenCL C
    .language_version:
      - 2
      - 0
    .max_flat_workgroup_size: 1024
    .name:           _ZN7rocprim17ROCPRIM_400000_NS6detail44device_merge_sort_compile_time_verifier_archINS1_11comp_targetILNS1_3genE10ELNS1_11target_archE1200ELNS1_3gpuE4ELNS1_3repE0EEENS3_ILS4_10ELS5_1201ELS6_5ELS7_0EEENS1_28merge_sort_block_sort_configILj256ELj4ELNS0_20block_sort_algorithmE0EEENS0_14default_configENS1_37merge_sort_block_sort_config_selectorIiNS0_10empty_typeEEENS1_38merge_sort_block_merge_config_selectorIiSF_EEEEvv
    .private_segment_fixed_size: 0
    .sgpr_count:     4
    .sgpr_spill_count: 0
    .symbol:         _ZN7rocprim17ROCPRIM_400000_NS6detail44device_merge_sort_compile_time_verifier_archINS1_11comp_targetILNS1_3genE10ELNS1_11target_archE1200ELNS1_3gpuE4ELNS1_3repE0EEENS3_ILS4_10ELS5_1201ELS6_5ELS7_0EEENS1_28merge_sort_block_sort_configILj256ELj4ELNS0_20block_sort_algorithmE0EEENS0_14default_configENS1_37merge_sort_block_sort_config_selectorIiNS0_10empty_typeEEENS1_38merge_sort_block_merge_config_selectorIiSF_EEEEvv.kd
    .uniform_work_group_size: 1
    .uses_dynamic_stack: false
    .vgpr_count:     0
    .vgpr_spill_count: 0
    .wavefront_size: 64
  - .agpr_count:     0
    .args:           []
    .group_segment_fixed_size: 0
    .kernarg_segment_align: 4
    .kernarg_segment_size: 0
    .language:       OpenCL C
    .language_version:
      - 2
      - 0
    .max_flat_workgroup_size: 1024
    .name:           _ZN7rocprim17ROCPRIM_400000_NS6detail44device_merge_sort_compile_time_verifier_archINS1_11comp_targetILNS1_3genE9ELNS1_11target_archE1100ELNS1_3gpuE3ELNS1_3repE0EEES8_NS1_28merge_sort_block_sort_configILj256ELj4ELNS0_20block_sort_algorithmE0EEENS0_14default_configENS1_37merge_sort_block_sort_config_selectorIiNS0_10empty_typeEEENS1_38merge_sort_block_merge_config_selectorIiSE_EEEEvv
    .private_segment_fixed_size: 0
    .sgpr_count:     4
    .sgpr_spill_count: 0
    .symbol:         _ZN7rocprim17ROCPRIM_400000_NS6detail44device_merge_sort_compile_time_verifier_archINS1_11comp_targetILNS1_3genE9ELNS1_11target_archE1100ELNS1_3gpuE3ELNS1_3repE0EEES8_NS1_28merge_sort_block_sort_configILj256ELj4ELNS0_20block_sort_algorithmE0EEENS0_14default_configENS1_37merge_sort_block_sort_config_selectorIiNS0_10empty_typeEEENS1_38merge_sort_block_merge_config_selectorIiSE_EEEEvv.kd
    .uniform_work_group_size: 1
    .uses_dynamic_stack: false
    .vgpr_count:     0
    .vgpr_spill_count: 0
    .wavefront_size: 64
  - .agpr_count:     0
    .args:           []
    .group_segment_fixed_size: 0
    .kernarg_segment_align: 4
    .kernarg_segment_size: 0
    .language:       OpenCL C
    .language_version:
      - 2
      - 0
    .max_flat_workgroup_size: 1024
    .name:           _ZN7rocprim17ROCPRIM_400000_NS6detail44device_merge_sort_compile_time_verifier_archINS1_11comp_targetILNS1_3genE8ELNS1_11target_archE1030ELNS1_3gpuE2ELNS1_3repE0EEES8_NS1_28merge_sort_block_sort_configILj256ELj4ELNS0_20block_sort_algorithmE0EEENS0_14default_configENS1_37merge_sort_block_sort_config_selectorIiNS0_10empty_typeEEENS1_38merge_sort_block_merge_config_selectorIiSE_EEEEvv
    .private_segment_fixed_size: 0
    .sgpr_count:     4
    .sgpr_spill_count: 0
    .symbol:         _ZN7rocprim17ROCPRIM_400000_NS6detail44device_merge_sort_compile_time_verifier_archINS1_11comp_targetILNS1_3genE8ELNS1_11target_archE1030ELNS1_3gpuE2ELNS1_3repE0EEES8_NS1_28merge_sort_block_sort_configILj256ELj4ELNS0_20block_sort_algorithmE0EEENS0_14default_configENS1_37merge_sort_block_sort_config_selectorIiNS0_10empty_typeEEENS1_38merge_sort_block_merge_config_selectorIiSE_EEEEvv.kd
    .uniform_work_group_size: 1
    .uses_dynamic_stack: false
    .vgpr_count:     0
    .vgpr_spill_count: 0
    .wavefront_size: 64
  - .agpr_count:     0
    .args:
      - .offset:         0
        .size:           40
        .value_kind:     by_value
    .group_segment_fixed_size: 0
    .kernarg_segment_align: 8
    .kernarg_segment_size: 40
    .language:       OpenCL C
    .language_version:
      - 2
      - 0
    .max_flat_workgroup_size: 128
    .name:           _ZN7rocprim17ROCPRIM_400000_NS6detail17trampoline_kernelINS0_14default_configENS1_38merge_sort_block_merge_config_selectorIiNS0_10empty_typeEEEZZNS1_27merge_sort_block_merge_implIS3_N6thrust23THRUST_200600_302600_NS6detail15normal_iteratorINS9_10device_ptrIiEEEEPS5_jNS1_19radix_merge_compareILb0ELb0EiNS0_19identity_decomposerEEEEE10hipError_tT0_T1_T2_jT3_P12ihipStream_tbPNSt15iterator_traitsISK_E10value_typeEPNSQ_ISL_E10value_typeEPSM_NS1_7vsmem_tEENKUlT_SK_SL_SM_E_clIPiSE_SF_SF_EESJ_SZ_SK_SL_SM_EUlSZ_E_NS1_11comp_targetILNS1_3genE0ELNS1_11target_archE4294967295ELNS1_3gpuE0ELNS1_3repE0EEENS1_48merge_mergepath_partition_config_static_selectorELNS0_4arch9wavefront6targetE1EEEvSL_
    .private_segment_fixed_size: 0
    .sgpr_count:     4
    .sgpr_spill_count: 0
    .symbol:         _ZN7rocprim17ROCPRIM_400000_NS6detail17trampoline_kernelINS0_14default_configENS1_38merge_sort_block_merge_config_selectorIiNS0_10empty_typeEEEZZNS1_27merge_sort_block_merge_implIS3_N6thrust23THRUST_200600_302600_NS6detail15normal_iteratorINS9_10device_ptrIiEEEEPS5_jNS1_19radix_merge_compareILb0ELb0EiNS0_19identity_decomposerEEEEE10hipError_tT0_T1_T2_jT3_P12ihipStream_tbPNSt15iterator_traitsISK_E10value_typeEPNSQ_ISL_E10value_typeEPSM_NS1_7vsmem_tEENKUlT_SK_SL_SM_E_clIPiSE_SF_SF_EESJ_SZ_SK_SL_SM_EUlSZ_E_NS1_11comp_targetILNS1_3genE0ELNS1_11target_archE4294967295ELNS1_3gpuE0ELNS1_3repE0EEENS1_48merge_mergepath_partition_config_static_selectorELNS0_4arch9wavefront6targetE1EEEvSL_.kd
    .uniform_work_group_size: 1
    .uses_dynamic_stack: false
    .vgpr_count:     0
    .vgpr_spill_count: 0
    .wavefront_size: 64
  - .agpr_count:     0
    .args:
      - .offset:         0
        .size:           40
        .value_kind:     by_value
    .group_segment_fixed_size: 0
    .kernarg_segment_align: 8
    .kernarg_segment_size: 40
    .language:       OpenCL C
    .language_version:
      - 2
      - 0
    .max_flat_workgroup_size: 128
    .name:           _ZN7rocprim17ROCPRIM_400000_NS6detail17trampoline_kernelINS0_14default_configENS1_38merge_sort_block_merge_config_selectorIiNS0_10empty_typeEEEZZNS1_27merge_sort_block_merge_implIS3_N6thrust23THRUST_200600_302600_NS6detail15normal_iteratorINS9_10device_ptrIiEEEEPS5_jNS1_19radix_merge_compareILb0ELb0EiNS0_19identity_decomposerEEEEE10hipError_tT0_T1_T2_jT3_P12ihipStream_tbPNSt15iterator_traitsISK_E10value_typeEPNSQ_ISL_E10value_typeEPSM_NS1_7vsmem_tEENKUlT_SK_SL_SM_E_clIPiSE_SF_SF_EESJ_SZ_SK_SL_SM_EUlSZ_E_NS1_11comp_targetILNS1_3genE10ELNS1_11target_archE1201ELNS1_3gpuE5ELNS1_3repE0EEENS1_48merge_mergepath_partition_config_static_selectorELNS0_4arch9wavefront6targetE1EEEvSL_
    .private_segment_fixed_size: 0
    .sgpr_count:     4
    .sgpr_spill_count: 0
    .symbol:         _ZN7rocprim17ROCPRIM_400000_NS6detail17trampoline_kernelINS0_14default_configENS1_38merge_sort_block_merge_config_selectorIiNS0_10empty_typeEEEZZNS1_27merge_sort_block_merge_implIS3_N6thrust23THRUST_200600_302600_NS6detail15normal_iteratorINS9_10device_ptrIiEEEEPS5_jNS1_19radix_merge_compareILb0ELb0EiNS0_19identity_decomposerEEEEE10hipError_tT0_T1_T2_jT3_P12ihipStream_tbPNSt15iterator_traitsISK_E10value_typeEPNSQ_ISL_E10value_typeEPSM_NS1_7vsmem_tEENKUlT_SK_SL_SM_E_clIPiSE_SF_SF_EESJ_SZ_SK_SL_SM_EUlSZ_E_NS1_11comp_targetILNS1_3genE10ELNS1_11target_archE1201ELNS1_3gpuE5ELNS1_3repE0EEENS1_48merge_mergepath_partition_config_static_selectorELNS0_4arch9wavefront6targetE1EEEvSL_.kd
    .uniform_work_group_size: 1
    .uses_dynamic_stack: false
    .vgpr_count:     0
    .vgpr_spill_count: 0
    .wavefront_size: 64
  - .agpr_count:     0
    .args:
      - .offset:         0
        .size:           40
        .value_kind:     by_value
    .group_segment_fixed_size: 0
    .kernarg_segment_align: 8
    .kernarg_segment_size: 40
    .language:       OpenCL C
    .language_version:
      - 2
      - 0
    .max_flat_workgroup_size: 128
    .name:           _ZN7rocprim17ROCPRIM_400000_NS6detail17trampoline_kernelINS0_14default_configENS1_38merge_sort_block_merge_config_selectorIiNS0_10empty_typeEEEZZNS1_27merge_sort_block_merge_implIS3_N6thrust23THRUST_200600_302600_NS6detail15normal_iteratorINS9_10device_ptrIiEEEEPS5_jNS1_19radix_merge_compareILb0ELb0EiNS0_19identity_decomposerEEEEE10hipError_tT0_T1_T2_jT3_P12ihipStream_tbPNSt15iterator_traitsISK_E10value_typeEPNSQ_ISL_E10value_typeEPSM_NS1_7vsmem_tEENKUlT_SK_SL_SM_E_clIPiSE_SF_SF_EESJ_SZ_SK_SL_SM_EUlSZ_E_NS1_11comp_targetILNS1_3genE5ELNS1_11target_archE942ELNS1_3gpuE9ELNS1_3repE0EEENS1_48merge_mergepath_partition_config_static_selectorELNS0_4arch9wavefront6targetE1EEEvSL_
    .private_segment_fixed_size: 0
    .sgpr_count:     4
    .sgpr_spill_count: 0
    .symbol:         _ZN7rocprim17ROCPRIM_400000_NS6detail17trampoline_kernelINS0_14default_configENS1_38merge_sort_block_merge_config_selectorIiNS0_10empty_typeEEEZZNS1_27merge_sort_block_merge_implIS3_N6thrust23THRUST_200600_302600_NS6detail15normal_iteratorINS9_10device_ptrIiEEEEPS5_jNS1_19radix_merge_compareILb0ELb0EiNS0_19identity_decomposerEEEEE10hipError_tT0_T1_T2_jT3_P12ihipStream_tbPNSt15iterator_traitsISK_E10value_typeEPNSQ_ISL_E10value_typeEPSM_NS1_7vsmem_tEENKUlT_SK_SL_SM_E_clIPiSE_SF_SF_EESJ_SZ_SK_SL_SM_EUlSZ_E_NS1_11comp_targetILNS1_3genE5ELNS1_11target_archE942ELNS1_3gpuE9ELNS1_3repE0EEENS1_48merge_mergepath_partition_config_static_selectorELNS0_4arch9wavefront6targetE1EEEvSL_.kd
    .uniform_work_group_size: 1
    .uses_dynamic_stack: false
    .vgpr_count:     0
    .vgpr_spill_count: 0
    .wavefront_size: 64
  - .agpr_count:     0
    .args:
      - .offset:         0
        .size:           40
        .value_kind:     by_value
    .group_segment_fixed_size: 0
    .kernarg_segment_align: 8
    .kernarg_segment_size: 40
    .language:       OpenCL C
    .language_version:
      - 2
      - 0
    .max_flat_workgroup_size: 128
    .name:           _ZN7rocprim17ROCPRIM_400000_NS6detail17trampoline_kernelINS0_14default_configENS1_38merge_sort_block_merge_config_selectorIiNS0_10empty_typeEEEZZNS1_27merge_sort_block_merge_implIS3_N6thrust23THRUST_200600_302600_NS6detail15normal_iteratorINS9_10device_ptrIiEEEEPS5_jNS1_19radix_merge_compareILb0ELb0EiNS0_19identity_decomposerEEEEE10hipError_tT0_T1_T2_jT3_P12ihipStream_tbPNSt15iterator_traitsISK_E10value_typeEPNSQ_ISL_E10value_typeEPSM_NS1_7vsmem_tEENKUlT_SK_SL_SM_E_clIPiSE_SF_SF_EESJ_SZ_SK_SL_SM_EUlSZ_E_NS1_11comp_targetILNS1_3genE4ELNS1_11target_archE910ELNS1_3gpuE8ELNS1_3repE0EEENS1_48merge_mergepath_partition_config_static_selectorELNS0_4arch9wavefront6targetE1EEEvSL_
    .private_segment_fixed_size: 0
    .sgpr_count:     12
    .sgpr_spill_count: 0
    .symbol:         _ZN7rocprim17ROCPRIM_400000_NS6detail17trampoline_kernelINS0_14default_configENS1_38merge_sort_block_merge_config_selectorIiNS0_10empty_typeEEEZZNS1_27merge_sort_block_merge_implIS3_N6thrust23THRUST_200600_302600_NS6detail15normal_iteratorINS9_10device_ptrIiEEEEPS5_jNS1_19radix_merge_compareILb0ELb0EiNS0_19identity_decomposerEEEEE10hipError_tT0_T1_T2_jT3_P12ihipStream_tbPNSt15iterator_traitsISK_E10value_typeEPNSQ_ISL_E10value_typeEPSM_NS1_7vsmem_tEENKUlT_SK_SL_SM_E_clIPiSE_SF_SF_EESJ_SZ_SK_SL_SM_EUlSZ_E_NS1_11comp_targetILNS1_3genE4ELNS1_11target_archE910ELNS1_3gpuE8ELNS1_3repE0EEENS1_48merge_mergepath_partition_config_static_selectorELNS0_4arch9wavefront6targetE1EEEvSL_.kd
    .uniform_work_group_size: 1
    .uses_dynamic_stack: false
    .vgpr_count:     17
    .vgpr_spill_count: 0
    .wavefront_size: 64
  - .agpr_count:     0
    .args:
      - .offset:         0
        .size:           40
        .value_kind:     by_value
    .group_segment_fixed_size: 0
    .kernarg_segment_align: 8
    .kernarg_segment_size: 40
    .language:       OpenCL C
    .language_version:
      - 2
      - 0
    .max_flat_workgroup_size: 128
    .name:           _ZN7rocprim17ROCPRIM_400000_NS6detail17trampoline_kernelINS0_14default_configENS1_38merge_sort_block_merge_config_selectorIiNS0_10empty_typeEEEZZNS1_27merge_sort_block_merge_implIS3_N6thrust23THRUST_200600_302600_NS6detail15normal_iteratorINS9_10device_ptrIiEEEEPS5_jNS1_19radix_merge_compareILb0ELb0EiNS0_19identity_decomposerEEEEE10hipError_tT0_T1_T2_jT3_P12ihipStream_tbPNSt15iterator_traitsISK_E10value_typeEPNSQ_ISL_E10value_typeEPSM_NS1_7vsmem_tEENKUlT_SK_SL_SM_E_clIPiSE_SF_SF_EESJ_SZ_SK_SL_SM_EUlSZ_E_NS1_11comp_targetILNS1_3genE3ELNS1_11target_archE908ELNS1_3gpuE7ELNS1_3repE0EEENS1_48merge_mergepath_partition_config_static_selectorELNS0_4arch9wavefront6targetE1EEEvSL_
    .private_segment_fixed_size: 0
    .sgpr_count:     4
    .sgpr_spill_count: 0
    .symbol:         _ZN7rocprim17ROCPRIM_400000_NS6detail17trampoline_kernelINS0_14default_configENS1_38merge_sort_block_merge_config_selectorIiNS0_10empty_typeEEEZZNS1_27merge_sort_block_merge_implIS3_N6thrust23THRUST_200600_302600_NS6detail15normal_iteratorINS9_10device_ptrIiEEEEPS5_jNS1_19radix_merge_compareILb0ELb0EiNS0_19identity_decomposerEEEEE10hipError_tT0_T1_T2_jT3_P12ihipStream_tbPNSt15iterator_traitsISK_E10value_typeEPNSQ_ISL_E10value_typeEPSM_NS1_7vsmem_tEENKUlT_SK_SL_SM_E_clIPiSE_SF_SF_EESJ_SZ_SK_SL_SM_EUlSZ_E_NS1_11comp_targetILNS1_3genE3ELNS1_11target_archE908ELNS1_3gpuE7ELNS1_3repE0EEENS1_48merge_mergepath_partition_config_static_selectorELNS0_4arch9wavefront6targetE1EEEvSL_.kd
    .uniform_work_group_size: 1
    .uses_dynamic_stack: false
    .vgpr_count:     0
    .vgpr_spill_count: 0
    .wavefront_size: 64
  - .agpr_count:     0
    .args:
      - .offset:         0
        .size:           40
        .value_kind:     by_value
    .group_segment_fixed_size: 0
    .kernarg_segment_align: 8
    .kernarg_segment_size: 40
    .language:       OpenCL C
    .language_version:
      - 2
      - 0
    .max_flat_workgroup_size: 128
    .name:           _ZN7rocprim17ROCPRIM_400000_NS6detail17trampoline_kernelINS0_14default_configENS1_38merge_sort_block_merge_config_selectorIiNS0_10empty_typeEEEZZNS1_27merge_sort_block_merge_implIS3_N6thrust23THRUST_200600_302600_NS6detail15normal_iteratorINS9_10device_ptrIiEEEEPS5_jNS1_19radix_merge_compareILb0ELb0EiNS0_19identity_decomposerEEEEE10hipError_tT0_T1_T2_jT3_P12ihipStream_tbPNSt15iterator_traitsISK_E10value_typeEPNSQ_ISL_E10value_typeEPSM_NS1_7vsmem_tEENKUlT_SK_SL_SM_E_clIPiSE_SF_SF_EESJ_SZ_SK_SL_SM_EUlSZ_E_NS1_11comp_targetILNS1_3genE2ELNS1_11target_archE906ELNS1_3gpuE6ELNS1_3repE0EEENS1_48merge_mergepath_partition_config_static_selectorELNS0_4arch9wavefront6targetE1EEEvSL_
    .private_segment_fixed_size: 0
    .sgpr_count:     4
    .sgpr_spill_count: 0
    .symbol:         _ZN7rocprim17ROCPRIM_400000_NS6detail17trampoline_kernelINS0_14default_configENS1_38merge_sort_block_merge_config_selectorIiNS0_10empty_typeEEEZZNS1_27merge_sort_block_merge_implIS3_N6thrust23THRUST_200600_302600_NS6detail15normal_iteratorINS9_10device_ptrIiEEEEPS5_jNS1_19radix_merge_compareILb0ELb0EiNS0_19identity_decomposerEEEEE10hipError_tT0_T1_T2_jT3_P12ihipStream_tbPNSt15iterator_traitsISK_E10value_typeEPNSQ_ISL_E10value_typeEPSM_NS1_7vsmem_tEENKUlT_SK_SL_SM_E_clIPiSE_SF_SF_EESJ_SZ_SK_SL_SM_EUlSZ_E_NS1_11comp_targetILNS1_3genE2ELNS1_11target_archE906ELNS1_3gpuE6ELNS1_3repE0EEENS1_48merge_mergepath_partition_config_static_selectorELNS0_4arch9wavefront6targetE1EEEvSL_.kd
    .uniform_work_group_size: 1
    .uses_dynamic_stack: false
    .vgpr_count:     0
    .vgpr_spill_count: 0
    .wavefront_size: 64
  - .agpr_count:     0
    .args:
      - .offset:         0
        .size:           40
        .value_kind:     by_value
    .group_segment_fixed_size: 0
    .kernarg_segment_align: 8
    .kernarg_segment_size: 40
    .language:       OpenCL C
    .language_version:
      - 2
      - 0
    .max_flat_workgroup_size: 128
    .name:           _ZN7rocprim17ROCPRIM_400000_NS6detail17trampoline_kernelINS0_14default_configENS1_38merge_sort_block_merge_config_selectorIiNS0_10empty_typeEEEZZNS1_27merge_sort_block_merge_implIS3_N6thrust23THRUST_200600_302600_NS6detail15normal_iteratorINS9_10device_ptrIiEEEEPS5_jNS1_19radix_merge_compareILb0ELb0EiNS0_19identity_decomposerEEEEE10hipError_tT0_T1_T2_jT3_P12ihipStream_tbPNSt15iterator_traitsISK_E10value_typeEPNSQ_ISL_E10value_typeEPSM_NS1_7vsmem_tEENKUlT_SK_SL_SM_E_clIPiSE_SF_SF_EESJ_SZ_SK_SL_SM_EUlSZ_E_NS1_11comp_targetILNS1_3genE9ELNS1_11target_archE1100ELNS1_3gpuE3ELNS1_3repE0EEENS1_48merge_mergepath_partition_config_static_selectorELNS0_4arch9wavefront6targetE1EEEvSL_
    .private_segment_fixed_size: 0
    .sgpr_count:     4
    .sgpr_spill_count: 0
    .symbol:         _ZN7rocprim17ROCPRIM_400000_NS6detail17trampoline_kernelINS0_14default_configENS1_38merge_sort_block_merge_config_selectorIiNS0_10empty_typeEEEZZNS1_27merge_sort_block_merge_implIS3_N6thrust23THRUST_200600_302600_NS6detail15normal_iteratorINS9_10device_ptrIiEEEEPS5_jNS1_19radix_merge_compareILb0ELb0EiNS0_19identity_decomposerEEEEE10hipError_tT0_T1_T2_jT3_P12ihipStream_tbPNSt15iterator_traitsISK_E10value_typeEPNSQ_ISL_E10value_typeEPSM_NS1_7vsmem_tEENKUlT_SK_SL_SM_E_clIPiSE_SF_SF_EESJ_SZ_SK_SL_SM_EUlSZ_E_NS1_11comp_targetILNS1_3genE9ELNS1_11target_archE1100ELNS1_3gpuE3ELNS1_3repE0EEENS1_48merge_mergepath_partition_config_static_selectorELNS0_4arch9wavefront6targetE1EEEvSL_.kd
    .uniform_work_group_size: 1
    .uses_dynamic_stack: false
    .vgpr_count:     0
    .vgpr_spill_count: 0
    .wavefront_size: 64
  - .agpr_count:     0
    .args:
      - .offset:         0
        .size:           40
        .value_kind:     by_value
    .group_segment_fixed_size: 0
    .kernarg_segment_align: 8
    .kernarg_segment_size: 40
    .language:       OpenCL C
    .language_version:
      - 2
      - 0
    .max_flat_workgroup_size: 128
    .name:           _ZN7rocprim17ROCPRIM_400000_NS6detail17trampoline_kernelINS0_14default_configENS1_38merge_sort_block_merge_config_selectorIiNS0_10empty_typeEEEZZNS1_27merge_sort_block_merge_implIS3_N6thrust23THRUST_200600_302600_NS6detail15normal_iteratorINS9_10device_ptrIiEEEEPS5_jNS1_19radix_merge_compareILb0ELb0EiNS0_19identity_decomposerEEEEE10hipError_tT0_T1_T2_jT3_P12ihipStream_tbPNSt15iterator_traitsISK_E10value_typeEPNSQ_ISL_E10value_typeEPSM_NS1_7vsmem_tEENKUlT_SK_SL_SM_E_clIPiSE_SF_SF_EESJ_SZ_SK_SL_SM_EUlSZ_E_NS1_11comp_targetILNS1_3genE8ELNS1_11target_archE1030ELNS1_3gpuE2ELNS1_3repE0EEENS1_48merge_mergepath_partition_config_static_selectorELNS0_4arch9wavefront6targetE1EEEvSL_
    .private_segment_fixed_size: 0
    .sgpr_count:     4
    .sgpr_spill_count: 0
    .symbol:         _ZN7rocprim17ROCPRIM_400000_NS6detail17trampoline_kernelINS0_14default_configENS1_38merge_sort_block_merge_config_selectorIiNS0_10empty_typeEEEZZNS1_27merge_sort_block_merge_implIS3_N6thrust23THRUST_200600_302600_NS6detail15normal_iteratorINS9_10device_ptrIiEEEEPS5_jNS1_19radix_merge_compareILb0ELb0EiNS0_19identity_decomposerEEEEE10hipError_tT0_T1_T2_jT3_P12ihipStream_tbPNSt15iterator_traitsISK_E10value_typeEPNSQ_ISL_E10value_typeEPSM_NS1_7vsmem_tEENKUlT_SK_SL_SM_E_clIPiSE_SF_SF_EESJ_SZ_SK_SL_SM_EUlSZ_E_NS1_11comp_targetILNS1_3genE8ELNS1_11target_archE1030ELNS1_3gpuE2ELNS1_3repE0EEENS1_48merge_mergepath_partition_config_static_selectorELNS0_4arch9wavefront6targetE1EEEvSL_.kd
    .uniform_work_group_size: 1
    .uses_dynamic_stack: false
    .vgpr_count:     0
    .vgpr_spill_count: 0
    .wavefront_size: 64
  - .agpr_count:     0
    .args:
      - .offset:         0
        .size:           64
        .value_kind:     by_value
    .group_segment_fixed_size: 0
    .kernarg_segment_align: 8
    .kernarg_segment_size: 64
    .language:       OpenCL C
    .language_version:
      - 2
      - 0
    .max_flat_workgroup_size: 128
    .name:           _ZN7rocprim17ROCPRIM_400000_NS6detail17trampoline_kernelINS0_14default_configENS1_38merge_sort_block_merge_config_selectorIiNS0_10empty_typeEEEZZNS1_27merge_sort_block_merge_implIS3_N6thrust23THRUST_200600_302600_NS6detail15normal_iteratorINS9_10device_ptrIiEEEEPS5_jNS1_19radix_merge_compareILb0ELb0EiNS0_19identity_decomposerEEEEE10hipError_tT0_T1_T2_jT3_P12ihipStream_tbPNSt15iterator_traitsISK_E10value_typeEPNSQ_ISL_E10value_typeEPSM_NS1_7vsmem_tEENKUlT_SK_SL_SM_E_clIPiSE_SF_SF_EESJ_SZ_SK_SL_SM_EUlSZ_E0_NS1_11comp_targetILNS1_3genE0ELNS1_11target_archE4294967295ELNS1_3gpuE0ELNS1_3repE0EEENS1_38merge_mergepath_config_static_selectorELNS0_4arch9wavefront6targetE1EEEvSL_
    .private_segment_fixed_size: 0
    .sgpr_count:     4
    .sgpr_spill_count: 0
    .symbol:         _ZN7rocprim17ROCPRIM_400000_NS6detail17trampoline_kernelINS0_14default_configENS1_38merge_sort_block_merge_config_selectorIiNS0_10empty_typeEEEZZNS1_27merge_sort_block_merge_implIS3_N6thrust23THRUST_200600_302600_NS6detail15normal_iteratorINS9_10device_ptrIiEEEEPS5_jNS1_19radix_merge_compareILb0ELb0EiNS0_19identity_decomposerEEEEE10hipError_tT0_T1_T2_jT3_P12ihipStream_tbPNSt15iterator_traitsISK_E10value_typeEPNSQ_ISL_E10value_typeEPSM_NS1_7vsmem_tEENKUlT_SK_SL_SM_E_clIPiSE_SF_SF_EESJ_SZ_SK_SL_SM_EUlSZ_E0_NS1_11comp_targetILNS1_3genE0ELNS1_11target_archE4294967295ELNS1_3gpuE0ELNS1_3repE0EEENS1_38merge_mergepath_config_static_selectorELNS0_4arch9wavefront6targetE1EEEvSL_.kd
    .uniform_work_group_size: 1
    .uses_dynamic_stack: false
    .vgpr_count:     0
    .vgpr_spill_count: 0
    .wavefront_size: 64
  - .agpr_count:     0
    .args:
      - .offset:         0
        .size:           64
        .value_kind:     by_value
    .group_segment_fixed_size: 0
    .kernarg_segment_align: 8
    .kernarg_segment_size: 64
    .language:       OpenCL C
    .language_version:
      - 2
      - 0
    .max_flat_workgroup_size: 256
    .name:           _ZN7rocprim17ROCPRIM_400000_NS6detail17trampoline_kernelINS0_14default_configENS1_38merge_sort_block_merge_config_selectorIiNS0_10empty_typeEEEZZNS1_27merge_sort_block_merge_implIS3_N6thrust23THRUST_200600_302600_NS6detail15normal_iteratorINS9_10device_ptrIiEEEEPS5_jNS1_19radix_merge_compareILb0ELb0EiNS0_19identity_decomposerEEEEE10hipError_tT0_T1_T2_jT3_P12ihipStream_tbPNSt15iterator_traitsISK_E10value_typeEPNSQ_ISL_E10value_typeEPSM_NS1_7vsmem_tEENKUlT_SK_SL_SM_E_clIPiSE_SF_SF_EESJ_SZ_SK_SL_SM_EUlSZ_E0_NS1_11comp_targetILNS1_3genE10ELNS1_11target_archE1201ELNS1_3gpuE5ELNS1_3repE0EEENS1_38merge_mergepath_config_static_selectorELNS0_4arch9wavefront6targetE1EEEvSL_
    .private_segment_fixed_size: 0
    .sgpr_count:     4
    .sgpr_spill_count: 0
    .symbol:         _ZN7rocprim17ROCPRIM_400000_NS6detail17trampoline_kernelINS0_14default_configENS1_38merge_sort_block_merge_config_selectorIiNS0_10empty_typeEEEZZNS1_27merge_sort_block_merge_implIS3_N6thrust23THRUST_200600_302600_NS6detail15normal_iteratorINS9_10device_ptrIiEEEEPS5_jNS1_19radix_merge_compareILb0ELb0EiNS0_19identity_decomposerEEEEE10hipError_tT0_T1_T2_jT3_P12ihipStream_tbPNSt15iterator_traitsISK_E10value_typeEPNSQ_ISL_E10value_typeEPSM_NS1_7vsmem_tEENKUlT_SK_SL_SM_E_clIPiSE_SF_SF_EESJ_SZ_SK_SL_SM_EUlSZ_E0_NS1_11comp_targetILNS1_3genE10ELNS1_11target_archE1201ELNS1_3gpuE5ELNS1_3repE0EEENS1_38merge_mergepath_config_static_selectorELNS0_4arch9wavefront6targetE1EEEvSL_.kd
    .uniform_work_group_size: 1
    .uses_dynamic_stack: false
    .vgpr_count:     0
    .vgpr_spill_count: 0
    .wavefront_size: 64
  - .agpr_count:     0
    .args:
      - .offset:         0
        .size:           64
        .value_kind:     by_value
    .group_segment_fixed_size: 0
    .kernarg_segment_align: 8
    .kernarg_segment_size: 64
    .language:       OpenCL C
    .language_version:
      - 2
      - 0
    .max_flat_workgroup_size: 128
    .name:           _ZN7rocprim17ROCPRIM_400000_NS6detail17trampoline_kernelINS0_14default_configENS1_38merge_sort_block_merge_config_selectorIiNS0_10empty_typeEEEZZNS1_27merge_sort_block_merge_implIS3_N6thrust23THRUST_200600_302600_NS6detail15normal_iteratorINS9_10device_ptrIiEEEEPS5_jNS1_19radix_merge_compareILb0ELb0EiNS0_19identity_decomposerEEEEE10hipError_tT0_T1_T2_jT3_P12ihipStream_tbPNSt15iterator_traitsISK_E10value_typeEPNSQ_ISL_E10value_typeEPSM_NS1_7vsmem_tEENKUlT_SK_SL_SM_E_clIPiSE_SF_SF_EESJ_SZ_SK_SL_SM_EUlSZ_E0_NS1_11comp_targetILNS1_3genE5ELNS1_11target_archE942ELNS1_3gpuE9ELNS1_3repE0EEENS1_38merge_mergepath_config_static_selectorELNS0_4arch9wavefront6targetE1EEEvSL_
    .private_segment_fixed_size: 0
    .sgpr_count:     4
    .sgpr_spill_count: 0
    .symbol:         _ZN7rocprim17ROCPRIM_400000_NS6detail17trampoline_kernelINS0_14default_configENS1_38merge_sort_block_merge_config_selectorIiNS0_10empty_typeEEEZZNS1_27merge_sort_block_merge_implIS3_N6thrust23THRUST_200600_302600_NS6detail15normal_iteratorINS9_10device_ptrIiEEEEPS5_jNS1_19radix_merge_compareILb0ELb0EiNS0_19identity_decomposerEEEEE10hipError_tT0_T1_T2_jT3_P12ihipStream_tbPNSt15iterator_traitsISK_E10value_typeEPNSQ_ISL_E10value_typeEPSM_NS1_7vsmem_tEENKUlT_SK_SL_SM_E_clIPiSE_SF_SF_EESJ_SZ_SK_SL_SM_EUlSZ_E0_NS1_11comp_targetILNS1_3genE5ELNS1_11target_archE942ELNS1_3gpuE9ELNS1_3repE0EEENS1_38merge_mergepath_config_static_selectorELNS0_4arch9wavefront6targetE1EEEvSL_.kd
    .uniform_work_group_size: 1
    .uses_dynamic_stack: false
    .vgpr_count:     0
    .vgpr_spill_count: 0
    .wavefront_size: 64
  - .agpr_count:     0
    .args:
      - .offset:         0
        .size:           64
        .value_kind:     by_value
      - .offset:         64
        .size:           4
        .value_kind:     hidden_block_count_x
      - .offset:         68
        .size:           4
        .value_kind:     hidden_block_count_y
      - .offset:         72
        .size:           4
        .value_kind:     hidden_block_count_z
      - .offset:         76
        .size:           2
        .value_kind:     hidden_group_size_x
      - .offset:         78
        .size:           2
        .value_kind:     hidden_group_size_y
      - .offset:         80
        .size:           2
        .value_kind:     hidden_group_size_z
      - .offset:         82
        .size:           2
        .value_kind:     hidden_remainder_x
      - .offset:         84
        .size:           2
        .value_kind:     hidden_remainder_y
      - .offset:         86
        .size:           2
        .value_kind:     hidden_remainder_z
      - .offset:         104
        .size:           8
        .value_kind:     hidden_global_offset_x
      - .offset:         112
        .size:           8
        .value_kind:     hidden_global_offset_y
      - .offset:         120
        .size:           8
        .value_kind:     hidden_global_offset_z
      - .offset:         128
        .size:           2
        .value_kind:     hidden_grid_dims
    .group_segment_fixed_size: 4224
    .kernarg_segment_align: 8
    .kernarg_segment_size: 320
    .language:       OpenCL C
    .language_version:
      - 2
      - 0
    .max_flat_workgroup_size: 128
    .name:           _ZN7rocprim17ROCPRIM_400000_NS6detail17trampoline_kernelINS0_14default_configENS1_38merge_sort_block_merge_config_selectorIiNS0_10empty_typeEEEZZNS1_27merge_sort_block_merge_implIS3_N6thrust23THRUST_200600_302600_NS6detail15normal_iteratorINS9_10device_ptrIiEEEEPS5_jNS1_19radix_merge_compareILb0ELb0EiNS0_19identity_decomposerEEEEE10hipError_tT0_T1_T2_jT3_P12ihipStream_tbPNSt15iterator_traitsISK_E10value_typeEPNSQ_ISL_E10value_typeEPSM_NS1_7vsmem_tEENKUlT_SK_SL_SM_E_clIPiSE_SF_SF_EESJ_SZ_SK_SL_SM_EUlSZ_E0_NS1_11comp_targetILNS1_3genE4ELNS1_11target_archE910ELNS1_3gpuE8ELNS1_3repE0EEENS1_38merge_mergepath_config_static_selectorELNS0_4arch9wavefront6targetE1EEEvSL_
    .private_segment_fixed_size: 0
    .sgpr_count:     28
    .sgpr_spill_count: 0
    .symbol:         _ZN7rocprim17ROCPRIM_400000_NS6detail17trampoline_kernelINS0_14default_configENS1_38merge_sort_block_merge_config_selectorIiNS0_10empty_typeEEEZZNS1_27merge_sort_block_merge_implIS3_N6thrust23THRUST_200600_302600_NS6detail15normal_iteratorINS9_10device_ptrIiEEEEPS5_jNS1_19radix_merge_compareILb0ELb0EiNS0_19identity_decomposerEEEEE10hipError_tT0_T1_T2_jT3_P12ihipStream_tbPNSt15iterator_traitsISK_E10value_typeEPNSQ_ISL_E10value_typeEPSM_NS1_7vsmem_tEENKUlT_SK_SL_SM_E_clIPiSE_SF_SF_EESJ_SZ_SK_SL_SM_EUlSZ_E0_NS1_11comp_targetILNS1_3genE4ELNS1_11target_archE910ELNS1_3gpuE8ELNS1_3repE0EEENS1_38merge_mergepath_config_static_selectorELNS0_4arch9wavefront6targetE1EEEvSL_.kd
    .uniform_work_group_size: 1
    .uses_dynamic_stack: false
    .vgpr_count:     26
    .vgpr_spill_count: 0
    .wavefront_size: 64
  - .agpr_count:     0
    .args:
      - .offset:         0
        .size:           64
        .value_kind:     by_value
    .group_segment_fixed_size: 0
    .kernarg_segment_align: 8
    .kernarg_segment_size: 64
    .language:       OpenCL C
    .language_version:
      - 2
      - 0
    .max_flat_workgroup_size: 128
    .name:           _ZN7rocprim17ROCPRIM_400000_NS6detail17trampoline_kernelINS0_14default_configENS1_38merge_sort_block_merge_config_selectorIiNS0_10empty_typeEEEZZNS1_27merge_sort_block_merge_implIS3_N6thrust23THRUST_200600_302600_NS6detail15normal_iteratorINS9_10device_ptrIiEEEEPS5_jNS1_19radix_merge_compareILb0ELb0EiNS0_19identity_decomposerEEEEE10hipError_tT0_T1_T2_jT3_P12ihipStream_tbPNSt15iterator_traitsISK_E10value_typeEPNSQ_ISL_E10value_typeEPSM_NS1_7vsmem_tEENKUlT_SK_SL_SM_E_clIPiSE_SF_SF_EESJ_SZ_SK_SL_SM_EUlSZ_E0_NS1_11comp_targetILNS1_3genE3ELNS1_11target_archE908ELNS1_3gpuE7ELNS1_3repE0EEENS1_38merge_mergepath_config_static_selectorELNS0_4arch9wavefront6targetE1EEEvSL_
    .private_segment_fixed_size: 0
    .sgpr_count:     4
    .sgpr_spill_count: 0
    .symbol:         _ZN7rocprim17ROCPRIM_400000_NS6detail17trampoline_kernelINS0_14default_configENS1_38merge_sort_block_merge_config_selectorIiNS0_10empty_typeEEEZZNS1_27merge_sort_block_merge_implIS3_N6thrust23THRUST_200600_302600_NS6detail15normal_iteratorINS9_10device_ptrIiEEEEPS5_jNS1_19radix_merge_compareILb0ELb0EiNS0_19identity_decomposerEEEEE10hipError_tT0_T1_T2_jT3_P12ihipStream_tbPNSt15iterator_traitsISK_E10value_typeEPNSQ_ISL_E10value_typeEPSM_NS1_7vsmem_tEENKUlT_SK_SL_SM_E_clIPiSE_SF_SF_EESJ_SZ_SK_SL_SM_EUlSZ_E0_NS1_11comp_targetILNS1_3genE3ELNS1_11target_archE908ELNS1_3gpuE7ELNS1_3repE0EEENS1_38merge_mergepath_config_static_selectorELNS0_4arch9wavefront6targetE1EEEvSL_.kd
    .uniform_work_group_size: 1
    .uses_dynamic_stack: false
    .vgpr_count:     0
    .vgpr_spill_count: 0
    .wavefront_size: 64
  - .agpr_count:     0
    .args:
      - .offset:         0
        .size:           64
        .value_kind:     by_value
    .group_segment_fixed_size: 0
    .kernarg_segment_align: 8
    .kernarg_segment_size: 64
    .language:       OpenCL C
    .language_version:
      - 2
      - 0
    .max_flat_workgroup_size: 128
    .name:           _ZN7rocprim17ROCPRIM_400000_NS6detail17trampoline_kernelINS0_14default_configENS1_38merge_sort_block_merge_config_selectorIiNS0_10empty_typeEEEZZNS1_27merge_sort_block_merge_implIS3_N6thrust23THRUST_200600_302600_NS6detail15normal_iteratorINS9_10device_ptrIiEEEEPS5_jNS1_19radix_merge_compareILb0ELb0EiNS0_19identity_decomposerEEEEE10hipError_tT0_T1_T2_jT3_P12ihipStream_tbPNSt15iterator_traitsISK_E10value_typeEPNSQ_ISL_E10value_typeEPSM_NS1_7vsmem_tEENKUlT_SK_SL_SM_E_clIPiSE_SF_SF_EESJ_SZ_SK_SL_SM_EUlSZ_E0_NS1_11comp_targetILNS1_3genE2ELNS1_11target_archE906ELNS1_3gpuE6ELNS1_3repE0EEENS1_38merge_mergepath_config_static_selectorELNS0_4arch9wavefront6targetE1EEEvSL_
    .private_segment_fixed_size: 0
    .sgpr_count:     4
    .sgpr_spill_count: 0
    .symbol:         _ZN7rocprim17ROCPRIM_400000_NS6detail17trampoline_kernelINS0_14default_configENS1_38merge_sort_block_merge_config_selectorIiNS0_10empty_typeEEEZZNS1_27merge_sort_block_merge_implIS3_N6thrust23THRUST_200600_302600_NS6detail15normal_iteratorINS9_10device_ptrIiEEEEPS5_jNS1_19radix_merge_compareILb0ELb0EiNS0_19identity_decomposerEEEEE10hipError_tT0_T1_T2_jT3_P12ihipStream_tbPNSt15iterator_traitsISK_E10value_typeEPNSQ_ISL_E10value_typeEPSM_NS1_7vsmem_tEENKUlT_SK_SL_SM_E_clIPiSE_SF_SF_EESJ_SZ_SK_SL_SM_EUlSZ_E0_NS1_11comp_targetILNS1_3genE2ELNS1_11target_archE906ELNS1_3gpuE6ELNS1_3repE0EEENS1_38merge_mergepath_config_static_selectorELNS0_4arch9wavefront6targetE1EEEvSL_.kd
    .uniform_work_group_size: 1
    .uses_dynamic_stack: false
    .vgpr_count:     0
    .vgpr_spill_count: 0
    .wavefront_size: 64
  - .agpr_count:     0
    .args:
      - .offset:         0
        .size:           64
        .value_kind:     by_value
    .group_segment_fixed_size: 0
    .kernarg_segment_align: 8
    .kernarg_segment_size: 64
    .language:       OpenCL C
    .language_version:
      - 2
      - 0
    .max_flat_workgroup_size: 256
    .name:           _ZN7rocprim17ROCPRIM_400000_NS6detail17trampoline_kernelINS0_14default_configENS1_38merge_sort_block_merge_config_selectorIiNS0_10empty_typeEEEZZNS1_27merge_sort_block_merge_implIS3_N6thrust23THRUST_200600_302600_NS6detail15normal_iteratorINS9_10device_ptrIiEEEEPS5_jNS1_19radix_merge_compareILb0ELb0EiNS0_19identity_decomposerEEEEE10hipError_tT0_T1_T2_jT3_P12ihipStream_tbPNSt15iterator_traitsISK_E10value_typeEPNSQ_ISL_E10value_typeEPSM_NS1_7vsmem_tEENKUlT_SK_SL_SM_E_clIPiSE_SF_SF_EESJ_SZ_SK_SL_SM_EUlSZ_E0_NS1_11comp_targetILNS1_3genE9ELNS1_11target_archE1100ELNS1_3gpuE3ELNS1_3repE0EEENS1_38merge_mergepath_config_static_selectorELNS0_4arch9wavefront6targetE1EEEvSL_
    .private_segment_fixed_size: 0
    .sgpr_count:     4
    .sgpr_spill_count: 0
    .symbol:         _ZN7rocprim17ROCPRIM_400000_NS6detail17trampoline_kernelINS0_14default_configENS1_38merge_sort_block_merge_config_selectorIiNS0_10empty_typeEEEZZNS1_27merge_sort_block_merge_implIS3_N6thrust23THRUST_200600_302600_NS6detail15normal_iteratorINS9_10device_ptrIiEEEEPS5_jNS1_19radix_merge_compareILb0ELb0EiNS0_19identity_decomposerEEEEE10hipError_tT0_T1_T2_jT3_P12ihipStream_tbPNSt15iterator_traitsISK_E10value_typeEPNSQ_ISL_E10value_typeEPSM_NS1_7vsmem_tEENKUlT_SK_SL_SM_E_clIPiSE_SF_SF_EESJ_SZ_SK_SL_SM_EUlSZ_E0_NS1_11comp_targetILNS1_3genE9ELNS1_11target_archE1100ELNS1_3gpuE3ELNS1_3repE0EEENS1_38merge_mergepath_config_static_selectorELNS0_4arch9wavefront6targetE1EEEvSL_.kd
    .uniform_work_group_size: 1
    .uses_dynamic_stack: false
    .vgpr_count:     0
    .vgpr_spill_count: 0
    .wavefront_size: 64
  - .agpr_count:     0
    .args:
      - .offset:         0
        .size:           64
        .value_kind:     by_value
    .group_segment_fixed_size: 0
    .kernarg_segment_align: 8
    .kernarg_segment_size: 64
    .language:       OpenCL C
    .language_version:
      - 2
      - 0
    .max_flat_workgroup_size: 512
    .name:           _ZN7rocprim17ROCPRIM_400000_NS6detail17trampoline_kernelINS0_14default_configENS1_38merge_sort_block_merge_config_selectorIiNS0_10empty_typeEEEZZNS1_27merge_sort_block_merge_implIS3_N6thrust23THRUST_200600_302600_NS6detail15normal_iteratorINS9_10device_ptrIiEEEEPS5_jNS1_19radix_merge_compareILb0ELb0EiNS0_19identity_decomposerEEEEE10hipError_tT0_T1_T2_jT3_P12ihipStream_tbPNSt15iterator_traitsISK_E10value_typeEPNSQ_ISL_E10value_typeEPSM_NS1_7vsmem_tEENKUlT_SK_SL_SM_E_clIPiSE_SF_SF_EESJ_SZ_SK_SL_SM_EUlSZ_E0_NS1_11comp_targetILNS1_3genE8ELNS1_11target_archE1030ELNS1_3gpuE2ELNS1_3repE0EEENS1_38merge_mergepath_config_static_selectorELNS0_4arch9wavefront6targetE1EEEvSL_
    .private_segment_fixed_size: 0
    .sgpr_count:     4
    .sgpr_spill_count: 0
    .symbol:         _ZN7rocprim17ROCPRIM_400000_NS6detail17trampoline_kernelINS0_14default_configENS1_38merge_sort_block_merge_config_selectorIiNS0_10empty_typeEEEZZNS1_27merge_sort_block_merge_implIS3_N6thrust23THRUST_200600_302600_NS6detail15normal_iteratorINS9_10device_ptrIiEEEEPS5_jNS1_19radix_merge_compareILb0ELb0EiNS0_19identity_decomposerEEEEE10hipError_tT0_T1_T2_jT3_P12ihipStream_tbPNSt15iterator_traitsISK_E10value_typeEPNSQ_ISL_E10value_typeEPSM_NS1_7vsmem_tEENKUlT_SK_SL_SM_E_clIPiSE_SF_SF_EESJ_SZ_SK_SL_SM_EUlSZ_E0_NS1_11comp_targetILNS1_3genE8ELNS1_11target_archE1030ELNS1_3gpuE2ELNS1_3repE0EEENS1_38merge_mergepath_config_static_selectorELNS0_4arch9wavefront6targetE1EEEvSL_.kd
    .uniform_work_group_size: 1
    .uses_dynamic_stack: false
    .vgpr_count:     0
    .vgpr_spill_count: 0
    .wavefront_size: 64
  - .agpr_count:     0
    .args:
      - .offset:         0
        .size:           48
        .value_kind:     by_value
    .group_segment_fixed_size: 0
    .kernarg_segment_align: 8
    .kernarg_segment_size: 48
    .language:       OpenCL C
    .language_version:
      - 2
      - 0
    .max_flat_workgroup_size: 256
    .name:           _ZN7rocprim17ROCPRIM_400000_NS6detail17trampoline_kernelINS0_14default_configENS1_38merge_sort_block_merge_config_selectorIiNS0_10empty_typeEEEZZNS1_27merge_sort_block_merge_implIS3_N6thrust23THRUST_200600_302600_NS6detail15normal_iteratorINS9_10device_ptrIiEEEEPS5_jNS1_19radix_merge_compareILb0ELb0EiNS0_19identity_decomposerEEEEE10hipError_tT0_T1_T2_jT3_P12ihipStream_tbPNSt15iterator_traitsISK_E10value_typeEPNSQ_ISL_E10value_typeEPSM_NS1_7vsmem_tEENKUlT_SK_SL_SM_E_clIPiSE_SF_SF_EESJ_SZ_SK_SL_SM_EUlSZ_E1_NS1_11comp_targetILNS1_3genE0ELNS1_11target_archE4294967295ELNS1_3gpuE0ELNS1_3repE0EEENS1_36merge_oddeven_config_static_selectorELNS0_4arch9wavefront6targetE1EEEvSL_
    .private_segment_fixed_size: 0
    .sgpr_count:     4
    .sgpr_spill_count: 0
    .symbol:         _ZN7rocprim17ROCPRIM_400000_NS6detail17trampoline_kernelINS0_14default_configENS1_38merge_sort_block_merge_config_selectorIiNS0_10empty_typeEEEZZNS1_27merge_sort_block_merge_implIS3_N6thrust23THRUST_200600_302600_NS6detail15normal_iteratorINS9_10device_ptrIiEEEEPS5_jNS1_19radix_merge_compareILb0ELb0EiNS0_19identity_decomposerEEEEE10hipError_tT0_T1_T2_jT3_P12ihipStream_tbPNSt15iterator_traitsISK_E10value_typeEPNSQ_ISL_E10value_typeEPSM_NS1_7vsmem_tEENKUlT_SK_SL_SM_E_clIPiSE_SF_SF_EESJ_SZ_SK_SL_SM_EUlSZ_E1_NS1_11comp_targetILNS1_3genE0ELNS1_11target_archE4294967295ELNS1_3gpuE0ELNS1_3repE0EEENS1_36merge_oddeven_config_static_selectorELNS0_4arch9wavefront6targetE1EEEvSL_.kd
    .uniform_work_group_size: 1
    .uses_dynamic_stack: false
    .vgpr_count:     0
    .vgpr_spill_count: 0
    .wavefront_size: 64
  - .agpr_count:     0
    .args:
      - .offset:         0
        .size:           48
        .value_kind:     by_value
    .group_segment_fixed_size: 0
    .kernarg_segment_align: 8
    .kernarg_segment_size: 48
    .language:       OpenCL C
    .language_version:
      - 2
      - 0
    .max_flat_workgroup_size: 256
    .name:           _ZN7rocprim17ROCPRIM_400000_NS6detail17trampoline_kernelINS0_14default_configENS1_38merge_sort_block_merge_config_selectorIiNS0_10empty_typeEEEZZNS1_27merge_sort_block_merge_implIS3_N6thrust23THRUST_200600_302600_NS6detail15normal_iteratorINS9_10device_ptrIiEEEEPS5_jNS1_19radix_merge_compareILb0ELb0EiNS0_19identity_decomposerEEEEE10hipError_tT0_T1_T2_jT3_P12ihipStream_tbPNSt15iterator_traitsISK_E10value_typeEPNSQ_ISL_E10value_typeEPSM_NS1_7vsmem_tEENKUlT_SK_SL_SM_E_clIPiSE_SF_SF_EESJ_SZ_SK_SL_SM_EUlSZ_E1_NS1_11comp_targetILNS1_3genE10ELNS1_11target_archE1201ELNS1_3gpuE5ELNS1_3repE0EEENS1_36merge_oddeven_config_static_selectorELNS0_4arch9wavefront6targetE1EEEvSL_
    .private_segment_fixed_size: 0
    .sgpr_count:     4
    .sgpr_spill_count: 0
    .symbol:         _ZN7rocprim17ROCPRIM_400000_NS6detail17trampoline_kernelINS0_14default_configENS1_38merge_sort_block_merge_config_selectorIiNS0_10empty_typeEEEZZNS1_27merge_sort_block_merge_implIS3_N6thrust23THRUST_200600_302600_NS6detail15normal_iteratorINS9_10device_ptrIiEEEEPS5_jNS1_19radix_merge_compareILb0ELb0EiNS0_19identity_decomposerEEEEE10hipError_tT0_T1_T2_jT3_P12ihipStream_tbPNSt15iterator_traitsISK_E10value_typeEPNSQ_ISL_E10value_typeEPSM_NS1_7vsmem_tEENKUlT_SK_SL_SM_E_clIPiSE_SF_SF_EESJ_SZ_SK_SL_SM_EUlSZ_E1_NS1_11comp_targetILNS1_3genE10ELNS1_11target_archE1201ELNS1_3gpuE5ELNS1_3repE0EEENS1_36merge_oddeven_config_static_selectorELNS0_4arch9wavefront6targetE1EEEvSL_.kd
    .uniform_work_group_size: 1
    .uses_dynamic_stack: false
    .vgpr_count:     0
    .vgpr_spill_count: 0
    .wavefront_size: 64
  - .agpr_count:     0
    .args:
      - .offset:         0
        .size:           48
        .value_kind:     by_value
    .group_segment_fixed_size: 0
    .kernarg_segment_align: 8
    .kernarg_segment_size: 48
    .language:       OpenCL C
    .language_version:
      - 2
      - 0
    .max_flat_workgroup_size: 256
    .name:           _ZN7rocprim17ROCPRIM_400000_NS6detail17trampoline_kernelINS0_14default_configENS1_38merge_sort_block_merge_config_selectorIiNS0_10empty_typeEEEZZNS1_27merge_sort_block_merge_implIS3_N6thrust23THRUST_200600_302600_NS6detail15normal_iteratorINS9_10device_ptrIiEEEEPS5_jNS1_19radix_merge_compareILb0ELb0EiNS0_19identity_decomposerEEEEE10hipError_tT0_T1_T2_jT3_P12ihipStream_tbPNSt15iterator_traitsISK_E10value_typeEPNSQ_ISL_E10value_typeEPSM_NS1_7vsmem_tEENKUlT_SK_SL_SM_E_clIPiSE_SF_SF_EESJ_SZ_SK_SL_SM_EUlSZ_E1_NS1_11comp_targetILNS1_3genE5ELNS1_11target_archE942ELNS1_3gpuE9ELNS1_3repE0EEENS1_36merge_oddeven_config_static_selectorELNS0_4arch9wavefront6targetE1EEEvSL_
    .private_segment_fixed_size: 0
    .sgpr_count:     4
    .sgpr_spill_count: 0
    .symbol:         _ZN7rocprim17ROCPRIM_400000_NS6detail17trampoline_kernelINS0_14default_configENS1_38merge_sort_block_merge_config_selectorIiNS0_10empty_typeEEEZZNS1_27merge_sort_block_merge_implIS3_N6thrust23THRUST_200600_302600_NS6detail15normal_iteratorINS9_10device_ptrIiEEEEPS5_jNS1_19radix_merge_compareILb0ELb0EiNS0_19identity_decomposerEEEEE10hipError_tT0_T1_T2_jT3_P12ihipStream_tbPNSt15iterator_traitsISK_E10value_typeEPNSQ_ISL_E10value_typeEPSM_NS1_7vsmem_tEENKUlT_SK_SL_SM_E_clIPiSE_SF_SF_EESJ_SZ_SK_SL_SM_EUlSZ_E1_NS1_11comp_targetILNS1_3genE5ELNS1_11target_archE942ELNS1_3gpuE9ELNS1_3repE0EEENS1_36merge_oddeven_config_static_selectorELNS0_4arch9wavefront6targetE1EEEvSL_.kd
    .uniform_work_group_size: 1
    .uses_dynamic_stack: false
    .vgpr_count:     0
    .vgpr_spill_count: 0
    .wavefront_size: 64
  - .agpr_count:     0
    .args:
      - .offset:         0
        .size:           48
        .value_kind:     by_value
    .group_segment_fixed_size: 0
    .kernarg_segment_align: 8
    .kernarg_segment_size: 48
    .language:       OpenCL C
    .language_version:
      - 2
      - 0
    .max_flat_workgroup_size: 256
    .name:           _ZN7rocprim17ROCPRIM_400000_NS6detail17trampoline_kernelINS0_14default_configENS1_38merge_sort_block_merge_config_selectorIiNS0_10empty_typeEEEZZNS1_27merge_sort_block_merge_implIS3_N6thrust23THRUST_200600_302600_NS6detail15normal_iteratorINS9_10device_ptrIiEEEEPS5_jNS1_19radix_merge_compareILb0ELb0EiNS0_19identity_decomposerEEEEE10hipError_tT0_T1_T2_jT3_P12ihipStream_tbPNSt15iterator_traitsISK_E10value_typeEPNSQ_ISL_E10value_typeEPSM_NS1_7vsmem_tEENKUlT_SK_SL_SM_E_clIPiSE_SF_SF_EESJ_SZ_SK_SL_SM_EUlSZ_E1_NS1_11comp_targetILNS1_3genE4ELNS1_11target_archE910ELNS1_3gpuE8ELNS1_3repE0EEENS1_36merge_oddeven_config_static_selectorELNS0_4arch9wavefront6targetE1EEEvSL_
    .private_segment_fixed_size: 0
    .sgpr_count:     25
    .sgpr_spill_count: 0
    .symbol:         _ZN7rocprim17ROCPRIM_400000_NS6detail17trampoline_kernelINS0_14default_configENS1_38merge_sort_block_merge_config_selectorIiNS0_10empty_typeEEEZZNS1_27merge_sort_block_merge_implIS3_N6thrust23THRUST_200600_302600_NS6detail15normal_iteratorINS9_10device_ptrIiEEEEPS5_jNS1_19radix_merge_compareILb0ELb0EiNS0_19identity_decomposerEEEEE10hipError_tT0_T1_T2_jT3_P12ihipStream_tbPNSt15iterator_traitsISK_E10value_typeEPNSQ_ISL_E10value_typeEPSM_NS1_7vsmem_tEENKUlT_SK_SL_SM_E_clIPiSE_SF_SF_EESJ_SZ_SK_SL_SM_EUlSZ_E1_NS1_11comp_targetILNS1_3genE4ELNS1_11target_archE910ELNS1_3gpuE8ELNS1_3repE0EEENS1_36merge_oddeven_config_static_selectorELNS0_4arch9wavefront6targetE1EEEvSL_.kd
    .uniform_work_group_size: 1
    .uses_dynamic_stack: false
    .vgpr_count:     10
    .vgpr_spill_count: 0
    .wavefront_size: 64
  - .agpr_count:     0
    .args:
      - .offset:         0
        .size:           48
        .value_kind:     by_value
    .group_segment_fixed_size: 0
    .kernarg_segment_align: 8
    .kernarg_segment_size: 48
    .language:       OpenCL C
    .language_version:
      - 2
      - 0
    .max_flat_workgroup_size: 256
    .name:           _ZN7rocprim17ROCPRIM_400000_NS6detail17trampoline_kernelINS0_14default_configENS1_38merge_sort_block_merge_config_selectorIiNS0_10empty_typeEEEZZNS1_27merge_sort_block_merge_implIS3_N6thrust23THRUST_200600_302600_NS6detail15normal_iteratorINS9_10device_ptrIiEEEEPS5_jNS1_19radix_merge_compareILb0ELb0EiNS0_19identity_decomposerEEEEE10hipError_tT0_T1_T2_jT3_P12ihipStream_tbPNSt15iterator_traitsISK_E10value_typeEPNSQ_ISL_E10value_typeEPSM_NS1_7vsmem_tEENKUlT_SK_SL_SM_E_clIPiSE_SF_SF_EESJ_SZ_SK_SL_SM_EUlSZ_E1_NS1_11comp_targetILNS1_3genE3ELNS1_11target_archE908ELNS1_3gpuE7ELNS1_3repE0EEENS1_36merge_oddeven_config_static_selectorELNS0_4arch9wavefront6targetE1EEEvSL_
    .private_segment_fixed_size: 0
    .sgpr_count:     4
    .sgpr_spill_count: 0
    .symbol:         _ZN7rocprim17ROCPRIM_400000_NS6detail17trampoline_kernelINS0_14default_configENS1_38merge_sort_block_merge_config_selectorIiNS0_10empty_typeEEEZZNS1_27merge_sort_block_merge_implIS3_N6thrust23THRUST_200600_302600_NS6detail15normal_iteratorINS9_10device_ptrIiEEEEPS5_jNS1_19radix_merge_compareILb0ELb0EiNS0_19identity_decomposerEEEEE10hipError_tT0_T1_T2_jT3_P12ihipStream_tbPNSt15iterator_traitsISK_E10value_typeEPNSQ_ISL_E10value_typeEPSM_NS1_7vsmem_tEENKUlT_SK_SL_SM_E_clIPiSE_SF_SF_EESJ_SZ_SK_SL_SM_EUlSZ_E1_NS1_11comp_targetILNS1_3genE3ELNS1_11target_archE908ELNS1_3gpuE7ELNS1_3repE0EEENS1_36merge_oddeven_config_static_selectorELNS0_4arch9wavefront6targetE1EEEvSL_.kd
    .uniform_work_group_size: 1
    .uses_dynamic_stack: false
    .vgpr_count:     0
    .vgpr_spill_count: 0
    .wavefront_size: 64
  - .agpr_count:     0
    .args:
      - .offset:         0
        .size:           48
        .value_kind:     by_value
    .group_segment_fixed_size: 0
    .kernarg_segment_align: 8
    .kernarg_segment_size: 48
    .language:       OpenCL C
    .language_version:
      - 2
      - 0
    .max_flat_workgroup_size: 256
    .name:           _ZN7rocprim17ROCPRIM_400000_NS6detail17trampoline_kernelINS0_14default_configENS1_38merge_sort_block_merge_config_selectorIiNS0_10empty_typeEEEZZNS1_27merge_sort_block_merge_implIS3_N6thrust23THRUST_200600_302600_NS6detail15normal_iteratorINS9_10device_ptrIiEEEEPS5_jNS1_19radix_merge_compareILb0ELb0EiNS0_19identity_decomposerEEEEE10hipError_tT0_T1_T2_jT3_P12ihipStream_tbPNSt15iterator_traitsISK_E10value_typeEPNSQ_ISL_E10value_typeEPSM_NS1_7vsmem_tEENKUlT_SK_SL_SM_E_clIPiSE_SF_SF_EESJ_SZ_SK_SL_SM_EUlSZ_E1_NS1_11comp_targetILNS1_3genE2ELNS1_11target_archE906ELNS1_3gpuE6ELNS1_3repE0EEENS1_36merge_oddeven_config_static_selectorELNS0_4arch9wavefront6targetE1EEEvSL_
    .private_segment_fixed_size: 0
    .sgpr_count:     4
    .sgpr_spill_count: 0
    .symbol:         _ZN7rocprim17ROCPRIM_400000_NS6detail17trampoline_kernelINS0_14default_configENS1_38merge_sort_block_merge_config_selectorIiNS0_10empty_typeEEEZZNS1_27merge_sort_block_merge_implIS3_N6thrust23THRUST_200600_302600_NS6detail15normal_iteratorINS9_10device_ptrIiEEEEPS5_jNS1_19radix_merge_compareILb0ELb0EiNS0_19identity_decomposerEEEEE10hipError_tT0_T1_T2_jT3_P12ihipStream_tbPNSt15iterator_traitsISK_E10value_typeEPNSQ_ISL_E10value_typeEPSM_NS1_7vsmem_tEENKUlT_SK_SL_SM_E_clIPiSE_SF_SF_EESJ_SZ_SK_SL_SM_EUlSZ_E1_NS1_11comp_targetILNS1_3genE2ELNS1_11target_archE906ELNS1_3gpuE6ELNS1_3repE0EEENS1_36merge_oddeven_config_static_selectorELNS0_4arch9wavefront6targetE1EEEvSL_.kd
    .uniform_work_group_size: 1
    .uses_dynamic_stack: false
    .vgpr_count:     0
    .vgpr_spill_count: 0
    .wavefront_size: 64
  - .agpr_count:     0
    .args:
      - .offset:         0
        .size:           48
        .value_kind:     by_value
    .group_segment_fixed_size: 0
    .kernarg_segment_align: 8
    .kernarg_segment_size: 48
    .language:       OpenCL C
    .language_version:
      - 2
      - 0
    .max_flat_workgroup_size: 256
    .name:           _ZN7rocprim17ROCPRIM_400000_NS6detail17trampoline_kernelINS0_14default_configENS1_38merge_sort_block_merge_config_selectorIiNS0_10empty_typeEEEZZNS1_27merge_sort_block_merge_implIS3_N6thrust23THRUST_200600_302600_NS6detail15normal_iteratorINS9_10device_ptrIiEEEEPS5_jNS1_19radix_merge_compareILb0ELb0EiNS0_19identity_decomposerEEEEE10hipError_tT0_T1_T2_jT3_P12ihipStream_tbPNSt15iterator_traitsISK_E10value_typeEPNSQ_ISL_E10value_typeEPSM_NS1_7vsmem_tEENKUlT_SK_SL_SM_E_clIPiSE_SF_SF_EESJ_SZ_SK_SL_SM_EUlSZ_E1_NS1_11comp_targetILNS1_3genE9ELNS1_11target_archE1100ELNS1_3gpuE3ELNS1_3repE0EEENS1_36merge_oddeven_config_static_selectorELNS0_4arch9wavefront6targetE1EEEvSL_
    .private_segment_fixed_size: 0
    .sgpr_count:     4
    .sgpr_spill_count: 0
    .symbol:         _ZN7rocprim17ROCPRIM_400000_NS6detail17trampoline_kernelINS0_14default_configENS1_38merge_sort_block_merge_config_selectorIiNS0_10empty_typeEEEZZNS1_27merge_sort_block_merge_implIS3_N6thrust23THRUST_200600_302600_NS6detail15normal_iteratorINS9_10device_ptrIiEEEEPS5_jNS1_19radix_merge_compareILb0ELb0EiNS0_19identity_decomposerEEEEE10hipError_tT0_T1_T2_jT3_P12ihipStream_tbPNSt15iterator_traitsISK_E10value_typeEPNSQ_ISL_E10value_typeEPSM_NS1_7vsmem_tEENKUlT_SK_SL_SM_E_clIPiSE_SF_SF_EESJ_SZ_SK_SL_SM_EUlSZ_E1_NS1_11comp_targetILNS1_3genE9ELNS1_11target_archE1100ELNS1_3gpuE3ELNS1_3repE0EEENS1_36merge_oddeven_config_static_selectorELNS0_4arch9wavefront6targetE1EEEvSL_.kd
    .uniform_work_group_size: 1
    .uses_dynamic_stack: false
    .vgpr_count:     0
    .vgpr_spill_count: 0
    .wavefront_size: 64
  - .agpr_count:     0
    .args:
      - .offset:         0
        .size:           48
        .value_kind:     by_value
    .group_segment_fixed_size: 0
    .kernarg_segment_align: 8
    .kernarg_segment_size: 48
    .language:       OpenCL C
    .language_version:
      - 2
      - 0
    .max_flat_workgroup_size: 256
    .name:           _ZN7rocprim17ROCPRIM_400000_NS6detail17trampoline_kernelINS0_14default_configENS1_38merge_sort_block_merge_config_selectorIiNS0_10empty_typeEEEZZNS1_27merge_sort_block_merge_implIS3_N6thrust23THRUST_200600_302600_NS6detail15normal_iteratorINS9_10device_ptrIiEEEEPS5_jNS1_19radix_merge_compareILb0ELb0EiNS0_19identity_decomposerEEEEE10hipError_tT0_T1_T2_jT3_P12ihipStream_tbPNSt15iterator_traitsISK_E10value_typeEPNSQ_ISL_E10value_typeEPSM_NS1_7vsmem_tEENKUlT_SK_SL_SM_E_clIPiSE_SF_SF_EESJ_SZ_SK_SL_SM_EUlSZ_E1_NS1_11comp_targetILNS1_3genE8ELNS1_11target_archE1030ELNS1_3gpuE2ELNS1_3repE0EEENS1_36merge_oddeven_config_static_selectorELNS0_4arch9wavefront6targetE1EEEvSL_
    .private_segment_fixed_size: 0
    .sgpr_count:     4
    .sgpr_spill_count: 0
    .symbol:         _ZN7rocprim17ROCPRIM_400000_NS6detail17trampoline_kernelINS0_14default_configENS1_38merge_sort_block_merge_config_selectorIiNS0_10empty_typeEEEZZNS1_27merge_sort_block_merge_implIS3_N6thrust23THRUST_200600_302600_NS6detail15normal_iteratorINS9_10device_ptrIiEEEEPS5_jNS1_19radix_merge_compareILb0ELb0EiNS0_19identity_decomposerEEEEE10hipError_tT0_T1_T2_jT3_P12ihipStream_tbPNSt15iterator_traitsISK_E10value_typeEPNSQ_ISL_E10value_typeEPSM_NS1_7vsmem_tEENKUlT_SK_SL_SM_E_clIPiSE_SF_SF_EESJ_SZ_SK_SL_SM_EUlSZ_E1_NS1_11comp_targetILNS1_3genE8ELNS1_11target_archE1030ELNS1_3gpuE2ELNS1_3repE0EEENS1_36merge_oddeven_config_static_selectorELNS0_4arch9wavefront6targetE1EEEvSL_.kd
    .uniform_work_group_size: 1
    .uses_dynamic_stack: false
    .vgpr_count:     0
    .vgpr_spill_count: 0
    .wavefront_size: 64
  - .agpr_count:     0
    .args:
      - .offset:         0
        .size:           40
        .value_kind:     by_value
    .group_segment_fixed_size: 0
    .kernarg_segment_align: 8
    .kernarg_segment_size: 40
    .language:       OpenCL C
    .language_version:
      - 2
      - 0
    .max_flat_workgroup_size: 128
    .name:           _ZN7rocprim17ROCPRIM_400000_NS6detail17trampoline_kernelINS0_14default_configENS1_38merge_sort_block_merge_config_selectorIiNS0_10empty_typeEEEZZNS1_27merge_sort_block_merge_implIS3_N6thrust23THRUST_200600_302600_NS6detail15normal_iteratorINS9_10device_ptrIiEEEEPS5_jNS1_19radix_merge_compareILb0ELb0EiNS0_19identity_decomposerEEEEE10hipError_tT0_T1_T2_jT3_P12ihipStream_tbPNSt15iterator_traitsISK_E10value_typeEPNSQ_ISL_E10value_typeEPSM_NS1_7vsmem_tEENKUlT_SK_SL_SM_E_clISE_PiSF_SF_EESJ_SZ_SK_SL_SM_EUlSZ_E_NS1_11comp_targetILNS1_3genE0ELNS1_11target_archE4294967295ELNS1_3gpuE0ELNS1_3repE0EEENS1_48merge_mergepath_partition_config_static_selectorELNS0_4arch9wavefront6targetE1EEEvSL_
    .private_segment_fixed_size: 0
    .sgpr_count:     4
    .sgpr_spill_count: 0
    .symbol:         _ZN7rocprim17ROCPRIM_400000_NS6detail17trampoline_kernelINS0_14default_configENS1_38merge_sort_block_merge_config_selectorIiNS0_10empty_typeEEEZZNS1_27merge_sort_block_merge_implIS3_N6thrust23THRUST_200600_302600_NS6detail15normal_iteratorINS9_10device_ptrIiEEEEPS5_jNS1_19radix_merge_compareILb0ELb0EiNS0_19identity_decomposerEEEEE10hipError_tT0_T1_T2_jT3_P12ihipStream_tbPNSt15iterator_traitsISK_E10value_typeEPNSQ_ISL_E10value_typeEPSM_NS1_7vsmem_tEENKUlT_SK_SL_SM_E_clISE_PiSF_SF_EESJ_SZ_SK_SL_SM_EUlSZ_E_NS1_11comp_targetILNS1_3genE0ELNS1_11target_archE4294967295ELNS1_3gpuE0ELNS1_3repE0EEENS1_48merge_mergepath_partition_config_static_selectorELNS0_4arch9wavefront6targetE1EEEvSL_.kd
    .uniform_work_group_size: 1
    .uses_dynamic_stack: false
    .vgpr_count:     0
    .vgpr_spill_count: 0
    .wavefront_size: 64
  - .agpr_count:     0
    .args:
      - .offset:         0
        .size:           40
        .value_kind:     by_value
    .group_segment_fixed_size: 0
    .kernarg_segment_align: 8
    .kernarg_segment_size: 40
    .language:       OpenCL C
    .language_version:
      - 2
      - 0
    .max_flat_workgroup_size: 128
    .name:           _ZN7rocprim17ROCPRIM_400000_NS6detail17trampoline_kernelINS0_14default_configENS1_38merge_sort_block_merge_config_selectorIiNS0_10empty_typeEEEZZNS1_27merge_sort_block_merge_implIS3_N6thrust23THRUST_200600_302600_NS6detail15normal_iteratorINS9_10device_ptrIiEEEEPS5_jNS1_19radix_merge_compareILb0ELb0EiNS0_19identity_decomposerEEEEE10hipError_tT0_T1_T2_jT3_P12ihipStream_tbPNSt15iterator_traitsISK_E10value_typeEPNSQ_ISL_E10value_typeEPSM_NS1_7vsmem_tEENKUlT_SK_SL_SM_E_clISE_PiSF_SF_EESJ_SZ_SK_SL_SM_EUlSZ_E_NS1_11comp_targetILNS1_3genE10ELNS1_11target_archE1201ELNS1_3gpuE5ELNS1_3repE0EEENS1_48merge_mergepath_partition_config_static_selectorELNS0_4arch9wavefront6targetE1EEEvSL_
    .private_segment_fixed_size: 0
    .sgpr_count:     4
    .sgpr_spill_count: 0
    .symbol:         _ZN7rocprim17ROCPRIM_400000_NS6detail17trampoline_kernelINS0_14default_configENS1_38merge_sort_block_merge_config_selectorIiNS0_10empty_typeEEEZZNS1_27merge_sort_block_merge_implIS3_N6thrust23THRUST_200600_302600_NS6detail15normal_iteratorINS9_10device_ptrIiEEEEPS5_jNS1_19radix_merge_compareILb0ELb0EiNS0_19identity_decomposerEEEEE10hipError_tT0_T1_T2_jT3_P12ihipStream_tbPNSt15iterator_traitsISK_E10value_typeEPNSQ_ISL_E10value_typeEPSM_NS1_7vsmem_tEENKUlT_SK_SL_SM_E_clISE_PiSF_SF_EESJ_SZ_SK_SL_SM_EUlSZ_E_NS1_11comp_targetILNS1_3genE10ELNS1_11target_archE1201ELNS1_3gpuE5ELNS1_3repE0EEENS1_48merge_mergepath_partition_config_static_selectorELNS0_4arch9wavefront6targetE1EEEvSL_.kd
    .uniform_work_group_size: 1
    .uses_dynamic_stack: false
    .vgpr_count:     0
    .vgpr_spill_count: 0
    .wavefront_size: 64
  - .agpr_count:     0
    .args:
      - .offset:         0
        .size:           40
        .value_kind:     by_value
    .group_segment_fixed_size: 0
    .kernarg_segment_align: 8
    .kernarg_segment_size: 40
    .language:       OpenCL C
    .language_version:
      - 2
      - 0
    .max_flat_workgroup_size: 128
    .name:           _ZN7rocprim17ROCPRIM_400000_NS6detail17trampoline_kernelINS0_14default_configENS1_38merge_sort_block_merge_config_selectorIiNS0_10empty_typeEEEZZNS1_27merge_sort_block_merge_implIS3_N6thrust23THRUST_200600_302600_NS6detail15normal_iteratorINS9_10device_ptrIiEEEEPS5_jNS1_19radix_merge_compareILb0ELb0EiNS0_19identity_decomposerEEEEE10hipError_tT0_T1_T2_jT3_P12ihipStream_tbPNSt15iterator_traitsISK_E10value_typeEPNSQ_ISL_E10value_typeEPSM_NS1_7vsmem_tEENKUlT_SK_SL_SM_E_clISE_PiSF_SF_EESJ_SZ_SK_SL_SM_EUlSZ_E_NS1_11comp_targetILNS1_3genE5ELNS1_11target_archE942ELNS1_3gpuE9ELNS1_3repE0EEENS1_48merge_mergepath_partition_config_static_selectorELNS0_4arch9wavefront6targetE1EEEvSL_
    .private_segment_fixed_size: 0
    .sgpr_count:     4
    .sgpr_spill_count: 0
    .symbol:         _ZN7rocprim17ROCPRIM_400000_NS6detail17trampoline_kernelINS0_14default_configENS1_38merge_sort_block_merge_config_selectorIiNS0_10empty_typeEEEZZNS1_27merge_sort_block_merge_implIS3_N6thrust23THRUST_200600_302600_NS6detail15normal_iteratorINS9_10device_ptrIiEEEEPS5_jNS1_19radix_merge_compareILb0ELb0EiNS0_19identity_decomposerEEEEE10hipError_tT0_T1_T2_jT3_P12ihipStream_tbPNSt15iterator_traitsISK_E10value_typeEPNSQ_ISL_E10value_typeEPSM_NS1_7vsmem_tEENKUlT_SK_SL_SM_E_clISE_PiSF_SF_EESJ_SZ_SK_SL_SM_EUlSZ_E_NS1_11comp_targetILNS1_3genE5ELNS1_11target_archE942ELNS1_3gpuE9ELNS1_3repE0EEENS1_48merge_mergepath_partition_config_static_selectorELNS0_4arch9wavefront6targetE1EEEvSL_.kd
    .uniform_work_group_size: 1
    .uses_dynamic_stack: false
    .vgpr_count:     0
    .vgpr_spill_count: 0
    .wavefront_size: 64
  - .agpr_count:     0
    .args:
      - .offset:         0
        .size:           40
        .value_kind:     by_value
    .group_segment_fixed_size: 0
    .kernarg_segment_align: 8
    .kernarg_segment_size: 40
    .language:       OpenCL C
    .language_version:
      - 2
      - 0
    .max_flat_workgroup_size: 128
    .name:           _ZN7rocprim17ROCPRIM_400000_NS6detail17trampoline_kernelINS0_14default_configENS1_38merge_sort_block_merge_config_selectorIiNS0_10empty_typeEEEZZNS1_27merge_sort_block_merge_implIS3_N6thrust23THRUST_200600_302600_NS6detail15normal_iteratorINS9_10device_ptrIiEEEEPS5_jNS1_19radix_merge_compareILb0ELb0EiNS0_19identity_decomposerEEEEE10hipError_tT0_T1_T2_jT3_P12ihipStream_tbPNSt15iterator_traitsISK_E10value_typeEPNSQ_ISL_E10value_typeEPSM_NS1_7vsmem_tEENKUlT_SK_SL_SM_E_clISE_PiSF_SF_EESJ_SZ_SK_SL_SM_EUlSZ_E_NS1_11comp_targetILNS1_3genE4ELNS1_11target_archE910ELNS1_3gpuE8ELNS1_3repE0EEENS1_48merge_mergepath_partition_config_static_selectorELNS0_4arch9wavefront6targetE1EEEvSL_
    .private_segment_fixed_size: 0
    .sgpr_count:     12
    .sgpr_spill_count: 0
    .symbol:         _ZN7rocprim17ROCPRIM_400000_NS6detail17trampoline_kernelINS0_14default_configENS1_38merge_sort_block_merge_config_selectorIiNS0_10empty_typeEEEZZNS1_27merge_sort_block_merge_implIS3_N6thrust23THRUST_200600_302600_NS6detail15normal_iteratorINS9_10device_ptrIiEEEEPS5_jNS1_19radix_merge_compareILb0ELb0EiNS0_19identity_decomposerEEEEE10hipError_tT0_T1_T2_jT3_P12ihipStream_tbPNSt15iterator_traitsISK_E10value_typeEPNSQ_ISL_E10value_typeEPSM_NS1_7vsmem_tEENKUlT_SK_SL_SM_E_clISE_PiSF_SF_EESJ_SZ_SK_SL_SM_EUlSZ_E_NS1_11comp_targetILNS1_3genE4ELNS1_11target_archE910ELNS1_3gpuE8ELNS1_3repE0EEENS1_48merge_mergepath_partition_config_static_selectorELNS0_4arch9wavefront6targetE1EEEvSL_.kd
    .uniform_work_group_size: 1
    .uses_dynamic_stack: false
    .vgpr_count:     17
    .vgpr_spill_count: 0
    .wavefront_size: 64
  - .agpr_count:     0
    .args:
      - .offset:         0
        .size:           40
        .value_kind:     by_value
    .group_segment_fixed_size: 0
    .kernarg_segment_align: 8
    .kernarg_segment_size: 40
    .language:       OpenCL C
    .language_version:
      - 2
      - 0
    .max_flat_workgroup_size: 128
    .name:           _ZN7rocprim17ROCPRIM_400000_NS6detail17trampoline_kernelINS0_14default_configENS1_38merge_sort_block_merge_config_selectorIiNS0_10empty_typeEEEZZNS1_27merge_sort_block_merge_implIS3_N6thrust23THRUST_200600_302600_NS6detail15normal_iteratorINS9_10device_ptrIiEEEEPS5_jNS1_19radix_merge_compareILb0ELb0EiNS0_19identity_decomposerEEEEE10hipError_tT0_T1_T2_jT3_P12ihipStream_tbPNSt15iterator_traitsISK_E10value_typeEPNSQ_ISL_E10value_typeEPSM_NS1_7vsmem_tEENKUlT_SK_SL_SM_E_clISE_PiSF_SF_EESJ_SZ_SK_SL_SM_EUlSZ_E_NS1_11comp_targetILNS1_3genE3ELNS1_11target_archE908ELNS1_3gpuE7ELNS1_3repE0EEENS1_48merge_mergepath_partition_config_static_selectorELNS0_4arch9wavefront6targetE1EEEvSL_
    .private_segment_fixed_size: 0
    .sgpr_count:     4
    .sgpr_spill_count: 0
    .symbol:         _ZN7rocprim17ROCPRIM_400000_NS6detail17trampoline_kernelINS0_14default_configENS1_38merge_sort_block_merge_config_selectorIiNS0_10empty_typeEEEZZNS1_27merge_sort_block_merge_implIS3_N6thrust23THRUST_200600_302600_NS6detail15normal_iteratorINS9_10device_ptrIiEEEEPS5_jNS1_19radix_merge_compareILb0ELb0EiNS0_19identity_decomposerEEEEE10hipError_tT0_T1_T2_jT3_P12ihipStream_tbPNSt15iterator_traitsISK_E10value_typeEPNSQ_ISL_E10value_typeEPSM_NS1_7vsmem_tEENKUlT_SK_SL_SM_E_clISE_PiSF_SF_EESJ_SZ_SK_SL_SM_EUlSZ_E_NS1_11comp_targetILNS1_3genE3ELNS1_11target_archE908ELNS1_3gpuE7ELNS1_3repE0EEENS1_48merge_mergepath_partition_config_static_selectorELNS0_4arch9wavefront6targetE1EEEvSL_.kd
    .uniform_work_group_size: 1
    .uses_dynamic_stack: false
    .vgpr_count:     0
    .vgpr_spill_count: 0
    .wavefront_size: 64
  - .agpr_count:     0
    .args:
      - .offset:         0
        .size:           40
        .value_kind:     by_value
    .group_segment_fixed_size: 0
    .kernarg_segment_align: 8
    .kernarg_segment_size: 40
    .language:       OpenCL C
    .language_version:
      - 2
      - 0
    .max_flat_workgroup_size: 128
    .name:           _ZN7rocprim17ROCPRIM_400000_NS6detail17trampoline_kernelINS0_14default_configENS1_38merge_sort_block_merge_config_selectorIiNS0_10empty_typeEEEZZNS1_27merge_sort_block_merge_implIS3_N6thrust23THRUST_200600_302600_NS6detail15normal_iteratorINS9_10device_ptrIiEEEEPS5_jNS1_19radix_merge_compareILb0ELb0EiNS0_19identity_decomposerEEEEE10hipError_tT0_T1_T2_jT3_P12ihipStream_tbPNSt15iterator_traitsISK_E10value_typeEPNSQ_ISL_E10value_typeEPSM_NS1_7vsmem_tEENKUlT_SK_SL_SM_E_clISE_PiSF_SF_EESJ_SZ_SK_SL_SM_EUlSZ_E_NS1_11comp_targetILNS1_3genE2ELNS1_11target_archE906ELNS1_3gpuE6ELNS1_3repE0EEENS1_48merge_mergepath_partition_config_static_selectorELNS0_4arch9wavefront6targetE1EEEvSL_
    .private_segment_fixed_size: 0
    .sgpr_count:     4
    .sgpr_spill_count: 0
    .symbol:         _ZN7rocprim17ROCPRIM_400000_NS6detail17trampoline_kernelINS0_14default_configENS1_38merge_sort_block_merge_config_selectorIiNS0_10empty_typeEEEZZNS1_27merge_sort_block_merge_implIS3_N6thrust23THRUST_200600_302600_NS6detail15normal_iteratorINS9_10device_ptrIiEEEEPS5_jNS1_19radix_merge_compareILb0ELb0EiNS0_19identity_decomposerEEEEE10hipError_tT0_T1_T2_jT3_P12ihipStream_tbPNSt15iterator_traitsISK_E10value_typeEPNSQ_ISL_E10value_typeEPSM_NS1_7vsmem_tEENKUlT_SK_SL_SM_E_clISE_PiSF_SF_EESJ_SZ_SK_SL_SM_EUlSZ_E_NS1_11comp_targetILNS1_3genE2ELNS1_11target_archE906ELNS1_3gpuE6ELNS1_3repE0EEENS1_48merge_mergepath_partition_config_static_selectorELNS0_4arch9wavefront6targetE1EEEvSL_.kd
    .uniform_work_group_size: 1
    .uses_dynamic_stack: false
    .vgpr_count:     0
    .vgpr_spill_count: 0
    .wavefront_size: 64
  - .agpr_count:     0
    .args:
      - .offset:         0
        .size:           40
        .value_kind:     by_value
    .group_segment_fixed_size: 0
    .kernarg_segment_align: 8
    .kernarg_segment_size: 40
    .language:       OpenCL C
    .language_version:
      - 2
      - 0
    .max_flat_workgroup_size: 128
    .name:           _ZN7rocprim17ROCPRIM_400000_NS6detail17trampoline_kernelINS0_14default_configENS1_38merge_sort_block_merge_config_selectorIiNS0_10empty_typeEEEZZNS1_27merge_sort_block_merge_implIS3_N6thrust23THRUST_200600_302600_NS6detail15normal_iteratorINS9_10device_ptrIiEEEEPS5_jNS1_19radix_merge_compareILb0ELb0EiNS0_19identity_decomposerEEEEE10hipError_tT0_T1_T2_jT3_P12ihipStream_tbPNSt15iterator_traitsISK_E10value_typeEPNSQ_ISL_E10value_typeEPSM_NS1_7vsmem_tEENKUlT_SK_SL_SM_E_clISE_PiSF_SF_EESJ_SZ_SK_SL_SM_EUlSZ_E_NS1_11comp_targetILNS1_3genE9ELNS1_11target_archE1100ELNS1_3gpuE3ELNS1_3repE0EEENS1_48merge_mergepath_partition_config_static_selectorELNS0_4arch9wavefront6targetE1EEEvSL_
    .private_segment_fixed_size: 0
    .sgpr_count:     4
    .sgpr_spill_count: 0
    .symbol:         _ZN7rocprim17ROCPRIM_400000_NS6detail17trampoline_kernelINS0_14default_configENS1_38merge_sort_block_merge_config_selectorIiNS0_10empty_typeEEEZZNS1_27merge_sort_block_merge_implIS3_N6thrust23THRUST_200600_302600_NS6detail15normal_iteratorINS9_10device_ptrIiEEEEPS5_jNS1_19radix_merge_compareILb0ELb0EiNS0_19identity_decomposerEEEEE10hipError_tT0_T1_T2_jT3_P12ihipStream_tbPNSt15iterator_traitsISK_E10value_typeEPNSQ_ISL_E10value_typeEPSM_NS1_7vsmem_tEENKUlT_SK_SL_SM_E_clISE_PiSF_SF_EESJ_SZ_SK_SL_SM_EUlSZ_E_NS1_11comp_targetILNS1_3genE9ELNS1_11target_archE1100ELNS1_3gpuE3ELNS1_3repE0EEENS1_48merge_mergepath_partition_config_static_selectorELNS0_4arch9wavefront6targetE1EEEvSL_.kd
    .uniform_work_group_size: 1
    .uses_dynamic_stack: false
    .vgpr_count:     0
    .vgpr_spill_count: 0
    .wavefront_size: 64
  - .agpr_count:     0
    .args:
      - .offset:         0
        .size:           40
        .value_kind:     by_value
    .group_segment_fixed_size: 0
    .kernarg_segment_align: 8
    .kernarg_segment_size: 40
    .language:       OpenCL C
    .language_version:
      - 2
      - 0
    .max_flat_workgroup_size: 128
    .name:           _ZN7rocprim17ROCPRIM_400000_NS6detail17trampoline_kernelINS0_14default_configENS1_38merge_sort_block_merge_config_selectorIiNS0_10empty_typeEEEZZNS1_27merge_sort_block_merge_implIS3_N6thrust23THRUST_200600_302600_NS6detail15normal_iteratorINS9_10device_ptrIiEEEEPS5_jNS1_19radix_merge_compareILb0ELb0EiNS0_19identity_decomposerEEEEE10hipError_tT0_T1_T2_jT3_P12ihipStream_tbPNSt15iterator_traitsISK_E10value_typeEPNSQ_ISL_E10value_typeEPSM_NS1_7vsmem_tEENKUlT_SK_SL_SM_E_clISE_PiSF_SF_EESJ_SZ_SK_SL_SM_EUlSZ_E_NS1_11comp_targetILNS1_3genE8ELNS1_11target_archE1030ELNS1_3gpuE2ELNS1_3repE0EEENS1_48merge_mergepath_partition_config_static_selectorELNS0_4arch9wavefront6targetE1EEEvSL_
    .private_segment_fixed_size: 0
    .sgpr_count:     4
    .sgpr_spill_count: 0
    .symbol:         _ZN7rocprim17ROCPRIM_400000_NS6detail17trampoline_kernelINS0_14default_configENS1_38merge_sort_block_merge_config_selectorIiNS0_10empty_typeEEEZZNS1_27merge_sort_block_merge_implIS3_N6thrust23THRUST_200600_302600_NS6detail15normal_iteratorINS9_10device_ptrIiEEEEPS5_jNS1_19radix_merge_compareILb0ELb0EiNS0_19identity_decomposerEEEEE10hipError_tT0_T1_T2_jT3_P12ihipStream_tbPNSt15iterator_traitsISK_E10value_typeEPNSQ_ISL_E10value_typeEPSM_NS1_7vsmem_tEENKUlT_SK_SL_SM_E_clISE_PiSF_SF_EESJ_SZ_SK_SL_SM_EUlSZ_E_NS1_11comp_targetILNS1_3genE8ELNS1_11target_archE1030ELNS1_3gpuE2ELNS1_3repE0EEENS1_48merge_mergepath_partition_config_static_selectorELNS0_4arch9wavefront6targetE1EEEvSL_.kd
    .uniform_work_group_size: 1
    .uses_dynamic_stack: false
    .vgpr_count:     0
    .vgpr_spill_count: 0
    .wavefront_size: 64
  - .agpr_count:     0
    .args:
      - .offset:         0
        .size:           64
        .value_kind:     by_value
    .group_segment_fixed_size: 0
    .kernarg_segment_align: 8
    .kernarg_segment_size: 64
    .language:       OpenCL C
    .language_version:
      - 2
      - 0
    .max_flat_workgroup_size: 128
    .name:           _ZN7rocprim17ROCPRIM_400000_NS6detail17trampoline_kernelINS0_14default_configENS1_38merge_sort_block_merge_config_selectorIiNS0_10empty_typeEEEZZNS1_27merge_sort_block_merge_implIS3_N6thrust23THRUST_200600_302600_NS6detail15normal_iteratorINS9_10device_ptrIiEEEEPS5_jNS1_19radix_merge_compareILb0ELb0EiNS0_19identity_decomposerEEEEE10hipError_tT0_T1_T2_jT3_P12ihipStream_tbPNSt15iterator_traitsISK_E10value_typeEPNSQ_ISL_E10value_typeEPSM_NS1_7vsmem_tEENKUlT_SK_SL_SM_E_clISE_PiSF_SF_EESJ_SZ_SK_SL_SM_EUlSZ_E0_NS1_11comp_targetILNS1_3genE0ELNS1_11target_archE4294967295ELNS1_3gpuE0ELNS1_3repE0EEENS1_38merge_mergepath_config_static_selectorELNS0_4arch9wavefront6targetE1EEEvSL_
    .private_segment_fixed_size: 0
    .sgpr_count:     4
    .sgpr_spill_count: 0
    .symbol:         _ZN7rocprim17ROCPRIM_400000_NS6detail17trampoline_kernelINS0_14default_configENS1_38merge_sort_block_merge_config_selectorIiNS0_10empty_typeEEEZZNS1_27merge_sort_block_merge_implIS3_N6thrust23THRUST_200600_302600_NS6detail15normal_iteratorINS9_10device_ptrIiEEEEPS5_jNS1_19radix_merge_compareILb0ELb0EiNS0_19identity_decomposerEEEEE10hipError_tT0_T1_T2_jT3_P12ihipStream_tbPNSt15iterator_traitsISK_E10value_typeEPNSQ_ISL_E10value_typeEPSM_NS1_7vsmem_tEENKUlT_SK_SL_SM_E_clISE_PiSF_SF_EESJ_SZ_SK_SL_SM_EUlSZ_E0_NS1_11comp_targetILNS1_3genE0ELNS1_11target_archE4294967295ELNS1_3gpuE0ELNS1_3repE0EEENS1_38merge_mergepath_config_static_selectorELNS0_4arch9wavefront6targetE1EEEvSL_.kd
    .uniform_work_group_size: 1
    .uses_dynamic_stack: false
    .vgpr_count:     0
    .vgpr_spill_count: 0
    .wavefront_size: 64
  - .agpr_count:     0
    .args:
      - .offset:         0
        .size:           64
        .value_kind:     by_value
    .group_segment_fixed_size: 0
    .kernarg_segment_align: 8
    .kernarg_segment_size: 64
    .language:       OpenCL C
    .language_version:
      - 2
      - 0
    .max_flat_workgroup_size: 256
    .name:           _ZN7rocprim17ROCPRIM_400000_NS6detail17trampoline_kernelINS0_14default_configENS1_38merge_sort_block_merge_config_selectorIiNS0_10empty_typeEEEZZNS1_27merge_sort_block_merge_implIS3_N6thrust23THRUST_200600_302600_NS6detail15normal_iteratorINS9_10device_ptrIiEEEEPS5_jNS1_19radix_merge_compareILb0ELb0EiNS0_19identity_decomposerEEEEE10hipError_tT0_T1_T2_jT3_P12ihipStream_tbPNSt15iterator_traitsISK_E10value_typeEPNSQ_ISL_E10value_typeEPSM_NS1_7vsmem_tEENKUlT_SK_SL_SM_E_clISE_PiSF_SF_EESJ_SZ_SK_SL_SM_EUlSZ_E0_NS1_11comp_targetILNS1_3genE10ELNS1_11target_archE1201ELNS1_3gpuE5ELNS1_3repE0EEENS1_38merge_mergepath_config_static_selectorELNS0_4arch9wavefront6targetE1EEEvSL_
    .private_segment_fixed_size: 0
    .sgpr_count:     4
    .sgpr_spill_count: 0
    .symbol:         _ZN7rocprim17ROCPRIM_400000_NS6detail17trampoline_kernelINS0_14default_configENS1_38merge_sort_block_merge_config_selectorIiNS0_10empty_typeEEEZZNS1_27merge_sort_block_merge_implIS3_N6thrust23THRUST_200600_302600_NS6detail15normal_iteratorINS9_10device_ptrIiEEEEPS5_jNS1_19radix_merge_compareILb0ELb0EiNS0_19identity_decomposerEEEEE10hipError_tT0_T1_T2_jT3_P12ihipStream_tbPNSt15iterator_traitsISK_E10value_typeEPNSQ_ISL_E10value_typeEPSM_NS1_7vsmem_tEENKUlT_SK_SL_SM_E_clISE_PiSF_SF_EESJ_SZ_SK_SL_SM_EUlSZ_E0_NS1_11comp_targetILNS1_3genE10ELNS1_11target_archE1201ELNS1_3gpuE5ELNS1_3repE0EEENS1_38merge_mergepath_config_static_selectorELNS0_4arch9wavefront6targetE1EEEvSL_.kd
    .uniform_work_group_size: 1
    .uses_dynamic_stack: false
    .vgpr_count:     0
    .vgpr_spill_count: 0
    .wavefront_size: 64
  - .agpr_count:     0
    .args:
      - .offset:         0
        .size:           64
        .value_kind:     by_value
    .group_segment_fixed_size: 0
    .kernarg_segment_align: 8
    .kernarg_segment_size: 64
    .language:       OpenCL C
    .language_version:
      - 2
      - 0
    .max_flat_workgroup_size: 128
    .name:           _ZN7rocprim17ROCPRIM_400000_NS6detail17trampoline_kernelINS0_14default_configENS1_38merge_sort_block_merge_config_selectorIiNS0_10empty_typeEEEZZNS1_27merge_sort_block_merge_implIS3_N6thrust23THRUST_200600_302600_NS6detail15normal_iteratorINS9_10device_ptrIiEEEEPS5_jNS1_19radix_merge_compareILb0ELb0EiNS0_19identity_decomposerEEEEE10hipError_tT0_T1_T2_jT3_P12ihipStream_tbPNSt15iterator_traitsISK_E10value_typeEPNSQ_ISL_E10value_typeEPSM_NS1_7vsmem_tEENKUlT_SK_SL_SM_E_clISE_PiSF_SF_EESJ_SZ_SK_SL_SM_EUlSZ_E0_NS1_11comp_targetILNS1_3genE5ELNS1_11target_archE942ELNS1_3gpuE9ELNS1_3repE0EEENS1_38merge_mergepath_config_static_selectorELNS0_4arch9wavefront6targetE1EEEvSL_
    .private_segment_fixed_size: 0
    .sgpr_count:     4
    .sgpr_spill_count: 0
    .symbol:         _ZN7rocprim17ROCPRIM_400000_NS6detail17trampoline_kernelINS0_14default_configENS1_38merge_sort_block_merge_config_selectorIiNS0_10empty_typeEEEZZNS1_27merge_sort_block_merge_implIS3_N6thrust23THRUST_200600_302600_NS6detail15normal_iteratorINS9_10device_ptrIiEEEEPS5_jNS1_19radix_merge_compareILb0ELb0EiNS0_19identity_decomposerEEEEE10hipError_tT0_T1_T2_jT3_P12ihipStream_tbPNSt15iterator_traitsISK_E10value_typeEPNSQ_ISL_E10value_typeEPSM_NS1_7vsmem_tEENKUlT_SK_SL_SM_E_clISE_PiSF_SF_EESJ_SZ_SK_SL_SM_EUlSZ_E0_NS1_11comp_targetILNS1_3genE5ELNS1_11target_archE942ELNS1_3gpuE9ELNS1_3repE0EEENS1_38merge_mergepath_config_static_selectorELNS0_4arch9wavefront6targetE1EEEvSL_.kd
    .uniform_work_group_size: 1
    .uses_dynamic_stack: false
    .vgpr_count:     0
    .vgpr_spill_count: 0
    .wavefront_size: 64
  - .agpr_count:     0
    .args:
      - .offset:         0
        .size:           64
        .value_kind:     by_value
      - .offset:         64
        .size:           4
        .value_kind:     hidden_block_count_x
      - .offset:         68
        .size:           4
        .value_kind:     hidden_block_count_y
      - .offset:         72
        .size:           4
        .value_kind:     hidden_block_count_z
      - .offset:         76
        .size:           2
        .value_kind:     hidden_group_size_x
      - .offset:         78
        .size:           2
        .value_kind:     hidden_group_size_y
      - .offset:         80
        .size:           2
        .value_kind:     hidden_group_size_z
      - .offset:         82
        .size:           2
        .value_kind:     hidden_remainder_x
      - .offset:         84
        .size:           2
        .value_kind:     hidden_remainder_y
      - .offset:         86
        .size:           2
        .value_kind:     hidden_remainder_z
      - .offset:         104
        .size:           8
        .value_kind:     hidden_global_offset_x
      - .offset:         112
        .size:           8
        .value_kind:     hidden_global_offset_y
      - .offset:         120
        .size:           8
        .value_kind:     hidden_global_offset_z
      - .offset:         128
        .size:           2
        .value_kind:     hidden_grid_dims
    .group_segment_fixed_size: 4224
    .kernarg_segment_align: 8
    .kernarg_segment_size: 320
    .language:       OpenCL C
    .language_version:
      - 2
      - 0
    .max_flat_workgroup_size: 128
    .name:           _ZN7rocprim17ROCPRIM_400000_NS6detail17trampoline_kernelINS0_14default_configENS1_38merge_sort_block_merge_config_selectorIiNS0_10empty_typeEEEZZNS1_27merge_sort_block_merge_implIS3_N6thrust23THRUST_200600_302600_NS6detail15normal_iteratorINS9_10device_ptrIiEEEEPS5_jNS1_19radix_merge_compareILb0ELb0EiNS0_19identity_decomposerEEEEE10hipError_tT0_T1_T2_jT3_P12ihipStream_tbPNSt15iterator_traitsISK_E10value_typeEPNSQ_ISL_E10value_typeEPSM_NS1_7vsmem_tEENKUlT_SK_SL_SM_E_clISE_PiSF_SF_EESJ_SZ_SK_SL_SM_EUlSZ_E0_NS1_11comp_targetILNS1_3genE4ELNS1_11target_archE910ELNS1_3gpuE8ELNS1_3repE0EEENS1_38merge_mergepath_config_static_selectorELNS0_4arch9wavefront6targetE1EEEvSL_
    .private_segment_fixed_size: 0
    .sgpr_count:     28
    .sgpr_spill_count: 0
    .symbol:         _ZN7rocprim17ROCPRIM_400000_NS6detail17trampoline_kernelINS0_14default_configENS1_38merge_sort_block_merge_config_selectorIiNS0_10empty_typeEEEZZNS1_27merge_sort_block_merge_implIS3_N6thrust23THRUST_200600_302600_NS6detail15normal_iteratorINS9_10device_ptrIiEEEEPS5_jNS1_19radix_merge_compareILb0ELb0EiNS0_19identity_decomposerEEEEE10hipError_tT0_T1_T2_jT3_P12ihipStream_tbPNSt15iterator_traitsISK_E10value_typeEPNSQ_ISL_E10value_typeEPSM_NS1_7vsmem_tEENKUlT_SK_SL_SM_E_clISE_PiSF_SF_EESJ_SZ_SK_SL_SM_EUlSZ_E0_NS1_11comp_targetILNS1_3genE4ELNS1_11target_archE910ELNS1_3gpuE8ELNS1_3repE0EEENS1_38merge_mergepath_config_static_selectorELNS0_4arch9wavefront6targetE1EEEvSL_.kd
    .uniform_work_group_size: 1
    .uses_dynamic_stack: false
    .vgpr_count:     26
    .vgpr_spill_count: 0
    .wavefront_size: 64
  - .agpr_count:     0
    .args:
      - .offset:         0
        .size:           64
        .value_kind:     by_value
    .group_segment_fixed_size: 0
    .kernarg_segment_align: 8
    .kernarg_segment_size: 64
    .language:       OpenCL C
    .language_version:
      - 2
      - 0
    .max_flat_workgroup_size: 128
    .name:           _ZN7rocprim17ROCPRIM_400000_NS6detail17trampoline_kernelINS0_14default_configENS1_38merge_sort_block_merge_config_selectorIiNS0_10empty_typeEEEZZNS1_27merge_sort_block_merge_implIS3_N6thrust23THRUST_200600_302600_NS6detail15normal_iteratorINS9_10device_ptrIiEEEEPS5_jNS1_19radix_merge_compareILb0ELb0EiNS0_19identity_decomposerEEEEE10hipError_tT0_T1_T2_jT3_P12ihipStream_tbPNSt15iterator_traitsISK_E10value_typeEPNSQ_ISL_E10value_typeEPSM_NS1_7vsmem_tEENKUlT_SK_SL_SM_E_clISE_PiSF_SF_EESJ_SZ_SK_SL_SM_EUlSZ_E0_NS1_11comp_targetILNS1_3genE3ELNS1_11target_archE908ELNS1_3gpuE7ELNS1_3repE0EEENS1_38merge_mergepath_config_static_selectorELNS0_4arch9wavefront6targetE1EEEvSL_
    .private_segment_fixed_size: 0
    .sgpr_count:     4
    .sgpr_spill_count: 0
    .symbol:         _ZN7rocprim17ROCPRIM_400000_NS6detail17trampoline_kernelINS0_14default_configENS1_38merge_sort_block_merge_config_selectorIiNS0_10empty_typeEEEZZNS1_27merge_sort_block_merge_implIS3_N6thrust23THRUST_200600_302600_NS6detail15normal_iteratorINS9_10device_ptrIiEEEEPS5_jNS1_19radix_merge_compareILb0ELb0EiNS0_19identity_decomposerEEEEE10hipError_tT0_T1_T2_jT3_P12ihipStream_tbPNSt15iterator_traitsISK_E10value_typeEPNSQ_ISL_E10value_typeEPSM_NS1_7vsmem_tEENKUlT_SK_SL_SM_E_clISE_PiSF_SF_EESJ_SZ_SK_SL_SM_EUlSZ_E0_NS1_11comp_targetILNS1_3genE3ELNS1_11target_archE908ELNS1_3gpuE7ELNS1_3repE0EEENS1_38merge_mergepath_config_static_selectorELNS0_4arch9wavefront6targetE1EEEvSL_.kd
    .uniform_work_group_size: 1
    .uses_dynamic_stack: false
    .vgpr_count:     0
    .vgpr_spill_count: 0
    .wavefront_size: 64
  - .agpr_count:     0
    .args:
      - .offset:         0
        .size:           64
        .value_kind:     by_value
    .group_segment_fixed_size: 0
    .kernarg_segment_align: 8
    .kernarg_segment_size: 64
    .language:       OpenCL C
    .language_version:
      - 2
      - 0
    .max_flat_workgroup_size: 128
    .name:           _ZN7rocprim17ROCPRIM_400000_NS6detail17trampoline_kernelINS0_14default_configENS1_38merge_sort_block_merge_config_selectorIiNS0_10empty_typeEEEZZNS1_27merge_sort_block_merge_implIS3_N6thrust23THRUST_200600_302600_NS6detail15normal_iteratorINS9_10device_ptrIiEEEEPS5_jNS1_19radix_merge_compareILb0ELb0EiNS0_19identity_decomposerEEEEE10hipError_tT0_T1_T2_jT3_P12ihipStream_tbPNSt15iterator_traitsISK_E10value_typeEPNSQ_ISL_E10value_typeEPSM_NS1_7vsmem_tEENKUlT_SK_SL_SM_E_clISE_PiSF_SF_EESJ_SZ_SK_SL_SM_EUlSZ_E0_NS1_11comp_targetILNS1_3genE2ELNS1_11target_archE906ELNS1_3gpuE6ELNS1_3repE0EEENS1_38merge_mergepath_config_static_selectorELNS0_4arch9wavefront6targetE1EEEvSL_
    .private_segment_fixed_size: 0
    .sgpr_count:     4
    .sgpr_spill_count: 0
    .symbol:         _ZN7rocprim17ROCPRIM_400000_NS6detail17trampoline_kernelINS0_14default_configENS1_38merge_sort_block_merge_config_selectorIiNS0_10empty_typeEEEZZNS1_27merge_sort_block_merge_implIS3_N6thrust23THRUST_200600_302600_NS6detail15normal_iteratorINS9_10device_ptrIiEEEEPS5_jNS1_19radix_merge_compareILb0ELb0EiNS0_19identity_decomposerEEEEE10hipError_tT0_T1_T2_jT3_P12ihipStream_tbPNSt15iterator_traitsISK_E10value_typeEPNSQ_ISL_E10value_typeEPSM_NS1_7vsmem_tEENKUlT_SK_SL_SM_E_clISE_PiSF_SF_EESJ_SZ_SK_SL_SM_EUlSZ_E0_NS1_11comp_targetILNS1_3genE2ELNS1_11target_archE906ELNS1_3gpuE6ELNS1_3repE0EEENS1_38merge_mergepath_config_static_selectorELNS0_4arch9wavefront6targetE1EEEvSL_.kd
    .uniform_work_group_size: 1
    .uses_dynamic_stack: false
    .vgpr_count:     0
    .vgpr_spill_count: 0
    .wavefront_size: 64
  - .agpr_count:     0
    .args:
      - .offset:         0
        .size:           64
        .value_kind:     by_value
    .group_segment_fixed_size: 0
    .kernarg_segment_align: 8
    .kernarg_segment_size: 64
    .language:       OpenCL C
    .language_version:
      - 2
      - 0
    .max_flat_workgroup_size: 256
    .name:           _ZN7rocprim17ROCPRIM_400000_NS6detail17trampoline_kernelINS0_14default_configENS1_38merge_sort_block_merge_config_selectorIiNS0_10empty_typeEEEZZNS1_27merge_sort_block_merge_implIS3_N6thrust23THRUST_200600_302600_NS6detail15normal_iteratorINS9_10device_ptrIiEEEEPS5_jNS1_19radix_merge_compareILb0ELb0EiNS0_19identity_decomposerEEEEE10hipError_tT0_T1_T2_jT3_P12ihipStream_tbPNSt15iterator_traitsISK_E10value_typeEPNSQ_ISL_E10value_typeEPSM_NS1_7vsmem_tEENKUlT_SK_SL_SM_E_clISE_PiSF_SF_EESJ_SZ_SK_SL_SM_EUlSZ_E0_NS1_11comp_targetILNS1_3genE9ELNS1_11target_archE1100ELNS1_3gpuE3ELNS1_3repE0EEENS1_38merge_mergepath_config_static_selectorELNS0_4arch9wavefront6targetE1EEEvSL_
    .private_segment_fixed_size: 0
    .sgpr_count:     4
    .sgpr_spill_count: 0
    .symbol:         _ZN7rocprim17ROCPRIM_400000_NS6detail17trampoline_kernelINS0_14default_configENS1_38merge_sort_block_merge_config_selectorIiNS0_10empty_typeEEEZZNS1_27merge_sort_block_merge_implIS3_N6thrust23THRUST_200600_302600_NS6detail15normal_iteratorINS9_10device_ptrIiEEEEPS5_jNS1_19radix_merge_compareILb0ELb0EiNS0_19identity_decomposerEEEEE10hipError_tT0_T1_T2_jT3_P12ihipStream_tbPNSt15iterator_traitsISK_E10value_typeEPNSQ_ISL_E10value_typeEPSM_NS1_7vsmem_tEENKUlT_SK_SL_SM_E_clISE_PiSF_SF_EESJ_SZ_SK_SL_SM_EUlSZ_E0_NS1_11comp_targetILNS1_3genE9ELNS1_11target_archE1100ELNS1_3gpuE3ELNS1_3repE0EEENS1_38merge_mergepath_config_static_selectorELNS0_4arch9wavefront6targetE1EEEvSL_.kd
    .uniform_work_group_size: 1
    .uses_dynamic_stack: false
    .vgpr_count:     0
    .vgpr_spill_count: 0
    .wavefront_size: 64
  - .agpr_count:     0
    .args:
      - .offset:         0
        .size:           64
        .value_kind:     by_value
    .group_segment_fixed_size: 0
    .kernarg_segment_align: 8
    .kernarg_segment_size: 64
    .language:       OpenCL C
    .language_version:
      - 2
      - 0
    .max_flat_workgroup_size: 512
    .name:           _ZN7rocprim17ROCPRIM_400000_NS6detail17trampoline_kernelINS0_14default_configENS1_38merge_sort_block_merge_config_selectorIiNS0_10empty_typeEEEZZNS1_27merge_sort_block_merge_implIS3_N6thrust23THRUST_200600_302600_NS6detail15normal_iteratorINS9_10device_ptrIiEEEEPS5_jNS1_19radix_merge_compareILb0ELb0EiNS0_19identity_decomposerEEEEE10hipError_tT0_T1_T2_jT3_P12ihipStream_tbPNSt15iterator_traitsISK_E10value_typeEPNSQ_ISL_E10value_typeEPSM_NS1_7vsmem_tEENKUlT_SK_SL_SM_E_clISE_PiSF_SF_EESJ_SZ_SK_SL_SM_EUlSZ_E0_NS1_11comp_targetILNS1_3genE8ELNS1_11target_archE1030ELNS1_3gpuE2ELNS1_3repE0EEENS1_38merge_mergepath_config_static_selectorELNS0_4arch9wavefront6targetE1EEEvSL_
    .private_segment_fixed_size: 0
    .sgpr_count:     4
    .sgpr_spill_count: 0
    .symbol:         _ZN7rocprim17ROCPRIM_400000_NS6detail17trampoline_kernelINS0_14default_configENS1_38merge_sort_block_merge_config_selectorIiNS0_10empty_typeEEEZZNS1_27merge_sort_block_merge_implIS3_N6thrust23THRUST_200600_302600_NS6detail15normal_iteratorINS9_10device_ptrIiEEEEPS5_jNS1_19radix_merge_compareILb0ELb0EiNS0_19identity_decomposerEEEEE10hipError_tT0_T1_T2_jT3_P12ihipStream_tbPNSt15iterator_traitsISK_E10value_typeEPNSQ_ISL_E10value_typeEPSM_NS1_7vsmem_tEENKUlT_SK_SL_SM_E_clISE_PiSF_SF_EESJ_SZ_SK_SL_SM_EUlSZ_E0_NS1_11comp_targetILNS1_3genE8ELNS1_11target_archE1030ELNS1_3gpuE2ELNS1_3repE0EEENS1_38merge_mergepath_config_static_selectorELNS0_4arch9wavefront6targetE1EEEvSL_.kd
    .uniform_work_group_size: 1
    .uses_dynamic_stack: false
    .vgpr_count:     0
    .vgpr_spill_count: 0
    .wavefront_size: 64
  - .agpr_count:     0
    .args:
      - .offset:         0
        .size:           48
        .value_kind:     by_value
    .group_segment_fixed_size: 0
    .kernarg_segment_align: 8
    .kernarg_segment_size: 48
    .language:       OpenCL C
    .language_version:
      - 2
      - 0
    .max_flat_workgroup_size: 256
    .name:           _ZN7rocprim17ROCPRIM_400000_NS6detail17trampoline_kernelINS0_14default_configENS1_38merge_sort_block_merge_config_selectorIiNS0_10empty_typeEEEZZNS1_27merge_sort_block_merge_implIS3_N6thrust23THRUST_200600_302600_NS6detail15normal_iteratorINS9_10device_ptrIiEEEEPS5_jNS1_19radix_merge_compareILb0ELb0EiNS0_19identity_decomposerEEEEE10hipError_tT0_T1_T2_jT3_P12ihipStream_tbPNSt15iterator_traitsISK_E10value_typeEPNSQ_ISL_E10value_typeEPSM_NS1_7vsmem_tEENKUlT_SK_SL_SM_E_clISE_PiSF_SF_EESJ_SZ_SK_SL_SM_EUlSZ_E1_NS1_11comp_targetILNS1_3genE0ELNS1_11target_archE4294967295ELNS1_3gpuE0ELNS1_3repE0EEENS1_36merge_oddeven_config_static_selectorELNS0_4arch9wavefront6targetE1EEEvSL_
    .private_segment_fixed_size: 0
    .sgpr_count:     4
    .sgpr_spill_count: 0
    .symbol:         _ZN7rocprim17ROCPRIM_400000_NS6detail17trampoline_kernelINS0_14default_configENS1_38merge_sort_block_merge_config_selectorIiNS0_10empty_typeEEEZZNS1_27merge_sort_block_merge_implIS3_N6thrust23THRUST_200600_302600_NS6detail15normal_iteratorINS9_10device_ptrIiEEEEPS5_jNS1_19radix_merge_compareILb0ELb0EiNS0_19identity_decomposerEEEEE10hipError_tT0_T1_T2_jT3_P12ihipStream_tbPNSt15iterator_traitsISK_E10value_typeEPNSQ_ISL_E10value_typeEPSM_NS1_7vsmem_tEENKUlT_SK_SL_SM_E_clISE_PiSF_SF_EESJ_SZ_SK_SL_SM_EUlSZ_E1_NS1_11comp_targetILNS1_3genE0ELNS1_11target_archE4294967295ELNS1_3gpuE0ELNS1_3repE0EEENS1_36merge_oddeven_config_static_selectorELNS0_4arch9wavefront6targetE1EEEvSL_.kd
    .uniform_work_group_size: 1
    .uses_dynamic_stack: false
    .vgpr_count:     0
    .vgpr_spill_count: 0
    .wavefront_size: 64
  - .agpr_count:     0
    .args:
      - .offset:         0
        .size:           48
        .value_kind:     by_value
    .group_segment_fixed_size: 0
    .kernarg_segment_align: 8
    .kernarg_segment_size: 48
    .language:       OpenCL C
    .language_version:
      - 2
      - 0
    .max_flat_workgroup_size: 256
    .name:           _ZN7rocprim17ROCPRIM_400000_NS6detail17trampoline_kernelINS0_14default_configENS1_38merge_sort_block_merge_config_selectorIiNS0_10empty_typeEEEZZNS1_27merge_sort_block_merge_implIS3_N6thrust23THRUST_200600_302600_NS6detail15normal_iteratorINS9_10device_ptrIiEEEEPS5_jNS1_19radix_merge_compareILb0ELb0EiNS0_19identity_decomposerEEEEE10hipError_tT0_T1_T2_jT3_P12ihipStream_tbPNSt15iterator_traitsISK_E10value_typeEPNSQ_ISL_E10value_typeEPSM_NS1_7vsmem_tEENKUlT_SK_SL_SM_E_clISE_PiSF_SF_EESJ_SZ_SK_SL_SM_EUlSZ_E1_NS1_11comp_targetILNS1_3genE10ELNS1_11target_archE1201ELNS1_3gpuE5ELNS1_3repE0EEENS1_36merge_oddeven_config_static_selectorELNS0_4arch9wavefront6targetE1EEEvSL_
    .private_segment_fixed_size: 0
    .sgpr_count:     4
    .sgpr_spill_count: 0
    .symbol:         _ZN7rocprim17ROCPRIM_400000_NS6detail17trampoline_kernelINS0_14default_configENS1_38merge_sort_block_merge_config_selectorIiNS0_10empty_typeEEEZZNS1_27merge_sort_block_merge_implIS3_N6thrust23THRUST_200600_302600_NS6detail15normal_iteratorINS9_10device_ptrIiEEEEPS5_jNS1_19radix_merge_compareILb0ELb0EiNS0_19identity_decomposerEEEEE10hipError_tT0_T1_T2_jT3_P12ihipStream_tbPNSt15iterator_traitsISK_E10value_typeEPNSQ_ISL_E10value_typeEPSM_NS1_7vsmem_tEENKUlT_SK_SL_SM_E_clISE_PiSF_SF_EESJ_SZ_SK_SL_SM_EUlSZ_E1_NS1_11comp_targetILNS1_3genE10ELNS1_11target_archE1201ELNS1_3gpuE5ELNS1_3repE0EEENS1_36merge_oddeven_config_static_selectorELNS0_4arch9wavefront6targetE1EEEvSL_.kd
    .uniform_work_group_size: 1
    .uses_dynamic_stack: false
    .vgpr_count:     0
    .vgpr_spill_count: 0
    .wavefront_size: 64
  - .agpr_count:     0
    .args:
      - .offset:         0
        .size:           48
        .value_kind:     by_value
    .group_segment_fixed_size: 0
    .kernarg_segment_align: 8
    .kernarg_segment_size: 48
    .language:       OpenCL C
    .language_version:
      - 2
      - 0
    .max_flat_workgroup_size: 256
    .name:           _ZN7rocprim17ROCPRIM_400000_NS6detail17trampoline_kernelINS0_14default_configENS1_38merge_sort_block_merge_config_selectorIiNS0_10empty_typeEEEZZNS1_27merge_sort_block_merge_implIS3_N6thrust23THRUST_200600_302600_NS6detail15normal_iteratorINS9_10device_ptrIiEEEEPS5_jNS1_19radix_merge_compareILb0ELb0EiNS0_19identity_decomposerEEEEE10hipError_tT0_T1_T2_jT3_P12ihipStream_tbPNSt15iterator_traitsISK_E10value_typeEPNSQ_ISL_E10value_typeEPSM_NS1_7vsmem_tEENKUlT_SK_SL_SM_E_clISE_PiSF_SF_EESJ_SZ_SK_SL_SM_EUlSZ_E1_NS1_11comp_targetILNS1_3genE5ELNS1_11target_archE942ELNS1_3gpuE9ELNS1_3repE0EEENS1_36merge_oddeven_config_static_selectorELNS0_4arch9wavefront6targetE1EEEvSL_
    .private_segment_fixed_size: 0
    .sgpr_count:     4
    .sgpr_spill_count: 0
    .symbol:         _ZN7rocprim17ROCPRIM_400000_NS6detail17trampoline_kernelINS0_14default_configENS1_38merge_sort_block_merge_config_selectorIiNS0_10empty_typeEEEZZNS1_27merge_sort_block_merge_implIS3_N6thrust23THRUST_200600_302600_NS6detail15normal_iteratorINS9_10device_ptrIiEEEEPS5_jNS1_19radix_merge_compareILb0ELb0EiNS0_19identity_decomposerEEEEE10hipError_tT0_T1_T2_jT3_P12ihipStream_tbPNSt15iterator_traitsISK_E10value_typeEPNSQ_ISL_E10value_typeEPSM_NS1_7vsmem_tEENKUlT_SK_SL_SM_E_clISE_PiSF_SF_EESJ_SZ_SK_SL_SM_EUlSZ_E1_NS1_11comp_targetILNS1_3genE5ELNS1_11target_archE942ELNS1_3gpuE9ELNS1_3repE0EEENS1_36merge_oddeven_config_static_selectorELNS0_4arch9wavefront6targetE1EEEvSL_.kd
    .uniform_work_group_size: 1
    .uses_dynamic_stack: false
    .vgpr_count:     0
    .vgpr_spill_count: 0
    .wavefront_size: 64
  - .agpr_count:     0
    .args:
      - .offset:         0
        .size:           48
        .value_kind:     by_value
    .group_segment_fixed_size: 0
    .kernarg_segment_align: 8
    .kernarg_segment_size: 48
    .language:       OpenCL C
    .language_version:
      - 2
      - 0
    .max_flat_workgroup_size: 256
    .name:           _ZN7rocprim17ROCPRIM_400000_NS6detail17trampoline_kernelINS0_14default_configENS1_38merge_sort_block_merge_config_selectorIiNS0_10empty_typeEEEZZNS1_27merge_sort_block_merge_implIS3_N6thrust23THRUST_200600_302600_NS6detail15normal_iteratorINS9_10device_ptrIiEEEEPS5_jNS1_19radix_merge_compareILb0ELb0EiNS0_19identity_decomposerEEEEE10hipError_tT0_T1_T2_jT3_P12ihipStream_tbPNSt15iterator_traitsISK_E10value_typeEPNSQ_ISL_E10value_typeEPSM_NS1_7vsmem_tEENKUlT_SK_SL_SM_E_clISE_PiSF_SF_EESJ_SZ_SK_SL_SM_EUlSZ_E1_NS1_11comp_targetILNS1_3genE4ELNS1_11target_archE910ELNS1_3gpuE8ELNS1_3repE0EEENS1_36merge_oddeven_config_static_selectorELNS0_4arch9wavefront6targetE1EEEvSL_
    .private_segment_fixed_size: 0
    .sgpr_count:     25
    .sgpr_spill_count: 0
    .symbol:         _ZN7rocprim17ROCPRIM_400000_NS6detail17trampoline_kernelINS0_14default_configENS1_38merge_sort_block_merge_config_selectorIiNS0_10empty_typeEEEZZNS1_27merge_sort_block_merge_implIS3_N6thrust23THRUST_200600_302600_NS6detail15normal_iteratorINS9_10device_ptrIiEEEEPS5_jNS1_19radix_merge_compareILb0ELb0EiNS0_19identity_decomposerEEEEE10hipError_tT0_T1_T2_jT3_P12ihipStream_tbPNSt15iterator_traitsISK_E10value_typeEPNSQ_ISL_E10value_typeEPSM_NS1_7vsmem_tEENKUlT_SK_SL_SM_E_clISE_PiSF_SF_EESJ_SZ_SK_SL_SM_EUlSZ_E1_NS1_11comp_targetILNS1_3genE4ELNS1_11target_archE910ELNS1_3gpuE8ELNS1_3repE0EEENS1_36merge_oddeven_config_static_selectorELNS0_4arch9wavefront6targetE1EEEvSL_.kd
    .uniform_work_group_size: 1
    .uses_dynamic_stack: false
    .vgpr_count:     10
    .vgpr_spill_count: 0
    .wavefront_size: 64
  - .agpr_count:     0
    .args:
      - .offset:         0
        .size:           48
        .value_kind:     by_value
    .group_segment_fixed_size: 0
    .kernarg_segment_align: 8
    .kernarg_segment_size: 48
    .language:       OpenCL C
    .language_version:
      - 2
      - 0
    .max_flat_workgroup_size: 256
    .name:           _ZN7rocprim17ROCPRIM_400000_NS6detail17trampoline_kernelINS0_14default_configENS1_38merge_sort_block_merge_config_selectorIiNS0_10empty_typeEEEZZNS1_27merge_sort_block_merge_implIS3_N6thrust23THRUST_200600_302600_NS6detail15normal_iteratorINS9_10device_ptrIiEEEEPS5_jNS1_19radix_merge_compareILb0ELb0EiNS0_19identity_decomposerEEEEE10hipError_tT0_T1_T2_jT3_P12ihipStream_tbPNSt15iterator_traitsISK_E10value_typeEPNSQ_ISL_E10value_typeEPSM_NS1_7vsmem_tEENKUlT_SK_SL_SM_E_clISE_PiSF_SF_EESJ_SZ_SK_SL_SM_EUlSZ_E1_NS1_11comp_targetILNS1_3genE3ELNS1_11target_archE908ELNS1_3gpuE7ELNS1_3repE0EEENS1_36merge_oddeven_config_static_selectorELNS0_4arch9wavefront6targetE1EEEvSL_
    .private_segment_fixed_size: 0
    .sgpr_count:     4
    .sgpr_spill_count: 0
    .symbol:         _ZN7rocprim17ROCPRIM_400000_NS6detail17trampoline_kernelINS0_14default_configENS1_38merge_sort_block_merge_config_selectorIiNS0_10empty_typeEEEZZNS1_27merge_sort_block_merge_implIS3_N6thrust23THRUST_200600_302600_NS6detail15normal_iteratorINS9_10device_ptrIiEEEEPS5_jNS1_19radix_merge_compareILb0ELb0EiNS0_19identity_decomposerEEEEE10hipError_tT0_T1_T2_jT3_P12ihipStream_tbPNSt15iterator_traitsISK_E10value_typeEPNSQ_ISL_E10value_typeEPSM_NS1_7vsmem_tEENKUlT_SK_SL_SM_E_clISE_PiSF_SF_EESJ_SZ_SK_SL_SM_EUlSZ_E1_NS1_11comp_targetILNS1_3genE3ELNS1_11target_archE908ELNS1_3gpuE7ELNS1_3repE0EEENS1_36merge_oddeven_config_static_selectorELNS0_4arch9wavefront6targetE1EEEvSL_.kd
    .uniform_work_group_size: 1
    .uses_dynamic_stack: false
    .vgpr_count:     0
    .vgpr_spill_count: 0
    .wavefront_size: 64
  - .agpr_count:     0
    .args:
      - .offset:         0
        .size:           48
        .value_kind:     by_value
    .group_segment_fixed_size: 0
    .kernarg_segment_align: 8
    .kernarg_segment_size: 48
    .language:       OpenCL C
    .language_version:
      - 2
      - 0
    .max_flat_workgroup_size: 256
    .name:           _ZN7rocprim17ROCPRIM_400000_NS6detail17trampoline_kernelINS0_14default_configENS1_38merge_sort_block_merge_config_selectorIiNS0_10empty_typeEEEZZNS1_27merge_sort_block_merge_implIS3_N6thrust23THRUST_200600_302600_NS6detail15normal_iteratorINS9_10device_ptrIiEEEEPS5_jNS1_19radix_merge_compareILb0ELb0EiNS0_19identity_decomposerEEEEE10hipError_tT0_T1_T2_jT3_P12ihipStream_tbPNSt15iterator_traitsISK_E10value_typeEPNSQ_ISL_E10value_typeEPSM_NS1_7vsmem_tEENKUlT_SK_SL_SM_E_clISE_PiSF_SF_EESJ_SZ_SK_SL_SM_EUlSZ_E1_NS1_11comp_targetILNS1_3genE2ELNS1_11target_archE906ELNS1_3gpuE6ELNS1_3repE0EEENS1_36merge_oddeven_config_static_selectorELNS0_4arch9wavefront6targetE1EEEvSL_
    .private_segment_fixed_size: 0
    .sgpr_count:     4
    .sgpr_spill_count: 0
    .symbol:         _ZN7rocprim17ROCPRIM_400000_NS6detail17trampoline_kernelINS0_14default_configENS1_38merge_sort_block_merge_config_selectorIiNS0_10empty_typeEEEZZNS1_27merge_sort_block_merge_implIS3_N6thrust23THRUST_200600_302600_NS6detail15normal_iteratorINS9_10device_ptrIiEEEEPS5_jNS1_19radix_merge_compareILb0ELb0EiNS0_19identity_decomposerEEEEE10hipError_tT0_T1_T2_jT3_P12ihipStream_tbPNSt15iterator_traitsISK_E10value_typeEPNSQ_ISL_E10value_typeEPSM_NS1_7vsmem_tEENKUlT_SK_SL_SM_E_clISE_PiSF_SF_EESJ_SZ_SK_SL_SM_EUlSZ_E1_NS1_11comp_targetILNS1_3genE2ELNS1_11target_archE906ELNS1_3gpuE6ELNS1_3repE0EEENS1_36merge_oddeven_config_static_selectorELNS0_4arch9wavefront6targetE1EEEvSL_.kd
    .uniform_work_group_size: 1
    .uses_dynamic_stack: false
    .vgpr_count:     0
    .vgpr_spill_count: 0
    .wavefront_size: 64
  - .agpr_count:     0
    .args:
      - .offset:         0
        .size:           48
        .value_kind:     by_value
    .group_segment_fixed_size: 0
    .kernarg_segment_align: 8
    .kernarg_segment_size: 48
    .language:       OpenCL C
    .language_version:
      - 2
      - 0
    .max_flat_workgroup_size: 256
    .name:           _ZN7rocprim17ROCPRIM_400000_NS6detail17trampoline_kernelINS0_14default_configENS1_38merge_sort_block_merge_config_selectorIiNS0_10empty_typeEEEZZNS1_27merge_sort_block_merge_implIS3_N6thrust23THRUST_200600_302600_NS6detail15normal_iteratorINS9_10device_ptrIiEEEEPS5_jNS1_19radix_merge_compareILb0ELb0EiNS0_19identity_decomposerEEEEE10hipError_tT0_T1_T2_jT3_P12ihipStream_tbPNSt15iterator_traitsISK_E10value_typeEPNSQ_ISL_E10value_typeEPSM_NS1_7vsmem_tEENKUlT_SK_SL_SM_E_clISE_PiSF_SF_EESJ_SZ_SK_SL_SM_EUlSZ_E1_NS1_11comp_targetILNS1_3genE9ELNS1_11target_archE1100ELNS1_3gpuE3ELNS1_3repE0EEENS1_36merge_oddeven_config_static_selectorELNS0_4arch9wavefront6targetE1EEEvSL_
    .private_segment_fixed_size: 0
    .sgpr_count:     4
    .sgpr_spill_count: 0
    .symbol:         _ZN7rocprim17ROCPRIM_400000_NS6detail17trampoline_kernelINS0_14default_configENS1_38merge_sort_block_merge_config_selectorIiNS0_10empty_typeEEEZZNS1_27merge_sort_block_merge_implIS3_N6thrust23THRUST_200600_302600_NS6detail15normal_iteratorINS9_10device_ptrIiEEEEPS5_jNS1_19radix_merge_compareILb0ELb0EiNS0_19identity_decomposerEEEEE10hipError_tT0_T1_T2_jT3_P12ihipStream_tbPNSt15iterator_traitsISK_E10value_typeEPNSQ_ISL_E10value_typeEPSM_NS1_7vsmem_tEENKUlT_SK_SL_SM_E_clISE_PiSF_SF_EESJ_SZ_SK_SL_SM_EUlSZ_E1_NS1_11comp_targetILNS1_3genE9ELNS1_11target_archE1100ELNS1_3gpuE3ELNS1_3repE0EEENS1_36merge_oddeven_config_static_selectorELNS0_4arch9wavefront6targetE1EEEvSL_.kd
    .uniform_work_group_size: 1
    .uses_dynamic_stack: false
    .vgpr_count:     0
    .vgpr_spill_count: 0
    .wavefront_size: 64
  - .agpr_count:     0
    .args:
      - .offset:         0
        .size:           48
        .value_kind:     by_value
    .group_segment_fixed_size: 0
    .kernarg_segment_align: 8
    .kernarg_segment_size: 48
    .language:       OpenCL C
    .language_version:
      - 2
      - 0
    .max_flat_workgroup_size: 256
    .name:           _ZN7rocprim17ROCPRIM_400000_NS6detail17trampoline_kernelINS0_14default_configENS1_38merge_sort_block_merge_config_selectorIiNS0_10empty_typeEEEZZNS1_27merge_sort_block_merge_implIS3_N6thrust23THRUST_200600_302600_NS6detail15normal_iteratorINS9_10device_ptrIiEEEEPS5_jNS1_19radix_merge_compareILb0ELb0EiNS0_19identity_decomposerEEEEE10hipError_tT0_T1_T2_jT3_P12ihipStream_tbPNSt15iterator_traitsISK_E10value_typeEPNSQ_ISL_E10value_typeEPSM_NS1_7vsmem_tEENKUlT_SK_SL_SM_E_clISE_PiSF_SF_EESJ_SZ_SK_SL_SM_EUlSZ_E1_NS1_11comp_targetILNS1_3genE8ELNS1_11target_archE1030ELNS1_3gpuE2ELNS1_3repE0EEENS1_36merge_oddeven_config_static_selectorELNS0_4arch9wavefront6targetE1EEEvSL_
    .private_segment_fixed_size: 0
    .sgpr_count:     4
    .sgpr_spill_count: 0
    .symbol:         _ZN7rocprim17ROCPRIM_400000_NS6detail17trampoline_kernelINS0_14default_configENS1_38merge_sort_block_merge_config_selectorIiNS0_10empty_typeEEEZZNS1_27merge_sort_block_merge_implIS3_N6thrust23THRUST_200600_302600_NS6detail15normal_iteratorINS9_10device_ptrIiEEEEPS5_jNS1_19radix_merge_compareILb0ELb0EiNS0_19identity_decomposerEEEEE10hipError_tT0_T1_T2_jT3_P12ihipStream_tbPNSt15iterator_traitsISK_E10value_typeEPNSQ_ISL_E10value_typeEPSM_NS1_7vsmem_tEENKUlT_SK_SL_SM_E_clISE_PiSF_SF_EESJ_SZ_SK_SL_SM_EUlSZ_E1_NS1_11comp_targetILNS1_3genE8ELNS1_11target_archE1030ELNS1_3gpuE2ELNS1_3repE0EEENS1_36merge_oddeven_config_static_selectorELNS0_4arch9wavefront6targetE1EEEvSL_.kd
    .uniform_work_group_size: 1
    .uses_dynamic_stack: false
    .vgpr_count:     0
    .vgpr_spill_count: 0
    .wavefront_size: 64
  - .agpr_count:     0
    .args:
      - .offset:         0
        .size:           40
        .value_kind:     by_value
    .group_segment_fixed_size: 0
    .kernarg_segment_align: 8
    .kernarg_segment_size: 40
    .language:       OpenCL C
    .language_version:
      - 2
      - 0
    .max_flat_workgroup_size: 128
    .name:           _ZN7rocprim17ROCPRIM_400000_NS6detail17trampoline_kernelINS0_14default_configENS1_25transform_config_selectorIiLb0EEEZNS1_14transform_implILb0ES3_S5_PiN6thrust23THRUST_200600_302600_NS6detail15normal_iteratorINS9_10device_ptrIiEEEENS0_8identityIiEEEE10hipError_tT2_T3_mT4_P12ihipStream_tbEUlT_E_NS1_11comp_targetILNS1_3genE0ELNS1_11target_archE4294967295ELNS1_3gpuE0ELNS1_3repE0EEENS1_30default_config_static_selectorELNS0_4arch9wavefront6targetE1EEEvT1_
    .private_segment_fixed_size: 0
    .sgpr_count:     4
    .sgpr_spill_count: 0
    .symbol:         _ZN7rocprim17ROCPRIM_400000_NS6detail17trampoline_kernelINS0_14default_configENS1_25transform_config_selectorIiLb0EEEZNS1_14transform_implILb0ES3_S5_PiN6thrust23THRUST_200600_302600_NS6detail15normal_iteratorINS9_10device_ptrIiEEEENS0_8identityIiEEEE10hipError_tT2_T3_mT4_P12ihipStream_tbEUlT_E_NS1_11comp_targetILNS1_3genE0ELNS1_11target_archE4294967295ELNS1_3gpuE0ELNS1_3repE0EEENS1_30default_config_static_selectorELNS0_4arch9wavefront6targetE1EEEvT1_.kd
    .uniform_work_group_size: 1
    .uses_dynamic_stack: false
    .vgpr_count:     0
    .vgpr_spill_count: 0
    .wavefront_size: 64
  - .agpr_count:     0
    .args:
      - .offset:         0
        .size:           40
        .value_kind:     by_value
    .group_segment_fixed_size: 0
    .kernarg_segment_align: 8
    .kernarg_segment_size: 40
    .language:       OpenCL C
    .language_version:
      - 2
      - 0
    .max_flat_workgroup_size: 512
    .name:           _ZN7rocprim17ROCPRIM_400000_NS6detail17trampoline_kernelINS0_14default_configENS1_25transform_config_selectorIiLb0EEEZNS1_14transform_implILb0ES3_S5_PiN6thrust23THRUST_200600_302600_NS6detail15normal_iteratorINS9_10device_ptrIiEEEENS0_8identityIiEEEE10hipError_tT2_T3_mT4_P12ihipStream_tbEUlT_E_NS1_11comp_targetILNS1_3genE5ELNS1_11target_archE942ELNS1_3gpuE9ELNS1_3repE0EEENS1_30default_config_static_selectorELNS0_4arch9wavefront6targetE1EEEvT1_
    .private_segment_fixed_size: 0
    .sgpr_count:     4
    .sgpr_spill_count: 0
    .symbol:         _ZN7rocprim17ROCPRIM_400000_NS6detail17trampoline_kernelINS0_14default_configENS1_25transform_config_selectorIiLb0EEEZNS1_14transform_implILb0ES3_S5_PiN6thrust23THRUST_200600_302600_NS6detail15normal_iteratorINS9_10device_ptrIiEEEENS0_8identityIiEEEE10hipError_tT2_T3_mT4_P12ihipStream_tbEUlT_E_NS1_11comp_targetILNS1_3genE5ELNS1_11target_archE942ELNS1_3gpuE9ELNS1_3repE0EEENS1_30default_config_static_selectorELNS0_4arch9wavefront6targetE1EEEvT1_.kd
    .uniform_work_group_size: 1
    .uses_dynamic_stack: false
    .vgpr_count:     0
    .vgpr_spill_count: 0
    .wavefront_size: 64
  - .agpr_count:     0
    .args:
      - .offset:         0
        .size:           40
        .value_kind:     by_value
      - .offset:         40
        .size:           4
        .value_kind:     hidden_block_count_x
      - .offset:         44
        .size:           4
        .value_kind:     hidden_block_count_y
      - .offset:         48
        .size:           4
        .value_kind:     hidden_block_count_z
      - .offset:         52
        .size:           2
        .value_kind:     hidden_group_size_x
      - .offset:         54
        .size:           2
        .value_kind:     hidden_group_size_y
      - .offset:         56
        .size:           2
        .value_kind:     hidden_group_size_z
      - .offset:         58
        .size:           2
        .value_kind:     hidden_remainder_x
      - .offset:         60
        .size:           2
        .value_kind:     hidden_remainder_y
      - .offset:         62
        .size:           2
        .value_kind:     hidden_remainder_z
      - .offset:         80
        .size:           8
        .value_kind:     hidden_global_offset_x
      - .offset:         88
        .size:           8
        .value_kind:     hidden_global_offset_y
      - .offset:         96
        .size:           8
        .value_kind:     hidden_global_offset_z
      - .offset:         104
        .size:           2
        .value_kind:     hidden_grid_dims
    .group_segment_fixed_size: 0
    .kernarg_segment_align: 8
    .kernarg_segment_size: 296
    .language:       OpenCL C
    .language_version:
      - 2
      - 0
    .max_flat_workgroup_size: 1024
    .name:           _ZN7rocprim17ROCPRIM_400000_NS6detail17trampoline_kernelINS0_14default_configENS1_25transform_config_selectorIiLb0EEEZNS1_14transform_implILb0ES3_S5_PiN6thrust23THRUST_200600_302600_NS6detail15normal_iteratorINS9_10device_ptrIiEEEENS0_8identityIiEEEE10hipError_tT2_T3_mT4_P12ihipStream_tbEUlT_E_NS1_11comp_targetILNS1_3genE4ELNS1_11target_archE910ELNS1_3gpuE8ELNS1_3repE0EEENS1_30default_config_static_selectorELNS0_4arch9wavefront6targetE1EEEvT1_
    .private_segment_fixed_size: 0
    .sgpr_count:     20
    .sgpr_spill_count: 0
    .symbol:         _ZN7rocprim17ROCPRIM_400000_NS6detail17trampoline_kernelINS0_14default_configENS1_25transform_config_selectorIiLb0EEEZNS1_14transform_implILb0ES3_S5_PiN6thrust23THRUST_200600_302600_NS6detail15normal_iteratorINS9_10device_ptrIiEEEENS0_8identityIiEEEE10hipError_tT2_T3_mT4_P12ihipStream_tbEUlT_E_NS1_11comp_targetILNS1_3genE4ELNS1_11target_archE910ELNS1_3gpuE8ELNS1_3repE0EEENS1_30default_config_static_selectorELNS0_4arch9wavefront6targetE1EEEvT1_.kd
    .uniform_work_group_size: 1
    .uses_dynamic_stack: false
    .vgpr_count:     7
    .vgpr_spill_count: 0
    .wavefront_size: 64
  - .agpr_count:     0
    .args:
      - .offset:         0
        .size:           40
        .value_kind:     by_value
    .group_segment_fixed_size: 0
    .kernarg_segment_align: 8
    .kernarg_segment_size: 40
    .language:       OpenCL C
    .language_version:
      - 2
      - 0
    .max_flat_workgroup_size: 128
    .name:           _ZN7rocprim17ROCPRIM_400000_NS6detail17trampoline_kernelINS0_14default_configENS1_25transform_config_selectorIiLb0EEEZNS1_14transform_implILb0ES3_S5_PiN6thrust23THRUST_200600_302600_NS6detail15normal_iteratorINS9_10device_ptrIiEEEENS0_8identityIiEEEE10hipError_tT2_T3_mT4_P12ihipStream_tbEUlT_E_NS1_11comp_targetILNS1_3genE3ELNS1_11target_archE908ELNS1_3gpuE7ELNS1_3repE0EEENS1_30default_config_static_selectorELNS0_4arch9wavefront6targetE1EEEvT1_
    .private_segment_fixed_size: 0
    .sgpr_count:     4
    .sgpr_spill_count: 0
    .symbol:         _ZN7rocprim17ROCPRIM_400000_NS6detail17trampoline_kernelINS0_14default_configENS1_25transform_config_selectorIiLb0EEEZNS1_14transform_implILb0ES3_S5_PiN6thrust23THRUST_200600_302600_NS6detail15normal_iteratorINS9_10device_ptrIiEEEENS0_8identityIiEEEE10hipError_tT2_T3_mT4_P12ihipStream_tbEUlT_E_NS1_11comp_targetILNS1_3genE3ELNS1_11target_archE908ELNS1_3gpuE7ELNS1_3repE0EEENS1_30default_config_static_selectorELNS0_4arch9wavefront6targetE1EEEvT1_.kd
    .uniform_work_group_size: 1
    .uses_dynamic_stack: false
    .vgpr_count:     0
    .vgpr_spill_count: 0
    .wavefront_size: 64
  - .agpr_count:     0
    .args:
      - .offset:         0
        .size:           40
        .value_kind:     by_value
    .group_segment_fixed_size: 0
    .kernarg_segment_align: 8
    .kernarg_segment_size: 40
    .language:       OpenCL C
    .language_version:
      - 2
      - 0
    .max_flat_workgroup_size: 1024
    .name:           _ZN7rocprim17ROCPRIM_400000_NS6detail17trampoline_kernelINS0_14default_configENS1_25transform_config_selectorIiLb0EEEZNS1_14transform_implILb0ES3_S5_PiN6thrust23THRUST_200600_302600_NS6detail15normal_iteratorINS9_10device_ptrIiEEEENS0_8identityIiEEEE10hipError_tT2_T3_mT4_P12ihipStream_tbEUlT_E_NS1_11comp_targetILNS1_3genE2ELNS1_11target_archE906ELNS1_3gpuE6ELNS1_3repE0EEENS1_30default_config_static_selectorELNS0_4arch9wavefront6targetE1EEEvT1_
    .private_segment_fixed_size: 0
    .sgpr_count:     4
    .sgpr_spill_count: 0
    .symbol:         _ZN7rocprim17ROCPRIM_400000_NS6detail17trampoline_kernelINS0_14default_configENS1_25transform_config_selectorIiLb0EEEZNS1_14transform_implILb0ES3_S5_PiN6thrust23THRUST_200600_302600_NS6detail15normal_iteratorINS9_10device_ptrIiEEEENS0_8identityIiEEEE10hipError_tT2_T3_mT4_P12ihipStream_tbEUlT_E_NS1_11comp_targetILNS1_3genE2ELNS1_11target_archE906ELNS1_3gpuE6ELNS1_3repE0EEENS1_30default_config_static_selectorELNS0_4arch9wavefront6targetE1EEEvT1_.kd
    .uniform_work_group_size: 1
    .uses_dynamic_stack: false
    .vgpr_count:     0
    .vgpr_spill_count: 0
    .wavefront_size: 64
  - .agpr_count:     0
    .args:
      - .offset:         0
        .size:           40
        .value_kind:     by_value
    .group_segment_fixed_size: 0
    .kernarg_segment_align: 8
    .kernarg_segment_size: 40
    .language:       OpenCL C
    .language_version:
      - 2
      - 0
    .max_flat_workgroup_size: 1024
    .name:           _ZN7rocprim17ROCPRIM_400000_NS6detail17trampoline_kernelINS0_14default_configENS1_25transform_config_selectorIiLb0EEEZNS1_14transform_implILb0ES3_S5_PiN6thrust23THRUST_200600_302600_NS6detail15normal_iteratorINS9_10device_ptrIiEEEENS0_8identityIiEEEE10hipError_tT2_T3_mT4_P12ihipStream_tbEUlT_E_NS1_11comp_targetILNS1_3genE10ELNS1_11target_archE1201ELNS1_3gpuE5ELNS1_3repE0EEENS1_30default_config_static_selectorELNS0_4arch9wavefront6targetE1EEEvT1_
    .private_segment_fixed_size: 0
    .sgpr_count:     4
    .sgpr_spill_count: 0
    .symbol:         _ZN7rocprim17ROCPRIM_400000_NS6detail17trampoline_kernelINS0_14default_configENS1_25transform_config_selectorIiLb0EEEZNS1_14transform_implILb0ES3_S5_PiN6thrust23THRUST_200600_302600_NS6detail15normal_iteratorINS9_10device_ptrIiEEEENS0_8identityIiEEEE10hipError_tT2_T3_mT4_P12ihipStream_tbEUlT_E_NS1_11comp_targetILNS1_3genE10ELNS1_11target_archE1201ELNS1_3gpuE5ELNS1_3repE0EEENS1_30default_config_static_selectorELNS0_4arch9wavefront6targetE1EEEvT1_.kd
    .uniform_work_group_size: 1
    .uses_dynamic_stack: false
    .vgpr_count:     0
    .vgpr_spill_count: 0
    .wavefront_size: 64
  - .agpr_count:     0
    .args:
      - .offset:         0
        .size:           40
        .value_kind:     by_value
    .group_segment_fixed_size: 0
    .kernarg_segment_align: 8
    .kernarg_segment_size: 40
    .language:       OpenCL C
    .language_version:
      - 2
      - 0
    .max_flat_workgroup_size: 512
    .name:           _ZN7rocprim17ROCPRIM_400000_NS6detail17trampoline_kernelINS0_14default_configENS1_25transform_config_selectorIiLb0EEEZNS1_14transform_implILb0ES3_S5_PiN6thrust23THRUST_200600_302600_NS6detail15normal_iteratorINS9_10device_ptrIiEEEENS0_8identityIiEEEE10hipError_tT2_T3_mT4_P12ihipStream_tbEUlT_E_NS1_11comp_targetILNS1_3genE10ELNS1_11target_archE1200ELNS1_3gpuE4ELNS1_3repE0EEENS1_30default_config_static_selectorELNS0_4arch9wavefront6targetE1EEEvT1_
    .private_segment_fixed_size: 0
    .sgpr_count:     4
    .sgpr_spill_count: 0
    .symbol:         _ZN7rocprim17ROCPRIM_400000_NS6detail17trampoline_kernelINS0_14default_configENS1_25transform_config_selectorIiLb0EEEZNS1_14transform_implILb0ES3_S5_PiN6thrust23THRUST_200600_302600_NS6detail15normal_iteratorINS9_10device_ptrIiEEEENS0_8identityIiEEEE10hipError_tT2_T3_mT4_P12ihipStream_tbEUlT_E_NS1_11comp_targetILNS1_3genE10ELNS1_11target_archE1200ELNS1_3gpuE4ELNS1_3repE0EEENS1_30default_config_static_selectorELNS0_4arch9wavefront6targetE1EEEvT1_.kd
    .uniform_work_group_size: 1
    .uses_dynamic_stack: false
    .vgpr_count:     0
    .vgpr_spill_count: 0
    .wavefront_size: 64
  - .agpr_count:     0
    .args:
      - .offset:         0
        .size:           40
        .value_kind:     by_value
    .group_segment_fixed_size: 0
    .kernarg_segment_align: 8
    .kernarg_segment_size: 40
    .language:       OpenCL C
    .language_version:
      - 2
      - 0
    .max_flat_workgroup_size: 64
    .name:           _ZN7rocprim17ROCPRIM_400000_NS6detail17trampoline_kernelINS0_14default_configENS1_25transform_config_selectorIiLb0EEEZNS1_14transform_implILb0ES3_S5_PiN6thrust23THRUST_200600_302600_NS6detail15normal_iteratorINS9_10device_ptrIiEEEENS0_8identityIiEEEE10hipError_tT2_T3_mT4_P12ihipStream_tbEUlT_E_NS1_11comp_targetILNS1_3genE9ELNS1_11target_archE1100ELNS1_3gpuE3ELNS1_3repE0EEENS1_30default_config_static_selectorELNS0_4arch9wavefront6targetE1EEEvT1_
    .private_segment_fixed_size: 0
    .sgpr_count:     4
    .sgpr_spill_count: 0
    .symbol:         _ZN7rocprim17ROCPRIM_400000_NS6detail17trampoline_kernelINS0_14default_configENS1_25transform_config_selectorIiLb0EEEZNS1_14transform_implILb0ES3_S5_PiN6thrust23THRUST_200600_302600_NS6detail15normal_iteratorINS9_10device_ptrIiEEEENS0_8identityIiEEEE10hipError_tT2_T3_mT4_P12ihipStream_tbEUlT_E_NS1_11comp_targetILNS1_3genE9ELNS1_11target_archE1100ELNS1_3gpuE3ELNS1_3repE0EEENS1_30default_config_static_selectorELNS0_4arch9wavefront6targetE1EEEvT1_.kd
    .uniform_work_group_size: 1
    .uses_dynamic_stack: false
    .vgpr_count:     0
    .vgpr_spill_count: 0
    .wavefront_size: 64
  - .agpr_count:     0
    .args:
      - .offset:         0
        .size:           40
        .value_kind:     by_value
    .group_segment_fixed_size: 0
    .kernarg_segment_align: 8
    .kernarg_segment_size: 40
    .language:       OpenCL C
    .language_version:
      - 2
      - 0
    .max_flat_workgroup_size: 256
    .name:           _ZN7rocprim17ROCPRIM_400000_NS6detail17trampoline_kernelINS0_14default_configENS1_25transform_config_selectorIiLb0EEEZNS1_14transform_implILb0ES3_S5_PiN6thrust23THRUST_200600_302600_NS6detail15normal_iteratorINS9_10device_ptrIiEEEENS0_8identityIiEEEE10hipError_tT2_T3_mT4_P12ihipStream_tbEUlT_E_NS1_11comp_targetILNS1_3genE8ELNS1_11target_archE1030ELNS1_3gpuE2ELNS1_3repE0EEENS1_30default_config_static_selectorELNS0_4arch9wavefront6targetE1EEEvT1_
    .private_segment_fixed_size: 0
    .sgpr_count:     4
    .sgpr_spill_count: 0
    .symbol:         _ZN7rocprim17ROCPRIM_400000_NS6detail17trampoline_kernelINS0_14default_configENS1_25transform_config_selectorIiLb0EEEZNS1_14transform_implILb0ES3_S5_PiN6thrust23THRUST_200600_302600_NS6detail15normal_iteratorINS9_10device_ptrIiEEEENS0_8identityIiEEEE10hipError_tT2_T3_mT4_P12ihipStream_tbEUlT_E_NS1_11comp_targetILNS1_3genE8ELNS1_11target_archE1030ELNS1_3gpuE2ELNS1_3repE0EEENS1_30default_config_static_selectorELNS0_4arch9wavefront6targetE1EEEvT1_.kd
    .uniform_work_group_size: 1
    .uses_dynamic_stack: false
    .vgpr_count:     0
    .vgpr_spill_count: 0
    .wavefront_size: 64
  - .agpr_count:     0
    .args:
      - .offset:         0
        .size:           40
        .value_kind:     by_value
    .group_segment_fixed_size: 0
    .kernarg_segment_align: 8
    .kernarg_segment_size: 40
    .language:       OpenCL C
    .language_version:
      - 2
      - 0
    .max_flat_workgroup_size: 128
    .name:           _ZN7rocprim17ROCPRIM_400000_NS6detail17trampoline_kernelINS0_14default_configENS1_38merge_sort_block_merge_config_selectorIiNS0_10empty_typeEEEZZNS1_27merge_sort_block_merge_implIS3_N6thrust23THRUST_200600_302600_NS6detail15normal_iteratorINS9_10device_ptrIiEEEEPS5_jNS1_19radix_merge_compareILb0ELb1EiNS0_19identity_decomposerEEEEE10hipError_tT0_T1_T2_jT3_P12ihipStream_tbPNSt15iterator_traitsISK_E10value_typeEPNSQ_ISL_E10value_typeEPSM_NS1_7vsmem_tEENKUlT_SK_SL_SM_E_clIPiSE_SF_SF_EESJ_SZ_SK_SL_SM_EUlSZ_E_NS1_11comp_targetILNS1_3genE0ELNS1_11target_archE4294967295ELNS1_3gpuE0ELNS1_3repE0EEENS1_48merge_mergepath_partition_config_static_selectorELNS0_4arch9wavefront6targetE1EEEvSL_
    .private_segment_fixed_size: 0
    .sgpr_count:     4
    .sgpr_spill_count: 0
    .symbol:         _ZN7rocprim17ROCPRIM_400000_NS6detail17trampoline_kernelINS0_14default_configENS1_38merge_sort_block_merge_config_selectorIiNS0_10empty_typeEEEZZNS1_27merge_sort_block_merge_implIS3_N6thrust23THRUST_200600_302600_NS6detail15normal_iteratorINS9_10device_ptrIiEEEEPS5_jNS1_19radix_merge_compareILb0ELb1EiNS0_19identity_decomposerEEEEE10hipError_tT0_T1_T2_jT3_P12ihipStream_tbPNSt15iterator_traitsISK_E10value_typeEPNSQ_ISL_E10value_typeEPSM_NS1_7vsmem_tEENKUlT_SK_SL_SM_E_clIPiSE_SF_SF_EESJ_SZ_SK_SL_SM_EUlSZ_E_NS1_11comp_targetILNS1_3genE0ELNS1_11target_archE4294967295ELNS1_3gpuE0ELNS1_3repE0EEENS1_48merge_mergepath_partition_config_static_selectorELNS0_4arch9wavefront6targetE1EEEvSL_.kd
    .uniform_work_group_size: 1
    .uses_dynamic_stack: false
    .vgpr_count:     0
    .vgpr_spill_count: 0
    .wavefront_size: 64
  - .agpr_count:     0
    .args:
      - .offset:         0
        .size:           40
        .value_kind:     by_value
    .group_segment_fixed_size: 0
    .kernarg_segment_align: 8
    .kernarg_segment_size: 40
    .language:       OpenCL C
    .language_version:
      - 2
      - 0
    .max_flat_workgroup_size: 128
    .name:           _ZN7rocprim17ROCPRIM_400000_NS6detail17trampoline_kernelINS0_14default_configENS1_38merge_sort_block_merge_config_selectorIiNS0_10empty_typeEEEZZNS1_27merge_sort_block_merge_implIS3_N6thrust23THRUST_200600_302600_NS6detail15normal_iteratorINS9_10device_ptrIiEEEEPS5_jNS1_19radix_merge_compareILb0ELb1EiNS0_19identity_decomposerEEEEE10hipError_tT0_T1_T2_jT3_P12ihipStream_tbPNSt15iterator_traitsISK_E10value_typeEPNSQ_ISL_E10value_typeEPSM_NS1_7vsmem_tEENKUlT_SK_SL_SM_E_clIPiSE_SF_SF_EESJ_SZ_SK_SL_SM_EUlSZ_E_NS1_11comp_targetILNS1_3genE10ELNS1_11target_archE1201ELNS1_3gpuE5ELNS1_3repE0EEENS1_48merge_mergepath_partition_config_static_selectorELNS0_4arch9wavefront6targetE1EEEvSL_
    .private_segment_fixed_size: 0
    .sgpr_count:     4
    .sgpr_spill_count: 0
    .symbol:         _ZN7rocprim17ROCPRIM_400000_NS6detail17trampoline_kernelINS0_14default_configENS1_38merge_sort_block_merge_config_selectorIiNS0_10empty_typeEEEZZNS1_27merge_sort_block_merge_implIS3_N6thrust23THRUST_200600_302600_NS6detail15normal_iteratorINS9_10device_ptrIiEEEEPS5_jNS1_19radix_merge_compareILb0ELb1EiNS0_19identity_decomposerEEEEE10hipError_tT0_T1_T2_jT3_P12ihipStream_tbPNSt15iterator_traitsISK_E10value_typeEPNSQ_ISL_E10value_typeEPSM_NS1_7vsmem_tEENKUlT_SK_SL_SM_E_clIPiSE_SF_SF_EESJ_SZ_SK_SL_SM_EUlSZ_E_NS1_11comp_targetILNS1_3genE10ELNS1_11target_archE1201ELNS1_3gpuE5ELNS1_3repE0EEENS1_48merge_mergepath_partition_config_static_selectorELNS0_4arch9wavefront6targetE1EEEvSL_.kd
    .uniform_work_group_size: 1
    .uses_dynamic_stack: false
    .vgpr_count:     0
    .vgpr_spill_count: 0
    .wavefront_size: 64
  - .agpr_count:     0
    .args:
      - .offset:         0
        .size:           40
        .value_kind:     by_value
    .group_segment_fixed_size: 0
    .kernarg_segment_align: 8
    .kernarg_segment_size: 40
    .language:       OpenCL C
    .language_version:
      - 2
      - 0
    .max_flat_workgroup_size: 128
    .name:           _ZN7rocprim17ROCPRIM_400000_NS6detail17trampoline_kernelINS0_14default_configENS1_38merge_sort_block_merge_config_selectorIiNS0_10empty_typeEEEZZNS1_27merge_sort_block_merge_implIS3_N6thrust23THRUST_200600_302600_NS6detail15normal_iteratorINS9_10device_ptrIiEEEEPS5_jNS1_19radix_merge_compareILb0ELb1EiNS0_19identity_decomposerEEEEE10hipError_tT0_T1_T2_jT3_P12ihipStream_tbPNSt15iterator_traitsISK_E10value_typeEPNSQ_ISL_E10value_typeEPSM_NS1_7vsmem_tEENKUlT_SK_SL_SM_E_clIPiSE_SF_SF_EESJ_SZ_SK_SL_SM_EUlSZ_E_NS1_11comp_targetILNS1_3genE5ELNS1_11target_archE942ELNS1_3gpuE9ELNS1_3repE0EEENS1_48merge_mergepath_partition_config_static_selectorELNS0_4arch9wavefront6targetE1EEEvSL_
    .private_segment_fixed_size: 0
    .sgpr_count:     4
    .sgpr_spill_count: 0
    .symbol:         _ZN7rocprim17ROCPRIM_400000_NS6detail17trampoline_kernelINS0_14default_configENS1_38merge_sort_block_merge_config_selectorIiNS0_10empty_typeEEEZZNS1_27merge_sort_block_merge_implIS3_N6thrust23THRUST_200600_302600_NS6detail15normal_iteratorINS9_10device_ptrIiEEEEPS5_jNS1_19radix_merge_compareILb0ELb1EiNS0_19identity_decomposerEEEEE10hipError_tT0_T1_T2_jT3_P12ihipStream_tbPNSt15iterator_traitsISK_E10value_typeEPNSQ_ISL_E10value_typeEPSM_NS1_7vsmem_tEENKUlT_SK_SL_SM_E_clIPiSE_SF_SF_EESJ_SZ_SK_SL_SM_EUlSZ_E_NS1_11comp_targetILNS1_3genE5ELNS1_11target_archE942ELNS1_3gpuE9ELNS1_3repE0EEENS1_48merge_mergepath_partition_config_static_selectorELNS0_4arch9wavefront6targetE1EEEvSL_.kd
    .uniform_work_group_size: 1
    .uses_dynamic_stack: false
    .vgpr_count:     0
    .vgpr_spill_count: 0
    .wavefront_size: 64
  - .agpr_count:     0
    .args:
      - .offset:         0
        .size:           40
        .value_kind:     by_value
    .group_segment_fixed_size: 0
    .kernarg_segment_align: 8
    .kernarg_segment_size: 40
    .language:       OpenCL C
    .language_version:
      - 2
      - 0
    .max_flat_workgroup_size: 128
    .name:           _ZN7rocprim17ROCPRIM_400000_NS6detail17trampoline_kernelINS0_14default_configENS1_38merge_sort_block_merge_config_selectorIiNS0_10empty_typeEEEZZNS1_27merge_sort_block_merge_implIS3_N6thrust23THRUST_200600_302600_NS6detail15normal_iteratorINS9_10device_ptrIiEEEEPS5_jNS1_19radix_merge_compareILb0ELb1EiNS0_19identity_decomposerEEEEE10hipError_tT0_T1_T2_jT3_P12ihipStream_tbPNSt15iterator_traitsISK_E10value_typeEPNSQ_ISL_E10value_typeEPSM_NS1_7vsmem_tEENKUlT_SK_SL_SM_E_clIPiSE_SF_SF_EESJ_SZ_SK_SL_SM_EUlSZ_E_NS1_11comp_targetILNS1_3genE4ELNS1_11target_archE910ELNS1_3gpuE8ELNS1_3repE0EEENS1_48merge_mergepath_partition_config_static_selectorELNS0_4arch9wavefront6targetE1EEEvSL_
    .private_segment_fixed_size: 0
    .sgpr_count:     14
    .sgpr_spill_count: 0
    .symbol:         _ZN7rocprim17ROCPRIM_400000_NS6detail17trampoline_kernelINS0_14default_configENS1_38merge_sort_block_merge_config_selectorIiNS0_10empty_typeEEEZZNS1_27merge_sort_block_merge_implIS3_N6thrust23THRUST_200600_302600_NS6detail15normal_iteratorINS9_10device_ptrIiEEEEPS5_jNS1_19radix_merge_compareILb0ELb1EiNS0_19identity_decomposerEEEEE10hipError_tT0_T1_T2_jT3_P12ihipStream_tbPNSt15iterator_traitsISK_E10value_typeEPNSQ_ISL_E10value_typeEPSM_NS1_7vsmem_tEENKUlT_SK_SL_SM_E_clIPiSE_SF_SF_EESJ_SZ_SK_SL_SM_EUlSZ_E_NS1_11comp_targetILNS1_3genE4ELNS1_11target_archE910ELNS1_3gpuE8ELNS1_3repE0EEENS1_48merge_mergepath_partition_config_static_selectorELNS0_4arch9wavefront6targetE1EEEvSL_.kd
    .uniform_work_group_size: 1
    .uses_dynamic_stack: false
    .vgpr_count:     17
    .vgpr_spill_count: 0
    .wavefront_size: 64
  - .agpr_count:     0
    .args:
      - .offset:         0
        .size:           40
        .value_kind:     by_value
    .group_segment_fixed_size: 0
    .kernarg_segment_align: 8
    .kernarg_segment_size: 40
    .language:       OpenCL C
    .language_version:
      - 2
      - 0
    .max_flat_workgroup_size: 128
    .name:           _ZN7rocprim17ROCPRIM_400000_NS6detail17trampoline_kernelINS0_14default_configENS1_38merge_sort_block_merge_config_selectorIiNS0_10empty_typeEEEZZNS1_27merge_sort_block_merge_implIS3_N6thrust23THRUST_200600_302600_NS6detail15normal_iteratorINS9_10device_ptrIiEEEEPS5_jNS1_19radix_merge_compareILb0ELb1EiNS0_19identity_decomposerEEEEE10hipError_tT0_T1_T2_jT3_P12ihipStream_tbPNSt15iterator_traitsISK_E10value_typeEPNSQ_ISL_E10value_typeEPSM_NS1_7vsmem_tEENKUlT_SK_SL_SM_E_clIPiSE_SF_SF_EESJ_SZ_SK_SL_SM_EUlSZ_E_NS1_11comp_targetILNS1_3genE3ELNS1_11target_archE908ELNS1_3gpuE7ELNS1_3repE0EEENS1_48merge_mergepath_partition_config_static_selectorELNS0_4arch9wavefront6targetE1EEEvSL_
    .private_segment_fixed_size: 0
    .sgpr_count:     4
    .sgpr_spill_count: 0
    .symbol:         _ZN7rocprim17ROCPRIM_400000_NS6detail17trampoline_kernelINS0_14default_configENS1_38merge_sort_block_merge_config_selectorIiNS0_10empty_typeEEEZZNS1_27merge_sort_block_merge_implIS3_N6thrust23THRUST_200600_302600_NS6detail15normal_iteratorINS9_10device_ptrIiEEEEPS5_jNS1_19radix_merge_compareILb0ELb1EiNS0_19identity_decomposerEEEEE10hipError_tT0_T1_T2_jT3_P12ihipStream_tbPNSt15iterator_traitsISK_E10value_typeEPNSQ_ISL_E10value_typeEPSM_NS1_7vsmem_tEENKUlT_SK_SL_SM_E_clIPiSE_SF_SF_EESJ_SZ_SK_SL_SM_EUlSZ_E_NS1_11comp_targetILNS1_3genE3ELNS1_11target_archE908ELNS1_3gpuE7ELNS1_3repE0EEENS1_48merge_mergepath_partition_config_static_selectorELNS0_4arch9wavefront6targetE1EEEvSL_.kd
    .uniform_work_group_size: 1
    .uses_dynamic_stack: false
    .vgpr_count:     0
    .vgpr_spill_count: 0
    .wavefront_size: 64
  - .agpr_count:     0
    .args:
      - .offset:         0
        .size:           40
        .value_kind:     by_value
    .group_segment_fixed_size: 0
    .kernarg_segment_align: 8
    .kernarg_segment_size: 40
    .language:       OpenCL C
    .language_version:
      - 2
      - 0
    .max_flat_workgroup_size: 128
    .name:           _ZN7rocprim17ROCPRIM_400000_NS6detail17trampoline_kernelINS0_14default_configENS1_38merge_sort_block_merge_config_selectorIiNS0_10empty_typeEEEZZNS1_27merge_sort_block_merge_implIS3_N6thrust23THRUST_200600_302600_NS6detail15normal_iteratorINS9_10device_ptrIiEEEEPS5_jNS1_19radix_merge_compareILb0ELb1EiNS0_19identity_decomposerEEEEE10hipError_tT0_T1_T2_jT3_P12ihipStream_tbPNSt15iterator_traitsISK_E10value_typeEPNSQ_ISL_E10value_typeEPSM_NS1_7vsmem_tEENKUlT_SK_SL_SM_E_clIPiSE_SF_SF_EESJ_SZ_SK_SL_SM_EUlSZ_E_NS1_11comp_targetILNS1_3genE2ELNS1_11target_archE906ELNS1_3gpuE6ELNS1_3repE0EEENS1_48merge_mergepath_partition_config_static_selectorELNS0_4arch9wavefront6targetE1EEEvSL_
    .private_segment_fixed_size: 0
    .sgpr_count:     4
    .sgpr_spill_count: 0
    .symbol:         _ZN7rocprim17ROCPRIM_400000_NS6detail17trampoline_kernelINS0_14default_configENS1_38merge_sort_block_merge_config_selectorIiNS0_10empty_typeEEEZZNS1_27merge_sort_block_merge_implIS3_N6thrust23THRUST_200600_302600_NS6detail15normal_iteratorINS9_10device_ptrIiEEEEPS5_jNS1_19radix_merge_compareILb0ELb1EiNS0_19identity_decomposerEEEEE10hipError_tT0_T1_T2_jT3_P12ihipStream_tbPNSt15iterator_traitsISK_E10value_typeEPNSQ_ISL_E10value_typeEPSM_NS1_7vsmem_tEENKUlT_SK_SL_SM_E_clIPiSE_SF_SF_EESJ_SZ_SK_SL_SM_EUlSZ_E_NS1_11comp_targetILNS1_3genE2ELNS1_11target_archE906ELNS1_3gpuE6ELNS1_3repE0EEENS1_48merge_mergepath_partition_config_static_selectorELNS0_4arch9wavefront6targetE1EEEvSL_.kd
    .uniform_work_group_size: 1
    .uses_dynamic_stack: false
    .vgpr_count:     0
    .vgpr_spill_count: 0
    .wavefront_size: 64
  - .agpr_count:     0
    .args:
      - .offset:         0
        .size:           40
        .value_kind:     by_value
    .group_segment_fixed_size: 0
    .kernarg_segment_align: 8
    .kernarg_segment_size: 40
    .language:       OpenCL C
    .language_version:
      - 2
      - 0
    .max_flat_workgroup_size: 128
    .name:           _ZN7rocprim17ROCPRIM_400000_NS6detail17trampoline_kernelINS0_14default_configENS1_38merge_sort_block_merge_config_selectorIiNS0_10empty_typeEEEZZNS1_27merge_sort_block_merge_implIS3_N6thrust23THRUST_200600_302600_NS6detail15normal_iteratorINS9_10device_ptrIiEEEEPS5_jNS1_19radix_merge_compareILb0ELb1EiNS0_19identity_decomposerEEEEE10hipError_tT0_T1_T2_jT3_P12ihipStream_tbPNSt15iterator_traitsISK_E10value_typeEPNSQ_ISL_E10value_typeEPSM_NS1_7vsmem_tEENKUlT_SK_SL_SM_E_clIPiSE_SF_SF_EESJ_SZ_SK_SL_SM_EUlSZ_E_NS1_11comp_targetILNS1_3genE9ELNS1_11target_archE1100ELNS1_3gpuE3ELNS1_3repE0EEENS1_48merge_mergepath_partition_config_static_selectorELNS0_4arch9wavefront6targetE1EEEvSL_
    .private_segment_fixed_size: 0
    .sgpr_count:     4
    .sgpr_spill_count: 0
    .symbol:         _ZN7rocprim17ROCPRIM_400000_NS6detail17trampoline_kernelINS0_14default_configENS1_38merge_sort_block_merge_config_selectorIiNS0_10empty_typeEEEZZNS1_27merge_sort_block_merge_implIS3_N6thrust23THRUST_200600_302600_NS6detail15normal_iteratorINS9_10device_ptrIiEEEEPS5_jNS1_19radix_merge_compareILb0ELb1EiNS0_19identity_decomposerEEEEE10hipError_tT0_T1_T2_jT3_P12ihipStream_tbPNSt15iterator_traitsISK_E10value_typeEPNSQ_ISL_E10value_typeEPSM_NS1_7vsmem_tEENKUlT_SK_SL_SM_E_clIPiSE_SF_SF_EESJ_SZ_SK_SL_SM_EUlSZ_E_NS1_11comp_targetILNS1_3genE9ELNS1_11target_archE1100ELNS1_3gpuE3ELNS1_3repE0EEENS1_48merge_mergepath_partition_config_static_selectorELNS0_4arch9wavefront6targetE1EEEvSL_.kd
    .uniform_work_group_size: 1
    .uses_dynamic_stack: false
    .vgpr_count:     0
    .vgpr_spill_count: 0
    .wavefront_size: 64
  - .agpr_count:     0
    .args:
      - .offset:         0
        .size:           40
        .value_kind:     by_value
    .group_segment_fixed_size: 0
    .kernarg_segment_align: 8
    .kernarg_segment_size: 40
    .language:       OpenCL C
    .language_version:
      - 2
      - 0
    .max_flat_workgroup_size: 128
    .name:           _ZN7rocprim17ROCPRIM_400000_NS6detail17trampoline_kernelINS0_14default_configENS1_38merge_sort_block_merge_config_selectorIiNS0_10empty_typeEEEZZNS1_27merge_sort_block_merge_implIS3_N6thrust23THRUST_200600_302600_NS6detail15normal_iteratorINS9_10device_ptrIiEEEEPS5_jNS1_19radix_merge_compareILb0ELb1EiNS0_19identity_decomposerEEEEE10hipError_tT0_T1_T2_jT3_P12ihipStream_tbPNSt15iterator_traitsISK_E10value_typeEPNSQ_ISL_E10value_typeEPSM_NS1_7vsmem_tEENKUlT_SK_SL_SM_E_clIPiSE_SF_SF_EESJ_SZ_SK_SL_SM_EUlSZ_E_NS1_11comp_targetILNS1_3genE8ELNS1_11target_archE1030ELNS1_3gpuE2ELNS1_3repE0EEENS1_48merge_mergepath_partition_config_static_selectorELNS0_4arch9wavefront6targetE1EEEvSL_
    .private_segment_fixed_size: 0
    .sgpr_count:     4
    .sgpr_spill_count: 0
    .symbol:         _ZN7rocprim17ROCPRIM_400000_NS6detail17trampoline_kernelINS0_14default_configENS1_38merge_sort_block_merge_config_selectorIiNS0_10empty_typeEEEZZNS1_27merge_sort_block_merge_implIS3_N6thrust23THRUST_200600_302600_NS6detail15normal_iteratorINS9_10device_ptrIiEEEEPS5_jNS1_19radix_merge_compareILb0ELb1EiNS0_19identity_decomposerEEEEE10hipError_tT0_T1_T2_jT3_P12ihipStream_tbPNSt15iterator_traitsISK_E10value_typeEPNSQ_ISL_E10value_typeEPSM_NS1_7vsmem_tEENKUlT_SK_SL_SM_E_clIPiSE_SF_SF_EESJ_SZ_SK_SL_SM_EUlSZ_E_NS1_11comp_targetILNS1_3genE8ELNS1_11target_archE1030ELNS1_3gpuE2ELNS1_3repE0EEENS1_48merge_mergepath_partition_config_static_selectorELNS0_4arch9wavefront6targetE1EEEvSL_.kd
    .uniform_work_group_size: 1
    .uses_dynamic_stack: false
    .vgpr_count:     0
    .vgpr_spill_count: 0
    .wavefront_size: 64
  - .agpr_count:     0
    .args:
      - .offset:         0
        .size:           64
        .value_kind:     by_value
    .group_segment_fixed_size: 0
    .kernarg_segment_align: 8
    .kernarg_segment_size: 64
    .language:       OpenCL C
    .language_version:
      - 2
      - 0
    .max_flat_workgroup_size: 128
    .name:           _ZN7rocprim17ROCPRIM_400000_NS6detail17trampoline_kernelINS0_14default_configENS1_38merge_sort_block_merge_config_selectorIiNS0_10empty_typeEEEZZNS1_27merge_sort_block_merge_implIS3_N6thrust23THRUST_200600_302600_NS6detail15normal_iteratorINS9_10device_ptrIiEEEEPS5_jNS1_19radix_merge_compareILb0ELb1EiNS0_19identity_decomposerEEEEE10hipError_tT0_T1_T2_jT3_P12ihipStream_tbPNSt15iterator_traitsISK_E10value_typeEPNSQ_ISL_E10value_typeEPSM_NS1_7vsmem_tEENKUlT_SK_SL_SM_E_clIPiSE_SF_SF_EESJ_SZ_SK_SL_SM_EUlSZ_E0_NS1_11comp_targetILNS1_3genE0ELNS1_11target_archE4294967295ELNS1_3gpuE0ELNS1_3repE0EEENS1_38merge_mergepath_config_static_selectorELNS0_4arch9wavefront6targetE1EEEvSL_
    .private_segment_fixed_size: 0
    .sgpr_count:     4
    .sgpr_spill_count: 0
    .symbol:         _ZN7rocprim17ROCPRIM_400000_NS6detail17trampoline_kernelINS0_14default_configENS1_38merge_sort_block_merge_config_selectorIiNS0_10empty_typeEEEZZNS1_27merge_sort_block_merge_implIS3_N6thrust23THRUST_200600_302600_NS6detail15normal_iteratorINS9_10device_ptrIiEEEEPS5_jNS1_19radix_merge_compareILb0ELb1EiNS0_19identity_decomposerEEEEE10hipError_tT0_T1_T2_jT3_P12ihipStream_tbPNSt15iterator_traitsISK_E10value_typeEPNSQ_ISL_E10value_typeEPSM_NS1_7vsmem_tEENKUlT_SK_SL_SM_E_clIPiSE_SF_SF_EESJ_SZ_SK_SL_SM_EUlSZ_E0_NS1_11comp_targetILNS1_3genE0ELNS1_11target_archE4294967295ELNS1_3gpuE0ELNS1_3repE0EEENS1_38merge_mergepath_config_static_selectorELNS0_4arch9wavefront6targetE1EEEvSL_.kd
    .uniform_work_group_size: 1
    .uses_dynamic_stack: false
    .vgpr_count:     0
    .vgpr_spill_count: 0
    .wavefront_size: 64
  - .agpr_count:     0
    .args:
      - .offset:         0
        .size:           64
        .value_kind:     by_value
    .group_segment_fixed_size: 0
    .kernarg_segment_align: 8
    .kernarg_segment_size: 64
    .language:       OpenCL C
    .language_version:
      - 2
      - 0
    .max_flat_workgroup_size: 256
    .name:           _ZN7rocprim17ROCPRIM_400000_NS6detail17trampoline_kernelINS0_14default_configENS1_38merge_sort_block_merge_config_selectorIiNS0_10empty_typeEEEZZNS1_27merge_sort_block_merge_implIS3_N6thrust23THRUST_200600_302600_NS6detail15normal_iteratorINS9_10device_ptrIiEEEEPS5_jNS1_19radix_merge_compareILb0ELb1EiNS0_19identity_decomposerEEEEE10hipError_tT0_T1_T2_jT3_P12ihipStream_tbPNSt15iterator_traitsISK_E10value_typeEPNSQ_ISL_E10value_typeEPSM_NS1_7vsmem_tEENKUlT_SK_SL_SM_E_clIPiSE_SF_SF_EESJ_SZ_SK_SL_SM_EUlSZ_E0_NS1_11comp_targetILNS1_3genE10ELNS1_11target_archE1201ELNS1_3gpuE5ELNS1_3repE0EEENS1_38merge_mergepath_config_static_selectorELNS0_4arch9wavefront6targetE1EEEvSL_
    .private_segment_fixed_size: 0
    .sgpr_count:     4
    .sgpr_spill_count: 0
    .symbol:         _ZN7rocprim17ROCPRIM_400000_NS6detail17trampoline_kernelINS0_14default_configENS1_38merge_sort_block_merge_config_selectorIiNS0_10empty_typeEEEZZNS1_27merge_sort_block_merge_implIS3_N6thrust23THRUST_200600_302600_NS6detail15normal_iteratorINS9_10device_ptrIiEEEEPS5_jNS1_19radix_merge_compareILb0ELb1EiNS0_19identity_decomposerEEEEE10hipError_tT0_T1_T2_jT3_P12ihipStream_tbPNSt15iterator_traitsISK_E10value_typeEPNSQ_ISL_E10value_typeEPSM_NS1_7vsmem_tEENKUlT_SK_SL_SM_E_clIPiSE_SF_SF_EESJ_SZ_SK_SL_SM_EUlSZ_E0_NS1_11comp_targetILNS1_3genE10ELNS1_11target_archE1201ELNS1_3gpuE5ELNS1_3repE0EEENS1_38merge_mergepath_config_static_selectorELNS0_4arch9wavefront6targetE1EEEvSL_.kd
    .uniform_work_group_size: 1
    .uses_dynamic_stack: false
    .vgpr_count:     0
    .vgpr_spill_count: 0
    .wavefront_size: 64
  - .agpr_count:     0
    .args:
      - .offset:         0
        .size:           64
        .value_kind:     by_value
    .group_segment_fixed_size: 0
    .kernarg_segment_align: 8
    .kernarg_segment_size: 64
    .language:       OpenCL C
    .language_version:
      - 2
      - 0
    .max_flat_workgroup_size: 128
    .name:           _ZN7rocprim17ROCPRIM_400000_NS6detail17trampoline_kernelINS0_14default_configENS1_38merge_sort_block_merge_config_selectorIiNS0_10empty_typeEEEZZNS1_27merge_sort_block_merge_implIS3_N6thrust23THRUST_200600_302600_NS6detail15normal_iteratorINS9_10device_ptrIiEEEEPS5_jNS1_19radix_merge_compareILb0ELb1EiNS0_19identity_decomposerEEEEE10hipError_tT0_T1_T2_jT3_P12ihipStream_tbPNSt15iterator_traitsISK_E10value_typeEPNSQ_ISL_E10value_typeEPSM_NS1_7vsmem_tEENKUlT_SK_SL_SM_E_clIPiSE_SF_SF_EESJ_SZ_SK_SL_SM_EUlSZ_E0_NS1_11comp_targetILNS1_3genE5ELNS1_11target_archE942ELNS1_3gpuE9ELNS1_3repE0EEENS1_38merge_mergepath_config_static_selectorELNS0_4arch9wavefront6targetE1EEEvSL_
    .private_segment_fixed_size: 0
    .sgpr_count:     4
    .sgpr_spill_count: 0
    .symbol:         _ZN7rocprim17ROCPRIM_400000_NS6detail17trampoline_kernelINS0_14default_configENS1_38merge_sort_block_merge_config_selectorIiNS0_10empty_typeEEEZZNS1_27merge_sort_block_merge_implIS3_N6thrust23THRUST_200600_302600_NS6detail15normal_iteratorINS9_10device_ptrIiEEEEPS5_jNS1_19radix_merge_compareILb0ELb1EiNS0_19identity_decomposerEEEEE10hipError_tT0_T1_T2_jT3_P12ihipStream_tbPNSt15iterator_traitsISK_E10value_typeEPNSQ_ISL_E10value_typeEPSM_NS1_7vsmem_tEENKUlT_SK_SL_SM_E_clIPiSE_SF_SF_EESJ_SZ_SK_SL_SM_EUlSZ_E0_NS1_11comp_targetILNS1_3genE5ELNS1_11target_archE942ELNS1_3gpuE9ELNS1_3repE0EEENS1_38merge_mergepath_config_static_selectorELNS0_4arch9wavefront6targetE1EEEvSL_.kd
    .uniform_work_group_size: 1
    .uses_dynamic_stack: false
    .vgpr_count:     0
    .vgpr_spill_count: 0
    .wavefront_size: 64
  - .agpr_count:     0
    .args:
      - .offset:         0
        .size:           64
        .value_kind:     by_value
      - .offset:         64
        .size:           4
        .value_kind:     hidden_block_count_x
      - .offset:         68
        .size:           4
        .value_kind:     hidden_block_count_y
      - .offset:         72
        .size:           4
        .value_kind:     hidden_block_count_z
      - .offset:         76
        .size:           2
        .value_kind:     hidden_group_size_x
      - .offset:         78
        .size:           2
        .value_kind:     hidden_group_size_y
      - .offset:         80
        .size:           2
        .value_kind:     hidden_group_size_z
      - .offset:         82
        .size:           2
        .value_kind:     hidden_remainder_x
      - .offset:         84
        .size:           2
        .value_kind:     hidden_remainder_y
      - .offset:         86
        .size:           2
        .value_kind:     hidden_remainder_z
      - .offset:         104
        .size:           8
        .value_kind:     hidden_global_offset_x
      - .offset:         112
        .size:           8
        .value_kind:     hidden_global_offset_y
      - .offset:         120
        .size:           8
        .value_kind:     hidden_global_offset_z
      - .offset:         128
        .size:           2
        .value_kind:     hidden_grid_dims
    .group_segment_fixed_size: 4224
    .kernarg_segment_align: 8
    .kernarg_segment_size: 320
    .language:       OpenCL C
    .language_version:
      - 2
      - 0
    .max_flat_workgroup_size: 128
    .name:           _ZN7rocprim17ROCPRIM_400000_NS6detail17trampoline_kernelINS0_14default_configENS1_38merge_sort_block_merge_config_selectorIiNS0_10empty_typeEEEZZNS1_27merge_sort_block_merge_implIS3_N6thrust23THRUST_200600_302600_NS6detail15normal_iteratorINS9_10device_ptrIiEEEEPS5_jNS1_19radix_merge_compareILb0ELb1EiNS0_19identity_decomposerEEEEE10hipError_tT0_T1_T2_jT3_P12ihipStream_tbPNSt15iterator_traitsISK_E10value_typeEPNSQ_ISL_E10value_typeEPSM_NS1_7vsmem_tEENKUlT_SK_SL_SM_E_clIPiSE_SF_SF_EESJ_SZ_SK_SL_SM_EUlSZ_E0_NS1_11comp_targetILNS1_3genE4ELNS1_11target_archE910ELNS1_3gpuE8ELNS1_3repE0EEENS1_38merge_mergepath_config_static_selectorELNS0_4arch9wavefront6targetE1EEEvSL_
    .private_segment_fixed_size: 0
    .sgpr_count:     29
    .sgpr_spill_count: 0
    .symbol:         _ZN7rocprim17ROCPRIM_400000_NS6detail17trampoline_kernelINS0_14default_configENS1_38merge_sort_block_merge_config_selectorIiNS0_10empty_typeEEEZZNS1_27merge_sort_block_merge_implIS3_N6thrust23THRUST_200600_302600_NS6detail15normal_iteratorINS9_10device_ptrIiEEEEPS5_jNS1_19radix_merge_compareILb0ELb1EiNS0_19identity_decomposerEEEEE10hipError_tT0_T1_T2_jT3_P12ihipStream_tbPNSt15iterator_traitsISK_E10value_typeEPNSQ_ISL_E10value_typeEPSM_NS1_7vsmem_tEENKUlT_SK_SL_SM_E_clIPiSE_SF_SF_EESJ_SZ_SK_SL_SM_EUlSZ_E0_NS1_11comp_targetILNS1_3genE4ELNS1_11target_archE910ELNS1_3gpuE8ELNS1_3repE0EEENS1_38merge_mergepath_config_static_selectorELNS0_4arch9wavefront6targetE1EEEvSL_.kd
    .uniform_work_group_size: 1
    .uses_dynamic_stack: false
    .vgpr_count:     26
    .vgpr_spill_count: 0
    .wavefront_size: 64
  - .agpr_count:     0
    .args:
      - .offset:         0
        .size:           64
        .value_kind:     by_value
    .group_segment_fixed_size: 0
    .kernarg_segment_align: 8
    .kernarg_segment_size: 64
    .language:       OpenCL C
    .language_version:
      - 2
      - 0
    .max_flat_workgroup_size: 128
    .name:           _ZN7rocprim17ROCPRIM_400000_NS6detail17trampoline_kernelINS0_14default_configENS1_38merge_sort_block_merge_config_selectorIiNS0_10empty_typeEEEZZNS1_27merge_sort_block_merge_implIS3_N6thrust23THRUST_200600_302600_NS6detail15normal_iteratorINS9_10device_ptrIiEEEEPS5_jNS1_19radix_merge_compareILb0ELb1EiNS0_19identity_decomposerEEEEE10hipError_tT0_T1_T2_jT3_P12ihipStream_tbPNSt15iterator_traitsISK_E10value_typeEPNSQ_ISL_E10value_typeEPSM_NS1_7vsmem_tEENKUlT_SK_SL_SM_E_clIPiSE_SF_SF_EESJ_SZ_SK_SL_SM_EUlSZ_E0_NS1_11comp_targetILNS1_3genE3ELNS1_11target_archE908ELNS1_3gpuE7ELNS1_3repE0EEENS1_38merge_mergepath_config_static_selectorELNS0_4arch9wavefront6targetE1EEEvSL_
    .private_segment_fixed_size: 0
    .sgpr_count:     4
    .sgpr_spill_count: 0
    .symbol:         _ZN7rocprim17ROCPRIM_400000_NS6detail17trampoline_kernelINS0_14default_configENS1_38merge_sort_block_merge_config_selectorIiNS0_10empty_typeEEEZZNS1_27merge_sort_block_merge_implIS3_N6thrust23THRUST_200600_302600_NS6detail15normal_iteratorINS9_10device_ptrIiEEEEPS5_jNS1_19radix_merge_compareILb0ELb1EiNS0_19identity_decomposerEEEEE10hipError_tT0_T1_T2_jT3_P12ihipStream_tbPNSt15iterator_traitsISK_E10value_typeEPNSQ_ISL_E10value_typeEPSM_NS1_7vsmem_tEENKUlT_SK_SL_SM_E_clIPiSE_SF_SF_EESJ_SZ_SK_SL_SM_EUlSZ_E0_NS1_11comp_targetILNS1_3genE3ELNS1_11target_archE908ELNS1_3gpuE7ELNS1_3repE0EEENS1_38merge_mergepath_config_static_selectorELNS0_4arch9wavefront6targetE1EEEvSL_.kd
    .uniform_work_group_size: 1
    .uses_dynamic_stack: false
    .vgpr_count:     0
    .vgpr_spill_count: 0
    .wavefront_size: 64
  - .agpr_count:     0
    .args:
      - .offset:         0
        .size:           64
        .value_kind:     by_value
    .group_segment_fixed_size: 0
    .kernarg_segment_align: 8
    .kernarg_segment_size: 64
    .language:       OpenCL C
    .language_version:
      - 2
      - 0
    .max_flat_workgroup_size: 128
    .name:           _ZN7rocprim17ROCPRIM_400000_NS6detail17trampoline_kernelINS0_14default_configENS1_38merge_sort_block_merge_config_selectorIiNS0_10empty_typeEEEZZNS1_27merge_sort_block_merge_implIS3_N6thrust23THRUST_200600_302600_NS6detail15normal_iteratorINS9_10device_ptrIiEEEEPS5_jNS1_19radix_merge_compareILb0ELb1EiNS0_19identity_decomposerEEEEE10hipError_tT0_T1_T2_jT3_P12ihipStream_tbPNSt15iterator_traitsISK_E10value_typeEPNSQ_ISL_E10value_typeEPSM_NS1_7vsmem_tEENKUlT_SK_SL_SM_E_clIPiSE_SF_SF_EESJ_SZ_SK_SL_SM_EUlSZ_E0_NS1_11comp_targetILNS1_3genE2ELNS1_11target_archE906ELNS1_3gpuE6ELNS1_3repE0EEENS1_38merge_mergepath_config_static_selectorELNS0_4arch9wavefront6targetE1EEEvSL_
    .private_segment_fixed_size: 0
    .sgpr_count:     4
    .sgpr_spill_count: 0
    .symbol:         _ZN7rocprim17ROCPRIM_400000_NS6detail17trampoline_kernelINS0_14default_configENS1_38merge_sort_block_merge_config_selectorIiNS0_10empty_typeEEEZZNS1_27merge_sort_block_merge_implIS3_N6thrust23THRUST_200600_302600_NS6detail15normal_iteratorINS9_10device_ptrIiEEEEPS5_jNS1_19radix_merge_compareILb0ELb1EiNS0_19identity_decomposerEEEEE10hipError_tT0_T1_T2_jT3_P12ihipStream_tbPNSt15iterator_traitsISK_E10value_typeEPNSQ_ISL_E10value_typeEPSM_NS1_7vsmem_tEENKUlT_SK_SL_SM_E_clIPiSE_SF_SF_EESJ_SZ_SK_SL_SM_EUlSZ_E0_NS1_11comp_targetILNS1_3genE2ELNS1_11target_archE906ELNS1_3gpuE6ELNS1_3repE0EEENS1_38merge_mergepath_config_static_selectorELNS0_4arch9wavefront6targetE1EEEvSL_.kd
    .uniform_work_group_size: 1
    .uses_dynamic_stack: false
    .vgpr_count:     0
    .vgpr_spill_count: 0
    .wavefront_size: 64
  - .agpr_count:     0
    .args:
      - .offset:         0
        .size:           64
        .value_kind:     by_value
    .group_segment_fixed_size: 0
    .kernarg_segment_align: 8
    .kernarg_segment_size: 64
    .language:       OpenCL C
    .language_version:
      - 2
      - 0
    .max_flat_workgroup_size: 256
    .name:           _ZN7rocprim17ROCPRIM_400000_NS6detail17trampoline_kernelINS0_14default_configENS1_38merge_sort_block_merge_config_selectorIiNS0_10empty_typeEEEZZNS1_27merge_sort_block_merge_implIS3_N6thrust23THRUST_200600_302600_NS6detail15normal_iteratorINS9_10device_ptrIiEEEEPS5_jNS1_19radix_merge_compareILb0ELb1EiNS0_19identity_decomposerEEEEE10hipError_tT0_T1_T2_jT3_P12ihipStream_tbPNSt15iterator_traitsISK_E10value_typeEPNSQ_ISL_E10value_typeEPSM_NS1_7vsmem_tEENKUlT_SK_SL_SM_E_clIPiSE_SF_SF_EESJ_SZ_SK_SL_SM_EUlSZ_E0_NS1_11comp_targetILNS1_3genE9ELNS1_11target_archE1100ELNS1_3gpuE3ELNS1_3repE0EEENS1_38merge_mergepath_config_static_selectorELNS0_4arch9wavefront6targetE1EEEvSL_
    .private_segment_fixed_size: 0
    .sgpr_count:     4
    .sgpr_spill_count: 0
    .symbol:         _ZN7rocprim17ROCPRIM_400000_NS6detail17trampoline_kernelINS0_14default_configENS1_38merge_sort_block_merge_config_selectorIiNS0_10empty_typeEEEZZNS1_27merge_sort_block_merge_implIS3_N6thrust23THRUST_200600_302600_NS6detail15normal_iteratorINS9_10device_ptrIiEEEEPS5_jNS1_19radix_merge_compareILb0ELb1EiNS0_19identity_decomposerEEEEE10hipError_tT0_T1_T2_jT3_P12ihipStream_tbPNSt15iterator_traitsISK_E10value_typeEPNSQ_ISL_E10value_typeEPSM_NS1_7vsmem_tEENKUlT_SK_SL_SM_E_clIPiSE_SF_SF_EESJ_SZ_SK_SL_SM_EUlSZ_E0_NS1_11comp_targetILNS1_3genE9ELNS1_11target_archE1100ELNS1_3gpuE3ELNS1_3repE0EEENS1_38merge_mergepath_config_static_selectorELNS0_4arch9wavefront6targetE1EEEvSL_.kd
    .uniform_work_group_size: 1
    .uses_dynamic_stack: false
    .vgpr_count:     0
    .vgpr_spill_count: 0
    .wavefront_size: 64
  - .agpr_count:     0
    .args:
      - .offset:         0
        .size:           64
        .value_kind:     by_value
    .group_segment_fixed_size: 0
    .kernarg_segment_align: 8
    .kernarg_segment_size: 64
    .language:       OpenCL C
    .language_version:
      - 2
      - 0
    .max_flat_workgroup_size: 512
    .name:           _ZN7rocprim17ROCPRIM_400000_NS6detail17trampoline_kernelINS0_14default_configENS1_38merge_sort_block_merge_config_selectorIiNS0_10empty_typeEEEZZNS1_27merge_sort_block_merge_implIS3_N6thrust23THRUST_200600_302600_NS6detail15normal_iteratorINS9_10device_ptrIiEEEEPS5_jNS1_19radix_merge_compareILb0ELb1EiNS0_19identity_decomposerEEEEE10hipError_tT0_T1_T2_jT3_P12ihipStream_tbPNSt15iterator_traitsISK_E10value_typeEPNSQ_ISL_E10value_typeEPSM_NS1_7vsmem_tEENKUlT_SK_SL_SM_E_clIPiSE_SF_SF_EESJ_SZ_SK_SL_SM_EUlSZ_E0_NS1_11comp_targetILNS1_3genE8ELNS1_11target_archE1030ELNS1_3gpuE2ELNS1_3repE0EEENS1_38merge_mergepath_config_static_selectorELNS0_4arch9wavefront6targetE1EEEvSL_
    .private_segment_fixed_size: 0
    .sgpr_count:     4
    .sgpr_spill_count: 0
    .symbol:         _ZN7rocprim17ROCPRIM_400000_NS6detail17trampoline_kernelINS0_14default_configENS1_38merge_sort_block_merge_config_selectorIiNS0_10empty_typeEEEZZNS1_27merge_sort_block_merge_implIS3_N6thrust23THRUST_200600_302600_NS6detail15normal_iteratorINS9_10device_ptrIiEEEEPS5_jNS1_19radix_merge_compareILb0ELb1EiNS0_19identity_decomposerEEEEE10hipError_tT0_T1_T2_jT3_P12ihipStream_tbPNSt15iterator_traitsISK_E10value_typeEPNSQ_ISL_E10value_typeEPSM_NS1_7vsmem_tEENKUlT_SK_SL_SM_E_clIPiSE_SF_SF_EESJ_SZ_SK_SL_SM_EUlSZ_E0_NS1_11comp_targetILNS1_3genE8ELNS1_11target_archE1030ELNS1_3gpuE2ELNS1_3repE0EEENS1_38merge_mergepath_config_static_selectorELNS0_4arch9wavefront6targetE1EEEvSL_.kd
    .uniform_work_group_size: 1
    .uses_dynamic_stack: false
    .vgpr_count:     0
    .vgpr_spill_count: 0
    .wavefront_size: 64
  - .agpr_count:     0
    .args:
      - .offset:         0
        .size:           48
        .value_kind:     by_value
    .group_segment_fixed_size: 0
    .kernarg_segment_align: 8
    .kernarg_segment_size: 48
    .language:       OpenCL C
    .language_version:
      - 2
      - 0
    .max_flat_workgroup_size: 256
    .name:           _ZN7rocprim17ROCPRIM_400000_NS6detail17trampoline_kernelINS0_14default_configENS1_38merge_sort_block_merge_config_selectorIiNS0_10empty_typeEEEZZNS1_27merge_sort_block_merge_implIS3_N6thrust23THRUST_200600_302600_NS6detail15normal_iteratorINS9_10device_ptrIiEEEEPS5_jNS1_19radix_merge_compareILb0ELb1EiNS0_19identity_decomposerEEEEE10hipError_tT0_T1_T2_jT3_P12ihipStream_tbPNSt15iterator_traitsISK_E10value_typeEPNSQ_ISL_E10value_typeEPSM_NS1_7vsmem_tEENKUlT_SK_SL_SM_E_clIPiSE_SF_SF_EESJ_SZ_SK_SL_SM_EUlSZ_E1_NS1_11comp_targetILNS1_3genE0ELNS1_11target_archE4294967295ELNS1_3gpuE0ELNS1_3repE0EEENS1_36merge_oddeven_config_static_selectorELNS0_4arch9wavefront6targetE1EEEvSL_
    .private_segment_fixed_size: 0
    .sgpr_count:     4
    .sgpr_spill_count: 0
    .symbol:         _ZN7rocprim17ROCPRIM_400000_NS6detail17trampoline_kernelINS0_14default_configENS1_38merge_sort_block_merge_config_selectorIiNS0_10empty_typeEEEZZNS1_27merge_sort_block_merge_implIS3_N6thrust23THRUST_200600_302600_NS6detail15normal_iteratorINS9_10device_ptrIiEEEEPS5_jNS1_19radix_merge_compareILb0ELb1EiNS0_19identity_decomposerEEEEE10hipError_tT0_T1_T2_jT3_P12ihipStream_tbPNSt15iterator_traitsISK_E10value_typeEPNSQ_ISL_E10value_typeEPSM_NS1_7vsmem_tEENKUlT_SK_SL_SM_E_clIPiSE_SF_SF_EESJ_SZ_SK_SL_SM_EUlSZ_E1_NS1_11comp_targetILNS1_3genE0ELNS1_11target_archE4294967295ELNS1_3gpuE0ELNS1_3repE0EEENS1_36merge_oddeven_config_static_selectorELNS0_4arch9wavefront6targetE1EEEvSL_.kd
    .uniform_work_group_size: 1
    .uses_dynamic_stack: false
    .vgpr_count:     0
    .vgpr_spill_count: 0
    .wavefront_size: 64
  - .agpr_count:     0
    .args:
      - .offset:         0
        .size:           48
        .value_kind:     by_value
    .group_segment_fixed_size: 0
    .kernarg_segment_align: 8
    .kernarg_segment_size: 48
    .language:       OpenCL C
    .language_version:
      - 2
      - 0
    .max_flat_workgroup_size: 256
    .name:           _ZN7rocprim17ROCPRIM_400000_NS6detail17trampoline_kernelINS0_14default_configENS1_38merge_sort_block_merge_config_selectorIiNS0_10empty_typeEEEZZNS1_27merge_sort_block_merge_implIS3_N6thrust23THRUST_200600_302600_NS6detail15normal_iteratorINS9_10device_ptrIiEEEEPS5_jNS1_19radix_merge_compareILb0ELb1EiNS0_19identity_decomposerEEEEE10hipError_tT0_T1_T2_jT3_P12ihipStream_tbPNSt15iterator_traitsISK_E10value_typeEPNSQ_ISL_E10value_typeEPSM_NS1_7vsmem_tEENKUlT_SK_SL_SM_E_clIPiSE_SF_SF_EESJ_SZ_SK_SL_SM_EUlSZ_E1_NS1_11comp_targetILNS1_3genE10ELNS1_11target_archE1201ELNS1_3gpuE5ELNS1_3repE0EEENS1_36merge_oddeven_config_static_selectorELNS0_4arch9wavefront6targetE1EEEvSL_
    .private_segment_fixed_size: 0
    .sgpr_count:     4
    .sgpr_spill_count: 0
    .symbol:         _ZN7rocprim17ROCPRIM_400000_NS6detail17trampoline_kernelINS0_14default_configENS1_38merge_sort_block_merge_config_selectorIiNS0_10empty_typeEEEZZNS1_27merge_sort_block_merge_implIS3_N6thrust23THRUST_200600_302600_NS6detail15normal_iteratorINS9_10device_ptrIiEEEEPS5_jNS1_19radix_merge_compareILb0ELb1EiNS0_19identity_decomposerEEEEE10hipError_tT0_T1_T2_jT3_P12ihipStream_tbPNSt15iterator_traitsISK_E10value_typeEPNSQ_ISL_E10value_typeEPSM_NS1_7vsmem_tEENKUlT_SK_SL_SM_E_clIPiSE_SF_SF_EESJ_SZ_SK_SL_SM_EUlSZ_E1_NS1_11comp_targetILNS1_3genE10ELNS1_11target_archE1201ELNS1_3gpuE5ELNS1_3repE0EEENS1_36merge_oddeven_config_static_selectorELNS0_4arch9wavefront6targetE1EEEvSL_.kd
    .uniform_work_group_size: 1
    .uses_dynamic_stack: false
    .vgpr_count:     0
    .vgpr_spill_count: 0
    .wavefront_size: 64
  - .agpr_count:     0
    .args:
      - .offset:         0
        .size:           48
        .value_kind:     by_value
    .group_segment_fixed_size: 0
    .kernarg_segment_align: 8
    .kernarg_segment_size: 48
    .language:       OpenCL C
    .language_version:
      - 2
      - 0
    .max_flat_workgroup_size: 256
    .name:           _ZN7rocprim17ROCPRIM_400000_NS6detail17trampoline_kernelINS0_14default_configENS1_38merge_sort_block_merge_config_selectorIiNS0_10empty_typeEEEZZNS1_27merge_sort_block_merge_implIS3_N6thrust23THRUST_200600_302600_NS6detail15normal_iteratorINS9_10device_ptrIiEEEEPS5_jNS1_19radix_merge_compareILb0ELb1EiNS0_19identity_decomposerEEEEE10hipError_tT0_T1_T2_jT3_P12ihipStream_tbPNSt15iterator_traitsISK_E10value_typeEPNSQ_ISL_E10value_typeEPSM_NS1_7vsmem_tEENKUlT_SK_SL_SM_E_clIPiSE_SF_SF_EESJ_SZ_SK_SL_SM_EUlSZ_E1_NS1_11comp_targetILNS1_3genE5ELNS1_11target_archE942ELNS1_3gpuE9ELNS1_3repE0EEENS1_36merge_oddeven_config_static_selectorELNS0_4arch9wavefront6targetE1EEEvSL_
    .private_segment_fixed_size: 0
    .sgpr_count:     4
    .sgpr_spill_count: 0
    .symbol:         _ZN7rocprim17ROCPRIM_400000_NS6detail17trampoline_kernelINS0_14default_configENS1_38merge_sort_block_merge_config_selectorIiNS0_10empty_typeEEEZZNS1_27merge_sort_block_merge_implIS3_N6thrust23THRUST_200600_302600_NS6detail15normal_iteratorINS9_10device_ptrIiEEEEPS5_jNS1_19radix_merge_compareILb0ELb1EiNS0_19identity_decomposerEEEEE10hipError_tT0_T1_T2_jT3_P12ihipStream_tbPNSt15iterator_traitsISK_E10value_typeEPNSQ_ISL_E10value_typeEPSM_NS1_7vsmem_tEENKUlT_SK_SL_SM_E_clIPiSE_SF_SF_EESJ_SZ_SK_SL_SM_EUlSZ_E1_NS1_11comp_targetILNS1_3genE5ELNS1_11target_archE942ELNS1_3gpuE9ELNS1_3repE0EEENS1_36merge_oddeven_config_static_selectorELNS0_4arch9wavefront6targetE1EEEvSL_.kd
    .uniform_work_group_size: 1
    .uses_dynamic_stack: false
    .vgpr_count:     0
    .vgpr_spill_count: 0
    .wavefront_size: 64
  - .agpr_count:     0
    .args:
      - .offset:         0
        .size:           48
        .value_kind:     by_value
    .group_segment_fixed_size: 0
    .kernarg_segment_align: 8
    .kernarg_segment_size: 48
    .language:       OpenCL C
    .language_version:
      - 2
      - 0
    .max_flat_workgroup_size: 256
    .name:           _ZN7rocprim17ROCPRIM_400000_NS6detail17trampoline_kernelINS0_14default_configENS1_38merge_sort_block_merge_config_selectorIiNS0_10empty_typeEEEZZNS1_27merge_sort_block_merge_implIS3_N6thrust23THRUST_200600_302600_NS6detail15normal_iteratorINS9_10device_ptrIiEEEEPS5_jNS1_19radix_merge_compareILb0ELb1EiNS0_19identity_decomposerEEEEE10hipError_tT0_T1_T2_jT3_P12ihipStream_tbPNSt15iterator_traitsISK_E10value_typeEPNSQ_ISL_E10value_typeEPSM_NS1_7vsmem_tEENKUlT_SK_SL_SM_E_clIPiSE_SF_SF_EESJ_SZ_SK_SL_SM_EUlSZ_E1_NS1_11comp_targetILNS1_3genE4ELNS1_11target_archE910ELNS1_3gpuE8ELNS1_3repE0EEENS1_36merge_oddeven_config_static_selectorELNS0_4arch9wavefront6targetE1EEEvSL_
    .private_segment_fixed_size: 0
    .sgpr_count:     25
    .sgpr_spill_count: 0
    .symbol:         _ZN7rocprim17ROCPRIM_400000_NS6detail17trampoline_kernelINS0_14default_configENS1_38merge_sort_block_merge_config_selectorIiNS0_10empty_typeEEEZZNS1_27merge_sort_block_merge_implIS3_N6thrust23THRUST_200600_302600_NS6detail15normal_iteratorINS9_10device_ptrIiEEEEPS5_jNS1_19radix_merge_compareILb0ELb1EiNS0_19identity_decomposerEEEEE10hipError_tT0_T1_T2_jT3_P12ihipStream_tbPNSt15iterator_traitsISK_E10value_typeEPNSQ_ISL_E10value_typeEPSM_NS1_7vsmem_tEENKUlT_SK_SL_SM_E_clIPiSE_SF_SF_EESJ_SZ_SK_SL_SM_EUlSZ_E1_NS1_11comp_targetILNS1_3genE4ELNS1_11target_archE910ELNS1_3gpuE8ELNS1_3repE0EEENS1_36merge_oddeven_config_static_selectorELNS0_4arch9wavefront6targetE1EEEvSL_.kd
    .uniform_work_group_size: 1
    .uses_dynamic_stack: false
    .vgpr_count:     11
    .vgpr_spill_count: 0
    .wavefront_size: 64
  - .agpr_count:     0
    .args:
      - .offset:         0
        .size:           48
        .value_kind:     by_value
    .group_segment_fixed_size: 0
    .kernarg_segment_align: 8
    .kernarg_segment_size: 48
    .language:       OpenCL C
    .language_version:
      - 2
      - 0
    .max_flat_workgroup_size: 256
    .name:           _ZN7rocprim17ROCPRIM_400000_NS6detail17trampoline_kernelINS0_14default_configENS1_38merge_sort_block_merge_config_selectorIiNS0_10empty_typeEEEZZNS1_27merge_sort_block_merge_implIS3_N6thrust23THRUST_200600_302600_NS6detail15normal_iteratorINS9_10device_ptrIiEEEEPS5_jNS1_19radix_merge_compareILb0ELb1EiNS0_19identity_decomposerEEEEE10hipError_tT0_T1_T2_jT3_P12ihipStream_tbPNSt15iterator_traitsISK_E10value_typeEPNSQ_ISL_E10value_typeEPSM_NS1_7vsmem_tEENKUlT_SK_SL_SM_E_clIPiSE_SF_SF_EESJ_SZ_SK_SL_SM_EUlSZ_E1_NS1_11comp_targetILNS1_3genE3ELNS1_11target_archE908ELNS1_3gpuE7ELNS1_3repE0EEENS1_36merge_oddeven_config_static_selectorELNS0_4arch9wavefront6targetE1EEEvSL_
    .private_segment_fixed_size: 0
    .sgpr_count:     4
    .sgpr_spill_count: 0
    .symbol:         _ZN7rocprim17ROCPRIM_400000_NS6detail17trampoline_kernelINS0_14default_configENS1_38merge_sort_block_merge_config_selectorIiNS0_10empty_typeEEEZZNS1_27merge_sort_block_merge_implIS3_N6thrust23THRUST_200600_302600_NS6detail15normal_iteratorINS9_10device_ptrIiEEEEPS5_jNS1_19radix_merge_compareILb0ELb1EiNS0_19identity_decomposerEEEEE10hipError_tT0_T1_T2_jT3_P12ihipStream_tbPNSt15iterator_traitsISK_E10value_typeEPNSQ_ISL_E10value_typeEPSM_NS1_7vsmem_tEENKUlT_SK_SL_SM_E_clIPiSE_SF_SF_EESJ_SZ_SK_SL_SM_EUlSZ_E1_NS1_11comp_targetILNS1_3genE3ELNS1_11target_archE908ELNS1_3gpuE7ELNS1_3repE0EEENS1_36merge_oddeven_config_static_selectorELNS0_4arch9wavefront6targetE1EEEvSL_.kd
    .uniform_work_group_size: 1
    .uses_dynamic_stack: false
    .vgpr_count:     0
    .vgpr_spill_count: 0
    .wavefront_size: 64
  - .agpr_count:     0
    .args:
      - .offset:         0
        .size:           48
        .value_kind:     by_value
    .group_segment_fixed_size: 0
    .kernarg_segment_align: 8
    .kernarg_segment_size: 48
    .language:       OpenCL C
    .language_version:
      - 2
      - 0
    .max_flat_workgroup_size: 256
    .name:           _ZN7rocprim17ROCPRIM_400000_NS6detail17trampoline_kernelINS0_14default_configENS1_38merge_sort_block_merge_config_selectorIiNS0_10empty_typeEEEZZNS1_27merge_sort_block_merge_implIS3_N6thrust23THRUST_200600_302600_NS6detail15normal_iteratorINS9_10device_ptrIiEEEEPS5_jNS1_19radix_merge_compareILb0ELb1EiNS0_19identity_decomposerEEEEE10hipError_tT0_T1_T2_jT3_P12ihipStream_tbPNSt15iterator_traitsISK_E10value_typeEPNSQ_ISL_E10value_typeEPSM_NS1_7vsmem_tEENKUlT_SK_SL_SM_E_clIPiSE_SF_SF_EESJ_SZ_SK_SL_SM_EUlSZ_E1_NS1_11comp_targetILNS1_3genE2ELNS1_11target_archE906ELNS1_3gpuE6ELNS1_3repE0EEENS1_36merge_oddeven_config_static_selectorELNS0_4arch9wavefront6targetE1EEEvSL_
    .private_segment_fixed_size: 0
    .sgpr_count:     4
    .sgpr_spill_count: 0
    .symbol:         _ZN7rocprim17ROCPRIM_400000_NS6detail17trampoline_kernelINS0_14default_configENS1_38merge_sort_block_merge_config_selectorIiNS0_10empty_typeEEEZZNS1_27merge_sort_block_merge_implIS3_N6thrust23THRUST_200600_302600_NS6detail15normal_iteratorINS9_10device_ptrIiEEEEPS5_jNS1_19radix_merge_compareILb0ELb1EiNS0_19identity_decomposerEEEEE10hipError_tT0_T1_T2_jT3_P12ihipStream_tbPNSt15iterator_traitsISK_E10value_typeEPNSQ_ISL_E10value_typeEPSM_NS1_7vsmem_tEENKUlT_SK_SL_SM_E_clIPiSE_SF_SF_EESJ_SZ_SK_SL_SM_EUlSZ_E1_NS1_11comp_targetILNS1_3genE2ELNS1_11target_archE906ELNS1_3gpuE6ELNS1_3repE0EEENS1_36merge_oddeven_config_static_selectorELNS0_4arch9wavefront6targetE1EEEvSL_.kd
    .uniform_work_group_size: 1
    .uses_dynamic_stack: false
    .vgpr_count:     0
    .vgpr_spill_count: 0
    .wavefront_size: 64
  - .agpr_count:     0
    .args:
      - .offset:         0
        .size:           48
        .value_kind:     by_value
    .group_segment_fixed_size: 0
    .kernarg_segment_align: 8
    .kernarg_segment_size: 48
    .language:       OpenCL C
    .language_version:
      - 2
      - 0
    .max_flat_workgroup_size: 256
    .name:           _ZN7rocprim17ROCPRIM_400000_NS6detail17trampoline_kernelINS0_14default_configENS1_38merge_sort_block_merge_config_selectorIiNS0_10empty_typeEEEZZNS1_27merge_sort_block_merge_implIS3_N6thrust23THRUST_200600_302600_NS6detail15normal_iteratorINS9_10device_ptrIiEEEEPS5_jNS1_19radix_merge_compareILb0ELb1EiNS0_19identity_decomposerEEEEE10hipError_tT0_T1_T2_jT3_P12ihipStream_tbPNSt15iterator_traitsISK_E10value_typeEPNSQ_ISL_E10value_typeEPSM_NS1_7vsmem_tEENKUlT_SK_SL_SM_E_clIPiSE_SF_SF_EESJ_SZ_SK_SL_SM_EUlSZ_E1_NS1_11comp_targetILNS1_3genE9ELNS1_11target_archE1100ELNS1_3gpuE3ELNS1_3repE0EEENS1_36merge_oddeven_config_static_selectorELNS0_4arch9wavefront6targetE1EEEvSL_
    .private_segment_fixed_size: 0
    .sgpr_count:     4
    .sgpr_spill_count: 0
    .symbol:         _ZN7rocprim17ROCPRIM_400000_NS6detail17trampoline_kernelINS0_14default_configENS1_38merge_sort_block_merge_config_selectorIiNS0_10empty_typeEEEZZNS1_27merge_sort_block_merge_implIS3_N6thrust23THRUST_200600_302600_NS6detail15normal_iteratorINS9_10device_ptrIiEEEEPS5_jNS1_19radix_merge_compareILb0ELb1EiNS0_19identity_decomposerEEEEE10hipError_tT0_T1_T2_jT3_P12ihipStream_tbPNSt15iterator_traitsISK_E10value_typeEPNSQ_ISL_E10value_typeEPSM_NS1_7vsmem_tEENKUlT_SK_SL_SM_E_clIPiSE_SF_SF_EESJ_SZ_SK_SL_SM_EUlSZ_E1_NS1_11comp_targetILNS1_3genE9ELNS1_11target_archE1100ELNS1_3gpuE3ELNS1_3repE0EEENS1_36merge_oddeven_config_static_selectorELNS0_4arch9wavefront6targetE1EEEvSL_.kd
    .uniform_work_group_size: 1
    .uses_dynamic_stack: false
    .vgpr_count:     0
    .vgpr_spill_count: 0
    .wavefront_size: 64
  - .agpr_count:     0
    .args:
      - .offset:         0
        .size:           48
        .value_kind:     by_value
    .group_segment_fixed_size: 0
    .kernarg_segment_align: 8
    .kernarg_segment_size: 48
    .language:       OpenCL C
    .language_version:
      - 2
      - 0
    .max_flat_workgroup_size: 256
    .name:           _ZN7rocprim17ROCPRIM_400000_NS6detail17trampoline_kernelINS0_14default_configENS1_38merge_sort_block_merge_config_selectorIiNS0_10empty_typeEEEZZNS1_27merge_sort_block_merge_implIS3_N6thrust23THRUST_200600_302600_NS6detail15normal_iteratorINS9_10device_ptrIiEEEEPS5_jNS1_19radix_merge_compareILb0ELb1EiNS0_19identity_decomposerEEEEE10hipError_tT0_T1_T2_jT3_P12ihipStream_tbPNSt15iterator_traitsISK_E10value_typeEPNSQ_ISL_E10value_typeEPSM_NS1_7vsmem_tEENKUlT_SK_SL_SM_E_clIPiSE_SF_SF_EESJ_SZ_SK_SL_SM_EUlSZ_E1_NS1_11comp_targetILNS1_3genE8ELNS1_11target_archE1030ELNS1_3gpuE2ELNS1_3repE0EEENS1_36merge_oddeven_config_static_selectorELNS0_4arch9wavefront6targetE1EEEvSL_
    .private_segment_fixed_size: 0
    .sgpr_count:     4
    .sgpr_spill_count: 0
    .symbol:         _ZN7rocprim17ROCPRIM_400000_NS6detail17trampoline_kernelINS0_14default_configENS1_38merge_sort_block_merge_config_selectorIiNS0_10empty_typeEEEZZNS1_27merge_sort_block_merge_implIS3_N6thrust23THRUST_200600_302600_NS6detail15normal_iteratorINS9_10device_ptrIiEEEEPS5_jNS1_19radix_merge_compareILb0ELb1EiNS0_19identity_decomposerEEEEE10hipError_tT0_T1_T2_jT3_P12ihipStream_tbPNSt15iterator_traitsISK_E10value_typeEPNSQ_ISL_E10value_typeEPSM_NS1_7vsmem_tEENKUlT_SK_SL_SM_E_clIPiSE_SF_SF_EESJ_SZ_SK_SL_SM_EUlSZ_E1_NS1_11comp_targetILNS1_3genE8ELNS1_11target_archE1030ELNS1_3gpuE2ELNS1_3repE0EEENS1_36merge_oddeven_config_static_selectorELNS0_4arch9wavefront6targetE1EEEvSL_.kd
    .uniform_work_group_size: 1
    .uses_dynamic_stack: false
    .vgpr_count:     0
    .vgpr_spill_count: 0
    .wavefront_size: 64
  - .agpr_count:     0
    .args:
      - .offset:         0
        .size:           40
        .value_kind:     by_value
    .group_segment_fixed_size: 0
    .kernarg_segment_align: 8
    .kernarg_segment_size: 40
    .language:       OpenCL C
    .language_version:
      - 2
      - 0
    .max_flat_workgroup_size: 128
    .name:           _ZN7rocprim17ROCPRIM_400000_NS6detail17trampoline_kernelINS0_14default_configENS1_38merge_sort_block_merge_config_selectorIiNS0_10empty_typeEEEZZNS1_27merge_sort_block_merge_implIS3_N6thrust23THRUST_200600_302600_NS6detail15normal_iteratorINS9_10device_ptrIiEEEEPS5_jNS1_19radix_merge_compareILb0ELb1EiNS0_19identity_decomposerEEEEE10hipError_tT0_T1_T2_jT3_P12ihipStream_tbPNSt15iterator_traitsISK_E10value_typeEPNSQ_ISL_E10value_typeEPSM_NS1_7vsmem_tEENKUlT_SK_SL_SM_E_clISE_PiSF_SF_EESJ_SZ_SK_SL_SM_EUlSZ_E_NS1_11comp_targetILNS1_3genE0ELNS1_11target_archE4294967295ELNS1_3gpuE0ELNS1_3repE0EEENS1_48merge_mergepath_partition_config_static_selectorELNS0_4arch9wavefront6targetE1EEEvSL_
    .private_segment_fixed_size: 0
    .sgpr_count:     4
    .sgpr_spill_count: 0
    .symbol:         _ZN7rocprim17ROCPRIM_400000_NS6detail17trampoline_kernelINS0_14default_configENS1_38merge_sort_block_merge_config_selectorIiNS0_10empty_typeEEEZZNS1_27merge_sort_block_merge_implIS3_N6thrust23THRUST_200600_302600_NS6detail15normal_iteratorINS9_10device_ptrIiEEEEPS5_jNS1_19radix_merge_compareILb0ELb1EiNS0_19identity_decomposerEEEEE10hipError_tT0_T1_T2_jT3_P12ihipStream_tbPNSt15iterator_traitsISK_E10value_typeEPNSQ_ISL_E10value_typeEPSM_NS1_7vsmem_tEENKUlT_SK_SL_SM_E_clISE_PiSF_SF_EESJ_SZ_SK_SL_SM_EUlSZ_E_NS1_11comp_targetILNS1_3genE0ELNS1_11target_archE4294967295ELNS1_3gpuE0ELNS1_3repE0EEENS1_48merge_mergepath_partition_config_static_selectorELNS0_4arch9wavefront6targetE1EEEvSL_.kd
    .uniform_work_group_size: 1
    .uses_dynamic_stack: false
    .vgpr_count:     0
    .vgpr_spill_count: 0
    .wavefront_size: 64
  - .agpr_count:     0
    .args:
      - .offset:         0
        .size:           40
        .value_kind:     by_value
    .group_segment_fixed_size: 0
    .kernarg_segment_align: 8
    .kernarg_segment_size: 40
    .language:       OpenCL C
    .language_version:
      - 2
      - 0
    .max_flat_workgroup_size: 128
    .name:           _ZN7rocprim17ROCPRIM_400000_NS6detail17trampoline_kernelINS0_14default_configENS1_38merge_sort_block_merge_config_selectorIiNS0_10empty_typeEEEZZNS1_27merge_sort_block_merge_implIS3_N6thrust23THRUST_200600_302600_NS6detail15normal_iteratorINS9_10device_ptrIiEEEEPS5_jNS1_19radix_merge_compareILb0ELb1EiNS0_19identity_decomposerEEEEE10hipError_tT0_T1_T2_jT3_P12ihipStream_tbPNSt15iterator_traitsISK_E10value_typeEPNSQ_ISL_E10value_typeEPSM_NS1_7vsmem_tEENKUlT_SK_SL_SM_E_clISE_PiSF_SF_EESJ_SZ_SK_SL_SM_EUlSZ_E_NS1_11comp_targetILNS1_3genE10ELNS1_11target_archE1201ELNS1_3gpuE5ELNS1_3repE0EEENS1_48merge_mergepath_partition_config_static_selectorELNS0_4arch9wavefront6targetE1EEEvSL_
    .private_segment_fixed_size: 0
    .sgpr_count:     4
    .sgpr_spill_count: 0
    .symbol:         _ZN7rocprim17ROCPRIM_400000_NS6detail17trampoline_kernelINS0_14default_configENS1_38merge_sort_block_merge_config_selectorIiNS0_10empty_typeEEEZZNS1_27merge_sort_block_merge_implIS3_N6thrust23THRUST_200600_302600_NS6detail15normal_iteratorINS9_10device_ptrIiEEEEPS5_jNS1_19radix_merge_compareILb0ELb1EiNS0_19identity_decomposerEEEEE10hipError_tT0_T1_T2_jT3_P12ihipStream_tbPNSt15iterator_traitsISK_E10value_typeEPNSQ_ISL_E10value_typeEPSM_NS1_7vsmem_tEENKUlT_SK_SL_SM_E_clISE_PiSF_SF_EESJ_SZ_SK_SL_SM_EUlSZ_E_NS1_11comp_targetILNS1_3genE10ELNS1_11target_archE1201ELNS1_3gpuE5ELNS1_3repE0EEENS1_48merge_mergepath_partition_config_static_selectorELNS0_4arch9wavefront6targetE1EEEvSL_.kd
    .uniform_work_group_size: 1
    .uses_dynamic_stack: false
    .vgpr_count:     0
    .vgpr_spill_count: 0
    .wavefront_size: 64
  - .agpr_count:     0
    .args:
      - .offset:         0
        .size:           40
        .value_kind:     by_value
    .group_segment_fixed_size: 0
    .kernarg_segment_align: 8
    .kernarg_segment_size: 40
    .language:       OpenCL C
    .language_version:
      - 2
      - 0
    .max_flat_workgroup_size: 128
    .name:           _ZN7rocprim17ROCPRIM_400000_NS6detail17trampoline_kernelINS0_14default_configENS1_38merge_sort_block_merge_config_selectorIiNS0_10empty_typeEEEZZNS1_27merge_sort_block_merge_implIS3_N6thrust23THRUST_200600_302600_NS6detail15normal_iteratorINS9_10device_ptrIiEEEEPS5_jNS1_19radix_merge_compareILb0ELb1EiNS0_19identity_decomposerEEEEE10hipError_tT0_T1_T2_jT3_P12ihipStream_tbPNSt15iterator_traitsISK_E10value_typeEPNSQ_ISL_E10value_typeEPSM_NS1_7vsmem_tEENKUlT_SK_SL_SM_E_clISE_PiSF_SF_EESJ_SZ_SK_SL_SM_EUlSZ_E_NS1_11comp_targetILNS1_3genE5ELNS1_11target_archE942ELNS1_3gpuE9ELNS1_3repE0EEENS1_48merge_mergepath_partition_config_static_selectorELNS0_4arch9wavefront6targetE1EEEvSL_
    .private_segment_fixed_size: 0
    .sgpr_count:     4
    .sgpr_spill_count: 0
    .symbol:         _ZN7rocprim17ROCPRIM_400000_NS6detail17trampoline_kernelINS0_14default_configENS1_38merge_sort_block_merge_config_selectorIiNS0_10empty_typeEEEZZNS1_27merge_sort_block_merge_implIS3_N6thrust23THRUST_200600_302600_NS6detail15normal_iteratorINS9_10device_ptrIiEEEEPS5_jNS1_19radix_merge_compareILb0ELb1EiNS0_19identity_decomposerEEEEE10hipError_tT0_T1_T2_jT3_P12ihipStream_tbPNSt15iterator_traitsISK_E10value_typeEPNSQ_ISL_E10value_typeEPSM_NS1_7vsmem_tEENKUlT_SK_SL_SM_E_clISE_PiSF_SF_EESJ_SZ_SK_SL_SM_EUlSZ_E_NS1_11comp_targetILNS1_3genE5ELNS1_11target_archE942ELNS1_3gpuE9ELNS1_3repE0EEENS1_48merge_mergepath_partition_config_static_selectorELNS0_4arch9wavefront6targetE1EEEvSL_.kd
    .uniform_work_group_size: 1
    .uses_dynamic_stack: false
    .vgpr_count:     0
    .vgpr_spill_count: 0
    .wavefront_size: 64
  - .agpr_count:     0
    .args:
      - .offset:         0
        .size:           40
        .value_kind:     by_value
    .group_segment_fixed_size: 0
    .kernarg_segment_align: 8
    .kernarg_segment_size: 40
    .language:       OpenCL C
    .language_version:
      - 2
      - 0
    .max_flat_workgroup_size: 128
    .name:           _ZN7rocprim17ROCPRIM_400000_NS6detail17trampoline_kernelINS0_14default_configENS1_38merge_sort_block_merge_config_selectorIiNS0_10empty_typeEEEZZNS1_27merge_sort_block_merge_implIS3_N6thrust23THRUST_200600_302600_NS6detail15normal_iteratorINS9_10device_ptrIiEEEEPS5_jNS1_19radix_merge_compareILb0ELb1EiNS0_19identity_decomposerEEEEE10hipError_tT0_T1_T2_jT3_P12ihipStream_tbPNSt15iterator_traitsISK_E10value_typeEPNSQ_ISL_E10value_typeEPSM_NS1_7vsmem_tEENKUlT_SK_SL_SM_E_clISE_PiSF_SF_EESJ_SZ_SK_SL_SM_EUlSZ_E_NS1_11comp_targetILNS1_3genE4ELNS1_11target_archE910ELNS1_3gpuE8ELNS1_3repE0EEENS1_48merge_mergepath_partition_config_static_selectorELNS0_4arch9wavefront6targetE1EEEvSL_
    .private_segment_fixed_size: 0
    .sgpr_count:     14
    .sgpr_spill_count: 0
    .symbol:         _ZN7rocprim17ROCPRIM_400000_NS6detail17trampoline_kernelINS0_14default_configENS1_38merge_sort_block_merge_config_selectorIiNS0_10empty_typeEEEZZNS1_27merge_sort_block_merge_implIS3_N6thrust23THRUST_200600_302600_NS6detail15normal_iteratorINS9_10device_ptrIiEEEEPS5_jNS1_19radix_merge_compareILb0ELb1EiNS0_19identity_decomposerEEEEE10hipError_tT0_T1_T2_jT3_P12ihipStream_tbPNSt15iterator_traitsISK_E10value_typeEPNSQ_ISL_E10value_typeEPSM_NS1_7vsmem_tEENKUlT_SK_SL_SM_E_clISE_PiSF_SF_EESJ_SZ_SK_SL_SM_EUlSZ_E_NS1_11comp_targetILNS1_3genE4ELNS1_11target_archE910ELNS1_3gpuE8ELNS1_3repE0EEENS1_48merge_mergepath_partition_config_static_selectorELNS0_4arch9wavefront6targetE1EEEvSL_.kd
    .uniform_work_group_size: 1
    .uses_dynamic_stack: false
    .vgpr_count:     17
    .vgpr_spill_count: 0
    .wavefront_size: 64
  - .agpr_count:     0
    .args:
      - .offset:         0
        .size:           40
        .value_kind:     by_value
    .group_segment_fixed_size: 0
    .kernarg_segment_align: 8
    .kernarg_segment_size: 40
    .language:       OpenCL C
    .language_version:
      - 2
      - 0
    .max_flat_workgroup_size: 128
    .name:           _ZN7rocprim17ROCPRIM_400000_NS6detail17trampoline_kernelINS0_14default_configENS1_38merge_sort_block_merge_config_selectorIiNS0_10empty_typeEEEZZNS1_27merge_sort_block_merge_implIS3_N6thrust23THRUST_200600_302600_NS6detail15normal_iteratorINS9_10device_ptrIiEEEEPS5_jNS1_19radix_merge_compareILb0ELb1EiNS0_19identity_decomposerEEEEE10hipError_tT0_T1_T2_jT3_P12ihipStream_tbPNSt15iterator_traitsISK_E10value_typeEPNSQ_ISL_E10value_typeEPSM_NS1_7vsmem_tEENKUlT_SK_SL_SM_E_clISE_PiSF_SF_EESJ_SZ_SK_SL_SM_EUlSZ_E_NS1_11comp_targetILNS1_3genE3ELNS1_11target_archE908ELNS1_3gpuE7ELNS1_3repE0EEENS1_48merge_mergepath_partition_config_static_selectorELNS0_4arch9wavefront6targetE1EEEvSL_
    .private_segment_fixed_size: 0
    .sgpr_count:     4
    .sgpr_spill_count: 0
    .symbol:         _ZN7rocprim17ROCPRIM_400000_NS6detail17trampoline_kernelINS0_14default_configENS1_38merge_sort_block_merge_config_selectorIiNS0_10empty_typeEEEZZNS1_27merge_sort_block_merge_implIS3_N6thrust23THRUST_200600_302600_NS6detail15normal_iteratorINS9_10device_ptrIiEEEEPS5_jNS1_19radix_merge_compareILb0ELb1EiNS0_19identity_decomposerEEEEE10hipError_tT0_T1_T2_jT3_P12ihipStream_tbPNSt15iterator_traitsISK_E10value_typeEPNSQ_ISL_E10value_typeEPSM_NS1_7vsmem_tEENKUlT_SK_SL_SM_E_clISE_PiSF_SF_EESJ_SZ_SK_SL_SM_EUlSZ_E_NS1_11comp_targetILNS1_3genE3ELNS1_11target_archE908ELNS1_3gpuE7ELNS1_3repE0EEENS1_48merge_mergepath_partition_config_static_selectorELNS0_4arch9wavefront6targetE1EEEvSL_.kd
    .uniform_work_group_size: 1
    .uses_dynamic_stack: false
    .vgpr_count:     0
    .vgpr_spill_count: 0
    .wavefront_size: 64
  - .agpr_count:     0
    .args:
      - .offset:         0
        .size:           40
        .value_kind:     by_value
    .group_segment_fixed_size: 0
    .kernarg_segment_align: 8
    .kernarg_segment_size: 40
    .language:       OpenCL C
    .language_version:
      - 2
      - 0
    .max_flat_workgroup_size: 128
    .name:           _ZN7rocprim17ROCPRIM_400000_NS6detail17trampoline_kernelINS0_14default_configENS1_38merge_sort_block_merge_config_selectorIiNS0_10empty_typeEEEZZNS1_27merge_sort_block_merge_implIS3_N6thrust23THRUST_200600_302600_NS6detail15normal_iteratorINS9_10device_ptrIiEEEEPS5_jNS1_19radix_merge_compareILb0ELb1EiNS0_19identity_decomposerEEEEE10hipError_tT0_T1_T2_jT3_P12ihipStream_tbPNSt15iterator_traitsISK_E10value_typeEPNSQ_ISL_E10value_typeEPSM_NS1_7vsmem_tEENKUlT_SK_SL_SM_E_clISE_PiSF_SF_EESJ_SZ_SK_SL_SM_EUlSZ_E_NS1_11comp_targetILNS1_3genE2ELNS1_11target_archE906ELNS1_3gpuE6ELNS1_3repE0EEENS1_48merge_mergepath_partition_config_static_selectorELNS0_4arch9wavefront6targetE1EEEvSL_
    .private_segment_fixed_size: 0
    .sgpr_count:     4
    .sgpr_spill_count: 0
    .symbol:         _ZN7rocprim17ROCPRIM_400000_NS6detail17trampoline_kernelINS0_14default_configENS1_38merge_sort_block_merge_config_selectorIiNS0_10empty_typeEEEZZNS1_27merge_sort_block_merge_implIS3_N6thrust23THRUST_200600_302600_NS6detail15normal_iteratorINS9_10device_ptrIiEEEEPS5_jNS1_19radix_merge_compareILb0ELb1EiNS0_19identity_decomposerEEEEE10hipError_tT0_T1_T2_jT3_P12ihipStream_tbPNSt15iterator_traitsISK_E10value_typeEPNSQ_ISL_E10value_typeEPSM_NS1_7vsmem_tEENKUlT_SK_SL_SM_E_clISE_PiSF_SF_EESJ_SZ_SK_SL_SM_EUlSZ_E_NS1_11comp_targetILNS1_3genE2ELNS1_11target_archE906ELNS1_3gpuE6ELNS1_3repE0EEENS1_48merge_mergepath_partition_config_static_selectorELNS0_4arch9wavefront6targetE1EEEvSL_.kd
    .uniform_work_group_size: 1
    .uses_dynamic_stack: false
    .vgpr_count:     0
    .vgpr_spill_count: 0
    .wavefront_size: 64
  - .agpr_count:     0
    .args:
      - .offset:         0
        .size:           40
        .value_kind:     by_value
    .group_segment_fixed_size: 0
    .kernarg_segment_align: 8
    .kernarg_segment_size: 40
    .language:       OpenCL C
    .language_version:
      - 2
      - 0
    .max_flat_workgroup_size: 128
    .name:           _ZN7rocprim17ROCPRIM_400000_NS6detail17trampoline_kernelINS0_14default_configENS1_38merge_sort_block_merge_config_selectorIiNS0_10empty_typeEEEZZNS1_27merge_sort_block_merge_implIS3_N6thrust23THRUST_200600_302600_NS6detail15normal_iteratorINS9_10device_ptrIiEEEEPS5_jNS1_19radix_merge_compareILb0ELb1EiNS0_19identity_decomposerEEEEE10hipError_tT0_T1_T2_jT3_P12ihipStream_tbPNSt15iterator_traitsISK_E10value_typeEPNSQ_ISL_E10value_typeEPSM_NS1_7vsmem_tEENKUlT_SK_SL_SM_E_clISE_PiSF_SF_EESJ_SZ_SK_SL_SM_EUlSZ_E_NS1_11comp_targetILNS1_3genE9ELNS1_11target_archE1100ELNS1_3gpuE3ELNS1_3repE0EEENS1_48merge_mergepath_partition_config_static_selectorELNS0_4arch9wavefront6targetE1EEEvSL_
    .private_segment_fixed_size: 0
    .sgpr_count:     4
    .sgpr_spill_count: 0
    .symbol:         _ZN7rocprim17ROCPRIM_400000_NS6detail17trampoline_kernelINS0_14default_configENS1_38merge_sort_block_merge_config_selectorIiNS0_10empty_typeEEEZZNS1_27merge_sort_block_merge_implIS3_N6thrust23THRUST_200600_302600_NS6detail15normal_iteratorINS9_10device_ptrIiEEEEPS5_jNS1_19radix_merge_compareILb0ELb1EiNS0_19identity_decomposerEEEEE10hipError_tT0_T1_T2_jT3_P12ihipStream_tbPNSt15iterator_traitsISK_E10value_typeEPNSQ_ISL_E10value_typeEPSM_NS1_7vsmem_tEENKUlT_SK_SL_SM_E_clISE_PiSF_SF_EESJ_SZ_SK_SL_SM_EUlSZ_E_NS1_11comp_targetILNS1_3genE9ELNS1_11target_archE1100ELNS1_3gpuE3ELNS1_3repE0EEENS1_48merge_mergepath_partition_config_static_selectorELNS0_4arch9wavefront6targetE1EEEvSL_.kd
    .uniform_work_group_size: 1
    .uses_dynamic_stack: false
    .vgpr_count:     0
    .vgpr_spill_count: 0
    .wavefront_size: 64
  - .agpr_count:     0
    .args:
      - .offset:         0
        .size:           40
        .value_kind:     by_value
    .group_segment_fixed_size: 0
    .kernarg_segment_align: 8
    .kernarg_segment_size: 40
    .language:       OpenCL C
    .language_version:
      - 2
      - 0
    .max_flat_workgroup_size: 128
    .name:           _ZN7rocprim17ROCPRIM_400000_NS6detail17trampoline_kernelINS0_14default_configENS1_38merge_sort_block_merge_config_selectorIiNS0_10empty_typeEEEZZNS1_27merge_sort_block_merge_implIS3_N6thrust23THRUST_200600_302600_NS6detail15normal_iteratorINS9_10device_ptrIiEEEEPS5_jNS1_19radix_merge_compareILb0ELb1EiNS0_19identity_decomposerEEEEE10hipError_tT0_T1_T2_jT3_P12ihipStream_tbPNSt15iterator_traitsISK_E10value_typeEPNSQ_ISL_E10value_typeEPSM_NS1_7vsmem_tEENKUlT_SK_SL_SM_E_clISE_PiSF_SF_EESJ_SZ_SK_SL_SM_EUlSZ_E_NS1_11comp_targetILNS1_3genE8ELNS1_11target_archE1030ELNS1_3gpuE2ELNS1_3repE0EEENS1_48merge_mergepath_partition_config_static_selectorELNS0_4arch9wavefront6targetE1EEEvSL_
    .private_segment_fixed_size: 0
    .sgpr_count:     4
    .sgpr_spill_count: 0
    .symbol:         _ZN7rocprim17ROCPRIM_400000_NS6detail17trampoline_kernelINS0_14default_configENS1_38merge_sort_block_merge_config_selectorIiNS0_10empty_typeEEEZZNS1_27merge_sort_block_merge_implIS3_N6thrust23THRUST_200600_302600_NS6detail15normal_iteratorINS9_10device_ptrIiEEEEPS5_jNS1_19radix_merge_compareILb0ELb1EiNS0_19identity_decomposerEEEEE10hipError_tT0_T1_T2_jT3_P12ihipStream_tbPNSt15iterator_traitsISK_E10value_typeEPNSQ_ISL_E10value_typeEPSM_NS1_7vsmem_tEENKUlT_SK_SL_SM_E_clISE_PiSF_SF_EESJ_SZ_SK_SL_SM_EUlSZ_E_NS1_11comp_targetILNS1_3genE8ELNS1_11target_archE1030ELNS1_3gpuE2ELNS1_3repE0EEENS1_48merge_mergepath_partition_config_static_selectorELNS0_4arch9wavefront6targetE1EEEvSL_.kd
    .uniform_work_group_size: 1
    .uses_dynamic_stack: false
    .vgpr_count:     0
    .vgpr_spill_count: 0
    .wavefront_size: 64
  - .agpr_count:     0
    .args:
      - .offset:         0
        .size:           64
        .value_kind:     by_value
    .group_segment_fixed_size: 0
    .kernarg_segment_align: 8
    .kernarg_segment_size: 64
    .language:       OpenCL C
    .language_version:
      - 2
      - 0
    .max_flat_workgroup_size: 128
    .name:           _ZN7rocprim17ROCPRIM_400000_NS6detail17trampoline_kernelINS0_14default_configENS1_38merge_sort_block_merge_config_selectorIiNS0_10empty_typeEEEZZNS1_27merge_sort_block_merge_implIS3_N6thrust23THRUST_200600_302600_NS6detail15normal_iteratorINS9_10device_ptrIiEEEEPS5_jNS1_19radix_merge_compareILb0ELb1EiNS0_19identity_decomposerEEEEE10hipError_tT0_T1_T2_jT3_P12ihipStream_tbPNSt15iterator_traitsISK_E10value_typeEPNSQ_ISL_E10value_typeEPSM_NS1_7vsmem_tEENKUlT_SK_SL_SM_E_clISE_PiSF_SF_EESJ_SZ_SK_SL_SM_EUlSZ_E0_NS1_11comp_targetILNS1_3genE0ELNS1_11target_archE4294967295ELNS1_3gpuE0ELNS1_3repE0EEENS1_38merge_mergepath_config_static_selectorELNS0_4arch9wavefront6targetE1EEEvSL_
    .private_segment_fixed_size: 0
    .sgpr_count:     4
    .sgpr_spill_count: 0
    .symbol:         _ZN7rocprim17ROCPRIM_400000_NS6detail17trampoline_kernelINS0_14default_configENS1_38merge_sort_block_merge_config_selectorIiNS0_10empty_typeEEEZZNS1_27merge_sort_block_merge_implIS3_N6thrust23THRUST_200600_302600_NS6detail15normal_iteratorINS9_10device_ptrIiEEEEPS5_jNS1_19radix_merge_compareILb0ELb1EiNS0_19identity_decomposerEEEEE10hipError_tT0_T1_T2_jT3_P12ihipStream_tbPNSt15iterator_traitsISK_E10value_typeEPNSQ_ISL_E10value_typeEPSM_NS1_7vsmem_tEENKUlT_SK_SL_SM_E_clISE_PiSF_SF_EESJ_SZ_SK_SL_SM_EUlSZ_E0_NS1_11comp_targetILNS1_3genE0ELNS1_11target_archE4294967295ELNS1_3gpuE0ELNS1_3repE0EEENS1_38merge_mergepath_config_static_selectorELNS0_4arch9wavefront6targetE1EEEvSL_.kd
    .uniform_work_group_size: 1
    .uses_dynamic_stack: false
    .vgpr_count:     0
    .vgpr_spill_count: 0
    .wavefront_size: 64
  - .agpr_count:     0
    .args:
      - .offset:         0
        .size:           64
        .value_kind:     by_value
    .group_segment_fixed_size: 0
    .kernarg_segment_align: 8
    .kernarg_segment_size: 64
    .language:       OpenCL C
    .language_version:
      - 2
      - 0
    .max_flat_workgroup_size: 256
    .name:           _ZN7rocprim17ROCPRIM_400000_NS6detail17trampoline_kernelINS0_14default_configENS1_38merge_sort_block_merge_config_selectorIiNS0_10empty_typeEEEZZNS1_27merge_sort_block_merge_implIS3_N6thrust23THRUST_200600_302600_NS6detail15normal_iteratorINS9_10device_ptrIiEEEEPS5_jNS1_19radix_merge_compareILb0ELb1EiNS0_19identity_decomposerEEEEE10hipError_tT0_T1_T2_jT3_P12ihipStream_tbPNSt15iterator_traitsISK_E10value_typeEPNSQ_ISL_E10value_typeEPSM_NS1_7vsmem_tEENKUlT_SK_SL_SM_E_clISE_PiSF_SF_EESJ_SZ_SK_SL_SM_EUlSZ_E0_NS1_11comp_targetILNS1_3genE10ELNS1_11target_archE1201ELNS1_3gpuE5ELNS1_3repE0EEENS1_38merge_mergepath_config_static_selectorELNS0_4arch9wavefront6targetE1EEEvSL_
    .private_segment_fixed_size: 0
    .sgpr_count:     4
    .sgpr_spill_count: 0
    .symbol:         _ZN7rocprim17ROCPRIM_400000_NS6detail17trampoline_kernelINS0_14default_configENS1_38merge_sort_block_merge_config_selectorIiNS0_10empty_typeEEEZZNS1_27merge_sort_block_merge_implIS3_N6thrust23THRUST_200600_302600_NS6detail15normal_iteratorINS9_10device_ptrIiEEEEPS5_jNS1_19radix_merge_compareILb0ELb1EiNS0_19identity_decomposerEEEEE10hipError_tT0_T1_T2_jT3_P12ihipStream_tbPNSt15iterator_traitsISK_E10value_typeEPNSQ_ISL_E10value_typeEPSM_NS1_7vsmem_tEENKUlT_SK_SL_SM_E_clISE_PiSF_SF_EESJ_SZ_SK_SL_SM_EUlSZ_E0_NS1_11comp_targetILNS1_3genE10ELNS1_11target_archE1201ELNS1_3gpuE5ELNS1_3repE0EEENS1_38merge_mergepath_config_static_selectorELNS0_4arch9wavefront6targetE1EEEvSL_.kd
    .uniform_work_group_size: 1
    .uses_dynamic_stack: false
    .vgpr_count:     0
    .vgpr_spill_count: 0
    .wavefront_size: 64
  - .agpr_count:     0
    .args:
      - .offset:         0
        .size:           64
        .value_kind:     by_value
    .group_segment_fixed_size: 0
    .kernarg_segment_align: 8
    .kernarg_segment_size: 64
    .language:       OpenCL C
    .language_version:
      - 2
      - 0
    .max_flat_workgroup_size: 128
    .name:           _ZN7rocprim17ROCPRIM_400000_NS6detail17trampoline_kernelINS0_14default_configENS1_38merge_sort_block_merge_config_selectorIiNS0_10empty_typeEEEZZNS1_27merge_sort_block_merge_implIS3_N6thrust23THRUST_200600_302600_NS6detail15normal_iteratorINS9_10device_ptrIiEEEEPS5_jNS1_19radix_merge_compareILb0ELb1EiNS0_19identity_decomposerEEEEE10hipError_tT0_T1_T2_jT3_P12ihipStream_tbPNSt15iterator_traitsISK_E10value_typeEPNSQ_ISL_E10value_typeEPSM_NS1_7vsmem_tEENKUlT_SK_SL_SM_E_clISE_PiSF_SF_EESJ_SZ_SK_SL_SM_EUlSZ_E0_NS1_11comp_targetILNS1_3genE5ELNS1_11target_archE942ELNS1_3gpuE9ELNS1_3repE0EEENS1_38merge_mergepath_config_static_selectorELNS0_4arch9wavefront6targetE1EEEvSL_
    .private_segment_fixed_size: 0
    .sgpr_count:     4
    .sgpr_spill_count: 0
    .symbol:         _ZN7rocprim17ROCPRIM_400000_NS6detail17trampoline_kernelINS0_14default_configENS1_38merge_sort_block_merge_config_selectorIiNS0_10empty_typeEEEZZNS1_27merge_sort_block_merge_implIS3_N6thrust23THRUST_200600_302600_NS6detail15normal_iteratorINS9_10device_ptrIiEEEEPS5_jNS1_19radix_merge_compareILb0ELb1EiNS0_19identity_decomposerEEEEE10hipError_tT0_T1_T2_jT3_P12ihipStream_tbPNSt15iterator_traitsISK_E10value_typeEPNSQ_ISL_E10value_typeEPSM_NS1_7vsmem_tEENKUlT_SK_SL_SM_E_clISE_PiSF_SF_EESJ_SZ_SK_SL_SM_EUlSZ_E0_NS1_11comp_targetILNS1_3genE5ELNS1_11target_archE942ELNS1_3gpuE9ELNS1_3repE0EEENS1_38merge_mergepath_config_static_selectorELNS0_4arch9wavefront6targetE1EEEvSL_.kd
    .uniform_work_group_size: 1
    .uses_dynamic_stack: false
    .vgpr_count:     0
    .vgpr_spill_count: 0
    .wavefront_size: 64
  - .agpr_count:     0
    .args:
      - .offset:         0
        .size:           64
        .value_kind:     by_value
      - .offset:         64
        .size:           4
        .value_kind:     hidden_block_count_x
      - .offset:         68
        .size:           4
        .value_kind:     hidden_block_count_y
      - .offset:         72
        .size:           4
        .value_kind:     hidden_block_count_z
      - .offset:         76
        .size:           2
        .value_kind:     hidden_group_size_x
      - .offset:         78
        .size:           2
        .value_kind:     hidden_group_size_y
      - .offset:         80
        .size:           2
        .value_kind:     hidden_group_size_z
      - .offset:         82
        .size:           2
        .value_kind:     hidden_remainder_x
      - .offset:         84
        .size:           2
        .value_kind:     hidden_remainder_y
      - .offset:         86
        .size:           2
        .value_kind:     hidden_remainder_z
      - .offset:         104
        .size:           8
        .value_kind:     hidden_global_offset_x
      - .offset:         112
        .size:           8
        .value_kind:     hidden_global_offset_y
      - .offset:         120
        .size:           8
        .value_kind:     hidden_global_offset_z
      - .offset:         128
        .size:           2
        .value_kind:     hidden_grid_dims
    .group_segment_fixed_size: 4224
    .kernarg_segment_align: 8
    .kernarg_segment_size: 320
    .language:       OpenCL C
    .language_version:
      - 2
      - 0
    .max_flat_workgroup_size: 128
    .name:           _ZN7rocprim17ROCPRIM_400000_NS6detail17trampoline_kernelINS0_14default_configENS1_38merge_sort_block_merge_config_selectorIiNS0_10empty_typeEEEZZNS1_27merge_sort_block_merge_implIS3_N6thrust23THRUST_200600_302600_NS6detail15normal_iteratorINS9_10device_ptrIiEEEEPS5_jNS1_19radix_merge_compareILb0ELb1EiNS0_19identity_decomposerEEEEE10hipError_tT0_T1_T2_jT3_P12ihipStream_tbPNSt15iterator_traitsISK_E10value_typeEPNSQ_ISL_E10value_typeEPSM_NS1_7vsmem_tEENKUlT_SK_SL_SM_E_clISE_PiSF_SF_EESJ_SZ_SK_SL_SM_EUlSZ_E0_NS1_11comp_targetILNS1_3genE4ELNS1_11target_archE910ELNS1_3gpuE8ELNS1_3repE0EEENS1_38merge_mergepath_config_static_selectorELNS0_4arch9wavefront6targetE1EEEvSL_
    .private_segment_fixed_size: 0
    .sgpr_count:     28
    .sgpr_spill_count: 0
    .symbol:         _ZN7rocprim17ROCPRIM_400000_NS6detail17trampoline_kernelINS0_14default_configENS1_38merge_sort_block_merge_config_selectorIiNS0_10empty_typeEEEZZNS1_27merge_sort_block_merge_implIS3_N6thrust23THRUST_200600_302600_NS6detail15normal_iteratorINS9_10device_ptrIiEEEEPS5_jNS1_19radix_merge_compareILb0ELb1EiNS0_19identity_decomposerEEEEE10hipError_tT0_T1_T2_jT3_P12ihipStream_tbPNSt15iterator_traitsISK_E10value_typeEPNSQ_ISL_E10value_typeEPSM_NS1_7vsmem_tEENKUlT_SK_SL_SM_E_clISE_PiSF_SF_EESJ_SZ_SK_SL_SM_EUlSZ_E0_NS1_11comp_targetILNS1_3genE4ELNS1_11target_archE910ELNS1_3gpuE8ELNS1_3repE0EEENS1_38merge_mergepath_config_static_selectorELNS0_4arch9wavefront6targetE1EEEvSL_.kd
    .uniform_work_group_size: 1
    .uses_dynamic_stack: false
    .vgpr_count:     26
    .vgpr_spill_count: 0
    .wavefront_size: 64
  - .agpr_count:     0
    .args:
      - .offset:         0
        .size:           64
        .value_kind:     by_value
    .group_segment_fixed_size: 0
    .kernarg_segment_align: 8
    .kernarg_segment_size: 64
    .language:       OpenCL C
    .language_version:
      - 2
      - 0
    .max_flat_workgroup_size: 128
    .name:           _ZN7rocprim17ROCPRIM_400000_NS6detail17trampoline_kernelINS0_14default_configENS1_38merge_sort_block_merge_config_selectorIiNS0_10empty_typeEEEZZNS1_27merge_sort_block_merge_implIS3_N6thrust23THRUST_200600_302600_NS6detail15normal_iteratorINS9_10device_ptrIiEEEEPS5_jNS1_19radix_merge_compareILb0ELb1EiNS0_19identity_decomposerEEEEE10hipError_tT0_T1_T2_jT3_P12ihipStream_tbPNSt15iterator_traitsISK_E10value_typeEPNSQ_ISL_E10value_typeEPSM_NS1_7vsmem_tEENKUlT_SK_SL_SM_E_clISE_PiSF_SF_EESJ_SZ_SK_SL_SM_EUlSZ_E0_NS1_11comp_targetILNS1_3genE3ELNS1_11target_archE908ELNS1_3gpuE7ELNS1_3repE0EEENS1_38merge_mergepath_config_static_selectorELNS0_4arch9wavefront6targetE1EEEvSL_
    .private_segment_fixed_size: 0
    .sgpr_count:     4
    .sgpr_spill_count: 0
    .symbol:         _ZN7rocprim17ROCPRIM_400000_NS6detail17trampoline_kernelINS0_14default_configENS1_38merge_sort_block_merge_config_selectorIiNS0_10empty_typeEEEZZNS1_27merge_sort_block_merge_implIS3_N6thrust23THRUST_200600_302600_NS6detail15normal_iteratorINS9_10device_ptrIiEEEEPS5_jNS1_19radix_merge_compareILb0ELb1EiNS0_19identity_decomposerEEEEE10hipError_tT0_T1_T2_jT3_P12ihipStream_tbPNSt15iterator_traitsISK_E10value_typeEPNSQ_ISL_E10value_typeEPSM_NS1_7vsmem_tEENKUlT_SK_SL_SM_E_clISE_PiSF_SF_EESJ_SZ_SK_SL_SM_EUlSZ_E0_NS1_11comp_targetILNS1_3genE3ELNS1_11target_archE908ELNS1_3gpuE7ELNS1_3repE0EEENS1_38merge_mergepath_config_static_selectorELNS0_4arch9wavefront6targetE1EEEvSL_.kd
    .uniform_work_group_size: 1
    .uses_dynamic_stack: false
    .vgpr_count:     0
    .vgpr_spill_count: 0
    .wavefront_size: 64
  - .agpr_count:     0
    .args:
      - .offset:         0
        .size:           64
        .value_kind:     by_value
    .group_segment_fixed_size: 0
    .kernarg_segment_align: 8
    .kernarg_segment_size: 64
    .language:       OpenCL C
    .language_version:
      - 2
      - 0
    .max_flat_workgroup_size: 128
    .name:           _ZN7rocprim17ROCPRIM_400000_NS6detail17trampoline_kernelINS0_14default_configENS1_38merge_sort_block_merge_config_selectorIiNS0_10empty_typeEEEZZNS1_27merge_sort_block_merge_implIS3_N6thrust23THRUST_200600_302600_NS6detail15normal_iteratorINS9_10device_ptrIiEEEEPS5_jNS1_19radix_merge_compareILb0ELb1EiNS0_19identity_decomposerEEEEE10hipError_tT0_T1_T2_jT3_P12ihipStream_tbPNSt15iterator_traitsISK_E10value_typeEPNSQ_ISL_E10value_typeEPSM_NS1_7vsmem_tEENKUlT_SK_SL_SM_E_clISE_PiSF_SF_EESJ_SZ_SK_SL_SM_EUlSZ_E0_NS1_11comp_targetILNS1_3genE2ELNS1_11target_archE906ELNS1_3gpuE6ELNS1_3repE0EEENS1_38merge_mergepath_config_static_selectorELNS0_4arch9wavefront6targetE1EEEvSL_
    .private_segment_fixed_size: 0
    .sgpr_count:     4
    .sgpr_spill_count: 0
    .symbol:         _ZN7rocprim17ROCPRIM_400000_NS6detail17trampoline_kernelINS0_14default_configENS1_38merge_sort_block_merge_config_selectorIiNS0_10empty_typeEEEZZNS1_27merge_sort_block_merge_implIS3_N6thrust23THRUST_200600_302600_NS6detail15normal_iteratorINS9_10device_ptrIiEEEEPS5_jNS1_19radix_merge_compareILb0ELb1EiNS0_19identity_decomposerEEEEE10hipError_tT0_T1_T2_jT3_P12ihipStream_tbPNSt15iterator_traitsISK_E10value_typeEPNSQ_ISL_E10value_typeEPSM_NS1_7vsmem_tEENKUlT_SK_SL_SM_E_clISE_PiSF_SF_EESJ_SZ_SK_SL_SM_EUlSZ_E0_NS1_11comp_targetILNS1_3genE2ELNS1_11target_archE906ELNS1_3gpuE6ELNS1_3repE0EEENS1_38merge_mergepath_config_static_selectorELNS0_4arch9wavefront6targetE1EEEvSL_.kd
    .uniform_work_group_size: 1
    .uses_dynamic_stack: false
    .vgpr_count:     0
    .vgpr_spill_count: 0
    .wavefront_size: 64
  - .agpr_count:     0
    .args:
      - .offset:         0
        .size:           64
        .value_kind:     by_value
    .group_segment_fixed_size: 0
    .kernarg_segment_align: 8
    .kernarg_segment_size: 64
    .language:       OpenCL C
    .language_version:
      - 2
      - 0
    .max_flat_workgroup_size: 256
    .name:           _ZN7rocprim17ROCPRIM_400000_NS6detail17trampoline_kernelINS0_14default_configENS1_38merge_sort_block_merge_config_selectorIiNS0_10empty_typeEEEZZNS1_27merge_sort_block_merge_implIS3_N6thrust23THRUST_200600_302600_NS6detail15normal_iteratorINS9_10device_ptrIiEEEEPS5_jNS1_19radix_merge_compareILb0ELb1EiNS0_19identity_decomposerEEEEE10hipError_tT0_T1_T2_jT3_P12ihipStream_tbPNSt15iterator_traitsISK_E10value_typeEPNSQ_ISL_E10value_typeEPSM_NS1_7vsmem_tEENKUlT_SK_SL_SM_E_clISE_PiSF_SF_EESJ_SZ_SK_SL_SM_EUlSZ_E0_NS1_11comp_targetILNS1_3genE9ELNS1_11target_archE1100ELNS1_3gpuE3ELNS1_3repE0EEENS1_38merge_mergepath_config_static_selectorELNS0_4arch9wavefront6targetE1EEEvSL_
    .private_segment_fixed_size: 0
    .sgpr_count:     4
    .sgpr_spill_count: 0
    .symbol:         _ZN7rocprim17ROCPRIM_400000_NS6detail17trampoline_kernelINS0_14default_configENS1_38merge_sort_block_merge_config_selectorIiNS0_10empty_typeEEEZZNS1_27merge_sort_block_merge_implIS3_N6thrust23THRUST_200600_302600_NS6detail15normal_iteratorINS9_10device_ptrIiEEEEPS5_jNS1_19radix_merge_compareILb0ELb1EiNS0_19identity_decomposerEEEEE10hipError_tT0_T1_T2_jT3_P12ihipStream_tbPNSt15iterator_traitsISK_E10value_typeEPNSQ_ISL_E10value_typeEPSM_NS1_7vsmem_tEENKUlT_SK_SL_SM_E_clISE_PiSF_SF_EESJ_SZ_SK_SL_SM_EUlSZ_E0_NS1_11comp_targetILNS1_3genE9ELNS1_11target_archE1100ELNS1_3gpuE3ELNS1_3repE0EEENS1_38merge_mergepath_config_static_selectorELNS0_4arch9wavefront6targetE1EEEvSL_.kd
    .uniform_work_group_size: 1
    .uses_dynamic_stack: false
    .vgpr_count:     0
    .vgpr_spill_count: 0
    .wavefront_size: 64
  - .agpr_count:     0
    .args:
      - .offset:         0
        .size:           64
        .value_kind:     by_value
    .group_segment_fixed_size: 0
    .kernarg_segment_align: 8
    .kernarg_segment_size: 64
    .language:       OpenCL C
    .language_version:
      - 2
      - 0
    .max_flat_workgroup_size: 512
    .name:           _ZN7rocprim17ROCPRIM_400000_NS6detail17trampoline_kernelINS0_14default_configENS1_38merge_sort_block_merge_config_selectorIiNS0_10empty_typeEEEZZNS1_27merge_sort_block_merge_implIS3_N6thrust23THRUST_200600_302600_NS6detail15normal_iteratorINS9_10device_ptrIiEEEEPS5_jNS1_19radix_merge_compareILb0ELb1EiNS0_19identity_decomposerEEEEE10hipError_tT0_T1_T2_jT3_P12ihipStream_tbPNSt15iterator_traitsISK_E10value_typeEPNSQ_ISL_E10value_typeEPSM_NS1_7vsmem_tEENKUlT_SK_SL_SM_E_clISE_PiSF_SF_EESJ_SZ_SK_SL_SM_EUlSZ_E0_NS1_11comp_targetILNS1_3genE8ELNS1_11target_archE1030ELNS1_3gpuE2ELNS1_3repE0EEENS1_38merge_mergepath_config_static_selectorELNS0_4arch9wavefront6targetE1EEEvSL_
    .private_segment_fixed_size: 0
    .sgpr_count:     4
    .sgpr_spill_count: 0
    .symbol:         _ZN7rocprim17ROCPRIM_400000_NS6detail17trampoline_kernelINS0_14default_configENS1_38merge_sort_block_merge_config_selectorIiNS0_10empty_typeEEEZZNS1_27merge_sort_block_merge_implIS3_N6thrust23THRUST_200600_302600_NS6detail15normal_iteratorINS9_10device_ptrIiEEEEPS5_jNS1_19radix_merge_compareILb0ELb1EiNS0_19identity_decomposerEEEEE10hipError_tT0_T1_T2_jT3_P12ihipStream_tbPNSt15iterator_traitsISK_E10value_typeEPNSQ_ISL_E10value_typeEPSM_NS1_7vsmem_tEENKUlT_SK_SL_SM_E_clISE_PiSF_SF_EESJ_SZ_SK_SL_SM_EUlSZ_E0_NS1_11comp_targetILNS1_3genE8ELNS1_11target_archE1030ELNS1_3gpuE2ELNS1_3repE0EEENS1_38merge_mergepath_config_static_selectorELNS0_4arch9wavefront6targetE1EEEvSL_.kd
    .uniform_work_group_size: 1
    .uses_dynamic_stack: false
    .vgpr_count:     0
    .vgpr_spill_count: 0
    .wavefront_size: 64
  - .agpr_count:     0
    .args:
      - .offset:         0
        .size:           48
        .value_kind:     by_value
    .group_segment_fixed_size: 0
    .kernarg_segment_align: 8
    .kernarg_segment_size: 48
    .language:       OpenCL C
    .language_version:
      - 2
      - 0
    .max_flat_workgroup_size: 256
    .name:           _ZN7rocprim17ROCPRIM_400000_NS6detail17trampoline_kernelINS0_14default_configENS1_38merge_sort_block_merge_config_selectorIiNS0_10empty_typeEEEZZNS1_27merge_sort_block_merge_implIS3_N6thrust23THRUST_200600_302600_NS6detail15normal_iteratorINS9_10device_ptrIiEEEEPS5_jNS1_19radix_merge_compareILb0ELb1EiNS0_19identity_decomposerEEEEE10hipError_tT0_T1_T2_jT3_P12ihipStream_tbPNSt15iterator_traitsISK_E10value_typeEPNSQ_ISL_E10value_typeEPSM_NS1_7vsmem_tEENKUlT_SK_SL_SM_E_clISE_PiSF_SF_EESJ_SZ_SK_SL_SM_EUlSZ_E1_NS1_11comp_targetILNS1_3genE0ELNS1_11target_archE4294967295ELNS1_3gpuE0ELNS1_3repE0EEENS1_36merge_oddeven_config_static_selectorELNS0_4arch9wavefront6targetE1EEEvSL_
    .private_segment_fixed_size: 0
    .sgpr_count:     4
    .sgpr_spill_count: 0
    .symbol:         _ZN7rocprim17ROCPRIM_400000_NS6detail17trampoline_kernelINS0_14default_configENS1_38merge_sort_block_merge_config_selectorIiNS0_10empty_typeEEEZZNS1_27merge_sort_block_merge_implIS3_N6thrust23THRUST_200600_302600_NS6detail15normal_iteratorINS9_10device_ptrIiEEEEPS5_jNS1_19radix_merge_compareILb0ELb1EiNS0_19identity_decomposerEEEEE10hipError_tT0_T1_T2_jT3_P12ihipStream_tbPNSt15iterator_traitsISK_E10value_typeEPNSQ_ISL_E10value_typeEPSM_NS1_7vsmem_tEENKUlT_SK_SL_SM_E_clISE_PiSF_SF_EESJ_SZ_SK_SL_SM_EUlSZ_E1_NS1_11comp_targetILNS1_3genE0ELNS1_11target_archE4294967295ELNS1_3gpuE0ELNS1_3repE0EEENS1_36merge_oddeven_config_static_selectorELNS0_4arch9wavefront6targetE1EEEvSL_.kd
    .uniform_work_group_size: 1
    .uses_dynamic_stack: false
    .vgpr_count:     0
    .vgpr_spill_count: 0
    .wavefront_size: 64
  - .agpr_count:     0
    .args:
      - .offset:         0
        .size:           48
        .value_kind:     by_value
    .group_segment_fixed_size: 0
    .kernarg_segment_align: 8
    .kernarg_segment_size: 48
    .language:       OpenCL C
    .language_version:
      - 2
      - 0
    .max_flat_workgroup_size: 256
    .name:           _ZN7rocprim17ROCPRIM_400000_NS6detail17trampoline_kernelINS0_14default_configENS1_38merge_sort_block_merge_config_selectorIiNS0_10empty_typeEEEZZNS1_27merge_sort_block_merge_implIS3_N6thrust23THRUST_200600_302600_NS6detail15normal_iteratorINS9_10device_ptrIiEEEEPS5_jNS1_19radix_merge_compareILb0ELb1EiNS0_19identity_decomposerEEEEE10hipError_tT0_T1_T2_jT3_P12ihipStream_tbPNSt15iterator_traitsISK_E10value_typeEPNSQ_ISL_E10value_typeEPSM_NS1_7vsmem_tEENKUlT_SK_SL_SM_E_clISE_PiSF_SF_EESJ_SZ_SK_SL_SM_EUlSZ_E1_NS1_11comp_targetILNS1_3genE10ELNS1_11target_archE1201ELNS1_3gpuE5ELNS1_3repE0EEENS1_36merge_oddeven_config_static_selectorELNS0_4arch9wavefront6targetE1EEEvSL_
    .private_segment_fixed_size: 0
    .sgpr_count:     4
    .sgpr_spill_count: 0
    .symbol:         _ZN7rocprim17ROCPRIM_400000_NS6detail17trampoline_kernelINS0_14default_configENS1_38merge_sort_block_merge_config_selectorIiNS0_10empty_typeEEEZZNS1_27merge_sort_block_merge_implIS3_N6thrust23THRUST_200600_302600_NS6detail15normal_iteratorINS9_10device_ptrIiEEEEPS5_jNS1_19radix_merge_compareILb0ELb1EiNS0_19identity_decomposerEEEEE10hipError_tT0_T1_T2_jT3_P12ihipStream_tbPNSt15iterator_traitsISK_E10value_typeEPNSQ_ISL_E10value_typeEPSM_NS1_7vsmem_tEENKUlT_SK_SL_SM_E_clISE_PiSF_SF_EESJ_SZ_SK_SL_SM_EUlSZ_E1_NS1_11comp_targetILNS1_3genE10ELNS1_11target_archE1201ELNS1_3gpuE5ELNS1_3repE0EEENS1_36merge_oddeven_config_static_selectorELNS0_4arch9wavefront6targetE1EEEvSL_.kd
    .uniform_work_group_size: 1
    .uses_dynamic_stack: false
    .vgpr_count:     0
    .vgpr_spill_count: 0
    .wavefront_size: 64
  - .agpr_count:     0
    .args:
      - .offset:         0
        .size:           48
        .value_kind:     by_value
    .group_segment_fixed_size: 0
    .kernarg_segment_align: 8
    .kernarg_segment_size: 48
    .language:       OpenCL C
    .language_version:
      - 2
      - 0
    .max_flat_workgroup_size: 256
    .name:           _ZN7rocprim17ROCPRIM_400000_NS6detail17trampoline_kernelINS0_14default_configENS1_38merge_sort_block_merge_config_selectorIiNS0_10empty_typeEEEZZNS1_27merge_sort_block_merge_implIS3_N6thrust23THRUST_200600_302600_NS6detail15normal_iteratorINS9_10device_ptrIiEEEEPS5_jNS1_19radix_merge_compareILb0ELb1EiNS0_19identity_decomposerEEEEE10hipError_tT0_T1_T2_jT3_P12ihipStream_tbPNSt15iterator_traitsISK_E10value_typeEPNSQ_ISL_E10value_typeEPSM_NS1_7vsmem_tEENKUlT_SK_SL_SM_E_clISE_PiSF_SF_EESJ_SZ_SK_SL_SM_EUlSZ_E1_NS1_11comp_targetILNS1_3genE5ELNS1_11target_archE942ELNS1_3gpuE9ELNS1_3repE0EEENS1_36merge_oddeven_config_static_selectorELNS0_4arch9wavefront6targetE1EEEvSL_
    .private_segment_fixed_size: 0
    .sgpr_count:     4
    .sgpr_spill_count: 0
    .symbol:         _ZN7rocprim17ROCPRIM_400000_NS6detail17trampoline_kernelINS0_14default_configENS1_38merge_sort_block_merge_config_selectorIiNS0_10empty_typeEEEZZNS1_27merge_sort_block_merge_implIS3_N6thrust23THRUST_200600_302600_NS6detail15normal_iteratorINS9_10device_ptrIiEEEEPS5_jNS1_19radix_merge_compareILb0ELb1EiNS0_19identity_decomposerEEEEE10hipError_tT0_T1_T2_jT3_P12ihipStream_tbPNSt15iterator_traitsISK_E10value_typeEPNSQ_ISL_E10value_typeEPSM_NS1_7vsmem_tEENKUlT_SK_SL_SM_E_clISE_PiSF_SF_EESJ_SZ_SK_SL_SM_EUlSZ_E1_NS1_11comp_targetILNS1_3genE5ELNS1_11target_archE942ELNS1_3gpuE9ELNS1_3repE0EEENS1_36merge_oddeven_config_static_selectorELNS0_4arch9wavefront6targetE1EEEvSL_.kd
    .uniform_work_group_size: 1
    .uses_dynamic_stack: false
    .vgpr_count:     0
    .vgpr_spill_count: 0
    .wavefront_size: 64
  - .agpr_count:     0
    .args:
      - .offset:         0
        .size:           48
        .value_kind:     by_value
    .group_segment_fixed_size: 0
    .kernarg_segment_align: 8
    .kernarg_segment_size: 48
    .language:       OpenCL C
    .language_version:
      - 2
      - 0
    .max_flat_workgroup_size: 256
    .name:           _ZN7rocprim17ROCPRIM_400000_NS6detail17trampoline_kernelINS0_14default_configENS1_38merge_sort_block_merge_config_selectorIiNS0_10empty_typeEEEZZNS1_27merge_sort_block_merge_implIS3_N6thrust23THRUST_200600_302600_NS6detail15normal_iteratorINS9_10device_ptrIiEEEEPS5_jNS1_19radix_merge_compareILb0ELb1EiNS0_19identity_decomposerEEEEE10hipError_tT0_T1_T2_jT3_P12ihipStream_tbPNSt15iterator_traitsISK_E10value_typeEPNSQ_ISL_E10value_typeEPSM_NS1_7vsmem_tEENKUlT_SK_SL_SM_E_clISE_PiSF_SF_EESJ_SZ_SK_SL_SM_EUlSZ_E1_NS1_11comp_targetILNS1_3genE4ELNS1_11target_archE910ELNS1_3gpuE8ELNS1_3repE0EEENS1_36merge_oddeven_config_static_selectorELNS0_4arch9wavefront6targetE1EEEvSL_
    .private_segment_fixed_size: 0
    .sgpr_count:     25
    .sgpr_spill_count: 0
    .symbol:         _ZN7rocprim17ROCPRIM_400000_NS6detail17trampoline_kernelINS0_14default_configENS1_38merge_sort_block_merge_config_selectorIiNS0_10empty_typeEEEZZNS1_27merge_sort_block_merge_implIS3_N6thrust23THRUST_200600_302600_NS6detail15normal_iteratorINS9_10device_ptrIiEEEEPS5_jNS1_19radix_merge_compareILb0ELb1EiNS0_19identity_decomposerEEEEE10hipError_tT0_T1_T2_jT3_P12ihipStream_tbPNSt15iterator_traitsISK_E10value_typeEPNSQ_ISL_E10value_typeEPSM_NS1_7vsmem_tEENKUlT_SK_SL_SM_E_clISE_PiSF_SF_EESJ_SZ_SK_SL_SM_EUlSZ_E1_NS1_11comp_targetILNS1_3genE4ELNS1_11target_archE910ELNS1_3gpuE8ELNS1_3repE0EEENS1_36merge_oddeven_config_static_selectorELNS0_4arch9wavefront6targetE1EEEvSL_.kd
    .uniform_work_group_size: 1
    .uses_dynamic_stack: false
    .vgpr_count:     11
    .vgpr_spill_count: 0
    .wavefront_size: 64
  - .agpr_count:     0
    .args:
      - .offset:         0
        .size:           48
        .value_kind:     by_value
    .group_segment_fixed_size: 0
    .kernarg_segment_align: 8
    .kernarg_segment_size: 48
    .language:       OpenCL C
    .language_version:
      - 2
      - 0
    .max_flat_workgroup_size: 256
    .name:           _ZN7rocprim17ROCPRIM_400000_NS6detail17trampoline_kernelINS0_14default_configENS1_38merge_sort_block_merge_config_selectorIiNS0_10empty_typeEEEZZNS1_27merge_sort_block_merge_implIS3_N6thrust23THRUST_200600_302600_NS6detail15normal_iteratorINS9_10device_ptrIiEEEEPS5_jNS1_19radix_merge_compareILb0ELb1EiNS0_19identity_decomposerEEEEE10hipError_tT0_T1_T2_jT3_P12ihipStream_tbPNSt15iterator_traitsISK_E10value_typeEPNSQ_ISL_E10value_typeEPSM_NS1_7vsmem_tEENKUlT_SK_SL_SM_E_clISE_PiSF_SF_EESJ_SZ_SK_SL_SM_EUlSZ_E1_NS1_11comp_targetILNS1_3genE3ELNS1_11target_archE908ELNS1_3gpuE7ELNS1_3repE0EEENS1_36merge_oddeven_config_static_selectorELNS0_4arch9wavefront6targetE1EEEvSL_
    .private_segment_fixed_size: 0
    .sgpr_count:     4
    .sgpr_spill_count: 0
    .symbol:         _ZN7rocprim17ROCPRIM_400000_NS6detail17trampoline_kernelINS0_14default_configENS1_38merge_sort_block_merge_config_selectorIiNS0_10empty_typeEEEZZNS1_27merge_sort_block_merge_implIS3_N6thrust23THRUST_200600_302600_NS6detail15normal_iteratorINS9_10device_ptrIiEEEEPS5_jNS1_19radix_merge_compareILb0ELb1EiNS0_19identity_decomposerEEEEE10hipError_tT0_T1_T2_jT3_P12ihipStream_tbPNSt15iterator_traitsISK_E10value_typeEPNSQ_ISL_E10value_typeEPSM_NS1_7vsmem_tEENKUlT_SK_SL_SM_E_clISE_PiSF_SF_EESJ_SZ_SK_SL_SM_EUlSZ_E1_NS1_11comp_targetILNS1_3genE3ELNS1_11target_archE908ELNS1_3gpuE7ELNS1_3repE0EEENS1_36merge_oddeven_config_static_selectorELNS0_4arch9wavefront6targetE1EEEvSL_.kd
    .uniform_work_group_size: 1
    .uses_dynamic_stack: false
    .vgpr_count:     0
    .vgpr_spill_count: 0
    .wavefront_size: 64
  - .agpr_count:     0
    .args:
      - .offset:         0
        .size:           48
        .value_kind:     by_value
    .group_segment_fixed_size: 0
    .kernarg_segment_align: 8
    .kernarg_segment_size: 48
    .language:       OpenCL C
    .language_version:
      - 2
      - 0
    .max_flat_workgroup_size: 256
    .name:           _ZN7rocprim17ROCPRIM_400000_NS6detail17trampoline_kernelINS0_14default_configENS1_38merge_sort_block_merge_config_selectorIiNS0_10empty_typeEEEZZNS1_27merge_sort_block_merge_implIS3_N6thrust23THRUST_200600_302600_NS6detail15normal_iteratorINS9_10device_ptrIiEEEEPS5_jNS1_19radix_merge_compareILb0ELb1EiNS0_19identity_decomposerEEEEE10hipError_tT0_T1_T2_jT3_P12ihipStream_tbPNSt15iterator_traitsISK_E10value_typeEPNSQ_ISL_E10value_typeEPSM_NS1_7vsmem_tEENKUlT_SK_SL_SM_E_clISE_PiSF_SF_EESJ_SZ_SK_SL_SM_EUlSZ_E1_NS1_11comp_targetILNS1_3genE2ELNS1_11target_archE906ELNS1_3gpuE6ELNS1_3repE0EEENS1_36merge_oddeven_config_static_selectorELNS0_4arch9wavefront6targetE1EEEvSL_
    .private_segment_fixed_size: 0
    .sgpr_count:     4
    .sgpr_spill_count: 0
    .symbol:         _ZN7rocprim17ROCPRIM_400000_NS6detail17trampoline_kernelINS0_14default_configENS1_38merge_sort_block_merge_config_selectorIiNS0_10empty_typeEEEZZNS1_27merge_sort_block_merge_implIS3_N6thrust23THRUST_200600_302600_NS6detail15normal_iteratorINS9_10device_ptrIiEEEEPS5_jNS1_19radix_merge_compareILb0ELb1EiNS0_19identity_decomposerEEEEE10hipError_tT0_T1_T2_jT3_P12ihipStream_tbPNSt15iterator_traitsISK_E10value_typeEPNSQ_ISL_E10value_typeEPSM_NS1_7vsmem_tEENKUlT_SK_SL_SM_E_clISE_PiSF_SF_EESJ_SZ_SK_SL_SM_EUlSZ_E1_NS1_11comp_targetILNS1_3genE2ELNS1_11target_archE906ELNS1_3gpuE6ELNS1_3repE0EEENS1_36merge_oddeven_config_static_selectorELNS0_4arch9wavefront6targetE1EEEvSL_.kd
    .uniform_work_group_size: 1
    .uses_dynamic_stack: false
    .vgpr_count:     0
    .vgpr_spill_count: 0
    .wavefront_size: 64
  - .agpr_count:     0
    .args:
      - .offset:         0
        .size:           48
        .value_kind:     by_value
    .group_segment_fixed_size: 0
    .kernarg_segment_align: 8
    .kernarg_segment_size: 48
    .language:       OpenCL C
    .language_version:
      - 2
      - 0
    .max_flat_workgroup_size: 256
    .name:           _ZN7rocprim17ROCPRIM_400000_NS6detail17trampoline_kernelINS0_14default_configENS1_38merge_sort_block_merge_config_selectorIiNS0_10empty_typeEEEZZNS1_27merge_sort_block_merge_implIS3_N6thrust23THRUST_200600_302600_NS6detail15normal_iteratorINS9_10device_ptrIiEEEEPS5_jNS1_19radix_merge_compareILb0ELb1EiNS0_19identity_decomposerEEEEE10hipError_tT0_T1_T2_jT3_P12ihipStream_tbPNSt15iterator_traitsISK_E10value_typeEPNSQ_ISL_E10value_typeEPSM_NS1_7vsmem_tEENKUlT_SK_SL_SM_E_clISE_PiSF_SF_EESJ_SZ_SK_SL_SM_EUlSZ_E1_NS1_11comp_targetILNS1_3genE9ELNS1_11target_archE1100ELNS1_3gpuE3ELNS1_3repE0EEENS1_36merge_oddeven_config_static_selectorELNS0_4arch9wavefront6targetE1EEEvSL_
    .private_segment_fixed_size: 0
    .sgpr_count:     4
    .sgpr_spill_count: 0
    .symbol:         _ZN7rocprim17ROCPRIM_400000_NS6detail17trampoline_kernelINS0_14default_configENS1_38merge_sort_block_merge_config_selectorIiNS0_10empty_typeEEEZZNS1_27merge_sort_block_merge_implIS3_N6thrust23THRUST_200600_302600_NS6detail15normal_iteratorINS9_10device_ptrIiEEEEPS5_jNS1_19radix_merge_compareILb0ELb1EiNS0_19identity_decomposerEEEEE10hipError_tT0_T1_T2_jT3_P12ihipStream_tbPNSt15iterator_traitsISK_E10value_typeEPNSQ_ISL_E10value_typeEPSM_NS1_7vsmem_tEENKUlT_SK_SL_SM_E_clISE_PiSF_SF_EESJ_SZ_SK_SL_SM_EUlSZ_E1_NS1_11comp_targetILNS1_3genE9ELNS1_11target_archE1100ELNS1_3gpuE3ELNS1_3repE0EEENS1_36merge_oddeven_config_static_selectorELNS0_4arch9wavefront6targetE1EEEvSL_.kd
    .uniform_work_group_size: 1
    .uses_dynamic_stack: false
    .vgpr_count:     0
    .vgpr_spill_count: 0
    .wavefront_size: 64
  - .agpr_count:     0
    .args:
      - .offset:         0
        .size:           48
        .value_kind:     by_value
    .group_segment_fixed_size: 0
    .kernarg_segment_align: 8
    .kernarg_segment_size: 48
    .language:       OpenCL C
    .language_version:
      - 2
      - 0
    .max_flat_workgroup_size: 256
    .name:           _ZN7rocprim17ROCPRIM_400000_NS6detail17trampoline_kernelINS0_14default_configENS1_38merge_sort_block_merge_config_selectorIiNS0_10empty_typeEEEZZNS1_27merge_sort_block_merge_implIS3_N6thrust23THRUST_200600_302600_NS6detail15normal_iteratorINS9_10device_ptrIiEEEEPS5_jNS1_19radix_merge_compareILb0ELb1EiNS0_19identity_decomposerEEEEE10hipError_tT0_T1_T2_jT3_P12ihipStream_tbPNSt15iterator_traitsISK_E10value_typeEPNSQ_ISL_E10value_typeEPSM_NS1_7vsmem_tEENKUlT_SK_SL_SM_E_clISE_PiSF_SF_EESJ_SZ_SK_SL_SM_EUlSZ_E1_NS1_11comp_targetILNS1_3genE8ELNS1_11target_archE1030ELNS1_3gpuE2ELNS1_3repE0EEENS1_36merge_oddeven_config_static_selectorELNS0_4arch9wavefront6targetE1EEEvSL_
    .private_segment_fixed_size: 0
    .sgpr_count:     4
    .sgpr_spill_count: 0
    .symbol:         _ZN7rocprim17ROCPRIM_400000_NS6detail17trampoline_kernelINS0_14default_configENS1_38merge_sort_block_merge_config_selectorIiNS0_10empty_typeEEEZZNS1_27merge_sort_block_merge_implIS3_N6thrust23THRUST_200600_302600_NS6detail15normal_iteratorINS9_10device_ptrIiEEEEPS5_jNS1_19radix_merge_compareILb0ELb1EiNS0_19identity_decomposerEEEEE10hipError_tT0_T1_T2_jT3_P12ihipStream_tbPNSt15iterator_traitsISK_E10value_typeEPNSQ_ISL_E10value_typeEPSM_NS1_7vsmem_tEENKUlT_SK_SL_SM_E_clISE_PiSF_SF_EESJ_SZ_SK_SL_SM_EUlSZ_E1_NS1_11comp_targetILNS1_3genE8ELNS1_11target_archE1030ELNS1_3gpuE2ELNS1_3repE0EEENS1_36merge_oddeven_config_static_selectorELNS0_4arch9wavefront6targetE1EEEvSL_.kd
    .uniform_work_group_size: 1
    .uses_dynamic_stack: false
    .vgpr_count:     0
    .vgpr_spill_count: 0
    .wavefront_size: 64
  - .agpr_count:     0
    .args:
      - .offset:         0
        .size:           40
        .value_kind:     by_value
    .group_segment_fixed_size: 0
    .kernarg_segment_align: 8
    .kernarg_segment_size: 40
    .language:       OpenCL C
    .language_version:
      - 2
      - 0
    .max_flat_workgroup_size: 512
    .name:           _ZN7rocprim17ROCPRIM_400000_NS6detail17trampoline_kernelINS0_14default_configENS1_35radix_sort_onesweep_config_selectorIiNS0_10empty_typeEEEZNS1_34radix_sort_onesweep_global_offsetsIS3_Lb0EN6thrust23THRUST_200600_302600_NS6detail15normal_iteratorINS9_10device_ptrIiEEEEPS5_jNS0_19identity_decomposerEEE10hipError_tT1_T2_PT3_SK_jT4_jjP12ihipStream_tbEUlT_E_NS1_11comp_targetILNS1_3genE0ELNS1_11target_archE4294967295ELNS1_3gpuE0ELNS1_3repE0EEENS1_52radix_sort_onesweep_histogram_config_static_selectorELNS0_4arch9wavefront6targetE1EEEvSI_
    .private_segment_fixed_size: 0
    .sgpr_count:     4
    .sgpr_spill_count: 0
    .symbol:         _ZN7rocprim17ROCPRIM_400000_NS6detail17trampoline_kernelINS0_14default_configENS1_35radix_sort_onesweep_config_selectorIiNS0_10empty_typeEEEZNS1_34radix_sort_onesweep_global_offsetsIS3_Lb0EN6thrust23THRUST_200600_302600_NS6detail15normal_iteratorINS9_10device_ptrIiEEEEPS5_jNS0_19identity_decomposerEEE10hipError_tT1_T2_PT3_SK_jT4_jjP12ihipStream_tbEUlT_E_NS1_11comp_targetILNS1_3genE0ELNS1_11target_archE4294967295ELNS1_3gpuE0ELNS1_3repE0EEENS1_52radix_sort_onesweep_histogram_config_static_selectorELNS0_4arch9wavefront6targetE1EEEvSI_.kd
    .uniform_work_group_size: 1
    .uses_dynamic_stack: false
    .vgpr_count:     0
    .vgpr_spill_count: 0
    .wavefront_size: 64
  - .agpr_count:     0
    .args:
      - .offset:         0
        .size:           40
        .value_kind:     by_value
    .group_segment_fixed_size: 0
    .kernarg_segment_align: 8
    .kernarg_segment_size: 40
    .language:       OpenCL C
    .language_version:
      - 2
      - 0
    .max_flat_workgroup_size: 1024
    .name:           _ZN7rocprim17ROCPRIM_400000_NS6detail17trampoline_kernelINS0_14default_configENS1_35radix_sort_onesweep_config_selectorIiNS0_10empty_typeEEEZNS1_34radix_sort_onesweep_global_offsetsIS3_Lb0EN6thrust23THRUST_200600_302600_NS6detail15normal_iteratorINS9_10device_ptrIiEEEEPS5_jNS0_19identity_decomposerEEE10hipError_tT1_T2_PT3_SK_jT4_jjP12ihipStream_tbEUlT_E_NS1_11comp_targetILNS1_3genE6ELNS1_11target_archE950ELNS1_3gpuE13ELNS1_3repE0EEENS1_52radix_sort_onesweep_histogram_config_static_selectorELNS0_4arch9wavefront6targetE1EEEvSI_
    .private_segment_fixed_size: 0
    .sgpr_count:     4
    .sgpr_spill_count: 0
    .symbol:         _ZN7rocprim17ROCPRIM_400000_NS6detail17trampoline_kernelINS0_14default_configENS1_35radix_sort_onesweep_config_selectorIiNS0_10empty_typeEEEZNS1_34radix_sort_onesweep_global_offsetsIS3_Lb0EN6thrust23THRUST_200600_302600_NS6detail15normal_iteratorINS9_10device_ptrIiEEEEPS5_jNS0_19identity_decomposerEEE10hipError_tT1_T2_PT3_SK_jT4_jjP12ihipStream_tbEUlT_E_NS1_11comp_targetILNS1_3genE6ELNS1_11target_archE950ELNS1_3gpuE13ELNS1_3repE0EEENS1_52radix_sort_onesweep_histogram_config_static_selectorELNS0_4arch9wavefront6targetE1EEEvSI_.kd
    .uniform_work_group_size: 1
    .uses_dynamic_stack: false
    .vgpr_count:     0
    .vgpr_spill_count: 0
    .wavefront_size: 64
  - .agpr_count:     0
    .args:
      - .offset:         0
        .size:           40
        .value_kind:     by_value
    .group_segment_fixed_size: 0
    .kernarg_segment_align: 8
    .kernarg_segment_size: 40
    .language:       OpenCL C
    .language_version:
      - 2
      - 0
    .max_flat_workgroup_size: 1024
    .name:           _ZN7rocprim17ROCPRIM_400000_NS6detail17trampoline_kernelINS0_14default_configENS1_35radix_sort_onesweep_config_selectorIiNS0_10empty_typeEEEZNS1_34radix_sort_onesweep_global_offsetsIS3_Lb0EN6thrust23THRUST_200600_302600_NS6detail15normal_iteratorINS9_10device_ptrIiEEEEPS5_jNS0_19identity_decomposerEEE10hipError_tT1_T2_PT3_SK_jT4_jjP12ihipStream_tbEUlT_E_NS1_11comp_targetILNS1_3genE5ELNS1_11target_archE942ELNS1_3gpuE9ELNS1_3repE0EEENS1_52radix_sort_onesweep_histogram_config_static_selectorELNS0_4arch9wavefront6targetE1EEEvSI_
    .private_segment_fixed_size: 0
    .sgpr_count:     4
    .sgpr_spill_count: 0
    .symbol:         _ZN7rocprim17ROCPRIM_400000_NS6detail17trampoline_kernelINS0_14default_configENS1_35radix_sort_onesweep_config_selectorIiNS0_10empty_typeEEEZNS1_34radix_sort_onesweep_global_offsetsIS3_Lb0EN6thrust23THRUST_200600_302600_NS6detail15normal_iteratorINS9_10device_ptrIiEEEEPS5_jNS0_19identity_decomposerEEE10hipError_tT1_T2_PT3_SK_jT4_jjP12ihipStream_tbEUlT_E_NS1_11comp_targetILNS1_3genE5ELNS1_11target_archE942ELNS1_3gpuE9ELNS1_3repE0EEENS1_52radix_sort_onesweep_histogram_config_static_selectorELNS0_4arch9wavefront6targetE1EEEvSI_.kd
    .uniform_work_group_size: 1
    .uses_dynamic_stack: false
    .vgpr_count:     0
    .vgpr_spill_count: 0
    .wavefront_size: 64
  - .agpr_count:     0
    .args:
      - .offset:         0
        .size:           40
        .value_kind:     by_value
    .group_segment_fixed_size: 0
    .kernarg_segment_align: 8
    .kernarg_segment_size: 40
    .language:       OpenCL C
    .language_version:
      - 2
      - 0
    .max_flat_workgroup_size: 1024
    .name:           _ZN7rocprim17ROCPRIM_400000_NS6detail17trampoline_kernelINS0_14default_configENS1_35radix_sort_onesweep_config_selectorIiNS0_10empty_typeEEEZNS1_34radix_sort_onesweep_global_offsetsIS3_Lb0EN6thrust23THRUST_200600_302600_NS6detail15normal_iteratorINS9_10device_ptrIiEEEEPS5_jNS0_19identity_decomposerEEE10hipError_tT1_T2_PT3_SK_jT4_jjP12ihipStream_tbEUlT_E_NS1_11comp_targetILNS1_3genE2ELNS1_11target_archE906ELNS1_3gpuE6ELNS1_3repE0EEENS1_52radix_sort_onesweep_histogram_config_static_selectorELNS0_4arch9wavefront6targetE1EEEvSI_
    .private_segment_fixed_size: 0
    .sgpr_count:     4
    .sgpr_spill_count: 0
    .symbol:         _ZN7rocprim17ROCPRIM_400000_NS6detail17trampoline_kernelINS0_14default_configENS1_35radix_sort_onesweep_config_selectorIiNS0_10empty_typeEEEZNS1_34radix_sort_onesweep_global_offsetsIS3_Lb0EN6thrust23THRUST_200600_302600_NS6detail15normal_iteratorINS9_10device_ptrIiEEEEPS5_jNS0_19identity_decomposerEEE10hipError_tT1_T2_PT3_SK_jT4_jjP12ihipStream_tbEUlT_E_NS1_11comp_targetILNS1_3genE2ELNS1_11target_archE906ELNS1_3gpuE6ELNS1_3repE0EEENS1_52radix_sort_onesweep_histogram_config_static_selectorELNS0_4arch9wavefront6targetE1EEEvSI_.kd
    .uniform_work_group_size: 1
    .uses_dynamic_stack: false
    .vgpr_count:     0
    .vgpr_spill_count: 0
    .wavefront_size: 64
  - .agpr_count:     0
    .args:
      - .offset:         0
        .size:           40
        .value_kind:     by_value
    .group_segment_fixed_size: 16384
    .kernarg_segment_align: 8
    .kernarg_segment_size: 40
    .language:       OpenCL C
    .language_version:
      - 2
      - 0
    .max_flat_workgroup_size: 1024
    .name:           _ZN7rocprim17ROCPRIM_400000_NS6detail17trampoline_kernelINS0_14default_configENS1_35radix_sort_onesweep_config_selectorIiNS0_10empty_typeEEEZNS1_34radix_sort_onesweep_global_offsetsIS3_Lb0EN6thrust23THRUST_200600_302600_NS6detail15normal_iteratorINS9_10device_ptrIiEEEEPS5_jNS0_19identity_decomposerEEE10hipError_tT1_T2_PT3_SK_jT4_jjP12ihipStream_tbEUlT_E_NS1_11comp_targetILNS1_3genE4ELNS1_11target_archE910ELNS1_3gpuE8ELNS1_3repE0EEENS1_52radix_sort_onesweep_histogram_config_static_selectorELNS0_4arch9wavefront6targetE1EEEvSI_
    .private_segment_fixed_size: 0
    .sgpr_count:     23
    .sgpr_spill_count: 0
    .symbol:         _ZN7rocprim17ROCPRIM_400000_NS6detail17trampoline_kernelINS0_14default_configENS1_35radix_sort_onesweep_config_selectorIiNS0_10empty_typeEEEZNS1_34radix_sort_onesweep_global_offsetsIS3_Lb0EN6thrust23THRUST_200600_302600_NS6detail15normal_iteratorINS9_10device_ptrIiEEEEPS5_jNS0_19identity_decomposerEEE10hipError_tT1_T2_PT3_SK_jT4_jjP12ihipStream_tbEUlT_E_NS1_11comp_targetILNS1_3genE4ELNS1_11target_archE910ELNS1_3gpuE8ELNS1_3repE0EEENS1_52radix_sort_onesweep_histogram_config_static_selectorELNS0_4arch9wavefront6targetE1EEEvSI_.kd
    .uniform_work_group_size: 1
    .uses_dynamic_stack: false
    .vgpr_count:     27
    .vgpr_spill_count: 0
    .wavefront_size: 64
  - .agpr_count:     0
    .args:
      - .offset:         0
        .size:           40
        .value_kind:     by_value
    .group_segment_fixed_size: 0
    .kernarg_segment_align: 8
    .kernarg_segment_size: 40
    .language:       OpenCL C
    .language_version:
      - 2
      - 0
    .max_flat_workgroup_size: 512
    .name:           _ZN7rocprim17ROCPRIM_400000_NS6detail17trampoline_kernelINS0_14default_configENS1_35radix_sort_onesweep_config_selectorIiNS0_10empty_typeEEEZNS1_34radix_sort_onesweep_global_offsetsIS3_Lb0EN6thrust23THRUST_200600_302600_NS6detail15normal_iteratorINS9_10device_ptrIiEEEEPS5_jNS0_19identity_decomposerEEE10hipError_tT1_T2_PT3_SK_jT4_jjP12ihipStream_tbEUlT_E_NS1_11comp_targetILNS1_3genE3ELNS1_11target_archE908ELNS1_3gpuE7ELNS1_3repE0EEENS1_52radix_sort_onesweep_histogram_config_static_selectorELNS0_4arch9wavefront6targetE1EEEvSI_
    .private_segment_fixed_size: 0
    .sgpr_count:     4
    .sgpr_spill_count: 0
    .symbol:         _ZN7rocprim17ROCPRIM_400000_NS6detail17trampoline_kernelINS0_14default_configENS1_35radix_sort_onesweep_config_selectorIiNS0_10empty_typeEEEZNS1_34radix_sort_onesweep_global_offsetsIS3_Lb0EN6thrust23THRUST_200600_302600_NS6detail15normal_iteratorINS9_10device_ptrIiEEEEPS5_jNS0_19identity_decomposerEEE10hipError_tT1_T2_PT3_SK_jT4_jjP12ihipStream_tbEUlT_E_NS1_11comp_targetILNS1_3genE3ELNS1_11target_archE908ELNS1_3gpuE7ELNS1_3repE0EEENS1_52radix_sort_onesweep_histogram_config_static_selectorELNS0_4arch9wavefront6targetE1EEEvSI_.kd
    .uniform_work_group_size: 1
    .uses_dynamic_stack: false
    .vgpr_count:     0
    .vgpr_spill_count: 0
    .wavefront_size: 64
  - .agpr_count:     0
    .args:
      - .offset:         0
        .size:           40
        .value_kind:     by_value
    .group_segment_fixed_size: 0
    .kernarg_segment_align: 8
    .kernarg_segment_size: 40
    .language:       OpenCL C
    .language_version:
      - 2
      - 0
    .max_flat_workgroup_size: 1024
    .name:           _ZN7rocprim17ROCPRIM_400000_NS6detail17trampoline_kernelINS0_14default_configENS1_35radix_sort_onesweep_config_selectorIiNS0_10empty_typeEEEZNS1_34radix_sort_onesweep_global_offsetsIS3_Lb0EN6thrust23THRUST_200600_302600_NS6detail15normal_iteratorINS9_10device_ptrIiEEEEPS5_jNS0_19identity_decomposerEEE10hipError_tT1_T2_PT3_SK_jT4_jjP12ihipStream_tbEUlT_E_NS1_11comp_targetILNS1_3genE10ELNS1_11target_archE1201ELNS1_3gpuE5ELNS1_3repE0EEENS1_52radix_sort_onesweep_histogram_config_static_selectorELNS0_4arch9wavefront6targetE1EEEvSI_
    .private_segment_fixed_size: 0
    .sgpr_count:     4
    .sgpr_spill_count: 0
    .symbol:         _ZN7rocprim17ROCPRIM_400000_NS6detail17trampoline_kernelINS0_14default_configENS1_35radix_sort_onesweep_config_selectorIiNS0_10empty_typeEEEZNS1_34radix_sort_onesweep_global_offsetsIS3_Lb0EN6thrust23THRUST_200600_302600_NS6detail15normal_iteratorINS9_10device_ptrIiEEEEPS5_jNS0_19identity_decomposerEEE10hipError_tT1_T2_PT3_SK_jT4_jjP12ihipStream_tbEUlT_E_NS1_11comp_targetILNS1_3genE10ELNS1_11target_archE1201ELNS1_3gpuE5ELNS1_3repE0EEENS1_52radix_sort_onesweep_histogram_config_static_selectorELNS0_4arch9wavefront6targetE1EEEvSI_.kd
    .uniform_work_group_size: 1
    .uses_dynamic_stack: false
    .vgpr_count:     0
    .vgpr_spill_count: 0
    .wavefront_size: 64
  - .agpr_count:     0
    .args:
      - .offset:         0
        .size:           40
        .value_kind:     by_value
    .group_segment_fixed_size: 0
    .kernarg_segment_align: 8
    .kernarg_segment_size: 40
    .language:       OpenCL C
    .language_version:
      - 2
      - 0
    .max_flat_workgroup_size: 1024
    .name:           _ZN7rocprim17ROCPRIM_400000_NS6detail17trampoline_kernelINS0_14default_configENS1_35radix_sort_onesweep_config_selectorIiNS0_10empty_typeEEEZNS1_34radix_sort_onesweep_global_offsetsIS3_Lb0EN6thrust23THRUST_200600_302600_NS6detail15normal_iteratorINS9_10device_ptrIiEEEEPS5_jNS0_19identity_decomposerEEE10hipError_tT1_T2_PT3_SK_jT4_jjP12ihipStream_tbEUlT_E_NS1_11comp_targetILNS1_3genE9ELNS1_11target_archE1100ELNS1_3gpuE3ELNS1_3repE0EEENS1_52radix_sort_onesweep_histogram_config_static_selectorELNS0_4arch9wavefront6targetE1EEEvSI_
    .private_segment_fixed_size: 0
    .sgpr_count:     4
    .sgpr_spill_count: 0
    .symbol:         _ZN7rocprim17ROCPRIM_400000_NS6detail17trampoline_kernelINS0_14default_configENS1_35radix_sort_onesweep_config_selectorIiNS0_10empty_typeEEEZNS1_34radix_sort_onesweep_global_offsetsIS3_Lb0EN6thrust23THRUST_200600_302600_NS6detail15normal_iteratorINS9_10device_ptrIiEEEEPS5_jNS0_19identity_decomposerEEE10hipError_tT1_T2_PT3_SK_jT4_jjP12ihipStream_tbEUlT_E_NS1_11comp_targetILNS1_3genE9ELNS1_11target_archE1100ELNS1_3gpuE3ELNS1_3repE0EEENS1_52radix_sort_onesweep_histogram_config_static_selectorELNS0_4arch9wavefront6targetE1EEEvSI_.kd
    .uniform_work_group_size: 1
    .uses_dynamic_stack: false
    .vgpr_count:     0
    .vgpr_spill_count: 0
    .wavefront_size: 64
  - .agpr_count:     0
    .args:
      - .offset:         0
        .size:           40
        .value_kind:     by_value
    .group_segment_fixed_size: 0
    .kernarg_segment_align: 8
    .kernarg_segment_size: 40
    .language:       OpenCL C
    .language_version:
      - 2
      - 0
    .max_flat_workgroup_size: 1024
    .name:           _ZN7rocprim17ROCPRIM_400000_NS6detail17trampoline_kernelINS0_14default_configENS1_35radix_sort_onesweep_config_selectorIiNS0_10empty_typeEEEZNS1_34radix_sort_onesweep_global_offsetsIS3_Lb0EN6thrust23THRUST_200600_302600_NS6detail15normal_iteratorINS9_10device_ptrIiEEEEPS5_jNS0_19identity_decomposerEEE10hipError_tT1_T2_PT3_SK_jT4_jjP12ihipStream_tbEUlT_E_NS1_11comp_targetILNS1_3genE8ELNS1_11target_archE1030ELNS1_3gpuE2ELNS1_3repE0EEENS1_52radix_sort_onesweep_histogram_config_static_selectorELNS0_4arch9wavefront6targetE1EEEvSI_
    .private_segment_fixed_size: 0
    .sgpr_count:     4
    .sgpr_spill_count: 0
    .symbol:         _ZN7rocprim17ROCPRIM_400000_NS6detail17trampoline_kernelINS0_14default_configENS1_35radix_sort_onesweep_config_selectorIiNS0_10empty_typeEEEZNS1_34radix_sort_onesweep_global_offsetsIS3_Lb0EN6thrust23THRUST_200600_302600_NS6detail15normal_iteratorINS9_10device_ptrIiEEEEPS5_jNS0_19identity_decomposerEEE10hipError_tT1_T2_PT3_SK_jT4_jjP12ihipStream_tbEUlT_E_NS1_11comp_targetILNS1_3genE8ELNS1_11target_archE1030ELNS1_3gpuE2ELNS1_3repE0EEENS1_52radix_sort_onesweep_histogram_config_static_selectorELNS0_4arch9wavefront6targetE1EEEvSI_.kd
    .uniform_work_group_size: 1
    .uses_dynamic_stack: false
    .vgpr_count:     0
    .vgpr_spill_count: 0
    .wavefront_size: 64
  - .agpr_count:     0
    .args:
      - .address_space:  global
        .offset:         0
        .size:           8
        .value_kind:     global_buffer
    .group_segment_fixed_size: 0
    .kernarg_segment_align: 8
    .kernarg_segment_size: 8
    .language:       OpenCL C
    .language_version:
      - 2
      - 0
    .max_flat_workgroup_size: 512
    .name:           _ZN7rocprim17ROCPRIM_400000_NS6detail17trampoline_kernelINS0_14default_configENS1_35radix_sort_onesweep_config_selectorIiNS0_10empty_typeEEEZNS1_34radix_sort_onesweep_global_offsetsIS3_Lb0EN6thrust23THRUST_200600_302600_NS6detail15normal_iteratorINS9_10device_ptrIiEEEEPS5_jNS0_19identity_decomposerEEE10hipError_tT1_T2_PT3_SK_jT4_jjP12ihipStream_tbEUlT_E0_NS1_11comp_targetILNS1_3genE0ELNS1_11target_archE4294967295ELNS1_3gpuE0ELNS1_3repE0EEENS1_52radix_sort_onesweep_histogram_config_static_selectorELNS0_4arch9wavefront6targetE1EEEvSI_
    .private_segment_fixed_size: 0
    .sgpr_count:     4
    .sgpr_spill_count: 0
    .symbol:         _ZN7rocprim17ROCPRIM_400000_NS6detail17trampoline_kernelINS0_14default_configENS1_35radix_sort_onesweep_config_selectorIiNS0_10empty_typeEEEZNS1_34radix_sort_onesweep_global_offsetsIS3_Lb0EN6thrust23THRUST_200600_302600_NS6detail15normal_iteratorINS9_10device_ptrIiEEEEPS5_jNS0_19identity_decomposerEEE10hipError_tT1_T2_PT3_SK_jT4_jjP12ihipStream_tbEUlT_E0_NS1_11comp_targetILNS1_3genE0ELNS1_11target_archE4294967295ELNS1_3gpuE0ELNS1_3repE0EEENS1_52radix_sort_onesweep_histogram_config_static_selectorELNS0_4arch9wavefront6targetE1EEEvSI_.kd
    .uniform_work_group_size: 1
    .uses_dynamic_stack: false
    .vgpr_count:     0
    .vgpr_spill_count: 0
    .wavefront_size: 64
  - .agpr_count:     0
    .args:
      - .address_space:  global
        .offset:         0
        .size:           8
        .value_kind:     global_buffer
    .group_segment_fixed_size: 0
    .kernarg_segment_align: 8
    .kernarg_segment_size: 8
    .language:       OpenCL C
    .language_version:
      - 2
      - 0
    .max_flat_workgroup_size: 1024
    .name:           _ZN7rocprim17ROCPRIM_400000_NS6detail17trampoline_kernelINS0_14default_configENS1_35radix_sort_onesweep_config_selectorIiNS0_10empty_typeEEEZNS1_34radix_sort_onesweep_global_offsetsIS3_Lb0EN6thrust23THRUST_200600_302600_NS6detail15normal_iteratorINS9_10device_ptrIiEEEEPS5_jNS0_19identity_decomposerEEE10hipError_tT1_T2_PT3_SK_jT4_jjP12ihipStream_tbEUlT_E0_NS1_11comp_targetILNS1_3genE6ELNS1_11target_archE950ELNS1_3gpuE13ELNS1_3repE0EEENS1_52radix_sort_onesweep_histogram_config_static_selectorELNS0_4arch9wavefront6targetE1EEEvSI_
    .private_segment_fixed_size: 0
    .sgpr_count:     4
    .sgpr_spill_count: 0
    .symbol:         _ZN7rocprim17ROCPRIM_400000_NS6detail17trampoline_kernelINS0_14default_configENS1_35radix_sort_onesweep_config_selectorIiNS0_10empty_typeEEEZNS1_34radix_sort_onesweep_global_offsetsIS3_Lb0EN6thrust23THRUST_200600_302600_NS6detail15normal_iteratorINS9_10device_ptrIiEEEEPS5_jNS0_19identity_decomposerEEE10hipError_tT1_T2_PT3_SK_jT4_jjP12ihipStream_tbEUlT_E0_NS1_11comp_targetILNS1_3genE6ELNS1_11target_archE950ELNS1_3gpuE13ELNS1_3repE0EEENS1_52radix_sort_onesweep_histogram_config_static_selectorELNS0_4arch9wavefront6targetE1EEEvSI_.kd
    .uniform_work_group_size: 1
    .uses_dynamic_stack: false
    .vgpr_count:     0
    .vgpr_spill_count: 0
    .wavefront_size: 64
  - .agpr_count:     0
    .args:
      - .address_space:  global
        .offset:         0
        .size:           8
        .value_kind:     global_buffer
    .group_segment_fixed_size: 0
    .kernarg_segment_align: 8
    .kernarg_segment_size: 8
    .language:       OpenCL C
    .language_version:
      - 2
      - 0
    .max_flat_workgroup_size: 1024
    .name:           _ZN7rocprim17ROCPRIM_400000_NS6detail17trampoline_kernelINS0_14default_configENS1_35radix_sort_onesweep_config_selectorIiNS0_10empty_typeEEEZNS1_34radix_sort_onesweep_global_offsetsIS3_Lb0EN6thrust23THRUST_200600_302600_NS6detail15normal_iteratorINS9_10device_ptrIiEEEEPS5_jNS0_19identity_decomposerEEE10hipError_tT1_T2_PT3_SK_jT4_jjP12ihipStream_tbEUlT_E0_NS1_11comp_targetILNS1_3genE5ELNS1_11target_archE942ELNS1_3gpuE9ELNS1_3repE0EEENS1_52radix_sort_onesweep_histogram_config_static_selectorELNS0_4arch9wavefront6targetE1EEEvSI_
    .private_segment_fixed_size: 0
    .sgpr_count:     4
    .sgpr_spill_count: 0
    .symbol:         _ZN7rocprim17ROCPRIM_400000_NS6detail17trampoline_kernelINS0_14default_configENS1_35radix_sort_onesweep_config_selectorIiNS0_10empty_typeEEEZNS1_34radix_sort_onesweep_global_offsetsIS3_Lb0EN6thrust23THRUST_200600_302600_NS6detail15normal_iteratorINS9_10device_ptrIiEEEEPS5_jNS0_19identity_decomposerEEE10hipError_tT1_T2_PT3_SK_jT4_jjP12ihipStream_tbEUlT_E0_NS1_11comp_targetILNS1_3genE5ELNS1_11target_archE942ELNS1_3gpuE9ELNS1_3repE0EEENS1_52radix_sort_onesweep_histogram_config_static_selectorELNS0_4arch9wavefront6targetE1EEEvSI_.kd
    .uniform_work_group_size: 1
    .uses_dynamic_stack: false
    .vgpr_count:     0
    .vgpr_spill_count: 0
    .wavefront_size: 64
  - .agpr_count:     0
    .args:
      - .address_space:  global
        .offset:         0
        .size:           8
        .value_kind:     global_buffer
    .group_segment_fixed_size: 0
    .kernarg_segment_align: 8
    .kernarg_segment_size: 8
    .language:       OpenCL C
    .language_version:
      - 2
      - 0
    .max_flat_workgroup_size: 1024
    .name:           _ZN7rocprim17ROCPRIM_400000_NS6detail17trampoline_kernelINS0_14default_configENS1_35radix_sort_onesweep_config_selectorIiNS0_10empty_typeEEEZNS1_34radix_sort_onesweep_global_offsetsIS3_Lb0EN6thrust23THRUST_200600_302600_NS6detail15normal_iteratorINS9_10device_ptrIiEEEEPS5_jNS0_19identity_decomposerEEE10hipError_tT1_T2_PT3_SK_jT4_jjP12ihipStream_tbEUlT_E0_NS1_11comp_targetILNS1_3genE2ELNS1_11target_archE906ELNS1_3gpuE6ELNS1_3repE0EEENS1_52radix_sort_onesweep_histogram_config_static_selectorELNS0_4arch9wavefront6targetE1EEEvSI_
    .private_segment_fixed_size: 0
    .sgpr_count:     4
    .sgpr_spill_count: 0
    .symbol:         _ZN7rocprim17ROCPRIM_400000_NS6detail17trampoline_kernelINS0_14default_configENS1_35radix_sort_onesweep_config_selectorIiNS0_10empty_typeEEEZNS1_34radix_sort_onesweep_global_offsetsIS3_Lb0EN6thrust23THRUST_200600_302600_NS6detail15normal_iteratorINS9_10device_ptrIiEEEEPS5_jNS0_19identity_decomposerEEE10hipError_tT1_T2_PT3_SK_jT4_jjP12ihipStream_tbEUlT_E0_NS1_11comp_targetILNS1_3genE2ELNS1_11target_archE906ELNS1_3gpuE6ELNS1_3repE0EEENS1_52radix_sort_onesweep_histogram_config_static_selectorELNS0_4arch9wavefront6targetE1EEEvSI_.kd
    .uniform_work_group_size: 1
    .uses_dynamic_stack: false
    .vgpr_count:     0
    .vgpr_spill_count: 0
    .wavefront_size: 64
  - .agpr_count:     0
    .args:
      - .address_space:  global
        .offset:         0
        .size:           8
        .value_kind:     global_buffer
    .group_segment_fixed_size: 64
    .kernarg_segment_align: 8
    .kernarg_segment_size: 8
    .language:       OpenCL C
    .language_version:
      - 2
      - 0
    .max_flat_workgroup_size: 1024
    .name:           _ZN7rocprim17ROCPRIM_400000_NS6detail17trampoline_kernelINS0_14default_configENS1_35radix_sort_onesweep_config_selectorIiNS0_10empty_typeEEEZNS1_34radix_sort_onesweep_global_offsetsIS3_Lb0EN6thrust23THRUST_200600_302600_NS6detail15normal_iteratorINS9_10device_ptrIiEEEEPS5_jNS0_19identity_decomposerEEE10hipError_tT1_T2_PT3_SK_jT4_jjP12ihipStream_tbEUlT_E0_NS1_11comp_targetILNS1_3genE4ELNS1_11target_archE910ELNS1_3gpuE8ELNS1_3repE0EEENS1_52radix_sort_onesweep_histogram_config_static_selectorELNS0_4arch9wavefront6targetE1EEEvSI_
    .private_segment_fixed_size: 0
    .sgpr_count:     18
    .sgpr_spill_count: 0
    .symbol:         _ZN7rocprim17ROCPRIM_400000_NS6detail17trampoline_kernelINS0_14default_configENS1_35radix_sort_onesweep_config_selectorIiNS0_10empty_typeEEEZNS1_34radix_sort_onesweep_global_offsetsIS3_Lb0EN6thrust23THRUST_200600_302600_NS6detail15normal_iteratorINS9_10device_ptrIiEEEEPS5_jNS0_19identity_decomposerEEE10hipError_tT1_T2_PT3_SK_jT4_jjP12ihipStream_tbEUlT_E0_NS1_11comp_targetILNS1_3genE4ELNS1_11target_archE910ELNS1_3gpuE8ELNS1_3repE0EEENS1_52radix_sort_onesweep_histogram_config_static_selectorELNS0_4arch9wavefront6targetE1EEEvSI_.kd
    .uniform_work_group_size: 1
    .uses_dynamic_stack: false
    .vgpr_count:     7
    .vgpr_spill_count: 0
    .wavefront_size: 64
  - .agpr_count:     0
    .args:
      - .address_space:  global
        .offset:         0
        .size:           8
        .value_kind:     global_buffer
    .group_segment_fixed_size: 0
    .kernarg_segment_align: 8
    .kernarg_segment_size: 8
    .language:       OpenCL C
    .language_version:
      - 2
      - 0
    .max_flat_workgroup_size: 512
    .name:           _ZN7rocprim17ROCPRIM_400000_NS6detail17trampoline_kernelINS0_14default_configENS1_35radix_sort_onesweep_config_selectorIiNS0_10empty_typeEEEZNS1_34radix_sort_onesweep_global_offsetsIS3_Lb0EN6thrust23THRUST_200600_302600_NS6detail15normal_iteratorINS9_10device_ptrIiEEEEPS5_jNS0_19identity_decomposerEEE10hipError_tT1_T2_PT3_SK_jT4_jjP12ihipStream_tbEUlT_E0_NS1_11comp_targetILNS1_3genE3ELNS1_11target_archE908ELNS1_3gpuE7ELNS1_3repE0EEENS1_52radix_sort_onesweep_histogram_config_static_selectorELNS0_4arch9wavefront6targetE1EEEvSI_
    .private_segment_fixed_size: 0
    .sgpr_count:     4
    .sgpr_spill_count: 0
    .symbol:         _ZN7rocprim17ROCPRIM_400000_NS6detail17trampoline_kernelINS0_14default_configENS1_35radix_sort_onesweep_config_selectorIiNS0_10empty_typeEEEZNS1_34radix_sort_onesweep_global_offsetsIS3_Lb0EN6thrust23THRUST_200600_302600_NS6detail15normal_iteratorINS9_10device_ptrIiEEEEPS5_jNS0_19identity_decomposerEEE10hipError_tT1_T2_PT3_SK_jT4_jjP12ihipStream_tbEUlT_E0_NS1_11comp_targetILNS1_3genE3ELNS1_11target_archE908ELNS1_3gpuE7ELNS1_3repE0EEENS1_52radix_sort_onesweep_histogram_config_static_selectorELNS0_4arch9wavefront6targetE1EEEvSI_.kd
    .uniform_work_group_size: 1
    .uses_dynamic_stack: false
    .vgpr_count:     0
    .vgpr_spill_count: 0
    .wavefront_size: 64
  - .agpr_count:     0
    .args:
      - .address_space:  global
        .offset:         0
        .size:           8
        .value_kind:     global_buffer
    .group_segment_fixed_size: 0
    .kernarg_segment_align: 8
    .kernarg_segment_size: 8
    .language:       OpenCL C
    .language_version:
      - 2
      - 0
    .max_flat_workgroup_size: 1024
    .name:           _ZN7rocprim17ROCPRIM_400000_NS6detail17trampoline_kernelINS0_14default_configENS1_35radix_sort_onesweep_config_selectorIiNS0_10empty_typeEEEZNS1_34radix_sort_onesweep_global_offsetsIS3_Lb0EN6thrust23THRUST_200600_302600_NS6detail15normal_iteratorINS9_10device_ptrIiEEEEPS5_jNS0_19identity_decomposerEEE10hipError_tT1_T2_PT3_SK_jT4_jjP12ihipStream_tbEUlT_E0_NS1_11comp_targetILNS1_3genE10ELNS1_11target_archE1201ELNS1_3gpuE5ELNS1_3repE0EEENS1_52radix_sort_onesweep_histogram_config_static_selectorELNS0_4arch9wavefront6targetE1EEEvSI_
    .private_segment_fixed_size: 0
    .sgpr_count:     4
    .sgpr_spill_count: 0
    .symbol:         _ZN7rocprim17ROCPRIM_400000_NS6detail17trampoline_kernelINS0_14default_configENS1_35radix_sort_onesweep_config_selectorIiNS0_10empty_typeEEEZNS1_34radix_sort_onesweep_global_offsetsIS3_Lb0EN6thrust23THRUST_200600_302600_NS6detail15normal_iteratorINS9_10device_ptrIiEEEEPS5_jNS0_19identity_decomposerEEE10hipError_tT1_T2_PT3_SK_jT4_jjP12ihipStream_tbEUlT_E0_NS1_11comp_targetILNS1_3genE10ELNS1_11target_archE1201ELNS1_3gpuE5ELNS1_3repE0EEENS1_52radix_sort_onesweep_histogram_config_static_selectorELNS0_4arch9wavefront6targetE1EEEvSI_.kd
    .uniform_work_group_size: 1
    .uses_dynamic_stack: false
    .vgpr_count:     0
    .vgpr_spill_count: 0
    .wavefront_size: 64
  - .agpr_count:     0
    .args:
      - .address_space:  global
        .offset:         0
        .size:           8
        .value_kind:     global_buffer
    .group_segment_fixed_size: 0
    .kernarg_segment_align: 8
    .kernarg_segment_size: 8
    .language:       OpenCL C
    .language_version:
      - 2
      - 0
    .max_flat_workgroup_size: 1024
    .name:           _ZN7rocprim17ROCPRIM_400000_NS6detail17trampoline_kernelINS0_14default_configENS1_35radix_sort_onesweep_config_selectorIiNS0_10empty_typeEEEZNS1_34radix_sort_onesweep_global_offsetsIS3_Lb0EN6thrust23THRUST_200600_302600_NS6detail15normal_iteratorINS9_10device_ptrIiEEEEPS5_jNS0_19identity_decomposerEEE10hipError_tT1_T2_PT3_SK_jT4_jjP12ihipStream_tbEUlT_E0_NS1_11comp_targetILNS1_3genE9ELNS1_11target_archE1100ELNS1_3gpuE3ELNS1_3repE0EEENS1_52radix_sort_onesweep_histogram_config_static_selectorELNS0_4arch9wavefront6targetE1EEEvSI_
    .private_segment_fixed_size: 0
    .sgpr_count:     4
    .sgpr_spill_count: 0
    .symbol:         _ZN7rocprim17ROCPRIM_400000_NS6detail17trampoline_kernelINS0_14default_configENS1_35radix_sort_onesweep_config_selectorIiNS0_10empty_typeEEEZNS1_34radix_sort_onesweep_global_offsetsIS3_Lb0EN6thrust23THRUST_200600_302600_NS6detail15normal_iteratorINS9_10device_ptrIiEEEEPS5_jNS0_19identity_decomposerEEE10hipError_tT1_T2_PT3_SK_jT4_jjP12ihipStream_tbEUlT_E0_NS1_11comp_targetILNS1_3genE9ELNS1_11target_archE1100ELNS1_3gpuE3ELNS1_3repE0EEENS1_52radix_sort_onesweep_histogram_config_static_selectorELNS0_4arch9wavefront6targetE1EEEvSI_.kd
    .uniform_work_group_size: 1
    .uses_dynamic_stack: false
    .vgpr_count:     0
    .vgpr_spill_count: 0
    .wavefront_size: 64
  - .agpr_count:     0
    .args:
      - .address_space:  global
        .offset:         0
        .size:           8
        .value_kind:     global_buffer
    .group_segment_fixed_size: 0
    .kernarg_segment_align: 8
    .kernarg_segment_size: 8
    .language:       OpenCL C
    .language_version:
      - 2
      - 0
    .max_flat_workgroup_size: 1024
    .name:           _ZN7rocprim17ROCPRIM_400000_NS6detail17trampoline_kernelINS0_14default_configENS1_35radix_sort_onesweep_config_selectorIiNS0_10empty_typeEEEZNS1_34radix_sort_onesweep_global_offsetsIS3_Lb0EN6thrust23THRUST_200600_302600_NS6detail15normal_iteratorINS9_10device_ptrIiEEEEPS5_jNS0_19identity_decomposerEEE10hipError_tT1_T2_PT3_SK_jT4_jjP12ihipStream_tbEUlT_E0_NS1_11comp_targetILNS1_3genE8ELNS1_11target_archE1030ELNS1_3gpuE2ELNS1_3repE0EEENS1_52radix_sort_onesweep_histogram_config_static_selectorELNS0_4arch9wavefront6targetE1EEEvSI_
    .private_segment_fixed_size: 0
    .sgpr_count:     4
    .sgpr_spill_count: 0
    .symbol:         _ZN7rocprim17ROCPRIM_400000_NS6detail17trampoline_kernelINS0_14default_configENS1_35radix_sort_onesweep_config_selectorIiNS0_10empty_typeEEEZNS1_34radix_sort_onesweep_global_offsetsIS3_Lb0EN6thrust23THRUST_200600_302600_NS6detail15normal_iteratorINS9_10device_ptrIiEEEEPS5_jNS0_19identity_decomposerEEE10hipError_tT1_T2_PT3_SK_jT4_jjP12ihipStream_tbEUlT_E0_NS1_11comp_targetILNS1_3genE8ELNS1_11target_archE1030ELNS1_3gpuE2ELNS1_3repE0EEENS1_52radix_sort_onesweep_histogram_config_static_selectorELNS0_4arch9wavefront6targetE1EEEvSI_.kd
    .uniform_work_group_size: 1
    .uses_dynamic_stack: false
    .vgpr_count:     0
    .vgpr_spill_count: 0
    .wavefront_size: 64
  - .agpr_count:     0
    .args:
      - .offset:         0
        .size:           40
        .value_kind:     by_value
    .group_segment_fixed_size: 0
    .kernarg_segment_align: 8
    .kernarg_segment_size: 40
    .language:       OpenCL C
    .language_version:
      - 2
      - 0
    .max_flat_workgroup_size: 128
    .name:           _ZN7rocprim17ROCPRIM_400000_NS6detail17trampoline_kernelINS0_14default_configENS1_25transform_config_selectorIiLb0EEEZNS1_14transform_implILb0ES3_S5_N6thrust23THRUST_200600_302600_NS6detail15normal_iteratorINS8_10device_ptrIiEEEEPiNS0_8identityIiEEEE10hipError_tT2_T3_mT4_P12ihipStream_tbEUlT_E_NS1_11comp_targetILNS1_3genE0ELNS1_11target_archE4294967295ELNS1_3gpuE0ELNS1_3repE0EEENS1_30default_config_static_selectorELNS0_4arch9wavefront6targetE1EEEvT1_
    .private_segment_fixed_size: 0
    .sgpr_count:     4
    .sgpr_spill_count: 0
    .symbol:         _ZN7rocprim17ROCPRIM_400000_NS6detail17trampoline_kernelINS0_14default_configENS1_25transform_config_selectorIiLb0EEEZNS1_14transform_implILb0ES3_S5_N6thrust23THRUST_200600_302600_NS6detail15normal_iteratorINS8_10device_ptrIiEEEEPiNS0_8identityIiEEEE10hipError_tT2_T3_mT4_P12ihipStream_tbEUlT_E_NS1_11comp_targetILNS1_3genE0ELNS1_11target_archE4294967295ELNS1_3gpuE0ELNS1_3repE0EEENS1_30default_config_static_selectorELNS0_4arch9wavefront6targetE1EEEvT1_.kd
    .uniform_work_group_size: 1
    .uses_dynamic_stack: false
    .vgpr_count:     0
    .vgpr_spill_count: 0
    .wavefront_size: 64
  - .agpr_count:     0
    .args:
      - .offset:         0
        .size:           40
        .value_kind:     by_value
    .group_segment_fixed_size: 0
    .kernarg_segment_align: 8
    .kernarg_segment_size: 40
    .language:       OpenCL C
    .language_version:
      - 2
      - 0
    .max_flat_workgroup_size: 512
    .name:           _ZN7rocprim17ROCPRIM_400000_NS6detail17trampoline_kernelINS0_14default_configENS1_25transform_config_selectorIiLb0EEEZNS1_14transform_implILb0ES3_S5_N6thrust23THRUST_200600_302600_NS6detail15normal_iteratorINS8_10device_ptrIiEEEEPiNS0_8identityIiEEEE10hipError_tT2_T3_mT4_P12ihipStream_tbEUlT_E_NS1_11comp_targetILNS1_3genE5ELNS1_11target_archE942ELNS1_3gpuE9ELNS1_3repE0EEENS1_30default_config_static_selectorELNS0_4arch9wavefront6targetE1EEEvT1_
    .private_segment_fixed_size: 0
    .sgpr_count:     4
    .sgpr_spill_count: 0
    .symbol:         _ZN7rocprim17ROCPRIM_400000_NS6detail17trampoline_kernelINS0_14default_configENS1_25transform_config_selectorIiLb0EEEZNS1_14transform_implILb0ES3_S5_N6thrust23THRUST_200600_302600_NS6detail15normal_iteratorINS8_10device_ptrIiEEEEPiNS0_8identityIiEEEE10hipError_tT2_T3_mT4_P12ihipStream_tbEUlT_E_NS1_11comp_targetILNS1_3genE5ELNS1_11target_archE942ELNS1_3gpuE9ELNS1_3repE0EEENS1_30default_config_static_selectorELNS0_4arch9wavefront6targetE1EEEvT1_.kd
    .uniform_work_group_size: 1
    .uses_dynamic_stack: false
    .vgpr_count:     0
    .vgpr_spill_count: 0
    .wavefront_size: 64
  - .agpr_count:     0
    .args:
      - .offset:         0
        .size:           40
        .value_kind:     by_value
      - .offset:         40
        .size:           4
        .value_kind:     hidden_block_count_x
      - .offset:         44
        .size:           4
        .value_kind:     hidden_block_count_y
      - .offset:         48
        .size:           4
        .value_kind:     hidden_block_count_z
      - .offset:         52
        .size:           2
        .value_kind:     hidden_group_size_x
      - .offset:         54
        .size:           2
        .value_kind:     hidden_group_size_y
      - .offset:         56
        .size:           2
        .value_kind:     hidden_group_size_z
      - .offset:         58
        .size:           2
        .value_kind:     hidden_remainder_x
      - .offset:         60
        .size:           2
        .value_kind:     hidden_remainder_y
      - .offset:         62
        .size:           2
        .value_kind:     hidden_remainder_z
      - .offset:         80
        .size:           8
        .value_kind:     hidden_global_offset_x
      - .offset:         88
        .size:           8
        .value_kind:     hidden_global_offset_y
      - .offset:         96
        .size:           8
        .value_kind:     hidden_global_offset_z
      - .offset:         104
        .size:           2
        .value_kind:     hidden_grid_dims
    .group_segment_fixed_size: 0
    .kernarg_segment_align: 8
    .kernarg_segment_size: 296
    .language:       OpenCL C
    .language_version:
      - 2
      - 0
    .max_flat_workgroup_size: 1024
    .name:           _ZN7rocprim17ROCPRIM_400000_NS6detail17trampoline_kernelINS0_14default_configENS1_25transform_config_selectorIiLb0EEEZNS1_14transform_implILb0ES3_S5_N6thrust23THRUST_200600_302600_NS6detail15normal_iteratorINS8_10device_ptrIiEEEEPiNS0_8identityIiEEEE10hipError_tT2_T3_mT4_P12ihipStream_tbEUlT_E_NS1_11comp_targetILNS1_3genE4ELNS1_11target_archE910ELNS1_3gpuE8ELNS1_3repE0EEENS1_30default_config_static_selectorELNS0_4arch9wavefront6targetE1EEEvT1_
    .private_segment_fixed_size: 0
    .sgpr_count:     20
    .sgpr_spill_count: 0
    .symbol:         _ZN7rocprim17ROCPRIM_400000_NS6detail17trampoline_kernelINS0_14default_configENS1_25transform_config_selectorIiLb0EEEZNS1_14transform_implILb0ES3_S5_N6thrust23THRUST_200600_302600_NS6detail15normal_iteratorINS8_10device_ptrIiEEEEPiNS0_8identityIiEEEE10hipError_tT2_T3_mT4_P12ihipStream_tbEUlT_E_NS1_11comp_targetILNS1_3genE4ELNS1_11target_archE910ELNS1_3gpuE8ELNS1_3repE0EEENS1_30default_config_static_selectorELNS0_4arch9wavefront6targetE1EEEvT1_.kd
    .uniform_work_group_size: 1
    .uses_dynamic_stack: false
    .vgpr_count:     7
    .vgpr_spill_count: 0
    .wavefront_size: 64
  - .agpr_count:     0
    .args:
      - .offset:         0
        .size:           40
        .value_kind:     by_value
    .group_segment_fixed_size: 0
    .kernarg_segment_align: 8
    .kernarg_segment_size: 40
    .language:       OpenCL C
    .language_version:
      - 2
      - 0
    .max_flat_workgroup_size: 128
    .name:           _ZN7rocprim17ROCPRIM_400000_NS6detail17trampoline_kernelINS0_14default_configENS1_25transform_config_selectorIiLb0EEEZNS1_14transform_implILb0ES3_S5_N6thrust23THRUST_200600_302600_NS6detail15normal_iteratorINS8_10device_ptrIiEEEEPiNS0_8identityIiEEEE10hipError_tT2_T3_mT4_P12ihipStream_tbEUlT_E_NS1_11comp_targetILNS1_3genE3ELNS1_11target_archE908ELNS1_3gpuE7ELNS1_3repE0EEENS1_30default_config_static_selectorELNS0_4arch9wavefront6targetE1EEEvT1_
    .private_segment_fixed_size: 0
    .sgpr_count:     4
    .sgpr_spill_count: 0
    .symbol:         _ZN7rocprim17ROCPRIM_400000_NS6detail17trampoline_kernelINS0_14default_configENS1_25transform_config_selectorIiLb0EEEZNS1_14transform_implILb0ES3_S5_N6thrust23THRUST_200600_302600_NS6detail15normal_iteratorINS8_10device_ptrIiEEEEPiNS0_8identityIiEEEE10hipError_tT2_T3_mT4_P12ihipStream_tbEUlT_E_NS1_11comp_targetILNS1_3genE3ELNS1_11target_archE908ELNS1_3gpuE7ELNS1_3repE0EEENS1_30default_config_static_selectorELNS0_4arch9wavefront6targetE1EEEvT1_.kd
    .uniform_work_group_size: 1
    .uses_dynamic_stack: false
    .vgpr_count:     0
    .vgpr_spill_count: 0
    .wavefront_size: 64
  - .agpr_count:     0
    .args:
      - .offset:         0
        .size:           40
        .value_kind:     by_value
    .group_segment_fixed_size: 0
    .kernarg_segment_align: 8
    .kernarg_segment_size: 40
    .language:       OpenCL C
    .language_version:
      - 2
      - 0
    .max_flat_workgroup_size: 1024
    .name:           _ZN7rocprim17ROCPRIM_400000_NS6detail17trampoline_kernelINS0_14default_configENS1_25transform_config_selectorIiLb0EEEZNS1_14transform_implILb0ES3_S5_N6thrust23THRUST_200600_302600_NS6detail15normal_iteratorINS8_10device_ptrIiEEEEPiNS0_8identityIiEEEE10hipError_tT2_T3_mT4_P12ihipStream_tbEUlT_E_NS1_11comp_targetILNS1_3genE2ELNS1_11target_archE906ELNS1_3gpuE6ELNS1_3repE0EEENS1_30default_config_static_selectorELNS0_4arch9wavefront6targetE1EEEvT1_
    .private_segment_fixed_size: 0
    .sgpr_count:     4
    .sgpr_spill_count: 0
    .symbol:         _ZN7rocprim17ROCPRIM_400000_NS6detail17trampoline_kernelINS0_14default_configENS1_25transform_config_selectorIiLb0EEEZNS1_14transform_implILb0ES3_S5_N6thrust23THRUST_200600_302600_NS6detail15normal_iteratorINS8_10device_ptrIiEEEEPiNS0_8identityIiEEEE10hipError_tT2_T3_mT4_P12ihipStream_tbEUlT_E_NS1_11comp_targetILNS1_3genE2ELNS1_11target_archE906ELNS1_3gpuE6ELNS1_3repE0EEENS1_30default_config_static_selectorELNS0_4arch9wavefront6targetE1EEEvT1_.kd
    .uniform_work_group_size: 1
    .uses_dynamic_stack: false
    .vgpr_count:     0
    .vgpr_spill_count: 0
    .wavefront_size: 64
  - .agpr_count:     0
    .args:
      - .offset:         0
        .size:           40
        .value_kind:     by_value
    .group_segment_fixed_size: 0
    .kernarg_segment_align: 8
    .kernarg_segment_size: 40
    .language:       OpenCL C
    .language_version:
      - 2
      - 0
    .max_flat_workgroup_size: 1024
    .name:           _ZN7rocprim17ROCPRIM_400000_NS6detail17trampoline_kernelINS0_14default_configENS1_25transform_config_selectorIiLb0EEEZNS1_14transform_implILb0ES3_S5_N6thrust23THRUST_200600_302600_NS6detail15normal_iteratorINS8_10device_ptrIiEEEEPiNS0_8identityIiEEEE10hipError_tT2_T3_mT4_P12ihipStream_tbEUlT_E_NS1_11comp_targetILNS1_3genE10ELNS1_11target_archE1201ELNS1_3gpuE5ELNS1_3repE0EEENS1_30default_config_static_selectorELNS0_4arch9wavefront6targetE1EEEvT1_
    .private_segment_fixed_size: 0
    .sgpr_count:     4
    .sgpr_spill_count: 0
    .symbol:         _ZN7rocprim17ROCPRIM_400000_NS6detail17trampoline_kernelINS0_14default_configENS1_25transform_config_selectorIiLb0EEEZNS1_14transform_implILb0ES3_S5_N6thrust23THRUST_200600_302600_NS6detail15normal_iteratorINS8_10device_ptrIiEEEEPiNS0_8identityIiEEEE10hipError_tT2_T3_mT4_P12ihipStream_tbEUlT_E_NS1_11comp_targetILNS1_3genE10ELNS1_11target_archE1201ELNS1_3gpuE5ELNS1_3repE0EEENS1_30default_config_static_selectorELNS0_4arch9wavefront6targetE1EEEvT1_.kd
    .uniform_work_group_size: 1
    .uses_dynamic_stack: false
    .vgpr_count:     0
    .vgpr_spill_count: 0
    .wavefront_size: 64
  - .agpr_count:     0
    .args:
      - .offset:         0
        .size:           40
        .value_kind:     by_value
    .group_segment_fixed_size: 0
    .kernarg_segment_align: 8
    .kernarg_segment_size: 40
    .language:       OpenCL C
    .language_version:
      - 2
      - 0
    .max_flat_workgroup_size: 512
    .name:           _ZN7rocprim17ROCPRIM_400000_NS6detail17trampoline_kernelINS0_14default_configENS1_25transform_config_selectorIiLb0EEEZNS1_14transform_implILb0ES3_S5_N6thrust23THRUST_200600_302600_NS6detail15normal_iteratorINS8_10device_ptrIiEEEEPiNS0_8identityIiEEEE10hipError_tT2_T3_mT4_P12ihipStream_tbEUlT_E_NS1_11comp_targetILNS1_3genE10ELNS1_11target_archE1200ELNS1_3gpuE4ELNS1_3repE0EEENS1_30default_config_static_selectorELNS0_4arch9wavefront6targetE1EEEvT1_
    .private_segment_fixed_size: 0
    .sgpr_count:     4
    .sgpr_spill_count: 0
    .symbol:         _ZN7rocprim17ROCPRIM_400000_NS6detail17trampoline_kernelINS0_14default_configENS1_25transform_config_selectorIiLb0EEEZNS1_14transform_implILb0ES3_S5_N6thrust23THRUST_200600_302600_NS6detail15normal_iteratorINS8_10device_ptrIiEEEEPiNS0_8identityIiEEEE10hipError_tT2_T3_mT4_P12ihipStream_tbEUlT_E_NS1_11comp_targetILNS1_3genE10ELNS1_11target_archE1200ELNS1_3gpuE4ELNS1_3repE0EEENS1_30default_config_static_selectorELNS0_4arch9wavefront6targetE1EEEvT1_.kd
    .uniform_work_group_size: 1
    .uses_dynamic_stack: false
    .vgpr_count:     0
    .vgpr_spill_count: 0
    .wavefront_size: 64
  - .agpr_count:     0
    .args:
      - .offset:         0
        .size:           40
        .value_kind:     by_value
    .group_segment_fixed_size: 0
    .kernarg_segment_align: 8
    .kernarg_segment_size: 40
    .language:       OpenCL C
    .language_version:
      - 2
      - 0
    .max_flat_workgroup_size: 64
    .name:           _ZN7rocprim17ROCPRIM_400000_NS6detail17trampoline_kernelINS0_14default_configENS1_25transform_config_selectorIiLb0EEEZNS1_14transform_implILb0ES3_S5_N6thrust23THRUST_200600_302600_NS6detail15normal_iteratorINS8_10device_ptrIiEEEEPiNS0_8identityIiEEEE10hipError_tT2_T3_mT4_P12ihipStream_tbEUlT_E_NS1_11comp_targetILNS1_3genE9ELNS1_11target_archE1100ELNS1_3gpuE3ELNS1_3repE0EEENS1_30default_config_static_selectorELNS0_4arch9wavefront6targetE1EEEvT1_
    .private_segment_fixed_size: 0
    .sgpr_count:     4
    .sgpr_spill_count: 0
    .symbol:         _ZN7rocprim17ROCPRIM_400000_NS6detail17trampoline_kernelINS0_14default_configENS1_25transform_config_selectorIiLb0EEEZNS1_14transform_implILb0ES3_S5_N6thrust23THRUST_200600_302600_NS6detail15normal_iteratorINS8_10device_ptrIiEEEEPiNS0_8identityIiEEEE10hipError_tT2_T3_mT4_P12ihipStream_tbEUlT_E_NS1_11comp_targetILNS1_3genE9ELNS1_11target_archE1100ELNS1_3gpuE3ELNS1_3repE0EEENS1_30default_config_static_selectorELNS0_4arch9wavefront6targetE1EEEvT1_.kd
    .uniform_work_group_size: 1
    .uses_dynamic_stack: false
    .vgpr_count:     0
    .vgpr_spill_count: 0
    .wavefront_size: 64
  - .agpr_count:     0
    .args:
      - .offset:         0
        .size:           40
        .value_kind:     by_value
    .group_segment_fixed_size: 0
    .kernarg_segment_align: 8
    .kernarg_segment_size: 40
    .language:       OpenCL C
    .language_version:
      - 2
      - 0
    .max_flat_workgroup_size: 256
    .name:           _ZN7rocprim17ROCPRIM_400000_NS6detail17trampoline_kernelINS0_14default_configENS1_25transform_config_selectorIiLb0EEEZNS1_14transform_implILb0ES3_S5_N6thrust23THRUST_200600_302600_NS6detail15normal_iteratorINS8_10device_ptrIiEEEEPiNS0_8identityIiEEEE10hipError_tT2_T3_mT4_P12ihipStream_tbEUlT_E_NS1_11comp_targetILNS1_3genE8ELNS1_11target_archE1030ELNS1_3gpuE2ELNS1_3repE0EEENS1_30default_config_static_selectorELNS0_4arch9wavefront6targetE1EEEvT1_
    .private_segment_fixed_size: 0
    .sgpr_count:     4
    .sgpr_spill_count: 0
    .symbol:         _ZN7rocprim17ROCPRIM_400000_NS6detail17trampoline_kernelINS0_14default_configENS1_25transform_config_selectorIiLb0EEEZNS1_14transform_implILb0ES3_S5_N6thrust23THRUST_200600_302600_NS6detail15normal_iteratorINS8_10device_ptrIiEEEEPiNS0_8identityIiEEEE10hipError_tT2_T3_mT4_P12ihipStream_tbEUlT_E_NS1_11comp_targetILNS1_3genE8ELNS1_11target_archE1030ELNS1_3gpuE2ELNS1_3repE0EEENS1_30default_config_static_selectorELNS0_4arch9wavefront6targetE1EEEvT1_.kd
    .uniform_work_group_size: 1
    .uses_dynamic_stack: false
    .vgpr_count:     0
    .vgpr_spill_count: 0
    .wavefront_size: 64
  - .agpr_count:     0
    .args:
      - .offset:         0
        .size:           88
        .value_kind:     by_value
    .group_segment_fixed_size: 0
    .kernarg_segment_align: 8
    .kernarg_segment_size: 88
    .language:       OpenCL C
    .language_version:
      - 2
      - 0
    .max_flat_workgroup_size: 512
    .name:           _ZN7rocprim17ROCPRIM_400000_NS6detail17trampoline_kernelINS0_14default_configENS1_35radix_sort_onesweep_config_selectorIiNS0_10empty_typeEEEZZNS1_29radix_sort_onesweep_iterationIS3_Lb0EN6thrust23THRUST_200600_302600_NS6detail15normal_iteratorINS9_10device_ptrIiEEEESE_PS5_SF_jNS0_19identity_decomposerENS1_16block_id_wrapperIjLb1EEEEE10hipError_tT1_PNSt15iterator_traitsISK_E10value_typeET2_T3_PNSL_ISQ_E10value_typeET4_T5_PSV_SW_PNS1_23onesweep_lookback_stateEbbT6_jjT7_P12ihipStream_tbENKUlT_T0_SK_SP_E_clISE_SE_SF_SF_EEDaS13_S14_SK_SP_EUlS13_E_NS1_11comp_targetILNS1_3genE0ELNS1_11target_archE4294967295ELNS1_3gpuE0ELNS1_3repE0EEENS1_47radix_sort_onesweep_sort_config_static_selectorELNS0_4arch9wavefront6targetE1EEEvSK_
    .private_segment_fixed_size: 0
    .sgpr_count:     4
    .sgpr_spill_count: 0
    .symbol:         _ZN7rocprim17ROCPRIM_400000_NS6detail17trampoline_kernelINS0_14default_configENS1_35radix_sort_onesweep_config_selectorIiNS0_10empty_typeEEEZZNS1_29radix_sort_onesweep_iterationIS3_Lb0EN6thrust23THRUST_200600_302600_NS6detail15normal_iteratorINS9_10device_ptrIiEEEESE_PS5_SF_jNS0_19identity_decomposerENS1_16block_id_wrapperIjLb1EEEEE10hipError_tT1_PNSt15iterator_traitsISK_E10value_typeET2_T3_PNSL_ISQ_E10value_typeET4_T5_PSV_SW_PNS1_23onesweep_lookback_stateEbbT6_jjT7_P12ihipStream_tbENKUlT_T0_SK_SP_E_clISE_SE_SF_SF_EEDaS13_S14_SK_SP_EUlS13_E_NS1_11comp_targetILNS1_3genE0ELNS1_11target_archE4294967295ELNS1_3gpuE0ELNS1_3repE0EEENS1_47radix_sort_onesweep_sort_config_static_selectorELNS0_4arch9wavefront6targetE1EEEvSK_.kd
    .uniform_work_group_size: 1
    .uses_dynamic_stack: false
    .vgpr_count:     0
    .vgpr_spill_count: 0
    .wavefront_size: 64
  - .agpr_count:     0
    .args:
      - .offset:         0
        .size:           88
        .value_kind:     by_value
    .group_segment_fixed_size: 0
    .kernarg_segment_align: 8
    .kernarg_segment_size: 88
    .language:       OpenCL C
    .language_version:
      - 2
      - 0
    .max_flat_workgroup_size: 1024
    .name:           _ZN7rocprim17ROCPRIM_400000_NS6detail17trampoline_kernelINS0_14default_configENS1_35radix_sort_onesweep_config_selectorIiNS0_10empty_typeEEEZZNS1_29radix_sort_onesweep_iterationIS3_Lb0EN6thrust23THRUST_200600_302600_NS6detail15normal_iteratorINS9_10device_ptrIiEEEESE_PS5_SF_jNS0_19identity_decomposerENS1_16block_id_wrapperIjLb1EEEEE10hipError_tT1_PNSt15iterator_traitsISK_E10value_typeET2_T3_PNSL_ISQ_E10value_typeET4_T5_PSV_SW_PNS1_23onesweep_lookback_stateEbbT6_jjT7_P12ihipStream_tbENKUlT_T0_SK_SP_E_clISE_SE_SF_SF_EEDaS13_S14_SK_SP_EUlS13_E_NS1_11comp_targetILNS1_3genE6ELNS1_11target_archE950ELNS1_3gpuE13ELNS1_3repE0EEENS1_47radix_sort_onesweep_sort_config_static_selectorELNS0_4arch9wavefront6targetE1EEEvSK_
    .private_segment_fixed_size: 0
    .sgpr_count:     4
    .sgpr_spill_count: 0
    .symbol:         _ZN7rocprim17ROCPRIM_400000_NS6detail17trampoline_kernelINS0_14default_configENS1_35radix_sort_onesweep_config_selectorIiNS0_10empty_typeEEEZZNS1_29radix_sort_onesweep_iterationIS3_Lb0EN6thrust23THRUST_200600_302600_NS6detail15normal_iteratorINS9_10device_ptrIiEEEESE_PS5_SF_jNS0_19identity_decomposerENS1_16block_id_wrapperIjLb1EEEEE10hipError_tT1_PNSt15iterator_traitsISK_E10value_typeET2_T3_PNSL_ISQ_E10value_typeET4_T5_PSV_SW_PNS1_23onesweep_lookback_stateEbbT6_jjT7_P12ihipStream_tbENKUlT_T0_SK_SP_E_clISE_SE_SF_SF_EEDaS13_S14_SK_SP_EUlS13_E_NS1_11comp_targetILNS1_3genE6ELNS1_11target_archE950ELNS1_3gpuE13ELNS1_3repE0EEENS1_47radix_sort_onesweep_sort_config_static_selectorELNS0_4arch9wavefront6targetE1EEEvSK_.kd
    .uniform_work_group_size: 1
    .uses_dynamic_stack: false
    .vgpr_count:     0
    .vgpr_spill_count: 0
    .wavefront_size: 64
  - .agpr_count:     0
    .args:
      - .offset:         0
        .size:           88
        .value_kind:     by_value
    .group_segment_fixed_size: 0
    .kernarg_segment_align: 8
    .kernarg_segment_size: 88
    .language:       OpenCL C
    .language_version:
      - 2
      - 0
    .max_flat_workgroup_size: 1024
    .name:           _ZN7rocprim17ROCPRIM_400000_NS6detail17trampoline_kernelINS0_14default_configENS1_35radix_sort_onesweep_config_selectorIiNS0_10empty_typeEEEZZNS1_29radix_sort_onesweep_iterationIS3_Lb0EN6thrust23THRUST_200600_302600_NS6detail15normal_iteratorINS9_10device_ptrIiEEEESE_PS5_SF_jNS0_19identity_decomposerENS1_16block_id_wrapperIjLb1EEEEE10hipError_tT1_PNSt15iterator_traitsISK_E10value_typeET2_T3_PNSL_ISQ_E10value_typeET4_T5_PSV_SW_PNS1_23onesweep_lookback_stateEbbT6_jjT7_P12ihipStream_tbENKUlT_T0_SK_SP_E_clISE_SE_SF_SF_EEDaS13_S14_SK_SP_EUlS13_E_NS1_11comp_targetILNS1_3genE5ELNS1_11target_archE942ELNS1_3gpuE9ELNS1_3repE0EEENS1_47radix_sort_onesweep_sort_config_static_selectorELNS0_4arch9wavefront6targetE1EEEvSK_
    .private_segment_fixed_size: 0
    .sgpr_count:     4
    .sgpr_spill_count: 0
    .symbol:         _ZN7rocprim17ROCPRIM_400000_NS6detail17trampoline_kernelINS0_14default_configENS1_35radix_sort_onesweep_config_selectorIiNS0_10empty_typeEEEZZNS1_29radix_sort_onesweep_iterationIS3_Lb0EN6thrust23THRUST_200600_302600_NS6detail15normal_iteratorINS9_10device_ptrIiEEEESE_PS5_SF_jNS0_19identity_decomposerENS1_16block_id_wrapperIjLb1EEEEE10hipError_tT1_PNSt15iterator_traitsISK_E10value_typeET2_T3_PNSL_ISQ_E10value_typeET4_T5_PSV_SW_PNS1_23onesweep_lookback_stateEbbT6_jjT7_P12ihipStream_tbENKUlT_T0_SK_SP_E_clISE_SE_SF_SF_EEDaS13_S14_SK_SP_EUlS13_E_NS1_11comp_targetILNS1_3genE5ELNS1_11target_archE942ELNS1_3gpuE9ELNS1_3repE0EEENS1_47radix_sort_onesweep_sort_config_static_selectorELNS0_4arch9wavefront6targetE1EEEvSK_.kd
    .uniform_work_group_size: 1
    .uses_dynamic_stack: false
    .vgpr_count:     0
    .vgpr_spill_count: 0
    .wavefront_size: 64
  - .agpr_count:     0
    .args:
      - .offset:         0
        .size:           88
        .value_kind:     by_value
    .group_segment_fixed_size: 0
    .kernarg_segment_align: 8
    .kernarg_segment_size: 88
    .language:       OpenCL C
    .language_version:
      - 2
      - 0
    .max_flat_workgroup_size: 1024
    .name:           _ZN7rocprim17ROCPRIM_400000_NS6detail17trampoline_kernelINS0_14default_configENS1_35radix_sort_onesweep_config_selectorIiNS0_10empty_typeEEEZZNS1_29radix_sort_onesweep_iterationIS3_Lb0EN6thrust23THRUST_200600_302600_NS6detail15normal_iteratorINS9_10device_ptrIiEEEESE_PS5_SF_jNS0_19identity_decomposerENS1_16block_id_wrapperIjLb1EEEEE10hipError_tT1_PNSt15iterator_traitsISK_E10value_typeET2_T3_PNSL_ISQ_E10value_typeET4_T5_PSV_SW_PNS1_23onesweep_lookback_stateEbbT6_jjT7_P12ihipStream_tbENKUlT_T0_SK_SP_E_clISE_SE_SF_SF_EEDaS13_S14_SK_SP_EUlS13_E_NS1_11comp_targetILNS1_3genE2ELNS1_11target_archE906ELNS1_3gpuE6ELNS1_3repE0EEENS1_47radix_sort_onesweep_sort_config_static_selectorELNS0_4arch9wavefront6targetE1EEEvSK_
    .private_segment_fixed_size: 0
    .sgpr_count:     4
    .sgpr_spill_count: 0
    .symbol:         _ZN7rocprim17ROCPRIM_400000_NS6detail17trampoline_kernelINS0_14default_configENS1_35radix_sort_onesweep_config_selectorIiNS0_10empty_typeEEEZZNS1_29radix_sort_onesweep_iterationIS3_Lb0EN6thrust23THRUST_200600_302600_NS6detail15normal_iteratorINS9_10device_ptrIiEEEESE_PS5_SF_jNS0_19identity_decomposerENS1_16block_id_wrapperIjLb1EEEEE10hipError_tT1_PNSt15iterator_traitsISK_E10value_typeET2_T3_PNSL_ISQ_E10value_typeET4_T5_PSV_SW_PNS1_23onesweep_lookback_stateEbbT6_jjT7_P12ihipStream_tbENKUlT_T0_SK_SP_E_clISE_SE_SF_SF_EEDaS13_S14_SK_SP_EUlS13_E_NS1_11comp_targetILNS1_3genE2ELNS1_11target_archE906ELNS1_3gpuE6ELNS1_3repE0EEENS1_47radix_sort_onesweep_sort_config_static_selectorELNS0_4arch9wavefront6targetE1EEEvSK_.kd
    .uniform_work_group_size: 1
    .uses_dynamic_stack: false
    .vgpr_count:     0
    .vgpr_spill_count: 0
    .wavefront_size: 64
  - .agpr_count:     0
    .args:
      - .offset:         0
        .size:           88
        .value_kind:     by_value
      - .offset:         88
        .size:           4
        .value_kind:     hidden_block_count_x
      - .offset:         92
        .size:           4
        .value_kind:     hidden_block_count_y
      - .offset:         96
        .size:           4
        .value_kind:     hidden_block_count_z
      - .offset:         100
        .size:           2
        .value_kind:     hidden_group_size_x
      - .offset:         102
        .size:           2
        .value_kind:     hidden_group_size_y
      - .offset:         104
        .size:           2
        .value_kind:     hidden_group_size_z
      - .offset:         106
        .size:           2
        .value_kind:     hidden_remainder_x
      - .offset:         108
        .size:           2
        .value_kind:     hidden_remainder_y
      - .offset:         110
        .size:           2
        .value_kind:     hidden_remainder_z
      - .offset:         128
        .size:           8
        .value_kind:     hidden_global_offset_x
      - .offset:         136
        .size:           8
        .value_kind:     hidden_global_offset_y
      - .offset:         144
        .size:           8
        .value_kind:     hidden_global_offset_z
      - .offset:         152
        .size:           2
        .value_kind:     hidden_grid_dims
    .group_segment_fixed_size: 20552
    .kernarg_segment_align: 8
    .kernarg_segment_size: 344
    .language:       OpenCL C
    .language_version:
      - 2
      - 0
    .max_flat_workgroup_size: 1024
    .name:           _ZN7rocprim17ROCPRIM_400000_NS6detail17trampoline_kernelINS0_14default_configENS1_35radix_sort_onesweep_config_selectorIiNS0_10empty_typeEEEZZNS1_29radix_sort_onesweep_iterationIS3_Lb0EN6thrust23THRUST_200600_302600_NS6detail15normal_iteratorINS9_10device_ptrIiEEEESE_PS5_SF_jNS0_19identity_decomposerENS1_16block_id_wrapperIjLb1EEEEE10hipError_tT1_PNSt15iterator_traitsISK_E10value_typeET2_T3_PNSL_ISQ_E10value_typeET4_T5_PSV_SW_PNS1_23onesweep_lookback_stateEbbT6_jjT7_P12ihipStream_tbENKUlT_T0_SK_SP_E_clISE_SE_SF_SF_EEDaS13_S14_SK_SP_EUlS13_E_NS1_11comp_targetILNS1_3genE4ELNS1_11target_archE910ELNS1_3gpuE8ELNS1_3repE0EEENS1_47radix_sort_onesweep_sort_config_static_selectorELNS0_4arch9wavefront6targetE1EEEvSK_
    .private_segment_fixed_size: 0
    .sgpr_count:     39
    .sgpr_spill_count: 0
    .symbol:         _ZN7rocprim17ROCPRIM_400000_NS6detail17trampoline_kernelINS0_14default_configENS1_35radix_sort_onesweep_config_selectorIiNS0_10empty_typeEEEZZNS1_29radix_sort_onesweep_iterationIS3_Lb0EN6thrust23THRUST_200600_302600_NS6detail15normal_iteratorINS9_10device_ptrIiEEEESE_PS5_SF_jNS0_19identity_decomposerENS1_16block_id_wrapperIjLb1EEEEE10hipError_tT1_PNSt15iterator_traitsISK_E10value_typeET2_T3_PNSL_ISQ_E10value_typeET4_T5_PSV_SW_PNS1_23onesweep_lookback_stateEbbT6_jjT7_P12ihipStream_tbENKUlT_T0_SK_SP_E_clISE_SE_SF_SF_EEDaS13_S14_SK_SP_EUlS13_E_NS1_11comp_targetILNS1_3genE4ELNS1_11target_archE910ELNS1_3gpuE8ELNS1_3repE0EEENS1_47radix_sort_onesweep_sort_config_static_selectorELNS0_4arch9wavefront6targetE1EEEvSK_.kd
    .uniform_work_group_size: 1
    .uses_dynamic_stack: false
    .vgpr_count:     62
    .vgpr_spill_count: 0
    .wavefront_size: 64
  - .agpr_count:     0
    .args:
      - .offset:         0
        .size:           88
        .value_kind:     by_value
    .group_segment_fixed_size: 0
    .kernarg_segment_align: 8
    .kernarg_segment_size: 88
    .language:       OpenCL C
    .language_version:
      - 2
      - 0
    .max_flat_workgroup_size: 512
    .name:           _ZN7rocprim17ROCPRIM_400000_NS6detail17trampoline_kernelINS0_14default_configENS1_35radix_sort_onesweep_config_selectorIiNS0_10empty_typeEEEZZNS1_29radix_sort_onesweep_iterationIS3_Lb0EN6thrust23THRUST_200600_302600_NS6detail15normal_iteratorINS9_10device_ptrIiEEEESE_PS5_SF_jNS0_19identity_decomposerENS1_16block_id_wrapperIjLb1EEEEE10hipError_tT1_PNSt15iterator_traitsISK_E10value_typeET2_T3_PNSL_ISQ_E10value_typeET4_T5_PSV_SW_PNS1_23onesweep_lookback_stateEbbT6_jjT7_P12ihipStream_tbENKUlT_T0_SK_SP_E_clISE_SE_SF_SF_EEDaS13_S14_SK_SP_EUlS13_E_NS1_11comp_targetILNS1_3genE3ELNS1_11target_archE908ELNS1_3gpuE7ELNS1_3repE0EEENS1_47radix_sort_onesweep_sort_config_static_selectorELNS0_4arch9wavefront6targetE1EEEvSK_
    .private_segment_fixed_size: 0
    .sgpr_count:     4
    .sgpr_spill_count: 0
    .symbol:         _ZN7rocprim17ROCPRIM_400000_NS6detail17trampoline_kernelINS0_14default_configENS1_35radix_sort_onesweep_config_selectorIiNS0_10empty_typeEEEZZNS1_29radix_sort_onesweep_iterationIS3_Lb0EN6thrust23THRUST_200600_302600_NS6detail15normal_iteratorINS9_10device_ptrIiEEEESE_PS5_SF_jNS0_19identity_decomposerENS1_16block_id_wrapperIjLb1EEEEE10hipError_tT1_PNSt15iterator_traitsISK_E10value_typeET2_T3_PNSL_ISQ_E10value_typeET4_T5_PSV_SW_PNS1_23onesweep_lookback_stateEbbT6_jjT7_P12ihipStream_tbENKUlT_T0_SK_SP_E_clISE_SE_SF_SF_EEDaS13_S14_SK_SP_EUlS13_E_NS1_11comp_targetILNS1_3genE3ELNS1_11target_archE908ELNS1_3gpuE7ELNS1_3repE0EEENS1_47radix_sort_onesweep_sort_config_static_selectorELNS0_4arch9wavefront6targetE1EEEvSK_.kd
    .uniform_work_group_size: 1
    .uses_dynamic_stack: false
    .vgpr_count:     0
    .vgpr_spill_count: 0
    .wavefront_size: 64
  - .agpr_count:     0
    .args:
      - .offset:         0
        .size:           88
        .value_kind:     by_value
    .group_segment_fixed_size: 0
    .kernarg_segment_align: 8
    .kernarg_segment_size: 88
    .language:       OpenCL C
    .language_version:
      - 2
      - 0
    .max_flat_workgroup_size: 1024
    .name:           _ZN7rocprim17ROCPRIM_400000_NS6detail17trampoline_kernelINS0_14default_configENS1_35radix_sort_onesweep_config_selectorIiNS0_10empty_typeEEEZZNS1_29radix_sort_onesweep_iterationIS3_Lb0EN6thrust23THRUST_200600_302600_NS6detail15normal_iteratorINS9_10device_ptrIiEEEESE_PS5_SF_jNS0_19identity_decomposerENS1_16block_id_wrapperIjLb1EEEEE10hipError_tT1_PNSt15iterator_traitsISK_E10value_typeET2_T3_PNSL_ISQ_E10value_typeET4_T5_PSV_SW_PNS1_23onesweep_lookback_stateEbbT6_jjT7_P12ihipStream_tbENKUlT_T0_SK_SP_E_clISE_SE_SF_SF_EEDaS13_S14_SK_SP_EUlS13_E_NS1_11comp_targetILNS1_3genE10ELNS1_11target_archE1201ELNS1_3gpuE5ELNS1_3repE0EEENS1_47radix_sort_onesweep_sort_config_static_selectorELNS0_4arch9wavefront6targetE1EEEvSK_
    .private_segment_fixed_size: 0
    .sgpr_count:     4
    .sgpr_spill_count: 0
    .symbol:         _ZN7rocprim17ROCPRIM_400000_NS6detail17trampoline_kernelINS0_14default_configENS1_35radix_sort_onesweep_config_selectorIiNS0_10empty_typeEEEZZNS1_29radix_sort_onesweep_iterationIS3_Lb0EN6thrust23THRUST_200600_302600_NS6detail15normal_iteratorINS9_10device_ptrIiEEEESE_PS5_SF_jNS0_19identity_decomposerENS1_16block_id_wrapperIjLb1EEEEE10hipError_tT1_PNSt15iterator_traitsISK_E10value_typeET2_T3_PNSL_ISQ_E10value_typeET4_T5_PSV_SW_PNS1_23onesweep_lookback_stateEbbT6_jjT7_P12ihipStream_tbENKUlT_T0_SK_SP_E_clISE_SE_SF_SF_EEDaS13_S14_SK_SP_EUlS13_E_NS1_11comp_targetILNS1_3genE10ELNS1_11target_archE1201ELNS1_3gpuE5ELNS1_3repE0EEENS1_47radix_sort_onesweep_sort_config_static_selectorELNS0_4arch9wavefront6targetE1EEEvSK_.kd
    .uniform_work_group_size: 1
    .uses_dynamic_stack: false
    .vgpr_count:     0
    .vgpr_spill_count: 0
    .wavefront_size: 64
  - .agpr_count:     0
    .args:
      - .offset:         0
        .size:           88
        .value_kind:     by_value
    .group_segment_fixed_size: 0
    .kernarg_segment_align: 8
    .kernarg_segment_size: 88
    .language:       OpenCL C
    .language_version:
      - 2
      - 0
    .max_flat_workgroup_size: 1024
    .name:           _ZN7rocprim17ROCPRIM_400000_NS6detail17trampoline_kernelINS0_14default_configENS1_35radix_sort_onesweep_config_selectorIiNS0_10empty_typeEEEZZNS1_29radix_sort_onesweep_iterationIS3_Lb0EN6thrust23THRUST_200600_302600_NS6detail15normal_iteratorINS9_10device_ptrIiEEEESE_PS5_SF_jNS0_19identity_decomposerENS1_16block_id_wrapperIjLb1EEEEE10hipError_tT1_PNSt15iterator_traitsISK_E10value_typeET2_T3_PNSL_ISQ_E10value_typeET4_T5_PSV_SW_PNS1_23onesweep_lookback_stateEbbT6_jjT7_P12ihipStream_tbENKUlT_T0_SK_SP_E_clISE_SE_SF_SF_EEDaS13_S14_SK_SP_EUlS13_E_NS1_11comp_targetILNS1_3genE9ELNS1_11target_archE1100ELNS1_3gpuE3ELNS1_3repE0EEENS1_47radix_sort_onesweep_sort_config_static_selectorELNS0_4arch9wavefront6targetE1EEEvSK_
    .private_segment_fixed_size: 0
    .sgpr_count:     4
    .sgpr_spill_count: 0
    .symbol:         _ZN7rocprim17ROCPRIM_400000_NS6detail17trampoline_kernelINS0_14default_configENS1_35radix_sort_onesweep_config_selectorIiNS0_10empty_typeEEEZZNS1_29radix_sort_onesweep_iterationIS3_Lb0EN6thrust23THRUST_200600_302600_NS6detail15normal_iteratorINS9_10device_ptrIiEEEESE_PS5_SF_jNS0_19identity_decomposerENS1_16block_id_wrapperIjLb1EEEEE10hipError_tT1_PNSt15iterator_traitsISK_E10value_typeET2_T3_PNSL_ISQ_E10value_typeET4_T5_PSV_SW_PNS1_23onesweep_lookback_stateEbbT6_jjT7_P12ihipStream_tbENKUlT_T0_SK_SP_E_clISE_SE_SF_SF_EEDaS13_S14_SK_SP_EUlS13_E_NS1_11comp_targetILNS1_3genE9ELNS1_11target_archE1100ELNS1_3gpuE3ELNS1_3repE0EEENS1_47radix_sort_onesweep_sort_config_static_selectorELNS0_4arch9wavefront6targetE1EEEvSK_.kd
    .uniform_work_group_size: 1
    .uses_dynamic_stack: false
    .vgpr_count:     0
    .vgpr_spill_count: 0
    .wavefront_size: 64
  - .agpr_count:     0
    .args:
      - .offset:         0
        .size:           88
        .value_kind:     by_value
    .group_segment_fixed_size: 0
    .kernarg_segment_align: 8
    .kernarg_segment_size: 88
    .language:       OpenCL C
    .language_version:
      - 2
      - 0
    .max_flat_workgroup_size: 1024
    .name:           _ZN7rocprim17ROCPRIM_400000_NS6detail17trampoline_kernelINS0_14default_configENS1_35radix_sort_onesweep_config_selectorIiNS0_10empty_typeEEEZZNS1_29radix_sort_onesweep_iterationIS3_Lb0EN6thrust23THRUST_200600_302600_NS6detail15normal_iteratorINS9_10device_ptrIiEEEESE_PS5_SF_jNS0_19identity_decomposerENS1_16block_id_wrapperIjLb1EEEEE10hipError_tT1_PNSt15iterator_traitsISK_E10value_typeET2_T3_PNSL_ISQ_E10value_typeET4_T5_PSV_SW_PNS1_23onesweep_lookback_stateEbbT6_jjT7_P12ihipStream_tbENKUlT_T0_SK_SP_E_clISE_SE_SF_SF_EEDaS13_S14_SK_SP_EUlS13_E_NS1_11comp_targetILNS1_3genE8ELNS1_11target_archE1030ELNS1_3gpuE2ELNS1_3repE0EEENS1_47radix_sort_onesweep_sort_config_static_selectorELNS0_4arch9wavefront6targetE1EEEvSK_
    .private_segment_fixed_size: 0
    .sgpr_count:     4
    .sgpr_spill_count: 0
    .symbol:         _ZN7rocprim17ROCPRIM_400000_NS6detail17trampoline_kernelINS0_14default_configENS1_35radix_sort_onesweep_config_selectorIiNS0_10empty_typeEEEZZNS1_29radix_sort_onesweep_iterationIS3_Lb0EN6thrust23THRUST_200600_302600_NS6detail15normal_iteratorINS9_10device_ptrIiEEEESE_PS5_SF_jNS0_19identity_decomposerENS1_16block_id_wrapperIjLb1EEEEE10hipError_tT1_PNSt15iterator_traitsISK_E10value_typeET2_T3_PNSL_ISQ_E10value_typeET4_T5_PSV_SW_PNS1_23onesweep_lookback_stateEbbT6_jjT7_P12ihipStream_tbENKUlT_T0_SK_SP_E_clISE_SE_SF_SF_EEDaS13_S14_SK_SP_EUlS13_E_NS1_11comp_targetILNS1_3genE8ELNS1_11target_archE1030ELNS1_3gpuE2ELNS1_3repE0EEENS1_47radix_sort_onesweep_sort_config_static_selectorELNS0_4arch9wavefront6targetE1EEEvSK_.kd
    .uniform_work_group_size: 1
    .uses_dynamic_stack: false
    .vgpr_count:     0
    .vgpr_spill_count: 0
    .wavefront_size: 64
  - .agpr_count:     0
    .args:
      - .offset:         0
        .size:           88
        .value_kind:     by_value
    .group_segment_fixed_size: 0
    .kernarg_segment_align: 8
    .kernarg_segment_size: 88
    .language:       OpenCL C
    .language_version:
      - 2
      - 0
    .max_flat_workgroup_size: 512
    .name:           _ZN7rocprim17ROCPRIM_400000_NS6detail17trampoline_kernelINS0_14default_configENS1_35radix_sort_onesweep_config_selectorIiNS0_10empty_typeEEEZZNS1_29radix_sort_onesweep_iterationIS3_Lb0EN6thrust23THRUST_200600_302600_NS6detail15normal_iteratorINS9_10device_ptrIiEEEESE_PS5_SF_jNS0_19identity_decomposerENS1_16block_id_wrapperIjLb1EEEEE10hipError_tT1_PNSt15iterator_traitsISK_E10value_typeET2_T3_PNSL_ISQ_E10value_typeET4_T5_PSV_SW_PNS1_23onesweep_lookback_stateEbbT6_jjT7_P12ihipStream_tbENKUlT_T0_SK_SP_E_clISE_PiSF_SF_EEDaS13_S14_SK_SP_EUlS13_E_NS1_11comp_targetILNS1_3genE0ELNS1_11target_archE4294967295ELNS1_3gpuE0ELNS1_3repE0EEENS1_47radix_sort_onesweep_sort_config_static_selectorELNS0_4arch9wavefront6targetE1EEEvSK_
    .private_segment_fixed_size: 0
    .sgpr_count:     4
    .sgpr_spill_count: 0
    .symbol:         _ZN7rocprim17ROCPRIM_400000_NS6detail17trampoline_kernelINS0_14default_configENS1_35radix_sort_onesweep_config_selectorIiNS0_10empty_typeEEEZZNS1_29radix_sort_onesweep_iterationIS3_Lb0EN6thrust23THRUST_200600_302600_NS6detail15normal_iteratorINS9_10device_ptrIiEEEESE_PS5_SF_jNS0_19identity_decomposerENS1_16block_id_wrapperIjLb1EEEEE10hipError_tT1_PNSt15iterator_traitsISK_E10value_typeET2_T3_PNSL_ISQ_E10value_typeET4_T5_PSV_SW_PNS1_23onesweep_lookback_stateEbbT6_jjT7_P12ihipStream_tbENKUlT_T0_SK_SP_E_clISE_PiSF_SF_EEDaS13_S14_SK_SP_EUlS13_E_NS1_11comp_targetILNS1_3genE0ELNS1_11target_archE4294967295ELNS1_3gpuE0ELNS1_3repE0EEENS1_47radix_sort_onesweep_sort_config_static_selectorELNS0_4arch9wavefront6targetE1EEEvSK_.kd
    .uniform_work_group_size: 1
    .uses_dynamic_stack: false
    .vgpr_count:     0
    .vgpr_spill_count: 0
    .wavefront_size: 64
  - .agpr_count:     0
    .args:
      - .offset:         0
        .size:           88
        .value_kind:     by_value
    .group_segment_fixed_size: 0
    .kernarg_segment_align: 8
    .kernarg_segment_size: 88
    .language:       OpenCL C
    .language_version:
      - 2
      - 0
    .max_flat_workgroup_size: 1024
    .name:           _ZN7rocprim17ROCPRIM_400000_NS6detail17trampoline_kernelINS0_14default_configENS1_35radix_sort_onesweep_config_selectorIiNS0_10empty_typeEEEZZNS1_29radix_sort_onesweep_iterationIS3_Lb0EN6thrust23THRUST_200600_302600_NS6detail15normal_iteratorINS9_10device_ptrIiEEEESE_PS5_SF_jNS0_19identity_decomposerENS1_16block_id_wrapperIjLb1EEEEE10hipError_tT1_PNSt15iterator_traitsISK_E10value_typeET2_T3_PNSL_ISQ_E10value_typeET4_T5_PSV_SW_PNS1_23onesweep_lookback_stateEbbT6_jjT7_P12ihipStream_tbENKUlT_T0_SK_SP_E_clISE_PiSF_SF_EEDaS13_S14_SK_SP_EUlS13_E_NS1_11comp_targetILNS1_3genE6ELNS1_11target_archE950ELNS1_3gpuE13ELNS1_3repE0EEENS1_47radix_sort_onesweep_sort_config_static_selectorELNS0_4arch9wavefront6targetE1EEEvSK_
    .private_segment_fixed_size: 0
    .sgpr_count:     4
    .sgpr_spill_count: 0
    .symbol:         _ZN7rocprim17ROCPRIM_400000_NS6detail17trampoline_kernelINS0_14default_configENS1_35radix_sort_onesweep_config_selectorIiNS0_10empty_typeEEEZZNS1_29radix_sort_onesweep_iterationIS3_Lb0EN6thrust23THRUST_200600_302600_NS6detail15normal_iteratorINS9_10device_ptrIiEEEESE_PS5_SF_jNS0_19identity_decomposerENS1_16block_id_wrapperIjLb1EEEEE10hipError_tT1_PNSt15iterator_traitsISK_E10value_typeET2_T3_PNSL_ISQ_E10value_typeET4_T5_PSV_SW_PNS1_23onesweep_lookback_stateEbbT6_jjT7_P12ihipStream_tbENKUlT_T0_SK_SP_E_clISE_PiSF_SF_EEDaS13_S14_SK_SP_EUlS13_E_NS1_11comp_targetILNS1_3genE6ELNS1_11target_archE950ELNS1_3gpuE13ELNS1_3repE0EEENS1_47radix_sort_onesweep_sort_config_static_selectorELNS0_4arch9wavefront6targetE1EEEvSK_.kd
    .uniform_work_group_size: 1
    .uses_dynamic_stack: false
    .vgpr_count:     0
    .vgpr_spill_count: 0
    .wavefront_size: 64
  - .agpr_count:     0
    .args:
      - .offset:         0
        .size:           88
        .value_kind:     by_value
    .group_segment_fixed_size: 0
    .kernarg_segment_align: 8
    .kernarg_segment_size: 88
    .language:       OpenCL C
    .language_version:
      - 2
      - 0
    .max_flat_workgroup_size: 1024
    .name:           _ZN7rocprim17ROCPRIM_400000_NS6detail17trampoline_kernelINS0_14default_configENS1_35radix_sort_onesweep_config_selectorIiNS0_10empty_typeEEEZZNS1_29radix_sort_onesweep_iterationIS3_Lb0EN6thrust23THRUST_200600_302600_NS6detail15normal_iteratorINS9_10device_ptrIiEEEESE_PS5_SF_jNS0_19identity_decomposerENS1_16block_id_wrapperIjLb1EEEEE10hipError_tT1_PNSt15iterator_traitsISK_E10value_typeET2_T3_PNSL_ISQ_E10value_typeET4_T5_PSV_SW_PNS1_23onesweep_lookback_stateEbbT6_jjT7_P12ihipStream_tbENKUlT_T0_SK_SP_E_clISE_PiSF_SF_EEDaS13_S14_SK_SP_EUlS13_E_NS1_11comp_targetILNS1_3genE5ELNS1_11target_archE942ELNS1_3gpuE9ELNS1_3repE0EEENS1_47radix_sort_onesweep_sort_config_static_selectorELNS0_4arch9wavefront6targetE1EEEvSK_
    .private_segment_fixed_size: 0
    .sgpr_count:     4
    .sgpr_spill_count: 0
    .symbol:         _ZN7rocprim17ROCPRIM_400000_NS6detail17trampoline_kernelINS0_14default_configENS1_35radix_sort_onesweep_config_selectorIiNS0_10empty_typeEEEZZNS1_29radix_sort_onesweep_iterationIS3_Lb0EN6thrust23THRUST_200600_302600_NS6detail15normal_iteratorINS9_10device_ptrIiEEEESE_PS5_SF_jNS0_19identity_decomposerENS1_16block_id_wrapperIjLb1EEEEE10hipError_tT1_PNSt15iterator_traitsISK_E10value_typeET2_T3_PNSL_ISQ_E10value_typeET4_T5_PSV_SW_PNS1_23onesweep_lookback_stateEbbT6_jjT7_P12ihipStream_tbENKUlT_T0_SK_SP_E_clISE_PiSF_SF_EEDaS13_S14_SK_SP_EUlS13_E_NS1_11comp_targetILNS1_3genE5ELNS1_11target_archE942ELNS1_3gpuE9ELNS1_3repE0EEENS1_47radix_sort_onesweep_sort_config_static_selectorELNS0_4arch9wavefront6targetE1EEEvSK_.kd
    .uniform_work_group_size: 1
    .uses_dynamic_stack: false
    .vgpr_count:     0
    .vgpr_spill_count: 0
    .wavefront_size: 64
  - .agpr_count:     0
    .args:
      - .offset:         0
        .size:           88
        .value_kind:     by_value
    .group_segment_fixed_size: 0
    .kernarg_segment_align: 8
    .kernarg_segment_size: 88
    .language:       OpenCL C
    .language_version:
      - 2
      - 0
    .max_flat_workgroup_size: 1024
    .name:           _ZN7rocprim17ROCPRIM_400000_NS6detail17trampoline_kernelINS0_14default_configENS1_35radix_sort_onesweep_config_selectorIiNS0_10empty_typeEEEZZNS1_29radix_sort_onesweep_iterationIS3_Lb0EN6thrust23THRUST_200600_302600_NS6detail15normal_iteratorINS9_10device_ptrIiEEEESE_PS5_SF_jNS0_19identity_decomposerENS1_16block_id_wrapperIjLb1EEEEE10hipError_tT1_PNSt15iterator_traitsISK_E10value_typeET2_T3_PNSL_ISQ_E10value_typeET4_T5_PSV_SW_PNS1_23onesweep_lookback_stateEbbT6_jjT7_P12ihipStream_tbENKUlT_T0_SK_SP_E_clISE_PiSF_SF_EEDaS13_S14_SK_SP_EUlS13_E_NS1_11comp_targetILNS1_3genE2ELNS1_11target_archE906ELNS1_3gpuE6ELNS1_3repE0EEENS1_47radix_sort_onesweep_sort_config_static_selectorELNS0_4arch9wavefront6targetE1EEEvSK_
    .private_segment_fixed_size: 0
    .sgpr_count:     4
    .sgpr_spill_count: 0
    .symbol:         _ZN7rocprim17ROCPRIM_400000_NS6detail17trampoline_kernelINS0_14default_configENS1_35radix_sort_onesweep_config_selectorIiNS0_10empty_typeEEEZZNS1_29radix_sort_onesweep_iterationIS3_Lb0EN6thrust23THRUST_200600_302600_NS6detail15normal_iteratorINS9_10device_ptrIiEEEESE_PS5_SF_jNS0_19identity_decomposerENS1_16block_id_wrapperIjLb1EEEEE10hipError_tT1_PNSt15iterator_traitsISK_E10value_typeET2_T3_PNSL_ISQ_E10value_typeET4_T5_PSV_SW_PNS1_23onesweep_lookback_stateEbbT6_jjT7_P12ihipStream_tbENKUlT_T0_SK_SP_E_clISE_PiSF_SF_EEDaS13_S14_SK_SP_EUlS13_E_NS1_11comp_targetILNS1_3genE2ELNS1_11target_archE906ELNS1_3gpuE6ELNS1_3repE0EEENS1_47radix_sort_onesweep_sort_config_static_selectorELNS0_4arch9wavefront6targetE1EEEvSK_.kd
    .uniform_work_group_size: 1
    .uses_dynamic_stack: false
    .vgpr_count:     0
    .vgpr_spill_count: 0
    .wavefront_size: 64
  - .agpr_count:     0
    .args:
      - .offset:         0
        .size:           88
        .value_kind:     by_value
      - .offset:         88
        .size:           4
        .value_kind:     hidden_block_count_x
      - .offset:         92
        .size:           4
        .value_kind:     hidden_block_count_y
      - .offset:         96
        .size:           4
        .value_kind:     hidden_block_count_z
      - .offset:         100
        .size:           2
        .value_kind:     hidden_group_size_x
      - .offset:         102
        .size:           2
        .value_kind:     hidden_group_size_y
      - .offset:         104
        .size:           2
        .value_kind:     hidden_group_size_z
      - .offset:         106
        .size:           2
        .value_kind:     hidden_remainder_x
      - .offset:         108
        .size:           2
        .value_kind:     hidden_remainder_y
      - .offset:         110
        .size:           2
        .value_kind:     hidden_remainder_z
      - .offset:         128
        .size:           8
        .value_kind:     hidden_global_offset_x
      - .offset:         136
        .size:           8
        .value_kind:     hidden_global_offset_y
      - .offset:         144
        .size:           8
        .value_kind:     hidden_global_offset_z
      - .offset:         152
        .size:           2
        .value_kind:     hidden_grid_dims
    .group_segment_fixed_size: 20552
    .kernarg_segment_align: 8
    .kernarg_segment_size: 344
    .language:       OpenCL C
    .language_version:
      - 2
      - 0
    .max_flat_workgroup_size: 1024
    .name:           _ZN7rocprim17ROCPRIM_400000_NS6detail17trampoline_kernelINS0_14default_configENS1_35radix_sort_onesweep_config_selectorIiNS0_10empty_typeEEEZZNS1_29radix_sort_onesweep_iterationIS3_Lb0EN6thrust23THRUST_200600_302600_NS6detail15normal_iteratorINS9_10device_ptrIiEEEESE_PS5_SF_jNS0_19identity_decomposerENS1_16block_id_wrapperIjLb1EEEEE10hipError_tT1_PNSt15iterator_traitsISK_E10value_typeET2_T3_PNSL_ISQ_E10value_typeET4_T5_PSV_SW_PNS1_23onesweep_lookback_stateEbbT6_jjT7_P12ihipStream_tbENKUlT_T0_SK_SP_E_clISE_PiSF_SF_EEDaS13_S14_SK_SP_EUlS13_E_NS1_11comp_targetILNS1_3genE4ELNS1_11target_archE910ELNS1_3gpuE8ELNS1_3repE0EEENS1_47radix_sort_onesweep_sort_config_static_selectorELNS0_4arch9wavefront6targetE1EEEvSK_
    .private_segment_fixed_size: 0
    .sgpr_count:     39
    .sgpr_spill_count: 0
    .symbol:         _ZN7rocprim17ROCPRIM_400000_NS6detail17trampoline_kernelINS0_14default_configENS1_35radix_sort_onesweep_config_selectorIiNS0_10empty_typeEEEZZNS1_29radix_sort_onesweep_iterationIS3_Lb0EN6thrust23THRUST_200600_302600_NS6detail15normal_iteratorINS9_10device_ptrIiEEEESE_PS5_SF_jNS0_19identity_decomposerENS1_16block_id_wrapperIjLb1EEEEE10hipError_tT1_PNSt15iterator_traitsISK_E10value_typeET2_T3_PNSL_ISQ_E10value_typeET4_T5_PSV_SW_PNS1_23onesweep_lookback_stateEbbT6_jjT7_P12ihipStream_tbENKUlT_T0_SK_SP_E_clISE_PiSF_SF_EEDaS13_S14_SK_SP_EUlS13_E_NS1_11comp_targetILNS1_3genE4ELNS1_11target_archE910ELNS1_3gpuE8ELNS1_3repE0EEENS1_47radix_sort_onesweep_sort_config_static_selectorELNS0_4arch9wavefront6targetE1EEEvSK_.kd
    .uniform_work_group_size: 1
    .uses_dynamic_stack: false
    .vgpr_count:     62
    .vgpr_spill_count: 0
    .wavefront_size: 64
  - .agpr_count:     0
    .args:
      - .offset:         0
        .size:           88
        .value_kind:     by_value
    .group_segment_fixed_size: 0
    .kernarg_segment_align: 8
    .kernarg_segment_size: 88
    .language:       OpenCL C
    .language_version:
      - 2
      - 0
    .max_flat_workgroup_size: 512
    .name:           _ZN7rocprim17ROCPRIM_400000_NS6detail17trampoline_kernelINS0_14default_configENS1_35radix_sort_onesweep_config_selectorIiNS0_10empty_typeEEEZZNS1_29radix_sort_onesweep_iterationIS3_Lb0EN6thrust23THRUST_200600_302600_NS6detail15normal_iteratorINS9_10device_ptrIiEEEESE_PS5_SF_jNS0_19identity_decomposerENS1_16block_id_wrapperIjLb1EEEEE10hipError_tT1_PNSt15iterator_traitsISK_E10value_typeET2_T3_PNSL_ISQ_E10value_typeET4_T5_PSV_SW_PNS1_23onesweep_lookback_stateEbbT6_jjT7_P12ihipStream_tbENKUlT_T0_SK_SP_E_clISE_PiSF_SF_EEDaS13_S14_SK_SP_EUlS13_E_NS1_11comp_targetILNS1_3genE3ELNS1_11target_archE908ELNS1_3gpuE7ELNS1_3repE0EEENS1_47radix_sort_onesweep_sort_config_static_selectorELNS0_4arch9wavefront6targetE1EEEvSK_
    .private_segment_fixed_size: 0
    .sgpr_count:     4
    .sgpr_spill_count: 0
    .symbol:         _ZN7rocprim17ROCPRIM_400000_NS6detail17trampoline_kernelINS0_14default_configENS1_35radix_sort_onesweep_config_selectorIiNS0_10empty_typeEEEZZNS1_29radix_sort_onesweep_iterationIS3_Lb0EN6thrust23THRUST_200600_302600_NS6detail15normal_iteratorINS9_10device_ptrIiEEEESE_PS5_SF_jNS0_19identity_decomposerENS1_16block_id_wrapperIjLb1EEEEE10hipError_tT1_PNSt15iterator_traitsISK_E10value_typeET2_T3_PNSL_ISQ_E10value_typeET4_T5_PSV_SW_PNS1_23onesweep_lookback_stateEbbT6_jjT7_P12ihipStream_tbENKUlT_T0_SK_SP_E_clISE_PiSF_SF_EEDaS13_S14_SK_SP_EUlS13_E_NS1_11comp_targetILNS1_3genE3ELNS1_11target_archE908ELNS1_3gpuE7ELNS1_3repE0EEENS1_47radix_sort_onesweep_sort_config_static_selectorELNS0_4arch9wavefront6targetE1EEEvSK_.kd
    .uniform_work_group_size: 1
    .uses_dynamic_stack: false
    .vgpr_count:     0
    .vgpr_spill_count: 0
    .wavefront_size: 64
  - .agpr_count:     0
    .args:
      - .offset:         0
        .size:           88
        .value_kind:     by_value
    .group_segment_fixed_size: 0
    .kernarg_segment_align: 8
    .kernarg_segment_size: 88
    .language:       OpenCL C
    .language_version:
      - 2
      - 0
    .max_flat_workgroup_size: 1024
    .name:           _ZN7rocprim17ROCPRIM_400000_NS6detail17trampoline_kernelINS0_14default_configENS1_35radix_sort_onesweep_config_selectorIiNS0_10empty_typeEEEZZNS1_29radix_sort_onesweep_iterationIS3_Lb0EN6thrust23THRUST_200600_302600_NS6detail15normal_iteratorINS9_10device_ptrIiEEEESE_PS5_SF_jNS0_19identity_decomposerENS1_16block_id_wrapperIjLb1EEEEE10hipError_tT1_PNSt15iterator_traitsISK_E10value_typeET2_T3_PNSL_ISQ_E10value_typeET4_T5_PSV_SW_PNS1_23onesweep_lookback_stateEbbT6_jjT7_P12ihipStream_tbENKUlT_T0_SK_SP_E_clISE_PiSF_SF_EEDaS13_S14_SK_SP_EUlS13_E_NS1_11comp_targetILNS1_3genE10ELNS1_11target_archE1201ELNS1_3gpuE5ELNS1_3repE0EEENS1_47radix_sort_onesweep_sort_config_static_selectorELNS0_4arch9wavefront6targetE1EEEvSK_
    .private_segment_fixed_size: 0
    .sgpr_count:     4
    .sgpr_spill_count: 0
    .symbol:         _ZN7rocprim17ROCPRIM_400000_NS6detail17trampoline_kernelINS0_14default_configENS1_35radix_sort_onesweep_config_selectorIiNS0_10empty_typeEEEZZNS1_29radix_sort_onesweep_iterationIS3_Lb0EN6thrust23THRUST_200600_302600_NS6detail15normal_iteratorINS9_10device_ptrIiEEEESE_PS5_SF_jNS0_19identity_decomposerENS1_16block_id_wrapperIjLb1EEEEE10hipError_tT1_PNSt15iterator_traitsISK_E10value_typeET2_T3_PNSL_ISQ_E10value_typeET4_T5_PSV_SW_PNS1_23onesweep_lookback_stateEbbT6_jjT7_P12ihipStream_tbENKUlT_T0_SK_SP_E_clISE_PiSF_SF_EEDaS13_S14_SK_SP_EUlS13_E_NS1_11comp_targetILNS1_3genE10ELNS1_11target_archE1201ELNS1_3gpuE5ELNS1_3repE0EEENS1_47radix_sort_onesweep_sort_config_static_selectorELNS0_4arch9wavefront6targetE1EEEvSK_.kd
    .uniform_work_group_size: 1
    .uses_dynamic_stack: false
    .vgpr_count:     0
    .vgpr_spill_count: 0
    .wavefront_size: 64
  - .agpr_count:     0
    .args:
      - .offset:         0
        .size:           88
        .value_kind:     by_value
    .group_segment_fixed_size: 0
    .kernarg_segment_align: 8
    .kernarg_segment_size: 88
    .language:       OpenCL C
    .language_version:
      - 2
      - 0
    .max_flat_workgroup_size: 1024
    .name:           _ZN7rocprim17ROCPRIM_400000_NS6detail17trampoline_kernelINS0_14default_configENS1_35radix_sort_onesweep_config_selectorIiNS0_10empty_typeEEEZZNS1_29radix_sort_onesweep_iterationIS3_Lb0EN6thrust23THRUST_200600_302600_NS6detail15normal_iteratorINS9_10device_ptrIiEEEESE_PS5_SF_jNS0_19identity_decomposerENS1_16block_id_wrapperIjLb1EEEEE10hipError_tT1_PNSt15iterator_traitsISK_E10value_typeET2_T3_PNSL_ISQ_E10value_typeET4_T5_PSV_SW_PNS1_23onesweep_lookback_stateEbbT6_jjT7_P12ihipStream_tbENKUlT_T0_SK_SP_E_clISE_PiSF_SF_EEDaS13_S14_SK_SP_EUlS13_E_NS1_11comp_targetILNS1_3genE9ELNS1_11target_archE1100ELNS1_3gpuE3ELNS1_3repE0EEENS1_47radix_sort_onesweep_sort_config_static_selectorELNS0_4arch9wavefront6targetE1EEEvSK_
    .private_segment_fixed_size: 0
    .sgpr_count:     4
    .sgpr_spill_count: 0
    .symbol:         _ZN7rocprim17ROCPRIM_400000_NS6detail17trampoline_kernelINS0_14default_configENS1_35radix_sort_onesweep_config_selectorIiNS0_10empty_typeEEEZZNS1_29radix_sort_onesweep_iterationIS3_Lb0EN6thrust23THRUST_200600_302600_NS6detail15normal_iteratorINS9_10device_ptrIiEEEESE_PS5_SF_jNS0_19identity_decomposerENS1_16block_id_wrapperIjLb1EEEEE10hipError_tT1_PNSt15iterator_traitsISK_E10value_typeET2_T3_PNSL_ISQ_E10value_typeET4_T5_PSV_SW_PNS1_23onesweep_lookback_stateEbbT6_jjT7_P12ihipStream_tbENKUlT_T0_SK_SP_E_clISE_PiSF_SF_EEDaS13_S14_SK_SP_EUlS13_E_NS1_11comp_targetILNS1_3genE9ELNS1_11target_archE1100ELNS1_3gpuE3ELNS1_3repE0EEENS1_47radix_sort_onesweep_sort_config_static_selectorELNS0_4arch9wavefront6targetE1EEEvSK_.kd
    .uniform_work_group_size: 1
    .uses_dynamic_stack: false
    .vgpr_count:     0
    .vgpr_spill_count: 0
    .wavefront_size: 64
  - .agpr_count:     0
    .args:
      - .offset:         0
        .size:           88
        .value_kind:     by_value
    .group_segment_fixed_size: 0
    .kernarg_segment_align: 8
    .kernarg_segment_size: 88
    .language:       OpenCL C
    .language_version:
      - 2
      - 0
    .max_flat_workgroup_size: 1024
    .name:           _ZN7rocprim17ROCPRIM_400000_NS6detail17trampoline_kernelINS0_14default_configENS1_35radix_sort_onesweep_config_selectorIiNS0_10empty_typeEEEZZNS1_29radix_sort_onesweep_iterationIS3_Lb0EN6thrust23THRUST_200600_302600_NS6detail15normal_iteratorINS9_10device_ptrIiEEEESE_PS5_SF_jNS0_19identity_decomposerENS1_16block_id_wrapperIjLb1EEEEE10hipError_tT1_PNSt15iterator_traitsISK_E10value_typeET2_T3_PNSL_ISQ_E10value_typeET4_T5_PSV_SW_PNS1_23onesweep_lookback_stateEbbT6_jjT7_P12ihipStream_tbENKUlT_T0_SK_SP_E_clISE_PiSF_SF_EEDaS13_S14_SK_SP_EUlS13_E_NS1_11comp_targetILNS1_3genE8ELNS1_11target_archE1030ELNS1_3gpuE2ELNS1_3repE0EEENS1_47radix_sort_onesweep_sort_config_static_selectorELNS0_4arch9wavefront6targetE1EEEvSK_
    .private_segment_fixed_size: 0
    .sgpr_count:     4
    .sgpr_spill_count: 0
    .symbol:         _ZN7rocprim17ROCPRIM_400000_NS6detail17trampoline_kernelINS0_14default_configENS1_35radix_sort_onesweep_config_selectorIiNS0_10empty_typeEEEZZNS1_29radix_sort_onesweep_iterationIS3_Lb0EN6thrust23THRUST_200600_302600_NS6detail15normal_iteratorINS9_10device_ptrIiEEEESE_PS5_SF_jNS0_19identity_decomposerENS1_16block_id_wrapperIjLb1EEEEE10hipError_tT1_PNSt15iterator_traitsISK_E10value_typeET2_T3_PNSL_ISQ_E10value_typeET4_T5_PSV_SW_PNS1_23onesweep_lookback_stateEbbT6_jjT7_P12ihipStream_tbENKUlT_T0_SK_SP_E_clISE_PiSF_SF_EEDaS13_S14_SK_SP_EUlS13_E_NS1_11comp_targetILNS1_3genE8ELNS1_11target_archE1030ELNS1_3gpuE2ELNS1_3repE0EEENS1_47radix_sort_onesweep_sort_config_static_selectorELNS0_4arch9wavefront6targetE1EEEvSK_.kd
    .uniform_work_group_size: 1
    .uses_dynamic_stack: false
    .vgpr_count:     0
    .vgpr_spill_count: 0
    .wavefront_size: 64
  - .agpr_count:     0
    .args:
      - .offset:         0
        .size:           88
        .value_kind:     by_value
    .group_segment_fixed_size: 0
    .kernarg_segment_align: 8
    .kernarg_segment_size: 88
    .language:       OpenCL C
    .language_version:
      - 2
      - 0
    .max_flat_workgroup_size: 512
    .name:           _ZN7rocprim17ROCPRIM_400000_NS6detail17trampoline_kernelINS0_14default_configENS1_35radix_sort_onesweep_config_selectorIiNS0_10empty_typeEEEZZNS1_29radix_sort_onesweep_iterationIS3_Lb0EN6thrust23THRUST_200600_302600_NS6detail15normal_iteratorINS9_10device_ptrIiEEEESE_PS5_SF_jNS0_19identity_decomposerENS1_16block_id_wrapperIjLb1EEEEE10hipError_tT1_PNSt15iterator_traitsISK_E10value_typeET2_T3_PNSL_ISQ_E10value_typeET4_T5_PSV_SW_PNS1_23onesweep_lookback_stateEbbT6_jjT7_P12ihipStream_tbENKUlT_T0_SK_SP_E_clIPiSE_SF_SF_EEDaS13_S14_SK_SP_EUlS13_E_NS1_11comp_targetILNS1_3genE0ELNS1_11target_archE4294967295ELNS1_3gpuE0ELNS1_3repE0EEENS1_47radix_sort_onesweep_sort_config_static_selectorELNS0_4arch9wavefront6targetE1EEEvSK_
    .private_segment_fixed_size: 0
    .sgpr_count:     4
    .sgpr_spill_count: 0
    .symbol:         _ZN7rocprim17ROCPRIM_400000_NS6detail17trampoline_kernelINS0_14default_configENS1_35radix_sort_onesweep_config_selectorIiNS0_10empty_typeEEEZZNS1_29radix_sort_onesweep_iterationIS3_Lb0EN6thrust23THRUST_200600_302600_NS6detail15normal_iteratorINS9_10device_ptrIiEEEESE_PS5_SF_jNS0_19identity_decomposerENS1_16block_id_wrapperIjLb1EEEEE10hipError_tT1_PNSt15iterator_traitsISK_E10value_typeET2_T3_PNSL_ISQ_E10value_typeET4_T5_PSV_SW_PNS1_23onesweep_lookback_stateEbbT6_jjT7_P12ihipStream_tbENKUlT_T0_SK_SP_E_clIPiSE_SF_SF_EEDaS13_S14_SK_SP_EUlS13_E_NS1_11comp_targetILNS1_3genE0ELNS1_11target_archE4294967295ELNS1_3gpuE0ELNS1_3repE0EEENS1_47radix_sort_onesweep_sort_config_static_selectorELNS0_4arch9wavefront6targetE1EEEvSK_.kd
    .uniform_work_group_size: 1
    .uses_dynamic_stack: false
    .vgpr_count:     0
    .vgpr_spill_count: 0
    .wavefront_size: 64
  - .agpr_count:     0
    .args:
      - .offset:         0
        .size:           88
        .value_kind:     by_value
    .group_segment_fixed_size: 0
    .kernarg_segment_align: 8
    .kernarg_segment_size: 88
    .language:       OpenCL C
    .language_version:
      - 2
      - 0
    .max_flat_workgroup_size: 1024
    .name:           _ZN7rocprim17ROCPRIM_400000_NS6detail17trampoline_kernelINS0_14default_configENS1_35radix_sort_onesweep_config_selectorIiNS0_10empty_typeEEEZZNS1_29radix_sort_onesweep_iterationIS3_Lb0EN6thrust23THRUST_200600_302600_NS6detail15normal_iteratorINS9_10device_ptrIiEEEESE_PS5_SF_jNS0_19identity_decomposerENS1_16block_id_wrapperIjLb1EEEEE10hipError_tT1_PNSt15iterator_traitsISK_E10value_typeET2_T3_PNSL_ISQ_E10value_typeET4_T5_PSV_SW_PNS1_23onesweep_lookback_stateEbbT6_jjT7_P12ihipStream_tbENKUlT_T0_SK_SP_E_clIPiSE_SF_SF_EEDaS13_S14_SK_SP_EUlS13_E_NS1_11comp_targetILNS1_3genE6ELNS1_11target_archE950ELNS1_3gpuE13ELNS1_3repE0EEENS1_47radix_sort_onesweep_sort_config_static_selectorELNS0_4arch9wavefront6targetE1EEEvSK_
    .private_segment_fixed_size: 0
    .sgpr_count:     4
    .sgpr_spill_count: 0
    .symbol:         _ZN7rocprim17ROCPRIM_400000_NS6detail17trampoline_kernelINS0_14default_configENS1_35radix_sort_onesweep_config_selectorIiNS0_10empty_typeEEEZZNS1_29radix_sort_onesweep_iterationIS3_Lb0EN6thrust23THRUST_200600_302600_NS6detail15normal_iteratorINS9_10device_ptrIiEEEESE_PS5_SF_jNS0_19identity_decomposerENS1_16block_id_wrapperIjLb1EEEEE10hipError_tT1_PNSt15iterator_traitsISK_E10value_typeET2_T3_PNSL_ISQ_E10value_typeET4_T5_PSV_SW_PNS1_23onesweep_lookback_stateEbbT6_jjT7_P12ihipStream_tbENKUlT_T0_SK_SP_E_clIPiSE_SF_SF_EEDaS13_S14_SK_SP_EUlS13_E_NS1_11comp_targetILNS1_3genE6ELNS1_11target_archE950ELNS1_3gpuE13ELNS1_3repE0EEENS1_47radix_sort_onesweep_sort_config_static_selectorELNS0_4arch9wavefront6targetE1EEEvSK_.kd
    .uniform_work_group_size: 1
    .uses_dynamic_stack: false
    .vgpr_count:     0
    .vgpr_spill_count: 0
    .wavefront_size: 64
  - .agpr_count:     0
    .args:
      - .offset:         0
        .size:           88
        .value_kind:     by_value
    .group_segment_fixed_size: 0
    .kernarg_segment_align: 8
    .kernarg_segment_size: 88
    .language:       OpenCL C
    .language_version:
      - 2
      - 0
    .max_flat_workgroup_size: 1024
    .name:           _ZN7rocprim17ROCPRIM_400000_NS6detail17trampoline_kernelINS0_14default_configENS1_35radix_sort_onesweep_config_selectorIiNS0_10empty_typeEEEZZNS1_29radix_sort_onesweep_iterationIS3_Lb0EN6thrust23THRUST_200600_302600_NS6detail15normal_iteratorINS9_10device_ptrIiEEEESE_PS5_SF_jNS0_19identity_decomposerENS1_16block_id_wrapperIjLb1EEEEE10hipError_tT1_PNSt15iterator_traitsISK_E10value_typeET2_T3_PNSL_ISQ_E10value_typeET4_T5_PSV_SW_PNS1_23onesweep_lookback_stateEbbT6_jjT7_P12ihipStream_tbENKUlT_T0_SK_SP_E_clIPiSE_SF_SF_EEDaS13_S14_SK_SP_EUlS13_E_NS1_11comp_targetILNS1_3genE5ELNS1_11target_archE942ELNS1_3gpuE9ELNS1_3repE0EEENS1_47radix_sort_onesweep_sort_config_static_selectorELNS0_4arch9wavefront6targetE1EEEvSK_
    .private_segment_fixed_size: 0
    .sgpr_count:     4
    .sgpr_spill_count: 0
    .symbol:         _ZN7rocprim17ROCPRIM_400000_NS6detail17trampoline_kernelINS0_14default_configENS1_35radix_sort_onesweep_config_selectorIiNS0_10empty_typeEEEZZNS1_29radix_sort_onesweep_iterationIS3_Lb0EN6thrust23THRUST_200600_302600_NS6detail15normal_iteratorINS9_10device_ptrIiEEEESE_PS5_SF_jNS0_19identity_decomposerENS1_16block_id_wrapperIjLb1EEEEE10hipError_tT1_PNSt15iterator_traitsISK_E10value_typeET2_T3_PNSL_ISQ_E10value_typeET4_T5_PSV_SW_PNS1_23onesweep_lookback_stateEbbT6_jjT7_P12ihipStream_tbENKUlT_T0_SK_SP_E_clIPiSE_SF_SF_EEDaS13_S14_SK_SP_EUlS13_E_NS1_11comp_targetILNS1_3genE5ELNS1_11target_archE942ELNS1_3gpuE9ELNS1_3repE0EEENS1_47radix_sort_onesweep_sort_config_static_selectorELNS0_4arch9wavefront6targetE1EEEvSK_.kd
    .uniform_work_group_size: 1
    .uses_dynamic_stack: false
    .vgpr_count:     0
    .vgpr_spill_count: 0
    .wavefront_size: 64
  - .agpr_count:     0
    .args:
      - .offset:         0
        .size:           88
        .value_kind:     by_value
    .group_segment_fixed_size: 0
    .kernarg_segment_align: 8
    .kernarg_segment_size: 88
    .language:       OpenCL C
    .language_version:
      - 2
      - 0
    .max_flat_workgroup_size: 1024
    .name:           _ZN7rocprim17ROCPRIM_400000_NS6detail17trampoline_kernelINS0_14default_configENS1_35radix_sort_onesweep_config_selectorIiNS0_10empty_typeEEEZZNS1_29radix_sort_onesweep_iterationIS3_Lb0EN6thrust23THRUST_200600_302600_NS6detail15normal_iteratorINS9_10device_ptrIiEEEESE_PS5_SF_jNS0_19identity_decomposerENS1_16block_id_wrapperIjLb1EEEEE10hipError_tT1_PNSt15iterator_traitsISK_E10value_typeET2_T3_PNSL_ISQ_E10value_typeET4_T5_PSV_SW_PNS1_23onesweep_lookback_stateEbbT6_jjT7_P12ihipStream_tbENKUlT_T0_SK_SP_E_clIPiSE_SF_SF_EEDaS13_S14_SK_SP_EUlS13_E_NS1_11comp_targetILNS1_3genE2ELNS1_11target_archE906ELNS1_3gpuE6ELNS1_3repE0EEENS1_47radix_sort_onesweep_sort_config_static_selectorELNS0_4arch9wavefront6targetE1EEEvSK_
    .private_segment_fixed_size: 0
    .sgpr_count:     4
    .sgpr_spill_count: 0
    .symbol:         _ZN7rocprim17ROCPRIM_400000_NS6detail17trampoline_kernelINS0_14default_configENS1_35radix_sort_onesweep_config_selectorIiNS0_10empty_typeEEEZZNS1_29radix_sort_onesweep_iterationIS3_Lb0EN6thrust23THRUST_200600_302600_NS6detail15normal_iteratorINS9_10device_ptrIiEEEESE_PS5_SF_jNS0_19identity_decomposerENS1_16block_id_wrapperIjLb1EEEEE10hipError_tT1_PNSt15iterator_traitsISK_E10value_typeET2_T3_PNSL_ISQ_E10value_typeET4_T5_PSV_SW_PNS1_23onesweep_lookback_stateEbbT6_jjT7_P12ihipStream_tbENKUlT_T0_SK_SP_E_clIPiSE_SF_SF_EEDaS13_S14_SK_SP_EUlS13_E_NS1_11comp_targetILNS1_3genE2ELNS1_11target_archE906ELNS1_3gpuE6ELNS1_3repE0EEENS1_47radix_sort_onesweep_sort_config_static_selectorELNS0_4arch9wavefront6targetE1EEEvSK_.kd
    .uniform_work_group_size: 1
    .uses_dynamic_stack: false
    .vgpr_count:     0
    .vgpr_spill_count: 0
    .wavefront_size: 64
  - .agpr_count:     0
    .args:
      - .offset:         0
        .size:           88
        .value_kind:     by_value
      - .offset:         88
        .size:           4
        .value_kind:     hidden_block_count_x
      - .offset:         92
        .size:           4
        .value_kind:     hidden_block_count_y
      - .offset:         96
        .size:           4
        .value_kind:     hidden_block_count_z
      - .offset:         100
        .size:           2
        .value_kind:     hidden_group_size_x
      - .offset:         102
        .size:           2
        .value_kind:     hidden_group_size_y
      - .offset:         104
        .size:           2
        .value_kind:     hidden_group_size_z
      - .offset:         106
        .size:           2
        .value_kind:     hidden_remainder_x
      - .offset:         108
        .size:           2
        .value_kind:     hidden_remainder_y
      - .offset:         110
        .size:           2
        .value_kind:     hidden_remainder_z
      - .offset:         128
        .size:           8
        .value_kind:     hidden_global_offset_x
      - .offset:         136
        .size:           8
        .value_kind:     hidden_global_offset_y
      - .offset:         144
        .size:           8
        .value_kind:     hidden_global_offset_z
      - .offset:         152
        .size:           2
        .value_kind:     hidden_grid_dims
    .group_segment_fixed_size: 20552
    .kernarg_segment_align: 8
    .kernarg_segment_size: 344
    .language:       OpenCL C
    .language_version:
      - 2
      - 0
    .max_flat_workgroup_size: 1024
    .name:           _ZN7rocprim17ROCPRIM_400000_NS6detail17trampoline_kernelINS0_14default_configENS1_35radix_sort_onesweep_config_selectorIiNS0_10empty_typeEEEZZNS1_29radix_sort_onesweep_iterationIS3_Lb0EN6thrust23THRUST_200600_302600_NS6detail15normal_iteratorINS9_10device_ptrIiEEEESE_PS5_SF_jNS0_19identity_decomposerENS1_16block_id_wrapperIjLb1EEEEE10hipError_tT1_PNSt15iterator_traitsISK_E10value_typeET2_T3_PNSL_ISQ_E10value_typeET4_T5_PSV_SW_PNS1_23onesweep_lookback_stateEbbT6_jjT7_P12ihipStream_tbENKUlT_T0_SK_SP_E_clIPiSE_SF_SF_EEDaS13_S14_SK_SP_EUlS13_E_NS1_11comp_targetILNS1_3genE4ELNS1_11target_archE910ELNS1_3gpuE8ELNS1_3repE0EEENS1_47radix_sort_onesweep_sort_config_static_selectorELNS0_4arch9wavefront6targetE1EEEvSK_
    .private_segment_fixed_size: 0
    .sgpr_count:     39
    .sgpr_spill_count: 0
    .symbol:         _ZN7rocprim17ROCPRIM_400000_NS6detail17trampoline_kernelINS0_14default_configENS1_35radix_sort_onesweep_config_selectorIiNS0_10empty_typeEEEZZNS1_29radix_sort_onesweep_iterationIS3_Lb0EN6thrust23THRUST_200600_302600_NS6detail15normal_iteratorINS9_10device_ptrIiEEEESE_PS5_SF_jNS0_19identity_decomposerENS1_16block_id_wrapperIjLb1EEEEE10hipError_tT1_PNSt15iterator_traitsISK_E10value_typeET2_T3_PNSL_ISQ_E10value_typeET4_T5_PSV_SW_PNS1_23onesweep_lookback_stateEbbT6_jjT7_P12ihipStream_tbENKUlT_T0_SK_SP_E_clIPiSE_SF_SF_EEDaS13_S14_SK_SP_EUlS13_E_NS1_11comp_targetILNS1_3genE4ELNS1_11target_archE910ELNS1_3gpuE8ELNS1_3repE0EEENS1_47radix_sort_onesweep_sort_config_static_selectorELNS0_4arch9wavefront6targetE1EEEvSK_.kd
    .uniform_work_group_size: 1
    .uses_dynamic_stack: false
    .vgpr_count:     62
    .vgpr_spill_count: 0
    .wavefront_size: 64
  - .agpr_count:     0
    .args:
      - .offset:         0
        .size:           88
        .value_kind:     by_value
    .group_segment_fixed_size: 0
    .kernarg_segment_align: 8
    .kernarg_segment_size: 88
    .language:       OpenCL C
    .language_version:
      - 2
      - 0
    .max_flat_workgroup_size: 512
    .name:           _ZN7rocprim17ROCPRIM_400000_NS6detail17trampoline_kernelINS0_14default_configENS1_35radix_sort_onesweep_config_selectorIiNS0_10empty_typeEEEZZNS1_29radix_sort_onesweep_iterationIS3_Lb0EN6thrust23THRUST_200600_302600_NS6detail15normal_iteratorINS9_10device_ptrIiEEEESE_PS5_SF_jNS0_19identity_decomposerENS1_16block_id_wrapperIjLb1EEEEE10hipError_tT1_PNSt15iterator_traitsISK_E10value_typeET2_T3_PNSL_ISQ_E10value_typeET4_T5_PSV_SW_PNS1_23onesweep_lookback_stateEbbT6_jjT7_P12ihipStream_tbENKUlT_T0_SK_SP_E_clIPiSE_SF_SF_EEDaS13_S14_SK_SP_EUlS13_E_NS1_11comp_targetILNS1_3genE3ELNS1_11target_archE908ELNS1_3gpuE7ELNS1_3repE0EEENS1_47radix_sort_onesweep_sort_config_static_selectorELNS0_4arch9wavefront6targetE1EEEvSK_
    .private_segment_fixed_size: 0
    .sgpr_count:     4
    .sgpr_spill_count: 0
    .symbol:         _ZN7rocprim17ROCPRIM_400000_NS6detail17trampoline_kernelINS0_14default_configENS1_35radix_sort_onesweep_config_selectorIiNS0_10empty_typeEEEZZNS1_29radix_sort_onesweep_iterationIS3_Lb0EN6thrust23THRUST_200600_302600_NS6detail15normal_iteratorINS9_10device_ptrIiEEEESE_PS5_SF_jNS0_19identity_decomposerENS1_16block_id_wrapperIjLb1EEEEE10hipError_tT1_PNSt15iterator_traitsISK_E10value_typeET2_T3_PNSL_ISQ_E10value_typeET4_T5_PSV_SW_PNS1_23onesweep_lookback_stateEbbT6_jjT7_P12ihipStream_tbENKUlT_T0_SK_SP_E_clIPiSE_SF_SF_EEDaS13_S14_SK_SP_EUlS13_E_NS1_11comp_targetILNS1_3genE3ELNS1_11target_archE908ELNS1_3gpuE7ELNS1_3repE0EEENS1_47radix_sort_onesweep_sort_config_static_selectorELNS0_4arch9wavefront6targetE1EEEvSK_.kd
    .uniform_work_group_size: 1
    .uses_dynamic_stack: false
    .vgpr_count:     0
    .vgpr_spill_count: 0
    .wavefront_size: 64
  - .agpr_count:     0
    .args:
      - .offset:         0
        .size:           88
        .value_kind:     by_value
    .group_segment_fixed_size: 0
    .kernarg_segment_align: 8
    .kernarg_segment_size: 88
    .language:       OpenCL C
    .language_version:
      - 2
      - 0
    .max_flat_workgroup_size: 1024
    .name:           _ZN7rocprim17ROCPRIM_400000_NS6detail17trampoline_kernelINS0_14default_configENS1_35radix_sort_onesweep_config_selectorIiNS0_10empty_typeEEEZZNS1_29radix_sort_onesweep_iterationIS3_Lb0EN6thrust23THRUST_200600_302600_NS6detail15normal_iteratorINS9_10device_ptrIiEEEESE_PS5_SF_jNS0_19identity_decomposerENS1_16block_id_wrapperIjLb1EEEEE10hipError_tT1_PNSt15iterator_traitsISK_E10value_typeET2_T3_PNSL_ISQ_E10value_typeET4_T5_PSV_SW_PNS1_23onesweep_lookback_stateEbbT6_jjT7_P12ihipStream_tbENKUlT_T0_SK_SP_E_clIPiSE_SF_SF_EEDaS13_S14_SK_SP_EUlS13_E_NS1_11comp_targetILNS1_3genE10ELNS1_11target_archE1201ELNS1_3gpuE5ELNS1_3repE0EEENS1_47radix_sort_onesweep_sort_config_static_selectorELNS0_4arch9wavefront6targetE1EEEvSK_
    .private_segment_fixed_size: 0
    .sgpr_count:     4
    .sgpr_spill_count: 0
    .symbol:         _ZN7rocprim17ROCPRIM_400000_NS6detail17trampoline_kernelINS0_14default_configENS1_35radix_sort_onesweep_config_selectorIiNS0_10empty_typeEEEZZNS1_29radix_sort_onesweep_iterationIS3_Lb0EN6thrust23THRUST_200600_302600_NS6detail15normal_iteratorINS9_10device_ptrIiEEEESE_PS5_SF_jNS0_19identity_decomposerENS1_16block_id_wrapperIjLb1EEEEE10hipError_tT1_PNSt15iterator_traitsISK_E10value_typeET2_T3_PNSL_ISQ_E10value_typeET4_T5_PSV_SW_PNS1_23onesweep_lookback_stateEbbT6_jjT7_P12ihipStream_tbENKUlT_T0_SK_SP_E_clIPiSE_SF_SF_EEDaS13_S14_SK_SP_EUlS13_E_NS1_11comp_targetILNS1_3genE10ELNS1_11target_archE1201ELNS1_3gpuE5ELNS1_3repE0EEENS1_47radix_sort_onesweep_sort_config_static_selectorELNS0_4arch9wavefront6targetE1EEEvSK_.kd
    .uniform_work_group_size: 1
    .uses_dynamic_stack: false
    .vgpr_count:     0
    .vgpr_spill_count: 0
    .wavefront_size: 64
  - .agpr_count:     0
    .args:
      - .offset:         0
        .size:           88
        .value_kind:     by_value
    .group_segment_fixed_size: 0
    .kernarg_segment_align: 8
    .kernarg_segment_size: 88
    .language:       OpenCL C
    .language_version:
      - 2
      - 0
    .max_flat_workgroup_size: 1024
    .name:           _ZN7rocprim17ROCPRIM_400000_NS6detail17trampoline_kernelINS0_14default_configENS1_35radix_sort_onesweep_config_selectorIiNS0_10empty_typeEEEZZNS1_29radix_sort_onesweep_iterationIS3_Lb0EN6thrust23THRUST_200600_302600_NS6detail15normal_iteratorINS9_10device_ptrIiEEEESE_PS5_SF_jNS0_19identity_decomposerENS1_16block_id_wrapperIjLb1EEEEE10hipError_tT1_PNSt15iterator_traitsISK_E10value_typeET2_T3_PNSL_ISQ_E10value_typeET4_T5_PSV_SW_PNS1_23onesweep_lookback_stateEbbT6_jjT7_P12ihipStream_tbENKUlT_T0_SK_SP_E_clIPiSE_SF_SF_EEDaS13_S14_SK_SP_EUlS13_E_NS1_11comp_targetILNS1_3genE9ELNS1_11target_archE1100ELNS1_3gpuE3ELNS1_3repE0EEENS1_47radix_sort_onesweep_sort_config_static_selectorELNS0_4arch9wavefront6targetE1EEEvSK_
    .private_segment_fixed_size: 0
    .sgpr_count:     4
    .sgpr_spill_count: 0
    .symbol:         _ZN7rocprim17ROCPRIM_400000_NS6detail17trampoline_kernelINS0_14default_configENS1_35radix_sort_onesweep_config_selectorIiNS0_10empty_typeEEEZZNS1_29radix_sort_onesweep_iterationIS3_Lb0EN6thrust23THRUST_200600_302600_NS6detail15normal_iteratorINS9_10device_ptrIiEEEESE_PS5_SF_jNS0_19identity_decomposerENS1_16block_id_wrapperIjLb1EEEEE10hipError_tT1_PNSt15iterator_traitsISK_E10value_typeET2_T3_PNSL_ISQ_E10value_typeET4_T5_PSV_SW_PNS1_23onesweep_lookback_stateEbbT6_jjT7_P12ihipStream_tbENKUlT_T0_SK_SP_E_clIPiSE_SF_SF_EEDaS13_S14_SK_SP_EUlS13_E_NS1_11comp_targetILNS1_3genE9ELNS1_11target_archE1100ELNS1_3gpuE3ELNS1_3repE0EEENS1_47radix_sort_onesweep_sort_config_static_selectorELNS0_4arch9wavefront6targetE1EEEvSK_.kd
    .uniform_work_group_size: 1
    .uses_dynamic_stack: false
    .vgpr_count:     0
    .vgpr_spill_count: 0
    .wavefront_size: 64
  - .agpr_count:     0
    .args:
      - .offset:         0
        .size:           88
        .value_kind:     by_value
    .group_segment_fixed_size: 0
    .kernarg_segment_align: 8
    .kernarg_segment_size: 88
    .language:       OpenCL C
    .language_version:
      - 2
      - 0
    .max_flat_workgroup_size: 1024
    .name:           _ZN7rocprim17ROCPRIM_400000_NS6detail17trampoline_kernelINS0_14default_configENS1_35radix_sort_onesweep_config_selectorIiNS0_10empty_typeEEEZZNS1_29radix_sort_onesweep_iterationIS3_Lb0EN6thrust23THRUST_200600_302600_NS6detail15normal_iteratorINS9_10device_ptrIiEEEESE_PS5_SF_jNS0_19identity_decomposerENS1_16block_id_wrapperIjLb1EEEEE10hipError_tT1_PNSt15iterator_traitsISK_E10value_typeET2_T3_PNSL_ISQ_E10value_typeET4_T5_PSV_SW_PNS1_23onesweep_lookback_stateEbbT6_jjT7_P12ihipStream_tbENKUlT_T0_SK_SP_E_clIPiSE_SF_SF_EEDaS13_S14_SK_SP_EUlS13_E_NS1_11comp_targetILNS1_3genE8ELNS1_11target_archE1030ELNS1_3gpuE2ELNS1_3repE0EEENS1_47radix_sort_onesweep_sort_config_static_selectorELNS0_4arch9wavefront6targetE1EEEvSK_
    .private_segment_fixed_size: 0
    .sgpr_count:     4
    .sgpr_spill_count: 0
    .symbol:         _ZN7rocprim17ROCPRIM_400000_NS6detail17trampoline_kernelINS0_14default_configENS1_35radix_sort_onesweep_config_selectorIiNS0_10empty_typeEEEZZNS1_29radix_sort_onesweep_iterationIS3_Lb0EN6thrust23THRUST_200600_302600_NS6detail15normal_iteratorINS9_10device_ptrIiEEEESE_PS5_SF_jNS0_19identity_decomposerENS1_16block_id_wrapperIjLb1EEEEE10hipError_tT1_PNSt15iterator_traitsISK_E10value_typeET2_T3_PNSL_ISQ_E10value_typeET4_T5_PSV_SW_PNS1_23onesweep_lookback_stateEbbT6_jjT7_P12ihipStream_tbENKUlT_T0_SK_SP_E_clIPiSE_SF_SF_EEDaS13_S14_SK_SP_EUlS13_E_NS1_11comp_targetILNS1_3genE8ELNS1_11target_archE1030ELNS1_3gpuE2ELNS1_3repE0EEENS1_47radix_sort_onesweep_sort_config_static_selectorELNS0_4arch9wavefront6targetE1EEEvSK_.kd
    .uniform_work_group_size: 1
    .uses_dynamic_stack: false
    .vgpr_count:     0
    .vgpr_spill_count: 0
    .wavefront_size: 64
  - .agpr_count:     0
    .args:
      - .offset:         0
        .size:           88
        .value_kind:     by_value
    .group_segment_fixed_size: 0
    .kernarg_segment_align: 8
    .kernarg_segment_size: 88
    .language:       OpenCL C
    .language_version:
      - 2
      - 0
    .max_flat_workgroup_size: 512
    .name:           _ZN7rocprim17ROCPRIM_400000_NS6detail17trampoline_kernelINS0_14default_configENS1_35radix_sort_onesweep_config_selectorIiNS0_10empty_typeEEEZZNS1_29radix_sort_onesweep_iterationIS3_Lb0EN6thrust23THRUST_200600_302600_NS6detail15normal_iteratorINS9_10device_ptrIiEEEESE_PS5_SF_jNS0_19identity_decomposerENS1_16block_id_wrapperIjLb0EEEEE10hipError_tT1_PNSt15iterator_traitsISK_E10value_typeET2_T3_PNSL_ISQ_E10value_typeET4_T5_PSV_SW_PNS1_23onesweep_lookback_stateEbbT6_jjT7_P12ihipStream_tbENKUlT_T0_SK_SP_E_clISE_SE_SF_SF_EEDaS13_S14_SK_SP_EUlS13_E_NS1_11comp_targetILNS1_3genE0ELNS1_11target_archE4294967295ELNS1_3gpuE0ELNS1_3repE0EEENS1_47radix_sort_onesweep_sort_config_static_selectorELNS0_4arch9wavefront6targetE1EEEvSK_
    .private_segment_fixed_size: 0
    .sgpr_count:     4
    .sgpr_spill_count: 0
    .symbol:         _ZN7rocprim17ROCPRIM_400000_NS6detail17trampoline_kernelINS0_14default_configENS1_35radix_sort_onesweep_config_selectorIiNS0_10empty_typeEEEZZNS1_29radix_sort_onesweep_iterationIS3_Lb0EN6thrust23THRUST_200600_302600_NS6detail15normal_iteratorINS9_10device_ptrIiEEEESE_PS5_SF_jNS0_19identity_decomposerENS1_16block_id_wrapperIjLb0EEEEE10hipError_tT1_PNSt15iterator_traitsISK_E10value_typeET2_T3_PNSL_ISQ_E10value_typeET4_T5_PSV_SW_PNS1_23onesweep_lookback_stateEbbT6_jjT7_P12ihipStream_tbENKUlT_T0_SK_SP_E_clISE_SE_SF_SF_EEDaS13_S14_SK_SP_EUlS13_E_NS1_11comp_targetILNS1_3genE0ELNS1_11target_archE4294967295ELNS1_3gpuE0ELNS1_3repE0EEENS1_47radix_sort_onesweep_sort_config_static_selectorELNS0_4arch9wavefront6targetE1EEEvSK_.kd
    .uniform_work_group_size: 1
    .uses_dynamic_stack: false
    .vgpr_count:     0
    .vgpr_spill_count: 0
    .wavefront_size: 64
  - .agpr_count:     0
    .args:
      - .offset:         0
        .size:           88
        .value_kind:     by_value
    .group_segment_fixed_size: 0
    .kernarg_segment_align: 8
    .kernarg_segment_size: 88
    .language:       OpenCL C
    .language_version:
      - 2
      - 0
    .max_flat_workgroup_size: 1024
    .name:           _ZN7rocprim17ROCPRIM_400000_NS6detail17trampoline_kernelINS0_14default_configENS1_35radix_sort_onesweep_config_selectorIiNS0_10empty_typeEEEZZNS1_29radix_sort_onesweep_iterationIS3_Lb0EN6thrust23THRUST_200600_302600_NS6detail15normal_iteratorINS9_10device_ptrIiEEEESE_PS5_SF_jNS0_19identity_decomposerENS1_16block_id_wrapperIjLb0EEEEE10hipError_tT1_PNSt15iterator_traitsISK_E10value_typeET2_T3_PNSL_ISQ_E10value_typeET4_T5_PSV_SW_PNS1_23onesweep_lookback_stateEbbT6_jjT7_P12ihipStream_tbENKUlT_T0_SK_SP_E_clISE_SE_SF_SF_EEDaS13_S14_SK_SP_EUlS13_E_NS1_11comp_targetILNS1_3genE6ELNS1_11target_archE950ELNS1_3gpuE13ELNS1_3repE0EEENS1_47radix_sort_onesweep_sort_config_static_selectorELNS0_4arch9wavefront6targetE1EEEvSK_
    .private_segment_fixed_size: 0
    .sgpr_count:     4
    .sgpr_spill_count: 0
    .symbol:         _ZN7rocprim17ROCPRIM_400000_NS6detail17trampoline_kernelINS0_14default_configENS1_35radix_sort_onesweep_config_selectorIiNS0_10empty_typeEEEZZNS1_29radix_sort_onesweep_iterationIS3_Lb0EN6thrust23THRUST_200600_302600_NS6detail15normal_iteratorINS9_10device_ptrIiEEEESE_PS5_SF_jNS0_19identity_decomposerENS1_16block_id_wrapperIjLb0EEEEE10hipError_tT1_PNSt15iterator_traitsISK_E10value_typeET2_T3_PNSL_ISQ_E10value_typeET4_T5_PSV_SW_PNS1_23onesweep_lookback_stateEbbT6_jjT7_P12ihipStream_tbENKUlT_T0_SK_SP_E_clISE_SE_SF_SF_EEDaS13_S14_SK_SP_EUlS13_E_NS1_11comp_targetILNS1_3genE6ELNS1_11target_archE950ELNS1_3gpuE13ELNS1_3repE0EEENS1_47radix_sort_onesweep_sort_config_static_selectorELNS0_4arch9wavefront6targetE1EEEvSK_.kd
    .uniform_work_group_size: 1
    .uses_dynamic_stack: false
    .vgpr_count:     0
    .vgpr_spill_count: 0
    .wavefront_size: 64
  - .agpr_count:     0
    .args:
      - .offset:         0
        .size:           88
        .value_kind:     by_value
    .group_segment_fixed_size: 0
    .kernarg_segment_align: 8
    .kernarg_segment_size: 88
    .language:       OpenCL C
    .language_version:
      - 2
      - 0
    .max_flat_workgroup_size: 1024
    .name:           _ZN7rocprim17ROCPRIM_400000_NS6detail17trampoline_kernelINS0_14default_configENS1_35radix_sort_onesweep_config_selectorIiNS0_10empty_typeEEEZZNS1_29radix_sort_onesweep_iterationIS3_Lb0EN6thrust23THRUST_200600_302600_NS6detail15normal_iteratorINS9_10device_ptrIiEEEESE_PS5_SF_jNS0_19identity_decomposerENS1_16block_id_wrapperIjLb0EEEEE10hipError_tT1_PNSt15iterator_traitsISK_E10value_typeET2_T3_PNSL_ISQ_E10value_typeET4_T5_PSV_SW_PNS1_23onesweep_lookback_stateEbbT6_jjT7_P12ihipStream_tbENKUlT_T0_SK_SP_E_clISE_SE_SF_SF_EEDaS13_S14_SK_SP_EUlS13_E_NS1_11comp_targetILNS1_3genE5ELNS1_11target_archE942ELNS1_3gpuE9ELNS1_3repE0EEENS1_47radix_sort_onesweep_sort_config_static_selectorELNS0_4arch9wavefront6targetE1EEEvSK_
    .private_segment_fixed_size: 0
    .sgpr_count:     4
    .sgpr_spill_count: 0
    .symbol:         _ZN7rocprim17ROCPRIM_400000_NS6detail17trampoline_kernelINS0_14default_configENS1_35radix_sort_onesweep_config_selectorIiNS0_10empty_typeEEEZZNS1_29radix_sort_onesweep_iterationIS3_Lb0EN6thrust23THRUST_200600_302600_NS6detail15normal_iteratorINS9_10device_ptrIiEEEESE_PS5_SF_jNS0_19identity_decomposerENS1_16block_id_wrapperIjLb0EEEEE10hipError_tT1_PNSt15iterator_traitsISK_E10value_typeET2_T3_PNSL_ISQ_E10value_typeET4_T5_PSV_SW_PNS1_23onesweep_lookback_stateEbbT6_jjT7_P12ihipStream_tbENKUlT_T0_SK_SP_E_clISE_SE_SF_SF_EEDaS13_S14_SK_SP_EUlS13_E_NS1_11comp_targetILNS1_3genE5ELNS1_11target_archE942ELNS1_3gpuE9ELNS1_3repE0EEENS1_47radix_sort_onesweep_sort_config_static_selectorELNS0_4arch9wavefront6targetE1EEEvSK_.kd
    .uniform_work_group_size: 1
    .uses_dynamic_stack: false
    .vgpr_count:     0
    .vgpr_spill_count: 0
    .wavefront_size: 64
  - .agpr_count:     0
    .args:
      - .offset:         0
        .size:           88
        .value_kind:     by_value
    .group_segment_fixed_size: 0
    .kernarg_segment_align: 8
    .kernarg_segment_size: 88
    .language:       OpenCL C
    .language_version:
      - 2
      - 0
    .max_flat_workgroup_size: 1024
    .name:           _ZN7rocprim17ROCPRIM_400000_NS6detail17trampoline_kernelINS0_14default_configENS1_35radix_sort_onesweep_config_selectorIiNS0_10empty_typeEEEZZNS1_29radix_sort_onesweep_iterationIS3_Lb0EN6thrust23THRUST_200600_302600_NS6detail15normal_iteratorINS9_10device_ptrIiEEEESE_PS5_SF_jNS0_19identity_decomposerENS1_16block_id_wrapperIjLb0EEEEE10hipError_tT1_PNSt15iterator_traitsISK_E10value_typeET2_T3_PNSL_ISQ_E10value_typeET4_T5_PSV_SW_PNS1_23onesweep_lookback_stateEbbT6_jjT7_P12ihipStream_tbENKUlT_T0_SK_SP_E_clISE_SE_SF_SF_EEDaS13_S14_SK_SP_EUlS13_E_NS1_11comp_targetILNS1_3genE2ELNS1_11target_archE906ELNS1_3gpuE6ELNS1_3repE0EEENS1_47radix_sort_onesweep_sort_config_static_selectorELNS0_4arch9wavefront6targetE1EEEvSK_
    .private_segment_fixed_size: 0
    .sgpr_count:     4
    .sgpr_spill_count: 0
    .symbol:         _ZN7rocprim17ROCPRIM_400000_NS6detail17trampoline_kernelINS0_14default_configENS1_35radix_sort_onesweep_config_selectorIiNS0_10empty_typeEEEZZNS1_29radix_sort_onesweep_iterationIS3_Lb0EN6thrust23THRUST_200600_302600_NS6detail15normal_iteratorINS9_10device_ptrIiEEEESE_PS5_SF_jNS0_19identity_decomposerENS1_16block_id_wrapperIjLb0EEEEE10hipError_tT1_PNSt15iterator_traitsISK_E10value_typeET2_T3_PNSL_ISQ_E10value_typeET4_T5_PSV_SW_PNS1_23onesweep_lookback_stateEbbT6_jjT7_P12ihipStream_tbENKUlT_T0_SK_SP_E_clISE_SE_SF_SF_EEDaS13_S14_SK_SP_EUlS13_E_NS1_11comp_targetILNS1_3genE2ELNS1_11target_archE906ELNS1_3gpuE6ELNS1_3repE0EEENS1_47radix_sort_onesweep_sort_config_static_selectorELNS0_4arch9wavefront6targetE1EEEvSK_.kd
    .uniform_work_group_size: 1
    .uses_dynamic_stack: false
    .vgpr_count:     0
    .vgpr_spill_count: 0
    .wavefront_size: 64
  - .agpr_count:     0
    .args:
      - .offset:         0
        .size:           88
        .value_kind:     by_value
      - .offset:         88
        .size:           4
        .value_kind:     hidden_block_count_x
      - .offset:         92
        .size:           4
        .value_kind:     hidden_block_count_y
      - .offset:         96
        .size:           4
        .value_kind:     hidden_block_count_z
      - .offset:         100
        .size:           2
        .value_kind:     hidden_group_size_x
      - .offset:         102
        .size:           2
        .value_kind:     hidden_group_size_y
      - .offset:         104
        .size:           2
        .value_kind:     hidden_group_size_z
      - .offset:         106
        .size:           2
        .value_kind:     hidden_remainder_x
      - .offset:         108
        .size:           2
        .value_kind:     hidden_remainder_y
      - .offset:         110
        .size:           2
        .value_kind:     hidden_remainder_z
      - .offset:         128
        .size:           8
        .value_kind:     hidden_global_offset_x
      - .offset:         136
        .size:           8
        .value_kind:     hidden_global_offset_y
      - .offset:         144
        .size:           8
        .value_kind:     hidden_global_offset_z
      - .offset:         152
        .size:           2
        .value_kind:     hidden_grid_dims
    .group_segment_fixed_size: 20552
    .kernarg_segment_align: 8
    .kernarg_segment_size: 344
    .language:       OpenCL C
    .language_version:
      - 2
      - 0
    .max_flat_workgroup_size: 1024
    .name:           _ZN7rocprim17ROCPRIM_400000_NS6detail17trampoline_kernelINS0_14default_configENS1_35radix_sort_onesweep_config_selectorIiNS0_10empty_typeEEEZZNS1_29radix_sort_onesweep_iterationIS3_Lb0EN6thrust23THRUST_200600_302600_NS6detail15normal_iteratorINS9_10device_ptrIiEEEESE_PS5_SF_jNS0_19identity_decomposerENS1_16block_id_wrapperIjLb0EEEEE10hipError_tT1_PNSt15iterator_traitsISK_E10value_typeET2_T3_PNSL_ISQ_E10value_typeET4_T5_PSV_SW_PNS1_23onesweep_lookback_stateEbbT6_jjT7_P12ihipStream_tbENKUlT_T0_SK_SP_E_clISE_SE_SF_SF_EEDaS13_S14_SK_SP_EUlS13_E_NS1_11comp_targetILNS1_3genE4ELNS1_11target_archE910ELNS1_3gpuE8ELNS1_3repE0EEENS1_47radix_sort_onesweep_sort_config_static_selectorELNS0_4arch9wavefront6targetE1EEEvSK_
    .private_segment_fixed_size: 0
    .sgpr_count:     35
    .sgpr_spill_count: 0
    .symbol:         _ZN7rocprim17ROCPRIM_400000_NS6detail17trampoline_kernelINS0_14default_configENS1_35radix_sort_onesweep_config_selectorIiNS0_10empty_typeEEEZZNS1_29radix_sort_onesweep_iterationIS3_Lb0EN6thrust23THRUST_200600_302600_NS6detail15normal_iteratorINS9_10device_ptrIiEEEESE_PS5_SF_jNS0_19identity_decomposerENS1_16block_id_wrapperIjLb0EEEEE10hipError_tT1_PNSt15iterator_traitsISK_E10value_typeET2_T3_PNSL_ISQ_E10value_typeET4_T5_PSV_SW_PNS1_23onesweep_lookback_stateEbbT6_jjT7_P12ihipStream_tbENKUlT_T0_SK_SP_E_clISE_SE_SF_SF_EEDaS13_S14_SK_SP_EUlS13_E_NS1_11comp_targetILNS1_3genE4ELNS1_11target_archE910ELNS1_3gpuE8ELNS1_3repE0EEENS1_47radix_sort_onesweep_sort_config_static_selectorELNS0_4arch9wavefront6targetE1EEEvSK_.kd
    .uniform_work_group_size: 1
    .uses_dynamic_stack: false
    .vgpr_count:     62
    .vgpr_spill_count: 0
    .wavefront_size: 64
  - .agpr_count:     0
    .args:
      - .offset:         0
        .size:           88
        .value_kind:     by_value
    .group_segment_fixed_size: 0
    .kernarg_segment_align: 8
    .kernarg_segment_size: 88
    .language:       OpenCL C
    .language_version:
      - 2
      - 0
    .max_flat_workgroup_size: 512
    .name:           _ZN7rocprim17ROCPRIM_400000_NS6detail17trampoline_kernelINS0_14default_configENS1_35radix_sort_onesweep_config_selectorIiNS0_10empty_typeEEEZZNS1_29radix_sort_onesweep_iterationIS3_Lb0EN6thrust23THRUST_200600_302600_NS6detail15normal_iteratorINS9_10device_ptrIiEEEESE_PS5_SF_jNS0_19identity_decomposerENS1_16block_id_wrapperIjLb0EEEEE10hipError_tT1_PNSt15iterator_traitsISK_E10value_typeET2_T3_PNSL_ISQ_E10value_typeET4_T5_PSV_SW_PNS1_23onesweep_lookback_stateEbbT6_jjT7_P12ihipStream_tbENKUlT_T0_SK_SP_E_clISE_SE_SF_SF_EEDaS13_S14_SK_SP_EUlS13_E_NS1_11comp_targetILNS1_3genE3ELNS1_11target_archE908ELNS1_3gpuE7ELNS1_3repE0EEENS1_47radix_sort_onesweep_sort_config_static_selectorELNS0_4arch9wavefront6targetE1EEEvSK_
    .private_segment_fixed_size: 0
    .sgpr_count:     4
    .sgpr_spill_count: 0
    .symbol:         _ZN7rocprim17ROCPRIM_400000_NS6detail17trampoline_kernelINS0_14default_configENS1_35radix_sort_onesweep_config_selectorIiNS0_10empty_typeEEEZZNS1_29radix_sort_onesweep_iterationIS3_Lb0EN6thrust23THRUST_200600_302600_NS6detail15normal_iteratorINS9_10device_ptrIiEEEESE_PS5_SF_jNS0_19identity_decomposerENS1_16block_id_wrapperIjLb0EEEEE10hipError_tT1_PNSt15iterator_traitsISK_E10value_typeET2_T3_PNSL_ISQ_E10value_typeET4_T5_PSV_SW_PNS1_23onesweep_lookback_stateEbbT6_jjT7_P12ihipStream_tbENKUlT_T0_SK_SP_E_clISE_SE_SF_SF_EEDaS13_S14_SK_SP_EUlS13_E_NS1_11comp_targetILNS1_3genE3ELNS1_11target_archE908ELNS1_3gpuE7ELNS1_3repE0EEENS1_47radix_sort_onesweep_sort_config_static_selectorELNS0_4arch9wavefront6targetE1EEEvSK_.kd
    .uniform_work_group_size: 1
    .uses_dynamic_stack: false
    .vgpr_count:     0
    .vgpr_spill_count: 0
    .wavefront_size: 64
  - .agpr_count:     0
    .args:
      - .offset:         0
        .size:           88
        .value_kind:     by_value
    .group_segment_fixed_size: 0
    .kernarg_segment_align: 8
    .kernarg_segment_size: 88
    .language:       OpenCL C
    .language_version:
      - 2
      - 0
    .max_flat_workgroup_size: 1024
    .name:           _ZN7rocprim17ROCPRIM_400000_NS6detail17trampoline_kernelINS0_14default_configENS1_35radix_sort_onesweep_config_selectorIiNS0_10empty_typeEEEZZNS1_29radix_sort_onesweep_iterationIS3_Lb0EN6thrust23THRUST_200600_302600_NS6detail15normal_iteratorINS9_10device_ptrIiEEEESE_PS5_SF_jNS0_19identity_decomposerENS1_16block_id_wrapperIjLb0EEEEE10hipError_tT1_PNSt15iterator_traitsISK_E10value_typeET2_T3_PNSL_ISQ_E10value_typeET4_T5_PSV_SW_PNS1_23onesweep_lookback_stateEbbT6_jjT7_P12ihipStream_tbENKUlT_T0_SK_SP_E_clISE_SE_SF_SF_EEDaS13_S14_SK_SP_EUlS13_E_NS1_11comp_targetILNS1_3genE10ELNS1_11target_archE1201ELNS1_3gpuE5ELNS1_3repE0EEENS1_47radix_sort_onesweep_sort_config_static_selectorELNS0_4arch9wavefront6targetE1EEEvSK_
    .private_segment_fixed_size: 0
    .sgpr_count:     4
    .sgpr_spill_count: 0
    .symbol:         _ZN7rocprim17ROCPRIM_400000_NS6detail17trampoline_kernelINS0_14default_configENS1_35radix_sort_onesweep_config_selectorIiNS0_10empty_typeEEEZZNS1_29radix_sort_onesweep_iterationIS3_Lb0EN6thrust23THRUST_200600_302600_NS6detail15normal_iteratorINS9_10device_ptrIiEEEESE_PS5_SF_jNS0_19identity_decomposerENS1_16block_id_wrapperIjLb0EEEEE10hipError_tT1_PNSt15iterator_traitsISK_E10value_typeET2_T3_PNSL_ISQ_E10value_typeET4_T5_PSV_SW_PNS1_23onesweep_lookback_stateEbbT6_jjT7_P12ihipStream_tbENKUlT_T0_SK_SP_E_clISE_SE_SF_SF_EEDaS13_S14_SK_SP_EUlS13_E_NS1_11comp_targetILNS1_3genE10ELNS1_11target_archE1201ELNS1_3gpuE5ELNS1_3repE0EEENS1_47radix_sort_onesweep_sort_config_static_selectorELNS0_4arch9wavefront6targetE1EEEvSK_.kd
    .uniform_work_group_size: 1
    .uses_dynamic_stack: false
    .vgpr_count:     0
    .vgpr_spill_count: 0
    .wavefront_size: 64
  - .agpr_count:     0
    .args:
      - .offset:         0
        .size:           88
        .value_kind:     by_value
    .group_segment_fixed_size: 0
    .kernarg_segment_align: 8
    .kernarg_segment_size: 88
    .language:       OpenCL C
    .language_version:
      - 2
      - 0
    .max_flat_workgroup_size: 1024
    .name:           _ZN7rocprim17ROCPRIM_400000_NS6detail17trampoline_kernelINS0_14default_configENS1_35radix_sort_onesweep_config_selectorIiNS0_10empty_typeEEEZZNS1_29radix_sort_onesweep_iterationIS3_Lb0EN6thrust23THRUST_200600_302600_NS6detail15normal_iteratorINS9_10device_ptrIiEEEESE_PS5_SF_jNS0_19identity_decomposerENS1_16block_id_wrapperIjLb0EEEEE10hipError_tT1_PNSt15iterator_traitsISK_E10value_typeET2_T3_PNSL_ISQ_E10value_typeET4_T5_PSV_SW_PNS1_23onesweep_lookback_stateEbbT6_jjT7_P12ihipStream_tbENKUlT_T0_SK_SP_E_clISE_SE_SF_SF_EEDaS13_S14_SK_SP_EUlS13_E_NS1_11comp_targetILNS1_3genE9ELNS1_11target_archE1100ELNS1_3gpuE3ELNS1_3repE0EEENS1_47radix_sort_onesweep_sort_config_static_selectorELNS0_4arch9wavefront6targetE1EEEvSK_
    .private_segment_fixed_size: 0
    .sgpr_count:     4
    .sgpr_spill_count: 0
    .symbol:         _ZN7rocprim17ROCPRIM_400000_NS6detail17trampoline_kernelINS0_14default_configENS1_35radix_sort_onesweep_config_selectorIiNS0_10empty_typeEEEZZNS1_29radix_sort_onesweep_iterationIS3_Lb0EN6thrust23THRUST_200600_302600_NS6detail15normal_iteratorINS9_10device_ptrIiEEEESE_PS5_SF_jNS0_19identity_decomposerENS1_16block_id_wrapperIjLb0EEEEE10hipError_tT1_PNSt15iterator_traitsISK_E10value_typeET2_T3_PNSL_ISQ_E10value_typeET4_T5_PSV_SW_PNS1_23onesweep_lookback_stateEbbT6_jjT7_P12ihipStream_tbENKUlT_T0_SK_SP_E_clISE_SE_SF_SF_EEDaS13_S14_SK_SP_EUlS13_E_NS1_11comp_targetILNS1_3genE9ELNS1_11target_archE1100ELNS1_3gpuE3ELNS1_3repE0EEENS1_47radix_sort_onesweep_sort_config_static_selectorELNS0_4arch9wavefront6targetE1EEEvSK_.kd
    .uniform_work_group_size: 1
    .uses_dynamic_stack: false
    .vgpr_count:     0
    .vgpr_spill_count: 0
    .wavefront_size: 64
  - .agpr_count:     0
    .args:
      - .offset:         0
        .size:           88
        .value_kind:     by_value
    .group_segment_fixed_size: 0
    .kernarg_segment_align: 8
    .kernarg_segment_size: 88
    .language:       OpenCL C
    .language_version:
      - 2
      - 0
    .max_flat_workgroup_size: 1024
    .name:           _ZN7rocprim17ROCPRIM_400000_NS6detail17trampoline_kernelINS0_14default_configENS1_35radix_sort_onesweep_config_selectorIiNS0_10empty_typeEEEZZNS1_29radix_sort_onesweep_iterationIS3_Lb0EN6thrust23THRUST_200600_302600_NS6detail15normal_iteratorINS9_10device_ptrIiEEEESE_PS5_SF_jNS0_19identity_decomposerENS1_16block_id_wrapperIjLb0EEEEE10hipError_tT1_PNSt15iterator_traitsISK_E10value_typeET2_T3_PNSL_ISQ_E10value_typeET4_T5_PSV_SW_PNS1_23onesweep_lookback_stateEbbT6_jjT7_P12ihipStream_tbENKUlT_T0_SK_SP_E_clISE_SE_SF_SF_EEDaS13_S14_SK_SP_EUlS13_E_NS1_11comp_targetILNS1_3genE8ELNS1_11target_archE1030ELNS1_3gpuE2ELNS1_3repE0EEENS1_47radix_sort_onesweep_sort_config_static_selectorELNS0_4arch9wavefront6targetE1EEEvSK_
    .private_segment_fixed_size: 0
    .sgpr_count:     4
    .sgpr_spill_count: 0
    .symbol:         _ZN7rocprim17ROCPRIM_400000_NS6detail17trampoline_kernelINS0_14default_configENS1_35radix_sort_onesweep_config_selectorIiNS0_10empty_typeEEEZZNS1_29radix_sort_onesweep_iterationIS3_Lb0EN6thrust23THRUST_200600_302600_NS6detail15normal_iteratorINS9_10device_ptrIiEEEESE_PS5_SF_jNS0_19identity_decomposerENS1_16block_id_wrapperIjLb0EEEEE10hipError_tT1_PNSt15iterator_traitsISK_E10value_typeET2_T3_PNSL_ISQ_E10value_typeET4_T5_PSV_SW_PNS1_23onesweep_lookback_stateEbbT6_jjT7_P12ihipStream_tbENKUlT_T0_SK_SP_E_clISE_SE_SF_SF_EEDaS13_S14_SK_SP_EUlS13_E_NS1_11comp_targetILNS1_3genE8ELNS1_11target_archE1030ELNS1_3gpuE2ELNS1_3repE0EEENS1_47radix_sort_onesweep_sort_config_static_selectorELNS0_4arch9wavefront6targetE1EEEvSK_.kd
    .uniform_work_group_size: 1
    .uses_dynamic_stack: false
    .vgpr_count:     0
    .vgpr_spill_count: 0
    .wavefront_size: 64
  - .agpr_count:     0
    .args:
      - .offset:         0
        .size:           88
        .value_kind:     by_value
    .group_segment_fixed_size: 0
    .kernarg_segment_align: 8
    .kernarg_segment_size: 88
    .language:       OpenCL C
    .language_version:
      - 2
      - 0
    .max_flat_workgroup_size: 512
    .name:           _ZN7rocprim17ROCPRIM_400000_NS6detail17trampoline_kernelINS0_14default_configENS1_35radix_sort_onesweep_config_selectorIiNS0_10empty_typeEEEZZNS1_29radix_sort_onesweep_iterationIS3_Lb0EN6thrust23THRUST_200600_302600_NS6detail15normal_iteratorINS9_10device_ptrIiEEEESE_PS5_SF_jNS0_19identity_decomposerENS1_16block_id_wrapperIjLb0EEEEE10hipError_tT1_PNSt15iterator_traitsISK_E10value_typeET2_T3_PNSL_ISQ_E10value_typeET4_T5_PSV_SW_PNS1_23onesweep_lookback_stateEbbT6_jjT7_P12ihipStream_tbENKUlT_T0_SK_SP_E_clISE_PiSF_SF_EEDaS13_S14_SK_SP_EUlS13_E_NS1_11comp_targetILNS1_3genE0ELNS1_11target_archE4294967295ELNS1_3gpuE0ELNS1_3repE0EEENS1_47radix_sort_onesweep_sort_config_static_selectorELNS0_4arch9wavefront6targetE1EEEvSK_
    .private_segment_fixed_size: 0
    .sgpr_count:     4
    .sgpr_spill_count: 0
    .symbol:         _ZN7rocprim17ROCPRIM_400000_NS6detail17trampoline_kernelINS0_14default_configENS1_35radix_sort_onesweep_config_selectorIiNS0_10empty_typeEEEZZNS1_29radix_sort_onesweep_iterationIS3_Lb0EN6thrust23THRUST_200600_302600_NS6detail15normal_iteratorINS9_10device_ptrIiEEEESE_PS5_SF_jNS0_19identity_decomposerENS1_16block_id_wrapperIjLb0EEEEE10hipError_tT1_PNSt15iterator_traitsISK_E10value_typeET2_T3_PNSL_ISQ_E10value_typeET4_T5_PSV_SW_PNS1_23onesweep_lookback_stateEbbT6_jjT7_P12ihipStream_tbENKUlT_T0_SK_SP_E_clISE_PiSF_SF_EEDaS13_S14_SK_SP_EUlS13_E_NS1_11comp_targetILNS1_3genE0ELNS1_11target_archE4294967295ELNS1_3gpuE0ELNS1_3repE0EEENS1_47radix_sort_onesweep_sort_config_static_selectorELNS0_4arch9wavefront6targetE1EEEvSK_.kd
    .uniform_work_group_size: 1
    .uses_dynamic_stack: false
    .vgpr_count:     0
    .vgpr_spill_count: 0
    .wavefront_size: 64
  - .agpr_count:     0
    .args:
      - .offset:         0
        .size:           88
        .value_kind:     by_value
    .group_segment_fixed_size: 0
    .kernarg_segment_align: 8
    .kernarg_segment_size: 88
    .language:       OpenCL C
    .language_version:
      - 2
      - 0
    .max_flat_workgroup_size: 1024
    .name:           _ZN7rocprim17ROCPRIM_400000_NS6detail17trampoline_kernelINS0_14default_configENS1_35radix_sort_onesweep_config_selectorIiNS0_10empty_typeEEEZZNS1_29radix_sort_onesweep_iterationIS3_Lb0EN6thrust23THRUST_200600_302600_NS6detail15normal_iteratorINS9_10device_ptrIiEEEESE_PS5_SF_jNS0_19identity_decomposerENS1_16block_id_wrapperIjLb0EEEEE10hipError_tT1_PNSt15iterator_traitsISK_E10value_typeET2_T3_PNSL_ISQ_E10value_typeET4_T5_PSV_SW_PNS1_23onesweep_lookback_stateEbbT6_jjT7_P12ihipStream_tbENKUlT_T0_SK_SP_E_clISE_PiSF_SF_EEDaS13_S14_SK_SP_EUlS13_E_NS1_11comp_targetILNS1_3genE6ELNS1_11target_archE950ELNS1_3gpuE13ELNS1_3repE0EEENS1_47radix_sort_onesweep_sort_config_static_selectorELNS0_4arch9wavefront6targetE1EEEvSK_
    .private_segment_fixed_size: 0
    .sgpr_count:     4
    .sgpr_spill_count: 0
    .symbol:         _ZN7rocprim17ROCPRIM_400000_NS6detail17trampoline_kernelINS0_14default_configENS1_35radix_sort_onesweep_config_selectorIiNS0_10empty_typeEEEZZNS1_29radix_sort_onesweep_iterationIS3_Lb0EN6thrust23THRUST_200600_302600_NS6detail15normal_iteratorINS9_10device_ptrIiEEEESE_PS5_SF_jNS0_19identity_decomposerENS1_16block_id_wrapperIjLb0EEEEE10hipError_tT1_PNSt15iterator_traitsISK_E10value_typeET2_T3_PNSL_ISQ_E10value_typeET4_T5_PSV_SW_PNS1_23onesweep_lookback_stateEbbT6_jjT7_P12ihipStream_tbENKUlT_T0_SK_SP_E_clISE_PiSF_SF_EEDaS13_S14_SK_SP_EUlS13_E_NS1_11comp_targetILNS1_3genE6ELNS1_11target_archE950ELNS1_3gpuE13ELNS1_3repE0EEENS1_47radix_sort_onesweep_sort_config_static_selectorELNS0_4arch9wavefront6targetE1EEEvSK_.kd
    .uniform_work_group_size: 1
    .uses_dynamic_stack: false
    .vgpr_count:     0
    .vgpr_spill_count: 0
    .wavefront_size: 64
  - .agpr_count:     0
    .args:
      - .offset:         0
        .size:           88
        .value_kind:     by_value
    .group_segment_fixed_size: 0
    .kernarg_segment_align: 8
    .kernarg_segment_size: 88
    .language:       OpenCL C
    .language_version:
      - 2
      - 0
    .max_flat_workgroup_size: 1024
    .name:           _ZN7rocprim17ROCPRIM_400000_NS6detail17trampoline_kernelINS0_14default_configENS1_35radix_sort_onesweep_config_selectorIiNS0_10empty_typeEEEZZNS1_29radix_sort_onesweep_iterationIS3_Lb0EN6thrust23THRUST_200600_302600_NS6detail15normal_iteratorINS9_10device_ptrIiEEEESE_PS5_SF_jNS0_19identity_decomposerENS1_16block_id_wrapperIjLb0EEEEE10hipError_tT1_PNSt15iterator_traitsISK_E10value_typeET2_T3_PNSL_ISQ_E10value_typeET4_T5_PSV_SW_PNS1_23onesweep_lookback_stateEbbT6_jjT7_P12ihipStream_tbENKUlT_T0_SK_SP_E_clISE_PiSF_SF_EEDaS13_S14_SK_SP_EUlS13_E_NS1_11comp_targetILNS1_3genE5ELNS1_11target_archE942ELNS1_3gpuE9ELNS1_3repE0EEENS1_47radix_sort_onesweep_sort_config_static_selectorELNS0_4arch9wavefront6targetE1EEEvSK_
    .private_segment_fixed_size: 0
    .sgpr_count:     4
    .sgpr_spill_count: 0
    .symbol:         _ZN7rocprim17ROCPRIM_400000_NS6detail17trampoline_kernelINS0_14default_configENS1_35radix_sort_onesweep_config_selectorIiNS0_10empty_typeEEEZZNS1_29radix_sort_onesweep_iterationIS3_Lb0EN6thrust23THRUST_200600_302600_NS6detail15normal_iteratorINS9_10device_ptrIiEEEESE_PS5_SF_jNS0_19identity_decomposerENS1_16block_id_wrapperIjLb0EEEEE10hipError_tT1_PNSt15iterator_traitsISK_E10value_typeET2_T3_PNSL_ISQ_E10value_typeET4_T5_PSV_SW_PNS1_23onesweep_lookback_stateEbbT6_jjT7_P12ihipStream_tbENKUlT_T0_SK_SP_E_clISE_PiSF_SF_EEDaS13_S14_SK_SP_EUlS13_E_NS1_11comp_targetILNS1_3genE5ELNS1_11target_archE942ELNS1_3gpuE9ELNS1_3repE0EEENS1_47radix_sort_onesweep_sort_config_static_selectorELNS0_4arch9wavefront6targetE1EEEvSK_.kd
    .uniform_work_group_size: 1
    .uses_dynamic_stack: false
    .vgpr_count:     0
    .vgpr_spill_count: 0
    .wavefront_size: 64
  - .agpr_count:     0
    .args:
      - .offset:         0
        .size:           88
        .value_kind:     by_value
    .group_segment_fixed_size: 0
    .kernarg_segment_align: 8
    .kernarg_segment_size: 88
    .language:       OpenCL C
    .language_version:
      - 2
      - 0
    .max_flat_workgroup_size: 1024
    .name:           _ZN7rocprim17ROCPRIM_400000_NS6detail17trampoline_kernelINS0_14default_configENS1_35radix_sort_onesweep_config_selectorIiNS0_10empty_typeEEEZZNS1_29radix_sort_onesweep_iterationIS3_Lb0EN6thrust23THRUST_200600_302600_NS6detail15normal_iteratorINS9_10device_ptrIiEEEESE_PS5_SF_jNS0_19identity_decomposerENS1_16block_id_wrapperIjLb0EEEEE10hipError_tT1_PNSt15iterator_traitsISK_E10value_typeET2_T3_PNSL_ISQ_E10value_typeET4_T5_PSV_SW_PNS1_23onesweep_lookback_stateEbbT6_jjT7_P12ihipStream_tbENKUlT_T0_SK_SP_E_clISE_PiSF_SF_EEDaS13_S14_SK_SP_EUlS13_E_NS1_11comp_targetILNS1_3genE2ELNS1_11target_archE906ELNS1_3gpuE6ELNS1_3repE0EEENS1_47radix_sort_onesweep_sort_config_static_selectorELNS0_4arch9wavefront6targetE1EEEvSK_
    .private_segment_fixed_size: 0
    .sgpr_count:     4
    .sgpr_spill_count: 0
    .symbol:         _ZN7rocprim17ROCPRIM_400000_NS6detail17trampoline_kernelINS0_14default_configENS1_35radix_sort_onesweep_config_selectorIiNS0_10empty_typeEEEZZNS1_29radix_sort_onesweep_iterationIS3_Lb0EN6thrust23THRUST_200600_302600_NS6detail15normal_iteratorINS9_10device_ptrIiEEEESE_PS5_SF_jNS0_19identity_decomposerENS1_16block_id_wrapperIjLb0EEEEE10hipError_tT1_PNSt15iterator_traitsISK_E10value_typeET2_T3_PNSL_ISQ_E10value_typeET4_T5_PSV_SW_PNS1_23onesweep_lookback_stateEbbT6_jjT7_P12ihipStream_tbENKUlT_T0_SK_SP_E_clISE_PiSF_SF_EEDaS13_S14_SK_SP_EUlS13_E_NS1_11comp_targetILNS1_3genE2ELNS1_11target_archE906ELNS1_3gpuE6ELNS1_3repE0EEENS1_47radix_sort_onesweep_sort_config_static_selectorELNS0_4arch9wavefront6targetE1EEEvSK_.kd
    .uniform_work_group_size: 1
    .uses_dynamic_stack: false
    .vgpr_count:     0
    .vgpr_spill_count: 0
    .wavefront_size: 64
  - .agpr_count:     0
    .args:
      - .offset:         0
        .size:           88
        .value_kind:     by_value
      - .offset:         88
        .size:           4
        .value_kind:     hidden_block_count_x
      - .offset:         92
        .size:           4
        .value_kind:     hidden_block_count_y
      - .offset:         96
        .size:           4
        .value_kind:     hidden_block_count_z
      - .offset:         100
        .size:           2
        .value_kind:     hidden_group_size_x
      - .offset:         102
        .size:           2
        .value_kind:     hidden_group_size_y
      - .offset:         104
        .size:           2
        .value_kind:     hidden_group_size_z
      - .offset:         106
        .size:           2
        .value_kind:     hidden_remainder_x
      - .offset:         108
        .size:           2
        .value_kind:     hidden_remainder_y
      - .offset:         110
        .size:           2
        .value_kind:     hidden_remainder_z
      - .offset:         128
        .size:           8
        .value_kind:     hidden_global_offset_x
      - .offset:         136
        .size:           8
        .value_kind:     hidden_global_offset_y
      - .offset:         144
        .size:           8
        .value_kind:     hidden_global_offset_z
      - .offset:         152
        .size:           2
        .value_kind:     hidden_grid_dims
    .group_segment_fixed_size: 20552
    .kernarg_segment_align: 8
    .kernarg_segment_size: 344
    .language:       OpenCL C
    .language_version:
      - 2
      - 0
    .max_flat_workgroup_size: 1024
    .name:           _ZN7rocprim17ROCPRIM_400000_NS6detail17trampoline_kernelINS0_14default_configENS1_35radix_sort_onesweep_config_selectorIiNS0_10empty_typeEEEZZNS1_29radix_sort_onesweep_iterationIS3_Lb0EN6thrust23THRUST_200600_302600_NS6detail15normal_iteratorINS9_10device_ptrIiEEEESE_PS5_SF_jNS0_19identity_decomposerENS1_16block_id_wrapperIjLb0EEEEE10hipError_tT1_PNSt15iterator_traitsISK_E10value_typeET2_T3_PNSL_ISQ_E10value_typeET4_T5_PSV_SW_PNS1_23onesweep_lookback_stateEbbT6_jjT7_P12ihipStream_tbENKUlT_T0_SK_SP_E_clISE_PiSF_SF_EEDaS13_S14_SK_SP_EUlS13_E_NS1_11comp_targetILNS1_3genE4ELNS1_11target_archE910ELNS1_3gpuE8ELNS1_3repE0EEENS1_47radix_sort_onesweep_sort_config_static_selectorELNS0_4arch9wavefront6targetE1EEEvSK_
    .private_segment_fixed_size: 0
    .sgpr_count:     35
    .sgpr_spill_count: 0
    .symbol:         _ZN7rocprim17ROCPRIM_400000_NS6detail17trampoline_kernelINS0_14default_configENS1_35radix_sort_onesweep_config_selectorIiNS0_10empty_typeEEEZZNS1_29radix_sort_onesweep_iterationIS3_Lb0EN6thrust23THRUST_200600_302600_NS6detail15normal_iteratorINS9_10device_ptrIiEEEESE_PS5_SF_jNS0_19identity_decomposerENS1_16block_id_wrapperIjLb0EEEEE10hipError_tT1_PNSt15iterator_traitsISK_E10value_typeET2_T3_PNSL_ISQ_E10value_typeET4_T5_PSV_SW_PNS1_23onesweep_lookback_stateEbbT6_jjT7_P12ihipStream_tbENKUlT_T0_SK_SP_E_clISE_PiSF_SF_EEDaS13_S14_SK_SP_EUlS13_E_NS1_11comp_targetILNS1_3genE4ELNS1_11target_archE910ELNS1_3gpuE8ELNS1_3repE0EEENS1_47radix_sort_onesweep_sort_config_static_selectorELNS0_4arch9wavefront6targetE1EEEvSK_.kd
    .uniform_work_group_size: 1
    .uses_dynamic_stack: false
    .vgpr_count:     62
    .vgpr_spill_count: 0
    .wavefront_size: 64
  - .agpr_count:     0
    .args:
      - .offset:         0
        .size:           88
        .value_kind:     by_value
    .group_segment_fixed_size: 0
    .kernarg_segment_align: 8
    .kernarg_segment_size: 88
    .language:       OpenCL C
    .language_version:
      - 2
      - 0
    .max_flat_workgroup_size: 512
    .name:           _ZN7rocprim17ROCPRIM_400000_NS6detail17trampoline_kernelINS0_14default_configENS1_35radix_sort_onesweep_config_selectorIiNS0_10empty_typeEEEZZNS1_29radix_sort_onesweep_iterationIS3_Lb0EN6thrust23THRUST_200600_302600_NS6detail15normal_iteratorINS9_10device_ptrIiEEEESE_PS5_SF_jNS0_19identity_decomposerENS1_16block_id_wrapperIjLb0EEEEE10hipError_tT1_PNSt15iterator_traitsISK_E10value_typeET2_T3_PNSL_ISQ_E10value_typeET4_T5_PSV_SW_PNS1_23onesweep_lookback_stateEbbT6_jjT7_P12ihipStream_tbENKUlT_T0_SK_SP_E_clISE_PiSF_SF_EEDaS13_S14_SK_SP_EUlS13_E_NS1_11comp_targetILNS1_3genE3ELNS1_11target_archE908ELNS1_3gpuE7ELNS1_3repE0EEENS1_47radix_sort_onesweep_sort_config_static_selectorELNS0_4arch9wavefront6targetE1EEEvSK_
    .private_segment_fixed_size: 0
    .sgpr_count:     4
    .sgpr_spill_count: 0
    .symbol:         _ZN7rocprim17ROCPRIM_400000_NS6detail17trampoline_kernelINS0_14default_configENS1_35radix_sort_onesweep_config_selectorIiNS0_10empty_typeEEEZZNS1_29radix_sort_onesweep_iterationIS3_Lb0EN6thrust23THRUST_200600_302600_NS6detail15normal_iteratorINS9_10device_ptrIiEEEESE_PS5_SF_jNS0_19identity_decomposerENS1_16block_id_wrapperIjLb0EEEEE10hipError_tT1_PNSt15iterator_traitsISK_E10value_typeET2_T3_PNSL_ISQ_E10value_typeET4_T5_PSV_SW_PNS1_23onesweep_lookback_stateEbbT6_jjT7_P12ihipStream_tbENKUlT_T0_SK_SP_E_clISE_PiSF_SF_EEDaS13_S14_SK_SP_EUlS13_E_NS1_11comp_targetILNS1_3genE3ELNS1_11target_archE908ELNS1_3gpuE7ELNS1_3repE0EEENS1_47radix_sort_onesweep_sort_config_static_selectorELNS0_4arch9wavefront6targetE1EEEvSK_.kd
    .uniform_work_group_size: 1
    .uses_dynamic_stack: false
    .vgpr_count:     0
    .vgpr_spill_count: 0
    .wavefront_size: 64
  - .agpr_count:     0
    .args:
      - .offset:         0
        .size:           88
        .value_kind:     by_value
    .group_segment_fixed_size: 0
    .kernarg_segment_align: 8
    .kernarg_segment_size: 88
    .language:       OpenCL C
    .language_version:
      - 2
      - 0
    .max_flat_workgroup_size: 1024
    .name:           _ZN7rocprim17ROCPRIM_400000_NS6detail17trampoline_kernelINS0_14default_configENS1_35radix_sort_onesweep_config_selectorIiNS0_10empty_typeEEEZZNS1_29radix_sort_onesweep_iterationIS3_Lb0EN6thrust23THRUST_200600_302600_NS6detail15normal_iteratorINS9_10device_ptrIiEEEESE_PS5_SF_jNS0_19identity_decomposerENS1_16block_id_wrapperIjLb0EEEEE10hipError_tT1_PNSt15iterator_traitsISK_E10value_typeET2_T3_PNSL_ISQ_E10value_typeET4_T5_PSV_SW_PNS1_23onesweep_lookback_stateEbbT6_jjT7_P12ihipStream_tbENKUlT_T0_SK_SP_E_clISE_PiSF_SF_EEDaS13_S14_SK_SP_EUlS13_E_NS1_11comp_targetILNS1_3genE10ELNS1_11target_archE1201ELNS1_3gpuE5ELNS1_3repE0EEENS1_47radix_sort_onesweep_sort_config_static_selectorELNS0_4arch9wavefront6targetE1EEEvSK_
    .private_segment_fixed_size: 0
    .sgpr_count:     4
    .sgpr_spill_count: 0
    .symbol:         _ZN7rocprim17ROCPRIM_400000_NS6detail17trampoline_kernelINS0_14default_configENS1_35radix_sort_onesweep_config_selectorIiNS0_10empty_typeEEEZZNS1_29radix_sort_onesweep_iterationIS3_Lb0EN6thrust23THRUST_200600_302600_NS6detail15normal_iteratorINS9_10device_ptrIiEEEESE_PS5_SF_jNS0_19identity_decomposerENS1_16block_id_wrapperIjLb0EEEEE10hipError_tT1_PNSt15iterator_traitsISK_E10value_typeET2_T3_PNSL_ISQ_E10value_typeET4_T5_PSV_SW_PNS1_23onesweep_lookback_stateEbbT6_jjT7_P12ihipStream_tbENKUlT_T0_SK_SP_E_clISE_PiSF_SF_EEDaS13_S14_SK_SP_EUlS13_E_NS1_11comp_targetILNS1_3genE10ELNS1_11target_archE1201ELNS1_3gpuE5ELNS1_3repE0EEENS1_47radix_sort_onesweep_sort_config_static_selectorELNS0_4arch9wavefront6targetE1EEEvSK_.kd
    .uniform_work_group_size: 1
    .uses_dynamic_stack: false
    .vgpr_count:     0
    .vgpr_spill_count: 0
    .wavefront_size: 64
  - .agpr_count:     0
    .args:
      - .offset:         0
        .size:           88
        .value_kind:     by_value
    .group_segment_fixed_size: 0
    .kernarg_segment_align: 8
    .kernarg_segment_size: 88
    .language:       OpenCL C
    .language_version:
      - 2
      - 0
    .max_flat_workgroup_size: 1024
    .name:           _ZN7rocprim17ROCPRIM_400000_NS6detail17trampoline_kernelINS0_14default_configENS1_35radix_sort_onesweep_config_selectorIiNS0_10empty_typeEEEZZNS1_29radix_sort_onesweep_iterationIS3_Lb0EN6thrust23THRUST_200600_302600_NS6detail15normal_iteratorINS9_10device_ptrIiEEEESE_PS5_SF_jNS0_19identity_decomposerENS1_16block_id_wrapperIjLb0EEEEE10hipError_tT1_PNSt15iterator_traitsISK_E10value_typeET2_T3_PNSL_ISQ_E10value_typeET4_T5_PSV_SW_PNS1_23onesweep_lookback_stateEbbT6_jjT7_P12ihipStream_tbENKUlT_T0_SK_SP_E_clISE_PiSF_SF_EEDaS13_S14_SK_SP_EUlS13_E_NS1_11comp_targetILNS1_3genE9ELNS1_11target_archE1100ELNS1_3gpuE3ELNS1_3repE0EEENS1_47radix_sort_onesweep_sort_config_static_selectorELNS0_4arch9wavefront6targetE1EEEvSK_
    .private_segment_fixed_size: 0
    .sgpr_count:     4
    .sgpr_spill_count: 0
    .symbol:         _ZN7rocprim17ROCPRIM_400000_NS6detail17trampoline_kernelINS0_14default_configENS1_35radix_sort_onesweep_config_selectorIiNS0_10empty_typeEEEZZNS1_29radix_sort_onesweep_iterationIS3_Lb0EN6thrust23THRUST_200600_302600_NS6detail15normal_iteratorINS9_10device_ptrIiEEEESE_PS5_SF_jNS0_19identity_decomposerENS1_16block_id_wrapperIjLb0EEEEE10hipError_tT1_PNSt15iterator_traitsISK_E10value_typeET2_T3_PNSL_ISQ_E10value_typeET4_T5_PSV_SW_PNS1_23onesweep_lookback_stateEbbT6_jjT7_P12ihipStream_tbENKUlT_T0_SK_SP_E_clISE_PiSF_SF_EEDaS13_S14_SK_SP_EUlS13_E_NS1_11comp_targetILNS1_3genE9ELNS1_11target_archE1100ELNS1_3gpuE3ELNS1_3repE0EEENS1_47radix_sort_onesweep_sort_config_static_selectorELNS0_4arch9wavefront6targetE1EEEvSK_.kd
    .uniform_work_group_size: 1
    .uses_dynamic_stack: false
    .vgpr_count:     0
    .vgpr_spill_count: 0
    .wavefront_size: 64
  - .agpr_count:     0
    .args:
      - .offset:         0
        .size:           88
        .value_kind:     by_value
    .group_segment_fixed_size: 0
    .kernarg_segment_align: 8
    .kernarg_segment_size: 88
    .language:       OpenCL C
    .language_version:
      - 2
      - 0
    .max_flat_workgroup_size: 1024
    .name:           _ZN7rocprim17ROCPRIM_400000_NS6detail17trampoline_kernelINS0_14default_configENS1_35radix_sort_onesweep_config_selectorIiNS0_10empty_typeEEEZZNS1_29radix_sort_onesweep_iterationIS3_Lb0EN6thrust23THRUST_200600_302600_NS6detail15normal_iteratorINS9_10device_ptrIiEEEESE_PS5_SF_jNS0_19identity_decomposerENS1_16block_id_wrapperIjLb0EEEEE10hipError_tT1_PNSt15iterator_traitsISK_E10value_typeET2_T3_PNSL_ISQ_E10value_typeET4_T5_PSV_SW_PNS1_23onesweep_lookback_stateEbbT6_jjT7_P12ihipStream_tbENKUlT_T0_SK_SP_E_clISE_PiSF_SF_EEDaS13_S14_SK_SP_EUlS13_E_NS1_11comp_targetILNS1_3genE8ELNS1_11target_archE1030ELNS1_3gpuE2ELNS1_3repE0EEENS1_47radix_sort_onesweep_sort_config_static_selectorELNS0_4arch9wavefront6targetE1EEEvSK_
    .private_segment_fixed_size: 0
    .sgpr_count:     4
    .sgpr_spill_count: 0
    .symbol:         _ZN7rocprim17ROCPRIM_400000_NS6detail17trampoline_kernelINS0_14default_configENS1_35radix_sort_onesweep_config_selectorIiNS0_10empty_typeEEEZZNS1_29radix_sort_onesweep_iterationIS3_Lb0EN6thrust23THRUST_200600_302600_NS6detail15normal_iteratorINS9_10device_ptrIiEEEESE_PS5_SF_jNS0_19identity_decomposerENS1_16block_id_wrapperIjLb0EEEEE10hipError_tT1_PNSt15iterator_traitsISK_E10value_typeET2_T3_PNSL_ISQ_E10value_typeET4_T5_PSV_SW_PNS1_23onesweep_lookback_stateEbbT6_jjT7_P12ihipStream_tbENKUlT_T0_SK_SP_E_clISE_PiSF_SF_EEDaS13_S14_SK_SP_EUlS13_E_NS1_11comp_targetILNS1_3genE8ELNS1_11target_archE1030ELNS1_3gpuE2ELNS1_3repE0EEENS1_47radix_sort_onesweep_sort_config_static_selectorELNS0_4arch9wavefront6targetE1EEEvSK_.kd
    .uniform_work_group_size: 1
    .uses_dynamic_stack: false
    .vgpr_count:     0
    .vgpr_spill_count: 0
    .wavefront_size: 64
  - .agpr_count:     0
    .args:
      - .offset:         0
        .size:           88
        .value_kind:     by_value
    .group_segment_fixed_size: 0
    .kernarg_segment_align: 8
    .kernarg_segment_size: 88
    .language:       OpenCL C
    .language_version:
      - 2
      - 0
    .max_flat_workgroup_size: 512
    .name:           _ZN7rocprim17ROCPRIM_400000_NS6detail17trampoline_kernelINS0_14default_configENS1_35radix_sort_onesweep_config_selectorIiNS0_10empty_typeEEEZZNS1_29radix_sort_onesweep_iterationIS3_Lb0EN6thrust23THRUST_200600_302600_NS6detail15normal_iteratorINS9_10device_ptrIiEEEESE_PS5_SF_jNS0_19identity_decomposerENS1_16block_id_wrapperIjLb0EEEEE10hipError_tT1_PNSt15iterator_traitsISK_E10value_typeET2_T3_PNSL_ISQ_E10value_typeET4_T5_PSV_SW_PNS1_23onesweep_lookback_stateEbbT6_jjT7_P12ihipStream_tbENKUlT_T0_SK_SP_E_clIPiSE_SF_SF_EEDaS13_S14_SK_SP_EUlS13_E_NS1_11comp_targetILNS1_3genE0ELNS1_11target_archE4294967295ELNS1_3gpuE0ELNS1_3repE0EEENS1_47radix_sort_onesweep_sort_config_static_selectorELNS0_4arch9wavefront6targetE1EEEvSK_
    .private_segment_fixed_size: 0
    .sgpr_count:     4
    .sgpr_spill_count: 0
    .symbol:         _ZN7rocprim17ROCPRIM_400000_NS6detail17trampoline_kernelINS0_14default_configENS1_35radix_sort_onesweep_config_selectorIiNS0_10empty_typeEEEZZNS1_29radix_sort_onesweep_iterationIS3_Lb0EN6thrust23THRUST_200600_302600_NS6detail15normal_iteratorINS9_10device_ptrIiEEEESE_PS5_SF_jNS0_19identity_decomposerENS1_16block_id_wrapperIjLb0EEEEE10hipError_tT1_PNSt15iterator_traitsISK_E10value_typeET2_T3_PNSL_ISQ_E10value_typeET4_T5_PSV_SW_PNS1_23onesweep_lookback_stateEbbT6_jjT7_P12ihipStream_tbENKUlT_T0_SK_SP_E_clIPiSE_SF_SF_EEDaS13_S14_SK_SP_EUlS13_E_NS1_11comp_targetILNS1_3genE0ELNS1_11target_archE4294967295ELNS1_3gpuE0ELNS1_3repE0EEENS1_47radix_sort_onesweep_sort_config_static_selectorELNS0_4arch9wavefront6targetE1EEEvSK_.kd
    .uniform_work_group_size: 1
    .uses_dynamic_stack: false
    .vgpr_count:     0
    .vgpr_spill_count: 0
    .wavefront_size: 64
  - .agpr_count:     0
    .args:
      - .offset:         0
        .size:           88
        .value_kind:     by_value
    .group_segment_fixed_size: 0
    .kernarg_segment_align: 8
    .kernarg_segment_size: 88
    .language:       OpenCL C
    .language_version:
      - 2
      - 0
    .max_flat_workgroup_size: 1024
    .name:           _ZN7rocprim17ROCPRIM_400000_NS6detail17trampoline_kernelINS0_14default_configENS1_35radix_sort_onesweep_config_selectorIiNS0_10empty_typeEEEZZNS1_29radix_sort_onesweep_iterationIS3_Lb0EN6thrust23THRUST_200600_302600_NS6detail15normal_iteratorINS9_10device_ptrIiEEEESE_PS5_SF_jNS0_19identity_decomposerENS1_16block_id_wrapperIjLb0EEEEE10hipError_tT1_PNSt15iterator_traitsISK_E10value_typeET2_T3_PNSL_ISQ_E10value_typeET4_T5_PSV_SW_PNS1_23onesweep_lookback_stateEbbT6_jjT7_P12ihipStream_tbENKUlT_T0_SK_SP_E_clIPiSE_SF_SF_EEDaS13_S14_SK_SP_EUlS13_E_NS1_11comp_targetILNS1_3genE6ELNS1_11target_archE950ELNS1_3gpuE13ELNS1_3repE0EEENS1_47radix_sort_onesweep_sort_config_static_selectorELNS0_4arch9wavefront6targetE1EEEvSK_
    .private_segment_fixed_size: 0
    .sgpr_count:     4
    .sgpr_spill_count: 0
    .symbol:         _ZN7rocprim17ROCPRIM_400000_NS6detail17trampoline_kernelINS0_14default_configENS1_35radix_sort_onesweep_config_selectorIiNS0_10empty_typeEEEZZNS1_29radix_sort_onesweep_iterationIS3_Lb0EN6thrust23THRUST_200600_302600_NS6detail15normal_iteratorINS9_10device_ptrIiEEEESE_PS5_SF_jNS0_19identity_decomposerENS1_16block_id_wrapperIjLb0EEEEE10hipError_tT1_PNSt15iterator_traitsISK_E10value_typeET2_T3_PNSL_ISQ_E10value_typeET4_T5_PSV_SW_PNS1_23onesweep_lookback_stateEbbT6_jjT7_P12ihipStream_tbENKUlT_T0_SK_SP_E_clIPiSE_SF_SF_EEDaS13_S14_SK_SP_EUlS13_E_NS1_11comp_targetILNS1_3genE6ELNS1_11target_archE950ELNS1_3gpuE13ELNS1_3repE0EEENS1_47radix_sort_onesweep_sort_config_static_selectorELNS0_4arch9wavefront6targetE1EEEvSK_.kd
    .uniform_work_group_size: 1
    .uses_dynamic_stack: false
    .vgpr_count:     0
    .vgpr_spill_count: 0
    .wavefront_size: 64
  - .agpr_count:     0
    .args:
      - .offset:         0
        .size:           88
        .value_kind:     by_value
    .group_segment_fixed_size: 0
    .kernarg_segment_align: 8
    .kernarg_segment_size: 88
    .language:       OpenCL C
    .language_version:
      - 2
      - 0
    .max_flat_workgroup_size: 1024
    .name:           _ZN7rocprim17ROCPRIM_400000_NS6detail17trampoline_kernelINS0_14default_configENS1_35radix_sort_onesweep_config_selectorIiNS0_10empty_typeEEEZZNS1_29radix_sort_onesweep_iterationIS3_Lb0EN6thrust23THRUST_200600_302600_NS6detail15normal_iteratorINS9_10device_ptrIiEEEESE_PS5_SF_jNS0_19identity_decomposerENS1_16block_id_wrapperIjLb0EEEEE10hipError_tT1_PNSt15iterator_traitsISK_E10value_typeET2_T3_PNSL_ISQ_E10value_typeET4_T5_PSV_SW_PNS1_23onesweep_lookback_stateEbbT6_jjT7_P12ihipStream_tbENKUlT_T0_SK_SP_E_clIPiSE_SF_SF_EEDaS13_S14_SK_SP_EUlS13_E_NS1_11comp_targetILNS1_3genE5ELNS1_11target_archE942ELNS1_3gpuE9ELNS1_3repE0EEENS1_47radix_sort_onesweep_sort_config_static_selectorELNS0_4arch9wavefront6targetE1EEEvSK_
    .private_segment_fixed_size: 0
    .sgpr_count:     4
    .sgpr_spill_count: 0
    .symbol:         _ZN7rocprim17ROCPRIM_400000_NS6detail17trampoline_kernelINS0_14default_configENS1_35radix_sort_onesweep_config_selectorIiNS0_10empty_typeEEEZZNS1_29radix_sort_onesweep_iterationIS3_Lb0EN6thrust23THRUST_200600_302600_NS6detail15normal_iteratorINS9_10device_ptrIiEEEESE_PS5_SF_jNS0_19identity_decomposerENS1_16block_id_wrapperIjLb0EEEEE10hipError_tT1_PNSt15iterator_traitsISK_E10value_typeET2_T3_PNSL_ISQ_E10value_typeET4_T5_PSV_SW_PNS1_23onesweep_lookback_stateEbbT6_jjT7_P12ihipStream_tbENKUlT_T0_SK_SP_E_clIPiSE_SF_SF_EEDaS13_S14_SK_SP_EUlS13_E_NS1_11comp_targetILNS1_3genE5ELNS1_11target_archE942ELNS1_3gpuE9ELNS1_3repE0EEENS1_47radix_sort_onesweep_sort_config_static_selectorELNS0_4arch9wavefront6targetE1EEEvSK_.kd
    .uniform_work_group_size: 1
    .uses_dynamic_stack: false
    .vgpr_count:     0
    .vgpr_spill_count: 0
    .wavefront_size: 64
  - .agpr_count:     0
    .args:
      - .offset:         0
        .size:           88
        .value_kind:     by_value
    .group_segment_fixed_size: 0
    .kernarg_segment_align: 8
    .kernarg_segment_size: 88
    .language:       OpenCL C
    .language_version:
      - 2
      - 0
    .max_flat_workgroup_size: 1024
    .name:           _ZN7rocprim17ROCPRIM_400000_NS6detail17trampoline_kernelINS0_14default_configENS1_35radix_sort_onesweep_config_selectorIiNS0_10empty_typeEEEZZNS1_29radix_sort_onesweep_iterationIS3_Lb0EN6thrust23THRUST_200600_302600_NS6detail15normal_iteratorINS9_10device_ptrIiEEEESE_PS5_SF_jNS0_19identity_decomposerENS1_16block_id_wrapperIjLb0EEEEE10hipError_tT1_PNSt15iterator_traitsISK_E10value_typeET2_T3_PNSL_ISQ_E10value_typeET4_T5_PSV_SW_PNS1_23onesweep_lookback_stateEbbT6_jjT7_P12ihipStream_tbENKUlT_T0_SK_SP_E_clIPiSE_SF_SF_EEDaS13_S14_SK_SP_EUlS13_E_NS1_11comp_targetILNS1_3genE2ELNS1_11target_archE906ELNS1_3gpuE6ELNS1_3repE0EEENS1_47radix_sort_onesweep_sort_config_static_selectorELNS0_4arch9wavefront6targetE1EEEvSK_
    .private_segment_fixed_size: 0
    .sgpr_count:     4
    .sgpr_spill_count: 0
    .symbol:         _ZN7rocprim17ROCPRIM_400000_NS6detail17trampoline_kernelINS0_14default_configENS1_35radix_sort_onesweep_config_selectorIiNS0_10empty_typeEEEZZNS1_29radix_sort_onesweep_iterationIS3_Lb0EN6thrust23THRUST_200600_302600_NS6detail15normal_iteratorINS9_10device_ptrIiEEEESE_PS5_SF_jNS0_19identity_decomposerENS1_16block_id_wrapperIjLb0EEEEE10hipError_tT1_PNSt15iterator_traitsISK_E10value_typeET2_T3_PNSL_ISQ_E10value_typeET4_T5_PSV_SW_PNS1_23onesweep_lookback_stateEbbT6_jjT7_P12ihipStream_tbENKUlT_T0_SK_SP_E_clIPiSE_SF_SF_EEDaS13_S14_SK_SP_EUlS13_E_NS1_11comp_targetILNS1_3genE2ELNS1_11target_archE906ELNS1_3gpuE6ELNS1_3repE0EEENS1_47radix_sort_onesweep_sort_config_static_selectorELNS0_4arch9wavefront6targetE1EEEvSK_.kd
    .uniform_work_group_size: 1
    .uses_dynamic_stack: false
    .vgpr_count:     0
    .vgpr_spill_count: 0
    .wavefront_size: 64
  - .agpr_count:     0
    .args:
      - .offset:         0
        .size:           88
        .value_kind:     by_value
      - .offset:         88
        .size:           4
        .value_kind:     hidden_block_count_x
      - .offset:         92
        .size:           4
        .value_kind:     hidden_block_count_y
      - .offset:         96
        .size:           4
        .value_kind:     hidden_block_count_z
      - .offset:         100
        .size:           2
        .value_kind:     hidden_group_size_x
      - .offset:         102
        .size:           2
        .value_kind:     hidden_group_size_y
      - .offset:         104
        .size:           2
        .value_kind:     hidden_group_size_z
      - .offset:         106
        .size:           2
        .value_kind:     hidden_remainder_x
      - .offset:         108
        .size:           2
        .value_kind:     hidden_remainder_y
      - .offset:         110
        .size:           2
        .value_kind:     hidden_remainder_z
      - .offset:         128
        .size:           8
        .value_kind:     hidden_global_offset_x
      - .offset:         136
        .size:           8
        .value_kind:     hidden_global_offset_y
      - .offset:         144
        .size:           8
        .value_kind:     hidden_global_offset_z
      - .offset:         152
        .size:           2
        .value_kind:     hidden_grid_dims
    .group_segment_fixed_size: 20552
    .kernarg_segment_align: 8
    .kernarg_segment_size: 344
    .language:       OpenCL C
    .language_version:
      - 2
      - 0
    .max_flat_workgroup_size: 1024
    .name:           _ZN7rocprim17ROCPRIM_400000_NS6detail17trampoline_kernelINS0_14default_configENS1_35radix_sort_onesweep_config_selectorIiNS0_10empty_typeEEEZZNS1_29radix_sort_onesweep_iterationIS3_Lb0EN6thrust23THRUST_200600_302600_NS6detail15normal_iteratorINS9_10device_ptrIiEEEESE_PS5_SF_jNS0_19identity_decomposerENS1_16block_id_wrapperIjLb0EEEEE10hipError_tT1_PNSt15iterator_traitsISK_E10value_typeET2_T3_PNSL_ISQ_E10value_typeET4_T5_PSV_SW_PNS1_23onesweep_lookback_stateEbbT6_jjT7_P12ihipStream_tbENKUlT_T0_SK_SP_E_clIPiSE_SF_SF_EEDaS13_S14_SK_SP_EUlS13_E_NS1_11comp_targetILNS1_3genE4ELNS1_11target_archE910ELNS1_3gpuE8ELNS1_3repE0EEENS1_47radix_sort_onesweep_sort_config_static_selectorELNS0_4arch9wavefront6targetE1EEEvSK_
    .private_segment_fixed_size: 0
    .sgpr_count:     35
    .sgpr_spill_count: 0
    .symbol:         _ZN7rocprim17ROCPRIM_400000_NS6detail17trampoline_kernelINS0_14default_configENS1_35radix_sort_onesweep_config_selectorIiNS0_10empty_typeEEEZZNS1_29radix_sort_onesweep_iterationIS3_Lb0EN6thrust23THRUST_200600_302600_NS6detail15normal_iteratorINS9_10device_ptrIiEEEESE_PS5_SF_jNS0_19identity_decomposerENS1_16block_id_wrapperIjLb0EEEEE10hipError_tT1_PNSt15iterator_traitsISK_E10value_typeET2_T3_PNSL_ISQ_E10value_typeET4_T5_PSV_SW_PNS1_23onesweep_lookback_stateEbbT6_jjT7_P12ihipStream_tbENKUlT_T0_SK_SP_E_clIPiSE_SF_SF_EEDaS13_S14_SK_SP_EUlS13_E_NS1_11comp_targetILNS1_3genE4ELNS1_11target_archE910ELNS1_3gpuE8ELNS1_3repE0EEENS1_47radix_sort_onesweep_sort_config_static_selectorELNS0_4arch9wavefront6targetE1EEEvSK_.kd
    .uniform_work_group_size: 1
    .uses_dynamic_stack: false
    .vgpr_count:     62
    .vgpr_spill_count: 0
    .wavefront_size: 64
  - .agpr_count:     0
    .args:
      - .offset:         0
        .size:           88
        .value_kind:     by_value
    .group_segment_fixed_size: 0
    .kernarg_segment_align: 8
    .kernarg_segment_size: 88
    .language:       OpenCL C
    .language_version:
      - 2
      - 0
    .max_flat_workgroup_size: 512
    .name:           _ZN7rocprim17ROCPRIM_400000_NS6detail17trampoline_kernelINS0_14default_configENS1_35radix_sort_onesweep_config_selectorIiNS0_10empty_typeEEEZZNS1_29radix_sort_onesweep_iterationIS3_Lb0EN6thrust23THRUST_200600_302600_NS6detail15normal_iteratorINS9_10device_ptrIiEEEESE_PS5_SF_jNS0_19identity_decomposerENS1_16block_id_wrapperIjLb0EEEEE10hipError_tT1_PNSt15iterator_traitsISK_E10value_typeET2_T3_PNSL_ISQ_E10value_typeET4_T5_PSV_SW_PNS1_23onesweep_lookback_stateEbbT6_jjT7_P12ihipStream_tbENKUlT_T0_SK_SP_E_clIPiSE_SF_SF_EEDaS13_S14_SK_SP_EUlS13_E_NS1_11comp_targetILNS1_3genE3ELNS1_11target_archE908ELNS1_3gpuE7ELNS1_3repE0EEENS1_47radix_sort_onesweep_sort_config_static_selectorELNS0_4arch9wavefront6targetE1EEEvSK_
    .private_segment_fixed_size: 0
    .sgpr_count:     4
    .sgpr_spill_count: 0
    .symbol:         _ZN7rocprim17ROCPRIM_400000_NS6detail17trampoline_kernelINS0_14default_configENS1_35radix_sort_onesweep_config_selectorIiNS0_10empty_typeEEEZZNS1_29radix_sort_onesweep_iterationIS3_Lb0EN6thrust23THRUST_200600_302600_NS6detail15normal_iteratorINS9_10device_ptrIiEEEESE_PS5_SF_jNS0_19identity_decomposerENS1_16block_id_wrapperIjLb0EEEEE10hipError_tT1_PNSt15iterator_traitsISK_E10value_typeET2_T3_PNSL_ISQ_E10value_typeET4_T5_PSV_SW_PNS1_23onesweep_lookback_stateEbbT6_jjT7_P12ihipStream_tbENKUlT_T0_SK_SP_E_clIPiSE_SF_SF_EEDaS13_S14_SK_SP_EUlS13_E_NS1_11comp_targetILNS1_3genE3ELNS1_11target_archE908ELNS1_3gpuE7ELNS1_3repE0EEENS1_47radix_sort_onesweep_sort_config_static_selectorELNS0_4arch9wavefront6targetE1EEEvSK_.kd
    .uniform_work_group_size: 1
    .uses_dynamic_stack: false
    .vgpr_count:     0
    .vgpr_spill_count: 0
    .wavefront_size: 64
  - .agpr_count:     0
    .args:
      - .offset:         0
        .size:           88
        .value_kind:     by_value
    .group_segment_fixed_size: 0
    .kernarg_segment_align: 8
    .kernarg_segment_size: 88
    .language:       OpenCL C
    .language_version:
      - 2
      - 0
    .max_flat_workgroup_size: 1024
    .name:           _ZN7rocprim17ROCPRIM_400000_NS6detail17trampoline_kernelINS0_14default_configENS1_35radix_sort_onesweep_config_selectorIiNS0_10empty_typeEEEZZNS1_29radix_sort_onesweep_iterationIS3_Lb0EN6thrust23THRUST_200600_302600_NS6detail15normal_iteratorINS9_10device_ptrIiEEEESE_PS5_SF_jNS0_19identity_decomposerENS1_16block_id_wrapperIjLb0EEEEE10hipError_tT1_PNSt15iterator_traitsISK_E10value_typeET2_T3_PNSL_ISQ_E10value_typeET4_T5_PSV_SW_PNS1_23onesweep_lookback_stateEbbT6_jjT7_P12ihipStream_tbENKUlT_T0_SK_SP_E_clIPiSE_SF_SF_EEDaS13_S14_SK_SP_EUlS13_E_NS1_11comp_targetILNS1_3genE10ELNS1_11target_archE1201ELNS1_3gpuE5ELNS1_3repE0EEENS1_47radix_sort_onesweep_sort_config_static_selectorELNS0_4arch9wavefront6targetE1EEEvSK_
    .private_segment_fixed_size: 0
    .sgpr_count:     4
    .sgpr_spill_count: 0
    .symbol:         _ZN7rocprim17ROCPRIM_400000_NS6detail17trampoline_kernelINS0_14default_configENS1_35radix_sort_onesweep_config_selectorIiNS0_10empty_typeEEEZZNS1_29radix_sort_onesweep_iterationIS3_Lb0EN6thrust23THRUST_200600_302600_NS6detail15normal_iteratorINS9_10device_ptrIiEEEESE_PS5_SF_jNS0_19identity_decomposerENS1_16block_id_wrapperIjLb0EEEEE10hipError_tT1_PNSt15iterator_traitsISK_E10value_typeET2_T3_PNSL_ISQ_E10value_typeET4_T5_PSV_SW_PNS1_23onesweep_lookback_stateEbbT6_jjT7_P12ihipStream_tbENKUlT_T0_SK_SP_E_clIPiSE_SF_SF_EEDaS13_S14_SK_SP_EUlS13_E_NS1_11comp_targetILNS1_3genE10ELNS1_11target_archE1201ELNS1_3gpuE5ELNS1_3repE0EEENS1_47radix_sort_onesweep_sort_config_static_selectorELNS0_4arch9wavefront6targetE1EEEvSK_.kd
    .uniform_work_group_size: 1
    .uses_dynamic_stack: false
    .vgpr_count:     0
    .vgpr_spill_count: 0
    .wavefront_size: 64
  - .agpr_count:     0
    .args:
      - .offset:         0
        .size:           88
        .value_kind:     by_value
    .group_segment_fixed_size: 0
    .kernarg_segment_align: 8
    .kernarg_segment_size: 88
    .language:       OpenCL C
    .language_version:
      - 2
      - 0
    .max_flat_workgroup_size: 1024
    .name:           _ZN7rocprim17ROCPRIM_400000_NS6detail17trampoline_kernelINS0_14default_configENS1_35radix_sort_onesweep_config_selectorIiNS0_10empty_typeEEEZZNS1_29radix_sort_onesweep_iterationIS3_Lb0EN6thrust23THRUST_200600_302600_NS6detail15normal_iteratorINS9_10device_ptrIiEEEESE_PS5_SF_jNS0_19identity_decomposerENS1_16block_id_wrapperIjLb0EEEEE10hipError_tT1_PNSt15iterator_traitsISK_E10value_typeET2_T3_PNSL_ISQ_E10value_typeET4_T5_PSV_SW_PNS1_23onesweep_lookback_stateEbbT6_jjT7_P12ihipStream_tbENKUlT_T0_SK_SP_E_clIPiSE_SF_SF_EEDaS13_S14_SK_SP_EUlS13_E_NS1_11comp_targetILNS1_3genE9ELNS1_11target_archE1100ELNS1_3gpuE3ELNS1_3repE0EEENS1_47radix_sort_onesweep_sort_config_static_selectorELNS0_4arch9wavefront6targetE1EEEvSK_
    .private_segment_fixed_size: 0
    .sgpr_count:     4
    .sgpr_spill_count: 0
    .symbol:         _ZN7rocprim17ROCPRIM_400000_NS6detail17trampoline_kernelINS0_14default_configENS1_35radix_sort_onesweep_config_selectorIiNS0_10empty_typeEEEZZNS1_29radix_sort_onesweep_iterationIS3_Lb0EN6thrust23THRUST_200600_302600_NS6detail15normal_iteratorINS9_10device_ptrIiEEEESE_PS5_SF_jNS0_19identity_decomposerENS1_16block_id_wrapperIjLb0EEEEE10hipError_tT1_PNSt15iterator_traitsISK_E10value_typeET2_T3_PNSL_ISQ_E10value_typeET4_T5_PSV_SW_PNS1_23onesweep_lookback_stateEbbT6_jjT7_P12ihipStream_tbENKUlT_T0_SK_SP_E_clIPiSE_SF_SF_EEDaS13_S14_SK_SP_EUlS13_E_NS1_11comp_targetILNS1_3genE9ELNS1_11target_archE1100ELNS1_3gpuE3ELNS1_3repE0EEENS1_47radix_sort_onesweep_sort_config_static_selectorELNS0_4arch9wavefront6targetE1EEEvSK_.kd
    .uniform_work_group_size: 1
    .uses_dynamic_stack: false
    .vgpr_count:     0
    .vgpr_spill_count: 0
    .wavefront_size: 64
  - .agpr_count:     0
    .args:
      - .offset:         0
        .size:           88
        .value_kind:     by_value
    .group_segment_fixed_size: 0
    .kernarg_segment_align: 8
    .kernarg_segment_size: 88
    .language:       OpenCL C
    .language_version:
      - 2
      - 0
    .max_flat_workgroup_size: 1024
    .name:           _ZN7rocprim17ROCPRIM_400000_NS6detail17trampoline_kernelINS0_14default_configENS1_35radix_sort_onesweep_config_selectorIiNS0_10empty_typeEEEZZNS1_29radix_sort_onesweep_iterationIS3_Lb0EN6thrust23THRUST_200600_302600_NS6detail15normal_iteratorINS9_10device_ptrIiEEEESE_PS5_SF_jNS0_19identity_decomposerENS1_16block_id_wrapperIjLb0EEEEE10hipError_tT1_PNSt15iterator_traitsISK_E10value_typeET2_T3_PNSL_ISQ_E10value_typeET4_T5_PSV_SW_PNS1_23onesweep_lookback_stateEbbT6_jjT7_P12ihipStream_tbENKUlT_T0_SK_SP_E_clIPiSE_SF_SF_EEDaS13_S14_SK_SP_EUlS13_E_NS1_11comp_targetILNS1_3genE8ELNS1_11target_archE1030ELNS1_3gpuE2ELNS1_3repE0EEENS1_47radix_sort_onesweep_sort_config_static_selectorELNS0_4arch9wavefront6targetE1EEEvSK_
    .private_segment_fixed_size: 0
    .sgpr_count:     4
    .sgpr_spill_count: 0
    .symbol:         _ZN7rocprim17ROCPRIM_400000_NS6detail17trampoline_kernelINS0_14default_configENS1_35radix_sort_onesweep_config_selectorIiNS0_10empty_typeEEEZZNS1_29radix_sort_onesweep_iterationIS3_Lb0EN6thrust23THRUST_200600_302600_NS6detail15normal_iteratorINS9_10device_ptrIiEEEESE_PS5_SF_jNS0_19identity_decomposerENS1_16block_id_wrapperIjLb0EEEEE10hipError_tT1_PNSt15iterator_traitsISK_E10value_typeET2_T3_PNSL_ISQ_E10value_typeET4_T5_PSV_SW_PNS1_23onesweep_lookback_stateEbbT6_jjT7_P12ihipStream_tbENKUlT_T0_SK_SP_E_clIPiSE_SF_SF_EEDaS13_S14_SK_SP_EUlS13_E_NS1_11comp_targetILNS1_3genE8ELNS1_11target_archE1030ELNS1_3gpuE2ELNS1_3repE0EEENS1_47radix_sort_onesweep_sort_config_static_selectorELNS0_4arch9wavefront6targetE1EEEvSK_.kd
    .uniform_work_group_size: 1
    .uses_dynamic_stack: false
    .vgpr_count:     0
    .vgpr_spill_count: 0
    .wavefront_size: 64
  - .agpr_count:     0
    .args:
      - .offset:         0
        .size:           48
        .value_kind:     by_value
    .group_segment_fixed_size: 0
    .kernarg_segment_align: 8
    .kernarg_segment_size: 48
    .language:       OpenCL C
    .language_version:
      - 2
      - 0
    .max_flat_workgroup_size: 256
    .name:           _ZN7rocprim17ROCPRIM_400000_NS6detail17trampoline_kernelINS0_13kernel_configILj256ELj4ELj4294967295EEENS1_37radix_sort_block_sort_config_selectorIsNS0_10empty_typeEEEZNS1_21radix_sort_block_sortIS4_Lb0EN6thrust23THRUST_200600_302600_NS6detail15normal_iteratorINSA_10device_ptrIsEEEESF_PS6_SG_NS0_19identity_decomposerEEE10hipError_tT1_T2_T3_T4_jRjT5_jjP12ihipStream_tbEUlT_E_NS1_11comp_targetILNS1_3genE0ELNS1_11target_archE4294967295ELNS1_3gpuE0ELNS1_3repE0EEENS1_44radix_sort_block_sort_config_static_selectorELNS0_4arch9wavefront6targetE1EEEvSJ_
    .private_segment_fixed_size: 0
    .sgpr_count:     4
    .sgpr_spill_count: 0
    .symbol:         _ZN7rocprim17ROCPRIM_400000_NS6detail17trampoline_kernelINS0_13kernel_configILj256ELj4ELj4294967295EEENS1_37radix_sort_block_sort_config_selectorIsNS0_10empty_typeEEEZNS1_21radix_sort_block_sortIS4_Lb0EN6thrust23THRUST_200600_302600_NS6detail15normal_iteratorINSA_10device_ptrIsEEEESF_PS6_SG_NS0_19identity_decomposerEEE10hipError_tT1_T2_T3_T4_jRjT5_jjP12ihipStream_tbEUlT_E_NS1_11comp_targetILNS1_3genE0ELNS1_11target_archE4294967295ELNS1_3gpuE0ELNS1_3repE0EEENS1_44radix_sort_block_sort_config_static_selectorELNS0_4arch9wavefront6targetE1EEEvSJ_.kd
    .uniform_work_group_size: 1
    .uses_dynamic_stack: false
    .vgpr_count:     0
    .vgpr_spill_count: 0
    .wavefront_size: 64
  - .agpr_count:     0
    .args:
      - .offset:         0
        .size:           48
        .value_kind:     by_value
    .group_segment_fixed_size: 0
    .kernarg_segment_align: 8
    .kernarg_segment_size: 48
    .language:       OpenCL C
    .language_version:
      - 2
      - 0
    .max_flat_workgroup_size: 256
    .name:           _ZN7rocprim17ROCPRIM_400000_NS6detail17trampoline_kernelINS0_13kernel_configILj256ELj4ELj4294967295EEENS1_37radix_sort_block_sort_config_selectorIsNS0_10empty_typeEEEZNS1_21radix_sort_block_sortIS4_Lb0EN6thrust23THRUST_200600_302600_NS6detail15normal_iteratorINSA_10device_ptrIsEEEESF_PS6_SG_NS0_19identity_decomposerEEE10hipError_tT1_T2_T3_T4_jRjT5_jjP12ihipStream_tbEUlT_E_NS1_11comp_targetILNS1_3genE5ELNS1_11target_archE942ELNS1_3gpuE9ELNS1_3repE0EEENS1_44radix_sort_block_sort_config_static_selectorELNS0_4arch9wavefront6targetE1EEEvSJ_
    .private_segment_fixed_size: 0
    .sgpr_count:     4
    .sgpr_spill_count: 0
    .symbol:         _ZN7rocprim17ROCPRIM_400000_NS6detail17trampoline_kernelINS0_13kernel_configILj256ELj4ELj4294967295EEENS1_37radix_sort_block_sort_config_selectorIsNS0_10empty_typeEEEZNS1_21radix_sort_block_sortIS4_Lb0EN6thrust23THRUST_200600_302600_NS6detail15normal_iteratorINSA_10device_ptrIsEEEESF_PS6_SG_NS0_19identity_decomposerEEE10hipError_tT1_T2_T3_T4_jRjT5_jjP12ihipStream_tbEUlT_E_NS1_11comp_targetILNS1_3genE5ELNS1_11target_archE942ELNS1_3gpuE9ELNS1_3repE0EEENS1_44radix_sort_block_sort_config_static_selectorELNS0_4arch9wavefront6targetE1EEEvSJ_.kd
    .uniform_work_group_size: 1
    .uses_dynamic_stack: false
    .vgpr_count:     0
    .vgpr_spill_count: 0
    .wavefront_size: 64
  - .agpr_count:     0
    .args:
      - .offset:         0
        .size:           48
        .value_kind:     by_value
      - .offset:         48
        .size:           4
        .value_kind:     hidden_block_count_x
      - .offset:         52
        .size:           4
        .value_kind:     hidden_block_count_y
      - .offset:         56
        .size:           4
        .value_kind:     hidden_block_count_z
      - .offset:         60
        .size:           2
        .value_kind:     hidden_group_size_x
      - .offset:         62
        .size:           2
        .value_kind:     hidden_group_size_y
      - .offset:         64
        .size:           2
        .value_kind:     hidden_group_size_z
      - .offset:         66
        .size:           2
        .value_kind:     hidden_remainder_x
      - .offset:         68
        .size:           2
        .value_kind:     hidden_remainder_y
      - .offset:         70
        .size:           2
        .value_kind:     hidden_remainder_z
      - .offset:         88
        .size:           8
        .value_kind:     hidden_global_offset_x
      - .offset:         96
        .size:           8
        .value_kind:     hidden_global_offset_y
      - .offset:         104
        .size:           8
        .value_kind:     hidden_global_offset_z
      - .offset:         112
        .size:           2
        .value_kind:     hidden_grid_dims
    .group_segment_fixed_size: 4112
    .kernarg_segment_align: 8
    .kernarg_segment_size: 304
    .language:       OpenCL C
    .language_version:
      - 2
      - 0
    .max_flat_workgroup_size: 256
    .name:           _ZN7rocprim17ROCPRIM_400000_NS6detail17trampoline_kernelINS0_13kernel_configILj256ELj4ELj4294967295EEENS1_37radix_sort_block_sort_config_selectorIsNS0_10empty_typeEEEZNS1_21radix_sort_block_sortIS4_Lb0EN6thrust23THRUST_200600_302600_NS6detail15normal_iteratorINSA_10device_ptrIsEEEESF_PS6_SG_NS0_19identity_decomposerEEE10hipError_tT1_T2_T3_T4_jRjT5_jjP12ihipStream_tbEUlT_E_NS1_11comp_targetILNS1_3genE4ELNS1_11target_archE910ELNS1_3gpuE8ELNS1_3repE0EEENS1_44radix_sort_block_sort_config_static_selectorELNS0_4arch9wavefront6targetE1EEEvSJ_
    .private_segment_fixed_size: 0
    .sgpr_count:     48
    .sgpr_spill_count: 0
    .symbol:         _ZN7rocprim17ROCPRIM_400000_NS6detail17trampoline_kernelINS0_13kernel_configILj256ELj4ELj4294967295EEENS1_37radix_sort_block_sort_config_selectorIsNS0_10empty_typeEEEZNS1_21radix_sort_block_sortIS4_Lb0EN6thrust23THRUST_200600_302600_NS6detail15normal_iteratorINSA_10device_ptrIsEEEESF_PS6_SG_NS0_19identity_decomposerEEE10hipError_tT1_T2_T3_T4_jRjT5_jjP12ihipStream_tbEUlT_E_NS1_11comp_targetILNS1_3genE4ELNS1_11target_archE910ELNS1_3gpuE8ELNS1_3repE0EEENS1_44radix_sort_block_sort_config_static_selectorELNS0_4arch9wavefront6targetE1EEEvSJ_.kd
    .uniform_work_group_size: 1
    .uses_dynamic_stack: false
    .vgpr_count:     38
    .vgpr_spill_count: 0
    .wavefront_size: 64
  - .agpr_count:     0
    .args:
      - .offset:         0
        .size:           48
        .value_kind:     by_value
    .group_segment_fixed_size: 0
    .kernarg_segment_align: 8
    .kernarg_segment_size: 48
    .language:       OpenCL C
    .language_version:
      - 2
      - 0
    .max_flat_workgroup_size: 256
    .name:           _ZN7rocprim17ROCPRIM_400000_NS6detail17trampoline_kernelINS0_13kernel_configILj256ELj4ELj4294967295EEENS1_37radix_sort_block_sort_config_selectorIsNS0_10empty_typeEEEZNS1_21radix_sort_block_sortIS4_Lb0EN6thrust23THRUST_200600_302600_NS6detail15normal_iteratorINSA_10device_ptrIsEEEESF_PS6_SG_NS0_19identity_decomposerEEE10hipError_tT1_T2_T3_T4_jRjT5_jjP12ihipStream_tbEUlT_E_NS1_11comp_targetILNS1_3genE3ELNS1_11target_archE908ELNS1_3gpuE7ELNS1_3repE0EEENS1_44radix_sort_block_sort_config_static_selectorELNS0_4arch9wavefront6targetE1EEEvSJ_
    .private_segment_fixed_size: 0
    .sgpr_count:     4
    .sgpr_spill_count: 0
    .symbol:         _ZN7rocprim17ROCPRIM_400000_NS6detail17trampoline_kernelINS0_13kernel_configILj256ELj4ELj4294967295EEENS1_37radix_sort_block_sort_config_selectorIsNS0_10empty_typeEEEZNS1_21radix_sort_block_sortIS4_Lb0EN6thrust23THRUST_200600_302600_NS6detail15normal_iteratorINSA_10device_ptrIsEEEESF_PS6_SG_NS0_19identity_decomposerEEE10hipError_tT1_T2_T3_T4_jRjT5_jjP12ihipStream_tbEUlT_E_NS1_11comp_targetILNS1_3genE3ELNS1_11target_archE908ELNS1_3gpuE7ELNS1_3repE0EEENS1_44radix_sort_block_sort_config_static_selectorELNS0_4arch9wavefront6targetE1EEEvSJ_.kd
    .uniform_work_group_size: 1
    .uses_dynamic_stack: false
    .vgpr_count:     0
    .vgpr_spill_count: 0
    .wavefront_size: 64
  - .agpr_count:     0
    .args:
      - .offset:         0
        .size:           48
        .value_kind:     by_value
    .group_segment_fixed_size: 0
    .kernarg_segment_align: 8
    .kernarg_segment_size: 48
    .language:       OpenCL C
    .language_version:
      - 2
      - 0
    .max_flat_workgroup_size: 256
    .name:           _ZN7rocprim17ROCPRIM_400000_NS6detail17trampoline_kernelINS0_13kernel_configILj256ELj4ELj4294967295EEENS1_37radix_sort_block_sort_config_selectorIsNS0_10empty_typeEEEZNS1_21radix_sort_block_sortIS4_Lb0EN6thrust23THRUST_200600_302600_NS6detail15normal_iteratorINSA_10device_ptrIsEEEESF_PS6_SG_NS0_19identity_decomposerEEE10hipError_tT1_T2_T3_T4_jRjT5_jjP12ihipStream_tbEUlT_E_NS1_11comp_targetILNS1_3genE2ELNS1_11target_archE906ELNS1_3gpuE6ELNS1_3repE0EEENS1_44radix_sort_block_sort_config_static_selectorELNS0_4arch9wavefront6targetE1EEEvSJ_
    .private_segment_fixed_size: 0
    .sgpr_count:     4
    .sgpr_spill_count: 0
    .symbol:         _ZN7rocprim17ROCPRIM_400000_NS6detail17trampoline_kernelINS0_13kernel_configILj256ELj4ELj4294967295EEENS1_37radix_sort_block_sort_config_selectorIsNS0_10empty_typeEEEZNS1_21radix_sort_block_sortIS4_Lb0EN6thrust23THRUST_200600_302600_NS6detail15normal_iteratorINSA_10device_ptrIsEEEESF_PS6_SG_NS0_19identity_decomposerEEE10hipError_tT1_T2_T3_T4_jRjT5_jjP12ihipStream_tbEUlT_E_NS1_11comp_targetILNS1_3genE2ELNS1_11target_archE906ELNS1_3gpuE6ELNS1_3repE0EEENS1_44radix_sort_block_sort_config_static_selectorELNS0_4arch9wavefront6targetE1EEEvSJ_.kd
    .uniform_work_group_size: 1
    .uses_dynamic_stack: false
    .vgpr_count:     0
    .vgpr_spill_count: 0
    .wavefront_size: 64
  - .agpr_count:     0
    .args:
      - .offset:         0
        .size:           48
        .value_kind:     by_value
    .group_segment_fixed_size: 0
    .kernarg_segment_align: 8
    .kernarg_segment_size: 48
    .language:       OpenCL C
    .language_version:
      - 2
      - 0
    .max_flat_workgroup_size: 256
    .name:           _ZN7rocprim17ROCPRIM_400000_NS6detail17trampoline_kernelINS0_13kernel_configILj256ELj4ELj4294967295EEENS1_37radix_sort_block_sort_config_selectorIsNS0_10empty_typeEEEZNS1_21radix_sort_block_sortIS4_Lb0EN6thrust23THRUST_200600_302600_NS6detail15normal_iteratorINSA_10device_ptrIsEEEESF_PS6_SG_NS0_19identity_decomposerEEE10hipError_tT1_T2_T3_T4_jRjT5_jjP12ihipStream_tbEUlT_E_NS1_11comp_targetILNS1_3genE10ELNS1_11target_archE1201ELNS1_3gpuE5ELNS1_3repE0EEENS1_44radix_sort_block_sort_config_static_selectorELNS0_4arch9wavefront6targetE1EEEvSJ_
    .private_segment_fixed_size: 0
    .sgpr_count:     4
    .sgpr_spill_count: 0
    .symbol:         _ZN7rocprim17ROCPRIM_400000_NS6detail17trampoline_kernelINS0_13kernel_configILj256ELj4ELj4294967295EEENS1_37radix_sort_block_sort_config_selectorIsNS0_10empty_typeEEEZNS1_21radix_sort_block_sortIS4_Lb0EN6thrust23THRUST_200600_302600_NS6detail15normal_iteratorINSA_10device_ptrIsEEEESF_PS6_SG_NS0_19identity_decomposerEEE10hipError_tT1_T2_T3_T4_jRjT5_jjP12ihipStream_tbEUlT_E_NS1_11comp_targetILNS1_3genE10ELNS1_11target_archE1201ELNS1_3gpuE5ELNS1_3repE0EEENS1_44radix_sort_block_sort_config_static_selectorELNS0_4arch9wavefront6targetE1EEEvSJ_.kd
    .uniform_work_group_size: 1
    .uses_dynamic_stack: false
    .vgpr_count:     0
    .vgpr_spill_count: 0
    .wavefront_size: 64
  - .agpr_count:     0
    .args:
      - .offset:         0
        .size:           48
        .value_kind:     by_value
    .group_segment_fixed_size: 0
    .kernarg_segment_align: 8
    .kernarg_segment_size: 48
    .language:       OpenCL C
    .language_version:
      - 2
      - 0
    .max_flat_workgroup_size: 256
    .name:           _ZN7rocprim17ROCPRIM_400000_NS6detail17trampoline_kernelINS0_13kernel_configILj256ELj4ELj4294967295EEENS1_37radix_sort_block_sort_config_selectorIsNS0_10empty_typeEEEZNS1_21radix_sort_block_sortIS4_Lb0EN6thrust23THRUST_200600_302600_NS6detail15normal_iteratorINSA_10device_ptrIsEEEESF_PS6_SG_NS0_19identity_decomposerEEE10hipError_tT1_T2_T3_T4_jRjT5_jjP12ihipStream_tbEUlT_E_NS1_11comp_targetILNS1_3genE10ELNS1_11target_archE1200ELNS1_3gpuE4ELNS1_3repE0EEENS1_44radix_sort_block_sort_config_static_selectorELNS0_4arch9wavefront6targetE1EEEvSJ_
    .private_segment_fixed_size: 0
    .sgpr_count:     4
    .sgpr_spill_count: 0
    .symbol:         _ZN7rocprim17ROCPRIM_400000_NS6detail17trampoline_kernelINS0_13kernel_configILj256ELj4ELj4294967295EEENS1_37radix_sort_block_sort_config_selectorIsNS0_10empty_typeEEEZNS1_21radix_sort_block_sortIS4_Lb0EN6thrust23THRUST_200600_302600_NS6detail15normal_iteratorINSA_10device_ptrIsEEEESF_PS6_SG_NS0_19identity_decomposerEEE10hipError_tT1_T2_T3_T4_jRjT5_jjP12ihipStream_tbEUlT_E_NS1_11comp_targetILNS1_3genE10ELNS1_11target_archE1200ELNS1_3gpuE4ELNS1_3repE0EEENS1_44radix_sort_block_sort_config_static_selectorELNS0_4arch9wavefront6targetE1EEEvSJ_.kd
    .uniform_work_group_size: 1
    .uses_dynamic_stack: false
    .vgpr_count:     0
    .vgpr_spill_count: 0
    .wavefront_size: 64
  - .agpr_count:     0
    .args:
      - .offset:         0
        .size:           48
        .value_kind:     by_value
    .group_segment_fixed_size: 0
    .kernarg_segment_align: 8
    .kernarg_segment_size: 48
    .language:       OpenCL C
    .language_version:
      - 2
      - 0
    .max_flat_workgroup_size: 256
    .name:           _ZN7rocprim17ROCPRIM_400000_NS6detail17trampoline_kernelINS0_13kernel_configILj256ELj4ELj4294967295EEENS1_37radix_sort_block_sort_config_selectorIsNS0_10empty_typeEEEZNS1_21radix_sort_block_sortIS4_Lb0EN6thrust23THRUST_200600_302600_NS6detail15normal_iteratorINSA_10device_ptrIsEEEESF_PS6_SG_NS0_19identity_decomposerEEE10hipError_tT1_T2_T3_T4_jRjT5_jjP12ihipStream_tbEUlT_E_NS1_11comp_targetILNS1_3genE9ELNS1_11target_archE1100ELNS1_3gpuE3ELNS1_3repE0EEENS1_44radix_sort_block_sort_config_static_selectorELNS0_4arch9wavefront6targetE1EEEvSJ_
    .private_segment_fixed_size: 0
    .sgpr_count:     4
    .sgpr_spill_count: 0
    .symbol:         _ZN7rocprim17ROCPRIM_400000_NS6detail17trampoline_kernelINS0_13kernel_configILj256ELj4ELj4294967295EEENS1_37radix_sort_block_sort_config_selectorIsNS0_10empty_typeEEEZNS1_21radix_sort_block_sortIS4_Lb0EN6thrust23THRUST_200600_302600_NS6detail15normal_iteratorINSA_10device_ptrIsEEEESF_PS6_SG_NS0_19identity_decomposerEEE10hipError_tT1_T2_T3_T4_jRjT5_jjP12ihipStream_tbEUlT_E_NS1_11comp_targetILNS1_3genE9ELNS1_11target_archE1100ELNS1_3gpuE3ELNS1_3repE0EEENS1_44radix_sort_block_sort_config_static_selectorELNS0_4arch9wavefront6targetE1EEEvSJ_.kd
    .uniform_work_group_size: 1
    .uses_dynamic_stack: false
    .vgpr_count:     0
    .vgpr_spill_count: 0
    .wavefront_size: 64
  - .agpr_count:     0
    .args:
      - .offset:         0
        .size:           48
        .value_kind:     by_value
    .group_segment_fixed_size: 0
    .kernarg_segment_align: 8
    .kernarg_segment_size: 48
    .language:       OpenCL C
    .language_version:
      - 2
      - 0
    .max_flat_workgroup_size: 256
    .name:           _ZN7rocprim17ROCPRIM_400000_NS6detail17trampoline_kernelINS0_13kernel_configILj256ELj4ELj4294967295EEENS1_37radix_sort_block_sort_config_selectorIsNS0_10empty_typeEEEZNS1_21radix_sort_block_sortIS4_Lb0EN6thrust23THRUST_200600_302600_NS6detail15normal_iteratorINSA_10device_ptrIsEEEESF_PS6_SG_NS0_19identity_decomposerEEE10hipError_tT1_T2_T3_T4_jRjT5_jjP12ihipStream_tbEUlT_E_NS1_11comp_targetILNS1_3genE8ELNS1_11target_archE1030ELNS1_3gpuE2ELNS1_3repE0EEENS1_44radix_sort_block_sort_config_static_selectorELNS0_4arch9wavefront6targetE1EEEvSJ_
    .private_segment_fixed_size: 0
    .sgpr_count:     4
    .sgpr_spill_count: 0
    .symbol:         _ZN7rocprim17ROCPRIM_400000_NS6detail17trampoline_kernelINS0_13kernel_configILj256ELj4ELj4294967295EEENS1_37radix_sort_block_sort_config_selectorIsNS0_10empty_typeEEEZNS1_21radix_sort_block_sortIS4_Lb0EN6thrust23THRUST_200600_302600_NS6detail15normal_iteratorINSA_10device_ptrIsEEEESF_PS6_SG_NS0_19identity_decomposerEEE10hipError_tT1_T2_T3_T4_jRjT5_jjP12ihipStream_tbEUlT_E_NS1_11comp_targetILNS1_3genE8ELNS1_11target_archE1030ELNS1_3gpuE2ELNS1_3repE0EEENS1_44radix_sort_block_sort_config_static_selectorELNS0_4arch9wavefront6targetE1EEEvSJ_.kd
    .uniform_work_group_size: 1
    .uses_dynamic_stack: false
    .vgpr_count:     0
    .vgpr_spill_count: 0
    .wavefront_size: 64
  - .agpr_count:     0
    .args:           []
    .group_segment_fixed_size: 0
    .kernarg_segment_align: 4
    .kernarg_segment_size: 0
    .language:       OpenCL C
    .language_version:
      - 2
      - 0
    .max_flat_workgroup_size: 1024
    .name:           _ZN7rocprim17ROCPRIM_400000_NS6detail44device_merge_sort_compile_time_verifier_archINS1_11comp_targetILNS1_3genE0ELNS1_11target_archE4294967295ELNS1_3gpuE0ELNS1_3repE0EEES8_NS1_28merge_sort_block_sort_configILj256ELj4ELNS0_20block_sort_algorithmE0EEENS0_14default_configENS1_37merge_sort_block_sort_config_selectorIsNS0_10empty_typeEEENS1_38merge_sort_block_merge_config_selectorIsSE_EEEEvv
    .private_segment_fixed_size: 0
    .sgpr_count:     4
    .sgpr_spill_count: 0
    .symbol:         _ZN7rocprim17ROCPRIM_400000_NS6detail44device_merge_sort_compile_time_verifier_archINS1_11comp_targetILNS1_3genE0ELNS1_11target_archE4294967295ELNS1_3gpuE0ELNS1_3repE0EEES8_NS1_28merge_sort_block_sort_configILj256ELj4ELNS0_20block_sort_algorithmE0EEENS0_14default_configENS1_37merge_sort_block_sort_config_selectorIsNS0_10empty_typeEEENS1_38merge_sort_block_merge_config_selectorIsSE_EEEEvv.kd
    .uniform_work_group_size: 1
    .uses_dynamic_stack: false
    .vgpr_count:     0
    .vgpr_spill_count: 0
    .wavefront_size: 64
  - .agpr_count:     0
    .args:           []
    .group_segment_fixed_size: 0
    .kernarg_segment_align: 4
    .kernarg_segment_size: 0
    .language:       OpenCL C
    .language_version:
      - 2
      - 0
    .max_flat_workgroup_size: 1024
    .name:           _ZN7rocprim17ROCPRIM_400000_NS6detail44device_merge_sort_compile_time_verifier_archINS1_11comp_targetILNS1_3genE5ELNS1_11target_archE942ELNS1_3gpuE9ELNS1_3repE0EEES8_NS1_28merge_sort_block_sort_configILj256ELj4ELNS0_20block_sort_algorithmE0EEENS0_14default_configENS1_37merge_sort_block_sort_config_selectorIsNS0_10empty_typeEEENS1_38merge_sort_block_merge_config_selectorIsSE_EEEEvv
    .private_segment_fixed_size: 0
    .sgpr_count:     4
    .sgpr_spill_count: 0
    .symbol:         _ZN7rocprim17ROCPRIM_400000_NS6detail44device_merge_sort_compile_time_verifier_archINS1_11comp_targetILNS1_3genE5ELNS1_11target_archE942ELNS1_3gpuE9ELNS1_3repE0EEES8_NS1_28merge_sort_block_sort_configILj256ELj4ELNS0_20block_sort_algorithmE0EEENS0_14default_configENS1_37merge_sort_block_sort_config_selectorIsNS0_10empty_typeEEENS1_38merge_sort_block_merge_config_selectorIsSE_EEEEvv.kd
    .uniform_work_group_size: 1
    .uses_dynamic_stack: false
    .vgpr_count:     0
    .vgpr_spill_count: 0
    .wavefront_size: 64
  - .agpr_count:     0
    .args:           []
    .group_segment_fixed_size: 0
    .kernarg_segment_align: 4
    .kernarg_segment_size: 0
    .language:       OpenCL C
    .language_version:
      - 2
      - 0
    .max_flat_workgroup_size: 1024
    .name:           _ZN7rocprim17ROCPRIM_400000_NS6detail44device_merge_sort_compile_time_verifier_archINS1_11comp_targetILNS1_3genE4ELNS1_11target_archE910ELNS1_3gpuE8ELNS1_3repE0EEES8_NS1_28merge_sort_block_sort_configILj256ELj4ELNS0_20block_sort_algorithmE0EEENS0_14default_configENS1_37merge_sort_block_sort_config_selectorIsNS0_10empty_typeEEENS1_38merge_sort_block_merge_config_selectorIsSE_EEEEvv
    .private_segment_fixed_size: 0
    .sgpr_count:     4
    .sgpr_spill_count: 0
    .symbol:         _ZN7rocprim17ROCPRIM_400000_NS6detail44device_merge_sort_compile_time_verifier_archINS1_11comp_targetILNS1_3genE4ELNS1_11target_archE910ELNS1_3gpuE8ELNS1_3repE0EEES8_NS1_28merge_sort_block_sort_configILj256ELj4ELNS0_20block_sort_algorithmE0EEENS0_14default_configENS1_37merge_sort_block_sort_config_selectorIsNS0_10empty_typeEEENS1_38merge_sort_block_merge_config_selectorIsSE_EEEEvv.kd
    .uniform_work_group_size: 1
    .uses_dynamic_stack: false
    .vgpr_count:     0
    .vgpr_spill_count: 0
    .wavefront_size: 64
  - .agpr_count:     0
    .args:           []
    .group_segment_fixed_size: 0
    .kernarg_segment_align: 4
    .kernarg_segment_size: 0
    .language:       OpenCL C
    .language_version:
      - 2
      - 0
    .max_flat_workgroup_size: 1024
    .name:           _ZN7rocprim17ROCPRIM_400000_NS6detail44device_merge_sort_compile_time_verifier_archINS1_11comp_targetILNS1_3genE3ELNS1_11target_archE908ELNS1_3gpuE7ELNS1_3repE0EEES8_NS1_28merge_sort_block_sort_configILj256ELj4ELNS0_20block_sort_algorithmE0EEENS0_14default_configENS1_37merge_sort_block_sort_config_selectorIsNS0_10empty_typeEEENS1_38merge_sort_block_merge_config_selectorIsSE_EEEEvv
    .private_segment_fixed_size: 0
    .sgpr_count:     4
    .sgpr_spill_count: 0
    .symbol:         _ZN7rocprim17ROCPRIM_400000_NS6detail44device_merge_sort_compile_time_verifier_archINS1_11comp_targetILNS1_3genE3ELNS1_11target_archE908ELNS1_3gpuE7ELNS1_3repE0EEES8_NS1_28merge_sort_block_sort_configILj256ELj4ELNS0_20block_sort_algorithmE0EEENS0_14default_configENS1_37merge_sort_block_sort_config_selectorIsNS0_10empty_typeEEENS1_38merge_sort_block_merge_config_selectorIsSE_EEEEvv.kd
    .uniform_work_group_size: 1
    .uses_dynamic_stack: false
    .vgpr_count:     0
    .vgpr_spill_count: 0
    .wavefront_size: 64
  - .agpr_count:     0
    .args:           []
    .group_segment_fixed_size: 0
    .kernarg_segment_align: 4
    .kernarg_segment_size: 0
    .language:       OpenCL C
    .language_version:
      - 2
      - 0
    .max_flat_workgroup_size: 1024
    .name:           _ZN7rocprim17ROCPRIM_400000_NS6detail44device_merge_sort_compile_time_verifier_archINS1_11comp_targetILNS1_3genE2ELNS1_11target_archE906ELNS1_3gpuE6ELNS1_3repE0EEES8_NS1_28merge_sort_block_sort_configILj256ELj4ELNS0_20block_sort_algorithmE0EEENS0_14default_configENS1_37merge_sort_block_sort_config_selectorIsNS0_10empty_typeEEENS1_38merge_sort_block_merge_config_selectorIsSE_EEEEvv
    .private_segment_fixed_size: 0
    .sgpr_count:     4
    .sgpr_spill_count: 0
    .symbol:         _ZN7rocprim17ROCPRIM_400000_NS6detail44device_merge_sort_compile_time_verifier_archINS1_11comp_targetILNS1_3genE2ELNS1_11target_archE906ELNS1_3gpuE6ELNS1_3repE0EEES8_NS1_28merge_sort_block_sort_configILj256ELj4ELNS0_20block_sort_algorithmE0EEENS0_14default_configENS1_37merge_sort_block_sort_config_selectorIsNS0_10empty_typeEEENS1_38merge_sort_block_merge_config_selectorIsSE_EEEEvv.kd
    .uniform_work_group_size: 1
    .uses_dynamic_stack: false
    .vgpr_count:     0
    .vgpr_spill_count: 0
    .wavefront_size: 64
  - .agpr_count:     0
    .args:           []
    .group_segment_fixed_size: 0
    .kernarg_segment_align: 4
    .kernarg_segment_size: 0
    .language:       OpenCL C
    .language_version:
      - 2
      - 0
    .max_flat_workgroup_size: 1024
    .name:           _ZN7rocprim17ROCPRIM_400000_NS6detail44device_merge_sort_compile_time_verifier_archINS1_11comp_targetILNS1_3genE10ELNS1_11target_archE1201ELNS1_3gpuE5ELNS1_3repE0EEES8_NS1_28merge_sort_block_sort_configILj256ELj4ELNS0_20block_sort_algorithmE0EEENS0_14default_configENS1_37merge_sort_block_sort_config_selectorIsNS0_10empty_typeEEENS1_38merge_sort_block_merge_config_selectorIsSE_EEEEvv
    .private_segment_fixed_size: 0
    .sgpr_count:     4
    .sgpr_spill_count: 0
    .symbol:         _ZN7rocprim17ROCPRIM_400000_NS6detail44device_merge_sort_compile_time_verifier_archINS1_11comp_targetILNS1_3genE10ELNS1_11target_archE1201ELNS1_3gpuE5ELNS1_3repE0EEES8_NS1_28merge_sort_block_sort_configILj256ELj4ELNS0_20block_sort_algorithmE0EEENS0_14default_configENS1_37merge_sort_block_sort_config_selectorIsNS0_10empty_typeEEENS1_38merge_sort_block_merge_config_selectorIsSE_EEEEvv.kd
    .uniform_work_group_size: 1
    .uses_dynamic_stack: false
    .vgpr_count:     0
    .vgpr_spill_count: 0
    .wavefront_size: 64
  - .agpr_count:     0
    .args:           []
    .group_segment_fixed_size: 0
    .kernarg_segment_align: 4
    .kernarg_segment_size: 0
    .language:       OpenCL C
    .language_version:
      - 2
      - 0
    .max_flat_workgroup_size: 1024
    .name:           _ZN7rocprim17ROCPRIM_400000_NS6detail44device_merge_sort_compile_time_verifier_archINS1_11comp_targetILNS1_3genE10ELNS1_11target_archE1200ELNS1_3gpuE4ELNS1_3repE0EEENS3_ILS4_10ELS5_1201ELS6_5ELS7_0EEENS1_28merge_sort_block_sort_configILj256ELj4ELNS0_20block_sort_algorithmE0EEENS0_14default_configENS1_37merge_sort_block_sort_config_selectorIsNS0_10empty_typeEEENS1_38merge_sort_block_merge_config_selectorIsSF_EEEEvv
    .private_segment_fixed_size: 0
    .sgpr_count:     4
    .sgpr_spill_count: 0
    .symbol:         _ZN7rocprim17ROCPRIM_400000_NS6detail44device_merge_sort_compile_time_verifier_archINS1_11comp_targetILNS1_3genE10ELNS1_11target_archE1200ELNS1_3gpuE4ELNS1_3repE0EEENS3_ILS4_10ELS5_1201ELS6_5ELS7_0EEENS1_28merge_sort_block_sort_configILj256ELj4ELNS0_20block_sort_algorithmE0EEENS0_14default_configENS1_37merge_sort_block_sort_config_selectorIsNS0_10empty_typeEEENS1_38merge_sort_block_merge_config_selectorIsSF_EEEEvv.kd
    .uniform_work_group_size: 1
    .uses_dynamic_stack: false
    .vgpr_count:     0
    .vgpr_spill_count: 0
    .wavefront_size: 64
  - .agpr_count:     0
    .args:           []
    .group_segment_fixed_size: 0
    .kernarg_segment_align: 4
    .kernarg_segment_size: 0
    .language:       OpenCL C
    .language_version:
      - 2
      - 0
    .max_flat_workgroup_size: 1024
    .name:           _ZN7rocprim17ROCPRIM_400000_NS6detail44device_merge_sort_compile_time_verifier_archINS1_11comp_targetILNS1_3genE9ELNS1_11target_archE1100ELNS1_3gpuE3ELNS1_3repE0EEES8_NS1_28merge_sort_block_sort_configILj256ELj4ELNS0_20block_sort_algorithmE0EEENS0_14default_configENS1_37merge_sort_block_sort_config_selectorIsNS0_10empty_typeEEENS1_38merge_sort_block_merge_config_selectorIsSE_EEEEvv
    .private_segment_fixed_size: 0
    .sgpr_count:     4
    .sgpr_spill_count: 0
    .symbol:         _ZN7rocprim17ROCPRIM_400000_NS6detail44device_merge_sort_compile_time_verifier_archINS1_11comp_targetILNS1_3genE9ELNS1_11target_archE1100ELNS1_3gpuE3ELNS1_3repE0EEES8_NS1_28merge_sort_block_sort_configILj256ELj4ELNS0_20block_sort_algorithmE0EEENS0_14default_configENS1_37merge_sort_block_sort_config_selectorIsNS0_10empty_typeEEENS1_38merge_sort_block_merge_config_selectorIsSE_EEEEvv.kd
    .uniform_work_group_size: 1
    .uses_dynamic_stack: false
    .vgpr_count:     0
    .vgpr_spill_count: 0
    .wavefront_size: 64
  - .agpr_count:     0
    .args:           []
    .group_segment_fixed_size: 0
    .kernarg_segment_align: 4
    .kernarg_segment_size: 0
    .language:       OpenCL C
    .language_version:
      - 2
      - 0
    .max_flat_workgroup_size: 1024
    .name:           _ZN7rocprim17ROCPRIM_400000_NS6detail44device_merge_sort_compile_time_verifier_archINS1_11comp_targetILNS1_3genE8ELNS1_11target_archE1030ELNS1_3gpuE2ELNS1_3repE0EEES8_NS1_28merge_sort_block_sort_configILj256ELj4ELNS0_20block_sort_algorithmE0EEENS0_14default_configENS1_37merge_sort_block_sort_config_selectorIsNS0_10empty_typeEEENS1_38merge_sort_block_merge_config_selectorIsSE_EEEEvv
    .private_segment_fixed_size: 0
    .sgpr_count:     4
    .sgpr_spill_count: 0
    .symbol:         _ZN7rocprim17ROCPRIM_400000_NS6detail44device_merge_sort_compile_time_verifier_archINS1_11comp_targetILNS1_3genE8ELNS1_11target_archE1030ELNS1_3gpuE2ELNS1_3repE0EEES8_NS1_28merge_sort_block_sort_configILj256ELj4ELNS0_20block_sort_algorithmE0EEENS0_14default_configENS1_37merge_sort_block_sort_config_selectorIsNS0_10empty_typeEEENS1_38merge_sort_block_merge_config_selectorIsSE_EEEEvv.kd
    .uniform_work_group_size: 1
    .uses_dynamic_stack: false
    .vgpr_count:     0
    .vgpr_spill_count: 0
    .wavefront_size: 64
  - .agpr_count:     0
    .args:
      - .offset:         0
        .size:           40
        .value_kind:     by_value
    .group_segment_fixed_size: 0
    .kernarg_segment_align: 8
    .kernarg_segment_size: 40
    .language:       OpenCL C
    .language_version:
      - 2
      - 0
    .max_flat_workgroup_size: 128
    .name:           _ZN7rocprim17ROCPRIM_400000_NS6detail17trampoline_kernelINS0_14default_configENS1_38merge_sort_block_merge_config_selectorIsNS0_10empty_typeEEEZZNS1_27merge_sort_block_merge_implIS3_N6thrust23THRUST_200600_302600_NS6detail15normal_iteratorINS9_10device_ptrIsEEEEPS5_jNS1_19radix_merge_compareILb0ELb0EsNS0_19identity_decomposerEEEEE10hipError_tT0_T1_T2_jT3_P12ihipStream_tbPNSt15iterator_traitsISK_E10value_typeEPNSQ_ISL_E10value_typeEPSM_NS1_7vsmem_tEENKUlT_SK_SL_SM_E_clIPsSE_SF_SF_EESJ_SZ_SK_SL_SM_EUlSZ_E_NS1_11comp_targetILNS1_3genE0ELNS1_11target_archE4294967295ELNS1_3gpuE0ELNS1_3repE0EEENS1_48merge_mergepath_partition_config_static_selectorELNS0_4arch9wavefront6targetE1EEEvSL_
    .private_segment_fixed_size: 0
    .sgpr_count:     4
    .sgpr_spill_count: 0
    .symbol:         _ZN7rocprim17ROCPRIM_400000_NS6detail17trampoline_kernelINS0_14default_configENS1_38merge_sort_block_merge_config_selectorIsNS0_10empty_typeEEEZZNS1_27merge_sort_block_merge_implIS3_N6thrust23THRUST_200600_302600_NS6detail15normal_iteratorINS9_10device_ptrIsEEEEPS5_jNS1_19radix_merge_compareILb0ELb0EsNS0_19identity_decomposerEEEEE10hipError_tT0_T1_T2_jT3_P12ihipStream_tbPNSt15iterator_traitsISK_E10value_typeEPNSQ_ISL_E10value_typeEPSM_NS1_7vsmem_tEENKUlT_SK_SL_SM_E_clIPsSE_SF_SF_EESJ_SZ_SK_SL_SM_EUlSZ_E_NS1_11comp_targetILNS1_3genE0ELNS1_11target_archE4294967295ELNS1_3gpuE0ELNS1_3repE0EEENS1_48merge_mergepath_partition_config_static_selectorELNS0_4arch9wavefront6targetE1EEEvSL_.kd
    .uniform_work_group_size: 1
    .uses_dynamic_stack: false
    .vgpr_count:     0
    .vgpr_spill_count: 0
    .wavefront_size: 64
  - .agpr_count:     0
    .args:
      - .offset:         0
        .size:           40
        .value_kind:     by_value
    .group_segment_fixed_size: 0
    .kernarg_segment_align: 8
    .kernarg_segment_size: 40
    .language:       OpenCL C
    .language_version:
      - 2
      - 0
    .max_flat_workgroup_size: 128
    .name:           _ZN7rocprim17ROCPRIM_400000_NS6detail17trampoline_kernelINS0_14default_configENS1_38merge_sort_block_merge_config_selectorIsNS0_10empty_typeEEEZZNS1_27merge_sort_block_merge_implIS3_N6thrust23THRUST_200600_302600_NS6detail15normal_iteratorINS9_10device_ptrIsEEEEPS5_jNS1_19radix_merge_compareILb0ELb0EsNS0_19identity_decomposerEEEEE10hipError_tT0_T1_T2_jT3_P12ihipStream_tbPNSt15iterator_traitsISK_E10value_typeEPNSQ_ISL_E10value_typeEPSM_NS1_7vsmem_tEENKUlT_SK_SL_SM_E_clIPsSE_SF_SF_EESJ_SZ_SK_SL_SM_EUlSZ_E_NS1_11comp_targetILNS1_3genE10ELNS1_11target_archE1201ELNS1_3gpuE5ELNS1_3repE0EEENS1_48merge_mergepath_partition_config_static_selectorELNS0_4arch9wavefront6targetE1EEEvSL_
    .private_segment_fixed_size: 0
    .sgpr_count:     4
    .sgpr_spill_count: 0
    .symbol:         _ZN7rocprim17ROCPRIM_400000_NS6detail17trampoline_kernelINS0_14default_configENS1_38merge_sort_block_merge_config_selectorIsNS0_10empty_typeEEEZZNS1_27merge_sort_block_merge_implIS3_N6thrust23THRUST_200600_302600_NS6detail15normal_iteratorINS9_10device_ptrIsEEEEPS5_jNS1_19radix_merge_compareILb0ELb0EsNS0_19identity_decomposerEEEEE10hipError_tT0_T1_T2_jT3_P12ihipStream_tbPNSt15iterator_traitsISK_E10value_typeEPNSQ_ISL_E10value_typeEPSM_NS1_7vsmem_tEENKUlT_SK_SL_SM_E_clIPsSE_SF_SF_EESJ_SZ_SK_SL_SM_EUlSZ_E_NS1_11comp_targetILNS1_3genE10ELNS1_11target_archE1201ELNS1_3gpuE5ELNS1_3repE0EEENS1_48merge_mergepath_partition_config_static_selectorELNS0_4arch9wavefront6targetE1EEEvSL_.kd
    .uniform_work_group_size: 1
    .uses_dynamic_stack: false
    .vgpr_count:     0
    .vgpr_spill_count: 0
    .wavefront_size: 64
  - .agpr_count:     0
    .args:
      - .offset:         0
        .size:           40
        .value_kind:     by_value
    .group_segment_fixed_size: 0
    .kernarg_segment_align: 8
    .kernarg_segment_size: 40
    .language:       OpenCL C
    .language_version:
      - 2
      - 0
    .max_flat_workgroup_size: 128
    .name:           _ZN7rocprim17ROCPRIM_400000_NS6detail17trampoline_kernelINS0_14default_configENS1_38merge_sort_block_merge_config_selectorIsNS0_10empty_typeEEEZZNS1_27merge_sort_block_merge_implIS3_N6thrust23THRUST_200600_302600_NS6detail15normal_iteratorINS9_10device_ptrIsEEEEPS5_jNS1_19radix_merge_compareILb0ELb0EsNS0_19identity_decomposerEEEEE10hipError_tT0_T1_T2_jT3_P12ihipStream_tbPNSt15iterator_traitsISK_E10value_typeEPNSQ_ISL_E10value_typeEPSM_NS1_7vsmem_tEENKUlT_SK_SL_SM_E_clIPsSE_SF_SF_EESJ_SZ_SK_SL_SM_EUlSZ_E_NS1_11comp_targetILNS1_3genE5ELNS1_11target_archE942ELNS1_3gpuE9ELNS1_3repE0EEENS1_48merge_mergepath_partition_config_static_selectorELNS0_4arch9wavefront6targetE1EEEvSL_
    .private_segment_fixed_size: 0
    .sgpr_count:     4
    .sgpr_spill_count: 0
    .symbol:         _ZN7rocprim17ROCPRIM_400000_NS6detail17trampoline_kernelINS0_14default_configENS1_38merge_sort_block_merge_config_selectorIsNS0_10empty_typeEEEZZNS1_27merge_sort_block_merge_implIS3_N6thrust23THRUST_200600_302600_NS6detail15normal_iteratorINS9_10device_ptrIsEEEEPS5_jNS1_19radix_merge_compareILb0ELb0EsNS0_19identity_decomposerEEEEE10hipError_tT0_T1_T2_jT3_P12ihipStream_tbPNSt15iterator_traitsISK_E10value_typeEPNSQ_ISL_E10value_typeEPSM_NS1_7vsmem_tEENKUlT_SK_SL_SM_E_clIPsSE_SF_SF_EESJ_SZ_SK_SL_SM_EUlSZ_E_NS1_11comp_targetILNS1_3genE5ELNS1_11target_archE942ELNS1_3gpuE9ELNS1_3repE0EEENS1_48merge_mergepath_partition_config_static_selectorELNS0_4arch9wavefront6targetE1EEEvSL_.kd
    .uniform_work_group_size: 1
    .uses_dynamic_stack: false
    .vgpr_count:     0
    .vgpr_spill_count: 0
    .wavefront_size: 64
  - .agpr_count:     0
    .args:
      - .offset:         0
        .size:           40
        .value_kind:     by_value
    .group_segment_fixed_size: 0
    .kernarg_segment_align: 8
    .kernarg_segment_size: 40
    .language:       OpenCL C
    .language_version:
      - 2
      - 0
    .max_flat_workgroup_size: 128
    .name:           _ZN7rocprim17ROCPRIM_400000_NS6detail17trampoline_kernelINS0_14default_configENS1_38merge_sort_block_merge_config_selectorIsNS0_10empty_typeEEEZZNS1_27merge_sort_block_merge_implIS3_N6thrust23THRUST_200600_302600_NS6detail15normal_iteratorINS9_10device_ptrIsEEEEPS5_jNS1_19radix_merge_compareILb0ELb0EsNS0_19identity_decomposerEEEEE10hipError_tT0_T1_T2_jT3_P12ihipStream_tbPNSt15iterator_traitsISK_E10value_typeEPNSQ_ISL_E10value_typeEPSM_NS1_7vsmem_tEENKUlT_SK_SL_SM_E_clIPsSE_SF_SF_EESJ_SZ_SK_SL_SM_EUlSZ_E_NS1_11comp_targetILNS1_3genE4ELNS1_11target_archE910ELNS1_3gpuE8ELNS1_3repE0EEENS1_48merge_mergepath_partition_config_static_selectorELNS0_4arch9wavefront6targetE1EEEvSL_
    .private_segment_fixed_size: 0
    .sgpr_count:     12
    .sgpr_spill_count: 0
    .symbol:         _ZN7rocprim17ROCPRIM_400000_NS6detail17trampoline_kernelINS0_14default_configENS1_38merge_sort_block_merge_config_selectorIsNS0_10empty_typeEEEZZNS1_27merge_sort_block_merge_implIS3_N6thrust23THRUST_200600_302600_NS6detail15normal_iteratorINS9_10device_ptrIsEEEEPS5_jNS1_19radix_merge_compareILb0ELb0EsNS0_19identity_decomposerEEEEE10hipError_tT0_T1_T2_jT3_P12ihipStream_tbPNSt15iterator_traitsISK_E10value_typeEPNSQ_ISL_E10value_typeEPSM_NS1_7vsmem_tEENKUlT_SK_SL_SM_E_clIPsSE_SF_SF_EESJ_SZ_SK_SL_SM_EUlSZ_E_NS1_11comp_targetILNS1_3genE4ELNS1_11target_archE910ELNS1_3gpuE8ELNS1_3repE0EEENS1_48merge_mergepath_partition_config_static_selectorELNS0_4arch9wavefront6targetE1EEEvSL_.kd
    .uniform_work_group_size: 1
    .uses_dynamic_stack: false
    .vgpr_count:     15
    .vgpr_spill_count: 0
    .wavefront_size: 64
  - .agpr_count:     0
    .args:
      - .offset:         0
        .size:           40
        .value_kind:     by_value
    .group_segment_fixed_size: 0
    .kernarg_segment_align: 8
    .kernarg_segment_size: 40
    .language:       OpenCL C
    .language_version:
      - 2
      - 0
    .max_flat_workgroup_size: 128
    .name:           _ZN7rocprim17ROCPRIM_400000_NS6detail17trampoline_kernelINS0_14default_configENS1_38merge_sort_block_merge_config_selectorIsNS0_10empty_typeEEEZZNS1_27merge_sort_block_merge_implIS3_N6thrust23THRUST_200600_302600_NS6detail15normal_iteratorINS9_10device_ptrIsEEEEPS5_jNS1_19radix_merge_compareILb0ELb0EsNS0_19identity_decomposerEEEEE10hipError_tT0_T1_T2_jT3_P12ihipStream_tbPNSt15iterator_traitsISK_E10value_typeEPNSQ_ISL_E10value_typeEPSM_NS1_7vsmem_tEENKUlT_SK_SL_SM_E_clIPsSE_SF_SF_EESJ_SZ_SK_SL_SM_EUlSZ_E_NS1_11comp_targetILNS1_3genE3ELNS1_11target_archE908ELNS1_3gpuE7ELNS1_3repE0EEENS1_48merge_mergepath_partition_config_static_selectorELNS0_4arch9wavefront6targetE1EEEvSL_
    .private_segment_fixed_size: 0
    .sgpr_count:     4
    .sgpr_spill_count: 0
    .symbol:         _ZN7rocprim17ROCPRIM_400000_NS6detail17trampoline_kernelINS0_14default_configENS1_38merge_sort_block_merge_config_selectorIsNS0_10empty_typeEEEZZNS1_27merge_sort_block_merge_implIS3_N6thrust23THRUST_200600_302600_NS6detail15normal_iteratorINS9_10device_ptrIsEEEEPS5_jNS1_19radix_merge_compareILb0ELb0EsNS0_19identity_decomposerEEEEE10hipError_tT0_T1_T2_jT3_P12ihipStream_tbPNSt15iterator_traitsISK_E10value_typeEPNSQ_ISL_E10value_typeEPSM_NS1_7vsmem_tEENKUlT_SK_SL_SM_E_clIPsSE_SF_SF_EESJ_SZ_SK_SL_SM_EUlSZ_E_NS1_11comp_targetILNS1_3genE3ELNS1_11target_archE908ELNS1_3gpuE7ELNS1_3repE0EEENS1_48merge_mergepath_partition_config_static_selectorELNS0_4arch9wavefront6targetE1EEEvSL_.kd
    .uniform_work_group_size: 1
    .uses_dynamic_stack: false
    .vgpr_count:     0
    .vgpr_spill_count: 0
    .wavefront_size: 64
  - .agpr_count:     0
    .args:
      - .offset:         0
        .size:           40
        .value_kind:     by_value
    .group_segment_fixed_size: 0
    .kernarg_segment_align: 8
    .kernarg_segment_size: 40
    .language:       OpenCL C
    .language_version:
      - 2
      - 0
    .max_flat_workgroup_size: 128
    .name:           _ZN7rocprim17ROCPRIM_400000_NS6detail17trampoline_kernelINS0_14default_configENS1_38merge_sort_block_merge_config_selectorIsNS0_10empty_typeEEEZZNS1_27merge_sort_block_merge_implIS3_N6thrust23THRUST_200600_302600_NS6detail15normal_iteratorINS9_10device_ptrIsEEEEPS5_jNS1_19radix_merge_compareILb0ELb0EsNS0_19identity_decomposerEEEEE10hipError_tT0_T1_T2_jT3_P12ihipStream_tbPNSt15iterator_traitsISK_E10value_typeEPNSQ_ISL_E10value_typeEPSM_NS1_7vsmem_tEENKUlT_SK_SL_SM_E_clIPsSE_SF_SF_EESJ_SZ_SK_SL_SM_EUlSZ_E_NS1_11comp_targetILNS1_3genE2ELNS1_11target_archE906ELNS1_3gpuE6ELNS1_3repE0EEENS1_48merge_mergepath_partition_config_static_selectorELNS0_4arch9wavefront6targetE1EEEvSL_
    .private_segment_fixed_size: 0
    .sgpr_count:     4
    .sgpr_spill_count: 0
    .symbol:         _ZN7rocprim17ROCPRIM_400000_NS6detail17trampoline_kernelINS0_14default_configENS1_38merge_sort_block_merge_config_selectorIsNS0_10empty_typeEEEZZNS1_27merge_sort_block_merge_implIS3_N6thrust23THRUST_200600_302600_NS6detail15normal_iteratorINS9_10device_ptrIsEEEEPS5_jNS1_19radix_merge_compareILb0ELb0EsNS0_19identity_decomposerEEEEE10hipError_tT0_T1_T2_jT3_P12ihipStream_tbPNSt15iterator_traitsISK_E10value_typeEPNSQ_ISL_E10value_typeEPSM_NS1_7vsmem_tEENKUlT_SK_SL_SM_E_clIPsSE_SF_SF_EESJ_SZ_SK_SL_SM_EUlSZ_E_NS1_11comp_targetILNS1_3genE2ELNS1_11target_archE906ELNS1_3gpuE6ELNS1_3repE0EEENS1_48merge_mergepath_partition_config_static_selectorELNS0_4arch9wavefront6targetE1EEEvSL_.kd
    .uniform_work_group_size: 1
    .uses_dynamic_stack: false
    .vgpr_count:     0
    .vgpr_spill_count: 0
    .wavefront_size: 64
  - .agpr_count:     0
    .args:
      - .offset:         0
        .size:           40
        .value_kind:     by_value
    .group_segment_fixed_size: 0
    .kernarg_segment_align: 8
    .kernarg_segment_size: 40
    .language:       OpenCL C
    .language_version:
      - 2
      - 0
    .max_flat_workgroup_size: 128
    .name:           _ZN7rocprim17ROCPRIM_400000_NS6detail17trampoline_kernelINS0_14default_configENS1_38merge_sort_block_merge_config_selectorIsNS0_10empty_typeEEEZZNS1_27merge_sort_block_merge_implIS3_N6thrust23THRUST_200600_302600_NS6detail15normal_iteratorINS9_10device_ptrIsEEEEPS5_jNS1_19radix_merge_compareILb0ELb0EsNS0_19identity_decomposerEEEEE10hipError_tT0_T1_T2_jT3_P12ihipStream_tbPNSt15iterator_traitsISK_E10value_typeEPNSQ_ISL_E10value_typeEPSM_NS1_7vsmem_tEENKUlT_SK_SL_SM_E_clIPsSE_SF_SF_EESJ_SZ_SK_SL_SM_EUlSZ_E_NS1_11comp_targetILNS1_3genE9ELNS1_11target_archE1100ELNS1_3gpuE3ELNS1_3repE0EEENS1_48merge_mergepath_partition_config_static_selectorELNS0_4arch9wavefront6targetE1EEEvSL_
    .private_segment_fixed_size: 0
    .sgpr_count:     4
    .sgpr_spill_count: 0
    .symbol:         _ZN7rocprim17ROCPRIM_400000_NS6detail17trampoline_kernelINS0_14default_configENS1_38merge_sort_block_merge_config_selectorIsNS0_10empty_typeEEEZZNS1_27merge_sort_block_merge_implIS3_N6thrust23THRUST_200600_302600_NS6detail15normal_iteratorINS9_10device_ptrIsEEEEPS5_jNS1_19radix_merge_compareILb0ELb0EsNS0_19identity_decomposerEEEEE10hipError_tT0_T1_T2_jT3_P12ihipStream_tbPNSt15iterator_traitsISK_E10value_typeEPNSQ_ISL_E10value_typeEPSM_NS1_7vsmem_tEENKUlT_SK_SL_SM_E_clIPsSE_SF_SF_EESJ_SZ_SK_SL_SM_EUlSZ_E_NS1_11comp_targetILNS1_3genE9ELNS1_11target_archE1100ELNS1_3gpuE3ELNS1_3repE0EEENS1_48merge_mergepath_partition_config_static_selectorELNS0_4arch9wavefront6targetE1EEEvSL_.kd
    .uniform_work_group_size: 1
    .uses_dynamic_stack: false
    .vgpr_count:     0
    .vgpr_spill_count: 0
    .wavefront_size: 64
  - .agpr_count:     0
    .args:
      - .offset:         0
        .size:           40
        .value_kind:     by_value
    .group_segment_fixed_size: 0
    .kernarg_segment_align: 8
    .kernarg_segment_size: 40
    .language:       OpenCL C
    .language_version:
      - 2
      - 0
    .max_flat_workgroup_size: 128
    .name:           _ZN7rocprim17ROCPRIM_400000_NS6detail17trampoline_kernelINS0_14default_configENS1_38merge_sort_block_merge_config_selectorIsNS0_10empty_typeEEEZZNS1_27merge_sort_block_merge_implIS3_N6thrust23THRUST_200600_302600_NS6detail15normal_iteratorINS9_10device_ptrIsEEEEPS5_jNS1_19radix_merge_compareILb0ELb0EsNS0_19identity_decomposerEEEEE10hipError_tT0_T1_T2_jT3_P12ihipStream_tbPNSt15iterator_traitsISK_E10value_typeEPNSQ_ISL_E10value_typeEPSM_NS1_7vsmem_tEENKUlT_SK_SL_SM_E_clIPsSE_SF_SF_EESJ_SZ_SK_SL_SM_EUlSZ_E_NS1_11comp_targetILNS1_3genE8ELNS1_11target_archE1030ELNS1_3gpuE2ELNS1_3repE0EEENS1_48merge_mergepath_partition_config_static_selectorELNS0_4arch9wavefront6targetE1EEEvSL_
    .private_segment_fixed_size: 0
    .sgpr_count:     4
    .sgpr_spill_count: 0
    .symbol:         _ZN7rocprim17ROCPRIM_400000_NS6detail17trampoline_kernelINS0_14default_configENS1_38merge_sort_block_merge_config_selectorIsNS0_10empty_typeEEEZZNS1_27merge_sort_block_merge_implIS3_N6thrust23THRUST_200600_302600_NS6detail15normal_iteratorINS9_10device_ptrIsEEEEPS5_jNS1_19radix_merge_compareILb0ELb0EsNS0_19identity_decomposerEEEEE10hipError_tT0_T1_T2_jT3_P12ihipStream_tbPNSt15iterator_traitsISK_E10value_typeEPNSQ_ISL_E10value_typeEPSM_NS1_7vsmem_tEENKUlT_SK_SL_SM_E_clIPsSE_SF_SF_EESJ_SZ_SK_SL_SM_EUlSZ_E_NS1_11comp_targetILNS1_3genE8ELNS1_11target_archE1030ELNS1_3gpuE2ELNS1_3repE0EEENS1_48merge_mergepath_partition_config_static_selectorELNS0_4arch9wavefront6targetE1EEEvSL_.kd
    .uniform_work_group_size: 1
    .uses_dynamic_stack: false
    .vgpr_count:     0
    .vgpr_spill_count: 0
    .wavefront_size: 64
  - .agpr_count:     0
    .args:
      - .offset:         0
        .size:           64
        .value_kind:     by_value
    .group_segment_fixed_size: 0
    .kernarg_segment_align: 8
    .kernarg_segment_size: 64
    .language:       OpenCL C
    .language_version:
      - 2
      - 0
    .max_flat_workgroup_size: 128
    .name:           _ZN7rocprim17ROCPRIM_400000_NS6detail17trampoline_kernelINS0_14default_configENS1_38merge_sort_block_merge_config_selectorIsNS0_10empty_typeEEEZZNS1_27merge_sort_block_merge_implIS3_N6thrust23THRUST_200600_302600_NS6detail15normal_iteratorINS9_10device_ptrIsEEEEPS5_jNS1_19radix_merge_compareILb0ELb0EsNS0_19identity_decomposerEEEEE10hipError_tT0_T1_T2_jT3_P12ihipStream_tbPNSt15iterator_traitsISK_E10value_typeEPNSQ_ISL_E10value_typeEPSM_NS1_7vsmem_tEENKUlT_SK_SL_SM_E_clIPsSE_SF_SF_EESJ_SZ_SK_SL_SM_EUlSZ_E0_NS1_11comp_targetILNS1_3genE0ELNS1_11target_archE4294967295ELNS1_3gpuE0ELNS1_3repE0EEENS1_38merge_mergepath_config_static_selectorELNS0_4arch9wavefront6targetE1EEEvSL_
    .private_segment_fixed_size: 0
    .sgpr_count:     4
    .sgpr_spill_count: 0
    .symbol:         _ZN7rocprim17ROCPRIM_400000_NS6detail17trampoline_kernelINS0_14default_configENS1_38merge_sort_block_merge_config_selectorIsNS0_10empty_typeEEEZZNS1_27merge_sort_block_merge_implIS3_N6thrust23THRUST_200600_302600_NS6detail15normal_iteratorINS9_10device_ptrIsEEEEPS5_jNS1_19radix_merge_compareILb0ELb0EsNS0_19identity_decomposerEEEEE10hipError_tT0_T1_T2_jT3_P12ihipStream_tbPNSt15iterator_traitsISK_E10value_typeEPNSQ_ISL_E10value_typeEPSM_NS1_7vsmem_tEENKUlT_SK_SL_SM_E_clIPsSE_SF_SF_EESJ_SZ_SK_SL_SM_EUlSZ_E0_NS1_11comp_targetILNS1_3genE0ELNS1_11target_archE4294967295ELNS1_3gpuE0ELNS1_3repE0EEENS1_38merge_mergepath_config_static_selectorELNS0_4arch9wavefront6targetE1EEEvSL_.kd
    .uniform_work_group_size: 1
    .uses_dynamic_stack: false
    .vgpr_count:     0
    .vgpr_spill_count: 0
    .wavefront_size: 64
  - .agpr_count:     0
    .args:
      - .offset:         0
        .size:           64
        .value_kind:     by_value
    .group_segment_fixed_size: 0
    .kernarg_segment_align: 8
    .kernarg_segment_size: 64
    .language:       OpenCL C
    .language_version:
      - 2
      - 0
    .max_flat_workgroup_size: 128
    .name:           _ZN7rocprim17ROCPRIM_400000_NS6detail17trampoline_kernelINS0_14default_configENS1_38merge_sort_block_merge_config_selectorIsNS0_10empty_typeEEEZZNS1_27merge_sort_block_merge_implIS3_N6thrust23THRUST_200600_302600_NS6detail15normal_iteratorINS9_10device_ptrIsEEEEPS5_jNS1_19radix_merge_compareILb0ELb0EsNS0_19identity_decomposerEEEEE10hipError_tT0_T1_T2_jT3_P12ihipStream_tbPNSt15iterator_traitsISK_E10value_typeEPNSQ_ISL_E10value_typeEPSM_NS1_7vsmem_tEENKUlT_SK_SL_SM_E_clIPsSE_SF_SF_EESJ_SZ_SK_SL_SM_EUlSZ_E0_NS1_11comp_targetILNS1_3genE10ELNS1_11target_archE1201ELNS1_3gpuE5ELNS1_3repE0EEENS1_38merge_mergepath_config_static_selectorELNS0_4arch9wavefront6targetE1EEEvSL_
    .private_segment_fixed_size: 0
    .sgpr_count:     4
    .sgpr_spill_count: 0
    .symbol:         _ZN7rocprim17ROCPRIM_400000_NS6detail17trampoline_kernelINS0_14default_configENS1_38merge_sort_block_merge_config_selectorIsNS0_10empty_typeEEEZZNS1_27merge_sort_block_merge_implIS3_N6thrust23THRUST_200600_302600_NS6detail15normal_iteratorINS9_10device_ptrIsEEEEPS5_jNS1_19radix_merge_compareILb0ELb0EsNS0_19identity_decomposerEEEEE10hipError_tT0_T1_T2_jT3_P12ihipStream_tbPNSt15iterator_traitsISK_E10value_typeEPNSQ_ISL_E10value_typeEPSM_NS1_7vsmem_tEENKUlT_SK_SL_SM_E_clIPsSE_SF_SF_EESJ_SZ_SK_SL_SM_EUlSZ_E0_NS1_11comp_targetILNS1_3genE10ELNS1_11target_archE1201ELNS1_3gpuE5ELNS1_3repE0EEENS1_38merge_mergepath_config_static_selectorELNS0_4arch9wavefront6targetE1EEEvSL_.kd
    .uniform_work_group_size: 1
    .uses_dynamic_stack: false
    .vgpr_count:     0
    .vgpr_spill_count: 0
    .wavefront_size: 64
  - .agpr_count:     0
    .args:
      - .offset:         0
        .size:           64
        .value_kind:     by_value
    .group_segment_fixed_size: 0
    .kernarg_segment_align: 8
    .kernarg_segment_size: 64
    .language:       OpenCL C
    .language_version:
      - 2
      - 0
    .max_flat_workgroup_size: 128
    .name:           _ZN7rocprim17ROCPRIM_400000_NS6detail17trampoline_kernelINS0_14default_configENS1_38merge_sort_block_merge_config_selectorIsNS0_10empty_typeEEEZZNS1_27merge_sort_block_merge_implIS3_N6thrust23THRUST_200600_302600_NS6detail15normal_iteratorINS9_10device_ptrIsEEEEPS5_jNS1_19radix_merge_compareILb0ELb0EsNS0_19identity_decomposerEEEEE10hipError_tT0_T1_T2_jT3_P12ihipStream_tbPNSt15iterator_traitsISK_E10value_typeEPNSQ_ISL_E10value_typeEPSM_NS1_7vsmem_tEENKUlT_SK_SL_SM_E_clIPsSE_SF_SF_EESJ_SZ_SK_SL_SM_EUlSZ_E0_NS1_11comp_targetILNS1_3genE5ELNS1_11target_archE942ELNS1_3gpuE9ELNS1_3repE0EEENS1_38merge_mergepath_config_static_selectorELNS0_4arch9wavefront6targetE1EEEvSL_
    .private_segment_fixed_size: 0
    .sgpr_count:     4
    .sgpr_spill_count: 0
    .symbol:         _ZN7rocprim17ROCPRIM_400000_NS6detail17trampoline_kernelINS0_14default_configENS1_38merge_sort_block_merge_config_selectorIsNS0_10empty_typeEEEZZNS1_27merge_sort_block_merge_implIS3_N6thrust23THRUST_200600_302600_NS6detail15normal_iteratorINS9_10device_ptrIsEEEEPS5_jNS1_19radix_merge_compareILb0ELb0EsNS0_19identity_decomposerEEEEE10hipError_tT0_T1_T2_jT3_P12ihipStream_tbPNSt15iterator_traitsISK_E10value_typeEPNSQ_ISL_E10value_typeEPSM_NS1_7vsmem_tEENKUlT_SK_SL_SM_E_clIPsSE_SF_SF_EESJ_SZ_SK_SL_SM_EUlSZ_E0_NS1_11comp_targetILNS1_3genE5ELNS1_11target_archE942ELNS1_3gpuE9ELNS1_3repE0EEENS1_38merge_mergepath_config_static_selectorELNS0_4arch9wavefront6targetE1EEEvSL_.kd
    .uniform_work_group_size: 1
    .uses_dynamic_stack: false
    .vgpr_count:     0
    .vgpr_spill_count: 0
    .wavefront_size: 64
  - .agpr_count:     0
    .args:
      - .offset:         0
        .size:           64
        .value_kind:     by_value
      - .offset:         64
        .size:           4
        .value_kind:     hidden_block_count_x
      - .offset:         68
        .size:           4
        .value_kind:     hidden_block_count_y
      - .offset:         72
        .size:           4
        .value_kind:     hidden_block_count_z
      - .offset:         76
        .size:           2
        .value_kind:     hidden_group_size_x
      - .offset:         78
        .size:           2
        .value_kind:     hidden_group_size_y
      - .offset:         80
        .size:           2
        .value_kind:     hidden_group_size_z
      - .offset:         82
        .size:           2
        .value_kind:     hidden_remainder_x
      - .offset:         84
        .size:           2
        .value_kind:     hidden_remainder_y
      - .offset:         86
        .size:           2
        .value_kind:     hidden_remainder_z
      - .offset:         104
        .size:           8
        .value_kind:     hidden_global_offset_x
      - .offset:         112
        .size:           8
        .value_kind:     hidden_global_offset_y
      - .offset:         120
        .size:           8
        .value_kind:     hidden_global_offset_z
      - .offset:         128
        .size:           2
        .value_kind:     hidden_grid_dims
    .group_segment_fixed_size: 2112
    .kernarg_segment_align: 8
    .kernarg_segment_size: 320
    .language:       OpenCL C
    .language_version:
      - 2
      - 0
    .max_flat_workgroup_size: 128
    .name:           _ZN7rocprim17ROCPRIM_400000_NS6detail17trampoline_kernelINS0_14default_configENS1_38merge_sort_block_merge_config_selectorIsNS0_10empty_typeEEEZZNS1_27merge_sort_block_merge_implIS3_N6thrust23THRUST_200600_302600_NS6detail15normal_iteratorINS9_10device_ptrIsEEEEPS5_jNS1_19radix_merge_compareILb0ELb0EsNS0_19identity_decomposerEEEEE10hipError_tT0_T1_T2_jT3_P12ihipStream_tbPNSt15iterator_traitsISK_E10value_typeEPNSQ_ISL_E10value_typeEPSM_NS1_7vsmem_tEENKUlT_SK_SL_SM_E_clIPsSE_SF_SF_EESJ_SZ_SK_SL_SM_EUlSZ_E0_NS1_11comp_targetILNS1_3genE4ELNS1_11target_archE910ELNS1_3gpuE8ELNS1_3repE0EEENS1_38merge_mergepath_config_static_selectorELNS0_4arch9wavefront6targetE1EEEvSL_
    .private_segment_fixed_size: 0
    .sgpr_count:     28
    .sgpr_spill_count: 0
    .symbol:         _ZN7rocprim17ROCPRIM_400000_NS6detail17trampoline_kernelINS0_14default_configENS1_38merge_sort_block_merge_config_selectorIsNS0_10empty_typeEEEZZNS1_27merge_sort_block_merge_implIS3_N6thrust23THRUST_200600_302600_NS6detail15normal_iteratorINS9_10device_ptrIsEEEEPS5_jNS1_19radix_merge_compareILb0ELb0EsNS0_19identity_decomposerEEEEE10hipError_tT0_T1_T2_jT3_P12ihipStream_tbPNSt15iterator_traitsISK_E10value_typeEPNSQ_ISL_E10value_typeEPSM_NS1_7vsmem_tEENKUlT_SK_SL_SM_E_clIPsSE_SF_SF_EESJ_SZ_SK_SL_SM_EUlSZ_E0_NS1_11comp_targetILNS1_3genE4ELNS1_11target_archE910ELNS1_3gpuE8ELNS1_3repE0EEENS1_38merge_mergepath_config_static_selectorELNS0_4arch9wavefront6targetE1EEEvSL_.kd
    .uniform_work_group_size: 1
    .uses_dynamic_stack: false
    .vgpr_count:     26
    .vgpr_spill_count: 0
    .wavefront_size: 64
  - .agpr_count:     0
    .args:
      - .offset:         0
        .size:           64
        .value_kind:     by_value
    .group_segment_fixed_size: 0
    .kernarg_segment_align: 8
    .kernarg_segment_size: 64
    .language:       OpenCL C
    .language_version:
      - 2
      - 0
    .max_flat_workgroup_size: 128
    .name:           _ZN7rocprim17ROCPRIM_400000_NS6detail17trampoline_kernelINS0_14default_configENS1_38merge_sort_block_merge_config_selectorIsNS0_10empty_typeEEEZZNS1_27merge_sort_block_merge_implIS3_N6thrust23THRUST_200600_302600_NS6detail15normal_iteratorINS9_10device_ptrIsEEEEPS5_jNS1_19radix_merge_compareILb0ELb0EsNS0_19identity_decomposerEEEEE10hipError_tT0_T1_T2_jT3_P12ihipStream_tbPNSt15iterator_traitsISK_E10value_typeEPNSQ_ISL_E10value_typeEPSM_NS1_7vsmem_tEENKUlT_SK_SL_SM_E_clIPsSE_SF_SF_EESJ_SZ_SK_SL_SM_EUlSZ_E0_NS1_11comp_targetILNS1_3genE3ELNS1_11target_archE908ELNS1_3gpuE7ELNS1_3repE0EEENS1_38merge_mergepath_config_static_selectorELNS0_4arch9wavefront6targetE1EEEvSL_
    .private_segment_fixed_size: 0
    .sgpr_count:     4
    .sgpr_spill_count: 0
    .symbol:         _ZN7rocprim17ROCPRIM_400000_NS6detail17trampoline_kernelINS0_14default_configENS1_38merge_sort_block_merge_config_selectorIsNS0_10empty_typeEEEZZNS1_27merge_sort_block_merge_implIS3_N6thrust23THRUST_200600_302600_NS6detail15normal_iteratorINS9_10device_ptrIsEEEEPS5_jNS1_19radix_merge_compareILb0ELb0EsNS0_19identity_decomposerEEEEE10hipError_tT0_T1_T2_jT3_P12ihipStream_tbPNSt15iterator_traitsISK_E10value_typeEPNSQ_ISL_E10value_typeEPSM_NS1_7vsmem_tEENKUlT_SK_SL_SM_E_clIPsSE_SF_SF_EESJ_SZ_SK_SL_SM_EUlSZ_E0_NS1_11comp_targetILNS1_3genE3ELNS1_11target_archE908ELNS1_3gpuE7ELNS1_3repE0EEENS1_38merge_mergepath_config_static_selectorELNS0_4arch9wavefront6targetE1EEEvSL_.kd
    .uniform_work_group_size: 1
    .uses_dynamic_stack: false
    .vgpr_count:     0
    .vgpr_spill_count: 0
    .wavefront_size: 64
  - .agpr_count:     0
    .args:
      - .offset:         0
        .size:           64
        .value_kind:     by_value
    .group_segment_fixed_size: 0
    .kernarg_segment_align: 8
    .kernarg_segment_size: 64
    .language:       OpenCL C
    .language_version:
      - 2
      - 0
    .max_flat_workgroup_size: 128
    .name:           _ZN7rocprim17ROCPRIM_400000_NS6detail17trampoline_kernelINS0_14default_configENS1_38merge_sort_block_merge_config_selectorIsNS0_10empty_typeEEEZZNS1_27merge_sort_block_merge_implIS3_N6thrust23THRUST_200600_302600_NS6detail15normal_iteratorINS9_10device_ptrIsEEEEPS5_jNS1_19radix_merge_compareILb0ELb0EsNS0_19identity_decomposerEEEEE10hipError_tT0_T1_T2_jT3_P12ihipStream_tbPNSt15iterator_traitsISK_E10value_typeEPNSQ_ISL_E10value_typeEPSM_NS1_7vsmem_tEENKUlT_SK_SL_SM_E_clIPsSE_SF_SF_EESJ_SZ_SK_SL_SM_EUlSZ_E0_NS1_11comp_targetILNS1_3genE2ELNS1_11target_archE906ELNS1_3gpuE6ELNS1_3repE0EEENS1_38merge_mergepath_config_static_selectorELNS0_4arch9wavefront6targetE1EEEvSL_
    .private_segment_fixed_size: 0
    .sgpr_count:     4
    .sgpr_spill_count: 0
    .symbol:         _ZN7rocprim17ROCPRIM_400000_NS6detail17trampoline_kernelINS0_14default_configENS1_38merge_sort_block_merge_config_selectorIsNS0_10empty_typeEEEZZNS1_27merge_sort_block_merge_implIS3_N6thrust23THRUST_200600_302600_NS6detail15normal_iteratorINS9_10device_ptrIsEEEEPS5_jNS1_19radix_merge_compareILb0ELb0EsNS0_19identity_decomposerEEEEE10hipError_tT0_T1_T2_jT3_P12ihipStream_tbPNSt15iterator_traitsISK_E10value_typeEPNSQ_ISL_E10value_typeEPSM_NS1_7vsmem_tEENKUlT_SK_SL_SM_E_clIPsSE_SF_SF_EESJ_SZ_SK_SL_SM_EUlSZ_E0_NS1_11comp_targetILNS1_3genE2ELNS1_11target_archE906ELNS1_3gpuE6ELNS1_3repE0EEENS1_38merge_mergepath_config_static_selectorELNS0_4arch9wavefront6targetE1EEEvSL_.kd
    .uniform_work_group_size: 1
    .uses_dynamic_stack: false
    .vgpr_count:     0
    .vgpr_spill_count: 0
    .wavefront_size: 64
  - .agpr_count:     0
    .args:
      - .offset:         0
        .size:           64
        .value_kind:     by_value
    .group_segment_fixed_size: 0
    .kernarg_segment_align: 8
    .kernarg_segment_size: 64
    .language:       OpenCL C
    .language_version:
      - 2
      - 0
    .max_flat_workgroup_size: 128
    .name:           _ZN7rocprim17ROCPRIM_400000_NS6detail17trampoline_kernelINS0_14default_configENS1_38merge_sort_block_merge_config_selectorIsNS0_10empty_typeEEEZZNS1_27merge_sort_block_merge_implIS3_N6thrust23THRUST_200600_302600_NS6detail15normal_iteratorINS9_10device_ptrIsEEEEPS5_jNS1_19radix_merge_compareILb0ELb0EsNS0_19identity_decomposerEEEEE10hipError_tT0_T1_T2_jT3_P12ihipStream_tbPNSt15iterator_traitsISK_E10value_typeEPNSQ_ISL_E10value_typeEPSM_NS1_7vsmem_tEENKUlT_SK_SL_SM_E_clIPsSE_SF_SF_EESJ_SZ_SK_SL_SM_EUlSZ_E0_NS1_11comp_targetILNS1_3genE9ELNS1_11target_archE1100ELNS1_3gpuE3ELNS1_3repE0EEENS1_38merge_mergepath_config_static_selectorELNS0_4arch9wavefront6targetE1EEEvSL_
    .private_segment_fixed_size: 0
    .sgpr_count:     4
    .sgpr_spill_count: 0
    .symbol:         _ZN7rocprim17ROCPRIM_400000_NS6detail17trampoline_kernelINS0_14default_configENS1_38merge_sort_block_merge_config_selectorIsNS0_10empty_typeEEEZZNS1_27merge_sort_block_merge_implIS3_N6thrust23THRUST_200600_302600_NS6detail15normal_iteratorINS9_10device_ptrIsEEEEPS5_jNS1_19radix_merge_compareILb0ELb0EsNS0_19identity_decomposerEEEEE10hipError_tT0_T1_T2_jT3_P12ihipStream_tbPNSt15iterator_traitsISK_E10value_typeEPNSQ_ISL_E10value_typeEPSM_NS1_7vsmem_tEENKUlT_SK_SL_SM_E_clIPsSE_SF_SF_EESJ_SZ_SK_SL_SM_EUlSZ_E0_NS1_11comp_targetILNS1_3genE9ELNS1_11target_archE1100ELNS1_3gpuE3ELNS1_3repE0EEENS1_38merge_mergepath_config_static_selectorELNS0_4arch9wavefront6targetE1EEEvSL_.kd
    .uniform_work_group_size: 1
    .uses_dynamic_stack: false
    .vgpr_count:     0
    .vgpr_spill_count: 0
    .wavefront_size: 64
  - .agpr_count:     0
    .args:
      - .offset:         0
        .size:           64
        .value_kind:     by_value
    .group_segment_fixed_size: 0
    .kernarg_segment_align: 8
    .kernarg_segment_size: 64
    .language:       OpenCL C
    .language_version:
      - 2
      - 0
    .max_flat_workgroup_size: 128
    .name:           _ZN7rocprim17ROCPRIM_400000_NS6detail17trampoline_kernelINS0_14default_configENS1_38merge_sort_block_merge_config_selectorIsNS0_10empty_typeEEEZZNS1_27merge_sort_block_merge_implIS3_N6thrust23THRUST_200600_302600_NS6detail15normal_iteratorINS9_10device_ptrIsEEEEPS5_jNS1_19radix_merge_compareILb0ELb0EsNS0_19identity_decomposerEEEEE10hipError_tT0_T1_T2_jT3_P12ihipStream_tbPNSt15iterator_traitsISK_E10value_typeEPNSQ_ISL_E10value_typeEPSM_NS1_7vsmem_tEENKUlT_SK_SL_SM_E_clIPsSE_SF_SF_EESJ_SZ_SK_SL_SM_EUlSZ_E0_NS1_11comp_targetILNS1_3genE8ELNS1_11target_archE1030ELNS1_3gpuE2ELNS1_3repE0EEENS1_38merge_mergepath_config_static_selectorELNS0_4arch9wavefront6targetE1EEEvSL_
    .private_segment_fixed_size: 0
    .sgpr_count:     4
    .sgpr_spill_count: 0
    .symbol:         _ZN7rocprim17ROCPRIM_400000_NS6detail17trampoline_kernelINS0_14default_configENS1_38merge_sort_block_merge_config_selectorIsNS0_10empty_typeEEEZZNS1_27merge_sort_block_merge_implIS3_N6thrust23THRUST_200600_302600_NS6detail15normal_iteratorINS9_10device_ptrIsEEEEPS5_jNS1_19radix_merge_compareILb0ELb0EsNS0_19identity_decomposerEEEEE10hipError_tT0_T1_T2_jT3_P12ihipStream_tbPNSt15iterator_traitsISK_E10value_typeEPNSQ_ISL_E10value_typeEPSM_NS1_7vsmem_tEENKUlT_SK_SL_SM_E_clIPsSE_SF_SF_EESJ_SZ_SK_SL_SM_EUlSZ_E0_NS1_11comp_targetILNS1_3genE8ELNS1_11target_archE1030ELNS1_3gpuE2ELNS1_3repE0EEENS1_38merge_mergepath_config_static_selectorELNS0_4arch9wavefront6targetE1EEEvSL_.kd
    .uniform_work_group_size: 1
    .uses_dynamic_stack: false
    .vgpr_count:     0
    .vgpr_spill_count: 0
    .wavefront_size: 64
  - .agpr_count:     0
    .args:
      - .offset:         0
        .size:           48
        .value_kind:     by_value
    .group_segment_fixed_size: 0
    .kernarg_segment_align: 8
    .kernarg_segment_size: 48
    .language:       OpenCL C
    .language_version:
      - 2
      - 0
    .max_flat_workgroup_size: 256
    .name:           _ZN7rocprim17ROCPRIM_400000_NS6detail17trampoline_kernelINS0_14default_configENS1_38merge_sort_block_merge_config_selectorIsNS0_10empty_typeEEEZZNS1_27merge_sort_block_merge_implIS3_N6thrust23THRUST_200600_302600_NS6detail15normal_iteratorINS9_10device_ptrIsEEEEPS5_jNS1_19radix_merge_compareILb0ELb0EsNS0_19identity_decomposerEEEEE10hipError_tT0_T1_T2_jT3_P12ihipStream_tbPNSt15iterator_traitsISK_E10value_typeEPNSQ_ISL_E10value_typeEPSM_NS1_7vsmem_tEENKUlT_SK_SL_SM_E_clIPsSE_SF_SF_EESJ_SZ_SK_SL_SM_EUlSZ_E1_NS1_11comp_targetILNS1_3genE0ELNS1_11target_archE4294967295ELNS1_3gpuE0ELNS1_3repE0EEENS1_36merge_oddeven_config_static_selectorELNS0_4arch9wavefront6targetE1EEEvSL_
    .private_segment_fixed_size: 0
    .sgpr_count:     4
    .sgpr_spill_count: 0
    .symbol:         _ZN7rocprim17ROCPRIM_400000_NS6detail17trampoline_kernelINS0_14default_configENS1_38merge_sort_block_merge_config_selectorIsNS0_10empty_typeEEEZZNS1_27merge_sort_block_merge_implIS3_N6thrust23THRUST_200600_302600_NS6detail15normal_iteratorINS9_10device_ptrIsEEEEPS5_jNS1_19radix_merge_compareILb0ELb0EsNS0_19identity_decomposerEEEEE10hipError_tT0_T1_T2_jT3_P12ihipStream_tbPNSt15iterator_traitsISK_E10value_typeEPNSQ_ISL_E10value_typeEPSM_NS1_7vsmem_tEENKUlT_SK_SL_SM_E_clIPsSE_SF_SF_EESJ_SZ_SK_SL_SM_EUlSZ_E1_NS1_11comp_targetILNS1_3genE0ELNS1_11target_archE4294967295ELNS1_3gpuE0ELNS1_3repE0EEENS1_36merge_oddeven_config_static_selectorELNS0_4arch9wavefront6targetE1EEEvSL_.kd
    .uniform_work_group_size: 1
    .uses_dynamic_stack: false
    .vgpr_count:     0
    .vgpr_spill_count: 0
    .wavefront_size: 64
  - .agpr_count:     0
    .args:
      - .offset:         0
        .size:           48
        .value_kind:     by_value
    .group_segment_fixed_size: 0
    .kernarg_segment_align: 8
    .kernarg_segment_size: 48
    .language:       OpenCL C
    .language_version:
      - 2
      - 0
    .max_flat_workgroup_size: 256
    .name:           _ZN7rocprim17ROCPRIM_400000_NS6detail17trampoline_kernelINS0_14default_configENS1_38merge_sort_block_merge_config_selectorIsNS0_10empty_typeEEEZZNS1_27merge_sort_block_merge_implIS3_N6thrust23THRUST_200600_302600_NS6detail15normal_iteratorINS9_10device_ptrIsEEEEPS5_jNS1_19radix_merge_compareILb0ELb0EsNS0_19identity_decomposerEEEEE10hipError_tT0_T1_T2_jT3_P12ihipStream_tbPNSt15iterator_traitsISK_E10value_typeEPNSQ_ISL_E10value_typeEPSM_NS1_7vsmem_tEENKUlT_SK_SL_SM_E_clIPsSE_SF_SF_EESJ_SZ_SK_SL_SM_EUlSZ_E1_NS1_11comp_targetILNS1_3genE10ELNS1_11target_archE1201ELNS1_3gpuE5ELNS1_3repE0EEENS1_36merge_oddeven_config_static_selectorELNS0_4arch9wavefront6targetE1EEEvSL_
    .private_segment_fixed_size: 0
    .sgpr_count:     4
    .sgpr_spill_count: 0
    .symbol:         _ZN7rocprim17ROCPRIM_400000_NS6detail17trampoline_kernelINS0_14default_configENS1_38merge_sort_block_merge_config_selectorIsNS0_10empty_typeEEEZZNS1_27merge_sort_block_merge_implIS3_N6thrust23THRUST_200600_302600_NS6detail15normal_iteratorINS9_10device_ptrIsEEEEPS5_jNS1_19radix_merge_compareILb0ELb0EsNS0_19identity_decomposerEEEEE10hipError_tT0_T1_T2_jT3_P12ihipStream_tbPNSt15iterator_traitsISK_E10value_typeEPNSQ_ISL_E10value_typeEPSM_NS1_7vsmem_tEENKUlT_SK_SL_SM_E_clIPsSE_SF_SF_EESJ_SZ_SK_SL_SM_EUlSZ_E1_NS1_11comp_targetILNS1_3genE10ELNS1_11target_archE1201ELNS1_3gpuE5ELNS1_3repE0EEENS1_36merge_oddeven_config_static_selectorELNS0_4arch9wavefront6targetE1EEEvSL_.kd
    .uniform_work_group_size: 1
    .uses_dynamic_stack: false
    .vgpr_count:     0
    .vgpr_spill_count: 0
    .wavefront_size: 64
  - .agpr_count:     0
    .args:
      - .offset:         0
        .size:           48
        .value_kind:     by_value
    .group_segment_fixed_size: 0
    .kernarg_segment_align: 8
    .kernarg_segment_size: 48
    .language:       OpenCL C
    .language_version:
      - 2
      - 0
    .max_flat_workgroup_size: 256
    .name:           _ZN7rocprim17ROCPRIM_400000_NS6detail17trampoline_kernelINS0_14default_configENS1_38merge_sort_block_merge_config_selectorIsNS0_10empty_typeEEEZZNS1_27merge_sort_block_merge_implIS3_N6thrust23THRUST_200600_302600_NS6detail15normal_iteratorINS9_10device_ptrIsEEEEPS5_jNS1_19radix_merge_compareILb0ELb0EsNS0_19identity_decomposerEEEEE10hipError_tT0_T1_T2_jT3_P12ihipStream_tbPNSt15iterator_traitsISK_E10value_typeEPNSQ_ISL_E10value_typeEPSM_NS1_7vsmem_tEENKUlT_SK_SL_SM_E_clIPsSE_SF_SF_EESJ_SZ_SK_SL_SM_EUlSZ_E1_NS1_11comp_targetILNS1_3genE5ELNS1_11target_archE942ELNS1_3gpuE9ELNS1_3repE0EEENS1_36merge_oddeven_config_static_selectorELNS0_4arch9wavefront6targetE1EEEvSL_
    .private_segment_fixed_size: 0
    .sgpr_count:     4
    .sgpr_spill_count: 0
    .symbol:         _ZN7rocprim17ROCPRIM_400000_NS6detail17trampoline_kernelINS0_14default_configENS1_38merge_sort_block_merge_config_selectorIsNS0_10empty_typeEEEZZNS1_27merge_sort_block_merge_implIS3_N6thrust23THRUST_200600_302600_NS6detail15normal_iteratorINS9_10device_ptrIsEEEEPS5_jNS1_19radix_merge_compareILb0ELb0EsNS0_19identity_decomposerEEEEE10hipError_tT0_T1_T2_jT3_P12ihipStream_tbPNSt15iterator_traitsISK_E10value_typeEPNSQ_ISL_E10value_typeEPSM_NS1_7vsmem_tEENKUlT_SK_SL_SM_E_clIPsSE_SF_SF_EESJ_SZ_SK_SL_SM_EUlSZ_E1_NS1_11comp_targetILNS1_3genE5ELNS1_11target_archE942ELNS1_3gpuE9ELNS1_3repE0EEENS1_36merge_oddeven_config_static_selectorELNS0_4arch9wavefront6targetE1EEEvSL_.kd
    .uniform_work_group_size: 1
    .uses_dynamic_stack: false
    .vgpr_count:     0
    .vgpr_spill_count: 0
    .wavefront_size: 64
  - .agpr_count:     0
    .args:
      - .offset:         0
        .size:           48
        .value_kind:     by_value
    .group_segment_fixed_size: 0
    .kernarg_segment_align: 8
    .kernarg_segment_size: 48
    .language:       OpenCL C
    .language_version:
      - 2
      - 0
    .max_flat_workgroup_size: 256
    .name:           _ZN7rocprim17ROCPRIM_400000_NS6detail17trampoline_kernelINS0_14default_configENS1_38merge_sort_block_merge_config_selectorIsNS0_10empty_typeEEEZZNS1_27merge_sort_block_merge_implIS3_N6thrust23THRUST_200600_302600_NS6detail15normal_iteratorINS9_10device_ptrIsEEEEPS5_jNS1_19radix_merge_compareILb0ELb0EsNS0_19identity_decomposerEEEEE10hipError_tT0_T1_T2_jT3_P12ihipStream_tbPNSt15iterator_traitsISK_E10value_typeEPNSQ_ISL_E10value_typeEPSM_NS1_7vsmem_tEENKUlT_SK_SL_SM_E_clIPsSE_SF_SF_EESJ_SZ_SK_SL_SM_EUlSZ_E1_NS1_11comp_targetILNS1_3genE4ELNS1_11target_archE910ELNS1_3gpuE8ELNS1_3repE0EEENS1_36merge_oddeven_config_static_selectorELNS0_4arch9wavefront6targetE1EEEvSL_
    .private_segment_fixed_size: 0
    .sgpr_count:     25
    .sgpr_spill_count: 0
    .symbol:         _ZN7rocprim17ROCPRIM_400000_NS6detail17trampoline_kernelINS0_14default_configENS1_38merge_sort_block_merge_config_selectorIsNS0_10empty_typeEEEZZNS1_27merge_sort_block_merge_implIS3_N6thrust23THRUST_200600_302600_NS6detail15normal_iteratorINS9_10device_ptrIsEEEEPS5_jNS1_19radix_merge_compareILb0ELb0EsNS0_19identity_decomposerEEEEE10hipError_tT0_T1_T2_jT3_P12ihipStream_tbPNSt15iterator_traitsISK_E10value_typeEPNSQ_ISL_E10value_typeEPSM_NS1_7vsmem_tEENKUlT_SK_SL_SM_E_clIPsSE_SF_SF_EESJ_SZ_SK_SL_SM_EUlSZ_E1_NS1_11comp_targetILNS1_3genE4ELNS1_11target_archE910ELNS1_3gpuE8ELNS1_3repE0EEENS1_36merge_oddeven_config_static_selectorELNS0_4arch9wavefront6targetE1EEEvSL_.kd
    .uniform_work_group_size: 1
    .uses_dynamic_stack: false
    .vgpr_count:     8
    .vgpr_spill_count: 0
    .wavefront_size: 64
  - .agpr_count:     0
    .args:
      - .offset:         0
        .size:           48
        .value_kind:     by_value
    .group_segment_fixed_size: 0
    .kernarg_segment_align: 8
    .kernarg_segment_size: 48
    .language:       OpenCL C
    .language_version:
      - 2
      - 0
    .max_flat_workgroup_size: 256
    .name:           _ZN7rocprim17ROCPRIM_400000_NS6detail17trampoline_kernelINS0_14default_configENS1_38merge_sort_block_merge_config_selectorIsNS0_10empty_typeEEEZZNS1_27merge_sort_block_merge_implIS3_N6thrust23THRUST_200600_302600_NS6detail15normal_iteratorINS9_10device_ptrIsEEEEPS5_jNS1_19radix_merge_compareILb0ELb0EsNS0_19identity_decomposerEEEEE10hipError_tT0_T1_T2_jT3_P12ihipStream_tbPNSt15iterator_traitsISK_E10value_typeEPNSQ_ISL_E10value_typeEPSM_NS1_7vsmem_tEENKUlT_SK_SL_SM_E_clIPsSE_SF_SF_EESJ_SZ_SK_SL_SM_EUlSZ_E1_NS1_11comp_targetILNS1_3genE3ELNS1_11target_archE908ELNS1_3gpuE7ELNS1_3repE0EEENS1_36merge_oddeven_config_static_selectorELNS0_4arch9wavefront6targetE1EEEvSL_
    .private_segment_fixed_size: 0
    .sgpr_count:     4
    .sgpr_spill_count: 0
    .symbol:         _ZN7rocprim17ROCPRIM_400000_NS6detail17trampoline_kernelINS0_14default_configENS1_38merge_sort_block_merge_config_selectorIsNS0_10empty_typeEEEZZNS1_27merge_sort_block_merge_implIS3_N6thrust23THRUST_200600_302600_NS6detail15normal_iteratorINS9_10device_ptrIsEEEEPS5_jNS1_19radix_merge_compareILb0ELb0EsNS0_19identity_decomposerEEEEE10hipError_tT0_T1_T2_jT3_P12ihipStream_tbPNSt15iterator_traitsISK_E10value_typeEPNSQ_ISL_E10value_typeEPSM_NS1_7vsmem_tEENKUlT_SK_SL_SM_E_clIPsSE_SF_SF_EESJ_SZ_SK_SL_SM_EUlSZ_E1_NS1_11comp_targetILNS1_3genE3ELNS1_11target_archE908ELNS1_3gpuE7ELNS1_3repE0EEENS1_36merge_oddeven_config_static_selectorELNS0_4arch9wavefront6targetE1EEEvSL_.kd
    .uniform_work_group_size: 1
    .uses_dynamic_stack: false
    .vgpr_count:     0
    .vgpr_spill_count: 0
    .wavefront_size: 64
  - .agpr_count:     0
    .args:
      - .offset:         0
        .size:           48
        .value_kind:     by_value
    .group_segment_fixed_size: 0
    .kernarg_segment_align: 8
    .kernarg_segment_size: 48
    .language:       OpenCL C
    .language_version:
      - 2
      - 0
    .max_flat_workgroup_size: 256
    .name:           _ZN7rocprim17ROCPRIM_400000_NS6detail17trampoline_kernelINS0_14default_configENS1_38merge_sort_block_merge_config_selectorIsNS0_10empty_typeEEEZZNS1_27merge_sort_block_merge_implIS3_N6thrust23THRUST_200600_302600_NS6detail15normal_iteratorINS9_10device_ptrIsEEEEPS5_jNS1_19radix_merge_compareILb0ELb0EsNS0_19identity_decomposerEEEEE10hipError_tT0_T1_T2_jT3_P12ihipStream_tbPNSt15iterator_traitsISK_E10value_typeEPNSQ_ISL_E10value_typeEPSM_NS1_7vsmem_tEENKUlT_SK_SL_SM_E_clIPsSE_SF_SF_EESJ_SZ_SK_SL_SM_EUlSZ_E1_NS1_11comp_targetILNS1_3genE2ELNS1_11target_archE906ELNS1_3gpuE6ELNS1_3repE0EEENS1_36merge_oddeven_config_static_selectorELNS0_4arch9wavefront6targetE1EEEvSL_
    .private_segment_fixed_size: 0
    .sgpr_count:     4
    .sgpr_spill_count: 0
    .symbol:         _ZN7rocprim17ROCPRIM_400000_NS6detail17trampoline_kernelINS0_14default_configENS1_38merge_sort_block_merge_config_selectorIsNS0_10empty_typeEEEZZNS1_27merge_sort_block_merge_implIS3_N6thrust23THRUST_200600_302600_NS6detail15normal_iteratorINS9_10device_ptrIsEEEEPS5_jNS1_19radix_merge_compareILb0ELb0EsNS0_19identity_decomposerEEEEE10hipError_tT0_T1_T2_jT3_P12ihipStream_tbPNSt15iterator_traitsISK_E10value_typeEPNSQ_ISL_E10value_typeEPSM_NS1_7vsmem_tEENKUlT_SK_SL_SM_E_clIPsSE_SF_SF_EESJ_SZ_SK_SL_SM_EUlSZ_E1_NS1_11comp_targetILNS1_3genE2ELNS1_11target_archE906ELNS1_3gpuE6ELNS1_3repE0EEENS1_36merge_oddeven_config_static_selectorELNS0_4arch9wavefront6targetE1EEEvSL_.kd
    .uniform_work_group_size: 1
    .uses_dynamic_stack: false
    .vgpr_count:     0
    .vgpr_spill_count: 0
    .wavefront_size: 64
  - .agpr_count:     0
    .args:
      - .offset:         0
        .size:           48
        .value_kind:     by_value
    .group_segment_fixed_size: 0
    .kernarg_segment_align: 8
    .kernarg_segment_size: 48
    .language:       OpenCL C
    .language_version:
      - 2
      - 0
    .max_flat_workgroup_size: 256
    .name:           _ZN7rocprim17ROCPRIM_400000_NS6detail17trampoline_kernelINS0_14default_configENS1_38merge_sort_block_merge_config_selectorIsNS0_10empty_typeEEEZZNS1_27merge_sort_block_merge_implIS3_N6thrust23THRUST_200600_302600_NS6detail15normal_iteratorINS9_10device_ptrIsEEEEPS5_jNS1_19radix_merge_compareILb0ELb0EsNS0_19identity_decomposerEEEEE10hipError_tT0_T1_T2_jT3_P12ihipStream_tbPNSt15iterator_traitsISK_E10value_typeEPNSQ_ISL_E10value_typeEPSM_NS1_7vsmem_tEENKUlT_SK_SL_SM_E_clIPsSE_SF_SF_EESJ_SZ_SK_SL_SM_EUlSZ_E1_NS1_11comp_targetILNS1_3genE9ELNS1_11target_archE1100ELNS1_3gpuE3ELNS1_3repE0EEENS1_36merge_oddeven_config_static_selectorELNS0_4arch9wavefront6targetE1EEEvSL_
    .private_segment_fixed_size: 0
    .sgpr_count:     4
    .sgpr_spill_count: 0
    .symbol:         _ZN7rocprim17ROCPRIM_400000_NS6detail17trampoline_kernelINS0_14default_configENS1_38merge_sort_block_merge_config_selectorIsNS0_10empty_typeEEEZZNS1_27merge_sort_block_merge_implIS3_N6thrust23THRUST_200600_302600_NS6detail15normal_iteratorINS9_10device_ptrIsEEEEPS5_jNS1_19radix_merge_compareILb0ELb0EsNS0_19identity_decomposerEEEEE10hipError_tT0_T1_T2_jT3_P12ihipStream_tbPNSt15iterator_traitsISK_E10value_typeEPNSQ_ISL_E10value_typeEPSM_NS1_7vsmem_tEENKUlT_SK_SL_SM_E_clIPsSE_SF_SF_EESJ_SZ_SK_SL_SM_EUlSZ_E1_NS1_11comp_targetILNS1_3genE9ELNS1_11target_archE1100ELNS1_3gpuE3ELNS1_3repE0EEENS1_36merge_oddeven_config_static_selectorELNS0_4arch9wavefront6targetE1EEEvSL_.kd
    .uniform_work_group_size: 1
    .uses_dynamic_stack: false
    .vgpr_count:     0
    .vgpr_spill_count: 0
    .wavefront_size: 64
  - .agpr_count:     0
    .args:
      - .offset:         0
        .size:           48
        .value_kind:     by_value
    .group_segment_fixed_size: 0
    .kernarg_segment_align: 8
    .kernarg_segment_size: 48
    .language:       OpenCL C
    .language_version:
      - 2
      - 0
    .max_flat_workgroup_size: 256
    .name:           _ZN7rocprim17ROCPRIM_400000_NS6detail17trampoline_kernelINS0_14default_configENS1_38merge_sort_block_merge_config_selectorIsNS0_10empty_typeEEEZZNS1_27merge_sort_block_merge_implIS3_N6thrust23THRUST_200600_302600_NS6detail15normal_iteratorINS9_10device_ptrIsEEEEPS5_jNS1_19radix_merge_compareILb0ELb0EsNS0_19identity_decomposerEEEEE10hipError_tT0_T1_T2_jT3_P12ihipStream_tbPNSt15iterator_traitsISK_E10value_typeEPNSQ_ISL_E10value_typeEPSM_NS1_7vsmem_tEENKUlT_SK_SL_SM_E_clIPsSE_SF_SF_EESJ_SZ_SK_SL_SM_EUlSZ_E1_NS1_11comp_targetILNS1_3genE8ELNS1_11target_archE1030ELNS1_3gpuE2ELNS1_3repE0EEENS1_36merge_oddeven_config_static_selectorELNS0_4arch9wavefront6targetE1EEEvSL_
    .private_segment_fixed_size: 0
    .sgpr_count:     4
    .sgpr_spill_count: 0
    .symbol:         _ZN7rocprim17ROCPRIM_400000_NS6detail17trampoline_kernelINS0_14default_configENS1_38merge_sort_block_merge_config_selectorIsNS0_10empty_typeEEEZZNS1_27merge_sort_block_merge_implIS3_N6thrust23THRUST_200600_302600_NS6detail15normal_iteratorINS9_10device_ptrIsEEEEPS5_jNS1_19radix_merge_compareILb0ELb0EsNS0_19identity_decomposerEEEEE10hipError_tT0_T1_T2_jT3_P12ihipStream_tbPNSt15iterator_traitsISK_E10value_typeEPNSQ_ISL_E10value_typeEPSM_NS1_7vsmem_tEENKUlT_SK_SL_SM_E_clIPsSE_SF_SF_EESJ_SZ_SK_SL_SM_EUlSZ_E1_NS1_11comp_targetILNS1_3genE8ELNS1_11target_archE1030ELNS1_3gpuE2ELNS1_3repE0EEENS1_36merge_oddeven_config_static_selectorELNS0_4arch9wavefront6targetE1EEEvSL_.kd
    .uniform_work_group_size: 1
    .uses_dynamic_stack: false
    .vgpr_count:     0
    .vgpr_spill_count: 0
    .wavefront_size: 64
  - .agpr_count:     0
    .args:
      - .offset:         0
        .size:           40
        .value_kind:     by_value
    .group_segment_fixed_size: 0
    .kernarg_segment_align: 8
    .kernarg_segment_size: 40
    .language:       OpenCL C
    .language_version:
      - 2
      - 0
    .max_flat_workgroup_size: 128
    .name:           _ZN7rocprim17ROCPRIM_400000_NS6detail17trampoline_kernelINS0_14default_configENS1_38merge_sort_block_merge_config_selectorIsNS0_10empty_typeEEEZZNS1_27merge_sort_block_merge_implIS3_N6thrust23THRUST_200600_302600_NS6detail15normal_iteratorINS9_10device_ptrIsEEEEPS5_jNS1_19radix_merge_compareILb0ELb0EsNS0_19identity_decomposerEEEEE10hipError_tT0_T1_T2_jT3_P12ihipStream_tbPNSt15iterator_traitsISK_E10value_typeEPNSQ_ISL_E10value_typeEPSM_NS1_7vsmem_tEENKUlT_SK_SL_SM_E_clISE_PsSF_SF_EESJ_SZ_SK_SL_SM_EUlSZ_E_NS1_11comp_targetILNS1_3genE0ELNS1_11target_archE4294967295ELNS1_3gpuE0ELNS1_3repE0EEENS1_48merge_mergepath_partition_config_static_selectorELNS0_4arch9wavefront6targetE1EEEvSL_
    .private_segment_fixed_size: 0
    .sgpr_count:     4
    .sgpr_spill_count: 0
    .symbol:         _ZN7rocprim17ROCPRIM_400000_NS6detail17trampoline_kernelINS0_14default_configENS1_38merge_sort_block_merge_config_selectorIsNS0_10empty_typeEEEZZNS1_27merge_sort_block_merge_implIS3_N6thrust23THRUST_200600_302600_NS6detail15normal_iteratorINS9_10device_ptrIsEEEEPS5_jNS1_19radix_merge_compareILb0ELb0EsNS0_19identity_decomposerEEEEE10hipError_tT0_T1_T2_jT3_P12ihipStream_tbPNSt15iterator_traitsISK_E10value_typeEPNSQ_ISL_E10value_typeEPSM_NS1_7vsmem_tEENKUlT_SK_SL_SM_E_clISE_PsSF_SF_EESJ_SZ_SK_SL_SM_EUlSZ_E_NS1_11comp_targetILNS1_3genE0ELNS1_11target_archE4294967295ELNS1_3gpuE0ELNS1_3repE0EEENS1_48merge_mergepath_partition_config_static_selectorELNS0_4arch9wavefront6targetE1EEEvSL_.kd
    .uniform_work_group_size: 1
    .uses_dynamic_stack: false
    .vgpr_count:     0
    .vgpr_spill_count: 0
    .wavefront_size: 64
  - .agpr_count:     0
    .args:
      - .offset:         0
        .size:           40
        .value_kind:     by_value
    .group_segment_fixed_size: 0
    .kernarg_segment_align: 8
    .kernarg_segment_size: 40
    .language:       OpenCL C
    .language_version:
      - 2
      - 0
    .max_flat_workgroup_size: 128
    .name:           _ZN7rocprim17ROCPRIM_400000_NS6detail17trampoline_kernelINS0_14default_configENS1_38merge_sort_block_merge_config_selectorIsNS0_10empty_typeEEEZZNS1_27merge_sort_block_merge_implIS3_N6thrust23THRUST_200600_302600_NS6detail15normal_iteratorINS9_10device_ptrIsEEEEPS5_jNS1_19radix_merge_compareILb0ELb0EsNS0_19identity_decomposerEEEEE10hipError_tT0_T1_T2_jT3_P12ihipStream_tbPNSt15iterator_traitsISK_E10value_typeEPNSQ_ISL_E10value_typeEPSM_NS1_7vsmem_tEENKUlT_SK_SL_SM_E_clISE_PsSF_SF_EESJ_SZ_SK_SL_SM_EUlSZ_E_NS1_11comp_targetILNS1_3genE10ELNS1_11target_archE1201ELNS1_3gpuE5ELNS1_3repE0EEENS1_48merge_mergepath_partition_config_static_selectorELNS0_4arch9wavefront6targetE1EEEvSL_
    .private_segment_fixed_size: 0
    .sgpr_count:     4
    .sgpr_spill_count: 0
    .symbol:         _ZN7rocprim17ROCPRIM_400000_NS6detail17trampoline_kernelINS0_14default_configENS1_38merge_sort_block_merge_config_selectorIsNS0_10empty_typeEEEZZNS1_27merge_sort_block_merge_implIS3_N6thrust23THRUST_200600_302600_NS6detail15normal_iteratorINS9_10device_ptrIsEEEEPS5_jNS1_19radix_merge_compareILb0ELb0EsNS0_19identity_decomposerEEEEE10hipError_tT0_T1_T2_jT3_P12ihipStream_tbPNSt15iterator_traitsISK_E10value_typeEPNSQ_ISL_E10value_typeEPSM_NS1_7vsmem_tEENKUlT_SK_SL_SM_E_clISE_PsSF_SF_EESJ_SZ_SK_SL_SM_EUlSZ_E_NS1_11comp_targetILNS1_3genE10ELNS1_11target_archE1201ELNS1_3gpuE5ELNS1_3repE0EEENS1_48merge_mergepath_partition_config_static_selectorELNS0_4arch9wavefront6targetE1EEEvSL_.kd
    .uniform_work_group_size: 1
    .uses_dynamic_stack: false
    .vgpr_count:     0
    .vgpr_spill_count: 0
    .wavefront_size: 64
  - .agpr_count:     0
    .args:
      - .offset:         0
        .size:           40
        .value_kind:     by_value
    .group_segment_fixed_size: 0
    .kernarg_segment_align: 8
    .kernarg_segment_size: 40
    .language:       OpenCL C
    .language_version:
      - 2
      - 0
    .max_flat_workgroup_size: 128
    .name:           _ZN7rocprim17ROCPRIM_400000_NS6detail17trampoline_kernelINS0_14default_configENS1_38merge_sort_block_merge_config_selectorIsNS0_10empty_typeEEEZZNS1_27merge_sort_block_merge_implIS3_N6thrust23THRUST_200600_302600_NS6detail15normal_iteratorINS9_10device_ptrIsEEEEPS5_jNS1_19radix_merge_compareILb0ELb0EsNS0_19identity_decomposerEEEEE10hipError_tT0_T1_T2_jT3_P12ihipStream_tbPNSt15iterator_traitsISK_E10value_typeEPNSQ_ISL_E10value_typeEPSM_NS1_7vsmem_tEENKUlT_SK_SL_SM_E_clISE_PsSF_SF_EESJ_SZ_SK_SL_SM_EUlSZ_E_NS1_11comp_targetILNS1_3genE5ELNS1_11target_archE942ELNS1_3gpuE9ELNS1_3repE0EEENS1_48merge_mergepath_partition_config_static_selectorELNS0_4arch9wavefront6targetE1EEEvSL_
    .private_segment_fixed_size: 0
    .sgpr_count:     4
    .sgpr_spill_count: 0
    .symbol:         _ZN7rocprim17ROCPRIM_400000_NS6detail17trampoline_kernelINS0_14default_configENS1_38merge_sort_block_merge_config_selectorIsNS0_10empty_typeEEEZZNS1_27merge_sort_block_merge_implIS3_N6thrust23THRUST_200600_302600_NS6detail15normal_iteratorINS9_10device_ptrIsEEEEPS5_jNS1_19radix_merge_compareILb0ELb0EsNS0_19identity_decomposerEEEEE10hipError_tT0_T1_T2_jT3_P12ihipStream_tbPNSt15iterator_traitsISK_E10value_typeEPNSQ_ISL_E10value_typeEPSM_NS1_7vsmem_tEENKUlT_SK_SL_SM_E_clISE_PsSF_SF_EESJ_SZ_SK_SL_SM_EUlSZ_E_NS1_11comp_targetILNS1_3genE5ELNS1_11target_archE942ELNS1_3gpuE9ELNS1_3repE0EEENS1_48merge_mergepath_partition_config_static_selectorELNS0_4arch9wavefront6targetE1EEEvSL_.kd
    .uniform_work_group_size: 1
    .uses_dynamic_stack: false
    .vgpr_count:     0
    .vgpr_spill_count: 0
    .wavefront_size: 64
  - .agpr_count:     0
    .args:
      - .offset:         0
        .size:           40
        .value_kind:     by_value
    .group_segment_fixed_size: 0
    .kernarg_segment_align: 8
    .kernarg_segment_size: 40
    .language:       OpenCL C
    .language_version:
      - 2
      - 0
    .max_flat_workgroup_size: 128
    .name:           _ZN7rocprim17ROCPRIM_400000_NS6detail17trampoline_kernelINS0_14default_configENS1_38merge_sort_block_merge_config_selectorIsNS0_10empty_typeEEEZZNS1_27merge_sort_block_merge_implIS3_N6thrust23THRUST_200600_302600_NS6detail15normal_iteratorINS9_10device_ptrIsEEEEPS5_jNS1_19radix_merge_compareILb0ELb0EsNS0_19identity_decomposerEEEEE10hipError_tT0_T1_T2_jT3_P12ihipStream_tbPNSt15iterator_traitsISK_E10value_typeEPNSQ_ISL_E10value_typeEPSM_NS1_7vsmem_tEENKUlT_SK_SL_SM_E_clISE_PsSF_SF_EESJ_SZ_SK_SL_SM_EUlSZ_E_NS1_11comp_targetILNS1_3genE4ELNS1_11target_archE910ELNS1_3gpuE8ELNS1_3repE0EEENS1_48merge_mergepath_partition_config_static_selectorELNS0_4arch9wavefront6targetE1EEEvSL_
    .private_segment_fixed_size: 0
    .sgpr_count:     12
    .sgpr_spill_count: 0
    .symbol:         _ZN7rocprim17ROCPRIM_400000_NS6detail17trampoline_kernelINS0_14default_configENS1_38merge_sort_block_merge_config_selectorIsNS0_10empty_typeEEEZZNS1_27merge_sort_block_merge_implIS3_N6thrust23THRUST_200600_302600_NS6detail15normal_iteratorINS9_10device_ptrIsEEEEPS5_jNS1_19radix_merge_compareILb0ELb0EsNS0_19identity_decomposerEEEEE10hipError_tT0_T1_T2_jT3_P12ihipStream_tbPNSt15iterator_traitsISK_E10value_typeEPNSQ_ISL_E10value_typeEPSM_NS1_7vsmem_tEENKUlT_SK_SL_SM_E_clISE_PsSF_SF_EESJ_SZ_SK_SL_SM_EUlSZ_E_NS1_11comp_targetILNS1_3genE4ELNS1_11target_archE910ELNS1_3gpuE8ELNS1_3repE0EEENS1_48merge_mergepath_partition_config_static_selectorELNS0_4arch9wavefront6targetE1EEEvSL_.kd
    .uniform_work_group_size: 1
    .uses_dynamic_stack: false
    .vgpr_count:     15
    .vgpr_spill_count: 0
    .wavefront_size: 64
  - .agpr_count:     0
    .args:
      - .offset:         0
        .size:           40
        .value_kind:     by_value
    .group_segment_fixed_size: 0
    .kernarg_segment_align: 8
    .kernarg_segment_size: 40
    .language:       OpenCL C
    .language_version:
      - 2
      - 0
    .max_flat_workgroup_size: 128
    .name:           _ZN7rocprim17ROCPRIM_400000_NS6detail17trampoline_kernelINS0_14default_configENS1_38merge_sort_block_merge_config_selectorIsNS0_10empty_typeEEEZZNS1_27merge_sort_block_merge_implIS3_N6thrust23THRUST_200600_302600_NS6detail15normal_iteratorINS9_10device_ptrIsEEEEPS5_jNS1_19radix_merge_compareILb0ELb0EsNS0_19identity_decomposerEEEEE10hipError_tT0_T1_T2_jT3_P12ihipStream_tbPNSt15iterator_traitsISK_E10value_typeEPNSQ_ISL_E10value_typeEPSM_NS1_7vsmem_tEENKUlT_SK_SL_SM_E_clISE_PsSF_SF_EESJ_SZ_SK_SL_SM_EUlSZ_E_NS1_11comp_targetILNS1_3genE3ELNS1_11target_archE908ELNS1_3gpuE7ELNS1_3repE0EEENS1_48merge_mergepath_partition_config_static_selectorELNS0_4arch9wavefront6targetE1EEEvSL_
    .private_segment_fixed_size: 0
    .sgpr_count:     4
    .sgpr_spill_count: 0
    .symbol:         _ZN7rocprim17ROCPRIM_400000_NS6detail17trampoline_kernelINS0_14default_configENS1_38merge_sort_block_merge_config_selectorIsNS0_10empty_typeEEEZZNS1_27merge_sort_block_merge_implIS3_N6thrust23THRUST_200600_302600_NS6detail15normal_iteratorINS9_10device_ptrIsEEEEPS5_jNS1_19radix_merge_compareILb0ELb0EsNS0_19identity_decomposerEEEEE10hipError_tT0_T1_T2_jT3_P12ihipStream_tbPNSt15iterator_traitsISK_E10value_typeEPNSQ_ISL_E10value_typeEPSM_NS1_7vsmem_tEENKUlT_SK_SL_SM_E_clISE_PsSF_SF_EESJ_SZ_SK_SL_SM_EUlSZ_E_NS1_11comp_targetILNS1_3genE3ELNS1_11target_archE908ELNS1_3gpuE7ELNS1_3repE0EEENS1_48merge_mergepath_partition_config_static_selectorELNS0_4arch9wavefront6targetE1EEEvSL_.kd
    .uniform_work_group_size: 1
    .uses_dynamic_stack: false
    .vgpr_count:     0
    .vgpr_spill_count: 0
    .wavefront_size: 64
  - .agpr_count:     0
    .args:
      - .offset:         0
        .size:           40
        .value_kind:     by_value
    .group_segment_fixed_size: 0
    .kernarg_segment_align: 8
    .kernarg_segment_size: 40
    .language:       OpenCL C
    .language_version:
      - 2
      - 0
    .max_flat_workgroup_size: 128
    .name:           _ZN7rocprim17ROCPRIM_400000_NS6detail17trampoline_kernelINS0_14default_configENS1_38merge_sort_block_merge_config_selectorIsNS0_10empty_typeEEEZZNS1_27merge_sort_block_merge_implIS3_N6thrust23THRUST_200600_302600_NS6detail15normal_iteratorINS9_10device_ptrIsEEEEPS5_jNS1_19radix_merge_compareILb0ELb0EsNS0_19identity_decomposerEEEEE10hipError_tT0_T1_T2_jT3_P12ihipStream_tbPNSt15iterator_traitsISK_E10value_typeEPNSQ_ISL_E10value_typeEPSM_NS1_7vsmem_tEENKUlT_SK_SL_SM_E_clISE_PsSF_SF_EESJ_SZ_SK_SL_SM_EUlSZ_E_NS1_11comp_targetILNS1_3genE2ELNS1_11target_archE906ELNS1_3gpuE6ELNS1_3repE0EEENS1_48merge_mergepath_partition_config_static_selectorELNS0_4arch9wavefront6targetE1EEEvSL_
    .private_segment_fixed_size: 0
    .sgpr_count:     4
    .sgpr_spill_count: 0
    .symbol:         _ZN7rocprim17ROCPRIM_400000_NS6detail17trampoline_kernelINS0_14default_configENS1_38merge_sort_block_merge_config_selectorIsNS0_10empty_typeEEEZZNS1_27merge_sort_block_merge_implIS3_N6thrust23THRUST_200600_302600_NS6detail15normal_iteratorINS9_10device_ptrIsEEEEPS5_jNS1_19radix_merge_compareILb0ELb0EsNS0_19identity_decomposerEEEEE10hipError_tT0_T1_T2_jT3_P12ihipStream_tbPNSt15iterator_traitsISK_E10value_typeEPNSQ_ISL_E10value_typeEPSM_NS1_7vsmem_tEENKUlT_SK_SL_SM_E_clISE_PsSF_SF_EESJ_SZ_SK_SL_SM_EUlSZ_E_NS1_11comp_targetILNS1_3genE2ELNS1_11target_archE906ELNS1_3gpuE6ELNS1_3repE0EEENS1_48merge_mergepath_partition_config_static_selectorELNS0_4arch9wavefront6targetE1EEEvSL_.kd
    .uniform_work_group_size: 1
    .uses_dynamic_stack: false
    .vgpr_count:     0
    .vgpr_spill_count: 0
    .wavefront_size: 64
  - .agpr_count:     0
    .args:
      - .offset:         0
        .size:           40
        .value_kind:     by_value
    .group_segment_fixed_size: 0
    .kernarg_segment_align: 8
    .kernarg_segment_size: 40
    .language:       OpenCL C
    .language_version:
      - 2
      - 0
    .max_flat_workgroup_size: 128
    .name:           _ZN7rocprim17ROCPRIM_400000_NS6detail17trampoline_kernelINS0_14default_configENS1_38merge_sort_block_merge_config_selectorIsNS0_10empty_typeEEEZZNS1_27merge_sort_block_merge_implIS3_N6thrust23THRUST_200600_302600_NS6detail15normal_iteratorINS9_10device_ptrIsEEEEPS5_jNS1_19radix_merge_compareILb0ELb0EsNS0_19identity_decomposerEEEEE10hipError_tT0_T1_T2_jT3_P12ihipStream_tbPNSt15iterator_traitsISK_E10value_typeEPNSQ_ISL_E10value_typeEPSM_NS1_7vsmem_tEENKUlT_SK_SL_SM_E_clISE_PsSF_SF_EESJ_SZ_SK_SL_SM_EUlSZ_E_NS1_11comp_targetILNS1_3genE9ELNS1_11target_archE1100ELNS1_3gpuE3ELNS1_3repE0EEENS1_48merge_mergepath_partition_config_static_selectorELNS0_4arch9wavefront6targetE1EEEvSL_
    .private_segment_fixed_size: 0
    .sgpr_count:     4
    .sgpr_spill_count: 0
    .symbol:         _ZN7rocprim17ROCPRIM_400000_NS6detail17trampoline_kernelINS0_14default_configENS1_38merge_sort_block_merge_config_selectorIsNS0_10empty_typeEEEZZNS1_27merge_sort_block_merge_implIS3_N6thrust23THRUST_200600_302600_NS6detail15normal_iteratorINS9_10device_ptrIsEEEEPS5_jNS1_19radix_merge_compareILb0ELb0EsNS0_19identity_decomposerEEEEE10hipError_tT0_T1_T2_jT3_P12ihipStream_tbPNSt15iterator_traitsISK_E10value_typeEPNSQ_ISL_E10value_typeEPSM_NS1_7vsmem_tEENKUlT_SK_SL_SM_E_clISE_PsSF_SF_EESJ_SZ_SK_SL_SM_EUlSZ_E_NS1_11comp_targetILNS1_3genE9ELNS1_11target_archE1100ELNS1_3gpuE3ELNS1_3repE0EEENS1_48merge_mergepath_partition_config_static_selectorELNS0_4arch9wavefront6targetE1EEEvSL_.kd
    .uniform_work_group_size: 1
    .uses_dynamic_stack: false
    .vgpr_count:     0
    .vgpr_spill_count: 0
    .wavefront_size: 64
  - .agpr_count:     0
    .args:
      - .offset:         0
        .size:           40
        .value_kind:     by_value
    .group_segment_fixed_size: 0
    .kernarg_segment_align: 8
    .kernarg_segment_size: 40
    .language:       OpenCL C
    .language_version:
      - 2
      - 0
    .max_flat_workgroup_size: 128
    .name:           _ZN7rocprim17ROCPRIM_400000_NS6detail17trampoline_kernelINS0_14default_configENS1_38merge_sort_block_merge_config_selectorIsNS0_10empty_typeEEEZZNS1_27merge_sort_block_merge_implIS3_N6thrust23THRUST_200600_302600_NS6detail15normal_iteratorINS9_10device_ptrIsEEEEPS5_jNS1_19radix_merge_compareILb0ELb0EsNS0_19identity_decomposerEEEEE10hipError_tT0_T1_T2_jT3_P12ihipStream_tbPNSt15iterator_traitsISK_E10value_typeEPNSQ_ISL_E10value_typeEPSM_NS1_7vsmem_tEENKUlT_SK_SL_SM_E_clISE_PsSF_SF_EESJ_SZ_SK_SL_SM_EUlSZ_E_NS1_11comp_targetILNS1_3genE8ELNS1_11target_archE1030ELNS1_3gpuE2ELNS1_3repE0EEENS1_48merge_mergepath_partition_config_static_selectorELNS0_4arch9wavefront6targetE1EEEvSL_
    .private_segment_fixed_size: 0
    .sgpr_count:     4
    .sgpr_spill_count: 0
    .symbol:         _ZN7rocprim17ROCPRIM_400000_NS6detail17trampoline_kernelINS0_14default_configENS1_38merge_sort_block_merge_config_selectorIsNS0_10empty_typeEEEZZNS1_27merge_sort_block_merge_implIS3_N6thrust23THRUST_200600_302600_NS6detail15normal_iteratorINS9_10device_ptrIsEEEEPS5_jNS1_19radix_merge_compareILb0ELb0EsNS0_19identity_decomposerEEEEE10hipError_tT0_T1_T2_jT3_P12ihipStream_tbPNSt15iterator_traitsISK_E10value_typeEPNSQ_ISL_E10value_typeEPSM_NS1_7vsmem_tEENKUlT_SK_SL_SM_E_clISE_PsSF_SF_EESJ_SZ_SK_SL_SM_EUlSZ_E_NS1_11comp_targetILNS1_3genE8ELNS1_11target_archE1030ELNS1_3gpuE2ELNS1_3repE0EEENS1_48merge_mergepath_partition_config_static_selectorELNS0_4arch9wavefront6targetE1EEEvSL_.kd
    .uniform_work_group_size: 1
    .uses_dynamic_stack: false
    .vgpr_count:     0
    .vgpr_spill_count: 0
    .wavefront_size: 64
  - .agpr_count:     0
    .args:
      - .offset:         0
        .size:           64
        .value_kind:     by_value
    .group_segment_fixed_size: 0
    .kernarg_segment_align: 8
    .kernarg_segment_size: 64
    .language:       OpenCL C
    .language_version:
      - 2
      - 0
    .max_flat_workgroup_size: 128
    .name:           _ZN7rocprim17ROCPRIM_400000_NS6detail17trampoline_kernelINS0_14default_configENS1_38merge_sort_block_merge_config_selectorIsNS0_10empty_typeEEEZZNS1_27merge_sort_block_merge_implIS3_N6thrust23THRUST_200600_302600_NS6detail15normal_iteratorINS9_10device_ptrIsEEEEPS5_jNS1_19radix_merge_compareILb0ELb0EsNS0_19identity_decomposerEEEEE10hipError_tT0_T1_T2_jT3_P12ihipStream_tbPNSt15iterator_traitsISK_E10value_typeEPNSQ_ISL_E10value_typeEPSM_NS1_7vsmem_tEENKUlT_SK_SL_SM_E_clISE_PsSF_SF_EESJ_SZ_SK_SL_SM_EUlSZ_E0_NS1_11comp_targetILNS1_3genE0ELNS1_11target_archE4294967295ELNS1_3gpuE0ELNS1_3repE0EEENS1_38merge_mergepath_config_static_selectorELNS0_4arch9wavefront6targetE1EEEvSL_
    .private_segment_fixed_size: 0
    .sgpr_count:     4
    .sgpr_spill_count: 0
    .symbol:         _ZN7rocprim17ROCPRIM_400000_NS6detail17trampoline_kernelINS0_14default_configENS1_38merge_sort_block_merge_config_selectorIsNS0_10empty_typeEEEZZNS1_27merge_sort_block_merge_implIS3_N6thrust23THRUST_200600_302600_NS6detail15normal_iteratorINS9_10device_ptrIsEEEEPS5_jNS1_19radix_merge_compareILb0ELb0EsNS0_19identity_decomposerEEEEE10hipError_tT0_T1_T2_jT3_P12ihipStream_tbPNSt15iterator_traitsISK_E10value_typeEPNSQ_ISL_E10value_typeEPSM_NS1_7vsmem_tEENKUlT_SK_SL_SM_E_clISE_PsSF_SF_EESJ_SZ_SK_SL_SM_EUlSZ_E0_NS1_11comp_targetILNS1_3genE0ELNS1_11target_archE4294967295ELNS1_3gpuE0ELNS1_3repE0EEENS1_38merge_mergepath_config_static_selectorELNS0_4arch9wavefront6targetE1EEEvSL_.kd
    .uniform_work_group_size: 1
    .uses_dynamic_stack: false
    .vgpr_count:     0
    .vgpr_spill_count: 0
    .wavefront_size: 64
  - .agpr_count:     0
    .args:
      - .offset:         0
        .size:           64
        .value_kind:     by_value
    .group_segment_fixed_size: 0
    .kernarg_segment_align: 8
    .kernarg_segment_size: 64
    .language:       OpenCL C
    .language_version:
      - 2
      - 0
    .max_flat_workgroup_size: 128
    .name:           _ZN7rocprim17ROCPRIM_400000_NS6detail17trampoline_kernelINS0_14default_configENS1_38merge_sort_block_merge_config_selectorIsNS0_10empty_typeEEEZZNS1_27merge_sort_block_merge_implIS3_N6thrust23THRUST_200600_302600_NS6detail15normal_iteratorINS9_10device_ptrIsEEEEPS5_jNS1_19radix_merge_compareILb0ELb0EsNS0_19identity_decomposerEEEEE10hipError_tT0_T1_T2_jT3_P12ihipStream_tbPNSt15iterator_traitsISK_E10value_typeEPNSQ_ISL_E10value_typeEPSM_NS1_7vsmem_tEENKUlT_SK_SL_SM_E_clISE_PsSF_SF_EESJ_SZ_SK_SL_SM_EUlSZ_E0_NS1_11comp_targetILNS1_3genE10ELNS1_11target_archE1201ELNS1_3gpuE5ELNS1_3repE0EEENS1_38merge_mergepath_config_static_selectorELNS0_4arch9wavefront6targetE1EEEvSL_
    .private_segment_fixed_size: 0
    .sgpr_count:     4
    .sgpr_spill_count: 0
    .symbol:         _ZN7rocprim17ROCPRIM_400000_NS6detail17trampoline_kernelINS0_14default_configENS1_38merge_sort_block_merge_config_selectorIsNS0_10empty_typeEEEZZNS1_27merge_sort_block_merge_implIS3_N6thrust23THRUST_200600_302600_NS6detail15normal_iteratorINS9_10device_ptrIsEEEEPS5_jNS1_19radix_merge_compareILb0ELb0EsNS0_19identity_decomposerEEEEE10hipError_tT0_T1_T2_jT3_P12ihipStream_tbPNSt15iterator_traitsISK_E10value_typeEPNSQ_ISL_E10value_typeEPSM_NS1_7vsmem_tEENKUlT_SK_SL_SM_E_clISE_PsSF_SF_EESJ_SZ_SK_SL_SM_EUlSZ_E0_NS1_11comp_targetILNS1_3genE10ELNS1_11target_archE1201ELNS1_3gpuE5ELNS1_3repE0EEENS1_38merge_mergepath_config_static_selectorELNS0_4arch9wavefront6targetE1EEEvSL_.kd
    .uniform_work_group_size: 1
    .uses_dynamic_stack: false
    .vgpr_count:     0
    .vgpr_spill_count: 0
    .wavefront_size: 64
  - .agpr_count:     0
    .args:
      - .offset:         0
        .size:           64
        .value_kind:     by_value
    .group_segment_fixed_size: 0
    .kernarg_segment_align: 8
    .kernarg_segment_size: 64
    .language:       OpenCL C
    .language_version:
      - 2
      - 0
    .max_flat_workgroup_size: 128
    .name:           _ZN7rocprim17ROCPRIM_400000_NS6detail17trampoline_kernelINS0_14default_configENS1_38merge_sort_block_merge_config_selectorIsNS0_10empty_typeEEEZZNS1_27merge_sort_block_merge_implIS3_N6thrust23THRUST_200600_302600_NS6detail15normal_iteratorINS9_10device_ptrIsEEEEPS5_jNS1_19radix_merge_compareILb0ELb0EsNS0_19identity_decomposerEEEEE10hipError_tT0_T1_T2_jT3_P12ihipStream_tbPNSt15iterator_traitsISK_E10value_typeEPNSQ_ISL_E10value_typeEPSM_NS1_7vsmem_tEENKUlT_SK_SL_SM_E_clISE_PsSF_SF_EESJ_SZ_SK_SL_SM_EUlSZ_E0_NS1_11comp_targetILNS1_3genE5ELNS1_11target_archE942ELNS1_3gpuE9ELNS1_3repE0EEENS1_38merge_mergepath_config_static_selectorELNS0_4arch9wavefront6targetE1EEEvSL_
    .private_segment_fixed_size: 0
    .sgpr_count:     4
    .sgpr_spill_count: 0
    .symbol:         _ZN7rocprim17ROCPRIM_400000_NS6detail17trampoline_kernelINS0_14default_configENS1_38merge_sort_block_merge_config_selectorIsNS0_10empty_typeEEEZZNS1_27merge_sort_block_merge_implIS3_N6thrust23THRUST_200600_302600_NS6detail15normal_iteratorINS9_10device_ptrIsEEEEPS5_jNS1_19radix_merge_compareILb0ELb0EsNS0_19identity_decomposerEEEEE10hipError_tT0_T1_T2_jT3_P12ihipStream_tbPNSt15iterator_traitsISK_E10value_typeEPNSQ_ISL_E10value_typeEPSM_NS1_7vsmem_tEENKUlT_SK_SL_SM_E_clISE_PsSF_SF_EESJ_SZ_SK_SL_SM_EUlSZ_E0_NS1_11comp_targetILNS1_3genE5ELNS1_11target_archE942ELNS1_3gpuE9ELNS1_3repE0EEENS1_38merge_mergepath_config_static_selectorELNS0_4arch9wavefront6targetE1EEEvSL_.kd
    .uniform_work_group_size: 1
    .uses_dynamic_stack: false
    .vgpr_count:     0
    .vgpr_spill_count: 0
    .wavefront_size: 64
  - .agpr_count:     0
    .args:
      - .offset:         0
        .size:           64
        .value_kind:     by_value
      - .offset:         64
        .size:           4
        .value_kind:     hidden_block_count_x
      - .offset:         68
        .size:           4
        .value_kind:     hidden_block_count_y
      - .offset:         72
        .size:           4
        .value_kind:     hidden_block_count_z
      - .offset:         76
        .size:           2
        .value_kind:     hidden_group_size_x
      - .offset:         78
        .size:           2
        .value_kind:     hidden_group_size_y
      - .offset:         80
        .size:           2
        .value_kind:     hidden_group_size_z
      - .offset:         82
        .size:           2
        .value_kind:     hidden_remainder_x
      - .offset:         84
        .size:           2
        .value_kind:     hidden_remainder_y
      - .offset:         86
        .size:           2
        .value_kind:     hidden_remainder_z
      - .offset:         104
        .size:           8
        .value_kind:     hidden_global_offset_x
      - .offset:         112
        .size:           8
        .value_kind:     hidden_global_offset_y
      - .offset:         120
        .size:           8
        .value_kind:     hidden_global_offset_z
      - .offset:         128
        .size:           2
        .value_kind:     hidden_grid_dims
    .group_segment_fixed_size: 2112
    .kernarg_segment_align: 8
    .kernarg_segment_size: 320
    .language:       OpenCL C
    .language_version:
      - 2
      - 0
    .max_flat_workgroup_size: 128
    .name:           _ZN7rocprim17ROCPRIM_400000_NS6detail17trampoline_kernelINS0_14default_configENS1_38merge_sort_block_merge_config_selectorIsNS0_10empty_typeEEEZZNS1_27merge_sort_block_merge_implIS3_N6thrust23THRUST_200600_302600_NS6detail15normal_iteratorINS9_10device_ptrIsEEEEPS5_jNS1_19radix_merge_compareILb0ELb0EsNS0_19identity_decomposerEEEEE10hipError_tT0_T1_T2_jT3_P12ihipStream_tbPNSt15iterator_traitsISK_E10value_typeEPNSQ_ISL_E10value_typeEPSM_NS1_7vsmem_tEENKUlT_SK_SL_SM_E_clISE_PsSF_SF_EESJ_SZ_SK_SL_SM_EUlSZ_E0_NS1_11comp_targetILNS1_3genE4ELNS1_11target_archE910ELNS1_3gpuE8ELNS1_3repE0EEENS1_38merge_mergepath_config_static_selectorELNS0_4arch9wavefront6targetE1EEEvSL_
    .private_segment_fixed_size: 0
    .sgpr_count:     28
    .sgpr_spill_count: 0
    .symbol:         _ZN7rocprim17ROCPRIM_400000_NS6detail17trampoline_kernelINS0_14default_configENS1_38merge_sort_block_merge_config_selectorIsNS0_10empty_typeEEEZZNS1_27merge_sort_block_merge_implIS3_N6thrust23THRUST_200600_302600_NS6detail15normal_iteratorINS9_10device_ptrIsEEEEPS5_jNS1_19radix_merge_compareILb0ELb0EsNS0_19identity_decomposerEEEEE10hipError_tT0_T1_T2_jT3_P12ihipStream_tbPNSt15iterator_traitsISK_E10value_typeEPNSQ_ISL_E10value_typeEPSM_NS1_7vsmem_tEENKUlT_SK_SL_SM_E_clISE_PsSF_SF_EESJ_SZ_SK_SL_SM_EUlSZ_E0_NS1_11comp_targetILNS1_3genE4ELNS1_11target_archE910ELNS1_3gpuE8ELNS1_3repE0EEENS1_38merge_mergepath_config_static_selectorELNS0_4arch9wavefront6targetE1EEEvSL_.kd
    .uniform_work_group_size: 1
    .uses_dynamic_stack: false
    .vgpr_count:     26
    .vgpr_spill_count: 0
    .wavefront_size: 64
  - .agpr_count:     0
    .args:
      - .offset:         0
        .size:           64
        .value_kind:     by_value
    .group_segment_fixed_size: 0
    .kernarg_segment_align: 8
    .kernarg_segment_size: 64
    .language:       OpenCL C
    .language_version:
      - 2
      - 0
    .max_flat_workgroup_size: 128
    .name:           _ZN7rocprim17ROCPRIM_400000_NS6detail17trampoline_kernelINS0_14default_configENS1_38merge_sort_block_merge_config_selectorIsNS0_10empty_typeEEEZZNS1_27merge_sort_block_merge_implIS3_N6thrust23THRUST_200600_302600_NS6detail15normal_iteratorINS9_10device_ptrIsEEEEPS5_jNS1_19radix_merge_compareILb0ELb0EsNS0_19identity_decomposerEEEEE10hipError_tT0_T1_T2_jT3_P12ihipStream_tbPNSt15iterator_traitsISK_E10value_typeEPNSQ_ISL_E10value_typeEPSM_NS1_7vsmem_tEENKUlT_SK_SL_SM_E_clISE_PsSF_SF_EESJ_SZ_SK_SL_SM_EUlSZ_E0_NS1_11comp_targetILNS1_3genE3ELNS1_11target_archE908ELNS1_3gpuE7ELNS1_3repE0EEENS1_38merge_mergepath_config_static_selectorELNS0_4arch9wavefront6targetE1EEEvSL_
    .private_segment_fixed_size: 0
    .sgpr_count:     4
    .sgpr_spill_count: 0
    .symbol:         _ZN7rocprim17ROCPRIM_400000_NS6detail17trampoline_kernelINS0_14default_configENS1_38merge_sort_block_merge_config_selectorIsNS0_10empty_typeEEEZZNS1_27merge_sort_block_merge_implIS3_N6thrust23THRUST_200600_302600_NS6detail15normal_iteratorINS9_10device_ptrIsEEEEPS5_jNS1_19radix_merge_compareILb0ELb0EsNS0_19identity_decomposerEEEEE10hipError_tT0_T1_T2_jT3_P12ihipStream_tbPNSt15iterator_traitsISK_E10value_typeEPNSQ_ISL_E10value_typeEPSM_NS1_7vsmem_tEENKUlT_SK_SL_SM_E_clISE_PsSF_SF_EESJ_SZ_SK_SL_SM_EUlSZ_E0_NS1_11comp_targetILNS1_3genE3ELNS1_11target_archE908ELNS1_3gpuE7ELNS1_3repE0EEENS1_38merge_mergepath_config_static_selectorELNS0_4arch9wavefront6targetE1EEEvSL_.kd
    .uniform_work_group_size: 1
    .uses_dynamic_stack: false
    .vgpr_count:     0
    .vgpr_spill_count: 0
    .wavefront_size: 64
  - .agpr_count:     0
    .args:
      - .offset:         0
        .size:           64
        .value_kind:     by_value
    .group_segment_fixed_size: 0
    .kernarg_segment_align: 8
    .kernarg_segment_size: 64
    .language:       OpenCL C
    .language_version:
      - 2
      - 0
    .max_flat_workgroup_size: 128
    .name:           _ZN7rocprim17ROCPRIM_400000_NS6detail17trampoline_kernelINS0_14default_configENS1_38merge_sort_block_merge_config_selectorIsNS0_10empty_typeEEEZZNS1_27merge_sort_block_merge_implIS3_N6thrust23THRUST_200600_302600_NS6detail15normal_iteratorINS9_10device_ptrIsEEEEPS5_jNS1_19radix_merge_compareILb0ELb0EsNS0_19identity_decomposerEEEEE10hipError_tT0_T1_T2_jT3_P12ihipStream_tbPNSt15iterator_traitsISK_E10value_typeEPNSQ_ISL_E10value_typeEPSM_NS1_7vsmem_tEENKUlT_SK_SL_SM_E_clISE_PsSF_SF_EESJ_SZ_SK_SL_SM_EUlSZ_E0_NS1_11comp_targetILNS1_3genE2ELNS1_11target_archE906ELNS1_3gpuE6ELNS1_3repE0EEENS1_38merge_mergepath_config_static_selectorELNS0_4arch9wavefront6targetE1EEEvSL_
    .private_segment_fixed_size: 0
    .sgpr_count:     4
    .sgpr_spill_count: 0
    .symbol:         _ZN7rocprim17ROCPRIM_400000_NS6detail17trampoline_kernelINS0_14default_configENS1_38merge_sort_block_merge_config_selectorIsNS0_10empty_typeEEEZZNS1_27merge_sort_block_merge_implIS3_N6thrust23THRUST_200600_302600_NS6detail15normal_iteratorINS9_10device_ptrIsEEEEPS5_jNS1_19radix_merge_compareILb0ELb0EsNS0_19identity_decomposerEEEEE10hipError_tT0_T1_T2_jT3_P12ihipStream_tbPNSt15iterator_traitsISK_E10value_typeEPNSQ_ISL_E10value_typeEPSM_NS1_7vsmem_tEENKUlT_SK_SL_SM_E_clISE_PsSF_SF_EESJ_SZ_SK_SL_SM_EUlSZ_E0_NS1_11comp_targetILNS1_3genE2ELNS1_11target_archE906ELNS1_3gpuE6ELNS1_3repE0EEENS1_38merge_mergepath_config_static_selectorELNS0_4arch9wavefront6targetE1EEEvSL_.kd
    .uniform_work_group_size: 1
    .uses_dynamic_stack: false
    .vgpr_count:     0
    .vgpr_spill_count: 0
    .wavefront_size: 64
  - .agpr_count:     0
    .args:
      - .offset:         0
        .size:           64
        .value_kind:     by_value
    .group_segment_fixed_size: 0
    .kernarg_segment_align: 8
    .kernarg_segment_size: 64
    .language:       OpenCL C
    .language_version:
      - 2
      - 0
    .max_flat_workgroup_size: 128
    .name:           _ZN7rocprim17ROCPRIM_400000_NS6detail17trampoline_kernelINS0_14default_configENS1_38merge_sort_block_merge_config_selectorIsNS0_10empty_typeEEEZZNS1_27merge_sort_block_merge_implIS3_N6thrust23THRUST_200600_302600_NS6detail15normal_iteratorINS9_10device_ptrIsEEEEPS5_jNS1_19radix_merge_compareILb0ELb0EsNS0_19identity_decomposerEEEEE10hipError_tT0_T1_T2_jT3_P12ihipStream_tbPNSt15iterator_traitsISK_E10value_typeEPNSQ_ISL_E10value_typeEPSM_NS1_7vsmem_tEENKUlT_SK_SL_SM_E_clISE_PsSF_SF_EESJ_SZ_SK_SL_SM_EUlSZ_E0_NS1_11comp_targetILNS1_3genE9ELNS1_11target_archE1100ELNS1_3gpuE3ELNS1_3repE0EEENS1_38merge_mergepath_config_static_selectorELNS0_4arch9wavefront6targetE1EEEvSL_
    .private_segment_fixed_size: 0
    .sgpr_count:     4
    .sgpr_spill_count: 0
    .symbol:         _ZN7rocprim17ROCPRIM_400000_NS6detail17trampoline_kernelINS0_14default_configENS1_38merge_sort_block_merge_config_selectorIsNS0_10empty_typeEEEZZNS1_27merge_sort_block_merge_implIS3_N6thrust23THRUST_200600_302600_NS6detail15normal_iteratorINS9_10device_ptrIsEEEEPS5_jNS1_19radix_merge_compareILb0ELb0EsNS0_19identity_decomposerEEEEE10hipError_tT0_T1_T2_jT3_P12ihipStream_tbPNSt15iterator_traitsISK_E10value_typeEPNSQ_ISL_E10value_typeEPSM_NS1_7vsmem_tEENKUlT_SK_SL_SM_E_clISE_PsSF_SF_EESJ_SZ_SK_SL_SM_EUlSZ_E0_NS1_11comp_targetILNS1_3genE9ELNS1_11target_archE1100ELNS1_3gpuE3ELNS1_3repE0EEENS1_38merge_mergepath_config_static_selectorELNS0_4arch9wavefront6targetE1EEEvSL_.kd
    .uniform_work_group_size: 1
    .uses_dynamic_stack: false
    .vgpr_count:     0
    .vgpr_spill_count: 0
    .wavefront_size: 64
  - .agpr_count:     0
    .args:
      - .offset:         0
        .size:           64
        .value_kind:     by_value
    .group_segment_fixed_size: 0
    .kernarg_segment_align: 8
    .kernarg_segment_size: 64
    .language:       OpenCL C
    .language_version:
      - 2
      - 0
    .max_flat_workgroup_size: 128
    .name:           _ZN7rocprim17ROCPRIM_400000_NS6detail17trampoline_kernelINS0_14default_configENS1_38merge_sort_block_merge_config_selectorIsNS0_10empty_typeEEEZZNS1_27merge_sort_block_merge_implIS3_N6thrust23THRUST_200600_302600_NS6detail15normal_iteratorINS9_10device_ptrIsEEEEPS5_jNS1_19radix_merge_compareILb0ELb0EsNS0_19identity_decomposerEEEEE10hipError_tT0_T1_T2_jT3_P12ihipStream_tbPNSt15iterator_traitsISK_E10value_typeEPNSQ_ISL_E10value_typeEPSM_NS1_7vsmem_tEENKUlT_SK_SL_SM_E_clISE_PsSF_SF_EESJ_SZ_SK_SL_SM_EUlSZ_E0_NS1_11comp_targetILNS1_3genE8ELNS1_11target_archE1030ELNS1_3gpuE2ELNS1_3repE0EEENS1_38merge_mergepath_config_static_selectorELNS0_4arch9wavefront6targetE1EEEvSL_
    .private_segment_fixed_size: 0
    .sgpr_count:     4
    .sgpr_spill_count: 0
    .symbol:         _ZN7rocprim17ROCPRIM_400000_NS6detail17trampoline_kernelINS0_14default_configENS1_38merge_sort_block_merge_config_selectorIsNS0_10empty_typeEEEZZNS1_27merge_sort_block_merge_implIS3_N6thrust23THRUST_200600_302600_NS6detail15normal_iteratorINS9_10device_ptrIsEEEEPS5_jNS1_19radix_merge_compareILb0ELb0EsNS0_19identity_decomposerEEEEE10hipError_tT0_T1_T2_jT3_P12ihipStream_tbPNSt15iterator_traitsISK_E10value_typeEPNSQ_ISL_E10value_typeEPSM_NS1_7vsmem_tEENKUlT_SK_SL_SM_E_clISE_PsSF_SF_EESJ_SZ_SK_SL_SM_EUlSZ_E0_NS1_11comp_targetILNS1_3genE8ELNS1_11target_archE1030ELNS1_3gpuE2ELNS1_3repE0EEENS1_38merge_mergepath_config_static_selectorELNS0_4arch9wavefront6targetE1EEEvSL_.kd
    .uniform_work_group_size: 1
    .uses_dynamic_stack: false
    .vgpr_count:     0
    .vgpr_spill_count: 0
    .wavefront_size: 64
  - .agpr_count:     0
    .args:
      - .offset:         0
        .size:           48
        .value_kind:     by_value
    .group_segment_fixed_size: 0
    .kernarg_segment_align: 8
    .kernarg_segment_size: 48
    .language:       OpenCL C
    .language_version:
      - 2
      - 0
    .max_flat_workgroup_size: 256
    .name:           _ZN7rocprim17ROCPRIM_400000_NS6detail17trampoline_kernelINS0_14default_configENS1_38merge_sort_block_merge_config_selectorIsNS0_10empty_typeEEEZZNS1_27merge_sort_block_merge_implIS3_N6thrust23THRUST_200600_302600_NS6detail15normal_iteratorINS9_10device_ptrIsEEEEPS5_jNS1_19radix_merge_compareILb0ELb0EsNS0_19identity_decomposerEEEEE10hipError_tT0_T1_T2_jT3_P12ihipStream_tbPNSt15iterator_traitsISK_E10value_typeEPNSQ_ISL_E10value_typeEPSM_NS1_7vsmem_tEENKUlT_SK_SL_SM_E_clISE_PsSF_SF_EESJ_SZ_SK_SL_SM_EUlSZ_E1_NS1_11comp_targetILNS1_3genE0ELNS1_11target_archE4294967295ELNS1_3gpuE0ELNS1_3repE0EEENS1_36merge_oddeven_config_static_selectorELNS0_4arch9wavefront6targetE1EEEvSL_
    .private_segment_fixed_size: 0
    .sgpr_count:     4
    .sgpr_spill_count: 0
    .symbol:         _ZN7rocprim17ROCPRIM_400000_NS6detail17trampoline_kernelINS0_14default_configENS1_38merge_sort_block_merge_config_selectorIsNS0_10empty_typeEEEZZNS1_27merge_sort_block_merge_implIS3_N6thrust23THRUST_200600_302600_NS6detail15normal_iteratorINS9_10device_ptrIsEEEEPS5_jNS1_19radix_merge_compareILb0ELb0EsNS0_19identity_decomposerEEEEE10hipError_tT0_T1_T2_jT3_P12ihipStream_tbPNSt15iterator_traitsISK_E10value_typeEPNSQ_ISL_E10value_typeEPSM_NS1_7vsmem_tEENKUlT_SK_SL_SM_E_clISE_PsSF_SF_EESJ_SZ_SK_SL_SM_EUlSZ_E1_NS1_11comp_targetILNS1_3genE0ELNS1_11target_archE4294967295ELNS1_3gpuE0ELNS1_3repE0EEENS1_36merge_oddeven_config_static_selectorELNS0_4arch9wavefront6targetE1EEEvSL_.kd
    .uniform_work_group_size: 1
    .uses_dynamic_stack: false
    .vgpr_count:     0
    .vgpr_spill_count: 0
    .wavefront_size: 64
  - .agpr_count:     0
    .args:
      - .offset:         0
        .size:           48
        .value_kind:     by_value
    .group_segment_fixed_size: 0
    .kernarg_segment_align: 8
    .kernarg_segment_size: 48
    .language:       OpenCL C
    .language_version:
      - 2
      - 0
    .max_flat_workgroup_size: 256
    .name:           _ZN7rocprim17ROCPRIM_400000_NS6detail17trampoline_kernelINS0_14default_configENS1_38merge_sort_block_merge_config_selectorIsNS0_10empty_typeEEEZZNS1_27merge_sort_block_merge_implIS3_N6thrust23THRUST_200600_302600_NS6detail15normal_iteratorINS9_10device_ptrIsEEEEPS5_jNS1_19radix_merge_compareILb0ELb0EsNS0_19identity_decomposerEEEEE10hipError_tT0_T1_T2_jT3_P12ihipStream_tbPNSt15iterator_traitsISK_E10value_typeEPNSQ_ISL_E10value_typeEPSM_NS1_7vsmem_tEENKUlT_SK_SL_SM_E_clISE_PsSF_SF_EESJ_SZ_SK_SL_SM_EUlSZ_E1_NS1_11comp_targetILNS1_3genE10ELNS1_11target_archE1201ELNS1_3gpuE5ELNS1_3repE0EEENS1_36merge_oddeven_config_static_selectorELNS0_4arch9wavefront6targetE1EEEvSL_
    .private_segment_fixed_size: 0
    .sgpr_count:     4
    .sgpr_spill_count: 0
    .symbol:         _ZN7rocprim17ROCPRIM_400000_NS6detail17trampoline_kernelINS0_14default_configENS1_38merge_sort_block_merge_config_selectorIsNS0_10empty_typeEEEZZNS1_27merge_sort_block_merge_implIS3_N6thrust23THRUST_200600_302600_NS6detail15normal_iteratorINS9_10device_ptrIsEEEEPS5_jNS1_19radix_merge_compareILb0ELb0EsNS0_19identity_decomposerEEEEE10hipError_tT0_T1_T2_jT3_P12ihipStream_tbPNSt15iterator_traitsISK_E10value_typeEPNSQ_ISL_E10value_typeEPSM_NS1_7vsmem_tEENKUlT_SK_SL_SM_E_clISE_PsSF_SF_EESJ_SZ_SK_SL_SM_EUlSZ_E1_NS1_11comp_targetILNS1_3genE10ELNS1_11target_archE1201ELNS1_3gpuE5ELNS1_3repE0EEENS1_36merge_oddeven_config_static_selectorELNS0_4arch9wavefront6targetE1EEEvSL_.kd
    .uniform_work_group_size: 1
    .uses_dynamic_stack: false
    .vgpr_count:     0
    .vgpr_spill_count: 0
    .wavefront_size: 64
  - .agpr_count:     0
    .args:
      - .offset:         0
        .size:           48
        .value_kind:     by_value
    .group_segment_fixed_size: 0
    .kernarg_segment_align: 8
    .kernarg_segment_size: 48
    .language:       OpenCL C
    .language_version:
      - 2
      - 0
    .max_flat_workgroup_size: 256
    .name:           _ZN7rocprim17ROCPRIM_400000_NS6detail17trampoline_kernelINS0_14default_configENS1_38merge_sort_block_merge_config_selectorIsNS0_10empty_typeEEEZZNS1_27merge_sort_block_merge_implIS3_N6thrust23THRUST_200600_302600_NS6detail15normal_iteratorINS9_10device_ptrIsEEEEPS5_jNS1_19radix_merge_compareILb0ELb0EsNS0_19identity_decomposerEEEEE10hipError_tT0_T1_T2_jT3_P12ihipStream_tbPNSt15iterator_traitsISK_E10value_typeEPNSQ_ISL_E10value_typeEPSM_NS1_7vsmem_tEENKUlT_SK_SL_SM_E_clISE_PsSF_SF_EESJ_SZ_SK_SL_SM_EUlSZ_E1_NS1_11comp_targetILNS1_3genE5ELNS1_11target_archE942ELNS1_3gpuE9ELNS1_3repE0EEENS1_36merge_oddeven_config_static_selectorELNS0_4arch9wavefront6targetE1EEEvSL_
    .private_segment_fixed_size: 0
    .sgpr_count:     4
    .sgpr_spill_count: 0
    .symbol:         _ZN7rocprim17ROCPRIM_400000_NS6detail17trampoline_kernelINS0_14default_configENS1_38merge_sort_block_merge_config_selectorIsNS0_10empty_typeEEEZZNS1_27merge_sort_block_merge_implIS3_N6thrust23THRUST_200600_302600_NS6detail15normal_iteratorINS9_10device_ptrIsEEEEPS5_jNS1_19radix_merge_compareILb0ELb0EsNS0_19identity_decomposerEEEEE10hipError_tT0_T1_T2_jT3_P12ihipStream_tbPNSt15iterator_traitsISK_E10value_typeEPNSQ_ISL_E10value_typeEPSM_NS1_7vsmem_tEENKUlT_SK_SL_SM_E_clISE_PsSF_SF_EESJ_SZ_SK_SL_SM_EUlSZ_E1_NS1_11comp_targetILNS1_3genE5ELNS1_11target_archE942ELNS1_3gpuE9ELNS1_3repE0EEENS1_36merge_oddeven_config_static_selectorELNS0_4arch9wavefront6targetE1EEEvSL_.kd
    .uniform_work_group_size: 1
    .uses_dynamic_stack: false
    .vgpr_count:     0
    .vgpr_spill_count: 0
    .wavefront_size: 64
  - .agpr_count:     0
    .args:
      - .offset:         0
        .size:           48
        .value_kind:     by_value
    .group_segment_fixed_size: 0
    .kernarg_segment_align: 8
    .kernarg_segment_size: 48
    .language:       OpenCL C
    .language_version:
      - 2
      - 0
    .max_flat_workgroup_size: 256
    .name:           _ZN7rocprim17ROCPRIM_400000_NS6detail17trampoline_kernelINS0_14default_configENS1_38merge_sort_block_merge_config_selectorIsNS0_10empty_typeEEEZZNS1_27merge_sort_block_merge_implIS3_N6thrust23THRUST_200600_302600_NS6detail15normal_iteratorINS9_10device_ptrIsEEEEPS5_jNS1_19radix_merge_compareILb0ELb0EsNS0_19identity_decomposerEEEEE10hipError_tT0_T1_T2_jT3_P12ihipStream_tbPNSt15iterator_traitsISK_E10value_typeEPNSQ_ISL_E10value_typeEPSM_NS1_7vsmem_tEENKUlT_SK_SL_SM_E_clISE_PsSF_SF_EESJ_SZ_SK_SL_SM_EUlSZ_E1_NS1_11comp_targetILNS1_3genE4ELNS1_11target_archE910ELNS1_3gpuE8ELNS1_3repE0EEENS1_36merge_oddeven_config_static_selectorELNS0_4arch9wavefront6targetE1EEEvSL_
    .private_segment_fixed_size: 0
    .sgpr_count:     25
    .sgpr_spill_count: 0
    .symbol:         _ZN7rocprim17ROCPRIM_400000_NS6detail17trampoline_kernelINS0_14default_configENS1_38merge_sort_block_merge_config_selectorIsNS0_10empty_typeEEEZZNS1_27merge_sort_block_merge_implIS3_N6thrust23THRUST_200600_302600_NS6detail15normal_iteratorINS9_10device_ptrIsEEEEPS5_jNS1_19radix_merge_compareILb0ELb0EsNS0_19identity_decomposerEEEEE10hipError_tT0_T1_T2_jT3_P12ihipStream_tbPNSt15iterator_traitsISK_E10value_typeEPNSQ_ISL_E10value_typeEPSM_NS1_7vsmem_tEENKUlT_SK_SL_SM_E_clISE_PsSF_SF_EESJ_SZ_SK_SL_SM_EUlSZ_E1_NS1_11comp_targetILNS1_3genE4ELNS1_11target_archE910ELNS1_3gpuE8ELNS1_3repE0EEENS1_36merge_oddeven_config_static_selectorELNS0_4arch9wavefront6targetE1EEEvSL_.kd
    .uniform_work_group_size: 1
    .uses_dynamic_stack: false
    .vgpr_count:     8
    .vgpr_spill_count: 0
    .wavefront_size: 64
  - .agpr_count:     0
    .args:
      - .offset:         0
        .size:           48
        .value_kind:     by_value
    .group_segment_fixed_size: 0
    .kernarg_segment_align: 8
    .kernarg_segment_size: 48
    .language:       OpenCL C
    .language_version:
      - 2
      - 0
    .max_flat_workgroup_size: 256
    .name:           _ZN7rocprim17ROCPRIM_400000_NS6detail17trampoline_kernelINS0_14default_configENS1_38merge_sort_block_merge_config_selectorIsNS0_10empty_typeEEEZZNS1_27merge_sort_block_merge_implIS3_N6thrust23THRUST_200600_302600_NS6detail15normal_iteratorINS9_10device_ptrIsEEEEPS5_jNS1_19radix_merge_compareILb0ELb0EsNS0_19identity_decomposerEEEEE10hipError_tT0_T1_T2_jT3_P12ihipStream_tbPNSt15iterator_traitsISK_E10value_typeEPNSQ_ISL_E10value_typeEPSM_NS1_7vsmem_tEENKUlT_SK_SL_SM_E_clISE_PsSF_SF_EESJ_SZ_SK_SL_SM_EUlSZ_E1_NS1_11comp_targetILNS1_3genE3ELNS1_11target_archE908ELNS1_3gpuE7ELNS1_3repE0EEENS1_36merge_oddeven_config_static_selectorELNS0_4arch9wavefront6targetE1EEEvSL_
    .private_segment_fixed_size: 0
    .sgpr_count:     4
    .sgpr_spill_count: 0
    .symbol:         _ZN7rocprim17ROCPRIM_400000_NS6detail17trampoline_kernelINS0_14default_configENS1_38merge_sort_block_merge_config_selectorIsNS0_10empty_typeEEEZZNS1_27merge_sort_block_merge_implIS3_N6thrust23THRUST_200600_302600_NS6detail15normal_iteratorINS9_10device_ptrIsEEEEPS5_jNS1_19radix_merge_compareILb0ELb0EsNS0_19identity_decomposerEEEEE10hipError_tT0_T1_T2_jT3_P12ihipStream_tbPNSt15iterator_traitsISK_E10value_typeEPNSQ_ISL_E10value_typeEPSM_NS1_7vsmem_tEENKUlT_SK_SL_SM_E_clISE_PsSF_SF_EESJ_SZ_SK_SL_SM_EUlSZ_E1_NS1_11comp_targetILNS1_3genE3ELNS1_11target_archE908ELNS1_3gpuE7ELNS1_3repE0EEENS1_36merge_oddeven_config_static_selectorELNS0_4arch9wavefront6targetE1EEEvSL_.kd
    .uniform_work_group_size: 1
    .uses_dynamic_stack: false
    .vgpr_count:     0
    .vgpr_spill_count: 0
    .wavefront_size: 64
  - .agpr_count:     0
    .args:
      - .offset:         0
        .size:           48
        .value_kind:     by_value
    .group_segment_fixed_size: 0
    .kernarg_segment_align: 8
    .kernarg_segment_size: 48
    .language:       OpenCL C
    .language_version:
      - 2
      - 0
    .max_flat_workgroup_size: 256
    .name:           _ZN7rocprim17ROCPRIM_400000_NS6detail17trampoline_kernelINS0_14default_configENS1_38merge_sort_block_merge_config_selectorIsNS0_10empty_typeEEEZZNS1_27merge_sort_block_merge_implIS3_N6thrust23THRUST_200600_302600_NS6detail15normal_iteratorINS9_10device_ptrIsEEEEPS5_jNS1_19radix_merge_compareILb0ELb0EsNS0_19identity_decomposerEEEEE10hipError_tT0_T1_T2_jT3_P12ihipStream_tbPNSt15iterator_traitsISK_E10value_typeEPNSQ_ISL_E10value_typeEPSM_NS1_7vsmem_tEENKUlT_SK_SL_SM_E_clISE_PsSF_SF_EESJ_SZ_SK_SL_SM_EUlSZ_E1_NS1_11comp_targetILNS1_3genE2ELNS1_11target_archE906ELNS1_3gpuE6ELNS1_3repE0EEENS1_36merge_oddeven_config_static_selectorELNS0_4arch9wavefront6targetE1EEEvSL_
    .private_segment_fixed_size: 0
    .sgpr_count:     4
    .sgpr_spill_count: 0
    .symbol:         _ZN7rocprim17ROCPRIM_400000_NS6detail17trampoline_kernelINS0_14default_configENS1_38merge_sort_block_merge_config_selectorIsNS0_10empty_typeEEEZZNS1_27merge_sort_block_merge_implIS3_N6thrust23THRUST_200600_302600_NS6detail15normal_iteratorINS9_10device_ptrIsEEEEPS5_jNS1_19radix_merge_compareILb0ELb0EsNS0_19identity_decomposerEEEEE10hipError_tT0_T1_T2_jT3_P12ihipStream_tbPNSt15iterator_traitsISK_E10value_typeEPNSQ_ISL_E10value_typeEPSM_NS1_7vsmem_tEENKUlT_SK_SL_SM_E_clISE_PsSF_SF_EESJ_SZ_SK_SL_SM_EUlSZ_E1_NS1_11comp_targetILNS1_3genE2ELNS1_11target_archE906ELNS1_3gpuE6ELNS1_3repE0EEENS1_36merge_oddeven_config_static_selectorELNS0_4arch9wavefront6targetE1EEEvSL_.kd
    .uniform_work_group_size: 1
    .uses_dynamic_stack: false
    .vgpr_count:     0
    .vgpr_spill_count: 0
    .wavefront_size: 64
  - .agpr_count:     0
    .args:
      - .offset:         0
        .size:           48
        .value_kind:     by_value
    .group_segment_fixed_size: 0
    .kernarg_segment_align: 8
    .kernarg_segment_size: 48
    .language:       OpenCL C
    .language_version:
      - 2
      - 0
    .max_flat_workgroup_size: 256
    .name:           _ZN7rocprim17ROCPRIM_400000_NS6detail17trampoline_kernelINS0_14default_configENS1_38merge_sort_block_merge_config_selectorIsNS0_10empty_typeEEEZZNS1_27merge_sort_block_merge_implIS3_N6thrust23THRUST_200600_302600_NS6detail15normal_iteratorINS9_10device_ptrIsEEEEPS5_jNS1_19radix_merge_compareILb0ELb0EsNS0_19identity_decomposerEEEEE10hipError_tT0_T1_T2_jT3_P12ihipStream_tbPNSt15iterator_traitsISK_E10value_typeEPNSQ_ISL_E10value_typeEPSM_NS1_7vsmem_tEENKUlT_SK_SL_SM_E_clISE_PsSF_SF_EESJ_SZ_SK_SL_SM_EUlSZ_E1_NS1_11comp_targetILNS1_3genE9ELNS1_11target_archE1100ELNS1_3gpuE3ELNS1_3repE0EEENS1_36merge_oddeven_config_static_selectorELNS0_4arch9wavefront6targetE1EEEvSL_
    .private_segment_fixed_size: 0
    .sgpr_count:     4
    .sgpr_spill_count: 0
    .symbol:         _ZN7rocprim17ROCPRIM_400000_NS6detail17trampoline_kernelINS0_14default_configENS1_38merge_sort_block_merge_config_selectorIsNS0_10empty_typeEEEZZNS1_27merge_sort_block_merge_implIS3_N6thrust23THRUST_200600_302600_NS6detail15normal_iteratorINS9_10device_ptrIsEEEEPS5_jNS1_19radix_merge_compareILb0ELb0EsNS0_19identity_decomposerEEEEE10hipError_tT0_T1_T2_jT3_P12ihipStream_tbPNSt15iterator_traitsISK_E10value_typeEPNSQ_ISL_E10value_typeEPSM_NS1_7vsmem_tEENKUlT_SK_SL_SM_E_clISE_PsSF_SF_EESJ_SZ_SK_SL_SM_EUlSZ_E1_NS1_11comp_targetILNS1_3genE9ELNS1_11target_archE1100ELNS1_3gpuE3ELNS1_3repE0EEENS1_36merge_oddeven_config_static_selectorELNS0_4arch9wavefront6targetE1EEEvSL_.kd
    .uniform_work_group_size: 1
    .uses_dynamic_stack: false
    .vgpr_count:     0
    .vgpr_spill_count: 0
    .wavefront_size: 64
  - .agpr_count:     0
    .args:
      - .offset:         0
        .size:           48
        .value_kind:     by_value
    .group_segment_fixed_size: 0
    .kernarg_segment_align: 8
    .kernarg_segment_size: 48
    .language:       OpenCL C
    .language_version:
      - 2
      - 0
    .max_flat_workgroup_size: 256
    .name:           _ZN7rocprim17ROCPRIM_400000_NS6detail17trampoline_kernelINS0_14default_configENS1_38merge_sort_block_merge_config_selectorIsNS0_10empty_typeEEEZZNS1_27merge_sort_block_merge_implIS3_N6thrust23THRUST_200600_302600_NS6detail15normal_iteratorINS9_10device_ptrIsEEEEPS5_jNS1_19radix_merge_compareILb0ELb0EsNS0_19identity_decomposerEEEEE10hipError_tT0_T1_T2_jT3_P12ihipStream_tbPNSt15iterator_traitsISK_E10value_typeEPNSQ_ISL_E10value_typeEPSM_NS1_7vsmem_tEENKUlT_SK_SL_SM_E_clISE_PsSF_SF_EESJ_SZ_SK_SL_SM_EUlSZ_E1_NS1_11comp_targetILNS1_3genE8ELNS1_11target_archE1030ELNS1_3gpuE2ELNS1_3repE0EEENS1_36merge_oddeven_config_static_selectorELNS0_4arch9wavefront6targetE1EEEvSL_
    .private_segment_fixed_size: 0
    .sgpr_count:     4
    .sgpr_spill_count: 0
    .symbol:         _ZN7rocprim17ROCPRIM_400000_NS6detail17trampoline_kernelINS0_14default_configENS1_38merge_sort_block_merge_config_selectorIsNS0_10empty_typeEEEZZNS1_27merge_sort_block_merge_implIS3_N6thrust23THRUST_200600_302600_NS6detail15normal_iteratorINS9_10device_ptrIsEEEEPS5_jNS1_19radix_merge_compareILb0ELb0EsNS0_19identity_decomposerEEEEE10hipError_tT0_T1_T2_jT3_P12ihipStream_tbPNSt15iterator_traitsISK_E10value_typeEPNSQ_ISL_E10value_typeEPSM_NS1_7vsmem_tEENKUlT_SK_SL_SM_E_clISE_PsSF_SF_EESJ_SZ_SK_SL_SM_EUlSZ_E1_NS1_11comp_targetILNS1_3genE8ELNS1_11target_archE1030ELNS1_3gpuE2ELNS1_3repE0EEENS1_36merge_oddeven_config_static_selectorELNS0_4arch9wavefront6targetE1EEEvSL_.kd
    .uniform_work_group_size: 1
    .uses_dynamic_stack: false
    .vgpr_count:     0
    .vgpr_spill_count: 0
    .wavefront_size: 64
  - .agpr_count:     0
    .args:
      - .offset:         0
        .size:           40
        .value_kind:     by_value
    .group_segment_fixed_size: 0
    .kernarg_segment_align: 8
    .kernarg_segment_size: 40
    .language:       OpenCL C
    .language_version:
      - 2
      - 0
    .max_flat_workgroup_size: 128
    .name:           _ZN7rocprim17ROCPRIM_400000_NS6detail17trampoline_kernelINS0_14default_configENS1_25transform_config_selectorIsLb0EEEZNS1_14transform_implILb0ES3_S5_PsN6thrust23THRUST_200600_302600_NS6detail15normal_iteratorINS9_10device_ptrIsEEEENS0_8identityIsEEEE10hipError_tT2_T3_mT4_P12ihipStream_tbEUlT_E_NS1_11comp_targetILNS1_3genE0ELNS1_11target_archE4294967295ELNS1_3gpuE0ELNS1_3repE0EEENS1_30default_config_static_selectorELNS0_4arch9wavefront6targetE1EEEvT1_
    .private_segment_fixed_size: 0
    .sgpr_count:     4
    .sgpr_spill_count: 0
    .symbol:         _ZN7rocprim17ROCPRIM_400000_NS6detail17trampoline_kernelINS0_14default_configENS1_25transform_config_selectorIsLb0EEEZNS1_14transform_implILb0ES3_S5_PsN6thrust23THRUST_200600_302600_NS6detail15normal_iteratorINS9_10device_ptrIsEEEENS0_8identityIsEEEE10hipError_tT2_T3_mT4_P12ihipStream_tbEUlT_E_NS1_11comp_targetILNS1_3genE0ELNS1_11target_archE4294967295ELNS1_3gpuE0ELNS1_3repE0EEENS1_30default_config_static_selectorELNS0_4arch9wavefront6targetE1EEEvT1_.kd
    .uniform_work_group_size: 1
    .uses_dynamic_stack: false
    .vgpr_count:     0
    .vgpr_spill_count: 0
    .wavefront_size: 64
  - .agpr_count:     0
    .args:
      - .offset:         0
        .size:           40
        .value_kind:     by_value
    .group_segment_fixed_size: 0
    .kernarg_segment_align: 8
    .kernarg_segment_size: 40
    .language:       OpenCL C
    .language_version:
      - 2
      - 0
    .max_flat_workgroup_size: 256
    .name:           _ZN7rocprim17ROCPRIM_400000_NS6detail17trampoline_kernelINS0_14default_configENS1_25transform_config_selectorIsLb0EEEZNS1_14transform_implILb0ES3_S5_PsN6thrust23THRUST_200600_302600_NS6detail15normal_iteratorINS9_10device_ptrIsEEEENS0_8identityIsEEEE10hipError_tT2_T3_mT4_P12ihipStream_tbEUlT_E_NS1_11comp_targetILNS1_3genE5ELNS1_11target_archE942ELNS1_3gpuE9ELNS1_3repE0EEENS1_30default_config_static_selectorELNS0_4arch9wavefront6targetE1EEEvT1_
    .private_segment_fixed_size: 0
    .sgpr_count:     4
    .sgpr_spill_count: 0
    .symbol:         _ZN7rocprim17ROCPRIM_400000_NS6detail17trampoline_kernelINS0_14default_configENS1_25transform_config_selectorIsLb0EEEZNS1_14transform_implILb0ES3_S5_PsN6thrust23THRUST_200600_302600_NS6detail15normal_iteratorINS9_10device_ptrIsEEEENS0_8identityIsEEEE10hipError_tT2_T3_mT4_P12ihipStream_tbEUlT_E_NS1_11comp_targetILNS1_3genE5ELNS1_11target_archE942ELNS1_3gpuE9ELNS1_3repE0EEENS1_30default_config_static_selectorELNS0_4arch9wavefront6targetE1EEEvT1_.kd
    .uniform_work_group_size: 1
    .uses_dynamic_stack: false
    .vgpr_count:     0
    .vgpr_spill_count: 0
    .wavefront_size: 64
  - .agpr_count:     0
    .args:
      - .offset:         0
        .size:           40
        .value_kind:     by_value
      - .offset:         40
        .size:           4
        .value_kind:     hidden_block_count_x
      - .offset:         44
        .size:           4
        .value_kind:     hidden_block_count_y
      - .offset:         48
        .size:           4
        .value_kind:     hidden_block_count_z
      - .offset:         52
        .size:           2
        .value_kind:     hidden_group_size_x
      - .offset:         54
        .size:           2
        .value_kind:     hidden_group_size_y
      - .offset:         56
        .size:           2
        .value_kind:     hidden_group_size_z
      - .offset:         58
        .size:           2
        .value_kind:     hidden_remainder_x
      - .offset:         60
        .size:           2
        .value_kind:     hidden_remainder_y
      - .offset:         62
        .size:           2
        .value_kind:     hidden_remainder_z
      - .offset:         80
        .size:           8
        .value_kind:     hidden_global_offset_x
      - .offset:         88
        .size:           8
        .value_kind:     hidden_global_offset_y
      - .offset:         96
        .size:           8
        .value_kind:     hidden_global_offset_z
      - .offset:         104
        .size:           2
        .value_kind:     hidden_grid_dims
    .group_segment_fixed_size: 0
    .kernarg_segment_align: 8
    .kernarg_segment_size: 296
    .language:       OpenCL C
    .language_version:
      - 2
      - 0
    .max_flat_workgroup_size: 64
    .name:           _ZN7rocprim17ROCPRIM_400000_NS6detail17trampoline_kernelINS0_14default_configENS1_25transform_config_selectorIsLb0EEEZNS1_14transform_implILb0ES3_S5_PsN6thrust23THRUST_200600_302600_NS6detail15normal_iteratorINS9_10device_ptrIsEEEENS0_8identityIsEEEE10hipError_tT2_T3_mT4_P12ihipStream_tbEUlT_E_NS1_11comp_targetILNS1_3genE4ELNS1_11target_archE910ELNS1_3gpuE8ELNS1_3repE0EEENS1_30default_config_static_selectorELNS0_4arch9wavefront6targetE1EEEvT1_
    .private_segment_fixed_size: 0
    .sgpr_count:     30
    .sgpr_spill_count: 0
    .symbol:         _ZN7rocprim17ROCPRIM_400000_NS6detail17trampoline_kernelINS0_14default_configENS1_25transform_config_selectorIsLb0EEEZNS1_14transform_implILb0ES3_S5_PsN6thrust23THRUST_200600_302600_NS6detail15normal_iteratorINS9_10device_ptrIsEEEENS0_8identityIsEEEE10hipError_tT2_T3_mT4_P12ihipStream_tbEUlT_E_NS1_11comp_targetILNS1_3genE4ELNS1_11target_archE910ELNS1_3gpuE8ELNS1_3repE0EEENS1_30default_config_static_selectorELNS0_4arch9wavefront6targetE1EEEvT1_.kd
    .uniform_work_group_size: 1
    .uses_dynamic_stack: false
    .vgpr_count:     12
    .vgpr_spill_count: 0
    .wavefront_size: 64
  - .agpr_count:     0
    .args:
      - .offset:         0
        .size:           40
        .value_kind:     by_value
    .group_segment_fixed_size: 0
    .kernarg_segment_align: 8
    .kernarg_segment_size: 40
    .language:       OpenCL C
    .language_version:
      - 2
      - 0
    .max_flat_workgroup_size: 128
    .name:           _ZN7rocprim17ROCPRIM_400000_NS6detail17trampoline_kernelINS0_14default_configENS1_25transform_config_selectorIsLb0EEEZNS1_14transform_implILb0ES3_S5_PsN6thrust23THRUST_200600_302600_NS6detail15normal_iteratorINS9_10device_ptrIsEEEENS0_8identityIsEEEE10hipError_tT2_T3_mT4_P12ihipStream_tbEUlT_E_NS1_11comp_targetILNS1_3genE3ELNS1_11target_archE908ELNS1_3gpuE7ELNS1_3repE0EEENS1_30default_config_static_selectorELNS0_4arch9wavefront6targetE1EEEvT1_
    .private_segment_fixed_size: 0
    .sgpr_count:     4
    .sgpr_spill_count: 0
    .symbol:         _ZN7rocprim17ROCPRIM_400000_NS6detail17trampoline_kernelINS0_14default_configENS1_25transform_config_selectorIsLb0EEEZNS1_14transform_implILb0ES3_S5_PsN6thrust23THRUST_200600_302600_NS6detail15normal_iteratorINS9_10device_ptrIsEEEENS0_8identityIsEEEE10hipError_tT2_T3_mT4_P12ihipStream_tbEUlT_E_NS1_11comp_targetILNS1_3genE3ELNS1_11target_archE908ELNS1_3gpuE7ELNS1_3repE0EEENS1_30default_config_static_selectorELNS0_4arch9wavefront6targetE1EEEvT1_.kd
    .uniform_work_group_size: 1
    .uses_dynamic_stack: false
    .vgpr_count:     0
    .vgpr_spill_count: 0
    .wavefront_size: 64
  - .agpr_count:     0
    .args:
      - .offset:         0
        .size:           40
        .value_kind:     by_value
    .group_segment_fixed_size: 0
    .kernarg_segment_align: 8
    .kernarg_segment_size: 40
    .language:       OpenCL C
    .language_version:
      - 2
      - 0
    .max_flat_workgroup_size: 512
    .name:           _ZN7rocprim17ROCPRIM_400000_NS6detail17trampoline_kernelINS0_14default_configENS1_25transform_config_selectorIsLb0EEEZNS1_14transform_implILb0ES3_S5_PsN6thrust23THRUST_200600_302600_NS6detail15normal_iteratorINS9_10device_ptrIsEEEENS0_8identityIsEEEE10hipError_tT2_T3_mT4_P12ihipStream_tbEUlT_E_NS1_11comp_targetILNS1_3genE2ELNS1_11target_archE906ELNS1_3gpuE6ELNS1_3repE0EEENS1_30default_config_static_selectorELNS0_4arch9wavefront6targetE1EEEvT1_
    .private_segment_fixed_size: 0
    .sgpr_count:     4
    .sgpr_spill_count: 0
    .symbol:         _ZN7rocprim17ROCPRIM_400000_NS6detail17trampoline_kernelINS0_14default_configENS1_25transform_config_selectorIsLb0EEEZNS1_14transform_implILb0ES3_S5_PsN6thrust23THRUST_200600_302600_NS6detail15normal_iteratorINS9_10device_ptrIsEEEENS0_8identityIsEEEE10hipError_tT2_T3_mT4_P12ihipStream_tbEUlT_E_NS1_11comp_targetILNS1_3genE2ELNS1_11target_archE906ELNS1_3gpuE6ELNS1_3repE0EEENS1_30default_config_static_selectorELNS0_4arch9wavefront6targetE1EEEvT1_.kd
    .uniform_work_group_size: 1
    .uses_dynamic_stack: false
    .vgpr_count:     0
    .vgpr_spill_count: 0
    .wavefront_size: 64
  - .agpr_count:     0
    .args:
      - .offset:         0
        .size:           40
        .value_kind:     by_value
    .group_segment_fixed_size: 0
    .kernarg_segment_align: 8
    .kernarg_segment_size: 40
    .language:       OpenCL C
    .language_version:
      - 2
      - 0
    .max_flat_workgroup_size: 1024
    .name:           _ZN7rocprim17ROCPRIM_400000_NS6detail17trampoline_kernelINS0_14default_configENS1_25transform_config_selectorIsLb0EEEZNS1_14transform_implILb0ES3_S5_PsN6thrust23THRUST_200600_302600_NS6detail15normal_iteratorINS9_10device_ptrIsEEEENS0_8identityIsEEEE10hipError_tT2_T3_mT4_P12ihipStream_tbEUlT_E_NS1_11comp_targetILNS1_3genE10ELNS1_11target_archE1201ELNS1_3gpuE5ELNS1_3repE0EEENS1_30default_config_static_selectorELNS0_4arch9wavefront6targetE1EEEvT1_
    .private_segment_fixed_size: 0
    .sgpr_count:     4
    .sgpr_spill_count: 0
    .symbol:         _ZN7rocprim17ROCPRIM_400000_NS6detail17trampoline_kernelINS0_14default_configENS1_25transform_config_selectorIsLb0EEEZNS1_14transform_implILb0ES3_S5_PsN6thrust23THRUST_200600_302600_NS6detail15normal_iteratorINS9_10device_ptrIsEEEENS0_8identityIsEEEE10hipError_tT2_T3_mT4_P12ihipStream_tbEUlT_E_NS1_11comp_targetILNS1_3genE10ELNS1_11target_archE1201ELNS1_3gpuE5ELNS1_3repE0EEENS1_30default_config_static_selectorELNS0_4arch9wavefront6targetE1EEEvT1_.kd
    .uniform_work_group_size: 1
    .uses_dynamic_stack: false
    .vgpr_count:     0
    .vgpr_spill_count: 0
    .wavefront_size: 64
  - .agpr_count:     0
    .args:
      - .offset:         0
        .size:           40
        .value_kind:     by_value
    .group_segment_fixed_size: 0
    .kernarg_segment_align: 8
    .kernarg_segment_size: 40
    .language:       OpenCL C
    .language_version:
      - 2
      - 0
    .max_flat_workgroup_size: 512
    .name:           _ZN7rocprim17ROCPRIM_400000_NS6detail17trampoline_kernelINS0_14default_configENS1_25transform_config_selectorIsLb0EEEZNS1_14transform_implILb0ES3_S5_PsN6thrust23THRUST_200600_302600_NS6detail15normal_iteratorINS9_10device_ptrIsEEEENS0_8identityIsEEEE10hipError_tT2_T3_mT4_P12ihipStream_tbEUlT_E_NS1_11comp_targetILNS1_3genE10ELNS1_11target_archE1200ELNS1_3gpuE4ELNS1_3repE0EEENS1_30default_config_static_selectorELNS0_4arch9wavefront6targetE1EEEvT1_
    .private_segment_fixed_size: 0
    .sgpr_count:     4
    .sgpr_spill_count: 0
    .symbol:         _ZN7rocprim17ROCPRIM_400000_NS6detail17trampoline_kernelINS0_14default_configENS1_25transform_config_selectorIsLb0EEEZNS1_14transform_implILb0ES3_S5_PsN6thrust23THRUST_200600_302600_NS6detail15normal_iteratorINS9_10device_ptrIsEEEENS0_8identityIsEEEE10hipError_tT2_T3_mT4_P12ihipStream_tbEUlT_E_NS1_11comp_targetILNS1_3genE10ELNS1_11target_archE1200ELNS1_3gpuE4ELNS1_3repE0EEENS1_30default_config_static_selectorELNS0_4arch9wavefront6targetE1EEEvT1_.kd
    .uniform_work_group_size: 1
    .uses_dynamic_stack: false
    .vgpr_count:     0
    .vgpr_spill_count: 0
    .wavefront_size: 64
  - .agpr_count:     0
    .args:
      - .offset:         0
        .size:           40
        .value_kind:     by_value
    .group_segment_fixed_size: 0
    .kernarg_segment_align: 8
    .kernarg_segment_size: 40
    .language:       OpenCL C
    .language_version:
      - 2
      - 0
    .max_flat_workgroup_size: 1024
    .name:           _ZN7rocprim17ROCPRIM_400000_NS6detail17trampoline_kernelINS0_14default_configENS1_25transform_config_selectorIsLb0EEEZNS1_14transform_implILb0ES3_S5_PsN6thrust23THRUST_200600_302600_NS6detail15normal_iteratorINS9_10device_ptrIsEEEENS0_8identityIsEEEE10hipError_tT2_T3_mT4_P12ihipStream_tbEUlT_E_NS1_11comp_targetILNS1_3genE9ELNS1_11target_archE1100ELNS1_3gpuE3ELNS1_3repE0EEENS1_30default_config_static_selectorELNS0_4arch9wavefront6targetE1EEEvT1_
    .private_segment_fixed_size: 0
    .sgpr_count:     4
    .sgpr_spill_count: 0
    .symbol:         _ZN7rocprim17ROCPRIM_400000_NS6detail17trampoline_kernelINS0_14default_configENS1_25transform_config_selectorIsLb0EEEZNS1_14transform_implILb0ES3_S5_PsN6thrust23THRUST_200600_302600_NS6detail15normal_iteratorINS9_10device_ptrIsEEEENS0_8identityIsEEEE10hipError_tT2_T3_mT4_P12ihipStream_tbEUlT_E_NS1_11comp_targetILNS1_3genE9ELNS1_11target_archE1100ELNS1_3gpuE3ELNS1_3repE0EEENS1_30default_config_static_selectorELNS0_4arch9wavefront6targetE1EEEvT1_.kd
    .uniform_work_group_size: 1
    .uses_dynamic_stack: false
    .vgpr_count:     0
    .vgpr_spill_count: 0
    .wavefront_size: 64
  - .agpr_count:     0
    .args:
      - .offset:         0
        .size:           40
        .value_kind:     by_value
    .group_segment_fixed_size: 0
    .kernarg_segment_align: 8
    .kernarg_segment_size: 40
    .language:       OpenCL C
    .language_version:
      - 2
      - 0
    .max_flat_workgroup_size: 1024
    .name:           _ZN7rocprim17ROCPRIM_400000_NS6detail17trampoline_kernelINS0_14default_configENS1_25transform_config_selectorIsLb0EEEZNS1_14transform_implILb0ES3_S5_PsN6thrust23THRUST_200600_302600_NS6detail15normal_iteratorINS9_10device_ptrIsEEEENS0_8identityIsEEEE10hipError_tT2_T3_mT4_P12ihipStream_tbEUlT_E_NS1_11comp_targetILNS1_3genE8ELNS1_11target_archE1030ELNS1_3gpuE2ELNS1_3repE0EEENS1_30default_config_static_selectorELNS0_4arch9wavefront6targetE1EEEvT1_
    .private_segment_fixed_size: 0
    .sgpr_count:     4
    .sgpr_spill_count: 0
    .symbol:         _ZN7rocprim17ROCPRIM_400000_NS6detail17trampoline_kernelINS0_14default_configENS1_25transform_config_selectorIsLb0EEEZNS1_14transform_implILb0ES3_S5_PsN6thrust23THRUST_200600_302600_NS6detail15normal_iteratorINS9_10device_ptrIsEEEENS0_8identityIsEEEE10hipError_tT2_T3_mT4_P12ihipStream_tbEUlT_E_NS1_11comp_targetILNS1_3genE8ELNS1_11target_archE1030ELNS1_3gpuE2ELNS1_3repE0EEENS1_30default_config_static_selectorELNS0_4arch9wavefront6targetE1EEEvT1_.kd
    .uniform_work_group_size: 1
    .uses_dynamic_stack: false
    .vgpr_count:     0
    .vgpr_spill_count: 0
    .wavefront_size: 64
  - .agpr_count:     0
    .args:
      - .offset:         0
        .size:           40
        .value_kind:     by_value
    .group_segment_fixed_size: 0
    .kernarg_segment_align: 8
    .kernarg_segment_size: 40
    .language:       OpenCL C
    .language_version:
      - 2
      - 0
    .max_flat_workgroup_size: 128
    .name:           _ZN7rocprim17ROCPRIM_400000_NS6detail17trampoline_kernelINS0_14default_configENS1_38merge_sort_block_merge_config_selectorIsNS0_10empty_typeEEEZZNS1_27merge_sort_block_merge_implIS3_N6thrust23THRUST_200600_302600_NS6detail15normal_iteratorINS9_10device_ptrIsEEEEPS5_jNS1_19radix_merge_compareILb0ELb1EsNS0_19identity_decomposerEEEEE10hipError_tT0_T1_T2_jT3_P12ihipStream_tbPNSt15iterator_traitsISK_E10value_typeEPNSQ_ISL_E10value_typeEPSM_NS1_7vsmem_tEENKUlT_SK_SL_SM_E_clIPsSE_SF_SF_EESJ_SZ_SK_SL_SM_EUlSZ_E_NS1_11comp_targetILNS1_3genE0ELNS1_11target_archE4294967295ELNS1_3gpuE0ELNS1_3repE0EEENS1_48merge_mergepath_partition_config_static_selectorELNS0_4arch9wavefront6targetE1EEEvSL_
    .private_segment_fixed_size: 0
    .sgpr_count:     4
    .sgpr_spill_count: 0
    .symbol:         _ZN7rocprim17ROCPRIM_400000_NS6detail17trampoline_kernelINS0_14default_configENS1_38merge_sort_block_merge_config_selectorIsNS0_10empty_typeEEEZZNS1_27merge_sort_block_merge_implIS3_N6thrust23THRUST_200600_302600_NS6detail15normal_iteratorINS9_10device_ptrIsEEEEPS5_jNS1_19radix_merge_compareILb0ELb1EsNS0_19identity_decomposerEEEEE10hipError_tT0_T1_T2_jT3_P12ihipStream_tbPNSt15iterator_traitsISK_E10value_typeEPNSQ_ISL_E10value_typeEPSM_NS1_7vsmem_tEENKUlT_SK_SL_SM_E_clIPsSE_SF_SF_EESJ_SZ_SK_SL_SM_EUlSZ_E_NS1_11comp_targetILNS1_3genE0ELNS1_11target_archE4294967295ELNS1_3gpuE0ELNS1_3repE0EEENS1_48merge_mergepath_partition_config_static_selectorELNS0_4arch9wavefront6targetE1EEEvSL_.kd
    .uniform_work_group_size: 1
    .uses_dynamic_stack: false
    .vgpr_count:     0
    .vgpr_spill_count: 0
    .wavefront_size: 64
  - .agpr_count:     0
    .args:
      - .offset:         0
        .size:           40
        .value_kind:     by_value
    .group_segment_fixed_size: 0
    .kernarg_segment_align: 8
    .kernarg_segment_size: 40
    .language:       OpenCL C
    .language_version:
      - 2
      - 0
    .max_flat_workgroup_size: 128
    .name:           _ZN7rocprim17ROCPRIM_400000_NS6detail17trampoline_kernelINS0_14default_configENS1_38merge_sort_block_merge_config_selectorIsNS0_10empty_typeEEEZZNS1_27merge_sort_block_merge_implIS3_N6thrust23THRUST_200600_302600_NS6detail15normal_iteratorINS9_10device_ptrIsEEEEPS5_jNS1_19radix_merge_compareILb0ELb1EsNS0_19identity_decomposerEEEEE10hipError_tT0_T1_T2_jT3_P12ihipStream_tbPNSt15iterator_traitsISK_E10value_typeEPNSQ_ISL_E10value_typeEPSM_NS1_7vsmem_tEENKUlT_SK_SL_SM_E_clIPsSE_SF_SF_EESJ_SZ_SK_SL_SM_EUlSZ_E_NS1_11comp_targetILNS1_3genE10ELNS1_11target_archE1201ELNS1_3gpuE5ELNS1_3repE0EEENS1_48merge_mergepath_partition_config_static_selectorELNS0_4arch9wavefront6targetE1EEEvSL_
    .private_segment_fixed_size: 0
    .sgpr_count:     4
    .sgpr_spill_count: 0
    .symbol:         _ZN7rocprim17ROCPRIM_400000_NS6detail17trampoline_kernelINS0_14default_configENS1_38merge_sort_block_merge_config_selectorIsNS0_10empty_typeEEEZZNS1_27merge_sort_block_merge_implIS3_N6thrust23THRUST_200600_302600_NS6detail15normal_iteratorINS9_10device_ptrIsEEEEPS5_jNS1_19radix_merge_compareILb0ELb1EsNS0_19identity_decomposerEEEEE10hipError_tT0_T1_T2_jT3_P12ihipStream_tbPNSt15iterator_traitsISK_E10value_typeEPNSQ_ISL_E10value_typeEPSM_NS1_7vsmem_tEENKUlT_SK_SL_SM_E_clIPsSE_SF_SF_EESJ_SZ_SK_SL_SM_EUlSZ_E_NS1_11comp_targetILNS1_3genE10ELNS1_11target_archE1201ELNS1_3gpuE5ELNS1_3repE0EEENS1_48merge_mergepath_partition_config_static_selectorELNS0_4arch9wavefront6targetE1EEEvSL_.kd
    .uniform_work_group_size: 1
    .uses_dynamic_stack: false
    .vgpr_count:     0
    .vgpr_spill_count: 0
    .wavefront_size: 64
  - .agpr_count:     0
    .args:
      - .offset:         0
        .size:           40
        .value_kind:     by_value
    .group_segment_fixed_size: 0
    .kernarg_segment_align: 8
    .kernarg_segment_size: 40
    .language:       OpenCL C
    .language_version:
      - 2
      - 0
    .max_flat_workgroup_size: 128
    .name:           _ZN7rocprim17ROCPRIM_400000_NS6detail17trampoline_kernelINS0_14default_configENS1_38merge_sort_block_merge_config_selectorIsNS0_10empty_typeEEEZZNS1_27merge_sort_block_merge_implIS3_N6thrust23THRUST_200600_302600_NS6detail15normal_iteratorINS9_10device_ptrIsEEEEPS5_jNS1_19radix_merge_compareILb0ELb1EsNS0_19identity_decomposerEEEEE10hipError_tT0_T1_T2_jT3_P12ihipStream_tbPNSt15iterator_traitsISK_E10value_typeEPNSQ_ISL_E10value_typeEPSM_NS1_7vsmem_tEENKUlT_SK_SL_SM_E_clIPsSE_SF_SF_EESJ_SZ_SK_SL_SM_EUlSZ_E_NS1_11comp_targetILNS1_3genE5ELNS1_11target_archE942ELNS1_3gpuE9ELNS1_3repE0EEENS1_48merge_mergepath_partition_config_static_selectorELNS0_4arch9wavefront6targetE1EEEvSL_
    .private_segment_fixed_size: 0
    .sgpr_count:     4
    .sgpr_spill_count: 0
    .symbol:         _ZN7rocprim17ROCPRIM_400000_NS6detail17trampoline_kernelINS0_14default_configENS1_38merge_sort_block_merge_config_selectorIsNS0_10empty_typeEEEZZNS1_27merge_sort_block_merge_implIS3_N6thrust23THRUST_200600_302600_NS6detail15normal_iteratorINS9_10device_ptrIsEEEEPS5_jNS1_19radix_merge_compareILb0ELb1EsNS0_19identity_decomposerEEEEE10hipError_tT0_T1_T2_jT3_P12ihipStream_tbPNSt15iterator_traitsISK_E10value_typeEPNSQ_ISL_E10value_typeEPSM_NS1_7vsmem_tEENKUlT_SK_SL_SM_E_clIPsSE_SF_SF_EESJ_SZ_SK_SL_SM_EUlSZ_E_NS1_11comp_targetILNS1_3genE5ELNS1_11target_archE942ELNS1_3gpuE9ELNS1_3repE0EEENS1_48merge_mergepath_partition_config_static_selectorELNS0_4arch9wavefront6targetE1EEEvSL_.kd
    .uniform_work_group_size: 1
    .uses_dynamic_stack: false
    .vgpr_count:     0
    .vgpr_spill_count: 0
    .wavefront_size: 64
  - .agpr_count:     0
    .args:
      - .offset:         0
        .size:           40
        .value_kind:     by_value
    .group_segment_fixed_size: 0
    .kernarg_segment_align: 8
    .kernarg_segment_size: 40
    .language:       OpenCL C
    .language_version:
      - 2
      - 0
    .max_flat_workgroup_size: 128
    .name:           _ZN7rocprim17ROCPRIM_400000_NS6detail17trampoline_kernelINS0_14default_configENS1_38merge_sort_block_merge_config_selectorIsNS0_10empty_typeEEEZZNS1_27merge_sort_block_merge_implIS3_N6thrust23THRUST_200600_302600_NS6detail15normal_iteratorINS9_10device_ptrIsEEEEPS5_jNS1_19radix_merge_compareILb0ELb1EsNS0_19identity_decomposerEEEEE10hipError_tT0_T1_T2_jT3_P12ihipStream_tbPNSt15iterator_traitsISK_E10value_typeEPNSQ_ISL_E10value_typeEPSM_NS1_7vsmem_tEENKUlT_SK_SL_SM_E_clIPsSE_SF_SF_EESJ_SZ_SK_SL_SM_EUlSZ_E_NS1_11comp_targetILNS1_3genE4ELNS1_11target_archE910ELNS1_3gpuE8ELNS1_3repE0EEENS1_48merge_mergepath_partition_config_static_selectorELNS0_4arch9wavefront6targetE1EEEvSL_
    .private_segment_fixed_size: 0
    .sgpr_count:     14
    .sgpr_spill_count: 0
    .symbol:         _ZN7rocprim17ROCPRIM_400000_NS6detail17trampoline_kernelINS0_14default_configENS1_38merge_sort_block_merge_config_selectorIsNS0_10empty_typeEEEZZNS1_27merge_sort_block_merge_implIS3_N6thrust23THRUST_200600_302600_NS6detail15normal_iteratorINS9_10device_ptrIsEEEEPS5_jNS1_19radix_merge_compareILb0ELb1EsNS0_19identity_decomposerEEEEE10hipError_tT0_T1_T2_jT3_P12ihipStream_tbPNSt15iterator_traitsISK_E10value_typeEPNSQ_ISL_E10value_typeEPSM_NS1_7vsmem_tEENKUlT_SK_SL_SM_E_clIPsSE_SF_SF_EESJ_SZ_SK_SL_SM_EUlSZ_E_NS1_11comp_targetILNS1_3genE4ELNS1_11target_archE910ELNS1_3gpuE8ELNS1_3repE0EEENS1_48merge_mergepath_partition_config_static_selectorELNS0_4arch9wavefront6targetE1EEEvSL_.kd
    .uniform_work_group_size: 1
    .uses_dynamic_stack: false
    .vgpr_count:     15
    .vgpr_spill_count: 0
    .wavefront_size: 64
  - .agpr_count:     0
    .args:
      - .offset:         0
        .size:           40
        .value_kind:     by_value
    .group_segment_fixed_size: 0
    .kernarg_segment_align: 8
    .kernarg_segment_size: 40
    .language:       OpenCL C
    .language_version:
      - 2
      - 0
    .max_flat_workgroup_size: 128
    .name:           _ZN7rocprim17ROCPRIM_400000_NS6detail17trampoline_kernelINS0_14default_configENS1_38merge_sort_block_merge_config_selectorIsNS0_10empty_typeEEEZZNS1_27merge_sort_block_merge_implIS3_N6thrust23THRUST_200600_302600_NS6detail15normal_iteratorINS9_10device_ptrIsEEEEPS5_jNS1_19radix_merge_compareILb0ELb1EsNS0_19identity_decomposerEEEEE10hipError_tT0_T1_T2_jT3_P12ihipStream_tbPNSt15iterator_traitsISK_E10value_typeEPNSQ_ISL_E10value_typeEPSM_NS1_7vsmem_tEENKUlT_SK_SL_SM_E_clIPsSE_SF_SF_EESJ_SZ_SK_SL_SM_EUlSZ_E_NS1_11comp_targetILNS1_3genE3ELNS1_11target_archE908ELNS1_3gpuE7ELNS1_3repE0EEENS1_48merge_mergepath_partition_config_static_selectorELNS0_4arch9wavefront6targetE1EEEvSL_
    .private_segment_fixed_size: 0
    .sgpr_count:     4
    .sgpr_spill_count: 0
    .symbol:         _ZN7rocprim17ROCPRIM_400000_NS6detail17trampoline_kernelINS0_14default_configENS1_38merge_sort_block_merge_config_selectorIsNS0_10empty_typeEEEZZNS1_27merge_sort_block_merge_implIS3_N6thrust23THRUST_200600_302600_NS6detail15normal_iteratorINS9_10device_ptrIsEEEEPS5_jNS1_19radix_merge_compareILb0ELb1EsNS0_19identity_decomposerEEEEE10hipError_tT0_T1_T2_jT3_P12ihipStream_tbPNSt15iterator_traitsISK_E10value_typeEPNSQ_ISL_E10value_typeEPSM_NS1_7vsmem_tEENKUlT_SK_SL_SM_E_clIPsSE_SF_SF_EESJ_SZ_SK_SL_SM_EUlSZ_E_NS1_11comp_targetILNS1_3genE3ELNS1_11target_archE908ELNS1_3gpuE7ELNS1_3repE0EEENS1_48merge_mergepath_partition_config_static_selectorELNS0_4arch9wavefront6targetE1EEEvSL_.kd
    .uniform_work_group_size: 1
    .uses_dynamic_stack: false
    .vgpr_count:     0
    .vgpr_spill_count: 0
    .wavefront_size: 64
  - .agpr_count:     0
    .args:
      - .offset:         0
        .size:           40
        .value_kind:     by_value
    .group_segment_fixed_size: 0
    .kernarg_segment_align: 8
    .kernarg_segment_size: 40
    .language:       OpenCL C
    .language_version:
      - 2
      - 0
    .max_flat_workgroup_size: 128
    .name:           _ZN7rocprim17ROCPRIM_400000_NS6detail17trampoline_kernelINS0_14default_configENS1_38merge_sort_block_merge_config_selectorIsNS0_10empty_typeEEEZZNS1_27merge_sort_block_merge_implIS3_N6thrust23THRUST_200600_302600_NS6detail15normal_iteratorINS9_10device_ptrIsEEEEPS5_jNS1_19radix_merge_compareILb0ELb1EsNS0_19identity_decomposerEEEEE10hipError_tT0_T1_T2_jT3_P12ihipStream_tbPNSt15iterator_traitsISK_E10value_typeEPNSQ_ISL_E10value_typeEPSM_NS1_7vsmem_tEENKUlT_SK_SL_SM_E_clIPsSE_SF_SF_EESJ_SZ_SK_SL_SM_EUlSZ_E_NS1_11comp_targetILNS1_3genE2ELNS1_11target_archE906ELNS1_3gpuE6ELNS1_3repE0EEENS1_48merge_mergepath_partition_config_static_selectorELNS0_4arch9wavefront6targetE1EEEvSL_
    .private_segment_fixed_size: 0
    .sgpr_count:     4
    .sgpr_spill_count: 0
    .symbol:         _ZN7rocprim17ROCPRIM_400000_NS6detail17trampoline_kernelINS0_14default_configENS1_38merge_sort_block_merge_config_selectorIsNS0_10empty_typeEEEZZNS1_27merge_sort_block_merge_implIS3_N6thrust23THRUST_200600_302600_NS6detail15normal_iteratorINS9_10device_ptrIsEEEEPS5_jNS1_19radix_merge_compareILb0ELb1EsNS0_19identity_decomposerEEEEE10hipError_tT0_T1_T2_jT3_P12ihipStream_tbPNSt15iterator_traitsISK_E10value_typeEPNSQ_ISL_E10value_typeEPSM_NS1_7vsmem_tEENKUlT_SK_SL_SM_E_clIPsSE_SF_SF_EESJ_SZ_SK_SL_SM_EUlSZ_E_NS1_11comp_targetILNS1_3genE2ELNS1_11target_archE906ELNS1_3gpuE6ELNS1_3repE0EEENS1_48merge_mergepath_partition_config_static_selectorELNS0_4arch9wavefront6targetE1EEEvSL_.kd
    .uniform_work_group_size: 1
    .uses_dynamic_stack: false
    .vgpr_count:     0
    .vgpr_spill_count: 0
    .wavefront_size: 64
  - .agpr_count:     0
    .args:
      - .offset:         0
        .size:           40
        .value_kind:     by_value
    .group_segment_fixed_size: 0
    .kernarg_segment_align: 8
    .kernarg_segment_size: 40
    .language:       OpenCL C
    .language_version:
      - 2
      - 0
    .max_flat_workgroup_size: 128
    .name:           _ZN7rocprim17ROCPRIM_400000_NS6detail17trampoline_kernelINS0_14default_configENS1_38merge_sort_block_merge_config_selectorIsNS0_10empty_typeEEEZZNS1_27merge_sort_block_merge_implIS3_N6thrust23THRUST_200600_302600_NS6detail15normal_iteratorINS9_10device_ptrIsEEEEPS5_jNS1_19radix_merge_compareILb0ELb1EsNS0_19identity_decomposerEEEEE10hipError_tT0_T1_T2_jT3_P12ihipStream_tbPNSt15iterator_traitsISK_E10value_typeEPNSQ_ISL_E10value_typeEPSM_NS1_7vsmem_tEENKUlT_SK_SL_SM_E_clIPsSE_SF_SF_EESJ_SZ_SK_SL_SM_EUlSZ_E_NS1_11comp_targetILNS1_3genE9ELNS1_11target_archE1100ELNS1_3gpuE3ELNS1_3repE0EEENS1_48merge_mergepath_partition_config_static_selectorELNS0_4arch9wavefront6targetE1EEEvSL_
    .private_segment_fixed_size: 0
    .sgpr_count:     4
    .sgpr_spill_count: 0
    .symbol:         _ZN7rocprim17ROCPRIM_400000_NS6detail17trampoline_kernelINS0_14default_configENS1_38merge_sort_block_merge_config_selectorIsNS0_10empty_typeEEEZZNS1_27merge_sort_block_merge_implIS3_N6thrust23THRUST_200600_302600_NS6detail15normal_iteratorINS9_10device_ptrIsEEEEPS5_jNS1_19radix_merge_compareILb0ELb1EsNS0_19identity_decomposerEEEEE10hipError_tT0_T1_T2_jT3_P12ihipStream_tbPNSt15iterator_traitsISK_E10value_typeEPNSQ_ISL_E10value_typeEPSM_NS1_7vsmem_tEENKUlT_SK_SL_SM_E_clIPsSE_SF_SF_EESJ_SZ_SK_SL_SM_EUlSZ_E_NS1_11comp_targetILNS1_3genE9ELNS1_11target_archE1100ELNS1_3gpuE3ELNS1_3repE0EEENS1_48merge_mergepath_partition_config_static_selectorELNS0_4arch9wavefront6targetE1EEEvSL_.kd
    .uniform_work_group_size: 1
    .uses_dynamic_stack: false
    .vgpr_count:     0
    .vgpr_spill_count: 0
    .wavefront_size: 64
  - .agpr_count:     0
    .args:
      - .offset:         0
        .size:           40
        .value_kind:     by_value
    .group_segment_fixed_size: 0
    .kernarg_segment_align: 8
    .kernarg_segment_size: 40
    .language:       OpenCL C
    .language_version:
      - 2
      - 0
    .max_flat_workgroup_size: 128
    .name:           _ZN7rocprim17ROCPRIM_400000_NS6detail17trampoline_kernelINS0_14default_configENS1_38merge_sort_block_merge_config_selectorIsNS0_10empty_typeEEEZZNS1_27merge_sort_block_merge_implIS3_N6thrust23THRUST_200600_302600_NS6detail15normal_iteratorINS9_10device_ptrIsEEEEPS5_jNS1_19radix_merge_compareILb0ELb1EsNS0_19identity_decomposerEEEEE10hipError_tT0_T1_T2_jT3_P12ihipStream_tbPNSt15iterator_traitsISK_E10value_typeEPNSQ_ISL_E10value_typeEPSM_NS1_7vsmem_tEENKUlT_SK_SL_SM_E_clIPsSE_SF_SF_EESJ_SZ_SK_SL_SM_EUlSZ_E_NS1_11comp_targetILNS1_3genE8ELNS1_11target_archE1030ELNS1_3gpuE2ELNS1_3repE0EEENS1_48merge_mergepath_partition_config_static_selectorELNS0_4arch9wavefront6targetE1EEEvSL_
    .private_segment_fixed_size: 0
    .sgpr_count:     4
    .sgpr_spill_count: 0
    .symbol:         _ZN7rocprim17ROCPRIM_400000_NS6detail17trampoline_kernelINS0_14default_configENS1_38merge_sort_block_merge_config_selectorIsNS0_10empty_typeEEEZZNS1_27merge_sort_block_merge_implIS3_N6thrust23THRUST_200600_302600_NS6detail15normal_iteratorINS9_10device_ptrIsEEEEPS5_jNS1_19radix_merge_compareILb0ELb1EsNS0_19identity_decomposerEEEEE10hipError_tT0_T1_T2_jT3_P12ihipStream_tbPNSt15iterator_traitsISK_E10value_typeEPNSQ_ISL_E10value_typeEPSM_NS1_7vsmem_tEENKUlT_SK_SL_SM_E_clIPsSE_SF_SF_EESJ_SZ_SK_SL_SM_EUlSZ_E_NS1_11comp_targetILNS1_3genE8ELNS1_11target_archE1030ELNS1_3gpuE2ELNS1_3repE0EEENS1_48merge_mergepath_partition_config_static_selectorELNS0_4arch9wavefront6targetE1EEEvSL_.kd
    .uniform_work_group_size: 1
    .uses_dynamic_stack: false
    .vgpr_count:     0
    .vgpr_spill_count: 0
    .wavefront_size: 64
  - .agpr_count:     0
    .args:
      - .offset:         0
        .size:           64
        .value_kind:     by_value
    .group_segment_fixed_size: 0
    .kernarg_segment_align: 8
    .kernarg_segment_size: 64
    .language:       OpenCL C
    .language_version:
      - 2
      - 0
    .max_flat_workgroup_size: 128
    .name:           _ZN7rocprim17ROCPRIM_400000_NS6detail17trampoline_kernelINS0_14default_configENS1_38merge_sort_block_merge_config_selectorIsNS0_10empty_typeEEEZZNS1_27merge_sort_block_merge_implIS3_N6thrust23THRUST_200600_302600_NS6detail15normal_iteratorINS9_10device_ptrIsEEEEPS5_jNS1_19radix_merge_compareILb0ELb1EsNS0_19identity_decomposerEEEEE10hipError_tT0_T1_T2_jT3_P12ihipStream_tbPNSt15iterator_traitsISK_E10value_typeEPNSQ_ISL_E10value_typeEPSM_NS1_7vsmem_tEENKUlT_SK_SL_SM_E_clIPsSE_SF_SF_EESJ_SZ_SK_SL_SM_EUlSZ_E0_NS1_11comp_targetILNS1_3genE0ELNS1_11target_archE4294967295ELNS1_3gpuE0ELNS1_3repE0EEENS1_38merge_mergepath_config_static_selectorELNS0_4arch9wavefront6targetE1EEEvSL_
    .private_segment_fixed_size: 0
    .sgpr_count:     4
    .sgpr_spill_count: 0
    .symbol:         _ZN7rocprim17ROCPRIM_400000_NS6detail17trampoline_kernelINS0_14default_configENS1_38merge_sort_block_merge_config_selectorIsNS0_10empty_typeEEEZZNS1_27merge_sort_block_merge_implIS3_N6thrust23THRUST_200600_302600_NS6detail15normal_iteratorINS9_10device_ptrIsEEEEPS5_jNS1_19radix_merge_compareILb0ELb1EsNS0_19identity_decomposerEEEEE10hipError_tT0_T1_T2_jT3_P12ihipStream_tbPNSt15iterator_traitsISK_E10value_typeEPNSQ_ISL_E10value_typeEPSM_NS1_7vsmem_tEENKUlT_SK_SL_SM_E_clIPsSE_SF_SF_EESJ_SZ_SK_SL_SM_EUlSZ_E0_NS1_11comp_targetILNS1_3genE0ELNS1_11target_archE4294967295ELNS1_3gpuE0ELNS1_3repE0EEENS1_38merge_mergepath_config_static_selectorELNS0_4arch9wavefront6targetE1EEEvSL_.kd
    .uniform_work_group_size: 1
    .uses_dynamic_stack: false
    .vgpr_count:     0
    .vgpr_spill_count: 0
    .wavefront_size: 64
  - .agpr_count:     0
    .args:
      - .offset:         0
        .size:           64
        .value_kind:     by_value
    .group_segment_fixed_size: 0
    .kernarg_segment_align: 8
    .kernarg_segment_size: 64
    .language:       OpenCL C
    .language_version:
      - 2
      - 0
    .max_flat_workgroup_size: 128
    .name:           _ZN7rocprim17ROCPRIM_400000_NS6detail17trampoline_kernelINS0_14default_configENS1_38merge_sort_block_merge_config_selectorIsNS0_10empty_typeEEEZZNS1_27merge_sort_block_merge_implIS3_N6thrust23THRUST_200600_302600_NS6detail15normal_iteratorINS9_10device_ptrIsEEEEPS5_jNS1_19radix_merge_compareILb0ELb1EsNS0_19identity_decomposerEEEEE10hipError_tT0_T1_T2_jT3_P12ihipStream_tbPNSt15iterator_traitsISK_E10value_typeEPNSQ_ISL_E10value_typeEPSM_NS1_7vsmem_tEENKUlT_SK_SL_SM_E_clIPsSE_SF_SF_EESJ_SZ_SK_SL_SM_EUlSZ_E0_NS1_11comp_targetILNS1_3genE10ELNS1_11target_archE1201ELNS1_3gpuE5ELNS1_3repE0EEENS1_38merge_mergepath_config_static_selectorELNS0_4arch9wavefront6targetE1EEEvSL_
    .private_segment_fixed_size: 0
    .sgpr_count:     4
    .sgpr_spill_count: 0
    .symbol:         _ZN7rocprim17ROCPRIM_400000_NS6detail17trampoline_kernelINS0_14default_configENS1_38merge_sort_block_merge_config_selectorIsNS0_10empty_typeEEEZZNS1_27merge_sort_block_merge_implIS3_N6thrust23THRUST_200600_302600_NS6detail15normal_iteratorINS9_10device_ptrIsEEEEPS5_jNS1_19radix_merge_compareILb0ELb1EsNS0_19identity_decomposerEEEEE10hipError_tT0_T1_T2_jT3_P12ihipStream_tbPNSt15iterator_traitsISK_E10value_typeEPNSQ_ISL_E10value_typeEPSM_NS1_7vsmem_tEENKUlT_SK_SL_SM_E_clIPsSE_SF_SF_EESJ_SZ_SK_SL_SM_EUlSZ_E0_NS1_11comp_targetILNS1_3genE10ELNS1_11target_archE1201ELNS1_3gpuE5ELNS1_3repE0EEENS1_38merge_mergepath_config_static_selectorELNS0_4arch9wavefront6targetE1EEEvSL_.kd
    .uniform_work_group_size: 1
    .uses_dynamic_stack: false
    .vgpr_count:     0
    .vgpr_spill_count: 0
    .wavefront_size: 64
  - .agpr_count:     0
    .args:
      - .offset:         0
        .size:           64
        .value_kind:     by_value
    .group_segment_fixed_size: 0
    .kernarg_segment_align: 8
    .kernarg_segment_size: 64
    .language:       OpenCL C
    .language_version:
      - 2
      - 0
    .max_flat_workgroup_size: 128
    .name:           _ZN7rocprim17ROCPRIM_400000_NS6detail17trampoline_kernelINS0_14default_configENS1_38merge_sort_block_merge_config_selectorIsNS0_10empty_typeEEEZZNS1_27merge_sort_block_merge_implIS3_N6thrust23THRUST_200600_302600_NS6detail15normal_iteratorINS9_10device_ptrIsEEEEPS5_jNS1_19radix_merge_compareILb0ELb1EsNS0_19identity_decomposerEEEEE10hipError_tT0_T1_T2_jT3_P12ihipStream_tbPNSt15iterator_traitsISK_E10value_typeEPNSQ_ISL_E10value_typeEPSM_NS1_7vsmem_tEENKUlT_SK_SL_SM_E_clIPsSE_SF_SF_EESJ_SZ_SK_SL_SM_EUlSZ_E0_NS1_11comp_targetILNS1_3genE5ELNS1_11target_archE942ELNS1_3gpuE9ELNS1_3repE0EEENS1_38merge_mergepath_config_static_selectorELNS0_4arch9wavefront6targetE1EEEvSL_
    .private_segment_fixed_size: 0
    .sgpr_count:     4
    .sgpr_spill_count: 0
    .symbol:         _ZN7rocprim17ROCPRIM_400000_NS6detail17trampoline_kernelINS0_14default_configENS1_38merge_sort_block_merge_config_selectorIsNS0_10empty_typeEEEZZNS1_27merge_sort_block_merge_implIS3_N6thrust23THRUST_200600_302600_NS6detail15normal_iteratorINS9_10device_ptrIsEEEEPS5_jNS1_19radix_merge_compareILb0ELb1EsNS0_19identity_decomposerEEEEE10hipError_tT0_T1_T2_jT3_P12ihipStream_tbPNSt15iterator_traitsISK_E10value_typeEPNSQ_ISL_E10value_typeEPSM_NS1_7vsmem_tEENKUlT_SK_SL_SM_E_clIPsSE_SF_SF_EESJ_SZ_SK_SL_SM_EUlSZ_E0_NS1_11comp_targetILNS1_3genE5ELNS1_11target_archE942ELNS1_3gpuE9ELNS1_3repE0EEENS1_38merge_mergepath_config_static_selectorELNS0_4arch9wavefront6targetE1EEEvSL_.kd
    .uniform_work_group_size: 1
    .uses_dynamic_stack: false
    .vgpr_count:     0
    .vgpr_spill_count: 0
    .wavefront_size: 64
  - .agpr_count:     0
    .args:
      - .offset:         0
        .size:           64
        .value_kind:     by_value
      - .offset:         64
        .size:           4
        .value_kind:     hidden_block_count_x
      - .offset:         68
        .size:           4
        .value_kind:     hidden_block_count_y
      - .offset:         72
        .size:           4
        .value_kind:     hidden_block_count_z
      - .offset:         76
        .size:           2
        .value_kind:     hidden_group_size_x
      - .offset:         78
        .size:           2
        .value_kind:     hidden_group_size_y
      - .offset:         80
        .size:           2
        .value_kind:     hidden_group_size_z
      - .offset:         82
        .size:           2
        .value_kind:     hidden_remainder_x
      - .offset:         84
        .size:           2
        .value_kind:     hidden_remainder_y
      - .offset:         86
        .size:           2
        .value_kind:     hidden_remainder_z
      - .offset:         104
        .size:           8
        .value_kind:     hidden_global_offset_x
      - .offset:         112
        .size:           8
        .value_kind:     hidden_global_offset_y
      - .offset:         120
        .size:           8
        .value_kind:     hidden_global_offset_z
      - .offset:         128
        .size:           2
        .value_kind:     hidden_grid_dims
    .group_segment_fixed_size: 2112
    .kernarg_segment_align: 8
    .kernarg_segment_size: 320
    .language:       OpenCL C
    .language_version:
      - 2
      - 0
    .max_flat_workgroup_size: 128
    .name:           _ZN7rocprim17ROCPRIM_400000_NS6detail17trampoline_kernelINS0_14default_configENS1_38merge_sort_block_merge_config_selectorIsNS0_10empty_typeEEEZZNS1_27merge_sort_block_merge_implIS3_N6thrust23THRUST_200600_302600_NS6detail15normal_iteratorINS9_10device_ptrIsEEEEPS5_jNS1_19radix_merge_compareILb0ELb1EsNS0_19identity_decomposerEEEEE10hipError_tT0_T1_T2_jT3_P12ihipStream_tbPNSt15iterator_traitsISK_E10value_typeEPNSQ_ISL_E10value_typeEPSM_NS1_7vsmem_tEENKUlT_SK_SL_SM_E_clIPsSE_SF_SF_EESJ_SZ_SK_SL_SM_EUlSZ_E0_NS1_11comp_targetILNS1_3genE4ELNS1_11target_archE910ELNS1_3gpuE8ELNS1_3repE0EEENS1_38merge_mergepath_config_static_selectorELNS0_4arch9wavefront6targetE1EEEvSL_
    .private_segment_fixed_size: 0
    .sgpr_count:     29
    .sgpr_spill_count: 0
    .symbol:         _ZN7rocprim17ROCPRIM_400000_NS6detail17trampoline_kernelINS0_14default_configENS1_38merge_sort_block_merge_config_selectorIsNS0_10empty_typeEEEZZNS1_27merge_sort_block_merge_implIS3_N6thrust23THRUST_200600_302600_NS6detail15normal_iteratorINS9_10device_ptrIsEEEEPS5_jNS1_19radix_merge_compareILb0ELb1EsNS0_19identity_decomposerEEEEE10hipError_tT0_T1_T2_jT3_P12ihipStream_tbPNSt15iterator_traitsISK_E10value_typeEPNSQ_ISL_E10value_typeEPSM_NS1_7vsmem_tEENKUlT_SK_SL_SM_E_clIPsSE_SF_SF_EESJ_SZ_SK_SL_SM_EUlSZ_E0_NS1_11comp_targetILNS1_3genE4ELNS1_11target_archE910ELNS1_3gpuE8ELNS1_3repE0EEENS1_38merge_mergepath_config_static_selectorELNS0_4arch9wavefront6targetE1EEEvSL_.kd
    .uniform_work_group_size: 1
    .uses_dynamic_stack: false
    .vgpr_count:     26
    .vgpr_spill_count: 0
    .wavefront_size: 64
  - .agpr_count:     0
    .args:
      - .offset:         0
        .size:           64
        .value_kind:     by_value
    .group_segment_fixed_size: 0
    .kernarg_segment_align: 8
    .kernarg_segment_size: 64
    .language:       OpenCL C
    .language_version:
      - 2
      - 0
    .max_flat_workgroup_size: 128
    .name:           _ZN7rocprim17ROCPRIM_400000_NS6detail17trampoline_kernelINS0_14default_configENS1_38merge_sort_block_merge_config_selectorIsNS0_10empty_typeEEEZZNS1_27merge_sort_block_merge_implIS3_N6thrust23THRUST_200600_302600_NS6detail15normal_iteratorINS9_10device_ptrIsEEEEPS5_jNS1_19radix_merge_compareILb0ELb1EsNS0_19identity_decomposerEEEEE10hipError_tT0_T1_T2_jT3_P12ihipStream_tbPNSt15iterator_traitsISK_E10value_typeEPNSQ_ISL_E10value_typeEPSM_NS1_7vsmem_tEENKUlT_SK_SL_SM_E_clIPsSE_SF_SF_EESJ_SZ_SK_SL_SM_EUlSZ_E0_NS1_11comp_targetILNS1_3genE3ELNS1_11target_archE908ELNS1_3gpuE7ELNS1_3repE0EEENS1_38merge_mergepath_config_static_selectorELNS0_4arch9wavefront6targetE1EEEvSL_
    .private_segment_fixed_size: 0
    .sgpr_count:     4
    .sgpr_spill_count: 0
    .symbol:         _ZN7rocprim17ROCPRIM_400000_NS6detail17trampoline_kernelINS0_14default_configENS1_38merge_sort_block_merge_config_selectorIsNS0_10empty_typeEEEZZNS1_27merge_sort_block_merge_implIS3_N6thrust23THRUST_200600_302600_NS6detail15normal_iteratorINS9_10device_ptrIsEEEEPS5_jNS1_19radix_merge_compareILb0ELb1EsNS0_19identity_decomposerEEEEE10hipError_tT0_T1_T2_jT3_P12ihipStream_tbPNSt15iterator_traitsISK_E10value_typeEPNSQ_ISL_E10value_typeEPSM_NS1_7vsmem_tEENKUlT_SK_SL_SM_E_clIPsSE_SF_SF_EESJ_SZ_SK_SL_SM_EUlSZ_E0_NS1_11comp_targetILNS1_3genE3ELNS1_11target_archE908ELNS1_3gpuE7ELNS1_3repE0EEENS1_38merge_mergepath_config_static_selectorELNS0_4arch9wavefront6targetE1EEEvSL_.kd
    .uniform_work_group_size: 1
    .uses_dynamic_stack: false
    .vgpr_count:     0
    .vgpr_spill_count: 0
    .wavefront_size: 64
  - .agpr_count:     0
    .args:
      - .offset:         0
        .size:           64
        .value_kind:     by_value
    .group_segment_fixed_size: 0
    .kernarg_segment_align: 8
    .kernarg_segment_size: 64
    .language:       OpenCL C
    .language_version:
      - 2
      - 0
    .max_flat_workgroup_size: 128
    .name:           _ZN7rocprim17ROCPRIM_400000_NS6detail17trampoline_kernelINS0_14default_configENS1_38merge_sort_block_merge_config_selectorIsNS0_10empty_typeEEEZZNS1_27merge_sort_block_merge_implIS3_N6thrust23THRUST_200600_302600_NS6detail15normal_iteratorINS9_10device_ptrIsEEEEPS5_jNS1_19radix_merge_compareILb0ELb1EsNS0_19identity_decomposerEEEEE10hipError_tT0_T1_T2_jT3_P12ihipStream_tbPNSt15iterator_traitsISK_E10value_typeEPNSQ_ISL_E10value_typeEPSM_NS1_7vsmem_tEENKUlT_SK_SL_SM_E_clIPsSE_SF_SF_EESJ_SZ_SK_SL_SM_EUlSZ_E0_NS1_11comp_targetILNS1_3genE2ELNS1_11target_archE906ELNS1_3gpuE6ELNS1_3repE0EEENS1_38merge_mergepath_config_static_selectorELNS0_4arch9wavefront6targetE1EEEvSL_
    .private_segment_fixed_size: 0
    .sgpr_count:     4
    .sgpr_spill_count: 0
    .symbol:         _ZN7rocprim17ROCPRIM_400000_NS6detail17trampoline_kernelINS0_14default_configENS1_38merge_sort_block_merge_config_selectorIsNS0_10empty_typeEEEZZNS1_27merge_sort_block_merge_implIS3_N6thrust23THRUST_200600_302600_NS6detail15normal_iteratorINS9_10device_ptrIsEEEEPS5_jNS1_19radix_merge_compareILb0ELb1EsNS0_19identity_decomposerEEEEE10hipError_tT0_T1_T2_jT3_P12ihipStream_tbPNSt15iterator_traitsISK_E10value_typeEPNSQ_ISL_E10value_typeEPSM_NS1_7vsmem_tEENKUlT_SK_SL_SM_E_clIPsSE_SF_SF_EESJ_SZ_SK_SL_SM_EUlSZ_E0_NS1_11comp_targetILNS1_3genE2ELNS1_11target_archE906ELNS1_3gpuE6ELNS1_3repE0EEENS1_38merge_mergepath_config_static_selectorELNS0_4arch9wavefront6targetE1EEEvSL_.kd
    .uniform_work_group_size: 1
    .uses_dynamic_stack: false
    .vgpr_count:     0
    .vgpr_spill_count: 0
    .wavefront_size: 64
  - .agpr_count:     0
    .args:
      - .offset:         0
        .size:           64
        .value_kind:     by_value
    .group_segment_fixed_size: 0
    .kernarg_segment_align: 8
    .kernarg_segment_size: 64
    .language:       OpenCL C
    .language_version:
      - 2
      - 0
    .max_flat_workgroup_size: 128
    .name:           _ZN7rocprim17ROCPRIM_400000_NS6detail17trampoline_kernelINS0_14default_configENS1_38merge_sort_block_merge_config_selectorIsNS0_10empty_typeEEEZZNS1_27merge_sort_block_merge_implIS3_N6thrust23THRUST_200600_302600_NS6detail15normal_iteratorINS9_10device_ptrIsEEEEPS5_jNS1_19radix_merge_compareILb0ELb1EsNS0_19identity_decomposerEEEEE10hipError_tT0_T1_T2_jT3_P12ihipStream_tbPNSt15iterator_traitsISK_E10value_typeEPNSQ_ISL_E10value_typeEPSM_NS1_7vsmem_tEENKUlT_SK_SL_SM_E_clIPsSE_SF_SF_EESJ_SZ_SK_SL_SM_EUlSZ_E0_NS1_11comp_targetILNS1_3genE9ELNS1_11target_archE1100ELNS1_3gpuE3ELNS1_3repE0EEENS1_38merge_mergepath_config_static_selectorELNS0_4arch9wavefront6targetE1EEEvSL_
    .private_segment_fixed_size: 0
    .sgpr_count:     4
    .sgpr_spill_count: 0
    .symbol:         _ZN7rocprim17ROCPRIM_400000_NS6detail17trampoline_kernelINS0_14default_configENS1_38merge_sort_block_merge_config_selectorIsNS0_10empty_typeEEEZZNS1_27merge_sort_block_merge_implIS3_N6thrust23THRUST_200600_302600_NS6detail15normal_iteratorINS9_10device_ptrIsEEEEPS5_jNS1_19radix_merge_compareILb0ELb1EsNS0_19identity_decomposerEEEEE10hipError_tT0_T1_T2_jT3_P12ihipStream_tbPNSt15iterator_traitsISK_E10value_typeEPNSQ_ISL_E10value_typeEPSM_NS1_7vsmem_tEENKUlT_SK_SL_SM_E_clIPsSE_SF_SF_EESJ_SZ_SK_SL_SM_EUlSZ_E0_NS1_11comp_targetILNS1_3genE9ELNS1_11target_archE1100ELNS1_3gpuE3ELNS1_3repE0EEENS1_38merge_mergepath_config_static_selectorELNS0_4arch9wavefront6targetE1EEEvSL_.kd
    .uniform_work_group_size: 1
    .uses_dynamic_stack: false
    .vgpr_count:     0
    .vgpr_spill_count: 0
    .wavefront_size: 64
  - .agpr_count:     0
    .args:
      - .offset:         0
        .size:           64
        .value_kind:     by_value
    .group_segment_fixed_size: 0
    .kernarg_segment_align: 8
    .kernarg_segment_size: 64
    .language:       OpenCL C
    .language_version:
      - 2
      - 0
    .max_flat_workgroup_size: 128
    .name:           _ZN7rocprim17ROCPRIM_400000_NS6detail17trampoline_kernelINS0_14default_configENS1_38merge_sort_block_merge_config_selectorIsNS0_10empty_typeEEEZZNS1_27merge_sort_block_merge_implIS3_N6thrust23THRUST_200600_302600_NS6detail15normal_iteratorINS9_10device_ptrIsEEEEPS5_jNS1_19radix_merge_compareILb0ELb1EsNS0_19identity_decomposerEEEEE10hipError_tT0_T1_T2_jT3_P12ihipStream_tbPNSt15iterator_traitsISK_E10value_typeEPNSQ_ISL_E10value_typeEPSM_NS1_7vsmem_tEENKUlT_SK_SL_SM_E_clIPsSE_SF_SF_EESJ_SZ_SK_SL_SM_EUlSZ_E0_NS1_11comp_targetILNS1_3genE8ELNS1_11target_archE1030ELNS1_3gpuE2ELNS1_3repE0EEENS1_38merge_mergepath_config_static_selectorELNS0_4arch9wavefront6targetE1EEEvSL_
    .private_segment_fixed_size: 0
    .sgpr_count:     4
    .sgpr_spill_count: 0
    .symbol:         _ZN7rocprim17ROCPRIM_400000_NS6detail17trampoline_kernelINS0_14default_configENS1_38merge_sort_block_merge_config_selectorIsNS0_10empty_typeEEEZZNS1_27merge_sort_block_merge_implIS3_N6thrust23THRUST_200600_302600_NS6detail15normal_iteratorINS9_10device_ptrIsEEEEPS5_jNS1_19radix_merge_compareILb0ELb1EsNS0_19identity_decomposerEEEEE10hipError_tT0_T1_T2_jT3_P12ihipStream_tbPNSt15iterator_traitsISK_E10value_typeEPNSQ_ISL_E10value_typeEPSM_NS1_7vsmem_tEENKUlT_SK_SL_SM_E_clIPsSE_SF_SF_EESJ_SZ_SK_SL_SM_EUlSZ_E0_NS1_11comp_targetILNS1_3genE8ELNS1_11target_archE1030ELNS1_3gpuE2ELNS1_3repE0EEENS1_38merge_mergepath_config_static_selectorELNS0_4arch9wavefront6targetE1EEEvSL_.kd
    .uniform_work_group_size: 1
    .uses_dynamic_stack: false
    .vgpr_count:     0
    .vgpr_spill_count: 0
    .wavefront_size: 64
  - .agpr_count:     0
    .args:
      - .offset:         0
        .size:           48
        .value_kind:     by_value
    .group_segment_fixed_size: 0
    .kernarg_segment_align: 8
    .kernarg_segment_size: 48
    .language:       OpenCL C
    .language_version:
      - 2
      - 0
    .max_flat_workgroup_size: 256
    .name:           _ZN7rocprim17ROCPRIM_400000_NS6detail17trampoline_kernelINS0_14default_configENS1_38merge_sort_block_merge_config_selectorIsNS0_10empty_typeEEEZZNS1_27merge_sort_block_merge_implIS3_N6thrust23THRUST_200600_302600_NS6detail15normal_iteratorINS9_10device_ptrIsEEEEPS5_jNS1_19radix_merge_compareILb0ELb1EsNS0_19identity_decomposerEEEEE10hipError_tT0_T1_T2_jT3_P12ihipStream_tbPNSt15iterator_traitsISK_E10value_typeEPNSQ_ISL_E10value_typeEPSM_NS1_7vsmem_tEENKUlT_SK_SL_SM_E_clIPsSE_SF_SF_EESJ_SZ_SK_SL_SM_EUlSZ_E1_NS1_11comp_targetILNS1_3genE0ELNS1_11target_archE4294967295ELNS1_3gpuE0ELNS1_3repE0EEENS1_36merge_oddeven_config_static_selectorELNS0_4arch9wavefront6targetE1EEEvSL_
    .private_segment_fixed_size: 0
    .sgpr_count:     4
    .sgpr_spill_count: 0
    .symbol:         _ZN7rocprim17ROCPRIM_400000_NS6detail17trampoline_kernelINS0_14default_configENS1_38merge_sort_block_merge_config_selectorIsNS0_10empty_typeEEEZZNS1_27merge_sort_block_merge_implIS3_N6thrust23THRUST_200600_302600_NS6detail15normal_iteratorINS9_10device_ptrIsEEEEPS5_jNS1_19radix_merge_compareILb0ELb1EsNS0_19identity_decomposerEEEEE10hipError_tT0_T1_T2_jT3_P12ihipStream_tbPNSt15iterator_traitsISK_E10value_typeEPNSQ_ISL_E10value_typeEPSM_NS1_7vsmem_tEENKUlT_SK_SL_SM_E_clIPsSE_SF_SF_EESJ_SZ_SK_SL_SM_EUlSZ_E1_NS1_11comp_targetILNS1_3genE0ELNS1_11target_archE4294967295ELNS1_3gpuE0ELNS1_3repE0EEENS1_36merge_oddeven_config_static_selectorELNS0_4arch9wavefront6targetE1EEEvSL_.kd
    .uniform_work_group_size: 1
    .uses_dynamic_stack: false
    .vgpr_count:     0
    .vgpr_spill_count: 0
    .wavefront_size: 64
  - .agpr_count:     0
    .args:
      - .offset:         0
        .size:           48
        .value_kind:     by_value
    .group_segment_fixed_size: 0
    .kernarg_segment_align: 8
    .kernarg_segment_size: 48
    .language:       OpenCL C
    .language_version:
      - 2
      - 0
    .max_flat_workgroup_size: 256
    .name:           _ZN7rocprim17ROCPRIM_400000_NS6detail17trampoline_kernelINS0_14default_configENS1_38merge_sort_block_merge_config_selectorIsNS0_10empty_typeEEEZZNS1_27merge_sort_block_merge_implIS3_N6thrust23THRUST_200600_302600_NS6detail15normal_iteratorINS9_10device_ptrIsEEEEPS5_jNS1_19radix_merge_compareILb0ELb1EsNS0_19identity_decomposerEEEEE10hipError_tT0_T1_T2_jT3_P12ihipStream_tbPNSt15iterator_traitsISK_E10value_typeEPNSQ_ISL_E10value_typeEPSM_NS1_7vsmem_tEENKUlT_SK_SL_SM_E_clIPsSE_SF_SF_EESJ_SZ_SK_SL_SM_EUlSZ_E1_NS1_11comp_targetILNS1_3genE10ELNS1_11target_archE1201ELNS1_3gpuE5ELNS1_3repE0EEENS1_36merge_oddeven_config_static_selectorELNS0_4arch9wavefront6targetE1EEEvSL_
    .private_segment_fixed_size: 0
    .sgpr_count:     4
    .sgpr_spill_count: 0
    .symbol:         _ZN7rocprim17ROCPRIM_400000_NS6detail17trampoline_kernelINS0_14default_configENS1_38merge_sort_block_merge_config_selectorIsNS0_10empty_typeEEEZZNS1_27merge_sort_block_merge_implIS3_N6thrust23THRUST_200600_302600_NS6detail15normal_iteratorINS9_10device_ptrIsEEEEPS5_jNS1_19radix_merge_compareILb0ELb1EsNS0_19identity_decomposerEEEEE10hipError_tT0_T1_T2_jT3_P12ihipStream_tbPNSt15iterator_traitsISK_E10value_typeEPNSQ_ISL_E10value_typeEPSM_NS1_7vsmem_tEENKUlT_SK_SL_SM_E_clIPsSE_SF_SF_EESJ_SZ_SK_SL_SM_EUlSZ_E1_NS1_11comp_targetILNS1_3genE10ELNS1_11target_archE1201ELNS1_3gpuE5ELNS1_3repE0EEENS1_36merge_oddeven_config_static_selectorELNS0_4arch9wavefront6targetE1EEEvSL_.kd
    .uniform_work_group_size: 1
    .uses_dynamic_stack: false
    .vgpr_count:     0
    .vgpr_spill_count: 0
    .wavefront_size: 64
  - .agpr_count:     0
    .args:
      - .offset:         0
        .size:           48
        .value_kind:     by_value
    .group_segment_fixed_size: 0
    .kernarg_segment_align: 8
    .kernarg_segment_size: 48
    .language:       OpenCL C
    .language_version:
      - 2
      - 0
    .max_flat_workgroup_size: 256
    .name:           _ZN7rocprim17ROCPRIM_400000_NS6detail17trampoline_kernelINS0_14default_configENS1_38merge_sort_block_merge_config_selectorIsNS0_10empty_typeEEEZZNS1_27merge_sort_block_merge_implIS3_N6thrust23THRUST_200600_302600_NS6detail15normal_iteratorINS9_10device_ptrIsEEEEPS5_jNS1_19radix_merge_compareILb0ELb1EsNS0_19identity_decomposerEEEEE10hipError_tT0_T1_T2_jT3_P12ihipStream_tbPNSt15iterator_traitsISK_E10value_typeEPNSQ_ISL_E10value_typeEPSM_NS1_7vsmem_tEENKUlT_SK_SL_SM_E_clIPsSE_SF_SF_EESJ_SZ_SK_SL_SM_EUlSZ_E1_NS1_11comp_targetILNS1_3genE5ELNS1_11target_archE942ELNS1_3gpuE9ELNS1_3repE0EEENS1_36merge_oddeven_config_static_selectorELNS0_4arch9wavefront6targetE1EEEvSL_
    .private_segment_fixed_size: 0
    .sgpr_count:     4
    .sgpr_spill_count: 0
    .symbol:         _ZN7rocprim17ROCPRIM_400000_NS6detail17trampoline_kernelINS0_14default_configENS1_38merge_sort_block_merge_config_selectorIsNS0_10empty_typeEEEZZNS1_27merge_sort_block_merge_implIS3_N6thrust23THRUST_200600_302600_NS6detail15normal_iteratorINS9_10device_ptrIsEEEEPS5_jNS1_19radix_merge_compareILb0ELb1EsNS0_19identity_decomposerEEEEE10hipError_tT0_T1_T2_jT3_P12ihipStream_tbPNSt15iterator_traitsISK_E10value_typeEPNSQ_ISL_E10value_typeEPSM_NS1_7vsmem_tEENKUlT_SK_SL_SM_E_clIPsSE_SF_SF_EESJ_SZ_SK_SL_SM_EUlSZ_E1_NS1_11comp_targetILNS1_3genE5ELNS1_11target_archE942ELNS1_3gpuE9ELNS1_3repE0EEENS1_36merge_oddeven_config_static_selectorELNS0_4arch9wavefront6targetE1EEEvSL_.kd
    .uniform_work_group_size: 1
    .uses_dynamic_stack: false
    .vgpr_count:     0
    .vgpr_spill_count: 0
    .wavefront_size: 64
  - .agpr_count:     0
    .args:
      - .offset:         0
        .size:           48
        .value_kind:     by_value
    .group_segment_fixed_size: 0
    .kernarg_segment_align: 8
    .kernarg_segment_size: 48
    .language:       OpenCL C
    .language_version:
      - 2
      - 0
    .max_flat_workgroup_size: 256
    .name:           _ZN7rocprim17ROCPRIM_400000_NS6detail17trampoline_kernelINS0_14default_configENS1_38merge_sort_block_merge_config_selectorIsNS0_10empty_typeEEEZZNS1_27merge_sort_block_merge_implIS3_N6thrust23THRUST_200600_302600_NS6detail15normal_iteratorINS9_10device_ptrIsEEEEPS5_jNS1_19radix_merge_compareILb0ELb1EsNS0_19identity_decomposerEEEEE10hipError_tT0_T1_T2_jT3_P12ihipStream_tbPNSt15iterator_traitsISK_E10value_typeEPNSQ_ISL_E10value_typeEPSM_NS1_7vsmem_tEENKUlT_SK_SL_SM_E_clIPsSE_SF_SF_EESJ_SZ_SK_SL_SM_EUlSZ_E1_NS1_11comp_targetILNS1_3genE4ELNS1_11target_archE910ELNS1_3gpuE8ELNS1_3repE0EEENS1_36merge_oddeven_config_static_selectorELNS0_4arch9wavefront6targetE1EEEvSL_
    .private_segment_fixed_size: 0
    .sgpr_count:     25
    .sgpr_spill_count: 0
    .symbol:         _ZN7rocprim17ROCPRIM_400000_NS6detail17trampoline_kernelINS0_14default_configENS1_38merge_sort_block_merge_config_selectorIsNS0_10empty_typeEEEZZNS1_27merge_sort_block_merge_implIS3_N6thrust23THRUST_200600_302600_NS6detail15normal_iteratorINS9_10device_ptrIsEEEEPS5_jNS1_19radix_merge_compareILb0ELb1EsNS0_19identity_decomposerEEEEE10hipError_tT0_T1_T2_jT3_P12ihipStream_tbPNSt15iterator_traitsISK_E10value_typeEPNSQ_ISL_E10value_typeEPSM_NS1_7vsmem_tEENKUlT_SK_SL_SM_E_clIPsSE_SF_SF_EESJ_SZ_SK_SL_SM_EUlSZ_E1_NS1_11comp_targetILNS1_3genE4ELNS1_11target_archE910ELNS1_3gpuE8ELNS1_3repE0EEENS1_36merge_oddeven_config_static_selectorELNS0_4arch9wavefront6targetE1EEEvSL_.kd
    .uniform_work_group_size: 1
    .uses_dynamic_stack: false
    .vgpr_count:     9
    .vgpr_spill_count: 0
    .wavefront_size: 64
  - .agpr_count:     0
    .args:
      - .offset:         0
        .size:           48
        .value_kind:     by_value
    .group_segment_fixed_size: 0
    .kernarg_segment_align: 8
    .kernarg_segment_size: 48
    .language:       OpenCL C
    .language_version:
      - 2
      - 0
    .max_flat_workgroup_size: 256
    .name:           _ZN7rocprim17ROCPRIM_400000_NS6detail17trampoline_kernelINS0_14default_configENS1_38merge_sort_block_merge_config_selectorIsNS0_10empty_typeEEEZZNS1_27merge_sort_block_merge_implIS3_N6thrust23THRUST_200600_302600_NS6detail15normal_iteratorINS9_10device_ptrIsEEEEPS5_jNS1_19radix_merge_compareILb0ELb1EsNS0_19identity_decomposerEEEEE10hipError_tT0_T1_T2_jT3_P12ihipStream_tbPNSt15iterator_traitsISK_E10value_typeEPNSQ_ISL_E10value_typeEPSM_NS1_7vsmem_tEENKUlT_SK_SL_SM_E_clIPsSE_SF_SF_EESJ_SZ_SK_SL_SM_EUlSZ_E1_NS1_11comp_targetILNS1_3genE3ELNS1_11target_archE908ELNS1_3gpuE7ELNS1_3repE0EEENS1_36merge_oddeven_config_static_selectorELNS0_4arch9wavefront6targetE1EEEvSL_
    .private_segment_fixed_size: 0
    .sgpr_count:     4
    .sgpr_spill_count: 0
    .symbol:         _ZN7rocprim17ROCPRIM_400000_NS6detail17trampoline_kernelINS0_14default_configENS1_38merge_sort_block_merge_config_selectorIsNS0_10empty_typeEEEZZNS1_27merge_sort_block_merge_implIS3_N6thrust23THRUST_200600_302600_NS6detail15normal_iteratorINS9_10device_ptrIsEEEEPS5_jNS1_19radix_merge_compareILb0ELb1EsNS0_19identity_decomposerEEEEE10hipError_tT0_T1_T2_jT3_P12ihipStream_tbPNSt15iterator_traitsISK_E10value_typeEPNSQ_ISL_E10value_typeEPSM_NS1_7vsmem_tEENKUlT_SK_SL_SM_E_clIPsSE_SF_SF_EESJ_SZ_SK_SL_SM_EUlSZ_E1_NS1_11comp_targetILNS1_3genE3ELNS1_11target_archE908ELNS1_3gpuE7ELNS1_3repE0EEENS1_36merge_oddeven_config_static_selectorELNS0_4arch9wavefront6targetE1EEEvSL_.kd
    .uniform_work_group_size: 1
    .uses_dynamic_stack: false
    .vgpr_count:     0
    .vgpr_spill_count: 0
    .wavefront_size: 64
  - .agpr_count:     0
    .args:
      - .offset:         0
        .size:           48
        .value_kind:     by_value
    .group_segment_fixed_size: 0
    .kernarg_segment_align: 8
    .kernarg_segment_size: 48
    .language:       OpenCL C
    .language_version:
      - 2
      - 0
    .max_flat_workgroup_size: 256
    .name:           _ZN7rocprim17ROCPRIM_400000_NS6detail17trampoline_kernelINS0_14default_configENS1_38merge_sort_block_merge_config_selectorIsNS0_10empty_typeEEEZZNS1_27merge_sort_block_merge_implIS3_N6thrust23THRUST_200600_302600_NS6detail15normal_iteratorINS9_10device_ptrIsEEEEPS5_jNS1_19radix_merge_compareILb0ELb1EsNS0_19identity_decomposerEEEEE10hipError_tT0_T1_T2_jT3_P12ihipStream_tbPNSt15iterator_traitsISK_E10value_typeEPNSQ_ISL_E10value_typeEPSM_NS1_7vsmem_tEENKUlT_SK_SL_SM_E_clIPsSE_SF_SF_EESJ_SZ_SK_SL_SM_EUlSZ_E1_NS1_11comp_targetILNS1_3genE2ELNS1_11target_archE906ELNS1_3gpuE6ELNS1_3repE0EEENS1_36merge_oddeven_config_static_selectorELNS0_4arch9wavefront6targetE1EEEvSL_
    .private_segment_fixed_size: 0
    .sgpr_count:     4
    .sgpr_spill_count: 0
    .symbol:         _ZN7rocprim17ROCPRIM_400000_NS6detail17trampoline_kernelINS0_14default_configENS1_38merge_sort_block_merge_config_selectorIsNS0_10empty_typeEEEZZNS1_27merge_sort_block_merge_implIS3_N6thrust23THRUST_200600_302600_NS6detail15normal_iteratorINS9_10device_ptrIsEEEEPS5_jNS1_19radix_merge_compareILb0ELb1EsNS0_19identity_decomposerEEEEE10hipError_tT0_T1_T2_jT3_P12ihipStream_tbPNSt15iterator_traitsISK_E10value_typeEPNSQ_ISL_E10value_typeEPSM_NS1_7vsmem_tEENKUlT_SK_SL_SM_E_clIPsSE_SF_SF_EESJ_SZ_SK_SL_SM_EUlSZ_E1_NS1_11comp_targetILNS1_3genE2ELNS1_11target_archE906ELNS1_3gpuE6ELNS1_3repE0EEENS1_36merge_oddeven_config_static_selectorELNS0_4arch9wavefront6targetE1EEEvSL_.kd
    .uniform_work_group_size: 1
    .uses_dynamic_stack: false
    .vgpr_count:     0
    .vgpr_spill_count: 0
    .wavefront_size: 64
  - .agpr_count:     0
    .args:
      - .offset:         0
        .size:           48
        .value_kind:     by_value
    .group_segment_fixed_size: 0
    .kernarg_segment_align: 8
    .kernarg_segment_size: 48
    .language:       OpenCL C
    .language_version:
      - 2
      - 0
    .max_flat_workgroup_size: 256
    .name:           _ZN7rocprim17ROCPRIM_400000_NS6detail17trampoline_kernelINS0_14default_configENS1_38merge_sort_block_merge_config_selectorIsNS0_10empty_typeEEEZZNS1_27merge_sort_block_merge_implIS3_N6thrust23THRUST_200600_302600_NS6detail15normal_iteratorINS9_10device_ptrIsEEEEPS5_jNS1_19radix_merge_compareILb0ELb1EsNS0_19identity_decomposerEEEEE10hipError_tT0_T1_T2_jT3_P12ihipStream_tbPNSt15iterator_traitsISK_E10value_typeEPNSQ_ISL_E10value_typeEPSM_NS1_7vsmem_tEENKUlT_SK_SL_SM_E_clIPsSE_SF_SF_EESJ_SZ_SK_SL_SM_EUlSZ_E1_NS1_11comp_targetILNS1_3genE9ELNS1_11target_archE1100ELNS1_3gpuE3ELNS1_3repE0EEENS1_36merge_oddeven_config_static_selectorELNS0_4arch9wavefront6targetE1EEEvSL_
    .private_segment_fixed_size: 0
    .sgpr_count:     4
    .sgpr_spill_count: 0
    .symbol:         _ZN7rocprim17ROCPRIM_400000_NS6detail17trampoline_kernelINS0_14default_configENS1_38merge_sort_block_merge_config_selectorIsNS0_10empty_typeEEEZZNS1_27merge_sort_block_merge_implIS3_N6thrust23THRUST_200600_302600_NS6detail15normal_iteratorINS9_10device_ptrIsEEEEPS5_jNS1_19radix_merge_compareILb0ELb1EsNS0_19identity_decomposerEEEEE10hipError_tT0_T1_T2_jT3_P12ihipStream_tbPNSt15iterator_traitsISK_E10value_typeEPNSQ_ISL_E10value_typeEPSM_NS1_7vsmem_tEENKUlT_SK_SL_SM_E_clIPsSE_SF_SF_EESJ_SZ_SK_SL_SM_EUlSZ_E1_NS1_11comp_targetILNS1_3genE9ELNS1_11target_archE1100ELNS1_3gpuE3ELNS1_3repE0EEENS1_36merge_oddeven_config_static_selectorELNS0_4arch9wavefront6targetE1EEEvSL_.kd
    .uniform_work_group_size: 1
    .uses_dynamic_stack: false
    .vgpr_count:     0
    .vgpr_spill_count: 0
    .wavefront_size: 64
  - .agpr_count:     0
    .args:
      - .offset:         0
        .size:           48
        .value_kind:     by_value
    .group_segment_fixed_size: 0
    .kernarg_segment_align: 8
    .kernarg_segment_size: 48
    .language:       OpenCL C
    .language_version:
      - 2
      - 0
    .max_flat_workgroup_size: 256
    .name:           _ZN7rocprim17ROCPRIM_400000_NS6detail17trampoline_kernelINS0_14default_configENS1_38merge_sort_block_merge_config_selectorIsNS0_10empty_typeEEEZZNS1_27merge_sort_block_merge_implIS3_N6thrust23THRUST_200600_302600_NS6detail15normal_iteratorINS9_10device_ptrIsEEEEPS5_jNS1_19radix_merge_compareILb0ELb1EsNS0_19identity_decomposerEEEEE10hipError_tT0_T1_T2_jT3_P12ihipStream_tbPNSt15iterator_traitsISK_E10value_typeEPNSQ_ISL_E10value_typeEPSM_NS1_7vsmem_tEENKUlT_SK_SL_SM_E_clIPsSE_SF_SF_EESJ_SZ_SK_SL_SM_EUlSZ_E1_NS1_11comp_targetILNS1_3genE8ELNS1_11target_archE1030ELNS1_3gpuE2ELNS1_3repE0EEENS1_36merge_oddeven_config_static_selectorELNS0_4arch9wavefront6targetE1EEEvSL_
    .private_segment_fixed_size: 0
    .sgpr_count:     4
    .sgpr_spill_count: 0
    .symbol:         _ZN7rocprim17ROCPRIM_400000_NS6detail17trampoline_kernelINS0_14default_configENS1_38merge_sort_block_merge_config_selectorIsNS0_10empty_typeEEEZZNS1_27merge_sort_block_merge_implIS3_N6thrust23THRUST_200600_302600_NS6detail15normal_iteratorINS9_10device_ptrIsEEEEPS5_jNS1_19radix_merge_compareILb0ELb1EsNS0_19identity_decomposerEEEEE10hipError_tT0_T1_T2_jT3_P12ihipStream_tbPNSt15iterator_traitsISK_E10value_typeEPNSQ_ISL_E10value_typeEPSM_NS1_7vsmem_tEENKUlT_SK_SL_SM_E_clIPsSE_SF_SF_EESJ_SZ_SK_SL_SM_EUlSZ_E1_NS1_11comp_targetILNS1_3genE8ELNS1_11target_archE1030ELNS1_3gpuE2ELNS1_3repE0EEENS1_36merge_oddeven_config_static_selectorELNS0_4arch9wavefront6targetE1EEEvSL_.kd
    .uniform_work_group_size: 1
    .uses_dynamic_stack: false
    .vgpr_count:     0
    .vgpr_spill_count: 0
    .wavefront_size: 64
  - .agpr_count:     0
    .args:
      - .offset:         0
        .size:           40
        .value_kind:     by_value
    .group_segment_fixed_size: 0
    .kernarg_segment_align: 8
    .kernarg_segment_size: 40
    .language:       OpenCL C
    .language_version:
      - 2
      - 0
    .max_flat_workgroup_size: 128
    .name:           _ZN7rocprim17ROCPRIM_400000_NS6detail17trampoline_kernelINS0_14default_configENS1_38merge_sort_block_merge_config_selectorIsNS0_10empty_typeEEEZZNS1_27merge_sort_block_merge_implIS3_N6thrust23THRUST_200600_302600_NS6detail15normal_iteratorINS9_10device_ptrIsEEEEPS5_jNS1_19radix_merge_compareILb0ELb1EsNS0_19identity_decomposerEEEEE10hipError_tT0_T1_T2_jT3_P12ihipStream_tbPNSt15iterator_traitsISK_E10value_typeEPNSQ_ISL_E10value_typeEPSM_NS1_7vsmem_tEENKUlT_SK_SL_SM_E_clISE_PsSF_SF_EESJ_SZ_SK_SL_SM_EUlSZ_E_NS1_11comp_targetILNS1_3genE0ELNS1_11target_archE4294967295ELNS1_3gpuE0ELNS1_3repE0EEENS1_48merge_mergepath_partition_config_static_selectorELNS0_4arch9wavefront6targetE1EEEvSL_
    .private_segment_fixed_size: 0
    .sgpr_count:     4
    .sgpr_spill_count: 0
    .symbol:         _ZN7rocprim17ROCPRIM_400000_NS6detail17trampoline_kernelINS0_14default_configENS1_38merge_sort_block_merge_config_selectorIsNS0_10empty_typeEEEZZNS1_27merge_sort_block_merge_implIS3_N6thrust23THRUST_200600_302600_NS6detail15normal_iteratorINS9_10device_ptrIsEEEEPS5_jNS1_19radix_merge_compareILb0ELb1EsNS0_19identity_decomposerEEEEE10hipError_tT0_T1_T2_jT3_P12ihipStream_tbPNSt15iterator_traitsISK_E10value_typeEPNSQ_ISL_E10value_typeEPSM_NS1_7vsmem_tEENKUlT_SK_SL_SM_E_clISE_PsSF_SF_EESJ_SZ_SK_SL_SM_EUlSZ_E_NS1_11comp_targetILNS1_3genE0ELNS1_11target_archE4294967295ELNS1_3gpuE0ELNS1_3repE0EEENS1_48merge_mergepath_partition_config_static_selectorELNS0_4arch9wavefront6targetE1EEEvSL_.kd
    .uniform_work_group_size: 1
    .uses_dynamic_stack: false
    .vgpr_count:     0
    .vgpr_spill_count: 0
    .wavefront_size: 64
  - .agpr_count:     0
    .args:
      - .offset:         0
        .size:           40
        .value_kind:     by_value
    .group_segment_fixed_size: 0
    .kernarg_segment_align: 8
    .kernarg_segment_size: 40
    .language:       OpenCL C
    .language_version:
      - 2
      - 0
    .max_flat_workgroup_size: 128
    .name:           _ZN7rocprim17ROCPRIM_400000_NS6detail17trampoline_kernelINS0_14default_configENS1_38merge_sort_block_merge_config_selectorIsNS0_10empty_typeEEEZZNS1_27merge_sort_block_merge_implIS3_N6thrust23THRUST_200600_302600_NS6detail15normal_iteratorINS9_10device_ptrIsEEEEPS5_jNS1_19radix_merge_compareILb0ELb1EsNS0_19identity_decomposerEEEEE10hipError_tT0_T1_T2_jT3_P12ihipStream_tbPNSt15iterator_traitsISK_E10value_typeEPNSQ_ISL_E10value_typeEPSM_NS1_7vsmem_tEENKUlT_SK_SL_SM_E_clISE_PsSF_SF_EESJ_SZ_SK_SL_SM_EUlSZ_E_NS1_11comp_targetILNS1_3genE10ELNS1_11target_archE1201ELNS1_3gpuE5ELNS1_3repE0EEENS1_48merge_mergepath_partition_config_static_selectorELNS0_4arch9wavefront6targetE1EEEvSL_
    .private_segment_fixed_size: 0
    .sgpr_count:     4
    .sgpr_spill_count: 0
    .symbol:         _ZN7rocprim17ROCPRIM_400000_NS6detail17trampoline_kernelINS0_14default_configENS1_38merge_sort_block_merge_config_selectorIsNS0_10empty_typeEEEZZNS1_27merge_sort_block_merge_implIS3_N6thrust23THRUST_200600_302600_NS6detail15normal_iteratorINS9_10device_ptrIsEEEEPS5_jNS1_19radix_merge_compareILb0ELb1EsNS0_19identity_decomposerEEEEE10hipError_tT0_T1_T2_jT3_P12ihipStream_tbPNSt15iterator_traitsISK_E10value_typeEPNSQ_ISL_E10value_typeEPSM_NS1_7vsmem_tEENKUlT_SK_SL_SM_E_clISE_PsSF_SF_EESJ_SZ_SK_SL_SM_EUlSZ_E_NS1_11comp_targetILNS1_3genE10ELNS1_11target_archE1201ELNS1_3gpuE5ELNS1_3repE0EEENS1_48merge_mergepath_partition_config_static_selectorELNS0_4arch9wavefront6targetE1EEEvSL_.kd
    .uniform_work_group_size: 1
    .uses_dynamic_stack: false
    .vgpr_count:     0
    .vgpr_spill_count: 0
    .wavefront_size: 64
  - .agpr_count:     0
    .args:
      - .offset:         0
        .size:           40
        .value_kind:     by_value
    .group_segment_fixed_size: 0
    .kernarg_segment_align: 8
    .kernarg_segment_size: 40
    .language:       OpenCL C
    .language_version:
      - 2
      - 0
    .max_flat_workgroup_size: 128
    .name:           _ZN7rocprim17ROCPRIM_400000_NS6detail17trampoline_kernelINS0_14default_configENS1_38merge_sort_block_merge_config_selectorIsNS0_10empty_typeEEEZZNS1_27merge_sort_block_merge_implIS3_N6thrust23THRUST_200600_302600_NS6detail15normal_iteratorINS9_10device_ptrIsEEEEPS5_jNS1_19radix_merge_compareILb0ELb1EsNS0_19identity_decomposerEEEEE10hipError_tT0_T1_T2_jT3_P12ihipStream_tbPNSt15iterator_traitsISK_E10value_typeEPNSQ_ISL_E10value_typeEPSM_NS1_7vsmem_tEENKUlT_SK_SL_SM_E_clISE_PsSF_SF_EESJ_SZ_SK_SL_SM_EUlSZ_E_NS1_11comp_targetILNS1_3genE5ELNS1_11target_archE942ELNS1_3gpuE9ELNS1_3repE0EEENS1_48merge_mergepath_partition_config_static_selectorELNS0_4arch9wavefront6targetE1EEEvSL_
    .private_segment_fixed_size: 0
    .sgpr_count:     4
    .sgpr_spill_count: 0
    .symbol:         _ZN7rocprim17ROCPRIM_400000_NS6detail17trampoline_kernelINS0_14default_configENS1_38merge_sort_block_merge_config_selectorIsNS0_10empty_typeEEEZZNS1_27merge_sort_block_merge_implIS3_N6thrust23THRUST_200600_302600_NS6detail15normal_iteratorINS9_10device_ptrIsEEEEPS5_jNS1_19radix_merge_compareILb0ELb1EsNS0_19identity_decomposerEEEEE10hipError_tT0_T1_T2_jT3_P12ihipStream_tbPNSt15iterator_traitsISK_E10value_typeEPNSQ_ISL_E10value_typeEPSM_NS1_7vsmem_tEENKUlT_SK_SL_SM_E_clISE_PsSF_SF_EESJ_SZ_SK_SL_SM_EUlSZ_E_NS1_11comp_targetILNS1_3genE5ELNS1_11target_archE942ELNS1_3gpuE9ELNS1_3repE0EEENS1_48merge_mergepath_partition_config_static_selectorELNS0_4arch9wavefront6targetE1EEEvSL_.kd
    .uniform_work_group_size: 1
    .uses_dynamic_stack: false
    .vgpr_count:     0
    .vgpr_spill_count: 0
    .wavefront_size: 64
  - .agpr_count:     0
    .args:
      - .offset:         0
        .size:           40
        .value_kind:     by_value
    .group_segment_fixed_size: 0
    .kernarg_segment_align: 8
    .kernarg_segment_size: 40
    .language:       OpenCL C
    .language_version:
      - 2
      - 0
    .max_flat_workgroup_size: 128
    .name:           _ZN7rocprim17ROCPRIM_400000_NS6detail17trampoline_kernelINS0_14default_configENS1_38merge_sort_block_merge_config_selectorIsNS0_10empty_typeEEEZZNS1_27merge_sort_block_merge_implIS3_N6thrust23THRUST_200600_302600_NS6detail15normal_iteratorINS9_10device_ptrIsEEEEPS5_jNS1_19radix_merge_compareILb0ELb1EsNS0_19identity_decomposerEEEEE10hipError_tT0_T1_T2_jT3_P12ihipStream_tbPNSt15iterator_traitsISK_E10value_typeEPNSQ_ISL_E10value_typeEPSM_NS1_7vsmem_tEENKUlT_SK_SL_SM_E_clISE_PsSF_SF_EESJ_SZ_SK_SL_SM_EUlSZ_E_NS1_11comp_targetILNS1_3genE4ELNS1_11target_archE910ELNS1_3gpuE8ELNS1_3repE0EEENS1_48merge_mergepath_partition_config_static_selectorELNS0_4arch9wavefront6targetE1EEEvSL_
    .private_segment_fixed_size: 0
    .sgpr_count:     14
    .sgpr_spill_count: 0
    .symbol:         _ZN7rocprim17ROCPRIM_400000_NS6detail17trampoline_kernelINS0_14default_configENS1_38merge_sort_block_merge_config_selectorIsNS0_10empty_typeEEEZZNS1_27merge_sort_block_merge_implIS3_N6thrust23THRUST_200600_302600_NS6detail15normal_iteratorINS9_10device_ptrIsEEEEPS5_jNS1_19radix_merge_compareILb0ELb1EsNS0_19identity_decomposerEEEEE10hipError_tT0_T1_T2_jT3_P12ihipStream_tbPNSt15iterator_traitsISK_E10value_typeEPNSQ_ISL_E10value_typeEPSM_NS1_7vsmem_tEENKUlT_SK_SL_SM_E_clISE_PsSF_SF_EESJ_SZ_SK_SL_SM_EUlSZ_E_NS1_11comp_targetILNS1_3genE4ELNS1_11target_archE910ELNS1_3gpuE8ELNS1_3repE0EEENS1_48merge_mergepath_partition_config_static_selectorELNS0_4arch9wavefront6targetE1EEEvSL_.kd
    .uniform_work_group_size: 1
    .uses_dynamic_stack: false
    .vgpr_count:     15
    .vgpr_spill_count: 0
    .wavefront_size: 64
  - .agpr_count:     0
    .args:
      - .offset:         0
        .size:           40
        .value_kind:     by_value
    .group_segment_fixed_size: 0
    .kernarg_segment_align: 8
    .kernarg_segment_size: 40
    .language:       OpenCL C
    .language_version:
      - 2
      - 0
    .max_flat_workgroup_size: 128
    .name:           _ZN7rocprim17ROCPRIM_400000_NS6detail17trampoline_kernelINS0_14default_configENS1_38merge_sort_block_merge_config_selectorIsNS0_10empty_typeEEEZZNS1_27merge_sort_block_merge_implIS3_N6thrust23THRUST_200600_302600_NS6detail15normal_iteratorINS9_10device_ptrIsEEEEPS5_jNS1_19radix_merge_compareILb0ELb1EsNS0_19identity_decomposerEEEEE10hipError_tT0_T1_T2_jT3_P12ihipStream_tbPNSt15iterator_traitsISK_E10value_typeEPNSQ_ISL_E10value_typeEPSM_NS1_7vsmem_tEENKUlT_SK_SL_SM_E_clISE_PsSF_SF_EESJ_SZ_SK_SL_SM_EUlSZ_E_NS1_11comp_targetILNS1_3genE3ELNS1_11target_archE908ELNS1_3gpuE7ELNS1_3repE0EEENS1_48merge_mergepath_partition_config_static_selectorELNS0_4arch9wavefront6targetE1EEEvSL_
    .private_segment_fixed_size: 0
    .sgpr_count:     4
    .sgpr_spill_count: 0
    .symbol:         _ZN7rocprim17ROCPRIM_400000_NS6detail17trampoline_kernelINS0_14default_configENS1_38merge_sort_block_merge_config_selectorIsNS0_10empty_typeEEEZZNS1_27merge_sort_block_merge_implIS3_N6thrust23THRUST_200600_302600_NS6detail15normal_iteratorINS9_10device_ptrIsEEEEPS5_jNS1_19radix_merge_compareILb0ELb1EsNS0_19identity_decomposerEEEEE10hipError_tT0_T1_T2_jT3_P12ihipStream_tbPNSt15iterator_traitsISK_E10value_typeEPNSQ_ISL_E10value_typeEPSM_NS1_7vsmem_tEENKUlT_SK_SL_SM_E_clISE_PsSF_SF_EESJ_SZ_SK_SL_SM_EUlSZ_E_NS1_11comp_targetILNS1_3genE3ELNS1_11target_archE908ELNS1_3gpuE7ELNS1_3repE0EEENS1_48merge_mergepath_partition_config_static_selectorELNS0_4arch9wavefront6targetE1EEEvSL_.kd
    .uniform_work_group_size: 1
    .uses_dynamic_stack: false
    .vgpr_count:     0
    .vgpr_spill_count: 0
    .wavefront_size: 64
  - .agpr_count:     0
    .args:
      - .offset:         0
        .size:           40
        .value_kind:     by_value
    .group_segment_fixed_size: 0
    .kernarg_segment_align: 8
    .kernarg_segment_size: 40
    .language:       OpenCL C
    .language_version:
      - 2
      - 0
    .max_flat_workgroup_size: 128
    .name:           _ZN7rocprim17ROCPRIM_400000_NS6detail17trampoline_kernelINS0_14default_configENS1_38merge_sort_block_merge_config_selectorIsNS0_10empty_typeEEEZZNS1_27merge_sort_block_merge_implIS3_N6thrust23THRUST_200600_302600_NS6detail15normal_iteratorINS9_10device_ptrIsEEEEPS5_jNS1_19radix_merge_compareILb0ELb1EsNS0_19identity_decomposerEEEEE10hipError_tT0_T1_T2_jT3_P12ihipStream_tbPNSt15iterator_traitsISK_E10value_typeEPNSQ_ISL_E10value_typeEPSM_NS1_7vsmem_tEENKUlT_SK_SL_SM_E_clISE_PsSF_SF_EESJ_SZ_SK_SL_SM_EUlSZ_E_NS1_11comp_targetILNS1_3genE2ELNS1_11target_archE906ELNS1_3gpuE6ELNS1_3repE0EEENS1_48merge_mergepath_partition_config_static_selectorELNS0_4arch9wavefront6targetE1EEEvSL_
    .private_segment_fixed_size: 0
    .sgpr_count:     4
    .sgpr_spill_count: 0
    .symbol:         _ZN7rocprim17ROCPRIM_400000_NS6detail17trampoline_kernelINS0_14default_configENS1_38merge_sort_block_merge_config_selectorIsNS0_10empty_typeEEEZZNS1_27merge_sort_block_merge_implIS3_N6thrust23THRUST_200600_302600_NS6detail15normal_iteratorINS9_10device_ptrIsEEEEPS5_jNS1_19radix_merge_compareILb0ELb1EsNS0_19identity_decomposerEEEEE10hipError_tT0_T1_T2_jT3_P12ihipStream_tbPNSt15iterator_traitsISK_E10value_typeEPNSQ_ISL_E10value_typeEPSM_NS1_7vsmem_tEENKUlT_SK_SL_SM_E_clISE_PsSF_SF_EESJ_SZ_SK_SL_SM_EUlSZ_E_NS1_11comp_targetILNS1_3genE2ELNS1_11target_archE906ELNS1_3gpuE6ELNS1_3repE0EEENS1_48merge_mergepath_partition_config_static_selectorELNS0_4arch9wavefront6targetE1EEEvSL_.kd
    .uniform_work_group_size: 1
    .uses_dynamic_stack: false
    .vgpr_count:     0
    .vgpr_spill_count: 0
    .wavefront_size: 64
  - .agpr_count:     0
    .args:
      - .offset:         0
        .size:           40
        .value_kind:     by_value
    .group_segment_fixed_size: 0
    .kernarg_segment_align: 8
    .kernarg_segment_size: 40
    .language:       OpenCL C
    .language_version:
      - 2
      - 0
    .max_flat_workgroup_size: 128
    .name:           _ZN7rocprim17ROCPRIM_400000_NS6detail17trampoline_kernelINS0_14default_configENS1_38merge_sort_block_merge_config_selectorIsNS0_10empty_typeEEEZZNS1_27merge_sort_block_merge_implIS3_N6thrust23THRUST_200600_302600_NS6detail15normal_iteratorINS9_10device_ptrIsEEEEPS5_jNS1_19radix_merge_compareILb0ELb1EsNS0_19identity_decomposerEEEEE10hipError_tT0_T1_T2_jT3_P12ihipStream_tbPNSt15iterator_traitsISK_E10value_typeEPNSQ_ISL_E10value_typeEPSM_NS1_7vsmem_tEENKUlT_SK_SL_SM_E_clISE_PsSF_SF_EESJ_SZ_SK_SL_SM_EUlSZ_E_NS1_11comp_targetILNS1_3genE9ELNS1_11target_archE1100ELNS1_3gpuE3ELNS1_3repE0EEENS1_48merge_mergepath_partition_config_static_selectorELNS0_4arch9wavefront6targetE1EEEvSL_
    .private_segment_fixed_size: 0
    .sgpr_count:     4
    .sgpr_spill_count: 0
    .symbol:         _ZN7rocprim17ROCPRIM_400000_NS6detail17trampoline_kernelINS0_14default_configENS1_38merge_sort_block_merge_config_selectorIsNS0_10empty_typeEEEZZNS1_27merge_sort_block_merge_implIS3_N6thrust23THRUST_200600_302600_NS6detail15normal_iteratorINS9_10device_ptrIsEEEEPS5_jNS1_19radix_merge_compareILb0ELb1EsNS0_19identity_decomposerEEEEE10hipError_tT0_T1_T2_jT3_P12ihipStream_tbPNSt15iterator_traitsISK_E10value_typeEPNSQ_ISL_E10value_typeEPSM_NS1_7vsmem_tEENKUlT_SK_SL_SM_E_clISE_PsSF_SF_EESJ_SZ_SK_SL_SM_EUlSZ_E_NS1_11comp_targetILNS1_3genE9ELNS1_11target_archE1100ELNS1_3gpuE3ELNS1_3repE0EEENS1_48merge_mergepath_partition_config_static_selectorELNS0_4arch9wavefront6targetE1EEEvSL_.kd
    .uniform_work_group_size: 1
    .uses_dynamic_stack: false
    .vgpr_count:     0
    .vgpr_spill_count: 0
    .wavefront_size: 64
  - .agpr_count:     0
    .args:
      - .offset:         0
        .size:           40
        .value_kind:     by_value
    .group_segment_fixed_size: 0
    .kernarg_segment_align: 8
    .kernarg_segment_size: 40
    .language:       OpenCL C
    .language_version:
      - 2
      - 0
    .max_flat_workgroup_size: 128
    .name:           _ZN7rocprim17ROCPRIM_400000_NS6detail17trampoline_kernelINS0_14default_configENS1_38merge_sort_block_merge_config_selectorIsNS0_10empty_typeEEEZZNS1_27merge_sort_block_merge_implIS3_N6thrust23THRUST_200600_302600_NS6detail15normal_iteratorINS9_10device_ptrIsEEEEPS5_jNS1_19radix_merge_compareILb0ELb1EsNS0_19identity_decomposerEEEEE10hipError_tT0_T1_T2_jT3_P12ihipStream_tbPNSt15iterator_traitsISK_E10value_typeEPNSQ_ISL_E10value_typeEPSM_NS1_7vsmem_tEENKUlT_SK_SL_SM_E_clISE_PsSF_SF_EESJ_SZ_SK_SL_SM_EUlSZ_E_NS1_11comp_targetILNS1_3genE8ELNS1_11target_archE1030ELNS1_3gpuE2ELNS1_3repE0EEENS1_48merge_mergepath_partition_config_static_selectorELNS0_4arch9wavefront6targetE1EEEvSL_
    .private_segment_fixed_size: 0
    .sgpr_count:     4
    .sgpr_spill_count: 0
    .symbol:         _ZN7rocprim17ROCPRIM_400000_NS6detail17trampoline_kernelINS0_14default_configENS1_38merge_sort_block_merge_config_selectorIsNS0_10empty_typeEEEZZNS1_27merge_sort_block_merge_implIS3_N6thrust23THRUST_200600_302600_NS6detail15normal_iteratorINS9_10device_ptrIsEEEEPS5_jNS1_19radix_merge_compareILb0ELb1EsNS0_19identity_decomposerEEEEE10hipError_tT0_T1_T2_jT3_P12ihipStream_tbPNSt15iterator_traitsISK_E10value_typeEPNSQ_ISL_E10value_typeEPSM_NS1_7vsmem_tEENKUlT_SK_SL_SM_E_clISE_PsSF_SF_EESJ_SZ_SK_SL_SM_EUlSZ_E_NS1_11comp_targetILNS1_3genE8ELNS1_11target_archE1030ELNS1_3gpuE2ELNS1_3repE0EEENS1_48merge_mergepath_partition_config_static_selectorELNS0_4arch9wavefront6targetE1EEEvSL_.kd
    .uniform_work_group_size: 1
    .uses_dynamic_stack: false
    .vgpr_count:     0
    .vgpr_spill_count: 0
    .wavefront_size: 64
  - .agpr_count:     0
    .args:
      - .offset:         0
        .size:           64
        .value_kind:     by_value
    .group_segment_fixed_size: 0
    .kernarg_segment_align: 8
    .kernarg_segment_size: 64
    .language:       OpenCL C
    .language_version:
      - 2
      - 0
    .max_flat_workgroup_size: 128
    .name:           _ZN7rocprim17ROCPRIM_400000_NS6detail17trampoline_kernelINS0_14default_configENS1_38merge_sort_block_merge_config_selectorIsNS0_10empty_typeEEEZZNS1_27merge_sort_block_merge_implIS3_N6thrust23THRUST_200600_302600_NS6detail15normal_iteratorINS9_10device_ptrIsEEEEPS5_jNS1_19radix_merge_compareILb0ELb1EsNS0_19identity_decomposerEEEEE10hipError_tT0_T1_T2_jT3_P12ihipStream_tbPNSt15iterator_traitsISK_E10value_typeEPNSQ_ISL_E10value_typeEPSM_NS1_7vsmem_tEENKUlT_SK_SL_SM_E_clISE_PsSF_SF_EESJ_SZ_SK_SL_SM_EUlSZ_E0_NS1_11comp_targetILNS1_3genE0ELNS1_11target_archE4294967295ELNS1_3gpuE0ELNS1_3repE0EEENS1_38merge_mergepath_config_static_selectorELNS0_4arch9wavefront6targetE1EEEvSL_
    .private_segment_fixed_size: 0
    .sgpr_count:     4
    .sgpr_spill_count: 0
    .symbol:         _ZN7rocprim17ROCPRIM_400000_NS6detail17trampoline_kernelINS0_14default_configENS1_38merge_sort_block_merge_config_selectorIsNS0_10empty_typeEEEZZNS1_27merge_sort_block_merge_implIS3_N6thrust23THRUST_200600_302600_NS6detail15normal_iteratorINS9_10device_ptrIsEEEEPS5_jNS1_19radix_merge_compareILb0ELb1EsNS0_19identity_decomposerEEEEE10hipError_tT0_T1_T2_jT3_P12ihipStream_tbPNSt15iterator_traitsISK_E10value_typeEPNSQ_ISL_E10value_typeEPSM_NS1_7vsmem_tEENKUlT_SK_SL_SM_E_clISE_PsSF_SF_EESJ_SZ_SK_SL_SM_EUlSZ_E0_NS1_11comp_targetILNS1_3genE0ELNS1_11target_archE4294967295ELNS1_3gpuE0ELNS1_3repE0EEENS1_38merge_mergepath_config_static_selectorELNS0_4arch9wavefront6targetE1EEEvSL_.kd
    .uniform_work_group_size: 1
    .uses_dynamic_stack: false
    .vgpr_count:     0
    .vgpr_spill_count: 0
    .wavefront_size: 64
  - .agpr_count:     0
    .args:
      - .offset:         0
        .size:           64
        .value_kind:     by_value
    .group_segment_fixed_size: 0
    .kernarg_segment_align: 8
    .kernarg_segment_size: 64
    .language:       OpenCL C
    .language_version:
      - 2
      - 0
    .max_flat_workgroup_size: 128
    .name:           _ZN7rocprim17ROCPRIM_400000_NS6detail17trampoline_kernelINS0_14default_configENS1_38merge_sort_block_merge_config_selectorIsNS0_10empty_typeEEEZZNS1_27merge_sort_block_merge_implIS3_N6thrust23THRUST_200600_302600_NS6detail15normal_iteratorINS9_10device_ptrIsEEEEPS5_jNS1_19radix_merge_compareILb0ELb1EsNS0_19identity_decomposerEEEEE10hipError_tT0_T1_T2_jT3_P12ihipStream_tbPNSt15iterator_traitsISK_E10value_typeEPNSQ_ISL_E10value_typeEPSM_NS1_7vsmem_tEENKUlT_SK_SL_SM_E_clISE_PsSF_SF_EESJ_SZ_SK_SL_SM_EUlSZ_E0_NS1_11comp_targetILNS1_3genE10ELNS1_11target_archE1201ELNS1_3gpuE5ELNS1_3repE0EEENS1_38merge_mergepath_config_static_selectorELNS0_4arch9wavefront6targetE1EEEvSL_
    .private_segment_fixed_size: 0
    .sgpr_count:     4
    .sgpr_spill_count: 0
    .symbol:         _ZN7rocprim17ROCPRIM_400000_NS6detail17trampoline_kernelINS0_14default_configENS1_38merge_sort_block_merge_config_selectorIsNS0_10empty_typeEEEZZNS1_27merge_sort_block_merge_implIS3_N6thrust23THRUST_200600_302600_NS6detail15normal_iteratorINS9_10device_ptrIsEEEEPS5_jNS1_19radix_merge_compareILb0ELb1EsNS0_19identity_decomposerEEEEE10hipError_tT0_T1_T2_jT3_P12ihipStream_tbPNSt15iterator_traitsISK_E10value_typeEPNSQ_ISL_E10value_typeEPSM_NS1_7vsmem_tEENKUlT_SK_SL_SM_E_clISE_PsSF_SF_EESJ_SZ_SK_SL_SM_EUlSZ_E0_NS1_11comp_targetILNS1_3genE10ELNS1_11target_archE1201ELNS1_3gpuE5ELNS1_3repE0EEENS1_38merge_mergepath_config_static_selectorELNS0_4arch9wavefront6targetE1EEEvSL_.kd
    .uniform_work_group_size: 1
    .uses_dynamic_stack: false
    .vgpr_count:     0
    .vgpr_spill_count: 0
    .wavefront_size: 64
  - .agpr_count:     0
    .args:
      - .offset:         0
        .size:           64
        .value_kind:     by_value
    .group_segment_fixed_size: 0
    .kernarg_segment_align: 8
    .kernarg_segment_size: 64
    .language:       OpenCL C
    .language_version:
      - 2
      - 0
    .max_flat_workgroup_size: 128
    .name:           _ZN7rocprim17ROCPRIM_400000_NS6detail17trampoline_kernelINS0_14default_configENS1_38merge_sort_block_merge_config_selectorIsNS0_10empty_typeEEEZZNS1_27merge_sort_block_merge_implIS3_N6thrust23THRUST_200600_302600_NS6detail15normal_iteratorINS9_10device_ptrIsEEEEPS5_jNS1_19radix_merge_compareILb0ELb1EsNS0_19identity_decomposerEEEEE10hipError_tT0_T1_T2_jT3_P12ihipStream_tbPNSt15iterator_traitsISK_E10value_typeEPNSQ_ISL_E10value_typeEPSM_NS1_7vsmem_tEENKUlT_SK_SL_SM_E_clISE_PsSF_SF_EESJ_SZ_SK_SL_SM_EUlSZ_E0_NS1_11comp_targetILNS1_3genE5ELNS1_11target_archE942ELNS1_3gpuE9ELNS1_3repE0EEENS1_38merge_mergepath_config_static_selectorELNS0_4arch9wavefront6targetE1EEEvSL_
    .private_segment_fixed_size: 0
    .sgpr_count:     4
    .sgpr_spill_count: 0
    .symbol:         _ZN7rocprim17ROCPRIM_400000_NS6detail17trampoline_kernelINS0_14default_configENS1_38merge_sort_block_merge_config_selectorIsNS0_10empty_typeEEEZZNS1_27merge_sort_block_merge_implIS3_N6thrust23THRUST_200600_302600_NS6detail15normal_iteratorINS9_10device_ptrIsEEEEPS5_jNS1_19radix_merge_compareILb0ELb1EsNS0_19identity_decomposerEEEEE10hipError_tT0_T1_T2_jT3_P12ihipStream_tbPNSt15iterator_traitsISK_E10value_typeEPNSQ_ISL_E10value_typeEPSM_NS1_7vsmem_tEENKUlT_SK_SL_SM_E_clISE_PsSF_SF_EESJ_SZ_SK_SL_SM_EUlSZ_E0_NS1_11comp_targetILNS1_3genE5ELNS1_11target_archE942ELNS1_3gpuE9ELNS1_3repE0EEENS1_38merge_mergepath_config_static_selectorELNS0_4arch9wavefront6targetE1EEEvSL_.kd
    .uniform_work_group_size: 1
    .uses_dynamic_stack: false
    .vgpr_count:     0
    .vgpr_spill_count: 0
    .wavefront_size: 64
  - .agpr_count:     0
    .args:
      - .offset:         0
        .size:           64
        .value_kind:     by_value
      - .offset:         64
        .size:           4
        .value_kind:     hidden_block_count_x
      - .offset:         68
        .size:           4
        .value_kind:     hidden_block_count_y
      - .offset:         72
        .size:           4
        .value_kind:     hidden_block_count_z
      - .offset:         76
        .size:           2
        .value_kind:     hidden_group_size_x
      - .offset:         78
        .size:           2
        .value_kind:     hidden_group_size_y
      - .offset:         80
        .size:           2
        .value_kind:     hidden_group_size_z
      - .offset:         82
        .size:           2
        .value_kind:     hidden_remainder_x
      - .offset:         84
        .size:           2
        .value_kind:     hidden_remainder_y
      - .offset:         86
        .size:           2
        .value_kind:     hidden_remainder_z
      - .offset:         104
        .size:           8
        .value_kind:     hidden_global_offset_x
      - .offset:         112
        .size:           8
        .value_kind:     hidden_global_offset_y
      - .offset:         120
        .size:           8
        .value_kind:     hidden_global_offset_z
      - .offset:         128
        .size:           2
        .value_kind:     hidden_grid_dims
    .group_segment_fixed_size: 2112
    .kernarg_segment_align: 8
    .kernarg_segment_size: 320
    .language:       OpenCL C
    .language_version:
      - 2
      - 0
    .max_flat_workgroup_size: 128
    .name:           _ZN7rocprim17ROCPRIM_400000_NS6detail17trampoline_kernelINS0_14default_configENS1_38merge_sort_block_merge_config_selectorIsNS0_10empty_typeEEEZZNS1_27merge_sort_block_merge_implIS3_N6thrust23THRUST_200600_302600_NS6detail15normal_iteratorINS9_10device_ptrIsEEEEPS5_jNS1_19radix_merge_compareILb0ELb1EsNS0_19identity_decomposerEEEEE10hipError_tT0_T1_T2_jT3_P12ihipStream_tbPNSt15iterator_traitsISK_E10value_typeEPNSQ_ISL_E10value_typeEPSM_NS1_7vsmem_tEENKUlT_SK_SL_SM_E_clISE_PsSF_SF_EESJ_SZ_SK_SL_SM_EUlSZ_E0_NS1_11comp_targetILNS1_3genE4ELNS1_11target_archE910ELNS1_3gpuE8ELNS1_3repE0EEENS1_38merge_mergepath_config_static_selectorELNS0_4arch9wavefront6targetE1EEEvSL_
    .private_segment_fixed_size: 0
    .sgpr_count:     28
    .sgpr_spill_count: 0
    .symbol:         _ZN7rocprim17ROCPRIM_400000_NS6detail17trampoline_kernelINS0_14default_configENS1_38merge_sort_block_merge_config_selectorIsNS0_10empty_typeEEEZZNS1_27merge_sort_block_merge_implIS3_N6thrust23THRUST_200600_302600_NS6detail15normal_iteratorINS9_10device_ptrIsEEEEPS5_jNS1_19radix_merge_compareILb0ELb1EsNS0_19identity_decomposerEEEEE10hipError_tT0_T1_T2_jT3_P12ihipStream_tbPNSt15iterator_traitsISK_E10value_typeEPNSQ_ISL_E10value_typeEPSM_NS1_7vsmem_tEENKUlT_SK_SL_SM_E_clISE_PsSF_SF_EESJ_SZ_SK_SL_SM_EUlSZ_E0_NS1_11comp_targetILNS1_3genE4ELNS1_11target_archE910ELNS1_3gpuE8ELNS1_3repE0EEENS1_38merge_mergepath_config_static_selectorELNS0_4arch9wavefront6targetE1EEEvSL_.kd
    .uniform_work_group_size: 1
    .uses_dynamic_stack: false
    .vgpr_count:     26
    .vgpr_spill_count: 0
    .wavefront_size: 64
  - .agpr_count:     0
    .args:
      - .offset:         0
        .size:           64
        .value_kind:     by_value
    .group_segment_fixed_size: 0
    .kernarg_segment_align: 8
    .kernarg_segment_size: 64
    .language:       OpenCL C
    .language_version:
      - 2
      - 0
    .max_flat_workgroup_size: 128
    .name:           _ZN7rocprim17ROCPRIM_400000_NS6detail17trampoline_kernelINS0_14default_configENS1_38merge_sort_block_merge_config_selectorIsNS0_10empty_typeEEEZZNS1_27merge_sort_block_merge_implIS3_N6thrust23THRUST_200600_302600_NS6detail15normal_iteratorINS9_10device_ptrIsEEEEPS5_jNS1_19radix_merge_compareILb0ELb1EsNS0_19identity_decomposerEEEEE10hipError_tT0_T1_T2_jT3_P12ihipStream_tbPNSt15iterator_traitsISK_E10value_typeEPNSQ_ISL_E10value_typeEPSM_NS1_7vsmem_tEENKUlT_SK_SL_SM_E_clISE_PsSF_SF_EESJ_SZ_SK_SL_SM_EUlSZ_E0_NS1_11comp_targetILNS1_3genE3ELNS1_11target_archE908ELNS1_3gpuE7ELNS1_3repE0EEENS1_38merge_mergepath_config_static_selectorELNS0_4arch9wavefront6targetE1EEEvSL_
    .private_segment_fixed_size: 0
    .sgpr_count:     4
    .sgpr_spill_count: 0
    .symbol:         _ZN7rocprim17ROCPRIM_400000_NS6detail17trampoline_kernelINS0_14default_configENS1_38merge_sort_block_merge_config_selectorIsNS0_10empty_typeEEEZZNS1_27merge_sort_block_merge_implIS3_N6thrust23THRUST_200600_302600_NS6detail15normal_iteratorINS9_10device_ptrIsEEEEPS5_jNS1_19radix_merge_compareILb0ELb1EsNS0_19identity_decomposerEEEEE10hipError_tT0_T1_T2_jT3_P12ihipStream_tbPNSt15iterator_traitsISK_E10value_typeEPNSQ_ISL_E10value_typeEPSM_NS1_7vsmem_tEENKUlT_SK_SL_SM_E_clISE_PsSF_SF_EESJ_SZ_SK_SL_SM_EUlSZ_E0_NS1_11comp_targetILNS1_3genE3ELNS1_11target_archE908ELNS1_3gpuE7ELNS1_3repE0EEENS1_38merge_mergepath_config_static_selectorELNS0_4arch9wavefront6targetE1EEEvSL_.kd
    .uniform_work_group_size: 1
    .uses_dynamic_stack: false
    .vgpr_count:     0
    .vgpr_spill_count: 0
    .wavefront_size: 64
  - .agpr_count:     0
    .args:
      - .offset:         0
        .size:           64
        .value_kind:     by_value
    .group_segment_fixed_size: 0
    .kernarg_segment_align: 8
    .kernarg_segment_size: 64
    .language:       OpenCL C
    .language_version:
      - 2
      - 0
    .max_flat_workgroup_size: 128
    .name:           _ZN7rocprim17ROCPRIM_400000_NS6detail17trampoline_kernelINS0_14default_configENS1_38merge_sort_block_merge_config_selectorIsNS0_10empty_typeEEEZZNS1_27merge_sort_block_merge_implIS3_N6thrust23THRUST_200600_302600_NS6detail15normal_iteratorINS9_10device_ptrIsEEEEPS5_jNS1_19radix_merge_compareILb0ELb1EsNS0_19identity_decomposerEEEEE10hipError_tT0_T1_T2_jT3_P12ihipStream_tbPNSt15iterator_traitsISK_E10value_typeEPNSQ_ISL_E10value_typeEPSM_NS1_7vsmem_tEENKUlT_SK_SL_SM_E_clISE_PsSF_SF_EESJ_SZ_SK_SL_SM_EUlSZ_E0_NS1_11comp_targetILNS1_3genE2ELNS1_11target_archE906ELNS1_3gpuE6ELNS1_3repE0EEENS1_38merge_mergepath_config_static_selectorELNS0_4arch9wavefront6targetE1EEEvSL_
    .private_segment_fixed_size: 0
    .sgpr_count:     4
    .sgpr_spill_count: 0
    .symbol:         _ZN7rocprim17ROCPRIM_400000_NS6detail17trampoline_kernelINS0_14default_configENS1_38merge_sort_block_merge_config_selectorIsNS0_10empty_typeEEEZZNS1_27merge_sort_block_merge_implIS3_N6thrust23THRUST_200600_302600_NS6detail15normal_iteratorINS9_10device_ptrIsEEEEPS5_jNS1_19radix_merge_compareILb0ELb1EsNS0_19identity_decomposerEEEEE10hipError_tT0_T1_T2_jT3_P12ihipStream_tbPNSt15iterator_traitsISK_E10value_typeEPNSQ_ISL_E10value_typeEPSM_NS1_7vsmem_tEENKUlT_SK_SL_SM_E_clISE_PsSF_SF_EESJ_SZ_SK_SL_SM_EUlSZ_E0_NS1_11comp_targetILNS1_3genE2ELNS1_11target_archE906ELNS1_3gpuE6ELNS1_3repE0EEENS1_38merge_mergepath_config_static_selectorELNS0_4arch9wavefront6targetE1EEEvSL_.kd
    .uniform_work_group_size: 1
    .uses_dynamic_stack: false
    .vgpr_count:     0
    .vgpr_spill_count: 0
    .wavefront_size: 64
  - .agpr_count:     0
    .args:
      - .offset:         0
        .size:           64
        .value_kind:     by_value
    .group_segment_fixed_size: 0
    .kernarg_segment_align: 8
    .kernarg_segment_size: 64
    .language:       OpenCL C
    .language_version:
      - 2
      - 0
    .max_flat_workgroup_size: 128
    .name:           _ZN7rocprim17ROCPRIM_400000_NS6detail17trampoline_kernelINS0_14default_configENS1_38merge_sort_block_merge_config_selectorIsNS0_10empty_typeEEEZZNS1_27merge_sort_block_merge_implIS3_N6thrust23THRUST_200600_302600_NS6detail15normal_iteratorINS9_10device_ptrIsEEEEPS5_jNS1_19radix_merge_compareILb0ELb1EsNS0_19identity_decomposerEEEEE10hipError_tT0_T1_T2_jT3_P12ihipStream_tbPNSt15iterator_traitsISK_E10value_typeEPNSQ_ISL_E10value_typeEPSM_NS1_7vsmem_tEENKUlT_SK_SL_SM_E_clISE_PsSF_SF_EESJ_SZ_SK_SL_SM_EUlSZ_E0_NS1_11comp_targetILNS1_3genE9ELNS1_11target_archE1100ELNS1_3gpuE3ELNS1_3repE0EEENS1_38merge_mergepath_config_static_selectorELNS0_4arch9wavefront6targetE1EEEvSL_
    .private_segment_fixed_size: 0
    .sgpr_count:     4
    .sgpr_spill_count: 0
    .symbol:         _ZN7rocprim17ROCPRIM_400000_NS6detail17trampoline_kernelINS0_14default_configENS1_38merge_sort_block_merge_config_selectorIsNS0_10empty_typeEEEZZNS1_27merge_sort_block_merge_implIS3_N6thrust23THRUST_200600_302600_NS6detail15normal_iteratorINS9_10device_ptrIsEEEEPS5_jNS1_19radix_merge_compareILb0ELb1EsNS0_19identity_decomposerEEEEE10hipError_tT0_T1_T2_jT3_P12ihipStream_tbPNSt15iterator_traitsISK_E10value_typeEPNSQ_ISL_E10value_typeEPSM_NS1_7vsmem_tEENKUlT_SK_SL_SM_E_clISE_PsSF_SF_EESJ_SZ_SK_SL_SM_EUlSZ_E0_NS1_11comp_targetILNS1_3genE9ELNS1_11target_archE1100ELNS1_3gpuE3ELNS1_3repE0EEENS1_38merge_mergepath_config_static_selectorELNS0_4arch9wavefront6targetE1EEEvSL_.kd
    .uniform_work_group_size: 1
    .uses_dynamic_stack: false
    .vgpr_count:     0
    .vgpr_spill_count: 0
    .wavefront_size: 64
  - .agpr_count:     0
    .args:
      - .offset:         0
        .size:           64
        .value_kind:     by_value
    .group_segment_fixed_size: 0
    .kernarg_segment_align: 8
    .kernarg_segment_size: 64
    .language:       OpenCL C
    .language_version:
      - 2
      - 0
    .max_flat_workgroup_size: 128
    .name:           _ZN7rocprim17ROCPRIM_400000_NS6detail17trampoline_kernelINS0_14default_configENS1_38merge_sort_block_merge_config_selectorIsNS0_10empty_typeEEEZZNS1_27merge_sort_block_merge_implIS3_N6thrust23THRUST_200600_302600_NS6detail15normal_iteratorINS9_10device_ptrIsEEEEPS5_jNS1_19radix_merge_compareILb0ELb1EsNS0_19identity_decomposerEEEEE10hipError_tT0_T1_T2_jT3_P12ihipStream_tbPNSt15iterator_traitsISK_E10value_typeEPNSQ_ISL_E10value_typeEPSM_NS1_7vsmem_tEENKUlT_SK_SL_SM_E_clISE_PsSF_SF_EESJ_SZ_SK_SL_SM_EUlSZ_E0_NS1_11comp_targetILNS1_3genE8ELNS1_11target_archE1030ELNS1_3gpuE2ELNS1_3repE0EEENS1_38merge_mergepath_config_static_selectorELNS0_4arch9wavefront6targetE1EEEvSL_
    .private_segment_fixed_size: 0
    .sgpr_count:     4
    .sgpr_spill_count: 0
    .symbol:         _ZN7rocprim17ROCPRIM_400000_NS6detail17trampoline_kernelINS0_14default_configENS1_38merge_sort_block_merge_config_selectorIsNS0_10empty_typeEEEZZNS1_27merge_sort_block_merge_implIS3_N6thrust23THRUST_200600_302600_NS6detail15normal_iteratorINS9_10device_ptrIsEEEEPS5_jNS1_19radix_merge_compareILb0ELb1EsNS0_19identity_decomposerEEEEE10hipError_tT0_T1_T2_jT3_P12ihipStream_tbPNSt15iterator_traitsISK_E10value_typeEPNSQ_ISL_E10value_typeEPSM_NS1_7vsmem_tEENKUlT_SK_SL_SM_E_clISE_PsSF_SF_EESJ_SZ_SK_SL_SM_EUlSZ_E0_NS1_11comp_targetILNS1_3genE8ELNS1_11target_archE1030ELNS1_3gpuE2ELNS1_3repE0EEENS1_38merge_mergepath_config_static_selectorELNS0_4arch9wavefront6targetE1EEEvSL_.kd
    .uniform_work_group_size: 1
    .uses_dynamic_stack: false
    .vgpr_count:     0
    .vgpr_spill_count: 0
    .wavefront_size: 64
  - .agpr_count:     0
    .args:
      - .offset:         0
        .size:           48
        .value_kind:     by_value
    .group_segment_fixed_size: 0
    .kernarg_segment_align: 8
    .kernarg_segment_size: 48
    .language:       OpenCL C
    .language_version:
      - 2
      - 0
    .max_flat_workgroup_size: 256
    .name:           _ZN7rocprim17ROCPRIM_400000_NS6detail17trampoline_kernelINS0_14default_configENS1_38merge_sort_block_merge_config_selectorIsNS0_10empty_typeEEEZZNS1_27merge_sort_block_merge_implIS3_N6thrust23THRUST_200600_302600_NS6detail15normal_iteratorINS9_10device_ptrIsEEEEPS5_jNS1_19radix_merge_compareILb0ELb1EsNS0_19identity_decomposerEEEEE10hipError_tT0_T1_T2_jT3_P12ihipStream_tbPNSt15iterator_traitsISK_E10value_typeEPNSQ_ISL_E10value_typeEPSM_NS1_7vsmem_tEENKUlT_SK_SL_SM_E_clISE_PsSF_SF_EESJ_SZ_SK_SL_SM_EUlSZ_E1_NS1_11comp_targetILNS1_3genE0ELNS1_11target_archE4294967295ELNS1_3gpuE0ELNS1_3repE0EEENS1_36merge_oddeven_config_static_selectorELNS0_4arch9wavefront6targetE1EEEvSL_
    .private_segment_fixed_size: 0
    .sgpr_count:     4
    .sgpr_spill_count: 0
    .symbol:         _ZN7rocprim17ROCPRIM_400000_NS6detail17trampoline_kernelINS0_14default_configENS1_38merge_sort_block_merge_config_selectorIsNS0_10empty_typeEEEZZNS1_27merge_sort_block_merge_implIS3_N6thrust23THRUST_200600_302600_NS6detail15normal_iteratorINS9_10device_ptrIsEEEEPS5_jNS1_19radix_merge_compareILb0ELb1EsNS0_19identity_decomposerEEEEE10hipError_tT0_T1_T2_jT3_P12ihipStream_tbPNSt15iterator_traitsISK_E10value_typeEPNSQ_ISL_E10value_typeEPSM_NS1_7vsmem_tEENKUlT_SK_SL_SM_E_clISE_PsSF_SF_EESJ_SZ_SK_SL_SM_EUlSZ_E1_NS1_11comp_targetILNS1_3genE0ELNS1_11target_archE4294967295ELNS1_3gpuE0ELNS1_3repE0EEENS1_36merge_oddeven_config_static_selectorELNS0_4arch9wavefront6targetE1EEEvSL_.kd
    .uniform_work_group_size: 1
    .uses_dynamic_stack: false
    .vgpr_count:     0
    .vgpr_spill_count: 0
    .wavefront_size: 64
  - .agpr_count:     0
    .args:
      - .offset:         0
        .size:           48
        .value_kind:     by_value
    .group_segment_fixed_size: 0
    .kernarg_segment_align: 8
    .kernarg_segment_size: 48
    .language:       OpenCL C
    .language_version:
      - 2
      - 0
    .max_flat_workgroup_size: 256
    .name:           _ZN7rocprim17ROCPRIM_400000_NS6detail17trampoline_kernelINS0_14default_configENS1_38merge_sort_block_merge_config_selectorIsNS0_10empty_typeEEEZZNS1_27merge_sort_block_merge_implIS3_N6thrust23THRUST_200600_302600_NS6detail15normal_iteratorINS9_10device_ptrIsEEEEPS5_jNS1_19radix_merge_compareILb0ELb1EsNS0_19identity_decomposerEEEEE10hipError_tT0_T1_T2_jT3_P12ihipStream_tbPNSt15iterator_traitsISK_E10value_typeEPNSQ_ISL_E10value_typeEPSM_NS1_7vsmem_tEENKUlT_SK_SL_SM_E_clISE_PsSF_SF_EESJ_SZ_SK_SL_SM_EUlSZ_E1_NS1_11comp_targetILNS1_3genE10ELNS1_11target_archE1201ELNS1_3gpuE5ELNS1_3repE0EEENS1_36merge_oddeven_config_static_selectorELNS0_4arch9wavefront6targetE1EEEvSL_
    .private_segment_fixed_size: 0
    .sgpr_count:     4
    .sgpr_spill_count: 0
    .symbol:         _ZN7rocprim17ROCPRIM_400000_NS6detail17trampoline_kernelINS0_14default_configENS1_38merge_sort_block_merge_config_selectorIsNS0_10empty_typeEEEZZNS1_27merge_sort_block_merge_implIS3_N6thrust23THRUST_200600_302600_NS6detail15normal_iteratorINS9_10device_ptrIsEEEEPS5_jNS1_19radix_merge_compareILb0ELb1EsNS0_19identity_decomposerEEEEE10hipError_tT0_T1_T2_jT3_P12ihipStream_tbPNSt15iterator_traitsISK_E10value_typeEPNSQ_ISL_E10value_typeEPSM_NS1_7vsmem_tEENKUlT_SK_SL_SM_E_clISE_PsSF_SF_EESJ_SZ_SK_SL_SM_EUlSZ_E1_NS1_11comp_targetILNS1_3genE10ELNS1_11target_archE1201ELNS1_3gpuE5ELNS1_3repE0EEENS1_36merge_oddeven_config_static_selectorELNS0_4arch9wavefront6targetE1EEEvSL_.kd
    .uniform_work_group_size: 1
    .uses_dynamic_stack: false
    .vgpr_count:     0
    .vgpr_spill_count: 0
    .wavefront_size: 64
  - .agpr_count:     0
    .args:
      - .offset:         0
        .size:           48
        .value_kind:     by_value
    .group_segment_fixed_size: 0
    .kernarg_segment_align: 8
    .kernarg_segment_size: 48
    .language:       OpenCL C
    .language_version:
      - 2
      - 0
    .max_flat_workgroup_size: 256
    .name:           _ZN7rocprim17ROCPRIM_400000_NS6detail17trampoline_kernelINS0_14default_configENS1_38merge_sort_block_merge_config_selectorIsNS0_10empty_typeEEEZZNS1_27merge_sort_block_merge_implIS3_N6thrust23THRUST_200600_302600_NS6detail15normal_iteratorINS9_10device_ptrIsEEEEPS5_jNS1_19radix_merge_compareILb0ELb1EsNS0_19identity_decomposerEEEEE10hipError_tT0_T1_T2_jT3_P12ihipStream_tbPNSt15iterator_traitsISK_E10value_typeEPNSQ_ISL_E10value_typeEPSM_NS1_7vsmem_tEENKUlT_SK_SL_SM_E_clISE_PsSF_SF_EESJ_SZ_SK_SL_SM_EUlSZ_E1_NS1_11comp_targetILNS1_3genE5ELNS1_11target_archE942ELNS1_3gpuE9ELNS1_3repE0EEENS1_36merge_oddeven_config_static_selectorELNS0_4arch9wavefront6targetE1EEEvSL_
    .private_segment_fixed_size: 0
    .sgpr_count:     4
    .sgpr_spill_count: 0
    .symbol:         _ZN7rocprim17ROCPRIM_400000_NS6detail17trampoline_kernelINS0_14default_configENS1_38merge_sort_block_merge_config_selectorIsNS0_10empty_typeEEEZZNS1_27merge_sort_block_merge_implIS3_N6thrust23THRUST_200600_302600_NS6detail15normal_iteratorINS9_10device_ptrIsEEEEPS5_jNS1_19radix_merge_compareILb0ELb1EsNS0_19identity_decomposerEEEEE10hipError_tT0_T1_T2_jT3_P12ihipStream_tbPNSt15iterator_traitsISK_E10value_typeEPNSQ_ISL_E10value_typeEPSM_NS1_7vsmem_tEENKUlT_SK_SL_SM_E_clISE_PsSF_SF_EESJ_SZ_SK_SL_SM_EUlSZ_E1_NS1_11comp_targetILNS1_3genE5ELNS1_11target_archE942ELNS1_3gpuE9ELNS1_3repE0EEENS1_36merge_oddeven_config_static_selectorELNS0_4arch9wavefront6targetE1EEEvSL_.kd
    .uniform_work_group_size: 1
    .uses_dynamic_stack: false
    .vgpr_count:     0
    .vgpr_spill_count: 0
    .wavefront_size: 64
  - .agpr_count:     0
    .args:
      - .offset:         0
        .size:           48
        .value_kind:     by_value
    .group_segment_fixed_size: 0
    .kernarg_segment_align: 8
    .kernarg_segment_size: 48
    .language:       OpenCL C
    .language_version:
      - 2
      - 0
    .max_flat_workgroup_size: 256
    .name:           _ZN7rocprim17ROCPRIM_400000_NS6detail17trampoline_kernelINS0_14default_configENS1_38merge_sort_block_merge_config_selectorIsNS0_10empty_typeEEEZZNS1_27merge_sort_block_merge_implIS3_N6thrust23THRUST_200600_302600_NS6detail15normal_iteratorINS9_10device_ptrIsEEEEPS5_jNS1_19radix_merge_compareILb0ELb1EsNS0_19identity_decomposerEEEEE10hipError_tT0_T1_T2_jT3_P12ihipStream_tbPNSt15iterator_traitsISK_E10value_typeEPNSQ_ISL_E10value_typeEPSM_NS1_7vsmem_tEENKUlT_SK_SL_SM_E_clISE_PsSF_SF_EESJ_SZ_SK_SL_SM_EUlSZ_E1_NS1_11comp_targetILNS1_3genE4ELNS1_11target_archE910ELNS1_3gpuE8ELNS1_3repE0EEENS1_36merge_oddeven_config_static_selectorELNS0_4arch9wavefront6targetE1EEEvSL_
    .private_segment_fixed_size: 0
    .sgpr_count:     25
    .sgpr_spill_count: 0
    .symbol:         _ZN7rocprim17ROCPRIM_400000_NS6detail17trampoline_kernelINS0_14default_configENS1_38merge_sort_block_merge_config_selectorIsNS0_10empty_typeEEEZZNS1_27merge_sort_block_merge_implIS3_N6thrust23THRUST_200600_302600_NS6detail15normal_iteratorINS9_10device_ptrIsEEEEPS5_jNS1_19radix_merge_compareILb0ELb1EsNS0_19identity_decomposerEEEEE10hipError_tT0_T1_T2_jT3_P12ihipStream_tbPNSt15iterator_traitsISK_E10value_typeEPNSQ_ISL_E10value_typeEPSM_NS1_7vsmem_tEENKUlT_SK_SL_SM_E_clISE_PsSF_SF_EESJ_SZ_SK_SL_SM_EUlSZ_E1_NS1_11comp_targetILNS1_3genE4ELNS1_11target_archE910ELNS1_3gpuE8ELNS1_3repE0EEENS1_36merge_oddeven_config_static_selectorELNS0_4arch9wavefront6targetE1EEEvSL_.kd
    .uniform_work_group_size: 1
    .uses_dynamic_stack: false
    .vgpr_count:     9
    .vgpr_spill_count: 0
    .wavefront_size: 64
  - .agpr_count:     0
    .args:
      - .offset:         0
        .size:           48
        .value_kind:     by_value
    .group_segment_fixed_size: 0
    .kernarg_segment_align: 8
    .kernarg_segment_size: 48
    .language:       OpenCL C
    .language_version:
      - 2
      - 0
    .max_flat_workgroup_size: 256
    .name:           _ZN7rocprim17ROCPRIM_400000_NS6detail17trampoline_kernelINS0_14default_configENS1_38merge_sort_block_merge_config_selectorIsNS0_10empty_typeEEEZZNS1_27merge_sort_block_merge_implIS3_N6thrust23THRUST_200600_302600_NS6detail15normal_iteratorINS9_10device_ptrIsEEEEPS5_jNS1_19radix_merge_compareILb0ELb1EsNS0_19identity_decomposerEEEEE10hipError_tT0_T1_T2_jT3_P12ihipStream_tbPNSt15iterator_traitsISK_E10value_typeEPNSQ_ISL_E10value_typeEPSM_NS1_7vsmem_tEENKUlT_SK_SL_SM_E_clISE_PsSF_SF_EESJ_SZ_SK_SL_SM_EUlSZ_E1_NS1_11comp_targetILNS1_3genE3ELNS1_11target_archE908ELNS1_3gpuE7ELNS1_3repE0EEENS1_36merge_oddeven_config_static_selectorELNS0_4arch9wavefront6targetE1EEEvSL_
    .private_segment_fixed_size: 0
    .sgpr_count:     4
    .sgpr_spill_count: 0
    .symbol:         _ZN7rocprim17ROCPRIM_400000_NS6detail17trampoline_kernelINS0_14default_configENS1_38merge_sort_block_merge_config_selectorIsNS0_10empty_typeEEEZZNS1_27merge_sort_block_merge_implIS3_N6thrust23THRUST_200600_302600_NS6detail15normal_iteratorINS9_10device_ptrIsEEEEPS5_jNS1_19radix_merge_compareILb0ELb1EsNS0_19identity_decomposerEEEEE10hipError_tT0_T1_T2_jT3_P12ihipStream_tbPNSt15iterator_traitsISK_E10value_typeEPNSQ_ISL_E10value_typeEPSM_NS1_7vsmem_tEENKUlT_SK_SL_SM_E_clISE_PsSF_SF_EESJ_SZ_SK_SL_SM_EUlSZ_E1_NS1_11comp_targetILNS1_3genE3ELNS1_11target_archE908ELNS1_3gpuE7ELNS1_3repE0EEENS1_36merge_oddeven_config_static_selectorELNS0_4arch9wavefront6targetE1EEEvSL_.kd
    .uniform_work_group_size: 1
    .uses_dynamic_stack: false
    .vgpr_count:     0
    .vgpr_spill_count: 0
    .wavefront_size: 64
  - .agpr_count:     0
    .args:
      - .offset:         0
        .size:           48
        .value_kind:     by_value
    .group_segment_fixed_size: 0
    .kernarg_segment_align: 8
    .kernarg_segment_size: 48
    .language:       OpenCL C
    .language_version:
      - 2
      - 0
    .max_flat_workgroup_size: 256
    .name:           _ZN7rocprim17ROCPRIM_400000_NS6detail17trampoline_kernelINS0_14default_configENS1_38merge_sort_block_merge_config_selectorIsNS0_10empty_typeEEEZZNS1_27merge_sort_block_merge_implIS3_N6thrust23THRUST_200600_302600_NS6detail15normal_iteratorINS9_10device_ptrIsEEEEPS5_jNS1_19radix_merge_compareILb0ELb1EsNS0_19identity_decomposerEEEEE10hipError_tT0_T1_T2_jT3_P12ihipStream_tbPNSt15iterator_traitsISK_E10value_typeEPNSQ_ISL_E10value_typeEPSM_NS1_7vsmem_tEENKUlT_SK_SL_SM_E_clISE_PsSF_SF_EESJ_SZ_SK_SL_SM_EUlSZ_E1_NS1_11comp_targetILNS1_3genE2ELNS1_11target_archE906ELNS1_3gpuE6ELNS1_3repE0EEENS1_36merge_oddeven_config_static_selectorELNS0_4arch9wavefront6targetE1EEEvSL_
    .private_segment_fixed_size: 0
    .sgpr_count:     4
    .sgpr_spill_count: 0
    .symbol:         _ZN7rocprim17ROCPRIM_400000_NS6detail17trampoline_kernelINS0_14default_configENS1_38merge_sort_block_merge_config_selectorIsNS0_10empty_typeEEEZZNS1_27merge_sort_block_merge_implIS3_N6thrust23THRUST_200600_302600_NS6detail15normal_iteratorINS9_10device_ptrIsEEEEPS5_jNS1_19radix_merge_compareILb0ELb1EsNS0_19identity_decomposerEEEEE10hipError_tT0_T1_T2_jT3_P12ihipStream_tbPNSt15iterator_traitsISK_E10value_typeEPNSQ_ISL_E10value_typeEPSM_NS1_7vsmem_tEENKUlT_SK_SL_SM_E_clISE_PsSF_SF_EESJ_SZ_SK_SL_SM_EUlSZ_E1_NS1_11comp_targetILNS1_3genE2ELNS1_11target_archE906ELNS1_3gpuE6ELNS1_3repE0EEENS1_36merge_oddeven_config_static_selectorELNS0_4arch9wavefront6targetE1EEEvSL_.kd
    .uniform_work_group_size: 1
    .uses_dynamic_stack: false
    .vgpr_count:     0
    .vgpr_spill_count: 0
    .wavefront_size: 64
  - .agpr_count:     0
    .args:
      - .offset:         0
        .size:           48
        .value_kind:     by_value
    .group_segment_fixed_size: 0
    .kernarg_segment_align: 8
    .kernarg_segment_size: 48
    .language:       OpenCL C
    .language_version:
      - 2
      - 0
    .max_flat_workgroup_size: 256
    .name:           _ZN7rocprim17ROCPRIM_400000_NS6detail17trampoline_kernelINS0_14default_configENS1_38merge_sort_block_merge_config_selectorIsNS0_10empty_typeEEEZZNS1_27merge_sort_block_merge_implIS3_N6thrust23THRUST_200600_302600_NS6detail15normal_iteratorINS9_10device_ptrIsEEEEPS5_jNS1_19radix_merge_compareILb0ELb1EsNS0_19identity_decomposerEEEEE10hipError_tT0_T1_T2_jT3_P12ihipStream_tbPNSt15iterator_traitsISK_E10value_typeEPNSQ_ISL_E10value_typeEPSM_NS1_7vsmem_tEENKUlT_SK_SL_SM_E_clISE_PsSF_SF_EESJ_SZ_SK_SL_SM_EUlSZ_E1_NS1_11comp_targetILNS1_3genE9ELNS1_11target_archE1100ELNS1_3gpuE3ELNS1_3repE0EEENS1_36merge_oddeven_config_static_selectorELNS0_4arch9wavefront6targetE1EEEvSL_
    .private_segment_fixed_size: 0
    .sgpr_count:     4
    .sgpr_spill_count: 0
    .symbol:         _ZN7rocprim17ROCPRIM_400000_NS6detail17trampoline_kernelINS0_14default_configENS1_38merge_sort_block_merge_config_selectorIsNS0_10empty_typeEEEZZNS1_27merge_sort_block_merge_implIS3_N6thrust23THRUST_200600_302600_NS6detail15normal_iteratorINS9_10device_ptrIsEEEEPS5_jNS1_19radix_merge_compareILb0ELb1EsNS0_19identity_decomposerEEEEE10hipError_tT0_T1_T2_jT3_P12ihipStream_tbPNSt15iterator_traitsISK_E10value_typeEPNSQ_ISL_E10value_typeEPSM_NS1_7vsmem_tEENKUlT_SK_SL_SM_E_clISE_PsSF_SF_EESJ_SZ_SK_SL_SM_EUlSZ_E1_NS1_11comp_targetILNS1_3genE9ELNS1_11target_archE1100ELNS1_3gpuE3ELNS1_3repE0EEENS1_36merge_oddeven_config_static_selectorELNS0_4arch9wavefront6targetE1EEEvSL_.kd
    .uniform_work_group_size: 1
    .uses_dynamic_stack: false
    .vgpr_count:     0
    .vgpr_spill_count: 0
    .wavefront_size: 64
  - .agpr_count:     0
    .args:
      - .offset:         0
        .size:           48
        .value_kind:     by_value
    .group_segment_fixed_size: 0
    .kernarg_segment_align: 8
    .kernarg_segment_size: 48
    .language:       OpenCL C
    .language_version:
      - 2
      - 0
    .max_flat_workgroup_size: 256
    .name:           _ZN7rocprim17ROCPRIM_400000_NS6detail17trampoline_kernelINS0_14default_configENS1_38merge_sort_block_merge_config_selectorIsNS0_10empty_typeEEEZZNS1_27merge_sort_block_merge_implIS3_N6thrust23THRUST_200600_302600_NS6detail15normal_iteratorINS9_10device_ptrIsEEEEPS5_jNS1_19radix_merge_compareILb0ELb1EsNS0_19identity_decomposerEEEEE10hipError_tT0_T1_T2_jT3_P12ihipStream_tbPNSt15iterator_traitsISK_E10value_typeEPNSQ_ISL_E10value_typeEPSM_NS1_7vsmem_tEENKUlT_SK_SL_SM_E_clISE_PsSF_SF_EESJ_SZ_SK_SL_SM_EUlSZ_E1_NS1_11comp_targetILNS1_3genE8ELNS1_11target_archE1030ELNS1_3gpuE2ELNS1_3repE0EEENS1_36merge_oddeven_config_static_selectorELNS0_4arch9wavefront6targetE1EEEvSL_
    .private_segment_fixed_size: 0
    .sgpr_count:     4
    .sgpr_spill_count: 0
    .symbol:         _ZN7rocprim17ROCPRIM_400000_NS6detail17trampoline_kernelINS0_14default_configENS1_38merge_sort_block_merge_config_selectorIsNS0_10empty_typeEEEZZNS1_27merge_sort_block_merge_implIS3_N6thrust23THRUST_200600_302600_NS6detail15normal_iteratorINS9_10device_ptrIsEEEEPS5_jNS1_19radix_merge_compareILb0ELb1EsNS0_19identity_decomposerEEEEE10hipError_tT0_T1_T2_jT3_P12ihipStream_tbPNSt15iterator_traitsISK_E10value_typeEPNSQ_ISL_E10value_typeEPSM_NS1_7vsmem_tEENKUlT_SK_SL_SM_E_clISE_PsSF_SF_EESJ_SZ_SK_SL_SM_EUlSZ_E1_NS1_11comp_targetILNS1_3genE8ELNS1_11target_archE1030ELNS1_3gpuE2ELNS1_3repE0EEENS1_36merge_oddeven_config_static_selectorELNS0_4arch9wavefront6targetE1EEEvSL_.kd
    .uniform_work_group_size: 1
    .uses_dynamic_stack: false
    .vgpr_count:     0
    .vgpr_spill_count: 0
    .wavefront_size: 64
  - .agpr_count:     0
    .args:
      - .offset:         0
        .size:           40
        .value_kind:     by_value
    .group_segment_fixed_size: 0
    .kernarg_segment_align: 8
    .kernarg_segment_size: 40
    .language:       OpenCL C
    .language_version:
      - 2
      - 0
    .max_flat_workgroup_size: 512
    .name:           _ZN7rocprim17ROCPRIM_400000_NS6detail17trampoline_kernelINS0_14default_configENS1_35radix_sort_onesweep_config_selectorIsNS0_10empty_typeEEEZNS1_34radix_sort_onesweep_global_offsetsIS3_Lb0EN6thrust23THRUST_200600_302600_NS6detail15normal_iteratorINS9_10device_ptrIsEEEEPS5_jNS0_19identity_decomposerEEE10hipError_tT1_T2_PT3_SK_jT4_jjP12ihipStream_tbEUlT_E_NS1_11comp_targetILNS1_3genE0ELNS1_11target_archE4294967295ELNS1_3gpuE0ELNS1_3repE0EEENS1_52radix_sort_onesweep_histogram_config_static_selectorELNS0_4arch9wavefront6targetE1EEEvSI_
    .private_segment_fixed_size: 0
    .sgpr_count:     4
    .sgpr_spill_count: 0
    .symbol:         _ZN7rocprim17ROCPRIM_400000_NS6detail17trampoline_kernelINS0_14default_configENS1_35radix_sort_onesweep_config_selectorIsNS0_10empty_typeEEEZNS1_34radix_sort_onesweep_global_offsetsIS3_Lb0EN6thrust23THRUST_200600_302600_NS6detail15normal_iteratorINS9_10device_ptrIsEEEEPS5_jNS0_19identity_decomposerEEE10hipError_tT1_T2_PT3_SK_jT4_jjP12ihipStream_tbEUlT_E_NS1_11comp_targetILNS1_3genE0ELNS1_11target_archE4294967295ELNS1_3gpuE0ELNS1_3repE0EEENS1_52radix_sort_onesweep_histogram_config_static_selectorELNS0_4arch9wavefront6targetE1EEEvSI_.kd
    .uniform_work_group_size: 1
    .uses_dynamic_stack: false
    .vgpr_count:     0
    .vgpr_spill_count: 0
    .wavefront_size: 64
  - .agpr_count:     0
    .args:
      - .offset:         0
        .size:           40
        .value_kind:     by_value
    .group_segment_fixed_size: 0
    .kernarg_segment_align: 8
    .kernarg_segment_size: 40
    .language:       OpenCL C
    .language_version:
      - 2
      - 0
    .max_flat_workgroup_size: 1024
    .name:           _ZN7rocprim17ROCPRIM_400000_NS6detail17trampoline_kernelINS0_14default_configENS1_35radix_sort_onesweep_config_selectorIsNS0_10empty_typeEEEZNS1_34radix_sort_onesweep_global_offsetsIS3_Lb0EN6thrust23THRUST_200600_302600_NS6detail15normal_iteratorINS9_10device_ptrIsEEEEPS5_jNS0_19identity_decomposerEEE10hipError_tT1_T2_PT3_SK_jT4_jjP12ihipStream_tbEUlT_E_NS1_11comp_targetILNS1_3genE6ELNS1_11target_archE950ELNS1_3gpuE13ELNS1_3repE0EEENS1_52radix_sort_onesweep_histogram_config_static_selectorELNS0_4arch9wavefront6targetE1EEEvSI_
    .private_segment_fixed_size: 0
    .sgpr_count:     4
    .sgpr_spill_count: 0
    .symbol:         _ZN7rocprim17ROCPRIM_400000_NS6detail17trampoline_kernelINS0_14default_configENS1_35radix_sort_onesweep_config_selectorIsNS0_10empty_typeEEEZNS1_34radix_sort_onesweep_global_offsetsIS3_Lb0EN6thrust23THRUST_200600_302600_NS6detail15normal_iteratorINS9_10device_ptrIsEEEEPS5_jNS0_19identity_decomposerEEE10hipError_tT1_T2_PT3_SK_jT4_jjP12ihipStream_tbEUlT_E_NS1_11comp_targetILNS1_3genE6ELNS1_11target_archE950ELNS1_3gpuE13ELNS1_3repE0EEENS1_52radix_sort_onesweep_histogram_config_static_selectorELNS0_4arch9wavefront6targetE1EEEvSI_.kd
    .uniform_work_group_size: 1
    .uses_dynamic_stack: false
    .vgpr_count:     0
    .vgpr_spill_count: 0
    .wavefront_size: 64
  - .agpr_count:     0
    .args:
      - .offset:         0
        .size:           40
        .value_kind:     by_value
    .group_segment_fixed_size: 0
    .kernarg_segment_align: 8
    .kernarg_segment_size: 40
    .language:       OpenCL C
    .language_version:
      - 2
      - 0
    .max_flat_workgroup_size: 1024
    .name:           _ZN7rocprim17ROCPRIM_400000_NS6detail17trampoline_kernelINS0_14default_configENS1_35radix_sort_onesweep_config_selectorIsNS0_10empty_typeEEEZNS1_34radix_sort_onesweep_global_offsetsIS3_Lb0EN6thrust23THRUST_200600_302600_NS6detail15normal_iteratorINS9_10device_ptrIsEEEEPS5_jNS0_19identity_decomposerEEE10hipError_tT1_T2_PT3_SK_jT4_jjP12ihipStream_tbEUlT_E_NS1_11comp_targetILNS1_3genE5ELNS1_11target_archE942ELNS1_3gpuE9ELNS1_3repE0EEENS1_52radix_sort_onesweep_histogram_config_static_selectorELNS0_4arch9wavefront6targetE1EEEvSI_
    .private_segment_fixed_size: 0
    .sgpr_count:     4
    .sgpr_spill_count: 0
    .symbol:         _ZN7rocprim17ROCPRIM_400000_NS6detail17trampoline_kernelINS0_14default_configENS1_35radix_sort_onesweep_config_selectorIsNS0_10empty_typeEEEZNS1_34radix_sort_onesweep_global_offsetsIS3_Lb0EN6thrust23THRUST_200600_302600_NS6detail15normal_iteratorINS9_10device_ptrIsEEEEPS5_jNS0_19identity_decomposerEEE10hipError_tT1_T2_PT3_SK_jT4_jjP12ihipStream_tbEUlT_E_NS1_11comp_targetILNS1_3genE5ELNS1_11target_archE942ELNS1_3gpuE9ELNS1_3repE0EEENS1_52radix_sort_onesweep_histogram_config_static_selectorELNS0_4arch9wavefront6targetE1EEEvSI_.kd
    .uniform_work_group_size: 1
    .uses_dynamic_stack: false
    .vgpr_count:     0
    .vgpr_spill_count: 0
    .wavefront_size: 64
  - .agpr_count:     0
    .args:
      - .offset:         0
        .size:           40
        .value_kind:     by_value
    .group_segment_fixed_size: 0
    .kernarg_segment_align: 8
    .kernarg_segment_size: 40
    .language:       OpenCL C
    .language_version:
      - 2
      - 0
    .max_flat_workgroup_size: 512
    .name:           _ZN7rocprim17ROCPRIM_400000_NS6detail17trampoline_kernelINS0_14default_configENS1_35radix_sort_onesweep_config_selectorIsNS0_10empty_typeEEEZNS1_34radix_sort_onesweep_global_offsetsIS3_Lb0EN6thrust23THRUST_200600_302600_NS6detail15normal_iteratorINS9_10device_ptrIsEEEEPS5_jNS0_19identity_decomposerEEE10hipError_tT1_T2_PT3_SK_jT4_jjP12ihipStream_tbEUlT_E_NS1_11comp_targetILNS1_3genE2ELNS1_11target_archE906ELNS1_3gpuE6ELNS1_3repE0EEENS1_52radix_sort_onesweep_histogram_config_static_selectorELNS0_4arch9wavefront6targetE1EEEvSI_
    .private_segment_fixed_size: 0
    .sgpr_count:     4
    .sgpr_spill_count: 0
    .symbol:         _ZN7rocprim17ROCPRIM_400000_NS6detail17trampoline_kernelINS0_14default_configENS1_35radix_sort_onesweep_config_selectorIsNS0_10empty_typeEEEZNS1_34radix_sort_onesweep_global_offsetsIS3_Lb0EN6thrust23THRUST_200600_302600_NS6detail15normal_iteratorINS9_10device_ptrIsEEEEPS5_jNS0_19identity_decomposerEEE10hipError_tT1_T2_PT3_SK_jT4_jjP12ihipStream_tbEUlT_E_NS1_11comp_targetILNS1_3genE2ELNS1_11target_archE906ELNS1_3gpuE6ELNS1_3repE0EEENS1_52radix_sort_onesweep_histogram_config_static_selectorELNS0_4arch9wavefront6targetE1EEEvSI_.kd
    .uniform_work_group_size: 1
    .uses_dynamic_stack: false
    .vgpr_count:     0
    .vgpr_spill_count: 0
    .wavefront_size: 64
  - .agpr_count:     0
    .args:
      - .offset:         0
        .size:           40
        .value_kind:     by_value
    .group_segment_fixed_size: 8192
    .kernarg_segment_align: 8
    .kernarg_segment_size: 40
    .language:       OpenCL C
    .language_version:
      - 2
      - 0
    .max_flat_workgroup_size: 1024
    .name:           _ZN7rocprim17ROCPRIM_400000_NS6detail17trampoline_kernelINS0_14default_configENS1_35radix_sort_onesweep_config_selectorIsNS0_10empty_typeEEEZNS1_34radix_sort_onesweep_global_offsetsIS3_Lb0EN6thrust23THRUST_200600_302600_NS6detail15normal_iteratorINS9_10device_ptrIsEEEEPS5_jNS0_19identity_decomposerEEE10hipError_tT1_T2_PT3_SK_jT4_jjP12ihipStream_tbEUlT_E_NS1_11comp_targetILNS1_3genE4ELNS1_11target_archE910ELNS1_3gpuE8ELNS1_3repE0EEENS1_52radix_sort_onesweep_histogram_config_static_selectorELNS0_4arch9wavefront6targetE1EEEvSI_
    .private_segment_fixed_size: 0
    .sgpr_count:     24
    .sgpr_spill_count: 0
    .symbol:         _ZN7rocprim17ROCPRIM_400000_NS6detail17trampoline_kernelINS0_14default_configENS1_35radix_sort_onesweep_config_selectorIsNS0_10empty_typeEEEZNS1_34radix_sort_onesweep_global_offsetsIS3_Lb0EN6thrust23THRUST_200600_302600_NS6detail15normal_iteratorINS9_10device_ptrIsEEEEPS5_jNS0_19identity_decomposerEEE10hipError_tT1_T2_PT3_SK_jT4_jjP12ihipStream_tbEUlT_E_NS1_11comp_targetILNS1_3genE4ELNS1_11target_archE910ELNS1_3gpuE8ELNS1_3repE0EEENS1_52radix_sort_onesweep_histogram_config_static_selectorELNS0_4arch9wavefront6targetE1EEEvSI_.kd
    .uniform_work_group_size: 1
    .uses_dynamic_stack: false
    .vgpr_count:     25
    .vgpr_spill_count: 0
    .wavefront_size: 64
  - .agpr_count:     0
    .args:
      - .offset:         0
        .size:           40
        .value_kind:     by_value
    .group_segment_fixed_size: 0
    .kernarg_segment_align: 8
    .kernarg_segment_size: 40
    .language:       OpenCL C
    .language_version:
      - 2
      - 0
    .max_flat_workgroup_size: 512
    .name:           _ZN7rocprim17ROCPRIM_400000_NS6detail17trampoline_kernelINS0_14default_configENS1_35radix_sort_onesweep_config_selectorIsNS0_10empty_typeEEEZNS1_34radix_sort_onesweep_global_offsetsIS3_Lb0EN6thrust23THRUST_200600_302600_NS6detail15normal_iteratorINS9_10device_ptrIsEEEEPS5_jNS0_19identity_decomposerEEE10hipError_tT1_T2_PT3_SK_jT4_jjP12ihipStream_tbEUlT_E_NS1_11comp_targetILNS1_3genE3ELNS1_11target_archE908ELNS1_3gpuE7ELNS1_3repE0EEENS1_52radix_sort_onesweep_histogram_config_static_selectorELNS0_4arch9wavefront6targetE1EEEvSI_
    .private_segment_fixed_size: 0
    .sgpr_count:     4
    .sgpr_spill_count: 0
    .symbol:         _ZN7rocprim17ROCPRIM_400000_NS6detail17trampoline_kernelINS0_14default_configENS1_35radix_sort_onesweep_config_selectorIsNS0_10empty_typeEEEZNS1_34radix_sort_onesweep_global_offsetsIS3_Lb0EN6thrust23THRUST_200600_302600_NS6detail15normal_iteratorINS9_10device_ptrIsEEEEPS5_jNS0_19identity_decomposerEEE10hipError_tT1_T2_PT3_SK_jT4_jjP12ihipStream_tbEUlT_E_NS1_11comp_targetILNS1_3genE3ELNS1_11target_archE908ELNS1_3gpuE7ELNS1_3repE0EEENS1_52radix_sort_onesweep_histogram_config_static_selectorELNS0_4arch9wavefront6targetE1EEEvSI_.kd
    .uniform_work_group_size: 1
    .uses_dynamic_stack: false
    .vgpr_count:     0
    .vgpr_spill_count: 0
    .wavefront_size: 64
  - .agpr_count:     0
    .args:
      - .offset:         0
        .size:           40
        .value_kind:     by_value
    .group_segment_fixed_size: 0
    .kernarg_segment_align: 8
    .kernarg_segment_size: 40
    .language:       OpenCL C
    .language_version:
      - 2
      - 0
    .max_flat_workgroup_size: 256
    .name:           _ZN7rocprim17ROCPRIM_400000_NS6detail17trampoline_kernelINS0_14default_configENS1_35radix_sort_onesweep_config_selectorIsNS0_10empty_typeEEEZNS1_34radix_sort_onesweep_global_offsetsIS3_Lb0EN6thrust23THRUST_200600_302600_NS6detail15normal_iteratorINS9_10device_ptrIsEEEEPS5_jNS0_19identity_decomposerEEE10hipError_tT1_T2_PT3_SK_jT4_jjP12ihipStream_tbEUlT_E_NS1_11comp_targetILNS1_3genE10ELNS1_11target_archE1201ELNS1_3gpuE5ELNS1_3repE0EEENS1_52radix_sort_onesweep_histogram_config_static_selectorELNS0_4arch9wavefront6targetE1EEEvSI_
    .private_segment_fixed_size: 0
    .sgpr_count:     4
    .sgpr_spill_count: 0
    .symbol:         _ZN7rocprim17ROCPRIM_400000_NS6detail17trampoline_kernelINS0_14default_configENS1_35radix_sort_onesweep_config_selectorIsNS0_10empty_typeEEEZNS1_34radix_sort_onesweep_global_offsetsIS3_Lb0EN6thrust23THRUST_200600_302600_NS6detail15normal_iteratorINS9_10device_ptrIsEEEEPS5_jNS0_19identity_decomposerEEE10hipError_tT1_T2_PT3_SK_jT4_jjP12ihipStream_tbEUlT_E_NS1_11comp_targetILNS1_3genE10ELNS1_11target_archE1201ELNS1_3gpuE5ELNS1_3repE0EEENS1_52radix_sort_onesweep_histogram_config_static_selectorELNS0_4arch9wavefront6targetE1EEEvSI_.kd
    .uniform_work_group_size: 1
    .uses_dynamic_stack: false
    .vgpr_count:     0
    .vgpr_spill_count: 0
    .wavefront_size: 64
  - .agpr_count:     0
    .args:
      - .offset:         0
        .size:           40
        .value_kind:     by_value
    .group_segment_fixed_size: 0
    .kernarg_segment_align: 8
    .kernarg_segment_size: 40
    .language:       OpenCL C
    .language_version:
      - 2
      - 0
    .max_flat_workgroup_size: 256
    .name:           _ZN7rocprim17ROCPRIM_400000_NS6detail17trampoline_kernelINS0_14default_configENS1_35radix_sort_onesweep_config_selectorIsNS0_10empty_typeEEEZNS1_34radix_sort_onesweep_global_offsetsIS3_Lb0EN6thrust23THRUST_200600_302600_NS6detail15normal_iteratorINS9_10device_ptrIsEEEEPS5_jNS0_19identity_decomposerEEE10hipError_tT1_T2_PT3_SK_jT4_jjP12ihipStream_tbEUlT_E_NS1_11comp_targetILNS1_3genE9ELNS1_11target_archE1100ELNS1_3gpuE3ELNS1_3repE0EEENS1_52radix_sort_onesweep_histogram_config_static_selectorELNS0_4arch9wavefront6targetE1EEEvSI_
    .private_segment_fixed_size: 0
    .sgpr_count:     4
    .sgpr_spill_count: 0
    .symbol:         _ZN7rocprim17ROCPRIM_400000_NS6detail17trampoline_kernelINS0_14default_configENS1_35radix_sort_onesweep_config_selectorIsNS0_10empty_typeEEEZNS1_34radix_sort_onesweep_global_offsetsIS3_Lb0EN6thrust23THRUST_200600_302600_NS6detail15normal_iteratorINS9_10device_ptrIsEEEEPS5_jNS0_19identity_decomposerEEE10hipError_tT1_T2_PT3_SK_jT4_jjP12ihipStream_tbEUlT_E_NS1_11comp_targetILNS1_3genE9ELNS1_11target_archE1100ELNS1_3gpuE3ELNS1_3repE0EEENS1_52radix_sort_onesweep_histogram_config_static_selectorELNS0_4arch9wavefront6targetE1EEEvSI_.kd
    .uniform_work_group_size: 1
    .uses_dynamic_stack: false
    .vgpr_count:     0
    .vgpr_spill_count: 0
    .wavefront_size: 64
  - .agpr_count:     0
    .args:
      - .offset:         0
        .size:           40
        .value_kind:     by_value
    .group_segment_fixed_size: 0
    .kernarg_segment_align: 8
    .kernarg_segment_size: 40
    .language:       OpenCL C
    .language_version:
      - 2
      - 0
    .max_flat_workgroup_size: 256
    .name:           _ZN7rocprim17ROCPRIM_400000_NS6detail17trampoline_kernelINS0_14default_configENS1_35radix_sort_onesweep_config_selectorIsNS0_10empty_typeEEEZNS1_34radix_sort_onesweep_global_offsetsIS3_Lb0EN6thrust23THRUST_200600_302600_NS6detail15normal_iteratorINS9_10device_ptrIsEEEEPS5_jNS0_19identity_decomposerEEE10hipError_tT1_T2_PT3_SK_jT4_jjP12ihipStream_tbEUlT_E_NS1_11comp_targetILNS1_3genE8ELNS1_11target_archE1030ELNS1_3gpuE2ELNS1_3repE0EEENS1_52radix_sort_onesweep_histogram_config_static_selectorELNS0_4arch9wavefront6targetE1EEEvSI_
    .private_segment_fixed_size: 0
    .sgpr_count:     4
    .sgpr_spill_count: 0
    .symbol:         _ZN7rocprim17ROCPRIM_400000_NS6detail17trampoline_kernelINS0_14default_configENS1_35radix_sort_onesweep_config_selectorIsNS0_10empty_typeEEEZNS1_34radix_sort_onesweep_global_offsetsIS3_Lb0EN6thrust23THRUST_200600_302600_NS6detail15normal_iteratorINS9_10device_ptrIsEEEEPS5_jNS0_19identity_decomposerEEE10hipError_tT1_T2_PT3_SK_jT4_jjP12ihipStream_tbEUlT_E_NS1_11comp_targetILNS1_3genE8ELNS1_11target_archE1030ELNS1_3gpuE2ELNS1_3repE0EEENS1_52radix_sort_onesweep_histogram_config_static_selectorELNS0_4arch9wavefront6targetE1EEEvSI_.kd
    .uniform_work_group_size: 1
    .uses_dynamic_stack: false
    .vgpr_count:     0
    .vgpr_spill_count: 0
    .wavefront_size: 64
  - .agpr_count:     0
    .args:
      - .address_space:  global
        .offset:         0
        .size:           8
        .value_kind:     global_buffer
    .group_segment_fixed_size: 0
    .kernarg_segment_align: 8
    .kernarg_segment_size: 8
    .language:       OpenCL C
    .language_version:
      - 2
      - 0
    .max_flat_workgroup_size: 512
    .name:           _ZN7rocprim17ROCPRIM_400000_NS6detail17trampoline_kernelINS0_14default_configENS1_35radix_sort_onesweep_config_selectorIsNS0_10empty_typeEEEZNS1_34radix_sort_onesweep_global_offsetsIS3_Lb0EN6thrust23THRUST_200600_302600_NS6detail15normal_iteratorINS9_10device_ptrIsEEEEPS5_jNS0_19identity_decomposerEEE10hipError_tT1_T2_PT3_SK_jT4_jjP12ihipStream_tbEUlT_E0_NS1_11comp_targetILNS1_3genE0ELNS1_11target_archE4294967295ELNS1_3gpuE0ELNS1_3repE0EEENS1_52radix_sort_onesweep_histogram_config_static_selectorELNS0_4arch9wavefront6targetE1EEEvSI_
    .private_segment_fixed_size: 0
    .sgpr_count:     4
    .sgpr_spill_count: 0
    .symbol:         _ZN7rocprim17ROCPRIM_400000_NS6detail17trampoline_kernelINS0_14default_configENS1_35radix_sort_onesweep_config_selectorIsNS0_10empty_typeEEEZNS1_34radix_sort_onesweep_global_offsetsIS3_Lb0EN6thrust23THRUST_200600_302600_NS6detail15normal_iteratorINS9_10device_ptrIsEEEEPS5_jNS0_19identity_decomposerEEE10hipError_tT1_T2_PT3_SK_jT4_jjP12ihipStream_tbEUlT_E0_NS1_11comp_targetILNS1_3genE0ELNS1_11target_archE4294967295ELNS1_3gpuE0ELNS1_3repE0EEENS1_52radix_sort_onesweep_histogram_config_static_selectorELNS0_4arch9wavefront6targetE1EEEvSI_.kd
    .uniform_work_group_size: 1
    .uses_dynamic_stack: false
    .vgpr_count:     0
    .vgpr_spill_count: 0
    .wavefront_size: 64
  - .agpr_count:     0
    .args:
      - .address_space:  global
        .offset:         0
        .size:           8
        .value_kind:     global_buffer
    .group_segment_fixed_size: 0
    .kernarg_segment_align: 8
    .kernarg_segment_size: 8
    .language:       OpenCL C
    .language_version:
      - 2
      - 0
    .max_flat_workgroup_size: 1024
    .name:           _ZN7rocprim17ROCPRIM_400000_NS6detail17trampoline_kernelINS0_14default_configENS1_35radix_sort_onesweep_config_selectorIsNS0_10empty_typeEEEZNS1_34radix_sort_onesweep_global_offsetsIS3_Lb0EN6thrust23THRUST_200600_302600_NS6detail15normal_iteratorINS9_10device_ptrIsEEEEPS5_jNS0_19identity_decomposerEEE10hipError_tT1_T2_PT3_SK_jT4_jjP12ihipStream_tbEUlT_E0_NS1_11comp_targetILNS1_3genE6ELNS1_11target_archE950ELNS1_3gpuE13ELNS1_3repE0EEENS1_52radix_sort_onesweep_histogram_config_static_selectorELNS0_4arch9wavefront6targetE1EEEvSI_
    .private_segment_fixed_size: 0
    .sgpr_count:     4
    .sgpr_spill_count: 0
    .symbol:         _ZN7rocprim17ROCPRIM_400000_NS6detail17trampoline_kernelINS0_14default_configENS1_35radix_sort_onesweep_config_selectorIsNS0_10empty_typeEEEZNS1_34radix_sort_onesweep_global_offsetsIS3_Lb0EN6thrust23THRUST_200600_302600_NS6detail15normal_iteratorINS9_10device_ptrIsEEEEPS5_jNS0_19identity_decomposerEEE10hipError_tT1_T2_PT3_SK_jT4_jjP12ihipStream_tbEUlT_E0_NS1_11comp_targetILNS1_3genE6ELNS1_11target_archE950ELNS1_3gpuE13ELNS1_3repE0EEENS1_52radix_sort_onesweep_histogram_config_static_selectorELNS0_4arch9wavefront6targetE1EEEvSI_.kd
    .uniform_work_group_size: 1
    .uses_dynamic_stack: false
    .vgpr_count:     0
    .vgpr_spill_count: 0
    .wavefront_size: 64
  - .agpr_count:     0
    .args:
      - .address_space:  global
        .offset:         0
        .size:           8
        .value_kind:     global_buffer
    .group_segment_fixed_size: 0
    .kernarg_segment_align: 8
    .kernarg_segment_size: 8
    .language:       OpenCL C
    .language_version:
      - 2
      - 0
    .max_flat_workgroup_size: 1024
    .name:           _ZN7rocprim17ROCPRIM_400000_NS6detail17trampoline_kernelINS0_14default_configENS1_35radix_sort_onesweep_config_selectorIsNS0_10empty_typeEEEZNS1_34radix_sort_onesweep_global_offsetsIS3_Lb0EN6thrust23THRUST_200600_302600_NS6detail15normal_iteratorINS9_10device_ptrIsEEEEPS5_jNS0_19identity_decomposerEEE10hipError_tT1_T2_PT3_SK_jT4_jjP12ihipStream_tbEUlT_E0_NS1_11comp_targetILNS1_3genE5ELNS1_11target_archE942ELNS1_3gpuE9ELNS1_3repE0EEENS1_52radix_sort_onesweep_histogram_config_static_selectorELNS0_4arch9wavefront6targetE1EEEvSI_
    .private_segment_fixed_size: 0
    .sgpr_count:     4
    .sgpr_spill_count: 0
    .symbol:         _ZN7rocprim17ROCPRIM_400000_NS6detail17trampoline_kernelINS0_14default_configENS1_35radix_sort_onesweep_config_selectorIsNS0_10empty_typeEEEZNS1_34radix_sort_onesweep_global_offsetsIS3_Lb0EN6thrust23THRUST_200600_302600_NS6detail15normal_iteratorINS9_10device_ptrIsEEEEPS5_jNS0_19identity_decomposerEEE10hipError_tT1_T2_PT3_SK_jT4_jjP12ihipStream_tbEUlT_E0_NS1_11comp_targetILNS1_3genE5ELNS1_11target_archE942ELNS1_3gpuE9ELNS1_3repE0EEENS1_52radix_sort_onesweep_histogram_config_static_selectorELNS0_4arch9wavefront6targetE1EEEvSI_.kd
    .uniform_work_group_size: 1
    .uses_dynamic_stack: false
    .vgpr_count:     0
    .vgpr_spill_count: 0
    .wavefront_size: 64
  - .agpr_count:     0
    .args:
      - .address_space:  global
        .offset:         0
        .size:           8
        .value_kind:     global_buffer
    .group_segment_fixed_size: 0
    .kernarg_segment_align: 8
    .kernarg_segment_size: 8
    .language:       OpenCL C
    .language_version:
      - 2
      - 0
    .max_flat_workgroup_size: 512
    .name:           _ZN7rocprim17ROCPRIM_400000_NS6detail17trampoline_kernelINS0_14default_configENS1_35radix_sort_onesweep_config_selectorIsNS0_10empty_typeEEEZNS1_34radix_sort_onesweep_global_offsetsIS3_Lb0EN6thrust23THRUST_200600_302600_NS6detail15normal_iteratorINS9_10device_ptrIsEEEEPS5_jNS0_19identity_decomposerEEE10hipError_tT1_T2_PT3_SK_jT4_jjP12ihipStream_tbEUlT_E0_NS1_11comp_targetILNS1_3genE2ELNS1_11target_archE906ELNS1_3gpuE6ELNS1_3repE0EEENS1_52radix_sort_onesweep_histogram_config_static_selectorELNS0_4arch9wavefront6targetE1EEEvSI_
    .private_segment_fixed_size: 0
    .sgpr_count:     4
    .sgpr_spill_count: 0
    .symbol:         _ZN7rocprim17ROCPRIM_400000_NS6detail17trampoline_kernelINS0_14default_configENS1_35radix_sort_onesweep_config_selectorIsNS0_10empty_typeEEEZNS1_34radix_sort_onesweep_global_offsetsIS3_Lb0EN6thrust23THRUST_200600_302600_NS6detail15normal_iteratorINS9_10device_ptrIsEEEEPS5_jNS0_19identity_decomposerEEE10hipError_tT1_T2_PT3_SK_jT4_jjP12ihipStream_tbEUlT_E0_NS1_11comp_targetILNS1_3genE2ELNS1_11target_archE906ELNS1_3gpuE6ELNS1_3repE0EEENS1_52radix_sort_onesweep_histogram_config_static_selectorELNS0_4arch9wavefront6targetE1EEEvSI_.kd
    .uniform_work_group_size: 1
    .uses_dynamic_stack: false
    .vgpr_count:     0
    .vgpr_spill_count: 0
    .wavefront_size: 64
  - .agpr_count:     0
    .args:
      - .address_space:  global
        .offset:         0
        .size:           8
        .value_kind:     global_buffer
    .group_segment_fixed_size: 64
    .kernarg_segment_align: 8
    .kernarg_segment_size: 8
    .language:       OpenCL C
    .language_version:
      - 2
      - 0
    .max_flat_workgroup_size: 1024
    .name:           _ZN7rocprim17ROCPRIM_400000_NS6detail17trampoline_kernelINS0_14default_configENS1_35radix_sort_onesweep_config_selectorIsNS0_10empty_typeEEEZNS1_34radix_sort_onesweep_global_offsetsIS3_Lb0EN6thrust23THRUST_200600_302600_NS6detail15normal_iteratorINS9_10device_ptrIsEEEEPS5_jNS0_19identity_decomposerEEE10hipError_tT1_T2_PT3_SK_jT4_jjP12ihipStream_tbEUlT_E0_NS1_11comp_targetILNS1_3genE4ELNS1_11target_archE910ELNS1_3gpuE8ELNS1_3repE0EEENS1_52radix_sort_onesweep_histogram_config_static_selectorELNS0_4arch9wavefront6targetE1EEEvSI_
    .private_segment_fixed_size: 0
    .sgpr_count:     18
    .sgpr_spill_count: 0
    .symbol:         _ZN7rocprim17ROCPRIM_400000_NS6detail17trampoline_kernelINS0_14default_configENS1_35radix_sort_onesweep_config_selectorIsNS0_10empty_typeEEEZNS1_34radix_sort_onesweep_global_offsetsIS3_Lb0EN6thrust23THRUST_200600_302600_NS6detail15normal_iteratorINS9_10device_ptrIsEEEEPS5_jNS0_19identity_decomposerEEE10hipError_tT1_T2_PT3_SK_jT4_jjP12ihipStream_tbEUlT_E0_NS1_11comp_targetILNS1_3genE4ELNS1_11target_archE910ELNS1_3gpuE8ELNS1_3repE0EEENS1_52radix_sort_onesweep_histogram_config_static_selectorELNS0_4arch9wavefront6targetE1EEEvSI_.kd
    .uniform_work_group_size: 1
    .uses_dynamic_stack: false
    .vgpr_count:     7
    .vgpr_spill_count: 0
    .wavefront_size: 64
  - .agpr_count:     0
    .args:
      - .address_space:  global
        .offset:         0
        .size:           8
        .value_kind:     global_buffer
    .group_segment_fixed_size: 0
    .kernarg_segment_align: 8
    .kernarg_segment_size: 8
    .language:       OpenCL C
    .language_version:
      - 2
      - 0
    .max_flat_workgroup_size: 512
    .name:           _ZN7rocprim17ROCPRIM_400000_NS6detail17trampoline_kernelINS0_14default_configENS1_35radix_sort_onesweep_config_selectorIsNS0_10empty_typeEEEZNS1_34radix_sort_onesweep_global_offsetsIS3_Lb0EN6thrust23THRUST_200600_302600_NS6detail15normal_iteratorINS9_10device_ptrIsEEEEPS5_jNS0_19identity_decomposerEEE10hipError_tT1_T2_PT3_SK_jT4_jjP12ihipStream_tbEUlT_E0_NS1_11comp_targetILNS1_3genE3ELNS1_11target_archE908ELNS1_3gpuE7ELNS1_3repE0EEENS1_52radix_sort_onesweep_histogram_config_static_selectorELNS0_4arch9wavefront6targetE1EEEvSI_
    .private_segment_fixed_size: 0
    .sgpr_count:     4
    .sgpr_spill_count: 0
    .symbol:         _ZN7rocprim17ROCPRIM_400000_NS6detail17trampoline_kernelINS0_14default_configENS1_35radix_sort_onesweep_config_selectorIsNS0_10empty_typeEEEZNS1_34radix_sort_onesweep_global_offsetsIS3_Lb0EN6thrust23THRUST_200600_302600_NS6detail15normal_iteratorINS9_10device_ptrIsEEEEPS5_jNS0_19identity_decomposerEEE10hipError_tT1_T2_PT3_SK_jT4_jjP12ihipStream_tbEUlT_E0_NS1_11comp_targetILNS1_3genE3ELNS1_11target_archE908ELNS1_3gpuE7ELNS1_3repE0EEENS1_52radix_sort_onesweep_histogram_config_static_selectorELNS0_4arch9wavefront6targetE1EEEvSI_.kd
    .uniform_work_group_size: 1
    .uses_dynamic_stack: false
    .vgpr_count:     0
    .vgpr_spill_count: 0
    .wavefront_size: 64
  - .agpr_count:     0
    .args:
      - .address_space:  global
        .offset:         0
        .size:           8
        .value_kind:     global_buffer
    .group_segment_fixed_size: 0
    .kernarg_segment_align: 8
    .kernarg_segment_size: 8
    .language:       OpenCL C
    .language_version:
      - 2
      - 0
    .max_flat_workgroup_size: 256
    .name:           _ZN7rocprim17ROCPRIM_400000_NS6detail17trampoline_kernelINS0_14default_configENS1_35radix_sort_onesweep_config_selectorIsNS0_10empty_typeEEEZNS1_34radix_sort_onesweep_global_offsetsIS3_Lb0EN6thrust23THRUST_200600_302600_NS6detail15normal_iteratorINS9_10device_ptrIsEEEEPS5_jNS0_19identity_decomposerEEE10hipError_tT1_T2_PT3_SK_jT4_jjP12ihipStream_tbEUlT_E0_NS1_11comp_targetILNS1_3genE10ELNS1_11target_archE1201ELNS1_3gpuE5ELNS1_3repE0EEENS1_52radix_sort_onesweep_histogram_config_static_selectorELNS0_4arch9wavefront6targetE1EEEvSI_
    .private_segment_fixed_size: 0
    .sgpr_count:     4
    .sgpr_spill_count: 0
    .symbol:         _ZN7rocprim17ROCPRIM_400000_NS6detail17trampoline_kernelINS0_14default_configENS1_35radix_sort_onesweep_config_selectorIsNS0_10empty_typeEEEZNS1_34radix_sort_onesweep_global_offsetsIS3_Lb0EN6thrust23THRUST_200600_302600_NS6detail15normal_iteratorINS9_10device_ptrIsEEEEPS5_jNS0_19identity_decomposerEEE10hipError_tT1_T2_PT3_SK_jT4_jjP12ihipStream_tbEUlT_E0_NS1_11comp_targetILNS1_3genE10ELNS1_11target_archE1201ELNS1_3gpuE5ELNS1_3repE0EEENS1_52radix_sort_onesweep_histogram_config_static_selectorELNS0_4arch9wavefront6targetE1EEEvSI_.kd
    .uniform_work_group_size: 1
    .uses_dynamic_stack: false
    .vgpr_count:     0
    .vgpr_spill_count: 0
    .wavefront_size: 64
  - .agpr_count:     0
    .args:
      - .address_space:  global
        .offset:         0
        .size:           8
        .value_kind:     global_buffer
    .group_segment_fixed_size: 0
    .kernarg_segment_align: 8
    .kernarg_segment_size: 8
    .language:       OpenCL C
    .language_version:
      - 2
      - 0
    .max_flat_workgroup_size: 256
    .name:           _ZN7rocprim17ROCPRIM_400000_NS6detail17trampoline_kernelINS0_14default_configENS1_35radix_sort_onesweep_config_selectorIsNS0_10empty_typeEEEZNS1_34radix_sort_onesweep_global_offsetsIS3_Lb0EN6thrust23THRUST_200600_302600_NS6detail15normal_iteratorINS9_10device_ptrIsEEEEPS5_jNS0_19identity_decomposerEEE10hipError_tT1_T2_PT3_SK_jT4_jjP12ihipStream_tbEUlT_E0_NS1_11comp_targetILNS1_3genE9ELNS1_11target_archE1100ELNS1_3gpuE3ELNS1_3repE0EEENS1_52radix_sort_onesweep_histogram_config_static_selectorELNS0_4arch9wavefront6targetE1EEEvSI_
    .private_segment_fixed_size: 0
    .sgpr_count:     4
    .sgpr_spill_count: 0
    .symbol:         _ZN7rocprim17ROCPRIM_400000_NS6detail17trampoline_kernelINS0_14default_configENS1_35radix_sort_onesweep_config_selectorIsNS0_10empty_typeEEEZNS1_34radix_sort_onesweep_global_offsetsIS3_Lb0EN6thrust23THRUST_200600_302600_NS6detail15normal_iteratorINS9_10device_ptrIsEEEEPS5_jNS0_19identity_decomposerEEE10hipError_tT1_T2_PT3_SK_jT4_jjP12ihipStream_tbEUlT_E0_NS1_11comp_targetILNS1_3genE9ELNS1_11target_archE1100ELNS1_3gpuE3ELNS1_3repE0EEENS1_52radix_sort_onesweep_histogram_config_static_selectorELNS0_4arch9wavefront6targetE1EEEvSI_.kd
    .uniform_work_group_size: 1
    .uses_dynamic_stack: false
    .vgpr_count:     0
    .vgpr_spill_count: 0
    .wavefront_size: 64
  - .agpr_count:     0
    .args:
      - .address_space:  global
        .offset:         0
        .size:           8
        .value_kind:     global_buffer
    .group_segment_fixed_size: 0
    .kernarg_segment_align: 8
    .kernarg_segment_size: 8
    .language:       OpenCL C
    .language_version:
      - 2
      - 0
    .max_flat_workgroup_size: 256
    .name:           _ZN7rocprim17ROCPRIM_400000_NS6detail17trampoline_kernelINS0_14default_configENS1_35radix_sort_onesweep_config_selectorIsNS0_10empty_typeEEEZNS1_34radix_sort_onesweep_global_offsetsIS3_Lb0EN6thrust23THRUST_200600_302600_NS6detail15normal_iteratorINS9_10device_ptrIsEEEEPS5_jNS0_19identity_decomposerEEE10hipError_tT1_T2_PT3_SK_jT4_jjP12ihipStream_tbEUlT_E0_NS1_11comp_targetILNS1_3genE8ELNS1_11target_archE1030ELNS1_3gpuE2ELNS1_3repE0EEENS1_52radix_sort_onesweep_histogram_config_static_selectorELNS0_4arch9wavefront6targetE1EEEvSI_
    .private_segment_fixed_size: 0
    .sgpr_count:     4
    .sgpr_spill_count: 0
    .symbol:         _ZN7rocprim17ROCPRIM_400000_NS6detail17trampoline_kernelINS0_14default_configENS1_35radix_sort_onesweep_config_selectorIsNS0_10empty_typeEEEZNS1_34radix_sort_onesweep_global_offsetsIS3_Lb0EN6thrust23THRUST_200600_302600_NS6detail15normal_iteratorINS9_10device_ptrIsEEEEPS5_jNS0_19identity_decomposerEEE10hipError_tT1_T2_PT3_SK_jT4_jjP12ihipStream_tbEUlT_E0_NS1_11comp_targetILNS1_3genE8ELNS1_11target_archE1030ELNS1_3gpuE2ELNS1_3repE0EEENS1_52radix_sort_onesweep_histogram_config_static_selectorELNS0_4arch9wavefront6targetE1EEEvSI_.kd
    .uniform_work_group_size: 1
    .uses_dynamic_stack: false
    .vgpr_count:     0
    .vgpr_spill_count: 0
    .wavefront_size: 64
  - .agpr_count:     0
    .args:
      - .offset:         0
        .size:           40
        .value_kind:     by_value
    .group_segment_fixed_size: 0
    .kernarg_segment_align: 8
    .kernarg_segment_size: 40
    .language:       OpenCL C
    .language_version:
      - 2
      - 0
    .max_flat_workgroup_size: 128
    .name:           _ZN7rocprim17ROCPRIM_400000_NS6detail17trampoline_kernelINS0_14default_configENS1_25transform_config_selectorIsLb0EEEZNS1_14transform_implILb0ES3_S5_N6thrust23THRUST_200600_302600_NS6detail15normal_iteratorINS8_10device_ptrIsEEEEPsNS0_8identityIsEEEE10hipError_tT2_T3_mT4_P12ihipStream_tbEUlT_E_NS1_11comp_targetILNS1_3genE0ELNS1_11target_archE4294967295ELNS1_3gpuE0ELNS1_3repE0EEENS1_30default_config_static_selectorELNS0_4arch9wavefront6targetE1EEEvT1_
    .private_segment_fixed_size: 0
    .sgpr_count:     4
    .sgpr_spill_count: 0
    .symbol:         _ZN7rocprim17ROCPRIM_400000_NS6detail17trampoline_kernelINS0_14default_configENS1_25transform_config_selectorIsLb0EEEZNS1_14transform_implILb0ES3_S5_N6thrust23THRUST_200600_302600_NS6detail15normal_iteratorINS8_10device_ptrIsEEEEPsNS0_8identityIsEEEE10hipError_tT2_T3_mT4_P12ihipStream_tbEUlT_E_NS1_11comp_targetILNS1_3genE0ELNS1_11target_archE4294967295ELNS1_3gpuE0ELNS1_3repE0EEENS1_30default_config_static_selectorELNS0_4arch9wavefront6targetE1EEEvT1_.kd
    .uniform_work_group_size: 1
    .uses_dynamic_stack: false
    .vgpr_count:     0
    .vgpr_spill_count: 0
    .wavefront_size: 64
  - .agpr_count:     0
    .args:
      - .offset:         0
        .size:           40
        .value_kind:     by_value
    .group_segment_fixed_size: 0
    .kernarg_segment_align: 8
    .kernarg_segment_size: 40
    .language:       OpenCL C
    .language_version:
      - 2
      - 0
    .max_flat_workgroup_size: 256
    .name:           _ZN7rocprim17ROCPRIM_400000_NS6detail17trampoline_kernelINS0_14default_configENS1_25transform_config_selectorIsLb0EEEZNS1_14transform_implILb0ES3_S5_N6thrust23THRUST_200600_302600_NS6detail15normal_iteratorINS8_10device_ptrIsEEEEPsNS0_8identityIsEEEE10hipError_tT2_T3_mT4_P12ihipStream_tbEUlT_E_NS1_11comp_targetILNS1_3genE5ELNS1_11target_archE942ELNS1_3gpuE9ELNS1_3repE0EEENS1_30default_config_static_selectorELNS0_4arch9wavefront6targetE1EEEvT1_
    .private_segment_fixed_size: 0
    .sgpr_count:     4
    .sgpr_spill_count: 0
    .symbol:         _ZN7rocprim17ROCPRIM_400000_NS6detail17trampoline_kernelINS0_14default_configENS1_25transform_config_selectorIsLb0EEEZNS1_14transform_implILb0ES3_S5_N6thrust23THRUST_200600_302600_NS6detail15normal_iteratorINS8_10device_ptrIsEEEEPsNS0_8identityIsEEEE10hipError_tT2_T3_mT4_P12ihipStream_tbEUlT_E_NS1_11comp_targetILNS1_3genE5ELNS1_11target_archE942ELNS1_3gpuE9ELNS1_3repE0EEENS1_30default_config_static_selectorELNS0_4arch9wavefront6targetE1EEEvT1_.kd
    .uniform_work_group_size: 1
    .uses_dynamic_stack: false
    .vgpr_count:     0
    .vgpr_spill_count: 0
    .wavefront_size: 64
  - .agpr_count:     0
    .args:
      - .offset:         0
        .size:           40
        .value_kind:     by_value
      - .offset:         40
        .size:           4
        .value_kind:     hidden_block_count_x
      - .offset:         44
        .size:           4
        .value_kind:     hidden_block_count_y
      - .offset:         48
        .size:           4
        .value_kind:     hidden_block_count_z
      - .offset:         52
        .size:           2
        .value_kind:     hidden_group_size_x
      - .offset:         54
        .size:           2
        .value_kind:     hidden_group_size_y
      - .offset:         56
        .size:           2
        .value_kind:     hidden_group_size_z
      - .offset:         58
        .size:           2
        .value_kind:     hidden_remainder_x
      - .offset:         60
        .size:           2
        .value_kind:     hidden_remainder_y
      - .offset:         62
        .size:           2
        .value_kind:     hidden_remainder_z
      - .offset:         80
        .size:           8
        .value_kind:     hidden_global_offset_x
      - .offset:         88
        .size:           8
        .value_kind:     hidden_global_offset_y
      - .offset:         96
        .size:           8
        .value_kind:     hidden_global_offset_z
      - .offset:         104
        .size:           2
        .value_kind:     hidden_grid_dims
    .group_segment_fixed_size: 0
    .kernarg_segment_align: 8
    .kernarg_segment_size: 296
    .language:       OpenCL C
    .language_version:
      - 2
      - 0
    .max_flat_workgroup_size: 64
    .name:           _ZN7rocprim17ROCPRIM_400000_NS6detail17trampoline_kernelINS0_14default_configENS1_25transform_config_selectorIsLb0EEEZNS1_14transform_implILb0ES3_S5_N6thrust23THRUST_200600_302600_NS6detail15normal_iteratorINS8_10device_ptrIsEEEEPsNS0_8identityIsEEEE10hipError_tT2_T3_mT4_P12ihipStream_tbEUlT_E_NS1_11comp_targetILNS1_3genE4ELNS1_11target_archE910ELNS1_3gpuE8ELNS1_3repE0EEENS1_30default_config_static_selectorELNS0_4arch9wavefront6targetE1EEEvT1_
    .private_segment_fixed_size: 0
    .sgpr_count:     30
    .sgpr_spill_count: 0
    .symbol:         _ZN7rocprim17ROCPRIM_400000_NS6detail17trampoline_kernelINS0_14default_configENS1_25transform_config_selectorIsLb0EEEZNS1_14transform_implILb0ES3_S5_N6thrust23THRUST_200600_302600_NS6detail15normal_iteratorINS8_10device_ptrIsEEEEPsNS0_8identityIsEEEE10hipError_tT2_T3_mT4_P12ihipStream_tbEUlT_E_NS1_11comp_targetILNS1_3genE4ELNS1_11target_archE910ELNS1_3gpuE8ELNS1_3repE0EEENS1_30default_config_static_selectorELNS0_4arch9wavefront6targetE1EEEvT1_.kd
    .uniform_work_group_size: 1
    .uses_dynamic_stack: false
    .vgpr_count:     14
    .vgpr_spill_count: 0
    .wavefront_size: 64
  - .agpr_count:     0
    .args:
      - .offset:         0
        .size:           40
        .value_kind:     by_value
    .group_segment_fixed_size: 0
    .kernarg_segment_align: 8
    .kernarg_segment_size: 40
    .language:       OpenCL C
    .language_version:
      - 2
      - 0
    .max_flat_workgroup_size: 128
    .name:           _ZN7rocprim17ROCPRIM_400000_NS6detail17trampoline_kernelINS0_14default_configENS1_25transform_config_selectorIsLb0EEEZNS1_14transform_implILb0ES3_S5_N6thrust23THRUST_200600_302600_NS6detail15normal_iteratorINS8_10device_ptrIsEEEEPsNS0_8identityIsEEEE10hipError_tT2_T3_mT4_P12ihipStream_tbEUlT_E_NS1_11comp_targetILNS1_3genE3ELNS1_11target_archE908ELNS1_3gpuE7ELNS1_3repE0EEENS1_30default_config_static_selectorELNS0_4arch9wavefront6targetE1EEEvT1_
    .private_segment_fixed_size: 0
    .sgpr_count:     4
    .sgpr_spill_count: 0
    .symbol:         _ZN7rocprim17ROCPRIM_400000_NS6detail17trampoline_kernelINS0_14default_configENS1_25transform_config_selectorIsLb0EEEZNS1_14transform_implILb0ES3_S5_N6thrust23THRUST_200600_302600_NS6detail15normal_iteratorINS8_10device_ptrIsEEEEPsNS0_8identityIsEEEE10hipError_tT2_T3_mT4_P12ihipStream_tbEUlT_E_NS1_11comp_targetILNS1_3genE3ELNS1_11target_archE908ELNS1_3gpuE7ELNS1_3repE0EEENS1_30default_config_static_selectorELNS0_4arch9wavefront6targetE1EEEvT1_.kd
    .uniform_work_group_size: 1
    .uses_dynamic_stack: false
    .vgpr_count:     0
    .vgpr_spill_count: 0
    .wavefront_size: 64
  - .agpr_count:     0
    .args:
      - .offset:         0
        .size:           40
        .value_kind:     by_value
    .group_segment_fixed_size: 0
    .kernarg_segment_align: 8
    .kernarg_segment_size: 40
    .language:       OpenCL C
    .language_version:
      - 2
      - 0
    .max_flat_workgroup_size: 512
    .name:           _ZN7rocprim17ROCPRIM_400000_NS6detail17trampoline_kernelINS0_14default_configENS1_25transform_config_selectorIsLb0EEEZNS1_14transform_implILb0ES3_S5_N6thrust23THRUST_200600_302600_NS6detail15normal_iteratorINS8_10device_ptrIsEEEEPsNS0_8identityIsEEEE10hipError_tT2_T3_mT4_P12ihipStream_tbEUlT_E_NS1_11comp_targetILNS1_3genE2ELNS1_11target_archE906ELNS1_3gpuE6ELNS1_3repE0EEENS1_30default_config_static_selectorELNS0_4arch9wavefront6targetE1EEEvT1_
    .private_segment_fixed_size: 0
    .sgpr_count:     4
    .sgpr_spill_count: 0
    .symbol:         _ZN7rocprim17ROCPRIM_400000_NS6detail17trampoline_kernelINS0_14default_configENS1_25transform_config_selectorIsLb0EEEZNS1_14transform_implILb0ES3_S5_N6thrust23THRUST_200600_302600_NS6detail15normal_iteratorINS8_10device_ptrIsEEEEPsNS0_8identityIsEEEE10hipError_tT2_T3_mT4_P12ihipStream_tbEUlT_E_NS1_11comp_targetILNS1_3genE2ELNS1_11target_archE906ELNS1_3gpuE6ELNS1_3repE0EEENS1_30default_config_static_selectorELNS0_4arch9wavefront6targetE1EEEvT1_.kd
    .uniform_work_group_size: 1
    .uses_dynamic_stack: false
    .vgpr_count:     0
    .vgpr_spill_count: 0
    .wavefront_size: 64
  - .agpr_count:     0
    .args:
      - .offset:         0
        .size:           40
        .value_kind:     by_value
    .group_segment_fixed_size: 0
    .kernarg_segment_align: 8
    .kernarg_segment_size: 40
    .language:       OpenCL C
    .language_version:
      - 2
      - 0
    .max_flat_workgroup_size: 1024
    .name:           _ZN7rocprim17ROCPRIM_400000_NS6detail17trampoline_kernelINS0_14default_configENS1_25transform_config_selectorIsLb0EEEZNS1_14transform_implILb0ES3_S5_N6thrust23THRUST_200600_302600_NS6detail15normal_iteratorINS8_10device_ptrIsEEEEPsNS0_8identityIsEEEE10hipError_tT2_T3_mT4_P12ihipStream_tbEUlT_E_NS1_11comp_targetILNS1_3genE10ELNS1_11target_archE1201ELNS1_3gpuE5ELNS1_3repE0EEENS1_30default_config_static_selectorELNS0_4arch9wavefront6targetE1EEEvT1_
    .private_segment_fixed_size: 0
    .sgpr_count:     4
    .sgpr_spill_count: 0
    .symbol:         _ZN7rocprim17ROCPRIM_400000_NS6detail17trampoline_kernelINS0_14default_configENS1_25transform_config_selectorIsLb0EEEZNS1_14transform_implILb0ES3_S5_N6thrust23THRUST_200600_302600_NS6detail15normal_iteratorINS8_10device_ptrIsEEEEPsNS0_8identityIsEEEE10hipError_tT2_T3_mT4_P12ihipStream_tbEUlT_E_NS1_11comp_targetILNS1_3genE10ELNS1_11target_archE1201ELNS1_3gpuE5ELNS1_3repE0EEENS1_30default_config_static_selectorELNS0_4arch9wavefront6targetE1EEEvT1_.kd
    .uniform_work_group_size: 1
    .uses_dynamic_stack: false
    .vgpr_count:     0
    .vgpr_spill_count: 0
    .wavefront_size: 64
  - .agpr_count:     0
    .args:
      - .offset:         0
        .size:           40
        .value_kind:     by_value
    .group_segment_fixed_size: 0
    .kernarg_segment_align: 8
    .kernarg_segment_size: 40
    .language:       OpenCL C
    .language_version:
      - 2
      - 0
    .max_flat_workgroup_size: 512
    .name:           _ZN7rocprim17ROCPRIM_400000_NS6detail17trampoline_kernelINS0_14default_configENS1_25transform_config_selectorIsLb0EEEZNS1_14transform_implILb0ES3_S5_N6thrust23THRUST_200600_302600_NS6detail15normal_iteratorINS8_10device_ptrIsEEEEPsNS0_8identityIsEEEE10hipError_tT2_T3_mT4_P12ihipStream_tbEUlT_E_NS1_11comp_targetILNS1_3genE10ELNS1_11target_archE1200ELNS1_3gpuE4ELNS1_3repE0EEENS1_30default_config_static_selectorELNS0_4arch9wavefront6targetE1EEEvT1_
    .private_segment_fixed_size: 0
    .sgpr_count:     4
    .sgpr_spill_count: 0
    .symbol:         _ZN7rocprim17ROCPRIM_400000_NS6detail17trampoline_kernelINS0_14default_configENS1_25transform_config_selectorIsLb0EEEZNS1_14transform_implILb0ES3_S5_N6thrust23THRUST_200600_302600_NS6detail15normal_iteratorINS8_10device_ptrIsEEEEPsNS0_8identityIsEEEE10hipError_tT2_T3_mT4_P12ihipStream_tbEUlT_E_NS1_11comp_targetILNS1_3genE10ELNS1_11target_archE1200ELNS1_3gpuE4ELNS1_3repE0EEENS1_30default_config_static_selectorELNS0_4arch9wavefront6targetE1EEEvT1_.kd
    .uniform_work_group_size: 1
    .uses_dynamic_stack: false
    .vgpr_count:     0
    .vgpr_spill_count: 0
    .wavefront_size: 64
  - .agpr_count:     0
    .args:
      - .offset:         0
        .size:           40
        .value_kind:     by_value
    .group_segment_fixed_size: 0
    .kernarg_segment_align: 8
    .kernarg_segment_size: 40
    .language:       OpenCL C
    .language_version:
      - 2
      - 0
    .max_flat_workgroup_size: 1024
    .name:           _ZN7rocprim17ROCPRIM_400000_NS6detail17trampoline_kernelINS0_14default_configENS1_25transform_config_selectorIsLb0EEEZNS1_14transform_implILb0ES3_S5_N6thrust23THRUST_200600_302600_NS6detail15normal_iteratorINS8_10device_ptrIsEEEEPsNS0_8identityIsEEEE10hipError_tT2_T3_mT4_P12ihipStream_tbEUlT_E_NS1_11comp_targetILNS1_3genE9ELNS1_11target_archE1100ELNS1_3gpuE3ELNS1_3repE0EEENS1_30default_config_static_selectorELNS0_4arch9wavefront6targetE1EEEvT1_
    .private_segment_fixed_size: 0
    .sgpr_count:     4
    .sgpr_spill_count: 0
    .symbol:         _ZN7rocprim17ROCPRIM_400000_NS6detail17trampoline_kernelINS0_14default_configENS1_25transform_config_selectorIsLb0EEEZNS1_14transform_implILb0ES3_S5_N6thrust23THRUST_200600_302600_NS6detail15normal_iteratorINS8_10device_ptrIsEEEEPsNS0_8identityIsEEEE10hipError_tT2_T3_mT4_P12ihipStream_tbEUlT_E_NS1_11comp_targetILNS1_3genE9ELNS1_11target_archE1100ELNS1_3gpuE3ELNS1_3repE0EEENS1_30default_config_static_selectorELNS0_4arch9wavefront6targetE1EEEvT1_.kd
    .uniform_work_group_size: 1
    .uses_dynamic_stack: false
    .vgpr_count:     0
    .vgpr_spill_count: 0
    .wavefront_size: 64
  - .agpr_count:     0
    .args:
      - .offset:         0
        .size:           40
        .value_kind:     by_value
    .group_segment_fixed_size: 0
    .kernarg_segment_align: 8
    .kernarg_segment_size: 40
    .language:       OpenCL C
    .language_version:
      - 2
      - 0
    .max_flat_workgroup_size: 1024
    .name:           _ZN7rocprim17ROCPRIM_400000_NS6detail17trampoline_kernelINS0_14default_configENS1_25transform_config_selectorIsLb0EEEZNS1_14transform_implILb0ES3_S5_N6thrust23THRUST_200600_302600_NS6detail15normal_iteratorINS8_10device_ptrIsEEEEPsNS0_8identityIsEEEE10hipError_tT2_T3_mT4_P12ihipStream_tbEUlT_E_NS1_11comp_targetILNS1_3genE8ELNS1_11target_archE1030ELNS1_3gpuE2ELNS1_3repE0EEENS1_30default_config_static_selectorELNS0_4arch9wavefront6targetE1EEEvT1_
    .private_segment_fixed_size: 0
    .sgpr_count:     4
    .sgpr_spill_count: 0
    .symbol:         _ZN7rocprim17ROCPRIM_400000_NS6detail17trampoline_kernelINS0_14default_configENS1_25transform_config_selectorIsLb0EEEZNS1_14transform_implILb0ES3_S5_N6thrust23THRUST_200600_302600_NS6detail15normal_iteratorINS8_10device_ptrIsEEEEPsNS0_8identityIsEEEE10hipError_tT2_T3_mT4_P12ihipStream_tbEUlT_E_NS1_11comp_targetILNS1_3genE8ELNS1_11target_archE1030ELNS1_3gpuE2ELNS1_3repE0EEENS1_30default_config_static_selectorELNS0_4arch9wavefront6targetE1EEEvT1_.kd
    .uniform_work_group_size: 1
    .uses_dynamic_stack: false
    .vgpr_count:     0
    .vgpr_spill_count: 0
    .wavefront_size: 64
  - .agpr_count:     0
    .args:
      - .offset:         0
        .size:           88
        .value_kind:     by_value
    .group_segment_fixed_size: 0
    .kernarg_segment_align: 8
    .kernarg_segment_size: 88
    .language:       OpenCL C
    .language_version:
      - 2
      - 0
    .max_flat_workgroup_size: 512
    .name:           _ZN7rocprim17ROCPRIM_400000_NS6detail17trampoline_kernelINS0_14default_configENS1_35radix_sort_onesweep_config_selectorIsNS0_10empty_typeEEEZZNS1_29radix_sort_onesweep_iterationIS3_Lb0EN6thrust23THRUST_200600_302600_NS6detail15normal_iteratorINS9_10device_ptrIsEEEESE_PS5_SF_jNS0_19identity_decomposerENS1_16block_id_wrapperIjLb1EEEEE10hipError_tT1_PNSt15iterator_traitsISK_E10value_typeET2_T3_PNSL_ISQ_E10value_typeET4_T5_PSV_SW_PNS1_23onesweep_lookback_stateEbbT6_jjT7_P12ihipStream_tbENKUlT_T0_SK_SP_E_clISE_SE_SF_SF_EEDaS13_S14_SK_SP_EUlS13_E_NS1_11comp_targetILNS1_3genE0ELNS1_11target_archE4294967295ELNS1_3gpuE0ELNS1_3repE0EEENS1_47radix_sort_onesweep_sort_config_static_selectorELNS0_4arch9wavefront6targetE1EEEvSK_
    .private_segment_fixed_size: 0
    .sgpr_count:     4
    .sgpr_spill_count: 0
    .symbol:         _ZN7rocprim17ROCPRIM_400000_NS6detail17trampoline_kernelINS0_14default_configENS1_35radix_sort_onesweep_config_selectorIsNS0_10empty_typeEEEZZNS1_29radix_sort_onesweep_iterationIS3_Lb0EN6thrust23THRUST_200600_302600_NS6detail15normal_iteratorINS9_10device_ptrIsEEEESE_PS5_SF_jNS0_19identity_decomposerENS1_16block_id_wrapperIjLb1EEEEE10hipError_tT1_PNSt15iterator_traitsISK_E10value_typeET2_T3_PNSL_ISQ_E10value_typeET4_T5_PSV_SW_PNS1_23onesweep_lookback_stateEbbT6_jjT7_P12ihipStream_tbENKUlT_T0_SK_SP_E_clISE_SE_SF_SF_EEDaS13_S14_SK_SP_EUlS13_E_NS1_11comp_targetILNS1_3genE0ELNS1_11target_archE4294967295ELNS1_3gpuE0ELNS1_3repE0EEENS1_47radix_sort_onesweep_sort_config_static_selectorELNS0_4arch9wavefront6targetE1EEEvSK_.kd
    .uniform_work_group_size: 1
    .uses_dynamic_stack: false
    .vgpr_count:     0
    .vgpr_spill_count: 0
    .wavefront_size: 64
  - .agpr_count:     0
    .args:
      - .offset:         0
        .size:           88
        .value_kind:     by_value
    .group_segment_fixed_size: 0
    .kernarg_segment_align: 8
    .kernarg_segment_size: 88
    .language:       OpenCL C
    .language_version:
      - 2
      - 0
    .max_flat_workgroup_size: 1024
    .name:           _ZN7rocprim17ROCPRIM_400000_NS6detail17trampoline_kernelINS0_14default_configENS1_35radix_sort_onesweep_config_selectorIsNS0_10empty_typeEEEZZNS1_29radix_sort_onesweep_iterationIS3_Lb0EN6thrust23THRUST_200600_302600_NS6detail15normal_iteratorINS9_10device_ptrIsEEEESE_PS5_SF_jNS0_19identity_decomposerENS1_16block_id_wrapperIjLb1EEEEE10hipError_tT1_PNSt15iterator_traitsISK_E10value_typeET2_T3_PNSL_ISQ_E10value_typeET4_T5_PSV_SW_PNS1_23onesweep_lookback_stateEbbT6_jjT7_P12ihipStream_tbENKUlT_T0_SK_SP_E_clISE_SE_SF_SF_EEDaS13_S14_SK_SP_EUlS13_E_NS1_11comp_targetILNS1_3genE6ELNS1_11target_archE950ELNS1_3gpuE13ELNS1_3repE0EEENS1_47radix_sort_onesweep_sort_config_static_selectorELNS0_4arch9wavefront6targetE1EEEvSK_
    .private_segment_fixed_size: 0
    .sgpr_count:     4
    .sgpr_spill_count: 0
    .symbol:         _ZN7rocprim17ROCPRIM_400000_NS6detail17trampoline_kernelINS0_14default_configENS1_35radix_sort_onesweep_config_selectorIsNS0_10empty_typeEEEZZNS1_29radix_sort_onesweep_iterationIS3_Lb0EN6thrust23THRUST_200600_302600_NS6detail15normal_iteratorINS9_10device_ptrIsEEEESE_PS5_SF_jNS0_19identity_decomposerENS1_16block_id_wrapperIjLb1EEEEE10hipError_tT1_PNSt15iterator_traitsISK_E10value_typeET2_T3_PNSL_ISQ_E10value_typeET4_T5_PSV_SW_PNS1_23onesweep_lookback_stateEbbT6_jjT7_P12ihipStream_tbENKUlT_T0_SK_SP_E_clISE_SE_SF_SF_EEDaS13_S14_SK_SP_EUlS13_E_NS1_11comp_targetILNS1_3genE6ELNS1_11target_archE950ELNS1_3gpuE13ELNS1_3repE0EEENS1_47radix_sort_onesweep_sort_config_static_selectorELNS0_4arch9wavefront6targetE1EEEvSK_.kd
    .uniform_work_group_size: 1
    .uses_dynamic_stack: false
    .vgpr_count:     0
    .vgpr_spill_count: 0
    .wavefront_size: 64
  - .agpr_count:     0
    .args:
      - .offset:         0
        .size:           88
        .value_kind:     by_value
    .group_segment_fixed_size: 0
    .kernarg_segment_align: 8
    .kernarg_segment_size: 88
    .language:       OpenCL C
    .language_version:
      - 2
      - 0
    .max_flat_workgroup_size: 1024
    .name:           _ZN7rocprim17ROCPRIM_400000_NS6detail17trampoline_kernelINS0_14default_configENS1_35radix_sort_onesweep_config_selectorIsNS0_10empty_typeEEEZZNS1_29radix_sort_onesweep_iterationIS3_Lb0EN6thrust23THRUST_200600_302600_NS6detail15normal_iteratorINS9_10device_ptrIsEEEESE_PS5_SF_jNS0_19identity_decomposerENS1_16block_id_wrapperIjLb1EEEEE10hipError_tT1_PNSt15iterator_traitsISK_E10value_typeET2_T3_PNSL_ISQ_E10value_typeET4_T5_PSV_SW_PNS1_23onesweep_lookback_stateEbbT6_jjT7_P12ihipStream_tbENKUlT_T0_SK_SP_E_clISE_SE_SF_SF_EEDaS13_S14_SK_SP_EUlS13_E_NS1_11comp_targetILNS1_3genE5ELNS1_11target_archE942ELNS1_3gpuE9ELNS1_3repE0EEENS1_47radix_sort_onesweep_sort_config_static_selectorELNS0_4arch9wavefront6targetE1EEEvSK_
    .private_segment_fixed_size: 0
    .sgpr_count:     4
    .sgpr_spill_count: 0
    .symbol:         _ZN7rocprim17ROCPRIM_400000_NS6detail17trampoline_kernelINS0_14default_configENS1_35radix_sort_onesweep_config_selectorIsNS0_10empty_typeEEEZZNS1_29radix_sort_onesweep_iterationIS3_Lb0EN6thrust23THRUST_200600_302600_NS6detail15normal_iteratorINS9_10device_ptrIsEEEESE_PS5_SF_jNS0_19identity_decomposerENS1_16block_id_wrapperIjLb1EEEEE10hipError_tT1_PNSt15iterator_traitsISK_E10value_typeET2_T3_PNSL_ISQ_E10value_typeET4_T5_PSV_SW_PNS1_23onesweep_lookback_stateEbbT6_jjT7_P12ihipStream_tbENKUlT_T0_SK_SP_E_clISE_SE_SF_SF_EEDaS13_S14_SK_SP_EUlS13_E_NS1_11comp_targetILNS1_3genE5ELNS1_11target_archE942ELNS1_3gpuE9ELNS1_3repE0EEENS1_47radix_sort_onesweep_sort_config_static_selectorELNS0_4arch9wavefront6targetE1EEEvSK_.kd
    .uniform_work_group_size: 1
    .uses_dynamic_stack: false
    .vgpr_count:     0
    .vgpr_spill_count: 0
    .wavefront_size: 64
  - .agpr_count:     0
    .args:
      - .offset:         0
        .size:           88
        .value_kind:     by_value
    .group_segment_fixed_size: 0
    .kernarg_segment_align: 8
    .kernarg_segment_size: 88
    .language:       OpenCL C
    .language_version:
      - 2
      - 0
    .max_flat_workgroup_size: 512
    .name:           _ZN7rocprim17ROCPRIM_400000_NS6detail17trampoline_kernelINS0_14default_configENS1_35radix_sort_onesweep_config_selectorIsNS0_10empty_typeEEEZZNS1_29radix_sort_onesweep_iterationIS3_Lb0EN6thrust23THRUST_200600_302600_NS6detail15normal_iteratorINS9_10device_ptrIsEEEESE_PS5_SF_jNS0_19identity_decomposerENS1_16block_id_wrapperIjLb1EEEEE10hipError_tT1_PNSt15iterator_traitsISK_E10value_typeET2_T3_PNSL_ISQ_E10value_typeET4_T5_PSV_SW_PNS1_23onesweep_lookback_stateEbbT6_jjT7_P12ihipStream_tbENKUlT_T0_SK_SP_E_clISE_SE_SF_SF_EEDaS13_S14_SK_SP_EUlS13_E_NS1_11comp_targetILNS1_3genE2ELNS1_11target_archE906ELNS1_3gpuE6ELNS1_3repE0EEENS1_47radix_sort_onesweep_sort_config_static_selectorELNS0_4arch9wavefront6targetE1EEEvSK_
    .private_segment_fixed_size: 0
    .sgpr_count:     4
    .sgpr_spill_count: 0
    .symbol:         _ZN7rocprim17ROCPRIM_400000_NS6detail17trampoline_kernelINS0_14default_configENS1_35radix_sort_onesweep_config_selectorIsNS0_10empty_typeEEEZZNS1_29radix_sort_onesweep_iterationIS3_Lb0EN6thrust23THRUST_200600_302600_NS6detail15normal_iteratorINS9_10device_ptrIsEEEESE_PS5_SF_jNS0_19identity_decomposerENS1_16block_id_wrapperIjLb1EEEEE10hipError_tT1_PNSt15iterator_traitsISK_E10value_typeET2_T3_PNSL_ISQ_E10value_typeET4_T5_PSV_SW_PNS1_23onesweep_lookback_stateEbbT6_jjT7_P12ihipStream_tbENKUlT_T0_SK_SP_E_clISE_SE_SF_SF_EEDaS13_S14_SK_SP_EUlS13_E_NS1_11comp_targetILNS1_3genE2ELNS1_11target_archE906ELNS1_3gpuE6ELNS1_3repE0EEENS1_47radix_sort_onesweep_sort_config_static_selectorELNS0_4arch9wavefront6targetE1EEEvSK_.kd
    .uniform_work_group_size: 1
    .uses_dynamic_stack: false
    .vgpr_count:     0
    .vgpr_spill_count: 0
    .wavefront_size: 64
  - .agpr_count:     0
    .args:
      - .offset:         0
        .size:           88
        .value_kind:     by_value
      - .offset:         88
        .size:           4
        .value_kind:     hidden_block_count_x
      - .offset:         92
        .size:           4
        .value_kind:     hidden_block_count_y
      - .offset:         96
        .size:           4
        .value_kind:     hidden_block_count_z
      - .offset:         100
        .size:           2
        .value_kind:     hidden_group_size_x
      - .offset:         102
        .size:           2
        .value_kind:     hidden_group_size_y
      - .offset:         104
        .size:           2
        .value_kind:     hidden_group_size_z
      - .offset:         106
        .size:           2
        .value_kind:     hidden_remainder_x
      - .offset:         108
        .size:           2
        .value_kind:     hidden_remainder_y
      - .offset:         110
        .size:           2
        .value_kind:     hidden_remainder_z
      - .offset:         128
        .size:           8
        .value_kind:     hidden_global_offset_x
      - .offset:         136
        .size:           8
        .value_kind:     hidden_global_offset_y
      - .offset:         144
        .size:           8
        .value_kind:     hidden_global_offset_z
      - .offset:         152
        .size:           2
        .value_kind:     hidden_grid_dims
    .group_segment_fixed_size: 25608
    .kernarg_segment_align: 8
    .kernarg_segment_size: 344
    .language:       OpenCL C
    .language_version:
      - 2
      - 0
    .max_flat_workgroup_size: 1024
    .name:           _ZN7rocprim17ROCPRIM_400000_NS6detail17trampoline_kernelINS0_14default_configENS1_35radix_sort_onesweep_config_selectorIsNS0_10empty_typeEEEZZNS1_29radix_sort_onesweep_iterationIS3_Lb0EN6thrust23THRUST_200600_302600_NS6detail15normal_iteratorINS9_10device_ptrIsEEEESE_PS5_SF_jNS0_19identity_decomposerENS1_16block_id_wrapperIjLb1EEEEE10hipError_tT1_PNSt15iterator_traitsISK_E10value_typeET2_T3_PNSL_ISQ_E10value_typeET4_T5_PSV_SW_PNS1_23onesweep_lookback_stateEbbT6_jjT7_P12ihipStream_tbENKUlT_T0_SK_SP_E_clISE_SE_SF_SF_EEDaS13_S14_SK_SP_EUlS13_E_NS1_11comp_targetILNS1_3genE4ELNS1_11target_archE910ELNS1_3gpuE8ELNS1_3repE0EEENS1_47radix_sort_onesweep_sort_config_static_selectorELNS0_4arch9wavefront6targetE1EEEvSK_
    .private_segment_fixed_size: 0
    .sgpr_count:     39
    .sgpr_spill_count: 0
    .symbol:         _ZN7rocprim17ROCPRIM_400000_NS6detail17trampoline_kernelINS0_14default_configENS1_35radix_sort_onesweep_config_selectorIsNS0_10empty_typeEEEZZNS1_29radix_sort_onesweep_iterationIS3_Lb0EN6thrust23THRUST_200600_302600_NS6detail15normal_iteratorINS9_10device_ptrIsEEEESE_PS5_SF_jNS0_19identity_decomposerENS1_16block_id_wrapperIjLb1EEEEE10hipError_tT1_PNSt15iterator_traitsISK_E10value_typeET2_T3_PNSL_ISQ_E10value_typeET4_T5_PSV_SW_PNS1_23onesweep_lookback_stateEbbT6_jjT7_P12ihipStream_tbENKUlT_T0_SK_SP_E_clISE_SE_SF_SF_EEDaS13_S14_SK_SP_EUlS13_E_NS1_11comp_targetILNS1_3genE4ELNS1_11target_archE910ELNS1_3gpuE8ELNS1_3repE0EEENS1_47radix_sort_onesweep_sort_config_static_selectorELNS0_4arch9wavefront6targetE1EEEvSK_.kd
    .uniform_work_group_size: 1
    .uses_dynamic_stack: false
    .vgpr_count:     62
    .vgpr_spill_count: 0
    .wavefront_size: 64
  - .agpr_count:     0
    .args:
      - .offset:         0
        .size:           88
        .value_kind:     by_value
    .group_segment_fixed_size: 0
    .kernarg_segment_align: 8
    .kernarg_segment_size: 88
    .language:       OpenCL C
    .language_version:
      - 2
      - 0
    .max_flat_workgroup_size: 512
    .name:           _ZN7rocprim17ROCPRIM_400000_NS6detail17trampoline_kernelINS0_14default_configENS1_35radix_sort_onesweep_config_selectorIsNS0_10empty_typeEEEZZNS1_29radix_sort_onesweep_iterationIS3_Lb0EN6thrust23THRUST_200600_302600_NS6detail15normal_iteratorINS9_10device_ptrIsEEEESE_PS5_SF_jNS0_19identity_decomposerENS1_16block_id_wrapperIjLb1EEEEE10hipError_tT1_PNSt15iterator_traitsISK_E10value_typeET2_T3_PNSL_ISQ_E10value_typeET4_T5_PSV_SW_PNS1_23onesweep_lookback_stateEbbT6_jjT7_P12ihipStream_tbENKUlT_T0_SK_SP_E_clISE_SE_SF_SF_EEDaS13_S14_SK_SP_EUlS13_E_NS1_11comp_targetILNS1_3genE3ELNS1_11target_archE908ELNS1_3gpuE7ELNS1_3repE0EEENS1_47radix_sort_onesweep_sort_config_static_selectorELNS0_4arch9wavefront6targetE1EEEvSK_
    .private_segment_fixed_size: 0
    .sgpr_count:     4
    .sgpr_spill_count: 0
    .symbol:         _ZN7rocprim17ROCPRIM_400000_NS6detail17trampoline_kernelINS0_14default_configENS1_35radix_sort_onesweep_config_selectorIsNS0_10empty_typeEEEZZNS1_29radix_sort_onesweep_iterationIS3_Lb0EN6thrust23THRUST_200600_302600_NS6detail15normal_iteratorINS9_10device_ptrIsEEEESE_PS5_SF_jNS0_19identity_decomposerENS1_16block_id_wrapperIjLb1EEEEE10hipError_tT1_PNSt15iterator_traitsISK_E10value_typeET2_T3_PNSL_ISQ_E10value_typeET4_T5_PSV_SW_PNS1_23onesweep_lookback_stateEbbT6_jjT7_P12ihipStream_tbENKUlT_T0_SK_SP_E_clISE_SE_SF_SF_EEDaS13_S14_SK_SP_EUlS13_E_NS1_11comp_targetILNS1_3genE3ELNS1_11target_archE908ELNS1_3gpuE7ELNS1_3repE0EEENS1_47radix_sort_onesweep_sort_config_static_selectorELNS0_4arch9wavefront6targetE1EEEvSK_.kd
    .uniform_work_group_size: 1
    .uses_dynamic_stack: false
    .vgpr_count:     0
    .vgpr_spill_count: 0
    .wavefront_size: 64
  - .agpr_count:     0
    .args:
      - .offset:         0
        .size:           88
        .value_kind:     by_value
    .group_segment_fixed_size: 0
    .kernarg_segment_align: 8
    .kernarg_segment_size: 88
    .language:       OpenCL C
    .language_version:
      - 2
      - 0
    .max_flat_workgroup_size: 256
    .name:           _ZN7rocprim17ROCPRIM_400000_NS6detail17trampoline_kernelINS0_14default_configENS1_35radix_sort_onesweep_config_selectorIsNS0_10empty_typeEEEZZNS1_29radix_sort_onesweep_iterationIS3_Lb0EN6thrust23THRUST_200600_302600_NS6detail15normal_iteratorINS9_10device_ptrIsEEEESE_PS5_SF_jNS0_19identity_decomposerENS1_16block_id_wrapperIjLb1EEEEE10hipError_tT1_PNSt15iterator_traitsISK_E10value_typeET2_T3_PNSL_ISQ_E10value_typeET4_T5_PSV_SW_PNS1_23onesweep_lookback_stateEbbT6_jjT7_P12ihipStream_tbENKUlT_T0_SK_SP_E_clISE_SE_SF_SF_EEDaS13_S14_SK_SP_EUlS13_E_NS1_11comp_targetILNS1_3genE10ELNS1_11target_archE1201ELNS1_3gpuE5ELNS1_3repE0EEENS1_47radix_sort_onesweep_sort_config_static_selectorELNS0_4arch9wavefront6targetE1EEEvSK_
    .private_segment_fixed_size: 0
    .sgpr_count:     4
    .sgpr_spill_count: 0
    .symbol:         _ZN7rocprim17ROCPRIM_400000_NS6detail17trampoline_kernelINS0_14default_configENS1_35radix_sort_onesweep_config_selectorIsNS0_10empty_typeEEEZZNS1_29radix_sort_onesweep_iterationIS3_Lb0EN6thrust23THRUST_200600_302600_NS6detail15normal_iteratorINS9_10device_ptrIsEEEESE_PS5_SF_jNS0_19identity_decomposerENS1_16block_id_wrapperIjLb1EEEEE10hipError_tT1_PNSt15iterator_traitsISK_E10value_typeET2_T3_PNSL_ISQ_E10value_typeET4_T5_PSV_SW_PNS1_23onesweep_lookback_stateEbbT6_jjT7_P12ihipStream_tbENKUlT_T0_SK_SP_E_clISE_SE_SF_SF_EEDaS13_S14_SK_SP_EUlS13_E_NS1_11comp_targetILNS1_3genE10ELNS1_11target_archE1201ELNS1_3gpuE5ELNS1_3repE0EEENS1_47radix_sort_onesweep_sort_config_static_selectorELNS0_4arch9wavefront6targetE1EEEvSK_.kd
    .uniform_work_group_size: 1
    .uses_dynamic_stack: false
    .vgpr_count:     0
    .vgpr_spill_count: 0
    .wavefront_size: 64
  - .agpr_count:     0
    .args:
      - .offset:         0
        .size:           88
        .value_kind:     by_value
    .group_segment_fixed_size: 0
    .kernarg_segment_align: 8
    .kernarg_segment_size: 88
    .language:       OpenCL C
    .language_version:
      - 2
      - 0
    .max_flat_workgroup_size: 256
    .name:           _ZN7rocprim17ROCPRIM_400000_NS6detail17trampoline_kernelINS0_14default_configENS1_35radix_sort_onesweep_config_selectorIsNS0_10empty_typeEEEZZNS1_29radix_sort_onesweep_iterationIS3_Lb0EN6thrust23THRUST_200600_302600_NS6detail15normal_iteratorINS9_10device_ptrIsEEEESE_PS5_SF_jNS0_19identity_decomposerENS1_16block_id_wrapperIjLb1EEEEE10hipError_tT1_PNSt15iterator_traitsISK_E10value_typeET2_T3_PNSL_ISQ_E10value_typeET4_T5_PSV_SW_PNS1_23onesweep_lookback_stateEbbT6_jjT7_P12ihipStream_tbENKUlT_T0_SK_SP_E_clISE_SE_SF_SF_EEDaS13_S14_SK_SP_EUlS13_E_NS1_11comp_targetILNS1_3genE9ELNS1_11target_archE1100ELNS1_3gpuE3ELNS1_3repE0EEENS1_47radix_sort_onesweep_sort_config_static_selectorELNS0_4arch9wavefront6targetE1EEEvSK_
    .private_segment_fixed_size: 0
    .sgpr_count:     4
    .sgpr_spill_count: 0
    .symbol:         _ZN7rocprim17ROCPRIM_400000_NS6detail17trampoline_kernelINS0_14default_configENS1_35radix_sort_onesweep_config_selectorIsNS0_10empty_typeEEEZZNS1_29radix_sort_onesweep_iterationIS3_Lb0EN6thrust23THRUST_200600_302600_NS6detail15normal_iteratorINS9_10device_ptrIsEEEESE_PS5_SF_jNS0_19identity_decomposerENS1_16block_id_wrapperIjLb1EEEEE10hipError_tT1_PNSt15iterator_traitsISK_E10value_typeET2_T3_PNSL_ISQ_E10value_typeET4_T5_PSV_SW_PNS1_23onesweep_lookback_stateEbbT6_jjT7_P12ihipStream_tbENKUlT_T0_SK_SP_E_clISE_SE_SF_SF_EEDaS13_S14_SK_SP_EUlS13_E_NS1_11comp_targetILNS1_3genE9ELNS1_11target_archE1100ELNS1_3gpuE3ELNS1_3repE0EEENS1_47radix_sort_onesweep_sort_config_static_selectorELNS0_4arch9wavefront6targetE1EEEvSK_.kd
    .uniform_work_group_size: 1
    .uses_dynamic_stack: false
    .vgpr_count:     0
    .vgpr_spill_count: 0
    .wavefront_size: 64
  - .agpr_count:     0
    .args:
      - .offset:         0
        .size:           88
        .value_kind:     by_value
    .group_segment_fixed_size: 0
    .kernarg_segment_align: 8
    .kernarg_segment_size: 88
    .language:       OpenCL C
    .language_version:
      - 2
      - 0
    .max_flat_workgroup_size: 256
    .name:           _ZN7rocprim17ROCPRIM_400000_NS6detail17trampoline_kernelINS0_14default_configENS1_35radix_sort_onesweep_config_selectorIsNS0_10empty_typeEEEZZNS1_29radix_sort_onesweep_iterationIS3_Lb0EN6thrust23THRUST_200600_302600_NS6detail15normal_iteratorINS9_10device_ptrIsEEEESE_PS5_SF_jNS0_19identity_decomposerENS1_16block_id_wrapperIjLb1EEEEE10hipError_tT1_PNSt15iterator_traitsISK_E10value_typeET2_T3_PNSL_ISQ_E10value_typeET4_T5_PSV_SW_PNS1_23onesweep_lookback_stateEbbT6_jjT7_P12ihipStream_tbENKUlT_T0_SK_SP_E_clISE_SE_SF_SF_EEDaS13_S14_SK_SP_EUlS13_E_NS1_11comp_targetILNS1_3genE8ELNS1_11target_archE1030ELNS1_3gpuE2ELNS1_3repE0EEENS1_47radix_sort_onesweep_sort_config_static_selectorELNS0_4arch9wavefront6targetE1EEEvSK_
    .private_segment_fixed_size: 0
    .sgpr_count:     4
    .sgpr_spill_count: 0
    .symbol:         _ZN7rocprim17ROCPRIM_400000_NS6detail17trampoline_kernelINS0_14default_configENS1_35radix_sort_onesweep_config_selectorIsNS0_10empty_typeEEEZZNS1_29radix_sort_onesweep_iterationIS3_Lb0EN6thrust23THRUST_200600_302600_NS6detail15normal_iteratorINS9_10device_ptrIsEEEESE_PS5_SF_jNS0_19identity_decomposerENS1_16block_id_wrapperIjLb1EEEEE10hipError_tT1_PNSt15iterator_traitsISK_E10value_typeET2_T3_PNSL_ISQ_E10value_typeET4_T5_PSV_SW_PNS1_23onesweep_lookback_stateEbbT6_jjT7_P12ihipStream_tbENKUlT_T0_SK_SP_E_clISE_SE_SF_SF_EEDaS13_S14_SK_SP_EUlS13_E_NS1_11comp_targetILNS1_3genE8ELNS1_11target_archE1030ELNS1_3gpuE2ELNS1_3repE0EEENS1_47radix_sort_onesweep_sort_config_static_selectorELNS0_4arch9wavefront6targetE1EEEvSK_.kd
    .uniform_work_group_size: 1
    .uses_dynamic_stack: false
    .vgpr_count:     0
    .vgpr_spill_count: 0
    .wavefront_size: 64
  - .agpr_count:     0
    .args:
      - .offset:         0
        .size:           88
        .value_kind:     by_value
    .group_segment_fixed_size: 0
    .kernarg_segment_align: 8
    .kernarg_segment_size: 88
    .language:       OpenCL C
    .language_version:
      - 2
      - 0
    .max_flat_workgroup_size: 512
    .name:           _ZN7rocprim17ROCPRIM_400000_NS6detail17trampoline_kernelINS0_14default_configENS1_35radix_sort_onesweep_config_selectorIsNS0_10empty_typeEEEZZNS1_29radix_sort_onesweep_iterationIS3_Lb0EN6thrust23THRUST_200600_302600_NS6detail15normal_iteratorINS9_10device_ptrIsEEEESE_PS5_SF_jNS0_19identity_decomposerENS1_16block_id_wrapperIjLb1EEEEE10hipError_tT1_PNSt15iterator_traitsISK_E10value_typeET2_T3_PNSL_ISQ_E10value_typeET4_T5_PSV_SW_PNS1_23onesweep_lookback_stateEbbT6_jjT7_P12ihipStream_tbENKUlT_T0_SK_SP_E_clISE_PsSF_SF_EEDaS13_S14_SK_SP_EUlS13_E_NS1_11comp_targetILNS1_3genE0ELNS1_11target_archE4294967295ELNS1_3gpuE0ELNS1_3repE0EEENS1_47radix_sort_onesweep_sort_config_static_selectorELNS0_4arch9wavefront6targetE1EEEvSK_
    .private_segment_fixed_size: 0
    .sgpr_count:     4
    .sgpr_spill_count: 0
    .symbol:         _ZN7rocprim17ROCPRIM_400000_NS6detail17trampoline_kernelINS0_14default_configENS1_35radix_sort_onesweep_config_selectorIsNS0_10empty_typeEEEZZNS1_29radix_sort_onesweep_iterationIS3_Lb0EN6thrust23THRUST_200600_302600_NS6detail15normal_iteratorINS9_10device_ptrIsEEEESE_PS5_SF_jNS0_19identity_decomposerENS1_16block_id_wrapperIjLb1EEEEE10hipError_tT1_PNSt15iterator_traitsISK_E10value_typeET2_T3_PNSL_ISQ_E10value_typeET4_T5_PSV_SW_PNS1_23onesweep_lookback_stateEbbT6_jjT7_P12ihipStream_tbENKUlT_T0_SK_SP_E_clISE_PsSF_SF_EEDaS13_S14_SK_SP_EUlS13_E_NS1_11comp_targetILNS1_3genE0ELNS1_11target_archE4294967295ELNS1_3gpuE0ELNS1_3repE0EEENS1_47radix_sort_onesweep_sort_config_static_selectorELNS0_4arch9wavefront6targetE1EEEvSK_.kd
    .uniform_work_group_size: 1
    .uses_dynamic_stack: false
    .vgpr_count:     0
    .vgpr_spill_count: 0
    .wavefront_size: 64
  - .agpr_count:     0
    .args:
      - .offset:         0
        .size:           88
        .value_kind:     by_value
    .group_segment_fixed_size: 0
    .kernarg_segment_align: 8
    .kernarg_segment_size: 88
    .language:       OpenCL C
    .language_version:
      - 2
      - 0
    .max_flat_workgroup_size: 1024
    .name:           _ZN7rocprim17ROCPRIM_400000_NS6detail17trampoline_kernelINS0_14default_configENS1_35radix_sort_onesweep_config_selectorIsNS0_10empty_typeEEEZZNS1_29radix_sort_onesweep_iterationIS3_Lb0EN6thrust23THRUST_200600_302600_NS6detail15normal_iteratorINS9_10device_ptrIsEEEESE_PS5_SF_jNS0_19identity_decomposerENS1_16block_id_wrapperIjLb1EEEEE10hipError_tT1_PNSt15iterator_traitsISK_E10value_typeET2_T3_PNSL_ISQ_E10value_typeET4_T5_PSV_SW_PNS1_23onesweep_lookback_stateEbbT6_jjT7_P12ihipStream_tbENKUlT_T0_SK_SP_E_clISE_PsSF_SF_EEDaS13_S14_SK_SP_EUlS13_E_NS1_11comp_targetILNS1_3genE6ELNS1_11target_archE950ELNS1_3gpuE13ELNS1_3repE0EEENS1_47radix_sort_onesweep_sort_config_static_selectorELNS0_4arch9wavefront6targetE1EEEvSK_
    .private_segment_fixed_size: 0
    .sgpr_count:     4
    .sgpr_spill_count: 0
    .symbol:         _ZN7rocprim17ROCPRIM_400000_NS6detail17trampoline_kernelINS0_14default_configENS1_35radix_sort_onesweep_config_selectorIsNS0_10empty_typeEEEZZNS1_29radix_sort_onesweep_iterationIS3_Lb0EN6thrust23THRUST_200600_302600_NS6detail15normal_iteratorINS9_10device_ptrIsEEEESE_PS5_SF_jNS0_19identity_decomposerENS1_16block_id_wrapperIjLb1EEEEE10hipError_tT1_PNSt15iterator_traitsISK_E10value_typeET2_T3_PNSL_ISQ_E10value_typeET4_T5_PSV_SW_PNS1_23onesweep_lookback_stateEbbT6_jjT7_P12ihipStream_tbENKUlT_T0_SK_SP_E_clISE_PsSF_SF_EEDaS13_S14_SK_SP_EUlS13_E_NS1_11comp_targetILNS1_3genE6ELNS1_11target_archE950ELNS1_3gpuE13ELNS1_3repE0EEENS1_47radix_sort_onesweep_sort_config_static_selectorELNS0_4arch9wavefront6targetE1EEEvSK_.kd
    .uniform_work_group_size: 1
    .uses_dynamic_stack: false
    .vgpr_count:     0
    .vgpr_spill_count: 0
    .wavefront_size: 64
  - .agpr_count:     0
    .args:
      - .offset:         0
        .size:           88
        .value_kind:     by_value
    .group_segment_fixed_size: 0
    .kernarg_segment_align: 8
    .kernarg_segment_size: 88
    .language:       OpenCL C
    .language_version:
      - 2
      - 0
    .max_flat_workgroup_size: 1024
    .name:           _ZN7rocprim17ROCPRIM_400000_NS6detail17trampoline_kernelINS0_14default_configENS1_35radix_sort_onesweep_config_selectorIsNS0_10empty_typeEEEZZNS1_29radix_sort_onesweep_iterationIS3_Lb0EN6thrust23THRUST_200600_302600_NS6detail15normal_iteratorINS9_10device_ptrIsEEEESE_PS5_SF_jNS0_19identity_decomposerENS1_16block_id_wrapperIjLb1EEEEE10hipError_tT1_PNSt15iterator_traitsISK_E10value_typeET2_T3_PNSL_ISQ_E10value_typeET4_T5_PSV_SW_PNS1_23onesweep_lookback_stateEbbT6_jjT7_P12ihipStream_tbENKUlT_T0_SK_SP_E_clISE_PsSF_SF_EEDaS13_S14_SK_SP_EUlS13_E_NS1_11comp_targetILNS1_3genE5ELNS1_11target_archE942ELNS1_3gpuE9ELNS1_3repE0EEENS1_47radix_sort_onesweep_sort_config_static_selectorELNS0_4arch9wavefront6targetE1EEEvSK_
    .private_segment_fixed_size: 0
    .sgpr_count:     4
    .sgpr_spill_count: 0
    .symbol:         _ZN7rocprim17ROCPRIM_400000_NS6detail17trampoline_kernelINS0_14default_configENS1_35radix_sort_onesweep_config_selectorIsNS0_10empty_typeEEEZZNS1_29radix_sort_onesweep_iterationIS3_Lb0EN6thrust23THRUST_200600_302600_NS6detail15normal_iteratorINS9_10device_ptrIsEEEESE_PS5_SF_jNS0_19identity_decomposerENS1_16block_id_wrapperIjLb1EEEEE10hipError_tT1_PNSt15iterator_traitsISK_E10value_typeET2_T3_PNSL_ISQ_E10value_typeET4_T5_PSV_SW_PNS1_23onesweep_lookback_stateEbbT6_jjT7_P12ihipStream_tbENKUlT_T0_SK_SP_E_clISE_PsSF_SF_EEDaS13_S14_SK_SP_EUlS13_E_NS1_11comp_targetILNS1_3genE5ELNS1_11target_archE942ELNS1_3gpuE9ELNS1_3repE0EEENS1_47radix_sort_onesweep_sort_config_static_selectorELNS0_4arch9wavefront6targetE1EEEvSK_.kd
    .uniform_work_group_size: 1
    .uses_dynamic_stack: false
    .vgpr_count:     0
    .vgpr_spill_count: 0
    .wavefront_size: 64
  - .agpr_count:     0
    .args:
      - .offset:         0
        .size:           88
        .value_kind:     by_value
    .group_segment_fixed_size: 0
    .kernarg_segment_align: 8
    .kernarg_segment_size: 88
    .language:       OpenCL C
    .language_version:
      - 2
      - 0
    .max_flat_workgroup_size: 512
    .name:           _ZN7rocprim17ROCPRIM_400000_NS6detail17trampoline_kernelINS0_14default_configENS1_35radix_sort_onesweep_config_selectorIsNS0_10empty_typeEEEZZNS1_29radix_sort_onesweep_iterationIS3_Lb0EN6thrust23THRUST_200600_302600_NS6detail15normal_iteratorINS9_10device_ptrIsEEEESE_PS5_SF_jNS0_19identity_decomposerENS1_16block_id_wrapperIjLb1EEEEE10hipError_tT1_PNSt15iterator_traitsISK_E10value_typeET2_T3_PNSL_ISQ_E10value_typeET4_T5_PSV_SW_PNS1_23onesweep_lookback_stateEbbT6_jjT7_P12ihipStream_tbENKUlT_T0_SK_SP_E_clISE_PsSF_SF_EEDaS13_S14_SK_SP_EUlS13_E_NS1_11comp_targetILNS1_3genE2ELNS1_11target_archE906ELNS1_3gpuE6ELNS1_3repE0EEENS1_47radix_sort_onesweep_sort_config_static_selectorELNS0_4arch9wavefront6targetE1EEEvSK_
    .private_segment_fixed_size: 0
    .sgpr_count:     4
    .sgpr_spill_count: 0
    .symbol:         _ZN7rocprim17ROCPRIM_400000_NS6detail17trampoline_kernelINS0_14default_configENS1_35radix_sort_onesweep_config_selectorIsNS0_10empty_typeEEEZZNS1_29radix_sort_onesweep_iterationIS3_Lb0EN6thrust23THRUST_200600_302600_NS6detail15normal_iteratorINS9_10device_ptrIsEEEESE_PS5_SF_jNS0_19identity_decomposerENS1_16block_id_wrapperIjLb1EEEEE10hipError_tT1_PNSt15iterator_traitsISK_E10value_typeET2_T3_PNSL_ISQ_E10value_typeET4_T5_PSV_SW_PNS1_23onesweep_lookback_stateEbbT6_jjT7_P12ihipStream_tbENKUlT_T0_SK_SP_E_clISE_PsSF_SF_EEDaS13_S14_SK_SP_EUlS13_E_NS1_11comp_targetILNS1_3genE2ELNS1_11target_archE906ELNS1_3gpuE6ELNS1_3repE0EEENS1_47radix_sort_onesweep_sort_config_static_selectorELNS0_4arch9wavefront6targetE1EEEvSK_.kd
    .uniform_work_group_size: 1
    .uses_dynamic_stack: false
    .vgpr_count:     0
    .vgpr_spill_count: 0
    .wavefront_size: 64
  - .agpr_count:     0
    .args:
      - .offset:         0
        .size:           88
        .value_kind:     by_value
      - .offset:         88
        .size:           4
        .value_kind:     hidden_block_count_x
      - .offset:         92
        .size:           4
        .value_kind:     hidden_block_count_y
      - .offset:         96
        .size:           4
        .value_kind:     hidden_block_count_z
      - .offset:         100
        .size:           2
        .value_kind:     hidden_group_size_x
      - .offset:         102
        .size:           2
        .value_kind:     hidden_group_size_y
      - .offset:         104
        .size:           2
        .value_kind:     hidden_group_size_z
      - .offset:         106
        .size:           2
        .value_kind:     hidden_remainder_x
      - .offset:         108
        .size:           2
        .value_kind:     hidden_remainder_y
      - .offset:         110
        .size:           2
        .value_kind:     hidden_remainder_z
      - .offset:         128
        .size:           8
        .value_kind:     hidden_global_offset_x
      - .offset:         136
        .size:           8
        .value_kind:     hidden_global_offset_y
      - .offset:         144
        .size:           8
        .value_kind:     hidden_global_offset_z
      - .offset:         152
        .size:           2
        .value_kind:     hidden_grid_dims
    .group_segment_fixed_size: 25608
    .kernarg_segment_align: 8
    .kernarg_segment_size: 344
    .language:       OpenCL C
    .language_version:
      - 2
      - 0
    .max_flat_workgroup_size: 1024
    .name:           _ZN7rocprim17ROCPRIM_400000_NS6detail17trampoline_kernelINS0_14default_configENS1_35radix_sort_onesweep_config_selectorIsNS0_10empty_typeEEEZZNS1_29radix_sort_onesweep_iterationIS3_Lb0EN6thrust23THRUST_200600_302600_NS6detail15normal_iteratorINS9_10device_ptrIsEEEESE_PS5_SF_jNS0_19identity_decomposerENS1_16block_id_wrapperIjLb1EEEEE10hipError_tT1_PNSt15iterator_traitsISK_E10value_typeET2_T3_PNSL_ISQ_E10value_typeET4_T5_PSV_SW_PNS1_23onesweep_lookback_stateEbbT6_jjT7_P12ihipStream_tbENKUlT_T0_SK_SP_E_clISE_PsSF_SF_EEDaS13_S14_SK_SP_EUlS13_E_NS1_11comp_targetILNS1_3genE4ELNS1_11target_archE910ELNS1_3gpuE8ELNS1_3repE0EEENS1_47radix_sort_onesweep_sort_config_static_selectorELNS0_4arch9wavefront6targetE1EEEvSK_
    .private_segment_fixed_size: 0
    .sgpr_count:     39
    .sgpr_spill_count: 0
    .symbol:         _ZN7rocprim17ROCPRIM_400000_NS6detail17trampoline_kernelINS0_14default_configENS1_35radix_sort_onesweep_config_selectorIsNS0_10empty_typeEEEZZNS1_29radix_sort_onesweep_iterationIS3_Lb0EN6thrust23THRUST_200600_302600_NS6detail15normal_iteratorINS9_10device_ptrIsEEEESE_PS5_SF_jNS0_19identity_decomposerENS1_16block_id_wrapperIjLb1EEEEE10hipError_tT1_PNSt15iterator_traitsISK_E10value_typeET2_T3_PNSL_ISQ_E10value_typeET4_T5_PSV_SW_PNS1_23onesweep_lookback_stateEbbT6_jjT7_P12ihipStream_tbENKUlT_T0_SK_SP_E_clISE_PsSF_SF_EEDaS13_S14_SK_SP_EUlS13_E_NS1_11comp_targetILNS1_3genE4ELNS1_11target_archE910ELNS1_3gpuE8ELNS1_3repE0EEENS1_47radix_sort_onesweep_sort_config_static_selectorELNS0_4arch9wavefront6targetE1EEEvSK_.kd
    .uniform_work_group_size: 1
    .uses_dynamic_stack: false
    .vgpr_count:     62
    .vgpr_spill_count: 0
    .wavefront_size: 64
  - .agpr_count:     0
    .args:
      - .offset:         0
        .size:           88
        .value_kind:     by_value
    .group_segment_fixed_size: 0
    .kernarg_segment_align: 8
    .kernarg_segment_size: 88
    .language:       OpenCL C
    .language_version:
      - 2
      - 0
    .max_flat_workgroup_size: 512
    .name:           _ZN7rocprim17ROCPRIM_400000_NS6detail17trampoline_kernelINS0_14default_configENS1_35radix_sort_onesweep_config_selectorIsNS0_10empty_typeEEEZZNS1_29radix_sort_onesweep_iterationIS3_Lb0EN6thrust23THRUST_200600_302600_NS6detail15normal_iteratorINS9_10device_ptrIsEEEESE_PS5_SF_jNS0_19identity_decomposerENS1_16block_id_wrapperIjLb1EEEEE10hipError_tT1_PNSt15iterator_traitsISK_E10value_typeET2_T3_PNSL_ISQ_E10value_typeET4_T5_PSV_SW_PNS1_23onesweep_lookback_stateEbbT6_jjT7_P12ihipStream_tbENKUlT_T0_SK_SP_E_clISE_PsSF_SF_EEDaS13_S14_SK_SP_EUlS13_E_NS1_11comp_targetILNS1_3genE3ELNS1_11target_archE908ELNS1_3gpuE7ELNS1_3repE0EEENS1_47radix_sort_onesweep_sort_config_static_selectorELNS0_4arch9wavefront6targetE1EEEvSK_
    .private_segment_fixed_size: 0
    .sgpr_count:     4
    .sgpr_spill_count: 0
    .symbol:         _ZN7rocprim17ROCPRIM_400000_NS6detail17trampoline_kernelINS0_14default_configENS1_35radix_sort_onesweep_config_selectorIsNS0_10empty_typeEEEZZNS1_29radix_sort_onesweep_iterationIS3_Lb0EN6thrust23THRUST_200600_302600_NS6detail15normal_iteratorINS9_10device_ptrIsEEEESE_PS5_SF_jNS0_19identity_decomposerENS1_16block_id_wrapperIjLb1EEEEE10hipError_tT1_PNSt15iterator_traitsISK_E10value_typeET2_T3_PNSL_ISQ_E10value_typeET4_T5_PSV_SW_PNS1_23onesweep_lookback_stateEbbT6_jjT7_P12ihipStream_tbENKUlT_T0_SK_SP_E_clISE_PsSF_SF_EEDaS13_S14_SK_SP_EUlS13_E_NS1_11comp_targetILNS1_3genE3ELNS1_11target_archE908ELNS1_3gpuE7ELNS1_3repE0EEENS1_47radix_sort_onesweep_sort_config_static_selectorELNS0_4arch9wavefront6targetE1EEEvSK_.kd
    .uniform_work_group_size: 1
    .uses_dynamic_stack: false
    .vgpr_count:     0
    .vgpr_spill_count: 0
    .wavefront_size: 64
  - .agpr_count:     0
    .args:
      - .offset:         0
        .size:           88
        .value_kind:     by_value
    .group_segment_fixed_size: 0
    .kernarg_segment_align: 8
    .kernarg_segment_size: 88
    .language:       OpenCL C
    .language_version:
      - 2
      - 0
    .max_flat_workgroup_size: 256
    .name:           _ZN7rocprim17ROCPRIM_400000_NS6detail17trampoline_kernelINS0_14default_configENS1_35radix_sort_onesweep_config_selectorIsNS0_10empty_typeEEEZZNS1_29radix_sort_onesweep_iterationIS3_Lb0EN6thrust23THRUST_200600_302600_NS6detail15normal_iteratorINS9_10device_ptrIsEEEESE_PS5_SF_jNS0_19identity_decomposerENS1_16block_id_wrapperIjLb1EEEEE10hipError_tT1_PNSt15iterator_traitsISK_E10value_typeET2_T3_PNSL_ISQ_E10value_typeET4_T5_PSV_SW_PNS1_23onesweep_lookback_stateEbbT6_jjT7_P12ihipStream_tbENKUlT_T0_SK_SP_E_clISE_PsSF_SF_EEDaS13_S14_SK_SP_EUlS13_E_NS1_11comp_targetILNS1_3genE10ELNS1_11target_archE1201ELNS1_3gpuE5ELNS1_3repE0EEENS1_47radix_sort_onesweep_sort_config_static_selectorELNS0_4arch9wavefront6targetE1EEEvSK_
    .private_segment_fixed_size: 0
    .sgpr_count:     4
    .sgpr_spill_count: 0
    .symbol:         _ZN7rocprim17ROCPRIM_400000_NS6detail17trampoline_kernelINS0_14default_configENS1_35radix_sort_onesweep_config_selectorIsNS0_10empty_typeEEEZZNS1_29radix_sort_onesweep_iterationIS3_Lb0EN6thrust23THRUST_200600_302600_NS6detail15normal_iteratorINS9_10device_ptrIsEEEESE_PS5_SF_jNS0_19identity_decomposerENS1_16block_id_wrapperIjLb1EEEEE10hipError_tT1_PNSt15iterator_traitsISK_E10value_typeET2_T3_PNSL_ISQ_E10value_typeET4_T5_PSV_SW_PNS1_23onesweep_lookback_stateEbbT6_jjT7_P12ihipStream_tbENKUlT_T0_SK_SP_E_clISE_PsSF_SF_EEDaS13_S14_SK_SP_EUlS13_E_NS1_11comp_targetILNS1_3genE10ELNS1_11target_archE1201ELNS1_3gpuE5ELNS1_3repE0EEENS1_47radix_sort_onesweep_sort_config_static_selectorELNS0_4arch9wavefront6targetE1EEEvSK_.kd
    .uniform_work_group_size: 1
    .uses_dynamic_stack: false
    .vgpr_count:     0
    .vgpr_spill_count: 0
    .wavefront_size: 64
  - .agpr_count:     0
    .args:
      - .offset:         0
        .size:           88
        .value_kind:     by_value
    .group_segment_fixed_size: 0
    .kernarg_segment_align: 8
    .kernarg_segment_size: 88
    .language:       OpenCL C
    .language_version:
      - 2
      - 0
    .max_flat_workgroup_size: 256
    .name:           _ZN7rocprim17ROCPRIM_400000_NS6detail17trampoline_kernelINS0_14default_configENS1_35radix_sort_onesweep_config_selectorIsNS0_10empty_typeEEEZZNS1_29radix_sort_onesweep_iterationIS3_Lb0EN6thrust23THRUST_200600_302600_NS6detail15normal_iteratorINS9_10device_ptrIsEEEESE_PS5_SF_jNS0_19identity_decomposerENS1_16block_id_wrapperIjLb1EEEEE10hipError_tT1_PNSt15iterator_traitsISK_E10value_typeET2_T3_PNSL_ISQ_E10value_typeET4_T5_PSV_SW_PNS1_23onesweep_lookback_stateEbbT6_jjT7_P12ihipStream_tbENKUlT_T0_SK_SP_E_clISE_PsSF_SF_EEDaS13_S14_SK_SP_EUlS13_E_NS1_11comp_targetILNS1_3genE9ELNS1_11target_archE1100ELNS1_3gpuE3ELNS1_3repE0EEENS1_47radix_sort_onesweep_sort_config_static_selectorELNS0_4arch9wavefront6targetE1EEEvSK_
    .private_segment_fixed_size: 0
    .sgpr_count:     4
    .sgpr_spill_count: 0
    .symbol:         _ZN7rocprim17ROCPRIM_400000_NS6detail17trampoline_kernelINS0_14default_configENS1_35radix_sort_onesweep_config_selectorIsNS0_10empty_typeEEEZZNS1_29radix_sort_onesweep_iterationIS3_Lb0EN6thrust23THRUST_200600_302600_NS6detail15normal_iteratorINS9_10device_ptrIsEEEESE_PS5_SF_jNS0_19identity_decomposerENS1_16block_id_wrapperIjLb1EEEEE10hipError_tT1_PNSt15iterator_traitsISK_E10value_typeET2_T3_PNSL_ISQ_E10value_typeET4_T5_PSV_SW_PNS1_23onesweep_lookback_stateEbbT6_jjT7_P12ihipStream_tbENKUlT_T0_SK_SP_E_clISE_PsSF_SF_EEDaS13_S14_SK_SP_EUlS13_E_NS1_11comp_targetILNS1_3genE9ELNS1_11target_archE1100ELNS1_3gpuE3ELNS1_3repE0EEENS1_47radix_sort_onesweep_sort_config_static_selectorELNS0_4arch9wavefront6targetE1EEEvSK_.kd
    .uniform_work_group_size: 1
    .uses_dynamic_stack: false
    .vgpr_count:     0
    .vgpr_spill_count: 0
    .wavefront_size: 64
  - .agpr_count:     0
    .args:
      - .offset:         0
        .size:           88
        .value_kind:     by_value
    .group_segment_fixed_size: 0
    .kernarg_segment_align: 8
    .kernarg_segment_size: 88
    .language:       OpenCL C
    .language_version:
      - 2
      - 0
    .max_flat_workgroup_size: 256
    .name:           _ZN7rocprim17ROCPRIM_400000_NS6detail17trampoline_kernelINS0_14default_configENS1_35radix_sort_onesweep_config_selectorIsNS0_10empty_typeEEEZZNS1_29radix_sort_onesweep_iterationIS3_Lb0EN6thrust23THRUST_200600_302600_NS6detail15normal_iteratorINS9_10device_ptrIsEEEESE_PS5_SF_jNS0_19identity_decomposerENS1_16block_id_wrapperIjLb1EEEEE10hipError_tT1_PNSt15iterator_traitsISK_E10value_typeET2_T3_PNSL_ISQ_E10value_typeET4_T5_PSV_SW_PNS1_23onesweep_lookback_stateEbbT6_jjT7_P12ihipStream_tbENKUlT_T0_SK_SP_E_clISE_PsSF_SF_EEDaS13_S14_SK_SP_EUlS13_E_NS1_11comp_targetILNS1_3genE8ELNS1_11target_archE1030ELNS1_3gpuE2ELNS1_3repE0EEENS1_47radix_sort_onesweep_sort_config_static_selectorELNS0_4arch9wavefront6targetE1EEEvSK_
    .private_segment_fixed_size: 0
    .sgpr_count:     4
    .sgpr_spill_count: 0
    .symbol:         _ZN7rocprim17ROCPRIM_400000_NS6detail17trampoline_kernelINS0_14default_configENS1_35radix_sort_onesweep_config_selectorIsNS0_10empty_typeEEEZZNS1_29radix_sort_onesweep_iterationIS3_Lb0EN6thrust23THRUST_200600_302600_NS6detail15normal_iteratorINS9_10device_ptrIsEEEESE_PS5_SF_jNS0_19identity_decomposerENS1_16block_id_wrapperIjLb1EEEEE10hipError_tT1_PNSt15iterator_traitsISK_E10value_typeET2_T3_PNSL_ISQ_E10value_typeET4_T5_PSV_SW_PNS1_23onesweep_lookback_stateEbbT6_jjT7_P12ihipStream_tbENKUlT_T0_SK_SP_E_clISE_PsSF_SF_EEDaS13_S14_SK_SP_EUlS13_E_NS1_11comp_targetILNS1_3genE8ELNS1_11target_archE1030ELNS1_3gpuE2ELNS1_3repE0EEENS1_47radix_sort_onesweep_sort_config_static_selectorELNS0_4arch9wavefront6targetE1EEEvSK_.kd
    .uniform_work_group_size: 1
    .uses_dynamic_stack: false
    .vgpr_count:     0
    .vgpr_spill_count: 0
    .wavefront_size: 64
  - .agpr_count:     0
    .args:
      - .offset:         0
        .size:           88
        .value_kind:     by_value
    .group_segment_fixed_size: 0
    .kernarg_segment_align: 8
    .kernarg_segment_size: 88
    .language:       OpenCL C
    .language_version:
      - 2
      - 0
    .max_flat_workgroup_size: 512
    .name:           _ZN7rocprim17ROCPRIM_400000_NS6detail17trampoline_kernelINS0_14default_configENS1_35radix_sort_onesweep_config_selectorIsNS0_10empty_typeEEEZZNS1_29radix_sort_onesweep_iterationIS3_Lb0EN6thrust23THRUST_200600_302600_NS6detail15normal_iteratorINS9_10device_ptrIsEEEESE_PS5_SF_jNS0_19identity_decomposerENS1_16block_id_wrapperIjLb1EEEEE10hipError_tT1_PNSt15iterator_traitsISK_E10value_typeET2_T3_PNSL_ISQ_E10value_typeET4_T5_PSV_SW_PNS1_23onesweep_lookback_stateEbbT6_jjT7_P12ihipStream_tbENKUlT_T0_SK_SP_E_clIPsSE_SF_SF_EEDaS13_S14_SK_SP_EUlS13_E_NS1_11comp_targetILNS1_3genE0ELNS1_11target_archE4294967295ELNS1_3gpuE0ELNS1_3repE0EEENS1_47radix_sort_onesweep_sort_config_static_selectorELNS0_4arch9wavefront6targetE1EEEvSK_
    .private_segment_fixed_size: 0
    .sgpr_count:     4
    .sgpr_spill_count: 0
    .symbol:         _ZN7rocprim17ROCPRIM_400000_NS6detail17trampoline_kernelINS0_14default_configENS1_35radix_sort_onesweep_config_selectorIsNS0_10empty_typeEEEZZNS1_29radix_sort_onesweep_iterationIS3_Lb0EN6thrust23THRUST_200600_302600_NS6detail15normal_iteratorINS9_10device_ptrIsEEEESE_PS5_SF_jNS0_19identity_decomposerENS1_16block_id_wrapperIjLb1EEEEE10hipError_tT1_PNSt15iterator_traitsISK_E10value_typeET2_T3_PNSL_ISQ_E10value_typeET4_T5_PSV_SW_PNS1_23onesweep_lookback_stateEbbT6_jjT7_P12ihipStream_tbENKUlT_T0_SK_SP_E_clIPsSE_SF_SF_EEDaS13_S14_SK_SP_EUlS13_E_NS1_11comp_targetILNS1_3genE0ELNS1_11target_archE4294967295ELNS1_3gpuE0ELNS1_3repE0EEENS1_47radix_sort_onesweep_sort_config_static_selectorELNS0_4arch9wavefront6targetE1EEEvSK_.kd
    .uniform_work_group_size: 1
    .uses_dynamic_stack: false
    .vgpr_count:     0
    .vgpr_spill_count: 0
    .wavefront_size: 64
  - .agpr_count:     0
    .args:
      - .offset:         0
        .size:           88
        .value_kind:     by_value
    .group_segment_fixed_size: 0
    .kernarg_segment_align: 8
    .kernarg_segment_size: 88
    .language:       OpenCL C
    .language_version:
      - 2
      - 0
    .max_flat_workgroup_size: 1024
    .name:           _ZN7rocprim17ROCPRIM_400000_NS6detail17trampoline_kernelINS0_14default_configENS1_35radix_sort_onesweep_config_selectorIsNS0_10empty_typeEEEZZNS1_29radix_sort_onesweep_iterationIS3_Lb0EN6thrust23THRUST_200600_302600_NS6detail15normal_iteratorINS9_10device_ptrIsEEEESE_PS5_SF_jNS0_19identity_decomposerENS1_16block_id_wrapperIjLb1EEEEE10hipError_tT1_PNSt15iterator_traitsISK_E10value_typeET2_T3_PNSL_ISQ_E10value_typeET4_T5_PSV_SW_PNS1_23onesweep_lookback_stateEbbT6_jjT7_P12ihipStream_tbENKUlT_T0_SK_SP_E_clIPsSE_SF_SF_EEDaS13_S14_SK_SP_EUlS13_E_NS1_11comp_targetILNS1_3genE6ELNS1_11target_archE950ELNS1_3gpuE13ELNS1_3repE0EEENS1_47radix_sort_onesweep_sort_config_static_selectorELNS0_4arch9wavefront6targetE1EEEvSK_
    .private_segment_fixed_size: 0
    .sgpr_count:     4
    .sgpr_spill_count: 0
    .symbol:         _ZN7rocprim17ROCPRIM_400000_NS6detail17trampoline_kernelINS0_14default_configENS1_35radix_sort_onesweep_config_selectorIsNS0_10empty_typeEEEZZNS1_29radix_sort_onesweep_iterationIS3_Lb0EN6thrust23THRUST_200600_302600_NS6detail15normal_iteratorINS9_10device_ptrIsEEEESE_PS5_SF_jNS0_19identity_decomposerENS1_16block_id_wrapperIjLb1EEEEE10hipError_tT1_PNSt15iterator_traitsISK_E10value_typeET2_T3_PNSL_ISQ_E10value_typeET4_T5_PSV_SW_PNS1_23onesweep_lookback_stateEbbT6_jjT7_P12ihipStream_tbENKUlT_T0_SK_SP_E_clIPsSE_SF_SF_EEDaS13_S14_SK_SP_EUlS13_E_NS1_11comp_targetILNS1_3genE6ELNS1_11target_archE950ELNS1_3gpuE13ELNS1_3repE0EEENS1_47radix_sort_onesweep_sort_config_static_selectorELNS0_4arch9wavefront6targetE1EEEvSK_.kd
    .uniform_work_group_size: 1
    .uses_dynamic_stack: false
    .vgpr_count:     0
    .vgpr_spill_count: 0
    .wavefront_size: 64
  - .agpr_count:     0
    .args:
      - .offset:         0
        .size:           88
        .value_kind:     by_value
    .group_segment_fixed_size: 0
    .kernarg_segment_align: 8
    .kernarg_segment_size: 88
    .language:       OpenCL C
    .language_version:
      - 2
      - 0
    .max_flat_workgroup_size: 1024
    .name:           _ZN7rocprim17ROCPRIM_400000_NS6detail17trampoline_kernelINS0_14default_configENS1_35radix_sort_onesweep_config_selectorIsNS0_10empty_typeEEEZZNS1_29radix_sort_onesweep_iterationIS3_Lb0EN6thrust23THRUST_200600_302600_NS6detail15normal_iteratorINS9_10device_ptrIsEEEESE_PS5_SF_jNS0_19identity_decomposerENS1_16block_id_wrapperIjLb1EEEEE10hipError_tT1_PNSt15iterator_traitsISK_E10value_typeET2_T3_PNSL_ISQ_E10value_typeET4_T5_PSV_SW_PNS1_23onesweep_lookback_stateEbbT6_jjT7_P12ihipStream_tbENKUlT_T0_SK_SP_E_clIPsSE_SF_SF_EEDaS13_S14_SK_SP_EUlS13_E_NS1_11comp_targetILNS1_3genE5ELNS1_11target_archE942ELNS1_3gpuE9ELNS1_3repE0EEENS1_47radix_sort_onesweep_sort_config_static_selectorELNS0_4arch9wavefront6targetE1EEEvSK_
    .private_segment_fixed_size: 0
    .sgpr_count:     4
    .sgpr_spill_count: 0
    .symbol:         _ZN7rocprim17ROCPRIM_400000_NS6detail17trampoline_kernelINS0_14default_configENS1_35radix_sort_onesweep_config_selectorIsNS0_10empty_typeEEEZZNS1_29radix_sort_onesweep_iterationIS3_Lb0EN6thrust23THRUST_200600_302600_NS6detail15normal_iteratorINS9_10device_ptrIsEEEESE_PS5_SF_jNS0_19identity_decomposerENS1_16block_id_wrapperIjLb1EEEEE10hipError_tT1_PNSt15iterator_traitsISK_E10value_typeET2_T3_PNSL_ISQ_E10value_typeET4_T5_PSV_SW_PNS1_23onesweep_lookback_stateEbbT6_jjT7_P12ihipStream_tbENKUlT_T0_SK_SP_E_clIPsSE_SF_SF_EEDaS13_S14_SK_SP_EUlS13_E_NS1_11comp_targetILNS1_3genE5ELNS1_11target_archE942ELNS1_3gpuE9ELNS1_3repE0EEENS1_47radix_sort_onesweep_sort_config_static_selectorELNS0_4arch9wavefront6targetE1EEEvSK_.kd
    .uniform_work_group_size: 1
    .uses_dynamic_stack: false
    .vgpr_count:     0
    .vgpr_spill_count: 0
    .wavefront_size: 64
  - .agpr_count:     0
    .args:
      - .offset:         0
        .size:           88
        .value_kind:     by_value
    .group_segment_fixed_size: 0
    .kernarg_segment_align: 8
    .kernarg_segment_size: 88
    .language:       OpenCL C
    .language_version:
      - 2
      - 0
    .max_flat_workgroup_size: 512
    .name:           _ZN7rocprim17ROCPRIM_400000_NS6detail17trampoline_kernelINS0_14default_configENS1_35radix_sort_onesweep_config_selectorIsNS0_10empty_typeEEEZZNS1_29radix_sort_onesweep_iterationIS3_Lb0EN6thrust23THRUST_200600_302600_NS6detail15normal_iteratorINS9_10device_ptrIsEEEESE_PS5_SF_jNS0_19identity_decomposerENS1_16block_id_wrapperIjLb1EEEEE10hipError_tT1_PNSt15iterator_traitsISK_E10value_typeET2_T3_PNSL_ISQ_E10value_typeET4_T5_PSV_SW_PNS1_23onesweep_lookback_stateEbbT6_jjT7_P12ihipStream_tbENKUlT_T0_SK_SP_E_clIPsSE_SF_SF_EEDaS13_S14_SK_SP_EUlS13_E_NS1_11comp_targetILNS1_3genE2ELNS1_11target_archE906ELNS1_3gpuE6ELNS1_3repE0EEENS1_47radix_sort_onesweep_sort_config_static_selectorELNS0_4arch9wavefront6targetE1EEEvSK_
    .private_segment_fixed_size: 0
    .sgpr_count:     4
    .sgpr_spill_count: 0
    .symbol:         _ZN7rocprim17ROCPRIM_400000_NS6detail17trampoline_kernelINS0_14default_configENS1_35radix_sort_onesweep_config_selectorIsNS0_10empty_typeEEEZZNS1_29radix_sort_onesweep_iterationIS3_Lb0EN6thrust23THRUST_200600_302600_NS6detail15normal_iteratorINS9_10device_ptrIsEEEESE_PS5_SF_jNS0_19identity_decomposerENS1_16block_id_wrapperIjLb1EEEEE10hipError_tT1_PNSt15iterator_traitsISK_E10value_typeET2_T3_PNSL_ISQ_E10value_typeET4_T5_PSV_SW_PNS1_23onesweep_lookback_stateEbbT6_jjT7_P12ihipStream_tbENKUlT_T0_SK_SP_E_clIPsSE_SF_SF_EEDaS13_S14_SK_SP_EUlS13_E_NS1_11comp_targetILNS1_3genE2ELNS1_11target_archE906ELNS1_3gpuE6ELNS1_3repE0EEENS1_47radix_sort_onesweep_sort_config_static_selectorELNS0_4arch9wavefront6targetE1EEEvSK_.kd
    .uniform_work_group_size: 1
    .uses_dynamic_stack: false
    .vgpr_count:     0
    .vgpr_spill_count: 0
    .wavefront_size: 64
  - .agpr_count:     0
    .args:
      - .offset:         0
        .size:           88
        .value_kind:     by_value
      - .offset:         88
        .size:           4
        .value_kind:     hidden_block_count_x
      - .offset:         92
        .size:           4
        .value_kind:     hidden_block_count_y
      - .offset:         96
        .size:           4
        .value_kind:     hidden_block_count_z
      - .offset:         100
        .size:           2
        .value_kind:     hidden_group_size_x
      - .offset:         102
        .size:           2
        .value_kind:     hidden_group_size_y
      - .offset:         104
        .size:           2
        .value_kind:     hidden_group_size_z
      - .offset:         106
        .size:           2
        .value_kind:     hidden_remainder_x
      - .offset:         108
        .size:           2
        .value_kind:     hidden_remainder_y
      - .offset:         110
        .size:           2
        .value_kind:     hidden_remainder_z
      - .offset:         128
        .size:           8
        .value_kind:     hidden_global_offset_x
      - .offset:         136
        .size:           8
        .value_kind:     hidden_global_offset_y
      - .offset:         144
        .size:           8
        .value_kind:     hidden_global_offset_z
      - .offset:         152
        .size:           2
        .value_kind:     hidden_grid_dims
    .group_segment_fixed_size: 25608
    .kernarg_segment_align: 8
    .kernarg_segment_size: 344
    .language:       OpenCL C
    .language_version:
      - 2
      - 0
    .max_flat_workgroup_size: 1024
    .name:           _ZN7rocprim17ROCPRIM_400000_NS6detail17trampoline_kernelINS0_14default_configENS1_35radix_sort_onesweep_config_selectorIsNS0_10empty_typeEEEZZNS1_29radix_sort_onesweep_iterationIS3_Lb0EN6thrust23THRUST_200600_302600_NS6detail15normal_iteratorINS9_10device_ptrIsEEEESE_PS5_SF_jNS0_19identity_decomposerENS1_16block_id_wrapperIjLb1EEEEE10hipError_tT1_PNSt15iterator_traitsISK_E10value_typeET2_T3_PNSL_ISQ_E10value_typeET4_T5_PSV_SW_PNS1_23onesweep_lookback_stateEbbT6_jjT7_P12ihipStream_tbENKUlT_T0_SK_SP_E_clIPsSE_SF_SF_EEDaS13_S14_SK_SP_EUlS13_E_NS1_11comp_targetILNS1_3genE4ELNS1_11target_archE910ELNS1_3gpuE8ELNS1_3repE0EEENS1_47radix_sort_onesweep_sort_config_static_selectorELNS0_4arch9wavefront6targetE1EEEvSK_
    .private_segment_fixed_size: 0
    .sgpr_count:     39
    .sgpr_spill_count: 0
    .symbol:         _ZN7rocprim17ROCPRIM_400000_NS6detail17trampoline_kernelINS0_14default_configENS1_35radix_sort_onesweep_config_selectorIsNS0_10empty_typeEEEZZNS1_29radix_sort_onesweep_iterationIS3_Lb0EN6thrust23THRUST_200600_302600_NS6detail15normal_iteratorINS9_10device_ptrIsEEEESE_PS5_SF_jNS0_19identity_decomposerENS1_16block_id_wrapperIjLb1EEEEE10hipError_tT1_PNSt15iterator_traitsISK_E10value_typeET2_T3_PNSL_ISQ_E10value_typeET4_T5_PSV_SW_PNS1_23onesweep_lookback_stateEbbT6_jjT7_P12ihipStream_tbENKUlT_T0_SK_SP_E_clIPsSE_SF_SF_EEDaS13_S14_SK_SP_EUlS13_E_NS1_11comp_targetILNS1_3genE4ELNS1_11target_archE910ELNS1_3gpuE8ELNS1_3repE0EEENS1_47radix_sort_onesweep_sort_config_static_selectorELNS0_4arch9wavefront6targetE1EEEvSK_.kd
    .uniform_work_group_size: 1
    .uses_dynamic_stack: false
    .vgpr_count:     62
    .vgpr_spill_count: 0
    .wavefront_size: 64
  - .agpr_count:     0
    .args:
      - .offset:         0
        .size:           88
        .value_kind:     by_value
    .group_segment_fixed_size: 0
    .kernarg_segment_align: 8
    .kernarg_segment_size: 88
    .language:       OpenCL C
    .language_version:
      - 2
      - 0
    .max_flat_workgroup_size: 512
    .name:           _ZN7rocprim17ROCPRIM_400000_NS6detail17trampoline_kernelINS0_14default_configENS1_35radix_sort_onesweep_config_selectorIsNS0_10empty_typeEEEZZNS1_29radix_sort_onesweep_iterationIS3_Lb0EN6thrust23THRUST_200600_302600_NS6detail15normal_iteratorINS9_10device_ptrIsEEEESE_PS5_SF_jNS0_19identity_decomposerENS1_16block_id_wrapperIjLb1EEEEE10hipError_tT1_PNSt15iterator_traitsISK_E10value_typeET2_T3_PNSL_ISQ_E10value_typeET4_T5_PSV_SW_PNS1_23onesweep_lookback_stateEbbT6_jjT7_P12ihipStream_tbENKUlT_T0_SK_SP_E_clIPsSE_SF_SF_EEDaS13_S14_SK_SP_EUlS13_E_NS1_11comp_targetILNS1_3genE3ELNS1_11target_archE908ELNS1_3gpuE7ELNS1_3repE0EEENS1_47radix_sort_onesweep_sort_config_static_selectorELNS0_4arch9wavefront6targetE1EEEvSK_
    .private_segment_fixed_size: 0
    .sgpr_count:     4
    .sgpr_spill_count: 0
    .symbol:         _ZN7rocprim17ROCPRIM_400000_NS6detail17trampoline_kernelINS0_14default_configENS1_35radix_sort_onesweep_config_selectorIsNS0_10empty_typeEEEZZNS1_29radix_sort_onesweep_iterationIS3_Lb0EN6thrust23THRUST_200600_302600_NS6detail15normal_iteratorINS9_10device_ptrIsEEEESE_PS5_SF_jNS0_19identity_decomposerENS1_16block_id_wrapperIjLb1EEEEE10hipError_tT1_PNSt15iterator_traitsISK_E10value_typeET2_T3_PNSL_ISQ_E10value_typeET4_T5_PSV_SW_PNS1_23onesweep_lookback_stateEbbT6_jjT7_P12ihipStream_tbENKUlT_T0_SK_SP_E_clIPsSE_SF_SF_EEDaS13_S14_SK_SP_EUlS13_E_NS1_11comp_targetILNS1_3genE3ELNS1_11target_archE908ELNS1_3gpuE7ELNS1_3repE0EEENS1_47radix_sort_onesweep_sort_config_static_selectorELNS0_4arch9wavefront6targetE1EEEvSK_.kd
    .uniform_work_group_size: 1
    .uses_dynamic_stack: false
    .vgpr_count:     0
    .vgpr_spill_count: 0
    .wavefront_size: 64
  - .agpr_count:     0
    .args:
      - .offset:         0
        .size:           88
        .value_kind:     by_value
    .group_segment_fixed_size: 0
    .kernarg_segment_align: 8
    .kernarg_segment_size: 88
    .language:       OpenCL C
    .language_version:
      - 2
      - 0
    .max_flat_workgroup_size: 256
    .name:           _ZN7rocprim17ROCPRIM_400000_NS6detail17trampoline_kernelINS0_14default_configENS1_35radix_sort_onesweep_config_selectorIsNS0_10empty_typeEEEZZNS1_29radix_sort_onesweep_iterationIS3_Lb0EN6thrust23THRUST_200600_302600_NS6detail15normal_iteratorINS9_10device_ptrIsEEEESE_PS5_SF_jNS0_19identity_decomposerENS1_16block_id_wrapperIjLb1EEEEE10hipError_tT1_PNSt15iterator_traitsISK_E10value_typeET2_T3_PNSL_ISQ_E10value_typeET4_T5_PSV_SW_PNS1_23onesweep_lookback_stateEbbT6_jjT7_P12ihipStream_tbENKUlT_T0_SK_SP_E_clIPsSE_SF_SF_EEDaS13_S14_SK_SP_EUlS13_E_NS1_11comp_targetILNS1_3genE10ELNS1_11target_archE1201ELNS1_3gpuE5ELNS1_3repE0EEENS1_47radix_sort_onesweep_sort_config_static_selectorELNS0_4arch9wavefront6targetE1EEEvSK_
    .private_segment_fixed_size: 0
    .sgpr_count:     4
    .sgpr_spill_count: 0
    .symbol:         _ZN7rocprim17ROCPRIM_400000_NS6detail17trampoline_kernelINS0_14default_configENS1_35radix_sort_onesweep_config_selectorIsNS0_10empty_typeEEEZZNS1_29radix_sort_onesweep_iterationIS3_Lb0EN6thrust23THRUST_200600_302600_NS6detail15normal_iteratorINS9_10device_ptrIsEEEESE_PS5_SF_jNS0_19identity_decomposerENS1_16block_id_wrapperIjLb1EEEEE10hipError_tT1_PNSt15iterator_traitsISK_E10value_typeET2_T3_PNSL_ISQ_E10value_typeET4_T5_PSV_SW_PNS1_23onesweep_lookback_stateEbbT6_jjT7_P12ihipStream_tbENKUlT_T0_SK_SP_E_clIPsSE_SF_SF_EEDaS13_S14_SK_SP_EUlS13_E_NS1_11comp_targetILNS1_3genE10ELNS1_11target_archE1201ELNS1_3gpuE5ELNS1_3repE0EEENS1_47radix_sort_onesweep_sort_config_static_selectorELNS0_4arch9wavefront6targetE1EEEvSK_.kd
    .uniform_work_group_size: 1
    .uses_dynamic_stack: false
    .vgpr_count:     0
    .vgpr_spill_count: 0
    .wavefront_size: 64
  - .agpr_count:     0
    .args:
      - .offset:         0
        .size:           88
        .value_kind:     by_value
    .group_segment_fixed_size: 0
    .kernarg_segment_align: 8
    .kernarg_segment_size: 88
    .language:       OpenCL C
    .language_version:
      - 2
      - 0
    .max_flat_workgroup_size: 256
    .name:           _ZN7rocprim17ROCPRIM_400000_NS6detail17trampoline_kernelINS0_14default_configENS1_35radix_sort_onesweep_config_selectorIsNS0_10empty_typeEEEZZNS1_29radix_sort_onesweep_iterationIS3_Lb0EN6thrust23THRUST_200600_302600_NS6detail15normal_iteratorINS9_10device_ptrIsEEEESE_PS5_SF_jNS0_19identity_decomposerENS1_16block_id_wrapperIjLb1EEEEE10hipError_tT1_PNSt15iterator_traitsISK_E10value_typeET2_T3_PNSL_ISQ_E10value_typeET4_T5_PSV_SW_PNS1_23onesweep_lookback_stateEbbT6_jjT7_P12ihipStream_tbENKUlT_T0_SK_SP_E_clIPsSE_SF_SF_EEDaS13_S14_SK_SP_EUlS13_E_NS1_11comp_targetILNS1_3genE9ELNS1_11target_archE1100ELNS1_3gpuE3ELNS1_3repE0EEENS1_47radix_sort_onesweep_sort_config_static_selectorELNS0_4arch9wavefront6targetE1EEEvSK_
    .private_segment_fixed_size: 0
    .sgpr_count:     4
    .sgpr_spill_count: 0
    .symbol:         _ZN7rocprim17ROCPRIM_400000_NS6detail17trampoline_kernelINS0_14default_configENS1_35radix_sort_onesweep_config_selectorIsNS0_10empty_typeEEEZZNS1_29radix_sort_onesweep_iterationIS3_Lb0EN6thrust23THRUST_200600_302600_NS6detail15normal_iteratorINS9_10device_ptrIsEEEESE_PS5_SF_jNS0_19identity_decomposerENS1_16block_id_wrapperIjLb1EEEEE10hipError_tT1_PNSt15iterator_traitsISK_E10value_typeET2_T3_PNSL_ISQ_E10value_typeET4_T5_PSV_SW_PNS1_23onesweep_lookback_stateEbbT6_jjT7_P12ihipStream_tbENKUlT_T0_SK_SP_E_clIPsSE_SF_SF_EEDaS13_S14_SK_SP_EUlS13_E_NS1_11comp_targetILNS1_3genE9ELNS1_11target_archE1100ELNS1_3gpuE3ELNS1_3repE0EEENS1_47radix_sort_onesweep_sort_config_static_selectorELNS0_4arch9wavefront6targetE1EEEvSK_.kd
    .uniform_work_group_size: 1
    .uses_dynamic_stack: false
    .vgpr_count:     0
    .vgpr_spill_count: 0
    .wavefront_size: 64
  - .agpr_count:     0
    .args:
      - .offset:         0
        .size:           88
        .value_kind:     by_value
    .group_segment_fixed_size: 0
    .kernarg_segment_align: 8
    .kernarg_segment_size: 88
    .language:       OpenCL C
    .language_version:
      - 2
      - 0
    .max_flat_workgroup_size: 256
    .name:           _ZN7rocprim17ROCPRIM_400000_NS6detail17trampoline_kernelINS0_14default_configENS1_35radix_sort_onesweep_config_selectorIsNS0_10empty_typeEEEZZNS1_29radix_sort_onesweep_iterationIS3_Lb0EN6thrust23THRUST_200600_302600_NS6detail15normal_iteratorINS9_10device_ptrIsEEEESE_PS5_SF_jNS0_19identity_decomposerENS1_16block_id_wrapperIjLb1EEEEE10hipError_tT1_PNSt15iterator_traitsISK_E10value_typeET2_T3_PNSL_ISQ_E10value_typeET4_T5_PSV_SW_PNS1_23onesweep_lookback_stateEbbT6_jjT7_P12ihipStream_tbENKUlT_T0_SK_SP_E_clIPsSE_SF_SF_EEDaS13_S14_SK_SP_EUlS13_E_NS1_11comp_targetILNS1_3genE8ELNS1_11target_archE1030ELNS1_3gpuE2ELNS1_3repE0EEENS1_47radix_sort_onesweep_sort_config_static_selectorELNS0_4arch9wavefront6targetE1EEEvSK_
    .private_segment_fixed_size: 0
    .sgpr_count:     4
    .sgpr_spill_count: 0
    .symbol:         _ZN7rocprim17ROCPRIM_400000_NS6detail17trampoline_kernelINS0_14default_configENS1_35radix_sort_onesweep_config_selectorIsNS0_10empty_typeEEEZZNS1_29radix_sort_onesweep_iterationIS3_Lb0EN6thrust23THRUST_200600_302600_NS6detail15normal_iteratorINS9_10device_ptrIsEEEESE_PS5_SF_jNS0_19identity_decomposerENS1_16block_id_wrapperIjLb1EEEEE10hipError_tT1_PNSt15iterator_traitsISK_E10value_typeET2_T3_PNSL_ISQ_E10value_typeET4_T5_PSV_SW_PNS1_23onesweep_lookback_stateEbbT6_jjT7_P12ihipStream_tbENKUlT_T0_SK_SP_E_clIPsSE_SF_SF_EEDaS13_S14_SK_SP_EUlS13_E_NS1_11comp_targetILNS1_3genE8ELNS1_11target_archE1030ELNS1_3gpuE2ELNS1_3repE0EEENS1_47radix_sort_onesweep_sort_config_static_selectorELNS0_4arch9wavefront6targetE1EEEvSK_.kd
    .uniform_work_group_size: 1
    .uses_dynamic_stack: false
    .vgpr_count:     0
    .vgpr_spill_count: 0
    .wavefront_size: 64
  - .agpr_count:     0
    .args:
      - .offset:         0
        .size:           88
        .value_kind:     by_value
    .group_segment_fixed_size: 0
    .kernarg_segment_align: 8
    .kernarg_segment_size: 88
    .language:       OpenCL C
    .language_version:
      - 2
      - 0
    .max_flat_workgroup_size: 512
    .name:           _ZN7rocprim17ROCPRIM_400000_NS6detail17trampoline_kernelINS0_14default_configENS1_35radix_sort_onesweep_config_selectorIsNS0_10empty_typeEEEZZNS1_29radix_sort_onesweep_iterationIS3_Lb0EN6thrust23THRUST_200600_302600_NS6detail15normal_iteratorINS9_10device_ptrIsEEEESE_PS5_SF_jNS0_19identity_decomposerENS1_16block_id_wrapperIjLb0EEEEE10hipError_tT1_PNSt15iterator_traitsISK_E10value_typeET2_T3_PNSL_ISQ_E10value_typeET4_T5_PSV_SW_PNS1_23onesweep_lookback_stateEbbT6_jjT7_P12ihipStream_tbENKUlT_T0_SK_SP_E_clISE_SE_SF_SF_EEDaS13_S14_SK_SP_EUlS13_E_NS1_11comp_targetILNS1_3genE0ELNS1_11target_archE4294967295ELNS1_3gpuE0ELNS1_3repE0EEENS1_47radix_sort_onesweep_sort_config_static_selectorELNS0_4arch9wavefront6targetE1EEEvSK_
    .private_segment_fixed_size: 0
    .sgpr_count:     4
    .sgpr_spill_count: 0
    .symbol:         _ZN7rocprim17ROCPRIM_400000_NS6detail17trampoline_kernelINS0_14default_configENS1_35radix_sort_onesweep_config_selectorIsNS0_10empty_typeEEEZZNS1_29radix_sort_onesweep_iterationIS3_Lb0EN6thrust23THRUST_200600_302600_NS6detail15normal_iteratorINS9_10device_ptrIsEEEESE_PS5_SF_jNS0_19identity_decomposerENS1_16block_id_wrapperIjLb0EEEEE10hipError_tT1_PNSt15iterator_traitsISK_E10value_typeET2_T3_PNSL_ISQ_E10value_typeET4_T5_PSV_SW_PNS1_23onesweep_lookback_stateEbbT6_jjT7_P12ihipStream_tbENKUlT_T0_SK_SP_E_clISE_SE_SF_SF_EEDaS13_S14_SK_SP_EUlS13_E_NS1_11comp_targetILNS1_3genE0ELNS1_11target_archE4294967295ELNS1_3gpuE0ELNS1_3repE0EEENS1_47radix_sort_onesweep_sort_config_static_selectorELNS0_4arch9wavefront6targetE1EEEvSK_.kd
    .uniform_work_group_size: 1
    .uses_dynamic_stack: false
    .vgpr_count:     0
    .vgpr_spill_count: 0
    .wavefront_size: 64
  - .agpr_count:     0
    .args:
      - .offset:         0
        .size:           88
        .value_kind:     by_value
    .group_segment_fixed_size: 0
    .kernarg_segment_align: 8
    .kernarg_segment_size: 88
    .language:       OpenCL C
    .language_version:
      - 2
      - 0
    .max_flat_workgroup_size: 1024
    .name:           _ZN7rocprim17ROCPRIM_400000_NS6detail17trampoline_kernelINS0_14default_configENS1_35radix_sort_onesweep_config_selectorIsNS0_10empty_typeEEEZZNS1_29radix_sort_onesweep_iterationIS3_Lb0EN6thrust23THRUST_200600_302600_NS6detail15normal_iteratorINS9_10device_ptrIsEEEESE_PS5_SF_jNS0_19identity_decomposerENS1_16block_id_wrapperIjLb0EEEEE10hipError_tT1_PNSt15iterator_traitsISK_E10value_typeET2_T3_PNSL_ISQ_E10value_typeET4_T5_PSV_SW_PNS1_23onesweep_lookback_stateEbbT6_jjT7_P12ihipStream_tbENKUlT_T0_SK_SP_E_clISE_SE_SF_SF_EEDaS13_S14_SK_SP_EUlS13_E_NS1_11comp_targetILNS1_3genE6ELNS1_11target_archE950ELNS1_3gpuE13ELNS1_3repE0EEENS1_47radix_sort_onesweep_sort_config_static_selectorELNS0_4arch9wavefront6targetE1EEEvSK_
    .private_segment_fixed_size: 0
    .sgpr_count:     4
    .sgpr_spill_count: 0
    .symbol:         _ZN7rocprim17ROCPRIM_400000_NS6detail17trampoline_kernelINS0_14default_configENS1_35radix_sort_onesweep_config_selectorIsNS0_10empty_typeEEEZZNS1_29radix_sort_onesweep_iterationIS3_Lb0EN6thrust23THRUST_200600_302600_NS6detail15normal_iteratorINS9_10device_ptrIsEEEESE_PS5_SF_jNS0_19identity_decomposerENS1_16block_id_wrapperIjLb0EEEEE10hipError_tT1_PNSt15iterator_traitsISK_E10value_typeET2_T3_PNSL_ISQ_E10value_typeET4_T5_PSV_SW_PNS1_23onesweep_lookback_stateEbbT6_jjT7_P12ihipStream_tbENKUlT_T0_SK_SP_E_clISE_SE_SF_SF_EEDaS13_S14_SK_SP_EUlS13_E_NS1_11comp_targetILNS1_3genE6ELNS1_11target_archE950ELNS1_3gpuE13ELNS1_3repE0EEENS1_47radix_sort_onesweep_sort_config_static_selectorELNS0_4arch9wavefront6targetE1EEEvSK_.kd
    .uniform_work_group_size: 1
    .uses_dynamic_stack: false
    .vgpr_count:     0
    .vgpr_spill_count: 0
    .wavefront_size: 64
  - .agpr_count:     0
    .args:
      - .offset:         0
        .size:           88
        .value_kind:     by_value
    .group_segment_fixed_size: 0
    .kernarg_segment_align: 8
    .kernarg_segment_size: 88
    .language:       OpenCL C
    .language_version:
      - 2
      - 0
    .max_flat_workgroup_size: 1024
    .name:           _ZN7rocprim17ROCPRIM_400000_NS6detail17trampoline_kernelINS0_14default_configENS1_35radix_sort_onesweep_config_selectorIsNS0_10empty_typeEEEZZNS1_29radix_sort_onesweep_iterationIS3_Lb0EN6thrust23THRUST_200600_302600_NS6detail15normal_iteratorINS9_10device_ptrIsEEEESE_PS5_SF_jNS0_19identity_decomposerENS1_16block_id_wrapperIjLb0EEEEE10hipError_tT1_PNSt15iterator_traitsISK_E10value_typeET2_T3_PNSL_ISQ_E10value_typeET4_T5_PSV_SW_PNS1_23onesweep_lookback_stateEbbT6_jjT7_P12ihipStream_tbENKUlT_T0_SK_SP_E_clISE_SE_SF_SF_EEDaS13_S14_SK_SP_EUlS13_E_NS1_11comp_targetILNS1_3genE5ELNS1_11target_archE942ELNS1_3gpuE9ELNS1_3repE0EEENS1_47radix_sort_onesweep_sort_config_static_selectorELNS0_4arch9wavefront6targetE1EEEvSK_
    .private_segment_fixed_size: 0
    .sgpr_count:     4
    .sgpr_spill_count: 0
    .symbol:         _ZN7rocprim17ROCPRIM_400000_NS6detail17trampoline_kernelINS0_14default_configENS1_35radix_sort_onesweep_config_selectorIsNS0_10empty_typeEEEZZNS1_29radix_sort_onesweep_iterationIS3_Lb0EN6thrust23THRUST_200600_302600_NS6detail15normal_iteratorINS9_10device_ptrIsEEEESE_PS5_SF_jNS0_19identity_decomposerENS1_16block_id_wrapperIjLb0EEEEE10hipError_tT1_PNSt15iterator_traitsISK_E10value_typeET2_T3_PNSL_ISQ_E10value_typeET4_T5_PSV_SW_PNS1_23onesweep_lookback_stateEbbT6_jjT7_P12ihipStream_tbENKUlT_T0_SK_SP_E_clISE_SE_SF_SF_EEDaS13_S14_SK_SP_EUlS13_E_NS1_11comp_targetILNS1_3genE5ELNS1_11target_archE942ELNS1_3gpuE9ELNS1_3repE0EEENS1_47radix_sort_onesweep_sort_config_static_selectorELNS0_4arch9wavefront6targetE1EEEvSK_.kd
    .uniform_work_group_size: 1
    .uses_dynamic_stack: false
    .vgpr_count:     0
    .vgpr_spill_count: 0
    .wavefront_size: 64
  - .agpr_count:     0
    .args:
      - .offset:         0
        .size:           88
        .value_kind:     by_value
    .group_segment_fixed_size: 0
    .kernarg_segment_align: 8
    .kernarg_segment_size: 88
    .language:       OpenCL C
    .language_version:
      - 2
      - 0
    .max_flat_workgroup_size: 512
    .name:           _ZN7rocprim17ROCPRIM_400000_NS6detail17trampoline_kernelINS0_14default_configENS1_35radix_sort_onesweep_config_selectorIsNS0_10empty_typeEEEZZNS1_29radix_sort_onesweep_iterationIS3_Lb0EN6thrust23THRUST_200600_302600_NS6detail15normal_iteratorINS9_10device_ptrIsEEEESE_PS5_SF_jNS0_19identity_decomposerENS1_16block_id_wrapperIjLb0EEEEE10hipError_tT1_PNSt15iterator_traitsISK_E10value_typeET2_T3_PNSL_ISQ_E10value_typeET4_T5_PSV_SW_PNS1_23onesweep_lookback_stateEbbT6_jjT7_P12ihipStream_tbENKUlT_T0_SK_SP_E_clISE_SE_SF_SF_EEDaS13_S14_SK_SP_EUlS13_E_NS1_11comp_targetILNS1_3genE2ELNS1_11target_archE906ELNS1_3gpuE6ELNS1_3repE0EEENS1_47radix_sort_onesweep_sort_config_static_selectorELNS0_4arch9wavefront6targetE1EEEvSK_
    .private_segment_fixed_size: 0
    .sgpr_count:     4
    .sgpr_spill_count: 0
    .symbol:         _ZN7rocprim17ROCPRIM_400000_NS6detail17trampoline_kernelINS0_14default_configENS1_35radix_sort_onesweep_config_selectorIsNS0_10empty_typeEEEZZNS1_29radix_sort_onesweep_iterationIS3_Lb0EN6thrust23THRUST_200600_302600_NS6detail15normal_iteratorINS9_10device_ptrIsEEEESE_PS5_SF_jNS0_19identity_decomposerENS1_16block_id_wrapperIjLb0EEEEE10hipError_tT1_PNSt15iterator_traitsISK_E10value_typeET2_T3_PNSL_ISQ_E10value_typeET4_T5_PSV_SW_PNS1_23onesweep_lookback_stateEbbT6_jjT7_P12ihipStream_tbENKUlT_T0_SK_SP_E_clISE_SE_SF_SF_EEDaS13_S14_SK_SP_EUlS13_E_NS1_11comp_targetILNS1_3genE2ELNS1_11target_archE906ELNS1_3gpuE6ELNS1_3repE0EEENS1_47radix_sort_onesweep_sort_config_static_selectorELNS0_4arch9wavefront6targetE1EEEvSK_.kd
    .uniform_work_group_size: 1
    .uses_dynamic_stack: false
    .vgpr_count:     0
    .vgpr_spill_count: 0
    .wavefront_size: 64
  - .agpr_count:     0
    .args:
      - .offset:         0
        .size:           88
        .value_kind:     by_value
      - .offset:         88
        .size:           4
        .value_kind:     hidden_block_count_x
      - .offset:         92
        .size:           4
        .value_kind:     hidden_block_count_y
      - .offset:         96
        .size:           4
        .value_kind:     hidden_block_count_z
      - .offset:         100
        .size:           2
        .value_kind:     hidden_group_size_x
      - .offset:         102
        .size:           2
        .value_kind:     hidden_group_size_y
      - .offset:         104
        .size:           2
        .value_kind:     hidden_group_size_z
      - .offset:         106
        .size:           2
        .value_kind:     hidden_remainder_x
      - .offset:         108
        .size:           2
        .value_kind:     hidden_remainder_y
      - .offset:         110
        .size:           2
        .value_kind:     hidden_remainder_z
      - .offset:         128
        .size:           8
        .value_kind:     hidden_global_offset_x
      - .offset:         136
        .size:           8
        .value_kind:     hidden_global_offset_y
      - .offset:         144
        .size:           8
        .value_kind:     hidden_global_offset_z
      - .offset:         152
        .size:           2
        .value_kind:     hidden_grid_dims
    .group_segment_fixed_size: 25608
    .kernarg_segment_align: 8
    .kernarg_segment_size: 344
    .language:       OpenCL C
    .language_version:
      - 2
      - 0
    .max_flat_workgroup_size: 1024
    .name:           _ZN7rocprim17ROCPRIM_400000_NS6detail17trampoline_kernelINS0_14default_configENS1_35radix_sort_onesweep_config_selectorIsNS0_10empty_typeEEEZZNS1_29radix_sort_onesweep_iterationIS3_Lb0EN6thrust23THRUST_200600_302600_NS6detail15normal_iteratorINS9_10device_ptrIsEEEESE_PS5_SF_jNS0_19identity_decomposerENS1_16block_id_wrapperIjLb0EEEEE10hipError_tT1_PNSt15iterator_traitsISK_E10value_typeET2_T3_PNSL_ISQ_E10value_typeET4_T5_PSV_SW_PNS1_23onesweep_lookback_stateEbbT6_jjT7_P12ihipStream_tbENKUlT_T0_SK_SP_E_clISE_SE_SF_SF_EEDaS13_S14_SK_SP_EUlS13_E_NS1_11comp_targetILNS1_3genE4ELNS1_11target_archE910ELNS1_3gpuE8ELNS1_3repE0EEENS1_47radix_sort_onesweep_sort_config_static_selectorELNS0_4arch9wavefront6targetE1EEEvSK_
    .private_segment_fixed_size: 0
    .sgpr_count:     48
    .sgpr_spill_count: 0
    .symbol:         _ZN7rocprim17ROCPRIM_400000_NS6detail17trampoline_kernelINS0_14default_configENS1_35radix_sort_onesweep_config_selectorIsNS0_10empty_typeEEEZZNS1_29radix_sort_onesweep_iterationIS3_Lb0EN6thrust23THRUST_200600_302600_NS6detail15normal_iteratorINS9_10device_ptrIsEEEESE_PS5_SF_jNS0_19identity_decomposerENS1_16block_id_wrapperIjLb0EEEEE10hipError_tT1_PNSt15iterator_traitsISK_E10value_typeET2_T3_PNSL_ISQ_E10value_typeET4_T5_PSV_SW_PNS1_23onesweep_lookback_stateEbbT6_jjT7_P12ihipStream_tbENKUlT_T0_SK_SP_E_clISE_SE_SF_SF_EEDaS13_S14_SK_SP_EUlS13_E_NS1_11comp_targetILNS1_3genE4ELNS1_11target_archE910ELNS1_3gpuE8ELNS1_3repE0EEENS1_47radix_sort_onesweep_sort_config_static_selectorELNS0_4arch9wavefront6targetE1EEEvSK_.kd
    .uniform_work_group_size: 1
    .uses_dynamic_stack: false
    .vgpr_count:     62
    .vgpr_spill_count: 0
    .wavefront_size: 64
  - .agpr_count:     0
    .args:
      - .offset:         0
        .size:           88
        .value_kind:     by_value
    .group_segment_fixed_size: 0
    .kernarg_segment_align: 8
    .kernarg_segment_size: 88
    .language:       OpenCL C
    .language_version:
      - 2
      - 0
    .max_flat_workgroup_size: 512
    .name:           _ZN7rocprim17ROCPRIM_400000_NS6detail17trampoline_kernelINS0_14default_configENS1_35radix_sort_onesweep_config_selectorIsNS0_10empty_typeEEEZZNS1_29radix_sort_onesweep_iterationIS3_Lb0EN6thrust23THRUST_200600_302600_NS6detail15normal_iteratorINS9_10device_ptrIsEEEESE_PS5_SF_jNS0_19identity_decomposerENS1_16block_id_wrapperIjLb0EEEEE10hipError_tT1_PNSt15iterator_traitsISK_E10value_typeET2_T3_PNSL_ISQ_E10value_typeET4_T5_PSV_SW_PNS1_23onesweep_lookback_stateEbbT6_jjT7_P12ihipStream_tbENKUlT_T0_SK_SP_E_clISE_SE_SF_SF_EEDaS13_S14_SK_SP_EUlS13_E_NS1_11comp_targetILNS1_3genE3ELNS1_11target_archE908ELNS1_3gpuE7ELNS1_3repE0EEENS1_47radix_sort_onesweep_sort_config_static_selectorELNS0_4arch9wavefront6targetE1EEEvSK_
    .private_segment_fixed_size: 0
    .sgpr_count:     4
    .sgpr_spill_count: 0
    .symbol:         _ZN7rocprim17ROCPRIM_400000_NS6detail17trampoline_kernelINS0_14default_configENS1_35radix_sort_onesweep_config_selectorIsNS0_10empty_typeEEEZZNS1_29radix_sort_onesweep_iterationIS3_Lb0EN6thrust23THRUST_200600_302600_NS6detail15normal_iteratorINS9_10device_ptrIsEEEESE_PS5_SF_jNS0_19identity_decomposerENS1_16block_id_wrapperIjLb0EEEEE10hipError_tT1_PNSt15iterator_traitsISK_E10value_typeET2_T3_PNSL_ISQ_E10value_typeET4_T5_PSV_SW_PNS1_23onesweep_lookback_stateEbbT6_jjT7_P12ihipStream_tbENKUlT_T0_SK_SP_E_clISE_SE_SF_SF_EEDaS13_S14_SK_SP_EUlS13_E_NS1_11comp_targetILNS1_3genE3ELNS1_11target_archE908ELNS1_3gpuE7ELNS1_3repE0EEENS1_47radix_sort_onesweep_sort_config_static_selectorELNS0_4arch9wavefront6targetE1EEEvSK_.kd
    .uniform_work_group_size: 1
    .uses_dynamic_stack: false
    .vgpr_count:     0
    .vgpr_spill_count: 0
    .wavefront_size: 64
  - .agpr_count:     0
    .args:
      - .offset:         0
        .size:           88
        .value_kind:     by_value
    .group_segment_fixed_size: 0
    .kernarg_segment_align: 8
    .kernarg_segment_size: 88
    .language:       OpenCL C
    .language_version:
      - 2
      - 0
    .max_flat_workgroup_size: 256
    .name:           _ZN7rocprim17ROCPRIM_400000_NS6detail17trampoline_kernelINS0_14default_configENS1_35radix_sort_onesweep_config_selectorIsNS0_10empty_typeEEEZZNS1_29radix_sort_onesweep_iterationIS3_Lb0EN6thrust23THRUST_200600_302600_NS6detail15normal_iteratorINS9_10device_ptrIsEEEESE_PS5_SF_jNS0_19identity_decomposerENS1_16block_id_wrapperIjLb0EEEEE10hipError_tT1_PNSt15iterator_traitsISK_E10value_typeET2_T3_PNSL_ISQ_E10value_typeET4_T5_PSV_SW_PNS1_23onesweep_lookback_stateEbbT6_jjT7_P12ihipStream_tbENKUlT_T0_SK_SP_E_clISE_SE_SF_SF_EEDaS13_S14_SK_SP_EUlS13_E_NS1_11comp_targetILNS1_3genE10ELNS1_11target_archE1201ELNS1_3gpuE5ELNS1_3repE0EEENS1_47radix_sort_onesweep_sort_config_static_selectorELNS0_4arch9wavefront6targetE1EEEvSK_
    .private_segment_fixed_size: 0
    .sgpr_count:     4
    .sgpr_spill_count: 0
    .symbol:         _ZN7rocprim17ROCPRIM_400000_NS6detail17trampoline_kernelINS0_14default_configENS1_35radix_sort_onesweep_config_selectorIsNS0_10empty_typeEEEZZNS1_29radix_sort_onesweep_iterationIS3_Lb0EN6thrust23THRUST_200600_302600_NS6detail15normal_iteratorINS9_10device_ptrIsEEEESE_PS5_SF_jNS0_19identity_decomposerENS1_16block_id_wrapperIjLb0EEEEE10hipError_tT1_PNSt15iterator_traitsISK_E10value_typeET2_T3_PNSL_ISQ_E10value_typeET4_T5_PSV_SW_PNS1_23onesweep_lookback_stateEbbT6_jjT7_P12ihipStream_tbENKUlT_T0_SK_SP_E_clISE_SE_SF_SF_EEDaS13_S14_SK_SP_EUlS13_E_NS1_11comp_targetILNS1_3genE10ELNS1_11target_archE1201ELNS1_3gpuE5ELNS1_3repE0EEENS1_47radix_sort_onesweep_sort_config_static_selectorELNS0_4arch9wavefront6targetE1EEEvSK_.kd
    .uniform_work_group_size: 1
    .uses_dynamic_stack: false
    .vgpr_count:     0
    .vgpr_spill_count: 0
    .wavefront_size: 64
  - .agpr_count:     0
    .args:
      - .offset:         0
        .size:           88
        .value_kind:     by_value
    .group_segment_fixed_size: 0
    .kernarg_segment_align: 8
    .kernarg_segment_size: 88
    .language:       OpenCL C
    .language_version:
      - 2
      - 0
    .max_flat_workgroup_size: 256
    .name:           _ZN7rocprim17ROCPRIM_400000_NS6detail17trampoline_kernelINS0_14default_configENS1_35radix_sort_onesweep_config_selectorIsNS0_10empty_typeEEEZZNS1_29radix_sort_onesweep_iterationIS3_Lb0EN6thrust23THRUST_200600_302600_NS6detail15normal_iteratorINS9_10device_ptrIsEEEESE_PS5_SF_jNS0_19identity_decomposerENS1_16block_id_wrapperIjLb0EEEEE10hipError_tT1_PNSt15iterator_traitsISK_E10value_typeET2_T3_PNSL_ISQ_E10value_typeET4_T5_PSV_SW_PNS1_23onesweep_lookback_stateEbbT6_jjT7_P12ihipStream_tbENKUlT_T0_SK_SP_E_clISE_SE_SF_SF_EEDaS13_S14_SK_SP_EUlS13_E_NS1_11comp_targetILNS1_3genE9ELNS1_11target_archE1100ELNS1_3gpuE3ELNS1_3repE0EEENS1_47radix_sort_onesweep_sort_config_static_selectorELNS0_4arch9wavefront6targetE1EEEvSK_
    .private_segment_fixed_size: 0
    .sgpr_count:     4
    .sgpr_spill_count: 0
    .symbol:         _ZN7rocprim17ROCPRIM_400000_NS6detail17trampoline_kernelINS0_14default_configENS1_35radix_sort_onesweep_config_selectorIsNS0_10empty_typeEEEZZNS1_29radix_sort_onesweep_iterationIS3_Lb0EN6thrust23THRUST_200600_302600_NS6detail15normal_iteratorINS9_10device_ptrIsEEEESE_PS5_SF_jNS0_19identity_decomposerENS1_16block_id_wrapperIjLb0EEEEE10hipError_tT1_PNSt15iterator_traitsISK_E10value_typeET2_T3_PNSL_ISQ_E10value_typeET4_T5_PSV_SW_PNS1_23onesweep_lookback_stateEbbT6_jjT7_P12ihipStream_tbENKUlT_T0_SK_SP_E_clISE_SE_SF_SF_EEDaS13_S14_SK_SP_EUlS13_E_NS1_11comp_targetILNS1_3genE9ELNS1_11target_archE1100ELNS1_3gpuE3ELNS1_3repE0EEENS1_47radix_sort_onesweep_sort_config_static_selectorELNS0_4arch9wavefront6targetE1EEEvSK_.kd
    .uniform_work_group_size: 1
    .uses_dynamic_stack: false
    .vgpr_count:     0
    .vgpr_spill_count: 0
    .wavefront_size: 64
  - .agpr_count:     0
    .args:
      - .offset:         0
        .size:           88
        .value_kind:     by_value
    .group_segment_fixed_size: 0
    .kernarg_segment_align: 8
    .kernarg_segment_size: 88
    .language:       OpenCL C
    .language_version:
      - 2
      - 0
    .max_flat_workgroup_size: 256
    .name:           _ZN7rocprim17ROCPRIM_400000_NS6detail17trampoline_kernelINS0_14default_configENS1_35radix_sort_onesweep_config_selectorIsNS0_10empty_typeEEEZZNS1_29radix_sort_onesweep_iterationIS3_Lb0EN6thrust23THRUST_200600_302600_NS6detail15normal_iteratorINS9_10device_ptrIsEEEESE_PS5_SF_jNS0_19identity_decomposerENS1_16block_id_wrapperIjLb0EEEEE10hipError_tT1_PNSt15iterator_traitsISK_E10value_typeET2_T3_PNSL_ISQ_E10value_typeET4_T5_PSV_SW_PNS1_23onesweep_lookback_stateEbbT6_jjT7_P12ihipStream_tbENKUlT_T0_SK_SP_E_clISE_SE_SF_SF_EEDaS13_S14_SK_SP_EUlS13_E_NS1_11comp_targetILNS1_3genE8ELNS1_11target_archE1030ELNS1_3gpuE2ELNS1_3repE0EEENS1_47radix_sort_onesweep_sort_config_static_selectorELNS0_4arch9wavefront6targetE1EEEvSK_
    .private_segment_fixed_size: 0
    .sgpr_count:     4
    .sgpr_spill_count: 0
    .symbol:         _ZN7rocprim17ROCPRIM_400000_NS6detail17trampoline_kernelINS0_14default_configENS1_35radix_sort_onesweep_config_selectorIsNS0_10empty_typeEEEZZNS1_29radix_sort_onesweep_iterationIS3_Lb0EN6thrust23THRUST_200600_302600_NS6detail15normal_iteratorINS9_10device_ptrIsEEEESE_PS5_SF_jNS0_19identity_decomposerENS1_16block_id_wrapperIjLb0EEEEE10hipError_tT1_PNSt15iterator_traitsISK_E10value_typeET2_T3_PNSL_ISQ_E10value_typeET4_T5_PSV_SW_PNS1_23onesweep_lookback_stateEbbT6_jjT7_P12ihipStream_tbENKUlT_T0_SK_SP_E_clISE_SE_SF_SF_EEDaS13_S14_SK_SP_EUlS13_E_NS1_11comp_targetILNS1_3genE8ELNS1_11target_archE1030ELNS1_3gpuE2ELNS1_3repE0EEENS1_47radix_sort_onesweep_sort_config_static_selectorELNS0_4arch9wavefront6targetE1EEEvSK_.kd
    .uniform_work_group_size: 1
    .uses_dynamic_stack: false
    .vgpr_count:     0
    .vgpr_spill_count: 0
    .wavefront_size: 64
  - .agpr_count:     0
    .args:
      - .offset:         0
        .size:           88
        .value_kind:     by_value
    .group_segment_fixed_size: 0
    .kernarg_segment_align: 8
    .kernarg_segment_size: 88
    .language:       OpenCL C
    .language_version:
      - 2
      - 0
    .max_flat_workgroup_size: 512
    .name:           _ZN7rocprim17ROCPRIM_400000_NS6detail17trampoline_kernelINS0_14default_configENS1_35radix_sort_onesweep_config_selectorIsNS0_10empty_typeEEEZZNS1_29radix_sort_onesweep_iterationIS3_Lb0EN6thrust23THRUST_200600_302600_NS6detail15normal_iteratorINS9_10device_ptrIsEEEESE_PS5_SF_jNS0_19identity_decomposerENS1_16block_id_wrapperIjLb0EEEEE10hipError_tT1_PNSt15iterator_traitsISK_E10value_typeET2_T3_PNSL_ISQ_E10value_typeET4_T5_PSV_SW_PNS1_23onesweep_lookback_stateEbbT6_jjT7_P12ihipStream_tbENKUlT_T0_SK_SP_E_clISE_PsSF_SF_EEDaS13_S14_SK_SP_EUlS13_E_NS1_11comp_targetILNS1_3genE0ELNS1_11target_archE4294967295ELNS1_3gpuE0ELNS1_3repE0EEENS1_47radix_sort_onesweep_sort_config_static_selectorELNS0_4arch9wavefront6targetE1EEEvSK_
    .private_segment_fixed_size: 0
    .sgpr_count:     4
    .sgpr_spill_count: 0
    .symbol:         _ZN7rocprim17ROCPRIM_400000_NS6detail17trampoline_kernelINS0_14default_configENS1_35radix_sort_onesweep_config_selectorIsNS0_10empty_typeEEEZZNS1_29radix_sort_onesweep_iterationIS3_Lb0EN6thrust23THRUST_200600_302600_NS6detail15normal_iteratorINS9_10device_ptrIsEEEESE_PS5_SF_jNS0_19identity_decomposerENS1_16block_id_wrapperIjLb0EEEEE10hipError_tT1_PNSt15iterator_traitsISK_E10value_typeET2_T3_PNSL_ISQ_E10value_typeET4_T5_PSV_SW_PNS1_23onesweep_lookback_stateEbbT6_jjT7_P12ihipStream_tbENKUlT_T0_SK_SP_E_clISE_PsSF_SF_EEDaS13_S14_SK_SP_EUlS13_E_NS1_11comp_targetILNS1_3genE0ELNS1_11target_archE4294967295ELNS1_3gpuE0ELNS1_3repE0EEENS1_47radix_sort_onesweep_sort_config_static_selectorELNS0_4arch9wavefront6targetE1EEEvSK_.kd
    .uniform_work_group_size: 1
    .uses_dynamic_stack: false
    .vgpr_count:     0
    .vgpr_spill_count: 0
    .wavefront_size: 64
  - .agpr_count:     0
    .args:
      - .offset:         0
        .size:           88
        .value_kind:     by_value
    .group_segment_fixed_size: 0
    .kernarg_segment_align: 8
    .kernarg_segment_size: 88
    .language:       OpenCL C
    .language_version:
      - 2
      - 0
    .max_flat_workgroup_size: 1024
    .name:           _ZN7rocprim17ROCPRIM_400000_NS6detail17trampoline_kernelINS0_14default_configENS1_35radix_sort_onesweep_config_selectorIsNS0_10empty_typeEEEZZNS1_29radix_sort_onesweep_iterationIS3_Lb0EN6thrust23THRUST_200600_302600_NS6detail15normal_iteratorINS9_10device_ptrIsEEEESE_PS5_SF_jNS0_19identity_decomposerENS1_16block_id_wrapperIjLb0EEEEE10hipError_tT1_PNSt15iterator_traitsISK_E10value_typeET2_T3_PNSL_ISQ_E10value_typeET4_T5_PSV_SW_PNS1_23onesweep_lookback_stateEbbT6_jjT7_P12ihipStream_tbENKUlT_T0_SK_SP_E_clISE_PsSF_SF_EEDaS13_S14_SK_SP_EUlS13_E_NS1_11comp_targetILNS1_3genE6ELNS1_11target_archE950ELNS1_3gpuE13ELNS1_3repE0EEENS1_47radix_sort_onesweep_sort_config_static_selectorELNS0_4arch9wavefront6targetE1EEEvSK_
    .private_segment_fixed_size: 0
    .sgpr_count:     4
    .sgpr_spill_count: 0
    .symbol:         _ZN7rocprim17ROCPRIM_400000_NS6detail17trampoline_kernelINS0_14default_configENS1_35radix_sort_onesweep_config_selectorIsNS0_10empty_typeEEEZZNS1_29radix_sort_onesweep_iterationIS3_Lb0EN6thrust23THRUST_200600_302600_NS6detail15normal_iteratorINS9_10device_ptrIsEEEESE_PS5_SF_jNS0_19identity_decomposerENS1_16block_id_wrapperIjLb0EEEEE10hipError_tT1_PNSt15iterator_traitsISK_E10value_typeET2_T3_PNSL_ISQ_E10value_typeET4_T5_PSV_SW_PNS1_23onesweep_lookback_stateEbbT6_jjT7_P12ihipStream_tbENKUlT_T0_SK_SP_E_clISE_PsSF_SF_EEDaS13_S14_SK_SP_EUlS13_E_NS1_11comp_targetILNS1_3genE6ELNS1_11target_archE950ELNS1_3gpuE13ELNS1_3repE0EEENS1_47radix_sort_onesweep_sort_config_static_selectorELNS0_4arch9wavefront6targetE1EEEvSK_.kd
    .uniform_work_group_size: 1
    .uses_dynamic_stack: false
    .vgpr_count:     0
    .vgpr_spill_count: 0
    .wavefront_size: 64
  - .agpr_count:     0
    .args:
      - .offset:         0
        .size:           88
        .value_kind:     by_value
    .group_segment_fixed_size: 0
    .kernarg_segment_align: 8
    .kernarg_segment_size: 88
    .language:       OpenCL C
    .language_version:
      - 2
      - 0
    .max_flat_workgroup_size: 1024
    .name:           _ZN7rocprim17ROCPRIM_400000_NS6detail17trampoline_kernelINS0_14default_configENS1_35radix_sort_onesweep_config_selectorIsNS0_10empty_typeEEEZZNS1_29radix_sort_onesweep_iterationIS3_Lb0EN6thrust23THRUST_200600_302600_NS6detail15normal_iteratorINS9_10device_ptrIsEEEESE_PS5_SF_jNS0_19identity_decomposerENS1_16block_id_wrapperIjLb0EEEEE10hipError_tT1_PNSt15iterator_traitsISK_E10value_typeET2_T3_PNSL_ISQ_E10value_typeET4_T5_PSV_SW_PNS1_23onesweep_lookback_stateEbbT6_jjT7_P12ihipStream_tbENKUlT_T0_SK_SP_E_clISE_PsSF_SF_EEDaS13_S14_SK_SP_EUlS13_E_NS1_11comp_targetILNS1_3genE5ELNS1_11target_archE942ELNS1_3gpuE9ELNS1_3repE0EEENS1_47radix_sort_onesweep_sort_config_static_selectorELNS0_4arch9wavefront6targetE1EEEvSK_
    .private_segment_fixed_size: 0
    .sgpr_count:     4
    .sgpr_spill_count: 0
    .symbol:         _ZN7rocprim17ROCPRIM_400000_NS6detail17trampoline_kernelINS0_14default_configENS1_35radix_sort_onesweep_config_selectorIsNS0_10empty_typeEEEZZNS1_29radix_sort_onesweep_iterationIS3_Lb0EN6thrust23THRUST_200600_302600_NS6detail15normal_iteratorINS9_10device_ptrIsEEEESE_PS5_SF_jNS0_19identity_decomposerENS1_16block_id_wrapperIjLb0EEEEE10hipError_tT1_PNSt15iterator_traitsISK_E10value_typeET2_T3_PNSL_ISQ_E10value_typeET4_T5_PSV_SW_PNS1_23onesweep_lookback_stateEbbT6_jjT7_P12ihipStream_tbENKUlT_T0_SK_SP_E_clISE_PsSF_SF_EEDaS13_S14_SK_SP_EUlS13_E_NS1_11comp_targetILNS1_3genE5ELNS1_11target_archE942ELNS1_3gpuE9ELNS1_3repE0EEENS1_47radix_sort_onesweep_sort_config_static_selectorELNS0_4arch9wavefront6targetE1EEEvSK_.kd
    .uniform_work_group_size: 1
    .uses_dynamic_stack: false
    .vgpr_count:     0
    .vgpr_spill_count: 0
    .wavefront_size: 64
  - .agpr_count:     0
    .args:
      - .offset:         0
        .size:           88
        .value_kind:     by_value
    .group_segment_fixed_size: 0
    .kernarg_segment_align: 8
    .kernarg_segment_size: 88
    .language:       OpenCL C
    .language_version:
      - 2
      - 0
    .max_flat_workgroup_size: 512
    .name:           _ZN7rocprim17ROCPRIM_400000_NS6detail17trampoline_kernelINS0_14default_configENS1_35radix_sort_onesweep_config_selectorIsNS0_10empty_typeEEEZZNS1_29radix_sort_onesweep_iterationIS3_Lb0EN6thrust23THRUST_200600_302600_NS6detail15normal_iteratorINS9_10device_ptrIsEEEESE_PS5_SF_jNS0_19identity_decomposerENS1_16block_id_wrapperIjLb0EEEEE10hipError_tT1_PNSt15iterator_traitsISK_E10value_typeET2_T3_PNSL_ISQ_E10value_typeET4_T5_PSV_SW_PNS1_23onesweep_lookback_stateEbbT6_jjT7_P12ihipStream_tbENKUlT_T0_SK_SP_E_clISE_PsSF_SF_EEDaS13_S14_SK_SP_EUlS13_E_NS1_11comp_targetILNS1_3genE2ELNS1_11target_archE906ELNS1_3gpuE6ELNS1_3repE0EEENS1_47radix_sort_onesweep_sort_config_static_selectorELNS0_4arch9wavefront6targetE1EEEvSK_
    .private_segment_fixed_size: 0
    .sgpr_count:     4
    .sgpr_spill_count: 0
    .symbol:         _ZN7rocprim17ROCPRIM_400000_NS6detail17trampoline_kernelINS0_14default_configENS1_35radix_sort_onesweep_config_selectorIsNS0_10empty_typeEEEZZNS1_29radix_sort_onesweep_iterationIS3_Lb0EN6thrust23THRUST_200600_302600_NS6detail15normal_iteratorINS9_10device_ptrIsEEEESE_PS5_SF_jNS0_19identity_decomposerENS1_16block_id_wrapperIjLb0EEEEE10hipError_tT1_PNSt15iterator_traitsISK_E10value_typeET2_T3_PNSL_ISQ_E10value_typeET4_T5_PSV_SW_PNS1_23onesweep_lookback_stateEbbT6_jjT7_P12ihipStream_tbENKUlT_T0_SK_SP_E_clISE_PsSF_SF_EEDaS13_S14_SK_SP_EUlS13_E_NS1_11comp_targetILNS1_3genE2ELNS1_11target_archE906ELNS1_3gpuE6ELNS1_3repE0EEENS1_47radix_sort_onesweep_sort_config_static_selectorELNS0_4arch9wavefront6targetE1EEEvSK_.kd
    .uniform_work_group_size: 1
    .uses_dynamic_stack: false
    .vgpr_count:     0
    .vgpr_spill_count: 0
    .wavefront_size: 64
  - .agpr_count:     0
    .args:
      - .offset:         0
        .size:           88
        .value_kind:     by_value
      - .offset:         88
        .size:           4
        .value_kind:     hidden_block_count_x
      - .offset:         92
        .size:           4
        .value_kind:     hidden_block_count_y
      - .offset:         96
        .size:           4
        .value_kind:     hidden_block_count_z
      - .offset:         100
        .size:           2
        .value_kind:     hidden_group_size_x
      - .offset:         102
        .size:           2
        .value_kind:     hidden_group_size_y
      - .offset:         104
        .size:           2
        .value_kind:     hidden_group_size_z
      - .offset:         106
        .size:           2
        .value_kind:     hidden_remainder_x
      - .offset:         108
        .size:           2
        .value_kind:     hidden_remainder_y
      - .offset:         110
        .size:           2
        .value_kind:     hidden_remainder_z
      - .offset:         128
        .size:           8
        .value_kind:     hidden_global_offset_x
      - .offset:         136
        .size:           8
        .value_kind:     hidden_global_offset_y
      - .offset:         144
        .size:           8
        .value_kind:     hidden_global_offset_z
      - .offset:         152
        .size:           2
        .value_kind:     hidden_grid_dims
    .group_segment_fixed_size: 25608
    .kernarg_segment_align: 8
    .kernarg_segment_size: 344
    .language:       OpenCL C
    .language_version:
      - 2
      - 0
    .max_flat_workgroup_size: 1024
    .name:           _ZN7rocprim17ROCPRIM_400000_NS6detail17trampoline_kernelINS0_14default_configENS1_35radix_sort_onesweep_config_selectorIsNS0_10empty_typeEEEZZNS1_29radix_sort_onesweep_iterationIS3_Lb0EN6thrust23THRUST_200600_302600_NS6detail15normal_iteratorINS9_10device_ptrIsEEEESE_PS5_SF_jNS0_19identity_decomposerENS1_16block_id_wrapperIjLb0EEEEE10hipError_tT1_PNSt15iterator_traitsISK_E10value_typeET2_T3_PNSL_ISQ_E10value_typeET4_T5_PSV_SW_PNS1_23onesweep_lookback_stateEbbT6_jjT7_P12ihipStream_tbENKUlT_T0_SK_SP_E_clISE_PsSF_SF_EEDaS13_S14_SK_SP_EUlS13_E_NS1_11comp_targetILNS1_3genE4ELNS1_11target_archE910ELNS1_3gpuE8ELNS1_3repE0EEENS1_47radix_sort_onesweep_sort_config_static_selectorELNS0_4arch9wavefront6targetE1EEEvSK_
    .private_segment_fixed_size: 0
    .sgpr_count:     48
    .sgpr_spill_count: 0
    .symbol:         _ZN7rocprim17ROCPRIM_400000_NS6detail17trampoline_kernelINS0_14default_configENS1_35radix_sort_onesweep_config_selectorIsNS0_10empty_typeEEEZZNS1_29radix_sort_onesweep_iterationIS3_Lb0EN6thrust23THRUST_200600_302600_NS6detail15normal_iteratorINS9_10device_ptrIsEEEESE_PS5_SF_jNS0_19identity_decomposerENS1_16block_id_wrapperIjLb0EEEEE10hipError_tT1_PNSt15iterator_traitsISK_E10value_typeET2_T3_PNSL_ISQ_E10value_typeET4_T5_PSV_SW_PNS1_23onesweep_lookback_stateEbbT6_jjT7_P12ihipStream_tbENKUlT_T0_SK_SP_E_clISE_PsSF_SF_EEDaS13_S14_SK_SP_EUlS13_E_NS1_11comp_targetILNS1_3genE4ELNS1_11target_archE910ELNS1_3gpuE8ELNS1_3repE0EEENS1_47radix_sort_onesweep_sort_config_static_selectorELNS0_4arch9wavefront6targetE1EEEvSK_.kd
    .uniform_work_group_size: 1
    .uses_dynamic_stack: false
    .vgpr_count:     62
    .vgpr_spill_count: 0
    .wavefront_size: 64
  - .agpr_count:     0
    .args:
      - .offset:         0
        .size:           88
        .value_kind:     by_value
    .group_segment_fixed_size: 0
    .kernarg_segment_align: 8
    .kernarg_segment_size: 88
    .language:       OpenCL C
    .language_version:
      - 2
      - 0
    .max_flat_workgroup_size: 512
    .name:           _ZN7rocprim17ROCPRIM_400000_NS6detail17trampoline_kernelINS0_14default_configENS1_35radix_sort_onesweep_config_selectorIsNS0_10empty_typeEEEZZNS1_29radix_sort_onesweep_iterationIS3_Lb0EN6thrust23THRUST_200600_302600_NS6detail15normal_iteratorINS9_10device_ptrIsEEEESE_PS5_SF_jNS0_19identity_decomposerENS1_16block_id_wrapperIjLb0EEEEE10hipError_tT1_PNSt15iterator_traitsISK_E10value_typeET2_T3_PNSL_ISQ_E10value_typeET4_T5_PSV_SW_PNS1_23onesweep_lookback_stateEbbT6_jjT7_P12ihipStream_tbENKUlT_T0_SK_SP_E_clISE_PsSF_SF_EEDaS13_S14_SK_SP_EUlS13_E_NS1_11comp_targetILNS1_3genE3ELNS1_11target_archE908ELNS1_3gpuE7ELNS1_3repE0EEENS1_47radix_sort_onesweep_sort_config_static_selectorELNS0_4arch9wavefront6targetE1EEEvSK_
    .private_segment_fixed_size: 0
    .sgpr_count:     4
    .sgpr_spill_count: 0
    .symbol:         _ZN7rocprim17ROCPRIM_400000_NS6detail17trampoline_kernelINS0_14default_configENS1_35radix_sort_onesweep_config_selectorIsNS0_10empty_typeEEEZZNS1_29radix_sort_onesweep_iterationIS3_Lb0EN6thrust23THRUST_200600_302600_NS6detail15normal_iteratorINS9_10device_ptrIsEEEESE_PS5_SF_jNS0_19identity_decomposerENS1_16block_id_wrapperIjLb0EEEEE10hipError_tT1_PNSt15iterator_traitsISK_E10value_typeET2_T3_PNSL_ISQ_E10value_typeET4_T5_PSV_SW_PNS1_23onesweep_lookback_stateEbbT6_jjT7_P12ihipStream_tbENKUlT_T0_SK_SP_E_clISE_PsSF_SF_EEDaS13_S14_SK_SP_EUlS13_E_NS1_11comp_targetILNS1_3genE3ELNS1_11target_archE908ELNS1_3gpuE7ELNS1_3repE0EEENS1_47radix_sort_onesweep_sort_config_static_selectorELNS0_4arch9wavefront6targetE1EEEvSK_.kd
    .uniform_work_group_size: 1
    .uses_dynamic_stack: false
    .vgpr_count:     0
    .vgpr_spill_count: 0
    .wavefront_size: 64
  - .agpr_count:     0
    .args:
      - .offset:         0
        .size:           88
        .value_kind:     by_value
    .group_segment_fixed_size: 0
    .kernarg_segment_align: 8
    .kernarg_segment_size: 88
    .language:       OpenCL C
    .language_version:
      - 2
      - 0
    .max_flat_workgroup_size: 256
    .name:           _ZN7rocprim17ROCPRIM_400000_NS6detail17trampoline_kernelINS0_14default_configENS1_35radix_sort_onesweep_config_selectorIsNS0_10empty_typeEEEZZNS1_29radix_sort_onesweep_iterationIS3_Lb0EN6thrust23THRUST_200600_302600_NS6detail15normal_iteratorINS9_10device_ptrIsEEEESE_PS5_SF_jNS0_19identity_decomposerENS1_16block_id_wrapperIjLb0EEEEE10hipError_tT1_PNSt15iterator_traitsISK_E10value_typeET2_T3_PNSL_ISQ_E10value_typeET4_T5_PSV_SW_PNS1_23onesweep_lookback_stateEbbT6_jjT7_P12ihipStream_tbENKUlT_T0_SK_SP_E_clISE_PsSF_SF_EEDaS13_S14_SK_SP_EUlS13_E_NS1_11comp_targetILNS1_3genE10ELNS1_11target_archE1201ELNS1_3gpuE5ELNS1_3repE0EEENS1_47radix_sort_onesweep_sort_config_static_selectorELNS0_4arch9wavefront6targetE1EEEvSK_
    .private_segment_fixed_size: 0
    .sgpr_count:     4
    .sgpr_spill_count: 0
    .symbol:         _ZN7rocprim17ROCPRIM_400000_NS6detail17trampoline_kernelINS0_14default_configENS1_35radix_sort_onesweep_config_selectorIsNS0_10empty_typeEEEZZNS1_29radix_sort_onesweep_iterationIS3_Lb0EN6thrust23THRUST_200600_302600_NS6detail15normal_iteratorINS9_10device_ptrIsEEEESE_PS5_SF_jNS0_19identity_decomposerENS1_16block_id_wrapperIjLb0EEEEE10hipError_tT1_PNSt15iterator_traitsISK_E10value_typeET2_T3_PNSL_ISQ_E10value_typeET4_T5_PSV_SW_PNS1_23onesweep_lookback_stateEbbT6_jjT7_P12ihipStream_tbENKUlT_T0_SK_SP_E_clISE_PsSF_SF_EEDaS13_S14_SK_SP_EUlS13_E_NS1_11comp_targetILNS1_3genE10ELNS1_11target_archE1201ELNS1_3gpuE5ELNS1_3repE0EEENS1_47radix_sort_onesweep_sort_config_static_selectorELNS0_4arch9wavefront6targetE1EEEvSK_.kd
    .uniform_work_group_size: 1
    .uses_dynamic_stack: false
    .vgpr_count:     0
    .vgpr_spill_count: 0
    .wavefront_size: 64
  - .agpr_count:     0
    .args:
      - .offset:         0
        .size:           88
        .value_kind:     by_value
    .group_segment_fixed_size: 0
    .kernarg_segment_align: 8
    .kernarg_segment_size: 88
    .language:       OpenCL C
    .language_version:
      - 2
      - 0
    .max_flat_workgroup_size: 256
    .name:           _ZN7rocprim17ROCPRIM_400000_NS6detail17trampoline_kernelINS0_14default_configENS1_35radix_sort_onesweep_config_selectorIsNS0_10empty_typeEEEZZNS1_29radix_sort_onesweep_iterationIS3_Lb0EN6thrust23THRUST_200600_302600_NS6detail15normal_iteratorINS9_10device_ptrIsEEEESE_PS5_SF_jNS0_19identity_decomposerENS1_16block_id_wrapperIjLb0EEEEE10hipError_tT1_PNSt15iterator_traitsISK_E10value_typeET2_T3_PNSL_ISQ_E10value_typeET4_T5_PSV_SW_PNS1_23onesweep_lookback_stateEbbT6_jjT7_P12ihipStream_tbENKUlT_T0_SK_SP_E_clISE_PsSF_SF_EEDaS13_S14_SK_SP_EUlS13_E_NS1_11comp_targetILNS1_3genE9ELNS1_11target_archE1100ELNS1_3gpuE3ELNS1_3repE0EEENS1_47radix_sort_onesweep_sort_config_static_selectorELNS0_4arch9wavefront6targetE1EEEvSK_
    .private_segment_fixed_size: 0
    .sgpr_count:     4
    .sgpr_spill_count: 0
    .symbol:         _ZN7rocprim17ROCPRIM_400000_NS6detail17trampoline_kernelINS0_14default_configENS1_35radix_sort_onesweep_config_selectorIsNS0_10empty_typeEEEZZNS1_29radix_sort_onesweep_iterationIS3_Lb0EN6thrust23THRUST_200600_302600_NS6detail15normal_iteratorINS9_10device_ptrIsEEEESE_PS5_SF_jNS0_19identity_decomposerENS1_16block_id_wrapperIjLb0EEEEE10hipError_tT1_PNSt15iterator_traitsISK_E10value_typeET2_T3_PNSL_ISQ_E10value_typeET4_T5_PSV_SW_PNS1_23onesweep_lookback_stateEbbT6_jjT7_P12ihipStream_tbENKUlT_T0_SK_SP_E_clISE_PsSF_SF_EEDaS13_S14_SK_SP_EUlS13_E_NS1_11comp_targetILNS1_3genE9ELNS1_11target_archE1100ELNS1_3gpuE3ELNS1_3repE0EEENS1_47radix_sort_onesweep_sort_config_static_selectorELNS0_4arch9wavefront6targetE1EEEvSK_.kd
    .uniform_work_group_size: 1
    .uses_dynamic_stack: false
    .vgpr_count:     0
    .vgpr_spill_count: 0
    .wavefront_size: 64
  - .agpr_count:     0
    .args:
      - .offset:         0
        .size:           88
        .value_kind:     by_value
    .group_segment_fixed_size: 0
    .kernarg_segment_align: 8
    .kernarg_segment_size: 88
    .language:       OpenCL C
    .language_version:
      - 2
      - 0
    .max_flat_workgroup_size: 256
    .name:           _ZN7rocprim17ROCPRIM_400000_NS6detail17trampoline_kernelINS0_14default_configENS1_35radix_sort_onesweep_config_selectorIsNS0_10empty_typeEEEZZNS1_29radix_sort_onesweep_iterationIS3_Lb0EN6thrust23THRUST_200600_302600_NS6detail15normal_iteratorINS9_10device_ptrIsEEEESE_PS5_SF_jNS0_19identity_decomposerENS1_16block_id_wrapperIjLb0EEEEE10hipError_tT1_PNSt15iterator_traitsISK_E10value_typeET2_T3_PNSL_ISQ_E10value_typeET4_T5_PSV_SW_PNS1_23onesweep_lookback_stateEbbT6_jjT7_P12ihipStream_tbENKUlT_T0_SK_SP_E_clISE_PsSF_SF_EEDaS13_S14_SK_SP_EUlS13_E_NS1_11comp_targetILNS1_3genE8ELNS1_11target_archE1030ELNS1_3gpuE2ELNS1_3repE0EEENS1_47radix_sort_onesweep_sort_config_static_selectorELNS0_4arch9wavefront6targetE1EEEvSK_
    .private_segment_fixed_size: 0
    .sgpr_count:     4
    .sgpr_spill_count: 0
    .symbol:         _ZN7rocprim17ROCPRIM_400000_NS6detail17trampoline_kernelINS0_14default_configENS1_35radix_sort_onesweep_config_selectorIsNS0_10empty_typeEEEZZNS1_29radix_sort_onesweep_iterationIS3_Lb0EN6thrust23THRUST_200600_302600_NS6detail15normal_iteratorINS9_10device_ptrIsEEEESE_PS5_SF_jNS0_19identity_decomposerENS1_16block_id_wrapperIjLb0EEEEE10hipError_tT1_PNSt15iterator_traitsISK_E10value_typeET2_T3_PNSL_ISQ_E10value_typeET4_T5_PSV_SW_PNS1_23onesweep_lookback_stateEbbT6_jjT7_P12ihipStream_tbENKUlT_T0_SK_SP_E_clISE_PsSF_SF_EEDaS13_S14_SK_SP_EUlS13_E_NS1_11comp_targetILNS1_3genE8ELNS1_11target_archE1030ELNS1_3gpuE2ELNS1_3repE0EEENS1_47radix_sort_onesweep_sort_config_static_selectorELNS0_4arch9wavefront6targetE1EEEvSK_.kd
    .uniform_work_group_size: 1
    .uses_dynamic_stack: false
    .vgpr_count:     0
    .vgpr_spill_count: 0
    .wavefront_size: 64
  - .agpr_count:     0
    .args:
      - .offset:         0
        .size:           88
        .value_kind:     by_value
    .group_segment_fixed_size: 0
    .kernarg_segment_align: 8
    .kernarg_segment_size: 88
    .language:       OpenCL C
    .language_version:
      - 2
      - 0
    .max_flat_workgroup_size: 512
    .name:           _ZN7rocprim17ROCPRIM_400000_NS6detail17trampoline_kernelINS0_14default_configENS1_35radix_sort_onesweep_config_selectorIsNS0_10empty_typeEEEZZNS1_29radix_sort_onesweep_iterationIS3_Lb0EN6thrust23THRUST_200600_302600_NS6detail15normal_iteratorINS9_10device_ptrIsEEEESE_PS5_SF_jNS0_19identity_decomposerENS1_16block_id_wrapperIjLb0EEEEE10hipError_tT1_PNSt15iterator_traitsISK_E10value_typeET2_T3_PNSL_ISQ_E10value_typeET4_T5_PSV_SW_PNS1_23onesweep_lookback_stateEbbT6_jjT7_P12ihipStream_tbENKUlT_T0_SK_SP_E_clIPsSE_SF_SF_EEDaS13_S14_SK_SP_EUlS13_E_NS1_11comp_targetILNS1_3genE0ELNS1_11target_archE4294967295ELNS1_3gpuE0ELNS1_3repE0EEENS1_47radix_sort_onesweep_sort_config_static_selectorELNS0_4arch9wavefront6targetE1EEEvSK_
    .private_segment_fixed_size: 0
    .sgpr_count:     4
    .sgpr_spill_count: 0
    .symbol:         _ZN7rocprim17ROCPRIM_400000_NS6detail17trampoline_kernelINS0_14default_configENS1_35radix_sort_onesweep_config_selectorIsNS0_10empty_typeEEEZZNS1_29radix_sort_onesweep_iterationIS3_Lb0EN6thrust23THRUST_200600_302600_NS6detail15normal_iteratorINS9_10device_ptrIsEEEESE_PS5_SF_jNS0_19identity_decomposerENS1_16block_id_wrapperIjLb0EEEEE10hipError_tT1_PNSt15iterator_traitsISK_E10value_typeET2_T3_PNSL_ISQ_E10value_typeET4_T5_PSV_SW_PNS1_23onesweep_lookback_stateEbbT6_jjT7_P12ihipStream_tbENKUlT_T0_SK_SP_E_clIPsSE_SF_SF_EEDaS13_S14_SK_SP_EUlS13_E_NS1_11comp_targetILNS1_3genE0ELNS1_11target_archE4294967295ELNS1_3gpuE0ELNS1_3repE0EEENS1_47radix_sort_onesweep_sort_config_static_selectorELNS0_4arch9wavefront6targetE1EEEvSK_.kd
    .uniform_work_group_size: 1
    .uses_dynamic_stack: false
    .vgpr_count:     0
    .vgpr_spill_count: 0
    .wavefront_size: 64
  - .agpr_count:     0
    .args:
      - .offset:         0
        .size:           88
        .value_kind:     by_value
    .group_segment_fixed_size: 0
    .kernarg_segment_align: 8
    .kernarg_segment_size: 88
    .language:       OpenCL C
    .language_version:
      - 2
      - 0
    .max_flat_workgroup_size: 1024
    .name:           _ZN7rocprim17ROCPRIM_400000_NS6detail17trampoline_kernelINS0_14default_configENS1_35radix_sort_onesweep_config_selectorIsNS0_10empty_typeEEEZZNS1_29radix_sort_onesweep_iterationIS3_Lb0EN6thrust23THRUST_200600_302600_NS6detail15normal_iteratorINS9_10device_ptrIsEEEESE_PS5_SF_jNS0_19identity_decomposerENS1_16block_id_wrapperIjLb0EEEEE10hipError_tT1_PNSt15iterator_traitsISK_E10value_typeET2_T3_PNSL_ISQ_E10value_typeET4_T5_PSV_SW_PNS1_23onesweep_lookback_stateEbbT6_jjT7_P12ihipStream_tbENKUlT_T0_SK_SP_E_clIPsSE_SF_SF_EEDaS13_S14_SK_SP_EUlS13_E_NS1_11comp_targetILNS1_3genE6ELNS1_11target_archE950ELNS1_3gpuE13ELNS1_3repE0EEENS1_47radix_sort_onesweep_sort_config_static_selectorELNS0_4arch9wavefront6targetE1EEEvSK_
    .private_segment_fixed_size: 0
    .sgpr_count:     4
    .sgpr_spill_count: 0
    .symbol:         _ZN7rocprim17ROCPRIM_400000_NS6detail17trampoline_kernelINS0_14default_configENS1_35radix_sort_onesweep_config_selectorIsNS0_10empty_typeEEEZZNS1_29radix_sort_onesweep_iterationIS3_Lb0EN6thrust23THRUST_200600_302600_NS6detail15normal_iteratorINS9_10device_ptrIsEEEESE_PS5_SF_jNS0_19identity_decomposerENS1_16block_id_wrapperIjLb0EEEEE10hipError_tT1_PNSt15iterator_traitsISK_E10value_typeET2_T3_PNSL_ISQ_E10value_typeET4_T5_PSV_SW_PNS1_23onesweep_lookback_stateEbbT6_jjT7_P12ihipStream_tbENKUlT_T0_SK_SP_E_clIPsSE_SF_SF_EEDaS13_S14_SK_SP_EUlS13_E_NS1_11comp_targetILNS1_3genE6ELNS1_11target_archE950ELNS1_3gpuE13ELNS1_3repE0EEENS1_47radix_sort_onesweep_sort_config_static_selectorELNS0_4arch9wavefront6targetE1EEEvSK_.kd
    .uniform_work_group_size: 1
    .uses_dynamic_stack: false
    .vgpr_count:     0
    .vgpr_spill_count: 0
    .wavefront_size: 64
  - .agpr_count:     0
    .args:
      - .offset:         0
        .size:           88
        .value_kind:     by_value
    .group_segment_fixed_size: 0
    .kernarg_segment_align: 8
    .kernarg_segment_size: 88
    .language:       OpenCL C
    .language_version:
      - 2
      - 0
    .max_flat_workgroup_size: 1024
    .name:           _ZN7rocprim17ROCPRIM_400000_NS6detail17trampoline_kernelINS0_14default_configENS1_35radix_sort_onesweep_config_selectorIsNS0_10empty_typeEEEZZNS1_29radix_sort_onesweep_iterationIS3_Lb0EN6thrust23THRUST_200600_302600_NS6detail15normal_iteratorINS9_10device_ptrIsEEEESE_PS5_SF_jNS0_19identity_decomposerENS1_16block_id_wrapperIjLb0EEEEE10hipError_tT1_PNSt15iterator_traitsISK_E10value_typeET2_T3_PNSL_ISQ_E10value_typeET4_T5_PSV_SW_PNS1_23onesweep_lookback_stateEbbT6_jjT7_P12ihipStream_tbENKUlT_T0_SK_SP_E_clIPsSE_SF_SF_EEDaS13_S14_SK_SP_EUlS13_E_NS1_11comp_targetILNS1_3genE5ELNS1_11target_archE942ELNS1_3gpuE9ELNS1_3repE0EEENS1_47radix_sort_onesweep_sort_config_static_selectorELNS0_4arch9wavefront6targetE1EEEvSK_
    .private_segment_fixed_size: 0
    .sgpr_count:     4
    .sgpr_spill_count: 0
    .symbol:         _ZN7rocprim17ROCPRIM_400000_NS6detail17trampoline_kernelINS0_14default_configENS1_35radix_sort_onesweep_config_selectorIsNS0_10empty_typeEEEZZNS1_29radix_sort_onesweep_iterationIS3_Lb0EN6thrust23THRUST_200600_302600_NS6detail15normal_iteratorINS9_10device_ptrIsEEEESE_PS5_SF_jNS0_19identity_decomposerENS1_16block_id_wrapperIjLb0EEEEE10hipError_tT1_PNSt15iterator_traitsISK_E10value_typeET2_T3_PNSL_ISQ_E10value_typeET4_T5_PSV_SW_PNS1_23onesweep_lookback_stateEbbT6_jjT7_P12ihipStream_tbENKUlT_T0_SK_SP_E_clIPsSE_SF_SF_EEDaS13_S14_SK_SP_EUlS13_E_NS1_11comp_targetILNS1_3genE5ELNS1_11target_archE942ELNS1_3gpuE9ELNS1_3repE0EEENS1_47radix_sort_onesweep_sort_config_static_selectorELNS0_4arch9wavefront6targetE1EEEvSK_.kd
    .uniform_work_group_size: 1
    .uses_dynamic_stack: false
    .vgpr_count:     0
    .vgpr_spill_count: 0
    .wavefront_size: 64
  - .agpr_count:     0
    .args:
      - .offset:         0
        .size:           88
        .value_kind:     by_value
    .group_segment_fixed_size: 0
    .kernarg_segment_align: 8
    .kernarg_segment_size: 88
    .language:       OpenCL C
    .language_version:
      - 2
      - 0
    .max_flat_workgroup_size: 512
    .name:           _ZN7rocprim17ROCPRIM_400000_NS6detail17trampoline_kernelINS0_14default_configENS1_35radix_sort_onesweep_config_selectorIsNS0_10empty_typeEEEZZNS1_29radix_sort_onesweep_iterationIS3_Lb0EN6thrust23THRUST_200600_302600_NS6detail15normal_iteratorINS9_10device_ptrIsEEEESE_PS5_SF_jNS0_19identity_decomposerENS1_16block_id_wrapperIjLb0EEEEE10hipError_tT1_PNSt15iterator_traitsISK_E10value_typeET2_T3_PNSL_ISQ_E10value_typeET4_T5_PSV_SW_PNS1_23onesweep_lookback_stateEbbT6_jjT7_P12ihipStream_tbENKUlT_T0_SK_SP_E_clIPsSE_SF_SF_EEDaS13_S14_SK_SP_EUlS13_E_NS1_11comp_targetILNS1_3genE2ELNS1_11target_archE906ELNS1_3gpuE6ELNS1_3repE0EEENS1_47radix_sort_onesweep_sort_config_static_selectorELNS0_4arch9wavefront6targetE1EEEvSK_
    .private_segment_fixed_size: 0
    .sgpr_count:     4
    .sgpr_spill_count: 0
    .symbol:         _ZN7rocprim17ROCPRIM_400000_NS6detail17trampoline_kernelINS0_14default_configENS1_35radix_sort_onesweep_config_selectorIsNS0_10empty_typeEEEZZNS1_29radix_sort_onesweep_iterationIS3_Lb0EN6thrust23THRUST_200600_302600_NS6detail15normal_iteratorINS9_10device_ptrIsEEEESE_PS5_SF_jNS0_19identity_decomposerENS1_16block_id_wrapperIjLb0EEEEE10hipError_tT1_PNSt15iterator_traitsISK_E10value_typeET2_T3_PNSL_ISQ_E10value_typeET4_T5_PSV_SW_PNS1_23onesweep_lookback_stateEbbT6_jjT7_P12ihipStream_tbENKUlT_T0_SK_SP_E_clIPsSE_SF_SF_EEDaS13_S14_SK_SP_EUlS13_E_NS1_11comp_targetILNS1_3genE2ELNS1_11target_archE906ELNS1_3gpuE6ELNS1_3repE0EEENS1_47radix_sort_onesweep_sort_config_static_selectorELNS0_4arch9wavefront6targetE1EEEvSK_.kd
    .uniform_work_group_size: 1
    .uses_dynamic_stack: false
    .vgpr_count:     0
    .vgpr_spill_count: 0
    .wavefront_size: 64
  - .agpr_count:     0
    .args:
      - .offset:         0
        .size:           88
        .value_kind:     by_value
      - .offset:         88
        .size:           4
        .value_kind:     hidden_block_count_x
      - .offset:         92
        .size:           4
        .value_kind:     hidden_block_count_y
      - .offset:         96
        .size:           4
        .value_kind:     hidden_block_count_z
      - .offset:         100
        .size:           2
        .value_kind:     hidden_group_size_x
      - .offset:         102
        .size:           2
        .value_kind:     hidden_group_size_y
      - .offset:         104
        .size:           2
        .value_kind:     hidden_group_size_z
      - .offset:         106
        .size:           2
        .value_kind:     hidden_remainder_x
      - .offset:         108
        .size:           2
        .value_kind:     hidden_remainder_y
      - .offset:         110
        .size:           2
        .value_kind:     hidden_remainder_z
      - .offset:         128
        .size:           8
        .value_kind:     hidden_global_offset_x
      - .offset:         136
        .size:           8
        .value_kind:     hidden_global_offset_y
      - .offset:         144
        .size:           8
        .value_kind:     hidden_global_offset_z
      - .offset:         152
        .size:           2
        .value_kind:     hidden_grid_dims
    .group_segment_fixed_size: 25608
    .kernarg_segment_align: 8
    .kernarg_segment_size: 344
    .language:       OpenCL C
    .language_version:
      - 2
      - 0
    .max_flat_workgroup_size: 1024
    .name:           _ZN7rocprim17ROCPRIM_400000_NS6detail17trampoline_kernelINS0_14default_configENS1_35radix_sort_onesweep_config_selectorIsNS0_10empty_typeEEEZZNS1_29radix_sort_onesweep_iterationIS3_Lb0EN6thrust23THRUST_200600_302600_NS6detail15normal_iteratorINS9_10device_ptrIsEEEESE_PS5_SF_jNS0_19identity_decomposerENS1_16block_id_wrapperIjLb0EEEEE10hipError_tT1_PNSt15iterator_traitsISK_E10value_typeET2_T3_PNSL_ISQ_E10value_typeET4_T5_PSV_SW_PNS1_23onesweep_lookback_stateEbbT6_jjT7_P12ihipStream_tbENKUlT_T0_SK_SP_E_clIPsSE_SF_SF_EEDaS13_S14_SK_SP_EUlS13_E_NS1_11comp_targetILNS1_3genE4ELNS1_11target_archE910ELNS1_3gpuE8ELNS1_3repE0EEENS1_47radix_sort_onesweep_sort_config_static_selectorELNS0_4arch9wavefront6targetE1EEEvSK_
    .private_segment_fixed_size: 0
    .sgpr_count:     48
    .sgpr_spill_count: 0
    .symbol:         _ZN7rocprim17ROCPRIM_400000_NS6detail17trampoline_kernelINS0_14default_configENS1_35radix_sort_onesweep_config_selectorIsNS0_10empty_typeEEEZZNS1_29radix_sort_onesweep_iterationIS3_Lb0EN6thrust23THRUST_200600_302600_NS6detail15normal_iteratorINS9_10device_ptrIsEEEESE_PS5_SF_jNS0_19identity_decomposerENS1_16block_id_wrapperIjLb0EEEEE10hipError_tT1_PNSt15iterator_traitsISK_E10value_typeET2_T3_PNSL_ISQ_E10value_typeET4_T5_PSV_SW_PNS1_23onesweep_lookback_stateEbbT6_jjT7_P12ihipStream_tbENKUlT_T0_SK_SP_E_clIPsSE_SF_SF_EEDaS13_S14_SK_SP_EUlS13_E_NS1_11comp_targetILNS1_3genE4ELNS1_11target_archE910ELNS1_3gpuE8ELNS1_3repE0EEENS1_47radix_sort_onesweep_sort_config_static_selectorELNS0_4arch9wavefront6targetE1EEEvSK_.kd
    .uniform_work_group_size: 1
    .uses_dynamic_stack: false
    .vgpr_count:     62
    .vgpr_spill_count: 0
    .wavefront_size: 64
  - .agpr_count:     0
    .args:
      - .offset:         0
        .size:           88
        .value_kind:     by_value
    .group_segment_fixed_size: 0
    .kernarg_segment_align: 8
    .kernarg_segment_size: 88
    .language:       OpenCL C
    .language_version:
      - 2
      - 0
    .max_flat_workgroup_size: 512
    .name:           _ZN7rocprim17ROCPRIM_400000_NS6detail17trampoline_kernelINS0_14default_configENS1_35radix_sort_onesweep_config_selectorIsNS0_10empty_typeEEEZZNS1_29radix_sort_onesweep_iterationIS3_Lb0EN6thrust23THRUST_200600_302600_NS6detail15normal_iteratorINS9_10device_ptrIsEEEESE_PS5_SF_jNS0_19identity_decomposerENS1_16block_id_wrapperIjLb0EEEEE10hipError_tT1_PNSt15iterator_traitsISK_E10value_typeET2_T3_PNSL_ISQ_E10value_typeET4_T5_PSV_SW_PNS1_23onesweep_lookback_stateEbbT6_jjT7_P12ihipStream_tbENKUlT_T0_SK_SP_E_clIPsSE_SF_SF_EEDaS13_S14_SK_SP_EUlS13_E_NS1_11comp_targetILNS1_3genE3ELNS1_11target_archE908ELNS1_3gpuE7ELNS1_3repE0EEENS1_47radix_sort_onesweep_sort_config_static_selectorELNS0_4arch9wavefront6targetE1EEEvSK_
    .private_segment_fixed_size: 0
    .sgpr_count:     4
    .sgpr_spill_count: 0
    .symbol:         _ZN7rocprim17ROCPRIM_400000_NS6detail17trampoline_kernelINS0_14default_configENS1_35radix_sort_onesweep_config_selectorIsNS0_10empty_typeEEEZZNS1_29radix_sort_onesweep_iterationIS3_Lb0EN6thrust23THRUST_200600_302600_NS6detail15normal_iteratorINS9_10device_ptrIsEEEESE_PS5_SF_jNS0_19identity_decomposerENS1_16block_id_wrapperIjLb0EEEEE10hipError_tT1_PNSt15iterator_traitsISK_E10value_typeET2_T3_PNSL_ISQ_E10value_typeET4_T5_PSV_SW_PNS1_23onesweep_lookback_stateEbbT6_jjT7_P12ihipStream_tbENKUlT_T0_SK_SP_E_clIPsSE_SF_SF_EEDaS13_S14_SK_SP_EUlS13_E_NS1_11comp_targetILNS1_3genE3ELNS1_11target_archE908ELNS1_3gpuE7ELNS1_3repE0EEENS1_47radix_sort_onesweep_sort_config_static_selectorELNS0_4arch9wavefront6targetE1EEEvSK_.kd
    .uniform_work_group_size: 1
    .uses_dynamic_stack: false
    .vgpr_count:     0
    .vgpr_spill_count: 0
    .wavefront_size: 64
  - .agpr_count:     0
    .args:
      - .offset:         0
        .size:           88
        .value_kind:     by_value
    .group_segment_fixed_size: 0
    .kernarg_segment_align: 8
    .kernarg_segment_size: 88
    .language:       OpenCL C
    .language_version:
      - 2
      - 0
    .max_flat_workgroup_size: 256
    .name:           _ZN7rocprim17ROCPRIM_400000_NS6detail17trampoline_kernelINS0_14default_configENS1_35radix_sort_onesweep_config_selectorIsNS0_10empty_typeEEEZZNS1_29radix_sort_onesweep_iterationIS3_Lb0EN6thrust23THRUST_200600_302600_NS6detail15normal_iteratorINS9_10device_ptrIsEEEESE_PS5_SF_jNS0_19identity_decomposerENS1_16block_id_wrapperIjLb0EEEEE10hipError_tT1_PNSt15iterator_traitsISK_E10value_typeET2_T3_PNSL_ISQ_E10value_typeET4_T5_PSV_SW_PNS1_23onesweep_lookback_stateEbbT6_jjT7_P12ihipStream_tbENKUlT_T0_SK_SP_E_clIPsSE_SF_SF_EEDaS13_S14_SK_SP_EUlS13_E_NS1_11comp_targetILNS1_3genE10ELNS1_11target_archE1201ELNS1_3gpuE5ELNS1_3repE0EEENS1_47radix_sort_onesweep_sort_config_static_selectorELNS0_4arch9wavefront6targetE1EEEvSK_
    .private_segment_fixed_size: 0
    .sgpr_count:     4
    .sgpr_spill_count: 0
    .symbol:         _ZN7rocprim17ROCPRIM_400000_NS6detail17trampoline_kernelINS0_14default_configENS1_35radix_sort_onesweep_config_selectorIsNS0_10empty_typeEEEZZNS1_29radix_sort_onesweep_iterationIS3_Lb0EN6thrust23THRUST_200600_302600_NS6detail15normal_iteratorINS9_10device_ptrIsEEEESE_PS5_SF_jNS0_19identity_decomposerENS1_16block_id_wrapperIjLb0EEEEE10hipError_tT1_PNSt15iterator_traitsISK_E10value_typeET2_T3_PNSL_ISQ_E10value_typeET4_T5_PSV_SW_PNS1_23onesweep_lookback_stateEbbT6_jjT7_P12ihipStream_tbENKUlT_T0_SK_SP_E_clIPsSE_SF_SF_EEDaS13_S14_SK_SP_EUlS13_E_NS1_11comp_targetILNS1_3genE10ELNS1_11target_archE1201ELNS1_3gpuE5ELNS1_3repE0EEENS1_47radix_sort_onesweep_sort_config_static_selectorELNS0_4arch9wavefront6targetE1EEEvSK_.kd
    .uniform_work_group_size: 1
    .uses_dynamic_stack: false
    .vgpr_count:     0
    .vgpr_spill_count: 0
    .wavefront_size: 64
  - .agpr_count:     0
    .args:
      - .offset:         0
        .size:           88
        .value_kind:     by_value
    .group_segment_fixed_size: 0
    .kernarg_segment_align: 8
    .kernarg_segment_size: 88
    .language:       OpenCL C
    .language_version:
      - 2
      - 0
    .max_flat_workgroup_size: 256
    .name:           _ZN7rocprim17ROCPRIM_400000_NS6detail17trampoline_kernelINS0_14default_configENS1_35radix_sort_onesweep_config_selectorIsNS0_10empty_typeEEEZZNS1_29radix_sort_onesweep_iterationIS3_Lb0EN6thrust23THRUST_200600_302600_NS6detail15normal_iteratorINS9_10device_ptrIsEEEESE_PS5_SF_jNS0_19identity_decomposerENS1_16block_id_wrapperIjLb0EEEEE10hipError_tT1_PNSt15iterator_traitsISK_E10value_typeET2_T3_PNSL_ISQ_E10value_typeET4_T5_PSV_SW_PNS1_23onesweep_lookback_stateEbbT6_jjT7_P12ihipStream_tbENKUlT_T0_SK_SP_E_clIPsSE_SF_SF_EEDaS13_S14_SK_SP_EUlS13_E_NS1_11comp_targetILNS1_3genE9ELNS1_11target_archE1100ELNS1_3gpuE3ELNS1_3repE0EEENS1_47radix_sort_onesweep_sort_config_static_selectorELNS0_4arch9wavefront6targetE1EEEvSK_
    .private_segment_fixed_size: 0
    .sgpr_count:     4
    .sgpr_spill_count: 0
    .symbol:         _ZN7rocprim17ROCPRIM_400000_NS6detail17trampoline_kernelINS0_14default_configENS1_35radix_sort_onesweep_config_selectorIsNS0_10empty_typeEEEZZNS1_29radix_sort_onesweep_iterationIS3_Lb0EN6thrust23THRUST_200600_302600_NS6detail15normal_iteratorINS9_10device_ptrIsEEEESE_PS5_SF_jNS0_19identity_decomposerENS1_16block_id_wrapperIjLb0EEEEE10hipError_tT1_PNSt15iterator_traitsISK_E10value_typeET2_T3_PNSL_ISQ_E10value_typeET4_T5_PSV_SW_PNS1_23onesweep_lookback_stateEbbT6_jjT7_P12ihipStream_tbENKUlT_T0_SK_SP_E_clIPsSE_SF_SF_EEDaS13_S14_SK_SP_EUlS13_E_NS1_11comp_targetILNS1_3genE9ELNS1_11target_archE1100ELNS1_3gpuE3ELNS1_3repE0EEENS1_47radix_sort_onesweep_sort_config_static_selectorELNS0_4arch9wavefront6targetE1EEEvSK_.kd
    .uniform_work_group_size: 1
    .uses_dynamic_stack: false
    .vgpr_count:     0
    .vgpr_spill_count: 0
    .wavefront_size: 64
  - .agpr_count:     0
    .args:
      - .offset:         0
        .size:           88
        .value_kind:     by_value
    .group_segment_fixed_size: 0
    .kernarg_segment_align: 8
    .kernarg_segment_size: 88
    .language:       OpenCL C
    .language_version:
      - 2
      - 0
    .max_flat_workgroup_size: 256
    .name:           _ZN7rocprim17ROCPRIM_400000_NS6detail17trampoline_kernelINS0_14default_configENS1_35radix_sort_onesweep_config_selectorIsNS0_10empty_typeEEEZZNS1_29radix_sort_onesweep_iterationIS3_Lb0EN6thrust23THRUST_200600_302600_NS6detail15normal_iteratorINS9_10device_ptrIsEEEESE_PS5_SF_jNS0_19identity_decomposerENS1_16block_id_wrapperIjLb0EEEEE10hipError_tT1_PNSt15iterator_traitsISK_E10value_typeET2_T3_PNSL_ISQ_E10value_typeET4_T5_PSV_SW_PNS1_23onesweep_lookback_stateEbbT6_jjT7_P12ihipStream_tbENKUlT_T0_SK_SP_E_clIPsSE_SF_SF_EEDaS13_S14_SK_SP_EUlS13_E_NS1_11comp_targetILNS1_3genE8ELNS1_11target_archE1030ELNS1_3gpuE2ELNS1_3repE0EEENS1_47radix_sort_onesweep_sort_config_static_selectorELNS0_4arch9wavefront6targetE1EEEvSK_
    .private_segment_fixed_size: 0
    .sgpr_count:     4
    .sgpr_spill_count: 0
    .symbol:         _ZN7rocprim17ROCPRIM_400000_NS6detail17trampoline_kernelINS0_14default_configENS1_35radix_sort_onesweep_config_selectorIsNS0_10empty_typeEEEZZNS1_29radix_sort_onesweep_iterationIS3_Lb0EN6thrust23THRUST_200600_302600_NS6detail15normal_iteratorINS9_10device_ptrIsEEEESE_PS5_SF_jNS0_19identity_decomposerENS1_16block_id_wrapperIjLb0EEEEE10hipError_tT1_PNSt15iterator_traitsISK_E10value_typeET2_T3_PNSL_ISQ_E10value_typeET4_T5_PSV_SW_PNS1_23onesweep_lookback_stateEbbT6_jjT7_P12ihipStream_tbENKUlT_T0_SK_SP_E_clIPsSE_SF_SF_EEDaS13_S14_SK_SP_EUlS13_E_NS1_11comp_targetILNS1_3genE8ELNS1_11target_archE1030ELNS1_3gpuE2ELNS1_3repE0EEENS1_47radix_sort_onesweep_sort_config_static_selectorELNS0_4arch9wavefront6targetE1EEEvSK_.kd
    .uniform_work_group_size: 1
    .uses_dynamic_stack: false
    .vgpr_count:     0
    .vgpr_spill_count: 0
    .wavefront_size: 64
  - .agpr_count:     0
    .args:
      - .offset:         0
        .size:           128
        .value_kind:     by_value
    .group_segment_fixed_size: 0
    .kernarg_segment_align: 8
    .kernarg_segment_size: 128
    .language:       OpenCL C
    .language_version:
      - 2
      - 0
    .max_flat_workgroup_size: 128
    .name:           _ZN7rocprim17ROCPRIM_400000_NS6detail17trampoline_kernelINS0_14default_configENS1_25partition_config_selectorILNS1_17partition_subalgoE2EyNS0_10empty_typeEbEEZZNS1_14partition_implILS5_2ELb0ES3_jN6thrust23THRUST_200600_302600_NS6detail15normal_iteratorINSA_7pointerIyNSA_11hip_rocprim3tagENSA_11use_defaultESG_EEEEPS6_NSA_18transform_iteratorI7is_evenIyENSC_INSA_10device_ptrIyEEEESG_SG_EENS0_5tupleIJPySJ_EEENSR_IJSJ_SJ_EEES6_PlJS6_EEE10hipError_tPvRmT3_T4_T5_T6_T7_T9_mT8_P12ihipStream_tbDpT10_ENKUlT_T0_E_clISt17integral_constantIbLb0EES1F_EEDaS1A_S1B_EUlS1A_E_NS1_11comp_targetILNS1_3genE0ELNS1_11target_archE4294967295ELNS1_3gpuE0ELNS1_3repE0EEENS1_30default_config_static_selectorELNS0_4arch9wavefront6targetE1EEEvT1_
    .private_segment_fixed_size: 0
    .sgpr_count:     4
    .sgpr_spill_count: 0
    .symbol:         _ZN7rocprim17ROCPRIM_400000_NS6detail17trampoline_kernelINS0_14default_configENS1_25partition_config_selectorILNS1_17partition_subalgoE2EyNS0_10empty_typeEbEEZZNS1_14partition_implILS5_2ELb0ES3_jN6thrust23THRUST_200600_302600_NS6detail15normal_iteratorINSA_7pointerIyNSA_11hip_rocprim3tagENSA_11use_defaultESG_EEEEPS6_NSA_18transform_iteratorI7is_evenIyENSC_INSA_10device_ptrIyEEEESG_SG_EENS0_5tupleIJPySJ_EEENSR_IJSJ_SJ_EEES6_PlJS6_EEE10hipError_tPvRmT3_T4_T5_T6_T7_T9_mT8_P12ihipStream_tbDpT10_ENKUlT_T0_E_clISt17integral_constantIbLb0EES1F_EEDaS1A_S1B_EUlS1A_E_NS1_11comp_targetILNS1_3genE0ELNS1_11target_archE4294967295ELNS1_3gpuE0ELNS1_3repE0EEENS1_30default_config_static_selectorELNS0_4arch9wavefront6targetE1EEEvT1_.kd
    .uniform_work_group_size: 1
    .uses_dynamic_stack: false
    .vgpr_count:     0
    .vgpr_spill_count: 0
    .wavefront_size: 64
  - .agpr_count:     0
    .args:
      - .offset:         0
        .size:           128
        .value_kind:     by_value
    .group_segment_fixed_size: 0
    .kernarg_segment_align: 8
    .kernarg_segment_size: 128
    .language:       OpenCL C
    .language_version:
      - 2
      - 0
    .max_flat_workgroup_size: 512
    .name:           _ZN7rocprim17ROCPRIM_400000_NS6detail17trampoline_kernelINS0_14default_configENS1_25partition_config_selectorILNS1_17partition_subalgoE2EyNS0_10empty_typeEbEEZZNS1_14partition_implILS5_2ELb0ES3_jN6thrust23THRUST_200600_302600_NS6detail15normal_iteratorINSA_7pointerIyNSA_11hip_rocprim3tagENSA_11use_defaultESG_EEEEPS6_NSA_18transform_iteratorI7is_evenIyENSC_INSA_10device_ptrIyEEEESG_SG_EENS0_5tupleIJPySJ_EEENSR_IJSJ_SJ_EEES6_PlJS6_EEE10hipError_tPvRmT3_T4_T5_T6_T7_T9_mT8_P12ihipStream_tbDpT10_ENKUlT_T0_E_clISt17integral_constantIbLb0EES1F_EEDaS1A_S1B_EUlS1A_E_NS1_11comp_targetILNS1_3genE5ELNS1_11target_archE942ELNS1_3gpuE9ELNS1_3repE0EEENS1_30default_config_static_selectorELNS0_4arch9wavefront6targetE1EEEvT1_
    .private_segment_fixed_size: 0
    .sgpr_count:     4
    .sgpr_spill_count: 0
    .symbol:         _ZN7rocprim17ROCPRIM_400000_NS6detail17trampoline_kernelINS0_14default_configENS1_25partition_config_selectorILNS1_17partition_subalgoE2EyNS0_10empty_typeEbEEZZNS1_14partition_implILS5_2ELb0ES3_jN6thrust23THRUST_200600_302600_NS6detail15normal_iteratorINSA_7pointerIyNSA_11hip_rocprim3tagENSA_11use_defaultESG_EEEEPS6_NSA_18transform_iteratorI7is_evenIyENSC_INSA_10device_ptrIyEEEESG_SG_EENS0_5tupleIJPySJ_EEENSR_IJSJ_SJ_EEES6_PlJS6_EEE10hipError_tPvRmT3_T4_T5_T6_T7_T9_mT8_P12ihipStream_tbDpT10_ENKUlT_T0_E_clISt17integral_constantIbLb0EES1F_EEDaS1A_S1B_EUlS1A_E_NS1_11comp_targetILNS1_3genE5ELNS1_11target_archE942ELNS1_3gpuE9ELNS1_3repE0EEENS1_30default_config_static_selectorELNS0_4arch9wavefront6targetE1EEEvT1_.kd
    .uniform_work_group_size: 1
    .uses_dynamic_stack: false
    .vgpr_count:     0
    .vgpr_spill_count: 0
    .wavefront_size: 64
  - .agpr_count:     0
    .args:
      - .offset:         0
        .size:           128
        .value_kind:     by_value
    .group_segment_fixed_size: 6344
    .kernarg_segment_align: 8
    .kernarg_segment_size: 128
    .language:       OpenCL C
    .language_version:
      - 2
      - 0
    .max_flat_workgroup_size: 192
    .name:           _ZN7rocprim17ROCPRIM_400000_NS6detail17trampoline_kernelINS0_14default_configENS1_25partition_config_selectorILNS1_17partition_subalgoE2EyNS0_10empty_typeEbEEZZNS1_14partition_implILS5_2ELb0ES3_jN6thrust23THRUST_200600_302600_NS6detail15normal_iteratorINSA_7pointerIyNSA_11hip_rocprim3tagENSA_11use_defaultESG_EEEEPS6_NSA_18transform_iteratorI7is_evenIyENSC_INSA_10device_ptrIyEEEESG_SG_EENS0_5tupleIJPySJ_EEENSR_IJSJ_SJ_EEES6_PlJS6_EEE10hipError_tPvRmT3_T4_T5_T6_T7_T9_mT8_P12ihipStream_tbDpT10_ENKUlT_T0_E_clISt17integral_constantIbLb0EES1F_EEDaS1A_S1B_EUlS1A_E_NS1_11comp_targetILNS1_3genE4ELNS1_11target_archE910ELNS1_3gpuE8ELNS1_3repE0EEENS1_30default_config_static_selectorELNS0_4arch9wavefront6targetE1EEEvT1_
    .private_segment_fixed_size: 0
    .sgpr_count:     50
    .sgpr_spill_count: 0
    .symbol:         _ZN7rocprim17ROCPRIM_400000_NS6detail17trampoline_kernelINS0_14default_configENS1_25partition_config_selectorILNS1_17partition_subalgoE2EyNS0_10empty_typeEbEEZZNS1_14partition_implILS5_2ELb0ES3_jN6thrust23THRUST_200600_302600_NS6detail15normal_iteratorINSA_7pointerIyNSA_11hip_rocprim3tagENSA_11use_defaultESG_EEEEPS6_NSA_18transform_iteratorI7is_evenIyENSC_INSA_10device_ptrIyEEEESG_SG_EENS0_5tupleIJPySJ_EEENSR_IJSJ_SJ_EEES6_PlJS6_EEE10hipError_tPvRmT3_T4_T5_T6_T7_T9_mT8_P12ihipStream_tbDpT10_ENKUlT_T0_E_clISt17integral_constantIbLb0EES1F_EEDaS1A_S1B_EUlS1A_E_NS1_11comp_targetILNS1_3genE4ELNS1_11target_archE910ELNS1_3gpuE8ELNS1_3repE0EEENS1_30default_config_static_selectorELNS0_4arch9wavefront6targetE1EEEvT1_.kd
    .uniform_work_group_size: 1
    .uses_dynamic_stack: false
    .vgpr_count:     43
    .vgpr_spill_count: 0
    .wavefront_size: 64
  - .agpr_count:     0
    .args:
      - .offset:         0
        .size:           128
        .value_kind:     by_value
    .group_segment_fixed_size: 0
    .kernarg_segment_align: 8
    .kernarg_segment_size: 128
    .language:       OpenCL C
    .language_version:
      - 2
      - 0
    .max_flat_workgroup_size: 128
    .name:           _ZN7rocprim17ROCPRIM_400000_NS6detail17trampoline_kernelINS0_14default_configENS1_25partition_config_selectorILNS1_17partition_subalgoE2EyNS0_10empty_typeEbEEZZNS1_14partition_implILS5_2ELb0ES3_jN6thrust23THRUST_200600_302600_NS6detail15normal_iteratorINSA_7pointerIyNSA_11hip_rocprim3tagENSA_11use_defaultESG_EEEEPS6_NSA_18transform_iteratorI7is_evenIyENSC_INSA_10device_ptrIyEEEESG_SG_EENS0_5tupleIJPySJ_EEENSR_IJSJ_SJ_EEES6_PlJS6_EEE10hipError_tPvRmT3_T4_T5_T6_T7_T9_mT8_P12ihipStream_tbDpT10_ENKUlT_T0_E_clISt17integral_constantIbLb0EES1F_EEDaS1A_S1B_EUlS1A_E_NS1_11comp_targetILNS1_3genE3ELNS1_11target_archE908ELNS1_3gpuE7ELNS1_3repE0EEENS1_30default_config_static_selectorELNS0_4arch9wavefront6targetE1EEEvT1_
    .private_segment_fixed_size: 0
    .sgpr_count:     4
    .sgpr_spill_count: 0
    .symbol:         _ZN7rocprim17ROCPRIM_400000_NS6detail17trampoline_kernelINS0_14default_configENS1_25partition_config_selectorILNS1_17partition_subalgoE2EyNS0_10empty_typeEbEEZZNS1_14partition_implILS5_2ELb0ES3_jN6thrust23THRUST_200600_302600_NS6detail15normal_iteratorINSA_7pointerIyNSA_11hip_rocprim3tagENSA_11use_defaultESG_EEEEPS6_NSA_18transform_iteratorI7is_evenIyENSC_INSA_10device_ptrIyEEEESG_SG_EENS0_5tupleIJPySJ_EEENSR_IJSJ_SJ_EEES6_PlJS6_EEE10hipError_tPvRmT3_T4_T5_T6_T7_T9_mT8_P12ihipStream_tbDpT10_ENKUlT_T0_E_clISt17integral_constantIbLb0EES1F_EEDaS1A_S1B_EUlS1A_E_NS1_11comp_targetILNS1_3genE3ELNS1_11target_archE908ELNS1_3gpuE7ELNS1_3repE0EEENS1_30default_config_static_selectorELNS0_4arch9wavefront6targetE1EEEvT1_.kd
    .uniform_work_group_size: 1
    .uses_dynamic_stack: false
    .vgpr_count:     0
    .vgpr_spill_count: 0
    .wavefront_size: 64
  - .agpr_count:     0
    .args:
      - .offset:         0
        .size:           128
        .value_kind:     by_value
    .group_segment_fixed_size: 0
    .kernarg_segment_align: 8
    .kernarg_segment_size: 128
    .language:       OpenCL C
    .language_version:
      - 2
      - 0
    .max_flat_workgroup_size: 256
    .name:           _ZN7rocprim17ROCPRIM_400000_NS6detail17trampoline_kernelINS0_14default_configENS1_25partition_config_selectorILNS1_17partition_subalgoE2EyNS0_10empty_typeEbEEZZNS1_14partition_implILS5_2ELb0ES3_jN6thrust23THRUST_200600_302600_NS6detail15normal_iteratorINSA_7pointerIyNSA_11hip_rocprim3tagENSA_11use_defaultESG_EEEEPS6_NSA_18transform_iteratorI7is_evenIyENSC_INSA_10device_ptrIyEEEESG_SG_EENS0_5tupleIJPySJ_EEENSR_IJSJ_SJ_EEES6_PlJS6_EEE10hipError_tPvRmT3_T4_T5_T6_T7_T9_mT8_P12ihipStream_tbDpT10_ENKUlT_T0_E_clISt17integral_constantIbLb0EES1F_EEDaS1A_S1B_EUlS1A_E_NS1_11comp_targetILNS1_3genE2ELNS1_11target_archE906ELNS1_3gpuE6ELNS1_3repE0EEENS1_30default_config_static_selectorELNS0_4arch9wavefront6targetE1EEEvT1_
    .private_segment_fixed_size: 0
    .sgpr_count:     4
    .sgpr_spill_count: 0
    .symbol:         _ZN7rocprim17ROCPRIM_400000_NS6detail17trampoline_kernelINS0_14default_configENS1_25partition_config_selectorILNS1_17partition_subalgoE2EyNS0_10empty_typeEbEEZZNS1_14partition_implILS5_2ELb0ES3_jN6thrust23THRUST_200600_302600_NS6detail15normal_iteratorINSA_7pointerIyNSA_11hip_rocprim3tagENSA_11use_defaultESG_EEEEPS6_NSA_18transform_iteratorI7is_evenIyENSC_INSA_10device_ptrIyEEEESG_SG_EENS0_5tupleIJPySJ_EEENSR_IJSJ_SJ_EEES6_PlJS6_EEE10hipError_tPvRmT3_T4_T5_T6_T7_T9_mT8_P12ihipStream_tbDpT10_ENKUlT_T0_E_clISt17integral_constantIbLb0EES1F_EEDaS1A_S1B_EUlS1A_E_NS1_11comp_targetILNS1_3genE2ELNS1_11target_archE906ELNS1_3gpuE6ELNS1_3repE0EEENS1_30default_config_static_selectorELNS0_4arch9wavefront6targetE1EEEvT1_.kd
    .uniform_work_group_size: 1
    .uses_dynamic_stack: false
    .vgpr_count:     0
    .vgpr_spill_count: 0
    .wavefront_size: 64
  - .agpr_count:     0
    .args:
      - .offset:         0
        .size:           128
        .value_kind:     by_value
    .group_segment_fixed_size: 0
    .kernarg_segment_align: 8
    .kernarg_segment_size: 128
    .language:       OpenCL C
    .language_version:
      - 2
      - 0
    .max_flat_workgroup_size: 256
    .name:           _ZN7rocprim17ROCPRIM_400000_NS6detail17trampoline_kernelINS0_14default_configENS1_25partition_config_selectorILNS1_17partition_subalgoE2EyNS0_10empty_typeEbEEZZNS1_14partition_implILS5_2ELb0ES3_jN6thrust23THRUST_200600_302600_NS6detail15normal_iteratorINSA_7pointerIyNSA_11hip_rocprim3tagENSA_11use_defaultESG_EEEEPS6_NSA_18transform_iteratorI7is_evenIyENSC_INSA_10device_ptrIyEEEESG_SG_EENS0_5tupleIJPySJ_EEENSR_IJSJ_SJ_EEES6_PlJS6_EEE10hipError_tPvRmT3_T4_T5_T6_T7_T9_mT8_P12ihipStream_tbDpT10_ENKUlT_T0_E_clISt17integral_constantIbLb0EES1F_EEDaS1A_S1B_EUlS1A_E_NS1_11comp_targetILNS1_3genE10ELNS1_11target_archE1200ELNS1_3gpuE4ELNS1_3repE0EEENS1_30default_config_static_selectorELNS0_4arch9wavefront6targetE1EEEvT1_
    .private_segment_fixed_size: 0
    .sgpr_count:     4
    .sgpr_spill_count: 0
    .symbol:         _ZN7rocprim17ROCPRIM_400000_NS6detail17trampoline_kernelINS0_14default_configENS1_25partition_config_selectorILNS1_17partition_subalgoE2EyNS0_10empty_typeEbEEZZNS1_14partition_implILS5_2ELb0ES3_jN6thrust23THRUST_200600_302600_NS6detail15normal_iteratorINSA_7pointerIyNSA_11hip_rocprim3tagENSA_11use_defaultESG_EEEEPS6_NSA_18transform_iteratorI7is_evenIyENSC_INSA_10device_ptrIyEEEESG_SG_EENS0_5tupleIJPySJ_EEENSR_IJSJ_SJ_EEES6_PlJS6_EEE10hipError_tPvRmT3_T4_T5_T6_T7_T9_mT8_P12ihipStream_tbDpT10_ENKUlT_T0_E_clISt17integral_constantIbLb0EES1F_EEDaS1A_S1B_EUlS1A_E_NS1_11comp_targetILNS1_3genE10ELNS1_11target_archE1200ELNS1_3gpuE4ELNS1_3repE0EEENS1_30default_config_static_selectorELNS0_4arch9wavefront6targetE1EEEvT1_.kd
    .uniform_work_group_size: 1
    .uses_dynamic_stack: false
    .vgpr_count:     0
    .vgpr_spill_count: 0
    .wavefront_size: 64
  - .agpr_count:     0
    .args:
      - .offset:         0
        .size:           128
        .value_kind:     by_value
    .group_segment_fixed_size: 0
    .kernarg_segment_align: 8
    .kernarg_segment_size: 128
    .language:       OpenCL C
    .language_version:
      - 2
      - 0
    .max_flat_workgroup_size: 512
    .name:           _ZN7rocprim17ROCPRIM_400000_NS6detail17trampoline_kernelINS0_14default_configENS1_25partition_config_selectorILNS1_17partition_subalgoE2EyNS0_10empty_typeEbEEZZNS1_14partition_implILS5_2ELb0ES3_jN6thrust23THRUST_200600_302600_NS6detail15normal_iteratorINSA_7pointerIyNSA_11hip_rocprim3tagENSA_11use_defaultESG_EEEEPS6_NSA_18transform_iteratorI7is_evenIyENSC_INSA_10device_ptrIyEEEESG_SG_EENS0_5tupleIJPySJ_EEENSR_IJSJ_SJ_EEES6_PlJS6_EEE10hipError_tPvRmT3_T4_T5_T6_T7_T9_mT8_P12ihipStream_tbDpT10_ENKUlT_T0_E_clISt17integral_constantIbLb0EES1F_EEDaS1A_S1B_EUlS1A_E_NS1_11comp_targetILNS1_3genE9ELNS1_11target_archE1100ELNS1_3gpuE3ELNS1_3repE0EEENS1_30default_config_static_selectorELNS0_4arch9wavefront6targetE1EEEvT1_
    .private_segment_fixed_size: 0
    .sgpr_count:     4
    .sgpr_spill_count: 0
    .symbol:         _ZN7rocprim17ROCPRIM_400000_NS6detail17trampoline_kernelINS0_14default_configENS1_25partition_config_selectorILNS1_17partition_subalgoE2EyNS0_10empty_typeEbEEZZNS1_14partition_implILS5_2ELb0ES3_jN6thrust23THRUST_200600_302600_NS6detail15normal_iteratorINSA_7pointerIyNSA_11hip_rocprim3tagENSA_11use_defaultESG_EEEEPS6_NSA_18transform_iteratorI7is_evenIyENSC_INSA_10device_ptrIyEEEESG_SG_EENS0_5tupleIJPySJ_EEENSR_IJSJ_SJ_EEES6_PlJS6_EEE10hipError_tPvRmT3_T4_T5_T6_T7_T9_mT8_P12ihipStream_tbDpT10_ENKUlT_T0_E_clISt17integral_constantIbLb0EES1F_EEDaS1A_S1B_EUlS1A_E_NS1_11comp_targetILNS1_3genE9ELNS1_11target_archE1100ELNS1_3gpuE3ELNS1_3repE0EEENS1_30default_config_static_selectorELNS0_4arch9wavefront6targetE1EEEvT1_.kd
    .uniform_work_group_size: 1
    .uses_dynamic_stack: false
    .vgpr_count:     0
    .vgpr_spill_count: 0
    .wavefront_size: 64
  - .agpr_count:     0
    .args:
      - .offset:         0
        .size:           128
        .value_kind:     by_value
    .group_segment_fixed_size: 0
    .kernarg_segment_align: 8
    .kernarg_segment_size: 128
    .language:       OpenCL C
    .language_version:
      - 2
      - 0
    .max_flat_workgroup_size: 512
    .name:           _ZN7rocprim17ROCPRIM_400000_NS6detail17trampoline_kernelINS0_14default_configENS1_25partition_config_selectorILNS1_17partition_subalgoE2EyNS0_10empty_typeEbEEZZNS1_14partition_implILS5_2ELb0ES3_jN6thrust23THRUST_200600_302600_NS6detail15normal_iteratorINSA_7pointerIyNSA_11hip_rocprim3tagENSA_11use_defaultESG_EEEEPS6_NSA_18transform_iteratorI7is_evenIyENSC_INSA_10device_ptrIyEEEESG_SG_EENS0_5tupleIJPySJ_EEENSR_IJSJ_SJ_EEES6_PlJS6_EEE10hipError_tPvRmT3_T4_T5_T6_T7_T9_mT8_P12ihipStream_tbDpT10_ENKUlT_T0_E_clISt17integral_constantIbLb0EES1F_EEDaS1A_S1B_EUlS1A_E_NS1_11comp_targetILNS1_3genE8ELNS1_11target_archE1030ELNS1_3gpuE2ELNS1_3repE0EEENS1_30default_config_static_selectorELNS0_4arch9wavefront6targetE1EEEvT1_
    .private_segment_fixed_size: 0
    .sgpr_count:     4
    .sgpr_spill_count: 0
    .symbol:         _ZN7rocprim17ROCPRIM_400000_NS6detail17trampoline_kernelINS0_14default_configENS1_25partition_config_selectorILNS1_17partition_subalgoE2EyNS0_10empty_typeEbEEZZNS1_14partition_implILS5_2ELb0ES3_jN6thrust23THRUST_200600_302600_NS6detail15normal_iteratorINSA_7pointerIyNSA_11hip_rocprim3tagENSA_11use_defaultESG_EEEEPS6_NSA_18transform_iteratorI7is_evenIyENSC_INSA_10device_ptrIyEEEESG_SG_EENS0_5tupleIJPySJ_EEENSR_IJSJ_SJ_EEES6_PlJS6_EEE10hipError_tPvRmT3_T4_T5_T6_T7_T9_mT8_P12ihipStream_tbDpT10_ENKUlT_T0_E_clISt17integral_constantIbLb0EES1F_EEDaS1A_S1B_EUlS1A_E_NS1_11comp_targetILNS1_3genE8ELNS1_11target_archE1030ELNS1_3gpuE2ELNS1_3repE0EEENS1_30default_config_static_selectorELNS0_4arch9wavefront6targetE1EEEvT1_.kd
    .uniform_work_group_size: 1
    .uses_dynamic_stack: false
    .vgpr_count:     0
    .vgpr_spill_count: 0
    .wavefront_size: 64
  - .agpr_count:     0
    .args:
      - .offset:         0
        .size:           144
        .value_kind:     by_value
    .group_segment_fixed_size: 0
    .kernarg_segment_align: 8
    .kernarg_segment_size: 144
    .language:       OpenCL C
    .language_version:
      - 2
      - 0
    .max_flat_workgroup_size: 128
    .name:           _ZN7rocprim17ROCPRIM_400000_NS6detail17trampoline_kernelINS0_14default_configENS1_25partition_config_selectorILNS1_17partition_subalgoE2EyNS0_10empty_typeEbEEZZNS1_14partition_implILS5_2ELb0ES3_jN6thrust23THRUST_200600_302600_NS6detail15normal_iteratorINSA_7pointerIyNSA_11hip_rocprim3tagENSA_11use_defaultESG_EEEEPS6_NSA_18transform_iteratorI7is_evenIyENSC_INSA_10device_ptrIyEEEESG_SG_EENS0_5tupleIJPySJ_EEENSR_IJSJ_SJ_EEES6_PlJS6_EEE10hipError_tPvRmT3_T4_T5_T6_T7_T9_mT8_P12ihipStream_tbDpT10_ENKUlT_T0_E_clISt17integral_constantIbLb1EES1F_EEDaS1A_S1B_EUlS1A_E_NS1_11comp_targetILNS1_3genE0ELNS1_11target_archE4294967295ELNS1_3gpuE0ELNS1_3repE0EEENS1_30default_config_static_selectorELNS0_4arch9wavefront6targetE1EEEvT1_
    .private_segment_fixed_size: 0
    .sgpr_count:     4
    .sgpr_spill_count: 0
    .symbol:         _ZN7rocprim17ROCPRIM_400000_NS6detail17trampoline_kernelINS0_14default_configENS1_25partition_config_selectorILNS1_17partition_subalgoE2EyNS0_10empty_typeEbEEZZNS1_14partition_implILS5_2ELb0ES3_jN6thrust23THRUST_200600_302600_NS6detail15normal_iteratorINSA_7pointerIyNSA_11hip_rocprim3tagENSA_11use_defaultESG_EEEEPS6_NSA_18transform_iteratorI7is_evenIyENSC_INSA_10device_ptrIyEEEESG_SG_EENS0_5tupleIJPySJ_EEENSR_IJSJ_SJ_EEES6_PlJS6_EEE10hipError_tPvRmT3_T4_T5_T6_T7_T9_mT8_P12ihipStream_tbDpT10_ENKUlT_T0_E_clISt17integral_constantIbLb1EES1F_EEDaS1A_S1B_EUlS1A_E_NS1_11comp_targetILNS1_3genE0ELNS1_11target_archE4294967295ELNS1_3gpuE0ELNS1_3repE0EEENS1_30default_config_static_selectorELNS0_4arch9wavefront6targetE1EEEvT1_.kd
    .uniform_work_group_size: 1
    .uses_dynamic_stack: false
    .vgpr_count:     0
    .vgpr_spill_count: 0
    .wavefront_size: 64
  - .agpr_count:     0
    .args:
      - .offset:         0
        .size:           144
        .value_kind:     by_value
    .group_segment_fixed_size: 0
    .kernarg_segment_align: 8
    .kernarg_segment_size: 144
    .language:       OpenCL C
    .language_version:
      - 2
      - 0
    .max_flat_workgroup_size: 512
    .name:           _ZN7rocprim17ROCPRIM_400000_NS6detail17trampoline_kernelINS0_14default_configENS1_25partition_config_selectorILNS1_17partition_subalgoE2EyNS0_10empty_typeEbEEZZNS1_14partition_implILS5_2ELb0ES3_jN6thrust23THRUST_200600_302600_NS6detail15normal_iteratorINSA_7pointerIyNSA_11hip_rocprim3tagENSA_11use_defaultESG_EEEEPS6_NSA_18transform_iteratorI7is_evenIyENSC_INSA_10device_ptrIyEEEESG_SG_EENS0_5tupleIJPySJ_EEENSR_IJSJ_SJ_EEES6_PlJS6_EEE10hipError_tPvRmT3_T4_T5_T6_T7_T9_mT8_P12ihipStream_tbDpT10_ENKUlT_T0_E_clISt17integral_constantIbLb1EES1F_EEDaS1A_S1B_EUlS1A_E_NS1_11comp_targetILNS1_3genE5ELNS1_11target_archE942ELNS1_3gpuE9ELNS1_3repE0EEENS1_30default_config_static_selectorELNS0_4arch9wavefront6targetE1EEEvT1_
    .private_segment_fixed_size: 0
    .sgpr_count:     4
    .sgpr_spill_count: 0
    .symbol:         _ZN7rocprim17ROCPRIM_400000_NS6detail17trampoline_kernelINS0_14default_configENS1_25partition_config_selectorILNS1_17partition_subalgoE2EyNS0_10empty_typeEbEEZZNS1_14partition_implILS5_2ELb0ES3_jN6thrust23THRUST_200600_302600_NS6detail15normal_iteratorINSA_7pointerIyNSA_11hip_rocprim3tagENSA_11use_defaultESG_EEEEPS6_NSA_18transform_iteratorI7is_evenIyENSC_INSA_10device_ptrIyEEEESG_SG_EENS0_5tupleIJPySJ_EEENSR_IJSJ_SJ_EEES6_PlJS6_EEE10hipError_tPvRmT3_T4_T5_T6_T7_T9_mT8_P12ihipStream_tbDpT10_ENKUlT_T0_E_clISt17integral_constantIbLb1EES1F_EEDaS1A_S1B_EUlS1A_E_NS1_11comp_targetILNS1_3genE5ELNS1_11target_archE942ELNS1_3gpuE9ELNS1_3repE0EEENS1_30default_config_static_selectorELNS0_4arch9wavefront6targetE1EEEvT1_.kd
    .uniform_work_group_size: 1
    .uses_dynamic_stack: false
    .vgpr_count:     0
    .vgpr_spill_count: 0
    .wavefront_size: 64
  - .agpr_count:     0
    .args:
      - .offset:         0
        .size:           144
        .value_kind:     by_value
    .group_segment_fixed_size: 6344
    .kernarg_segment_align: 8
    .kernarg_segment_size: 144
    .language:       OpenCL C
    .language_version:
      - 2
      - 0
    .max_flat_workgroup_size: 192
    .name:           _ZN7rocprim17ROCPRIM_400000_NS6detail17trampoline_kernelINS0_14default_configENS1_25partition_config_selectorILNS1_17partition_subalgoE2EyNS0_10empty_typeEbEEZZNS1_14partition_implILS5_2ELb0ES3_jN6thrust23THRUST_200600_302600_NS6detail15normal_iteratorINSA_7pointerIyNSA_11hip_rocprim3tagENSA_11use_defaultESG_EEEEPS6_NSA_18transform_iteratorI7is_evenIyENSC_INSA_10device_ptrIyEEEESG_SG_EENS0_5tupleIJPySJ_EEENSR_IJSJ_SJ_EEES6_PlJS6_EEE10hipError_tPvRmT3_T4_T5_T6_T7_T9_mT8_P12ihipStream_tbDpT10_ENKUlT_T0_E_clISt17integral_constantIbLb1EES1F_EEDaS1A_S1B_EUlS1A_E_NS1_11comp_targetILNS1_3genE4ELNS1_11target_archE910ELNS1_3gpuE8ELNS1_3repE0EEENS1_30default_config_static_selectorELNS0_4arch9wavefront6targetE1EEEvT1_
    .private_segment_fixed_size: 0
    .sgpr_count:     50
    .sgpr_spill_count: 0
    .symbol:         _ZN7rocprim17ROCPRIM_400000_NS6detail17trampoline_kernelINS0_14default_configENS1_25partition_config_selectorILNS1_17partition_subalgoE2EyNS0_10empty_typeEbEEZZNS1_14partition_implILS5_2ELb0ES3_jN6thrust23THRUST_200600_302600_NS6detail15normal_iteratorINSA_7pointerIyNSA_11hip_rocprim3tagENSA_11use_defaultESG_EEEEPS6_NSA_18transform_iteratorI7is_evenIyENSC_INSA_10device_ptrIyEEEESG_SG_EENS0_5tupleIJPySJ_EEENSR_IJSJ_SJ_EEES6_PlJS6_EEE10hipError_tPvRmT3_T4_T5_T6_T7_T9_mT8_P12ihipStream_tbDpT10_ENKUlT_T0_E_clISt17integral_constantIbLb1EES1F_EEDaS1A_S1B_EUlS1A_E_NS1_11comp_targetILNS1_3genE4ELNS1_11target_archE910ELNS1_3gpuE8ELNS1_3repE0EEENS1_30default_config_static_selectorELNS0_4arch9wavefront6targetE1EEEvT1_.kd
    .uniform_work_group_size: 1
    .uses_dynamic_stack: false
    .vgpr_count:     45
    .vgpr_spill_count: 0
    .wavefront_size: 64
  - .agpr_count:     0
    .args:
      - .offset:         0
        .size:           144
        .value_kind:     by_value
    .group_segment_fixed_size: 0
    .kernarg_segment_align: 8
    .kernarg_segment_size: 144
    .language:       OpenCL C
    .language_version:
      - 2
      - 0
    .max_flat_workgroup_size: 128
    .name:           _ZN7rocprim17ROCPRIM_400000_NS6detail17trampoline_kernelINS0_14default_configENS1_25partition_config_selectorILNS1_17partition_subalgoE2EyNS0_10empty_typeEbEEZZNS1_14partition_implILS5_2ELb0ES3_jN6thrust23THRUST_200600_302600_NS6detail15normal_iteratorINSA_7pointerIyNSA_11hip_rocprim3tagENSA_11use_defaultESG_EEEEPS6_NSA_18transform_iteratorI7is_evenIyENSC_INSA_10device_ptrIyEEEESG_SG_EENS0_5tupleIJPySJ_EEENSR_IJSJ_SJ_EEES6_PlJS6_EEE10hipError_tPvRmT3_T4_T5_T6_T7_T9_mT8_P12ihipStream_tbDpT10_ENKUlT_T0_E_clISt17integral_constantIbLb1EES1F_EEDaS1A_S1B_EUlS1A_E_NS1_11comp_targetILNS1_3genE3ELNS1_11target_archE908ELNS1_3gpuE7ELNS1_3repE0EEENS1_30default_config_static_selectorELNS0_4arch9wavefront6targetE1EEEvT1_
    .private_segment_fixed_size: 0
    .sgpr_count:     4
    .sgpr_spill_count: 0
    .symbol:         _ZN7rocprim17ROCPRIM_400000_NS6detail17trampoline_kernelINS0_14default_configENS1_25partition_config_selectorILNS1_17partition_subalgoE2EyNS0_10empty_typeEbEEZZNS1_14partition_implILS5_2ELb0ES3_jN6thrust23THRUST_200600_302600_NS6detail15normal_iteratorINSA_7pointerIyNSA_11hip_rocprim3tagENSA_11use_defaultESG_EEEEPS6_NSA_18transform_iteratorI7is_evenIyENSC_INSA_10device_ptrIyEEEESG_SG_EENS0_5tupleIJPySJ_EEENSR_IJSJ_SJ_EEES6_PlJS6_EEE10hipError_tPvRmT3_T4_T5_T6_T7_T9_mT8_P12ihipStream_tbDpT10_ENKUlT_T0_E_clISt17integral_constantIbLb1EES1F_EEDaS1A_S1B_EUlS1A_E_NS1_11comp_targetILNS1_3genE3ELNS1_11target_archE908ELNS1_3gpuE7ELNS1_3repE0EEENS1_30default_config_static_selectorELNS0_4arch9wavefront6targetE1EEEvT1_.kd
    .uniform_work_group_size: 1
    .uses_dynamic_stack: false
    .vgpr_count:     0
    .vgpr_spill_count: 0
    .wavefront_size: 64
  - .agpr_count:     0
    .args:
      - .offset:         0
        .size:           144
        .value_kind:     by_value
    .group_segment_fixed_size: 0
    .kernarg_segment_align: 8
    .kernarg_segment_size: 144
    .language:       OpenCL C
    .language_version:
      - 2
      - 0
    .max_flat_workgroup_size: 256
    .name:           _ZN7rocprim17ROCPRIM_400000_NS6detail17trampoline_kernelINS0_14default_configENS1_25partition_config_selectorILNS1_17partition_subalgoE2EyNS0_10empty_typeEbEEZZNS1_14partition_implILS5_2ELb0ES3_jN6thrust23THRUST_200600_302600_NS6detail15normal_iteratorINSA_7pointerIyNSA_11hip_rocprim3tagENSA_11use_defaultESG_EEEEPS6_NSA_18transform_iteratorI7is_evenIyENSC_INSA_10device_ptrIyEEEESG_SG_EENS0_5tupleIJPySJ_EEENSR_IJSJ_SJ_EEES6_PlJS6_EEE10hipError_tPvRmT3_T4_T5_T6_T7_T9_mT8_P12ihipStream_tbDpT10_ENKUlT_T0_E_clISt17integral_constantIbLb1EES1F_EEDaS1A_S1B_EUlS1A_E_NS1_11comp_targetILNS1_3genE2ELNS1_11target_archE906ELNS1_3gpuE6ELNS1_3repE0EEENS1_30default_config_static_selectorELNS0_4arch9wavefront6targetE1EEEvT1_
    .private_segment_fixed_size: 0
    .sgpr_count:     4
    .sgpr_spill_count: 0
    .symbol:         _ZN7rocprim17ROCPRIM_400000_NS6detail17trampoline_kernelINS0_14default_configENS1_25partition_config_selectorILNS1_17partition_subalgoE2EyNS0_10empty_typeEbEEZZNS1_14partition_implILS5_2ELb0ES3_jN6thrust23THRUST_200600_302600_NS6detail15normal_iteratorINSA_7pointerIyNSA_11hip_rocprim3tagENSA_11use_defaultESG_EEEEPS6_NSA_18transform_iteratorI7is_evenIyENSC_INSA_10device_ptrIyEEEESG_SG_EENS0_5tupleIJPySJ_EEENSR_IJSJ_SJ_EEES6_PlJS6_EEE10hipError_tPvRmT3_T4_T5_T6_T7_T9_mT8_P12ihipStream_tbDpT10_ENKUlT_T0_E_clISt17integral_constantIbLb1EES1F_EEDaS1A_S1B_EUlS1A_E_NS1_11comp_targetILNS1_3genE2ELNS1_11target_archE906ELNS1_3gpuE6ELNS1_3repE0EEENS1_30default_config_static_selectorELNS0_4arch9wavefront6targetE1EEEvT1_.kd
    .uniform_work_group_size: 1
    .uses_dynamic_stack: false
    .vgpr_count:     0
    .vgpr_spill_count: 0
    .wavefront_size: 64
  - .agpr_count:     0
    .args:
      - .offset:         0
        .size:           144
        .value_kind:     by_value
    .group_segment_fixed_size: 0
    .kernarg_segment_align: 8
    .kernarg_segment_size: 144
    .language:       OpenCL C
    .language_version:
      - 2
      - 0
    .max_flat_workgroup_size: 256
    .name:           _ZN7rocprim17ROCPRIM_400000_NS6detail17trampoline_kernelINS0_14default_configENS1_25partition_config_selectorILNS1_17partition_subalgoE2EyNS0_10empty_typeEbEEZZNS1_14partition_implILS5_2ELb0ES3_jN6thrust23THRUST_200600_302600_NS6detail15normal_iteratorINSA_7pointerIyNSA_11hip_rocprim3tagENSA_11use_defaultESG_EEEEPS6_NSA_18transform_iteratorI7is_evenIyENSC_INSA_10device_ptrIyEEEESG_SG_EENS0_5tupleIJPySJ_EEENSR_IJSJ_SJ_EEES6_PlJS6_EEE10hipError_tPvRmT3_T4_T5_T6_T7_T9_mT8_P12ihipStream_tbDpT10_ENKUlT_T0_E_clISt17integral_constantIbLb1EES1F_EEDaS1A_S1B_EUlS1A_E_NS1_11comp_targetILNS1_3genE10ELNS1_11target_archE1200ELNS1_3gpuE4ELNS1_3repE0EEENS1_30default_config_static_selectorELNS0_4arch9wavefront6targetE1EEEvT1_
    .private_segment_fixed_size: 0
    .sgpr_count:     4
    .sgpr_spill_count: 0
    .symbol:         _ZN7rocprim17ROCPRIM_400000_NS6detail17trampoline_kernelINS0_14default_configENS1_25partition_config_selectorILNS1_17partition_subalgoE2EyNS0_10empty_typeEbEEZZNS1_14partition_implILS5_2ELb0ES3_jN6thrust23THRUST_200600_302600_NS6detail15normal_iteratorINSA_7pointerIyNSA_11hip_rocprim3tagENSA_11use_defaultESG_EEEEPS6_NSA_18transform_iteratorI7is_evenIyENSC_INSA_10device_ptrIyEEEESG_SG_EENS0_5tupleIJPySJ_EEENSR_IJSJ_SJ_EEES6_PlJS6_EEE10hipError_tPvRmT3_T4_T5_T6_T7_T9_mT8_P12ihipStream_tbDpT10_ENKUlT_T0_E_clISt17integral_constantIbLb1EES1F_EEDaS1A_S1B_EUlS1A_E_NS1_11comp_targetILNS1_3genE10ELNS1_11target_archE1200ELNS1_3gpuE4ELNS1_3repE0EEENS1_30default_config_static_selectorELNS0_4arch9wavefront6targetE1EEEvT1_.kd
    .uniform_work_group_size: 1
    .uses_dynamic_stack: false
    .vgpr_count:     0
    .vgpr_spill_count: 0
    .wavefront_size: 64
  - .agpr_count:     0
    .args:
      - .offset:         0
        .size:           144
        .value_kind:     by_value
    .group_segment_fixed_size: 0
    .kernarg_segment_align: 8
    .kernarg_segment_size: 144
    .language:       OpenCL C
    .language_version:
      - 2
      - 0
    .max_flat_workgroup_size: 512
    .name:           _ZN7rocprim17ROCPRIM_400000_NS6detail17trampoline_kernelINS0_14default_configENS1_25partition_config_selectorILNS1_17partition_subalgoE2EyNS0_10empty_typeEbEEZZNS1_14partition_implILS5_2ELb0ES3_jN6thrust23THRUST_200600_302600_NS6detail15normal_iteratorINSA_7pointerIyNSA_11hip_rocprim3tagENSA_11use_defaultESG_EEEEPS6_NSA_18transform_iteratorI7is_evenIyENSC_INSA_10device_ptrIyEEEESG_SG_EENS0_5tupleIJPySJ_EEENSR_IJSJ_SJ_EEES6_PlJS6_EEE10hipError_tPvRmT3_T4_T5_T6_T7_T9_mT8_P12ihipStream_tbDpT10_ENKUlT_T0_E_clISt17integral_constantIbLb1EES1F_EEDaS1A_S1B_EUlS1A_E_NS1_11comp_targetILNS1_3genE9ELNS1_11target_archE1100ELNS1_3gpuE3ELNS1_3repE0EEENS1_30default_config_static_selectorELNS0_4arch9wavefront6targetE1EEEvT1_
    .private_segment_fixed_size: 0
    .sgpr_count:     4
    .sgpr_spill_count: 0
    .symbol:         _ZN7rocprim17ROCPRIM_400000_NS6detail17trampoline_kernelINS0_14default_configENS1_25partition_config_selectorILNS1_17partition_subalgoE2EyNS0_10empty_typeEbEEZZNS1_14partition_implILS5_2ELb0ES3_jN6thrust23THRUST_200600_302600_NS6detail15normal_iteratorINSA_7pointerIyNSA_11hip_rocprim3tagENSA_11use_defaultESG_EEEEPS6_NSA_18transform_iteratorI7is_evenIyENSC_INSA_10device_ptrIyEEEESG_SG_EENS0_5tupleIJPySJ_EEENSR_IJSJ_SJ_EEES6_PlJS6_EEE10hipError_tPvRmT3_T4_T5_T6_T7_T9_mT8_P12ihipStream_tbDpT10_ENKUlT_T0_E_clISt17integral_constantIbLb1EES1F_EEDaS1A_S1B_EUlS1A_E_NS1_11comp_targetILNS1_3genE9ELNS1_11target_archE1100ELNS1_3gpuE3ELNS1_3repE0EEENS1_30default_config_static_selectorELNS0_4arch9wavefront6targetE1EEEvT1_.kd
    .uniform_work_group_size: 1
    .uses_dynamic_stack: false
    .vgpr_count:     0
    .vgpr_spill_count: 0
    .wavefront_size: 64
  - .agpr_count:     0
    .args:
      - .offset:         0
        .size:           144
        .value_kind:     by_value
    .group_segment_fixed_size: 0
    .kernarg_segment_align: 8
    .kernarg_segment_size: 144
    .language:       OpenCL C
    .language_version:
      - 2
      - 0
    .max_flat_workgroup_size: 512
    .name:           _ZN7rocprim17ROCPRIM_400000_NS6detail17trampoline_kernelINS0_14default_configENS1_25partition_config_selectorILNS1_17partition_subalgoE2EyNS0_10empty_typeEbEEZZNS1_14partition_implILS5_2ELb0ES3_jN6thrust23THRUST_200600_302600_NS6detail15normal_iteratorINSA_7pointerIyNSA_11hip_rocprim3tagENSA_11use_defaultESG_EEEEPS6_NSA_18transform_iteratorI7is_evenIyENSC_INSA_10device_ptrIyEEEESG_SG_EENS0_5tupleIJPySJ_EEENSR_IJSJ_SJ_EEES6_PlJS6_EEE10hipError_tPvRmT3_T4_T5_T6_T7_T9_mT8_P12ihipStream_tbDpT10_ENKUlT_T0_E_clISt17integral_constantIbLb1EES1F_EEDaS1A_S1B_EUlS1A_E_NS1_11comp_targetILNS1_3genE8ELNS1_11target_archE1030ELNS1_3gpuE2ELNS1_3repE0EEENS1_30default_config_static_selectorELNS0_4arch9wavefront6targetE1EEEvT1_
    .private_segment_fixed_size: 0
    .sgpr_count:     4
    .sgpr_spill_count: 0
    .symbol:         _ZN7rocprim17ROCPRIM_400000_NS6detail17trampoline_kernelINS0_14default_configENS1_25partition_config_selectorILNS1_17partition_subalgoE2EyNS0_10empty_typeEbEEZZNS1_14partition_implILS5_2ELb0ES3_jN6thrust23THRUST_200600_302600_NS6detail15normal_iteratorINSA_7pointerIyNSA_11hip_rocprim3tagENSA_11use_defaultESG_EEEEPS6_NSA_18transform_iteratorI7is_evenIyENSC_INSA_10device_ptrIyEEEESG_SG_EENS0_5tupleIJPySJ_EEENSR_IJSJ_SJ_EEES6_PlJS6_EEE10hipError_tPvRmT3_T4_T5_T6_T7_T9_mT8_P12ihipStream_tbDpT10_ENKUlT_T0_E_clISt17integral_constantIbLb1EES1F_EEDaS1A_S1B_EUlS1A_E_NS1_11comp_targetILNS1_3genE8ELNS1_11target_archE1030ELNS1_3gpuE2ELNS1_3repE0EEENS1_30default_config_static_selectorELNS0_4arch9wavefront6targetE1EEEvT1_.kd
    .uniform_work_group_size: 1
    .uses_dynamic_stack: false
    .vgpr_count:     0
    .vgpr_spill_count: 0
    .wavefront_size: 64
  - .agpr_count:     0
    .args:
      - .offset:         0
        .size:           128
        .value_kind:     by_value
    .group_segment_fixed_size: 0
    .kernarg_segment_align: 8
    .kernarg_segment_size: 128
    .language:       OpenCL C
    .language_version:
      - 2
      - 0
    .max_flat_workgroup_size: 128
    .name:           _ZN7rocprim17ROCPRIM_400000_NS6detail17trampoline_kernelINS0_14default_configENS1_25partition_config_selectorILNS1_17partition_subalgoE2EyNS0_10empty_typeEbEEZZNS1_14partition_implILS5_2ELb0ES3_jN6thrust23THRUST_200600_302600_NS6detail15normal_iteratorINSA_7pointerIyNSA_11hip_rocprim3tagENSA_11use_defaultESG_EEEEPS6_NSA_18transform_iteratorI7is_evenIyENSC_INSA_10device_ptrIyEEEESG_SG_EENS0_5tupleIJPySJ_EEENSR_IJSJ_SJ_EEES6_PlJS6_EEE10hipError_tPvRmT3_T4_T5_T6_T7_T9_mT8_P12ihipStream_tbDpT10_ENKUlT_T0_E_clISt17integral_constantIbLb1EES1E_IbLb0EEEEDaS1A_S1B_EUlS1A_E_NS1_11comp_targetILNS1_3genE0ELNS1_11target_archE4294967295ELNS1_3gpuE0ELNS1_3repE0EEENS1_30default_config_static_selectorELNS0_4arch9wavefront6targetE1EEEvT1_
    .private_segment_fixed_size: 0
    .sgpr_count:     4
    .sgpr_spill_count: 0
    .symbol:         _ZN7rocprim17ROCPRIM_400000_NS6detail17trampoline_kernelINS0_14default_configENS1_25partition_config_selectorILNS1_17partition_subalgoE2EyNS0_10empty_typeEbEEZZNS1_14partition_implILS5_2ELb0ES3_jN6thrust23THRUST_200600_302600_NS6detail15normal_iteratorINSA_7pointerIyNSA_11hip_rocprim3tagENSA_11use_defaultESG_EEEEPS6_NSA_18transform_iteratorI7is_evenIyENSC_INSA_10device_ptrIyEEEESG_SG_EENS0_5tupleIJPySJ_EEENSR_IJSJ_SJ_EEES6_PlJS6_EEE10hipError_tPvRmT3_T4_T5_T6_T7_T9_mT8_P12ihipStream_tbDpT10_ENKUlT_T0_E_clISt17integral_constantIbLb1EES1E_IbLb0EEEEDaS1A_S1B_EUlS1A_E_NS1_11comp_targetILNS1_3genE0ELNS1_11target_archE4294967295ELNS1_3gpuE0ELNS1_3repE0EEENS1_30default_config_static_selectorELNS0_4arch9wavefront6targetE1EEEvT1_.kd
    .uniform_work_group_size: 1
    .uses_dynamic_stack: false
    .vgpr_count:     0
    .vgpr_spill_count: 0
    .wavefront_size: 64
  - .agpr_count:     0
    .args:
      - .offset:         0
        .size:           128
        .value_kind:     by_value
    .group_segment_fixed_size: 0
    .kernarg_segment_align: 8
    .kernarg_segment_size: 128
    .language:       OpenCL C
    .language_version:
      - 2
      - 0
    .max_flat_workgroup_size: 512
    .name:           _ZN7rocprim17ROCPRIM_400000_NS6detail17trampoline_kernelINS0_14default_configENS1_25partition_config_selectorILNS1_17partition_subalgoE2EyNS0_10empty_typeEbEEZZNS1_14partition_implILS5_2ELb0ES3_jN6thrust23THRUST_200600_302600_NS6detail15normal_iteratorINSA_7pointerIyNSA_11hip_rocprim3tagENSA_11use_defaultESG_EEEEPS6_NSA_18transform_iteratorI7is_evenIyENSC_INSA_10device_ptrIyEEEESG_SG_EENS0_5tupleIJPySJ_EEENSR_IJSJ_SJ_EEES6_PlJS6_EEE10hipError_tPvRmT3_T4_T5_T6_T7_T9_mT8_P12ihipStream_tbDpT10_ENKUlT_T0_E_clISt17integral_constantIbLb1EES1E_IbLb0EEEEDaS1A_S1B_EUlS1A_E_NS1_11comp_targetILNS1_3genE5ELNS1_11target_archE942ELNS1_3gpuE9ELNS1_3repE0EEENS1_30default_config_static_selectorELNS0_4arch9wavefront6targetE1EEEvT1_
    .private_segment_fixed_size: 0
    .sgpr_count:     4
    .sgpr_spill_count: 0
    .symbol:         _ZN7rocprim17ROCPRIM_400000_NS6detail17trampoline_kernelINS0_14default_configENS1_25partition_config_selectorILNS1_17partition_subalgoE2EyNS0_10empty_typeEbEEZZNS1_14partition_implILS5_2ELb0ES3_jN6thrust23THRUST_200600_302600_NS6detail15normal_iteratorINSA_7pointerIyNSA_11hip_rocprim3tagENSA_11use_defaultESG_EEEEPS6_NSA_18transform_iteratorI7is_evenIyENSC_INSA_10device_ptrIyEEEESG_SG_EENS0_5tupleIJPySJ_EEENSR_IJSJ_SJ_EEES6_PlJS6_EEE10hipError_tPvRmT3_T4_T5_T6_T7_T9_mT8_P12ihipStream_tbDpT10_ENKUlT_T0_E_clISt17integral_constantIbLb1EES1E_IbLb0EEEEDaS1A_S1B_EUlS1A_E_NS1_11comp_targetILNS1_3genE5ELNS1_11target_archE942ELNS1_3gpuE9ELNS1_3repE0EEENS1_30default_config_static_selectorELNS0_4arch9wavefront6targetE1EEEvT1_.kd
    .uniform_work_group_size: 1
    .uses_dynamic_stack: false
    .vgpr_count:     0
    .vgpr_spill_count: 0
    .wavefront_size: 64
  - .agpr_count:     0
    .args:
      - .offset:         0
        .size:           128
        .value_kind:     by_value
    .group_segment_fixed_size: 6344
    .kernarg_segment_align: 8
    .kernarg_segment_size: 128
    .language:       OpenCL C
    .language_version:
      - 2
      - 0
    .max_flat_workgroup_size: 192
    .name:           _ZN7rocprim17ROCPRIM_400000_NS6detail17trampoline_kernelINS0_14default_configENS1_25partition_config_selectorILNS1_17partition_subalgoE2EyNS0_10empty_typeEbEEZZNS1_14partition_implILS5_2ELb0ES3_jN6thrust23THRUST_200600_302600_NS6detail15normal_iteratorINSA_7pointerIyNSA_11hip_rocprim3tagENSA_11use_defaultESG_EEEEPS6_NSA_18transform_iteratorI7is_evenIyENSC_INSA_10device_ptrIyEEEESG_SG_EENS0_5tupleIJPySJ_EEENSR_IJSJ_SJ_EEES6_PlJS6_EEE10hipError_tPvRmT3_T4_T5_T6_T7_T9_mT8_P12ihipStream_tbDpT10_ENKUlT_T0_E_clISt17integral_constantIbLb1EES1E_IbLb0EEEEDaS1A_S1B_EUlS1A_E_NS1_11comp_targetILNS1_3genE4ELNS1_11target_archE910ELNS1_3gpuE8ELNS1_3repE0EEENS1_30default_config_static_selectorELNS0_4arch9wavefront6targetE1EEEvT1_
    .private_segment_fixed_size: 0
    .sgpr_count:     50
    .sgpr_spill_count: 0
    .symbol:         _ZN7rocprim17ROCPRIM_400000_NS6detail17trampoline_kernelINS0_14default_configENS1_25partition_config_selectorILNS1_17partition_subalgoE2EyNS0_10empty_typeEbEEZZNS1_14partition_implILS5_2ELb0ES3_jN6thrust23THRUST_200600_302600_NS6detail15normal_iteratorINSA_7pointerIyNSA_11hip_rocprim3tagENSA_11use_defaultESG_EEEEPS6_NSA_18transform_iteratorI7is_evenIyENSC_INSA_10device_ptrIyEEEESG_SG_EENS0_5tupleIJPySJ_EEENSR_IJSJ_SJ_EEES6_PlJS6_EEE10hipError_tPvRmT3_T4_T5_T6_T7_T9_mT8_P12ihipStream_tbDpT10_ENKUlT_T0_E_clISt17integral_constantIbLb1EES1E_IbLb0EEEEDaS1A_S1B_EUlS1A_E_NS1_11comp_targetILNS1_3genE4ELNS1_11target_archE910ELNS1_3gpuE8ELNS1_3repE0EEENS1_30default_config_static_selectorELNS0_4arch9wavefront6targetE1EEEvT1_.kd
    .uniform_work_group_size: 1
    .uses_dynamic_stack: false
    .vgpr_count:     43
    .vgpr_spill_count: 0
    .wavefront_size: 64
  - .agpr_count:     0
    .args:
      - .offset:         0
        .size:           128
        .value_kind:     by_value
    .group_segment_fixed_size: 0
    .kernarg_segment_align: 8
    .kernarg_segment_size: 128
    .language:       OpenCL C
    .language_version:
      - 2
      - 0
    .max_flat_workgroup_size: 128
    .name:           _ZN7rocprim17ROCPRIM_400000_NS6detail17trampoline_kernelINS0_14default_configENS1_25partition_config_selectorILNS1_17partition_subalgoE2EyNS0_10empty_typeEbEEZZNS1_14partition_implILS5_2ELb0ES3_jN6thrust23THRUST_200600_302600_NS6detail15normal_iteratorINSA_7pointerIyNSA_11hip_rocprim3tagENSA_11use_defaultESG_EEEEPS6_NSA_18transform_iteratorI7is_evenIyENSC_INSA_10device_ptrIyEEEESG_SG_EENS0_5tupleIJPySJ_EEENSR_IJSJ_SJ_EEES6_PlJS6_EEE10hipError_tPvRmT3_T4_T5_T6_T7_T9_mT8_P12ihipStream_tbDpT10_ENKUlT_T0_E_clISt17integral_constantIbLb1EES1E_IbLb0EEEEDaS1A_S1B_EUlS1A_E_NS1_11comp_targetILNS1_3genE3ELNS1_11target_archE908ELNS1_3gpuE7ELNS1_3repE0EEENS1_30default_config_static_selectorELNS0_4arch9wavefront6targetE1EEEvT1_
    .private_segment_fixed_size: 0
    .sgpr_count:     4
    .sgpr_spill_count: 0
    .symbol:         _ZN7rocprim17ROCPRIM_400000_NS6detail17trampoline_kernelINS0_14default_configENS1_25partition_config_selectorILNS1_17partition_subalgoE2EyNS0_10empty_typeEbEEZZNS1_14partition_implILS5_2ELb0ES3_jN6thrust23THRUST_200600_302600_NS6detail15normal_iteratorINSA_7pointerIyNSA_11hip_rocprim3tagENSA_11use_defaultESG_EEEEPS6_NSA_18transform_iteratorI7is_evenIyENSC_INSA_10device_ptrIyEEEESG_SG_EENS0_5tupleIJPySJ_EEENSR_IJSJ_SJ_EEES6_PlJS6_EEE10hipError_tPvRmT3_T4_T5_T6_T7_T9_mT8_P12ihipStream_tbDpT10_ENKUlT_T0_E_clISt17integral_constantIbLb1EES1E_IbLb0EEEEDaS1A_S1B_EUlS1A_E_NS1_11comp_targetILNS1_3genE3ELNS1_11target_archE908ELNS1_3gpuE7ELNS1_3repE0EEENS1_30default_config_static_selectorELNS0_4arch9wavefront6targetE1EEEvT1_.kd
    .uniform_work_group_size: 1
    .uses_dynamic_stack: false
    .vgpr_count:     0
    .vgpr_spill_count: 0
    .wavefront_size: 64
  - .agpr_count:     0
    .args:
      - .offset:         0
        .size:           128
        .value_kind:     by_value
    .group_segment_fixed_size: 0
    .kernarg_segment_align: 8
    .kernarg_segment_size: 128
    .language:       OpenCL C
    .language_version:
      - 2
      - 0
    .max_flat_workgroup_size: 256
    .name:           _ZN7rocprim17ROCPRIM_400000_NS6detail17trampoline_kernelINS0_14default_configENS1_25partition_config_selectorILNS1_17partition_subalgoE2EyNS0_10empty_typeEbEEZZNS1_14partition_implILS5_2ELb0ES3_jN6thrust23THRUST_200600_302600_NS6detail15normal_iteratorINSA_7pointerIyNSA_11hip_rocprim3tagENSA_11use_defaultESG_EEEEPS6_NSA_18transform_iteratorI7is_evenIyENSC_INSA_10device_ptrIyEEEESG_SG_EENS0_5tupleIJPySJ_EEENSR_IJSJ_SJ_EEES6_PlJS6_EEE10hipError_tPvRmT3_T4_T5_T6_T7_T9_mT8_P12ihipStream_tbDpT10_ENKUlT_T0_E_clISt17integral_constantIbLb1EES1E_IbLb0EEEEDaS1A_S1B_EUlS1A_E_NS1_11comp_targetILNS1_3genE2ELNS1_11target_archE906ELNS1_3gpuE6ELNS1_3repE0EEENS1_30default_config_static_selectorELNS0_4arch9wavefront6targetE1EEEvT1_
    .private_segment_fixed_size: 0
    .sgpr_count:     4
    .sgpr_spill_count: 0
    .symbol:         _ZN7rocprim17ROCPRIM_400000_NS6detail17trampoline_kernelINS0_14default_configENS1_25partition_config_selectorILNS1_17partition_subalgoE2EyNS0_10empty_typeEbEEZZNS1_14partition_implILS5_2ELb0ES3_jN6thrust23THRUST_200600_302600_NS6detail15normal_iteratorINSA_7pointerIyNSA_11hip_rocprim3tagENSA_11use_defaultESG_EEEEPS6_NSA_18transform_iteratorI7is_evenIyENSC_INSA_10device_ptrIyEEEESG_SG_EENS0_5tupleIJPySJ_EEENSR_IJSJ_SJ_EEES6_PlJS6_EEE10hipError_tPvRmT3_T4_T5_T6_T7_T9_mT8_P12ihipStream_tbDpT10_ENKUlT_T0_E_clISt17integral_constantIbLb1EES1E_IbLb0EEEEDaS1A_S1B_EUlS1A_E_NS1_11comp_targetILNS1_3genE2ELNS1_11target_archE906ELNS1_3gpuE6ELNS1_3repE0EEENS1_30default_config_static_selectorELNS0_4arch9wavefront6targetE1EEEvT1_.kd
    .uniform_work_group_size: 1
    .uses_dynamic_stack: false
    .vgpr_count:     0
    .vgpr_spill_count: 0
    .wavefront_size: 64
  - .agpr_count:     0
    .args:
      - .offset:         0
        .size:           128
        .value_kind:     by_value
    .group_segment_fixed_size: 0
    .kernarg_segment_align: 8
    .kernarg_segment_size: 128
    .language:       OpenCL C
    .language_version:
      - 2
      - 0
    .max_flat_workgroup_size: 256
    .name:           _ZN7rocprim17ROCPRIM_400000_NS6detail17trampoline_kernelINS0_14default_configENS1_25partition_config_selectorILNS1_17partition_subalgoE2EyNS0_10empty_typeEbEEZZNS1_14partition_implILS5_2ELb0ES3_jN6thrust23THRUST_200600_302600_NS6detail15normal_iteratorINSA_7pointerIyNSA_11hip_rocprim3tagENSA_11use_defaultESG_EEEEPS6_NSA_18transform_iteratorI7is_evenIyENSC_INSA_10device_ptrIyEEEESG_SG_EENS0_5tupleIJPySJ_EEENSR_IJSJ_SJ_EEES6_PlJS6_EEE10hipError_tPvRmT3_T4_T5_T6_T7_T9_mT8_P12ihipStream_tbDpT10_ENKUlT_T0_E_clISt17integral_constantIbLb1EES1E_IbLb0EEEEDaS1A_S1B_EUlS1A_E_NS1_11comp_targetILNS1_3genE10ELNS1_11target_archE1200ELNS1_3gpuE4ELNS1_3repE0EEENS1_30default_config_static_selectorELNS0_4arch9wavefront6targetE1EEEvT1_
    .private_segment_fixed_size: 0
    .sgpr_count:     4
    .sgpr_spill_count: 0
    .symbol:         _ZN7rocprim17ROCPRIM_400000_NS6detail17trampoline_kernelINS0_14default_configENS1_25partition_config_selectorILNS1_17partition_subalgoE2EyNS0_10empty_typeEbEEZZNS1_14partition_implILS5_2ELb0ES3_jN6thrust23THRUST_200600_302600_NS6detail15normal_iteratorINSA_7pointerIyNSA_11hip_rocprim3tagENSA_11use_defaultESG_EEEEPS6_NSA_18transform_iteratorI7is_evenIyENSC_INSA_10device_ptrIyEEEESG_SG_EENS0_5tupleIJPySJ_EEENSR_IJSJ_SJ_EEES6_PlJS6_EEE10hipError_tPvRmT3_T4_T5_T6_T7_T9_mT8_P12ihipStream_tbDpT10_ENKUlT_T0_E_clISt17integral_constantIbLb1EES1E_IbLb0EEEEDaS1A_S1B_EUlS1A_E_NS1_11comp_targetILNS1_3genE10ELNS1_11target_archE1200ELNS1_3gpuE4ELNS1_3repE0EEENS1_30default_config_static_selectorELNS0_4arch9wavefront6targetE1EEEvT1_.kd
    .uniform_work_group_size: 1
    .uses_dynamic_stack: false
    .vgpr_count:     0
    .vgpr_spill_count: 0
    .wavefront_size: 64
  - .agpr_count:     0
    .args:
      - .offset:         0
        .size:           128
        .value_kind:     by_value
    .group_segment_fixed_size: 0
    .kernarg_segment_align: 8
    .kernarg_segment_size: 128
    .language:       OpenCL C
    .language_version:
      - 2
      - 0
    .max_flat_workgroup_size: 512
    .name:           _ZN7rocprim17ROCPRIM_400000_NS6detail17trampoline_kernelINS0_14default_configENS1_25partition_config_selectorILNS1_17partition_subalgoE2EyNS0_10empty_typeEbEEZZNS1_14partition_implILS5_2ELb0ES3_jN6thrust23THRUST_200600_302600_NS6detail15normal_iteratorINSA_7pointerIyNSA_11hip_rocprim3tagENSA_11use_defaultESG_EEEEPS6_NSA_18transform_iteratorI7is_evenIyENSC_INSA_10device_ptrIyEEEESG_SG_EENS0_5tupleIJPySJ_EEENSR_IJSJ_SJ_EEES6_PlJS6_EEE10hipError_tPvRmT3_T4_T5_T6_T7_T9_mT8_P12ihipStream_tbDpT10_ENKUlT_T0_E_clISt17integral_constantIbLb1EES1E_IbLb0EEEEDaS1A_S1B_EUlS1A_E_NS1_11comp_targetILNS1_3genE9ELNS1_11target_archE1100ELNS1_3gpuE3ELNS1_3repE0EEENS1_30default_config_static_selectorELNS0_4arch9wavefront6targetE1EEEvT1_
    .private_segment_fixed_size: 0
    .sgpr_count:     4
    .sgpr_spill_count: 0
    .symbol:         _ZN7rocprim17ROCPRIM_400000_NS6detail17trampoline_kernelINS0_14default_configENS1_25partition_config_selectorILNS1_17partition_subalgoE2EyNS0_10empty_typeEbEEZZNS1_14partition_implILS5_2ELb0ES3_jN6thrust23THRUST_200600_302600_NS6detail15normal_iteratorINSA_7pointerIyNSA_11hip_rocprim3tagENSA_11use_defaultESG_EEEEPS6_NSA_18transform_iteratorI7is_evenIyENSC_INSA_10device_ptrIyEEEESG_SG_EENS0_5tupleIJPySJ_EEENSR_IJSJ_SJ_EEES6_PlJS6_EEE10hipError_tPvRmT3_T4_T5_T6_T7_T9_mT8_P12ihipStream_tbDpT10_ENKUlT_T0_E_clISt17integral_constantIbLb1EES1E_IbLb0EEEEDaS1A_S1B_EUlS1A_E_NS1_11comp_targetILNS1_3genE9ELNS1_11target_archE1100ELNS1_3gpuE3ELNS1_3repE0EEENS1_30default_config_static_selectorELNS0_4arch9wavefront6targetE1EEEvT1_.kd
    .uniform_work_group_size: 1
    .uses_dynamic_stack: false
    .vgpr_count:     0
    .vgpr_spill_count: 0
    .wavefront_size: 64
  - .agpr_count:     0
    .args:
      - .offset:         0
        .size:           128
        .value_kind:     by_value
    .group_segment_fixed_size: 0
    .kernarg_segment_align: 8
    .kernarg_segment_size: 128
    .language:       OpenCL C
    .language_version:
      - 2
      - 0
    .max_flat_workgroup_size: 512
    .name:           _ZN7rocprim17ROCPRIM_400000_NS6detail17trampoline_kernelINS0_14default_configENS1_25partition_config_selectorILNS1_17partition_subalgoE2EyNS0_10empty_typeEbEEZZNS1_14partition_implILS5_2ELb0ES3_jN6thrust23THRUST_200600_302600_NS6detail15normal_iteratorINSA_7pointerIyNSA_11hip_rocprim3tagENSA_11use_defaultESG_EEEEPS6_NSA_18transform_iteratorI7is_evenIyENSC_INSA_10device_ptrIyEEEESG_SG_EENS0_5tupleIJPySJ_EEENSR_IJSJ_SJ_EEES6_PlJS6_EEE10hipError_tPvRmT3_T4_T5_T6_T7_T9_mT8_P12ihipStream_tbDpT10_ENKUlT_T0_E_clISt17integral_constantIbLb1EES1E_IbLb0EEEEDaS1A_S1B_EUlS1A_E_NS1_11comp_targetILNS1_3genE8ELNS1_11target_archE1030ELNS1_3gpuE2ELNS1_3repE0EEENS1_30default_config_static_selectorELNS0_4arch9wavefront6targetE1EEEvT1_
    .private_segment_fixed_size: 0
    .sgpr_count:     4
    .sgpr_spill_count: 0
    .symbol:         _ZN7rocprim17ROCPRIM_400000_NS6detail17trampoline_kernelINS0_14default_configENS1_25partition_config_selectorILNS1_17partition_subalgoE2EyNS0_10empty_typeEbEEZZNS1_14partition_implILS5_2ELb0ES3_jN6thrust23THRUST_200600_302600_NS6detail15normal_iteratorINSA_7pointerIyNSA_11hip_rocprim3tagENSA_11use_defaultESG_EEEEPS6_NSA_18transform_iteratorI7is_evenIyENSC_INSA_10device_ptrIyEEEESG_SG_EENS0_5tupleIJPySJ_EEENSR_IJSJ_SJ_EEES6_PlJS6_EEE10hipError_tPvRmT3_T4_T5_T6_T7_T9_mT8_P12ihipStream_tbDpT10_ENKUlT_T0_E_clISt17integral_constantIbLb1EES1E_IbLb0EEEEDaS1A_S1B_EUlS1A_E_NS1_11comp_targetILNS1_3genE8ELNS1_11target_archE1030ELNS1_3gpuE2ELNS1_3repE0EEENS1_30default_config_static_selectorELNS0_4arch9wavefront6targetE1EEEvT1_.kd
    .uniform_work_group_size: 1
    .uses_dynamic_stack: false
    .vgpr_count:     0
    .vgpr_spill_count: 0
    .wavefront_size: 64
  - .agpr_count:     0
    .args:
      - .offset:         0
        .size:           144
        .value_kind:     by_value
    .group_segment_fixed_size: 0
    .kernarg_segment_align: 8
    .kernarg_segment_size: 144
    .language:       OpenCL C
    .language_version:
      - 2
      - 0
    .max_flat_workgroup_size: 128
    .name:           _ZN7rocprim17ROCPRIM_400000_NS6detail17trampoline_kernelINS0_14default_configENS1_25partition_config_selectorILNS1_17partition_subalgoE2EyNS0_10empty_typeEbEEZZNS1_14partition_implILS5_2ELb0ES3_jN6thrust23THRUST_200600_302600_NS6detail15normal_iteratorINSA_7pointerIyNSA_11hip_rocprim3tagENSA_11use_defaultESG_EEEEPS6_NSA_18transform_iteratorI7is_evenIyENSC_INSA_10device_ptrIyEEEESG_SG_EENS0_5tupleIJPySJ_EEENSR_IJSJ_SJ_EEES6_PlJS6_EEE10hipError_tPvRmT3_T4_T5_T6_T7_T9_mT8_P12ihipStream_tbDpT10_ENKUlT_T0_E_clISt17integral_constantIbLb0EES1E_IbLb1EEEEDaS1A_S1B_EUlS1A_E_NS1_11comp_targetILNS1_3genE0ELNS1_11target_archE4294967295ELNS1_3gpuE0ELNS1_3repE0EEENS1_30default_config_static_selectorELNS0_4arch9wavefront6targetE1EEEvT1_
    .private_segment_fixed_size: 0
    .sgpr_count:     4
    .sgpr_spill_count: 0
    .symbol:         _ZN7rocprim17ROCPRIM_400000_NS6detail17trampoline_kernelINS0_14default_configENS1_25partition_config_selectorILNS1_17partition_subalgoE2EyNS0_10empty_typeEbEEZZNS1_14partition_implILS5_2ELb0ES3_jN6thrust23THRUST_200600_302600_NS6detail15normal_iteratorINSA_7pointerIyNSA_11hip_rocprim3tagENSA_11use_defaultESG_EEEEPS6_NSA_18transform_iteratorI7is_evenIyENSC_INSA_10device_ptrIyEEEESG_SG_EENS0_5tupleIJPySJ_EEENSR_IJSJ_SJ_EEES6_PlJS6_EEE10hipError_tPvRmT3_T4_T5_T6_T7_T9_mT8_P12ihipStream_tbDpT10_ENKUlT_T0_E_clISt17integral_constantIbLb0EES1E_IbLb1EEEEDaS1A_S1B_EUlS1A_E_NS1_11comp_targetILNS1_3genE0ELNS1_11target_archE4294967295ELNS1_3gpuE0ELNS1_3repE0EEENS1_30default_config_static_selectorELNS0_4arch9wavefront6targetE1EEEvT1_.kd
    .uniform_work_group_size: 1
    .uses_dynamic_stack: false
    .vgpr_count:     0
    .vgpr_spill_count: 0
    .wavefront_size: 64
  - .agpr_count:     0
    .args:
      - .offset:         0
        .size:           144
        .value_kind:     by_value
    .group_segment_fixed_size: 0
    .kernarg_segment_align: 8
    .kernarg_segment_size: 144
    .language:       OpenCL C
    .language_version:
      - 2
      - 0
    .max_flat_workgroup_size: 512
    .name:           _ZN7rocprim17ROCPRIM_400000_NS6detail17trampoline_kernelINS0_14default_configENS1_25partition_config_selectorILNS1_17partition_subalgoE2EyNS0_10empty_typeEbEEZZNS1_14partition_implILS5_2ELb0ES3_jN6thrust23THRUST_200600_302600_NS6detail15normal_iteratorINSA_7pointerIyNSA_11hip_rocprim3tagENSA_11use_defaultESG_EEEEPS6_NSA_18transform_iteratorI7is_evenIyENSC_INSA_10device_ptrIyEEEESG_SG_EENS0_5tupleIJPySJ_EEENSR_IJSJ_SJ_EEES6_PlJS6_EEE10hipError_tPvRmT3_T4_T5_T6_T7_T9_mT8_P12ihipStream_tbDpT10_ENKUlT_T0_E_clISt17integral_constantIbLb0EES1E_IbLb1EEEEDaS1A_S1B_EUlS1A_E_NS1_11comp_targetILNS1_3genE5ELNS1_11target_archE942ELNS1_3gpuE9ELNS1_3repE0EEENS1_30default_config_static_selectorELNS0_4arch9wavefront6targetE1EEEvT1_
    .private_segment_fixed_size: 0
    .sgpr_count:     4
    .sgpr_spill_count: 0
    .symbol:         _ZN7rocprim17ROCPRIM_400000_NS6detail17trampoline_kernelINS0_14default_configENS1_25partition_config_selectorILNS1_17partition_subalgoE2EyNS0_10empty_typeEbEEZZNS1_14partition_implILS5_2ELb0ES3_jN6thrust23THRUST_200600_302600_NS6detail15normal_iteratorINSA_7pointerIyNSA_11hip_rocprim3tagENSA_11use_defaultESG_EEEEPS6_NSA_18transform_iteratorI7is_evenIyENSC_INSA_10device_ptrIyEEEESG_SG_EENS0_5tupleIJPySJ_EEENSR_IJSJ_SJ_EEES6_PlJS6_EEE10hipError_tPvRmT3_T4_T5_T6_T7_T9_mT8_P12ihipStream_tbDpT10_ENKUlT_T0_E_clISt17integral_constantIbLb0EES1E_IbLb1EEEEDaS1A_S1B_EUlS1A_E_NS1_11comp_targetILNS1_3genE5ELNS1_11target_archE942ELNS1_3gpuE9ELNS1_3repE0EEENS1_30default_config_static_selectorELNS0_4arch9wavefront6targetE1EEEvT1_.kd
    .uniform_work_group_size: 1
    .uses_dynamic_stack: false
    .vgpr_count:     0
    .vgpr_spill_count: 0
    .wavefront_size: 64
  - .agpr_count:     0
    .args:
      - .offset:         0
        .size:           144
        .value_kind:     by_value
    .group_segment_fixed_size: 6344
    .kernarg_segment_align: 8
    .kernarg_segment_size: 144
    .language:       OpenCL C
    .language_version:
      - 2
      - 0
    .max_flat_workgroup_size: 192
    .name:           _ZN7rocprim17ROCPRIM_400000_NS6detail17trampoline_kernelINS0_14default_configENS1_25partition_config_selectorILNS1_17partition_subalgoE2EyNS0_10empty_typeEbEEZZNS1_14partition_implILS5_2ELb0ES3_jN6thrust23THRUST_200600_302600_NS6detail15normal_iteratorINSA_7pointerIyNSA_11hip_rocprim3tagENSA_11use_defaultESG_EEEEPS6_NSA_18transform_iteratorI7is_evenIyENSC_INSA_10device_ptrIyEEEESG_SG_EENS0_5tupleIJPySJ_EEENSR_IJSJ_SJ_EEES6_PlJS6_EEE10hipError_tPvRmT3_T4_T5_T6_T7_T9_mT8_P12ihipStream_tbDpT10_ENKUlT_T0_E_clISt17integral_constantIbLb0EES1E_IbLb1EEEEDaS1A_S1B_EUlS1A_E_NS1_11comp_targetILNS1_3genE4ELNS1_11target_archE910ELNS1_3gpuE8ELNS1_3repE0EEENS1_30default_config_static_selectorELNS0_4arch9wavefront6targetE1EEEvT1_
    .private_segment_fixed_size: 0
    .sgpr_count:     50
    .sgpr_spill_count: 0
    .symbol:         _ZN7rocprim17ROCPRIM_400000_NS6detail17trampoline_kernelINS0_14default_configENS1_25partition_config_selectorILNS1_17partition_subalgoE2EyNS0_10empty_typeEbEEZZNS1_14partition_implILS5_2ELb0ES3_jN6thrust23THRUST_200600_302600_NS6detail15normal_iteratorINSA_7pointerIyNSA_11hip_rocprim3tagENSA_11use_defaultESG_EEEEPS6_NSA_18transform_iteratorI7is_evenIyENSC_INSA_10device_ptrIyEEEESG_SG_EENS0_5tupleIJPySJ_EEENSR_IJSJ_SJ_EEES6_PlJS6_EEE10hipError_tPvRmT3_T4_T5_T6_T7_T9_mT8_P12ihipStream_tbDpT10_ENKUlT_T0_E_clISt17integral_constantIbLb0EES1E_IbLb1EEEEDaS1A_S1B_EUlS1A_E_NS1_11comp_targetILNS1_3genE4ELNS1_11target_archE910ELNS1_3gpuE8ELNS1_3repE0EEENS1_30default_config_static_selectorELNS0_4arch9wavefront6targetE1EEEvT1_.kd
    .uniform_work_group_size: 1
    .uses_dynamic_stack: false
    .vgpr_count:     45
    .vgpr_spill_count: 0
    .wavefront_size: 64
  - .agpr_count:     0
    .args:
      - .offset:         0
        .size:           144
        .value_kind:     by_value
    .group_segment_fixed_size: 0
    .kernarg_segment_align: 8
    .kernarg_segment_size: 144
    .language:       OpenCL C
    .language_version:
      - 2
      - 0
    .max_flat_workgroup_size: 128
    .name:           _ZN7rocprim17ROCPRIM_400000_NS6detail17trampoline_kernelINS0_14default_configENS1_25partition_config_selectorILNS1_17partition_subalgoE2EyNS0_10empty_typeEbEEZZNS1_14partition_implILS5_2ELb0ES3_jN6thrust23THRUST_200600_302600_NS6detail15normal_iteratorINSA_7pointerIyNSA_11hip_rocprim3tagENSA_11use_defaultESG_EEEEPS6_NSA_18transform_iteratorI7is_evenIyENSC_INSA_10device_ptrIyEEEESG_SG_EENS0_5tupleIJPySJ_EEENSR_IJSJ_SJ_EEES6_PlJS6_EEE10hipError_tPvRmT3_T4_T5_T6_T7_T9_mT8_P12ihipStream_tbDpT10_ENKUlT_T0_E_clISt17integral_constantIbLb0EES1E_IbLb1EEEEDaS1A_S1B_EUlS1A_E_NS1_11comp_targetILNS1_3genE3ELNS1_11target_archE908ELNS1_3gpuE7ELNS1_3repE0EEENS1_30default_config_static_selectorELNS0_4arch9wavefront6targetE1EEEvT1_
    .private_segment_fixed_size: 0
    .sgpr_count:     4
    .sgpr_spill_count: 0
    .symbol:         _ZN7rocprim17ROCPRIM_400000_NS6detail17trampoline_kernelINS0_14default_configENS1_25partition_config_selectorILNS1_17partition_subalgoE2EyNS0_10empty_typeEbEEZZNS1_14partition_implILS5_2ELb0ES3_jN6thrust23THRUST_200600_302600_NS6detail15normal_iteratorINSA_7pointerIyNSA_11hip_rocprim3tagENSA_11use_defaultESG_EEEEPS6_NSA_18transform_iteratorI7is_evenIyENSC_INSA_10device_ptrIyEEEESG_SG_EENS0_5tupleIJPySJ_EEENSR_IJSJ_SJ_EEES6_PlJS6_EEE10hipError_tPvRmT3_T4_T5_T6_T7_T9_mT8_P12ihipStream_tbDpT10_ENKUlT_T0_E_clISt17integral_constantIbLb0EES1E_IbLb1EEEEDaS1A_S1B_EUlS1A_E_NS1_11comp_targetILNS1_3genE3ELNS1_11target_archE908ELNS1_3gpuE7ELNS1_3repE0EEENS1_30default_config_static_selectorELNS0_4arch9wavefront6targetE1EEEvT1_.kd
    .uniform_work_group_size: 1
    .uses_dynamic_stack: false
    .vgpr_count:     0
    .vgpr_spill_count: 0
    .wavefront_size: 64
  - .agpr_count:     0
    .args:
      - .offset:         0
        .size:           144
        .value_kind:     by_value
    .group_segment_fixed_size: 0
    .kernarg_segment_align: 8
    .kernarg_segment_size: 144
    .language:       OpenCL C
    .language_version:
      - 2
      - 0
    .max_flat_workgroup_size: 256
    .name:           _ZN7rocprim17ROCPRIM_400000_NS6detail17trampoline_kernelINS0_14default_configENS1_25partition_config_selectorILNS1_17partition_subalgoE2EyNS0_10empty_typeEbEEZZNS1_14partition_implILS5_2ELb0ES3_jN6thrust23THRUST_200600_302600_NS6detail15normal_iteratorINSA_7pointerIyNSA_11hip_rocprim3tagENSA_11use_defaultESG_EEEEPS6_NSA_18transform_iteratorI7is_evenIyENSC_INSA_10device_ptrIyEEEESG_SG_EENS0_5tupleIJPySJ_EEENSR_IJSJ_SJ_EEES6_PlJS6_EEE10hipError_tPvRmT3_T4_T5_T6_T7_T9_mT8_P12ihipStream_tbDpT10_ENKUlT_T0_E_clISt17integral_constantIbLb0EES1E_IbLb1EEEEDaS1A_S1B_EUlS1A_E_NS1_11comp_targetILNS1_3genE2ELNS1_11target_archE906ELNS1_3gpuE6ELNS1_3repE0EEENS1_30default_config_static_selectorELNS0_4arch9wavefront6targetE1EEEvT1_
    .private_segment_fixed_size: 0
    .sgpr_count:     4
    .sgpr_spill_count: 0
    .symbol:         _ZN7rocprim17ROCPRIM_400000_NS6detail17trampoline_kernelINS0_14default_configENS1_25partition_config_selectorILNS1_17partition_subalgoE2EyNS0_10empty_typeEbEEZZNS1_14partition_implILS5_2ELb0ES3_jN6thrust23THRUST_200600_302600_NS6detail15normal_iteratorINSA_7pointerIyNSA_11hip_rocprim3tagENSA_11use_defaultESG_EEEEPS6_NSA_18transform_iteratorI7is_evenIyENSC_INSA_10device_ptrIyEEEESG_SG_EENS0_5tupleIJPySJ_EEENSR_IJSJ_SJ_EEES6_PlJS6_EEE10hipError_tPvRmT3_T4_T5_T6_T7_T9_mT8_P12ihipStream_tbDpT10_ENKUlT_T0_E_clISt17integral_constantIbLb0EES1E_IbLb1EEEEDaS1A_S1B_EUlS1A_E_NS1_11comp_targetILNS1_3genE2ELNS1_11target_archE906ELNS1_3gpuE6ELNS1_3repE0EEENS1_30default_config_static_selectorELNS0_4arch9wavefront6targetE1EEEvT1_.kd
    .uniform_work_group_size: 1
    .uses_dynamic_stack: false
    .vgpr_count:     0
    .vgpr_spill_count: 0
    .wavefront_size: 64
  - .agpr_count:     0
    .args:
      - .offset:         0
        .size:           144
        .value_kind:     by_value
    .group_segment_fixed_size: 0
    .kernarg_segment_align: 8
    .kernarg_segment_size: 144
    .language:       OpenCL C
    .language_version:
      - 2
      - 0
    .max_flat_workgroup_size: 256
    .name:           _ZN7rocprim17ROCPRIM_400000_NS6detail17trampoline_kernelINS0_14default_configENS1_25partition_config_selectorILNS1_17partition_subalgoE2EyNS0_10empty_typeEbEEZZNS1_14partition_implILS5_2ELb0ES3_jN6thrust23THRUST_200600_302600_NS6detail15normal_iteratorINSA_7pointerIyNSA_11hip_rocprim3tagENSA_11use_defaultESG_EEEEPS6_NSA_18transform_iteratorI7is_evenIyENSC_INSA_10device_ptrIyEEEESG_SG_EENS0_5tupleIJPySJ_EEENSR_IJSJ_SJ_EEES6_PlJS6_EEE10hipError_tPvRmT3_T4_T5_T6_T7_T9_mT8_P12ihipStream_tbDpT10_ENKUlT_T0_E_clISt17integral_constantIbLb0EES1E_IbLb1EEEEDaS1A_S1B_EUlS1A_E_NS1_11comp_targetILNS1_3genE10ELNS1_11target_archE1200ELNS1_3gpuE4ELNS1_3repE0EEENS1_30default_config_static_selectorELNS0_4arch9wavefront6targetE1EEEvT1_
    .private_segment_fixed_size: 0
    .sgpr_count:     4
    .sgpr_spill_count: 0
    .symbol:         _ZN7rocprim17ROCPRIM_400000_NS6detail17trampoline_kernelINS0_14default_configENS1_25partition_config_selectorILNS1_17partition_subalgoE2EyNS0_10empty_typeEbEEZZNS1_14partition_implILS5_2ELb0ES3_jN6thrust23THRUST_200600_302600_NS6detail15normal_iteratorINSA_7pointerIyNSA_11hip_rocprim3tagENSA_11use_defaultESG_EEEEPS6_NSA_18transform_iteratorI7is_evenIyENSC_INSA_10device_ptrIyEEEESG_SG_EENS0_5tupleIJPySJ_EEENSR_IJSJ_SJ_EEES6_PlJS6_EEE10hipError_tPvRmT3_T4_T5_T6_T7_T9_mT8_P12ihipStream_tbDpT10_ENKUlT_T0_E_clISt17integral_constantIbLb0EES1E_IbLb1EEEEDaS1A_S1B_EUlS1A_E_NS1_11comp_targetILNS1_3genE10ELNS1_11target_archE1200ELNS1_3gpuE4ELNS1_3repE0EEENS1_30default_config_static_selectorELNS0_4arch9wavefront6targetE1EEEvT1_.kd
    .uniform_work_group_size: 1
    .uses_dynamic_stack: false
    .vgpr_count:     0
    .vgpr_spill_count: 0
    .wavefront_size: 64
  - .agpr_count:     0
    .args:
      - .offset:         0
        .size:           144
        .value_kind:     by_value
    .group_segment_fixed_size: 0
    .kernarg_segment_align: 8
    .kernarg_segment_size: 144
    .language:       OpenCL C
    .language_version:
      - 2
      - 0
    .max_flat_workgroup_size: 512
    .name:           _ZN7rocprim17ROCPRIM_400000_NS6detail17trampoline_kernelINS0_14default_configENS1_25partition_config_selectorILNS1_17partition_subalgoE2EyNS0_10empty_typeEbEEZZNS1_14partition_implILS5_2ELb0ES3_jN6thrust23THRUST_200600_302600_NS6detail15normal_iteratorINSA_7pointerIyNSA_11hip_rocprim3tagENSA_11use_defaultESG_EEEEPS6_NSA_18transform_iteratorI7is_evenIyENSC_INSA_10device_ptrIyEEEESG_SG_EENS0_5tupleIJPySJ_EEENSR_IJSJ_SJ_EEES6_PlJS6_EEE10hipError_tPvRmT3_T4_T5_T6_T7_T9_mT8_P12ihipStream_tbDpT10_ENKUlT_T0_E_clISt17integral_constantIbLb0EES1E_IbLb1EEEEDaS1A_S1B_EUlS1A_E_NS1_11comp_targetILNS1_3genE9ELNS1_11target_archE1100ELNS1_3gpuE3ELNS1_3repE0EEENS1_30default_config_static_selectorELNS0_4arch9wavefront6targetE1EEEvT1_
    .private_segment_fixed_size: 0
    .sgpr_count:     4
    .sgpr_spill_count: 0
    .symbol:         _ZN7rocprim17ROCPRIM_400000_NS6detail17trampoline_kernelINS0_14default_configENS1_25partition_config_selectorILNS1_17partition_subalgoE2EyNS0_10empty_typeEbEEZZNS1_14partition_implILS5_2ELb0ES3_jN6thrust23THRUST_200600_302600_NS6detail15normal_iteratorINSA_7pointerIyNSA_11hip_rocprim3tagENSA_11use_defaultESG_EEEEPS6_NSA_18transform_iteratorI7is_evenIyENSC_INSA_10device_ptrIyEEEESG_SG_EENS0_5tupleIJPySJ_EEENSR_IJSJ_SJ_EEES6_PlJS6_EEE10hipError_tPvRmT3_T4_T5_T6_T7_T9_mT8_P12ihipStream_tbDpT10_ENKUlT_T0_E_clISt17integral_constantIbLb0EES1E_IbLb1EEEEDaS1A_S1B_EUlS1A_E_NS1_11comp_targetILNS1_3genE9ELNS1_11target_archE1100ELNS1_3gpuE3ELNS1_3repE0EEENS1_30default_config_static_selectorELNS0_4arch9wavefront6targetE1EEEvT1_.kd
    .uniform_work_group_size: 1
    .uses_dynamic_stack: false
    .vgpr_count:     0
    .vgpr_spill_count: 0
    .wavefront_size: 64
  - .agpr_count:     0
    .args:
      - .offset:         0
        .size:           144
        .value_kind:     by_value
    .group_segment_fixed_size: 0
    .kernarg_segment_align: 8
    .kernarg_segment_size: 144
    .language:       OpenCL C
    .language_version:
      - 2
      - 0
    .max_flat_workgroup_size: 512
    .name:           _ZN7rocprim17ROCPRIM_400000_NS6detail17trampoline_kernelINS0_14default_configENS1_25partition_config_selectorILNS1_17partition_subalgoE2EyNS0_10empty_typeEbEEZZNS1_14partition_implILS5_2ELb0ES3_jN6thrust23THRUST_200600_302600_NS6detail15normal_iteratorINSA_7pointerIyNSA_11hip_rocprim3tagENSA_11use_defaultESG_EEEEPS6_NSA_18transform_iteratorI7is_evenIyENSC_INSA_10device_ptrIyEEEESG_SG_EENS0_5tupleIJPySJ_EEENSR_IJSJ_SJ_EEES6_PlJS6_EEE10hipError_tPvRmT3_T4_T5_T6_T7_T9_mT8_P12ihipStream_tbDpT10_ENKUlT_T0_E_clISt17integral_constantIbLb0EES1E_IbLb1EEEEDaS1A_S1B_EUlS1A_E_NS1_11comp_targetILNS1_3genE8ELNS1_11target_archE1030ELNS1_3gpuE2ELNS1_3repE0EEENS1_30default_config_static_selectorELNS0_4arch9wavefront6targetE1EEEvT1_
    .private_segment_fixed_size: 0
    .sgpr_count:     4
    .sgpr_spill_count: 0
    .symbol:         _ZN7rocprim17ROCPRIM_400000_NS6detail17trampoline_kernelINS0_14default_configENS1_25partition_config_selectorILNS1_17partition_subalgoE2EyNS0_10empty_typeEbEEZZNS1_14partition_implILS5_2ELb0ES3_jN6thrust23THRUST_200600_302600_NS6detail15normal_iteratorINSA_7pointerIyNSA_11hip_rocprim3tagENSA_11use_defaultESG_EEEEPS6_NSA_18transform_iteratorI7is_evenIyENSC_INSA_10device_ptrIyEEEESG_SG_EENS0_5tupleIJPySJ_EEENSR_IJSJ_SJ_EEES6_PlJS6_EEE10hipError_tPvRmT3_T4_T5_T6_T7_T9_mT8_P12ihipStream_tbDpT10_ENKUlT_T0_E_clISt17integral_constantIbLb0EES1E_IbLb1EEEEDaS1A_S1B_EUlS1A_E_NS1_11comp_targetILNS1_3genE8ELNS1_11target_archE1030ELNS1_3gpuE2ELNS1_3repE0EEENS1_30default_config_static_selectorELNS0_4arch9wavefront6targetE1EEEvT1_.kd
    .uniform_work_group_size: 1
    .uses_dynamic_stack: false
    .vgpr_count:     0
    .vgpr_spill_count: 0
    .wavefront_size: 64
  - .agpr_count:     0
    .args:
      - .offset:         0
        .size:           16
        .value_kind:     by_value
      - .offset:         16
        .size:           8
        .value_kind:     by_value
      - .offset:         24
        .size:           8
        .value_kind:     by_value
    .group_segment_fixed_size: 0
    .kernarg_segment_align: 8
    .kernarg_segment_size: 32
    .language:       OpenCL C
    .language_version:
      - 2
      - 0
    .max_flat_workgroup_size: 256
    .name:           _ZN6thrust23THRUST_200600_302600_NS11hip_rocprim14__parallel_for6kernelILj256ENS1_13__swap_ranges6swap_fINS0_6detail15normal_iteratorINS0_10device_ptrIyEEEENS0_16reverse_iteratorISA_EEEElLj1EEEvT0_T1_SF_
    .private_segment_fixed_size: 0
    .sgpr_count:     20
    .sgpr_spill_count: 0
    .symbol:         _ZN6thrust23THRUST_200600_302600_NS11hip_rocprim14__parallel_for6kernelILj256ENS1_13__swap_ranges6swap_fINS0_6detail15normal_iteratorINS0_10device_ptrIyEEEENS0_16reverse_iteratorISA_EEEElLj1EEEvT0_T1_SF_.kd
    .uniform_work_group_size: 1
    .uses_dynamic_stack: false
    .vgpr_count:     10
    .vgpr_spill_count: 0
    .wavefront_size: 64
  - .agpr_count:     0
    .args:
      - .offset:         0
        .size:           128
        .value_kind:     by_value
    .group_segment_fixed_size: 0
    .kernarg_segment_align: 8
    .kernarg_segment_size: 128
    .language:       OpenCL C
    .language_version:
      - 2
      - 0
    .max_flat_workgroup_size: 128
    .name:           _ZN7rocprim17ROCPRIM_400000_NS6detail17trampoline_kernelINS0_14default_configENS1_25partition_config_selectorILNS1_17partition_subalgoE2EjNS0_10empty_typeEbEEZZNS1_14partition_implILS5_2ELb0ES3_jN6thrust23THRUST_200600_302600_NS6detail15normal_iteratorINSA_7pointerIjNSA_11hip_rocprim3tagENSA_11use_defaultESG_EEEEPS6_NSA_18transform_iteratorI7is_evenIjENSC_INSA_10device_ptrIjEEEESG_SG_EENS0_5tupleIJPjSJ_EEENSR_IJSJ_SJ_EEES6_PlJS6_EEE10hipError_tPvRmT3_T4_T5_T6_T7_T9_mT8_P12ihipStream_tbDpT10_ENKUlT_T0_E_clISt17integral_constantIbLb0EES1F_EEDaS1A_S1B_EUlS1A_E_NS1_11comp_targetILNS1_3genE0ELNS1_11target_archE4294967295ELNS1_3gpuE0ELNS1_3repE0EEENS1_30default_config_static_selectorELNS0_4arch9wavefront6targetE1EEEvT1_
    .private_segment_fixed_size: 0
    .sgpr_count:     4
    .sgpr_spill_count: 0
    .symbol:         _ZN7rocprim17ROCPRIM_400000_NS6detail17trampoline_kernelINS0_14default_configENS1_25partition_config_selectorILNS1_17partition_subalgoE2EjNS0_10empty_typeEbEEZZNS1_14partition_implILS5_2ELb0ES3_jN6thrust23THRUST_200600_302600_NS6detail15normal_iteratorINSA_7pointerIjNSA_11hip_rocprim3tagENSA_11use_defaultESG_EEEEPS6_NSA_18transform_iteratorI7is_evenIjENSC_INSA_10device_ptrIjEEEESG_SG_EENS0_5tupleIJPjSJ_EEENSR_IJSJ_SJ_EEES6_PlJS6_EEE10hipError_tPvRmT3_T4_T5_T6_T7_T9_mT8_P12ihipStream_tbDpT10_ENKUlT_T0_E_clISt17integral_constantIbLb0EES1F_EEDaS1A_S1B_EUlS1A_E_NS1_11comp_targetILNS1_3genE0ELNS1_11target_archE4294967295ELNS1_3gpuE0ELNS1_3repE0EEENS1_30default_config_static_selectorELNS0_4arch9wavefront6targetE1EEEvT1_.kd
    .uniform_work_group_size: 1
    .uses_dynamic_stack: false
    .vgpr_count:     0
    .vgpr_spill_count: 0
    .wavefront_size: 64
  - .agpr_count:     0
    .args:
      - .offset:         0
        .size:           128
        .value_kind:     by_value
    .group_segment_fixed_size: 0
    .kernarg_segment_align: 8
    .kernarg_segment_size: 128
    .language:       OpenCL C
    .language_version:
      - 2
      - 0
    .max_flat_workgroup_size: 512
    .name:           _ZN7rocprim17ROCPRIM_400000_NS6detail17trampoline_kernelINS0_14default_configENS1_25partition_config_selectorILNS1_17partition_subalgoE2EjNS0_10empty_typeEbEEZZNS1_14partition_implILS5_2ELb0ES3_jN6thrust23THRUST_200600_302600_NS6detail15normal_iteratorINSA_7pointerIjNSA_11hip_rocprim3tagENSA_11use_defaultESG_EEEEPS6_NSA_18transform_iteratorI7is_evenIjENSC_INSA_10device_ptrIjEEEESG_SG_EENS0_5tupleIJPjSJ_EEENSR_IJSJ_SJ_EEES6_PlJS6_EEE10hipError_tPvRmT3_T4_T5_T6_T7_T9_mT8_P12ihipStream_tbDpT10_ENKUlT_T0_E_clISt17integral_constantIbLb0EES1F_EEDaS1A_S1B_EUlS1A_E_NS1_11comp_targetILNS1_3genE5ELNS1_11target_archE942ELNS1_3gpuE9ELNS1_3repE0EEENS1_30default_config_static_selectorELNS0_4arch9wavefront6targetE1EEEvT1_
    .private_segment_fixed_size: 0
    .sgpr_count:     4
    .sgpr_spill_count: 0
    .symbol:         _ZN7rocprim17ROCPRIM_400000_NS6detail17trampoline_kernelINS0_14default_configENS1_25partition_config_selectorILNS1_17partition_subalgoE2EjNS0_10empty_typeEbEEZZNS1_14partition_implILS5_2ELb0ES3_jN6thrust23THRUST_200600_302600_NS6detail15normal_iteratorINSA_7pointerIjNSA_11hip_rocprim3tagENSA_11use_defaultESG_EEEEPS6_NSA_18transform_iteratorI7is_evenIjENSC_INSA_10device_ptrIjEEEESG_SG_EENS0_5tupleIJPjSJ_EEENSR_IJSJ_SJ_EEES6_PlJS6_EEE10hipError_tPvRmT3_T4_T5_T6_T7_T9_mT8_P12ihipStream_tbDpT10_ENKUlT_T0_E_clISt17integral_constantIbLb0EES1F_EEDaS1A_S1B_EUlS1A_E_NS1_11comp_targetILNS1_3genE5ELNS1_11target_archE942ELNS1_3gpuE9ELNS1_3repE0EEENS1_30default_config_static_selectorELNS0_4arch9wavefront6targetE1EEEvT1_.kd
    .uniform_work_group_size: 1
    .uses_dynamic_stack: false
    .vgpr_count:     0
    .vgpr_spill_count: 0
    .wavefront_size: 64
  - .agpr_count:     0
    .args:
      - .offset:         0
        .size:           128
        .value_kind:     by_value
    .group_segment_fixed_size: 10248
    .kernarg_segment_align: 8
    .kernarg_segment_size: 128
    .language:       OpenCL C
    .language_version:
      - 2
      - 0
    .max_flat_workgroup_size: 256
    .name:           _ZN7rocprim17ROCPRIM_400000_NS6detail17trampoline_kernelINS0_14default_configENS1_25partition_config_selectorILNS1_17partition_subalgoE2EjNS0_10empty_typeEbEEZZNS1_14partition_implILS5_2ELb0ES3_jN6thrust23THRUST_200600_302600_NS6detail15normal_iteratorINSA_7pointerIjNSA_11hip_rocprim3tagENSA_11use_defaultESG_EEEEPS6_NSA_18transform_iteratorI7is_evenIjENSC_INSA_10device_ptrIjEEEESG_SG_EENS0_5tupleIJPjSJ_EEENSR_IJSJ_SJ_EEES6_PlJS6_EEE10hipError_tPvRmT3_T4_T5_T6_T7_T9_mT8_P12ihipStream_tbDpT10_ENKUlT_T0_E_clISt17integral_constantIbLb0EES1F_EEDaS1A_S1B_EUlS1A_E_NS1_11comp_targetILNS1_3genE4ELNS1_11target_archE910ELNS1_3gpuE8ELNS1_3repE0EEENS1_30default_config_static_selectorELNS0_4arch9wavefront6targetE1EEEvT1_
    .private_segment_fixed_size: 0
    .sgpr_count:     50
    .sgpr_spill_count: 0
    .symbol:         _ZN7rocprim17ROCPRIM_400000_NS6detail17trampoline_kernelINS0_14default_configENS1_25partition_config_selectorILNS1_17partition_subalgoE2EjNS0_10empty_typeEbEEZZNS1_14partition_implILS5_2ELb0ES3_jN6thrust23THRUST_200600_302600_NS6detail15normal_iteratorINSA_7pointerIjNSA_11hip_rocprim3tagENSA_11use_defaultESG_EEEEPS6_NSA_18transform_iteratorI7is_evenIjENSC_INSA_10device_ptrIjEEEESG_SG_EENS0_5tupleIJPjSJ_EEENSR_IJSJ_SJ_EEES6_PlJS6_EEE10hipError_tPvRmT3_T4_T5_T6_T7_T9_mT8_P12ihipStream_tbDpT10_ENKUlT_T0_E_clISt17integral_constantIbLb0EES1F_EEDaS1A_S1B_EUlS1A_E_NS1_11comp_targetILNS1_3genE4ELNS1_11target_archE910ELNS1_3gpuE8ELNS1_3repE0EEENS1_30default_config_static_selectorELNS0_4arch9wavefront6targetE1EEEvT1_.kd
    .uniform_work_group_size: 1
    .uses_dynamic_stack: false
    .vgpr_count:     54
    .vgpr_spill_count: 0
    .wavefront_size: 64
  - .agpr_count:     0
    .args:
      - .offset:         0
        .size:           128
        .value_kind:     by_value
    .group_segment_fixed_size: 0
    .kernarg_segment_align: 8
    .kernarg_segment_size: 128
    .language:       OpenCL C
    .language_version:
      - 2
      - 0
    .max_flat_workgroup_size: 128
    .name:           _ZN7rocprim17ROCPRIM_400000_NS6detail17trampoline_kernelINS0_14default_configENS1_25partition_config_selectorILNS1_17partition_subalgoE2EjNS0_10empty_typeEbEEZZNS1_14partition_implILS5_2ELb0ES3_jN6thrust23THRUST_200600_302600_NS6detail15normal_iteratorINSA_7pointerIjNSA_11hip_rocprim3tagENSA_11use_defaultESG_EEEEPS6_NSA_18transform_iteratorI7is_evenIjENSC_INSA_10device_ptrIjEEEESG_SG_EENS0_5tupleIJPjSJ_EEENSR_IJSJ_SJ_EEES6_PlJS6_EEE10hipError_tPvRmT3_T4_T5_T6_T7_T9_mT8_P12ihipStream_tbDpT10_ENKUlT_T0_E_clISt17integral_constantIbLb0EES1F_EEDaS1A_S1B_EUlS1A_E_NS1_11comp_targetILNS1_3genE3ELNS1_11target_archE908ELNS1_3gpuE7ELNS1_3repE0EEENS1_30default_config_static_selectorELNS0_4arch9wavefront6targetE1EEEvT1_
    .private_segment_fixed_size: 0
    .sgpr_count:     4
    .sgpr_spill_count: 0
    .symbol:         _ZN7rocprim17ROCPRIM_400000_NS6detail17trampoline_kernelINS0_14default_configENS1_25partition_config_selectorILNS1_17partition_subalgoE2EjNS0_10empty_typeEbEEZZNS1_14partition_implILS5_2ELb0ES3_jN6thrust23THRUST_200600_302600_NS6detail15normal_iteratorINSA_7pointerIjNSA_11hip_rocprim3tagENSA_11use_defaultESG_EEEEPS6_NSA_18transform_iteratorI7is_evenIjENSC_INSA_10device_ptrIjEEEESG_SG_EENS0_5tupleIJPjSJ_EEENSR_IJSJ_SJ_EEES6_PlJS6_EEE10hipError_tPvRmT3_T4_T5_T6_T7_T9_mT8_P12ihipStream_tbDpT10_ENKUlT_T0_E_clISt17integral_constantIbLb0EES1F_EEDaS1A_S1B_EUlS1A_E_NS1_11comp_targetILNS1_3genE3ELNS1_11target_archE908ELNS1_3gpuE7ELNS1_3repE0EEENS1_30default_config_static_selectorELNS0_4arch9wavefront6targetE1EEEvT1_.kd
    .uniform_work_group_size: 1
    .uses_dynamic_stack: false
    .vgpr_count:     0
    .vgpr_spill_count: 0
    .wavefront_size: 64
  - .agpr_count:     0
    .args:
      - .offset:         0
        .size:           128
        .value_kind:     by_value
    .group_segment_fixed_size: 0
    .kernarg_segment_align: 8
    .kernarg_segment_size: 128
    .language:       OpenCL C
    .language_version:
      - 2
      - 0
    .max_flat_workgroup_size: 256
    .name:           _ZN7rocprim17ROCPRIM_400000_NS6detail17trampoline_kernelINS0_14default_configENS1_25partition_config_selectorILNS1_17partition_subalgoE2EjNS0_10empty_typeEbEEZZNS1_14partition_implILS5_2ELb0ES3_jN6thrust23THRUST_200600_302600_NS6detail15normal_iteratorINSA_7pointerIjNSA_11hip_rocprim3tagENSA_11use_defaultESG_EEEEPS6_NSA_18transform_iteratorI7is_evenIjENSC_INSA_10device_ptrIjEEEESG_SG_EENS0_5tupleIJPjSJ_EEENSR_IJSJ_SJ_EEES6_PlJS6_EEE10hipError_tPvRmT3_T4_T5_T6_T7_T9_mT8_P12ihipStream_tbDpT10_ENKUlT_T0_E_clISt17integral_constantIbLb0EES1F_EEDaS1A_S1B_EUlS1A_E_NS1_11comp_targetILNS1_3genE2ELNS1_11target_archE906ELNS1_3gpuE6ELNS1_3repE0EEENS1_30default_config_static_selectorELNS0_4arch9wavefront6targetE1EEEvT1_
    .private_segment_fixed_size: 0
    .sgpr_count:     4
    .sgpr_spill_count: 0
    .symbol:         _ZN7rocprim17ROCPRIM_400000_NS6detail17trampoline_kernelINS0_14default_configENS1_25partition_config_selectorILNS1_17partition_subalgoE2EjNS0_10empty_typeEbEEZZNS1_14partition_implILS5_2ELb0ES3_jN6thrust23THRUST_200600_302600_NS6detail15normal_iteratorINSA_7pointerIjNSA_11hip_rocprim3tagENSA_11use_defaultESG_EEEEPS6_NSA_18transform_iteratorI7is_evenIjENSC_INSA_10device_ptrIjEEEESG_SG_EENS0_5tupleIJPjSJ_EEENSR_IJSJ_SJ_EEES6_PlJS6_EEE10hipError_tPvRmT3_T4_T5_T6_T7_T9_mT8_P12ihipStream_tbDpT10_ENKUlT_T0_E_clISt17integral_constantIbLb0EES1F_EEDaS1A_S1B_EUlS1A_E_NS1_11comp_targetILNS1_3genE2ELNS1_11target_archE906ELNS1_3gpuE6ELNS1_3repE0EEENS1_30default_config_static_selectorELNS0_4arch9wavefront6targetE1EEEvT1_.kd
    .uniform_work_group_size: 1
    .uses_dynamic_stack: false
    .vgpr_count:     0
    .vgpr_spill_count: 0
    .wavefront_size: 64
  - .agpr_count:     0
    .args:
      - .offset:         0
        .size:           128
        .value_kind:     by_value
    .group_segment_fixed_size: 0
    .kernarg_segment_align: 8
    .kernarg_segment_size: 128
    .language:       OpenCL C
    .language_version:
      - 2
      - 0
    .max_flat_workgroup_size: 384
    .name:           _ZN7rocprim17ROCPRIM_400000_NS6detail17trampoline_kernelINS0_14default_configENS1_25partition_config_selectorILNS1_17partition_subalgoE2EjNS0_10empty_typeEbEEZZNS1_14partition_implILS5_2ELb0ES3_jN6thrust23THRUST_200600_302600_NS6detail15normal_iteratorINSA_7pointerIjNSA_11hip_rocprim3tagENSA_11use_defaultESG_EEEEPS6_NSA_18transform_iteratorI7is_evenIjENSC_INSA_10device_ptrIjEEEESG_SG_EENS0_5tupleIJPjSJ_EEENSR_IJSJ_SJ_EEES6_PlJS6_EEE10hipError_tPvRmT3_T4_T5_T6_T7_T9_mT8_P12ihipStream_tbDpT10_ENKUlT_T0_E_clISt17integral_constantIbLb0EES1F_EEDaS1A_S1B_EUlS1A_E_NS1_11comp_targetILNS1_3genE10ELNS1_11target_archE1200ELNS1_3gpuE4ELNS1_3repE0EEENS1_30default_config_static_selectorELNS0_4arch9wavefront6targetE1EEEvT1_
    .private_segment_fixed_size: 0
    .sgpr_count:     4
    .sgpr_spill_count: 0
    .symbol:         _ZN7rocprim17ROCPRIM_400000_NS6detail17trampoline_kernelINS0_14default_configENS1_25partition_config_selectorILNS1_17partition_subalgoE2EjNS0_10empty_typeEbEEZZNS1_14partition_implILS5_2ELb0ES3_jN6thrust23THRUST_200600_302600_NS6detail15normal_iteratorINSA_7pointerIjNSA_11hip_rocprim3tagENSA_11use_defaultESG_EEEEPS6_NSA_18transform_iteratorI7is_evenIjENSC_INSA_10device_ptrIjEEEESG_SG_EENS0_5tupleIJPjSJ_EEENSR_IJSJ_SJ_EEES6_PlJS6_EEE10hipError_tPvRmT3_T4_T5_T6_T7_T9_mT8_P12ihipStream_tbDpT10_ENKUlT_T0_E_clISt17integral_constantIbLb0EES1F_EEDaS1A_S1B_EUlS1A_E_NS1_11comp_targetILNS1_3genE10ELNS1_11target_archE1200ELNS1_3gpuE4ELNS1_3repE0EEENS1_30default_config_static_selectorELNS0_4arch9wavefront6targetE1EEEvT1_.kd
    .uniform_work_group_size: 1
    .uses_dynamic_stack: false
    .vgpr_count:     0
    .vgpr_spill_count: 0
    .wavefront_size: 64
  - .agpr_count:     0
    .args:
      - .offset:         0
        .size:           128
        .value_kind:     by_value
    .group_segment_fixed_size: 0
    .kernarg_segment_align: 8
    .kernarg_segment_size: 128
    .language:       OpenCL C
    .language_version:
      - 2
      - 0
    .max_flat_workgroup_size: 128
    .name:           _ZN7rocprim17ROCPRIM_400000_NS6detail17trampoline_kernelINS0_14default_configENS1_25partition_config_selectorILNS1_17partition_subalgoE2EjNS0_10empty_typeEbEEZZNS1_14partition_implILS5_2ELb0ES3_jN6thrust23THRUST_200600_302600_NS6detail15normal_iteratorINSA_7pointerIjNSA_11hip_rocprim3tagENSA_11use_defaultESG_EEEEPS6_NSA_18transform_iteratorI7is_evenIjENSC_INSA_10device_ptrIjEEEESG_SG_EENS0_5tupleIJPjSJ_EEENSR_IJSJ_SJ_EEES6_PlJS6_EEE10hipError_tPvRmT3_T4_T5_T6_T7_T9_mT8_P12ihipStream_tbDpT10_ENKUlT_T0_E_clISt17integral_constantIbLb0EES1F_EEDaS1A_S1B_EUlS1A_E_NS1_11comp_targetILNS1_3genE9ELNS1_11target_archE1100ELNS1_3gpuE3ELNS1_3repE0EEENS1_30default_config_static_selectorELNS0_4arch9wavefront6targetE1EEEvT1_
    .private_segment_fixed_size: 0
    .sgpr_count:     4
    .sgpr_spill_count: 0
    .symbol:         _ZN7rocprim17ROCPRIM_400000_NS6detail17trampoline_kernelINS0_14default_configENS1_25partition_config_selectorILNS1_17partition_subalgoE2EjNS0_10empty_typeEbEEZZNS1_14partition_implILS5_2ELb0ES3_jN6thrust23THRUST_200600_302600_NS6detail15normal_iteratorINSA_7pointerIjNSA_11hip_rocprim3tagENSA_11use_defaultESG_EEEEPS6_NSA_18transform_iteratorI7is_evenIjENSC_INSA_10device_ptrIjEEEESG_SG_EENS0_5tupleIJPjSJ_EEENSR_IJSJ_SJ_EEES6_PlJS6_EEE10hipError_tPvRmT3_T4_T5_T6_T7_T9_mT8_P12ihipStream_tbDpT10_ENKUlT_T0_E_clISt17integral_constantIbLb0EES1F_EEDaS1A_S1B_EUlS1A_E_NS1_11comp_targetILNS1_3genE9ELNS1_11target_archE1100ELNS1_3gpuE3ELNS1_3repE0EEENS1_30default_config_static_selectorELNS0_4arch9wavefront6targetE1EEEvT1_.kd
    .uniform_work_group_size: 1
    .uses_dynamic_stack: false
    .vgpr_count:     0
    .vgpr_spill_count: 0
    .wavefront_size: 64
  - .agpr_count:     0
    .args:
      - .offset:         0
        .size:           128
        .value_kind:     by_value
    .group_segment_fixed_size: 0
    .kernarg_segment_align: 8
    .kernarg_segment_size: 128
    .language:       OpenCL C
    .language_version:
      - 2
      - 0
    .max_flat_workgroup_size: 512
    .name:           _ZN7rocprim17ROCPRIM_400000_NS6detail17trampoline_kernelINS0_14default_configENS1_25partition_config_selectorILNS1_17partition_subalgoE2EjNS0_10empty_typeEbEEZZNS1_14partition_implILS5_2ELb0ES3_jN6thrust23THRUST_200600_302600_NS6detail15normal_iteratorINSA_7pointerIjNSA_11hip_rocprim3tagENSA_11use_defaultESG_EEEEPS6_NSA_18transform_iteratorI7is_evenIjENSC_INSA_10device_ptrIjEEEESG_SG_EENS0_5tupleIJPjSJ_EEENSR_IJSJ_SJ_EEES6_PlJS6_EEE10hipError_tPvRmT3_T4_T5_T6_T7_T9_mT8_P12ihipStream_tbDpT10_ENKUlT_T0_E_clISt17integral_constantIbLb0EES1F_EEDaS1A_S1B_EUlS1A_E_NS1_11comp_targetILNS1_3genE8ELNS1_11target_archE1030ELNS1_3gpuE2ELNS1_3repE0EEENS1_30default_config_static_selectorELNS0_4arch9wavefront6targetE1EEEvT1_
    .private_segment_fixed_size: 0
    .sgpr_count:     4
    .sgpr_spill_count: 0
    .symbol:         _ZN7rocprim17ROCPRIM_400000_NS6detail17trampoline_kernelINS0_14default_configENS1_25partition_config_selectorILNS1_17partition_subalgoE2EjNS0_10empty_typeEbEEZZNS1_14partition_implILS5_2ELb0ES3_jN6thrust23THRUST_200600_302600_NS6detail15normal_iteratorINSA_7pointerIjNSA_11hip_rocprim3tagENSA_11use_defaultESG_EEEEPS6_NSA_18transform_iteratorI7is_evenIjENSC_INSA_10device_ptrIjEEEESG_SG_EENS0_5tupleIJPjSJ_EEENSR_IJSJ_SJ_EEES6_PlJS6_EEE10hipError_tPvRmT3_T4_T5_T6_T7_T9_mT8_P12ihipStream_tbDpT10_ENKUlT_T0_E_clISt17integral_constantIbLb0EES1F_EEDaS1A_S1B_EUlS1A_E_NS1_11comp_targetILNS1_3genE8ELNS1_11target_archE1030ELNS1_3gpuE2ELNS1_3repE0EEENS1_30default_config_static_selectorELNS0_4arch9wavefront6targetE1EEEvT1_.kd
    .uniform_work_group_size: 1
    .uses_dynamic_stack: false
    .vgpr_count:     0
    .vgpr_spill_count: 0
    .wavefront_size: 64
  - .agpr_count:     0
    .args:
      - .offset:         0
        .size:           144
        .value_kind:     by_value
    .group_segment_fixed_size: 0
    .kernarg_segment_align: 8
    .kernarg_segment_size: 144
    .language:       OpenCL C
    .language_version:
      - 2
      - 0
    .max_flat_workgroup_size: 128
    .name:           _ZN7rocprim17ROCPRIM_400000_NS6detail17trampoline_kernelINS0_14default_configENS1_25partition_config_selectorILNS1_17partition_subalgoE2EjNS0_10empty_typeEbEEZZNS1_14partition_implILS5_2ELb0ES3_jN6thrust23THRUST_200600_302600_NS6detail15normal_iteratorINSA_7pointerIjNSA_11hip_rocprim3tagENSA_11use_defaultESG_EEEEPS6_NSA_18transform_iteratorI7is_evenIjENSC_INSA_10device_ptrIjEEEESG_SG_EENS0_5tupleIJPjSJ_EEENSR_IJSJ_SJ_EEES6_PlJS6_EEE10hipError_tPvRmT3_T4_T5_T6_T7_T9_mT8_P12ihipStream_tbDpT10_ENKUlT_T0_E_clISt17integral_constantIbLb1EES1F_EEDaS1A_S1B_EUlS1A_E_NS1_11comp_targetILNS1_3genE0ELNS1_11target_archE4294967295ELNS1_3gpuE0ELNS1_3repE0EEENS1_30default_config_static_selectorELNS0_4arch9wavefront6targetE1EEEvT1_
    .private_segment_fixed_size: 0
    .sgpr_count:     4
    .sgpr_spill_count: 0
    .symbol:         _ZN7rocprim17ROCPRIM_400000_NS6detail17trampoline_kernelINS0_14default_configENS1_25partition_config_selectorILNS1_17partition_subalgoE2EjNS0_10empty_typeEbEEZZNS1_14partition_implILS5_2ELb0ES3_jN6thrust23THRUST_200600_302600_NS6detail15normal_iteratorINSA_7pointerIjNSA_11hip_rocprim3tagENSA_11use_defaultESG_EEEEPS6_NSA_18transform_iteratorI7is_evenIjENSC_INSA_10device_ptrIjEEEESG_SG_EENS0_5tupleIJPjSJ_EEENSR_IJSJ_SJ_EEES6_PlJS6_EEE10hipError_tPvRmT3_T4_T5_T6_T7_T9_mT8_P12ihipStream_tbDpT10_ENKUlT_T0_E_clISt17integral_constantIbLb1EES1F_EEDaS1A_S1B_EUlS1A_E_NS1_11comp_targetILNS1_3genE0ELNS1_11target_archE4294967295ELNS1_3gpuE0ELNS1_3repE0EEENS1_30default_config_static_selectorELNS0_4arch9wavefront6targetE1EEEvT1_.kd
    .uniform_work_group_size: 1
    .uses_dynamic_stack: false
    .vgpr_count:     0
    .vgpr_spill_count: 0
    .wavefront_size: 64
  - .agpr_count:     0
    .args:
      - .offset:         0
        .size:           144
        .value_kind:     by_value
    .group_segment_fixed_size: 0
    .kernarg_segment_align: 8
    .kernarg_segment_size: 144
    .language:       OpenCL C
    .language_version:
      - 2
      - 0
    .max_flat_workgroup_size: 512
    .name:           _ZN7rocprim17ROCPRIM_400000_NS6detail17trampoline_kernelINS0_14default_configENS1_25partition_config_selectorILNS1_17partition_subalgoE2EjNS0_10empty_typeEbEEZZNS1_14partition_implILS5_2ELb0ES3_jN6thrust23THRUST_200600_302600_NS6detail15normal_iteratorINSA_7pointerIjNSA_11hip_rocprim3tagENSA_11use_defaultESG_EEEEPS6_NSA_18transform_iteratorI7is_evenIjENSC_INSA_10device_ptrIjEEEESG_SG_EENS0_5tupleIJPjSJ_EEENSR_IJSJ_SJ_EEES6_PlJS6_EEE10hipError_tPvRmT3_T4_T5_T6_T7_T9_mT8_P12ihipStream_tbDpT10_ENKUlT_T0_E_clISt17integral_constantIbLb1EES1F_EEDaS1A_S1B_EUlS1A_E_NS1_11comp_targetILNS1_3genE5ELNS1_11target_archE942ELNS1_3gpuE9ELNS1_3repE0EEENS1_30default_config_static_selectorELNS0_4arch9wavefront6targetE1EEEvT1_
    .private_segment_fixed_size: 0
    .sgpr_count:     4
    .sgpr_spill_count: 0
    .symbol:         _ZN7rocprim17ROCPRIM_400000_NS6detail17trampoline_kernelINS0_14default_configENS1_25partition_config_selectorILNS1_17partition_subalgoE2EjNS0_10empty_typeEbEEZZNS1_14partition_implILS5_2ELb0ES3_jN6thrust23THRUST_200600_302600_NS6detail15normal_iteratorINSA_7pointerIjNSA_11hip_rocprim3tagENSA_11use_defaultESG_EEEEPS6_NSA_18transform_iteratorI7is_evenIjENSC_INSA_10device_ptrIjEEEESG_SG_EENS0_5tupleIJPjSJ_EEENSR_IJSJ_SJ_EEES6_PlJS6_EEE10hipError_tPvRmT3_T4_T5_T6_T7_T9_mT8_P12ihipStream_tbDpT10_ENKUlT_T0_E_clISt17integral_constantIbLb1EES1F_EEDaS1A_S1B_EUlS1A_E_NS1_11comp_targetILNS1_3genE5ELNS1_11target_archE942ELNS1_3gpuE9ELNS1_3repE0EEENS1_30default_config_static_selectorELNS0_4arch9wavefront6targetE1EEEvT1_.kd
    .uniform_work_group_size: 1
    .uses_dynamic_stack: false
    .vgpr_count:     0
    .vgpr_spill_count: 0
    .wavefront_size: 64
  - .agpr_count:     0
    .args:
      - .offset:         0
        .size:           144
        .value_kind:     by_value
    .group_segment_fixed_size: 10248
    .kernarg_segment_align: 8
    .kernarg_segment_size: 144
    .language:       OpenCL C
    .language_version:
      - 2
      - 0
    .max_flat_workgroup_size: 256
    .name:           _ZN7rocprim17ROCPRIM_400000_NS6detail17trampoline_kernelINS0_14default_configENS1_25partition_config_selectorILNS1_17partition_subalgoE2EjNS0_10empty_typeEbEEZZNS1_14partition_implILS5_2ELb0ES3_jN6thrust23THRUST_200600_302600_NS6detail15normal_iteratorINSA_7pointerIjNSA_11hip_rocprim3tagENSA_11use_defaultESG_EEEEPS6_NSA_18transform_iteratorI7is_evenIjENSC_INSA_10device_ptrIjEEEESG_SG_EENS0_5tupleIJPjSJ_EEENSR_IJSJ_SJ_EEES6_PlJS6_EEE10hipError_tPvRmT3_T4_T5_T6_T7_T9_mT8_P12ihipStream_tbDpT10_ENKUlT_T0_E_clISt17integral_constantIbLb1EES1F_EEDaS1A_S1B_EUlS1A_E_NS1_11comp_targetILNS1_3genE4ELNS1_11target_archE910ELNS1_3gpuE8ELNS1_3repE0EEENS1_30default_config_static_selectorELNS0_4arch9wavefront6targetE1EEEvT1_
    .private_segment_fixed_size: 0
    .sgpr_count:     50
    .sgpr_spill_count: 0
    .symbol:         _ZN7rocprim17ROCPRIM_400000_NS6detail17trampoline_kernelINS0_14default_configENS1_25partition_config_selectorILNS1_17partition_subalgoE2EjNS0_10empty_typeEbEEZZNS1_14partition_implILS5_2ELb0ES3_jN6thrust23THRUST_200600_302600_NS6detail15normal_iteratorINSA_7pointerIjNSA_11hip_rocprim3tagENSA_11use_defaultESG_EEEEPS6_NSA_18transform_iteratorI7is_evenIjENSC_INSA_10device_ptrIjEEEESG_SG_EENS0_5tupleIJPjSJ_EEENSR_IJSJ_SJ_EEES6_PlJS6_EEE10hipError_tPvRmT3_T4_T5_T6_T7_T9_mT8_P12ihipStream_tbDpT10_ENKUlT_T0_E_clISt17integral_constantIbLb1EES1F_EEDaS1A_S1B_EUlS1A_E_NS1_11comp_targetILNS1_3genE4ELNS1_11target_archE910ELNS1_3gpuE8ELNS1_3repE0EEENS1_30default_config_static_selectorELNS0_4arch9wavefront6targetE1EEEvT1_.kd
    .uniform_work_group_size: 1
    .uses_dynamic_stack: false
    .vgpr_count:     56
    .vgpr_spill_count: 0
    .wavefront_size: 64
  - .agpr_count:     0
    .args:
      - .offset:         0
        .size:           144
        .value_kind:     by_value
    .group_segment_fixed_size: 0
    .kernarg_segment_align: 8
    .kernarg_segment_size: 144
    .language:       OpenCL C
    .language_version:
      - 2
      - 0
    .max_flat_workgroup_size: 128
    .name:           _ZN7rocprim17ROCPRIM_400000_NS6detail17trampoline_kernelINS0_14default_configENS1_25partition_config_selectorILNS1_17partition_subalgoE2EjNS0_10empty_typeEbEEZZNS1_14partition_implILS5_2ELb0ES3_jN6thrust23THRUST_200600_302600_NS6detail15normal_iteratorINSA_7pointerIjNSA_11hip_rocprim3tagENSA_11use_defaultESG_EEEEPS6_NSA_18transform_iteratorI7is_evenIjENSC_INSA_10device_ptrIjEEEESG_SG_EENS0_5tupleIJPjSJ_EEENSR_IJSJ_SJ_EEES6_PlJS6_EEE10hipError_tPvRmT3_T4_T5_T6_T7_T9_mT8_P12ihipStream_tbDpT10_ENKUlT_T0_E_clISt17integral_constantIbLb1EES1F_EEDaS1A_S1B_EUlS1A_E_NS1_11comp_targetILNS1_3genE3ELNS1_11target_archE908ELNS1_3gpuE7ELNS1_3repE0EEENS1_30default_config_static_selectorELNS0_4arch9wavefront6targetE1EEEvT1_
    .private_segment_fixed_size: 0
    .sgpr_count:     4
    .sgpr_spill_count: 0
    .symbol:         _ZN7rocprim17ROCPRIM_400000_NS6detail17trampoline_kernelINS0_14default_configENS1_25partition_config_selectorILNS1_17partition_subalgoE2EjNS0_10empty_typeEbEEZZNS1_14partition_implILS5_2ELb0ES3_jN6thrust23THRUST_200600_302600_NS6detail15normal_iteratorINSA_7pointerIjNSA_11hip_rocprim3tagENSA_11use_defaultESG_EEEEPS6_NSA_18transform_iteratorI7is_evenIjENSC_INSA_10device_ptrIjEEEESG_SG_EENS0_5tupleIJPjSJ_EEENSR_IJSJ_SJ_EEES6_PlJS6_EEE10hipError_tPvRmT3_T4_T5_T6_T7_T9_mT8_P12ihipStream_tbDpT10_ENKUlT_T0_E_clISt17integral_constantIbLb1EES1F_EEDaS1A_S1B_EUlS1A_E_NS1_11comp_targetILNS1_3genE3ELNS1_11target_archE908ELNS1_3gpuE7ELNS1_3repE0EEENS1_30default_config_static_selectorELNS0_4arch9wavefront6targetE1EEEvT1_.kd
    .uniform_work_group_size: 1
    .uses_dynamic_stack: false
    .vgpr_count:     0
    .vgpr_spill_count: 0
    .wavefront_size: 64
  - .agpr_count:     0
    .args:
      - .offset:         0
        .size:           144
        .value_kind:     by_value
    .group_segment_fixed_size: 0
    .kernarg_segment_align: 8
    .kernarg_segment_size: 144
    .language:       OpenCL C
    .language_version:
      - 2
      - 0
    .max_flat_workgroup_size: 256
    .name:           _ZN7rocprim17ROCPRIM_400000_NS6detail17trampoline_kernelINS0_14default_configENS1_25partition_config_selectorILNS1_17partition_subalgoE2EjNS0_10empty_typeEbEEZZNS1_14partition_implILS5_2ELb0ES3_jN6thrust23THRUST_200600_302600_NS6detail15normal_iteratorINSA_7pointerIjNSA_11hip_rocprim3tagENSA_11use_defaultESG_EEEEPS6_NSA_18transform_iteratorI7is_evenIjENSC_INSA_10device_ptrIjEEEESG_SG_EENS0_5tupleIJPjSJ_EEENSR_IJSJ_SJ_EEES6_PlJS6_EEE10hipError_tPvRmT3_T4_T5_T6_T7_T9_mT8_P12ihipStream_tbDpT10_ENKUlT_T0_E_clISt17integral_constantIbLb1EES1F_EEDaS1A_S1B_EUlS1A_E_NS1_11comp_targetILNS1_3genE2ELNS1_11target_archE906ELNS1_3gpuE6ELNS1_3repE0EEENS1_30default_config_static_selectorELNS0_4arch9wavefront6targetE1EEEvT1_
    .private_segment_fixed_size: 0
    .sgpr_count:     4
    .sgpr_spill_count: 0
    .symbol:         _ZN7rocprim17ROCPRIM_400000_NS6detail17trampoline_kernelINS0_14default_configENS1_25partition_config_selectorILNS1_17partition_subalgoE2EjNS0_10empty_typeEbEEZZNS1_14partition_implILS5_2ELb0ES3_jN6thrust23THRUST_200600_302600_NS6detail15normal_iteratorINSA_7pointerIjNSA_11hip_rocprim3tagENSA_11use_defaultESG_EEEEPS6_NSA_18transform_iteratorI7is_evenIjENSC_INSA_10device_ptrIjEEEESG_SG_EENS0_5tupleIJPjSJ_EEENSR_IJSJ_SJ_EEES6_PlJS6_EEE10hipError_tPvRmT3_T4_T5_T6_T7_T9_mT8_P12ihipStream_tbDpT10_ENKUlT_T0_E_clISt17integral_constantIbLb1EES1F_EEDaS1A_S1B_EUlS1A_E_NS1_11comp_targetILNS1_3genE2ELNS1_11target_archE906ELNS1_3gpuE6ELNS1_3repE0EEENS1_30default_config_static_selectorELNS0_4arch9wavefront6targetE1EEEvT1_.kd
    .uniform_work_group_size: 1
    .uses_dynamic_stack: false
    .vgpr_count:     0
    .vgpr_spill_count: 0
    .wavefront_size: 64
  - .agpr_count:     0
    .args:
      - .offset:         0
        .size:           144
        .value_kind:     by_value
    .group_segment_fixed_size: 0
    .kernarg_segment_align: 8
    .kernarg_segment_size: 144
    .language:       OpenCL C
    .language_version:
      - 2
      - 0
    .max_flat_workgroup_size: 384
    .name:           _ZN7rocprim17ROCPRIM_400000_NS6detail17trampoline_kernelINS0_14default_configENS1_25partition_config_selectorILNS1_17partition_subalgoE2EjNS0_10empty_typeEbEEZZNS1_14partition_implILS5_2ELb0ES3_jN6thrust23THRUST_200600_302600_NS6detail15normal_iteratorINSA_7pointerIjNSA_11hip_rocprim3tagENSA_11use_defaultESG_EEEEPS6_NSA_18transform_iteratorI7is_evenIjENSC_INSA_10device_ptrIjEEEESG_SG_EENS0_5tupleIJPjSJ_EEENSR_IJSJ_SJ_EEES6_PlJS6_EEE10hipError_tPvRmT3_T4_T5_T6_T7_T9_mT8_P12ihipStream_tbDpT10_ENKUlT_T0_E_clISt17integral_constantIbLb1EES1F_EEDaS1A_S1B_EUlS1A_E_NS1_11comp_targetILNS1_3genE10ELNS1_11target_archE1200ELNS1_3gpuE4ELNS1_3repE0EEENS1_30default_config_static_selectorELNS0_4arch9wavefront6targetE1EEEvT1_
    .private_segment_fixed_size: 0
    .sgpr_count:     4
    .sgpr_spill_count: 0
    .symbol:         _ZN7rocprim17ROCPRIM_400000_NS6detail17trampoline_kernelINS0_14default_configENS1_25partition_config_selectorILNS1_17partition_subalgoE2EjNS0_10empty_typeEbEEZZNS1_14partition_implILS5_2ELb0ES3_jN6thrust23THRUST_200600_302600_NS6detail15normal_iteratorINSA_7pointerIjNSA_11hip_rocprim3tagENSA_11use_defaultESG_EEEEPS6_NSA_18transform_iteratorI7is_evenIjENSC_INSA_10device_ptrIjEEEESG_SG_EENS0_5tupleIJPjSJ_EEENSR_IJSJ_SJ_EEES6_PlJS6_EEE10hipError_tPvRmT3_T4_T5_T6_T7_T9_mT8_P12ihipStream_tbDpT10_ENKUlT_T0_E_clISt17integral_constantIbLb1EES1F_EEDaS1A_S1B_EUlS1A_E_NS1_11comp_targetILNS1_3genE10ELNS1_11target_archE1200ELNS1_3gpuE4ELNS1_3repE0EEENS1_30default_config_static_selectorELNS0_4arch9wavefront6targetE1EEEvT1_.kd
    .uniform_work_group_size: 1
    .uses_dynamic_stack: false
    .vgpr_count:     0
    .vgpr_spill_count: 0
    .wavefront_size: 64
  - .agpr_count:     0
    .args:
      - .offset:         0
        .size:           144
        .value_kind:     by_value
    .group_segment_fixed_size: 0
    .kernarg_segment_align: 8
    .kernarg_segment_size: 144
    .language:       OpenCL C
    .language_version:
      - 2
      - 0
    .max_flat_workgroup_size: 128
    .name:           _ZN7rocprim17ROCPRIM_400000_NS6detail17trampoline_kernelINS0_14default_configENS1_25partition_config_selectorILNS1_17partition_subalgoE2EjNS0_10empty_typeEbEEZZNS1_14partition_implILS5_2ELb0ES3_jN6thrust23THRUST_200600_302600_NS6detail15normal_iteratorINSA_7pointerIjNSA_11hip_rocprim3tagENSA_11use_defaultESG_EEEEPS6_NSA_18transform_iteratorI7is_evenIjENSC_INSA_10device_ptrIjEEEESG_SG_EENS0_5tupleIJPjSJ_EEENSR_IJSJ_SJ_EEES6_PlJS6_EEE10hipError_tPvRmT3_T4_T5_T6_T7_T9_mT8_P12ihipStream_tbDpT10_ENKUlT_T0_E_clISt17integral_constantIbLb1EES1F_EEDaS1A_S1B_EUlS1A_E_NS1_11comp_targetILNS1_3genE9ELNS1_11target_archE1100ELNS1_3gpuE3ELNS1_3repE0EEENS1_30default_config_static_selectorELNS0_4arch9wavefront6targetE1EEEvT1_
    .private_segment_fixed_size: 0
    .sgpr_count:     4
    .sgpr_spill_count: 0
    .symbol:         _ZN7rocprim17ROCPRIM_400000_NS6detail17trampoline_kernelINS0_14default_configENS1_25partition_config_selectorILNS1_17partition_subalgoE2EjNS0_10empty_typeEbEEZZNS1_14partition_implILS5_2ELb0ES3_jN6thrust23THRUST_200600_302600_NS6detail15normal_iteratorINSA_7pointerIjNSA_11hip_rocprim3tagENSA_11use_defaultESG_EEEEPS6_NSA_18transform_iteratorI7is_evenIjENSC_INSA_10device_ptrIjEEEESG_SG_EENS0_5tupleIJPjSJ_EEENSR_IJSJ_SJ_EEES6_PlJS6_EEE10hipError_tPvRmT3_T4_T5_T6_T7_T9_mT8_P12ihipStream_tbDpT10_ENKUlT_T0_E_clISt17integral_constantIbLb1EES1F_EEDaS1A_S1B_EUlS1A_E_NS1_11comp_targetILNS1_3genE9ELNS1_11target_archE1100ELNS1_3gpuE3ELNS1_3repE0EEENS1_30default_config_static_selectorELNS0_4arch9wavefront6targetE1EEEvT1_.kd
    .uniform_work_group_size: 1
    .uses_dynamic_stack: false
    .vgpr_count:     0
    .vgpr_spill_count: 0
    .wavefront_size: 64
  - .agpr_count:     0
    .args:
      - .offset:         0
        .size:           144
        .value_kind:     by_value
    .group_segment_fixed_size: 0
    .kernarg_segment_align: 8
    .kernarg_segment_size: 144
    .language:       OpenCL C
    .language_version:
      - 2
      - 0
    .max_flat_workgroup_size: 512
    .name:           _ZN7rocprim17ROCPRIM_400000_NS6detail17trampoline_kernelINS0_14default_configENS1_25partition_config_selectorILNS1_17partition_subalgoE2EjNS0_10empty_typeEbEEZZNS1_14partition_implILS5_2ELb0ES3_jN6thrust23THRUST_200600_302600_NS6detail15normal_iteratorINSA_7pointerIjNSA_11hip_rocprim3tagENSA_11use_defaultESG_EEEEPS6_NSA_18transform_iteratorI7is_evenIjENSC_INSA_10device_ptrIjEEEESG_SG_EENS0_5tupleIJPjSJ_EEENSR_IJSJ_SJ_EEES6_PlJS6_EEE10hipError_tPvRmT3_T4_T5_T6_T7_T9_mT8_P12ihipStream_tbDpT10_ENKUlT_T0_E_clISt17integral_constantIbLb1EES1F_EEDaS1A_S1B_EUlS1A_E_NS1_11comp_targetILNS1_3genE8ELNS1_11target_archE1030ELNS1_3gpuE2ELNS1_3repE0EEENS1_30default_config_static_selectorELNS0_4arch9wavefront6targetE1EEEvT1_
    .private_segment_fixed_size: 0
    .sgpr_count:     4
    .sgpr_spill_count: 0
    .symbol:         _ZN7rocprim17ROCPRIM_400000_NS6detail17trampoline_kernelINS0_14default_configENS1_25partition_config_selectorILNS1_17partition_subalgoE2EjNS0_10empty_typeEbEEZZNS1_14partition_implILS5_2ELb0ES3_jN6thrust23THRUST_200600_302600_NS6detail15normal_iteratorINSA_7pointerIjNSA_11hip_rocprim3tagENSA_11use_defaultESG_EEEEPS6_NSA_18transform_iteratorI7is_evenIjENSC_INSA_10device_ptrIjEEEESG_SG_EENS0_5tupleIJPjSJ_EEENSR_IJSJ_SJ_EEES6_PlJS6_EEE10hipError_tPvRmT3_T4_T5_T6_T7_T9_mT8_P12ihipStream_tbDpT10_ENKUlT_T0_E_clISt17integral_constantIbLb1EES1F_EEDaS1A_S1B_EUlS1A_E_NS1_11comp_targetILNS1_3genE8ELNS1_11target_archE1030ELNS1_3gpuE2ELNS1_3repE0EEENS1_30default_config_static_selectorELNS0_4arch9wavefront6targetE1EEEvT1_.kd
    .uniform_work_group_size: 1
    .uses_dynamic_stack: false
    .vgpr_count:     0
    .vgpr_spill_count: 0
    .wavefront_size: 64
  - .agpr_count:     0
    .args:
      - .offset:         0
        .size:           128
        .value_kind:     by_value
    .group_segment_fixed_size: 0
    .kernarg_segment_align: 8
    .kernarg_segment_size: 128
    .language:       OpenCL C
    .language_version:
      - 2
      - 0
    .max_flat_workgroup_size: 128
    .name:           _ZN7rocprim17ROCPRIM_400000_NS6detail17trampoline_kernelINS0_14default_configENS1_25partition_config_selectorILNS1_17partition_subalgoE2EjNS0_10empty_typeEbEEZZNS1_14partition_implILS5_2ELb0ES3_jN6thrust23THRUST_200600_302600_NS6detail15normal_iteratorINSA_7pointerIjNSA_11hip_rocprim3tagENSA_11use_defaultESG_EEEEPS6_NSA_18transform_iteratorI7is_evenIjENSC_INSA_10device_ptrIjEEEESG_SG_EENS0_5tupleIJPjSJ_EEENSR_IJSJ_SJ_EEES6_PlJS6_EEE10hipError_tPvRmT3_T4_T5_T6_T7_T9_mT8_P12ihipStream_tbDpT10_ENKUlT_T0_E_clISt17integral_constantIbLb1EES1E_IbLb0EEEEDaS1A_S1B_EUlS1A_E_NS1_11comp_targetILNS1_3genE0ELNS1_11target_archE4294967295ELNS1_3gpuE0ELNS1_3repE0EEENS1_30default_config_static_selectorELNS0_4arch9wavefront6targetE1EEEvT1_
    .private_segment_fixed_size: 0
    .sgpr_count:     4
    .sgpr_spill_count: 0
    .symbol:         _ZN7rocprim17ROCPRIM_400000_NS6detail17trampoline_kernelINS0_14default_configENS1_25partition_config_selectorILNS1_17partition_subalgoE2EjNS0_10empty_typeEbEEZZNS1_14partition_implILS5_2ELb0ES3_jN6thrust23THRUST_200600_302600_NS6detail15normal_iteratorINSA_7pointerIjNSA_11hip_rocprim3tagENSA_11use_defaultESG_EEEEPS6_NSA_18transform_iteratorI7is_evenIjENSC_INSA_10device_ptrIjEEEESG_SG_EENS0_5tupleIJPjSJ_EEENSR_IJSJ_SJ_EEES6_PlJS6_EEE10hipError_tPvRmT3_T4_T5_T6_T7_T9_mT8_P12ihipStream_tbDpT10_ENKUlT_T0_E_clISt17integral_constantIbLb1EES1E_IbLb0EEEEDaS1A_S1B_EUlS1A_E_NS1_11comp_targetILNS1_3genE0ELNS1_11target_archE4294967295ELNS1_3gpuE0ELNS1_3repE0EEENS1_30default_config_static_selectorELNS0_4arch9wavefront6targetE1EEEvT1_.kd
    .uniform_work_group_size: 1
    .uses_dynamic_stack: false
    .vgpr_count:     0
    .vgpr_spill_count: 0
    .wavefront_size: 64
  - .agpr_count:     0
    .args:
      - .offset:         0
        .size:           128
        .value_kind:     by_value
    .group_segment_fixed_size: 0
    .kernarg_segment_align: 8
    .kernarg_segment_size: 128
    .language:       OpenCL C
    .language_version:
      - 2
      - 0
    .max_flat_workgroup_size: 512
    .name:           _ZN7rocprim17ROCPRIM_400000_NS6detail17trampoline_kernelINS0_14default_configENS1_25partition_config_selectorILNS1_17partition_subalgoE2EjNS0_10empty_typeEbEEZZNS1_14partition_implILS5_2ELb0ES3_jN6thrust23THRUST_200600_302600_NS6detail15normal_iteratorINSA_7pointerIjNSA_11hip_rocprim3tagENSA_11use_defaultESG_EEEEPS6_NSA_18transform_iteratorI7is_evenIjENSC_INSA_10device_ptrIjEEEESG_SG_EENS0_5tupleIJPjSJ_EEENSR_IJSJ_SJ_EEES6_PlJS6_EEE10hipError_tPvRmT3_T4_T5_T6_T7_T9_mT8_P12ihipStream_tbDpT10_ENKUlT_T0_E_clISt17integral_constantIbLb1EES1E_IbLb0EEEEDaS1A_S1B_EUlS1A_E_NS1_11comp_targetILNS1_3genE5ELNS1_11target_archE942ELNS1_3gpuE9ELNS1_3repE0EEENS1_30default_config_static_selectorELNS0_4arch9wavefront6targetE1EEEvT1_
    .private_segment_fixed_size: 0
    .sgpr_count:     4
    .sgpr_spill_count: 0
    .symbol:         _ZN7rocprim17ROCPRIM_400000_NS6detail17trampoline_kernelINS0_14default_configENS1_25partition_config_selectorILNS1_17partition_subalgoE2EjNS0_10empty_typeEbEEZZNS1_14partition_implILS5_2ELb0ES3_jN6thrust23THRUST_200600_302600_NS6detail15normal_iteratorINSA_7pointerIjNSA_11hip_rocprim3tagENSA_11use_defaultESG_EEEEPS6_NSA_18transform_iteratorI7is_evenIjENSC_INSA_10device_ptrIjEEEESG_SG_EENS0_5tupleIJPjSJ_EEENSR_IJSJ_SJ_EEES6_PlJS6_EEE10hipError_tPvRmT3_T4_T5_T6_T7_T9_mT8_P12ihipStream_tbDpT10_ENKUlT_T0_E_clISt17integral_constantIbLb1EES1E_IbLb0EEEEDaS1A_S1B_EUlS1A_E_NS1_11comp_targetILNS1_3genE5ELNS1_11target_archE942ELNS1_3gpuE9ELNS1_3repE0EEENS1_30default_config_static_selectorELNS0_4arch9wavefront6targetE1EEEvT1_.kd
    .uniform_work_group_size: 1
    .uses_dynamic_stack: false
    .vgpr_count:     0
    .vgpr_spill_count: 0
    .wavefront_size: 64
  - .agpr_count:     0
    .args:
      - .offset:         0
        .size:           128
        .value_kind:     by_value
    .group_segment_fixed_size: 10248
    .kernarg_segment_align: 8
    .kernarg_segment_size: 128
    .language:       OpenCL C
    .language_version:
      - 2
      - 0
    .max_flat_workgroup_size: 256
    .name:           _ZN7rocprim17ROCPRIM_400000_NS6detail17trampoline_kernelINS0_14default_configENS1_25partition_config_selectorILNS1_17partition_subalgoE2EjNS0_10empty_typeEbEEZZNS1_14partition_implILS5_2ELb0ES3_jN6thrust23THRUST_200600_302600_NS6detail15normal_iteratorINSA_7pointerIjNSA_11hip_rocprim3tagENSA_11use_defaultESG_EEEEPS6_NSA_18transform_iteratorI7is_evenIjENSC_INSA_10device_ptrIjEEEESG_SG_EENS0_5tupleIJPjSJ_EEENSR_IJSJ_SJ_EEES6_PlJS6_EEE10hipError_tPvRmT3_T4_T5_T6_T7_T9_mT8_P12ihipStream_tbDpT10_ENKUlT_T0_E_clISt17integral_constantIbLb1EES1E_IbLb0EEEEDaS1A_S1B_EUlS1A_E_NS1_11comp_targetILNS1_3genE4ELNS1_11target_archE910ELNS1_3gpuE8ELNS1_3repE0EEENS1_30default_config_static_selectorELNS0_4arch9wavefront6targetE1EEEvT1_
    .private_segment_fixed_size: 0
    .sgpr_count:     50
    .sgpr_spill_count: 0
    .symbol:         _ZN7rocprim17ROCPRIM_400000_NS6detail17trampoline_kernelINS0_14default_configENS1_25partition_config_selectorILNS1_17partition_subalgoE2EjNS0_10empty_typeEbEEZZNS1_14partition_implILS5_2ELb0ES3_jN6thrust23THRUST_200600_302600_NS6detail15normal_iteratorINSA_7pointerIjNSA_11hip_rocprim3tagENSA_11use_defaultESG_EEEEPS6_NSA_18transform_iteratorI7is_evenIjENSC_INSA_10device_ptrIjEEEESG_SG_EENS0_5tupleIJPjSJ_EEENSR_IJSJ_SJ_EEES6_PlJS6_EEE10hipError_tPvRmT3_T4_T5_T6_T7_T9_mT8_P12ihipStream_tbDpT10_ENKUlT_T0_E_clISt17integral_constantIbLb1EES1E_IbLb0EEEEDaS1A_S1B_EUlS1A_E_NS1_11comp_targetILNS1_3genE4ELNS1_11target_archE910ELNS1_3gpuE8ELNS1_3repE0EEENS1_30default_config_static_selectorELNS0_4arch9wavefront6targetE1EEEvT1_.kd
    .uniform_work_group_size: 1
    .uses_dynamic_stack: false
    .vgpr_count:     54
    .vgpr_spill_count: 0
    .wavefront_size: 64
  - .agpr_count:     0
    .args:
      - .offset:         0
        .size:           128
        .value_kind:     by_value
    .group_segment_fixed_size: 0
    .kernarg_segment_align: 8
    .kernarg_segment_size: 128
    .language:       OpenCL C
    .language_version:
      - 2
      - 0
    .max_flat_workgroup_size: 128
    .name:           _ZN7rocprim17ROCPRIM_400000_NS6detail17trampoline_kernelINS0_14default_configENS1_25partition_config_selectorILNS1_17partition_subalgoE2EjNS0_10empty_typeEbEEZZNS1_14partition_implILS5_2ELb0ES3_jN6thrust23THRUST_200600_302600_NS6detail15normal_iteratorINSA_7pointerIjNSA_11hip_rocprim3tagENSA_11use_defaultESG_EEEEPS6_NSA_18transform_iteratorI7is_evenIjENSC_INSA_10device_ptrIjEEEESG_SG_EENS0_5tupleIJPjSJ_EEENSR_IJSJ_SJ_EEES6_PlJS6_EEE10hipError_tPvRmT3_T4_T5_T6_T7_T9_mT8_P12ihipStream_tbDpT10_ENKUlT_T0_E_clISt17integral_constantIbLb1EES1E_IbLb0EEEEDaS1A_S1B_EUlS1A_E_NS1_11comp_targetILNS1_3genE3ELNS1_11target_archE908ELNS1_3gpuE7ELNS1_3repE0EEENS1_30default_config_static_selectorELNS0_4arch9wavefront6targetE1EEEvT1_
    .private_segment_fixed_size: 0
    .sgpr_count:     4
    .sgpr_spill_count: 0
    .symbol:         _ZN7rocprim17ROCPRIM_400000_NS6detail17trampoline_kernelINS0_14default_configENS1_25partition_config_selectorILNS1_17partition_subalgoE2EjNS0_10empty_typeEbEEZZNS1_14partition_implILS5_2ELb0ES3_jN6thrust23THRUST_200600_302600_NS6detail15normal_iteratorINSA_7pointerIjNSA_11hip_rocprim3tagENSA_11use_defaultESG_EEEEPS6_NSA_18transform_iteratorI7is_evenIjENSC_INSA_10device_ptrIjEEEESG_SG_EENS0_5tupleIJPjSJ_EEENSR_IJSJ_SJ_EEES6_PlJS6_EEE10hipError_tPvRmT3_T4_T5_T6_T7_T9_mT8_P12ihipStream_tbDpT10_ENKUlT_T0_E_clISt17integral_constantIbLb1EES1E_IbLb0EEEEDaS1A_S1B_EUlS1A_E_NS1_11comp_targetILNS1_3genE3ELNS1_11target_archE908ELNS1_3gpuE7ELNS1_3repE0EEENS1_30default_config_static_selectorELNS0_4arch9wavefront6targetE1EEEvT1_.kd
    .uniform_work_group_size: 1
    .uses_dynamic_stack: false
    .vgpr_count:     0
    .vgpr_spill_count: 0
    .wavefront_size: 64
  - .agpr_count:     0
    .args:
      - .offset:         0
        .size:           128
        .value_kind:     by_value
    .group_segment_fixed_size: 0
    .kernarg_segment_align: 8
    .kernarg_segment_size: 128
    .language:       OpenCL C
    .language_version:
      - 2
      - 0
    .max_flat_workgroup_size: 256
    .name:           _ZN7rocprim17ROCPRIM_400000_NS6detail17trampoline_kernelINS0_14default_configENS1_25partition_config_selectorILNS1_17partition_subalgoE2EjNS0_10empty_typeEbEEZZNS1_14partition_implILS5_2ELb0ES3_jN6thrust23THRUST_200600_302600_NS6detail15normal_iteratorINSA_7pointerIjNSA_11hip_rocprim3tagENSA_11use_defaultESG_EEEEPS6_NSA_18transform_iteratorI7is_evenIjENSC_INSA_10device_ptrIjEEEESG_SG_EENS0_5tupleIJPjSJ_EEENSR_IJSJ_SJ_EEES6_PlJS6_EEE10hipError_tPvRmT3_T4_T5_T6_T7_T9_mT8_P12ihipStream_tbDpT10_ENKUlT_T0_E_clISt17integral_constantIbLb1EES1E_IbLb0EEEEDaS1A_S1B_EUlS1A_E_NS1_11comp_targetILNS1_3genE2ELNS1_11target_archE906ELNS1_3gpuE6ELNS1_3repE0EEENS1_30default_config_static_selectorELNS0_4arch9wavefront6targetE1EEEvT1_
    .private_segment_fixed_size: 0
    .sgpr_count:     4
    .sgpr_spill_count: 0
    .symbol:         _ZN7rocprim17ROCPRIM_400000_NS6detail17trampoline_kernelINS0_14default_configENS1_25partition_config_selectorILNS1_17partition_subalgoE2EjNS0_10empty_typeEbEEZZNS1_14partition_implILS5_2ELb0ES3_jN6thrust23THRUST_200600_302600_NS6detail15normal_iteratorINSA_7pointerIjNSA_11hip_rocprim3tagENSA_11use_defaultESG_EEEEPS6_NSA_18transform_iteratorI7is_evenIjENSC_INSA_10device_ptrIjEEEESG_SG_EENS0_5tupleIJPjSJ_EEENSR_IJSJ_SJ_EEES6_PlJS6_EEE10hipError_tPvRmT3_T4_T5_T6_T7_T9_mT8_P12ihipStream_tbDpT10_ENKUlT_T0_E_clISt17integral_constantIbLb1EES1E_IbLb0EEEEDaS1A_S1B_EUlS1A_E_NS1_11comp_targetILNS1_3genE2ELNS1_11target_archE906ELNS1_3gpuE6ELNS1_3repE0EEENS1_30default_config_static_selectorELNS0_4arch9wavefront6targetE1EEEvT1_.kd
    .uniform_work_group_size: 1
    .uses_dynamic_stack: false
    .vgpr_count:     0
    .vgpr_spill_count: 0
    .wavefront_size: 64
  - .agpr_count:     0
    .args:
      - .offset:         0
        .size:           128
        .value_kind:     by_value
    .group_segment_fixed_size: 0
    .kernarg_segment_align: 8
    .kernarg_segment_size: 128
    .language:       OpenCL C
    .language_version:
      - 2
      - 0
    .max_flat_workgroup_size: 384
    .name:           _ZN7rocprim17ROCPRIM_400000_NS6detail17trampoline_kernelINS0_14default_configENS1_25partition_config_selectorILNS1_17partition_subalgoE2EjNS0_10empty_typeEbEEZZNS1_14partition_implILS5_2ELb0ES3_jN6thrust23THRUST_200600_302600_NS6detail15normal_iteratorINSA_7pointerIjNSA_11hip_rocprim3tagENSA_11use_defaultESG_EEEEPS6_NSA_18transform_iteratorI7is_evenIjENSC_INSA_10device_ptrIjEEEESG_SG_EENS0_5tupleIJPjSJ_EEENSR_IJSJ_SJ_EEES6_PlJS6_EEE10hipError_tPvRmT3_T4_T5_T6_T7_T9_mT8_P12ihipStream_tbDpT10_ENKUlT_T0_E_clISt17integral_constantIbLb1EES1E_IbLb0EEEEDaS1A_S1B_EUlS1A_E_NS1_11comp_targetILNS1_3genE10ELNS1_11target_archE1200ELNS1_3gpuE4ELNS1_3repE0EEENS1_30default_config_static_selectorELNS0_4arch9wavefront6targetE1EEEvT1_
    .private_segment_fixed_size: 0
    .sgpr_count:     4
    .sgpr_spill_count: 0
    .symbol:         _ZN7rocprim17ROCPRIM_400000_NS6detail17trampoline_kernelINS0_14default_configENS1_25partition_config_selectorILNS1_17partition_subalgoE2EjNS0_10empty_typeEbEEZZNS1_14partition_implILS5_2ELb0ES3_jN6thrust23THRUST_200600_302600_NS6detail15normal_iteratorINSA_7pointerIjNSA_11hip_rocprim3tagENSA_11use_defaultESG_EEEEPS6_NSA_18transform_iteratorI7is_evenIjENSC_INSA_10device_ptrIjEEEESG_SG_EENS0_5tupleIJPjSJ_EEENSR_IJSJ_SJ_EEES6_PlJS6_EEE10hipError_tPvRmT3_T4_T5_T6_T7_T9_mT8_P12ihipStream_tbDpT10_ENKUlT_T0_E_clISt17integral_constantIbLb1EES1E_IbLb0EEEEDaS1A_S1B_EUlS1A_E_NS1_11comp_targetILNS1_3genE10ELNS1_11target_archE1200ELNS1_3gpuE4ELNS1_3repE0EEENS1_30default_config_static_selectorELNS0_4arch9wavefront6targetE1EEEvT1_.kd
    .uniform_work_group_size: 1
    .uses_dynamic_stack: false
    .vgpr_count:     0
    .vgpr_spill_count: 0
    .wavefront_size: 64
  - .agpr_count:     0
    .args:
      - .offset:         0
        .size:           128
        .value_kind:     by_value
    .group_segment_fixed_size: 0
    .kernarg_segment_align: 8
    .kernarg_segment_size: 128
    .language:       OpenCL C
    .language_version:
      - 2
      - 0
    .max_flat_workgroup_size: 128
    .name:           _ZN7rocprim17ROCPRIM_400000_NS6detail17trampoline_kernelINS0_14default_configENS1_25partition_config_selectorILNS1_17partition_subalgoE2EjNS0_10empty_typeEbEEZZNS1_14partition_implILS5_2ELb0ES3_jN6thrust23THRUST_200600_302600_NS6detail15normal_iteratorINSA_7pointerIjNSA_11hip_rocprim3tagENSA_11use_defaultESG_EEEEPS6_NSA_18transform_iteratorI7is_evenIjENSC_INSA_10device_ptrIjEEEESG_SG_EENS0_5tupleIJPjSJ_EEENSR_IJSJ_SJ_EEES6_PlJS6_EEE10hipError_tPvRmT3_T4_T5_T6_T7_T9_mT8_P12ihipStream_tbDpT10_ENKUlT_T0_E_clISt17integral_constantIbLb1EES1E_IbLb0EEEEDaS1A_S1B_EUlS1A_E_NS1_11comp_targetILNS1_3genE9ELNS1_11target_archE1100ELNS1_3gpuE3ELNS1_3repE0EEENS1_30default_config_static_selectorELNS0_4arch9wavefront6targetE1EEEvT1_
    .private_segment_fixed_size: 0
    .sgpr_count:     4
    .sgpr_spill_count: 0
    .symbol:         _ZN7rocprim17ROCPRIM_400000_NS6detail17trampoline_kernelINS0_14default_configENS1_25partition_config_selectorILNS1_17partition_subalgoE2EjNS0_10empty_typeEbEEZZNS1_14partition_implILS5_2ELb0ES3_jN6thrust23THRUST_200600_302600_NS6detail15normal_iteratorINSA_7pointerIjNSA_11hip_rocprim3tagENSA_11use_defaultESG_EEEEPS6_NSA_18transform_iteratorI7is_evenIjENSC_INSA_10device_ptrIjEEEESG_SG_EENS0_5tupleIJPjSJ_EEENSR_IJSJ_SJ_EEES6_PlJS6_EEE10hipError_tPvRmT3_T4_T5_T6_T7_T9_mT8_P12ihipStream_tbDpT10_ENKUlT_T0_E_clISt17integral_constantIbLb1EES1E_IbLb0EEEEDaS1A_S1B_EUlS1A_E_NS1_11comp_targetILNS1_3genE9ELNS1_11target_archE1100ELNS1_3gpuE3ELNS1_3repE0EEENS1_30default_config_static_selectorELNS0_4arch9wavefront6targetE1EEEvT1_.kd
    .uniform_work_group_size: 1
    .uses_dynamic_stack: false
    .vgpr_count:     0
    .vgpr_spill_count: 0
    .wavefront_size: 64
  - .agpr_count:     0
    .args:
      - .offset:         0
        .size:           128
        .value_kind:     by_value
    .group_segment_fixed_size: 0
    .kernarg_segment_align: 8
    .kernarg_segment_size: 128
    .language:       OpenCL C
    .language_version:
      - 2
      - 0
    .max_flat_workgroup_size: 512
    .name:           _ZN7rocprim17ROCPRIM_400000_NS6detail17trampoline_kernelINS0_14default_configENS1_25partition_config_selectorILNS1_17partition_subalgoE2EjNS0_10empty_typeEbEEZZNS1_14partition_implILS5_2ELb0ES3_jN6thrust23THRUST_200600_302600_NS6detail15normal_iteratorINSA_7pointerIjNSA_11hip_rocprim3tagENSA_11use_defaultESG_EEEEPS6_NSA_18transform_iteratorI7is_evenIjENSC_INSA_10device_ptrIjEEEESG_SG_EENS0_5tupleIJPjSJ_EEENSR_IJSJ_SJ_EEES6_PlJS6_EEE10hipError_tPvRmT3_T4_T5_T6_T7_T9_mT8_P12ihipStream_tbDpT10_ENKUlT_T0_E_clISt17integral_constantIbLb1EES1E_IbLb0EEEEDaS1A_S1B_EUlS1A_E_NS1_11comp_targetILNS1_3genE8ELNS1_11target_archE1030ELNS1_3gpuE2ELNS1_3repE0EEENS1_30default_config_static_selectorELNS0_4arch9wavefront6targetE1EEEvT1_
    .private_segment_fixed_size: 0
    .sgpr_count:     4
    .sgpr_spill_count: 0
    .symbol:         _ZN7rocprim17ROCPRIM_400000_NS6detail17trampoline_kernelINS0_14default_configENS1_25partition_config_selectorILNS1_17partition_subalgoE2EjNS0_10empty_typeEbEEZZNS1_14partition_implILS5_2ELb0ES3_jN6thrust23THRUST_200600_302600_NS6detail15normal_iteratorINSA_7pointerIjNSA_11hip_rocprim3tagENSA_11use_defaultESG_EEEEPS6_NSA_18transform_iteratorI7is_evenIjENSC_INSA_10device_ptrIjEEEESG_SG_EENS0_5tupleIJPjSJ_EEENSR_IJSJ_SJ_EEES6_PlJS6_EEE10hipError_tPvRmT3_T4_T5_T6_T7_T9_mT8_P12ihipStream_tbDpT10_ENKUlT_T0_E_clISt17integral_constantIbLb1EES1E_IbLb0EEEEDaS1A_S1B_EUlS1A_E_NS1_11comp_targetILNS1_3genE8ELNS1_11target_archE1030ELNS1_3gpuE2ELNS1_3repE0EEENS1_30default_config_static_selectorELNS0_4arch9wavefront6targetE1EEEvT1_.kd
    .uniform_work_group_size: 1
    .uses_dynamic_stack: false
    .vgpr_count:     0
    .vgpr_spill_count: 0
    .wavefront_size: 64
  - .agpr_count:     0
    .args:
      - .offset:         0
        .size:           144
        .value_kind:     by_value
    .group_segment_fixed_size: 0
    .kernarg_segment_align: 8
    .kernarg_segment_size: 144
    .language:       OpenCL C
    .language_version:
      - 2
      - 0
    .max_flat_workgroup_size: 128
    .name:           _ZN7rocprim17ROCPRIM_400000_NS6detail17trampoline_kernelINS0_14default_configENS1_25partition_config_selectorILNS1_17partition_subalgoE2EjNS0_10empty_typeEbEEZZNS1_14partition_implILS5_2ELb0ES3_jN6thrust23THRUST_200600_302600_NS6detail15normal_iteratorINSA_7pointerIjNSA_11hip_rocprim3tagENSA_11use_defaultESG_EEEEPS6_NSA_18transform_iteratorI7is_evenIjENSC_INSA_10device_ptrIjEEEESG_SG_EENS0_5tupleIJPjSJ_EEENSR_IJSJ_SJ_EEES6_PlJS6_EEE10hipError_tPvRmT3_T4_T5_T6_T7_T9_mT8_P12ihipStream_tbDpT10_ENKUlT_T0_E_clISt17integral_constantIbLb0EES1E_IbLb1EEEEDaS1A_S1B_EUlS1A_E_NS1_11comp_targetILNS1_3genE0ELNS1_11target_archE4294967295ELNS1_3gpuE0ELNS1_3repE0EEENS1_30default_config_static_selectorELNS0_4arch9wavefront6targetE1EEEvT1_
    .private_segment_fixed_size: 0
    .sgpr_count:     4
    .sgpr_spill_count: 0
    .symbol:         _ZN7rocprim17ROCPRIM_400000_NS6detail17trampoline_kernelINS0_14default_configENS1_25partition_config_selectorILNS1_17partition_subalgoE2EjNS0_10empty_typeEbEEZZNS1_14partition_implILS5_2ELb0ES3_jN6thrust23THRUST_200600_302600_NS6detail15normal_iteratorINSA_7pointerIjNSA_11hip_rocprim3tagENSA_11use_defaultESG_EEEEPS6_NSA_18transform_iteratorI7is_evenIjENSC_INSA_10device_ptrIjEEEESG_SG_EENS0_5tupleIJPjSJ_EEENSR_IJSJ_SJ_EEES6_PlJS6_EEE10hipError_tPvRmT3_T4_T5_T6_T7_T9_mT8_P12ihipStream_tbDpT10_ENKUlT_T0_E_clISt17integral_constantIbLb0EES1E_IbLb1EEEEDaS1A_S1B_EUlS1A_E_NS1_11comp_targetILNS1_3genE0ELNS1_11target_archE4294967295ELNS1_3gpuE0ELNS1_3repE0EEENS1_30default_config_static_selectorELNS0_4arch9wavefront6targetE1EEEvT1_.kd
    .uniform_work_group_size: 1
    .uses_dynamic_stack: false
    .vgpr_count:     0
    .vgpr_spill_count: 0
    .wavefront_size: 64
  - .agpr_count:     0
    .args:
      - .offset:         0
        .size:           144
        .value_kind:     by_value
    .group_segment_fixed_size: 0
    .kernarg_segment_align: 8
    .kernarg_segment_size: 144
    .language:       OpenCL C
    .language_version:
      - 2
      - 0
    .max_flat_workgroup_size: 512
    .name:           _ZN7rocprim17ROCPRIM_400000_NS6detail17trampoline_kernelINS0_14default_configENS1_25partition_config_selectorILNS1_17partition_subalgoE2EjNS0_10empty_typeEbEEZZNS1_14partition_implILS5_2ELb0ES3_jN6thrust23THRUST_200600_302600_NS6detail15normal_iteratorINSA_7pointerIjNSA_11hip_rocprim3tagENSA_11use_defaultESG_EEEEPS6_NSA_18transform_iteratorI7is_evenIjENSC_INSA_10device_ptrIjEEEESG_SG_EENS0_5tupleIJPjSJ_EEENSR_IJSJ_SJ_EEES6_PlJS6_EEE10hipError_tPvRmT3_T4_T5_T6_T7_T9_mT8_P12ihipStream_tbDpT10_ENKUlT_T0_E_clISt17integral_constantIbLb0EES1E_IbLb1EEEEDaS1A_S1B_EUlS1A_E_NS1_11comp_targetILNS1_3genE5ELNS1_11target_archE942ELNS1_3gpuE9ELNS1_3repE0EEENS1_30default_config_static_selectorELNS0_4arch9wavefront6targetE1EEEvT1_
    .private_segment_fixed_size: 0
    .sgpr_count:     4
    .sgpr_spill_count: 0
    .symbol:         _ZN7rocprim17ROCPRIM_400000_NS6detail17trampoline_kernelINS0_14default_configENS1_25partition_config_selectorILNS1_17partition_subalgoE2EjNS0_10empty_typeEbEEZZNS1_14partition_implILS5_2ELb0ES3_jN6thrust23THRUST_200600_302600_NS6detail15normal_iteratorINSA_7pointerIjNSA_11hip_rocprim3tagENSA_11use_defaultESG_EEEEPS6_NSA_18transform_iteratorI7is_evenIjENSC_INSA_10device_ptrIjEEEESG_SG_EENS0_5tupleIJPjSJ_EEENSR_IJSJ_SJ_EEES6_PlJS6_EEE10hipError_tPvRmT3_T4_T5_T6_T7_T9_mT8_P12ihipStream_tbDpT10_ENKUlT_T0_E_clISt17integral_constantIbLb0EES1E_IbLb1EEEEDaS1A_S1B_EUlS1A_E_NS1_11comp_targetILNS1_3genE5ELNS1_11target_archE942ELNS1_3gpuE9ELNS1_3repE0EEENS1_30default_config_static_selectorELNS0_4arch9wavefront6targetE1EEEvT1_.kd
    .uniform_work_group_size: 1
    .uses_dynamic_stack: false
    .vgpr_count:     0
    .vgpr_spill_count: 0
    .wavefront_size: 64
  - .agpr_count:     0
    .args:
      - .offset:         0
        .size:           144
        .value_kind:     by_value
    .group_segment_fixed_size: 10248
    .kernarg_segment_align: 8
    .kernarg_segment_size: 144
    .language:       OpenCL C
    .language_version:
      - 2
      - 0
    .max_flat_workgroup_size: 256
    .name:           _ZN7rocprim17ROCPRIM_400000_NS6detail17trampoline_kernelINS0_14default_configENS1_25partition_config_selectorILNS1_17partition_subalgoE2EjNS0_10empty_typeEbEEZZNS1_14partition_implILS5_2ELb0ES3_jN6thrust23THRUST_200600_302600_NS6detail15normal_iteratorINSA_7pointerIjNSA_11hip_rocprim3tagENSA_11use_defaultESG_EEEEPS6_NSA_18transform_iteratorI7is_evenIjENSC_INSA_10device_ptrIjEEEESG_SG_EENS0_5tupleIJPjSJ_EEENSR_IJSJ_SJ_EEES6_PlJS6_EEE10hipError_tPvRmT3_T4_T5_T6_T7_T9_mT8_P12ihipStream_tbDpT10_ENKUlT_T0_E_clISt17integral_constantIbLb0EES1E_IbLb1EEEEDaS1A_S1B_EUlS1A_E_NS1_11comp_targetILNS1_3genE4ELNS1_11target_archE910ELNS1_3gpuE8ELNS1_3repE0EEENS1_30default_config_static_selectorELNS0_4arch9wavefront6targetE1EEEvT1_
    .private_segment_fixed_size: 0
    .sgpr_count:     50
    .sgpr_spill_count: 0
    .symbol:         _ZN7rocprim17ROCPRIM_400000_NS6detail17trampoline_kernelINS0_14default_configENS1_25partition_config_selectorILNS1_17partition_subalgoE2EjNS0_10empty_typeEbEEZZNS1_14partition_implILS5_2ELb0ES3_jN6thrust23THRUST_200600_302600_NS6detail15normal_iteratorINSA_7pointerIjNSA_11hip_rocprim3tagENSA_11use_defaultESG_EEEEPS6_NSA_18transform_iteratorI7is_evenIjENSC_INSA_10device_ptrIjEEEESG_SG_EENS0_5tupleIJPjSJ_EEENSR_IJSJ_SJ_EEES6_PlJS6_EEE10hipError_tPvRmT3_T4_T5_T6_T7_T9_mT8_P12ihipStream_tbDpT10_ENKUlT_T0_E_clISt17integral_constantIbLb0EES1E_IbLb1EEEEDaS1A_S1B_EUlS1A_E_NS1_11comp_targetILNS1_3genE4ELNS1_11target_archE910ELNS1_3gpuE8ELNS1_3repE0EEENS1_30default_config_static_selectorELNS0_4arch9wavefront6targetE1EEEvT1_.kd
    .uniform_work_group_size: 1
    .uses_dynamic_stack: false
    .vgpr_count:     56
    .vgpr_spill_count: 0
    .wavefront_size: 64
  - .agpr_count:     0
    .args:
      - .offset:         0
        .size:           144
        .value_kind:     by_value
    .group_segment_fixed_size: 0
    .kernarg_segment_align: 8
    .kernarg_segment_size: 144
    .language:       OpenCL C
    .language_version:
      - 2
      - 0
    .max_flat_workgroup_size: 128
    .name:           _ZN7rocprim17ROCPRIM_400000_NS6detail17trampoline_kernelINS0_14default_configENS1_25partition_config_selectorILNS1_17partition_subalgoE2EjNS0_10empty_typeEbEEZZNS1_14partition_implILS5_2ELb0ES3_jN6thrust23THRUST_200600_302600_NS6detail15normal_iteratorINSA_7pointerIjNSA_11hip_rocprim3tagENSA_11use_defaultESG_EEEEPS6_NSA_18transform_iteratorI7is_evenIjENSC_INSA_10device_ptrIjEEEESG_SG_EENS0_5tupleIJPjSJ_EEENSR_IJSJ_SJ_EEES6_PlJS6_EEE10hipError_tPvRmT3_T4_T5_T6_T7_T9_mT8_P12ihipStream_tbDpT10_ENKUlT_T0_E_clISt17integral_constantIbLb0EES1E_IbLb1EEEEDaS1A_S1B_EUlS1A_E_NS1_11comp_targetILNS1_3genE3ELNS1_11target_archE908ELNS1_3gpuE7ELNS1_3repE0EEENS1_30default_config_static_selectorELNS0_4arch9wavefront6targetE1EEEvT1_
    .private_segment_fixed_size: 0
    .sgpr_count:     4
    .sgpr_spill_count: 0
    .symbol:         _ZN7rocprim17ROCPRIM_400000_NS6detail17trampoline_kernelINS0_14default_configENS1_25partition_config_selectorILNS1_17partition_subalgoE2EjNS0_10empty_typeEbEEZZNS1_14partition_implILS5_2ELb0ES3_jN6thrust23THRUST_200600_302600_NS6detail15normal_iteratorINSA_7pointerIjNSA_11hip_rocprim3tagENSA_11use_defaultESG_EEEEPS6_NSA_18transform_iteratorI7is_evenIjENSC_INSA_10device_ptrIjEEEESG_SG_EENS0_5tupleIJPjSJ_EEENSR_IJSJ_SJ_EEES6_PlJS6_EEE10hipError_tPvRmT3_T4_T5_T6_T7_T9_mT8_P12ihipStream_tbDpT10_ENKUlT_T0_E_clISt17integral_constantIbLb0EES1E_IbLb1EEEEDaS1A_S1B_EUlS1A_E_NS1_11comp_targetILNS1_3genE3ELNS1_11target_archE908ELNS1_3gpuE7ELNS1_3repE0EEENS1_30default_config_static_selectorELNS0_4arch9wavefront6targetE1EEEvT1_.kd
    .uniform_work_group_size: 1
    .uses_dynamic_stack: false
    .vgpr_count:     0
    .vgpr_spill_count: 0
    .wavefront_size: 64
  - .agpr_count:     0
    .args:
      - .offset:         0
        .size:           144
        .value_kind:     by_value
    .group_segment_fixed_size: 0
    .kernarg_segment_align: 8
    .kernarg_segment_size: 144
    .language:       OpenCL C
    .language_version:
      - 2
      - 0
    .max_flat_workgroup_size: 256
    .name:           _ZN7rocprim17ROCPRIM_400000_NS6detail17trampoline_kernelINS0_14default_configENS1_25partition_config_selectorILNS1_17partition_subalgoE2EjNS0_10empty_typeEbEEZZNS1_14partition_implILS5_2ELb0ES3_jN6thrust23THRUST_200600_302600_NS6detail15normal_iteratorINSA_7pointerIjNSA_11hip_rocprim3tagENSA_11use_defaultESG_EEEEPS6_NSA_18transform_iteratorI7is_evenIjENSC_INSA_10device_ptrIjEEEESG_SG_EENS0_5tupleIJPjSJ_EEENSR_IJSJ_SJ_EEES6_PlJS6_EEE10hipError_tPvRmT3_T4_T5_T6_T7_T9_mT8_P12ihipStream_tbDpT10_ENKUlT_T0_E_clISt17integral_constantIbLb0EES1E_IbLb1EEEEDaS1A_S1B_EUlS1A_E_NS1_11comp_targetILNS1_3genE2ELNS1_11target_archE906ELNS1_3gpuE6ELNS1_3repE0EEENS1_30default_config_static_selectorELNS0_4arch9wavefront6targetE1EEEvT1_
    .private_segment_fixed_size: 0
    .sgpr_count:     4
    .sgpr_spill_count: 0
    .symbol:         _ZN7rocprim17ROCPRIM_400000_NS6detail17trampoline_kernelINS0_14default_configENS1_25partition_config_selectorILNS1_17partition_subalgoE2EjNS0_10empty_typeEbEEZZNS1_14partition_implILS5_2ELb0ES3_jN6thrust23THRUST_200600_302600_NS6detail15normal_iteratorINSA_7pointerIjNSA_11hip_rocprim3tagENSA_11use_defaultESG_EEEEPS6_NSA_18transform_iteratorI7is_evenIjENSC_INSA_10device_ptrIjEEEESG_SG_EENS0_5tupleIJPjSJ_EEENSR_IJSJ_SJ_EEES6_PlJS6_EEE10hipError_tPvRmT3_T4_T5_T6_T7_T9_mT8_P12ihipStream_tbDpT10_ENKUlT_T0_E_clISt17integral_constantIbLb0EES1E_IbLb1EEEEDaS1A_S1B_EUlS1A_E_NS1_11comp_targetILNS1_3genE2ELNS1_11target_archE906ELNS1_3gpuE6ELNS1_3repE0EEENS1_30default_config_static_selectorELNS0_4arch9wavefront6targetE1EEEvT1_.kd
    .uniform_work_group_size: 1
    .uses_dynamic_stack: false
    .vgpr_count:     0
    .vgpr_spill_count: 0
    .wavefront_size: 64
  - .agpr_count:     0
    .args:
      - .offset:         0
        .size:           144
        .value_kind:     by_value
    .group_segment_fixed_size: 0
    .kernarg_segment_align: 8
    .kernarg_segment_size: 144
    .language:       OpenCL C
    .language_version:
      - 2
      - 0
    .max_flat_workgroup_size: 384
    .name:           _ZN7rocprim17ROCPRIM_400000_NS6detail17trampoline_kernelINS0_14default_configENS1_25partition_config_selectorILNS1_17partition_subalgoE2EjNS0_10empty_typeEbEEZZNS1_14partition_implILS5_2ELb0ES3_jN6thrust23THRUST_200600_302600_NS6detail15normal_iteratorINSA_7pointerIjNSA_11hip_rocprim3tagENSA_11use_defaultESG_EEEEPS6_NSA_18transform_iteratorI7is_evenIjENSC_INSA_10device_ptrIjEEEESG_SG_EENS0_5tupleIJPjSJ_EEENSR_IJSJ_SJ_EEES6_PlJS6_EEE10hipError_tPvRmT3_T4_T5_T6_T7_T9_mT8_P12ihipStream_tbDpT10_ENKUlT_T0_E_clISt17integral_constantIbLb0EES1E_IbLb1EEEEDaS1A_S1B_EUlS1A_E_NS1_11comp_targetILNS1_3genE10ELNS1_11target_archE1200ELNS1_3gpuE4ELNS1_3repE0EEENS1_30default_config_static_selectorELNS0_4arch9wavefront6targetE1EEEvT1_
    .private_segment_fixed_size: 0
    .sgpr_count:     4
    .sgpr_spill_count: 0
    .symbol:         _ZN7rocprim17ROCPRIM_400000_NS6detail17trampoline_kernelINS0_14default_configENS1_25partition_config_selectorILNS1_17partition_subalgoE2EjNS0_10empty_typeEbEEZZNS1_14partition_implILS5_2ELb0ES3_jN6thrust23THRUST_200600_302600_NS6detail15normal_iteratorINSA_7pointerIjNSA_11hip_rocprim3tagENSA_11use_defaultESG_EEEEPS6_NSA_18transform_iteratorI7is_evenIjENSC_INSA_10device_ptrIjEEEESG_SG_EENS0_5tupleIJPjSJ_EEENSR_IJSJ_SJ_EEES6_PlJS6_EEE10hipError_tPvRmT3_T4_T5_T6_T7_T9_mT8_P12ihipStream_tbDpT10_ENKUlT_T0_E_clISt17integral_constantIbLb0EES1E_IbLb1EEEEDaS1A_S1B_EUlS1A_E_NS1_11comp_targetILNS1_3genE10ELNS1_11target_archE1200ELNS1_3gpuE4ELNS1_3repE0EEENS1_30default_config_static_selectorELNS0_4arch9wavefront6targetE1EEEvT1_.kd
    .uniform_work_group_size: 1
    .uses_dynamic_stack: false
    .vgpr_count:     0
    .vgpr_spill_count: 0
    .wavefront_size: 64
  - .agpr_count:     0
    .args:
      - .offset:         0
        .size:           144
        .value_kind:     by_value
    .group_segment_fixed_size: 0
    .kernarg_segment_align: 8
    .kernarg_segment_size: 144
    .language:       OpenCL C
    .language_version:
      - 2
      - 0
    .max_flat_workgroup_size: 128
    .name:           _ZN7rocprim17ROCPRIM_400000_NS6detail17trampoline_kernelINS0_14default_configENS1_25partition_config_selectorILNS1_17partition_subalgoE2EjNS0_10empty_typeEbEEZZNS1_14partition_implILS5_2ELb0ES3_jN6thrust23THRUST_200600_302600_NS6detail15normal_iteratorINSA_7pointerIjNSA_11hip_rocprim3tagENSA_11use_defaultESG_EEEEPS6_NSA_18transform_iteratorI7is_evenIjENSC_INSA_10device_ptrIjEEEESG_SG_EENS0_5tupleIJPjSJ_EEENSR_IJSJ_SJ_EEES6_PlJS6_EEE10hipError_tPvRmT3_T4_T5_T6_T7_T9_mT8_P12ihipStream_tbDpT10_ENKUlT_T0_E_clISt17integral_constantIbLb0EES1E_IbLb1EEEEDaS1A_S1B_EUlS1A_E_NS1_11comp_targetILNS1_3genE9ELNS1_11target_archE1100ELNS1_3gpuE3ELNS1_3repE0EEENS1_30default_config_static_selectorELNS0_4arch9wavefront6targetE1EEEvT1_
    .private_segment_fixed_size: 0
    .sgpr_count:     4
    .sgpr_spill_count: 0
    .symbol:         _ZN7rocprim17ROCPRIM_400000_NS6detail17trampoline_kernelINS0_14default_configENS1_25partition_config_selectorILNS1_17partition_subalgoE2EjNS0_10empty_typeEbEEZZNS1_14partition_implILS5_2ELb0ES3_jN6thrust23THRUST_200600_302600_NS6detail15normal_iteratorINSA_7pointerIjNSA_11hip_rocprim3tagENSA_11use_defaultESG_EEEEPS6_NSA_18transform_iteratorI7is_evenIjENSC_INSA_10device_ptrIjEEEESG_SG_EENS0_5tupleIJPjSJ_EEENSR_IJSJ_SJ_EEES6_PlJS6_EEE10hipError_tPvRmT3_T4_T5_T6_T7_T9_mT8_P12ihipStream_tbDpT10_ENKUlT_T0_E_clISt17integral_constantIbLb0EES1E_IbLb1EEEEDaS1A_S1B_EUlS1A_E_NS1_11comp_targetILNS1_3genE9ELNS1_11target_archE1100ELNS1_3gpuE3ELNS1_3repE0EEENS1_30default_config_static_selectorELNS0_4arch9wavefront6targetE1EEEvT1_.kd
    .uniform_work_group_size: 1
    .uses_dynamic_stack: false
    .vgpr_count:     0
    .vgpr_spill_count: 0
    .wavefront_size: 64
  - .agpr_count:     0
    .args:
      - .offset:         0
        .size:           144
        .value_kind:     by_value
    .group_segment_fixed_size: 0
    .kernarg_segment_align: 8
    .kernarg_segment_size: 144
    .language:       OpenCL C
    .language_version:
      - 2
      - 0
    .max_flat_workgroup_size: 512
    .name:           _ZN7rocprim17ROCPRIM_400000_NS6detail17trampoline_kernelINS0_14default_configENS1_25partition_config_selectorILNS1_17partition_subalgoE2EjNS0_10empty_typeEbEEZZNS1_14partition_implILS5_2ELb0ES3_jN6thrust23THRUST_200600_302600_NS6detail15normal_iteratorINSA_7pointerIjNSA_11hip_rocprim3tagENSA_11use_defaultESG_EEEEPS6_NSA_18transform_iteratorI7is_evenIjENSC_INSA_10device_ptrIjEEEESG_SG_EENS0_5tupleIJPjSJ_EEENSR_IJSJ_SJ_EEES6_PlJS6_EEE10hipError_tPvRmT3_T4_T5_T6_T7_T9_mT8_P12ihipStream_tbDpT10_ENKUlT_T0_E_clISt17integral_constantIbLb0EES1E_IbLb1EEEEDaS1A_S1B_EUlS1A_E_NS1_11comp_targetILNS1_3genE8ELNS1_11target_archE1030ELNS1_3gpuE2ELNS1_3repE0EEENS1_30default_config_static_selectorELNS0_4arch9wavefront6targetE1EEEvT1_
    .private_segment_fixed_size: 0
    .sgpr_count:     4
    .sgpr_spill_count: 0
    .symbol:         _ZN7rocprim17ROCPRIM_400000_NS6detail17trampoline_kernelINS0_14default_configENS1_25partition_config_selectorILNS1_17partition_subalgoE2EjNS0_10empty_typeEbEEZZNS1_14partition_implILS5_2ELb0ES3_jN6thrust23THRUST_200600_302600_NS6detail15normal_iteratorINSA_7pointerIjNSA_11hip_rocprim3tagENSA_11use_defaultESG_EEEEPS6_NSA_18transform_iteratorI7is_evenIjENSC_INSA_10device_ptrIjEEEESG_SG_EENS0_5tupleIJPjSJ_EEENSR_IJSJ_SJ_EEES6_PlJS6_EEE10hipError_tPvRmT3_T4_T5_T6_T7_T9_mT8_P12ihipStream_tbDpT10_ENKUlT_T0_E_clISt17integral_constantIbLb0EES1E_IbLb1EEEEDaS1A_S1B_EUlS1A_E_NS1_11comp_targetILNS1_3genE8ELNS1_11target_archE1030ELNS1_3gpuE2ELNS1_3repE0EEENS1_30default_config_static_selectorELNS0_4arch9wavefront6targetE1EEEvT1_.kd
    .uniform_work_group_size: 1
    .uses_dynamic_stack: false
    .vgpr_count:     0
    .vgpr_spill_count: 0
    .wavefront_size: 64
  - .agpr_count:     0
    .args:
      - .offset:         0
        .size:           16
        .value_kind:     by_value
      - .offset:         16
        .size:           8
        .value_kind:     by_value
      - .offset:         24
        .size:           8
        .value_kind:     by_value
    .group_segment_fixed_size: 0
    .kernarg_segment_align: 8
    .kernarg_segment_size: 32
    .language:       OpenCL C
    .language_version:
      - 2
      - 0
    .max_flat_workgroup_size: 256
    .name:           _ZN6thrust23THRUST_200600_302600_NS11hip_rocprim14__parallel_for6kernelILj256ENS1_13__swap_ranges6swap_fINS0_6detail15normal_iteratorINS0_10device_ptrIjEEEENS0_16reverse_iteratorISA_EEEElLj1EEEvT0_T1_SF_
    .private_segment_fixed_size: 0
    .sgpr_count:     20
    .sgpr_spill_count: 0
    .symbol:         _ZN6thrust23THRUST_200600_302600_NS11hip_rocprim14__parallel_for6kernelILj256ENS1_13__swap_ranges6swap_fINS0_6detail15normal_iteratorINS0_10device_ptrIjEEEENS0_16reverse_iteratorISA_EEEElLj1EEEvT0_T1_SF_.kd
    .uniform_work_group_size: 1
    .uses_dynamic_stack: false
    .vgpr_count:     7
    .vgpr_spill_count: 0
    .wavefront_size: 64
  - .agpr_count:     0
    .args:
      - .offset:         0
        .size:           128
        .value_kind:     by_value
    .group_segment_fixed_size: 0
    .kernarg_segment_align: 8
    .kernarg_segment_size: 128
    .language:       OpenCL C
    .language_version:
      - 2
      - 0
    .max_flat_workgroup_size: 256
    .name:           _ZN7rocprim17ROCPRIM_400000_NS6detail17trampoline_kernelINS0_14default_configENS1_25partition_config_selectorILNS1_17partition_subalgoE2EtNS0_10empty_typeEbEEZZNS1_14partition_implILS5_2ELb0ES3_jN6thrust23THRUST_200600_302600_NS6detail15normal_iteratorINSA_7pointerItNSA_11hip_rocprim3tagENSA_11use_defaultESG_EEEEPS6_NSA_18transform_iteratorI7is_evenItENSC_INSA_10device_ptrItEEEESG_SG_EENS0_5tupleIJPtSJ_EEENSR_IJSJ_SJ_EEES6_PlJS6_EEE10hipError_tPvRmT3_T4_T5_T6_T7_T9_mT8_P12ihipStream_tbDpT10_ENKUlT_T0_E_clISt17integral_constantIbLb0EES1F_EEDaS1A_S1B_EUlS1A_E_NS1_11comp_targetILNS1_3genE0ELNS1_11target_archE4294967295ELNS1_3gpuE0ELNS1_3repE0EEENS1_30default_config_static_selectorELNS0_4arch9wavefront6targetE1EEEvT1_
    .private_segment_fixed_size: 0
    .sgpr_count:     4
    .sgpr_spill_count: 0
    .symbol:         _ZN7rocprim17ROCPRIM_400000_NS6detail17trampoline_kernelINS0_14default_configENS1_25partition_config_selectorILNS1_17partition_subalgoE2EtNS0_10empty_typeEbEEZZNS1_14partition_implILS5_2ELb0ES3_jN6thrust23THRUST_200600_302600_NS6detail15normal_iteratorINSA_7pointerItNSA_11hip_rocprim3tagENSA_11use_defaultESG_EEEEPS6_NSA_18transform_iteratorI7is_evenItENSC_INSA_10device_ptrItEEEESG_SG_EENS0_5tupleIJPtSJ_EEENSR_IJSJ_SJ_EEES6_PlJS6_EEE10hipError_tPvRmT3_T4_T5_T6_T7_T9_mT8_P12ihipStream_tbDpT10_ENKUlT_T0_E_clISt17integral_constantIbLb0EES1F_EEDaS1A_S1B_EUlS1A_E_NS1_11comp_targetILNS1_3genE0ELNS1_11target_archE4294967295ELNS1_3gpuE0ELNS1_3repE0EEENS1_30default_config_static_selectorELNS0_4arch9wavefront6targetE1EEEvT1_.kd
    .uniform_work_group_size: 1
    .uses_dynamic_stack: false
    .vgpr_count:     0
    .vgpr_spill_count: 0
    .wavefront_size: 64
  - .agpr_count:     0
    .args:
      - .offset:         0
        .size:           128
        .value_kind:     by_value
    .group_segment_fixed_size: 0
    .kernarg_segment_align: 8
    .kernarg_segment_size: 128
    .language:       OpenCL C
    .language_version:
      - 2
      - 0
    .max_flat_workgroup_size: 512
    .name:           _ZN7rocprim17ROCPRIM_400000_NS6detail17trampoline_kernelINS0_14default_configENS1_25partition_config_selectorILNS1_17partition_subalgoE2EtNS0_10empty_typeEbEEZZNS1_14partition_implILS5_2ELb0ES3_jN6thrust23THRUST_200600_302600_NS6detail15normal_iteratorINSA_7pointerItNSA_11hip_rocprim3tagENSA_11use_defaultESG_EEEEPS6_NSA_18transform_iteratorI7is_evenItENSC_INSA_10device_ptrItEEEESG_SG_EENS0_5tupleIJPtSJ_EEENSR_IJSJ_SJ_EEES6_PlJS6_EEE10hipError_tPvRmT3_T4_T5_T6_T7_T9_mT8_P12ihipStream_tbDpT10_ENKUlT_T0_E_clISt17integral_constantIbLb0EES1F_EEDaS1A_S1B_EUlS1A_E_NS1_11comp_targetILNS1_3genE5ELNS1_11target_archE942ELNS1_3gpuE9ELNS1_3repE0EEENS1_30default_config_static_selectorELNS0_4arch9wavefront6targetE1EEEvT1_
    .private_segment_fixed_size: 0
    .sgpr_count:     4
    .sgpr_spill_count: 0
    .symbol:         _ZN7rocprim17ROCPRIM_400000_NS6detail17trampoline_kernelINS0_14default_configENS1_25partition_config_selectorILNS1_17partition_subalgoE2EtNS0_10empty_typeEbEEZZNS1_14partition_implILS5_2ELb0ES3_jN6thrust23THRUST_200600_302600_NS6detail15normal_iteratorINSA_7pointerItNSA_11hip_rocprim3tagENSA_11use_defaultESG_EEEEPS6_NSA_18transform_iteratorI7is_evenItENSC_INSA_10device_ptrItEEEESG_SG_EENS0_5tupleIJPtSJ_EEENSR_IJSJ_SJ_EEES6_PlJS6_EEE10hipError_tPvRmT3_T4_T5_T6_T7_T9_mT8_P12ihipStream_tbDpT10_ENKUlT_T0_E_clISt17integral_constantIbLb0EES1F_EEDaS1A_S1B_EUlS1A_E_NS1_11comp_targetILNS1_3genE5ELNS1_11target_archE942ELNS1_3gpuE9ELNS1_3repE0EEENS1_30default_config_static_selectorELNS0_4arch9wavefront6targetE1EEEvT1_.kd
    .uniform_work_group_size: 1
    .uses_dynamic_stack: false
    .vgpr_count:     0
    .vgpr_spill_count: 0
    .wavefront_size: 64
  - .agpr_count:     0
    .args:
      - .offset:         0
        .size:           128
        .value_kind:     by_value
    .group_segment_fixed_size: 10248
    .kernarg_segment_align: 8
    .kernarg_segment_size: 128
    .language:       OpenCL C
    .language_version:
      - 2
      - 0
    .max_flat_workgroup_size: 256
    .name:           _ZN7rocprim17ROCPRIM_400000_NS6detail17trampoline_kernelINS0_14default_configENS1_25partition_config_selectorILNS1_17partition_subalgoE2EtNS0_10empty_typeEbEEZZNS1_14partition_implILS5_2ELb0ES3_jN6thrust23THRUST_200600_302600_NS6detail15normal_iteratorINSA_7pointerItNSA_11hip_rocprim3tagENSA_11use_defaultESG_EEEEPS6_NSA_18transform_iteratorI7is_evenItENSC_INSA_10device_ptrItEEEESG_SG_EENS0_5tupleIJPtSJ_EEENSR_IJSJ_SJ_EEES6_PlJS6_EEE10hipError_tPvRmT3_T4_T5_T6_T7_T9_mT8_P12ihipStream_tbDpT10_ENKUlT_T0_E_clISt17integral_constantIbLb0EES1F_EEDaS1A_S1B_EUlS1A_E_NS1_11comp_targetILNS1_3genE4ELNS1_11target_archE910ELNS1_3gpuE8ELNS1_3repE0EEENS1_30default_config_static_selectorELNS0_4arch9wavefront6targetE1EEEvT1_
    .private_segment_fixed_size: 0
    .sgpr_count:     50
    .sgpr_spill_count: 0
    .symbol:         _ZN7rocprim17ROCPRIM_400000_NS6detail17trampoline_kernelINS0_14default_configENS1_25partition_config_selectorILNS1_17partition_subalgoE2EtNS0_10empty_typeEbEEZZNS1_14partition_implILS5_2ELb0ES3_jN6thrust23THRUST_200600_302600_NS6detail15normal_iteratorINSA_7pointerItNSA_11hip_rocprim3tagENSA_11use_defaultESG_EEEEPS6_NSA_18transform_iteratorI7is_evenItENSC_INSA_10device_ptrItEEEESG_SG_EENS0_5tupleIJPtSJ_EEENSR_IJSJ_SJ_EEES6_PlJS6_EEE10hipError_tPvRmT3_T4_T5_T6_T7_T9_mT8_P12ihipStream_tbDpT10_ENKUlT_T0_E_clISt17integral_constantIbLb0EES1F_EEDaS1A_S1B_EUlS1A_E_NS1_11comp_targetILNS1_3genE4ELNS1_11target_archE910ELNS1_3gpuE8ELNS1_3repE0EEENS1_30default_config_static_selectorELNS0_4arch9wavefront6targetE1EEEvT1_.kd
    .uniform_work_group_size: 1
    .uses_dynamic_stack: false
    .vgpr_count:     65
    .vgpr_spill_count: 0
    .wavefront_size: 64
  - .agpr_count:     0
    .args:
      - .offset:         0
        .size:           128
        .value_kind:     by_value
    .group_segment_fixed_size: 0
    .kernarg_segment_align: 8
    .kernarg_segment_size: 128
    .language:       OpenCL C
    .language_version:
      - 2
      - 0
    .max_flat_workgroup_size: 256
    .name:           _ZN7rocprim17ROCPRIM_400000_NS6detail17trampoline_kernelINS0_14default_configENS1_25partition_config_selectorILNS1_17partition_subalgoE2EtNS0_10empty_typeEbEEZZNS1_14partition_implILS5_2ELb0ES3_jN6thrust23THRUST_200600_302600_NS6detail15normal_iteratorINSA_7pointerItNSA_11hip_rocprim3tagENSA_11use_defaultESG_EEEEPS6_NSA_18transform_iteratorI7is_evenItENSC_INSA_10device_ptrItEEEESG_SG_EENS0_5tupleIJPtSJ_EEENSR_IJSJ_SJ_EEES6_PlJS6_EEE10hipError_tPvRmT3_T4_T5_T6_T7_T9_mT8_P12ihipStream_tbDpT10_ENKUlT_T0_E_clISt17integral_constantIbLb0EES1F_EEDaS1A_S1B_EUlS1A_E_NS1_11comp_targetILNS1_3genE3ELNS1_11target_archE908ELNS1_3gpuE7ELNS1_3repE0EEENS1_30default_config_static_selectorELNS0_4arch9wavefront6targetE1EEEvT1_
    .private_segment_fixed_size: 0
    .sgpr_count:     4
    .sgpr_spill_count: 0
    .symbol:         _ZN7rocprim17ROCPRIM_400000_NS6detail17trampoline_kernelINS0_14default_configENS1_25partition_config_selectorILNS1_17partition_subalgoE2EtNS0_10empty_typeEbEEZZNS1_14partition_implILS5_2ELb0ES3_jN6thrust23THRUST_200600_302600_NS6detail15normal_iteratorINSA_7pointerItNSA_11hip_rocprim3tagENSA_11use_defaultESG_EEEEPS6_NSA_18transform_iteratorI7is_evenItENSC_INSA_10device_ptrItEEEESG_SG_EENS0_5tupleIJPtSJ_EEENSR_IJSJ_SJ_EEES6_PlJS6_EEE10hipError_tPvRmT3_T4_T5_T6_T7_T9_mT8_P12ihipStream_tbDpT10_ENKUlT_T0_E_clISt17integral_constantIbLb0EES1F_EEDaS1A_S1B_EUlS1A_E_NS1_11comp_targetILNS1_3genE3ELNS1_11target_archE908ELNS1_3gpuE7ELNS1_3repE0EEENS1_30default_config_static_selectorELNS0_4arch9wavefront6targetE1EEEvT1_.kd
    .uniform_work_group_size: 1
    .uses_dynamic_stack: false
    .vgpr_count:     0
    .vgpr_spill_count: 0
    .wavefront_size: 64
  - .agpr_count:     0
    .args:
      - .offset:         0
        .size:           128
        .value_kind:     by_value
    .group_segment_fixed_size: 0
    .kernarg_segment_align: 8
    .kernarg_segment_size: 128
    .language:       OpenCL C
    .language_version:
      - 2
      - 0
    .max_flat_workgroup_size: 256
    .name:           _ZN7rocprim17ROCPRIM_400000_NS6detail17trampoline_kernelINS0_14default_configENS1_25partition_config_selectorILNS1_17partition_subalgoE2EtNS0_10empty_typeEbEEZZNS1_14partition_implILS5_2ELb0ES3_jN6thrust23THRUST_200600_302600_NS6detail15normal_iteratorINSA_7pointerItNSA_11hip_rocprim3tagENSA_11use_defaultESG_EEEEPS6_NSA_18transform_iteratorI7is_evenItENSC_INSA_10device_ptrItEEEESG_SG_EENS0_5tupleIJPtSJ_EEENSR_IJSJ_SJ_EEES6_PlJS6_EEE10hipError_tPvRmT3_T4_T5_T6_T7_T9_mT8_P12ihipStream_tbDpT10_ENKUlT_T0_E_clISt17integral_constantIbLb0EES1F_EEDaS1A_S1B_EUlS1A_E_NS1_11comp_targetILNS1_3genE2ELNS1_11target_archE906ELNS1_3gpuE6ELNS1_3repE0EEENS1_30default_config_static_selectorELNS0_4arch9wavefront6targetE1EEEvT1_
    .private_segment_fixed_size: 0
    .sgpr_count:     4
    .sgpr_spill_count: 0
    .symbol:         _ZN7rocprim17ROCPRIM_400000_NS6detail17trampoline_kernelINS0_14default_configENS1_25partition_config_selectorILNS1_17partition_subalgoE2EtNS0_10empty_typeEbEEZZNS1_14partition_implILS5_2ELb0ES3_jN6thrust23THRUST_200600_302600_NS6detail15normal_iteratorINSA_7pointerItNSA_11hip_rocprim3tagENSA_11use_defaultESG_EEEEPS6_NSA_18transform_iteratorI7is_evenItENSC_INSA_10device_ptrItEEEESG_SG_EENS0_5tupleIJPtSJ_EEENSR_IJSJ_SJ_EEES6_PlJS6_EEE10hipError_tPvRmT3_T4_T5_T6_T7_T9_mT8_P12ihipStream_tbDpT10_ENKUlT_T0_E_clISt17integral_constantIbLb0EES1F_EEDaS1A_S1B_EUlS1A_E_NS1_11comp_targetILNS1_3genE2ELNS1_11target_archE906ELNS1_3gpuE6ELNS1_3repE0EEENS1_30default_config_static_selectorELNS0_4arch9wavefront6targetE1EEEvT1_.kd
    .uniform_work_group_size: 1
    .uses_dynamic_stack: false
    .vgpr_count:     0
    .vgpr_spill_count: 0
    .wavefront_size: 64
  - .agpr_count:     0
    .args:
      - .offset:         0
        .size:           128
        .value_kind:     by_value
    .group_segment_fixed_size: 0
    .kernarg_segment_align: 8
    .kernarg_segment_size: 128
    .language:       OpenCL C
    .language_version:
      - 2
      - 0
    .max_flat_workgroup_size: 256
    .name:           _ZN7rocprim17ROCPRIM_400000_NS6detail17trampoline_kernelINS0_14default_configENS1_25partition_config_selectorILNS1_17partition_subalgoE2EtNS0_10empty_typeEbEEZZNS1_14partition_implILS5_2ELb0ES3_jN6thrust23THRUST_200600_302600_NS6detail15normal_iteratorINSA_7pointerItNSA_11hip_rocprim3tagENSA_11use_defaultESG_EEEEPS6_NSA_18transform_iteratorI7is_evenItENSC_INSA_10device_ptrItEEEESG_SG_EENS0_5tupleIJPtSJ_EEENSR_IJSJ_SJ_EEES6_PlJS6_EEE10hipError_tPvRmT3_T4_T5_T6_T7_T9_mT8_P12ihipStream_tbDpT10_ENKUlT_T0_E_clISt17integral_constantIbLb0EES1F_EEDaS1A_S1B_EUlS1A_E_NS1_11comp_targetILNS1_3genE10ELNS1_11target_archE1200ELNS1_3gpuE4ELNS1_3repE0EEENS1_30default_config_static_selectorELNS0_4arch9wavefront6targetE1EEEvT1_
    .private_segment_fixed_size: 0
    .sgpr_count:     4
    .sgpr_spill_count: 0
    .symbol:         _ZN7rocprim17ROCPRIM_400000_NS6detail17trampoline_kernelINS0_14default_configENS1_25partition_config_selectorILNS1_17partition_subalgoE2EtNS0_10empty_typeEbEEZZNS1_14partition_implILS5_2ELb0ES3_jN6thrust23THRUST_200600_302600_NS6detail15normal_iteratorINSA_7pointerItNSA_11hip_rocprim3tagENSA_11use_defaultESG_EEEEPS6_NSA_18transform_iteratorI7is_evenItENSC_INSA_10device_ptrItEEEESG_SG_EENS0_5tupleIJPtSJ_EEENSR_IJSJ_SJ_EEES6_PlJS6_EEE10hipError_tPvRmT3_T4_T5_T6_T7_T9_mT8_P12ihipStream_tbDpT10_ENKUlT_T0_E_clISt17integral_constantIbLb0EES1F_EEDaS1A_S1B_EUlS1A_E_NS1_11comp_targetILNS1_3genE10ELNS1_11target_archE1200ELNS1_3gpuE4ELNS1_3repE0EEENS1_30default_config_static_selectorELNS0_4arch9wavefront6targetE1EEEvT1_.kd
    .uniform_work_group_size: 1
    .uses_dynamic_stack: false
    .vgpr_count:     0
    .vgpr_spill_count: 0
    .wavefront_size: 64
  - .agpr_count:     0
    .args:
      - .offset:         0
        .size:           128
        .value_kind:     by_value
    .group_segment_fixed_size: 0
    .kernarg_segment_align: 8
    .kernarg_segment_size: 128
    .language:       OpenCL C
    .language_version:
      - 2
      - 0
    .max_flat_workgroup_size: 128
    .name:           _ZN7rocprim17ROCPRIM_400000_NS6detail17trampoline_kernelINS0_14default_configENS1_25partition_config_selectorILNS1_17partition_subalgoE2EtNS0_10empty_typeEbEEZZNS1_14partition_implILS5_2ELb0ES3_jN6thrust23THRUST_200600_302600_NS6detail15normal_iteratorINSA_7pointerItNSA_11hip_rocprim3tagENSA_11use_defaultESG_EEEEPS6_NSA_18transform_iteratorI7is_evenItENSC_INSA_10device_ptrItEEEESG_SG_EENS0_5tupleIJPtSJ_EEENSR_IJSJ_SJ_EEES6_PlJS6_EEE10hipError_tPvRmT3_T4_T5_T6_T7_T9_mT8_P12ihipStream_tbDpT10_ENKUlT_T0_E_clISt17integral_constantIbLb0EES1F_EEDaS1A_S1B_EUlS1A_E_NS1_11comp_targetILNS1_3genE9ELNS1_11target_archE1100ELNS1_3gpuE3ELNS1_3repE0EEENS1_30default_config_static_selectorELNS0_4arch9wavefront6targetE1EEEvT1_
    .private_segment_fixed_size: 0
    .sgpr_count:     4
    .sgpr_spill_count: 0
    .symbol:         _ZN7rocprim17ROCPRIM_400000_NS6detail17trampoline_kernelINS0_14default_configENS1_25partition_config_selectorILNS1_17partition_subalgoE2EtNS0_10empty_typeEbEEZZNS1_14partition_implILS5_2ELb0ES3_jN6thrust23THRUST_200600_302600_NS6detail15normal_iteratorINSA_7pointerItNSA_11hip_rocprim3tagENSA_11use_defaultESG_EEEEPS6_NSA_18transform_iteratorI7is_evenItENSC_INSA_10device_ptrItEEEESG_SG_EENS0_5tupleIJPtSJ_EEENSR_IJSJ_SJ_EEES6_PlJS6_EEE10hipError_tPvRmT3_T4_T5_T6_T7_T9_mT8_P12ihipStream_tbDpT10_ENKUlT_T0_E_clISt17integral_constantIbLb0EES1F_EEDaS1A_S1B_EUlS1A_E_NS1_11comp_targetILNS1_3genE9ELNS1_11target_archE1100ELNS1_3gpuE3ELNS1_3repE0EEENS1_30default_config_static_selectorELNS0_4arch9wavefront6targetE1EEEvT1_.kd
    .uniform_work_group_size: 1
    .uses_dynamic_stack: false
    .vgpr_count:     0
    .vgpr_spill_count: 0
    .wavefront_size: 64
  - .agpr_count:     0
    .args:
      - .offset:         0
        .size:           128
        .value_kind:     by_value
    .group_segment_fixed_size: 0
    .kernarg_segment_align: 8
    .kernarg_segment_size: 128
    .language:       OpenCL C
    .language_version:
      - 2
      - 0
    .max_flat_workgroup_size: 512
    .name:           _ZN7rocprim17ROCPRIM_400000_NS6detail17trampoline_kernelINS0_14default_configENS1_25partition_config_selectorILNS1_17partition_subalgoE2EtNS0_10empty_typeEbEEZZNS1_14partition_implILS5_2ELb0ES3_jN6thrust23THRUST_200600_302600_NS6detail15normal_iteratorINSA_7pointerItNSA_11hip_rocprim3tagENSA_11use_defaultESG_EEEEPS6_NSA_18transform_iteratorI7is_evenItENSC_INSA_10device_ptrItEEEESG_SG_EENS0_5tupleIJPtSJ_EEENSR_IJSJ_SJ_EEES6_PlJS6_EEE10hipError_tPvRmT3_T4_T5_T6_T7_T9_mT8_P12ihipStream_tbDpT10_ENKUlT_T0_E_clISt17integral_constantIbLb0EES1F_EEDaS1A_S1B_EUlS1A_E_NS1_11comp_targetILNS1_3genE8ELNS1_11target_archE1030ELNS1_3gpuE2ELNS1_3repE0EEENS1_30default_config_static_selectorELNS0_4arch9wavefront6targetE1EEEvT1_
    .private_segment_fixed_size: 0
    .sgpr_count:     4
    .sgpr_spill_count: 0
    .symbol:         _ZN7rocprim17ROCPRIM_400000_NS6detail17trampoline_kernelINS0_14default_configENS1_25partition_config_selectorILNS1_17partition_subalgoE2EtNS0_10empty_typeEbEEZZNS1_14partition_implILS5_2ELb0ES3_jN6thrust23THRUST_200600_302600_NS6detail15normal_iteratorINSA_7pointerItNSA_11hip_rocprim3tagENSA_11use_defaultESG_EEEEPS6_NSA_18transform_iteratorI7is_evenItENSC_INSA_10device_ptrItEEEESG_SG_EENS0_5tupleIJPtSJ_EEENSR_IJSJ_SJ_EEES6_PlJS6_EEE10hipError_tPvRmT3_T4_T5_T6_T7_T9_mT8_P12ihipStream_tbDpT10_ENKUlT_T0_E_clISt17integral_constantIbLb0EES1F_EEDaS1A_S1B_EUlS1A_E_NS1_11comp_targetILNS1_3genE8ELNS1_11target_archE1030ELNS1_3gpuE2ELNS1_3repE0EEENS1_30default_config_static_selectorELNS0_4arch9wavefront6targetE1EEEvT1_.kd
    .uniform_work_group_size: 1
    .uses_dynamic_stack: false
    .vgpr_count:     0
    .vgpr_spill_count: 0
    .wavefront_size: 64
  - .agpr_count:     0
    .args:
      - .offset:         0
        .size:           144
        .value_kind:     by_value
    .group_segment_fixed_size: 0
    .kernarg_segment_align: 8
    .kernarg_segment_size: 144
    .language:       OpenCL C
    .language_version:
      - 2
      - 0
    .max_flat_workgroup_size: 256
    .name:           _ZN7rocprim17ROCPRIM_400000_NS6detail17trampoline_kernelINS0_14default_configENS1_25partition_config_selectorILNS1_17partition_subalgoE2EtNS0_10empty_typeEbEEZZNS1_14partition_implILS5_2ELb0ES3_jN6thrust23THRUST_200600_302600_NS6detail15normal_iteratorINSA_7pointerItNSA_11hip_rocprim3tagENSA_11use_defaultESG_EEEEPS6_NSA_18transform_iteratorI7is_evenItENSC_INSA_10device_ptrItEEEESG_SG_EENS0_5tupleIJPtSJ_EEENSR_IJSJ_SJ_EEES6_PlJS6_EEE10hipError_tPvRmT3_T4_T5_T6_T7_T9_mT8_P12ihipStream_tbDpT10_ENKUlT_T0_E_clISt17integral_constantIbLb1EES1F_EEDaS1A_S1B_EUlS1A_E_NS1_11comp_targetILNS1_3genE0ELNS1_11target_archE4294967295ELNS1_3gpuE0ELNS1_3repE0EEENS1_30default_config_static_selectorELNS0_4arch9wavefront6targetE1EEEvT1_
    .private_segment_fixed_size: 0
    .sgpr_count:     4
    .sgpr_spill_count: 0
    .symbol:         _ZN7rocprim17ROCPRIM_400000_NS6detail17trampoline_kernelINS0_14default_configENS1_25partition_config_selectorILNS1_17partition_subalgoE2EtNS0_10empty_typeEbEEZZNS1_14partition_implILS5_2ELb0ES3_jN6thrust23THRUST_200600_302600_NS6detail15normal_iteratorINSA_7pointerItNSA_11hip_rocprim3tagENSA_11use_defaultESG_EEEEPS6_NSA_18transform_iteratorI7is_evenItENSC_INSA_10device_ptrItEEEESG_SG_EENS0_5tupleIJPtSJ_EEENSR_IJSJ_SJ_EEES6_PlJS6_EEE10hipError_tPvRmT3_T4_T5_T6_T7_T9_mT8_P12ihipStream_tbDpT10_ENKUlT_T0_E_clISt17integral_constantIbLb1EES1F_EEDaS1A_S1B_EUlS1A_E_NS1_11comp_targetILNS1_3genE0ELNS1_11target_archE4294967295ELNS1_3gpuE0ELNS1_3repE0EEENS1_30default_config_static_selectorELNS0_4arch9wavefront6targetE1EEEvT1_.kd
    .uniform_work_group_size: 1
    .uses_dynamic_stack: false
    .vgpr_count:     0
    .vgpr_spill_count: 0
    .wavefront_size: 64
  - .agpr_count:     0
    .args:
      - .offset:         0
        .size:           144
        .value_kind:     by_value
    .group_segment_fixed_size: 0
    .kernarg_segment_align: 8
    .kernarg_segment_size: 144
    .language:       OpenCL C
    .language_version:
      - 2
      - 0
    .max_flat_workgroup_size: 512
    .name:           _ZN7rocprim17ROCPRIM_400000_NS6detail17trampoline_kernelINS0_14default_configENS1_25partition_config_selectorILNS1_17partition_subalgoE2EtNS0_10empty_typeEbEEZZNS1_14partition_implILS5_2ELb0ES3_jN6thrust23THRUST_200600_302600_NS6detail15normal_iteratorINSA_7pointerItNSA_11hip_rocprim3tagENSA_11use_defaultESG_EEEEPS6_NSA_18transform_iteratorI7is_evenItENSC_INSA_10device_ptrItEEEESG_SG_EENS0_5tupleIJPtSJ_EEENSR_IJSJ_SJ_EEES6_PlJS6_EEE10hipError_tPvRmT3_T4_T5_T6_T7_T9_mT8_P12ihipStream_tbDpT10_ENKUlT_T0_E_clISt17integral_constantIbLb1EES1F_EEDaS1A_S1B_EUlS1A_E_NS1_11comp_targetILNS1_3genE5ELNS1_11target_archE942ELNS1_3gpuE9ELNS1_3repE0EEENS1_30default_config_static_selectorELNS0_4arch9wavefront6targetE1EEEvT1_
    .private_segment_fixed_size: 0
    .sgpr_count:     4
    .sgpr_spill_count: 0
    .symbol:         _ZN7rocprim17ROCPRIM_400000_NS6detail17trampoline_kernelINS0_14default_configENS1_25partition_config_selectorILNS1_17partition_subalgoE2EtNS0_10empty_typeEbEEZZNS1_14partition_implILS5_2ELb0ES3_jN6thrust23THRUST_200600_302600_NS6detail15normal_iteratorINSA_7pointerItNSA_11hip_rocprim3tagENSA_11use_defaultESG_EEEEPS6_NSA_18transform_iteratorI7is_evenItENSC_INSA_10device_ptrItEEEESG_SG_EENS0_5tupleIJPtSJ_EEENSR_IJSJ_SJ_EEES6_PlJS6_EEE10hipError_tPvRmT3_T4_T5_T6_T7_T9_mT8_P12ihipStream_tbDpT10_ENKUlT_T0_E_clISt17integral_constantIbLb1EES1F_EEDaS1A_S1B_EUlS1A_E_NS1_11comp_targetILNS1_3genE5ELNS1_11target_archE942ELNS1_3gpuE9ELNS1_3repE0EEENS1_30default_config_static_selectorELNS0_4arch9wavefront6targetE1EEEvT1_.kd
    .uniform_work_group_size: 1
    .uses_dynamic_stack: false
    .vgpr_count:     0
    .vgpr_spill_count: 0
    .wavefront_size: 64
  - .agpr_count:     0
    .args:
      - .offset:         0
        .size:           144
        .value_kind:     by_value
    .group_segment_fixed_size: 10248
    .kernarg_segment_align: 8
    .kernarg_segment_size: 144
    .language:       OpenCL C
    .language_version:
      - 2
      - 0
    .max_flat_workgroup_size: 256
    .name:           _ZN7rocprim17ROCPRIM_400000_NS6detail17trampoline_kernelINS0_14default_configENS1_25partition_config_selectorILNS1_17partition_subalgoE2EtNS0_10empty_typeEbEEZZNS1_14partition_implILS5_2ELb0ES3_jN6thrust23THRUST_200600_302600_NS6detail15normal_iteratorINSA_7pointerItNSA_11hip_rocprim3tagENSA_11use_defaultESG_EEEEPS6_NSA_18transform_iteratorI7is_evenItENSC_INSA_10device_ptrItEEEESG_SG_EENS0_5tupleIJPtSJ_EEENSR_IJSJ_SJ_EEES6_PlJS6_EEE10hipError_tPvRmT3_T4_T5_T6_T7_T9_mT8_P12ihipStream_tbDpT10_ENKUlT_T0_E_clISt17integral_constantIbLb1EES1F_EEDaS1A_S1B_EUlS1A_E_NS1_11comp_targetILNS1_3genE4ELNS1_11target_archE910ELNS1_3gpuE8ELNS1_3repE0EEENS1_30default_config_static_selectorELNS0_4arch9wavefront6targetE1EEEvT1_
    .private_segment_fixed_size: 0
    .sgpr_count:     50
    .sgpr_spill_count: 0
    .symbol:         _ZN7rocprim17ROCPRIM_400000_NS6detail17trampoline_kernelINS0_14default_configENS1_25partition_config_selectorILNS1_17partition_subalgoE2EtNS0_10empty_typeEbEEZZNS1_14partition_implILS5_2ELb0ES3_jN6thrust23THRUST_200600_302600_NS6detail15normal_iteratorINSA_7pointerItNSA_11hip_rocprim3tagENSA_11use_defaultESG_EEEEPS6_NSA_18transform_iteratorI7is_evenItENSC_INSA_10device_ptrItEEEESG_SG_EENS0_5tupleIJPtSJ_EEENSR_IJSJ_SJ_EEES6_PlJS6_EEE10hipError_tPvRmT3_T4_T5_T6_T7_T9_mT8_P12ihipStream_tbDpT10_ENKUlT_T0_E_clISt17integral_constantIbLb1EES1F_EEDaS1A_S1B_EUlS1A_E_NS1_11comp_targetILNS1_3genE4ELNS1_11target_archE910ELNS1_3gpuE8ELNS1_3repE0EEENS1_30default_config_static_selectorELNS0_4arch9wavefront6targetE1EEEvT1_.kd
    .uniform_work_group_size: 1
    .uses_dynamic_stack: false
    .vgpr_count:     67
    .vgpr_spill_count: 0
    .wavefront_size: 64
  - .agpr_count:     0
    .args:
      - .offset:         0
        .size:           144
        .value_kind:     by_value
    .group_segment_fixed_size: 0
    .kernarg_segment_align: 8
    .kernarg_segment_size: 144
    .language:       OpenCL C
    .language_version:
      - 2
      - 0
    .max_flat_workgroup_size: 256
    .name:           _ZN7rocprim17ROCPRIM_400000_NS6detail17trampoline_kernelINS0_14default_configENS1_25partition_config_selectorILNS1_17partition_subalgoE2EtNS0_10empty_typeEbEEZZNS1_14partition_implILS5_2ELb0ES3_jN6thrust23THRUST_200600_302600_NS6detail15normal_iteratorINSA_7pointerItNSA_11hip_rocprim3tagENSA_11use_defaultESG_EEEEPS6_NSA_18transform_iteratorI7is_evenItENSC_INSA_10device_ptrItEEEESG_SG_EENS0_5tupleIJPtSJ_EEENSR_IJSJ_SJ_EEES6_PlJS6_EEE10hipError_tPvRmT3_T4_T5_T6_T7_T9_mT8_P12ihipStream_tbDpT10_ENKUlT_T0_E_clISt17integral_constantIbLb1EES1F_EEDaS1A_S1B_EUlS1A_E_NS1_11comp_targetILNS1_3genE3ELNS1_11target_archE908ELNS1_3gpuE7ELNS1_3repE0EEENS1_30default_config_static_selectorELNS0_4arch9wavefront6targetE1EEEvT1_
    .private_segment_fixed_size: 0
    .sgpr_count:     4
    .sgpr_spill_count: 0
    .symbol:         _ZN7rocprim17ROCPRIM_400000_NS6detail17trampoline_kernelINS0_14default_configENS1_25partition_config_selectorILNS1_17partition_subalgoE2EtNS0_10empty_typeEbEEZZNS1_14partition_implILS5_2ELb0ES3_jN6thrust23THRUST_200600_302600_NS6detail15normal_iteratorINSA_7pointerItNSA_11hip_rocprim3tagENSA_11use_defaultESG_EEEEPS6_NSA_18transform_iteratorI7is_evenItENSC_INSA_10device_ptrItEEEESG_SG_EENS0_5tupleIJPtSJ_EEENSR_IJSJ_SJ_EEES6_PlJS6_EEE10hipError_tPvRmT3_T4_T5_T6_T7_T9_mT8_P12ihipStream_tbDpT10_ENKUlT_T0_E_clISt17integral_constantIbLb1EES1F_EEDaS1A_S1B_EUlS1A_E_NS1_11comp_targetILNS1_3genE3ELNS1_11target_archE908ELNS1_3gpuE7ELNS1_3repE0EEENS1_30default_config_static_selectorELNS0_4arch9wavefront6targetE1EEEvT1_.kd
    .uniform_work_group_size: 1
    .uses_dynamic_stack: false
    .vgpr_count:     0
    .vgpr_spill_count: 0
    .wavefront_size: 64
  - .agpr_count:     0
    .args:
      - .offset:         0
        .size:           144
        .value_kind:     by_value
    .group_segment_fixed_size: 0
    .kernarg_segment_align: 8
    .kernarg_segment_size: 144
    .language:       OpenCL C
    .language_version:
      - 2
      - 0
    .max_flat_workgroup_size: 256
    .name:           _ZN7rocprim17ROCPRIM_400000_NS6detail17trampoline_kernelINS0_14default_configENS1_25partition_config_selectorILNS1_17partition_subalgoE2EtNS0_10empty_typeEbEEZZNS1_14partition_implILS5_2ELb0ES3_jN6thrust23THRUST_200600_302600_NS6detail15normal_iteratorINSA_7pointerItNSA_11hip_rocprim3tagENSA_11use_defaultESG_EEEEPS6_NSA_18transform_iteratorI7is_evenItENSC_INSA_10device_ptrItEEEESG_SG_EENS0_5tupleIJPtSJ_EEENSR_IJSJ_SJ_EEES6_PlJS6_EEE10hipError_tPvRmT3_T4_T5_T6_T7_T9_mT8_P12ihipStream_tbDpT10_ENKUlT_T0_E_clISt17integral_constantIbLb1EES1F_EEDaS1A_S1B_EUlS1A_E_NS1_11comp_targetILNS1_3genE2ELNS1_11target_archE906ELNS1_3gpuE6ELNS1_3repE0EEENS1_30default_config_static_selectorELNS0_4arch9wavefront6targetE1EEEvT1_
    .private_segment_fixed_size: 0
    .sgpr_count:     4
    .sgpr_spill_count: 0
    .symbol:         _ZN7rocprim17ROCPRIM_400000_NS6detail17trampoline_kernelINS0_14default_configENS1_25partition_config_selectorILNS1_17partition_subalgoE2EtNS0_10empty_typeEbEEZZNS1_14partition_implILS5_2ELb0ES3_jN6thrust23THRUST_200600_302600_NS6detail15normal_iteratorINSA_7pointerItNSA_11hip_rocprim3tagENSA_11use_defaultESG_EEEEPS6_NSA_18transform_iteratorI7is_evenItENSC_INSA_10device_ptrItEEEESG_SG_EENS0_5tupleIJPtSJ_EEENSR_IJSJ_SJ_EEES6_PlJS6_EEE10hipError_tPvRmT3_T4_T5_T6_T7_T9_mT8_P12ihipStream_tbDpT10_ENKUlT_T0_E_clISt17integral_constantIbLb1EES1F_EEDaS1A_S1B_EUlS1A_E_NS1_11comp_targetILNS1_3genE2ELNS1_11target_archE906ELNS1_3gpuE6ELNS1_3repE0EEENS1_30default_config_static_selectorELNS0_4arch9wavefront6targetE1EEEvT1_.kd
    .uniform_work_group_size: 1
    .uses_dynamic_stack: false
    .vgpr_count:     0
    .vgpr_spill_count: 0
    .wavefront_size: 64
  - .agpr_count:     0
    .args:
      - .offset:         0
        .size:           144
        .value_kind:     by_value
    .group_segment_fixed_size: 0
    .kernarg_segment_align: 8
    .kernarg_segment_size: 144
    .language:       OpenCL C
    .language_version:
      - 2
      - 0
    .max_flat_workgroup_size: 256
    .name:           _ZN7rocprim17ROCPRIM_400000_NS6detail17trampoline_kernelINS0_14default_configENS1_25partition_config_selectorILNS1_17partition_subalgoE2EtNS0_10empty_typeEbEEZZNS1_14partition_implILS5_2ELb0ES3_jN6thrust23THRUST_200600_302600_NS6detail15normal_iteratorINSA_7pointerItNSA_11hip_rocprim3tagENSA_11use_defaultESG_EEEEPS6_NSA_18transform_iteratorI7is_evenItENSC_INSA_10device_ptrItEEEESG_SG_EENS0_5tupleIJPtSJ_EEENSR_IJSJ_SJ_EEES6_PlJS6_EEE10hipError_tPvRmT3_T4_T5_T6_T7_T9_mT8_P12ihipStream_tbDpT10_ENKUlT_T0_E_clISt17integral_constantIbLb1EES1F_EEDaS1A_S1B_EUlS1A_E_NS1_11comp_targetILNS1_3genE10ELNS1_11target_archE1200ELNS1_3gpuE4ELNS1_3repE0EEENS1_30default_config_static_selectorELNS0_4arch9wavefront6targetE1EEEvT1_
    .private_segment_fixed_size: 0
    .sgpr_count:     4
    .sgpr_spill_count: 0
    .symbol:         _ZN7rocprim17ROCPRIM_400000_NS6detail17trampoline_kernelINS0_14default_configENS1_25partition_config_selectorILNS1_17partition_subalgoE2EtNS0_10empty_typeEbEEZZNS1_14partition_implILS5_2ELb0ES3_jN6thrust23THRUST_200600_302600_NS6detail15normal_iteratorINSA_7pointerItNSA_11hip_rocprim3tagENSA_11use_defaultESG_EEEEPS6_NSA_18transform_iteratorI7is_evenItENSC_INSA_10device_ptrItEEEESG_SG_EENS0_5tupleIJPtSJ_EEENSR_IJSJ_SJ_EEES6_PlJS6_EEE10hipError_tPvRmT3_T4_T5_T6_T7_T9_mT8_P12ihipStream_tbDpT10_ENKUlT_T0_E_clISt17integral_constantIbLb1EES1F_EEDaS1A_S1B_EUlS1A_E_NS1_11comp_targetILNS1_3genE10ELNS1_11target_archE1200ELNS1_3gpuE4ELNS1_3repE0EEENS1_30default_config_static_selectorELNS0_4arch9wavefront6targetE1EEEvT1_.kd
    .uniform_work_group_size: 1
    .uses_dynamic_stack: false
    .vgpr_count:     0
    .vgpr_spill_count: 0
    .wavefront_size: 64
  - .agpr_count:     0
    .args:
      - .offset:         0
        .size:           144
        .value_kind:     by_value
    .group_segment_fixed_size: 0
    .kernarg_segment_align: 8
    .kernarg_segment_size: 144
    .language:       OpenCL C
    .language_version:
      - 2
      - 0
    .max_flat_workgroup_size: 128
    .name:           _ZN7rocprim17ROCPRIM_400000_NS6detail17trampoline_kernelINS0_14default_configENS1_25partition_config_selectorILNS1_17partition_subalgoE2EtNS0_10empty_typeEbEEZZNS1_14partition_implILS5_2ELb0ES3_jN6thrust23THRUST_200600_302600_NS6detail15normal_iteratorINSA_7pointerItNSA_11hip_rocprim3tagENSA_11use_defaultESG_EEEEPS6_NSA_18transform_iteratorI7is_evenItENSC_INSA_10device_ptrItEEEESG_SG_EENS0_5tupleIJPtSJ_EEENSR_IJSJ_SJ_EEES6_PlJS6_EEE10hipError_tPvRmT3_T4_T5_T6_T7_T9_mT8_P12ihipStream_tbDpT10_ENKUlT_T0_E_clISt17integral_constantIbLb1EES1F_EEDaS1A_S1B_EUlS1A_E_NS1_11comp_targetILNS1_3genE9ELNS1_11target_archE1100ELNS1_3gpuE3ELNS1_3repE0EEENS1_30default_config_static_selectorELNS0_4arch9wavefront6targetE1EEEvT1_
    .private_segment_fixed_size: 0
    .sgpr_count:     4
    .sgpr_spill_count: 0
    .symbol:         _ZN7rocprim17ROCPRIM_400000_NS6detail17trampoline_kernelINS0_14default_configENS1_25partition_config_selectorILNS1_17partition_subalgoE2EtNS0_10empty_typeEbEEZZNS1_14partition_implILS5_2ELb0ES3_jN6thrust23THRUST_200600_302600_NS6detail15normal_iteratorINSA_7pointerItNSA_11hip_rocprim3tagENSA_11use_defaultESG_EEEEPS6_NSA_18transform_iteratorI7is_evenItENSC_INSA_10device_ptrItEEEESG_SG_EENS0_5tupleIJPtSJ_EEENSR_IJSJ_SJ_EEES6_PlJS6_EEE10hipError_tPvRmT3_T4_T5_T6_T7_T9_mT8_P12ihipStream_tbDpT10_ENKUlT_T0_E_clISt17integral_constantIbLb1EES1F_EEDaS1A_S1B_EUlS1A_E_NS1_11comp_targetILNS1_3genE9ELNS1_11target_archE1100ELNS1_3gpuE3ELNS1_3repE0EEENS1_30default_config_static_selectorELNS0_4arch9wavefront6targetE1EEEvT1_.kd
    .uniform_work_group_size: 1
    .uses_dynamic_stack: false
    .vgpr_count:     0
    .vgpr_spill_count: 0
    .wavefront_size: 64
  - .agpr_count:     0
    .args:
      - .offset:         0
        .size:           144
        .value_kind:     by_value
    .group_segment_fixed_size: 0
    .kernarg_segment_align: 8
    .kernarg_segment_size: 144
    .language:       OpenCL C
    .language_version:
      - 2
      - 0
    .max_flat_workgroup_size: 512
    .name:           _ZN7rocprim17ROCPRIM_400000_NS6detail17trampoline_kernelINS0_14default_configENS1_25partition_config_selectorILNS1_17partition_subalgoE2EtNS0_10empty_typeEbEEZZNS1_14partition_implILS5_2ELb0ES3_jN6thrust23THRUST_200600_302600_NS6detail15normal_iteratorINSA_7pointerItNSA_11hip_rocprim3tagENSA_11use_defaultESG_EEEEPS6_NSA_18transform_iteratorI7is_evenItENSC_INSA_10device_ptrItEEEESG_SG_EENS0_5tupleIJPtSJ_EEENSR_IJSJ_SJ_EEES6_PlJS6_EEE10hipError_tPvRmT3_T4_T5_T6_T7_T9_mT8_P12ihipStream_tbDpT10_ENKUlT_T0_E_clISt17integral_constantIbLb1EES1F_EEDaS1A_S1B_EUlS1A_E_NS1_11comp_targetILNS1_3genE8ELNS1_11target_archE1030ELNS1_3gpuE2ELNS1_3repE0EEENS1_30default_config_static_selectorELNS0_4arch9wavefront6targetE1EEEvT1_
    .private_segment_fixed_size: 0
    .sgpr_count:     4
    .sgpr_spill_count: 0
    .symbol:         _ZN7rocprim17ROCPRIM_400000_NS6detail17trampoline_kernelINS0_14default_configENS1_25partition_config_selectorILNS1_17partition_subalgoE2EtNS0_10empty_typeEbEEZZNS1_14partition_implILS5_2ELb0ES3_jN6thrust23THRUST_200600_302600_NS6detail15normal_iteratorINSA_7pointerItNSA_11hip_rocprim3tagENSA_11use_defaultESG_EEEEPS6_NSA_18transform_iteratorI7is_evenItENSC_INSA_10device_ptrItEEEESG_SG_EENS0_5tupleIJPtSJ_EEENSR_IJSJ_SJ_EEES6_PlJS6_EEE10hipError_tPvRmT3_T4_T5_T6_T7_T9_mT8_P12ihipStream_tbDpT10_ENKUlT_T0_E_clISt17integral_constantIbLb1EES1F_EEDaS1A_S1B_EUlS1A_E_NS1_11comp_targetILNS1_3genE8ELNS1_11target_archE1030ELNS1_3gpuE2ELNS1_3repE0EEENS1_30default_config_static_selectorELNS0_4arch9wavefront6targetE1EEEvT1_.kd
    .uniform_work_group_size: 1
    .uses_dynamic_stack: false
    .vgpr_count:     0
    .vgpr_spill_count: 0
    .wavefront_size: 64
  - .agpr_count:     0
    .args:
      - .offset:         0
        .size:           128
        .value_kind:     by_value
    .group_segment_fixed_size: 0
    .kernarg_segment_align: 8
    .kernarg_segment_size: 128
    .language:       OpenCL C
    .language_version:
      - 2
      - 0
    .max_flat_workgroup_size: 256
    .name:           _ZN7rocprim17ROCPRIM_400000_NS6detail17trampoline_kernelINS0_14default_configENS1_25partition_config_selectorILNS1_17partition_subalgoE2EtNS0_10empty_typeEbEEZZNS1_14partition_implILS5_2ELb0ES3_jN6thrust23THRUST_200600_302600_NS6detail15normal_iteratorINSA_7pointerItNSA_11hip_rocprim3tagENSA_11use_defaultESG_EEEEPS6_NSA_18transform_iteratorI7is_evenItENSC_INSA_10device_ptrItEEEESG_SG_EENS0_5tupleIJPtSJ_EEENSR_IJSJ_SJ_EEES6_PlJS6_EEE10hipError_tPvRmT3_T4_T5_T6_T7_T9_mT8_P12ihipStream_tbDpT10_ENKUlT_T0_E_clISt17integral_constantIbLb1EES1E_IbLb0EEEEDaS1A_S1B_EUlS1A_E_NS1_11comp_targetILNS1_3genE0ELNS1_11target_archE4294967295ELNS1_3gpuE0ELNS1_3repE0EEENS1_30default_config_static_selectorELNS0_4arch9wavefront6targetE1EEEvT1_
    .private_segment_fixed_size: 0
    .sgpr_count:     4
    .sgpr_spill_count: 0
    .symbol:         _ZN7rocprim17ROCPRIM_400000_NS6detail17trampoline_kernelINS0_14default_configENS1_25partition_config_selectorILNS1_17partition_subalgoE2EtNS0_10empty_typeEbEEZZNS1_14partition_implILS5_2ELb0ES3_jN6thrust23THRUST_200600_302600_NS6detail15normal_iteratorINSA_7pointerItNSA_11hip_rocprim3tagENSA_11use_defaultESG_EEEEPS6_NSA_18transform_iteratorI7is_evenItENSC_INSA_10device_ptrItEEEESG_SG_EENS0_5tupleIJPtSJ_EEENSR_IJSJ_SJ_EEES6_PlJS6_EEE10hipError_tPvRmT3_T4_T5_T6_T7_T9_mT8_P12ihipStream_tbDpT10_ENKUlT_T0_E_clISt17integral_constantIbLb1EES1E_IbLb0EEEEDaS1A_S1B_EUlS1A_E_NS1_11comp_targetILNS1_3genE0ELNS1_11target_archE4294967295ELNS1_3gpuE0ELNS1_3repE0EEENS1_30default_config_static_selectorELNS0_4arch9wavefront6targetE1EEEvT1_.kd
    .uniform_work_group_size: 1
    .uses_dynamic_stack: false
    .vgpr_count:     0
    .vgpr_spill_count: 0
    .wavefront_size: 64
  - .agpr_count:     0
    .args:
      - .offset:         0
        .size:           128
        .value_kind:     by_value
    .group_segment_fixed_size: 0
    .kernarg_segment_align: 8
    .kernarg_segment_size: 128
    .language:       OpenCL C
    .language_version:
      - 2
      - 0
    .max_flat_workgroup_size: 512
    .name:           _ZN7rocprim17ROCPRIM_400000_NS6detail17trampoline_kernelINS0_14default_configENS1_25partition_config_selectorILNS1_17partition_subalgoE2EtNS0_10empty_typeEbEEZZNS1_14partition_implILS5_2ELb0ES3_jN6thrust23THRUST_200600_302600_NS6detail15normal_iteratorINSA_7pointerItNSA_11hip_rocprim3tagENSA_11use_defaultESG_EEEEPS6_NSA_18transform_iteratorI7is_evenItENSC_INSA_10device_ptrItEEEESG_SG_EENS0_5tupleIJPtSJ_EEENSR_IJSJ_SJ_EEES6_PlJS6_EEE10hipError_tPvRmT3_T4_T5_T6_T7_T9_mT8_P12ihipStream_tbDpT10_ENKUlT_T0_E_clISt17integral_constantIbLb1EES1E_IbLb0EEEEDaS1A_S1B_EUlS1A_E_NS1_11comp_targetILNS1_3genE5ELNS1_11target_archE942ELNS1_3gpuE9ELNS1_3repE0EEENS1_30default_config_static_selectorELNS0_4arch9wavefront6targetE1EEEvT1_
    .private_segment_fixed_size: 0
    .sgpr_count:     4
    .sgpr_spill_count: 0
    .symbol:         _ZN7rocprim17ROCPRIM_400000_NS6detail17trampoline_kernelINS0_14default_configENS1_25partition_config_selectorILNS1_17partition_subalgoE2EtNS0_10empty_typeEbEEZZNS1_14partition_implILS5_2ELb0ES3_jN6thrust23THRUST_200600_302600_NS6detail15normal_iteratorINSA_7pointerItNSA_11hip_rocprim3tagENSA_11use_defaultESG_EEEEPS6_NSA_18transform_iteratorI7is_evenItENSC_INSA_10device_ptrItEEEESG_SG_EENS0_5tupleIJPtSJ_EEENSR_IJSJ_SJ_EEES6_PlJS6_EEE10hipError_tPvRmT3_T4_T5_T6_T7_T9_mT8_P12ihipStream_tbDpT10_ENKUlT_T0_E_clISt17integral_constantIbLb1EES1E_IbLb0EEEEDaS1A_S1B_EUlS1A_E_NS1_11comp_targetILNS1_3genE5ELNS1_11target_archE942ELNS1_3gpuE9ELNS1_3repE0EEENS1_30default_config_static_selectorELNS0_4arch9wavefront6targetE1EEEvT1_.kd
    .uniform_work_group_size: 1
    .uses_dynamic_stack: false
    .vgpr_count:     0
    .vgpr_spill_count: 0
    .wavefront_size: 64
  - .agpr_count:     0
    .args:
      - .offset:         0
        .size:           128
        .value_kind:     by_value
    .group_segment_fixed_size: 10248
    .kernarg_segment_align: 8
    .kernarg_segment_size: 128
    .language:       OpenCL C
    .language_version:
      - 2
      - 0
    .max_flat_workgroup_size: 256
    .name:           _ZN7rocprim17ROCPRIM_400000_NS6detail17trampoline_kernelINS0_14default_configENS1_25partition_config_selectorILNS1_17partition_subalgoE2EtNS0_10empty_typeEbEEZZNS1_14partition_implILS5_2ELb0ES3_jN6thrust23THRUST_200600_302600_NS6detail15normal_iteratorINSA_7pointerItNSA_11hip_rocprim3tagENSA_11use_defaultESG_EEEEPS6_NSA_18transform_iteratorI7is_evenItENSC_INSA_10device_ptrItEEEESG_SG_EENS0_5tupleIJPtSJ_EEENSR_IJSJ_SJ_EEES6_PlJS6_EEE10hipError_tPvRmT3_T4_T5_T6_T7_T9_mT8_P12ihipStream_tbDpT10_ENKUlT_T0_E_clISt17integral_constantIbLb1EES1E_IbLb0EEEEDaS1A_S1B_EUlS1A_E_NS1_11comp_targetILNS1_3genE4ELNS1_11target_archE910ELNS1_3gpuE8ELNS1_3repE0EEENS1_30default_config_static_selectorELNS0_4arch9wavefront6targetE1EEEvT1_
    .private_segment_fixed_size: 0
    .sgpr_count:     50
    .sgpr_spill_count: 0
    .symbol:         _ZN7rocprim17ROCPRIM_400000_NS6detail17trampoline_kernelINS0_14default_configENS1_25partition_config_selectorILNS1_17partition_subalgoE2EtNS0_10empty_typeEbEEZZNS1_14partition_implILS5_2ELb0ES3_jN6thrust23THRUST_200600_302600_NS6detail15normal_iteratorINSA_7pointerItNSA_11hip_rocprim3tagENSA_11use_defaultESG_EEEEPS6_NSA_18transform_iteratorI7is_evenItENSC_INSA_10device_ptrItEEEESG_SG_EENS0_5tupleIJPtSJ_EEENSR_IJSJ_SJ_EEES6_PlJS6_EEE10hipError_tPvRmT3_T4_T5_T6_T7_T9_mT8_P12ihipStream_tbDpT10_ENKUlT_T0_E_clISt17integral_constantIbLb1EES1E_IbLb0EEEEDaS1A_S1B_EUlS1A_E_NS1_11comp_targetILNS1_3genE4ELNS1_11target_archE910ELNS1_3gpuE8ELNS1_3repE0EEENS1_30default_config_static_selectorELNS0_4arch9wavefront6targetE1EEEvT1_.kd
    .uniform_work_group_size: 1
    .uses_dynamic_stack: false
    .vgpr_count:     65
    .vgpr_spill_count: 0
    .wavefront_size: 64
  - .agpr_count:     0
    .args:
      - .offset:         0
        .size:           128
        .value_kind:     by_value
    .group_segment_fixed_size: 0
    .kernarg_segment_align: 8
    .kernarg_segment_size: 128
    .language:       OpenCL C
    .language_version:
      - 2
      - 0
    .max_flat_workgroup_size: 256
    .name:           _ZN7rocprim17ROCPRIM_400000_NS6detail17trampoline_kernelINS0_14default_configENS1_25partition_config_selectorILNS1_17partition_subalgoE2EtNS0_10empty_typeEbEEZZNS1_14partition_implILS5_2ELb0ES3_jN6thrust23THRUST_200600_302600_NS6detail15normal_iteratorINSA_7pointerItNSA_11hip_rocprim3tagENSA_11use_defaultESG_EEEEPS6_NSA_18transform_iteratorI7is_evenItENSC_INSA_10device_ptrItEEEESG_SG_EENS0_5tupleIJPtSJ_EEENSR_IJSJ_SJ_EEES6_PlJS6_EEE10hipError_tPvRmT3_T4_T5_T6_T7_T9_mT8_P12ihipStream_tbDpT10_ENKUlT_T0_E_clISt17integral_constantIbLb1EES1E_IbLb0EEEEDaS1A_S1B_EUlS1A_E_NS1_11comp_targetILNS1_3genE3ELNS1_11target_archE908ELNS1_3gpuE7ELNS1_3repE0EEENS1_30default_config_static_selectorELNS0_4arch9wavefront6targetE1EEEvT1_
    .private_segment_fixed_size: 0
    .sgpr_count:     4
    .sgpr_spill_count: 0
    .symbol:         _ZN7rocprim17ROCPRIM_400000_NS6detail17trampoline_kernelINS0_14default_configENS1_25partition_config_selectorILNS1_17partition_subalgoE2EtNS0_10empty_typeEbEEZZNS1_14partition_implILS5_2ELb0ES3_jN6thrust23THRUST_200600_302600_NS6detail15normal_iteratorINSA_7pointerItNSA_11hip_rocprim3tagENSA_11use_defaultESG_EEEEPS6_NSA_18transform_iteratorI7is_evenItENSC_INSA_10device_ptrItEEEESG_SG_EENS0_5tupleIJPtSJ_EEENSR_IJSJ_SJ_EEES6_PlJS6_EEE10hipError_tPvRmT3_T4_T5_T6_T7_T9_mT8_P12ihipStream_tbDpT10_ENKUlT_T0_E_clISt17integral_constantIbLb1EES1E_IbLb0EEEEDaS1A_S1B_EUlS1A_E_NS1_11comp_targetILNS1_3genE3ELNS1_11target_archE908ELNS1_3gpuE7ELNS1_3repE0EEENS1_30default_config_static_selectorELNS0_4arch9wavefront6targetE1EEEvT1_.kd
    .uniform_work_group_size: 1
    .uses_dynamic_stack: false
    .vgpr_count:     0
    .vgpr_spill_count: 0
    .wavefront_size: 64
  - .agpr_count:     0
    .args:
      - .offset:         0
        .size:           128
        .value_kind:     by_value
    .group_segment_fixed_size: 0
    .kernarg_segment_align: 8
    .kernarg_segment_size: 128
    .language:       OpenCL C
    .language_version:
      - 2
      - 0
    .max_flat_workgroup_size: 256
    .name:           _ZN7rocprim17ROCPRIM_400000_NS6detail17trampoline_kernelINS0_14default_configENS1_25partition_config_selectorILNS1_17partition_subalgoE2EtNS0_10empty_typeEbEEZZNS1_14partition_implILS5_2ELb0ES3_jN6thrust23THRUST_200600_302600_NS6detail15normal_iteratorINSA_7pointerItNSA_11hip_rocprim3tagENSA_11use_defaultESG_EEEEPS6_NSA_18transform_iteratorI7is_evenItENSC_INSA_10device_ptrItEEEESG_SG_EENS0_5tupleIJPtSJ_EEENSR_IJSJ_SJ_EEES6_PlJS6_EEE10hipError_tPvRmT3_T4_T5_T6_T7_T9_mT8_P12ihipStream_tbDpT10_ENKUlT_T0_E_clISt17integral_constantIbLb1EES1E_IbLb0EEEEDaS1A_S1B_EUlS1A_E_NS1_11comp_targetILNS1_3genE2ELNS1_11target_archE906ELNS1_3gpuE6ELNS1_3repE0EEENS1_30default_config_static_selectorELNS0_4arch9wavefront6targetE1EEEvT1_
    .private_segment_fixed_size: 0
    .sgpr_count:     4
    .sgpr_spill_count: 0
    .symbol:         _ZN7rocprim17ROCPRIM_400000_NS6detail17trampoline_kernelINS0_14default_configENS1_25partition_config_selectorILNS1_17partition_subalgoE2EtNS0_10empty_typeEbEEZZNS1_14partition_implILS5_2ELb0ES3_jN6thrust23THRUST_200600_302600_NS6detail15normal_iteratorINSA_7pointerItNSA_11hip_rocprim3tagENSA_11use_defaultESG_EEEEPS6_NSA_18transform_iteratorI7is_evenItENSC_INSA_10device_ptrItEEEESG_SG_EENS0_5tupleIJPtSJ_EEENSR_IJSJ_SJ_EEES6_PlJS6_EEE10hipError_tPvRmT3_T4_T5_T6_T7_T9_mT8_P12ihipStream_tbDpT10_ENKUlT_T0_E_clISt17integral_constantIbLb1EES1E_IbLb0EEEEDaS1A_S1B_EUlS1A_E_NS1_11comp_targetILNS1_3genE2ELNS1_11target_archE906ELNS1_3gpuE6ELNS1_3repE0EEENS1_30default_config_static_selectorELNS0_4arch9wavefront6targetE1EEEvT1_.kd
    .uniform_work_group_size: 1
    .uses_dynamic_stack: false
    .vgpr_count:     0
    .vgpr_spill_count: 0
    .wavefront_size: 64
  - .agpr_count:     0
    .args:
      - .offset:         0
        .size:           128
        .value_kind:     by_value
    .group_segment_fixed_size: 0
    .kernarg_segment_align: 8
    .kernarg_segment_size: 128
    .language:       OpenCL C
    .language_version:
      - 2
      - 0
    .max_flat_workgroup_size: 256
    .name:           _ZN7rocprim17ROCPRIM_400000_NS6detail17trampoline_kernelINS0_14default_configENS1_25partition_config_selectorILNS1_17partition_subalgoE2EtNS0_10empty_typeEbEEZZNS1_14partition_implILS5_2ELb0ES3_jN6thrust23THRUST_200600_302600_NS6detail15normal_iteratorINSA_7pointerItNSA_11hip_rocprim3tagENSA_11use_defaultESG_EEEEPS6_NSA_18transform_iteratorI7is_evenItENSC_INSA_10device_ptrItEEEESG_SG_EENS0_5tupleIJPtSJ_EEENSR_IJSJ_SJ_EEES6_PlJS6_EEE10hipError_tPvRmT3_T4_T5_T6_T7_T9_mT8_P12ihipStream_tbDpT10_ENKUlT_T0_E_clISt17integral_constantIbLb1EES1E_IbLb0EEEEDaS1A_S1B_EUlS1A_E_NS1_11comp_targetILNS1_3genE10ELNS1_11target_archE1200ELNS1_3gpuE4ELNS1_3repE0EEENS1_30default_config_static_selectorELNS0_4arch9wavefront6targetE1EEEvT1_
    .private_segment_fixed_size: 0
    .sgpr_count:     4
    .sgpr_spill_count: 0
    .symbol:         _ZN7rocprim17ROCPRIM_400000_NS6detail17trampoline_kernelINS0_14default_configENS1_25partition_config_selectorILNS1_17partition_subalgoE2EtNS0_10empty_typeEbEEZZNS1_14partition_implILS5_2ELb0ES3_jN6thrust23THRUST_200600_302600_NS6detail15normal_iteratorINSA_7pointerItNSA_11hip_rocprim3tagENSA_11use_defaultESG_EEEEPS6_NSA_18transform_iteratorI7is_evenItENSC_INSA_10device_ptrItEEEESG_SG_EENS0_5tupleIJPtSJ_EEENSR_IJSJ_SJ_EEES6_PlJS6_EEE10hipError_tPvRmT3_T4_T5_T6_T7_T9_mT8_P12ihipStream_tbDpT10_ENKUlT_T0_E_clISt17integral_constantIbLb1EES1E_IbLb0EEEEDaS1A_S1B_EUlS1A_E_NS1_11comp_targetILNS1_3genE10ELNS1_11target_archE1200ELNS1_3gpuE4ELNS1_3repE0EEENS1_30default_config_static_selectorELNS0_4arch9wavefront6targetE1EEEvT1_.kd
    .uniform_work_group_size: 1
    .uses_dynamic_stack: false
    .vgpr_count:     0
    .vgpr_spill_count: 0
    .wavefront_size: 64
  - .agpr_count:     0
    .args:
      - .offset:         0
        .size:           128
        .value_kind:     by_value
    .group_segment_fixed_size: 0
    .kernarg_segment_align: 8
    .kernarg_segment_size: 128
    .language:       OpenCL C
    .language_version:
      - 2
      - 0
    .max_flat_workgroup_size: 128
    .name:           _ZN7rocprim17ROCPRIM_400000_NS6detail17trampoline_kernelINS0_14default_configENS1_25partition_config_selectorILNS1_17partition_subalgoE2EtNS0_10empty_typeEbEEZZNS1_14partition_implILS5_2ELb0ES3_jN6thrust23THRUST_200600_302600_NS6detail15normal_iteratorINSA_7pointerItNSA_11hip_rocprim3tagENSA_11use_defaultESG_EEEEPS6_NSA_18transform_iteratorI7is_evenItENSC_INSA_10device_ptrItEEEESG_SG_EENS0_5tupleIJPtSJ_EEENSR_IJSJ_SJ_EEES6_PlJS6_EEE10hipError_tPvRmT3_T4_T5_T6_T7_T9_mT8_P12ihipStream_tbDpT10_ENKUlT_T0_E_clISt17integral_constantIbLb1EES1E_IbLb0EEEEDaS1A_S1B_EUlS1A_E_NS1_11comp_targetILNS1_3genE9ELNS1_11target_archE1100ELNS1_3gpuE3ELNS1_3repE0EEENS1_30default_config_static_selectorELNS0_4arch9wavefront6targetE1EEEvT1_
    .private_segment_fixed_size: 0
    .sgpr_count:     4
    .sgpr_spill_count: 0
    .symbol:         _ZN7rocprim17ROCPRIM_400000_NS6detail17trampoline_kernelINS0_14default_configENS1_25partition_config_selectorILNS1_17partition_subalgoE2EtNS0_10empty_typeEbEEZZNS1_14partition_implILS5_2ELb0ES3_jN6thrust23THRUST_200600_302600_NS6detail15normal_iteratorINSA_7pointerItNSA_11hip_rocprim3tagENSA_11use_defaultESG_EEEEPS6_NSA_18transform_iteratorI7is_evenItENSC_INSA_10device_ptrItEEEESG_SG_EENS0_5tupleIJPtSJ_EEENSR_IJSJ_SJ_EEES6_PlJS6_EEE10hipError_tPvRmT3_T4_T5_T6_T7_T9_mT8_P12ihipStream_tbDpT10_ENKUlT_T0_E_clISt17integral_constantIbLb1EES1E_IbLb0EEEEDaS1A_S1B_EUlS1A_E_NS1_11comp_targetILNS1_3genE9ELNS1_11target_archE1100ELNS1_3gpuE3ELNS1_3repE0EEENS1_30default_config_static_selectorELNS0_4arch9wavefront6targetE1EEEvT1_.kd
    .uniform_work_group_size: 1
    .uses_dynamic_stack: false
    .vgpr_count:     0
    .vgpr_spill_count: 0
    .wavefront_size: 64
  - .agpr_count:     0
    .args:
      - .offset:         0
        .size:           128
        .value_kind:     by_value
    .group_segment_fixed_size: 0
    .kernarg_segment_align: 8
    .kernarg_segment_size: 128
    .language:       OpenCL C
    .language_version:
      - 2
      - 0
    .max_flat_workgroup_size: 512
    .name:           _ZN7rocprim17ROCPRIM_400000_NS6detail17trampoline_kernelINS0_14default_configENS1_25partition_config_selectorILNS1_17partition_subalgoE2EtNS0_10empty_typeEbEEZZNS1_14partition_implILS5_2ELb0ES3_jN6thrust23THRUST_200600_302600_NS6detail15normal_iteratorINSA_7pointerItNSA_11hip_rocprim3tagENSA_11use_defaultESG_EEEEPS6_NSA_18transform_iteratorI7is_evenItENSC_INSA_10device_ptrItEEEESG_SG_EENS0_5tupleIJPtSJ_EEENSR_IJSJ_SJ_EEES6_PlJS6_EEE10hipError_tPvRmT3_T4_T5_T6_T7_T9_mT8_P12ihipStream_tbDpT10_ENKUlT_T0_E_clISt17integral_constantIbLb1EES1E_IbLb0EEEEDaS1A_S1B_EUlS1A_E_NS1_11comp_targetILNS1_3genE8ELNS1_11target_archE1030ELNS1_3gpuE2ELNS1_3repE0EEENS1_30default_config_static_selectorELNS0_4arch9wavefront6targetE1EEEvT1_
    .private_segment_fixed_size: 0
    .sgpr_count:     4
    .sgpr_spill_count: 0
    .symbol:         _ZN7rocprim17ROCPRIM_400000_NS6detail17trampoline_kernelINS0_14default_configENS1_25partition_config_selectorILNS1_17partition_subalgoE2EtNS0_10empty_typeEbEEZZNS1_14partition_implILS5_2ELb0ES3_jN6thrust23THRUST_200600_302600_NS6detail15normal_iteratorINSA_7pointerItNSA_11hip_rocprim3tagENSA_11use_defaultESG_EEEEPS6_NSA_18transform_iteratorI7is_evenItENSC_INSA_10device_ptrItEEEESG_SG_EENS0_5tupleIJPtSJ_EEENSR_IJSJ_SJ_EEES6_PlJS6_EEE10hipError_tPvRmT3_T4_T5_T6_T7_T9_mT8_P12ihipStream_tbDpT10_ENKUlT_T0_E_clISt17integral_constantIbLb1EES1E_IbLb0EEEEDaS1A_S1B_EUlS1A_E_NS1_11comp_targetILNS1_3genE8ELNS1_11target_archE1030ELNS1_3gpuE2ELNS1_3repE0EEENS1_30default_config_static_selectorELNS0_4arch9wavefront6targetE1EEEvT1_.kd
    .uniform_work_group_size: 1
    .uses_dynamic_stack: false
    .vgpr_count:     0
    .vgpr_spill_count: 0
    .wavefront_size: 64
  - .agpr_count:     0
    .args:
      - .offset:         0
        .size:           144
        .value_kind:     by_value
    .group_segment_fixed_size: 0
    .kernarg_segment_align: 8
    .kernarg_segment_size: 144
    .language:       OpenCL C
    .language_version:
      - 2
      - 0
    .max_flat_workgroup_size: 256
    .name:           _ZN7rocprim17ROCPRIM_400000_NS6detail17trampoline_kernelINS0_14default_configENS1_25partition_config_selectorILNS1_17partition_subalgoE2EtNS0_10empty_typeEbEEZZNS1_14partition_implILS5_2ELb0ES3_jN6thrust23THRUST_200600_302600_NS6detail15normal_iteratorINSA_7pointerItNSA_11hip_rocprim3tagENSA_11use_defaultESG_EEEEPS6_NSA_18transform_iteratorI7is_evenItENSC_INSA_10device_ptrItEEEESG_SG_EENS0_5tupleIJPtSJ_EEENSR_IJSJ_SJ_EEES6_PlJS6_EEE10hipError_tPvRmT3_T4_T5_T6_T7_T9_mT8_P12ihipStream_tbDpT10_ENKUlT_T0_E_clISt17integral_constantIbLb0EES1E_IbLb1EEEEDaS1A_S1B_EUlS1A_E_NS1_11comp_targetILNS1_3genE0ELNS1_11target_archE4294967295ELNS1_3gpuE0ELNS1_3repE0EEENS1_30default_config_static_selectorELNS0_4arch9wavefront6targetE1EEEvT1_
    .private_segment_fixed_size: 0
    .sgpr_count:     4
    .sgpr_spill_count: 0
    .symbol:         _ZN7rocprim17ROCPRIM_400000_NS6detail17trampoline_kernelINS0_14default_configENS1_25partition_config_selectorILNS1_17partition_subalgoE2EtNS0_10empty_typeEbEEZZNS1_14partition_implILS5_2ELb0ES3_jN6thrust23THRUST_200600_302600_NS6detail15normal_iteratorINSA_7pointerItNSA_11hip_rocprim3tagENSA_11use_defaultESG_EEEEPS6_NSA_18transform_iteratorI7is_evenItENSC_INSA_10device_ptrItEEEESG_SG_EENS0_5tupleIJPtSJ_EEENSR_IJSJ_SJ_EEES6_PlJS6_EEE10hipError_tPvRmT3_T4_T5_T6_T7_T9_mT8_P12ihipStream_tbDpT10_ENKUlT_T0_E_clISt17integral_constantIbLb0EES1E_IbLb1EEEEDaS1A_S1B_EUlS1A_E_NS1_11comp_targetILNS1_3genE0ELNS1_11target_archE4294967295ELNS1_3gpuE0ELNS1_3repE0EEENS1_30default_config_static_selectorELNS0_4arch9wavefront6targetE1EEEvT1_.kd
    .uniform_work_group_size: 1
    .uses_dynamic_stack: false
    .vgpr_count:     0
    .vgpr_spill_count: 0
    .wavefront_size: 64
  - .agpr_count:     0
    .args:
      - .offset:         0
        .size:           144
        .value_kind:     by_value
    .group_segment_fixed_size: 0
    .kernarg_segment_align: 8
    .kernarg_segment_size: 144
    .language:       OpenCL C
    .language_version:
      - 2
      - 0
    .max_flat_workgroup_size: 512
    .name:           _ZN7rocprim17ROCPRIM_400000_NS6detail17trampoline_kernelINS0_14default_configENS1_25partition_config_selectorILNS1_17partition_subalgoE2EtNS0_10empty_typeEbEEZZNS1_14partition_implILS5_2ELb0ES3_jN6thrust23THRUST_200600_302600_NS6detail15normal_iteratorINSA_7pointerItNSA_11hip_rocprim3tagENSA_11use_defaultESG_EEEEPS6_NSA_18transform_iteratorI7is_evenItENSC_INSA_10device_ptrItEEEESG_SG_EENS0_5tupleIJPtSJ_EEENSR_IJSJ_SJ_EEES6_PlJS6_EEE10hipError_tPvRmT3_T4_T5_T6_T7_T9_mT8_P12ihipStream_tbDpT10_ENKUlT_T0_E_clISt17integral_constantIbLb0EES1E_IbLb1EEEEDaS1A_S1B_EUlS1A_E_NS1_11comp_targetILNS1_3genE5ELNS1_11target_archE942ELNS1_3gpuE9ELNS1_3repE0EEENS1_30default_config_static_selectorELNS0_4arch9wavefront6targetE1EEEvT1_
    .private_segment_fixed_size: 0
    .sgpr_count:     4
    .sgpr_spill_count: 0
    .symbol:         _ZN7rocprim17ROCPRIM_400000_NS6detail17trampoline_kernelINS0_14default_configENS1_25partition_config_selectorILNS1_17partition_subalgoE2EtNS0_10empty_typeEbEEZZNS1_14partition_implILS5_2ELb0ES3_jN6thrust23THRUST_200600_302600_NS6detail15normal_iteratorINSA_7pointerItNSA_11hip_rocprim3tagENSA_11use_defaultESG_EEEEPS6_NSA_18transform_iteratorI7is_evenItENSC_INSA_10device_ptrItEEEESG_SG_EENS0_5tupleIJPtSJ_EEENSR_IJSJ_SJ_EEES6_PlJS6_EEE10hipError_tPvRmT3_T4_T5_T6_T7_T9_mT8_P12ihipStream_tbDpT10_ENKUlT_T0_E_clISt17integral_constantIbLb0EES1E_IbLb1EEEEDaS1A_S1B_EUlS1A_E_NS1_11comp_targetILNS1_3genE5ELNS1_11target_archE942ELNS1_3gpuE9ELNS1_3repE0EEENS1_30default_config_static_selectorELNS0_4arch9wavefront6targetE1EEEvT1_.kd
    .uniform_work_group_size: 1
    .uses_dynamic_stack: false
    .vgpr_count:     0
    .vgpr_spill_count: 0
    .wavefront_size: 64
  - .agpr_count:     0
    .args:
      - .offset:         0
        .size:           144
        .value_kind:     by_value
    .group_segment_fixed_size: 10248
    .kernarg_segment_align: 8
    .kernarg_segment_size: 144
    .language:       OpenCL C
    .language_version:
      - 2
      - 0
    .max_flat_workgroup_size: 256
    .name:           _ZN7rocprim17ROCPRIM_400000_NS6detail17trampoline_kernelINS0_14default_configENS1_25partition_config_selectorILNS1_17partition_subalgoE2EtNS0_10empty_typeEbEEZZNS1_14partition_implILS5_2ELb0ES3_jN6thrust23THRUST_200600_302600_NS6detail15normal_iteratorINSA_7pointerItNSA_11hip_rocprim3tagENSA_11use_defaultESG_EEEEPS6_NSA_18transform_iteratorI7is_evenItENSC_INSA_10device_ptrItEEEESG_SG_EENS0_5tupleIJPtSJ_EEENSR_IJSJ_SJ_EEES6_PlJS6_EEE10hipError_tPvRmT3_T4_T5_T6_T7_T9_mT8_P12ihipStream_tbDpT10_ENKUlT_T0_E_clISt17integral_constantIbLb0EES1E_IbLb1EEEEDaS1A_S1B_EUlS1A_E_NS1_11comp_targetILNS1_3genE4ELNS1_11target_archE910ELNS1_3gpuE8ELNS1_3repE0EEENS1_30default_config_static_selectorELNS0_4arch9wavefront6targetE1EEEvT1_
    .private_segment_fixed_size: 0
    .sgpr_count:     50
    .sgpr_spill_count: 0
    .symbol:         _ZN7rocprim17ROCPRIM_400000_NS6detail17trampoline_kernelINS0_14default_configENS1_25partition_config_selectorILNS1_17partition_subalgoE2EtNS0_10empty_typeEbEEZZNS1_14partition_implILS5_2ELb0ES3_jN6thrust23THRUST_200600_302600_NS6detail15normal_iteratorINSA_7pointerItNSA_11hip_rocprim3tagENSA_11use_defaultESG_EEEEPS6_NSA_18transform_iteratorI7is_evenItENSC_INSA_10device_ptrItEEEESG_SG_EENS0_5tupleIJPtSJ_EEENSR_IJSJ_SJ_EEES6_PlJS6_EEE10hipError_tPvRmT3_T4_T5_T6_T7_T9_mT8_P12ihipStream_tbDpT10_ENKUlT_T0_E_clISt17integral_constantIbLb0EES1E_IbLb1EEEEDaS1A_S1B_EUlS1A_E_NS1_11comp_targetILNS1_3genE4ELNS1_11target_archE910ELNS1_3gpuE8ELNS1_3repE0EEENS1_30default_config_static_selectorELNS0_4arch9wavefront6targetE1EEEvT1_.kd
    .uniform_work_group_size: 1
    .uses_dynamic_stack: false
    .vgpr_count:     67
    .vgpr_spill_count: 0
    .wavefront_size: 64
  - .agpr_count:     0
    .args:
      - .offset:         0
        .size:           144
        .value_kind:     by_value
    .group_segment_fixed_size: 0
    .kernarg_segment_align: 8
    .kernarg_segment_size: 144
    .language:       OpenCL C
    .language_version:
      - 2
      - 0
    .max_flat_workgroup_size: 256
    .name:           _ZN7rocprim17ROCPRIM_400000_NS6detail17trampoline_kernelINS0_14default_configENS1_25partition_config_selectorILNS1_17partition_subalgoE2EtNS0_10empty_typeEbEEZZNS1_14partition_implILS5_2ELb0ES3_jN6thrust23THRUST_200600_302600_NS6detail15normal_iteratorINSA_7pointerItNSA_11hip_rocprim3tagENSA_11use_defaultESG_EEEEPS6_NSA_18transform_iteratorI7is_evenItENSC_INSA_10device_ptrItEEEESG_SG_EENS0_5tupleIJPtSJ_EEENSR_IJSJ_SJ_EEES6_PlJS6_EEE10hipError_tPvRmT3_T4_T5_T6_T7_T9_mT8_P12ihipStream_tbDpT10_ENKUlT_T0_E_clISt17integral_constantIbLb0EES1E_IbLb1EEEEDaS1A_S1B_EUlS1A_E_NS1_11comp_targetILNS1_3genE3ELNS1_11target_archE908ELNS1_3gpuE7ELNS1_3repE0EEENS1_30default_config_static_selectorELNS0_4arch9wavefront6targetE1EEEvT1_
    .private_segment_fixed_size: 0
    .sgpr_count:     4
    .sgpr_spill_count: 0
    .symbol:         _ZN7rocprim17ROCPRIM_400000_NS6detail17trampoline_kernelINS0_14default_configENS1_25partition_config_selectorILNS1_17partition_subalgoE2EtNS0_10empty_typeEbEEZZNS1_14partition_implILS5_2ELb0ES3_jN6thrust23THRUST_200600_302600_NS6detail15normal_iteratorINSA_7pointerItNSA_11hip_rocprim3tagENSA_11use_defaultESG_EEEEPS6_NSA_18transform_iteratorI7is_evenItENSC_INSA_10device_ptrItEEEESG_SG_EENS0_5tupleIJPtSJ_EEENSR_IJSJ_SJ_EEES6_PlJS6_EEE10hipError_tPvRmT3_T4_T5_T6_T7_T9_mT8_P12ihipStream_tbDpT10_ENKUlT_T0_E_clISt17integral_constantIbLb0EES1E_IbLb1EEEEDaS1A_S1B_EUlS1A_E_NS1_11comp_targetILNS1_3genE3ELNS1_11target_archE908ELNS1_3gpuE7ELNS1_3repE0EEENS1_30default_config_static_selectorELNS0_4arch9wavefront6targetE1EEEvT1_.kd
    .uniform_work_group_size: 1
    .uses_dynamic_stack: false
    .vgpr_count:     0
    .vgpr_spill_count: 0
    .wavefront_size: 64
  - .agpr_count:     0
    .args:
      - .offset:         0
        .size:           144
        .value_kind:     by_value
    .group_segment_fixed_size: 0
    .kernarg_segment_align: 8
    .kernarg_segment_size: 144
    .language:       OpenCL C
    .language_version:
      - 2
      - 0
    .max_flat_workgroup_size: 256
    .name:           _ZN7rocprim17ROCPRIM_400000_NS6detail17trampoline_kernelINS0_14default_configENS1_25partition_config_selectorILNS1_17partition_subalgoE2EtNS0_10empty_typeEbEEZZNS1_14partition_implILS5_2ELb0ES3_jN6thrust23THRUST_200600_302600_NS6detail15normal_iteratorINSA_7pointerItNSA_11hip_rocprim3tagENSA_11use_defaultESG_EEEEPS6_NSA_18transform_iteratorI7is_evenItENSC_INSA_10device_ptrItEEEESG_SG_EENS0_5tupleIJPtSJ_EEENSR_IJSJ_SJ_EEES6_PlJS6_EEE10hipError_tPvRmT3_T4_T5_T6_T7_T9_mT8_P12ihipStream_tbDpT10_ENKUlT_T0_E_clISt17integral_constantIbLb0EES1E_IbLb1EEEEDaS1A_S1B_EUlS1A_E_NS1_11comp_targetILNS1_3genE2ELNS1_11target_archE906ELNS1_3gpuE6ELNS1_3repE0EEENS1_30default_config_static_selectorELNS0_4arch9wavefront6targetE1EEEvT1_
    .private_segment_fixed_size: 0
    .sgpr_count:     4
    .sgpr_spill_count: 0
    .symbol:         _ZN7rocprim17ROCPRIM_400000_NS6detail17trampoline_kernelINS0_14default_configENS1_25partition_config_selectorILNS1_17partition_subalgoE2EtNS0_10empty_typeEbEEZZNS1_14partition_implILS5_2ELb0ES3_jN6thrust23THRUST_200600_302600_NS6detail15normal_iteratorINSA_7pointerItNSA_11hip_rocprim3tagENSA_11use_defaultESG_EEEEPS6_NSA_18transform_iteratorI7is_evenItENSC_INSA_10device_ptrItEEEESG_SG_EENS0_5tupleIJPtSJ_EEENSR_IJSJ_SJ_EEES6_PlJS6_EEE10hipError_tPvRmT3_T4_T5_T6_T7_T9_mT8_P12ihipStream_tbDpT10_ENKUlT_T0_E_clISt17integral_constantIbLb0EES1E_IbLb1EEEEDaS1A_S1B_EUlS1A_E_NS1_11comp_targetILNS1_3genE2ELNS1_11target_archE906ELNS1_3gpuE6ELNS1_3repE0EEENS1_30default_config_static_selectorELNS0_4arch9wavefront6targetE1EEEvT1_.kd
    .uniform_work_group_size: 1
    .uses_dynamic_stack: false
    .vgpr_count:     0
    .vgpr_spill_count: 0
    .wavefront_size: 64
  - .agpr_count:     0
    .args:
      - .offset:         0
        .size:           144
        .value_kind:     by_value
    .group_segment_fixed_size: 0
    .kernarg_segment_align: 8
    .kernarg_segment_size: 144
    .language:       OpenCL C
    .language_version:
      - 2
      - 0
    .max_flat_workgroup_size: 256
    .name:           _ZN7rocprim17ROCPRIM_400000_NS6detail17trampoline_kernelINS0_14default_configENS1_25partition_config_selectorILNS1_17partition_subalgoE2EtNS0_10empty_typeEbEEZZNS1_14partition_implILS5_2ELb0ES3_jN6thrust23THRUST_200600_302600_NS6detail15normal_iteratorINSA_7pointerItNSA_11hip_rocprim3tagENSA_11use_defaultESG_EEEEPS6_NSA_18transform_iteratorI7is_evenItENSC_INSA_10device_ptrItEEEESG_SG_EENS0_5tupleIJPtSJ_EEENSR_IJSJ_SJ_EEES6_PlJS6_EEE10hipError_tPvRmT3_T4_T5_T6_T7_T9_mT8_P12ihipStream_tbDpT10_ENKUlT_T0_E_clISt17integral_constantIbLb0EES1E_IbLb1EEEEDaS1A_S1B_EUlS1A_E_NS1_11comp_targetILNS1_3genE10ELNS1_11target_archE1200ELNS1_3gpuE4ELNS1_3repE0EEENS1_30default_config_static_selectorELNS0_4arch9wavefront6targetE1EEEvT1_
    .private_segment_fixed_size: 0
    .sgpr_count:     4
    .sgpr_spill_count: 0
    .symbol:         _ZN7rocprim17ROCPRIM_400000_NS6detail17trampoline_kernelINS0_14default_configENS1_25partition_config_selectorILNS1_17partition_subalgoE2EtNS0_10empty_typeEbEEZZNS1_14partition_implILS5_2ELb0ES3_jN6thrust23THRUST_200600_302600_NS6detail15normal_iteratorINSA_7pointerItNSA_11hip_rocprim3tagENSA_11use_defaultESG_EEEEPS6_NSA_18transform_iteratorI7is_evenItENSC_INSA_10device_ptrItEEEESG_SG_EENS0_5tupleIJPtSJ_EEENSR_IJSJ_SJ_EEES6_PlJS6_EEE10hipError_tPvRmT3_T4_T5_T6_T7_T9_mT8_P12ihipStream_tbDpT10_ENKUlT_T0_E_clISt17integral_constantIbLb0EES1E_IbLb1EEEEDaS1A_S1B_EUlS1A_E_NS1_11comp_targetILNS1_3genE10ELNS1_11target_archE1200ELNS1_3gpuE4ELNS1_3repE0EEENS1_30default_config_static_selectorELNS0_4arch9wavefront6targetE1EEEvT1_.kd
    .uniform_work_group_size: 1
    .uses_dynamic_stack: false
    .vgpr_count:     0
    .vgpr_spill_count: 0
    .wavefront_size: 64
  - .agpr_count:     0
    .args:
      - .offset:         0
        .size:           144
        .value_kind:     by_value
    .group_segment_fixed_size: 0
    .kernarg_segment_align: 8
    .kernarg_segment_size: 144
    .language:       OpenCL C
    .language_version:
      - 2
      - 0
    .max_flat_workgroup_size: 128
    .name:           _ZN7rocprim17ROCPRIM_400000_NS6detail17trampoline_kernelINS0_14default_configENS1_25partition_config_selectorILNS1_17partition_subalgoE2EtNS0_10empty_typeEbEEZZNS1_14partition_implILS5_2ELb0ES3_jN6thrust23THRUST_200600_302600_NS6detail15normal_iteratorINSA_7pointerItNSA_11hip_rocprim3tagENSA_11use_defaultESG_EEEEPS6_NSA_18transform_iteratorI7is_evenItENSC_INSA_10device_ptrItEEEESG_SG_EENS0_5tupleIJPtSJ_EEENSR_IJSJ_SJ_EEES6_PlJS6_EEE10hipError_tPvRmT3_T4_T5_T6_T7_T9_mT8_P12ihipStream_tbDpT10_ENKUlT_T0_E_clISt17integral_constantIbLb0EES1E_IbLb1EEEEDaS1A_S1B_EUlS1A_E_NS1_11comp_targetILNS1_3genE9ELNS1_11target_archE1100ELNS1_3gpuE3ELNS1_3repE0EEENS1_30default_config_static_selectorELNS0_4arch9wavefront6targetE1EEEvT1_
    .private_segment_fixed_size: 0
    .sgpr_count:     4
    .sgpr_spill_count: 0
    .symbol:         _ZN7rocprim17ROCPRIM_400000_NS6detail17trampoline_kernelINS0_14default_configENS1_25partition_config_selectorILNS1_17partition_subalgoE2EtNS0_10empty_typeEbEEZZNS1_14partition_implILS5_2ELb0ES3_jN6thrust23THRUST_200600_302600_NS6detail15normal_iteratorINSA_7pointerItNSA_11hip_rocprim3tagENSA_11use_defaultESG_EEEEPS6_NSA_18transform_iteratorI7is_evenItENSC_INSA_10device_ptrItEEEESG_SG_EENS0_5tupleIJPtSJ_EEENSR_IJSJ_SJ_EEES6_PlJS6_EEE10hipError_tPvRmT3_T4_T5_T6_T7_T9_mT8_P12ihipStream_tbDpT10_ENKUlT_T0_E_clISt17integral_constantIbLb0EES1E_IbLb1EEEEDaS1A_S1B_EUlS1A_E_NS1_11comp_targetILNS1_3genE9ELNS1_11target_archE1100ELNS1_3gpuE3ELNS1_3repE0EEENS1_30default_config_static_selectorELNS0_4arch9wavefront6targetE1EEEvT1_.kd
    .uniform_work_group_size: 1
    .uses_dynamic_stack: false
    .vgpr_count:     0
    .vgpr_spill_count: 0
    .wavefront_size: 64
  - .agpr_count:     0
    .args:
      - .offset:         0
        .size:           144
        .value_kind:     by_value
    .group_segment_fixed_size: 0
    .kernarg_segment_align: 8
    .kernarg_segment_size: 144
    .language:       OpenCL C
    .language_version:
      - 2
      - 0
    .max_flat_workgroup_size: 512
    .name:           _ZN7rocprim17ROCPRIM_400000_NS6detail17trampoline_kernelINS0_14default_configENS1_25partition_config_selectorILNS1_17partition_subalgoE2EtNS0_10empty_typeEbEEZZNS1_14partition_implILS5_2ELb0ES3_jN6thrust23THRUST_200600_302600_NS6detail15normal_iteratorINSA_7pointerItNSA_11hip_rocprim3tagENSA_11use_defaultESG_EEEEPS6_NSA_18transform_iteratorI7is_evenItENSC_INSA_10device_ptrItEEEESG_SG_EENS0_5tupleIJPtSJ_EEENSR_IJSJ_SJ_EEES6_PlJS6_EEE10hipError_tPvRmT3_T4_T5_T6_T7_T9_mT8_P12ihipStream_tbDpT10_ENKUlT_T0_E_clISt17integral_constantIbLb0EES1E_IbLb1EEEEDaS1A_S1B_EUlS1A_E_NS1_11comp_targetILNS1_3genE8ELNS1_11target_archE1030ELNS1_3gpuE2ELNS1_3repE0EEENS1_30default_config_static_selectorELNS0_4arch9wavefront6targetE1EEEvT1_
    .private_segment_fixed_size: 0
    .sgpr_count:     4
    .sgpr_spill_count: 0
    .symbol:         _ZN7rocprim17ROCPRIM_400000_NS6detail17trampoline_kernelINS0_14default_configENS1_25partition_config_selectorILNS1_17partition_subalgoE2EtNS0_10empty_typeEbEEZZNS1_14partition_implILS5_2ELb0ES3_jN6thrust23THRUST_200600_302600_NS6detail15normal_iteratorINSA_7pointerItNSA_11hip_rocprim3tagENSA_11use_defaultESG_EEEEPS6_NSA_18transform_iteratorI7is_evenItENSC_INSA_10device_ptrItEEEESG_SG_EENS0_5tupleIJPtSJ_EEENSR_IJSJ_SJ_EEES6_PlJS6_EEE10hipError_tPvRmT3_T4_T5_T6_T7_T9_mT8_P12ihipStream_tbDpT10_ENKUlT_T0_E_clISt17integral_constantIbLb0EES1E_IbLb1EEEEDaS1A_S1B_EUlS1A_E_NS1_11comp_targetILNS1_3genE8ELNS1_11target_archE1030ELNS1_3gpuE2ELNS1_3repE0EEENS1_30default_config_static_selectorELNS0_4arch9wavefront6targetE1EEEvT1_.kd
    .uniform_work_group_size: 1
    .uses_dynamic_stack: false
    .vgpr_count:     0
    .vgpr_spill_count: 0
    .wavefront_size: 64
  - .agpr_count:     0
    .args:
      - .offset:         0
        .size:           16
        .value_kind:     by_value
      - .offset:         16
        .size:           8
        .value_kind:     by_value
      - .offset:         24
        .size:           8
        .value_kind:     by_value
    .group_segment_fixed_size: 0
    .kernarg_segment_align: 8
    .kernarg_segment_size: 32
    .language:       OpenCL C
    .language_version:
      - 2
      - 0
    .max_flat_workgroup_size: 256
    .name:           _ZN6thrust23THRUST_200600_302600_NS11hip_rocprim14__parallel_for6kernelILj256ENS1_13__swap_ranges6swap_fINS0_6detail15normal_iteratorINS0_10device_ptrItEEEENS0_16reverse_iteratorISA_EEEElLj1EEEvT0_T1_SF_
    .private_segment_fixed_size: 0
    .sgpr_count:     20
    .sgpr_spill_count: 0
    .symbol:         _ZN6thrust23THRUST_200600_302600_NS11hip_rocprim14__parallel_for6kernelILj256ENS1_13__swap_ranges6swap_fINS0_6detail15normal_iteratorINS0_10device_ptrItEEEENS0_16reverse_iteratorISA_EEEElLj1EEEvT0_T1_SF_.kd
    .uniform_work_group_size: 1
    .uses_dynamic_stack: false
    .vgpr_count:     7
    .vgpr_spill_count: 0
    .wavefront_size: 64
  - .agpr_count:     0
    .args:
      - .offset:         0
        .size:           16
        .value_kind:     by_value
      - .offset:         16
        .size:           8
        .value_kind:     by_value
      - .offset:         24
        .size:           8
        .value_kind:     by_value
    .group_segment_fixed_size: 0
    .kernarg_segment_align: 8
    .kernarg_segment_size: 32
    .language:       OpenCL C
    .language_version:
      - 2
      - 0
    .max_flat_workgroup_size: 256
    .name:           _ZN6thrust23THRUST_200600_302600_NS11hip_rocprim14__parallel_for6kernelILj256ENS1_20__uninitialized_fill7functorINS0_10device_ptrIyEEyEEmLj1EEEvT0_T1_SA_
    .private_segment_fixed_size: 0
    .sgpr_count:     20
    .sgpr_spill_count: 0
    .symbol:         _ZN6thrust23THRUST_200600_302600_NS11hip_rocprim14__parallel_for6kernelILj256ENS1_20__uninitialized_fill7functorINS0_10device_ptrIyEEyEEmLj1EEEvT0_T1_SA_.kd
    .uniform_work_group_size: 1
    .uses_dynamic_stack: false
    .vgpr_count:     5
    .vgpr_spill_count: 0
    .wavefront_size: 64
  - .agpr_count:     0
    .args:
      - .offset:         0
        .size:           120
        .value_kind:     by_value
    .group_segment_fixed_size: 0
    .kernarg_segment_align: 8
    .kernarg_segment_size: 120
    .language:       OpenCL C
    .language_version:
      - 2
      - 0
    .max_flat_workgroup_size: 128
    .name:           _ZN7rocprim17ROCPRIM_400000_NS6detail17trampoline_kernelINS0_14default_configENS1_25partition_config_selectorILNS1_17partition_subalgoE0EyNS0_10empty_typeEbEEZZNS1_14partition_implILS5_0ELb0ES3_jN6thrust23THRUST_200600_302600_NS6detail15normal_iteratorINSA_10device_ptrIyEEEEPS6_SG_NS0_5tupleIJSF_SF_EEENSH_IJSG_SG_EEES6_PlJ7is_evenIyEEEE10hipError_tPvRmT3_T4_T5_T6_T7_T9_mT8_P12ihipStream_tbDpT10_ENKUlT_T0_E_clISt17integral_constantIbLb0EES16_EEDaS11_S12_EUlS11_E_NS1_11comp_targetILNS1_3genE0ELNS1_11target_archE4294967295ELNS1_3gpuE0ELNS1_3repE0EEENS1_30default_config_static_selectorELNS0_4arch9wavefront6targetE1EEEvT1_
    .private_segment_fixed_size: 0
    .sgpr_count:     4
    .sgpr_spill_count: 0
    .symbol:         _ZN7rocprim17ROCPRIM_400000_NS6detail17trampoline_kernelINS0_14default_configENS1_25partition_config_selectorILNS1_17partition_subalgoE0EyNS0_10empty_typeEbEEZZNS1_14partition_implILS5_0ELb0ES3_jN6thrust23THRUST_200600_302600_NS6detail15normal_iteratorINSA_10device_ptrIyEEEEPS6_SG_NS0_5tupleIJSF_SF_EEENSH_IJSG_SG_EEES6_PlJ7is_evenIyEEEE10hipError_tPvRmT3_T4_T5_T6_T7_T9_mT8_P12ihipStream_tbDpT10_ENKUlT_T0_E_clISt17integral_constantIbLb0EES16_EEDaS11_S12_EUlS11_E_NS1_11comp_targetILNS1_3genE0ELNS1_11target_archE4294967295ELNS1_3gpuE0ELNS1_3repE0EEENS1_30default_config_static_selectorELNS0_4arch9wavefront6targetE1EEEvT1_.kd
    .uniform_work_group_size: 1
    .uses_dynamic_stack: false
    .vgpr_count:     0
    .vgpr_spill_count: 0
    .wavefront_size: 64
  - .agpr_count:     0
    .args:
      - .offset:         0
        .size:           120
        .value_kind:     by_value
    .group_segment_fixed_size: 0
    .kernarg_segment_align: 8
    .kernarg_segment_size: 120
    .language:       OpenCL C
    .language_version:
      - 2
      - 0
    .max_flat_workgroup_size: 512
    .name:           _ZN7rocprim17ROCPRIM_400000_NS6detail17trampoline_kernelINS0_14default_configENS1_25partition_config_selectorILNS1_17partition_subalgoE0EyNS0_10empty_typeEbEEZZNS1_14partition_implILS5_0ELb0ES3_jN6thrust23THRUST_200600_302600_NS6detail15normal_iteratorINSA_10device_ptrIyEEEEPS6_SG_NS0_5tupleIJSF_SF_EEENSH_IJSG_SG_EEES6_PlJ7is_evenIyEEEE10hipError_tPvRmT3_T4_T5_T6_T7_T9_mT8_P12ihipStream_tbDpT10_ENKUlT_T0_E_clISt17integral_constantIbLb0EES16_EEDaS11_S12_EUlS11_E_NS1_11comp_targetILNS1_3genE5ELNS1_11target_archE942ELNS1_3gpuE9ELNS1_3repE0EEENS1_30default_config_static_selectorELNS0_4arch9wavefront6targetE1EEEvT1_
    .private_segment_fixed_size: 0
    .sgpr_count:     4
    .sgpr_spill_count: 0
    .symbol:         _ZN7rocprim17ROCPRIM_400000_NS6detail17trampoline_kernelINS0_14default_configENS1_25partition_config_selectorILNS1_17partition_subalgoE0EyNS0_10empty_typeEbEEZZNS1_14partition_implILS5_0ELb0ES3_jN6thrust23THRUST_200600_302600_NS6detail15normal_iteratorINSA_10device_ptrIyEEEEPS6_SG_NS0_5tupleIJSF_SF_EEENSH_IJSG_SG_EEES6_PlJ7is_evenIyEEEE10hipError_tPvRmT3_T4_T5_T6_T7_T9_mT8_P12ihipStream_tbDpT10_ENKUlT_T0_E_clISt17integral_constantIbLb0EES16_EEDaS11_S12_EUlS11_E_NS1_11comp_targetILNS1_3genE5ELNS1_11target_archE942ELNS1_3gpuE9ELNS1_3repE0EEENS1_30default_config_static_selectorELNS0_4arch9wavefront6targetE1EEEvT1_.kd
    .uniform_work_group_size: 1
    .uses_dynamic_stack: false
    .vgpr_count:     0
    .vgpr_spill_count: 0
    .wavefront_size: 64
  - .agpr_count:     0
    .args:
      - .offset:         0
        .size:           120
        .value_kind:     by_value
    .group_segment_fixed_size: 6344
    .kernarg_segment_align: 8
    .kernarg_segment_size: 120
    .language:       OpenCL C
    .language_version:
      - 2
      - 0
    .max_flat_workgroup_size: 192
    .name:           _ZN7rocprim17ROCPRIM_400000_NS6detail17trampoline_kernelINS0_14default_configENS1_25partition_config_selectorILNS1_17partition_subalgoE0EyNS0_10empty_typeEbEEZZNS1_14partition_implILS5_0ELb0ES3_jN6thrust23THRUST_200600_302600_NS6detail15normal_iteratorINSA_10device_ptrIyEEEEPS6_SG_NS0_5tupleIJSF_SF_EEENSH_IJSG_SG_EEES6_PlJ7is_evenIyEEEE10hipError_tPvRmT3_T4_T5_T6_T7_T9_mT8_P12ihipStream_tbDpT10_ENKUlT_T0_E_clISt17integral_constantIbLb0EES16_EEDaS11_S12_EUlS11_E_NS1_11comp_targetILNS1_3genE4ELNS1_11target_archE910ELNS1_3gpuE8ELNS1_3repE0EEENS1_30default_config_static_selectorELNS0_4arch9wavefront6targetE1EEEvT1_
    .private_segment_fixed_size: 0
    .sgpr_count:     48
    .sgpr_spill_count: 0
    .symbol:         _ZN7rocprim17ROCPRIM_400000_NS6detail17trampoline_kernelINS0_14default_configENS1_25partition_config_selectorILNS1_17partition_subalgoE0EyNS0_10empty_typeEbEEZZNS1_14partition_implILS5_0ELb0ES3_jN6thrust23THRUST_200600_302600_NS6detail15normal_iteratorINSA_10device_ptrIyEEEEPS6_SG_NS0_5tupleIJSF_SF_EEENSH_IJSG_SG_EEES6_PlJ7is_evenIyEEEE10hipError_tPvRmT3_T4_T5_T6_T7_T9_mT8_P12ihipStream_tbDpT10_ENKUlT_T0_E_clISt17integral_constantIbLb0EES16_EEDaS11_S12_EUlS11_E_NS1_11comp_targetILNS1_3genE4ELNS1_11target_archE910ELNS1_3gpuE8ELNS1_3repE0EEENS1_30default_config_static_selectorELNS0_4arch9wavefront6targetE1EEEvT1_.kd
    .uniform_work_group_size: 1
    .uses_dynamic_stack: false
    .vgpr_count:     43
    .vgpr_spill_count: 0
    .wavefront_size: 64
  - .agpr_count:     0
    .args:
      - .offset:         0
        .size:           120
        .value_kind:     by_value
    .group_segment_fixed_size: 0
    .kernarg_segment_align: 8
    .kernarg_segment_size: 120
    .language:       OpenCL C
    .language_version:
      - 2
      - 0
    .max_flat_workgroup_size: 128
    .name:           _ZN7rocprim17ROCPRIM_400000_NS6detail17trampoline_kernelINS0_14default_configENS1_25partition_config_selectorILNS1_17partition_subalgoE0EyNS0_10empty_typeEbEEZZNS1_14partition_implILS5_0ELb0ES3_jN6thrust23THRUST_200600_302600_NS6detail15normal_iteratorINSA_10device_ptrIyEEEEPS6_SG_NS0_5tupleIJSF_SF_EEENSH_IJSG_SG_EEES6_PlJ7is_evenIyEEEE10hipError_tPvRmT3_T4_T5_T6_T7_T9_mT8_P12ihipStream_tbDpT10_ENKUlT_T0_E_clISt17integral_constantIbLb0EES16_EEDaS11_S12_EUlS11_E_NS1_11comp_targetILNS1_3genE3ELNS1_11target_archE908ELNS1_3gpuE7ELNS1_3repE0EEENS1_30default_config_static_selectorELNS0_4arch9wavefront6targetE1EEEvT1_
    .private_segment_fixed_size: 0
    .sgpr_count:     4
    .sgpr_spill_count: 0
    .symbol:         _ZN7rocprim17ROCPRIM_400000_NS6detail17trampoline_kernelINS0_14default_configENS1_25partition_config_selectorILNS1_17partition_subalgoE0EyNS0_10empty_typeEbEEZZNS1_14partition_implILS5_0ELb0ES3_jN6thrust23THRUST_200600_302600_NS6detail15normal_iteratorINSA_10device_ptrIyEEEEPS6_SG_NS0_5tupleIJSF_SF_EEENSH_IJSG_SG_EEES6_PlJ7is_evenIyEEEE10hipError_tPvRmT3_T4_T5_T6_T7_T9_mT8_P12ihipStream_tbDpT10_ENKUlT_T0_E_clISt17integral_constantIbLb0EES16_EEDaS11_S12_EUlS11_E_NS1_11comp_targetILNS1_3genE3ELNS1_11target_archE908ELNS1_3gpuE7ELNS1_3repE0EEENS1_30default_config_static_selectorELNS0_4arch9wavefront6targetE1EEEvT1_.kd
    .uniform_work_group_size: 1
    .uses_dynamic_stack: false
    .vgpr_count:     0
    .vgpr_spill_count: 0
    .wavefront_size: 64
  - .agpr_count:     0
    .args:
      - .offset:         0
        .size:           120
        .value_kind:     by_value
    .group_segment_fixed_size: 0
    .kernarg_segment_align: 8
    .kernarg_segment_size: 120
    .language:       OpenCL C
    .language_version:
      - 2
      - 0
    .max_flat_workgroup_size: 256
    .name:           _ZN7rocprim17ROCPRIM_400000_NS6detail17trampoline_kernelINS0_14default_configENS1_25partition_config_selectorILNS1_17partition_subalgoE0EyNS0_10empty_typeEbEEZZNS1_14partition_implILS5_0ELb0ES3_jN6thrust23THRUST_200600_302600_NS6detail15normal_iteratorINSA_10device_ptrIyEEEEPS6_SG_NS0_5tupleIJSF_SF_EEENSH_IJSG_SG_EEES6_PlJ7is_evenIyEEEE10hipError_tPvRmT3_T4_T5_T6_T7_T9_mT8_P12ihipStream_tbDpT10_ENKUlT_T0_E_clISt17integral_constantIbLb0EES16_EEDaS11_S12_EUlS11_E_NS1_11comp_targetILNS1_3genE2ELNS1_11target_archE906ELNS1_3gpuE6ELNS1_3repE0EEENS1_30default_config_static_selectorELNS0_4arch9wavefront6targetE1EEEvT1_
    .private_segment_fixed_size: 0
    .sgpr_count:     4
    .sgpr_spill_count: 0
    .symbol:         _ZN7rocprim17ROCPRIM_400000_NS6detail17trampoline_kernelINS0_14default_configENS1_25partition_config_selectorILNS1_17partition_subalgoE0EyNS0_10empty_typeEbEEZZNS1_14partition_implILS5_0ELb0ES3_jN6thrust23THRUST_200600_302600_NS6detail15normal_iteratorINSA_10device_ptrIyEEEEPS6_SG_NS0_5tupleIJSF_SF_EEENSH_IJSG_SG_EEES6_PlJ7is_evenIyEEEE10hipError_tPvRmT3_T4_T5_T6_T7_T9_mT8_P12ihipStream_tbDpT10_ENKUlT_T0_E_clISt17integral_constantIbLb0EES16_EEDaS11_S12_EUlS11_E_NS1_11comp_targetILNS1_3genE2ELNS1_11target_archE906ELNS1_3gpuE6ELNS1_3repE0EEENS1_30default_config_static_selectorELNS0_4arch9wavefront6targetE1EEEvT1_.kd
    .uniform_work_group_size: 1
    .uses_dynamic_stack: false
    .vgpr_count:     0
    .vgpr_spill_count: 0
    .wavefront_size: 64
  - .agpr_count:     0
    .args:
      - .offset:         0
        .size:           120
        .value_kind:     by_value
    .group_segment_fixed_size: 0
    .kernarg_segment_align: 8
    .kernarg_segment_size: 120
    .language:       OpenCL C
    .language_version:
      - 2
      - 0
    .max_flat_workgroup_size: 512
    .name:           _ZN7rocprim17ROCPRIM_400000_NS6detail17trampoline_kernelINS0_14default_configENS1_25partition_config_selectorILNS1_17partition_subalgoE0EyNS0_10empty_typeEbEEZZNS1_14partition_implILS5_0ELb0ES3_jN6thrust23THRUST_200600_302600_NS6detail15normal_iteratorINSA_10device_ptrIyEEEEPS6_SG_NS0_5tupleIJSF_SF_EEENSH_IJSG_SG_EEES6_PlJ7is_evenIyEEEE10hipError_tPvRmT3_T4_T5_T6_T7_T9_mT8_P12ihipStream_tbDpT10_ENKUlT_T0_E_clISt17integral_constantIbLb0EES16_EEDaS11_S12_EUlS11_E_NS1_11comp_targetILNS1_3genE10ELNS1_11target_archE1200ELNS1_3gpuE4ELNS1_3repE0EEENS1_30default_config_static_selectorELNS0_4arch9wavefront6targetE1EEEvT1_
    .private_segment_fixed_size: 0
    .sgpr_count:     4
    .sgpr_spill_count: 0
    .symbol:         _ZN7rocprim17ROCPRIM_400000_NS6detail17trampoline_kernelINS0_14default_configENS1_25partition_config_selectorILNS1_17partition_subalgoE0EyNS0_10empty_typeEbEEZZNS1_14partition_implILS5_0ELb0ES3_jN6thrust23THRUST_200600_302600_NS6detail15normal_iteratorINSA_10device_ptrIyEEEEPS6_SG_NS0_5tupleIJSF_SF_EEENSH_IJSG_SG_EEES6_PlJ7is_evenIyEEEE10hipError_tPvRmT3_T4_T5_T6_T7_T9_mT8_P12ihipStream_tbDpT10_ENKUlT_T0_E_clISt17integral_constantIbLb0EES16_EEDaS11_S12_EUlS11_E_NS1_11comp_targetILNS1_3genE10ELNS1_11target_archE1200ELNS1_3gpuE4ELNS1_3repE0EEENS1_30default_config_static_selectorELNS0_4arch9wavefront6targetE1EEEvT1_.kd
    .uniform_work_group_size: 1
    .uses_dynamic_stack: false
    .vgpr_count:     0
    .vgpr_spill_count: 0
    .wavefront_size: 64
  - .agpr_count:     0
    .args:
      - .offset:         0
        .size:           120
        .value_kind:     by_value
    .group_segment_fixed_size: 0
    .kernarg_segment_align: 8
    .kernarg_segment_size: 120
    .language:       OpenCL C
    .language_version:
      - 2
      - 0
    .max_flat_workgroup_size: 512
    .name:           _ZN7rocprim17ROCPRIM_400000_NS6detail17trampoline_kernelINS0_14default_configENS1_25partition_config_selectorILNS1_17partition_subalgoE0EyNS0_10empty_typeEbEEZZNS1_14partition_implILS5_0ELb0ES3_jN6thrust23THRUST_200600_302600_NS6detail15normal_iteratorINSA_10device_ptrIyEEEEPS6_SG_NS0_5tupleIJSF_SF_EEENSH_IJSG_SG_EEES6_PlJ7is_evenIyEEEE10hipError_tPvRmT3_T4_T5_T6_T7_T9_mT8_P12ihipStream_tbDpT10_ENKUlT_T0_E_clISt17integral_constantIbLb0EES16_EEDaS11_S12_EUlS11_E_NS1_11comp_targetILNS1_3genE9ELNS1_11target_archE1100ELNS1_3gpuE3ELNS1_3repE0EEENS1_30default_config_static_selectorELNS0_4arch9wavefront6targetE1EEEvT1_
    .private_segment_fixed_size: 0
    .sgpr_count:     4
    .sgpr_spill_count: 0
    .symbol:         _ZN7rocprim17ROCPRIM_400000_NS6detail17trampoline_kernelINS0_14default_configENS1_25partition_config_selectorILNS1_17partition_subalgoE0EyNS0_10empty_typeEbEEZZNS1_14partition_implILS5_0ELb0ES3_jN6thrust23THRUST_200600_302600_NS6detail15normal_iteratorINSA_10device_ptrIyEEEEPS6_SG_NS0_5tupleIJSF_SF_EEENSH_IJSG_SG_EEES6_PlJ7is_evenIyEEEE10hipError_tPvRmT3_T4_T5_T6_T7_T9_mT8_P12ihipStream_tbDpT10_ENKUlT_T0_E_clISt17integral_constantIbLb0EES16_EEDaS11_S12_EUlS11_E_NS1_11comp_targetILNS1_3genE9ELNS1_11target_archE1100ELNS1_3gpuE3ELNS1_3repE0EEENS1_30default_config_static_selectorELNS0_4arch9wavefront6targetE1EEEvT1_.kd
    .uniform_work_group_size: 1
    .uses_dynamic_stack: false
    .vgpr_count:     0
    .vgpr_spill_count: 0
    .wavefront_size: 64
  - .agpr_count:     0
    .args:
      - .offset:         0
        .size:           120
        .value_kind:     by_value
    .group_segment_fixed_size: 0
    .kernarg_segment_align: 8
    .kernarg_segment_size: 120
    .language:       OpenCL C
    .language_version:
      - 2
      - 0
    .max_flat_workgroup_size: 512
    .name:           _ZN7rocprim17ROCPRIM_400000_NS6detail17trampoline_kernelINS0_14default_configENS1_25partition_config_selectorILNS1_17partition_subalgoE0EyNS0_10empty_typeEbEEZZNS1_14partition_implILS5_0ELb0ES3_jN6thrust23THRUST_200600_302600_NS6detail15normal_iteratorINSA_10device_ptrIyEEEEPS6_SG_NS0_5tupleIJSF_SF_EEENSH_IJSG_SG_EEES6_PlJ7is_evenIyEEEE10hipError_tPvRmT3_T4_T5_T6_T7_T9_mT8_P12ihipStream_tbDpT10_ENKUlT_T0_E_clISt17integral_constantIbLb0EES16_EEDaS11_S12_EUlS11_E_NS1_11comp_targetILNS1_3genE8ELNS1_11target_archE1030ELNS1_3gpuE2ELNS1_3repE0EEENS1_30default_config_static_selectorELNS0_4arch9wavefront6targetE1EEEvT1_
    .private_segment_fixed_size: 0
    .sgpr_count:     4
    .sgpr_spill_count: 0
    .symbol:         _ZN7rocprim17ROCPRIM_400000_NS6detail17trampoline_kernelINS0_14default_configENS1_25partition_config_selectorILNS1_17partition_subalgoE0EyNS0_10empty_typeEbEEZZNS1_14partition_implILS5_0ELb0ES3_jN6thrust23THRUST_200600_302600_NS6detail15normal_iteratorINSA_10device_ptrIyEEEEPS6_SG_NS0_5tupleIJSF_SF_EEENSH_IJSG_SG_EEES6_PlJ7is_evenIyEEEE10hipError_tPvRmT3_T4_T5_T6_T7_T9_mT8_P12ihipStream_tbDpT10_ENKUlT_T0_E_clISt17integral_constantIbLb0EES16_EEDaS11_S12_EUlS11_E_NS1_11comp_targetILNS1_3genE8ELNS1_11target_archE1030ELNS1_3gpuE2ELNS1_3repE0EEENS1_30default_config_static_selectorELNS0_4arch9wavefront6targetE1EEEvT1_.kd
    .uniform_work_group_size: 1
    .uses_dynamic_stack: false
    .vgpr_count:     0
    .vgpr_spill_count: 0
    .wavefront_size: 64
  - .agpr_count:     0
    .args:
      - .offset:         0
        .size:           136
        .value_kind:     by_value
    .group_segment_fixed_size: 0
    .kernarg_segment_align: 8
    .kernarg_segment_size: 136
    .language:       OpenCL C
    .language_version:
      - 2
      - 0
    .max_flat_workgroup_size: 128
    .name:           _ZN7rocprim17ROCPRIM_400000_NS6detail17trampoline_kernelINS0_14default_configENS1_25partition_config_selectorILNS1_17partition_subalgoE0EyNS0_10empty_typeEbEEZZNS1_14partition_implILS5_0ELb0ES3_jN6thrust23THRUST_200600_302600_NS6detail15normal_iteratorINSA_10device_ptrIyEEEEPS6_SG_NS0_5tupleIJSF_SF_EEENSH_IJSG_SG_EEES6_PlJ7is_evenIyEEEE10hipError_tPvRmT3_T4_T5_T6_T7_T9_mT8_P12ihipStream_tbDpT10_ENKUlT_T0_E_clISt17integral_constantIbLb1EES16_EEDaS11_S12_EUlS11_E_NS1_11comp_targetILNS1_3genE0ELNS1_11target_archE4294967295ELNS1_3gpuE0ELNS1_3repE0EEENS1_30default_config_static_selectorELNS0_4arch9wavefront6targetE1EEEvT1_
    .private_segment_fixed_size: 0
    .sgpr_count:     4
    .sgpr_spill_count: 0
    .symbol:         _ZN7rocprim17ROCPRIM_400000_NS6detail17trampoline_kernelINS0_14default_configENS1_25partition_config_selectorILNS1_17partition_subalgoE0EyNS0_10empty_typeEbEEZZNS1_14partition_implILS5_0ELb0ES3_jN6thrust23THRUST_200600_302600_NS6detail15normal_iteratorINSA_10device_ptrIyEEEEPS6_SG_NS0_5tupleIJSF_SF_EEENSH_IJSG_SG_EEES6_PlJ7is_evenIyEEEE10hipError_tPvRmT3_T4_T5_T6_T7_T9_mT8_P12ihipStream_tbDpT10_ENKUlT_T0_E_clISt17integral_constantIbLb1EES16_EEDaS11_S12_EUlS11_E_NS1_11comp_targetILNS1_3genE0ELNS1_11target_archE4294967295ELNS1_3gpuE0ELNS1_3repE0EEENS1_30default_config_static_selectorELNS0_4arch9wavefront6targetE1EEEvT1_.kd
    .uniform_work_group_size: 1
    .uses_dynamic_stack: false
    .vgpr_count:     0
    .vgpr_spill_count: 0
    .wavefront_size: 64
  - .agpr_count:     0
    .args:
      - .offset:         0
        .size:           136
        .value_kind:     by_value
    .group_segment_fixed_size: 0
    .kernarg_segment_align: 8
    .kernarg_segment_size: 136
    .language:       OpenCL C
    .language_version:
      - 2
      - 0
    .max_flat_workgroup_size: 512
    .name:           _ZN7rocprim17ROCPRIM_400000_NS6detail17trampoline_kernelINS0_14default_configENS1_25partition_config_selectorILNS1_17partition_subalgoE0EyNS0_10empty_typeEbEEZZNS1_14partition_implILS5_0ELb0ES3_jN6thrust23THRUST_200600_302600_NS6detail15normal_iteratorINSA_10device_ptrIyEEEEPS6_SG_NS0_5tupleIJSF_SF_EEENSH_IJSG_SG_EEES6_PlJ7is_evenIyEEEE10hipError_tPvRmT3_T4_T5_T6_T7_T9_mT8_P12ihipStream_tbDpT10_ENKUlT_T0_E_clISt17integral_constantIbLb1EES16_EEDaS11_S12_EUlS11_E_NS1_11comp_targetILNS1_3genE5ELNS1_11target_archE942ELNS1_3gpuE9ELNS1_3repE0EEENS1_30default_config_static_selectorELNS0_4arch9wavefront6targetE1EEEvT1_
    .private_segment_fixed_size: 0
    .sgpr_count:     4
    .sgpr_spill_count: 0
    .symbol:         _ZN7rocprim17ROCPRIM_400000_NS6detail17trampoline_kernelINS0_14default_configENS1_25partition_config_selectorILNS1_17partition_subalgoE0EyNS0_10empty_typeEbEEZZNS1_14partition_implILS5_0ELb0ES3_jN6thrust23THRUST_200600_302600_NS6detail15normal_iteratorINSA_10device_ptrIyEEEEPS6_SG_NS0_5tupleIJSF_SF_EEENSH_IJSG_SG_EEES6_PlJ7is_evenIyEEEE10hipError_tPvRmT3_T4_T5_T6_T7_T9_mT8_P12ihipStream_tbDpT10_ENKUlT_T0_E_clISt17integral_constantIbLb1EES16_EEDaS11_S12_EUlS11_E_NS1_11comp_targetILNS1_3genE5ELNS1_11target_archE942ELNS1_3gpuE9ELNS1_3repE0EEENS1_30default_config_static_selectorELNS0_4arch9wavefront6targetE1EEEvT1_.kd
    .uniform_work_group_size: 1
    .uses_dynamic_stack: false
    .vgpr_count:     0
    .vgpr_spill_count: 0
    .wavefront_size: 64
  - .agpr_count:     0
    .args:
      - .offset:         0
        .size:           136
        .value_kind:     by_value
    .group_segment_fixed_size: 6344
    .kernarg_segment_align: 8
    .kernarg_segment_size: 136
    .language:       OpenCL C
    .language_version:
      - 2
      - 0
    .max_flat_workgroup_size: 192
    .name:           _ZN7rocprim17ROCPRIM_400000_NS6detail17trampoline_kernelINS0_14default_configENS1_25partition_config_selectorILNS1_17partition_subalgoE0EyNS0_10empty_typeEbEEZZNS1_14partition_implILS5_0ELb0ES3_jN6thrust23THRUST_200600_302600_NS6detail15normal_iteratorINSA_10device_ptrIyEEEEPS6_SG_NS0_5tupleIJSF_SF_EEENSH_IJSG_SG_EEES6_PlJ7is_evenIyEEEE10hipError_tPvRmT3_T4_T5_T6_T7_T9_mT8_P12ihipStream_tbDpT10_ENKUlT_T0_E_clISt17integral_constantIbLb1EES16_EEDaS11_S12_EUlS11_E_NS1_11comp_targetILNS1_3genE4ELNS1_11target_archE910ELNS1_3gpuE8ELNS1_3repE0EEENS1_30default_config_static_selectorELNS0_4arch9wavefront6targetE1EEEvT1_
    .private_segment_fixed_size: 0
    .sgpr_count:     48
    .sgpr_spill_count: 0
    .symbol:         _ZN7rocprim17ROCPRIM_400000_NS6detail17trampoline_kernelINS0_14default_configENS1_25partition_config_selectorILNS1_17partition_subalgoE0EyNS0_10empty_typeEbEEZZNS1_14partition_implILS5_0ELb0ES3_jN6thrust23THRUST_200600_302600_NS6detail15normal_iteratorINSA_10device_ptrIyEEEEPS6_SG_NS0_5tupleIJSF_SF_EEENSH_IJSG_SG_EEES6_PlJ7is_evenIyEEEE10hipError_tPvRmT3_T4_T5_T6_T7_T9_mT8_P12ihipStream_tbDpT10_ENKUlT_T0_E_clISt17integral_constantIbLb1EES16_EEDaS11_S12_EUlS11_E_NS1_11comp_targetILNS1_3genE4ELNS1_11target_archE910ELNS1_3gpuE8ELNS1_3repE0EEENS1_30default_config_static_selectorELNS0_4arch9wavefront6targetE1EEEvT1_.kd
    .uniform_work_group_size: 1
    .uses_dynamic_stack: false
    .vgpr_count:     47
    .vgpr_spill_count: 0
    .wavefront_size: 64
  - .agpr_count:     0
    .args:
      - .offset:         0
        .size:           136
        .value_kind:     by_value
    .group_segment_fixed_size: 0
    .kernarg_segment_align: 8
    .kernarg_segment_size: 136
    .language:       OpenCL C
    .language_version:
      - 2
      - 0
    .max_flat_workgroup_size: 128
    .name:           _ZN7rocprim17ROCPRIM_400000_NS6detail17trampoline_kernelINS0_14default_configENS1_25partition_config_selectorILNS1_17partition_subalgoE0EyNS0_10empty_typeEbEEZZNS1_14partition_implILS5_0ELb0ES3_jN6thrust23THRUST_200600_302600_NS6detail15normal_iteratorINSA_10device_ptrIyEEEEPS6_SG_NS0_5tupleIJSF_SF_EEENSH_IJSG_SG_EEES6_PlJ7is_evenIyEEEE10hipError_tPvRmT3_T4_T5_T6_T7_T9_mT8_P12ihipStream_tbDpT10_ENKUlT_T0_E_clISt17integral_constantIbLb1EES16_EEDaS11_S12_EUlS11_E_NS1_11comp_targetILNS1_3genE3ELNS1_11target_archE908ELNS1_3gpuE7ELNS1_3repE0EEENS1_30default_config_static_selectorELNS0_4arch9wavefront6targetE1EEEvT1_
    .private_segment_fixed_size: 0
    .sgpr_count:     4
    .sgpr_spill_count: 0
    .symbol:         _ZN7rocprim17ROCPRIM_400000_NS6detail17trampoline_kernelINS0_14default_configENS1_25partition_config_selectorILNS1_17partition_subalgoE0EyNS0_10empty_typeEbEEZZNS1_14partition_implILS5_0ELb0ES3_jN6thrust23THRUST_200600_302600_NS6detail15normal_iteratorINSA_10device_ptrIyEEEEPS6_SG_NS0_5tupleIJSF_SF_EEENSH_IJSG_SG_EEES6_PlJ7is_evenIyEEEE10hipError_tPvRmT3_T4_T5_T6_T7_T9_mT8_P12ihipStream_tbDpT10_ENKUlT_T0_E_clISt17integral_constantIbLb1EES16_EEDaS11_S12_EUlS11_E_NS1_11comp_targetILNS1_3genE3ELNS1_11target_archE908ELNS1_3gpuE7ELNS1_3repE0EEENS1_30default_config_static_selectorELNS0_4arch9wavefront6targetE1EEEvT1_.kd
    .uniform_work_group_size: 1
    .uses_dynamic_stack: false
    .vgpr_count:     0
    .vgpr_spill_count: 0
    .wavefront_size: 64
  - .agpr_count:     0
    .args:
      - .offset:         0
        .size:           136
        .value_kind:     by_value
    .group_segment_fixed_size: 0
    .kernarg_segment_align: 8
    .kernarg_segment_size: 136
    .language:       OpenCL C
    .language_version:
      - 2
      - 0
    .max_flat_workgroup_size: 256
    .name:           _ZN7rocprim17ROCPRIM_400000_NS6detail17trampoline_kernelINS0_14default_configENS1_25partition_config_selectorILNS1_17partition_subalgoE0EyNS0_10empty_typeEbEEZZNS1_14partition_implILS5_0ELb0ES3_jN6thrust23THRUST_200600_302600_NS6detail15normal_iteratorINSA_10device_ptrIyEEEEPS6_SG_NS0_5tupleIJSF_SF_EEENSH_IJSG_SG_EEES6_PlJ7is_evenIyEEEE10hipError_tPvRmT3_T4_T5_T6_T7_T9_mT8_P12ihipStream_tbDpT10_ENKUlT_T0_E_clISt17integral_constantIbLb1EES16_EEDaS11_S12_EUlS11_E_NS1_11comp_targetILNS1_3genE2ELNS1_11target_archE906ELNS1_3gpuE6ELNS1_3repE0EEENS1_30default_config_static_selectorELNS0_4arch9wavefront6targetE1EEEvT1_
    .private_segment_fixed_size: 0
    .sgpr_count:     4
    .sgpr_spill_count: 0
    .symbol:         _ZN7rocprim17ROCPRIM_400000_NS6detail17trampoline_kernelINS0_14default_configENS1_25partition_config_selectorILNS1_17partition_subalgoE0EyNS0_10empty_typeEbEEZZNS1_14partition_implILS5_0ELb0ES3_jN6thrust23THRUST_200600_302600_NS6detail15normal_iteratorINSA_10device_ptrIyEEEEPS6_SG_NS0_5tupleIJSF_SF_EEENSH_IJSG_SG_EEES6_PlJ7is_evenIyEEEE10hipError_tPvRmT3_T4_T5_T6_T7_T9_mT8_P12ihipStream_tbDpT10_ENKUlT_T0_E_clISt17integral_constantIbLb1EES16_EEDaS11_S12_EUlS11_E_NS1_11comp_targetILNS1_3genE2ELNS1_11target_archE906ELNS1_3gpuE6ELNS1_3repE0EEENS1_30default_config_static_selectorELNS0_4arch9wavefront6targetE1EEEvT1_.kd
    .uniform_work_group_size: 1
    .uses_dynamic_stack: false
    .vgpr_count:     0
    .vgpr_spill_count: 0
    .wavefront_size: 64
  - .agpr_count:     0
    .args:
      - .offset:         0
        .size:           136
        .value_kind:     by_value
    .group_segment_fixed_size: 0
    .kernarg_segment_align: 8
    .kernarg_segment_size: 136
    .language:       OpenCL C
    .language_version:
      - 2
      - 0
    .max_flat_workgroup_size: 512
    .name:           _ZN7rocprim17ROCPRIM_400000_NS6detail17trampoline_kernelINS0_14default_configENS1_25partition_config_selectorILNS1_17partition_subalgoE0EyNS0_10empty_typeEbEEZZNS1_14partition_implILS5_0ELb0ES3_jN6thrust23THRUST_200600_302600_NS6detail15normal_iteratorINSA_10device_ptrIyEEEEPS6_SG_NS0_5tupleIJSF_SF_EEENSH_IJSG_SG_EEES6_PlJ7is_evenIyEEEE10hipError_tPvRmT3_T4_T5_T6_T7_T9_mT8_P12ihipStream_tbDpT10_ENKUlT_T0_E_clISt17integral_constantIbLb1EES16_EEDaS11_S12_EUlS11_E_NS1_11comp_targetILNS1_3genE10ELNS1_11target_archE1200ELNS1_3gpuE4ELNS1_3repE0EEENS1_30default_config_static_selectorELNS0_4arch9wavefront6targetE1EEEvT1_
    .private_segment_fixed_size: 0
    .sgpr_count:     4
    .sgpr_spill_count: 0
    .symbol:         _ZN7rocprim17ROCPRIM_400000_NS6detail17trampoline_kernelINS0_14default_configENS1_25partition_config_selectorILNS1_17partition_subalgoE0EyNS0_10empty_typeEbEEZZNS1_14partition_implILS5_0ELb0ES3_jN6thrust23THRUST_200600_302600_NS6detail15normal_iteratorINSA_10device_ptrIyEEEEPS6_SG_NS0_5tupleIJSF_SF_EEENSH_IJSG_SG_EEES6_PlJ7is_evenIyEEEE10hipError_tPvRmT3_T4_T5_T6_T7_T9_mT8_P12ihipStream_tbDpT10_ENKUlT_T0_E_clISt17integral_constantIbLb1EES16_EEDaS11_S12_EUlS11_E_NS1_11comp_targetILNS1_3genE10ELNS1_11target_archE1200ELNS1_3gpuE4ELNS1_3repE0EEENS1_30default_config_static_selectorELNS0_4arch9wavefront6targetE1EEEvT1_.kd
    .uniform_work_group_size: 1
    .uses_dynamic_stack: false
    .vgpr_count:     0
    .vgpr_spill_count: 0
    .wavefront_size: 64
  - .agpr_count:     0
    .args:
      - .offset:         0
        .size:           136
        .value_kind:     by_value
    .group_segment_fixed_size: 0
    .kernarg_segment_align: 8
    .kernarg_segment_size: 136
    .language:       OpenCL C
    .language_version:
      - 2
      - 0
    .max_flat_workgroup_size: 512
    .name:           _ZN7rocprim17ROCPRIM_400000_NS6detail17trampoline_kernelINS0_14default_configENS1_25partition_config_selectorILNS1_17partition_subalgoE0EyNS0_10empty_typeEbEEZZNS1_14partition_implILS5_0ELb0ES3_jN6thrust23THRUST_200600_302600_NS6detail15normal_iteratorINSA_10device_ptrIyEEEEPS6_SG_NS0_5tupleIJSF_SF_EEENSH_IJSG_SG_EEES6_PlJ7is_evenIyEEEE10hipError_tPvRmT3_T4_T5_T6_T7_T9_mT8_P12ihipStream_tbDpT10_ENKUlT_T0_E_clISt17integral_constantIbLb1EES16_EEDaS11_S12_EUlS11_E_NS1_11comp_targetILNS1_3genE9ELNS1_11target_archE1100ELNS1_3gpuE3ELNS1_3repE0EEENS1_30default_config_static_selectorELNS0_4arch9wavefront6targetE1EEEvT1_
    .private_segment_fixed_size: 0
    .sgpr_count:     4
    .sgpr_spill_count: 0
    .symbol:         _ZN7rocprim17ROCPRIM_400000_NS6detail17trampoline_kernelINS0_14default_configENS1_25partition_config_selectorILNS1_17partition_subalgoE0EyNS0_10empty_typeEbEEZZNS1_14partition_implILS5_0ELb0ES3_jN6thrust23THRUST_200600_302600_NS6detail15normal_iteratorINSA_10device_ptrIyEEEEPS6_SG_NS0_5tupleIJSF_SF_EEENSH_IJSG_SG_EEES6_PlJ7is_evenIyEEEE10hipError_tPvRmT3_T4_T5_T6_T7_T9_mT8_P12ihipStream_tbDpT10_ENKUlT_T0_E_clISt17integral_constantIbLb1EES16_EEDaS11_S12_EUlS11_E_NS1_11comp_targetILNS1_3genE9ELNS1_11target_archE1100ELNS1_3gpuE3ELNS1_3repE0EEENS1_30default_config_static_selectorELNS0_4arch9wavefront6targetE1EEEvT1_.kd
    .uniform_work_group_size: 1
    .uses_dynamic_stack: false
    .vgpr_count:     0
    .vgpr_spill_count: 0
    .wavefront_size: 64
  - .agpr_count:     0
    .args:
      - .offset:         0
        .size:           136
        .value_kind:     by_value
    .group_segment_fixed_size: 0
    .kernarg_segment_align: 8
    .kernarg_segment_size: 136
    .language:       OpenCL C
    .language_version:
      - 2
      - 0
    .max_flat_workgroup_size: 512
    .name:           _ZN7rocprim17ROCPRIM_400000_NS6detail17trampoline_kernelINS0_14default_configENS1_25partition_config_selectorILNS1_17partition_subalgoE0EyNS0_10empty_typeEbEEZZNS1_14partition_implILS5_0ELb0ES3_jN6thrust23THRUST_200600_302600_NS6detail15normal_iteratorINSA_10device_ptrIyEEEEPS6_SG_NS0_5tupleIJSF_SF_EEENSH_IJSG_SG_EEES6_PlJ7is_evenIyEEEE10hipError_tPvRmT3_T4_T5_T6_T7_T9_mT8_P12ihipStream_tbDpT10_ENKUlT_T0_E_clISt17integral_constantIbLb1EES16_EEDaS11_S12_EUlS11_E_NS1_11comp_targetILNS1_3genE8ELNS1_11target_archE1030ELNS1_3gpuE2ELNS1_3repE0EEENS1_30default_config_static_selectorELNS0_4arch9wavefront6targetE1EEEvT1_
    .private_segment_fixed_size: 0
    .sgpr_count:     4
    .sgpr_spill_count: 0
    .symbol:         _ZN7rocprim17ROCPRIM_400000_NS6detail17trampoline_kernelINS0_14default_configENS1_25partition_config_selectorILNS1_17partition_subalgoE0EyNS0_10empty_typeEbEEZZNS1_14partition_implILS5_0ELb0ES3_jN6thrust23THRUST_200600_302600_NS6detail15normal_iteratorINSA_10device_ptrIyEEEEPS6_SG_NS0_5tupleIJSF_SF_EEENSH_IJSG_SG_EEES6_PlJ7is_evenIyEEEE10hipError_tPvRmT3_T4_T5_T6_T7_T9_mT8_P12ihipStream_tbDpT10_ENKUlT_T0_E_clISt17integral_constantIbLb1EES16_EEDaS11_S12_EUlS11_E_NS1_11comp_targetILNS1_3genE8ELNS1_11target_archE1030ELNS1_3gpuE2ELNS1_3repE0EEENS1_30default_config_static_selectorELNS0_4arch9wavefront6targetE1EEEvT1_.kd
    .uniform_work_group_size: 1
    .uses_dynamic_stack: false
    .vgpr_count:     0
    .vgpr_spill_count: 0
    .wavefront_size: 64
  - .agpr_count:     0
    .args:
      - .offset:         0
        .size:           120
        .value_kind:     by_value
    .group_segment_fixed_size: 0
    .kernarg_segment_align: 8
    .kernarg_segment_size: 120
    .language:       OpenCL C
    .language_version:
      - 2
      - 0
    .max_flat_workgroup_size: 128
    .name:           _ZN7rocprim17ROCPRIM_400000_NS6detail17trampoline_kernelINS0_14default_configENS1_25partition_config_selectorILNS1_17partition_subalgoE0EyNS0_10empty_typeEbEEZZNS1_14partition_implILS5_0ELb0ES3_jN6thrust23THRUST_200600_302600_NS6detail15normal_iteratorINSA_10device_ptrIyEEEEPS6_SG_NS0_5tupleIJSF_SF_EEENSH_IJSG_SG_EEES6_PlJ7is_evenIyEEEE10hipError_tPvRmT3_T4_T5_T6_T7_T9_mT8_P12ihipStream_tbDpT10_ENKUlT_T0_E_clISt17integral_constantIbLb1EES15_IbLb0EEEEDaS11_S12_EUlS11_E_NS1_11comp_targetILNS1_3genE0ELNS1_11target_archE4294967295ELNS1_3gpuE0ELNS1_3repE0EEENS1_30default_config_static_selectorELNS0_4arch9wavefront6targetE1EEEvT1_
    .private_segment_fixed_size: 0
    .sgpr_count:     4
    .sgpr_spill_count: 0
    .symbol:         _ZN7rocprim17ROCPRIM_400000_NS6detail17trampoline_kernelINS0_14default_configENS1_25partition_config_selectorILNS1_17partition_subalgoE0EyNS0_10empty_typeEbEEZZNS1_14partition_implILS5_0ELb0ES3_jN6thrust23THRUST_200600_302600_NS6detail15normal_iteratorINSA_10device_ptrIyEEEEPS6_SG_NS0_5tupleIJSF_SF_EEENSH_IJSG_SG_EEES6_PlJ7is_evenIyEEEE10hipError_tPvRmT3_T4_T5_T6_T7_T9_mT8_P12ihipStream_tbDpT10_ENKUlT_T0_E_clISt17integral_constantIbLb1EES15_IbLb0EEEEDaS11_S12_EUlS11_E_NS1_11comp_targetILNS1_3genE0ELNS1_11target_archE4294967295ELNS1_3gpuE0ELNS1_3repE0EEENS1_30default_config_static_selectorELNS0_4arch9wavefront6targetE1EEEvT1_.kd
    .uniform_work_group_size: 1
    .uses_dynamic_stack: false
    .vgpr_count:     0
    .vgpr_spill_count: 0
    .wavefront_size: 64
  - .agpr_count:     0
    .args:
      - .offset:         0
        .size:           120
        .value_kind:     by_value
    .group_segment_fixed_size: 0
    .kernarg_segment_align: 8
    .kernarg_segment_size: 120
    .language:       OpenCL C
    .language_version:
      - 2
      - 0
    .max_flat_workgroup_size: 512
    .name:           _ZN7rocprim17ROCPRIM_400000_NS6detail17trampoline_kernelINS0_14default_configENS1_25partition_config_selectorILNS1_17partition_subalgoE0EyNS0_10empty_typeEbEEZZNS1_14partition_implILS5_0ELb0ES3_jN6thrust23THRUST_200600_302600_NS6detail15normal_iteratorINSA_10device_ptrIyEEEEPS6_SG_NS0_5tupleIJSF_SF_EEENSH_IJSG_SG_EEES6_PlJ7is_evenIyEEEE10hipError_tPvRmT3_T4_T5_T6_T7_T9_mT8_P12ihipStream_tbDpT10_ENKUlT_T0_E_clISt17integral_constantIbLb1EES15_IbLb0EEEEDaS11_S12_EUlS11_E_NS1_11comp_targetILNS1_3genE5ELNS1_11target_archE942ELNS1_3gpuE9ELNS1_3repE0EEENS1_30default_config_static_selectorELNS0_4arch9wavefront6targetE1EEEvT1_
    .private_segment_fixed_size: 0
    .sgpr_count:     4
    .sgpr_spill_count: 0
    .symbol:         _ZN7rocprim17ROCPRIM_400000_NS6detail17trampoline_kernelINS0_14default_configENS1_25partition_config_selectorILNS1_17partition_subalgoE0EyNS0_10empty_typeEbEEZZNS1_14partition_implILS5_0ELb0ES3_jN6thrust23THRUST_200600_302600_NS6detail15normal_iteratorINSA_10device_ptrIyEEEEPS6_SG_NS0_5tupleIJSF_SF_EEENSH_IJSG_SG_EEES6_PlJ7is_evenIyEEEE10hipError_tPvRmT3_T4_T5_T6_T7_T9_mT8_P12ihipStream_tbDpT10_ENKUlT_T0_E_clISt17integral_constantIbLb1EES15_IbLb0EEEEDaS11_S12_EUlS11_E_NS1_11comp_targetILNS1_3genE5ELNS1_11target_archE942ELNS1_3gpuE9ELNS1_3repE0EEENS1_30default_config_static_selectorELNS0_4arch9wavefront6targetE1EEEvT1_.kd
    .uniform_work_group_size: 1
    .uses_dynamic_stack: false
    .vgpr_count:     0
    .vgpr_spill_count: 0
    .wavefront_size: 64
  - .agpr_count:     0
    .args:
      - .offset:         0
        .size:           120
        .value_kind:     by_value
    .group_segment_fixed_size: 6344
    .kernarg_segment_align: 8
    .kernarg_segment_size: 120
    .language:       OpenCL C
    .language_version:
      - 2
      - 0
    .max_flat_workgroup_size: 192
    .name:           _ZN7rocprim17ROCPRIM_400000_NS6detail17trampoline_kernelINS0_14default_configENS1_25partition_config_selectorILNS1_17partition_subalgoE0EyNS0_10empty_typeEbEEZZNS1_14partition_implILS5_0ELb0ES3_jN6thrust23THRUST_200600_302600_NS6detail15normal_iteratorINSA_10device_ptrIyEEEEPS6_SG_NS0_5tupleIJSF_SF_EEENSH_IJSG_SG_EEES6_PlJ7is_evenIyEEEE10hipError_tPvRmT3_T4_T5_T6_T7_T9_mT8_P12ihipStream_tbDpT10_ENKUlT_T0_E_clISt17integral_constantIbLb1EES15_IbLb0EEEEDaS11_S12_EUlS11_E_NS1_11comp_targetILNS1_3genE4ELNS1_11target_archE910ELNS1_3gpuE8ELNS1_3repE0EEENS1_30default_config_static_selectorELNS0_4arch9wavefront6targetE1EEEvT1_
    .private_segment_fixed_size: 0
    .sgpr_count:     48
    .sgpr_spill_count: 0
    .symbol:         _ZN7rocprim17ROCPRIM_400000_NS6detail17trampoline_kernelINS0_14default_configENS1_25partition_config_selectorILNS1_17partition_subalgoE0EyNS0_10empty_typeEbEEZZNS1_14partition_implILS5_0ELb0ES3_jN6thrust23THRUST_200600_302600_NS6detail15normal_iteratorINSA_10device_ptrIyEEEEPS6_SG_NS0_5tupleIJSF_SF_EEENSH_IJSG_SG_EEES6_PlJ7is_evenIyEEEE10hipError_tPvRmT3_T4_T5_T6_T7_T9_mT8_P12ihipStream_tbDpT10_ENKUlT_T0_E_clISt17integral_constantIbLb1EES15_IbLb0EEEEDaS11_S12_EUlS11_E_NS1_11comp_targetILNS1_3genE4ELNS1_11target_archE910ELNS1_3gpuE8ELNS1_3repE0EEENS1_30default_config_static_selectorELNS0_4arch9wavefront6targetE1EEEvT1_.kd
    .uniform_work_group_size: 1
    .uses_dynamic_stack: false
    .vgpr_count:     43
    .vgpr_spill_count: 0
    .wavefront_size: 64
  - .agpr_count:     0
    .args:
      - .offset:         0
        .size:           120
        .value_kind:     by_value
    .group_segment_fixed_size: 0
    .kernarg_segment_align: 8
    .kernarg_segment_size: 120
    .language:       OpenCL C
    .language_version:
      - 2
      - 0
    .max_flat_workgroup_size: 128
    .name:           _ZN7rocprim17ROCPRIM_400000_NS6detail17trampoline_kernelINS0_14default_configENS1_25partition_config_selectorILNS1_17partition_subalgoE0EyNS0_10empty_typeEbEEZZNS1_14partition_implILS5_0ELb0ES3_jN6thrust23THRUST_200600_302600_NS6detail15normal_iteratorINSA_10device_ptrIyEEEEPS6_SG_NS0_5tupleIJSF_SF_EEENSH_IJSG_SG_EEES6_PlJ7is_evenIyEEEE10hipError_tPvRmT3_T4_T5_T6_T7_T9_mT8_P12ihipStream_tbDpT10_ENKUlT_T0_E_clISt17integral_constantIbLb1EES15_IbLb0EEEEDaS11_S12_EUlS11_E_NS1_11comp_targetILNS1_3genE3ELNS1_11target_archE908ELNS1_3gpuE7ELNS1_3repE0EEENS1_30default_config_static_selectorELNS0_4arch9wavefront6targetE1EEEvT1_
    .private_segment_fixed_size: 0
    .sgpr_count:     4
    .sgpr_spill_count: 0
    .symbol:         _ZN7rocprim17ROCPRIM_400000_NS6detail17trampoline_kernelINS0_14default_configENS1_25partition_config_selectorILNS1_17partition_subalgoE0EyNS0_10empty_typeEbEEZZNS1_14partition_implILS5_0ELb0ES3_jN6thrust23THRUST_200600_302600_NS6detail15normal_iteratorINSA_10device_ptrIyEEEEPS6_SG_NS0_5tupleIJSF_SF_EEENSH_IJSG_SG_EEES6_PlJ7is_evenIyEEEE10hipError_tPvRmT3_T4_T5_T6_T7_T9_mT8_P12ihipStream_tbDpT10_ENKUlT_T0_E_clISt17integral_constantIbLb1EES15_IbLb0EEEEDaS11_S12_EUlS11_E_NS1_11comp_targetILNS1_3genE3ELNS1_11target_archE908ELNS1_3gpuE7ELNS1_3repE0EEENS1_30default_config_static_selectorELNS0_4arch9wavefront6targetE1EEEvT1_.kd
    .uniform_work_group_size: 1
    .uses_dynamic_stack: false
    .vgpr_count:     0
    .vgpr_spill_count: 0
    .wavefront_size: 64
  - .agpr_count:     0
    .args:
      - .offset:         0
        .size:           120
        .value_kind:     by_value
    .group_segment_fixed_size: 0
    .kernarg_segment_align: 8
    .kernarg_segment_size: 120
    .language:       OpenCL C
    .language_version:
      - 2
      - 0
    .max_flat_workgroup_size: 256
    .name:           _ZN7rocprim17ROCPRIM_400000_NS6detail17trampoline_kernelINS0_14default_configENS1_25partition_config_selectorILNS1_17partition_subalgoE0EyNS0_10empty_typeEbEEZZNS1_14partition_implILS5_0ELb0ES3_jN6thrust23THRUST_200600_302600_NS6detail15normal_iteratorINSA_10device_ptrIyEEEEPS6_SG_NS0_5tupleIJSF_SF_EEENSH_IJSG_SG_EEES6_PlJ7is_evenIyEEEE10hipError_tPvRmT3_T4_T5_T6_T7_T9_mT8_P12ihipStream_tbDpT10_ENKUlT_T0_E_clISt17integral_constantIbLb1EES15_IbLb0EEEEDaS11_S12_EUlS11_E_NS1_11comp_targetILNS1_3genE2ELNS1_11target_archE906ELNS1_3gpuE6ELNS1_3repE0EEENS1_30default_config_static_selectorELNS0_4arch9wavefront6targetE1EEEvT1_
    .private_segment_fixed_size: 0
    .sgpr_count:     4
    .sgpr_spill_count: 0
    .symbol:         _ZN7rocprim17ROCPRIM_400000_NS6detail17trampoline_kernelINS0_14default_configENS1_25partition_config_selectorILNS1_17partition_subalgoE0EyNS0_10empty_typeEbEEZZNS1_14partition_implILS5_0ELb0ES3_jN6thrust23THRUST_200600_302600_NS6detail15normal_iteratorINSA_10device_ptrIyEEEEPS6_SG_NS0_5tupleIJSF_SF_EEENSH_IJSG_SG_EEES6_PlJ7is_evenIyEEEE10hipError_tPvRmT3_T4_T5_T6_T7_T9_mT8_P12ihipStream_tbDpT10_ENKUlT_T0_E_clISt17integral_constantIbLb1EES15_IbLb0EEEEDaS11_S12_EUlS11_E_NS1_11comp_targetILNS1_3genE2ELNS1_11target_archE906ELNS1_3gpuE6ELNS1_3repE0EEENS1_30default_config_static_selectorELNS0_4arch9wavefront6targetE1EEEvT1_.kd
    .uniform_work_group_size: 1
    .uses_dynamic_stack: false
    .vgpr_count:     0
    .vgpr_spill_count: 0
    .wavefront_size: 64
  - .agpr_count:     0
    .args:
      - .offset:         0
        .size:           120
        .value_kind:     by_value
    .group_segment_fixed_size: 0
    .kernarg_segment_align: 8
    .kernarg_segment_size: 120
    .language:       OpenCL C
    .language_version:
      - 2
      - 0
    .max_flat_workgroup_size: 512
    .name:           _ZN7rocprim17ROCPRIM_400000_NS6detail17trampoline_kernelINS0_14default_configENS1_25partition_config_selectorILNS1_17partition_subalgoE0EyNS0_10empty_typeEbEEZZNS1_14partition_implILS5_0ELb0ES3_jN6thrust23THRUST_200600_302600_NS6detail15normal_iteratorINSA_10device_ptrIyEEEEPS6_SG_NS0_5tupleIJSF_SF_EEENSH_IJSG_SG_EEES6_PlJ7is_evenIyEEEE10hipError_tPvRmT3_T4_T5_T6_T7_T9_mT8_P12ihipStream_tbDpT10_ENKUlT_T0_E_clISt17integral_constantIbLb1EES15_IbLb0EEEEDaS11_S12_EUlS11_E_NS1_11comp_targetILNS1_3genE10ELNS1_11target_archE1200ELNS1_3gpuE4ELNS1_3repE0EEENS1_30default_config_static_selectorELNS0_4arch9wavefront6targetE1EEEvT1_
    .private_segment_fixed_size: 0
    .sgpr_count:     4
    .sgpr_spill_count: 0
    .symbol:         _ZN7rocprim17ROCPRIM_400000_NS6detail17trampoline_kernelINS0_14default_configENS1_25partition_config_selectorILNS1_17partition_subalgoE0EyNS0_10empty_typeEbEEZZNS1_14partition_implILS5_0ELb0ES3_jN6thrust23THRUST_200600_302600_NS6detail15normal_iteratorINSA_10device_ptrIyEEEEPS6_SG_NS0_5tupleIJSF_SF_EEENSH_IJSG_SG_EEES6_PlJ7is_evenIyEEEE10hipError_tPvRmT3_T4_T5_T6_T7_T9_mT8_P12ihipStream_tbDpT10_ENKUlT_T0_E_clISt17integral_constantIbLb1EES15_IbLb0EEEEDaS11_S12_EUlS11_E_NS1_11comp_targetILNS1_3genE10ELNS1_11target_archE1200ELNS1_3gpuE4ELNS1_3repE0EEENS1_30default_config_static_selectorELNS0_4arch9wavefront6targetE1EEEvT1_.kd
    .uniform_work_group_size: 1
    .uses_dynamic_stack: false
    .vgpr_count:     0
    .vgpr_spill_count: 0
    .wavefront_size: 64
  - .agpr_count:     0
    .args:
      - .offset:         0
        .size:           120
        .value_kind:     by_value
    .group_segment_fixed_size: 0
    .kernarg_segment_align: 8
    .kernarg_segment_size: 120
    .language:       OpenCL C
    .language_version:
      - 2
      - 0
    .max_flat_workgroup_size: 512
    .name:           _ZN7rocprim17ROCPRIM_400000_NS6detail17trampoline_kernelINS0_14default_configENS1_25partition_config_selectorILNS1_17partition_subalgoE0EyNS0_10empty_typeEbEEZZNS1_14partition_implILS5_0ELb0ES3_jN6thrust23THRUST_200600_302600_NS6detail15normal_iteratorINSA_10device_ptrIyEEEEPS6_SG_NS0_5tupleIJSF_SF_EEENSH_IJSG_SG_EEES6_PlJ7is_evenIyEEEE10hipError_tPvRmT3_T4_T5_T6_T7_T9_mT8_P12ihipStream_tbDpT10_ENKUlT_T0_E_clISt17integral_constantIbLb1EES15_IbLb0EEEEDaS11_S12_EUlS11_E_NS1_11comp_targetILNS1_3genE9ELNS1_11target_archE1100ELNS1_3gpuE3ELNS1_3repE0EEENS1_30default_config_static_selectorELNS0_4arch9wavefront6targetE1EEEvT1_
    .private_segment_fixed_size: 0
    .sgpr_count:     4
    .sgpr_spill_count: 0
    .symbol:         _ZN7rocprim17ROCPRIM_400000_NS6detail17trampoline_kernelINS0_14default_configENS1_25partition_config_selectorILNS1_17partition_subalgoE0EyNS0_10empty_typeEbEEZZNS1_14partition_implILS5_0ELb0ES3_jN6thrust23THRUST_200600_302600_NS6detail15normal_iteratorINSA_10device_ptrIyEEEEPS6_SG_NS0_5tupleIJSF_SF_EEENSH_IJSG_SG_EEES6_PlJ7is_evenIyEEEE10hipError_tPvRmT3_T4_T5_T6_T7_T9_mT8_P12ihipStream_tbDpT10_ENKUlT_T0_E_clISt17integral_constantIbLb1EES15_IbLb0EEEEDaS11_S12_EUlS11_E_NS1_11comp_targetILNS1_3genE9ELNS1_11target_archE1100ELNS1_3gpuE3ELNS1_3repE0EEENS1_30default_config_static_selectorELNS0_4arch9wavefront6targetE1EEEvT1_.kd
    .uniform_work_group_size: 1
    .uses_dynamic_stack: false
    .vgpr_count:     0
    .vgpr_spill_count: 0
    .wavefront_size: 64
  - .agpr_count:     0
    .args:
      - .offset:         0
        .size:           120
        .value_kind:     by_value
    .group_segment_fixed_size: 0
    .kernarg_segment_align: 8
    .kernarg_segment_size: 120
    .language:       OpenCL C
    .language_version:
      - 2
      - 0
    .max_flat_workgroup_size: 512
    .name:           _ZN7rocprim17ROCPRIM_400000_NS6detail17trampoline_kernelINS0_14default_configENS1_25partition_config_selectorILNS1_17partition_subalgoE0EyNS0_10empty_typeEbEEZZNS1_14partition_implILS5_0ELb0ES3_jN6thrust23THRUST_200600_302600_NS6detail15normal_iteratorINSA_10device_ptrIyEEEEPS6_SG_NS0_5tupleIJSF_SF_EEENSH_IJSG_SG_EEES6_PlJ7is_evenIyEEEE10hipError_tPvRmT3_T4_T5_T6_T7_T9_mT8_P12ihipStream_tbDpT10_ENKUlT_T0_E_clISt17integral_constantIbLb1EES15_IbLb0EEEEDaS11_S12_EUlS11_E_NS1_11comp_targetILNS1_3genE8ELNS1_11target_archE1030ELNS1_3gpuE2ELNS1_3repE0EEENS1_30default_config_static_selectorELNS0_4arch9wavefront6targetE1EEEvT1_
    .private_segment_fixed_size: 0
    .sgpr_count:     4
    .sgpr_spill_count: 0
    .symbol:         _ZN7rocprim17ROCPRIM_400000_NS6detail17trampoline_kernelINS0_14default_configENS1_25partition_config_selectorILNS1_17partition_subalgoE0EyNS0_10empty_typeEbEEZZNS1_14partition_implILS5_0ELb0ES3_jN6thrust23THRUST_200600_302600_NS6detail15normal_iteratorINSA_10device_ptrIyEEEEPS6_SG_NS0_5tupleIJSF_SF_EEENSH_IJSG_SG_EEES6_PlJ7is_evenIyEEEE10hipError_tPvRmT3_T4_T5_T6_T7_T9_mT8_P12ihipStream_tbDpT10_ENKUlT_T0_E_clISt17integral_constantIbLb1EES15_IbLb0EEEEDaS11_S12_EUlS11_E_NS1_11comp_targetILNS1_3genE8ELNS1_11target_archE1030ELNS1_3gpuE2ELNS1_3repE0EEENS1_30default_config_static_selectorELNS0_4arch9wavefront6targetE1EEEvT1_.kd
    .uniform_work_group_size: 1
    .uses_dynamic_stack: false
    .vgpr_count:     0
    .vgpr_spill_count: 0
    .wavefront_size: 64
  - .agpr_count:     0
    .args:
      - .offset:         0
        .size:           136
        .value_kind:     by_value
    .group_segment_fixed_size: 0
    .kernarg_segment_align: 8
    .kernarg_segment_size: 136
    .language:       OpenCL C
    .language_version:
      - 2
      - 0
    .max_flat_workgroup_size: 128
    .name:           _ZN7rocprim17ROCPRIM_400000_NS6detail17trampoline_kernelINS0_14default_configENS1_25partition_config_selectorILNS1_17partition_subalgoE0EyNS0_10empty_typeEbEEZZNS1_14partition_implILS5_0ELb0ES3_jN6thrust23THRUST_200600_302600_NS6detail15normal_iteratorINSA_10device_ptrIyEEEEPS6_SG_NS0_5tupleIJSF_SF_EEENSH_IJSG_SG_EEES6_PlJ7is_evenIyEEEE10hipError_tPvRmT3_T4_T5_T6_T7_T9_mT8_P12ihipStream_tbDpT10_ENKUlT_T0_E_clISt17integral_constantIbLb0EES15_IbLb1EEEEDaS11_S12_EUlS11_E_NS1_11comp_targetILNS1_3genE0ELNS1_11target_archE4294967295ELNS1_3gpuE0ELNS1_3repE0EEENS1_30default_config_static_selectorELNS0_4arch9wavefront6targetE1EEEvT1_
    .private_segment_fixed_size: 0
    .sgpr_count:     4
    .sgpr_spill_count: 0
    .symbol:         _ZN7rocprim17ROCPRIM_400000_NS6detail17trampoline_kernelINS0_14default_configENS1_25partition_config_selectorILNS1_17partition_subalgoE0EyNS0_10empty_typeEbEEZZNS1_14partition_implILS5_0ELb0ES3_jN6thrust23THRUST_200600_302600_NS6detail15normal_iteratorINSA_10device_ptrIyEEEEPS6_SG_NS0_5tupleIJSF_SF_EEENSH_IJSG_SG_EEES6_PlJ7is_evenIyEEEE10hipError_tPvRmT3_T4_T5_T6_T7_T9_mT8_P12ihipStream_tbDpT10_ENKUlT_T0_E_clISt17integral_constantIbLb0EES15_IbLb1EEEEDaS11_S12_EUlS11_E_NS1_11comp_targetILNS1_3genE0ELNS1_11target_archE4294967295ELNS1_3gpuE0ELNS1_3repE0EEENS1_30default_config_static_selectorELNS0_4arch9wavefront6targetE1EEEvT1_.kd
    .uniform_work_group_size: 1
    .uses_dynamic_stack: false
    .vgpr_count:     0
    .vgpr_spill_count: 0
    .wavefront_size: 64
  - .agpr_count:     0
    .args:
      - .offset:         0
        .size:           136
        .value_kind:     by_value
    .group_segment_fixed_size: 0
    .kernarg_segment_align: 8
    .kernarg_segment_size: 136
    .language:       OpenCL C
    .language_version:
      - 2
      - 0
    .max_flat_workgroup_size: 512
    .name:           _ZN7rocprim17ROCPRIM_400000_NS6detail17trampoline_kernelINS0_14default_configENS1_25partition_config_selectorILNS1_17partition_subalgoE0EyNS0_10empty_typeEbEEZZNS1_14partition_implILS5_0ELb0ES3_jN6thrust23THRUST_200600_302600_NS6detail15normal_iteratorINSA_10device_ptrIyEEEEPS6_SG_NS0_5tupleIJSF_SF_EEENSH_IJSG_SG_EEES6_PlJ7is_evenIyEEEE10hipError_tPvRmT3_T4_T5_T6_T7_T9_mT8_P12ihipStream_tbDpT10_ENKUlT_T0_E_clISt17integral_constantIbLb0EES15_IbLb1EEEEDaS11_S12_EUlS11_E_NS1_11comp_targetILNS1_3genE5ELNS1_11target_archE942ELNS1_3gpuE9ELNS1_3repE0EEENS1_30default_config_static_selectorELNS0_4arch9wavefront6targetE1EEEvT1_
    .private_segment_fixed_size: 0
    .sgpr_count:     4
    .sgpr_spill_count: 0
    .symbol:         _ZN7rocprim17ROCPRIM_400000_NS6detail17trampoline_kernelINS0_14default_configENS1_25partition_config_selectorILNS1_17partition_subalgoE0EyNS0_10empty_typeEbEEZZNS1_14partition_implILS5_0ELb0ES3_jN6thrust23THRUST_200600_302600_NS6detail15normal_iteratorINSA_10device_ptrIyEEEEPS6_SG_NS0_5tupleIJSF_SF_EEENSH_IJSG_SG_EEES6_PlJ7is_evenIyEEEE10hipError_tPvRmT3_T4_T5_T6_T7_T9_mT8_P12ihipStream_tbDpT10_ENKUlT_T0_E_clISt17integral_constantIbLb0EES15_IbLb1EEEEDaS11_S12_EUlS11_E_NS1_11comp_targetILNS1_3genE5ELNS1_11target_archE942ELNS1_3gpuE9ELNS1_3repE0EEENS1_30default_config_static_selectorELNS0_4arch9wavefront6targetE1EEEvT1_.kd
    .uniform_work_group_size: 1
    .uses_dynamic_stack: false
    .vgpr_count:     0
    .vgpr_spill_count: 0
    .wavefront_size: 64
  - .agpr_count:     0
    .args:
      - .offset:         0
        .size:           136
        .value_kind:     by_value
    .group_segment_fixed_size: 6344
    .kernarg_segment_align: 8
    .kernarg_segment_size: 136
    .language:       OpenCL C
    .language_version:
      - 2
      - 0
    .max_flat_workgroup_size: 192
    .name:           _ZN7rocprim17ROCPRIM_400000_NS6detail17trampoline_kernelINS0_14default_configENS1_25partition_config_selectorILNS1_17partition_subalgoE0EyNS0_10empty_typeEbEEZZNS1_14partition_implILS5_0ELb0ES3_jN6thrust23THRUST_200600_302600_NS6detail15normal_iteratorINSA_10device_ptrIyEEEEPS6_SG_NS0_5tupleIJSF_SF_EEENSH_IJSG_SG_EEES6_PlJ7is_evenIyEEEE10hipError_tPvRmT3_T4_T5_T6_T7_T9_mT8_P12ihipStream_tbDpT10_ENKUlT_T0_E_clISt17integral_constantIbLb0EES15_IbLb1EEEEDaS11_S12_EUlS11_E_NS1_11comp_targetILNS1_3genE4ELNS1_11target_archE910ELNS1_3gpuE8ELNS1_3repE0EEENS1_30default_config_static_selectorELNS0_4arch9wavefront6targetE1EEEvT1_
    .private_segment_fixed_size: 0
    .sgpr_count:     48
    .sgpr_spill_count: 0
    .symbol:         _ZN7rocprim17ROCPRIM_400000_NS6detail17trampoline_kernelINS0_14default_configENS1_25partition_config_selectorILNS1_17partition_subalgoE0EyNS0_10empty_typeEbEEZZNS1_14partition_implILS5_0ELb0ES3_jN6thrust23THRUST_200600_302600_NS6detail15normal_iteratorINSA_10device_ptrIyEEEEPS6_SG_NS0_5tupleIJSF_SF_EEENSH_IJSG_SG_EEES6_PlJ7is_evenIyEEEE10hipError_tPvRmT3_T4_T5_T6_T7_T9_mT8_P12ihipStream_tbDpT10_ENKUlT_T0_E_clISt17integral_constantIbLb0EES15_IbLb1EEEEDaS11_S12_EUlS11_E_NS1_11comp_targetILNS1_3genE4ELNS1_11target_archE910ELNS1_3gpuE8ELNS1_3repE0EEENS1_30default_config_static_selectorELNS0_4arch9wavefront6targetE1EEEvT1_.kd
    .uniform_work_group_size: 1
    .uses_dynamic_stack: false
    .vgpr_count:     47
    .vgpr_spill_count: 0
    .wavefront_size: 64
  - .agpr_count:     0
    .args:
      - .offset:         0
        .size:           136
        .value_kind:     by_value
    .group_segment_fixed_size: 0
    .kernarg_segment_align: 8
    .kernarg_segment_size: 136
    .language:       OpenCL C
    .language_version:
      - 2
      - 0
    .max_flat_workgroup_size: 128
    .name:           _ZN7rocprim17ROCPRIM_400000_NS6detail17trampoline_kernelINS0_14default_configENS1_25partition_config_selectorILNS1_17partition_subalgoE0EyNS0_10empty_typeEbEEZZNS1_14partition_implILS5_0ELb0ES3_jN6thrust23THRUST_200600_302600_NS6detail15normal_iteratorINSA_10device_ptrIyEEEEPS6_SG_NS0_5tupleIJSF_SF_EEENSH_IJSG_SG_EEES6_PlJ7is_evenIyEEEE10hipError_tPvRmT3_T4_T5_T6_T7_T9_mT8_P12ihipStream_tbDpT10_ENKUlT_T0_E_clISt17integral_constantIbLb0EES15_IbLb1EEEEDaS11_S12_EUlS11_E_NS1_11comp_targetILNS1_3genE3ELNS1_11target_archE908ELNS1_3gpuE7ELNS1_3repE0EEENS1_30default_config_static_selectorELNS0_4arch9wavefront6targetE1EEEvT1_
    .private_segment_fixed_size: 0
    .sgpr_count:     4
    .sgpr_spill_count: 0
    .symbol:         _ZN7rocprim17ROCPRIM_400000_NS6detail17trampoline_kernelINS0_14default_configENS1_25partition_config_selectorILNS1_17partition_subalgoE0EyNS0_10empty_typeEbEEZZNS1_14partition_implILS5_0ELb0ES3_jN6thrust23THRUST_200600_302600_NS6detail15normal_iteratorINSA_10device_ptrIyEEEEPS6_SG_NS0_5tupleIJSF_SF_EEENSH_IJSG_SG_EEES6_PlJ7is_evenIyEEEE10hipError_tPvRmT3_T4_T5_T6_T7_T9_mT8_P12ihipStream_tbDpT10_ENKUlT_T0_E_clISt17integral_constantIbLb0EES15_IbLb1EEEEDaS11_S12_EUlS11_E_NS1_11comp_targetILNS1_3genE3ELNS1_11target_archE908ELNS1_3gpuE7ELNS1_3repE0EEENS1_30default_config_static_selectorELNS0_4arch9wavefront6targetE1EEEvT1_.kd
    .uniform_work_group_size: 1
    .uses_dynamic_stack: false
    .vgpr_count:     0
    .vgpr_spill_count: 0
    .wavefront_size: 64
  - .agpr_count:     0
    .args:
      - .offset:         0
        .size:           136
        .value_kind:     by_value
    .group_segment_fixed_size: 0
    .kernarg_segment_align: 8
    .kernarg_segment_size: 136
    .language:       OpenCL C
    .language_version:
      - 2
      - 0
    .max_flat_workgroup_size: 256
    .name:           _ZN7rocprim17ROCPRIM_400000_NS6detail17trampoline_kernelINS0_14default_configENS1_25partition_config_selectorILNS1_17partition_subalgoE0EyNS0_10empty_typeEbEEZZNS1_14partition_implILS5_0ELb0ES3_jN6thrust23THRUST_200600_302600_NS6detail15normal_iteratorINSA_10device_ptrIyEEEEPS6_SG_NS0_5tupleIJSF_SF_EEENSH_IJSG_SG_EEES6_PlJ7is_evenIyEEEE10hipError_tPvRmT3_T4_T5_T6_T7_T9_mT8_P12ihipStream_tbDpT10_ENKUlT_T0_E_clISt17integral_constantIbLb0EES15_IbLb1EEEEDaS11_S12_EUlS11_E_NS1_11comp_targetILNS1_3genE2ELNS1_11target_archE906ELNS1_3gpuE6ELNS1_3repE0EEENS1_30default_config_static_selectorELNS0_4arch9wavefront6targetE1EEEvT1_
    .private_segment_fixed_size: 0
    .sgpr_count:     4
    .sgpr_spill_count: 0
    .symbol:         _ZN7rocprim17ROCPRIM_400000_NS6detail17trampoline_kernelINS0_14default_configENS1_25partition_config_selectorILNS1_17partition_subalgoE0EyNS0_10empty_typeEbEEZZNS1_14partition_implILS5_0ELb0ES3_jN6thrust23THRUST_200600_302600_NS6detail15normal_iteratorINSA_10device_ptrIyEEEEPS6_SG_NS0_5tupleIJSF_SF_EEENSH_IJSG_SG_EEES6_PlJ7is_evenIyEEEE10hipError_tPvRmT3_T4_T5_T6_T7_T9_mT8_P12ihipStream_tbDpT10_ENKUlT_T0_E_clISt17integral_constantIbLb0EES15_IbLb1EEEEDaS11_S12_EUlS11_E_NS1_11comp_targetILNS1_3genE2ELNS1_11target_archE906ELNS1_3gpuE6ELNS1_3repE0EEENS1_30default_config_static_selectorELNS0_4arch9wavefront6targetE1EEEvT1_.kd
    .uniform_work_group_size: 1
    .uses_dynamic_stack: false
    .vgpr_count:     0
    .vgpr_spill_count: 0
    .wavefront_size: 64
  - .agpr_count:     0
    .args:
      - .offset:         0
        .size:           136
        .value_kind:     by_value
    .group_segment_fixed_size: 0
    .kernarg_segment_align: 8
    .kernarg_segment_size: 136
    .language:       OpenCL C
    .language_version:
      - 2
      - 0
    .max_flat_workgroup_size: 512
    .name:           _ZN7rocprim17ROCPRIM_400000_NS6detail17trampoline_kernelINS0_14default_configENS1_25partition_config_selectorILNS1_17partition_subalgoE0EyNS0_10empty_typeEbEEZZNS1_14partition_implILS5_0ELb0ES3_jN6thrust23THRUST_200600_302600_NS6detail15normal_iteratorINSA_10device_ptrIyEEEEPS6_SG_NS0_5tupleIJSF_SF_EEENSH_IJSG_SG_EEES6_PlJ7is_evenIyEEEE10hipError_tPvRmT3_T4_T5_T6_T7_T9_mT8_P12ihipStream_tbDpT10_ENKUlT_T0_E_clISt17integral_constantIbLb0EES15_IbLb1EEEEDaS11_S12_EUlS11_E_NS1_11comp_targetILNS1_3genE10ELNS1_11target_archE1200ELNS1_3gpuE4ELNS1_3repE0EEENS1_30default_config_static_selectorELNS0_4arch9wavefront6targetE1EEEvT1_
    .private_segment_fixed_size: 0
    .sgpr_count:     4
    .sgpr_spill_count: 0
    .symbol:         _ZN7rocprim17ROCPRIM_400000_NS6detail17trampoline_kernelINS0_14default_configENS1_25partition_config_selectorILNS1_17partition_subalgoE0EyNS0_10empty_typeEbEEZZNS1_14partition_implILS5_0ELb0ES3_jN6thrust23THRUST_200600_302600_NS6detail15normal_iteratorINSA_10device_ptrIyEEEEPS6_SG_NS0_5tupleIJSF_SF_EEENSH_IJSG_SG_EEES6_PlJ7is_evenIyEEEE10hipError_tPvRmT3_T4_T5_T6_T7_T9_mT8_P12ihipStream_tbDpT10_ENKUlT_T0_E_clISt17integral_constantIbLb0EES15_IbLb1EEEEDaS11_S12_EUlS11_E_NS1_11comp_targetILNS1_3genE10ELNS1_11target_archE1200ELNS1_3gpuE4ELNS1_3repE0EEENS1_30default_config_static_selectorELNS0_4arch9wavefront6targetE1EEEvT1_.kd
    .uniform_work_group_size: 1
    .uses_dynamic_stack: false
    .vgpr_count:     0
    .vgpr_spill_count: 0
    .wavefront_size: 64
  - .agpr_count:     0
    .args:
      - .offset:         0
        .size:           136
        .value_kind:     by_value
    .group_segment_fixed_size: 0
    .kernarg_segment_align: 8
    .kernarg_segment_size: 136
    .language:       OpenCL C
    .language_version:
      - 2
      - 0
    .max_flat_workgroup_size: 512
    .name:           _ZN7rocprim17ROCPRIM_400000_NS6detail17trampoline_kernelINS0_14default_configENS1_25partition_config_selectorILNS1_17partition_subalgoE0EyNS0_10empty_typeEbEEZZNS1_14partition_implILS5_0ELb0ES3_jN6thrust23THRUST_200600_302600_NS6detail15normal_iteratorINSA_10device_ptrIyEEEEPS6_SG_NS0_5tupleIJSF_SF_EEENSH_IJSG_SG_EEES6_PlJ7is_evenIyEEEE10hipError_tPvRmT3_T4_T5_T6_T7_T9_mT8_P12ihipStream_tbDpT10_ENKUlT_T0_E_clISt17integral_constantIbLb0EES15_IbLb1EEEEDaS11_S12_EUlS11_E_NS1_11comp_targetILNS1_3genE9ELNS1_11target_archE1100ELNS1_3gpuE3ELNS1_3repE0EEENS1_30default_config_static_selectorELNS0_4arch9wavefront6targetE1EEEvT1_
    .private_segment_fixed_size: 0
    .sgpr_count:     4
    .sgpr_spill_count: 0
    .symbol:         _ZN7rocprim17ROCPRIM_400000_NS6detail17trampoline_kernelINS0_14default_configENS1_25partition_config_selectorILNS1_17partition_subalgoE0EyNS0_10empty_typeEbEEZZNS1_14partition_implILS5_0ELb0ES3_jN6thrust23THRUST_200600_302600_NS6detail15normal_iteratorINSA_10device_ptrIyEEEEPS6_SG_NS0_5tupleIJSF_SF_EEENSH_IJSG_SG_EEES6_PlJ7is_evenIyEEEE10hipError_tPvRmT3_T4_T5_T6_T7_T9_mT8_P12ihipStream_tbDpT10_ENKUlT_T0_E_clISt17integral_constantIbLb0EES15_IbLb1EEEEDaS11_S12_EUlS11_E_NS1_11comp_targetILNS1_3genE9ELNS1_11target_archE1100ELNS1_3gpuE3ELNS1_3repE0EEENS1_30default_config_static_selectorELNS0_4arch9wavefront6targetE1EEEvT1_.kd
    .uniform_work_group_size: 1
    .uses_dynamic_stack: false
    .vgpr_count:     0
    .vgpr_spill_count: 0
    .wavefront_size: 64
  - .agpr_count:     0
    .args:
      - .offset:         0
        .size:           136
        .value_kind:     by_value
    .group_segment_fixed_size: 0
    .kernarg_segment_align: 8
    .kernarg_segment_size: 136
    .language:       OpenCL C
    .language_version:
      - 2
      - 0
    .max_flat_workgroup_size: 512
    .name:           _ZN7rocprim17ROCPRIM_400000_NS6detail17trampoline_kernelINS0_14default_configENS1_25partition_config_selectorILNS1_17partition_subalgoE0EyNS0_10empty_typeEbEEZZNS1_14partition_implILS5_0ELb0ES3_jN6thrust23THRUST_200600_302600_NS6detail15normal_iteratorINSA_10device_ptrIyEEEEPS6_SG_NS0_5tupleIJSF_SF_EEENSH_IJSG_SG_EEES6_PlJ7is_evenIyEEEE10hipError_tPvRmT3_T4_T5_T6_T7_T9_mT8_P12ihipStream_tbDpT10_ENKUlT_T0_E_clISt17integral_constantIbLb0EES15_IbLb1EEEEDaS11_S12_EUlS11_E_NS1_11comp_targetILNS1_3genE8ELNS1_11target_archE1030ELNS1_3gpuE2ELNS1_3repE0EEENS1_30default_config_static_selectorELNS0_4arch9wavefront6targetE1EEEvT1_
    .private_segment_fixed_size: 0
    .sgpr_count:     4
    .sgpr_spill_count: 0
    .symbol:         _ZN7rocprim17ROCPRIM_400000_NS6detail17trampoline_kernelINS0_14default_configENS1_25partition_config_selectorILNS1_17partition_subalgoE0EyNS0_10empty_typeEbEEZZNS1_14partition_implILS5_0ELb0ES3_jN6thrust23THRUST_200600_302600_NS6detail15normal_iteratorINSA_10device_ptrIyEEEEPS6_SG_NS0_5tupleIJSF_SF_EEENSH_IJSG_SG_EEES6_PlJ7is_evenIyEEEE10hipError_tPvRmT3_T4_T5_T6_T7_T9_mT8_P12ihipStream_tbDpT10_ENKUlT_T0_E_clISt17integral_constantIbLb0EES15_IbLb1EEEEDaS11_S12_EUlS11_E_NS1_11comp_targetILNS1_3genE8ELNS1_11target_archE1030ELNS1_3gpuE2ELNS1_3repE0EEENS1_30default_config_static_selectorELNS0_4arch9wavefront6targetE1EEEvT1_.kd
    .uniform_work_group_size: 1
    .uses_dynamic_stack: false
    .vgpr_count:     0
    .vgpr_spill_count: 0
    .wavefront_size: 64
  - .agpr_count:     0
    .args:
      - .offset:         0
        .size:           16
        .value_kind:     by_value
      - .offset:         16
        .size:           8
        .value_kind:     by_value
      - .offset:         24
        .size:           8
        .value_kind:     by_value
    .group_segment_fixed_size: 0
    .kernarg_segment_align: 8
    .kernarg_segment_size: 32
    .language:       OpenCL C
    .language_version:
      - 2
      - 0
    .max_flat_workgroup_size: 256
    .name:           _ZN6thrust23THRUST_200600_302600_NS11hip_rocprim14__parallel_for6kernelILj256ENS1_20__uninitialized_fill7functorINS0_10device_ptrIjEEjEEmLj1EEEvT0_T1_SA_
    .private_segment_fixed_size: 0
    .sgpr_count:     16
    .sgpr_spill_count: 0
    .symbol:         _ZN6thrust23THRUST_200600_302600_NS11hip_rocprim14__parallel_for6kernelILj256ENS1_20__uninitialized_fill7functorINS0_10device_ptrIjEEjEEmLj1EEEvT0_T1_SA_.kd
    .uniform_work_group_size: 1
    .uses_dynamic_stack: false
    .vgpr_count:     4
    .vgpr_spill_count: 0
    .wavefront_size: 64
  - .agpr_count:     0
    .args:
      - .offset:         0
        .size:           120
        .value_kind:     by_value
    .group_segment_fixed_size: 0
    .kernarg_segment_align: 8
    .kernarg_segment_size: 120
    .language:       OpenCL C
    .language_version:
      - 2
      - 0
    .max_flat_workgroup_size: 256
    .name:           _ZN7rocprim17ROCPRIM_400000_NS6detail17trampoline_kernelINS0_14default_configENS1_25partition_config_selectorILNS1_17partition_subalgoE0EjNS0_10empty_typeEbEEZZNS1_14partition_implILS5_0ELb0ES3_jN6thrust23THRUST_200600_302600_NS6detail15normal_iteratorINSA_10device_ptrIjEEEEPS6_SG_NS0_5tupleIJSF_SF_EEENSH_IJSG_SG_EEES6_PlJ7is_evenIjEEEE10hipError_tPvRmT3_T4_T5_T6_T7_T9_mT8_P12ihipStream_tbDpT10_ENKUlT_T0_E_clISt17integral_constantIbLb0EES16_EEDaS11_S12_EUlS11_E_NS1_11comp_targetILNS1_3genE0ELNS1_11target_archE4294967295ELNS1_3gpuE0ELNS1_3repE0EEENS1_30default_config_static_selectorELNS0_4arch9wavefront6targetE1EEEvT1_
    .private_segment_fixed_size: 0
    .sgpr_count:     4
    .sgpr_spill_count: 0
    .symbol:         _ZN7rocprim17ROCPRIM_400000_NS6detail17trampoline_kernelINS0_14default_configENS1_25partition_config_selectorILNS1_17partition_subalgoE0EjNS0_10empty_typeEbEEZZNS1_14partition_implILS5_0ELb0ES3_jN6thrust23THRUST_200600_302600_NS6detail15normal_iteratorINSA_10device_ptrIjEEEEPS6_SG_NS0_5tupleIJSF_SF_EEENSH_IJSG_SG_EEES6_PlJ7is_evenIjEEEE10hipError_tPvRmT3_T4_T5_T6_T7_T9_mT8_P12ihipStream_tbDpT10_ENKUlT_T0_E_clISt17integral_constantIbLb0EES16_EEDaS11_S12_EUlS11_E_NS1_11comp_targetILNS1_3genE0ELNS1_11target_archE4294967295ELNS1_3gpuE0ELNS1_3repE0EEENS1_30default_config_static_selectorELNS0_4arch9wavefront6targetE1EEEvT1_.kd
    .uniform_work_group_size: 1
    .uses_dynamic_stack: false
    .vgpr_count:     0
    .vgpr_spill_count: 0
    .wavefront_size: 64
  - .agpr_count:     0
    .args:
      - .offset:         0
        .size:           120
        .value_kind:     by_value
    .group_segment_fixed_size: 0
    .kernarg_segment_align: 8
    .kernarg_segment_size: 120
    .language:       OpenCL C
    .language_version:
      - 2
      - 0
    .max_flat_workgroup_size: 512
    .name:           _ZN7rocprim17ROCPRIM_400000_NS6detail17trampoline_kernelINS0_14default_configENS1_25partition_config_selectorILNS1_17partition_subalgoE0EjNS0_10empty_typeEbEEZZNS1_14partition_implILS5_0ELb0ES3_jN6thrust23THRUST_200600_302600_NS6detail15normal_iteratorINSA_10device_ptrIjEEEEPS6_SG_NS0_5tupleIJSF_SF_EEENSH_IJSG_SG_EEES6_PlJ7is_evenIjEEEE10hipError_tPvRmT3_T4_T5_T6_T7_T9_mT8_P12ihipStream_tbDpT10_ENKUlT_T0_E_clISt17integral_constantIbLb0EES16_EEDaS11_S12_EUlS11_E_NS1_11comp_targetILNS1_3genE5ELNS1_11target_archE942ELNS1_3gpuE9ELNS1_3repE0EEENS1_30default_config_static_selectorELNS0_4arch9wavefront6targetE1EEEvT1_
    .private_segment_fixed_size: 0
    .sgpr_count:     4
    .sgpr_spill_count: 0
    .symbol:         _ZN7rocprim17ROCPRIM_400000_NS6detail17trampoline_kernelINS0_14default_configENS1_25partition_config_selectorILNS1_17partition_subalgoE0EjNS0_10empty_typeEbEEZZNS1_14partition_implILS5_0ELb0ES3_jN6thrust23THRUST_200600_302600_NS6detail15normal_iteratorINSA_10device_ptrIjEEEEPS6_SG_NS0_5tupleIJSF_SF_EEENSH_IJSG_SG_EEES6_PlJ7is_evenIjEEEE10hipError_tPvRmT3_T4_T5_T6_T7_T9_mT8_P12ihipStream_tbDpT10_ENKUlT_T0_E_clISt17integral_constantIbLb0EES16_EEDaS11_S12_EUlS11_E_NS1_11comp_targetILNS1_3genE5ELNS1_11target_archE942ELNS1_3gpuE9ELNS1_3repE0EEENS1_30default_config_static_selectorELNS0_4arch9wavefront6targetE1EEEvT1_.kd
    .uniform_work_group_size: 1
    .uses_dynamic_stack: false
    .vgpr_count:     0
    .vgpr_spill_count: 0
    .wavefront_size: 64
  - .agpr_count:     0
    .args:
      - .offset:         0
        .size:           120
        .value_kind:     by_value
    .group_segment_fixed_size: 10248
    .kernarg_segment_align: 8
    .kernarg_segment_size: 120
    .language:       OpenCL C
    .language_version:
      - 2
      - 0
    .max_flat_workgroup_size: 256
    .name:           _ZN7rocprim17ROCPRIM_400000_NS6detail17trampoline_kernelINS0_14default_configENS1_25partition_config_selectorILNS1_17partition_subalgoE0EjNS0_10empty_typeEbEEZZNS1_14partition_implILS5_0ELb0ES3_jN6thrust23THRUST_200600_302600_NS6detail15normal_iteratorINSA_10device_ptrIjEEEEPS6_SG_NS0_5tupleIJSF_SF_EEENSH_IJSG_SG_EEES6_PlJ7is_evenIjEEEE10hipError_tPvRmT3_T4_T5_T6_T7_T9_mT8_P12ihipStream_tbDpT10_ENKUlT_T0_E_clISt17integral_constantIbLb0EES16_EEDaS11_S12_EUlS11_E_NS1_11comp_targetILNS1_3genE4ELNS1_11target_archE910ELNS1_3gpuE8ELNS1_3repE0EEENS1_30default_config_static_selectorELNS0_4arch9wavefront6targetE1EEEvT1_
    .private_segment_fixed_size: 0
    .sgpr_count:     48
    .sgpr_spill_count: 0
    .symbol:         _ZN7rocprim17ROCPRIM_400000_NS6detail17trampoline_kernelINS0_14default_configENS1_25partition_config_selectorILNS1_17partition_subalgoE0EjNS0_10empty_typeEbEEZZNS1_14partition_implILS5_0ELb0ES3_jN6thrust23THRUST_200600_302600_NS6detail15normal_iteratorINSA_10device_ptrIjEEEEPS6_SG_NS0_5tupleIJSF_SF_EEENSH_IJSG_SG_EEES6_PlJ7is_evenIjEEEE10hipError_tPvRmT3_T4_T5_T6_T7_T9_mT8_P12ihipStream_tbDpT10_ENKUlT_T0_E_clISt17integral_constantIbLb0EES16_EEDaS11_S12_EUlS11_E_NS1_11comp_targetILNS1_3genE4ELNS1_11target_archE910ELNS1_3gpuE8ELNS1_3repE0EEENS1_30default_config_static_selectorELNS0_4arch9wavefront6targetE1EEEvT1_.kd
    .uniform_work_group_size: 1
    .uses_dynamic_stack: false
    .vgpr_count:     54
    .vgpr_spill_count: 0
    .wavefront_size: 64
  - .agpr_count:     0
    .args:
      - .offset:         0
        .size:           120
        .value_kind:     by_value
    .group_segment_fixed_size: 0
    .kernarg_segment_align: 8
    .kernarg_segment_size: 120
    .language:       OpenCL C
    .language_version:
      - 2
      - 0
    .max_flat_workgroup_size: 256
    .name:           _ZN7rocprim17ROCPRIM_400000_NS6detail17trampoline_kernelINS0_14default_configENS1_25partition_config_selectorILNS1_17partition_subalgoE0EjNS0_10empty_typeEbEEZZNS1_14partition_implILS5_0ELb0ES3_jN6thrust23THRUST_200600_302600_NS6detail15normal_iteratorINSA_10device_ptrIjEEEEPS6_SG_NS0_5tupleIJSF_SF_EEENSH_IJSG_SG_EEES6_PlJ7is_evenIjEEEE10hipError_tPvRmT3_T4_T5_T6_T7_T9_mT8_P12ihipStream_tbDpT10_ENKUlT_T0_E_clISt17integral_constantIbLb0EES16_EEDaS11_S12_EUlS11_E_NS1_11comp_targetILNS1_3genE3ELNS1_11target_archE908ELNS1_3gpuE7ELNS1_3repE0EEENS1_30default_config_static_selectorELNS0_4arch9wavefront6targetE1EEEvT1_
    .private_segment_fixed_size: 0
    .sgpr_count:     4
    .sgpr_spill_count: 0
    .symbol:         _ZN7rocprim17ROCPRIM_400000_NS6detail17trampoline_kernelINS0_14default_configENS1_25partition_config_selectorILNS1_17partition_subalgoE0EjNS0_10empty_typeEbEEZZNS1_14partition_implILS5_0ELb0ES3_jN6thrust23THRUST_200600_302600_NS6detail15normal_iteratorINSA_10device_ptrIjEEEEPS6_SG_NS0_5tupleIJSF_SF_EEENSH_IJSG_SG_EEES6_PlJ7is_evenIjEEEE10hipError_tPvRmT3_T4_T5_T6_T7_T9_mT8_P12ihipStream_tbDpT10_ENKUlT_T0_E_clISt17integral_constantIbLb0EES16_EEDaS11_S12_EUlS11_E_NS1_11comp_targetILNS1_3genE3ELNS1_11target_archE908ELNS1_3gpuE7ELNS1_3repE0EEENS1_30default_config_static_selectorELNS0_4arch9wavefront6targetE1EEEvT1_.kd
    .uniform_work_group_size: 1
    .uses_dynamic_stack: false
    .vgpr_count:     0
    .vgpr_spill_count: 0
    .wavefront_size: 64
  - .agpr_count:     0
    .args:
      - .offset:         0
        .size:           120
        .value_kind:     by_value
    .group_segment_fixed_size: 0
    .kernarg_segment_align: 8
    .kernarg_segment_size: 120
    .language:       OpenCL C
    .language_version:
      - 2
      - 0
    .max_flat_workgroup_size: 192
    .name:           _ZN7rocprim17ROCPRIM_400000_NS6detail17trampoline_kernelINS0_14default_configENS1_25partition_config_selectorILNS1_17partition_subalgoE0EjNS0_10empty_typeEbEEZZNS1_14partition_implILS5_0ELb0ES3_jN6thrust23THRUST_200600_302600_NS6detail15normal_iteratorINSA_10device_ptrIjEEEEPS6_SG_NS0_5tupleIJSF_SF_EEENSH_IJSG_SG_EEES6_PlJ7is_evenIjEEEE10hipError_tPvRmT3_T4_T5_T6_T7_T9_mT8_P12ihipStream_tbDpT10_ENKUlT_T0_E_clISt17integral_constantIbLb0EES16_EEDaS11_S12_EUlS11_E_NS1_11comp_targetILNS1_3genE2ELNS1_11target_archE906ELNS1_3gpuE6ELNS1_3repE0EEENS1_30default_config_static_selectorELNS0_4arch9wavefront6targetE1EEEvT1_
    .private_segment_fixed_size: 0
    .sgpr_count:     4
    .sgpr_spill_count: 0
    .symbol:         _ZN7rocprim17ROCPRIM_400000_NS6detail17trampoline_kernelINS0_14default_configENS1_25partition_config_selectorILNS1_17partition_subalgoE0EjNS0_10empty_typeEbEEZZNS1_14partition_implILS5_0ELb0ES3_jN6thrust23THRUST_200600_302600_NS6detail15normal_iteratorINSA_10device_ptrIjEEEEPS6_SG_NS0_5tupleIJSF_SF_EEENSH_IJSG_SG_EEES6_PlJ7is_evenIjEEEE10hipError_tPvRmT3_T4_T5_T6_T7_T9_mT8_P12ihipStream_tbDpT10_ENKUlT_T0_E_clISt17integral_constantIbLb0EES16_EEDaS11_S12_EUlS11_E_NS1_11comp_targetILNS1_3genE2ELNS1_11target_archE906ELNS1_3gpuE6ELNS1_3repE0EEENS1_30default_config_static_selectorELNS0_4arch9wavefront6targetE1EEEvT1_.kd
    .uniform_work_group_size: 1
    .uses_dynamic_stack: false
    .vgpr_count:     0
    .vgpr_spill_count: 0
    .wavefront_size: 64
  - .agpr_count:     0
    .args:
      - .offset:         0
        .size:           120
        .value_kind:     by_value
    .group_segment_fixed_size: 0
    .kernarg_segment_align: 8
    .kernarg_segment_size: 120
    .language:       OpenCL C
    .language_version:
      - 2
      - 0
    .max_flat_workgroup_size: 512
    .name:           _ZN7rocprim17ROCPRIM_400000_NS6detail17trampoline_kernelINS0_14default_configENS1_25partition_config_selectorILNS1_17partition_subalgoE0EjNS0_10empty_typeEbEEZZNS1_14partition_implILS5_0ELb0ES3_jN6thrust23THRUST_200600_302600_NS6detail15normal_iteratorINSA_10device_ptrIjEEEEPS6_SG_NS0_5tupleIJSF_SF_EEENSH_IJSG_SG_EEES6_PlJ7is_evenIjEEEE10hipError_tPvRmT3_T4_T5_T6_T7_T9_mT8_P12ihipStream_tbDpT10_ENKUlT_T0_E_clISt17integral_constantIbLb0EES16_EEDaS11_S12_EUlS11_E_NS1_11comp_targetILNS1_3genE10ELNS1_11target_archE1200ELNS1_3gpuE4ELNS1_3repE0EEENS1_30default_config_static_selectorELNS0_4arch9wavefront6targetE1EEEvT1_
    .private_segment_fixed_size: 0
    .sgpr_count:     4
    .sgpr_spill_count: 0
    .symbol:         _ZN7rocprim17ROCPRIM_400000_NS6detail17trampoline_kernelINS0_14default_configENS1_25partition_config_selectorILNS1_17partition_subalgoE0EjNS0_10empty_typeEbEEZZNS1_14partition_implILS5_0ELb0ES3_jN6thrust23THRUST_200600_302600_NS6detail15normal_iteratorINSA_10device_ptrIjEEEEPS6_SG_NS0_5tupleIJSF_SF_EEENSH_IJSG_SG_EEES6_PlJ7is_evenIjEEEE10hipError_tPvRmT3_T4_T5_T6_T7_T9_mT8_P12ihipStream_tbDpT10_ENKUlT_T0_E_clISt17integral_constantIbLb0EES16_EEDaS11_S12_EUlS11_E_NS1_11comp_targetILNS1_3genE10ELNS1_11target_archE1200ELNS1_3gpuE4ELNS1_3repE0EEENS1_30default_config_static_selectorELNS0_4arch9wavefront6targetE1EEEvT1_.kd
    .uniform_work_group_size: 1
    .uses_dynamic_stack: false
    .vgpr_count:     0
    .vgpr_spill_count: 0
    .wavefront_size: 64
  - .agpr_count:     0
    .args:
      - .offset:         0
        .size:           120
        .value_kind:     by_value
    .group_segment_fixed_size: 0
    .kernarg_segment_align: 8
    .kernarg_segment_size: 120
    .language:       OpenCL C
    .language_version:
      - 2
      - 0
    .max_flat_workgroup_size: 128
    .name:           _ZN7rocprim17ROCPRIM_400000_NS6detail17trampoline_kernelINS0_14default_configENS1_25partition_config_selectorILNS1_17partition_subalgoE0EjNS0_10empty_typeEbEEZZNS1_14partition_implILS5_0ELb0ES3_jN6thrust23THRUST_200600_302600_NS6detail15normal_iteratorINSA_10device_ptrIjEEEEPS6_SG_NS0_5tupleIJSF_SF_EEENSH_IJSG_SG_EEES6_PlJ7is_evenIjEEEE10hipError_tPvRmT3_T4_T5_T6_T7_T9_mT8_P12ihipStream_tbDpT10_ENKUlT_T0_E_clISt17integral_constantIbLb0EES16_EEDaS11_S12_EUlS11_E_NS1_11comp_targetILNS1_3genE9ELNS1_11target_archE1100ELNS1_3gpuE3ELNS1_3repE0EEENS1_30default_config_static_selectorELNS0_4arch9wavefront6targetE1EEEvT1_
    .private_segment_fixed_size: 0
    .sgpr_count:     4
    .sgpr_spill_count: 0
    .symbol:         _ZN7rocprim17ROCPRIM_400000_NS6detail17trampoline_kernelINS0_14default_configENS1_25partition_config_selectorILNS1_17partition_subalgoE0EjNS0_10empty_typeEbEEZZNS1_14partition_implILS5_0ELb0ES3_jN6thrust23THRUST_200600_302600_NS6detail15normal_iteratorINSA_10device_ptrIjEEEEPS6_SG_NS0_5tupleIJSF_SF_EEENSH_IJSG_SG_EEES6_PlJ7is_evenIjEEEE10hipError_tPvRmT3_T4_T5_T6_T7_T9_mT8_P12ihipStream_tbDpT10_ENKUlT_T0_E_clISt17integral_constantIbLb0EES16_EEDaS11_S12_EUlS11_E_NS1_11comp_targetILNS1_3genE9ELNS1_11target_archE1100ELNS1_3gpuE3ELNS1_3repE0EEENS1_30default_config_static_selectorELNS0_4arch9wavefront6targetE1EEEvT1_.kd
    .uniform_work_group_size: 1
    .uses_dynamic_stack: false
    .vgpr_count:     0
    .vgpr_spill_count: 0
    .wavefront_size: 64
  - .agpr_count:     0
    .args:
      - .offset:         0
        .size:           120
        .value_kind:     by_value
    .group_segment_fixed_size: 0
    .kernarg_segment_align: 8
    .kernarg_segment_size: 120
    .language:       OpenCL C
    .language_version:
      - 2
      - 0
    .max_flat_workgroup_size: 512
    .name:           _ZN7rocprim17ROCPRIM_400000_NS6detail17trampoline_kernelINS0_14default_configENS1_25partition_config_selectorILNS1_17partition_subalgoE0EjNS0_10empty_typeEbEEZZNS1_14partition_implILS5_0ELb0ES3_jN6thrust23THRUST_200600_302600_NS6detail15normal_iteratorINSA_10device_ptrIjEEEEPS6_SG_NS0_5tupleIJSF_SF_EEENSH_IJSG_SG_EEES6_PlJ7is_evenIjEEEE10hipError_tPvRmT3_T4_T5_T6_T7_T9_mT8_P12ihipStream_tbDpT10_ENKUlT_T0_E_clISt17integral_constantIbLb0EES16_EEDaS11_S12_EUlS11_E_NS1_11comp_targetILNS1_3genE8ELNS1_11target_archE1030ELNS1_3gpuE2ELNS1_3repE0EEENS1_30default_config_static_selectorELNS0_4arch9wavefront6targetE1EEEvT1_
    .private_segment_fixed_size: 0
    .sgpr_count:     4
    .sgpr_spill_count: 0
    .symbol:         _ZN7rocprim17ROCPRIM_400000_NS6detail17trampoline_kernelINS0_14default_configENS1_25partition_config_selectorILNS1_17partition_subalgoE0EjNS0_10empty_typeEbEEZZNS1_14partition_implILS5_0ELb0ES3_jN6thrust23THRUST_200600_302600_NS6detail15normal_iteratorINSA_10device_ptrIjEEEEPS6_SG_NS0_5tupleIJSF_SF_EEENSH_IJSG_SG_EEES6_PlJ7is_evenIjEEEE10hipError_tPvRmT3_T4_T5_T6_T7_T9_mT8_P12ihipStream_tbDpT10_ENKUlT_T0_E_clISt17integral_constantIbLb0EES16_EEDaS11_S12_EUlS11_E_NS1_11comp_targetILNS1_3genE8ELNS1_11target_archE1030ELNS1_3gpuE2ELNS1_3repE0EEENS1_30default_config_static_selectorELNS0_4arch9wavefront6targetE1EEEvT1_.kd
    .uniform_work_group_size: 1
    .uses_dynamic_stack: false
    .vgpr_count:     0
    .vgpr_spill_count: 0
    .wavefront_size: 64
  - .agpr_count:     0
    .args:
      - .offset:         0
        .size:           136
        .value_kind:     by_value
    .group_segment_fixed_size: 0
    .kernarg_segment_align: 8
    .kernarg_segment_size: 136
    .language:       OpenCL C
    .language_version:
      - 2
      - 0
    .max_flat_workgroup_size: 256
    .name:           _ZN7rocprim17ROCPRIM_400000_NS6detail17trampoline_kernelINS0_14default_configENS1_25partition_config_selectorILNS1_17partition_subalgoE0EjNS0_10empty_typeEbEEZZNS1_14partition_implILS5_0ELb0ES3_jN6thrust23THRUST_200600_302600_NS6detail15normal_iteratorINSA_10device_ptrIjEEEEPS6_SG_NS0_5tupleIJSF_SF_EEENSH_IJSG_SG_EEES6_PlJ7is_evenIjEEEE10hipError_tPvRmT3_T4_T5_T6_T7_T9_mT8_P12ihipStream_tbDpT10_ENKUlT_T0_E_clISt17integral_constantIbLb1EES16_EEDaS11_S12_EUlS11_E_NS1_11comp_targetILNS1_3genE0ELNS1_11target_archE4294967295ELNS1_3gpuE0ELNS1_3repE0EEENS1_30default_config_static_selectorELNS0_4arch9wavefront6targetE1EEEvT1_
    .private_segment_fixed_size: 0
    .sgpr_count:     4
    .sgpr_spill_count: 0
    .symbol:         _ZN7rocprim17ROCPRIM_400000_NS6detail17trampoline_kernelINS0_14default_configENS1_25partition_config_selectorILNS1_17partition_subalgoE0EjNS0_10empty_typeEbEEZZNS1_14partition_implILS5_0ELb0ES3_jN6thrust23THRUST_200600_302600_NS6detail15normal_iteratorINSA_10device_ptrIjEEEEPS6_SG_NS0_5tupleIJSF_SF_EEENSH_IJSG_SG_EEES6_PlJ7is_evenIjEEEE10hipError_tPvRmT3_T4_T5_T6_T7_T9_mT8_P12ihipStream_tbDpT10_ENKUlT_T0_E_clISt17integral_constantIbLb1EES16_EEDaS11_S12_EUlS11_E_NS1_11comp_targetILNS1_3genE0ELNS1_11target_archE4294967295ELNS1_3gpuE0ELNS1_3repE0EEENS1_30default_config_static_selectorELNS0_4arch9wavefront6targetE1EEEvT1_.kd
    .uniform_work_group_size: 1
    .uses_dynamic_stack: false
    .vgpr_count:     0
    .vgpr_spill_count: 0
    .wavefront_size: 64
  - .agpr_count:     0
    .args:
      - .offset:         0
        .size:           136
        .value_kind:     by_value
    .group_segment_fixed_size: 0
    .kernarg_segment_align: 8
    .kernarg_segment_size: 136
    .language:       OpenCL C
    .language_version:
      - 2
      - 0
    .max_flat_workgroup_size: 512
    .name:           _ZN7rocprim17ROCPRIM_400000_NS6detail17trampoline_kernelINS0_14default_configENS1_25partition_config_selectorILNS1_17partition_subalgoE0EjNS0_10empty_typeEbEEZZNS1_14partition_implILS5_0ELb0ES3_jN6thrust23THRUST_200600_302600_NS6detail15normal_iteratorINSA_10device_ptrIjEEEEPS6_SG_NS0_5tupleIJSF_SF_EEENSH_IJSG_SG_EEES6_PlJ7is_evenIjEEEE10hipError_tPvRmT3_T4_T5_T6_T7_T9_mT8_P12ihipStream_tbDpT10_ENKUlT_T0_E_clISt17integral_constantIbLb1EES16_EEDaS11_S12_EUlS11_E_NS1_11comp_targetILNS1_3genE5ELNS1_11target_archE942ELNS1_3gpuE9ELNS1_3repE0EEENS1_30default_config_static_selectorELNS0_4arch9wavefront6targetE1EEEvT1_
    .private_segment_fixed_size: 0
    .sgpr_count:     4
    .sgpr_spill_count: 0
    .symbol:         _ZN7rocprim17ROCPRIM_400000_NS6detail17trampoline_kernelINS0_14default_configENS1_25partition_config_selectorILNS1_17partition_subalgoE0EjNS0_10empty_typeEbEEZZNS1_14partition_implILS5_0ELb0ES3_jN6thrust23THRUST_200600_302600_NS6detail15normal_iteratorINSA_10device_ptrIjEEEEPS6_SG_NS0_5tupleIJSF_SF_EEENSH_IJSG_SG_EEES6_PlJ7is_evenIjEEEE10hipError_tPvRmT3_T4_T5_T6_T7_T9_mT8_P12ihipStream_tbDpT10_ENKUlT_T0_E_clISt17integral_constantIbLb1EES16_EEDaS11_S12_EUlS11_E_NS1_11comp_targetILNS1_3genE5ELNS1_11target_archE942ELNS1_3gpuE9ELNS1_3repE0EEENS1_30default_config_static_selectorELNS0_4arch9wavefront6targetE1EEEvT1_.kd
    .uniform_work_group_size: 1
    .uses_dynamic_stack: false
    .vgpr_count:     0
    .vgpr_spill_count: 0
    .wavefront_size: 64
  - .agpr_count:     0
    .args:
      - .offset:         0
        .size:           136
        .value_kind:     by_value
    .group_segment_fixed_size: 10248
    .kernarg_segment_align: 8
    .kernarg_segment_size: 136
    .language:       OpenCL C
    .language_version:
      - 2
      - 0
    .max_flat_workgroup_size: 256
    .name:           _ZN7rocprim17ROCPRIM_400000_NS6detail17trampoline_kernelINS0_14default_configENS1_25partition_config_selectorILNS1_17partition_subalgoE0EjNS0_10empty_typeEbEEZZNS1_14partition_implILS5_0ELb0ES3_jN6thrust23THRUST_200600_302600_NS6detail15normal_iteratorINSA_10device_ptrIjEEEEPS6_SG_NS0_5tupleIJSF_SF_EEENSH_IJSG_SG_EEES6_PlJ7is_evenIjEEEE10hipError_tPvRmT3_T4_T5_T6_T7_T9_mT8_P12ihipStream_tbDpT10_ENKUlT_T0_E_clISt17integral_constantIbLb1EES16_EEDaS11_S12_EUlS11_E_NS1_11comp_targetILNS1_3genE4ELNS1_11target_archE910ELNS1_3gpuE8ELNS1_3repE0EEENS1_30default_config_static_selectorELNS0_4arch9wavefront6targetE1EEEvT1_
    .private_segment_fixed_size: 0
    .sgpr_count:     48
    .sgpr_spill_count: 0
    .symbol:         _ZN7rocprim17ROCPRIM_400000_NS6detail17trampoline_kernelINS0_14default_configENS1_25partition_config_selectorILNS1_17partition_subalgoE0EjNS0_10empty_typeEbEEZZNS1_14partition_implILS5_0ELb0ES3_jN6thrust23THRUST_200600_302600_NS6detail15normal_iteratorINSA_10device_ptrIjEEEEPS6_SG_NS0_5tupleIJSF_SF_EEENSH_IJSG_SG_EEES6_PlJ7is_evenIjEEEE10hipError_tPvRmT3_T4_T5_T6_T7_T9_mT8_P12ihipStream_tbDpT10_ENKUlT_T0_E_clISt17integral_constantIbLb1EES16_EEDaS11_S12_EUlS11_E_NS1_11comp_targetILNS1_3genE4ELNS1_11target_archE910ELNS1_3gpuE8ELNS1_3repE0EEENS1_30default_config_static_selectorELNS0_4arch9wavefront6targetE1EEEvT1_.kd
    .uniform_work_group_size: 1
    .uses_dynamic_stack: false
    .vgpr_count:     58
    .vgpr_spill_count: 0
    .wavefront_size: 64
  - .agpr_count:     0
    .args:
      - .offset:         0
        .size:           136
        .value_kind:     by_value
    .group_segment_fixed_size: 0
    .kernarg_segment_align: 8
    .kernarg_segment_size: 136
    .language:       OpenCL C
    .language_version:
      - 2
      - 0
    .max_flat_workgroup_size: 256
    .name:           _ZN7rocprim17ROCPRIM_400000_NS6detail17trampoline_kernelINS0_14default_configENS1_25partition_config_selectorILNS1_17partition_subalgoE0EjNS0_10empty_typeEbEEZZNS1_14partition_implILS5_0ELb0ES3_jN6thrust23THRUST_200600_302600_NS6detail15normal_iteratorINSA_10device_ptrIjEEEEPS6_SG_NS0_5tupleIJSF_SF_EEENSH_IJSG_SG_EEES6_PlJ7is_evenIjEEEE10hipError_tPvRmT3_T4_T5_T6_T7_T9_mT8_P12ihipStream_tbDpT10_ENKUlT_T0_E_clISt17integral_constantIbLb1EES16_EEDaS11_S12_EUlS11_E_NS1_11comp_targetILNS1_3genE3ELNS1_11target_archE908ELNS1_3gpuE7ELNS1_3repE0EEENS1_30default_config_static_selectorELNS0_4arch9wavefront6targetE1EEEvT1_
    .private_segment_fixed_size: 0
    .sgpr_count:     4
    .sgpr_spill_count: 0
    .symbol:         _ZN7rocprim17ROCPRIM_400000_NS6detail17trampoline_kernelINS0_14default_configENS1_25partition_config_selectorILNS1_17partition_subalgoE0EjNS0_10empty_typeEbEEZZNS1_14partition_implILS5_0ELb0ES3_jN6thrust23THRUST_200600_302600_NS6detail15normal_iteratorINSA_10device_ptrIjEEEEPS6_SG_NS0_5tupleIJSF_SF_EEENSH_IJSG_SG_EEES6_PlJ7is_evenIjEEEE10hipError_tPvRmT3_T4_T5_T6_T7_T9_mT8_P12ihipStream_tbDpT10_ENKUlT_T0_E_clISt17integral_constantIbLb1EES16_EEDaS11_S12_EUlS11_E_NS1_11comp_targetILNS1_3genE3ELNS1_11target_archE908ELNS1_3gpuE7ELNS1_3repE0EEENS1_30default_config_static_selectorELNS0_4arch9wavefront6targetE1EEEvT1_.kd
    .uniform_work_group_size: 1
    .uses_dynamic_stack: false
    .vgpr_count:     0
    .vgpr_spill_count: 0
    .wavefront_size: 64
  - .agpr_count:     0
    .args:
      - .offset:         0
        .size:           136
        .value_kind:     by_value
    .group_segment_fixed_size: 0
    .kernarg_segment_align: 8
    .kernarg_segment_size: 136
    .language:       OpenCL C
    .language_version:
      - 2
      - 0
    .max_flat_workgroup_size: 192
    .name:           _ZN7rocprim17ROCPRIM_400000_NS6detail17trampoline_kernelINS0_14default_configENS1_25partition_config_selectorILNS1_17partition_subalgoE0EjNS0_10empty_typeEbEEZZNS1_14partition_implILS5_0ELb0ES3_jN6thrust23THRUST_200600_302600_NS6detail15normal_iteratorINSA_10device_ptrIjEEEEPS6_SG_NS0_5tupleIJSF_SF_EEENSH_IJSG_SG_EEES6_PlJ7is_evenIjEEEE10hipError_tPvRmT3_T4_T5_T6_T7_T9_mT8_P12ihipStream_tbDpT10_ENKUlT_T0_E_clISt17integral_constantIbLb1EES16_EEDaS11_S12_EUlS11_E_NS1_11comp_targetILNS1_3genE2ELNS1_11target_archE906ELNS1_3gpuE6ELNS1_3repE0EEENS1_30default_config_static_selectorELNS0_4arch9wavefront6targetE1EEEvT1_
    .private_segment_fixed_size: 0
    .sgpr_count:     4
    .sgpr_spill_count: 0
    .symbol:         _ZN7rocprim17ROCPRIM_400000_NS6detail17trampoline_kernelINS0_14default_configENS1_25partition_config_selectorILNS1_17partition_subalgoE0EjNS0_10empty_typeEbEEZZNS1_14partition_implILS5_0ELb0ES3_jN6thrust23THRUST_200600_302600_NS6detail15normal_iteratorINSA_10device_ptrIjEEEEPS6_SG_NS0_5tupleIJSF_SF_EEENSH_IJSG_SG_EEES6_PlJ7is_evenIjEEEE10hipError_tPvRmT3_T4_T5_T6_T7_T9_mT8_P12ihipStream_tbDpT10_ENKUlT_T0_E_clISt17integral_constantIbLb1EES16_EEDaS11_S12_EUlS11_E_NS1_11comp_targetILNS1_3genE2ELNS1_11target_archE906ELNS1_3gpuE6ELNS1_3repE0EEENS1_30default_config_static_selectorELNS0_4arch9wavefront6targetE1EEEvT1_.kd
    .uniform_work_group_size: 1
    .uses_dynamic_stack: false
    .vgpr_count:     0
    .vgpr_spill_count: 0
    .wavefront_size: 64
  - .agpr_count:     0
    .args:
      - .offset:         0
        .size:           136
        .value_kind:     by_value
    .group_segment_fixed_size: 0
    .kernarg_segment_align: 8
    .kernarg_segment_size: 136
    .language:       OpenCL C
    .language_version:
      - 2
      - 0
    .max_flat_workgroup_size: 512
    .name:           _ZN7rocprim17ROCPRIM_400000_NS6detail17trampoline_kernelINS0_14default_configENS1_25partition_config_selectorILNS1_17partition_subalgoE0EjNS0_10empty_typeEbEEZZNS1_14partition_implILS5_0ELb0ES3_jN6thrust23THRUST_200600_302600_NS6detail15normal_iteratorINSA_10device_ptrIjEEEEPS6_SG_NS0_5tupleIJSF_SF_EEENSH_IJSG_SG_EEES6_PlJ7is_evenIjEEEE10hipError_tPvRmT3_T4_T5_T6_T7_T9_mT8_P12ihipStream_tbDpT10_ENKUlT_T0_E_clISt17integral_constantIbLb1EES16_EEDaS11_S12_EUlS11_E_NS1_11comp_targetILNS1_3genE10ELNS1_11target_archE1200ELNS1_3gpuE4ELNS1_3repE0EEENS1_30default_config_static_selectorELNS0_4arch9wavefront6targetE1EEEvT1_
    .private_segment_fixed_size: 0
    .sgpr_count:     4
    .sgpr_spill_count: 0
    .symbol:         _ZN7rocprim17ROCPRIM_400000_NS6detail17trampoline_kernelINS0_14default_configENS1_25partition_config_selectorILNS1_17partition_subalgoE0EjNS0_10empty_typeEbEEZZNS1_14partition_implILS5_0ELb0ES3_jN6thrust23THRUST_200600_302600_NS6detail15normal_iteratorINSA_10device_ptrIjEEEEPS6_SG_NS0_5tupleIJSF_SF_EEENSH_IJSG_SG_EEES6_PlJ7is_evenIjEEEE10hipError_tPvRmT3_T4_T5_T6_T7_T9_mT8_P12ihipStream_tbDpT10_ENKUlT_T0_E_clISt17integral_constantIbLb1EES16_EEDaS11_S12_EUlS11_E_NS1_11comp_targetILNS1_3genE10ELNS1_11target_archE1200ELNS1_3gpuE4ELNS1_3repE0EEENS1_30default_config_static_selectorELNS0_4arch9wavefront6targetE1EEEvT1_.kd
    .uniform_work_group_size: 1
    .uses_dynamic_stack: false
    .vgpr_count:     0
    .vgpr_spill_count: 0
    .wavefront_size: 64
  - .agpr_count:     0
    .args:
      - .offset:         0
        .size:           136
        .value_kind:     by_value
    .group_segment_fixed_size: 0
    .kernarg_segment_align: 8
    .kernarg_segment_size: 136
    .language:       OpenCL C
    .language_version:
      - 2
      - 0
    .max_flat_workgroup_size: 128
    .name:           _ZN7rocprim17ROCPRIM_400000_NS6detail17trampoline_kernelINS0_14default_configENS1_25partition_config_selectorILNS1_17partition_subalgoE0EjNS0_10empty_typeEbEEZZNS1_14partition_implILS5_0ELb0ES3_jN6thrust23THRUST_200600_302600_NS6detail15normal_iteratorINSA_10device_ptrIjEEEEPS6_SG_NS0_5tupleIJSF_SF_EEENSH_IJSG_SG_EEES6_PlJ7is_evenIjEEEE10hipError_tPvRmT3_T4_T5_T6_T7_T9_mT8_P12ihipStream_tbDpT10_ENKUlT_T0_E_clISt17integral_constantIbLb1EES16_EEDaS11_S12_EUlS11_E_NS1_11comp_targetILNS1_3genE9ELNS1_11target_archE1100ELNS1_3gpuE3ELNS1_3repE0EEENS1_30default_config_static_selectorELNS0_4arch9wavefront6targetE1EEEvT1_
    .private_segment_fixed_size: 0
    .sgpr_count:     4
    .sgpr_spill_count: 0
    .symbol:         _ZN7rocprim17ROCPRIM_400000_NS6detail17trampoline_kernelINS0_14default_configENS1_25partition_config_selectorILNS1_17partition_subalgoE0EjNS0_10empty_typeEbEEZZNS1_14partition_implILS5_0ELb0ES3_jN6thrust23THRUST_200600_302600_NS6detail15normal_iteratorINSA_10device_ptrIjEEEEPS6_SG_NS0_5tupleIJSF_SF_EEENSH_IJSG_SG_EEES6_PlJ7is_evenIjEEEE10hipError_tPvRmT3_T4_T5_T6_T7_T9_mT8_P12ihipStream_tbDpT10_ENKUlT_T0_E_clISt17integral_constantIbLb1EES16_EEDaS11_S12_EUlS11_E_NS1_11comp_targetILNS1_3genE9ELNS1_11target_archE1100ELNS1_3gpuE3ELNS1_3repE0EEENS1_30default_config_static_selectorELNS0_4arch9wavefront6targetE1EEEvT1_.kd
    .uniform_work_group_size: 1
    .uses_dynamic_stack: false
    .vgpr_count:     0
    .vgpr_spill_count: 0
    .wavefront_size: 64
  - .agpr_count:     0
    .args:
      - .offset:         0
        .size:           136
        .value_kind:     by_value
    .group_segment_fixed_size: 0
    .kernarg_segment_align: 8
    .kernarg_segment_size: 136
    .language:       OpenCL C
    .language_version:
      - 2
      - 0
    .max_flat_workgroup_size: 512
    .name:           _ZN7rocprim17ROCPRIM_400000_NS6detail17trampoline_kernelINS0_14default_configENS1_25partition_config_selectorILNS1_17partition_subalgoE0EjNS0_10empty_typeEbEEZZNS1_14partition_implILS5_0ELb0ES3_jN6thrust23THRUST_200600_302600_NS6detail15normal_iteratorINSA_10device_ptrIjEEEEPS6_SG_NS0_5tupleIJSF_SF_EEENSH_IJSG_SG_EEES6_PlJ7is_evenIjEEEE10hipError_tPvRmT3_T4_T5_T6_T7_T9_mT8_P12ihipStream_tbDpT10_ENKUlT_T0_E_clISt17integral_constantIbLb1EES16_EEDaS11_S12_EUlS11_E_NS1_11comp_targetILNS1_3genE8ELNS1_11target_archE1030ELNS1_3gpuE2ELNS1_3repE0EEENS1_30default_config_static_selectorELNS0_4arch9wavefront6targetE1EEEvT1_
    .private_segment_fixed_size: 0
    .sgpr_count:     4
    .sgpr_spill_count: 0
    .symbol:         _ZN7rocprim17ROCPRIM_400000_NS6detail17trampoline_kernelINS0_14default_configENS1_25partition_config_selectorILNS1_17partition_subalgoE0EjNS0_10empty_typeEbEEZZNS1_14partition_implILS5_0ELb0ES3_jN6thrust23THRUST_200600_302600_NS6detail15normal_iteratorINSA_10device_ptrIjEEEEPS6_SG_NS0_5tupleIJSF_SF_EEENSH_IJSG_SG_EEES6_PlJ7is_evenIjEEEE10hipError_tPvRmT3_T4_T5_T6_T7_T9_mT8_P12ihipStream_tbDpT10_ENKUlT_T0_E_clISt17integral_constantIbLb1EES16_EEDaS11_S12_EUlS11_E_NS1_11comp_targetILNS1_3genE8ELNS1_11target_archE1030ELNS1_3gpuE2ELNS1_3repE0EEENS1_30default_config_static_selectorELNS0_4arch9wavefront6targetE1EEEvT1_.kd
    .uniform_work_group_size: 1
    .uses_dynamic_stack: false
    .vgpr_count:     0
    .vgpr_spill_count: 0
    .wavefront_size: 64
  - .agpr_count:     0
    .args:
      - .offset:         0
        .size:           120
        .value_kind:     by_value
    .group_segment_fixed_size: 0
    .kernarg_segment_align: 8
    .kernarg_segment_size: 120
    .language:       OpenCL C
    .language_version:
      - 2
      - 0
    .max_flat_workgroup_size: 256
    .name:           _ZN7rocprim17ROCPRIM_400000_NS6detail17trampoline_kernelINS0_14default_configENS1_25partition_config_selectorILNS1_17partition_subalgoE0EjNS0_10empty_typeEbEEZZNS1_14partition_implILS5_0ELb0ES3_jN6thrust23THRUST_200600_302600_NS6detail15normal_iteratorINSA_10device_ptrIjEEEEPS6_SG_NS0_5tupleIJSF_SF_EEENSH_IJSG_SG_EEES6_PlJ7is_evenIjEEEE10hipError_tPvRmT3_T4_T5_T6_T7_T9_mT8_P12ihipStream_tbDpT10_ENKUlT_T0_E_clISt17integral_constantIbLb1EES15_IbLb0EEEEDaS11_S12_EUlS11_E_NS1_11comp_targetILNS1_3genE0ELNS1_11target_archE4294967295ELNS1_3gpuE0ELNS1_3repE0EEENS1_30default_config_static_selectorELNS0_4arch9wavefront6targetE1EEEvT1_
    .private_segment_fixed_size: 0
    .sgpr_count:     4
    .sgpr_spill_count: 0
    .symbol:         _ZN7rocprim17ROCPRIM_400000_NS6detail17trampoline_kernelINS0_14default_configENS1_25partition_config_selectorILNS1_17partition_subalgoE0EjNS0_10empty_typeEbEEZZNS1_14partition_implILS5_0ELb0ES3_jN6thrust23THRUST_200600_302600_NS6detail15normal_iteratorINSA_10device_ptrIjEEEEPS6_SG_NS0_5tupleIJSF_SF_EEENSH_IJSG_SG_EEES6_PlJ7is_evenIjEEEE10hipError_tPvRmT3_T4_T5_T6_T7_T9_mT8_P12ihipStream_tbDpT10_ENKUlT_T0_E_clISt17integral_constantIbLb1EES15_IbLb0EEEEDaS11_S12_EUlS11_E_NS1_11comp_targetILNS1_3genE0ELNS1_11target_archE4294967295ELNS1_3gpuE0ELNS1_3repE0EEENS1_30default_config_static_selectorELNS0_4arch9wavefront6targetE1EEEvT1_.kd
    .uniform_work_group_size: 1
    .uses_dynamic_stack: false
    .vgpr_count:     0
    .vgpr_spill_count: 0
    .wavefront_size: 64
  - .agpr_count:     0
    .args:
      - .offset:         0
        .size:           120
        .value_kind:     by_value
    .group_segment_fixed_size: 0
    .kernarg_segment_align: 8
    .kernarg_segment_size: 120
    .language:       OpenCL C
    .language_version:
      - 2
      - 0
    .max_flat_workgroup_size: 512
    .name:           _ZN7rocprim17ROCPRIM_400000_NS6detail17trampoline_kernelINS0_14default_configENS1_25partition_config_selectorILNS1_17partition_subalgoE0EjNS0_10empty_typeEbEEZZNS1_14partition_implILS5_0ELb0ES3_jN6thrust23THRUST_200600_302600_NS6detail15normal_iteratorINSA_10device_ptrIjEEEEPS6_SG_NS0_5tupleIJSF_SF_EEENSH_IJSG_SG_EEES6_PlJ7is_evenIjEEEE10hipError_tPvRmT3_T4_T5_T6_T7_T9_mT8_P12ihipStream_tbDpT10_ENKUlT_T0_E_clISt17integral_constantIbLb1EES15_IbLb0EEEEDaS11_S12_EUlS11_E_NS1_11comp_targetILNS1_3genE5ELNS1_11target_archE942ELNS1_3gpuE9ELNS1_3repE0EEENS1_30default_config_static_selectorELNS0_4arch9wavefront6targetE1EEEvT1_
    .private_segment_fixed_size: 0
    .sgpr_count:     4
    .sgpr_spill_count: 0
    .symbol:         _ZN7rocprim17ROCPRIM_400000_NS6detail17trampoline_kernelINS0_14default_configENS1_25partition_config_selectorILNS1_17partition_subalgoE0EjNS0_10empty_typeEbEEZZNS1_14partition_implILS5_0ELb0ES3_jN6thrust23THRUST_200600_302600_NS6detail15normal_iteratorINSA_10device_ptrIjEEEEPS6_SG_NS0_5tupleIJSF_SF_EEENSH_IJSG_SG_EEES6_PlJ7is_evenIjEEEE10hipError_tPvRmT3_T4_T5_T6_T7_T9_mT8_P12ihipStream_tbDpT10_ENKUlT_T0_E_clISt17integral_constantIbLb1EES15_IbLb0EEEEDaS11_S12_EUlS11_E_NS1_11comp_targetILNS1_3genE5ELNS1_11target_archE942ELNS1_3gpuE9ELNS1_3repE0EEENS1_30default_config_static_selectorELNS0_4arch9wavefront6targetE1EEEvT1_.kd
    .uniform_work_group_size: 1
    .uses_dynamic_stack: false
    .vgpr_count:     0
    .vgpr_spill_count: 0
    .wavefront_size: 64
  - .agpr_count:     0
    .args:
      - .offset:         0
        .size:           120
        .value_kind:     by_value
    .group_segment_fixed_size: 10248
    .kernarg_segment_align: 8
    .kernarg_segment_size: 120
    .language:       OpenCL C
    .language_version:
      - 2
      - 0
    .max_flat_workgroup_size: 256
    .name:           _ZN7rocprim17ROCPRIM_400000_NS6detail17trampoline_kernelINS0_14default_configENS1_25partition_config_selectorILNS1_17partition_subalgoE0EjNS0_10empty_typeEbEEZZNS1_14partition_implILS5_0ELb0ES3_jN6thrust23THRUST_200600_302600_NS6detail15normal_iteratorINSA_10device_ptrIjEEEEPS6_SG_NS0_5tupleIJSF_SF_EEENSH_IJSG_SG_EEES6_PlJ7is_evenIjEEEE10hipError_tPvRmT3_T4_T5_T6_T7_T9_mT8_P12ihipStream_tbDpT10_ENKUlT_T0_E_clISt17integral_constantIbLb1EES15_IbLb0EEEEDaS11_S12_EUlS11_E_NS1_11comp_targetILNS1_3genE4ELNS1_11target_archE910ELNS1_3gpuE8ELNS1_3repE0EEENS1_30default_config_static_selectorELNS0_4arch9wavefront6targetE1EEEvT1_
    .private_segment_fixed_size: 0
    .sgpr_count:     48
    .sgpr_spill_count: 0
    .symbol:         _ZN7rocprim17ROCPRIM_400000_NS6detail17trampoline_kernelINS0_14default_configENS1_25partition_config_selectorILNS1_17partition_subalgoE0EjNS0_10empty_typeEbEEZZNS1_14partition_implILS5_0ELb0ES3_jN6thrust23THRUST_200600_302600_NS6detail15normal_iteratorINSA_10device_ptrIjEEEEPS6_SG_NS0_5tupleIJSF_SF_EEENSH_IJSG_SG_EEES6_PlJ7is_evenIjEEEE10hipError_tPvRmT3_T4_T5_T6_T7_T9_mT8_P12ihipStream_tbDpT10_ENKUlT_T0_E_clISt17integral_constantIbLb1EES15_IbLb0EEEEDaS11_S12_EUlS11_E_NS1_11comp_targetILNS1_3genE4ELNS1_11target_archE910ELNS1_3gpuE8ELNS1_3repE0EEENS1_30default_config_static_selectorELNS0_4arch9wavefront6targetE1EEEvT1_.kd
    .uniform_work_group_size: 1
    .uses_dynamic_stack: false
    .vgpr_count:     54
    .vgpr_spill_count: 0
    .wavefront_size: 64
  - .agpr_count:     0
    .args:
      - .offset:         0
        .size:           120
        .value_kind:     by_value
    .group_segment_fixed_size: 0
    .kernarg_segment_align: 8
    .kernarg_segment_size: 120
    .language:       OpenCL C
    .language_version:
      - 2
      - 0
    .max_flat_workgroup_size: 256
    .name:           _ZN7rocprim17ROCPRIM_400000_NS6detail17trampoline_kernelINS0_14default_configENS1_25partition_config_selectorILNS1_17partition_subalgoE0EjNS0_10empty_typeEbEEZZNS1_14partition_implILS5_0ELb0ES3_jN6thrust23THRUST_200600_302600_NS6detail15normal_iteratorINSA_10device_ptrIjEEEEPS6_SG_NS0_5tupleIJSF_SF_EEENSH_IJSG_SG_EEES6_PlJ7is_evenIjEEEE10hipError_tPvRmT3_T4_T5_T6_T7_T9_mT8_P12ihipStream_tbDpT10_ENKUlT_T0_E_clISt17integral_constantIbLb1EES15_IbLb0EEEEDaS11_S12_EUlS11_E_NS1_11comp_targetILNS1_3genE3ELNS1_11target_archE908ELNS1_3gpuE7ELNS1_3repE0EEENS1_30default_config_static_selectorELNS0_4arch9wavefront6targetE1EEEvT1_
    .private_segment_fixed_size: 0
    .sgpr_count:     4
    .sgpr_spill_count: 0
    .symbol:         _ZN7rocprim17ROCPRIM_400000_NS6detail17trampoline_kernelINS0_14default_configENS1_25partition_config_selectorILNS1_17partition_subalgoE0EjNS0_10empty_typeEbEEZZNS1_14partition_implILS5_0ELb0ES3_jN6thrust23THRUST_200600_302600_NS6detail15normal_iteratorINSA_10device_ptrIjEEEEPS6_SG_NS0_5tupleIJSF_SF_EEENSH_IJSG_SG_EEES6_PlJ7is_evenIjEEEE10hipError_tPvRmT3_T4_T5_T6_T7_T9_mT8_P12ihipStream_tbDpT10_ENKUlT_T0_E_clISt17integral_constantIbLb1EES15_IbLb0EEEEDaS11_S12_EUlS11_E_NS1_11comp_targetILNS1_3genE3ELNS1_11target_archE908ELNS1_3gpuE7ELNS1_3repE0EEENS1_30default_config_static_selectorELNS0_4arch9wavefront6targetE1EEEvT1_.kd
    .uniform_work_group_size: 1
    .uses_dynamic_stack: false
    .vgpr_count:     0
    .vgpr_spill_count: 0
    .wavefront_size: 64
  - .agpr_count:     0
    .args:
      - .offset:         0
        .size:           120
        .value_kind:     by_value
    .group_segment_fixed_size: 0
    .kernarg_segment_align: 8
    .kernarg_segment_size: 120
    .language:       OpenCL C
    .language_version:
      - 2
      - 0
    .max_flat_workgroup_size: 192
    .name:           _ZN7rocprim17ROCPRIM_400000_NS6detail17trampoline_kernelINS0_14default_configENS1_25partition_config_selectorILNS1_17partition_subalgoE0EjNS0_10empty_typeEbEEZZNS1_14partition_implILS5_0ELb0ES3_jN6thrust23THRUST_200600_302600_NS6detail15normal_iteratorINSA_10device_ptrIjEEEEPS6_SG_NS0_5tupleIJSF_SF_EEENSH_IJSG_SG_EEES6_PlJ7is_evenIjEEEE10hipError_tPvRmT3_T4_T5_T6_T7_T9_mT8_P12ihipStream_tbDpT10_ENKUlT_T0_E_clISt17integral_constantIbLb1EES15_IbLb0EEEEDaS11_S12_EUlS11_E_NS1_11comp_targetILNS1_3genE2ELNS1_11target_archE906ELNS1_3gpuE6ELNS1_3repE0EEENS1_30default_config_static_selectorELNS0_4arch9wavefront6targetE1EEEvT1_
    .private_segment_fixed_size: 0
    .sgpr_count:     4
    .sgpr_spill_count: 0
    .symbol:         _ZN7rocprim17ROCPRIM_400000_NS6detail17trampoline_kernelINS0_14default_configENS1_25partition_config_selectorILNS1_17partition_subalgoE0EjNS0_10empty_typeEbEEZZNS1_14partition_implILS5_0ELb0ES3_jN6thrust23THRUST_200600_302600_NS6detail15normal_iteratorINSA_10device_ptrIjEEEEPS6_SG_NS0_5tupleIJSF_SF_EEENSH_IJSG_SG_EEES6_PlJ7is_evenIjEEEE10hipError_tPvRmT3_T4_T5_T6_T7_T9_mT8_P12ihipStream_tbDpT10_ENKUlT_T0_E_clISt17integral_constantIbLb1EES15_IbLb0EEEEDaS11_S12_EUlS11_E_NS1_11comp_targetILNS1_3genE2ELNS1_11target_archE906ELNS1_3gpuE6ELNS1_3repE0EEENS1_30default_config_static_selectorELNS0_4arch9wavefront6targetE1EEEvT1_.kd
    .uniform_work_group_size: 1
    .uses_dynamic_stack: false
    .vgpr_count:     0
    .vgpr_spill_count: 0
    .wavefront_size: 64
  - .agpr_count:     0
    .args:
      - .offset:         0
        .size:           120
        .value_kind:     by_value
    .group_segment_fixed_size: 0
    .kernarg_segment_align: 8
    .kernarg_segment_size: 120
    .language:       OpenCL C
    .language_version:
      - 2
      - 0
    .max_flat_workgroup_size: 512
    .name:           _ZN7rocprim17ROCPRIM_400000_NS6detail17trampoline_kernelINS0_14default_configENS1_25partition_config_selectorILNS1_17partition_subalgoE0EjNS0_10empty_typeEbEEZZNS1_14partition_implILS5_0ELb0ES3_jN6thrust23THRUST_200600_302600_NS6detail15normal_iteratorINSA_10device_ptrIjEEEEPS6_SG_NS0_5tupleIJSF_SF_EEENSH_IJSG_SG_EEES6_PlJ7is_evenIjEEEE10hipError_tPvRmT3_T4_T5_T6_T7_T9_mT8_P12ihipStream_tbDpT10_ENKUlT_T0_E_clISt17integral_constantIbLb1EES15_IbLb0EEEEDaS11_S12_EUlS11_E_NS1_11comp_targetILNS1_3genE10ELNS1_11target_archE1200ELNS1_3gpuE4ELNS1_3repE0EEENS1_30default_config_static_selectorELNS0_4arch9wavefront6targetE1EEEvT1_
    .private_segment_fixed_size: 0
    .sgpr_count:     4
    .sgpr_spill_count: 0
    .symbol:         _ZN7rocprim17ROCPRIM_400000_NS6detail17trampoline_kernelINS0_14default_configENS1_25partition_config_selectorILNS1_17partition_subalgoE0EjNS0_10empty_typeEbEEZZNS1_14partition_implILS5_0ELb0ES3_jN6thrust23THRUST_200600_302600_NS6detail15normal_iteratorINSA_10device_ptrIjEEEEPS6_SG_NS0_5tupleIJSF_SF_EEENSH_IJSG_SG_EEES6_PlJ7is_evenIjEEEE10hipError_tPvRmT3_T4_T5_T6_T7_T9_mT8_P12ihipStream_tbDpT10_ENKUlT_T0_E_clISt17integral_constantIbLb1EES15_IbLb0EEEEDaS11_S12_EUlS11_E_NS1_11comp_targetILNS1_3genE10ELNS1_11target_archE1200ELNS1_3gpuE4ELNS1_3repE0EEENS1_30default_config_static_selectorELNS0_4arch9wavefront6targetE1EEEvT1_.kd
    .uniform_work_group_size: 1
    .uses_dynamic_stack: false
    .vgpr_count:     0
    .vgpr_spill_count: 0
    .wavefront_size: 64
  - .agpr_count:     0
    .args:
      - .offset:         0
        .size:           120
        .value_kind:     by_value
    .group_segment_fixed_size: 0
    .kernarg_segment_align: 8
    .kernarg_segment_size: 120
    .language:       OpenCL C
    .language_version:
      - 2
      - 0
    .max_flat_workgroup_size: 128
    .name:           _ZN7rocprim17ROCPRIM_400000_NS6detail17trampoline_kernelINS0_14default_configENS1_25partition_config_selectorILNS1_17partition_subalgoE0EjNS0_10empty_typeEbEEZZNS1_14partition_implILS5_0ELb0ES3_jN6thrust23THRUST_200600_302600_NS6detail15normal_iteratorINSA_10device_ptrIjEEEEPS6_SG_NS0_5tupleIJSF_SF_EEENSH_IJSG_SG_EEES6_PlJ7is_evenIjEEEE10hipError_tPvRmT3_T4_T5_T6_T7_T9_mT8_P12ihipStream_tbDpT10_ENKUlT_T0_E_clISt17integral_constantIbLb1EES15_IbLb0EEEEDaS11_S12_EUlS11_E_NS1_11comp_targetILNS1_3genE9ELNS1_11target_archE1100ELNS1_3gpuE3ELNS1_3repE0EEENS1_30default_config_static_selectorELNS0_4arch9wavefront6targetE1EEEvT1_
    .private_segment_fixed_size: 0
    .sgpr_count:     4
    .sgpr_spill_count: 0
    .symbol:         _ZN7rocprim17ROCPRIM_400000_NS6detail17trampoline_kernelINS0_14default_configENS1_25partition_config_selectorILNS1_17partition_subalgoE0EjNS0_10empty_typeEbEEZZNS1_14partition_implILS5_0ELb0ES3_jN6thrust23THRUST_200600_302600_NS6detail15normal_iteratorINSA_10device_ptrIjEEEEPS6_SG_NS0_5tupleIJSF_SF_EEENSH_IJSG_SG_EEES6_PlJ7is_evenIjEEEE10hipError_tPvRmT3_T4_T5_T6_T7_T9_mT8_P12ihipStream_tbDpT10_ENKUlT_T0_E_clISt17integral_constantIbLb1EES15_IbLb0EEEEDaS11_S12_EUlS11_E_NS1_11comp_targetILNS1_3genE9ELNS1_11target_archE1100ELNS1_3gpuE3ELNS1_3repE0EEENS1_30default_config_static_selectorELNS0_4arch9wavefront6targetE1EEEvT1_.kd
    .uniform_work_group_size: 1
    .uses_dynamic_stack: false
    .vgpr_count:     0
    .vgpr_spill_count: 0
    .wavefront_size: 64
  - .agpr_count:     0
    .args:
      - .offset:         0
        .size:           120
        .value_kind:     by_value
    .group_segment_fixed_size: 0
    .kernarg_segment_align: 8
    .kernarg_segment_size: 120
    .language:       OpenCL C
    .language_version:
      - 2
      - 0
    .max_flat_workgroup_size: 512
    .name:           _ZN7rocprim17ROCPRIM_400000_NS6detail17trampoline_kernelINS0_14default_configENS1_25partition_config_selectorILNS1_17partition_subalgoE0EjNS0_10empty_typeEbEEZZNS1_14partition_implILS5_0ELb0ES3_jN6thrust23THRUST_200600_302600_NS6detail15normal_iteratorINSA_10device_ptrIjEEEEPS6_SG_NS0_5tupleIJSF_SF_EEENSH_IJSG_SG_EEES6_PlJ7is_evenIjEEEE10hipError_tPvRmT3_T4_T5_T6_T7_T9_mT8_P12ihipStream_tbDpT10_ENKUlT_T0_E_clISt17integral_constantIbLb1EES15_IbLb0EEEEDaS11_S12_EUlS11_E_NS1_11comp_targetILNS1_3genE8ELNS1_11target_archE1030ELNS1_3gpuE2ELNS1_3repE0EEENS1_30default_config_static_selectorELNS0_4arch9wavefront6targetE1EEEvT1_
    .private_segment_fixed_size: 0
    .sgpr_count:     4
    .sgpr_spill_count: 0
    .symbol:         _ZN7rocprim17ROCPRIM_400000_NS6detail17trampoline_kernelINS0_14default_configENS1_25partition_config_selectorILNS1_17partition_subalgoE0EjNS0_10empty_typeEbEEZZNS1_14partition_implILS5_0ELb0ES3_jN6thrust23THRUST_200600_302600_NS6detail15normal_iteratorINSA_10device_ptrIjEEEEPS6_SG_NS0_5tupleIJSF_SF_EEENSH_IJSG_SG_EEES6_PlJ7is_evenIjEEEE10hipError_tPvRmT3_T4_T5_T6_T7_T9_mT8_P12ihipStream_tbDpT10_ENKUlT_T0_E_clISt17integral_constantIbLb1EES15_IbLb0EEEEDaS11_S12_EUlS11_E_NS1_11comp_targetILNS1_3genE8ELNS1_11target_archE1030ELNS1_3gpuE2ELNS1_3repE0EEENS1_30default_config_static_selectorELNS0_4arch9wavefront6targetE1EEEvT1_.kd
    .uniform_work_group_size: 1
    .uses_dynamic_stack: false
    .vgpr_count:     0
    .vgpr_spill_count: 0
    .wavefront_size: 64
  - .agpr_count:     0
    .args:
      - .offset:         0
        .size:           136
        .value_kind:     by_value
    .group_segment_fixed_size: 0
    .kernarg_segment_align: 8
    .kernarg_segment_size: 136
    .language:       OpenCL C
    .language_version:
      - 2
      - 0
    .max_flat_workgroup_size: 256
    .name:           _ZN7rocprim17ROCPRIM_400000_NS6detail17trampoline_kernelINS0_14default_configENS1_25partition_config_selectorILNS1_17partition_subalgoE0EjNS0_10empty_typeEbEEZZNS1_14partition_implILS5_0ELb0ES3_jN6thrust23THRUST_200600_302600_NS6detail15normal_iteratorINSA_10device_ptrIjEEEEPS6_SG_NS0_5tupleIJSF_SF_EEENSH_IJSG_SG_EEES6_PlJ7is_evenIjEEEE10hipError_tPvRmT3_T4_T5_T6_T7_T9_mT8_P12ihipStream_tbDpT10_ENKUlT_T0_E_clISt17integral_constantIbLb0EES15_IbLb1EEEEDaS11_S12_EUlS11_E_NS1_11comp_targetILNS1_3genE0ELNS1_11target_archE4294967295ELNS1_3gpuE0ELNS1_3repE0EEENS1_30default_config_static_selectorELNS0_4arch9wavefront6targetE1EEEvT1_
    .private_segment_fixed_size: 0
    .sgpr_count:     4
    .sgpr_spill_count: 0
    .symbol:         _ZN7rocprim17ROCPRIM_400000_NS6detail17trampoline_kernelINS0_14default_configENS1_25partition_config_selectorILNS1_17partition_subalgoE0EjNS0_10empty_typeEbEEZZNS1_14partition_implILS5_0ELb0ES3_jN6thrust23THRUST_200600_302600_NS6detail15normal_iteratorINSA_10device_ptrIjEEEEPS6_SG_NS0_5tupleIJSF_SF_EEENSH_IJSG_SG_EEES6_PlJ7is_evenIjEEEE10hipError_tPvRmT3_T4_T5_T6_T7_T9_mT8_P12ihipStream_tbDpT10_ENKUlT_T0_E_clISt17integral_constantIbLb0EES15_IbLb1EEEEDaS11_S12_EUlS11_E_NS1_11comp_targetILNS1_3genE0ELNS1_11target_archE4294967295ELNS1_3gpuE0ELNS1_3repE0EEENS1_30default_config_static_selectorELNS0_4arch9wavefront6targetE1EEEvT1_.kd
    .uniform_work_group_size: 1
    .uses_dynamic_stack: false
    .vgpr_count:     0
    .vgpr_spill_count: 0
    .wavefront_size: 64
  - .agpr_count:     0
    .args:
      - .offset:         0
        .size:           136
        .value_kind:     by_value
    .group_segment_fixed_size: 0
    .kernarg_segment_align: 8
    .kernarg_segment_size: 136
    .language:       OpenCL C
    .language_version:
      - 2
      - 0
    .max_flat_workgroup_size: 512
    .name:           _ZN7rocprim17ROCPRIM_400000_NS6detail17trampoline_kernelINS0_14default_configENS1_25partition_config_selectorILNS1_17partition_subalgoE0EjNS0_10empty_typeEbEEZZNS1_14partition_implILS5_0ELb0ES3_jN6thrust23THRUST_200600_302600_NS6detail15normal_iteratorINSA_10device_ptrIjEEEEPS6_SG_NS0_5tupleIJSF_SF_EEENSH_IJSG_SG_EEES6_PlJ7is_evenIjEEEE10hipError_tPvRmT3_T4_T5_T6_T7_T9_mT8_P12ihipStream_tbDpT10_ENKUlT_T0_E_clISt17integral_constantIbLb0EES15_IbLb1EEEEDaS11_S12_EUlS11_E_NS1_11comp_targetILNS1_3genE5ELNS1_11target_archE942ELNS1_3gpuE9ELNS1_3repE0EEENS1_30default_config_static_selectorELNS0_4arch9wavefront6targetE1EEEvT1_
    .private_segment_fixed_size: 0
    .sgpr_count:     4
    .sgpr_spill_count: 0
    .symbol:         _ZN7rocprim17ROCPRIM_400000_NS6detail17trampoline_kernelINS0_14default_configENS1_25partition_config_selectorILNS1_17partition_subalgoE0EjNS0_10empty_typeEbEEZZNS1_14partition_implILS5_0ELb0ES3_jN6thrust23THRUST_200600_302600_NS6detail15normal_iteratorINSA_10device_ptrIjEEEEPS6_SG_NS0_5tupleIJSF_SF_EEENSH_IJSG_SG_EEES6_PlJ7is_evenIjEEEE10hipError_tPvRmT3_T4_T5_T6_T7_T9_mT8_P12ihipStream_tbDpT10_ENKUlT_T0_E_clISt17integral_constantIbLb0EES15_IbLb1EEEEDaS11_S12_EUlS11_E_NS1_11comp_targetILNS1_3genE5ELNS1_11target_archE942ELNS1_3gpuE9ELNS1_3repE0EEENS1_30default_config_static_selectorELNS0_4arch9wavefront6targetE1EEEvT1_.kd
    .uniform_work_group_size: 1
    .uses_dynamic_stack: false
    .vgpr_count:     0
    .vgpr_spill_count: 0
    .wavefront_size: 64
  - .agpr_count:     0
    .args:
      - .offset:         0
        .size:           136
        .value_kind:     by_value
    .group_segment_fixed_size: 10248
    .kernarg_segment_align: 8
    .kernarg_segment_size: 136
    .language:       OpenCL C
    .language_version:
      - 2
      - 0
    .max_flat_workgroup_size: 256
    .name:           _ZN7rocprim17ROCPRIM_400000_NS6detail17trampoline_kernelINS0_14default_configENS1_25partition_config_selectorILNS1_17partition_subalgoE0EjNS0_10empty_typeEbEEZZNS1_14partition_implILS5_0ELb0ES3_jN6thrust23THRUST_200600_302600_NS6detail15normal_iteratorINSA_10device_ptrIjEEEEPS6_SG_NS0_5tupleIJSF_SF_EEENSH_IJSG_SG_EEES6_PlJ7is_evenIjEEEE10hipError_tPvRmT3_T4_T5_T6_T7_T9_mT8_P12ihipStream_tbDpT10_ENKUlT_T0_E_clISt17integral_constantIbLb0EES15_IbLb1EEEEDaS11_S12_EUlS11_E_NS1_11comp_targetILNS1_3genE4ELNS1_11target_archE910ELNS1_3gpuE8ELNS1_3repE0EEENS1_30default_config_static_selectorELNS0_4arch9wavefront6targetE1EEEvT1_
    .private_segment_fixed_size: 0
    .sgpr_count:     48
    .sgpr_spill_count: 0
    .symbol:         _ZN7rocprim17ROCPRIM_400000_NS6detail17trampoline_kernelINS0_14default_configENS1_25partition_config_selectorILNS1_17partition_subalgoE0EjNS0_10empty_typeEbEEZZNS1_14partition_implILS5_0ELb0ES3_jN6thrust23THRUST_200600_302600_NS6detail15normal_iteratorINSA_10device_ptrIjEEEEPS6_SG_NS0_5tupleIJSF_SF_EEENSH_IJSG_SG_EEES6_PlJ7is_evenIjEEEE10hipError_tPvRmT3_T4_T5_T6_T7_T9_mT8_P12ihipStream_tbDpT10_ENKUlT_T0_E_clISt17integral_constantIbLb0EES15_IbLb1EEEEDaS11_S12_EUlS11_E_NS1_11comp_targetILNS1_3genE4ELNS1_11target_archE910ELNS1_3gpuE8ELNS1_3repE0EEENS1_30default_config_static_selectorELNS0_4arch9wavefront6targetE1EEEvT1_.kd
    .uniform_work_group_size: 1
    .uses_dynamic_stack: false
    .vgpr_count:     58
    .vgpr_spill_count: 0
    .wavefront_size: 64
  - .agpr_count:     0
    .args:
      - .offset:         0
        .size:           136
        .value_kind:     by_value
    .group_segment_fixed_size: 0
    .kernarg_segment_align: 8
    .kernarg_segment_size: 136
    .language:       OpenCL C
    .language_version:
      - 2
      - 0
    .max_flat_workgroup_size: 256
    .name:           _ZN7rocprim17ROCPRIM_400000_NS6detail17trampoline_kernelINS0_14default_configENS1_25partition_config_selectorILNS1_17partition_subalgoE0EjNS0_10empty_typeEbEEZZNS1_14partition_implILS5_0ELb0ES3_jN6thrust23THRUST_200600_302600_NS6detail15normal_iteratorINSA_10device_ptrIjEEEEPS6_SG_NS0_5tupleIJSF_SF_EEENSH_IJSG_SG_EEES6_PlJ7is_evenIjEEEE10hipError_tPvRmT3_T4_T5_T6_T7_T9_mT8_P12ihipStream_tbDpT10_ENKUlT_T0_E_clISt17integral_constantIbLb0EES15_IbLb1EEEEDaS11_S12_EUlS11_E_NS1_11comp_targetILNS1_3genE3ELNS1_11target_archE908ELNS1_3gpuE7ELNS1_3repE0EEENS1_30default_config_static_selectorELNS0_4arch9wavefront6targetE1EEEvT1_
    .private_segment_fixed_size: 0
    .sgpr_count:     4
    .sgpr_spill_count: 0
    .symbol:         _ZN7rocprim17ROCPRIM_400000_NS6detail17trampoline_kernelINS0_14default_configENS1_25partition_config_selectorILNS1_17partition_subalgoE0EjNS0_10empty_typeEbEEZZNS1_14partition_implILS5_0ELb0ES3_jN6thrust23THRUST_200600_302600_NS6detail15normal_iteratorINSA_10device_ptrIjEEEEPS6_SG_NS0_5tupleIJSF_SF_EEENSH_IJSG_SG_EEES6_PlJ7is_evenIjEEEE10hipError_tPvRmT3_T4_T5_T6_T7_T9_mT8_P12ihipStream_tbDpT10_ENKUlT_T0_E_clISt17integral_constantIbLb0EES15_IbLb1EEEEDaS11_S12_EUlS11_E_NS1_11comp_targetILNS1_3genE3ELNS1_11target_archE908ELNS1_3gpuE7ELNS1_3repE0EEENS1_30default_config_static_selectorELNS0_4arch9wavefront6targetE1EEEvT1_.kd
    .uniform_work_group_size: 1
    .uses_dynamic_stack: false
    .vgpr_count:     0
    .vgpr_spill_count: 0
    .wavefront_size: 64
  - .agpr_count:     0
    .args:
      - .offset:         0
        .size:           136
        .value_kind:     by_value
    .group_segment_fixed_size: 0
    .kernarg_segment_align: 8
    .kernarg_segment_size: 136
    .language:       OpenCL C
    .language_version:
      - 2
      - 0
    .max_flat_workgroup_size: 192
    .name:           _ZN7rocprim17ROCPRIM_400000_NS6detail17trampoline_kernelINS0_14default_configENS1_25partition_config_selectorILNS1_17partition_subalgoE0EjNS0_10empty_typeEbEEZZNS1_14partition_implILS5_0ELb0ES3_jN6thrust23THRUST_200600_302600_NS6detail15normal_iteratorINSA_10device_ptrIjEEEEPS6_SG_NS0_5tupleIJSF_SF_EEENSH_IJSG_SG_EEES6_PlJ7is_evenIjEEEE10hipError_tPvRmT3_T4_T5_T6_T7_T9_mT8_P12ihipStream_tbDpT10_ENKUlT_T0_E_clISt17integral_constantIbLb0EES15_IbLb1EEEEDaS11_S12_EUlS11_E_NS1_11comp_targetILNS1_3genE2ELNS1_11target_archE906ELNS1_3gpuE6ELNS1_3repE0EEENS1_30default_config_static_selectorELNS0_4arch9wavefront6targetE1EEEvT1_
    .private_segment_fixed_size: 0
    .sgpr_count:     4
    .sgpr_spill_count: 0
    .symbol:         _ZN7rocprim17ROCPRIM_400000_NS6detail17trampoline_kernelINS0_14default_configENS1_25partition_config_selectorILNS1_17partition_subalgoE0EjNS0_10empty_typeEbEEZZNS1_14partition_implILS5_0ELb0ES3_jN6thrust23THRUST_200600_302600_NS6detail15normal_iteratorINSA_10device_ptrIjEEEEPS6_SG_NS0_5tupleIJSF_SF_EEENSH_IJSG_SG_EEES6_PlJ7is_evenIjEEEE10hipError_tPvRmT3_T4_T5_T6_T7_T9_mT8_P12ihipStream_tbDpT10_ENKUlT_T0_E_clISt17integral_constantIbLb0EES15_IbLb1EEEEDaS11_S12_EUlS11_E_NS1_11comp_targetILNS1_3genE2ELNS1_11target_archE906ELNS1_3gpuE6ELNS1_3repE0EEENS1_30default_config_static_selectorELNS0_4arch9wavefront6targetE1EEEvT1_.kd
    .uniform_work_group_size: 1
    .uses_dynamic_stack: false
    .vgpr_count:     0
    .vgpr_spill_count: 0
    .wavefront_size: 64
  - .agpr_count:     0
    .args:
      - .offset:         0
        .size:           136
        .value_kind:     by_value
    .group_segment_fixed_size: 0
    .kernarg_segment_align: 8
    .kernarg_segment_size: 136
    .language:       OpenCL C
    .language_version:
      - 2
      - 0
    .max_flat_workgroup_size: 512
    .name:           _ZN7rocprim17ROCPRIM_400000_NS6detail17trampoline_kernelINS0_14default_configENS1_25partition_config_selectorILNS1_17partition_subalgoE0EjNS0_10empty_typeEbEEZZNS1_14partition_implILS5_0ELb0ES3_jN6thrust23THRUST_200600_302600_NS6detail15normal_iteratorINSA_10device_ptrIjEEEEPS6_SG_NS0_5tupleIJSF_SF_EEENSH_IJSG_SG_EEES6_PlJ7is_evenIjEEEE10hipError_tPvRmT3_T4_T5_T6_T7_T9_mT8_P12ihipStream_tbDpT10_ENKUlT_T0_E_clISt17integral_constantIbLb0EES15_IbLb1EEEEDaS11_S12_EUlS11_E_NS1_11comp_targetILNS1_3genE10ELNS1_11target_archE1200ELNS1_3gpuE4ELNS1_3repE0EEENS1_30default_config_static_selectorELNS0_4arch9wavefront6targetE1EEEvT1_
    .private_segment_fixed_size: 0
    .sgpr_count:     4
    .sgpr_spill_count: 0
    .symbol:         _ZN7rocprim17ROCPRIM_400000_NS6detail17trampoline_kernelINS0_14default_configENS1_25partition_config_selectorILNS1_17partition_subalgoE0EjNS0_10empty_typeEbEEZZNS1_14partition_implILS5_0ELb0ES3_jN6thrust23THRUST_200600_302600_NS6detail15normal_iteratorINSA_10device_ptrIjEEEEPS6_SG_NS0_5tupleIJSF_SF_EEENSH_IJSG_SG_EEES6_PlJ7is_evenIjEEEE10hipError_tPvRmT3_T4_T5_T6_T7_T9_mT8_P12ihipStream_tbDpT10_ENKUlT_T0_E_clISt17integral_constantIbLb0EES15_IbLb1EEEEDaS11_S12_EUlS11_E_NS1_11comp_targetILNS1_3genE10ELNS1_11target_archE1200ELNS1_3gpuE4ELNS1_3repE0EEENS1_30default_config_static_selectorELNS0_4arch9wavefront6targetE1EEEvT1_.kd
    .uniform_work_group_size: 1
    .uses_dynamic_stack: false
    .vgpr_count:     0
    .vgpr_spill_count: 0
    .wavefront_size: 64
  - .agpr_count:     0
    .args:
      - .offset:         0
        .size:           136
        .value_kind:     by_value
    .group_segment_fixed_size: 0
    .kernarg_segment_align: 8
    .kernarg_segment_size: 136
    .language:       OpenCL C
    .language_version:
      - 2
      - 0
    .max_flat_workgroup_size: 128
    .name:           _ZN7rocprim17ROCPRIM_400000_NS6detail17trampoline_kernelINS0_14default_configENS1_25partition_config_selectorILNS1_17partition_subalgoE0EjNS0_10empty_typeEbEEZZNS1_14partition_implILS5_0ELb0ES3_jN6thrust23THRUST_200600_302600_NS6detail15normal_iteratorINSA_10device_ptrIjEEEEPS6_SG_NS0_5tupleIJSF_SF_EEENSH_IJSG_SG_EEES6_PlJ7is_evenIjEEEE10hipError_tPvRmT3_T4_T5_T6_T7_T9_mT8_P12ihipStream_tbDpT10_ENKUlT_T0_E_clISt17integral_constantIbLb0EES15_IbLb1EEEEDaS11_S12_EUlS11_E_NS1_11comp_targetILNS1_3genE9ELNS1_11target_archE1100ELNS1_3gpuE3ELNS1_3repE0EEENS1_30default_config_static_selectorELNS0_4arch9wavefront6targetE1EEEvT1_
    .private_segment_fixed_size: 0
    .sgpr_count:     4
    .sgpr_spill_count: 0
    .symbol:         _ZN7rocprim17ROCPRIM_400000_NS6detail17trampoline_kernelINS0_14default_configENS1_25partition_config_selectorILNS1_17partition_subalgoE0EjNS0_10empty_typeEbEEZZNS1_14partition_implILS5_0ELb0ES3_jN6thrust23THRUST_200600_302600_NS6detail15normal_iteratorINSA_10device_ptrIjEEEEPS6_SG_NS0_5tupleIJSF_SF_EEENSH_IJSG_SG_EEES6_PlJ7is_evenIjEEEE10hipError_tPvRmT3_T4_T5_T6_T7_T9_mT8_P12ihipStream_tbDpT10_ENKUlT_T0_E_clISt17integral_constantIbLb0EES15_IbLb1EEEEDaS11_S12_EUlS11_E_NS1_11comp_targetILNS1_3genE9ELNS1_11target_archE1100ELNS1_3gpuE3ELNS1_3repE0EEENS1_30default_config_static_selectorELNS0_4arch9wavefront6targetE1EEEvT1_.kd
    .uniform_work_group_size: 1
    .uses_dynamic_stack: false
    .vgpr_count:     0
    .vgpr_spill_count: 0
    .wavefront_size: 64
  - .agpr_count:     0
    .args:
      - .offset:         0
        .size:           136
        .value_kind:     by_value
    .group_segment_fixed_size: 0
    .kernarg_segment_align: 8
    .kernarg_segment_size: 136
    .language:       OpenCL C
    .language_version:
      - 2
      - 0
    .max_flat_workgroup_size: 512
    .name:           _ZN7rocprim17ROCPRIM_400000_NS6detail17trampoline_kernelINS0_14default_configENS1_25partition_config_selectorILNS1_17partition_subalgoE0EjNS0_10empty_typeEbEEZZNS1_14partition_implILS5_0ELb0ES3_jN6thrust23THRUST_200600_302600_NS6detail15normal_iteratorINSA_10device_ptrIjEEEEPS6_SG_NS0_5tupleIJSF_SF_EEENSH_IJSG_SG_EEES6_PlJ7is_evenIjEEEE10hipError_tPvRmT3_T4_T5_T6_T7_T9_mT8_P12ihipStream_tbDpT10_ENKUlT_T0_E_clISt17integral_constantIbLb0EES15_IbLb1EEEEDaS11_S12_EUlS11_E_NS1_11comp_targetILNS1_3genE8ELNS1_11target_archE1030ELNS1_3gpuE2ELNS1_3repE0EEENS1_30default_config_static_selectorELNS0_4arch9wavefront6targetE1EEEvT1_
    .private_segment_fixed_size: 0
    .sgpr_count:     4
    .sgpr_spill_count: 0
    .symbol:         _ZN7rocprim17ROCPRIM_400000_NS6detail17trampoline_kernelINS0_14default_configENS1_25partition_config_selectorILNS1_17partition_subalgoE0EjNS0_10empty_typeEbEEZZNS1_14partition_implILS5_0ELb0ES3_jN6thrust23THRUST_200600_302600_NS6detail15normal_iteratorINSA_10device_ptrIjEEEEPS6_SG_NS0_5tupleIJSF_SF_EEENSH_IJSG_SG_EEES6_PlJ7is_evenIjEEEE10hipError_tPvRmT3_T4_T5_T6_T7_T9_mT8_P12ihipStream_tbDpT10_ENKUlT_T0_E_clISt17integral_constantIbLb0EES15_IbLb1EEEEDaS11_S12_EUlS11_E_NS1_11comp_targetILNS1_3genE8ELNS1_11target_archE1030ELNS1_3gpuE2ELNS1_3repE0EEENS1_30default_config_static_selectorELNS0_4arch9wavefront6targetE1EEEvT1_.kd
    .uniform_work_group_size: 1
    .uses_dynamic_stack: false
    .vgpr_count:     0
    .vgpr_spill_count: 0
    .wavefront_size: 64
  - .agpr_count:     0
    .args:
      - .offset:         0
        .size:           16
        .value_kind:     by_value
      - .offset:         16
        .size:           8
        .value_kind:     by_value
      - .offset:         24
        .size:           8
        .value_kind:     by_value
    .group_segment_fixed_size: 0
    .kernarg_segment_align: 8
    .kernarg_segment_size: 32
    .language:       OpenCL C
    .language_version:
      - 2
      - 0
    .max_flat_workgroup_size: 256
    .name:           _ZN6thrust23THRUST_200600_302600_NS11hip_rocprim14__parallel_for6kernelILj256ENS1_20__uninitialized_fill7functorINS0_10device_ptrItEEtEEmLj1EEEvT0_T1_SA_
    .private_segment_fixed_size: 0
    .sgpr_count:     16
    .sgpr_spill_count: 0
    .symbol:         _ZN6thrust23THRUST_200600_302600_NS11hip_rocprim14__parallel_for6kernelILj256ENS1_20__uninitialized_fill7functorINS0_10device_ptrItEEtEEmLj1EEEvT0_T1_SA_.kd
    .uniform_work_group_size: 1
    .uses_dynamic_stack: false
    .vgpr_count:     4
    .vgpr_spill_count: 0
    .wavefront_size: 64
  - .agpr_count:     0
    .args:
      - .offset:         0
        .size:           120
        .value_kind:     by_value
    .group_segment_fixed_size: 0
    .kernarg_segment_align: 8
    .kernarg_segment_size: 120
    .language:       OpenCL C
    .language_version:
      - 2
      - 0
    .max_flat_workgroup_size: 256
    .name:           _ZN7rocprim17ROCPRIM_400000_NS6detail17trampoline_kernelINS0_14default_configENS1_25partition_config_selectorILNS1_17partition_subalgoE0EtNS0_10empty_typeEbEEZZNS1_14partition_implILS5_0ELb0ES3_jN6thrust23THRUST_200600_302600_NS6detail15normal_iteratorINSA_10device_ptrItEEEEPS6_SG_NS0_5tupleIJSF_SF_EEENSH_IJSG_SG_EEES6_PlJ7is_evenItEEEE10hipError_tPvRmT3_T4_T5_T6_T7_T9_mT8_P12ihipStream_tbDpT10_ENKUlT_T0_E_clISt17integral_constantIbLb0EES16_EEDaS11_S12_EUlS11_E_NS1_11comp_targetILNS1_3genE0ELNS1_11target_archE4294967295ELNS1_3gpuE0ELNS1_3repE0EEENS1_30default_config_static_selectorELNS0_4arch9wavefront6targetE1EEEvT1_
    .private_segment_fixed_size: 0
    .sgpr_count:     4
    .sgpr_spill_count: 0
    .symbol:         _ZN7rocprim17ROCPRIM_400000_NS6detail17trampoline_kernelINS0_14default_configENS1_25partition_config_selectorILNS1_17partition_subalgoE0EtNS0_10empty_typeEbEEZZNS1_14partition_implILS5_0ELb0ES3_jN6thrust23THRUST_200600_302600_NS6detail15normal_iteratorINSA_10device_ptrItEEEEPS6_SG_NS0_5tupleIJSF_SF_EEENSH_IJSG_SG_EEES6_PlJ7is_evenItEEEE10hipError_tPvRmT3_T4_T5_T6_T7_T9_mT8_P12ihipStream_tbDpT10_ENKUlT_T0_E_clISt17integral_constantIbLb0EES16_EEDaS11_S12_EUlS11_E_NS1_11comp_targetILNS1_3genE0ELNS1_11target_archE4294967295ELNS1_3gpuE0ELNS1_3repE0EEENS1_30default_config_static_selectorELNS0_4arch9wavefront6targetE1EEEvT1_.kd
    .uniform_work_group_size: 1
    .uses_dynamic_stack: false
    .vgpr_count:     0
    .vgpr_spill_count: 0
    .wavefront_size: 64
  - .agpr_count:     0
    .args:
      - .offset:         0
        .size:           120
        .value_kind:     by_value
    .group_segment_fixed_size: 0
    .kernarg_segment_align: 8
    .kernarg_segment_size: 120
    .language:       OpenCL C
    .language_version:
      - 2
      - 0
    .max_flat_workgroup_size: 512
    .name:           _ZN7rocprim17ROCPRIM_400000_NS6detail17trampoline_kernelINS0_14default_configENS1_25partition_config_selectorILNS1_17partition_subalgoE0EtNS0_10empty_typeEbEEZZNS1_14partition_implILS5_0ELb0ES3_jN6thrust23THRUST_200600_302600_NS6detail15normal_iteratorINSA_10device_ptrItEEEEPS6_SG_NS0_5tupleIJSF_SF_EEENSH_IJSG_SG_EEES6_PlJ7is_evenItEEEE10hipError_tPvRmT3_T4_T5_T6_T7_T9_mT8_P12ihipStream_tbDpT10_ENKUlT_T0_E_clISt17integral_constantIbLb0EES16_EEDaS11_S12_EUlS11_E_NS1_11comp_targetILNS1_3genE5ELNS1_11target_archE942ELNS1_3gpuE9ELNS1_3repE0EEENS1_30default_config_static_selectorELNS0_4arch9wavefront6targetE1EEEvT1_
    .private_segment_fixed_size: 0
    .sgpr_count:     4
    .sgpr_spill_count: 0
    .symbol:         _ZN7rocprim17ROCPRIM_400000_NS6detail17trampoline_kernelINS0_14default_configENS1_25partition_config_selectorILNS1_17partition_subalgoE0EtNS0_10empty_typeEbEEZZNS1_14partition_implILS5_0ELb0ES3_jN6thrust23THRUST_200600_302600_NS6detail15normal_iteratorINSA_10device_ptrItEEEEPS6_SG_NS0_5tupleIJSF_SF_EEENSH_IJSG_SG_EEES6_PlJ7is_evenItEEEE10hipError_tPvRmT3_T4_T5_T6_T7_T9_mT8_P12ihipStream_tbDpT10_ENKUlT_T0_E_clISt17integral_constantIbLb0EES16_EEDaS11_S12_EUlS11_E_NS1_11comp_targetILNS1_3genE5ELNS1_11target_archE942ELNS1_3gpuE9ELNS1_3repE0EEENS1_30default_config_static_selectorELNS0_4arch9wavefront6targetE1EEEvT1_.kd
    .uniform_work_group_size: 1
    .uses_dynamic_stack: false
    .vgpr_count:     0
    .vgpr_spill_count: 0
    .wavefront_size: 64
  - .agpr_count:     0
    .args:
      - .offset:         0
        .size:           120
        .value_kind:     by_value
    .group_segment_fixed_size: 14344
    .kernarg_segment_align: 8
    .kernarg_segment_size: 120
    .language:       OpenCL C
    .language_version:
      - 2
      - 0
    .max_flat_workgroup_size: 256
    .name:           _ZN7rocprim17ROCPRIM_400000_NS6detail17trampoline_kernelINS0_14default_configENS1_25partition_config_selectorILNS1_17partition_subalgoE0EtNS0_10empty_typeEbEEZZNS1_14partition_implILS5_0ELb0ES3_jN6thrust23THRUST_200600_302600_NS6detail15normal_iteratorINSA_10device_ptrItEEEEPS6_SG_NS0_5tupleIJSF_SF_EEENSH_IJSG_SG_EEES6_PlJ7is_evenItEEEE10hipError_tPvRmT3_T4_T5_T6_T7_T9_mT8_P12ihipStream_tbDpT10_ENKUlT_T0_E_clISt17integral_constantIbLb0EES16_EEDaS11_S12_EUlS11_E_NS1_11comp_targetILNS1_3genE4ELNS1_11target_archE910ELNS1_3gpuE8ELNS1_3repE0EEENS1_30default_config_static_selectorELNS0_4arch9wavefront6targetE1EEEvT1_
    .private_segment_fixed_size: 0
    .sgpr_count:     48
    .sgpr_spill_count: 0
    .symbol:         _ZN7rocprim17ROCPRIM_400000_NS6detail17trampoline_kernelINS0_14default_configENS1_25partition_config_selectorILNS1_17partition_subalgoE0EtNS0_10empty_typeEbEEZZNS1_14partition_implILS5_0ELb0ES3_jN6thrust23THRUST_200600_302600_NS6detail15normal_iteratorINSA_10device_ptrItEEEEPS6_SG_NS0_5tupleIJSF_SF_EEENSH_IJSG_SG_EEES6_PlJ7is_evenItEEEE10hipError_tPvRmT3_T4_T5_T6_T7_T9_mT8_P12ihipStream_tbDpT10_ENKUlT_T0_E_clISt17integral_constantIbLb0EES16_EEDaS11_S12_EUlS11_E_NS1_11comp_targetILNS1_3genE4ELNS1_11target_archE910ELNS1_3gpuE8ELNS1_3repE0EEENS1_30default_config_static_selectorELNS0_4arch9wavefront6targetE1EEEvT1_.kd
    .uniform_work_group_size: 1
    .uses_dynamic_stack: false
    .vgpr_count:     114
    .vgpr_spill_count: 0
    .wavefront_size: 64
  - .agpr_count:     0
    .args:
      - .offset:         0
        .size:           120
        .value_kind:     by_value
    .group_segment_fixed_size: 0
    .kernarg_segment_align: 8
    .kernarg_segment_size: 120
    .language:       OpenCL C
    .language_version:
      - 2
      - 0
    .max_flat_workgroup_size: 256
    .name:           _ZN7rocprim17ROCPRIM_400000_NS6detail17trampoline_kernelINS0_14default_configENS1_25partition_config_selectorILNS1_17partition_subalgoE0EtNS0_10empty_typeEbEEZZNS1_14partition_implILS5_0ELb0ES3_jN6thrust23THRUST_200600_302600_NS6detail15normal_iteratorINSA_10device_ptrItEEEEPS6_SG_NS0_5tupleIJSF_SF_EEENSH_IJSG_SG_EEES6_PlJ7is_evenItEEEE10hipError_tPvRmT3_T4_T5_T6_T7_T9_mT8_P12ihipStream_tbDpT10_ENKUlT_T0_E_clISt17integral_constantIbLb0EES16_EEDaS11_S12_EUlS11_E_NS1_11comp_targetILNS1_3genE3ELNS1_11target_archE908ELNS1_3gpuE7ELNS1_3repE0EEENS1_30default_config_static_selectorELNS0_4arch9wavefront6targetE1EEEvT1_
    .private_segment_fixed_size: 0
    .sgpr_count:     4
    .sgpr_spill_count: 0
    .symbol:         _ZN7rocprim17ROCPRIM_400000_NS6detail17trampoline_kernelINS0_14default_configENS1_25partition_config_selectorILNS1_17partition_subalgoE0EtNS0_10empty_typeEbEEZZNS1_14partition_implILS5_0ELb0ES3_jN6thrust23THRUST_200600_302600_NS6detail15normal_iteratorINSA_10device_ptrItEEEEPS6_SG_NS0_5tupleIJSF_SF_EEENSH_IJSG_SG_EEES6_PlJ7is_evenItEEEE10hipError_tPvRmT3_T4_T5_T6_T7_T9_mT8_P12ihipStream_tbDpT10_ENKUlT_T0_E_clISt17integral_constantIbLb0EES16_EEDaS11_S12_EUlS11_E_NS1_11comp_targetILNS1_3genE3ELNS1_11target_archE908ELNS1_3gpuE7ELNS1_3repE0EEENS1_30default_config_static_selectorELNS0_4arch9wavefront6targetE1EEEvT1_.kd
    .uniform_work_group_size: 1
    .uses_dynamic_stack: false
    .vgpr_count:     0
    .vgpr_spill_count: 0
    .wavefront_size: 64
  - .agpr_count:     0
    .args:
      - .offset:         0
        .size:           120
        .value_kind:     by_value
    .group_segment_fixed_size: 0
    .kernarg_segment_align: 8
    .kernarg_segment_size: 120
    .language:       OpenCL C
    .language_version:
      - 2
      - 0
    .max_flat_workgroup_size: 256
    .name:           _ZN7rocprim17ROCPRIM_400000_NS6detail17trampoline_kernelINS0_14default_configENS1_25partition_config_selectorILNS1_17partition_subalgoE0EtNS0_10empty_typeEbEEZZNS1_14partition_implILS5_0ELb0ES3_jN6thrust23THRUST_200600_302600_NS6detail15normal_iteratorINSA_10device_ptrItEEEEPS6_SG_NS0_5tupleIJSF_SF_EEENSH_IJSG_SG_EEES6_PlJ7is_evenItEEEE10hipError_tPvRmT3_T4_T5_T6_T7_T9_mT8_P12ihipStream_tbDpT10_ENKUlT_T0_E_clISt17integral_constantIbLb0EES16_EEDaS11_S12_EUlS11_E_NS1_11comp_targetILNS1_3genE2ELNS1_11target_archE906ELNS1_3gpuE6ELNS1_3repE0EEENS1_30default_config_static_selectorELNS0_4arch9wavefront6targetE1EEEvT1_
    .private_segment_fixed_size: 0
    .sgpr_count:     4
    .sgpr_spill_count: 0
    .symbol:         _ZN7rocprim17ROCPRIM_400000_NS6detail17trampoline_kernelINS0_14default_configENS1_25partition_config_selectorILNS1_17partition_subalgoE0EtNS0_10empty_typeEbEEZZNS1_14partition_implILS5_0ELb0ES3_jN6thrust23THRUST_200600_302600_NS6detail15normal_iteratorINSA_10device_ptrItEEEEPS6_SG_NS0_5tupleIJSF_SF_EEENSH_IJSG_SG_EEES6_PlJ7is_evenItEEEE10hipError_tPvRmT3_T4_T5_T6_T7_T9_mT8_P12ihipStream_tbDpT10_ENKUlT_T0_E_clISt17integral_constantIbLb0EES16_EEDaS11_S12_EUlS11_E_NS1_11comp_targetILNS1_3genE2ELNS1_11target_archE906ELNS1_3gpuE6ELNS1_3repE0EEENS1_30default_config_static_selectorELNS0_4arch9wavefront6targetE1EEEvT1_.kd
    .uniform_work_group_size: 1
    .uses_dynamic_stack: false
    .vgpr_count:     0
    .vgpr_spill_count: 0
    .wavefront_size: 64
  - .agpr_count:     0
    .args:
      - .offset:         0
        .size:           120
        .value_kind:     by_value
    .group_segment_fixed_size: 0
    .kernarg_segment_align: 8
    .kernarg_segment_size: 120
    .language:       OpenCL C
    .language_version:
      - 2
      - 0
    .max_flat_workgroup_size: 384
    .name:           _ZN7rocprim17ROCPRIM_400000_NS6detail17trampoline_kernelINS0_14default_configENS1_25partition_config_selectorILNS1_17partition_subalgoE0EtNS0_10empty_typeEbEEZZNS1_14partition_implILS5_0ELb0ES3_jN6thrust23THRUST_200600_302600_NS6detail15normal_iteratorINSA_10device_ptrItEEEEPS6_SG_NS0_5tupleIJSF_SF_EEENSH_IJSG_SG_EEES6_PlJ7is_evenItEEEE10hipError_tPvRmT3_T4_T5_T6_T7_T9_mT8_P12ihipStream_tbDpT10_ENKUlT_T0_E_clISt17integral_constantIbLb0EES16_EEDaS11_S12_EUlS11_E_NS1_11comp_targetILNS1_3genE10ELNS1_11target_archE1200ELNS1_3gpuE4ELNS1_3repE0EEENS1_30default_config_static_selectorELNS0_4arch9wavefront6targetE1EEEvT1_
    .private_segment_fixed_size: 0
    .sgpr_count:     4
    .sgpr_spill_count: 0
    .symbol:         _ZN7rocprim17ROCPRIM_400000_NS6detail17trampoline_kernelINS0_14default_configENS1_25partition_config_selectorILNS1_17partition_subalgoE0EtNS0_10empty_typeEbEEZZNS1_14partition_implILS5_0ELb0ES3_jN6thrust23THRUST_200600_302600_NS6detail15normal_iteratorINSA_10device_ptrItEEEEPS6_SG_NS0_5tupleIJSF_SF_EEENSH_IJSG_SG_EEES6_PlJ7is_evenItEEEE10hipError_tPvRmT3_T4_T5_T6_T7_T9_mT8_P12ihipStream_tbDpT10_ENKUlT_T0_E_clISt17integral_constantIbLb0EES16_EEDaS11_S12_EUlS11_E_NS1_11comp_targetILNS1_3genE10ELNS1_11target_archE1200ELNS1_3gpuE4ELNS1_3repE0EEENS1_30default_config_static_selectorELNS0_4arch9wavefront6targetE1EEEvT1_.kd
    .uniform_work_group_size: 1
    .uses_dynamic_stack: false
    .vgpr_count:     0
    .vgpr_spill_count: 0
    .wavefront_size: 64
  - .agpr_count:     0
    .args:
      - .offset:         0
        .size:           120
        .value_kind:     by_value
    .group_segment_fixed_size: 0
    .kernarg_segment_align: 8
    .kernarg_segment_size: 120
    .language:       OpenCL C
    .language_version:
      - 2
      - 0
    .max_flat_workgroup_size: 128
    .name:           _ZN7rocprim17ROCPRIM_400000_NS6detail17trampoline_kernelINS0_14default_configENS1_25partition_config_selectorILNS1_17partition_subalgoE0EtNS0_10empty_typeEbEEZZNS1_14partition_implILS5_0ELb0ES3_jN6thrust23THRUST_200600_302600_NS6detail15normal_iteratorINSA_10device_ptrItEEEEPS6_SG_NS0_5tupleIJSF_SF_EEENSH_IJSG_SG_EEES6_PlJ7is_evenItEEEE10hipError_tPvRmT3_T4_T5_T6_T7_T9_mT8_P12ihipStream_tbDpT10_ENKUlT_T0_E_clISt17integral_constantIbLb0EES16_EEDaS11_S12_EUlS11_E_NS1_11comp_targetILNS1_3genE9ELNS1_11target_archE1100ELNS1_3gpuE3ELNS1_3repE0EEENS1_30default_config_static_selectorELNS0_4arch9wavefront6targetE1EEEvT1_
    .private_segment_fixed_size: 0
    .sgpr_count:     4
    .sgpr_spill_count: 0
    .symbol:         _ZN7rocprim17ROCPRIM_400000_NS6detail17trampoline_kernelINS0_14default_configENS1_25partition_config_selectorILNS1_17partition_subalgoE0EtNS0_10empty_typeEbEEZZNS1_14partition_implILS5_0ELb0ES3_jN6thrust23THRUST_200600_302600_NS6detail15normal_iteratorINSA_10device_ptrItEEEEPS6_SG_NS0_5tupleIJSF_SF_EEENSH_IJSG_SG_EEES6_PlJ7is_evenItEEEE10hipError_tPvRmT3_T4_T5_T6_T7_T9_mT8_P12ihipStream_tbDpT10_ENKUlT_T0_E_clISt17integral_constantIbLb0EES16_EEDaS11_S12_EUlS11_E_NS1_11comp_targetILNS1_3genE9ELNS1_11target_archE1100ELNS1_3gpuE3ELNS1_3repE0EEENS1_30default_config_static_selectorELNS0_4arch9wavefront6targetE1EEEvT1_.kd
    .uniform_work_group_size: 1
    .uses_dynamic_stack: false
    .vgpr_count:     0
    .vgpr_spill_count: 0
    .wavefront_size: 64
  - .agpr_count:     0
    .args:
      - .offset:         0
        .size:           120
        .value_kind:     by_value
    .group_segment_fixed_size: 0
    .kernarg_segment_align: 8
    .kernarg_segment_size: 120
    .language:       OpenCL C
    .language_version:
      - 2
      - 0
    .max_flat_workgroup_size: 128
    .name:           _ZN7rocprim17ROCPRIM_400000_NS6detail17trampoline_kernelINS0_14default_configENS1_25partition_config_selectorILNS1_17partition_subalgoE0EtNS0_10empty_typeEbEEZZNS1_14partition_implILS5_0ELb0ES3_jN6thrust23THRUST_200600_302600_NS6detail15normal_iteratorINSA_10device_ptrItEEEEPS6_SG_NS0_5tupleIJSF_SF_EEENSH_IJSG_SG_EEES6_PlJ7is_evenItEEEE10hipError_tPvRmT3_T4_T5_T6_T7_T9_mT8_P12ihipStream_tbDpT10_ENKUlT_T0_E_clISt17integral_constantIbLb0EES16_EEDaS11_S12_EUlS11_E_NS1_11comp_targetILNS1_3genE8ELNS1_11target_archE1030ELNS1_3gpuE2ELNS1_3repE0EEENS1_30default_config_static_selectorELNS0_4arch9wavefront6targetE1EEEvT1_
    .private_segment_fixed_size: 0
    .sgpr_count:     4
    .sgpr_spill_count: 0
    .symbol:         _ZN7rocprim17ROCPRIM_400000_NS6detail17trampoline_kernelINS0_14default_configENS1_25partition_config_selectorILNS1_17partition_subalgoE0EtNS0_10empty_typeEbEEZZNS1_14partition_implILS5_0ELb0ES3_jN6thrust23THRUST_200600_302600_NS6detail15normal_iteratorINSA_10device_ptrItEEEEPS6_SG_NS0_5tupleIJSF_SF_EEENSH_IJSG_SG_EEES6_PlJ7is_evenItEEEE10hipError_tPvRmT3_T4_T5_T6_T7_T9_mT8_P12ihipStream_tbDpT10_ENKUlT_T0_E_clISt17integral_constantIbLb0EES16_EEDaS11_S12_EUlS11_E_NS1_11comp_targetILNS1_3genE8ELNS1_11target_archE1030ELNS1_3gpuE2ELNS1_3repE0EEENS1_30default_config_static_selectorELNS0_4arch9wavefront6targetE1EEEvT1_.kd
    .uniform_work_group_size: 1
    .uses_dynamic_stack: false
    .vgpr_count:     0
    .vgpr_spill_count: 0
    .wavefront_size: 64
  - .agpr_count:     0
    .args:
      - .offset:         0
        .size:           136
        .value_kind:     by_value
    .group_segment_fixed_size: 0
    .kernarg_segment_align: 8
    .kernarg_segment_size: 136
    .language:       OpenCL C
    .language_version:
      - 2
      - 0
    .max_flat_workgroup_size: 256
    .name:           _ZN7rocprim17ROCPRIM_400000_NS6detail17trampoline_kernelINS0_14default_configENS1_25partition_config_selectorILNS1_17partition_subalgoE0EtNS0_10empty_typeEbEEZZNS1_14partition_implILS5_0ELb0ES3_jN6thrust23THRUST_200600_302600_NS6detail15normal_iteratorINSA_10device_ptrItEEEEPS6_SG_NS0_5tupleIJSF_SF_EEENSH_IJSG_SG_EEES6_PlJ7is_evenItEEEE10hipError_tPvRmT3_T4_T5_T6_T7_T9_mT8_P12ihipStream_tbDpT10_ENKUlT_T0_E_clISt17integral_constantIbLb1EES16_EEDaS11_S12_EUlS11_E_NS1_11comp_targetILNS1_3genE0ELNS1_11target_archE4294967295ELNS1_3gpuE0ELNS1_3repE0EEENS1_30default_config_static_selectorELNS0_4arch9wavefront6targetE1EEEvT1_
    .private_segment_fixed_size: 0
    .sgpr_count:     4
    .sgpr_spill_count: 0
    .symbol:         _ZN7rocprim17ROCPRIM_400000_NS6detail17trampoline_kernelINS0_14default_configENS1_25partition_config_selectorILNS1_17partition_subalgoE0EtNS0_10empty_typeEbEEZZNS1_14partition_implILS5_0ELb0ES3_jN6thrust23THRUST_200600_302600_NS6detail15normal_iteratorINSA_10device_ptrItEEEEPS6_SG_NS0_5tupleIJSF_SF_EEENSH_IJSG_SG_EEES6_PlJ7is_evenItEEEE10hipError_tPvRmT3_T4_T5_T6_T7_T9_mT8_P12ihipStream_tbDpT10_ENKUlT_T0_E_clISt17integral_constantIbLb1EES16_EEDaS11_S12_EUlS11_E_NS1_11comp_targetILNS1_3genE0ELNS1_11target_archE4294967295ELNS1_3gpuE0ELNS1_3repE0EEENS1_30default_config_static_selectorELNS0_4arch9wavefront6targetE1EEEvT1_.kd
    .uniform_work_group_size: 1
    .uses_dynamic_stack: false
    .vgpr_count:     0
    .vgpr_spill_count: 0
    .wavefront_size: 64
  - .agpr_count:     0
    .args:
      - .offset:         0
        .size:           136
        .value_kind:     by_value
    .group_segment_fixed_size: 0
    .kernarg_segment_align: 8
    .kernarg_segment_size: 136
    .language:       OpenCL C
    .language_version:
      - 2
      - 0
    .max_flat_workgroup_size: 512
    .name:           _ZN7rocprim17ROCPRIM_400000_NS6detail17trampoline_kernelINS0_14default_configENS1_25partition_config_selectorILNS1_17partition_subalgoE0EtNS0_10empty_typeEbEEZZNS1_14partition_implILS5_0ELb0ES3_jN6thrust23THRUST_200600_302600_NS6detail15normal_iteratorINSA_10device_ptrItEEEEPS6_SG_NS0_5tupleIJSF_SF_EEENSH_IJSG_SG_EEES6_PlJ7is_evenItEEEE10hipError_tPvRmT3_T4_T5_T6_T7_T9_mT8_P12ihipStream_tbDpT10_ENKUlT_T0_E_clISt17integral_constantIbLb1EES16_EEDaS11_S12_EUlS11_E_NS1_11comp_targetILNS1_3genE5ELNS1_11target_archE942ELNS1_3gpuE9ELNS1_3repE0EEENS1_30default_config_static_selectorELNS0_4arch9wavefront6targetE1EEEvT1_
    .private_segment_fixed_size: 0
    .sgpr_count:     4
    .sgpr_spill_count: 0
    .symbol:         _ZN7rocprim17ROCPRIM_400000_NS6detail17trampoline_kernelINS0_14default_configENS1_25partition_config_selectorILNS1_17partition_subalgoE0EtNS0_10empty_typeEbEEZZNS1_14partition_implILS5_0ELb0ES3_jN6thrust23THRUST_200600_302600_NS6detail15normal_iteratorINSA_10device_ptrItEEEEPS6_SG_NS0_5tupleIJSF_SF_EEENSH_IJSG_SG_EEES6_PlJ7is_evenItEEEE10hipError_tPvRmT3_T4_T5_T6_T7_T9_mT8_P12ihipStream_tbDpT10_ENKUlT_T0_E_clISt17integral_constantIbLb1EES16_EEDaS11_S12_EUlS11_E_NS1_11comp_targetILNS1_3genE5ELNS1_11target_archE942ELNS1_3gpuE9ELNS1_3repE0EEENS1_30default_config_static_selectorELNS0_4arch9wavefront6targetE1EEEvT1_.kd
    .uniform_work_group_size: 1
    .uses_dynamic_stack: false
    .vgpr_count:     0
    .vgpr_spill_count: 0
    .wavefront_size: 64
  - .agpr_count:     0
    .args:
      - .offset:         0
        .size:           136
        .value_kind:     by_value
    .group_segment_fixed_size: 14344
    .kernarg_segment_align: 8
    .kernarg_segment_size: 136
    .language:       OpenCL C
    .language_version:
      - 2
      - 0
    .max_flat_workgroup_size: 256
    .name:           _ZN7rocprim17ROCPRIM_400000_NS6detail17trampoline_kernelINS0_14default_configENS1_25partition_config_selectorILNS1_17partition_subalgoE0EtNS0_10empty_typeEbEEZZNS1_14partition_implILS5_0ELb0ES3_jN6thrust23THRUST_200600_302600_NS6detail15normal_iteratorINSA_10device_ptrItEEEEPS6_SG_NS0_5tupleIJSF_SF_EEENSH_IJSG_SG_EEES6_PlJ7is_evenItEEEE10hipError_tPvRmT3_T4_T5_T6_T7_T9_mT8_P12ihipStream_tbDpT10_ENKUlT_T0_E_clISt17integral_constantIbLb1EES16_EEDaS11_S12_EUlS11_E_NS1_11comp_targetILNS1_3genE4ELNS1_11target_archE910ELNS1_3gpuE8ELNS1_3repE0EEENS1_30default_config_static_selectorELNS0_4arch9wavefront6targetE1EEEvT1_
    .private_segment_fixed_size: 0
    .sgpr_count:     48
    .sgpr_spill_count: 0
    .symbol:         _ZN7rocprim17ROCPRIM_400000_NS6detail17trampoline_kernelINS0_14default_configENS1_25partition_config_selectorILNS1_17partition_subalgoE0EtNS0_10empty_typeEbEEZZNS1_14partition_implILS5_0ELb0ES3_jN6thrust23THRUST_200600_302600_NS6detail15normal_iteratorINSA_10device_ptrItEEEEPS6_SG_NS0_5tupleIJSF_SF_EEENSH_IJSG_SG_EEES6_PlJ7is_evenItEEEE10hipError_tPvRmT3_T4_T5_T6_T7_T9_mT8_P12ihipStream_tbDpT10_ENKUlT_T0_E_clISt17integral_constantIbLb1EES16_EEDaS11_S12_EUlS11_E_NS1_11comp_targetILNS1_3genE4ELNS1_11target_archE910ELNS1_3gpuE8ELNS1_3repE0EEENS1_30default_config_static_selectorELNS0_4arch9wavefront6targetE1EEEvT1_.kd
    .uniform_work_group_size: 1
    .uses_dynamic_stack: false
    .vgpr_count:     118
    .vgpr_spill_count: 0
    .wavefront_size: 64
  - .agpr_count:     0
    .args:
      - .offset:         0
        .size:           136
        .value_kind:     by_value
    .group_segment_fixed_size: 0
    .kernarg_segment_align: 8
    .kernarg_segment_size: 136
    .language:       OpenCL C
    .language_version:
      - 2
      - 0
    .max_flat_workgroup_size: 256
    .name:           _ZN7rocprim17ROCPRIM_400000_NS6detail17trampoline_kernelINS0_14default_configENS1_25partition_config_selectorILNS1_17partition_subalgoE0EtNS0_10empty_typeEbEEZZNS1_14partition_implILS5_0ELb0ES3_jN6thrust23THRUST_200600_302600_NS6detail15normal_iteratorINSA_10device_ptrItEEEEPS6_SG_NS0_5tupleIJSF_SF_EEENSH_IJSG_SG_EEES6_PlJ7is_evenItEEEE10hipError_tPvRmT3_T4_T5_T6_T7_T9_mT8_P12ihipStream_tbDpT10_ENKUlT_T0_E_clISt17integral_constantIbLb1EES16_EEDaS11_S12_EUlS11_E_NS1_11comp_targetILNS1_3genE3ELNS1_11target_archE908ELNS1_3gpuE7ELNS1_3repE0EEENS1_30default_config_static_selectorELNS0_4arch9wavefront6targetE1EEEvT1_
    .private_segment_fixed_size: 0
    .sgpr_count:     4
    .sgpr_spill_count: 0
    .symbol:         _ZN7rocprim17ROCPRIM_400000_NS6detail17trampoline_kernelINS0_14default_configENS1_25partition_config_selectorILNS1_17partition_subalgoE0EtNS0_10empty_typeEbEEZZNS1_14partition_implILS5_0ELb0ES3_jN6thrust23THRUST_200600_302600_NS6detail15normal_iteratorINSA_10device_ptrItEEEEPS6_SG_NS0_5tupleIJSF_SF_EEENSH_IJSG_SG_EEES6_PlJ7is_evenItEEEE10hipError_tPvRmT3_T4_T5_T6_T7_T9_mT8_P12ihipStream_tbDpT10_ENKUlT_T0_E_clISt17integral_constantIbLb1EES16_EEDaS11_S12_EUlS11_E_NS1_11comp_targetILNS1_3genE3ELNS1_11target_archE908ELNS1_3gpuE7ELNS1_3repE0EEENS1_30default_config_static_selectorELNS0_4arch9wavefront6targetE1EEEvT1_.kd
    .uniform_work_group_size: 1
    .uses_dynamic_stack: false
    .vgpr_count:     0
    .vgpr_spill_count: 0
    .wavefront_size: 64
  - .agpr_count:     0
    .args:
      - .offset:         0
        .size:           136
        .value_kind:     by_value
    .group_segment_fixed_size: 0
    .kernarg_segment_align: 8
    .kernarg_segment_size: 136
    .language:       OpenCL C
    .language_version:
      - 2
      - 0
    .max_flat_workgroup_size: 256
    .name:           _ZN7rocprim17ROCPRIM_400000_NS6detail17trampoline_kernelINS0_14default_configENS1_25partition_config_selectorILNS1_17partition_subalgoE0EtNS0_10empty_typeEbEEZZNS1_14partition_implILS5_0ELb0ES3_jN6thrust23THRUST_200600_302600_NS6detail15normal_iteratorINSA_10device_ptrItEEEEPS6_SG_NS0_5tupleIJSF_SF_EEENSH_IJSG_SG_EEES6_PlJ7is_evenItEEEE10hipError_tPvRmT3_T4_T5_T6_T7_T9_mT8_P12ihipStream_tbDpT10_ENKUlT_T0_E_clISt17integral_constantIbLb1EES16_EEDaS11_S12_EUlS11_E_NS1_11comp_targetILNS1_3genE2ELNS1_11target_archE906ELNS1_3gpuE6ELNS1_3repE0EEENS1_30default_config_static_selectorELNS0_4arch9wavefront6targetE1EEEvT1_
    .private_segment_fixed_size: 0
    .sgpr_count:     4
    .sgpr_spill_count: 0
    .symbol:         _ZN7rocprim17ROCPRIM_400000_NS6detail17trampoline_kernelINS0_14default_configENS1_25partition_config_selectorILNS1_17partition_subalgoE0EtNS0_10empty_typeEbEEZZNS1_14partition_implILS5_0ELb0ES3_jN6thrust23THRUST_200600_302600_NS6detail15normal_iteratorINSA_10device_ptrItEEEEPS6_SG_NS0_5tupleIJSF_SF_EEENSH_IJSG_SG_EEES6_PlJ7is_evenItEEEE10hipError_tPvRmT3_T4_T5_T6_T7_T9_mT8_P12ihipStream_tbDpT10_ENKUlT_T0_E_clISt17integral_constantIbLb1EES16_EEDaS11_S12_EUlS11_E_NS1_11comp_targetILNS1_3genE2ELNS1_11target_archE906ELNS1_3gpuE6ELNS1_3repE0EEENS1_30default_config_static_selectorELNS0_4arch9wavefront6targetE1EEEvT1_.kd
    .uniform_work_group_size: 1
    .uses_dynamic_stack: false
    .vgpr_count:     0
    .vgpr_spill_count: 0
    .wavefront_size: 64
  - .agpr_count:     0
    .args:
      - .offset:         0
        .size:           136
        .value_kind:     by_value
    .group_segment_fixed_size: 0
    .kernarg_segment_align: 8
    .kernarg_segment_size: 136
    .language:       OpenCL C
    .language_version:
      - 2
      - 0
    .max_flat_workgroup_size: 384
    .name:           _ZN7rocprim17ROCPRIM_400000_NS6detail17trampoline_kernelINS0_14default_configENS1_25partition_config_selectorILNS1_17partition_subalgoE0EtNS0_10empty_typeEbEEZZNS1_14partition_implILS5_0ELb0ES3_jN6thrust23THRUST_200600_302600_NS6detail15normal_iteratorINSA_10device_ptrItEEEEPS6_SG_NS0_5tupleIJSF_SF_EEENSH_IJSG_SG_EEES6_PlJ7is_evenItEEEE10hipError_tPvRmT3_T4_T5_T6_T7_T9_mT8_P12ihipStream_tbDpT10_ENKUlT_T0_E_clISt17integral_constantIbLb1EES16_EEDaS11_S12_EUlS11_E_NS1_11comp_targetILNS1_3genE10ELNS1_11target_archE1200ELNS1_3gpuE4ELNS1_3repE0EEENS1_30default_config_static_selectorELNS0_4arch9wavefront6targetE1EEEvT1_
    .private_segment_fixed_size: 0
    .sgpr_count:     4
    .sgpr_spill_count: 0
    .symbol:         _ZN7rocprim17ROCPRIM_400000_NS6detail17trampoline_kernelINS0_14default_configENS1_25partition_config_selectorILNS1_17partition_subalgoE0EtNS0_10empty_typeEbEEZZNS1_14partition_implILS5_0ELb0ES3_jN6thrust23THRUST_200600_302600_NS6detail15normal_iteratorINSA_10device_ptrItEEEEPS6_SG_NS0_5tupleIJSF_SF_EEENSH_IJSG_SG_EEES6_PlJ7is_evenItEEEE10hipError_tPvRmT3_T4_T5_T6_T7_T9_mT8_P12ihipStream_tbDpT10_ENKUlT_T0_E_clISt17integral_constantIbLb1EES16_EEDaS11_S12_EUlS11_E_NS1_11comp_targetILNS1_3genE10ELNS1_11target_archE1200ELNS1_3gpuE4ELNS1_3repE0EEENS1_30default_config_static_selectorELNS0_4arch9wavefront6targetE1EEEvT1_.kd
    .uniform_work_group_size: 1
    .uses_dynamic_stack: false
    .vgpr_count:     0
    .vgpr_spill_count: 0
    .wavefront_size: 64
  - .agpr_count:     0
    .args:
      - .offset:         0
        .size:           136
        .value_kind:     by_value
    .group_segment_fixed_size: 0
    .kernarg_segment_align: 8
    .kernarg_segment_size: 136
    .language:       OpenCL C
    .language_version:
      - 2
      - 0
    .max_flat_workgroup_size: 128
    .name:           _ZN7rocprim17ROCPRIM_400000_NS6detail17trampoline_kernelINS0_14default_configENS1_25partition_config_selectorILNS1_17partition_subalgoE0EtNS0_10empty_typeEbEEZZNS1_14partition_implILS5_0ELb0ES3_jN6thrust23THRUST_200600_302600_NS6detail15normal_iteratorINSA_10device_ptrItEEEEPS6_SG_NS0_5tupleIJSF_SF_EEENSH_IJSG_SG_EEES6_PlJ7is_evenItEEEE10hipError_tPvRmT3_T4_T5_T6_T7_T9_mT8_P12ihipStream_tbDpT10_ENKUlT_T0_E_clISt17integral_constantIbLb1EES16_EEDaS11_S12_EUlS11_E_NS1_11comp_targetILNS1_3genE9ELNS1_11target_archE1100ELNS1_3gpuE3ELNS1_3repE0EEENS1_30default_config_static_selectorELNS0_4arch9wavefront6targetE1EEEvT1_
    .private_segment_fixed_size: 0
    .sgpr_count:     4
    .sgpr_spill_count: 0
    .symbol:         _ZN7rocprim17ROCPRIM_400000_NS6detail17trampoline_kernelINS0_14default_configENS1_25partition_config_selectorILNS1_17partition_subalgoE0EtNS0_10empty_typeEbEEZZNS1_14partition_implILS5_0ELb0ES3_jN6thrust23THRUST_200600_302600_NS6detail15normal_iteratorINSA_10device_ptrItEEEEPS6_SG_NS0_5tupleIJSF_SF_EEENSH_IJSG_SG_EEES6_PlJ7is_evenItEEEE10hipError_tPvRmT3_T4_T5_T6_T7_T9_mT8_P12ihipStream_tbDpT10_ENKUlT_T0_E_clISt17integral_constantIbLb1EES16_EEDaS11_S12_EUlS11_E_NS1_11comp_targetILNS1_3genE9ELNS1_11target_archE1100ELNS1_3gpuE3ELNS1_3repE0EEENS1_30default_config_static_selectorELNS0_4arch9wavefront6targetE1EEEvT1_.kd
    .uniform_work_group_size: 1
    .uses_dynamic_stack: false
    .vgpr_count:     0
    .vgpr_spill_count: 0
    .wavefront_size: 64
  - .agpr_count:     0
    .args:
      - .offset:         0
        .size:           136
        .value_kind:     by_value
    .group_segment_fixed_size: 0
    .kernarg_segment_align: 8
    .kernarg_segment_size: 136
    .language:       OpenCL C
    .language_version:
      - 2
      - 0
    .max_flat_workgroup_size: 128
    .name:           _ZN7rocprim17ROCPRIM_400000_NS6detail17trampoline_kernelINS0_14default_configENS1_25partition_config_selectorILNS1_17partition_subalgoE0EtNS0_10empty_typeEbEEZZNS1_14partition_implILS5_0ELb0ES3_jN6thrust23THRUST_200600_302600_NS6detail15normal_iteratorINSA_10device_ptrItEEEEPS6_SG_NS0_5tupleIJSF_SF_EEENSH_IJSG_SG_EEES6_PlJ7is_evenItEEEE10hipError_tPvRmT3_T4_T5_T6_T7_T9_mT8_P12ihipStream_tbDpT10_ENKUlT_T0_E_clISt17integral_constantIbLb1EES16_EEDaS11_S12_EUlS11_E_NS1_11comp_targetILNS1_3genE8ELNS1_11target_archE1030ELNS1_3gpuE2ELNS1_3repE0EEENS1_30default_config_static_selectorELNS0_4arch9wavefront6targetE1EEEvT1_
    .private_segment_fixed_size: 0
    .sgpr_count:     4
    .sgpr_spill_count: 0
    .symbol:         _ZN7rocprim17ROCPRIM_400000_NS6detail17trampoline_kernelINS0_14default_configENS1_25partition_config_selectorILNS1_17partition_subalgoE0EtNS0_10empty_typeEbEEZZNS1_14partition_implILS5_0ELb0ES3_jN6thrust23THRUST_200600_302600_NS6detail15normal_iteratorINSA_10device_ptrItEEEEPS6_SG_NS0_5tupleIJSF_SF_EEENSH_IJSG_SG_EEES6_PlJ7is_evenItEEEE10hipError_tPvRmT3_T4_T5_T6_T7_T9_mT8_P12ihipStream_tbDpT10_ENKUlT_T0_E_clISt17integral_constantIbLb1EES16_EEDaS11_S12_EUlS11_E_NS1_11comp_targetILNS1_3genE8ELNS1_11target_archE1030ELNS1_3gpuE2ELNS1_3repE0EEENS1_30default_config_static_selectorELNS0_4arch9wavefront6targetE1EEEvT1_.kd
    .uniform_work_group_size: 1
    .uses_dynamic_stack: false
    .vgpr_count:     0
    .vgpr_spill_count: 0
    .wavefront_size: 64
  - .agpr_count:     0
    .args:
      - .offset:         0
        .size:           120
        .value_kind:     by_value
    .group_segment_fixed_size: 0
    .kernarg_segment_align: 8
    .kernarg_segment_size: 120
    .language:       OpenCL C
    .language_version:
      - 2
      - 0
    .max_flat_workgroup_size: 256
    .name:           _ZN7rocprim17ROCPRIM_400000_NS6detail17trampoline_kernelINS0_14default_configENS1_25partition_config_selectorILNS1_17partition_subalgoE0EtNS0_10empty_typeEbEEZZNS1_14partition_implILS5_0ELb0ES3_jN6thrust23THRUST_200600_302600_NS6detail15normal_iteratorINSA_10device_ptrItEEEEPS6_SG_NS0_5tupleIJSF_SF_EEENSH_IJSG_SG_EEES6_PlJ7is_evenItEEEE10hipError_tPvRmT3_T4_T5_T6_T7_T9_mT8_P12ihipStream_tbDpT10_ENKUlT_T0_E_clISt17integral_constantIbLb1EES15_IbLb0EEEEDaS11_S12_EUlS11_E_NS1_11comp_targetILNS1_3genE0ELNS1_11target_archE4294967295ELNS1_3gpuE0ELNS1_3repE0EEENS1_30default_config_static_selectorELNS0_4arch9wavefront6targetE1EEEvT1_
    .private_segment_fixed_size: 0
    .sgpr_count:     4
    .sgpr_spill_count: 0
    .symbol:         _ZN7rocprim17ROCPRIM_400000_NS6detail17trampoline_kernelINS0_14default_configENS1_25partition_config_selectorILNS1_17partition_subalgoE0EtNS0_10empty_typeEbEEZZNS1_14partition_implILS5_0ELb0ES3_jN6thrust23THRUST_200600_302600_NS6detail15normal_iteratorINSA_10device_ptrItEEEEPS6_SG_NS0_5tupleIJSF_SF_EEENSH_IJSG_SG_EEES6_PlJ7is_evenItEEEE10hipError_tPvRmT3_T4_T5_T6_T7_T9_mT8_P12ihipStream_tbDpT10_ENKUlT_T0_E_clISt17integral_constantIbLb1EES15_IbLb0EEEEDaS11_S12_EUlS11_E_NS1_11comp_targetILNS1_3genE0ELNS1_11target_archE4294967295ELNS1_3gpuE0ELNS1_3repE0EEENS1_30default_config_static_selectorELNS0_4arch9wavefront6targetE1EEEvT1_.kd
    .uniform_work_group_size: 1
    .uses_dynamic_stack: false
    .vgpr_count:     0
    .vgpr_spill_count: 0
    .wavefront_size: 64
  - .agpr_count:     0
    .args:
      - .offset:         0
        .size:           120
        .value_kind:     by_value
    .group_segment_fixed_size: 0
    .kernarg_segment_align: 8
    .kernarg_segment_size: 120
    .language:       OpenCL C
    .language_version:
      - 2
      - 0
    .max_flat_workgroup_size: 512
    .name:           _ZN7rocprim17ROCPRIM_400000_NS6detail17trampoline_kernelINS0_14default_configENS1_25partition_config_selectorILNS1_17partition_subalgoE0EtNS0_10empty_typeEbEEZZNS1_14partition_implILS5_0ELb0ES3_jN6thrust23THRUST_200600_302600_NS6detail15normal_iteratorINSA_10device_ptrItEEEEPS6_SG_NS0_5tupleIJSF_SF_EEENSH_IJSG_SG_EEES6_PlJ7is_evenItEEEE10hipError_tPvRmT3_T4_T5_T6_T7_T9_mT8_P12ihipStream_tbDpT10_ENKUlT_T0_E_clISt17integral_constantIbLb1EES15_IbLb0EEEEDaS11_S12_EUlS11_E_NS1_11comp_targetILNS1_3genE5ELNS1_11target_archE942ELNS1_3gpuE9ELNS1_3repE0EEENS1_30default_config_static_selectorELNS0_4arch9wavefront6targetE1EEEvT1_
    .private_segment_fixed_size: 0
    .sgpr_count:     4
    .sgpr_spill_count: 0
    .symbol:         _ZN7rocprim17ROCPRIM_400000_NS6detail17trampoline_kernelINS0_14default_configENS1_25partition_config_selectorILNS1_17partition_subalgoE0EtNS0_10empty_typeEbEEZZNS1_14partition_implILS5_0ELb0ES3_jN6thrust23THRUST_200600_302600_NS6detail15normal_iteratorINSA_10device_ptrItEEEEPS6_SG_NS0_5tupleIJSF_SF_EEENSH_IJSG_SG_EEES6_PlJ7is_evenItEEEE10hipError_tPvRmT3_T4_T5_T6_T7_T9_mT8_P12ihipStream_tbDpT10_ENKUlT_T0_E_clISt17integral_constantIbLb1EES15_IbLb0EEEEDaS11_S12_EUlS11_E_NS1_11comp_targetILNS1_3genE5ELNS1_11target_archE942ELNS1_3gpuE9ELNS1_3repE0EEENS1_30default_config_static_selectorELNS0_4arch9wavefront6targetE1EEEvT1_.kd
    .uniform_work_group_size: 1
    .uses_dynamic_stack: false
    .vgpr_count:     0
    .vgpr_spill_count: 0
    .wavefront_size: 64
  - .agpr_count:     0
    .args:
      - .offset:         0
        .size:           120
        .value_kind:     by_value
    .group_segment_fixed_size: 14344
    .kernarg_segment_align: 8
    .kernarg_segment_size: 120
    .language:       OpenCL C
    .language_version:
      - 2
      - 0
    .max_flat_workgroup_size: 256
    .name:           _ZN7rocprim17ROCPRIM_400000_NS6detail17trampoline_kernelINS0_14default_configENS1_25partition_config_selectorILNS1_17partition_subalgoE0EtNS0_10empty_typeEbEEZZNS1_14partition_implILS5_0ELb0ES3_jN6thrust23THRUST_200600_302600_NS6detail15normal_iteratorINSA_10device_ptrItEEEEPS6_SG_NS0_5tupleIJSF_SF_EEENSH_IJSG_SG_EEES6_PlJ7is_evenItEEEE10hipError_tPvRmT3_T4_T5_T6_T7_T9_mT8_P12ihipStream_tbDpT10_ENKUlT_T0_E_clISt17integral_constantIbLb1EES15_IbLb0EEEEDaS11_S12_EUlS11_E_NS1_11comp_targetILNS1_3genE4ELNS1_11target_archE910ELNS1_3gpuE8ELNS1_3repE0EEENS1_30default_config_static_selectorELNS0_4arch9wavefront6targetE1EEEvT1_
    .private_segment_fixed_size: 0
    .sgpr_count:     48
    .sgpr_spill_count: 0
    .symbol:         _ZN7rocprim17ROCPRIM_400000_NS6detail17trampoline_kernelINS0_14default_configENS1_25partition_config_selectorILNS1_17partition_subalgoE0EtNS0_10empty_typeEbEEZZNS1_14partition_implILS5_0ELb0ES3_jN6thrust23THRUST_200600_302600_NS6detail15normal_iteratorINSA_10device_ptrItEEEEPS6_SG_NS0_5tupleIJSF_SF_EEENSH_IJSG_SG_EEES6_PlJ7is_evenItEEEE10hipError_tPvRmT3_T4_T5_T6_T7_T9_mT8_P12ihipStream_tbDpT10_ENKUlT_T0_E_clISt17integral_constantIbLb1EES15_IbLb0EEEEDaS11_S12_EUlS11_E_NS1_11comp_targetILNS1_3genE4ELNS1_11target_archE910ELNS1_3gpuE8ELNS1_3repE0EEENS1_30default_config_static_selectorELNS0_4arch9wavefront6targetE1EEEvT1_.kd
    .uniform_work_group_size: 1
    .uses_dynamic_stack: false
    .vgpr_count:     114
    .vgpr_spill_count: 0
    .wavefront_size: 64
  - .agpr_count:     0
    .args:
      - .offset:         0
        .size:           120
        .value_kind:     by_value
    .group_segment_fixed_size: 0
    .kernarg_segment_align: 8
    .kernarg_segment_size: 120
    .language:       OpenCL C
    .language_version:
      - 2
      - 0
    .max_flat_workgroup_size: 256
    .name:           _ZN7rocprim17ROCPRIM_400000_NS6detail17trampoline_kernelINS0_14default_configENS1_25partition_config_selectorILNS1_17partition_subalgoE0EtNS0_10empty_typeEbEEZZNS1_14partition_implILS5_0ELb0ES3_jN6thrust23THRUST_200600_302600_NS6detail15normal_iteratorINSA_10device_ptrItEEEEPS6_SG_NS0_5tupleIJSF_SF_EEENSH_IJSG_SG_EEES6_PlJ7is_evenItEEEE10hipError_tPvRmT3_T4_T5_T6_T7_T9_mT8_P12ihipStream_tbDpT10_ENKUlT_T0_E_clISt17integral_constantIbLb1EES15_IbLb0EEEEDaS11_S12_EUlS11_E_NS1_11comp_targetILNS1_3genE3ELNS1_11target_archE908ELNS1_3gpuE7ELNS1_3repE0EEENS1_30default_config_static_selectorELNS0_4arch9wavefront6targetE1EEEvT1_
    .private_segment_fixed_size: 0
    .sgpr_count:     4
    .sgpr_spill_count: 0
    .symbol:         _ZN7rocprim17ROCPRIM_400000_NS6detail17trampoline_kernelINS0_14default_configENS1_25partition_config_selectorILNS1_17partition_subalgoE0EtNS0_10empty_typeEbEEZZNS1_14partition_implILS5_0ELb0ES3_jN6thrust23THRUST_200600_302600_NS6detail15normal_iteratorINSA_10device_ptrItEEEEPS6_SG_NS0_5tupleIJSF_SF_EEENSH_IJSG_SG_EEES6_PlJ7is_evenItEEEE10hipError_tPvRmT3_T4_T5_T6_T7_T9_mT8_P12ihipStream_tbDpT10_ENKUlT_T0_E_clISt17integral_constantIbLb1EES15_IbLb0EEEEDaS11_S12_EUlS11_E_NS1_11comp_targetILNS1_3genE3ELNS1_11target_archE908ELNS1_3gpuE7ELNS1_3repE0EEENS1_30default_config_static_selectorELNS0_4arch9wavefront6targetE1EEEvT1_.kd
    .uniform_work_group_size: 1
    .uses_dynamic_stack: false
    .vgpr_count:     0
    .vgpr_spill_count: 0
    .wavefront_size: 64
  - .agpr_count:     0
    .args:
      - .offset:         0
        .size:           120
        .value_kind:     by_value
    .group_segment_fixed_size: 0
    .kernarg_segment_align: 8
    .kernarg_segment_size: 120
    .language:       OpenCL C
    .language_version:
      - 2
      - 0
    .max_flat_workgroup_size: 256
    .name:           _ZN7rocprim17ROCPRIM_400000_NS6detail17trampoline_kernelINS0_14default_configENS1_25partition_config_selectorILNS1_17partition_subalgoE0EtNS0_10empty_typeEbEEZZNS1_14partition_implILS5_0ELb0ES3_jN6thrust23THRUST_200600_302600_NS6detail15normal_iteratorINSA_10device_ptrItEEEEPS6_SG_NS0_5tupleIJSF_SF_EEENSH_IJSG_SG_EEES6_PlJ7is_evenItEEEE10hipError_tPvRmT3_T4_T5_T6_T7_T9_mT8_P12ihipStream_tbDpT10_ENKUlT_T0_E_clISt17integral_constantIbLb1EES15_IbLb0EEEEDaS11_S12_EUlS11_E_NS1_11comp_targetILNS1_3genE2ELNS1_11target_archE906ELNS1_3gpuE6ELNS1_3repE0EEENS1_30default_config_static_selectorELNS0_4arch9wavefront6targetE1EEEvT1_
    .private_segment_fixed_size: 0
    .sgpr_count:     4
    .sgpr_spill_count: 0
    .symbol:         _ZN7rocprim17ROCPRIM_400000_NS6detail17trampoline_kernelINS0_14default_configENS1_25partition_config_selectorILNS1_17partition_subalgoE0EtNS0_10empty_typeEbEEZZNS1_14partition_implILS5_0ELb0ES3_jN6thrust23THRUST_200600_302600_NS6detail15normal_iteratorINSA_10device_ptrItEEEEPS6_SG_NS0_5tupleIJSF_SF_EEENSH_IJSG_SG_EEES6_PlJ7is_evenItEEEE10hipError_tPvRmT3_T4_T5_T6_T7_T9_mT8_P12ihipStream_tbDpT10_ENKUlT_T0_E_clISt17integral_constantIbLb1EES15_IbLb0EEEEDaS11_S12_EUlS11_E_NS1_11comp_targetILNS1_3genE2ELNS1_11target_archE906ELNS1_3gpuE6ELNS1_3repE0EEENS1_30default_config_static_selectorELNS0_4arch9wavefront6targetE1EEEvT1_.kd
    .uniform_work_group_size: 1
    .uses_dynamic_stack: false
    .vgpr_count:     0
    .vgpr_spill_count: 0
    .wavefront_size: 64
  - .agpr_count:     0
    .args:
      - .offset:         0
        .size:           120
        .value_kind:     by_value
    .group_segment_fixed_size: 0
    .kernarg_segment_align: 8
    .kernarg_segment_size: 120
    .language:       OpenCL C
    .language_version:
      - 2
      - 0
    .max_flat_workgroup_size: 384
    .name:           _ZN7rocprim17ROCPRIM_400000_NS6detail17trampoline_kernelINS0_14default_configENS1_25partition_config_selectorILNS1_17partition_subalgoE0EtNS0_10empty_typeEbEEZZNS1_14partition_implILS5_0ELb0ES3_jN6thrust23THRUST_200600_302600_NS6detail15normal_iteratorINSA_10device_ptrItEEEEPS6_SG_NS0_5tupleIJSF_SF_EEENSH_IJSG_SG_EEES6_PlJ7is_evenItEEEE10hipError_tPvRmT3_T4_T5_T6_T7_T9_mT8_P12ihipStream_tbDpT10_ENKUlT_T0_E_clISt17integral_constantIbLb1EES15_IbLb0EEEEDaS11_S12_EUlS11_E_NS1_11comp_targetILNS1_3genE10ELNS1_11target_archE1200ELNS1_3gpuE4ELNS1_3repE0EEENS1_30default_config_static_selectorELNS0_4arch9wavefront6targetE1EEEvT1_
    .private_segment_fixed_size: 0
    .sgpr_count:     4
    .sgpr_spill_count: 0
    .symbol:         _ZN7rocprim17ROCPRIM_400000_NS6detail17trampoline_kernelINS0_14default_configENS1_25partition_config_selectorILNS1_17partition_subalgoE0EtNS0_10empty_typeEbEEZZNS1_14partition_implILS5_0ELb0ES3_jN6thrust23THRUST_200600_302600_NS6detail15normal_iteratorINSA_10device_ptrItEEEEPS6_SG_NS0_5tupleIJSF_SF_EEENSH_IJSG_SG_EEES6_PlJ7is_evenItEEEE10hipError_tPvRmT3_T4_T5_T6_T7_T9_mT8_P12ihipStream_tbDpT10_ENKUlT_T0_E_clISt17integral_constantIbLb1EES15_IbLb0EEEEDaS11_S12_EUlS11_E_NS1_11comp_targetILNS1_3genE10ELNS1_11target_archE1200ELNS1_3gpuE4ELNS1_3repE0EEENS1_30default_config_static_selectorELNS0_4arch9wavefront6targetE1EEEvT1_.kd
    .uniform_work_group_size: 1
    .uses_dynamic_stack: false
    .vgpr_count:     0
    .vgpr_spill_count: 0
    .wavefront_size: 64
  - .agpr_count:     0
    .args:
      - .offset:         0
        .size:           120
        .value_kind:     by_value
    .group_segment_fixed_size: 0
    .kernarg_segment_align: 8
    .kernarg_segment_size: 120
    .language:       OpenCL C
    .language_version:
      - 2
      - 0
    .max_flat_workgroup_size: 128
    .name:           _ZN7rocprim17ROCPRIM_400000_NS6detail17trampoline_kernelINS0_14default_configENS1_25partition_config_selectorILNS1_17partition_subalgoE0EtNS0_10empty_typeEbEEZZNS1_14partition_implILS5_0ELb0ES3_jN6thrust23THRUST_200600_302600_NS6detail15normal_iteratorINSA_10device_ptrItEEEEPS6_SG_NS0_5tupleIJSF_SF_EEENSH_IJSG_SG_EEES6_PlJ7is_evenItEEEE10hipError_tPvRmT3_T4_T5_T6_T7_T9_mT8_P12ihipStream_tbDpT10_ENKUlT_T0_E_clISt17integral_constantIbLb1EES15_IbLb0EEEEDaS11_S12_EUlS11_E_NS1_11comp_targetILNS1_3genE9ELNS1_11target_archE1100ELNS1_3gpuE3ELNS1_3repE0EEENS1_30default_config_static_selectorELNS0_4arch9wavefront6targetE1EEEvT1_
    .private_segment_fixed_size: 0
    .sgpr_count:     4
    .sgpr_spill_count: 0
    .symbol:         _ZN7rocprim17ROCPRIM_400000_NS6detail17trampoline_kernelINS0_14default_configENS1_25partition_config_selectorILNS1_17partition_subalgoE0EtNS0_10empty_typeEbEEZZNS1_14partition_implILS5_0ELb0ES3_jN6thrust23THRUST_200600_302600_NS6detail15normal_iteratorINSA_10device_ptrItEEEEPS6_SG_NS0_5tupleIJSF_SF_EEENSH_IJSG_SG_EEES6_PlJ7is_evenItEEEE10hipError_tPvRmT3_T4_T5_T6_T7_T9_mT8_P12ihipStream_tbDpT10_ENKUlT_T0_E_clISt17integral_constantIbLb1EES15_IbLb0EEEEDaS11_S12_EUlS11_E_NS1_11comp_targetILNS1_3genE9ELNS1_11target_archE1100ELNS1_3gpuE3ELNS1_3repE0EEENS1_30default_config_static_selectorELNS0_4arch9wavefront6targetE1EEEvT1_.kd
    .uniform_work_group_size: 1
    .uses_dynamic_stack: false
    .vgpr_count:     0
    .vgpr_spill_count: 0
    .wavefront_size: 64
  - .agpr_count:     0
    .args:
      - .offset:         0
        .size:           120
        .value_kind:     by_value
    .group_segment_fixed_size: 0
    .kernarg_segment_align: 8
    .kernarg_segment_size: 120
    .language:       OpenCL C
    .language_version:
      - 2
      - 0
    .max_flat_workgroup_size: 128
    .name:           _ZN7rocprim17ROCPRIM_400000_NS6detail17trampoline_kernelINS0_14default_configENS1_25partition_config_selectorILNS1_17partition_subalgoE0EtNS0_10empty_typeEbEEZZNS1_14partition_implILS5_0ELb0ES3_jN6thrust23THRUST_200600_302600_NS6detail15normal_iteratorINSA_10device_ptrItEEEEPS6_SG_NS0_5tupleIJSF_SF_EEENSH_IJSG_SG_EEES6_PlJ7is_evenItEEEE10hipError_tPvRmT3_T4_T5_T6_T7_T9_mT8_P12ihipStream_tbDpT10_ENKUlT_T0_E_clISt17integral_constantIbLb1EES15_IbLb0EEEEDaS11_S12_EUlS11_E_NS1_11comp_targetILNS1_3genE8ELNS1_11target_archE1030ELNS1_3gpuE2ELNS1_3repE0EEENS1_30default_config_static_selectorELNS0_4arch9wavefront6targetE1EEEvT1_
    .private_segment_fixed_size: 0
    .sgpr_count:     4
    .sgpr_spill_count: 0
    .symbol:         _ZN7rocprim17ROCPRIM_400000_NS6detail17trampoline_kernelINS0_14default_configENS1_25partition_config_selectorILNS1_17partition_subalgoE0EtNS0_10empty_typeEbEEZZNS1_14partition_implILS5_0ELb0ES3_jN6thrust23THRUST_200600_302600_NS6detail15normal_iteratorINSA_10device_ptrItEEEEPS6_SG_NS0_5tupleIJSF_SF_EEENSH_IJSG_SG_EEES6_PlJ7is_evenItEEEE10hipError_tPvRmT3_T4_T5_T6_T7_T9_mT8_P12ihipStream_tbDpT10_ENKUlT_T0_E_clISt17integral_constantIbLb1EES15_IbLb0EEEEDaS11_S12_EUlS11_E_NS1_11comp_targetILNS1_3genE8ELNS1_11target_archE1030ELNS1_3gpuE2ELNS1_3repE0EEENS1_30default_config_static_selectorELNS0_4arch9wavefront6targetE1EEEvT1_.kd
    .uniform_work_group_size: 1
    .uses_dynamic_stack: false
    .vgpr_count:     0
    .vgpr_spill_count: 0
    .wavefront_size: 64
  - .agpr_count:     0
    .args:
      - .offset:         0
        .size:           136
        .value_kind:     by_value
    .group_segment_fixed_size: 0
    .kernarg_segment_align: 8
    .kernarg_segment_size: 136
    .language:       OpenCL C
    .language_version:
      - 2
      - 0
    .max_flat_workgroup_size: 256
    .name:           _ZN7rocprim17ROCPRIM_400000_NS6detail17trampoline_kernelINS0_14default_configENS1_25partition_config_selectorILNS1_17partition_subalgoE0EtNS0_10empty_typeEbEEZZNS1_14partition_implILS5_0ELb0ES3_jN6thrust23THRUST_200600_302600_NS6detail15normal_iteratorINSA_10device_ptrItEEEEPS6_SG_NS0_5tupleIJSF_SF_EEENSH_IJSG_SG_EEES6_PlJ7is_evenItEEEE10hipError_tPvRmT3_T4_T5_T6_T7_T9_mT8_P12ihipStream_tbDpT10_ENKUlT_T0_E_clISt17integral_constantIbLb0EES15_IbLb1EEEEDaS11_S12_EUlS11_E_NS1_11comp_targetILNS1_3genE0ELNS1_11target_archE4294967295ELNS1_3gpuE0ELNS1_3repE0EEENS1_30default_config_static_selectorELNS0_4arch9wavefront6targetE1EEEvT1_
    .private_segment_fixed_size: 0
    .sgpr_count:     4
    .sgpr_spill_count: 0
    .symbol:         _ZN7rocprim17ROCPRIM_400000_NS6detail17trampoline_kernelINS0_14default_configENS1_25partition_config_selectorILNS1_17partition_subalgoE0EtNS0_10empty_typeEbEEZZNS1_14partition_implILS5_0ELb0ES3_jN6thrust23THRUST_200600_302600_NS6detail15normal_iteratorINSA_10device_ptrItEEEEPS6_SG_NS0_5tupleIJSF_SF_EEENSH_IJSG_SG_EEES6_PlJ7is_evenItEEEE10hipError_tPvRmT3_T4_T5_T6_T7_T9_mT8_P12ihipStream_tbDpT10_ENKUlT_T0_E_clISt17integral_constantIbLb0EES15_IbLb1EEEEDaS11_S12_EUlS11_E_NS1_11comp_targetILNS1_3genE0ELNS1_11target_archE4294967295ELNS1_3gpuE0ELNS1_3repE0EEENS1_30default_config_static_selectorELNS0_4arch9wavefront6targetE1EEEvT1_.kd
    .uniform_work_group_size: 1
    .uses_dynamic_stack: false
    .vgpr_count:     0
    .vgpr_spill_count: 0
    .wavefront_size: 64
  - .agpr_count:     0
    .args:
      - .offset:         0
        .size:           136
        .value_kind:     by_value
    .group_segment_fixed_size: 0
    .kernarg_segment_align: 8
    .kernarg_segment_size: 136
    .language:       OpenCL C
    .language_version:
      - 2
      - 0
    .max_flat_workgroup_size: 512
    .name:           _ZN7rocprim17ROCPRIM_400000_NS6detail17trampoline_kernelINS0_14default_configENS1_25partition_config_selectorILNS1_17partition_subalgoE0EtNS0_10empty_typeEbEEZZNS1_14partition_implILS5_0ELb0ES3_jN6thrust23THRUST_200600_302600_NS6detail15normal_iteratorINSA_10device_ptrItEEEEPS6_SG_NS0_5tupleIJSF_SF_EEENSH_IJSG_SG_EEES6_PlJ7is_evenItEEEE10hipError_tPvRmT3_T4_T5_T6_T7_T9_mT8_P12ihipStream_tbDpT10_ENKUlT_T0_E_clISt17integral_constantIbLb0EES15_IbLb1EEEEDaS11_S12_EUlS11_E_NS1_11comp_targetILNS1_3genE5ELNS1_11target_archE942ELNS1_3gpuE9ELNS1_3repE0EEENS1_30default_config_static_selectorELNS0_4arch9wavefront6targetE1EEEvT1_
    .private_segment_fixed_size: 0
    .sgpr_count:     4
    .sgpr_spill_count: 0
    .symbol:         _ZN7rocprim17ROCPRIM_400000_NS6detail17trampoline_kernelINS0_14default_configENS1_25partition_config_selectorILNS1_17partition_subalgoE0EtNS0_10empty_typeEbEEZZNS1_14partition_implILS5_0ELb0ES3_jN6thrust23THRUST_200600_302600_NS6detail15normal_iteratorINSA_10device_ptrItEEEEPS6_SG_NS0_5tupleIJSF_SF_EEENSH_IJSG_SG_EEES6_PlJ7is_evenItEEEE10hipError_tPvRmT3_T4_T5_T6_T7_T9_mT8_P12ihipStream_tbDpT10_ENKUlT_T0_E_clISt17integral_constantIbLb0EES15_IbLb1EEEEDaS11_S12_EUlS11_E_NS1_11comp_targetILNS1_3genE5ELNS1_11target_archE942ELNS1_3gpuE9ELNS1_3repE0EEENS1_30default_config_static_selectorELNS0_4arch9wavefront6targetE1EEEvT1_.kd
    .uniform_work_group_size: 1
    .uses_dynamic_stack: false
    .vgpr_count:     0
    .vgpr_spill_count: 0
    .wavefront_size: 64
  - .agpr_count:     0
    .args:
      - .offset:         0
        .size:           136
        .value_kind:     by_value
    .group_segment_fixed_size: 14344
    .kernarg_segment_align: 8
    .kernarg_segment_size: 136
    .language:       OpenCL C
    .language_version:
      - 2
      - 0
    .max_flat_workgroup_size: 256
    .name:           _ZN7rocprim17ROCPRIM_400000_NS6detail17trampoline_kernelINS0_14default_configENS1_25partition_config_selectorILNS1_17partition_subalgoE0EtNS0_10empty_typeEbEEZZNS1_14partition_implILS5_0ELb0ES3_jN6thrust23THRUST_200600_302600_NS6detail15normal_iteratorINSA_10device_ptrItEEEEPS6_SG_NS0_5tupleIJSF_SF_EEENSH_IJSG_SG_EEES6_PlJ7is_evenItEEEE10hipError_tPvRmT3_T4_T5_T6_T7_T9_mT8_P12ihipStream_tbDpT10_ENKUlT_T0_E_clISt17integral_constantIbLb0EES15_IbLb1EEEEDaS11_S12_EUlS11_E_NS1_11comp_targetILNS1_3genE4ELNS1_11target_archE910ELNS1_3gpuE8ELNS1_3repE0EEENS1_30default_config_static_selectorELNS0_4arch9wavefront6targetE1EEEvT1_
    .private_segment_fixed_size: 0
    .sgpr_count:     48
    .sgpr_spill_count: 0
    .symbol:         _ZN7rocprim17ROCPRIM_400000_NS6detail17trampoline_kernelINS0_14default_configENS1_25partition_config_selectorILNS1_17partition_subalgoE0EtNS0_10empty_typeEbEEZZNS1_14partition_implILS5_0ELb0ES3_jN6thrust23THRUST_200600_302600_NS6detail15normal_iteratorINSA_10device_ptrItEEEEPS6_SG_NS0_5tupleIJSF_SF_EEENSH_IJSG_SG_EEES6_PlJ7is_evenItEEEE10hipError_tPvRmT3_T4_T5_T6_T7_T9_mT8_P12ihipStream_tbDpT10_ENKUlT_T0_E_clISt17integral_constantIbLb0EES15_IbLb1EEEEDaS11_S12_EUlS11_E_NS1_11comp_targetILNS1_3genE4ELNS1_11target_archE910ELNS1_3gpuE8ELNS1_3repE0EEENS1_30default_config_static_selectorELNS0_4arch9wavefront6targetE1EEEvT1_.kd
    .uniform_work_group_size: 1
    .uses_dynamic_stack: false
    .vgpr_count:     118
    .vgpr_spill_count: 0
    .wavefront_size: 64
  - .agpr_count:     0
    .args:
      - .offset:         0
        .size:           136
        .value_kind:     by_value
    .group_segment_fixed_size: 0
    .kernarg_segment_align: 8
    .kernarg_segment_size: 136
    .language:       OpenCL C
    .language_version:
      - 2
      - 0
    .max_flat_workgroup_size: 256
    .name:           _ZN7rocprim17ROCPRIM_400000_NS6detail17trampoline_kernelINS0_14default_configENS1_25partition_config_selectorILNS1_17partition_subalgoE0EtNS0_10empty_typeEbEEZZNS1_14partition_implILS5_0ELb0ES3_jN6thrust23THRUST_200600_302600_NS6detail15normal_iteratorINSA_10device_ptrItEEEEPS6_SG_NS0_5tupleIJSF_SF_EEENSH_IJSG_SG_EEES6_PlJ7is_evenItEEEE10hipError_tPvRmT3_T4_T5_T6_T7_T9_mT8_P12ihipStream_tbDpT10_ENKUlT_T0_E_clISt17integral_constantIbLb0EES15_IbLb1EEEEDaS11_S12_EUlS11_E_NS1_11comp_targetILNS1_3genE3ELNS1_11target_archE908ELNS1_3gpuE7ELNS1_3repE0EEENS1_30default_config_static_selectorELNS0_4arch9wavefront6targetE1EEEvT1_
    .private_segment_fixed_size: 0
    .sgpr_count:     4
    .sgpr_spill_count: 0
    .symbol:         _ZN7rocprim17ROCPRIM_400000_NS6detail17trampoline_kernelINS0_14default_configENS1_25partition_config_selectorILNS1_17partition_subalgoE0EtNS0_10empty_typeEbEEZZNS1_14partition_implILS5_0ELb0ES3_jN6thrust23THRUST_200600_302600_NS6detail15normal_iteratorINSA_10device_ptrItEEEEPS6_SG_NS0_5tupleIJSF_SF_EEENSH_IJSG_SG_EEES6_PlJ7is_evenItEEEE10hipError_tPvRmT3_T4_T5_T6_T7_T9_mT8_P12ihipStream_tbDpT10_ENKUlT_T0_E_clISt17integral_constantIbLb0EES15_IbLb1EEEEDaS11_S12_EUlS11_E_NS1_11comp_targetILNS1_3genE3ELNS1_11target_archE908ELNS1_3gpuE7ELNS1_3repE0EEENS1_30default_config_static_selectorELNS0_4arch9wavefront6targetE1EEEvT1_.kd
    .uniform_work_group_size: 1
    .uses_dynamic_stack: false
    .vgpr_count:     0
    .vgpr_spill_count: 0
    .wavefront_size: 64
  - .agpr_count:     0
    .args:
      - .offset:         0
        .size:           136
        .value_kind:     by_value
    .group_segment_fixed_size: 0
    .kernarg_segment_align: 8
    .kernarg_segment_size: 136
    .language:       OpenCL C
    .language_version:
      - 2
      - 0
    .max_flat_workgroup_size: 256
    .name:           _ZN7rocprim17ROCPRIM_400000_NS6detail17trampoline_kernelINS0_14default_configENS1_25partition_config_selectorILNS1_17partition_subalgoE0EtNS0_10empty_typeEbEEZZNS1_14partition_implILS5_0ELb0ES3_jN6thrust23THRUST_200600_302600_NS6detail15normal_iteratorINSA_10device_ptrItEEEEPS6_SG_NS0_5tupleIJSF_SF_EEENSH_IJSG_SG_EEES6_PlJ7is_evenItEEEE10hipError_tPvRmT3_T4_T5_T6_T7_T9_mT8_P12ihipStream_tbDpT10_ENKUlT_T0_E_clISt17integral_constantIbLb0EES15_IbLb1EEEEDaS11_S12_EUlS11_E_NS1_11comp_targetILNS1_3genE2ELNS1_11target_archE906ELNS1_3gpuE6ELNS1_3repE0EEENS1_30default_config_static_selectorELNS0_4arch9wavefront6targetE1EEEvT1_
    .private_segment_fixed_size: 0
    .sgpr_count:     4
    .sgpr_spill_count: 0
    .symbol:         _ZN7rocprim17ROCPRIM_400000_NS6detail17trampoline_kernelINS0_14default_configENS1_25partition_config_selectorILNS1_17partition_subalgoE0EtNS0_10empty_typeEbEEZZNS1_14partition_implILS5_0ELb0ES3_jN6thrust23THRUST_200600_302600_NS6detail15normal_iteratorINSA_10device_ptrItEEEEPS6_SG_NS0_5tupleIJSF_SF_EEENSH_IJSG_SG_EEES6_PlJ7is_evenItEEEE10hipError_tPvRmT3_T4_T5_T6_T7_T9_mT8_P12ihipStream_tbDpT10_ENKUlT_T0_E_clISt17integral_constantIbLb0EES15_IbLb1EEEEDaS11_S12_EUlS11_E_NS1_11comp_targetILNS1_3genE2ELNS1_11target_archE906ELNS1_3gpuE6ELNS1_3repE0EEENS1_30default_config_static_selectorELNS0_4arch9wavefront6targetE1EEEvT1_.kd
    .uniform_work_group_size: 1
    .uses_dynamic_stack: false
    .vgpr_count:     0
    .vgpr_spill_count: 0
    .wavefront_size: 64
  - .agpr_count:     0
    .args:
      - .offset:         0
        .size:           136
        .value_kind:     by_value
    .group_segment_fixed_size: 0
    .kernarg_segment_align: 8
    .kernarg_segment_size: 136
    .language:       OpenCL C
    .language_version:
      - 2
      - 0
    .max_flat_workgroup_size: 384
    .name:           _ZN7rocprim17ROCPRIM_400000_NS6detail17trampoline_kernelINS0_14default_configENS1_25partition_config_selectorILNS1_17partition_subalgoE0EtNS0_10empty_typeEbEEZZNS1_14partition_implILS5_0ELb0ES3_jN6thrust23THRUST_200600_302600_NS6detail15normal_iteratorINSA_10device_ptrItEEEEPS6_SG_NS0_5tupleIJSF_SF_EEENSH_IJSG_SG_EEES6_PlJ7is_evenItEEEE10hipError_tPvRmT3_T4_T5_T6_T7_T9_mT8_P12ihipStream_tbDpT10_ENKUlT_T0_E_clISt17integral_constantIbLb0EES15_IbLb1EEEEDaS11_S12_EUlS11_E_NS1_11comp_targetILNS1_3genE10ELNS1_11target_archE1200ELNS1_3gpuE4ELNS1_3repE0EEENS1_30default_config_static_selectorELNS0_4arch9wavefront6targetE1EEEvT1_
    .private_segment_fixed_size: 0
    .sgpr_count:     4
    .sgpr_spill_count: 0
    .symbol:         _ZN7rocprim17ROCPRIM_400000_NS6detail17trampoline_kernelINS0_14default_configENS1_25partition_config_selectorILNS1_17partition_subalgoE0EtNS0_10empty_typeEbEEZZNS1_14partition_implILS5_0ELb0ES3_jN6thrust23THRUST_200600_302600_NS6detail15normal_iteratorINSA_10device_ptrItEEEEPS6_SG_NS0_5tupleIJSF_SF_EEENSH_IJSG_SG_EEES6_PlJ7is_evenItEEEE10hipError_tPvRmT3_T4_T5_T6_T7_T9_mT8_P12ihipStream_tbDpT10_ENKUlT_T0_E_clISt17integral_constantIbLb0EES15_IbLb1EEEEDaS11_S12_EUlS11_E_NS1_11comp_targetILNS1_3genE10ELNS1_11target_archE1200ELNS1_3gpuE4ELNS1_3repE0EEENS1_30default_config_static_selectorELNS0_4arch9wavefront6targetE1EEEvT1_.kd
    .uniform_work_group_size: 1
    .uses_dynamic_stack: false
    .vgpr_count:     0
    .vgpr_spill_count: 0
    .wavefront_size: 64
  - .agpr_count:     0
    .args:
      - .offset:         0
        .size:           136
        .value_kind:     by_value
    .group_segment_fixed_size: 0
    .kernarg_segment_align: 8
    .kernarg_segment_size: 136
    .language:       OpenCL C
    .language_version:
      - 2
      - 0
    .max_flat_workgroup_size: 128
    .name:           _ZN7rocprim17ROCPRIM_400000_NS6detail17trampoline_kernelINS0_14default_configENS1_25partition_config_selectorILNS1_17partition_subalgoE0EtNS0_10empty_typeEbEEZZNS1_14partition_implILS5_0ELb0ES3_jN6thrust23THRUST_200600_302600_NS6detail15normal_iteratorINSA_10device_ptrItEEEEPS6_SG_NS0_5tupleIJSF_SF_EEENSH_IJSG_SG_EEES6_PlJ7is_evenItEEEE10hipError_tPvRmT3_T4_T5_T6_T7_T9_mT8_P12ihipStream_tbDpT10_ENKUlT_T0_E_clISt17integral_constantIbLb0EES15_IbLb1EEEEDaS11_S12_EUlS11_E_NS1_11comp_targetILNS1_3genE9ELNS1_11target_archE1100ELNS1_3gpuE3ELNS1_3repE0EEENS1_30default_config_static_selectorELNS0_4arch9wavefront6targetE1EEEvT1_
    .private_segment_fixed_size: 0
    .sgpr_count:     4
    .sgpr_spill_count: 0
    .symbol:         _ZN7rocprim17ROCPRIM_400000_NS6detail17trampoline_kernelINS0_14default_configENS1_25partition_config_selectorILNS1_17partition_subalgoE0EtNS0_10empty_typeEbEEZZNS1_14partition_implILS5_0ELb0ES3_jN6thrust23THRUST_200600_302600_NS6detail15normal_iteratorINSA_10device_ptrItEEEEPS6_SG_NS0_5tupleIJSF_SF_EEENSH_IJSG_SG_EEES6_PlJ7is_evenItEEEE10hipError_tPvRmT3_T4_T5_T6_T7_T9_mT8_P12ihipStream_tbDpT10_ENKUlT_T0_E_clISt17integral_constantIbLb0EES15_IbLb1EEEEDaS11_S12_EUlS11_E_NS1_11comp_targetILNS1_3genE9ELNS1_11target_archE1100ELNS1_3gpuE3ELNS1_3repE0EEENS1_30default_config_static_selectorELNS0_4arch9wavefront6targetE1EEEvT1_.kd
    .uniform_work_group_size: 1
    .uses_dynamic_stack: false
    .vgpr_count:     0
    .vgpr_spill_count: 0
    .wavefront_size: 64
  - .agpr_count:     0
    .args:
      - .offset:         0
        .size:           136
        .value_kind:     by_value
    .group_segment_fixed_size: 0
    .kernarg_segment_align: 8
    .kernarg_segment_size: 136
    .language:       OpenCL C
    .language_version:
      - 2
      - 0
    .max_flat_workgroup_size: 128
    .name:           _ZN7rocprim17ROCPRIM_400000_NS6detail17trampoline_kernelINS0_14default_configENS1_25partition_config_selectorILNS1_17partition_subalgoE0EtNS0_10empty_typeEbEEZZNS1_14partition_implILS5_0ELb0ES3_jN6thrust23THRUST_200600_302600_NS6detail15normal_iteratorINSA_10device_ptrItEEEEPS6_SG_NS0_5tupleIJSF_SF_EEENSH_IJSG_SG_EEES6_PlJ7is_evenItEEEE10hipError_tPvRmT3_T4_T5_T6_T7_T9_mT8_P12ihipStream_tbDpT10_ENKUlT_T0_E_clISt17integral_constantIbLb0EES15_IbLb1EEEEDaS11_S12_EUlS11_E_NS1_11comp_targetILNS1_3genE8ELNS1_11target_archE1030ELNS1_3gpuE2ELNS1_3repE0EEENS1_30default_config_static_selectorELNS0_4arch9wavefront6targetE1EEEvT1_
    .private_segment_fixed_size: 0
    .sgpr_count:     4
    .sgpr_spill_count: 0
    .symbol:         _ZN7rocprim17ROCPRIM_400000_NS6detail17trampoline_kernelINS0_14default_configENS1_25partition_config_selectorILNS1_17partition_subalgoE0EtNS0_10empty_typeEbEEZZNS1_14partition_implILS5_0ELb0ES3_jN6thrust23THRUST_200600_302600_NS6detail15normal_iteratorINSA_10device_ptrItEEEEPS6_SG_NS0_5tupleIJSF_SF_EEENSH_IJSG_SG_EEES6_PlJ7is_evenItEEEE10hipError_tPvRmT3_T4_T5_T6_T7_T9_mT8_P12ihipStream_tbDpT10_ENKUlT_T0_E_clISt17integral_constantIbLb0EES15_IbLb1EEEEDaS11_S12_EUlS11_E_NS1_11comp_targetILNS1_3genE8ELNS1_11target_archE1030ELNS1_3gpuE2ELNS1_3repE0EEENS1_30default_config_static_selectorELNS0_4arch9wavefront6targetE1EEEvT1_.kd
    .uniform_work_group_size: 1
    .uses_dynamic_stack: false
    .vgpr_count:     0
    .vgpr_spill_count: 0
    .wavefront_size: 64
  - .agpr_count:     0
    .args:
      - .offset:         0
        .size:           16
        .value_kind:     by_value
      - .offset:         16
        .size:           8
        .value_kind:     by_value
      - .offset:         24
        .size:           8
        .value_kind:     by_value
    .group_segment_fixed_size: 0
    .kernarg_segment_align: 8
    .kernarg_segment_size: 32
    .language:       OpenCL C
    .language_version:
      - 2
      - 0
    .max_flat_workgroup_size: 256
    .name:           _ZN6thrust23THRUST_200600_302600_NS11hip_rocprim14__parallel_for6kernelILj256ENS1_20__uninitialized_fill7functorINS0_10device_ptrIiEEiEEmLj1EEEvT0_T1_SA_
    .private_segment_fixed_size: 0
    .sgpr_count:     16
    .sgpr_spill_count: 0
    .symbol:         _ZN6thrust23THRUST_200600_302600_NS11hip_rocprim14__parallel_for6kernelILj256ENS1_20__uninitialized_fill7functorINS0_10device_ptrIiEEiEEmLj1EEEvT0_T1_SA_.kd
    .uniform_work_group_size: 1
    .uses_dynamic_stack: false
    .vgpr_count:     4
    .vgpr_spill_count: 0
    .wavefront_size: 64
  - .agpr_count:     0
    .args:
      - .offset:         0
        .size:           128
        .value_kind:     by_value
    .group_segment_fixed_size: 0
    .kernarg_segment_align: 8
    .kernarg_segment_size: 128
    .language:       OpenCL C
    .language_version:
      - 2
      - 0
    .max_flat_workgroup_size: 128
    .name:           _ZN7rocprim17ROCPRIM_400000_NS6detail17trampoline_kernelINS0_14default_configENS1_25partition_config_selectorILNS1_17partition_subalgoE1EyNS0_10empty_typeEbEEZZNS1_14partition_implILS5_1ELb0ES3_jN6thrust23THRUST_200600_302600_NS6detail15normal_iteratorINSA_10device_ptrIyEEEEPS6_NSA_18transform_iteratorI7is_evenIyESF_NSA_11use_defaultESK_EENS0_5tupleIJSF_SF_EEENSM_IJSG_SG_EEES6_PlJS6_EEE10hipError_tPvRmT3_T4_T5_T6_T7_T9_mT8_P12ihipStream_tbDpT10_ENKUlT_T0_E_clISt17integral_constantIbLb0EES19_EEDaS14_S15_EUlS14_E_NS1_11comp_targetILNS1_3genE0ELNS1_11target_archE4294967295ELNS1_3gpuE0ELNS1_3repE0EEENS1_30default_config_static_selectorELNS0_4arch9wavefront6targetE1EEEvT1_
    .private_segment_fixed_size: 0
    .sgpr_count:     4
    .sgpr_spill_count: 0
    .symbol:         _ZN7rocprim17ROCPRIM_400000_NS6detail17trampoline_kernelINS0_14default_configENS1_25partition_config_selectorILNS1_17partition_subalgoE1EyNS0_10empty_typeEbEEZZNS1_14partition_implILS5_1ELb0ES3_jN6thrust23THRUST_200600_302600_NS6detail15normal_iteratorINSA_10device_ptrIyEEEEPS6_NSA_18transform_iteratorI7is_evenIyESF_NSA_11use_defaultESK_EENS0_5tupleIJSF_SF_EEENSM_IJSG_SG_EEES6_PlJS6_EEE10hipError_tPvRmT3_T4_T5_T6_T7_T9_mT8_P12ihipStream_tbDpT10_ENKUlT_T0_E_clISt17integral_constantIbLb0EES19_EEDaS14_S15_EUlS14_E_NS1_11comp_targetILNS1_3genE0ELNS1_11target_archE4294967295ELNS1_3gpuE0ELNS1_3repE0EEENS1_30default_config_static_selectorELNS0_4arch9wavefront6targetE1EEEvT1_.kd
    .uniform_work_group_size: 1
    .uses_dynamic_stack: false
    .vgpr_count:     0
    .vgpr_spill_count: 0
    .wavefront_size: 64
  - .agpr_count:     0
    .args:
      - .offset:         0
        .size:           128
        .value_kind:     by_value
    .group_segment_fixed_size: 0
    .kernarg_segment_align: 8
    .kernarg_segment_size: 128
    .language:       OpenCL C
    .language_version:
      - 2
      - 0
    .max_flat_workgroup_size: 512
    .name:           _ZN7rocprim17ROCPRIM_400000_NS6detail17trampoline_kernelINS0_14default_configENS1_25partition_config_selectorILNS1_17partition_subalgoE1EyNS0_10empty_typeEbEEZZNS1_14partition_implILS5_1ELb0ES3_jN6thrust23THRUST_200600_302600_NS6detail15normal_iteratorINSA_10device_ptrIyEEEEPS6_NSA_18transform_iteratorI7is_evenIyESF_NSA_11use_defaultESK_EENS0_5tupleIJSF_SF_EEENSM_IJSG_SG_EEES6_PlJS6_EEE10hipError_tPvRmT3_T4_T5_T6_T7_T9_mT8_P12ihipStream_tbDpT10_ENKUlT_T0_E_clISt17integral_constantIbLb0EES19_EEDaS14_S15_EUlS14_E_NS1_11comp_targetILNS1_3genE5ELNS1_11target_archE942ELNS1_3gpuE9ELNS1_3repE0EEENS1_30default_config_static_selectorELNS0_4arch9wavefront6targetE1EEEvT1_
    .private_segment_fixed_size: 0
    .sgpr_count:     4
    .sgpr_spill_count: 0
    .symbol:         _ZN7rocprim17ROCPRIM_400000_NS6detail17trampoline_kernelINS0_14default_configENS1_25partition_config_selectorILNS1_17partition_subalgoE1EyNS0_10empty_typeEbEEZZNS1_14partition_implILS5_1ELb0ES3_jN6thrust23THRUST_200600_302600_NS6detail15normal_iteratorINSA_10device_ptrIyEEEEPS6_NSA_18transform_iteratorI7is_evenIyESF_NSA_11use_defaultESK_EENS0_5tupleIJSF_SF_EEENSM_IJSG_SG_EEES6_PlJS6_EEE10hipError_tPvRmT3_T4_T5_T6_T7_T9_mT8_P12ihipStream_tbDpT10_ENKUlT_T0_E_clISt17integral_constantIbLb0EES19_EEDaS14_S15_EUlS14_E_NS1_11comp_targetILNS1_3genE5ELNS1_11target_archE942ELNS1_3gpuE9ELNS1_3repE0EEENS1_30default_config_static_selectorELNS0_4arch9wavefront6targetE1EEEvT1_.kd
    .uniform_work_group_size: 1
    .uses_dynamic_stack: false
    .vgpr_count:     0
    .vgpr_spill_count: 0
    .wavefront_size: 64
  - .agpr_count:     0
    .args:
      - .offset:         0
        .size:           128
        .value_kind:     by_value
    .group_segment_fixed_size: 6344
    .kernarg_segment_align: 8
    .kernarg_segment_size: 128
    .language:       OpenCL C
    .language_version:
      - 2
      - 0
    .max_flat_workgroup_size: 192
    .name:           _ZN7rocprim17ROCPRIM_400000_NS6detail17trampoline_kernelINS0_14default_configENS1_25partition_config_selectorILNS1_17partition_subalgoE1EyNS0_10empty_typeEbEEZZNS1_14partition_implILS5_1ELb0ES3_jN6thrust23THRUST_200600_302600_NS6detail15normal_iteratorINSA_10device_ptrIyEEEEPS6_NSA_18transform_iteratorI7is_evenIyESF_NSA_11use_defaultESK_EENS0_5tupleIJSF_SF_EEENSM_IJSG_SG_EEES6_PlJS6_EEE10hipError_tPvRmT3_T4_T5_T6_T7_T9_mT8_P12ihipStream_tbDpT10_ENKUlT_T0_E_clISt17integral_constantIbLb0EES19_EEDaS14_S15_EUlS14_E_NS1_11comp_targetILNS1_3genE4ELNS1_11target_archE910ELNS1_3gpuE8ELNS1_3repE0EEENS1_30default_config_static_selectorELNS0_4arch9wavefront6targetE1EEEvT1_
    .private_segment_fixed_size: 0
    .sgpr_count:     48
    .sgpr_spill_count: 0
    .symbol:         _ZN7rocprim17ROCPRIM_400000_NS6detail17trampoline_kernelINS0_14default_configENS1_25partition_config_selectorILNS1_17partition_subalgoE1EyNS0_10empty_typeEbEEZZNS1_14partition_implILS5_1ELb0ES3_jN6thrust23THRUST_200600_302600_NS6detail15normal_iteratorINSA_10device_ptrIyEEEEPS6_NSA_18transform_iteratorI7is_evenIyESF_NSA_11use_defaultESK_EENS0_5tupleIJSF_SF_EEENSM_IJSG_SG_EEES6_PlJS6_EEE10hipError_tPvRmT3_T4_T5_T6_T7_T9_mT8_P12ihipStream_tbDpT10_ENKUlT_T0_E_clISt17integral_constantIbLb0EES19_EEDaS14_S15_EUlS14_E_NS1_11comp_targetILNS1_3genE4ELNS1_11target_archE910ELNS1_3gpuE8ELNS1_3repE0EEENS1_30default_config_static_selectorELNS0_4arch9wavefront6targetE1EEEvT1_.kd
    .uniform_work_group_size: 1
    .uses_dynamic_stack: false
    .vgpr_count:     43
    .vgpr_spill_count: 0
    .wavefront_size: 64
  - .agpr_count:     0
    .args:
      - .offset:         0
        .size:           128
        .value_kind:     by_value
    .group_segment_fixed_size: 0
    .kernarg_segment_align: 8
    .kernarg_segment_size: 128
    .language:       OpenCL C
    .language_version:
      - 2
      - 0
    .max_flat_workgroup_size: 128
    .name:           _ZN7rocprim17ROCPRIM_400000_NS6detail17trampoline_kernelINS0_14default_configENS1_25partition_config_selectorILNS1_17partition_subalgoE1EyNS0_10empty_typeEbEEZZNS1_14partition_implILS5_1ELb0ES3_jN6thrust23THRUST_200600_302600_NS6detail15normal_iteratorINSA_10device_ptrIyEEEEPS6_NSA_18transform_iteratorI7is_evenIyESF_NSA_11use_defaultESK_EENS0_5tupleIJSF_SF_EEENSM_IJSG_SG_EEES6_PlJS6_EEE10hipError_tPvRmT3_T4_T5_T6_T7_T9_mT8_P12ihipStream_tbDpT10_ENKUlT_T0_E_clISt17integral_constantIbLb0EES19_EEDaS14_S15_EUlS14_E_NS1_11comp_targetILNS1_3genE3ELNS1_11target_archE908ELNS1_3gpuE7ELNS1_3repE0EEENS1_30default_config_static_selectorELNS0_4arch9wavefront6targetE1EEEvT1_
    .private_segment_fixed_size: 0
    .sgpr_count:     4
    .sgpr_spill_count: 0
    .symbol:         _ZN7rocprim17ROCPRIM_400000_NS6detail17trampoline_kernelINS0_14default_configENS1_25partition_config_selectorILNS1_17partition_subalgoE1EyNS0_10empty_typeEbEEZZNS1_14partition_implILS5_1ELb0ES3_jN6thrust23THRUST_200600_302600_NS6detail15normal_iteratorINSA_10device_ptrIyEEEEPS6_NSA_18transform_iteratorI7is_evenIyESF_NSA_11use_defaultESK_EENS0_5tupleIJSF_SF_EEENSM_IJSG_SG_EEES6_PlJS6_EEE10hipError_tPvRmT3_T4_T5_T6_T7_T9_mT8_P12ihipStream_tbDpT10_ENKUlT_T0_E_clISt17integral_constantIbLb0EES19_EEDaS14_S15_EUlS14_E_NS1_11comp_targetILNS1_3genE3ELNS1_11target_archE908ELNS1_3gpuE7ELNS1_3repE0EEENS1_30default_config_static_selectorELNS0_4arch9wavefront6targetE1EEEvT1_.kd
    .uniform_work_group_size: 1
    .uses_dynamic_stack: false
    .vgpr_count:     0
    .vgpr_spill_count: 0
    .wavefront_size: 64
  - .agpr_count:     0
    .args:
      - .offset:         0
        .size:           128
        .value_kind:     by_value
    .group_segment_fixed_size: 0
    .kernarg_segment_align: 8
    .kernarg_segment_size: 128
    .language:       OpenCL C
    .language_version:
      - 2
      - 0
    .max_flat_workgroup_size: 256
    .name:           _ZN7rocprim17ROCPRIM_400000_NS6detail17trampoline_kernelINS0_14default_configENS1_25partition_config_selectorILNS1_17partition_subalgoE1EyNS0_10empty_typeEbEEZZNS1_14partition_implILS5_1ELb0ES3_jN6thrust23THRUST_200600_302600_NS6detail15normal_iteratorINSA_10device_ptrIyEEEEPS6_NSA_18transform_iteratorI7is_evenIyESF_NSA_11use_defaultESK_EENS0_5tupleIJSF_SF_EEENSM_IJSG_SG_EEES6_PlJS6_EEE10hipError_tPvRmT3_T4_T5_T6_T7_T9_mT8_P12ihipStream_tbDpT10_ENKUlT_T0_E_clISt17integral_constantIbLb0EES19_EEDaS14_S15_EUlS14_E_NS1_11comp_targetILNS1_3genE2ELNS1_11target_archE906ELNS1_3gpuE6ELNS1_3repE0EEENS1_30default_config_static_selectorELNS0_4arch9wavefront6targetE1EEEvT1_
    .private_segment_fixed_size: 0
    .sgpr_count:     4
    .sgpr_spill_count: 0
    .symbol:         _ZN7rocprim17ROCPRIM_400000_NS6detail17trampoline_kernelINS0_14default_configENS1_25partition_config_selectorILNS1_17partition_subalgoE1EyNS0_10empty_typeEbEEZZNS1_14partition_implILS5_1ELb0ES3_jN6thrust23THRUST_200600_302600_NS6detail15normal_iteratorINSA_10device_ptrIyEEEEPS6_NSA_18transform_iteratorI7is_evenIyESF_NSA_11use_defaultESK_EENS0_5tupleIJSF_SF_EEENSM_IJSG_SG_EEES6_PlJS6_EEE10hipError_tPvRmT3_T4_T5_T6_T7_T9_mT8_P12ihipStream_tbDpT10_ENKUlT_T0_E_clISt17integral_constantIbLb0EES19_EEDaS14_S15_EUlS14_E_NS1_11comp_targetILNS1_3genE2ELNS1_11target_archE906ELNS1_3gpuE6ELNS1_3repE0EEENS1_30default_config_static_selectorELNS0_4arch9wavefront6targetE1EEEvT1_.kd
    .uniform_work_group_size: 1
    .uses_dynamic_stack: false
    .vgpr_count:     0
    .vgpr_spill_count: 0
    .wavefront_size: 64
  - .agpr_count:     0
    .args:
      - .offset:         0
        .size:           128
        .value_kind:     by_value
    .group_segment_fixed_size: 0
    .kernarg_segment_align: 8
    .kernarg_segment_size: 128
    .language:       OpenCL C
    .language_version:
      - 2
      - 0
    .max_flat_workgroup_size: 256
    .name:           _ZN7rocprim17ROCPRIM_400000_NS6detail17trampoline_kernelINS0_14default_configENS1_25partition_config_selectorILNS1_17partition_subalgoE1EyNS0_10empty_typeEbEEZZNS1_14partition_implILS5_1ELb0ES3_jN6thrust23THRUST_200600_302600_NS6detail15normal_iteratorINSA_10device_ptrIyEEEEPS6_NSA_18transform_iteratorI7is_evenIyESF_NSA_11use_defaultESK_EENS0_5tupleIJSF_SF_EEENSM_IJSG_SG_EEES6_PlJS6_EEE10hipError_tPvRmT3_T4_T5_T6_T7_T9_mT8_P12ihipStream_tbDpT10_ENKUlT_T0_E_clISt17integral_constantIbLb0EES19_EEDaS14_S15_EUlS14_E_NS1_11comp_targetILNS1_3genE10ELNS1_11target_archE1200ELNS1_3gpuE4ELNS1_3repE0EEENS1_30default_config_static_selectorELNS0_4arch9wavefront6targetE1EEEvT1_
    .private_segment_fixed_size: 0
    .sgpr_count:     4
    .sgpr_spill_count: 0
    .symbol:         _ZN7rocprim17ROCPRIM_400000_NS6detail17trampoline_kernelINS0_14default_configENS1_25partition_config_selectorILNS1_17partition_subalgoE1EyNS0_10empty_typeEbEEZZNS1_14partition_implILS5_1ELb0ES3_jN6thrust23THRUST_200600_302600_NS6detail15normal_iteratorINSA_10device_ptrIyEEEEPS6_NSA_18transform_iteratorI7is_evenIyESF_NSA_11use_defaultESK_EENS0_5tupleIJSF_SF_EEENSM_IJSG_SG_EEES6_PlJS6_EEE10hipError_tPvRmT3_T4_T5_T6_T7_T9_mT8_P12ihipStream_tbDpT10_ENKUlT_T0_E_clISt17integral_constantIbLb0EES19_EEDaS14_S15_EUlS14_E_NS1_11comp_targetILNS1_3genE10ELNS1_11target_archE1200ELNS1_3gpuE4ELNS1_3repE0EEENS1_30default_config_static_selectorELNS0_4arch9wavefront6targetE1EEEvT1_.kd
    .uniform_work_group_size: 1
    .uses_dynamic_stack: false
    .vgpr_count:     0
    .vgpr_spill_count: 0
    .wavefront_size: 64
  - .agpr_count:     0
    .args:
      - .offset:         0
        .size:           128
        .value_kind:     by_value
    .group_segment_fixed_size: 0
    .kernarg_segment_align: 8
    .kernarg_segment_size: 128
    .language:       OpenCL C
    .language_version:
      - 2
      - 0
    .max_flat_workgroup_size: 128
    .name:           _ZN7rocprim17ROCPRIM_400000_NS6detail17trampoline_kernelINS0_14default_configENS1_25partition_config_selectorILNS1_17partition_subalgoE1EyNS0_10empty_typeEbEEZZNS1_14partition_implILS5_1ELb0ES3_jN6thrust23THRUST_200600_302600_NS6detail15normal_iteratorINSA_10device_ptrIyEEEEPS6_NSA_18transform_iteratorI7is_evenIyESF_NSA_11use_defaultESK_EENS0_5tupleIJSF_SF_EEENSM_IJSG_SG_EEES6_PlJS6_EEE10hipError_tPvRmT3_T4_T5_T6_T7_T9_mT8_P12ihipStream_tbDpT10_ENKUlT_T0_E_clISt17integral_constantIbLb0EES19_EEDaS14_S15_EUlS14_E_NS1_11comp_targetILNS1_3genE9ELNS1_11target_archE1100ELNS1_3gpuE3ELNS1_3repE0EEENS1_30default_config_static_selectorELNS0_4arch9wavefront6targetE1EEEvT1_
    .private_segment_fixed_size: 0
    .sgpr_count:     4
    .sgpr_spill_count: 0
    .symbol:         _ZN7rocprim17ROCPRIM_400000_NS6detail17trampoline_kernelINS0_14default_configENS1_25partition_config_selectorILNS1_17partition_subalgoE1EyNS0_10empty_typeEbEEZZNS1_14partition_implILS5_1ELb0ES3_jN6thrust23THRUST_200600_302600_NS6detail15normal_iteratorINSA_10device_ptrIyEEEEPS6_NSA_18transform_iteratorI7is_evenIyESF_NSA_11use_defaultESK_EENS0_5tupleIJSF_SF_EEENSM_IJSG_SG_EEES6_PlJS6_EEE10hipError_tPvRmT3_T4_T5_T6_T7_T9_mT8_P12ihipStream_tbDpT10_ENKUlT_T0_E_clISt17integral_constantIbLb0EES19_EEDaS14_S15_EUlS14_E_NS1_11comp_targetILNS1_3genE9ELNS1_11target_archE1100ELNS1_3gpuE3ELNS1_3repE0EEENS1_30default_config_static_selectorELNS0_4arch9wavefront6targetE1EEEvT1_.kd
    .uniform_work_group_size: 1
    .uses_dynamic_stack: false
    .vgpr_count:     0
    .vgpr_spill_count: 0
    .wavefront_size: 64
  - .agpr_count:     0
    .args:
      - .offset:         0
        .size:           128
        .value_kind:     by_value
    .group_segment_fixed_size: 0
    .kernarg_segment_align: 8
    .kernarg_segment_size: 128
    .language:       OpenCL C
    .language_version:
      - 2
      - 0
    .max_flat_workgroup_size: 512
    .name:           _ZN7rocprim17ROCPRIM_400000_NS6detail17trampoline_kernelINS0_14default_configENS1_25partition_config_selectorILNS1_17partition_subalgoE1EyNS0_10empty_typeEbEEZZNS1_14partition_implILS5_1ELb0ES3_jN6thrust23THRUST_200600_302600_NS6detail15normal_iteratorINSA_10device_ptrIyEEEEPS6_NSA_18transform_iteratorI7is_evenIyESF_NSA_11use_defaultESK_EENS0_5tupleIJSF_SF_EEENSM_IJSG_SG_EEES6_PlJS6_EEE10hipError_tPvRmT3_T4_T5_T6_T7_T9_mT8_P12ihipStream_tbDpT10_ENKUlT_T0_E_clISt17integral_constantIbLb0EES19_EEDaS14_S15_EUlS14_E_NS1_11comp_targetILNS1_3genE8ELNS1_11target_archE1030ELNS1_3gpuE2ELNS1_3repE0EEENS1_30default_config_static_selectorELNS0_4arch9wavefront6targetE1EEEvT1_
    .private_segment_fixed_size: 0
    .sgpr_count:     4
    .sgpr_spill_count: 0
    .symbol:         _ZN7rocprim17ROCPRIM_400000_NS6detail17trampoline_kernelINS0_14default_configENS1_25partition_config_selectorILNS1_17partition_subalgoE1EyNS0_10empty_typeEbEEZZNS1_14partition_implILS5_1ELb0ES3_jN6thrust23THRUST_200600_302600_NS6detail15normal_iteratorINSA_10device_ptrIyEEEEPS6_NSA_18transform_iteratorI7is_evenIyESF_NSA_11use_defaultESK_EENS0_5tupleIJSF_SF_EEENSM_IJSG_SG_EEES6_PlJS6_EEE10hipError_tPvRmT3_T4_T5_T6_T7_T9_mT8_P12ihipStream_tbDpT10_ENKUlT_T0_E_clISt17integral_constantIbLb0EES19_EEDaS14_S15_EUlS14_E_NS1_11comp_targetILNS1_3genE8ELNS1_11target_archE1030ELNS1_3gpuE2ELNS1_3repE0EEENS1_30default_config_static_selectorELNS0_4arch9wavefront6targetE1EEEvT1_.kd
    .uniform_work_group_size: 1
    .uses_dynamic_stack: false
    .vgpr_count:     0
    .vgpr_spill_count: 0
    .wavefront_size: 64
  - .agpr_count:     0
    .args:
      - .offset:         0
        .size:           144
        .value_kind:     by_value
    .group_segment_fixed_size: 0
    .kernarg_segment_align: 8
    .kernarg_segment_size: 144
    .language:       OpenCL C
    .language_version:
      - 2
      - 0
    .max_flat_workgroup_size: 128
    .name:           _ZN7rocprim17ROCPRIM_400000_NS6detail17trampoline_kernelINS0_14default_configENS1_25partition_config_selectorILNS1_17partition_subalgoE1EyNS0_10empty_typeEbEEZZNS1_14partition_implILS5_1ELb0ES3_jN6thrust23THRUST_200600_302600_NS6detail15normal_iteratorINSA_10device_ptrIyEEEEPS6_NSA_18transform_iteratorI7is_evenIyESF_NSA_11use_defaultESK_EENS0_5tupleIJSF_SF_EEENSM_IJSG_SG_EEES6_PlJS6_EEE10hipError_tPvRmT3_T4_T5_T6_T7_T9_mT8_P12ihipStream_tbDpT10_ENKUlT_T0_E_clISt17integral_constantIbLb1EES19_EEDaS14_S15_EUlS14_E_NS1_11comp_targetILNS1_3genE0ELNS1_11target_archE4294967295ELNS1_3gpuE0ELNS1_3repE0EEENS1_30default_config_static_selectorELNS0_4arch9wavefront6targetE1EEEvT1_
    .private_segment_fixed_size: 0
    .sgpr_count:     4
    .sgpr_spill_count: 0
    .symbol:         _ZN7rocprim17ROCPRIM_400000_NS6detail17trampoline_kernelINS0_14default_configENS1_25partition_config_selectorILNS1_17partition_subalgoE1EyNS0_10empty_typeEbEEZZNS1_14partition_implILS5_1ELb0ES3_jN6thrust23THRUST_200600_302600_NS6detail15normal_iteratorINSA_10device_ptrIyEEEEPS6_NSA_18transform_iteratorI7is_evenIyESF_NSA_11use_defaultESK_EENS0_5tupleIJSF_SF_EEENSM_IJSG_SG_EEES6_PlJS6_EEE10hipError_tPvRmT3_T4_T5_T6_T7_T9_mT8_P12ihipStream_tbDpT10_ENKUlT_T0_E_clISt17integral_constantIbLb1EES19_EEDaS14_S15_EUlS14_E_NS1_11comp_targetILNS1_3genE0ELNS1_11target_archE4294967295ELNS1_3gpuE0ELNS1_3repE0EEENS1_30default_config_static_selectorELNS0_4arch9wavefront6targetE1EEEvT1_.kd
    .uniform_work_group_size: 1
    .uses_dynamic_stack: false
    .vgpr_count:     0
    .vgpr_spill_count: 0
    .wavefront_size: 64
  - .agpr_count:     0
    .args:
      - .offset:         0
        .size:           144
        .value_kind:     by_value
    .group_segment_fixed_size: 0
    .kernarg_segment_align: 8
    .kernarg_segment_size: 144
    .language:       OpenCL C
    .language_version:
      - 2
      - 0
    .max_flat_workgroup_size: 512
    .name:           _ZN7rocprim17ROCPRIM_400000_NS6detail17trampoline_kernelINS0_14default_configENS1_25partition_config_selectorILNS1_17partition_subalgoE1EyNS0_10empty_typeEbEEZZNS1_14partition_implILS5_1ELb0ES3_jN6thrust23THRUST_200600_302600_NS6detail15normal_iteratorINSA_10device_ptrIyEEEEPS6_NSA_18transform_iteratorI7is_evenIyESF_NSA_11use_defaultESK_EENS0_5tupleIJSF_SF_EEENSM_IJSG_SG_EEES6_PlJS6_EEE10hipError_tPvRmT3_T4_T5_T6_T7_T9_mT8_P12ihipStream_tbDpT10_ENKUlT_T0_E_clISt17integral_constantIbLb1EES19_EEDaS14_S15_EUlS14_E_NS1_11comp_targetILNS1_3genE5ELNS1_11target_archE942ELNS1_3gpuE9ELNS1_3repE0EEENS1_30default_config_static_selectorELNS0_4arch9wavefront6targetE1EEEvT1_
    .private_segment_fixed_size: 0
    .sgpr_count:     4
    .sgpr_spill_count: 0
    .symbol:         _ZN7rocprim17ROCPRIM_400000_NS6detail17trampoline_kernelINS0_14default_configENS1_25partition_config_selectorILNS1_17partition_subalgoE1EyNS0_10empty_typeEbEEZZNS1_14partition_implILS5_1ELb0ES3_jN6thrust23THRUST_200600_302600_NS6detail15normal_iteratorINSA_10device_ptrIyEEEEPS6_NSA_18transform_iteratorI7is_evenIyESF_NSA_11use_defaultESK_EENS0_5tupleIJSF_SF_EEENSM_IJSG_SG_EEES6_PlJS6_EEE10hipError_tPvRmT3_T4_T5_T6_T7_T9_mT8_P12ihipStream_tbDpT10_ENKUlT_T0_E_clISt17integral_constantIbLb1EES19_EEDaS14_S15_EUlS14_E_NS1_11comp_targetILNS1_3genE5ELNS1_11target_archE942ELNS1_3gpuE9ELNS1_3repE0EEENS1_30default_config_static_selectorELNS0_4arch9wavefront6targetE1EEEvT1_.kd
    .uniform_work_group_size: 1
    .uses_dynamic_stack: false
    .vgpr_count:     0
    .vgpr_spill_count: 0
    .wavefront_size: 64
  - .agpr_count:     0
    .args:
      - .offset:         0
        .size:           144
        .value_kind:     by_value
    .group_segment_fixed_size: 6344
    .kernarg_segment_align: 8
    .kernarg_segment_size: 144
    .language:       OpenCL C
    .language_version:
      - 2
      - 0
    .max_flat_workgroup_size: 192
    .name:           _ZN7rocprim17ROCPRIM_400000_NS6detail17trampoline_kernelINS0_14default_configENS1_25partition_config_selectorILNS1_17partition_subalgoE1EyNS0_10empty_typeEbEEZZNS1_14partition_implILS5_1ELb0ES3_jN6thrust23THRUST_200600_302600_NS6detail15normal_iteratorINSA_10device_ptrIyEEEEPS6_NSA_18transform_iteratorI7is_evenIyESF_NSA_11use_defaultESK_EENS0_5tupleIJSF_SF_EEENSM_IJSG_SG_EEES6_PlJS6_EEE10hipError_tPvRmT3_T4_T5_T6_T7_T9_mT8_P12ihipStream_tbDpT10_ENKUlT_T0_E_clISt17integral_constantIbLb1EES19_EEDaS14_S15_EUlS14_E_NS1_11comp_targetILNS1_3genE4ELNS1_11target_archE910ELNS1_3gpuE8ELNS1_3repE0EEENS1_30default_config_static_selectorELNS0_4arch9wavefront6targetE1EEEvT1_
    .private_segment_fixed_size: 0
    .sgpr_count:     48
    .sgpr_spill_count: 0
    .symbol:         _ZN7rocprim17ROCPRIM_400000_NS6detail17trampoline_kernelINS0_14default_configENS1_25partition_config_selectorILNS1_17partition_subalgoE1EyNS0_10empty_typeEbEEZZNS1_14partition_implILS5_1ELb0ES3_jN6thrust23THRUST_200600_302600_NS6detail15normal_iteratorINSA_10device_ptrIyEEEEPS6_NSA_18transform_iteratorI7is_evenIyESF_NSA_11use_defaultESK_EENS0_5tupleIJSF_SF_EEENSM_IJSG_SG_EEES6_PlJS6_EEE10hipError_tPvRmT3_T4_T5_T6_T7_T9_mT8_P12ihipStream_tbDpT10_ENKUlT_T0_E_clISt17integral_constantIbLb1EES19_EEDaS14_S15_EUlS14_E_NS1_11comp_targetILNS1_3genE4ELNS1_11target_archE910ELNS1_3gpuE8ELNS1_3repE0EEENS1_30default_config_static_selectorELNS0_4arch9wavefront6targetE1EEEvT1_.kd
    .uniform_work_group_size: 1
    .uses_dynamic_stack: false
    .vgpr_count:     47
    .vgpr_spill_count: 0
    .wavefront_size: 64
  - .agpr_count:     0
    .args:
      - .offset:         0
        .size:           144
        .value_kind:     by_value
    .group_segment_fixed_size: 0
    .kernarg_segment_align: 8
    .kernarg_segment_size: 144
    .language:       OpenCL C
    .language_version:
      - 2
      - 0
    .max_flat_workgroup_size: 128
    .name:           _ZN7rocprim17ROCPRIM_400000_NS6detail17trampoline_kernelINS0_14default_configENS1_25partition_config_selectorILNS1_17partition_subalgoE1EyNS0_10empty_typeEbEEZZNS1_14partition_implILS5_1ELb0ES3_jN6thrust23THRUST_200600_302600_NS6detail15normal_iteratorINSA_10device_ptrIyEEEEPS6_NSA_18transform_iteratorI7is_evenIyESF_NSA_11use_defaultESK_EENS0_5tupleIJSF_SF_EEENSM_IJSG_SG_EEES6_PlJS6_EEE10hipError_tPvRmT3_T4_T5_T6_T7_T9_mT8_P12ihipStream_tbDpT10_ENKUlT_T0_E_clISt17integral_constantIbLb1EES19_EEDaS14_S15_EUlS14_E_NS1_11comp_targetILNS1_3genE3ELNS1_11target_archE908ELNS1_3gpuE7ELNS1_3repE0EEENS1_30default_config_static_selectorELNS0_4arch9wavefront6targetE1EEEvT1_
    .private_segment_fixed_size: 0
    .sgpr_count:     4
    .sgpr_spill_count: 0
    .symbol:         _ZN7rocprim17ROCPRIM_400000_NS6detail17trampoline_kernelINS0_14default_configENS1_25partition_config_selectorILNS1_17partition_subalgoE1EyNS0_10empty_typeEbEEZZNS1_14partition_implILS5_1ELb0ES3_jN6thrust23THRUST_200600_302600_NS6detail15normal_iteratorINSA_10device_ptrIyEEEEPS6_NSA_18transform_iteratorI7is_evenIyESF_NSA_11use_defaultESK_EENS0_5tupleIJSF_SF_EEENSM_IJSG_SG_EEES6_PlJS6_EEE10hipError_tPvRmT3_T4_T5_T6_T7_T9_mT8_P12ihipStream_tbDpT10_ENKUlT_T0_E_clISt17integral_constantIbLb1EES19_EEDaS14_S15_EUlS14_E_NS1_11comp_targetILNS1_3genE3ELNS1_11target_archE908ELNS1_3gpuE7ELNS1_3repE0EEENS1_30default_config_static_selectorELNS0_4arch9wavefront6targetE1EEEvT1_.kd
    .uniform_work_group_size: 1
    .uses_dynamic_stack: false
    .vgpr_count:     0
    .vgpr_spill_count: 0
    .wavefront_size: 64
  - .agpr_count:     0
    .args:
      - .offset:         0
        .size:           144
        .value_kind:     by_value
    .group_segment_fixed_size: 0
    .kernarg_segment_align: 8
    .kernarg_segment_size: 144
    .language:       OpenCL C
    .language_version:
      - 2
      - 0
    .max_flat_workgroup_size: 256
    .name:           _ZN7rocprim17ROCPRIM_400000_NS6detail17trampoline_kernelINS0_14default_configENS1_25partition_config_selectorILNS1_17partition_subalgoE1EyNS0_10empty_typeEbEEZZNS1_14partition_implILS5_1ELb0ES3_jN6thrust23THRUST_200600_302600_NS6detail15normal_iteratorINSA_10device_ptrIyEEEEPS6_NSA_18transform_iteratorI7is_evenIyESF_NSA_11use_defaultESK_EENS0_5tupleIJSF_SF_EEENSM_IJSG_SG_EEES6_PlJS6_EEE10hipError_tPvRmT3_T4_T5_T6_T7_T9_mT8_P12ihipStream_tbDpT10_ENKUlT_T0_E_clISt17integral_constantIbLb1EES19_EEDaS14_S15_EUlS14_E_NS1_11comp_targetILNS1_3genE2ELNS1_11target_archE906ELNS1_3gpuE6ELNS1_3repE0EEENS1_30default_config_static_selectorELNS0_4arch9wavefront6targetE1EEEvT1_
    .private_segment_fixed_size: 0
    .sgpr_count:     4
    .sgpr_spill_count: 0
    .symbol:         _ZN7rocprim17ROCPRIM_400000_NS6detail17trampoline_kernelINS0_14default_configENS1_25partition_config_selectorILNS1_17partition_subalgoE1EyNS0_10empty_typeEbEEZZNS1_14partition_implILS5_1ELb0ES3_jN6thrust23THRUST_200600_302600_NS6detail15normal_iteratorINSA_10device_ptrIyEEEEPS6_NSA_18transform_iteratorI7is_evenIyESF_NSA_11use_defaultESK_EENS0_5tupleIJSF_SF_EEENSM_IJSG_SG_EEES6_PlJS6_EEE10hipError_tPvRmT3_T4_T5_T6_T7_T9_mT8_P12ihipStream_tbDpT10_ENKUlT_T0_E_clISt17integral_constantIbLb1EES19_EEDaS14_S15_EUlS14_E_NS1_11comp_targetILNS1_3genE2ELNS1_11target_archE906ELNS1_3gpuE6ELNS1_3repE0EEENS1_30default_config_static_selectorELNS0_4arch9wavefront6targetE1EEEvT1_.kd
    .uniform_work_group_size: 1
    .uses_dynamic_stack: false
    .vgpr_count:     0
    .vgpr_spill_count: 0
    .wavefront_size: 64
  - .agpr_count:     0
    .args:
      - .offset:         0
        .size:           144
        .value_kind:     by_value
    .group_segment_fixed_size: 0
    .kernarg_segment_align: 8
    .kernarg_segment_size: 144
    .language:       OpenCL C
    .language_version:
      - 2
      - 0
    .max_flat_workgroup_size: 256
    .name:           _ZN7rocprim17ROCPRIM_400000_NS6detail17trampoline_kernelINS0_14default_configENS1_25partition_config_selectorILNS1_17partition_subalgoE1EyNS0_10empty_typeEbEEZZNS1_14partition_implILS5_1ELb0ES3_jN6thrust23THRUST_200600_302600_NS6detail15normal_iteratorINSA_10device_ptrIyEEEEPS6_NSA_18transform_iteratorI7is_evenIyESF_NSA_11use_defaultESK_EENS0_5tupleIJSF_SF_EEENSM_IJSG_SG_EEES6_PlJS6_EEE10hipError_tPvRmT3_T4_T5_T6_T7_T9_mT8_P12ihipStream_tbDpT10_ENKUlT_T0_E_clISt17integral_constantIbLb1EES19_EEDaS14_S15_EUlS14_E_NS1_11comp_targetILNS1_3genE10ELNS1_11target_archE1200ELNS1_3gpuE4ELNS1_3repE0EEENS1_30default_config_static_selectorELNS0_4arch9wavefront6targetE1EEEvT1_
    .private_segment_fixed_size: 0
    .sgpr_count:     4
    .sgpr_spill_count: 0
    .symbol:         _ZN7rocprim17ROCPRIM_400000_NS6detail17trampoline_kernelINS0_14default_configENS1_25partition_config_selectorILNS1_17partition_subalgoE1EyNS0_10empty_typeEbEEZZNS1_14partition_implILS5_1ELb0ES3_jN6thrust23THRUST_200600_302600_NS6detail15normal_iteratorINSA_10device_ptrIyEEEEPS6_NSA_18transform_iteratorI7is_evenIyESF_NSA_11use_defaultESK_EENS0_5tupleIJSF_SF_EEENSM_IJSG_SG_EEES6_PlJS6_EEE10hipError_tPvRmT3_T4_T5_T6_T7_T9_mT8_P12ihipStream_tbDpT10_ENKUlT_T0_E_clISt17integral_constantIbLb1EES19_EEDaS14_S15_EUlS14_E_NS1_11comp_targetILNS1_3genE10ELNS1_11target_archE1200ELNS1_3gpuE4ELNS1_3repE0EEENS1_30default_config_static_selectorELNS0_4arch9wavefront6targetE1EEEvT1_.kd
    .uniform_work_group_size: 1
    .uses_dynamic_stack: false
    .vgpr_count:     0
    .vgpr_spill_count: 0
    .wavefront_size: 64
  - .agpr_count:     0
    .args:
      - .offset:         0
        .size:           144
        .value_kind:     by_value
    .group_segment_fixed_size: 0
    .kernarg_segment_align: 8
    .kernarg_segment_size: 144
    .language:       OpenCL C
    .language_version:
      - 2
      - 0
    .max_flat_workgroup_size: 128
    .name:           _ZN7rocprim17ROCPRIM_400000_NS6detail17trampoline_kernelINS0_14default_configENS1_25partition_config_selectorILNS1_17partition_subalgoE1EyNS0_10empty_typeEbEEZZNS1_14partition_implILS5_1ELb0ES3_jN6thrust23THRUST_200600_302600_NS6detail15normal_iteratorINSA_10device_ptrIyEEEEPS6_NSA_18transform_iteratorI7is_evenIyESF_NSA_11use_defaultESK_EENS0_5tupleIJSF_SF_EEENSM_IJSG_SG_EEES6_PlJS6_EEE10hipError_tPvRmT3_T4_T5_T6_T7_T9_mT8_P12ihipStream_tbDpT10_ENKUlT_T0_E_clISt17integral_constantIbLb1EES19_EEDaS14_S15_EUlS14_E_NS1_11comp_targetILNS1_3genE9ELNS1_11target_archE1100ELNS1_3gpuE3ELNS1_3repE0EEENS1_30default_config_static_selectorELNS0_4arch9wavefront6targetE1EEEvT1_
    .private_segment_fixed_size: 0
    .sgpr_count:     4
    .sgpr_spill_count: 0
    .symbol:         _ZN7rocprim17ROCPRIM_400000_NS6detail17trampoline_kernelINS0_14default_configENS1_25partition_config_selectorILNS1_17partition_subalgoE1EyNS0_10empty_typeEbEEZZNS1_14partition_implILS5_1ELb0ES3_jN6thrust23THRUST_200600_302600_NS6detail15normal_iteratorINSA_10device_ptrIyEEEEPS6_NSA_18transform_iteratorI7is_evenIyESF_NSA_11use_defaultESK_EENS0_5tupleIJSF_SF_EEENSM_IJSG_SG_EEES6_PlJS6_EEE10hipError_tPvRmT3_T4_T5_T6_T7_T9_mT8_P12ihipStream_tbDpT10_ENKUlT_T0_E_clISt17integral_constantIbLb1EES19_EEDaS14_S15_EUlS14_E_NS1_11comp_targetILNS1_3genE9ELNS1_11target_archE1100ELNS1_3gpuE3ELNS1_3repE0EEENS1_30default_config_static_selectorELNS0_4arch9wavefront6targetE1EEEvT1_.kd
    .uniform_work_group_size: 1
    .uses_dynamic_stack: false
    .vgpr_count:     0
    .vgpr_spill_count: 0
    .wavefront_size: 64
  - .agpr_count:     0
    .args:
      - .offset:         0
        .size:           144
        .value_kind:     by_value
    .group_segment_fixed_size: 0
    .kernarg_segment_align: 8
    .kernarg_segment_size: 144
    .language:       OpenCL C
    .language_version:
      - 2
      - 0
    .max_flat_workgroup_size: 512
    .name:           _ZN7rocprim17ROCPRIM_400000_NS6detail17trampoline_kernelINS0_14default_configENS1_25partition_config_selectorILNS1_17partition_subalgoE1EyNS0_10empty_typeEbEEZZNS1_14partition_implILS5_1ELb0ES3_jN6thrust23THRUST_200600_302600_NS6detail15normal_iteratorINSA_10device_ptrIyEEEEPS6_NSA_18transform_iteratorI7is_evenIyESF_NSA_11use_defaultESK_EENS0_5tupleIJSF_SF_EEENSM_IJSG_SG_EEES6_PlJS6_EEE10hipError_tPvRmT3_T4_T5_T6_T7_T9_mT8_P12ihipStream_tbDpT10_ENKUlT_T0_E_clISt17integral_constantIbLb1EES19_EEDaS14_S15_EUlS14_E_NS1_11comp_targetILNS1_3genE8ELNS1_11target_archE1030ELNS1_3gpuE2ELNS1_3repE0EEENS1_30default_config_static_selectorELNS0_4arch9wavefront6targetE1EEEvT1_
    .private_segment_fixed_size: 0
    .sgpr_count:     4
    .sgpr_spill_count: 0
    .symbol:         _ZN7rocprim17ROCPRIM_400000_NS6detail17trampoline_kernelINS0_14default_configENS1_25partition_config_selectorILNS1_17partition_subalgoE1EyNS0_10empty_typeEbEEZZNS1_14partition_implILS5_1ELb0ES3_jN6thrust23THRUST_200600_302600_NS6detail15normal_iteratorINSA_10device_ptrIyEEEEPS6_NSA_18transform_iteratorI7is_evenIyESF_NSA_11use_defaultESK_EENS0_5tupleIJSF_SF_EEENSM_IJSG_SG_EEES6_PlJS6_EEE10hipError_tPvRmT3_T4_T5_T6_T7_T9_mT8_P12ihipStream_tbDpT10_ENKUlT_T0_E_clISt17integral_constantIbLb1EES19_EEDaS14_S15_EUlS14_E_NS1_11comp_targetILNS1_3genE8ELNS1_11target_archE1030ELNS1_3gpuE2ELNS1_3repE0EEENS1_30default_config_static_selectorELNS0_4arch9wavefront6targetE1EEEvT1_.kd
    .uniform_work_group_size: 1
    .uses_dynamic_stack: false
    .vgpr_count:     0
    .vgpr_spill_count: 0
    .wavefront_size: 64
  - .agpr_count:     0
    .args:
      - .offset:         0
        .size:           128
        .value_kind:     by_value
    .group_segment_fixed_size: 0
    .kernarg_segment_align: 8
    .kernarg_segment_size: 128
    .language:       OpenCL C
    .language_version:
      - 2
      - 0
    .max_flat_workgroup_size: 128
    .name:           _ZN7rocprim17ROCPRIM_400000_NS6detail17trampoline_kernelINS0_14default_configENS1_25partition_config_selectorILNS1_17partition_subalgoE1EyNS0_10empty_typeEbEEZZNS1_14partition_implILS5_1ELb0ES3_jN6thrust23THRUST_200600_302600_NS6detail15normal_iteratorINSA_10device_ptrIyEEEEPS6_NSA_18transform_iteratorI7is_evenIyESF_NSA_11use_defaultESK_EENS0_5tupleIJSF_SF_EEENSM_IJSG_SG_EEES6_PlJS6_EEE10hipError_tPvRmT3_T4_T5_T6_T7_T9_mT8_P12ihipStream_tbDpT10_ENKUlT_T0_E_clISt17integral_constantIbLb1EES18_IbLb0EEEEDaS14_S15_EUlS14_E_NS1_11comp_targetILNS1_3genE0ELNS1_11target_archE4294967295ELNS1_3gpuE0ELNS1_3repE0EEENS1_30default_config_static_selectorELNS0_4arch9wavefront6targetE1EEEvT1_
    .private_segment_fixed_size: 0
    .sgpr_count:     4
    .sgpr_spill_count: 0
    .symbol:         _ZN7rocprim17ROCPRIM_400000_NS6detail17trampoline_kernelINS0_14default_configENS1_25partition_config_selectorILNS1_17partition_subalgoE1EyNS0_10empty_typeEbEEZZNS1_14partition_implILS5_1ELb0ES3_jN6thrust23THRUST_200600_302600_NS6detail15normal_iteratorINSA_10device_ptrIyEEEEPS6_NSA_18transform_iteratorI7is_evenIyESF_NSA_11use_defaultESK_EENS0_5tupleIJSF_SF_EEENSM_IJSG_SG_EEES6_PlJS6_EEE10hipError_tPvRmT3_T4_T5_T6_T7_T9_mT8_P12ihipStream_tbDpT10_ENKUlT_T0_E_clISt17integral_constantIbLb1EES18_IbLb0EEEEDaS14_S15_EUlS14_E_NS1_11comp_targetILNS1_3genE0ELNS1_11target_archE4294967295ELNS1_3gpuE0ELNS1_3repE0EEENS1_30default_config_static_selectorELNS0_4arch9wavefront6targetE1EEEvT1_.kd
    .uniform_work_group_size: 1
    .uses_dynamic_stack: false
    .vgpr_count:     0
    .vgpr_spill_count: 0
    .wavefront_size: 64
  - .agpr_count:     0
    .args:
      - .offset:         0
        .size:           128
        .value_kind:     by_value
    .group_segment_fixed_size: 0
    .kernarg_segment_align: 8
    .kernarg_segment_size: 128
    .language:       OpenCL C
    .language_version:
      - 2
      - 0
    .max_flat_workgroup_size: 512
    .name:           _ZN7rocprim17ROCPRIM_400000_NS6detail17trampoline_kernelINS0_14default_configENS1_25partition_config_selectorILNS1_17partition_subalgoE1EyNS0_10empty_typeEbEEZZNS1_14partition_implILS5_1ELb0ES3_jN6thrust23THRUST_200600_302600_NS6detail15normal_iteratorINSA_10device_ptrIyEEEEPS6_NSA_18transform_iteratorI7is_evenIyESF_NSA_11use_defaultESK_EENS0_5tupleIJSF_SF_EEENSM_IJSG_SG_EEES6_PlJS6_EEE10hipError_tPvRmT3_T4_T5_T6_T7_T9_mT8_P12ihipStream_tbDpT10_ENKUlT_T0_E_clISt17integral_constantIbLb1EES18_IbLb0EEEEDaS14_S15_EUlS14_E_NS1_11comp_targetILNS1_3genE5ELNS1_11target_archE942ELNS1_3gpuE9ELNS1_3repE0EEENS1_30default_config_static_selectorELNS0_4arch9wavefront6targetE1EEEvT1_
    .private_segment_fixed_size: 0
    .sgpr_count:     4
    .sgpr_spill_count: 0
    .symbol:         _ZN7rocprim17ROCPRIM_400000_NS6detail17trampoline_kernelINS0_14default_configENS1_25partition_config_selectorILNS1_17partition_subalgoE1EyNS0_10empty_typeEbEEZZNS1_14partition_implILS5_1ELb0ES3_jN6thrust23THRUST_200600_302600_NS6detail15normal_iteratorINSA_10device_ptrIyEEEEPS6_NSA_18transform_iteratorI7is_evenIyESF_NSA_11use_defaultESK_EENS0_5tupleIJSF_SF_EEENSM_IJSG_SG_EEES6_PlJS6_EEE10hipError_tPvRmT3_T4_T5_T6_T7_T9_mT8_P12ihipStream_tbDpT10_ENKUlT_T0_E_clISt17integral_constantIbLb1EES18_IbLb0EEEEDaS14_S15_EUlS14_E_NS1_11comp_targetILNS1_3genE5ELNS1_11target_archE942ELNS1_3gpuE9ELNS1_3repE0EEENS1_30default_config_static_selectorELNS0_4arch9wavefront6targetE1EEEvT1_.kd
    .uniform_work_group_size: 1
    .uses_dynamic_stack: false
    .vgpr_count:     0
    .vgpr_spill_count: 0
    .wavefront_size: 64
  - .agpr_count:     0
    .args:
      - .offset:         0
        .size:           128
        .value_kind:     by_value
    .group_segment_fixed_size: 6344
    .kernarg_segment_align: 8
    .kernarg_segment_size: 128
    .language:       OpenCL C
    .language_version:
      - 2
      - 0
    .max_flat_workgroup_size: 192
    .name:           _ZN7rocprim17ROCPRIM_400000_NS6detail17trampoline_kernelINS0_14default_configENS1_25partition_config_selectorILNS1_17partition_subalgoE1EyNS0_10empty_typeEbEEZZNS1_14partition_implILS5_1ELb0ES3_jN6thrust23THRUST_200600_302600_NS6detail15normal_iteratorINSA_10device_ptrIyEEEEPS6_NSA_18transform_iteratorI7is_evenIyESF_NSA_11use_defaultESK_EENS0_5tupleIJSF_SF_EEENSM_IJSG_SG_EEES6_PlJS6_EEE10hipError_tPvRmT3_T4_T5_T6_T7_T9_mT8_P12ihipStream_tbDpT10_ENKUlT_T0_E_clISt17integral_constantIbLb1EES18_IbLb0EEEEDaS14_S15_EUlS14_E_NS1_11comp_targetILNS1_3genE4ELNS1_11target_archE910ELNS1_3gpuE8ELNS1_3repE0EEENS1_30default_config_static_selectorELNS0_4arch9wavefront6targetE1EEEvT1_
    .private_segment_fixed_size: 0
    .sgpr_count:     48
    .sgpr_spill_count: 0
    .symbol:         _ZN7rocprim17ROCPRIM_400000_NS6detail17trampoline_kernelINS0_14default_configENS1_25partition_config_selectorILNS1_17partition_subalgoE1EyNS0_10empty_typeEbEEZZNS1_14partition_implILS5_1ELb0ES3_jN6thrust23THRUST_200600_302600_NS6detail15normal_iteratorINSA_10device_ptrIyEEEEPS6_NSA_18transform_iteratorI7is_evenIyESF_NSA_11use_defaultESK_EENS0_5tupleIJSF_SF_EEENSM_IJSG_SG_EEES6_PlJS6_EEE10hipError_tPvRmT3_T4_T5_T6_T7_T9_mT8_P12ihipStream_tbDpT10_ENKUlT_T0_E_clISt17integral_constantIbLb1EES18_IbLb0EEEEDaS14_S15_EUlS14_E_NS1_11comp_targetILNS1_3genE4ELNS1_11target_archE910ELNS1_3gpuE8ELNS1_3repE0EEENS1_30default_config_static_selectorELNS0_4arch9wavefront6targetE1EEEvT1_.kd
    .uniform_work_group_size: 1
    .uses_dynamic_stack: false
    .vgpr_count:     43
    .vgpr_spill_count: 0
    .wavefront_size: 64
  - .agpr_count:     0
    .args:
      - .offset:         0
        .size:           128
        .value_kind:     by_value
    .group_segment_fixed_size: 0
    .kernarg_segment_align: 8
    .kernarg_segment_size: 128
    .language:       OpenCL C
    .language_version:
      - 2
      - 0
    .max_flat_workgroup_size: 128
    .name:           _ZN7rocprim17ROCPRIM_400000_NS6detail17trampoline_kernelINS0_14default_configENS1_25partition_config_selectorILNS1_17partition_subalgoE1EyNS0_10empty_typeEbEEZZNS1_14partition_implILS5_1ELb0ES3_jN6thrust23THRUST_200600_302600_NS6detail15normal_iteratorINSA_10device_ptrIyEEEEPS6_NSA_18transform_iteratorI7is_evenIyESF_NSA_11use_defaultESK_EENS0_5tupleIJSF_SF_EEENSM_IJSG_SG_EEES6_PlJS6_EEE10hipError_tPvRmT3_T4_T5_T6_T7_T9_mT8_P12ihipStream_tbDpT10_ENKUlT_T0_E_clISt17integral_constantIbLb1EES18_IbLb0EEEEDaS14_S15_EUlS14_E_NS1_11comp_targetILNS1_3genE3ELNS1_11target_archE908ELNS1_3gpuE7ELNS1_3repE0EEENS1_30default_config_static_selectorELNS0_4arch9wavefront6targetE1EEEvT1_
    .private_segment_fixed_size: 0
    .sgpr_count:     4
    .sgpr_spill_count: 0
    .symbol:         _ZN7rocprim17ROCPRIM_400000_NS6detail17trampoline_kernelINS0_14default_configENS1_25partition_config_selectorILNS1_17partition_subalgoE1EyNS0_10empty_typeEbEEZZNS1_14partition_implILS5_1ELb0ES3_jN6thrust23THRUST_200600_302600_NS6detail15normal_iteratorINSA_10device_ptrIyEEEEPS6_NSA_18transform_iteratorI7is_evenIyESF_NSA_11use_defaultESK_EENS0_5tupleIJSF_SF_EEENSM_IJSG_SG_EEES6_PlJS6_EEE10hipError_tPvRmT3_T4_T5_T6_T7_T9_mT8_P12ihipStream_tbDpT10_ENKUlT_T0_E_clISt17integral_constantIbLb1EES18_IbLb0EEEEDaS14_S15_EUlS14_E_NS1_11comp_targetILNS1_3genE3ELNS1_11target_archE908ELNS1_3gpuE7ELNS1_3repE0EEENS1_30default_config_static_selectorELNS0_4arch9wavefront6targetE1EEEvT1_.kd
    .uniform_work_group_size: 1
    .uses_dynamic_stack: false
    .vgpr_count:     0
    .vgpr_spill_count: 0
    .wavefront_size: 64
  - .agpr_count:     0
    .args:
      - .offset:         0
        .size:           128
        .value_kind:     by_value
    .group_segment_fixed_size: 0
    .kernarg_segment_align: 8
    .kernarg_segment_size: 128
    .language:       OpenCL C
    .language_version:
      - 2
      - 0
    .max_flat_workgroup_size: 256
    .name:           _ZN7rocprim17ROCPRIM_400000_NS6detail17trampoline_kernelINS0_14default_configENS1_25partition_config_selectorILNS1_17partition_subalgoE1EyNS0_10empty_typeEbEEZZNS1_14partition_implILS5_1ELb0ES3_jN6thrust23THRUST_200600_302600_NS6detail15normal_iteratorINSA_10device_ptrIyEEEEPS6_NSA_18transform_iteratorI7is_evenIyESF_NSA_11use_defaultESK_EENS0_5tupleIJSF_SF_EEENSM_IJSG_SG_EEES6_PlJS6_EEE10hipError_tPvRmT3_T4_T5_T6_T7_T9_mT8_P12ihipStream_tbDpT10_ENKUlT_T0_E_clISt17integral_constantIbLb1EES18_IbLb0EEEEDaS14_S15_EUlS14_E_NS1_11comp_targetILNS1_3genE2ELNS1_11target_archE906ELNS1_3gpuE6ELNS1_3repE0EEENS1_30default_config_static_selectorELNS0_4arch9wavefront6targetE1EEEvT1_
    .private_segment_fixed_size: 0
    .sgpr_count:     4
    .sgpr_spill_count: 0
    .symbol:         _ZN7rocprim17ROCPRIM_400000_NS6detail17trampoline_kernelINS0_14default_configENS1_25partition_config_selectorILNS1_17partition_subalgoE1EyNS0_10empty_typeEbEEZZNS1_14partition_implILS5_1ELb0ES3_jN6thrust23THRUST_200600_302600_NS6detail15normal_iteratorINSA_10device_ptrIyEEEEPS6_NSA_18transform_iteratorI7is_evenIyESF_NSA_11use_defaultESK_EENS0_5tupleIJSF_SF_EEENSM_IJSG_SG_EEES6_PlJS6_EEE10hipError_tPvRmT3_T4_T5_T6_T7_T9_mT8_P12ihipStream_tbDpT10_ENKUlT_T0_E_clISt17integral_constantIbLb1EES18_IbLb0EEEEDaS14_S15_EUlS14_E_NS1_11comp_targetILNS1_3genE2ELNS1_11target_archE906ELNS1_3gpuE6ELNS1_3repE0EEENS1_30default_config_static_selectorELNS0_4arch9wavefront6targetE1EEEvT1_.kd
    .uniform_work_group_size: 1
    .uses_dynamic_stack: false
    .vgpr_count:     0
    .vgpr_spill_count: 0
    .wavefront_size: 64
  - .agpr_count:     0
    .args:
      - .offset:         0
        .size:           128
        .value_kind:     by_value
    .group_segment_fixed_size: 0
    .kernarg_segment_align: 8
    .kernarg_segment_size: 128
    .language:       OpenCL C
    .language_version:
      - 2
      - 0
    .max_flat_workgroup_size: 256
    .name:           _ZN7rocprim17ROCPRIM_400000_NS6detail17trampoline_kernelINS0_14default_configENS1_25partition_config_selectorILNS1_17partition_subalgoE1EyNS0_10empty_typeEbEEZZNS1_14partition_implILS5_1ELb0ES3_jN6thrust23THRUST_200600_302600_NS6detail15normal_iteratorINSA_10device_ptrIyEEEEPS6_NSA_18transform_iteratorI7is_evenIyESF_NSA_11use_defaultESK_EENS0_5tupleIJSF_SF_EEENSM_IJSG_SG_EEES6_PlJS6_EEE10hipError_tPvRmT3_T4_T5_T6_T7_T9_mT8_P12ihipStream_tbDpT10_ENKUlT_T0_E_clISt17integral_constantIbLb1EES18_IbLb0EEEEDaS14_S15_EUlS14_E_NS1_11comp_targetILNS1_3genE10ELNS1_11target_archE1200ELNS1_3gpuE4ELNS1_3repE0EEENS1_30default_config_static_selectorELNS0_4arch9wavefront6targetE1EEEvT1_
    .private_segment_fixed_size: 0
    .sgpr_count:     4
    .sgpr_spill_count: 0
    .symbol:         _ZN7rocprim17ROCPRIM_400000_NS6detail17trampoline_kernelINS0_14default_configENS1_25partition_config_selectorILNS1_17partition_subalgoE1EyNS0_10empty_typeEbEEZZNS1_14partition_implILS5_1ELb0ES3_jN6thrust23THRUST_200600_302600_NS6detail15normal_iteratorINSA_10device_ptrIyEEEEPS6_NSA_18transform_iteratorI7is_evenIyESF_NSA_11use_defaultESK_EENS0_5tupleIJSF_SF_EEENSM_IJSG_SG_EEES6_PlJS6_EEE10hipError_tPvRmT3_T4_T5_T6_T7_T9_mT8_P12ihipStream_tbDpT10_ENKUlT_T0_E_clISt17integral_constantIbLb1EES18_IbLb0EEEEDaS14_S15_EUlS14_E_NS1_11comp_targetILNS1_3genE10ELNS1_11target_archE1200ELNS1_3gpuE4ELNS1_3repE0EEENS1_30default_config_static_selectorELNS0_4arch9wavefront6targetE1EEEvT1_.kd
    .uniform_work_group_size: 1
    .uses_dynamic_stack: false
    .vgpr_count:     0
    .vgpr_spill_count: 0
    .wavefront_size: 64
  - .agpr_count:     0
    .args:
      - .offset:         0
        .size:           128
        .value_kind:     by_value
    .group_segment_fixed_size: 0
    .kernarg_segment_align: 8
    .kernarg_segment_size: 128
    .language:       OpenCL C
    .language_version:
      - 2
      - 0
    .max_flat_workgroup_size: 128
    .name:           _ZN7rocprim17ROCPRIM_400000_NS6detail17trampoline_kernelINS0_14default_configENS1_25partition_config_selectorILNS1_17partition_subalgoE1EyNS0_10empty_typeEbEEZZNS1_14partition_implILS5_1ELb0ES3_jN6thrust23THRUST_200600_302600_NS6detail15normal_iteratorINSA_10device_ptrIyEEEEPS6_NSA_18transform_iteratorI7is_evenIyESF_NSA_11use_defaultESK_EENS0_5tupleIJSF_SF_EEENSM_IJSG_SG_EEES6_PlJS6_EEE10hipError_tPvRmT3_T4_T5_T6_T7_T9_mT8_P12ihipStream_tbDpT10_ENKUlT_T0_E_clISt17integral_constantIbLb1EES18_IbLb0EEEEDaS14_S15_EUlS14_E_NS1_11comp_targetILNS1_3genE9ELNS1_11target_archE1100ELNS1_3gpuE3ELNS1_3repE0EEENS1_30default_config_static_selectorELNS0_4arch9wavefront6targetE1EEEvT1_
    .private_segment_fixed_size: 0
    .sgpr_count:     4
    .sgpr_spill_count: 0
    .symbol:         _ZN7rocprim17ROCPRIM_400000_NS6detail17trampoline_kernelINS0_14default_configENS1_25partition_config_selectorILNS1_17partition_subalgoE1EyNS0_10empty_typeEbEEZZNS1_14partition_implILS5_1ELb0ES3_jN6thrust23THRUST_200600_302600_NS6detail15normal_iteratorINSA_10device_ptrIyEEEEPS6_NSA_18transform_iteratorI7is_evenIyESF_NSA_11use_defaultESK_EENS0_5tupleIJSF_SF_EEENSM_IJSG_SG_EEES6_PlJS6_EEE10hipError_tPvRmT3_T4_T5_T6_T7_T9_mT8_P12ihipStream_tbDpT10_ENKUlT_T0_E_clISt17integral_constantIbLb1EES18_IbLb0EEEEDaS14_S15_EUlS14_E_NS1_11comp_targetILNS1_3genE9ELNS1_11target_archE1100ELNS1_3gpuE3ELNS1_3repE0EEENS1_30default_config_static_selectorELNS0_4arch9wavefront6targetE1EEEvT1_.kd
    .uniform_work_group_size: 1
    .uses_dynamic_stack: false
    .vgpr_count:     0
    .vgpr_spill_count: 0
    .wavefront_size: 64
  - .agpr_count:     0
    .args:
      - .offset:         0
        .size:           128
        .value_kind:     by_value
    .group_segment_fixed_size: 0
    .kernarg_segment_align: 8
    .kernarg_segment_size: 128
    .language:       OpenCL C
    .language_version:
      - 2
      - 0
    .max_flat_workgroup_size: 512
    .name:           _ZN7rocprim17ROCPRIM_400000_NS6detail17trampoline_kernelINS0_14default_configENS1_25partition_config_selectorILNS1_17partition_subalgoE1EyNS0_10empty_typeEbEEZZNS1_14partition_implILS5_1ELb0ES3_jN6thrust23THRUST_200600_302600_NS6detail15normal_iteratorINSA_10device_ptrIyEEEEPS6_NSA_18transform_iteratorI7is_evenIyESF_NSA_11use_defaultESK_EENS0_5tupleIJSF_SF_EEENSM_IJSG_SG_EEES6_PlJS6_EEE10hipError_tPvRmT3_T4_T5_T6_T7_T9_mT8_P12ihipStream_tbDpT10_ENKUlT_T0_E_clISt17integral_constantIbLb1EES18_IbLb0EEEEDaS14_S15_EUlS14_E_NS1_11comp_targetILNS1_3genE8ELNS1_11target_archE1030ELNS1_3gpuE2ELNS1_3repE0EEENS1_30default_config_static_selectorELNS0_4arch9wavefront6targetE1EEEvT1_
    .private_segment_fixed_size: 0
    .sgpr_count:     4
    .sgpr_spill_count: 0
    .symbol:         _ZN7rocprim17ROCPRIM_400000_NS6detail17trampoline_kernelINS0_14default_configENS1_25partition_config_selectorILNS1_17partition_subalgoE1EyNS0_10empty_typeEbEEZZNS1_14partition_implILS5_1ELb0ES3_jN6thrust23THRUST_200600_302600_NS6detail15normal_iteratorINSA_10device_ptrIyEEEEPS6_NSA_18transform_iteratorI7is_evenIyESF_NSA_11use_defaultESK_EENS0_5tupleIJSF_SF_EEENSM_IJSG_SG_EEES6_PlJS6_EEE10hipError_tPvRmT3_T4_T5_T6_T7_T9_mT8_P12ihipStream_tbDpT10_ENKUlT_T0_E_clISt17integral_constantIbLb1EES18_IbLb0EEEEDaS14_S15_EUlS14_E_NS1_11comp_targetILNS1_3genE8ELNS1_11target_archE1030ELNS1_3gpuE2ELNS1_3repE0EEENS1_30default_config_static_selectorELNS0_4arch9wavefront6targetE1EEEvT1_.kd
    .uniform_work_group_size: 1
    .uses_dynamic_stack: false
    .vgpr_count:     0
    .vgpr_spill_count: 0
    .wavefront_size: 64
  - .agpr_count:     0
    .args:
      - .offset:         0
        .size:           144
        .value_kind:     by_value
    .group_segment_fixed_size: 0
    .kernarg_segment_align: 8
    .kernarg_segment_size: 144
    .language:       OpenCL C
    .language_version:
      - 2
      - 0
    .max_flat_workgroup_size: 128
    .name:           _ZN7rocprim17ROCPRIM_400000_NS6detail17trampoline_kernelINS0_14default_configENS1_25partition_config_selectorILNS1_17partition_subalgoE1EyNS0_10empty_typeEbEEZZNS1_14partition_implILS5_1ELb0ES3_jN6thrust23THRUST_200600_302600_NS6detail15normal_iteratorINSA_10device_ptrIyEEEEPS6_NSA_18transform_iteratorI7is_evenIyESF_NSA_11use_defaultESK_EENS0_5tupleIJSF_SF_EEENSM_IJSG_SG_EEES6_PlJS6_EEE10hipError_tPvRmT3_T4_T5_T6_T7_T9_mT8_P12ihipStream_tbDpT10_ENKUlT_T0_E_clISt17integral_constantIbLb0EES18_IbLb1EEEEDaS14_S15_EUlS14_E_NS1_11comp_targetILNS1_3genE0ELNS1_11target_archE4294967295ELNS1_3gpuE0ELNS1_3repE0EEENS1_30default_config_static_selectorELNS0_4arch9wavefront6targetE1EEEvT1_
    .private_segment_fixed_size: 0
    .sgpr_count:     4
    .sgpr_spill_count: 0
    .symbol:         _ZN7rocprim17ROCPRIM_400000_NS6detail17trampoline_kernelINS0_14default_configENS1_25partition_config_selectorILNS1_17partition_subalgoE1EyNS0_10empty_typeEbEEZZNS1_14partition_implILS5_1ELb0ES3_jN6thrust23THRUST_200600_302600_NS6detail15normal_iteratorINSA_10device_ptrIyEEEEPS6_NSA_18transform_iteratorI7is_evenIyESF_NSA_11use_defaultESK_EENS0_5tupleIJSF_SF_EEENSM_IJSG_SG_EEES6_PlJS6_EEE10hipError_tPvRmT3_T4_T5_T6_T7_T9_mT8_P12ihipStream_tbDpT10_ENKUlT_T0_E_clISt17integral_constantIbLb0EES18_IbLb1EEEEDaS14_S15_EUlS14_E_NS1_11comp_targetILNS1_3genE0ELNS1_11target_archE4294967295ELNS1_3gpuE0ELNS1_3repE0EEENS1_30default_config_static_selectorELNS0_4arch9wavefront6targetE1EEEvT1_.kd
    .uniform_work_group_size: 1
    .uses_dynamic_stack: false
    .vgpr_count:     0
    .vgpr_spill_count: 0
    .wavefront_size: 64
  - .agpr_count:     0
    .args:
      - .offset:         0
        .size:           144
        .value_kind:     by_value
    .group_segment_fixed_size: 0
    .kernarg_segment_align: 8
    .kernarg_segment_size: 144
    .language:       OpenCL C
    .language_version:
      - 2
      - 0
    .max_flat_workgroup_size: 512
    .name:           _ZN7rocprim17ROCPRIM_400000_NS6detail17trampoline_kernelINS0_14default_configENS1_25partition_config_selectorILNS1_17partition_subalgoE1EyNS0_10empty_typeEbEEZZNS1_14partition_implILS5_1ELb0ES3_jN6thrust23THRUST_200600_302600_NS6detail15normal_iteratorINSA_10device_ptrIyEEEEPS6_NSA_18transform_iteratorI7is_evenIyESF_NSA_11use_defaultESK_EENS0_5tupleIJSF_SF_EEENSM_IJSG_SG_EEES6_PlJS6_EEE10hipError_tPvRmT3_T4_T5_T6_T7_T9_mT8_P12ihipStream_tbDpT10_ENKUlT_T0_E_clISt17integral_constantIbLb0EES18_IbLb1EEEEDaS14_S15_EUlS14_E_NS1_11comp_targetILNS1_3genE5ELNS1_11target_archE942ELNS1_3gpuE9ELNS1_3repE0EEENS1_30default_config_static_selectorELNS0_4arch9wavefront6targetE1EEEvT1_
    .private_segment_fixed_size: 0
    .sgpr_count:     4
    .sgpr_spill_count: 0
    .symbol:         _ZN7rocprim17ROCPRIM_400000_NS6detail17trampoline_kernelINS0_14default_configENS1_25partition_config_selectorILNS1_17partition_subalgoE1EyNS0_10empty_typeEbEEZZNS1_14partition_implILS5_1ELb0ES3_jN6thrust23THRUST_200600_302600_NS6detail15normal_iteratorINSA_10device_ptrIyEEEEPS6_NSA_18transform_iteratorI7is_evenIyESF_NSA_11use_defaultESK_EENS0_5tupleIJSF_SF_EEENSM_IJSG_SG_EEES6_PlJS6_EEE10hipError_tPvRmT3_T4_T5_T6_T7_T9_mT8_P12ihipStream_tbDpT10_ENKUlT_T0_E_clISt17integral_constantIbLb0EES18_IbLb1EEEEDaS14_S15_EUlS14_E_NS1_11comp_targetILNS1_3genE5ELNS1_11target_archE942ELNS1_3gpuE9ELNS1_3repE0EEENS1_30default_config_static_selectorELNS0_4arch9wavefront6targetE1EEEvT1_.kd
    .uniform_work_group_size: 1
    .uses_dynamic_stack: false
    .vgpr_count:     0
    .vgpr_spill_count: 0
    .wavefront_size: 64
  - .agpr_count:     0
    .args:
      - .offset:         0
        .size:           144
        .value_kind:     by_value
    .group_segment_fixed_size: 6344
    .kernarg_segment_align: 8
    .kernarg_segment_size: 144
    .language:       OpenCL C
    .language_version:
      - 2
      - 0
    .max_flat_workgroup_size: 192
    .name:           _ZN7rocprim17ROCPRIM_400000_NS6detail17trampoline_kernelINS0_14default_configENS1_25partition_config_selectorILNS1_17partition_subalgoE1EyNS0_10empty_typeEbEEZZNS1_14partition_implILS5_1ELb0ES3_jN6thrust23THRUST_200600_302600_NS6detail15normal_iteratorINSA_10device_ptrIyEEEEPS6_NSA_18transform_iteratorI7is_evenIyESF_NSA_11use_defaultESK_EENS0_5tupleIJSF_SF_EEENSM_IJSG_SG_EEES6_PlJS6_EEE10hipError_tPvRmT3_T4_T5_T6_T7_T9_mT8_P12ihipStream_tbDpT10_ENKUlT_T0_E_clISt17integral_constantIbLb0EES18_IbLb1EEEEDaS14_S15_EUlS14_E_NS1_11comp_targetILNS1_3genE4ELNS1_11target_archE910ELNS1_3gpuE8ELNS1_3repE0EEENS1_30default_config_static_selectorELNS0_4arch9wavefront6targetE1EEEvT1_
    .private_segment_fixed_size: 0
    .sgpr_count:     48
    .sgpr_spill_count: 0
    .symbol:         _ZN7rocprim17ROCPRIM_400000_NS6detail17trampoline_kernelINS0_14default_configENS1_25partition_config_selectorILNS1_17partition_subalgoE1EyNS0_10empty_typeEbEEZZNS1_14partition_implILS5_1ELb0ES3_jN6thrust23THRUST_200600_302600_NS6detail15normal_iteratorINSA_10device_ptrIyEEEEPS6_NSA_18transform_iteratorI7is_evenIyESF_NSA_11use_defaultESK_EENS0_5tupleIJSF_SF_EEENSM_IJSG_SG_EEES6_PlJS6_EEE10hipError_tPvRmT3_T4_T5_T6_T7_T9_mT8_P12ihipStream_tbDpT10_ENKUlT_T0_E_clISt17integral_constantIbLb0EES18_IbLb1EEEEDaS14_S15_EUlS14_E_NS1_11comp_targetILNS1_3genE4ELNS1_11target_archE910ELNS1_3gpuE8ELNS1_3repE0EEENS1_30default_config_static_selectorELNS0_4arch9wavefront6targetE1EEEvT1_.kd
    .uniform_work_group_size: 1
    .uses_dynamic_stack: false
    .vgpr_count:     47
    .vgpr_spill_count: 0
    .wavefront_size: 64
  - .agpr_count:     0
    .args:
      - .offset:         0
        .size:           144
        .value_kind:     by_value
    .group_segment_fixed_size: 0
    .kernarg_segment_align: 8
    .kernarg_segment_size: 144
    .language:       OpenCL C
    .language_version:
      - 2
      - 0
    .max_flat_workgroup_size: 128
    .name:           _ZN7rocprim17ROCPRIM_400000_NS6detail17trampoline_kernelINS0_14default_configENS1_25partition_config_selectorILNS1_17partition_subalgoE1EyNS0_10empty_typeEbEEZZNS1_14partition_implILS5_1ELb0ES3_jN6thrust23THRUST_200600_302600_NS6detail15normal_iteratorINSA_10device_ptrIyEEEEPS6_NSA_18transform_iteratorI7is_evenIyESF_NSA_11use_defaultESK_EENS0_5tupleIJSF_SF_EEENSM_IJSG_SG_EEES6_PlJS6_EEE10hipError_tPvRmT3_T4_T5_T6_T7_T9_mT8_P12ihipStream_tbDpT10_ENKUlT_T0_E_clISt17integral_constantIbLb0EES18_IbLb1EEEEDaS14_S15_EUlS14_E_NS1_11comp_targetILNS1_3genE3ELNS1_11target_archE908ELNS1_3gpuE7ELNS1_3repE0EEENS1_30default_config_static_selectorELNS0_4arch9wavefront6targetE1EEEvT1_
    .private_segment_fixed_size: 0
    .sgpr_count:     4
    .sgpr_spill_count: 0
    .symbol:         _ZN7rocprim17ROCPRIM_400000_NS6detail17trampoline_kernelINS0_14default_configENS1_25partition_config_selectorILNS1_17partition_subalgoE1EyNS0_10empty_typeEbEEZZNS1_14partition_implILS5_1ELb0ES3_jN6thrust23THRUST_200600_302600_NS6detail15normal_iteratorINSA_10device_ptrIyEEEEPS6_NSA_18transform_iteratorI7is_evenIyESF_NSA_11use_defaultESK_EENS0_5tupleIJSF_SF_EEENSM_IJSG_SG_EEES6_PlJS6_EEE10hipError_tPvRmT3_T4_T5_T6_T7_T9_mT8_P12ihipStream_tbDpT10_ENKUlT_T0_E_clISt17integral_constantIbLb0EES18_IbLb1EEEEDaS14_S15_EUlS14_E_NS1_11comp_targetILNS1_3genE3ELNS1_11target_archE908ELNS1_3gpuE7ELNS1_3repE0EEENS1_30default_config_static_selectorELNS0_4arch9wavefront6targetE1EEEvT1_.kd
    .uniform_work_group_size: 1
    .uses_dynamic_stack: false
    .vgpr_count:     0
    .vgpr_spill_count: 0
    .wavefront_size: 64
  - .agpr_count:     0
    .args:
      - .offset:         0
        .size:           144
        .value_kind:     by_value
    .group_segment_fixed_size: 0
    .kernarg_segment_align: 8
    .kernarg_segment_size: 144
    .language:       OpenCL C
    .language_version:
      - 2
      - 0
    .max_flat_workgroup_size: 256
    .name:           _ZN7rocprim17ROCPRIM_400000_NS6detail17trampoline_kernelINS0_14default_configENS1_25partition_config_selectorILNS1_17partition_subalgoE1EyNS0_10empty_typeEbEEZZNS1_14partition_implILS5_1ELb0ES3_jN6thrust23THRUST_200600_302600_NS6detail15normal_iteratorINSA_10device_ptrIyEEEEPS6_NSA_18transform_iteratorI7is_evenIyESF_NSA_11use_defaultESK_EENS0_5tupleIJSF_SF_EEENSM_IJSG_SG_EEES6_PlJS6_EEE10hipError_tPvRmT3_T4_T5_T6_T7_T9_mT8_P12ihipStream_tbDpT10_ENKUlT_T0_E_clISt17integral_constantIbLb0EES18_IbLb1EEEEDaS14_S15_EUlS14_E_NS1_11comp_targetILNS1_3genE2ELNS1_11target_archE906ELNS1_3gpuE6ELNS1_3repE0EEENS1_30default_config_static_selectorELNS0_4arch9wavefront6targetE1EEEvT1_
    .private_segment_fixed_size: 0
    .sgpr_count:     4
    .sgpr_spill_count: 0
    .symbol:         _ZN7rocprim17ROCPRIM_400000_NS6detail17trampoline_kernelINS0_14default_configENS1_25partition_config_selectorILNS1_17partition_subalgoE1EyNS0_10empty_typeEbEEZZNS1_14partition_implILS5_1ELb0ES3_jN6thrust23THRUST_200600_302600_NS6detail15normal_iteratorINSA_10device_ptrIyEEEEPS6_NSA_18transform_iteratorI7is_evenIyESF_NSA_11use_defaultESK_EENS0_5tupleIJSF_SF_EEENSM_IJSG_SG_EEES6_PlJS6_EEE10hipError_tPvRmT3_T4_T5_T6_T7_T9_mT8_P12ihipStream_tbDpT10_ENKUlT_T0_E_clISt17integral_constantIbLb0EES18_IbLb1EEEEDaS14_S15_EUlS14_E_NS1_11comp_targetILNS1_3genE2ELNS1_11target_archE906ELNS1_3gpuE6ELNS1_3repE0EEENS1_30default_config_static_selectorELNS0_4arch9wavefront6targetE1EEEvT1_.kd
    .uniform_work_group_size: 1
    .uses_dynamic_stack: false
    .vgpr_count:     0
    .vgpr_spill_count: 0
    .wavefront_size: 64
  - .agpr_count:     0
    .args:
      - .offset:         0
        .size:           144
        .value_kind:     by_value
    .group_segment_fixed_size: 0
    .kernarg_segment_align: 8
    .kernarg_segment_size: 144
    .language:       OpenCL C
    .language_version:
      - 2
      - 0
    .max_flat_workgroup_size: 256
    .name:           _ZN7rocprim17ROCPRIM_400000_NS6detail17trampoline_kernelINS0_14default_configENS1_25partition_config_selectorILNS1_17partition_subalgoE1EyNS0_10empty_typeEbEEZZNS1_14partition_implILS5_1ELb0ES3_jN6thrust23THRUST_200600_302600_NS6detail15normal_iteratorINSA_10device_ptrIyEEEEPS6_NSA_18transform_iteratorI7is_evenIyESF_NSA_11use_defaultESK_EENS0_5tupleIJSF_SF_EEENSM_IJSG_SG_EEES6_PlJS6_EEE10hipError_tPvRmT3_T4_T5_T6_T7_T9_mT8_P12ihipStream_tbDpT10_ENKUlT_T0_E_clISt17integral_constantIbLb0EES18_IbLb1EEEEDaS14_S15_EUlS14_E_NS1_11comp_targetILNS1_3genE10ELNS1_11target_archE1200ELNS1_3gpuE4ELNS1_3repE0EEENS1_30default_config_static_selectorELNS0_4arch9wavefront6targetE1EEEvT1_
    .private_segment_fixed_size: 0
    .sgpr_count:     4
    .sgpr_spill_count: 0
    .symbol:         _ZN7rocprim17ROCPRIM_400000_NS6detail17trampoline_kernelINS0_14default_configENS1_25partition_config_selectorILNS1_17partition_subalgoE1EyNS0_10empty_typeEbEEZZNS1_14partition_implILS5_1ELb0ES3_jN6thrust23THRUST_200600_302600_NS6detail15normal_iteratorINSA_10device_ptrIyEEEEPS6_NSA_18transform_iteratorI7is_evenIyESF_NSA_11use_defaultESK_EENS0_5tupleIJSF_SF_EEENSM_IJSG_SG_EEES6_PlJS6_EEE10hipError_tPvRmT3_T4_T5_T6_T7_T9_mT8_P12ihipStream_tbDpT10_ENKUlT_T0_E_clISt17integral_constantIbLb0EES18_IbLb1EEEEDaS14_S15_EUlS14_E_NS1_11comp_targetILNS1_3genE10ELNS1_11target_archE1200ELNS1_3gpuE4ELNS1_3repE0EEENS1_30default_config_static_selectorELNS0_4arch9wavefront6targetE1EEEvT1_.kd
    .uniform_work_group_size: 1
    .uses_dynamic_stack: false
    .vgpr_count:     0
    .vgpr_spill_count: 0
    .wavefront_size: 64
  - .agpr_count:     0
    .args:
      - .offset:         0
        .size:           144
        .value_kind:     by_value
    .group_segment_fixed_size: 0
    .kernarg_segment_align: 8
    .kernarg_segment_size: 144
    .language:       OpenCL C
    .language_version:
      - 2
      - 0
    .max_flat_workgroup_size: 128
    .name:           _ZN7rocprim17ROCPRIM_400000_NS6detail17trampoline_kernelINS0_14default_configENS1_25partition_config_selectorILNS1_17partition_subalgoE1EyNS0_10empty_typeEbEEZZNS1_14partition_implILS5_1ELb0ES3_jN6thrust23THRUST_200600_302600_NS6detail15normal_iteratorINSA_10device_ptrIyEEEEPS6_NSA_18transform_iteratorI7is_evenIyESF_NSA_11use_defaultESK_EENS0_5tupleIJSF_SF_EEENSM_IJSG_SG_EEES6_PlJS6_EEE10hipError_tPvRmT3_T4_T5_T6_T7_T9_mT8_P12ihipStream_tbDpT10_ENKUlT_T0_E_clISt17integral_constantIbLb0EES18_IbLb1EEEEDaS14_S15_EUlS14_E_NS1_11comp_targetILNS1_3genE9ELNS1_11target_archE1100ELNS1_3gpuE3ELNS1_3repE0EEENS1_30default_config_static_selectorELNS0_4arch9wavefront6targetE1EEEvT1_
    .private_segment_fixed_size: 0
    .sgpr_count:     4
    .sgpr_spill_count: 0
    .symbol:         _ZN7rocprim17ROCPRIM_400000_NS6detail17trampoline_kernelINS0_14default_configENS1_25partition_config_selectorILNS1_17partition_subalgoE1EyNS0_10empty_typeEbEEZZNS1_14partition_implILS5_1ELb0ES3_jN6thrust23THRUST_200600_302600_NS6detail15normal_iteratorINSA_10device_ptrIyEEEEPS6_NSA_18transform_iteratorI7is_evenIyESF_NSA_11use_defaultESK_EENS0_5tupleIJSF_SF_EEENSM_IJSG_SG_EEES6_PlJS6_EEE10hipError_tPvRmT3_T4_T5_T6_T7_T9_mT8_P12ihipStream_tbDpT10_ENKUlT_T0_E_clISt17integral_constantIbLb0EES18_IbLb1EEEEDaS14_S15_EUlS14_E_NS1_11comp_targetILNS1_3genE9ELNS1_11target_archE1100ELNS1_3gpuE3ELNS1_3repE0EEENS1_30default_config_static_selectorELNS0_4arch9wavefront6targetE1EEEvT1_.kd
    .uniform_work_group_size: 1
    .uses_dynamic_stack: false
    .vgpr_count:     0
    .vgpr_spill_count: 0
    .wavefront_size: 64
  - .agpr_count:     0
    .args:
      - .offset:         0
        .size:           144
        .value_kind:     by_value
    .group_segment_fixed_size: 0
    .kernarg_segment_align: 8
    .kernarg_segment_size: 144
    .language:       OpenCL C
    .language_version:
      - 2
      - 0
    .max_flat_workgroup_size: 512
    .name:           _ZN7rocprim17ROCPRIM_400000_NS6detail17trampoline_kernelINS0_14default_configENS1_25partition_config_selectorILNS1_17partition_subalgoE1EyNS0_10empty_typeEbEEZZNS1_14partition_implILS5_1ELb0ES3_jN6thrust23THRUST_200600_302600_NS6detail15normal_iteratorINSA_10device_ptrIyEEEEPS6_NSA_18transform_iteratorI7is_evenIyESF_NSA_11use_defaultESK_EENS0_5tupleIJSF_SF_EEENSM_IJSG_SG_EEES6_PlJS6_EEE10hipError_tPvRmT3_T4_T5_T6_T7_T9_mT8_P12ihipStream_tbDpT10_ENKUlT_T0_E_clISt17integral_constantIbLb0EES18_IbLb1EEEEDaS14_S15_EUlS14_E_NS1_11comp_targetILNS1_3genE8ELNS1_11target_archE1030ELNS1_3gpuE2ELNS1_3repE0EEENS1_30default_config_static_selectorELNS0_4arch9wavefront6targetE1EEEvT1_
    .private_segment_fixed_size: 0
    .sgpr_count:     4
    .sgpr_spill_count: 0
    .symbol:         _ZN7rocprim17ROCPRIM_400000_NS6detail17trampoline_kernelINS0_14default_configENS1_25partition_config_selectorILNS1_17partition_subalgoE1EyNS0_10empty_typeEbEEZZNS1_14partition_implILS5_1ELb0ES3_jN6thrust23THRUST_200600_302600_NS6detail15normal_iteratorINSA_10device_ptrIyEEEEPS6_NSA_18transform_iteratorI7is_evenIyESF_NSA_11use_defaultESK_EENS0_5tupleIJSF_SF_EEENSM_IJSG_SG_EEES6_PlJS6_EEE10hipError_tPvRmT3_T4_T5_T6_T7_T9_mT8_P12ihipStream_tbDpT10_ENKUlT_T0_E_clISt17integral_constantIbLb0EES18_IbLb1EEEEDaS14_S15_EUlS14_E_NS1_11comp_targetILNS1_3genE8ELNS1_11target_archE1030ELNS1_3gpuE2ELNS1_3repE0EEENS1_30default_config_static_selectorELNS0_4arch9wavefront6targetE1EEEvT1_.kd
    .uniform_work_group_size: 1
    .uses_dynamic_stack: false
    .vgpr_count:     0
    .vgpr_spill_count: 0
    .wavefront_size: 64
  - .agpr_count:     0
    .args:
      - .offset:         0
        .size:           128
        .value_kind:     by_value
    .group_segment_fixed_size: 0
    .kernarg_segment_align: 8
    .kernarg_segment_size: 128
    .language:       OpenCL C
    .language_version:
      - 2
      - 0
    .max_flat_workgroup_size: 256
    .name:           _ZN7rocprim17ROCPRIM_400000_NS6detail17trampoline_kernelINS0_14default_configENS1_25partition_config_selectorILNS1_17partition_subalgoE1EjNS0_10empty_typeEbEEZZNS1_14partition_implILS5_1ELb0ES3_jN6thrust23THRUST_200600_302600_NS6detail15normal_iteratorINSA_10device_ptrIjEEEEPS6_NSA_18transform_iteratorI7is_evenIjESF_NSA_11use_defaultESK_EENS0_5tupleIJSF_SF_EEENSM_IJSG_SG_EEES6_PlJS6_EEE10hipError_tPvRmT3_T4_T5_T6_T7_T9_mT8_P12ihipStream_tbDpT10_ENKUlT_T0_E_clISt17integral_constantIbLb0EES19_EEDaS14_S15_EUlS14_E_NS1_11comp_targetILNS1_3genE0ELNS1_11target_archE4294967295ELNS1_3gpuE0ELNS1_3repE0EEENS1_30default_config_static_selectorELNS0_4arch9wavefront6targetE1EEEvT1_
    .private_segment_fixed_size: 0
    .sgpr_count:     4
    .sgpr_spill_count: 0
    .symbol:         _ZN7rocprim17ROCPRIM_400000_NS6detail17trampoline_kernelINS0_14default_configENS1_25partition_config_selectorILNS1_17partition_subalgoE1EjNS0_10empty_typeEbEEZZNS1_14partition_implILS5_1ELb0ES3_jN6thrust23THRUST_200600_302600_NS6detail15normal_iteratorINSA_10device_ptrIjEEEEPS6_NSA_18transform_iteratorI7is_evenIjESF_NSA_11use_defaultESK_EENS0_5tupleIJSF_SF_EEENSM_IJSG_SG_EEES6_PlJS6_EEE10hipError_tPvRmT3_T4_T5_T6_T7_T9_mT8_P12ihipStream_tbDpT10_ENKUlT_T0_E_clISt17integral_constantIbLb0EES19_EEDaS14_S15_EUlS14_E_NS1_11comp_targetILNS1_3genE0ELNS1_11target_archE4294967295ELNS1_3gpuE0ELNS1_3repE0EEENS1_30default_config_static_selectorELNS0_4arch9wavefront6targetE1EEEvT1_.kd
    .uniform_work_group_size: 1
    .uses_dynamic_stack: false
    .vgpr_count:     0
    .vgpr_spill_count: 0
    .wavefront_size: 64
  - .agpr_count:     0
    .args:
      - .offset:         0
        .size:           128
        .value_kind:     by_value
    .group_segment_fixed_size: 0
    .kernarg_segment_align: 8
    .kernarg_segment_size: 128
    .language:       OpenCL C
    .language_version:
      - 2
      - 0
    .max_flat_workgroup_size: 512
    .name:           _ZN7rocprim17ROCPRIM_400000_NS6detail17trampoline_kernelINS0_14default_configENS1_25partition_config_selectorILNS1_17partition_subalgoE1EjNS0_10empty_typeEbEEZZNS1_14partition_implILS5_1ELb0ES3_jN6thrust23THRUST_200600_302600_NS6detail15normal_iteratorINSA_10device_ptrIjEEEEPS6_NSA_18transform_iteratorI7is_evenIjESF_NSA_11use_defaultESK_EENS0_5tupleIJSF_SF_EEENSM_IJSG_SG_EEES6_PlJS6_EEE10hipError_tPvRmT3_T4_T5_T6_T7_T9_mT8_P12ihipStream_tbDpT10_ENKUlT_T0_E_clISt17integral_constantIbLb0EES19_EEDaS14_S15_EUlS14_E_NS1_11comp_targetILNS1_3genE5ELNS1_11target_archE942ELNS1_3gpuE9ELNS1_3repE0EEENS1_30default_config_static_selectorELNS0_4arch9wavefront6targetE1EEEvT1_
    .private_segment_fixed_size: 0
    .sgpr_count:     4
    .sgpr_spill_count: 0
    .symbol:         _ZN7rocprim17ROCPRIM_400000_NS6detail17trampoline_kernelINS0_14default_configENS1_25partition_config_selectorILNS1_17partition_subalgoE1EjNS0_10empty_typeEbEEZZNS1_14partition_implILS5_1ELb0ES3_jN6thrust23THRUST_200600_302600_NS6detail15normal_iteratorINSA_10device_ptrIjEEEEPS6_NSA_18transform_iteratorI7is_evenIjESF_NSA_11use_defaultESK_EENS0_5tupleIJSF_SF_EEENSM_IJSG_SG_EEES6_PlJS6_EEE10hipError_tPvRmT3_T4_T5_T6_T7_T9_mT8_P12ihipStream_tbDpT10_ENKUlT_T0_E_clISt17integral_constantIbLb0EES19_EEDaS14_S15_EUlS14_E_NS1_11comp_targetILNS1_3genE5ELNS1_11target_archE942ELNS1_3gpuE9ELNS1_3repE0EEENS1_30default_config_static_selectorELNS0_4arch9wavefront6targetE1EEEvT1_.kd
    .uniform_work_group_size: 1
    .uses_dynamic_stack: false
    .vgpr_count:     0
    .vgpr_spill_count: 0
    .wavefront_size: 64
  - .agpr_count:     0
    .args:
      - .offset:         0
        .size:           128
        .value_kind:     by_value
    .group_segment_fixed_size: 7176
    .kernarg_segment_align: 8
    .kernarg_segment_size: 128
    .language:       OpenCL C
    .language_version:
      - 2
      - 0
    .max_flat_workgroup_size: 256
    .name:           _ZN7rocprim17ROCPRIM_400000_NS6detail17trampoline_kernelINS0_14default_configENS1_25partition_config_selectorILNS1_17partition_subalgoE1EjNS0_10empty_typeEbEEZZNS1_14partition_implILS5_1ELb0ES3_jN6thrust23THRUST_200600_302600_NS6detail15normal_iteratorINSA_10device_ptrIjEEEEPS6_NSA_18transform_iteratorI7is_evenIjESF_NSA_11use_defaultESK_EENS0_5tupleIJSF_SF_EEENSM_IJSG_SG_EEES6_PlJS6_EEE10hipError_tPvRmT3_T4_T5_T6_T7_T9_mT8_P12ihipStream_tbDpT10_ENKUlT_T0_E_clISt17integral_constantIbLb0EES19_EEDaS14_S15_EUlS14_E_NS1_11comp_targetILNS1_3genE4ELNS1_11target_archE910ELNS1_3gpuE8ELNS1_3repE0EEENS1_30default_config_static_selectorELNS0_4arch9wavefront6targetE1EEEvT1_
    .private_segment_fixed_size: 0
    .sgpr_count:     48
    .sgpr_spill_count: 0
    .symbol:         _ZN7rocprim17ROCPRIM_400000_NS6detail17trampoline_kernelINS0_14default_configENS1_25partition_config_selectorILNS1_17partition_subalgoE1EjNS0_10empty_typeEbEEZZNS1_14partition_implILS5_1ELb0ES3_jN6thrust23THRUST_200600_302600_NS6detail15normal_iteratorINSA_10device_ptrIjEEEEPS6_NSA_18transform_iteratorI7is_evenIjESF_NSA_11use_defaultESK_EENS0_5tupleIJSF_SF_EEENSM_IJSG_SG_EEES6_PlJS6_EEE10hipError_tPvRmT3_T4_T5_T6_T7_T9_mT8_P12ihipStream_tbDpT10_ENKUlT_T0_E_clISt17integral_constantIbLb0EES19_EEDaS14_S15_EUlS14_E_NS1_11comp_targetILNS1_3genE4ELNS1_11target_archE910ELNS1_3gpuE8ELNS1_3repE0EEENS1_30default_config_static_selectorELNS0_4arch9wavefront6targetE1EEEvT1_.kd
    .uniform_work_group_size: 1
    .uses_dynamic_stack: false
    .vgpr_count:     47
    .vgpr_spill_count: 0
    .wavefront_size: 64
  - .agpr_count:     0
    .args:
      - .offset:         0
        .size:           128
        .value_kind:     by_value
    .group_segment_fixed_size: 0
    .kernarg_segment_align: 8
    .kernarg_segment_size: 128
    .language:       OpenCL C
    .language_version:
      - 2
      - 0
    .max_flat_workgroup_size: 256
    .name:           _ZN7rocprim17ROCPRIM_400000_NS6detail17trampoline_kernelINS0_14default_configENS1_25partition_config_selectorILNS1_17partition_subalgoE1EjNS0_10empty_typeEbEEZZNS1_14partition_implILS5_1ELb0ES3_jN6thrust23THRUST_200600_302600_NS6detail15normal_iteratorINSA_10device_ptrIjEEEEPS6_NSA_18transform_iteratorI7is_evenIjESF_NSA_11use_defaultESK_EENS0_5tupleIJSF_SF_EEENSM_IJSG_SG_EEES6_PlJS6_EEE10hipError_tPvRmT3_T4_T5_T6_T7_T9_mT8_P12ihipStream_tbDpT10_ENKUlT_T0_E_clISt17integral_constantIbLb0EES19_EEDaS14_S15_EUlS14_E_NS1_11comp_targetILNS1_3genE3ELNS1_11target_archE908ELNS1_3gpuE7ELNS1_3repE0EEENS1_30default_config_static_selectorELNS0_4arch9wavefront6targetE1EEEvT1_
    .private_segment_fixed_size: 0
    .sgpr_count:     4
    .sgpr_spill_count: 0
    .symbol:         _ZN7rocprim17ROCPRIM_400000_NS6detail17trampoline_kernelINS0_14default_configENS1_25partition_config_selectorILNS1_17partition_subalgoE1EjNS0_10empty_typeEbEEZZNS1_14partition_implILS5_1ELb0ES3_jN6thrust23THRUST_200600_302600_NS6detail15normal_iteratorINSA_10device_ptrIjEEEEPS6_NSA_18transform_iteratorI7is_evenIjESF_NSA_11use_defaultESK_EENS0_5tupleIJSF_SF_EEENSM_IJSG_SG_EEES6_PlJS6_EEE10hipError_tPvRmT3_T4_T5_T6_T7_T9_mT8_P12ihipStream_tbDpT10_ENKUlT_T0_E_clISt17integral_constantIbLb0EES19_EEDaS14_S15_EUlS14_E_NS1_11comp_targetILNS1_3genE3ELNS1_11target_archE908ELNS1_3gpuE7ELNS1_3repE0EEENS1_30default_config_static_selectorELNS0_4arch9wavefront6targetE1EEEvT1_.kd
    .uniform_work_group_size: 1
    .uses_dynamic_stack: false
    .vgpr_count:     0
    .vgpr_spill_count: 0
    .wavefront_size: 64
  - .agpr_count:     0
    .args:
      - .offset:         0
        .size:           128
        .value_kind:     by_value
    .group_segment_fixed_size: 0
    .kernarg_segment_align: 8
    .kernarg_segment_size: 128
    .language:       OpenCL C
    .language_version:
      - 2
      - 0
    .max_flat_workgroup_size: 256
    .name:           _ZN7rocprim17ROCPRIM_400000_NS6detail17trampoline_kernelINS0_14default_configENS1_25partition_config_selectorILNS1_17partition_subalgoE1EjNS0_10empty_typeEbEEZZNS1_14partition_implILS5_1ELb0ES3_jN6thrust23THRUST_200600_302600_NS6detail15normal_iteratorINSA_10device_ptrIjEEEEPS6_NSA_18transform_iteratorI7is_evenIjESF_NSA_11use_defaultESK_EENS0_5tupleIJSF_SF_EEENSM_IJSG_SG_EEES6_PlJS6_EEE10hipError_tPvRmT3_T4_T5_T6_T7_T9_mT8_P12ihipStream_tbDpT10_ENKUlT_T0_E_clISt17integral_constantIbLb0EES19_EEDaS14_S15_EUlS14_E_NS1_11comp_targetILNS1_3genE2ELNS1_11target_archE906ELNS1_3gpuE6ELNS1_3repE0EEENS1_30default_config_static_selectorELNS0_4arch9wavefront6targetE1EEEvT1_
    .private_segment_fixed_size: 0
    .sgpr_count:     4
    .sgpr_spill_count: 0
    .symbol:         _ZN7rocprim17ROCPRIM_400000_NS6detail17trampoline_kernelINS0_14default_configENS1_25partition_config_selectorILNS1_17partition_subalgoE1EjNS0_10empty_typeEbEEZZNS1_14partition_implILS5_1ELb0ES3_jN6thrust23THRUST_200600_302600_NS6detail15normal_iteratorINSA_10device_ptrIjEEEEPS6_NSA_18transform_iteratorI7is_evenIjESF_NSA_11use_defaultESK_EENS0_5tupleIJSF_SF_EEENSM_IJSG_SG_EEES6_PlJS6_EEE10hipError_tPvRmT3_T4_T5_T6_T7_T9_mT8_P12ihipStream_tbDpT10_ENKUlT_T0_E_clISt17integral_constantIbLb0EES19_EEDaS14_S15_EUlS14_E_NS1_11comp_targetILNS1_3genE2ELNS1_11target_archE906ELNS1_3gpuE6ELNS1_3repE0EEENS1_30default_config_static_selectorELNS0_4arch9wavefront6targetE1EEEvT1_.kd
    .uniform_work_group_size: 1
    .uses_dynamic_stack: false
    .vgpr_count:     0
    .vgpr_spill_count: 0
    .wavefront_size: 64
  - .agpr_count:     0
    .args:
      - .offset:         0
        .size:           128
        .value_kind:     by_value
    .group_segment_fixed_size: 0
    .kernarg_segment_align: 8
    .kernarg_segment_size: 128
    .language:       OpenCL C
    .language_version:
      - 2
      - 0
    .max_flat_workgroup_size: 256
    .name:           _ZN7rocprim17ROCPRIM_400000_NS6detail17trampoline_kernelINS0_14default_configENS1_25partition_config_selectorILNS1_17partition_subalgoE1EjNS0_10empty_typeEbEEZZNS1_14partition_implILS5_1ELb0ES3_jN6thrust23THRUST_200600_302600_NS6detail15normal_iteratorINSA_10device_ptrIjEEEEPS6_NSA_18transform_iteratorI7is_evenIjESF_NSA_11use_defaultESK_EENS0_5tupleIJSF_SF_EEENSM_IJSG_SG_EEES6_PlJS6_EEE10hipError_tPvRmT3_T4_T5_T6_T7_T9_mT8_P12ihipStream_tbDpT10_ENKUlT_T0_E_clISt17integral_constantIbLb0EES19_EEDaS14_S15_EUlS14_E_NS1_11comp_targetILNS1_3genE10ELNS1_11target_archE1200ELNS1_3gpuE4ELNS1_3repE0EEENS1_30default_config_static_selectorELNS0_4arch9wavefront6targetE1EEEvT1_
    .private_segment_fixed_size: 0
    .sgpr_count:     4
    .sgpr_spill_count: 0
    .symbol:         _ZN7rocprim17ROCPRIM_400000_NS6detail17trampoline_kernelINS0_14default_configENS1_25partition_config_selectorILNS1_17partition_subalgoE1EjNS0_10empty_typeEbEEZZNS1_14partition_implILS5_1ELb0ES3_jN6thrust23THRUST_200600_302600_NS6detail15normal_iteratorINSA_10device_ptrIjEEEEPS6_NSA_18transform_iteratorI7is_evenIjESF_NSA_11use_defaultESK_EENS0_5tupleIJSF_SF_EEENSM_IJSG_SG_EEES6_PlJS6_EEE10hipError_tPvRmT3_T4_T5_T6_T7_T9_mT8_P12ihipStream_tbDpT10_ENKUlT_T0_E_clISt17integral_constantIbLb0EES19_EEDaS14_S15_EUlS14_E_NS1_11comp_targetILNS1_3genE10ELNS1_11target_archE1200ELNS1_3gpuE4ELNS1_3repE0EEENS1_30default_config_static_selectorELNS0_4arch9wavefront6targetE1EEEvT1_.kd
    .uniform_work_group_size: 1
    .uses_dynamic_stack: false
    .vgpr_count:     0
    .vgpr_spill_count: 0
    .wavefront_size: 64
  - .agpr_count:     0
    .args:
      - .offset:         0
        .size:           128
        .value_kind:     by_value
    .group_segment_fixed_size: 0
    .kernarg_segment_align: 8
    .kernarg_segment_size: 128
    .language:       OpenCL C
    .language_version:
      - 2
      - 0
    .max_flat_workgroup_size: 128
    .name:           _ZN7rocprim17ROCPRIM_400000_NS6detail17trampoline_kernelINS0_14default_configENS1_25partition_config_selectorILNS1_17partition_subalgoE1EjNS0_10empty_typeEbEEZZNS1_14partition_implILS5_1ELb0ES3_jN6thrust23THRUST_200600_302600_NS6detail15normal_iteratorINSA_10device_ptrIjEEEEPS6_NSA_18transform_iteratorI7is_evenIjESF_NSA_11use_defaultESK_EENS0_5tupleIJSF_SF_EEENSM_IJSG_SG_EEES6_PlJS6_EEE10hipError_tPvRmT3_T4_T5_T6_T7_T9_mT8_P12ihipStream_tbDpT10_ENKUlT_T0_E_clISt17integral_constantIbLb0EES19_EEDaS14_S15_EUlS14_E_NS1_11comp_targetILNS1_3genE9ELNS1_11target_archE1100ELNS1_3gpuE3ELNS1_3repE0EEENS1_30default_config_static_selectorELNS0_4arch9wavefront6targetE1EEEvT1_
    .private_segment_fixed_size: 0
    .sgpr_count:     4
    .sgpr_spill_count: 0
    .symbol:         _ZN7rocprim17ROCPRIM_400000_NS6detail17trampoline_kernelINS0_14default_configENS1_25partition_config_selectorILNS1_17partition_subalgoE1EjNS0_10empty_typeEbEEZZNS1_14partition_implILS5_1ELb0ES3_jN6thrust23THRUST_200600_302600_NS6detail15normal_iteratorINSA_10device_ptrIjEEEEPS6_NSA_18transform_iteratorI7is_evenIjESF_NSA_11use_defaultESK_EENS0_5tupleIJSF_SF_EEENSM_IJSG_SG_EEES6_PlJS6_EEE10hipError_tPvRmT3_T4_T5_T6_T7_T9_mT8_P12ihipStream_tbDpT10_ENKUlT_T0_E_clISt17integral_constantIbLb0EES19_EEDaS14_S15_EUlS14_E_NS1_11comp_targetILNS1_3genE9ELNS1_11target_archE1100ELNS1_3gpuE3ELNS1_3repE0EEENS1_30default_config_static_selectorELNS0_4arch9wavefront6targetE1EEEvT1_.kd
    .uniform_work_group_size: 1
    .uses_dynamic_stack: false
    .vgpr_count:     0
    .vgpr_spill_count: 0
    .wavefront_size: 64
  - .agpr_count:     0
    .args:
      - .offset:         0
        .size:           128
        .value_kind:     by_value
    .group_segment_fixed_size: 0
    .kernarg_segment_align: 8
    .kernarg_segment_size: 128
    .language:       OpenCL C
    .language_version:
      - 2
      - 0
    .max_flat_workgroup_size: 512
    .name:           _ZN7rocprim17ROCPRIM_400000_NS6detail17trampoline_kernelINS0_14default_configENS1_25partition_config_selectorILNS1_17partition_subalgoE1EjNS0_10empty_typeEbEEZZNS1_14partition_implILS5_1ELb0ES3_jN6thrust23THRUST_200600_302600_NS6detail15normal_iteratorINSA_10device_ptrIjEEEEPS6_NSA_18transform_iteratorI7is_evenIjESF_NSA_11use_defaultESK_EENS0_5tupleIJSF_SF_EEENSM_IJSG_SG_EEES6_PlJS6_EEE10hipError_tPvRmT3_T4_T5_T6_T7_T9_mT8_P12ihipStream_tbDpT10_ENKUlT_T0_E_clISt17integral_constantIbLb0EES19_EEDaS14_S15_EUlS14_E_NS1_11comp_targetILNS1_3genE8ELNS1_11target_archE1030ELNS1_3gpuE2ELNS1_3repE0EEENS1_30default_config_static_selectorELNS0_4arch9wavefront6targetE1EEEvT1_
    .private_segment_fixed_size: 0
    .sgpr_count:     4
    .sgpr_spill_count: 0
    .symbol:         _ZN7rocprim17ROCPRIM_400000_NS6detail17trampoline_kernelINS0_14default_configENS1_25partition_config_selectorILNS1_17partition_subalgoE1EjNS0_10empty_typeEbEEZZNS1_14partition_implILS5_1ELb0ES3_jN6thrust23THRUST_200600_302600_NS6detail15normal_iteratorINSA_10device_ptrIjEEEEPS6_NSA_18transform_iteratorI7is_evenIjESF_NSA_11use_defaultESK_EENS0_5tupleIJSF_SF_EEENSM_IJSG_SG_EEES6_PlJS6_EEE10hipError_tPvRmT3_T4_T5_T6_T7_T9_mT8_P12ihipStream_tbDpT10_ENKUlT_T0_E_clISt17integral_constantIbLb0EES19_EEDaS14_S15_EUlS14_E_NS1_11comp_targetILNS1_3genE8ELNS1_11target_archE1030ELNS1_3gpuE2ELNS1_3repE0EEENS1_30default_config_static_selectorELNS0_4arch9wavefront6targetE1EEEvT1_.kd
    .uniform_work_group_size: 1
    .uses_dynamic_stack: false
    .vgpr_count:     0
    .vgpr_spill_count: 0
    .wavefront_size: 64
  - .agpr_count:     0
    .args:
      - .offset:         0
        .size:           144
        .value_kind:     by_value
    .group_segment_fixed_size: 0
    .kernarg_segment_align: 8
    .kernarg_segment_size: 144
    .language:       OpenCL C
    .language_version:
      - 2
      - 0
    .max_flat_workgroup_size: 256
    .name:           _ZN7rocprim17ROCPRIM_400000_NS6detail17trampoline_kernelINS0_14default_configENS1_25partition_config_selectorILNS1_17partition_subalgoE1EjNS0_10empty_typeEbEEZZNS1_14partition_implILS5_1ELb0ES3_jN6thrust23THRUST_200600_302600_NS6detail15normal_iteratorINSA_10device_ptrIjEEEEPS6_NSA_18transform_iteratorI7is_evenIjESF_NSA_11use_defaultESK_EENS0_5tupleIJSF_SF_EEENSM_IJSG_SG_EEES6_PlJS6_EEE10hipError_tPvRmT3_T4_T5_T6_T7_T9_mT8_P12ihipStream_tbDpT10_ENKUlT_T0_E_clISt17integral_constantIbLb1EES19_EEDaS14_S15_EUlS14_E_NS1_11comp_targetILNS1_3genE0ELNS1_11target_archE4294967295ELNS1_3gpuE0ELNS1_3repE0EEENS1_30default_config_static_selectorELNS0_4arch9wavefront6targetE1EEEvT1_
    .private_segment_fixed_size: 0
    .sgpr_count:     4
    .sgpr_spill_count: 0
    .symbol:         _ZN7rocprim17ROCPRIM_400000_NS6detail17trampoline_kernelINS0_14default_configENS1_25partition_config_selectorILNS1_17partition_subalgoE1EjNS0_10empty_typeEbEEZZNS1_14partition_implILS5_1ELb0ES3_jN6thrust23THRUST_200600_302600_NS6detail15normal_iteratorINSA_10device_ptrIjEEEEPS6_NSA_18transform_iteratorI7is_evenIjESF_NSA_11use_defaultESK_EENS0_5tupleIJSF_SF_EEENSM_IJSG_SG_EEES6_PlJS6_EEE10hipError_tPvRmT3_T4_T5_T6_T7_T9_mT8_P12ihipStream_tbDpT10_ENKUlT_T0_E_clISt17integral_constantIbLb1EES19_EEDaS14_S15_EUlS14_E_NS1_11comp_targetILNS1_3genE0ELNS1_11target_archE4294967295ELNS1_3gpuE0ELNS1_3repE0EEENS1_30default_config_static_selectorELNS0_4arch9wavefront6targetE1EEEvT1_.kd
    .uniform_work_group_size: 1
    .uses_dynamic_stack: false
    .vgpr_count:     0
    .vgpr_spill_count: 0
    .wavefront_size: 64
  - .agpr_count:     0
    .args:
      - .offset:         0
        .size:           144
        .value_kind:     by_value
    .group_segment_fixed_size: 0
    .kernarg_segment_align: 8
    .kernarg_segment_size: 144
    .language:       OpenCL C
    .language_version:
      - 2
      - 0
    .max_flat_workgroup_size: 512
    .name:           _ZN7rocprim17ROCPRIM_400000_NS6detail17trampoline_kernelINS0_14default_configENS1_25partition_config_selectorILNS1_17partition_subalgoE1EjNS0_10empty_typeEbEEZZNS1_14partition_implILS5_1ELb0ES3_jN6thrust23THRUST_200600_302600_NS6detail15normal_iteratorINSA_10device_ptrIjEEEEPS6_NSA_18transform_iteratorI7is_evenIjESF_NSA_11use_defaultESK_EENS0_5tupleIJSF_SF_EEENSM_IJSG_SG_EEES6_PlJS6_EEE10hipError_tPvRmT3_T4_T5_T6_T7_T9_mT8_P12ihipStream_tbDpT10_ENKUlT_T0_E_clISt17integral_constantIbLb1EES19_EEDaS14_S15_EUlS14_E_NS1_11comp_targetILNS1_3genE5ELNS1_11target_archE942ELNS1_3gpuE9ELNS1_3repE0EEENS1_30default_config_static_selectorELNS0_4arch9wavefront6targetE1EEEvT1_
    .private_segment_fixed_size: 0
    .sgpr_count:     4
    .sgpr_spill_count: 0
    .symbol:         _ZN7rocprim17ROCPRIM_400000_NS6detail17trampoline_kernelINS0_14default_configENS1_25partition_config_selectorILNS1_17partition_subalgoE1EjNS0_10empty_typeEbEEZZNS1_14partition_implILS5_1ELb0ES3_jN6thrust23THRUST_200600_302600_NS6detail15normal_iteratorINSA_10device_ptrIjEEEEPS6_NSA_18transform_iteratorI7is_evenIjESF_NSA_11use_defaultESK_EENS0_5tupleIJSF_SF_EEENSM_IJSG_SG_EEES6_PlJS6_EEE10hipError_tPvRmT3_T4_T5_T6_T7_T9_mT8_P12ihipStream_tbDpT10_ENKUlT_T0_E_clISt17integral_constantIbLb1EES19_EEDaS14_S15_EUlS14_E_NS1_11comp_targetILNS1_3genE5ELNS1_11target_archE942ELNS1_3gpuE9ELNS1_3repE0EEENS1_30default_config_static_selectorELNS0_4arch9wavefront6targetE1EEEvT1_.kd
    .uniform_work_group_size: 1
    .uses_dynamic_stack: false
    .vgpr_count:     0
    .vgpr_spill_count: 0
    .wavefront_size: 64
  - .agpr_count:     0
    .args:
      - .offset:         0
        .size:           144
        .value_kind:     by_value
    .group_segment_fixed_size: 7176
    .kernarg_segment_align: 8
    .kernarg_segment_size: 144
    .language:       OpenCL C
    .language_version:
      - 2
      - 0
    .max_flat_workgroup_size: 256
    .name:           _ZN7rocprim17ROCPRIM_400000_NS6detail17trampoline_kernelINS0_14default_configENS1_25partition_config_selectorILNS1_17partition_subalgoE1EjNS0_10empty_typeEbEEZZNS1_14partition_implILS5_1ELb0ES3_jN6thrust23THRUST_200600_302600_NS6detail15normal_iteratorINSA_10device_ptrIjEEEEPS6_NSA_18transform_iteratorI7is_evenIjESF_NSA_11use_defaultESK_EENS0_5tupleIJSF_SF_EEENSM_IJSG_SG_EEES6_PlJS6_EEE10hipError_tPvRmT3_T4_T5_T6_T7_T9_mT8_P12ihipStream_tbDpT10_ENKUlT_T0_E_clISt17integral_constantIbLb1EES19_EEDaS14_S15_EUlS14_E_NS1_11comp_targetILNS1_3genE4ELNS1_11target_archE910ELNS1_3gpuE8ELNS1_3repE0EEENS1_30default_config_static_selectorELNS0_4arch9wavefront6targetE1EEEvT1_
    .private_segment_fixed_size: 0
    .sgpr_count:     48
    .sgpr_spill_count: 0
    .symbol:         _ZN7rocprim17ROCPRIM_400000_NS6detail17trampoline_kernelINS0_14default_configENS1_25partition_config_selectorILNS1_17partition_subalgoE1EjNS0_10empty_typeEbEEZZNS1_14partition_implILS5_1ELb0ES3_jN6thrust23THRUST_200600_302600_NS6detail15normal_iteratorINSA_10device_ptrIjEEEEPS6_NSA_18transform_iteratorI7is_evenIjESF_NSA_11use_defaultESK_EENS0_5tupleIJSF_SF_EEENSM_IJSG_SG_EEES6_PlJS6_EEE10hipError_tPvRmT3_T4_T5_T6_T7_T9_mT8_P12ihipStream_tbDpT10_ENKUlT_T0_E_clISt17integral_constantIbLb1EES19_EEDaS14_S15_EUlS14_E_NS1_11comp_targetILNS1_3genE4ELNS1_11target_archE910ELNS1_3gpuE8ELNS1_3repE0EEENS1_30default_config_static_selectorELNS0_4arch9wavefront6targetE1EEEvT1_.kd
    .uniform_work_group_size: 1
    .uses_dynamic_stack: false
    .vgpr_count:     51
    .vgpr_spill_count: 0
    .wavefront_size: 64
  - .agpr_count:     0
    .args:
      - .offset:         0
        .size:           144
        .value_kind:     by_value
    .group_segment_fixed_size: 0
    .kernarg_segment_align: 8
    .kernarg_segment_size: 144
    .language:       OpenCL C
    .language_version:
      - 2
      - 0
    .max_flat_workgroup_size: 256
    .name:           _ZN7rocprim17ROCPRIM_400000_NS6detail17trampoline_kernelINS0_14default_configENS1_25partition_config_selectorILNS1_17partition_subalgoE1EjNS0_10empty_typeEbEEZZNS1_14partition_implILS5_1ELb0ES3_jN6thrust23THRUST_200600_302600_NS6detail15normal_iteratorINSA_10device_ptrIjEEEEPS6_NSA_18transform_iteratorI7is_evenIjESF_NSA_11use_defaultESK_EENS0_5tupleIJSF_SF_EEENSM_IJSG_SG_EEES6_PlJS6_EEE10hipError_tPvRmT3_T4_T5_T6_T7_T9_mT8_P12ihipStream_tbDpT10_ENKUlT_T0_E_clISt17integral_constantIbLb1EES19_EEDaS14_S15_EUlS14_E_NS1_11comp_targetILNS1_3genE3ELNS1_11target_archE908ELNS1_3gpuE7ELNS1_3repE0EEENS1_30default_config_static_selectorELNS0_4arch9wavefront6targetE1EEEvT1_
    .private_segment_fixed_size: 0
    .sgpr_count:     4
    .sgpr_spill_count: 0
    .symbol:         _ZN7rocprim17ROCPRIM_400000_NS6detail17trampoline_kernelINS0_14default_configENS1_25partition_config_selectorILNS1_17partition_subalgoE1EjNS0_10empty_typeEbEEZZNS1_14partition_implILS5_1ELb0ES3_jN6thrust23THRUST_200600_302600_NS6detail15normal_iteratorINSA_10device_ptrIjEEEEPS6_NSA_18transform_iteratorI7is_evenIjESF_NSA_11use_defaultESK_EENS0_5tupleIJSF_SF_EEENSM_IJSG_SG_EEES6_PlJS6_EEE10hipError_tPvRmT3_T4_T5_T6_T7_T9_mT8_P12ihipStream_tbDpT10_ENKUlT_T0_E_clISt17integral_constantIbLb1EES19_EEDaS14_S15_EUlS14_E_NS1_11comp_targetILNS1_3genE3ELNS1_11target_archE908ELNS1_3gpuE7ELNS1_3repE0EEENS1_30default_config_static_selectorELNS0_4arch9wavefront6targetE1EEEvT1_.kd
    .uniform_work_group_size: 1
    .uses_dynamic_stack: false
    .vgpr_count:     0
    .vgpr_spill_count: 0
    .wavefront_size: 64
  - .agpr_count:     0
    .args:
      - .offset:         0
        .size:           144
        .value_kind:     by_value
    .group_segment_fixed_size: 0
    .kernarg_segment_align: 8
    .kernarg_segment_size: 144
    .language:       OpenCL C
    .language_version:
      - 2
      - 0
    .max_flat_workgroup_size: 256
    .name:           _ZN7rocprim17ROCPRIM_400000_NS6detail17trampoline_kernelINS0_14default_configENS1_25partition_config_selectorILNS1_17partition_subalgoE1EjNS0_10empty_typeEbEEZZNS1_14partition_implILS5_1ELb0ES3_jN6thrust23THRUST_200600_302600_NS6detail15normal_iteratorINSA_10device_ptrIjEEEEPS6_NSA_18transform_iteratorI7is_evenIjESF_NSA_11use_defaultESK_EENS0_5tupleIJSF_SF_EEENSM_IJSG_SG_EEES6_PlJS6_EEE10hipError_tPvRmT3_T4_T5_T6_T7_T9_mT8_P12ihipStream_tbDpT10_ENKUlT_T0_E_clISt17integral_constantIbLb1EES19_EEDaS14_S15_EUlS14_E_NS1_11comp_targetILNS1_3genE2ELNS1_11target_archE906ELNS1_3gpuE6ELNS1_3repE0EEENS1_30default_config_static_selectorELNS0_4arch9wavefront6targetE1EEEvT1_
    .private_segment_fixed_size: 0
    .sgpr_count:     4
    .sgpr_spill_count: 0
    .symbol:         _ZN7rocprim17ROCPRIM_400000_NS6detail17trampoline_kernelINS0_14default_configENS1_25partition_config_selectorILNS1_17partition_subalgoE1EjNS0_10empty_typeEbEEZZNS1_14partition_implILS5_1ELb0ES3_jN6thrust23THRUST_200600_302600_NS6detail15normal_iteratorINSA_10device_ptrIjEEEEPS6_NSA_18transform_iteratorI7is_evenIjESF_NSA_11use_defaultESK_EENS0_5tupleIJSF_SF_EEENSM_IJSG_SG_EEES6_PlJS6_EEE10hipError_tPvRmT3_T4_T5_T6_T7_T9_mT8_P12ihipStream_tbDpT10_ENKUlT_T0_E_clISt17integral_constantIbLb1EES19_EEDaS14_S15_EUlS14_E_NS1_11comp_targetILNS1_3genE2ELNS1_11target_archE906ELNS1_3gpuE6ELNS1_3repE0EEENS1_30default_config_static_selectorELNS0_4arch9wavefront6targetE1EEEvT1_.kd
    .uniform_work_group_size: 1
    .uses_dynamic_stack: false
    .vgpr_count:     0
    .vgpr_spill_count: 0
    .wavefront_size: 64
  - .agpr_count:     0
    .args:
      - .offset:         0
        .size:           144
        .value_kind:     by_value
    .group_segment_fixed_size: 0
    .kernarg_segment_align: 8
    .kernarg_segment_size: 144
    .language:       OpenCL C
    .language_version:
      - 2
      - 0
    .max_flat_workgroup_size: 256
    .name:           _ZN7rocprim17ROCPRIM_400000_NS6detail17trampoline_kernelINS0_14default_configENS1_25partition_config_selectorILNS1_17partition_subalgoE1EjNS0_10empty_typeEbEEZZNS1_14partition_implILS5_1ELb0ES3_jN6thrust23THRUST_200600_302600_NS6detail15normal_iteratorINSA_10device_ptrIjEEEEPS6_NSA_18transform_iteratorI7is_evenIjESF_NSA_11use_defaultESK_EENS0_5tupleIJSF_SF_EEENSM_IJSG_SG_EEES6_PlJS6_EEE10hipError_tPvRmT3_T4_T5_T6_T7_T9_mT8_P12ihipStream_tbDpT10_ENKUlT_T0_E_clISt17integral_constantIbLb1EES19_EEDaS14_S15_EUlS14_E_NS1_11comp_targetILNS1_3genE10ELNS1_11target_archE1200ELNS1_3gpuE4ELNS1_3repE0EEENS1_30default_config_static_selectorELNS0_4arch9wavefront6targetE1EEEvT1_
    .private_segment_fixed_size: 0
    .sgpr_count:     4
    .sgpr_spill_count: 0
    .symbol:         _ZN7rocprim17ROCPRIM_400000_NS6detail17trampoline_kernelINS0_14default_configENS1_25partition_config_selectorILNS1_17partition_subalgoE1EjNS0_10empty_typeEbEEZZNS1_14partition_implILS5_1ELb0ES3_jN6thrust23THRUST_200600_302600_NS6detail15normal_iteratorINSA_10device_ptrIjEEEEPS6_NSA_18transform_iteratorI7is_evenIjESF_NSA_11use_defaultESK_EENS0_5tupleIJSF_SF_EEENSM_IJSG_SG_EEES6_PlJS6_EEE10hipError_tPvRmT3_T4_T5_T6_T7_T9_mT8_P12ihipStream_tbDpT10_ENKUlT_T0_E_clISt17integral_constantIbLb1EES19_EEDaS14_S15_EUlS14_E_NS1_11comp_targetILNS1_3genE10ELNS1_11target_archE1200ELNS1_3gpuE4ELNS1_3repE0EEENS1_30default_config_static_selectorELNS0_4arch9wavefront6targetE1EEEvT1_.kd
    .uniform_work_group_size: 1
    .uses_dynamic_stack: false
    .vgpr_count:     0
    .vgpr_spill_count: 0
    .wavefront_size: 64
  - .agpr_count:     0
    .args:
      - .offset:         0
        .size:           144
        .value_kind:     by_value
    .group_segment_fixed_size: 0
    .kernarg_segment_align: 8
    .kernarg_segment_size: 144
    .language:       OpenCL C
    .language_version:
      - 2
      - 0
    .max_flat_workgroup_size: 128
    .name:           _ZN7rocprim17ROCPRIM_400000_NS6detail17trampoline_kernelINS0_14default_configENS1_25partition_config_selectorILNS1_17partition_subalgoE1EjNS0_10empty_typeEbEEZZNS1_14partition_implILS5_1ELb0ES3_jN6thrust23THRUST_200600_302600_NS6detail15normal_iteratorINSA_10device_ptrIjEEEEPS6_NSA_18transform_iteratorI7is_evenIjESF_NSA_11use_defaultESK_EENS0_5tupleIJSF_SF_EEENSM_IJSG_SG_EEES6_PlJS6_EEE10hipError_tPvRmT3_T4_T5_T6_T7_T9_mT8_P12ihipStream_tbDpT10_ENKUlT_T0_E_clISt17integral_constantIbLb1EES19_EEDaS14_S15_EUlS14_E_NS1_11comp_targetILNS1_3genE9ELNS1_11target_archE1100ELNS1_3gpuE3ELNS1_3repE0EEENS1_30default_config_static_selectorELNS0_4arch9wavefront6targetE1EEEvT1_
    .private_segment_fixed_size: 0
    .sgpr_count:     4
    .sgpr_spill_count: 0
    .symbol:         _ZN7rocprim17ROCPRIM_400000_NS6detail17trampoline_kernelINS0_14default_configENS1_25partition_config_selectorILNS1_17partition_subalgoE1EjNS0_10empty_typeEbEEZZNS1_14partition_implILS5_1ELb0ES3_jN6thrust23THRUST_200600_302600_NS6detail15normal_iteratorINSA_10device_ptrIjEEEEPS6_NSA_18transform_iteratorI7is_evenIjESF_NSA_11use_defaultESK_EENS0_5tupleIJSF_SF_EEENSM_IJSG_SG_EEES6_PlJS6_EEE10hipError_tPvRmT3_T4_T5_T6_T7_T9_mT8_P12ihipStream_tbDpT10_ENKUlT_T0_E_clISt17integral_constantIbLb1EES19_EEDaS14_S15_EUlS14_E_NS1_11comp_targetILNS1_3genE9ELNS1_11target_archE1100ELNS1_3gpuE3ELNS1_3repE0EEENS1_30default_config_static_selectorELNS0_4arch9wavefront6targetE1EEEvT1_.kd
    .uniform_work_group_size: 1
    .uses_dynamic_stack: false
    .vgpr_count:     0
    .vgpr_spill_count: 0
    .wavefront_size: 64
  - .agpr_count:     0
    .args:
      - .offset:         0
        .size:           144
        .value_kind:     by_value
    .group_segment_fixed_size: 0
    .kernarg_segment_align: 8
    .kernarg_segment_size: 144
    .language:       OpenCL C
    .language_version:
      - 2
      - 0
    .max_flat_workgroup_size: 512
    .name:           _ZN7rocprim17ROCPRIM_400000_NS6detail17trampoline_kernelINS0_14default_configENS1_25partition_config_selectorILNS1_17partition_subalgoE1EjNS0_10empty_typeEbEEZZNS1_14partition_implILS5_1ELb0ES3_jN6thrust23THRUST_200600_302600_NS6detail15normal_iteratorINSA_10device_ptrIjEEEEPS6_NSA_18transform_iteratorI7is_evenIjESF_NSA_11use_defaultESK_EENS0_5tupleIJSF_SF_EEENSM_IJSG_SG_EEES6_PlJS6_EEE10hipError_tPvRmT3_T4_T5_T6_T7_T9_mT8_P12ihipStream_tbDpT10_ENKUlT_T0_E_clISt17integral_constantIbLb1EES19_EEDaS14_S15_EUlS14_E_NS1_11comp_targetILNS1_3genE8ELNS1_11target_archE1030ELNS1_3gpuE2ELNS1_3repE0EEENS1_30default_config_static_selectorELNS0_4arch9wavefront6targetE1EEEvT1_
    .private_segment_fixed_size: 0
    .sgpr_count:     4
    .sgpr_spill_count: 0
    .symbol:         _ZN7rocprim17ROCPRIM_400000_NS6detail17trampoline_kernelINS0_14default_configENS1_25partition_config_selectorILNS1_17partition_subalgoE1EjNS0_10empty_typeEbEEZZNS1_14partition_implILS5_1ELb0ES3_jN6thrust23THRUST_200600_302600_NS6detail15normal_iteratorINSA_10device_ptrIjEEEEPS6_NSA_18transform_iteratorI7is_evenIjESF_NSA_11use_defaultESK_EENS0_5tupleIJSF_SF_EEENSM_IJSG_SG_EEES6_PlJS6_EEE10hipError_tPvRmT3_T4_T5_T6_T7_T9_mT8_P12ihipStream_tbDpT10_ENKUlT_T0_E_clISt17integral_constantIbLb1EES19_EEDaS14_S15_EUlS14_E_NS1_11comp_targetILNS1_3genE8ELNS1_11target_archE1030ELNS1_3gpuE2ELNS1_3repE0EEENS1_30default_config_static_selectorELNS0_4arch9wavefront6targetE1EEEvT1_.kd
    .uniform_work_group_size: 1
    .uses_dynamic_stack: false
    .vgpr_count:     0
    .vgpr_spill_count: 0
    .wavefront_size: 64
  - .agpr_count:     0
    .args:
      - .offset:         0
        .size:           128
        .value_kind:     by_value
    .group_segment_fixed_size: 0
    .kernarg_segment_align: 8
    .kernarg_segment_size: 128
    .language:       OpenCL C
    .language_version:
      - 2
      - 0
    .max_flat_workgroup_size: 256
    .name:           _ZN7rocprim17ROCPRIM_400000_NS6detail17trampoline_kernelINS0_14default_configENS1_25partition_config_selectorILNS1_17partition_subalgoE1EjNS0_10empty_typeEbEEZZNS1_14partition_implILS5_1ELb0ES3_jN6thrust23THRUST_200600_302600_NS6detail15normal_iteratorINSA_10device_ptrIjEEEEPS6_NSA_18transform_iteratorI7is_evenIjESF_NSA_11use_defaultESK_EENS0_5tupleIJSF_SF_EEENSM_IJSG_SG_EEES6_PlJS6_EEE10hipError_tPvRmT3_T4_T5_T6_T7_T9_mT8_P12ihipStream_tbDpT10_ENKUlT_T0_E_clISt17integral_constantIbLb1EES18_IbLb0EEEEDaS14_S15_EUlS14_E_NS1_11comp_targetILNS1_3genE0ELNS1_11target_archE4294967295ELNS1_3gpuE0ELNS1_3repE0EEENS1_30default_config_static_selectorELNS0_4arch9wavefront6targetE1EEEvT1_
    .private_segment_fixed_size: 0
    .sgpr_count:     4
    .sgpr_spill_count: 0
    .symbol:         _ZN7rocprim17ROCPRIM_400000_NS6detail17trampoline_kernelINS0_14default_configENS1_25partition_config_selectorILNS1_17partition_subalgoE1EjNS0_10empty_typeEbEEZZNS1_14partition_implILS5_1ELb0ES3_jN6thrust23THRUST_200600_302600_NS6detail15normal_iteratorINSA_10device_ptrIjEEEEPS6_NSA_18transform_iteratorI7is_evenIjESF_NSA_11use_defaultESK_EENS0_5tupleIJSF_SF_EEENSM_IJSG_SG_EEES6_PlJS6_EEE10hipError_tPvRmT3_T4_T5_T6_T7_T9_mT8_P12ihipStream_tbDpT10_ENKUlT_T0_E_clISt17integral_constantIbLb1EES18_IbLb0EEEEDaS14_S15_EUlS14_E_NS1_11comp_targetILNS1_3genE0ELNS1_11target_archE4294967295ELNS1_3gpuE0ELNS1_3repE0EEENS1_30default_config_static_selectorELNS0_4arch9wavefront6targetE1EEEvT1_.kd
    .uniform_work_group_size: 1
    .uses_dynamic_stack: false
    .vgpr_count:     0
    .vgpr_spill_count: 0
    .wavefront_size: 64
  - .agpr_count:     0
    .args:
      - .offset:         0
        .size:           128
        .value_kind:     by_value
    .group_segment_fixed_size: 0
    .kernarg_segment_align: 8
    .kernarg_segment_size: 128
    .language:       OpenCL C
    .language_version:
      - 2
      - 0
    .max_flat_workgroup_size: 512
    .name:           _ZN7rocprim17ROCPRIM_400000_NS6detail17trampoline_kernelINS0_14default_configENS1_25partition_config_selectorILNS1_17partition_subalgoE1EjNS0_10empty_typeEbEEZZNS1_14partition_implILS5_1ELb0ES3_jN6thrust23THRUST_200600_302600_NS6detail15normal_iteratorINSA_10device_ptrIjEEEEPS6_NSA_18transform_iteratorI7is_evenIjESF_NSA_11use_defaultESK_EENS0_5tupleIJSF_SF_EEENSM_IJSG_SG_EEES6_PlJS6_EEE10hipError_tPvRmT3_T4_T5_T6_T7_T9_mT8_P12ihipStream_tbDpT10_ENKUlT_T0_E_clISt17integral_constantIbLb1EES18_IbLb0EEEEDaS14_S15_EUlS14_E_NS1_11comp_targetILNS1_3genE5ELNS1_11target_archE942ELNS1_3gpuE9ELNS1_3repE0EEENS1_30default_config_static_selectorELNS0_4arch9wavefront6targetE1EEEvT1_
    .private_segment_fixed_size: 0
    .sgpr_count:     4
    .sgpr_spill_count: 0
    .symbol:         _ZN7rocprim17ROCPRIM_400000_NS6detail17trampoline_kernelINS0_14default_configENS1_25partition_config_selectorILNS1_17partition_subalgoE1EjNS0_10empty_typeEbEEZZNS1_14partition_implILS5_1ELb0ES3_jN6thrust23THRUST_200600_302600_NS6detail15normal_iteratorINSA_10device_ptrIjEEEEPS6_NSA_18transform_iteratorI7is_evenIjESF_NSA_11use_defaultESK_EENS0_5tupleIJSF_SF_EEENSM_IJSG_SG_EEES6_PlJS6_EEE10hipError_tPvRmT3_T4_T5_T6_T7_T9_mT8_P12ihipStream_tbDpT10_ENKUlT_T0_E_clISt17integral_constantIbLb1EES18_IbLb0EEEEDaS14_S15_EUlS14_E_NS1_11comp_targetILNS1_3genE5ELNS1_11target_archE942ELNS1_3gpuE9ELNS1_3repE0EEENS1_30default_config_static_selectorELNS0_4arch9wavefront6targetE1EEEvT1_.kd
    .uniform_work_group_size: 1
    .uses_dynamic_stack: false
    .vgpr_count:     0
    .vgpr_spill_count: 0
    .wavefront_size: 64
  - .agpr_count:     0
    .args:
      - .offset:         0
        .size:           128
        .value_kind:     by_value
    .group_segment_fixed_size: 7176
    .kernarg_segment_align: 8
    .kernarg_segment_size: 128
    .language:       OpenCL C
    .language_version:
      - 2
      - 0
    .max_flat_workgroup_size: 256
    .name:           _ZN7rocprim17ROCPRIM_400000_NS6detail17trampoline_kernelINS0_14default_configENS1_25partition_config_selectorILNS1_17partition_subalgoE1EjNS0_10empty_typeEbEEZZNS1_14partition_implILS5_1ELb0ES3_jN6thrust23THRUST_200600_302600_NS6detail15normal_iteratorINSA_10device_ptrIjEEEEPS6_NSA_18transform_iteratorI7is_evenIjESF_NSA_11use_defaultESK_EENS0_5tupleIJSF_SF_EEENSM_IJSG_SG_EEES6_PlJS6_EEE10hipError_tPvRmT3_T4_T5_T6_T7_T9_mT8_P12ihipStream_tbDpT10_ENKUlT_T0_E_clISt17integral_constantIbLb1EES18_IbLb0EEEEDaS14_S15_EUlS14_E_NS1_11comp_targetILNS1_3genE4ELNS1_11target_archE910ELNS1_3gpuE8ELNS1_3repE0EEENS1_30default_config_static_selectorELNS0_4arch9wavefront6targetE1EEEvT1_
    .private_segment_fixed_size: 0
    .sgpr_count:     48
    .sgpr_spill_count: 0
    .symbol:         _ZN7rocprim17ROCPRIM_400000_NS6detail17trampoline_kernelINS0_14default_configENS1_25partition_config_selectorILNS1_17partition_subalgoE1EjNS0_10empty_typeEbEEZZNS1_14partition_implILS5_1ELb0ES3_jN6thrust23THRUST_200600_302600_NS6detail15normal_iteratorINSA_10device_ptrIjEEEEPS6_NSA_18transform_iteratorI7is_evenIjESF_NSA_11use_defaultESK_EENS0_5tupleIJSF_SF_EEENSM_IJSG_SG_EEES6_PlJS6_EEE10hipError_tPvRmT3_T4_T5_T6_T7_T9_mT8_P12ihipStream_tbDpT10_ENKUlT_T0_E_clISt17integral_constantIbLb1EES18_IbLb0EEEEDaS14_S15_EUlS14_E_NS1_11comp_targetILNS1_3genE4ELNS1_11target_archE910ELNS1_3gpuE8ELNS1_3repE0EEENS1_30default_config_static_selectorELNS0_4arch9wavefront6targetE1EEEvT1_.kd
    .uniform_work_group_size: 1
    .uses_dynamic_stack: false
    .vgpr_count:     47
    .vgpr_spill_count: 0
    .wavefront_size: 64
  - .agpr_count:     0
    .args:
      - .offset:         0
        .size:           128
        .value_kind:     by_value
    .group_segment_fixed_size: 0
    .kernarg_segment_align: 8
    .kernarg_segment_size: 128
    .language:       OpenCL C
    .language_version:
      - 2
      - 0
    .max_flat_workgroup_size: 256
    .name:           _ZN7rocprim17ROCPRIM_400000_NS6detail17trampoline_kernelINS0_14default_configENS1_25partition_config_selectorILNS1_17partition_subalgoE1EjNS0_10empty_typeEbEEZZNS1_14partition_implILS5_1ELb0ES3_jN6thrust23THRUST_200600_302600_NS6detail15normal_iteratorINSA_10device_ptrIjEEEEPS6_NSA_18transform_iteratorI7is_evenIjESF_NSA_11use_defaultESK_EENS0_5tupleIJSF_SF_EEENSM_IJSG_SG_EEES6_PlJS6_EEE10hipError_tPvRmT3_T4_T5_T6_T7_T9_mT8_P12ihipStream_tbDpT10_ENKUlT_T0_E_clISt17integral_constantIbLb1EES18_IbLb0EEEEDaS14_S15_EUlS14_E_NS1_11comp_targetILNS1_3genE3ELNS1_11target_archE908ELNS1_3gpuE7ELNS1_3repE0EEENS1_30default_config_static_selectorELNS0_4arch9wavefront6targetE1EEEvT1_
    .private_segment_fixed_size: 0
    .sgpr_count:     4
    .sgpr_spill_count: 0
    .symbol:         _ZN7rocprim17ROCPRIM_400000_NS6detail17trampoline_kernelINS0_14default_configENS1_25partition_config_selectorILNS1_17partition_subalgoE1EjNS0_10empty_typeEbEEZZNS1_14partition_implILS5_1ELb0ES3_jN6thrust23THRUST_200600_302600_NS6detail15normal_iteratorINSA_10device_ptrIjEEEEPS6_NSA_18transform_iteratorI7is_evenIjESF_NSA_11use_defaultESK_EENS0_5tupleIJSF_SF_EEENSM_IJSG_SG_EEES6_PlJS6_EEE10hipError_tPvRmT3_T4_T5_T6_T7_T9_mT8_P12ihipStream_tbDpT10_ENKUlT_T0_E_clISt17integral_constantIbLb1EES18_IbLb0EEEEDaS14_S15_EUlS14_E_NS1_11comp_targetILNS1_3genE3ELNS1_11target_archE908ELNS1_3gpuE7ELNS1_3repE0EEENS1_30default_config_static_selectorELNS0_4arch9wavefront6targetE1EEEvT1_.kd
    .uniform_work_group_size: 1
    .uses_dynamic_stack: false
    .vgpr_count:     0
    .vgpr_spill_count: 0
    .wavefront_size: 64
  - .agpr_count:     0
    .args:
      - .offset:         0
        .size:           128
        .value_kind:     by_value
    .group_segment_fixed_size: 0
    .kernarg_segment_align: 8
    .kernarg_segment_size: 128
    .language:       OpenCL C
    .language_version:
      - 2
      - 0
    .max_flat_workgroup_size: 256
    .name:           _ZN7rocprim17ROCPRIM_400000_NS6detail17trampoline_kernelINS0_14default_configENS1_25partition_config_selectorILNS1_17partition_subalgoE1EjNS0_10empty_typeEbEEZZNS1_14partition_implILS5_1ELb0ES3_jN6thrust23THRUST_200600_302600_NS6detail15normal_iteratorINSA_10device_ptrIjEEEEPS6_NSA_18transform_iteratorI7is_evenIjESF_NSA_11use_defaultESK_EENS0_5tupleIJSF_SF_EEENSM_IJSG_SG_EEES6_PlJS6_EEE10hipError_tPvRmT3_T4_T5_T6_T7_T9_mT8_P12ihipStream_tbDpT10_ENKUlT_T0_E_clISt17integral_constantIbLb1EES18_IbLb0EEEEDaS14_S15_EUlS14_E_NS1_11comp_targetILNS1_3genE2ELNS1_11target_archE906ELNS1_3gpuE6ELNS1_3repE0EEENS1_30default_config_static_selectorELNS0_4arch9wavefront6targetE1EEEvT1_
    .private_segment_fixed_size: 0
    .sgpr_count:     4
    .sgpr_spill_count: 0
    .symbol:         _ZN7rocprim17ROCPRIM_400000_NS6detail17trampoline_kernelINS0_14default_configENS1_25partition_config_selectorILNS1_17partition_subalgoE1EjNS0_10empty_typeEbEEZZNS1_14partition_implILS5_1ELb0ES3_jN6thrust23THRUST_200600_302600_NS6detail15normal_iteratorINSA_10device_ptrIjEEEEPS6_NSA_18transform_iteratorI7is_evenIjESF_NSA_11use_defaultESK_EENS0_5tupleIJSF_SF_EEENSM_IJSG_SG_EEES6_PlJS6_EEE10hipError_tPvRmT3_T4_T5_T6_T7_T9_mT8_P12ihipStream_tbDpT10_ENKUlT_T0_E_clISt17integral_constantIbLb1EES18_IbLb0EEEEDaS14_S15_EUlS14_E_NS1_11comp_targetILNS1_3genE2ELNS1_11target_archE906ELNS1_3gpuE6ELNS1_3repE0EEENS1_30default_config_static_selectorELNS0_4arch9wavefront6targetE1EEEvT1_.kd
    .uniform_work_group_size: 1
    .uses_dynamic_stack: false
    .vgpr_count:     0
    .vgpr_spill_count: 0
    .wavefront_size: 64
  - .agpr_count:     0
    .args:
      - .offset:         0
        .size:           128
        .value_kind:     by_value
    .group_segment_fixed_size: 0
    .kernarg_segment_align: 8
    .kernarg_segment_size: 128
    .language:       OpenCL C
    .language_version:
      - 2
      - 0
    .max_flat_workgroup_size: 256
    .name:           _ZN7rocprim17ROCPRIM_400000_NS6detail17trampoline_kernelINS0_14default_configENS1_25partition_config_selectorILNS1_17partition_subalgoE1EjNS0_10empty_typeEbEEZZNS1_14partition_implILS5_1ELb0ES3_jN6thrust23THRUST_200600_302600_NS6detail15normal_iteratorINSA_10device_ptrIjEEEEPS6_NSA_18transform_iteratorI7is_evenIjESF_NSA_11use_defaultESK_EENS0_5tupleIJSF_SF_EEENSM_IJSG_SG_EEES6_PlJS6_EEE10hipError_tPvRmT3_T4_T5_T6_T7_T9_mT8_P12ihipStream_tbDpT10_ENKUlT_T0_E_clISt17integral_constantIbLb1EES18_IbLb0EEEEDaS14_S15_EUlS14_E_NS1_11comp_targetILNS1_3genE10ELNS1_11target_archE1200ELNS1_3gpuE4ELNS1_3repE0EEENS1_30default_config_static_selectorELNS0_4arch9wavefront6targetE1EEEvT1_
    .private_segment_fixed_size: 0
    .sgpr_count:     4
    .sgpr_spill_count: 0
    .symbol:         _ZN7rocprim17ROCPRIM_400000_NS6detail17trampoline_kernelINS0_14default_configENS1_25partition_config_selectorILNS1_17partition_subalgoE1EjNS0_10empty_typeEbEEZZNS1_14partition_implILS5_1ELb0ES3_jN6thrust23THRUST_200600_302600_NS6detail15normal_iteratorINSA_10device_ptrIjEEEEPS6_NSA_18transform_iteratorI7is_evenIjESF_NSA_11use_defaultESK_EENS0_5tupleIJSF_SF_EEENSM_IJSG_SG_EEES6_PlJS6_EEE10hipError_tPvRmT3_T4_T5_T6_T7_T9_mT8_P12ihipStream_tbDpT10_ENKUlT_T0_E_clISt17integral_constantIbLb1EES18_IbLb0EEEEDaS14_S15_EUlS14_E_NS1_11comp_targetILNS1_3genE10ELNS1_11target_archE1200ELNS1_3gpuE4ELNS1_3repE0EEENS1_30default_config_static_selectorELNS0_4arch9wavefront6targetE1EEEvT1_.kd
    .uniform_work_group_size: 1
    .uses_dynamic_stack: false
    .vgpr_count:     0
    .vgpr_spill_count: 0
    .wavefront_size: 64
  - .agpr_count:     0
    .args:
      - .offset:         0
        .size:           128
        .value_kind:     by_value
    .group_segment_fixed_size: 0
    .kernarg_segment_align: 8
    .kernarg_segment_size: 128
    .language:       OpenCL C
    .language_version:
      - 2
      - 0
    .max_flat_workgroup_size: 128
    .name:           _ZN7rocprim17ROCPRIM_400000_NS6detail17trampoline_kernelINS0_14default_configENS1_25partition_config_selectorILNS1_17partition_subalgoE1EjNS0_10empty_typeEbEEZZNS1_14partition_implILS5_1ELb0ES3_jN6thrust23THRUST_200600_302600_NS6detail15normal_iteratorINSA_10device_ptrIjEEEEPS6_NSA_18transform_iteratorI7is_evenIjESF_NSA_11use_defaultESK_EENS0_5tupleIJSF_SF_EEENSM_IJSG_SG_EEES6_PlJS6_EEE10hipError_tPvRmT3_T4_T5_T6_T7_T9_mT8_P12ihipStream_tbDpT10_ENKUlT_T0_E_clISt17integral_constantIbLb1EES18_IbLb0EEEEDaS14_S15_EUlS14_E_NS1_11comp_targetILNS1_3genE9ELNS1_11target_archE1100ELNS1_3gpuE3ELNS1_3repE0EEENS1_30default_config_static_selectorELNS0_4arch9wavefront6targetE1EEEvT1_
    .private_segment_fixed_size: 0
    .sgpr_count:     4
    .sgpr_spill_count: 0
    .symbol:         _ZN7rocprim17ROCPRIM_400000_NS6detail17trampoline_kernelINS0_14default_configENS1_25partition_config_selectorILNS1_17partition_subalgoE1EjNS0_10empty_typeEbEEZZNS1_14partition_implILS5_1ELb0ES3_jN6thrust23THRUST_200600_302600_NS6detail15normal_iteratorINSA_10device_ptrIjEEEEPS6_NSA_18transform_iteratorI7is_evenIjESF_NSA_11use_defaultESK_EENS0_5tupleIJSF_SF_EEENSM_IJSG_SG_EEES6_PlJS6_EEE10hipError_tPvRmT3_T4_T5_T6_T7_T9_mT8_P12ihipStream_tbDpT10_ENKUlT_T0_E_clISt17integral_constantIbLb1EES18_IbLb0EEEEDaS14_S15_EUlS14_E_NS1_11comp_targetILNS1_3genE9ELNS1_11target_archE1100ELNS1_3gpuE3ELNS1_3repE0EEENS1_30default_config_static_selectorELNS0_4arch9wavefront6targetE1EEEvT1_.kd
    .uniform_work_group_size: 1
    .uses_dynamic_stack: false
    .vgpr_count:     0
    .vgpr_spill_count: 0
    .wavefront_size: 64
  - .agpr_count:     0
    .args:
      - .offset:         0
        .size:           128
        .value_kind:     by_value
    .group_segment_fixed_size: 0
    .kernarg_segment_align: 8
    .kernarg_segment_size: 128
    .language:       OpenCL C
    .language_version:
      - 2
      - 0
    .max_flat_workgroup_size: 512
    .name:           _ZN7rocprim17ROCPRIM_400000_NS6detail17trampoline_kernelINS0_14default_configENS1_25partition_config_selectorILNS1_17partition_subalgoE1EjNS0_10empty_typeEbEEZZNS1_14partition_implILS5_1ELb0ES3_jN6thrust23THRUST_200600_302600_NS6detail15normal_iteratorINSA_10device_ptrIjEEEEPS6_NSA_18transform_iteratorI7is_evenIjESF_NSA_11use_defaultESK_EENS0_5tupleIJSF_SF_EEENSM_IJSG_SG_EEES6_PlJS6_EEE10hipError_tPvRmT3_T4_T5_T6_T7_T9_mT8_P12ihipStream_tbDpT10_ENKUlT_T0_E_clISt17integral_constantIbLb1EES18_IbLb0EEEEDaS14_S15_EUlS14_E_NS1_11comp_targetILNS1_3genE8ELNS1_11target_archE1030ELNS1_3gpuE2ELNS1_3repE0EEENS1_30default_config_static_selectorELNS0_4arch9wavefront6targetE1EEEvT1_
    .private_segment_fixed_size: 0
    .sgpr_count:     4
    .sgpr_spill_count: 0
    .symbol:         _ZN7rocprim17ROCPRIM_400000_NS6detail17trampoline_kernelINS0_14default_configENS1_25partition_config_selectorILNS1_17partition_subalgoE1EjNS0_10empty_typeEbEEZZNS1_14partition_implILS5_1ELb0ES3_jN6thrust23THRUST_200600_302600_NS6detail15normal_iteratorINSA_10device_ptrIjEEEEPS6_NSA_18transform_iteratorI7is_evenIjESF_NSA_11use_defaultESK_EENS0_5tupleIJSF_SF_EEENSM_IJSG_SG_EEES6_PlJS6_EEE10hipError_tPvRmT3_T4_T5_T6_T7_T9_mT8_P12ihipStream_tbDpT10_ENKUlT_T0_E_clISt17integral_constantIbLb1EES18_IbLb0EEEEDaS14_S15_EUlS14_E_NS1_11comp_targetILNS1_3genE8ELNS1_11target_archE1030ELNS1_3gpuE2ELNS1_3repE0EEENS1_30default_config_static_selectorELNS0_4arch9wavefront6targetE1EEEvT1_.kd
    .uniform_work_group_size: 1
    .uses_dynamic_stack: false
    .vgpr_count:     0
    .vgpr_spill_count: 0
    .wavefront_size: 64
  - .agpr_count:     0
    .args:
      - .offset:         0
        .size:           144
        .value_kind:     by_value
    .group_segment_fixed_size: 0
    .kernarg_segment_align: 8
    .kernarg_segment_size: 144
    .language:       OpenCL C
    .language_version:
      - 2
      - 0
    .max_flat_workgroup_size: 256
    .name:           _ZN7rocprim17ROCPRIM_400000_NS6detail17trampoline_kernelINS0_14default_configENS1_25partition_config_selectorILNS1_17partition_subalgoE1EjNS0_10empty_typeEbEEZZNS1_14partition_implILS5_1ELb0ES3_jN6thrust23THRUST_200600_302600_NS6detail15normal_iteratorINSA_10device_ptrIjEEEEPS6_NSA_18transform_iteratorI7is_evenIjESF_NSA_11use_defaultESK_EENS0_5tupleIJSF_SF_EEENSM_IJSG_SG_EEES6_PlJS6_EEE10hipError_tPvRmT3_T4_T5_T6_T7_T9_mT8_P12ihipStream_tbDpT10_ENKUlT_T0_E_clISt17integral_constantIbLb0EES18_IbLb1EEEEDaS14_S15_EUlS14_E_NS1_11comp_targetILNS1_3genE0ELNS1_11target_archE4294967295ELNS1_3gpuE0ELNS1_3repE0EEENS1_30default_config_static_selectorELNS0_4arch9wavefront6targetE1EEEvT1_
    .private_segment_fixed_size: 0
    .sgpr_count:     4
    .sgpr_spill_count: 0
    .symbol:         _ZN7rocprim17ROCPRIM_400000_NS6detail17trampoline_kernelINS0_14default_configENS1_25partition_config_selectorILNS1_17partition_subalgoE1EjNS0_10empty_typeEbEEZZNS1_14partition_implILS5_1ELb0ES3_jN6thrust23THRUST_200600_302600_NS6detail15normal_iteratorINSA_10device_ptrIjEEEEPS6_NSA_18transform_iteratorI7is_evenIjESF_NSA_11use_defaultESK_EENS0_5tupleIJSF_SF_EEENSM_IJSG_SG_EEES6_PlJS6_EEE10hipError_tPvRmT3_T4_T5_T6_T7_T9_mT8_P12ihipStream_tbDpT10_ENKUlT_T0_E_clISt17integral_constantIbLb0EES18_IbLb1EEEEDaS14_S15_EUlS14_E_NS1_11comp_targetILNS1_3genE0ELNS1_11target_archE4294967295ELNS1_3gpuE0ELNS1_3repE0EEENS1_30default_config_static_selectorELNS0_4arch9wavefront6targetE1EEEvT1_.kd
    .uniform_work_group_size: 1
    .uses_dynamic_stack: false
    .vgpr_count:     0
    .vgpr_spill_count: 0
    .wavefront_size: 64
  - .agpr_count:     0
    .args:
      - .offset:         0
        .size:           144
        .value_kind:     by_value
    .group_segment_fixed_size: 0
    .kernarg_segment_align: 8
    .kernarg_segment_size: 144
    .language:       OpenCL C
    .language_version:
      - 2
      - 0
    .max_flat_workgroup_size: 512
    .name:           _ZN7rocprim17ROCPRIM_400000_NS6detail17trampoline_kernelINS0_14default_configENS1_25partition_config_selectorILNS1_17partition_subalgoE1EjNS0_10empty_typeEbEEZZNS1_14partition_implILS5_1ELb0ES3_jN6thrust23THRUST_200600_302600_NS6detail15normal_iteratorINSA_10device_ptrIjEEEEPS6_NSA_18transform_iteratorI7is_evenIjESF_NSA_11use_defaultESK_EENS0_5tupleIJSF_SF_EEENSM_IJSG_SG_EEES6_PlJS6_EEE10hipError_tPvRmT3_T4_T5_T6_T7_T9_mT8_P12ihipStream_tbDpT10_ENKUlT_T0_E_clISt17integral_constantIbLb0EES18_IbLb1EEEEDaS14_S15_EUlS14_E_NS1_11comp_targetILNS1_3genE5ELNS1_11target_archE942ELNS1_3gpuE9ELNS1_3repE0EEENS1_30default_config_static_selectorELNS0_4arch9wavefront6targetE1EEEvT1_
    .private_segment_fixed_size: 0
    .sgpr_count:     4
    .sgpr_spill_count: 0
    .symbol:         _ZN7rocprim17ROCPRIM_400000_NS6detail17trampoline_kernelINS0_14default_configENS1_25partition_config_selectorILNS1_17partition_subalgoE1EjNS0_10empty_typeEbEEZZNS1_14partition_implILS5_1ELb0ES3_jN6thrust23THRUST_200600_302600_NS6detail15normal_iteratorINSA_10device_ptrIjEEEEPS6_NSA_18transform_iteratorI7is_evenIjESF_NSA_11use_defaultESK_EENS0_5tupleIJSF_SF_EEENSM_IJSG_SG_EEES6_PlJS6_EEE10hipError_tPvRmT3_T4_T5_T6_T7_T9_mT8_P12ihipStream_tbDpT10_ENKUlT_T0_E_clISt17integral_constantIbLb0EES18_IbLb1EEEEDaS14_S15_EUlS14_E_NS1_11comp_targetILNS1_3genE5ELNS1_11target_archE942ELNS1_3gpuE9ELNS1_3repE0EEENS1_30default_config_static_selectorELNS0_4arch9wavefront6targetE1EEEvT1_.kd
    .uniform_work_group_size: 1
    .uses_dynamic_stack: false
    .vgpr_count:     0
    .vgpr_spill_count: 0
    .wavefront_size: 64
  - .agpr_count:     0
    .args:
      - .offset:         0
        .size:           144
        .value_kind:     by_value
    .group_segment_fixed_size: 7176
    .kernarg_segment_align: 8
    .kernarg_segment_size: 144
    .language:       OpenCL C
    .language_version:
      - 2
      - 0
    .max_flat_workgroup_size: 256
    .name:           _ZN7rocprim17ROCPRIM_400000_NS6detail17trampoline_kernelINS0_14default_configENS1_25partition_config_selectorILNS1_17partition_subalgoE1EjNS0_10empty_typeEbEEZZNS1_14partition_implILS5_1ELb0ES3_jN6thrust23THRUST_200600_302600_NS6detail15normal_iteratorINSA_10device_ptrIjEEEEPS6_NSA_18transform_iteratorI7is_evenIjESF_NSA_11use_defaultESK_EENS0_5tupleIJSF_SF_EEENSM_IJSG_SG_EEES6_PlJS6_EEE10hipError_tPvRmT3_T4_T5_T6_T7_T9_mT8_P12ihipStream_tbDpT10_ENKUlT_T0_E_clISt17integral_constantIbLb0EES18_IbLb1EEEEDaS14_S15_EUlS14_E_NS1_11comp_targetILNS1_3genE4ELNS1_11target_archE910ELNS1_3gpuE8ELNS1_3repE0EEENS1_30default_config_static_selectorELNS0_4arch9wavefront6targetE1EEEvT1_
    .private_segment_fixed_size: 0
    .sgpr_count:     48
    .sgpr_spill_count: 0
    .symbol:         _ZN7rocprim17ROCPRIM_400000_NS6detail17trampoline_kernelINS0_14default_configENS1_25partition_config_selectorILNS1_17partition_subalgoE1EjNS0_10empty_typeEbEEZZNS1_14partition_implILS5_1ELb0ES3_jN6thrust23THRUST_200600_302600_NS6detail15normal_iteratorINSA_10device_ptrIjEEEEPS6_NSA_18transform_iteratorI7is_evenIjESF_NSA_11use_defaultESK_EENS0_5tupleIJSF_SF_EEENSM_IJSG_SG_EEES6_PlJS6_EEE10hipError_tPvRmT3_T4_T5_T6_T7_T9_mT8_P12ihipStream_tbDpT10_ENKUlT_T0_E_clISt17integral_constantIbLb0EES18_IbLb1EEEEDaS14_S15_EUlS14_E_NS1_11comp_targetILNS1_3genE4ELNS1_11target_archE910ELNS1_3gpuE8ELNS1_3repE0EEENS1_30default_config_static_selectorELNS0_4arch9wavefront6targetE1EEEvT1_.kd
    .uniform_work_group_size: 1
    .uses_dynamic_stack: false
    .vgpr_count:     51
    .vgpr_spill_count: 0
    .wavefront_size: 64
  - .agpr_count:     0
    .args:
      - .offset:         0
        .size:           144
        .value_kind:     by_value
    .group_segment_fixed_size: 0
    .kernarg_segment_align: 8
    .kernarg_segment_size: 144
    .language:       OpenCL C
    .language_version:
      - 2
      - 0
    .max_flat_workgroup_size: 256
    .name:           _ZN7rocprim17ROCPRIM_400000_NS6detail17trampoline_kernelINS0_14default_configENS1_25partition_config_selectorILNS1_17partition_subalgoE1EjNS0_10empty_typeEbEEZZNS1_14partition_implILS5_1ELb0ES3_jN6thrust23THRUST_200600_302600_NS6detail15normal_iteratorINSA_10device_ptrIjEEEEPS6_NSA_18transform_iteratorI7is_evenIjESF_NSA_11use_defaultESK_EENS0_5tupleIJSF_SF_EEENSM_IJSG_SG_EEES6_PlJS6_EEE10hipError_tPvRmT3_T4_T5_T6_T7_T9_mT8_P12ihipStream_tbDpT10_ENKUlT_T0_E_clISt17integral_constantIbLb0EES18_IbLb1EEEEDaS14_S15_EUlS14_E_NS1_11comp_targetILNS1_3genE3ELNS1_11target_archE908ELNS1_3gpuE7ELNS1_3repE0EEENS1_30default_config_static_selectorELNS0_4arch9wavefront6targetE1EEEvT1_
    .private_segment_fixed_size: 0
    .sgpr_count:     4
    .sgpr_spill_count: 0
    .symbol:         _ZN7rocprim17ROCPRIM_400000_NS6detail17trampoline_kernelINS0_14default_configENS1_25partition_config_selectorILNS1_17partition_subalgoE1EjNS0_10empty_typeEbEEZZNS1_14partition_implILS5_1ELb0ES3_jN6thrust23THRUST_200600_302600_NS6detail15normal_iteratorINSA_10device_ptrIjEEEEPS6_NSA_18transform_iteratorI7is_evenIjESF_NSA_11use_defaultESK_EENS0_5tupleIJSF_SF_EEENSM_IJSG_SG_EEES6_PlJS6_EEE10hipError_tPvRmT3_T4_T5_T6_T7_T9_mT8_P12ihipStream_tbDpT10_ENKUlT_T0_E_clISt17integral_constantIbLb0EES18_IbLb1EEEEDaS14_S15_EUlS14_E_NS1_11comp_targetILNS1_3genE3ELNS1_11target_archE908ELNS1_3gpuE7ELNS1_3repE0EEENS1_30default_config_static_selectorELNS0_4arch9wavefront6targetE1EEEvT1_.kd
    .uniform_work_group_size: 1
    .uses_dynamic_stack: false
    .vgpr_count:     0
    .vgpr_spill_count: 0
    .wavefront_size: 64
  - .agpr_count:     0
    .args:
      - .offset:         0
        .size:           144
        .value_kind:     by_value
    .group_segment_fixed_size: 0
    .kernarg_segment_align: 8
    .kernarg_segment_size: 144
    .language:       OpenCL C
    .language_version:
      - 2
      - 0
    .max_flat_workgroup_size: 256
    .name:           _ZN7rocprim17ROCPRIM_400000_NS6detail17trampoline_kernelINS0_14default_configENS1_25partition_config_selectorILNS1_17partition_subalgoE1EjNS0_10empty_typeEbEEZZNS1_14partition_implILS5_1ELb0ES3_jN6thrust23THRUST_200600_302600_NS6detail15normal_iteratorINSA_10device_ptrIjEEEEPS6_NSA_18transform_iteratorI7is_evenIjESF_NSA_11use_defaultESK_EENS0_5tupleIJSF_SF_EEENSM_IJSG_SG_EEES6_PlJS6_EEE10hipError_tPvRmT3_T4_T5_T6_T7_T9_mT8_P12ihipStream_tbDpT10_ENKUlT_T0_E_clISt17integral_constantIbLb0EES18_IbLb1EEEEDaS14_S15_EUlS14_E_NS1_11comp_targetILNS1_3genE2ELNS1_11target_archE906ELNS1_3gpuE6ELNS1_3repE0EEENS1_30default_config_static_selectorELNS0_4arch9wavefront6targetE1EEEvT1_
    .private_segment_fixed_size: 0
    .sgpr_count:     4
    .sgpr_spill_count: 0
    .symbol:         _ZN7rocprim17ROCPRIM_400000_NS6detail17trampoline_kernelINS0_14default_configENS1_25partition_config_selectorILNS1_17partition_subalgoE1EjNS0_10empty_typeEbEEZZNS1_14partition_implILS5_1ELb0ES3_jN6thrust23THRUST_200600_302600_NS6detail15normal_iteratorINSA_10device_ptrIjEEEEPS6_NSA_18transform_iteratorI7is_evenIjESF_NSA_11use_defaultESK_EENS0_5tupleIJSF_SF_EEENSM_IJSG_SG_EEES6_PlJS6_EEE10hipError_tPvRmT3_T4_T5_T6_T7_T9_mT8_P12ihipStream_tbDpT10_ENKUlT_T0_E_clISt17integral_constantIbLb0EES18_IbLb1EEEEDaS14_S15_EUlS14_E_NS1_11comp_targetILNS1_3genE2ELNS1_11target_archE906ELNS1_3gpuE6ELNS1_3repE0EEENS1_30default_config_static_selectorELNS0_4arch9wavefront6targetE1EEEvT1_.kd
    .uniform_work_group_size: 1
    .uses_dynamic_stack: false
    .vgpr_count:     0
    .vgpr_spill_count: 0
    .wavefront_size: 64
  - .agpr_count:     0
    .args:
      - .offset:         0
        .size:           144
        .value_kind:     by_value
    .group_segment_fixed_size: 0
    .kernarg_segment_align: 8
    .kernarg_segment_size: 144
    .language:       OpenCL C
    .language_version:
      - 2
      - 0
    .max_flat_workgroup_size: 256
    .name:           _ZN7rocprim17ROCPRIM_400000_NS6detail17trampoline_kernelINS0_14default_configENS1_25partition_config_selectorILNS1_17partition_subalgoE1EjNS0_10empty_typeEbEEZZNS1_14partition_implILS5_1ELb0ES3_jN6thrust23THRUST_200600_302600_NS6detail15normal_iteratorINSA_10device_ptrIjEEEEPS6_NSA_18transform_iteratorI7is_evenIjESF_NSA_11use_defaultESK_EENS0_5tupleIJSF_SF_EEENSM_IJSG_SG_EEES6_PlJS6_EEE10hipError_tPvRmT3_T4_T5_T6_T7_T9_mT8_P12ihipStream_tbDpT10_ENKUlT_T0_E_clISt17integral_constantIbLb0EES18_IbLb1EEEEDaS14_S15_EUlS14_E_NS1_11comp_targetILNS1_3genE10ELNS1_11target_archE1200ELNS1_3gpuE4ELNS1_3repE0EEENS1_30default_config_static_selectorELNS0_4arch9wavefront6targetE1EEEvT1_
    .private_segment_fixed_size: 0
    .sgpr_count:     4
    .sgpr_spill_count: 0
    .symbol:         _ZN7rocprim17ROCPRIM_400000_NS6detail17trampoline_kernelINS0_14default_configENS1_25partition_config_selectorILNS1_17partition_subalgoE1EjNS0_10empty_typeEbEEZZNS1_14partition_implILS5_1ELb0ES3_jN6thrust23THRUST_200600_302600_NS6detail15normal_iteratorINSA_10device_ptrIjEEEEPS6_NSA_18transform_iteratorI7is_evenIjESF_NSA_11use_defaultESK_EENS0_5tupleIJSF_SF_EEENSM_IJSG_SG_EEES6_PlJS6_EEE10hipError_tPvRmT3_T4_T5_T6_T7_T9_mT8_P12ihipStream_tbDpT10_ENKUlT_T0_E_clISt17integral_constantIbLb0EES18_IbLb1EEEEDaS14_S15_EUlS14_E_NS1_11comp_targetILNS1_3genE10ELNS1_11target_archE1200ELNS1_3gpuE4ELNS1_3repE0EEENS1_30default_config_static_selectorELNS0_4arch9wavefront6targetE1EEEvT1_.kd
    .uniform_work_group_size: 1
    .uses_dynamic_stack: false
    .vgpr_count:     0
    .vgpr_spill_count: 0
    .wavefront_size: 64
  - .agpr_count:     0
    .args:
      - .offset:         0
        .size:           144
        .value_kind:     by_value
    .group_segment_fixed_size: 0
    .kernarg_segment_align: 8
    .kernarg_segment_size: 144
    .language:       OpenCL C
    .language_version:
      - 2
      - 0
    .max_flat_workgroup_size: 128
    .name:           _ZN7rocprim17ROCPRIM_400000_NS6detail17trampoline_kernelINS0_14default_configENS1_25partition_config_selectorILNS1_17partition_subalgoE1EjNS0_10empty_typeEbEEZZNS1_14partition_implILS5_1ELb0ES3_jN6thrust23THRUST_200600_302600_NS6detail15normal_iteratorINSA_10device_ptrIjEEEEPS6_NSA_18transform_iteratorI7is_evenIjESF_NSA_11use_defaultESK_EENS0_5tupleIJSF_SF_EEENSM_IJSG_SG_EEES6_PlJS6_EEE10hipError_tPvRmT3_T4_T5_T6_T7_T9_mT8_P12ihipStream_tbDpT10_ENKUlT_T0_E_clISt17integral_constantIbLb0EES18_IbLb1EEEEDaS14_S15_EUlS14_E_NS1_11comp_targetILNS1_3genE9ELNS1_11target_archE1100ELNS1_3gpuE3ELNS1_3repE0EEENS1_30default_config_static_selectorELNS0_4arch9wavefront6targetE1EEEvT1_
    .private_segment_fixed_size: 0
    .sgpr_count:     4
    .sgpr_spill_count: 0
    .symbol:         _ZN7rocprim17ROCPRIM_400000_NS6detail17trampoline_kernelINS0_14default_configENS1_25partition_config_selectorILNS1_17partition_subalgoE1EjNS0_10empty_typeEbEEZZNS1_14partition_implILS5_1ELb0ES3_jN6thrust23THRUST_200600_302600_NS6detail15normal_iteratorINSA_10device_ptrIjEEEEPS6_NSA_18transform_iteratorI7is_evenIjESF_NSA_11use_defaultESK_EENS0_5tupleIJSF_SF_EEENSM_IJSG_SG_EEES6_PlJS6_EEE10hipError_tPvRmT3_T4_T5_T6_T7_T9_mT8_P12ihipStream_tbDpT10_ENKUlT_T0_E_clISt17integral_constantIbLb0EES18_IbLb1EEEEDaS14_S15_EUlS14_E_NS1_11comp_targetILNS1_3genE9ELNS1_11target_archE1100ELNS1_3gpuE3ELNS1_3repE0EEENS1_30default_config_static_selectorELNS0_4arch9wavefront6targetE1EEEvT1_.kd
    .uniform_work_group_size: 1
    .uses_dynamic_stack: false
    .vgpr_count:     0
    .vgpr_spill_count: 0
    .wavefront_size: 64
  - .agpr_count:     0
    .args:
      - .offset:         0
        .size:           144
        .value_kind:     by_value
    .group_segment_fixed_size: 0
    .kernarg_segment_align: 8
    .kernarg_segment_size: 144
    .language:       OpenCL C
    .language_version:
      - 2
      - 0
    .max_flat_workgroup_size: 512
    .name:           _ZN7rocprim17ROCPRIM_400000_NS6detail17trampoline_kernelINS0_14default_configENS1_25partition_config_selectorILNS1_17partition_subalgoE1EjNS0_10empty_typeEbEEZZNS1_14partition_implILS5_1ELb0ES3_jN6thrust23THRUST_200600_302600_NS6detail15normal_iteratorINSA_10device_ptrIjEEEEPS6_NSA_18transform_iteratorI7is_evenIjESF_NSA_11use_defaultESK_EENS0_5tupleIJSF_SF_EEENSM_IJSG_SG_EEES6_PlJS6_EEE10hipError_tPvRmT3_T4_T5_T6_T7_T9_mT8_P12ihipStream_tbDpT10_ENKUlT_T0_E_clISt17integral_constantIbLb0EES18_IbLb1EEEEDaS14_S15_EUlS14_E_NS1_11comp_targetILNS1_3genE8ELNS1_11target_archE1030ELNS1_3gpuE2ELNS1_3repE0EEENS1_30default_config_static_selectorELNS0_4arch9wavefront6targetE1EEEvT1_
    .private_segment_fixed_size: 0
    .sgpr_count:     4
    .sgpr_spill_count: 0
    .symbol:         _ZN7rocprim17ROCPRIM_400000_NS6detail17trampoline_kernelINS0_14default_configENS1_25partition_config_selectorILNS1_17partition_subalgoE1EjNS0_10empty_typeEbEEZZNS1_14partition_implILS5_1ELb0ES3_jN6thrust23THRUST_200600_302600_NS6detail15normal_iteratorINSA_10device_ptrIjEEEEPS6_NSA_18transform_iteratorI7is_evenIjESF_NSA_11use_defaultESK_EENS0_5tupleIJSF_SF_EEENSM_IJSG_SG_EEES6_PlJS6_EEE10hipError_tPvRmT3_T4_T5_T6_T7_T9_mT8_P12ihipStream_tbDpT10_ENKUlT_T0_E_clISt17integral_constantIbLb0EES18_IbLb1EEEEDaS14_S15_EUlS14_E_NS1_11comp_targetILNS1_3genE8ELNS1_11target_archE1030ELNS1_3gpuE2ELNS1_3repE0EEENS1_30default_config_static_selectorELNS0_4arch9wavefront6targetE1EEEvT1_.kd
    .uniform_work_group_size: 1
    .uses_dynamic_stack: false
    .vgpr_count:     0
    .vgpr_spill_count: 0
    .wavefront_size: 64
  - .agpr_count:     0
    .args:
      - .offset:         0
        .size:           128
        .value_kind:     by_value
    .group_segment_fixed_size: 0
    .kernarg_segment_align: 8
    .kernarg_segment_size: 128
    .language:       OpenCL C
    .language_version:
      - 2
      - 0
    .max_flat_workgroup_size: 256
    .name:           _ZN7rocprim17ROCPRIM_400000_NS6detail17trampoline_kernelINS0_14default_configENS1_25partition_config_selectorILNS1_17partition_subalgoE1EtNS0_10empty_typeEbEEZZNS1_14partition_implILS5_1ELb0ES3_jN6thrust23THRUST_200600_302600_NS6detail15normal_iteratorINSA_10device_ptrItEEEEPS6_NSA_18transform_iteratorI7is_evenItESF_NSA_11use_defaultESK_EENS0_5tupleIJSF_SF_EEENSM_IJSG_SG_EEES6_PlJS6_EEE10hipError_tPvRmT3_T4_T5_T6_T7_T9_mT8_P12ihipStream_tbDpT10_ENKUlT_T0_E_clISt17integral_constantIbLb0EES19_EEDaS14_S15_EUlS14_E_NS1_11comp_targetILNS1_3genE0ELNS1_11target_archE4294967295ELNS1_3gpuE0ELNS1_3repE0EEENS1_30default_config_static_selectorELNS0_4arch9wavefront6targetE1EEEvT1_
    .private_segment_fixed_size: 0
    .sgpr_count:     4
    .sgpr_spill_count: 0
    .symbol:         _ZN7rocprim17ROCPRIM_400000_NS6detail17trampoline_kernelINS0_14default_configENS1_25partition_config_selectorILNS1_17partition_subalgoE1EtNS0_10empty_typeEbEEZZNS1_14partition_implILS5_1ELb0ES3_jN6thrust23THRUST_200600_302600_NS6detail15normal_iteratorINSA_10device_ptrItEEEEPS6_NSA_18transform_iteratorI7is_evenItESF_NSA_11use_defaultESK_EENS0_5tupleIJSF_SF_EEENSM_IJSG_SG_EEES6_PlJS6_EEE10hipError_tPvRmT3_T4_T5_T6_T7_T9_mT8_P12ihipStream_tbDpT10_ENKUlT_T0_E_clISt17integral_constantIbLb0EES19_EEDaS14_S15_EUlS14_E_NS1_11comp_targetILNS1_3genE0ELNS1_11target_archE4294967295ELNS1_3gpuE0ELNS1_3repE0EEENS1_30default_config_static_selectorELNS0_4arch9wavefront6targetE1EEEvT1_.kd
    .uniform_work_group_size: 1
    .uses_dynamic_stack: false
    .vgpr_count:     0
    .vgpr_spill_count: 0
    .wavefront_size: 64
  - .agpr_count:     0
    .args:
      - .offset:         0
        .size:           128
        .value_kind:     by_value
    .group_segment_fixed_size: 0
    .kernarg_segment_align: 8
    .kernarg_segment_size: 128
    .language:       OpenCL C
    .language_version:
      - 2
      - 0
    .max_flat_workgroup_size: 512
    .name:           _ZN7rocprim17ROCPRIM_400000_NS6detail17trampoline_kernelINS0_14default_configENS1_25partition_config_selectorILNS1_17partition_subalgoE1EtNS0_10empty_typeEbEEZZNS1_14partition_implILS5_1ELb0ES3_jN6thrust23THRUST_200600_302600_NS6detail15normal_iteratorINSA_10device_ptrItEEEEPS6_NSA_18transform_iteratorI7is_evenItESF_NSA_11use_defaultESK_EENS0_5tupleIJSF_SF_EEENSM_IJSG_SG_EEES6_PlJS6_EEE10hipError_tPvRmT3_T4_T5_T6_T7_T9_mT8_P12ihipStream_tbDpT10_ENKUlT_T0_E_clISt17integral_constantIbLb0EES19_EEDaS14_S15_EUlS14_E_NS1_11comp_targetILNS1_3genE5ELNS1_11target_archE942ELNS1_3gpuE9ELNS1_3repE0EEENS1_30default_config_static_selectorELNS0_4arch9wavefront6targetE1EEEvT1_
    .private_segment_fixed_size: 0
    .sgpr_count:     4
    .sgpr_spill_count: 0
    .symbol:         _ZN7rocprim17ROCPRIM_400000_NS6detail17trampoline_kernelINS0_14default_configENS1_25partition_config_selectorILNS1_17partition_subalgoE1EtNS0_10empty_typeEbEEZZNS1_14partition_implILS5_1ELb0ES3_jN6thrust23THRUST_200600_302600_NS6detail15normal_iteratorINSA_10device_ptrItEEEEPS6_NSA_18transform_iteratorI7is_evenItESF_NSA_11use_defaultESK_EENS0_5tupleIJSF_SF_EEENSM_IJSG_SG_EEES6_PlJS6_EEE10hipError_tPvRmT3_T4_T5_T6_T7_T9_mT8_P12ihipStream_tbDpT10_ENKUlT_T0_E_clISt17integral_constantIbLb0EES19_EEDaS14_S15_EUlS14_E_NS1_11comp_targetILNS1_3genE5ELNS1_11target_archE942ELNS1_3gpuE9ELNS1_3repE0EEENS1_30default_config_static_selectorELNS0_4arch9wavefront6targetE1EEEvT1_.kd
    .uniform_work_group_size: 1
    .uses_dynamic_stack: false
    .vgpr_count:     0
    .vgpr_spill_count: 0
    .wavefront_size: 64
  - .agpr_count:     0
    .args:
      - .offset:         0
        .size:           128
        .value_kind:     by_value
    .group_segment_fixed_size: 10248
    .kernarg_segment_align: 8
    .kernarg_segment_size: 128
    .language:       OpenCL C
    .language_version:
      - 2
      - 0
    .max_flat_workgroup_size: 256
    .name:           _ZN7rocprim17ROCPRIM_400000_NS6detail17trampoline_kernelINS0_14default_configENS1_25partition_config_selectorILNS1_17partition_subalgoE1EtNS0_10empty_typeEbEEZZNS1_14partition_implILS5_1ELb0ES3_jN6thrust23THRUST_200600_302600_NS6detail15normal_iteratorINSA_10device_ptrItEEEEPS6_NSA_18transform_iteratorI7is_evenItESF_NSA_11use_defaultESK_EENS0_5tupleIJSF_SF_EEENSM_IJSG_SG_EEES6_PlJS6_EEE10hipError_tPvRmT3_T4_T5_T6_T7_T9_mT8_P12ihipStream_tbDpT10_ENKUlT_T0_E_clISt17integral_constantIbLb0EES19_EEDaS14_S15_EUlS14_E_NS1_11comp_targetILNS1_3genE4ELNS1_11target_archE910ELNS1_3gpuE8ELNS1_3repE0EEENS1_30default_config_static_selectorELNS0_4arch9wavefront6targetE1EEEvT1_
    .private_segment_fixed_size: 0
    .sgpr_count:     48
    .sgpr_spill_count: 0
    .symbol:         _ZN7rocprim17ROCPRIM_400000_NS6detail17trampoline_kernelINS0_14default_configENS1_25partition_config_selectorILNS1_17partition_subalgoE1EtNS0_10empty_typeEbEEZZNS1_14partition_implILS5_1ELb0ES3_jN6thrust23THRUST_200600_302600_NS6detail15normal_iteratorINSA_10device_ptrItEEEEPS6_NSA_18transform_iteratorI7is_evenItESF_NSA_11use_defaultESK_EENS0_5tupleIJSF_SF_EEENSM_IJSG_SG_EEES6_PlJS6_EEE10hipError_tPvRmT3_T4_T5_T6_T7_T9_mT8_P12ihipStream_tbDpT10_ENKUlT_T0_E_clISt17integral_constantIbLb0EES19_EEDaS14_S15_EUlS14_E_NS1_11comp_targetILNS1_3genE4ELNS1_11target_archE910ELNS1_3gpuE8ELNS1_3repE0EEENS1_30default_config_static_selectorELNS0_4arch9wavefront6targetE1EEEvT1_.kd
    .uniform_work_group_size: 1
    .uses_dynamic_stack: false
    .vgpr_count:     65
    .vgpr_spill_count: 0
    .wavefront_size: 64
  - .agpr_count:     0
    .args:
      - .offset:         0
        .size:           128
        .value_kind:     by_value
    .group_segment_fixed_size: 0
    .kernarg_segment_align: 8
    .kernarg_segment_size: 128
    .language:       OpenCL C
    .language_version:
      - 2
      - 0
    .max_flat_workgroup_size: 256
    .name:           _ZN7rocprim17ROCPRIM_400000_NS6detail17trampoline_kernelINS0_14default_configENS1_25partition_config_selectorILNS1_17partition_subalgoE1EtNS0_10empty_typeEbEEZZNS1_14partition_implILS5_1ELb0ES3_jN6thrust23THRUST_200600_302600_NS6detail15normal_iteratorINSA_10device_ptrItEEEEPS6_NSA_18transform_iteratorI7is_evenItESF_NSA_11use_defaultESK_EENS0_5tupleIJSF_SF_EEENSM_IJSG_SG_EEES6_PlJS6_EEE10hipError_tPvRmT3_T4_T5_T6_T7_T9_mT8_P12ihipStream_tbDpT10_ENKUlT_T0_E_clISt17integral_constantIbLb0EES19_EEDaS14_S15_EUlS14_E_NS1_11comp_targetILNS1_3genE3ELNS1_11target_archE908ELNS1_3gpuE7ELNS1_3repE0EEENS1_30default_config_static_selectorELNS0_4arch9wavefront6targetE1EEEvT1_
    .private_segment_fixed_size: 0
    .sgpr_count:     4
    .sgpr_spill_count: 0
    .symbol:         _ZN7rocprim17ROCPRIM_400000_NS6detail17trampoline_kernelINS0_14default_configENS1_25partition_config_selectorILNS1_17partition_subalgoE1EtNS0_10empty_typeEbEEZZNS1_14partition_implILS5_1ELb0ES3_jN6thrust23THRUST_200600_302600_NS6detail15normal_iteratorINSA_10device_ptrItEEEEPS6_NSA_18transform_iteratorI7is_evenItESF_NSA_11use_defaultESK_EENS0_5tupleIJSF_SF_EEENSM_IJSG_SG_EEES6_PlJS6_EEE10hipError_tPvRmT3_T4_T5_T6_T7_T9_mT8_P12ihipStream_tbDpT10_ENKUlT_T0_E_clISt17integral_constantIbLb0EES19_EEDaS14_S15_EUlS14_E_NS1_11comp_targetILNS1_3genE3ELNS1_11target_archE908ELNS1_3gpuE7ELNS1_3repE0EEENS1_30default_config_static_selectorELNS0_4arch9wavefront6targetE1EEEvT1_.kd
    .uniform_work_group_size: 1
    .uses_dynamic_stack: false
    .vgpr_count:     0
    .vgpr_spill_count: 0
    .wavefront_size: 64
  - .agpr_count:     0
    .args:
      - .offset:         0
        .size:           128
        .value_kind:     by_value
    .group_segment_fixed_size: 0
    .kernarg_segment_align: 8
    .kernarg_segment_size: 128
    .language:       OpenCL C
    .language_version:
      - 2
      - 0
    .max_flat_workgroup_size: 256
    .name:           _ZN7rocprim17ROCPRIM_400000_NS6detail17trampoline_kernelINS0_14default_configENS1_25partition_config_selectorILNS1_17partition_subalgoE1EtNS0_10empty_typeEbEEZZNS1_14partition_implILS5_1ELb0ES3_jN6thrust23THRUST_200600_302600_NS6detail15normal_iteratorINSA_10device_ptrItEEEEPS6_NSA_18transform_iteratorI7is_evenItESF_NSA_11use_defaultESK_EENS0_5tupleIJSF_SF_EEENSM_IJSG_SG_EEES6_PlJS6_EEE10hipError_tPvRmT3_T4_T5_T6_T7_T9_mT8_P12ihipStream_tbDpT10_ENKUlT_T0_E_clISt17integral_constantIbLb0EES19_EEDaS14_S15_EUlS14_E_NS1_11comp_targetILNS1_3genE2ELNS1_11target_archE906ELNS1_3gpuE6ELNS1_3repE0EEENS1_30default_config_static_selectorELNS0_4arch9wavefront6targetE1EEEvT1_
    .private_segment_fixed_size: 0
    .sgpr_count:     4
    .sgpr_spill_count: 0
    .symbol:         _ZN7rocprim17ROCPRIM_400000_NS6detail17trampoline_kernelINS0_14default_configENS1_25partition_config_selectorILNS1_17partition_subalgoE1EtNS0_10empty_typeEbEEZZNS1_14partition_implILS5_1ELb0ES3_jN6thrust23THRUST_200600_302600_NS6detail15normal_iteratorINSA_10device_ptrItEEEEPS6_NSA_18transform_iteratorI7is_evenItESF_NSA_11use_defaultESK_EENS0_5tupleIJSF_SF_EEENSM_IJSG_SG_EEES6_PlJS6_EEE10hipError_tPvRmT3_T4_T5_T6_T7_T9_mT8_P12ihipStream_tbDpT10_ENKUlT_T0_E_clISt17integral_constantIbLb0EES19_EEDaS14_S15_EUlS14_E_NS1_11comp_targetILNS1_3genE2ELNS1_11target_archE906ELNS1_3gpuE6ELNS1_3repE0EEENS1_30default_config_static_selectorELNS0_4arch9wavefront6targetE1EEEvT1_.kd
    .uniform_work_group_size: 1
    .uses_dynamic_stack: false
    .vgpr_count:     0
    .vgpr_spill_count: 0
    .wavefront_size: 64
  - .agpr_count:     0
    .args:
      - .offset:         0
        .size:           128
        .value_kind:     by_value
    .group_segment_fixed_size: 0
    .kernarg_segment_align: 8
    .kernarg_segment_size: 128
    .language:       OpenCL C
    .language_version:
      - 2
      - 0
    .max_flat_workgroup_size: 384
    .name:           _ZN7rocprim17ROCPRIM_400000_NS6detail17trampoline_kernelINS0_14default_configENS1_25partition_config_selectorILNS1_17partition_subalgoE1EtNS0_10empty_typeEbEEZZNS1_14partition_implILS5_1ELb0ES3_jN6thrust23THRUST_200600_302600_NS6detail15normal_iteratorINSA_10device_ptrItEEEEPS6_NSA_18transform_iteratorI7is_evenItESF_NSA_11use_defaultESK_EENS0_5tupleIJSF_SF_EEENSM_IJSG_SG_EEES6_PlJS6_EEE10hipError_tPvRmT3_T4_T5_T6_T7_T9_mT8_P12ihipStream_tbDpT10_ENKUlT_T0_E_clISt17integral_constantIbLb0EES19_EEDaS14_S15_EUlS14_E_NS1_11comp_targetILNS1_3genE10ELNS1_11target_archE1200ELNS1_3gpuE4ELNS1_3repE0EEENS1_30default_config_static_selectorELNS0_4arch9wavefront6targetE1EEEvT1_
    .private_segment_fixed_size: 0
    .sgpr_count:     4
    .sgpr_spill_count: 0
    .symbol:         _ZN7rocprim17ROCPRIM_400000_NS6detail17trampoline_kernelINS0_14default_configENS1_25partition_config_selectorILNS1_17partition_subalgoE1EtNS0_10empty_typeEbEEZZNS1_14partition_implILS5_1ELb0ES3_jN6thrust23THRUST_200600_302600_NS6detail15normal_iteratorINSA_10device_ptrItEEEEPS6_NSA_18transform_iteratorI7is_evenItESF_NSA_11use_defaultESK_EENS0_5tupleIJSF_SF_EEENSM_IJSG_SG_EEES6_PlJS6_EEE10hipError_tPvRmT3_T4_T5_T6_T7_T9_mT8_P12ihipStream_tbDpT10_ENKUlT_T0_E_clISt17integral_constantIbLb0EES19_EEDaS14_S15_EUlS14_E_NS1_11comp_targetILNS1_3genE10ELNS1_11target_archE1200ELNS1_3gpuE4ELNS1_3repE0EEENS1_30default_config_static_selectorELNS0_4arch9wavefront6targetE1EEEvT1_.kd
    .uniform_work_group_size: 1
    .uses_dynamic_stack: false
    .vgpr_count:     0
    .vgpr_spill_count: 0
    .wavefront_size: 64
  - .agpr_count:     0
    .args:
      - .offset:         0
        .size:           128
        .value_kind:     by_value
    .group_segment_fixed_size: 0
    .kernarg_segment_align: 8
    .kernarg_segment_size: 128
    .language:       OpenCL C
    .language_version:
      - 2
      - 0
    .max_flat_workgroup_size: 128
    .name:           _ZN7rocprim17ROCPRIM_400000_NS6detail17trampoline_kernelINS0_14default_configENS1_25partition_config_selectorILNS1_17partition_subalgoE1EtNS0_10empty_typeEbEEZZNS1_14partition_implILS5_1ELb0ES3_jN6thrust23THRUST_200600_302600_NS6detail15normal_iteratorINSA_10device_ptrItEEEEPS6_NSA_18transform_iteratorI7is_evenItESF_NSA_11use_defaultESK_EENS0_5tupleIJSF_SF_EEENSM_IJSG_SG_EEES6_PlJS6_EEE10hipError_tPvRmT3_T4_T5_T6_T7_T9_mT8_P12ihipStream_tbDpT10_ENKUlT_T0_E_clISt17integral_constantIbLb0EES19_EEDaS14_S15_EUlS14_E_NS1_11comp_targetILNS1_3genE9ELNS1_11target_archE1100ELNS1_3gpuE3ELNS1_3repE0EEENS1_30default_config_static_selectorELNS0_4arch9wavefront6targetE1EEEvT1_
    .private_segment_fixed_size: 0
    .sgpr_count:     4
    .sgpr_spill_count: 0
    .symbol:         _ZN7rocprim17ROCPRIM_400000_NS6detail17trampoline_kernelINS0_14default_configENS1_25partition_config_selectorILNS1_17partition_subalgoE1EtNS0_10empty_typeEbEEZZNS1_14partition_implILS5_1ELb0ES3_jN6thrust23THRUST_200600_302600_NS6detail15normal_iteratorINSA_10device_ptrItEEEEPS6_NSA_18transform_iteratorI7is_evenItESF_NSA_11use_defaultESK_EENS0_5tupleIJSF_SF_EEENSM_IJSG_SG_EEES6_PlJS6_EEE10hipError_tPvRmT3_T4_T5_T6_T7_T9_mT8_P12ihipStream_tbDpT10_ENKUlT_T0_E_clISt17integral_constantIbLb0EES19_EEDaS14_S15_EUlS14_E_NS1_11comp_targetILNS1_3genE9ELNS1_11target_archE1100ELNS1_3gpuE3ELNS1_3repE0EEENS1_30default_config_static_selectorELNS0_4arch9wavefront6targetE1EEEvT1_.kd
    .uniform_work_group_size: 1
    .uses_dynamic_stack: false
    .vgpr_count:     0
    .vgpr_spill_count: 0
    .wavefront_size: 64
  - .agpr_count:     0
    .args:
      - .offset:         0
        .size:           128
        .value_kind:     by_value
    .group_segment_fixed_size: 0
    .kernarg_segment_align: 8
    .kernarg_segment_size: 128
    .language:       OpenCL C
    .language_version:
      - 2
      - 0
    .max_flat_workgroup_size: 512
    .name:           _ZN7rocprim17ROCPRIM_400000_NS6detail17trampoline_kernelINS0_14default_configENS1_25partition_config_selectorILNS1_17partition_subalgoE1EtNS0_10empty_typeEbEEZZNS1_14partition_implILS5_1ELb0ES3_jN6thrust23THRUST_200600_302600_NS6detail15normal_iteratorINSA_10device_ptrItEEEEPS6_NSA_18transform_iteratorI7is_evenItESF_NSA_11use_defaultESK_EENS0_5tupleIJSF_SF_EEENSM_IJSG_SG_EEES6_PlJS6_EEE10hipError_tPvRmT3_T4_T5_T6_T7_T9_mT8_P12ihipStream_tbDpT10_ENKUlT_T0_E_clISt17integral_constantIbLb0EES19_EEDaS14_S15_EUlS14_E_NS1_11comp_targetILNS1_3genE8ELNS1_11target_archE1030ELNS1_3gpuE2ELNS1_3repE0EEENS1_30default_config_static_selectorELNS0_4arch9wavefront6targetE1EEEvT1_
    .private_segment_fixed_size: 0
    .sgpr_count:     4
    .sgpr_spill_count: 0
    .symbol:         _ZN7rocprim17ROCPRIM_400000_NS6detail17trampoline_kernelINS0_14default_configENS1_25partition_config_selectorILNS1_17partition_subalgoE1EtNS0_10empty_typeEbEEZZNS1_14partition_implILS5_1ELb0ES3_jN6thrust23THRUST_200600_302600_NS6detail15normal_iteratorINSA_10device_ptrItEEEEPS6_NSA_18transform_iteratorI7is_evenItESF_NSA_11use_defaultESK_EENS0_5tupleIJSF_SF_EEENSM_IJSG_SG_EEES6_PlJS6_EEE10hipError_tPvRmT3_T4_T5_T6_T7_T9_mT8_P12ihipStream_tbDpT10_ENKUlT_T0_E_clISt17integral_constantIbLb0EES19_EEDaS14_S15_EUlS14_E_NS1_11comp_targetILNS1_3genE8ELNS1_11target_archE1030ELNS1_3gpuE2ELNS1_3repE0EEENS1_30default_config_static_selectorELNS0_4arch9wavefront6targetE1EEEvT1_.kd
    .uniform_work_group_size: 1
    .uses_dynamic_stack: false
    .vgpr_count:     0
    .vgpr_spill_count: 0
    .wavefront_size: 64
  - .agpr_count:     0
    .args:
      - .offset:         0
        .size:           144
        .value_kind:     by_value
    .group_segment_fixed_size: 0
    .kernarg_segment_align: 8
    .kernarg_segment_size: 144
    .language:       OpenCL C
    .language_version:
      - 2
      - 0
    .max_flat_workgroup_size: 256
    .name:           _ZN7rocprim17ROCPRIM_400000_NS6detail17trampoline_kernelINS0_14default_configENS1_25partition_config_selectorILNS1_17partition_subalgoE1EtNS0_10empty_typeEbEEZZNS1_14partition_implILS5_1ELb0ES3_jN6thrust23THRUST_200600_302600_NS6detail15normal_iteratorINSA_10device_ptrItEEEEPS6_NSA_18transform_iteratorI7is_evenItESF_NSA_11use_defaultESK_EENS0_5tupleIJSF_SF_EEENSM_IJSG_SG_EEES6_PlJS6_EEE10hipError_tPvRmT3_T4_T5_T6_T7_T9_mT8_P12ihipStream_tbDpT10_ENKUlT_T0_E_clISt17integral_constantIbLb1EES19_EEDaS14_S15_EUlS14_E_NS1_11comp_targetILNS1_3genE0ELNS1_11target_archE4294967295ELNS1_3gpuE0ELNS1_3repE0EEENS1_30default_config_static_selectorELNS0_4arch9wavefront6targetE1EEEvT1_
    .private_segment_fixed_size: 0
    .sgpr_count:     4
    .sgpr_spill_count: 0
    .symbol:         _ZN7rocprim17ROCPRIM_400000_NS6detail17trampoline_kernelINS0_14default_configENS1_25partition_config_selectorILNS1_17partition_subalgoE1EtNS0_10empty_typeEbEEZZNS1_14partition_implILS5_1ELb0ES3_jN6thrust23THRUST_200600_302600_NS6detail15normal_iteratorINSA_10device_ptrItEEEEPS6_NSA_18transform_iteratorI7is_evenItESF_NSA_11use_defaultESK_EENS0_5tupleIJSF_SF_EEENSM_IJSG_SG_EEES6_PlJS6_EEE10hipError_tPvRmT3_T4_T5_T6_T7_T9_mT8_P12ihipStream_tbDpT10_ENKUlT_T0_E_clISt17integral_constantIbLb1EES19_EEDaS14_S15_EUlS14_E_NS1_11comp_targetILNS1_3genE0ELNS1_11target_archE4294967295ELNS1_3gpuE0ELNS1_3repE0EEENS1_30default_config_static_selectorELNS0_4arch9wavefront6targetE1EEEvT1_.kd
    .uniform_work_group_size: 1
    .uses_dynamic_stack: false
    .vgpr_count:     0
    .vgpr_spill_count: 0
    .wavefront_size: 64
  - .agpr_count:     0
    .args:
      - .offset:         0
        .size:           144
        .value_kind:     by_value
    .group_segment_fixed_size: 0
    .kernarg_segment_align: 8
    .kernarg_segment_size: 144
    .language:       OpenCL C
    .language_version:
      - 2
      - 0
    .max_flat_workgroup_size: 512
    .name:           _ZN7rocprim17ROCPRIM_400000_NS6detail17trampoline_kernelINS0_14default_configENS1_25partition_config_selectorILNS1_17partition_subalgoE1EtNS0_10empty_typeEbEEZZNS1_14partition_implILS5_1ELb0ES3_jN6thrust23THRUST_200600_302600_NS6detail15normal_iteratorINSA_10device_ptrItEEEEPS6_NSA_18transform_iteratorI7is_evenItESF_NSA_11use_defaultESK_EENS0_5tupleIJSF_SF_EEENSM_IJSG_SG_EEES6_PlJS6_EEE10hipError_tPvRmT3_T4_T5_T6_T7_T9_mT8_P12ihipStream_tbDpT10_ENKUlT_T0_E_clISt17integral_constantIbLb1EES19_EEDaS14_S15_EUlS14_E_NS1_11comp_targetILNS1_3genE5ELNS1_11target_archE942ELNS1_3gpuE9ELNS1_3repE0EEENS1_30default_config_static_selectorELNS0_4arch9wavefront6targetE1EEEvT1_
    .private_segment_fixed_size: 0
    .sgpr_count:     4
    .sgpr_spill_count: 0
    .symbol:         _ZN7rocprim17ROCPRIM_400000_NS6detail17trampoline_kernelINS0_14default_configENS1_25partition_config_selectorILNS1_17partition_subalgoE1EtNS0_10empty_typeEbEEZZNS1_14partition_implILS5_1ELb0ES3_jN6thrust23THRUST_200600_302600_NS6detail15normal_iteratorINSA_10device_ptrItEEEEPS6_NSA_18transform_iteratorI7is_evenItESF_NSA_11use_defaultESK_EENS0_5tupleIJSF_SF_EEENSM_IJSG_SG_EEES6_PlJS6_EEE10hipError_tPvRmT3_T4_T5_T6_T7_T9_mT8_P12ihipStream_tbDpT10_ENKUlT_T0_E_clISt17integral_constantIbLb1EES19_EEDaS14_S15_EUlS14_E_NS1_11comp_targetILNS1_3genE5ELNS1_11target_archE942ELNS1_3gpuE9ELNS1_3repE0EEENS1_30default_config_static_selectorELNS0_4arch9wavefront6targetE1EEEvT1_.kd
    .uniform_work_group_size: 1
    .uses_dynamic_stack: false
    .vgpr_count:     0
    .vgpr_spill_count: 0
    .wavefront_size: 64
  - .agpr_count:     0
    .args:
      - .offset:         0
        .size:           144
        .value_kind:     by_value
    .group_segment_fixed_size: 10248
    .kernarg_segment_align: 8
    .kernarg_segment_size: 144
    .language:       OpenCL C
    .language_version:
      - 2
      - 0
    .max_flat_workgroup_size: 256
    .name:           _ZN7rocprim17ROCPRIM_400000_NS6detail17trampoline_kernelINS0_14default_configENS1_25partition_config_selectorILNS1_17partition_subalgoE1EtNS0_10empty_typeEbEEZZNS1_14partition_implILS5_1ELb0ES3_jN6thrust23THRUST_200600_302600_NS6detail15normal_iteratorINSA_10device_ptrItEEEEPS6_NSA_18transform_iteratorI7is_evenItESF_NSA_11use_defaultESK_EENS0_5tupleIJSF_SF_EEENSM_IJSG_SG_EEES6_PlJS6_EEE10hipError_tPvRmT3_T4_T5_T6_T7_T9_mT8_P12ihipStream_tbDpT10_ENKUlT_T0_E_clISt17integral_constantIbLb1EES19_EEDaS14_S15_EUlS14_E_NS1_11comp_targetILNS1_3genE4ELNS1_11target_archE910ELNS1_3gpuE8ELNS1_3repE0EEENS1_30default_config_static_selectorELNS0_4arch9wavefront6targetE1EEEvT1_
    .private_segment_fixed_size: 0
    .sgpr_count:     48
    .sgpr_spill_count: 0
    .symbol:         _ZN7rocprim17ROCPRIM_400000_NS6detail17trampoline_kernelINS0_14default_configENS1_25partition_config_selectorILNS1_17partition_subalgoE1EtNS0_10empty_typeEbEEZZNS1_14partition_implILS5_1ELb0ES3_jN6thrust23THRUST_200600_302600_NS6detail15normal_iteratorINSA_10device_ptrItEEEEPS6_NSA_18transform_iteratorI7is_evenItESF_NSA_11use_defaultESK_EENS0_5tupleIJSF_SF_EEENSM_IJSG_SG_EEES6_PlJS6_EEE10hipError_tPvRmT3_T4_T5_T6_T7_T9_mT8_P12ihipStream_tbDpT10_ENKUlT_T0_E_clISt17integral_constantIbLb1EES19_EEDaS14_S15_EUlS14_E_NS1_11comp_targetILNS1_3genE4ELNS1_11target_archE910ELNS1_3gpuE8ELNS1_3repE0EEENS1_30default_config_static_selectorELNS0_4arch9wavefront6targetE1EEEvT1_.kd
    .uniform_work_group_size: 1
    .uses_dynamic_stack: false
    .vgpr_count:     69
    .vgpr_spill_count: 0
    .wavefront_size: 64
  - .agpr_count:     0
    .args:
      - .offset:         0
        .size:           144
        .value_kind:     by_value
    .group_segment_fixed_size: 0
    .kernarg_segment_align: 8
    .kernarg_segment_size: 144
    .language:       OpenCL C
    .language_version:
      - 2
      - 0
    .max_flat_workgroup_size: 256
    .name:           _ZN7rocprim17ROCPRIM_400000_NS6detail17trampoline_kernelINS0_14default_configENS1_25partition_config_selectorILNS1_17partition_subalgoE1EtNS0_10empty_typeEbEEZZNS1_14partition_implILS5_1ELb0ES3_jN6thrust23THRUST_200600_302600_NS6detail15normal_iteratorINSA_10device_ptrItEEEEPS6_NSA_18transform_iteratorI7is_evenItESF_NSA_11use_defaultESK_EENS0_5tupleIJSF_SF_EEENSM_IJSG_SG_EEES6_PlJS6_EEE10hipError_tPvRmT3_T4_T5_T6_T7_T9_mT8_P12ihipStream_tbDpT10_ENKUlT_T0_E_clISt17integral_constantIbLb1EES19_EEDaS14_S15_EUlS14_E_NS1_11comp_targetILNS1_3genE3ELNS1_11target_archE908ELNS1_3gpuE7ELNS1_3repE0EEENS1_30default_config_static_selectorELNS0_4arch9wavefront6targetE1EEEvT1_
    .private_segment_fixed_size: 0
    .sgpr_count:     4
    .sgpr_spill_count: 0
    .symbol:         _ZN7rocprim17ROCPRIM_400000_NS6detail17trampoline_kernelINS0_14default_configENS1_25partition_config_selectorILNS1_17partition_subalgoE1EtNS0_10empty_typeEbEEZZNS1_14partition_implILS5_1ELb0ES3_jN6thrust23THRUST_200600_302600_NS6detail15normal_iteratorINSA_10device_ptrItEEEEPS6_NSA_18transform_iteratorI7is_evenItESF_NSA_11use_defaultESK_EENS0_5tupleIJSF_SF_EEENSM_IJSG_SG_EEES6_PlJS6_EEE10hipError_tPvRmT3_T4_T5_T6_T7_T9_mT8_P12ihipStream_tbDpT10_ENKUlT_T0_E_clISt17integral_constantIbLb1EES19_EEDaS14_S15_EUlS14_E_NS1_11comp_targetILNS1_3genE3ELNS1_11target_archE908ELNS1_3gpuE7ELNS1_3repE0EEENS1_30default_config_static_selectorELNS0_4arch9wavefront6targetE1EEEvT1_.kd
    .uniform_work_group_size: 1
    .uses_dynamic_stack: false
    .vgpr_count:     0
    .vgpr_spill_count: 0
    .wavefront_size: 64
  - .agpr_count:     0
    .args:
      - .offset:         0
        .size:           144
        .value_kind:     by_value
    .group_segment_fixed_size: 0
    .kernarg_segment_align: 8
    .kernarg_segment_size: 144
    .language:       OpenCL C
    .language_version:
      - 2
      - 0
    .max_flat_workgroup_size: 256
    .name:           _ZN7rocprim17ROCPRIM_400000_NS6detail17trampoline_kernelINS0_14default_configENS1_25partition_config_selectorILNS1_17partition_subalgoE1EtNS0_10empty_typeEbEEZZNS1_14partition_implILS5_1ELb0ES3_jN6thrust23THRUST_200600_302600_NS6detail15normal_iteratorINSA_10device_ptrItEEEEPS6_NSA_18transform_iteratorI7is_evenItESF_NSA_11use_defaultESK_EENS0_5tupleIJSF_SF_EEENSM_IJSG_SG_EEES6_PlJS6_EEE10hipError_tPvRmT3_T4_T5_T6_T7_T9_mT8_P12ihipStream_tbDpT10_ENKUlT_T0_E_clISt17integral_constantIbLb1EES19_EEDaS14_S15_EUlS14_E_NS1_11comp_targetILNS1_3genE2ELNS1_11target_archE906ELNS1_3gpuE6ELNS1_3repE0EEENS1_30default_config_static_selectorELNS0_4arch9wavefront6targetE1EEEvT1_
    .private_segment_fixed_size: 0
    .sgpr_count:     4
    .sgpr_spill_count: 0
    .symbol:         _ZN7rocprim17ROCPRIM_400000_NS6detail17trampoline_kernelINS0_14default_configENS1_25partition_config_selectorILNS1_17partition_subalgoE1EtNS0_10empty_typeEbEEZZNS1_14partition_implILS5_1ELb0ES3_jN6thrust23THRUST_200600_302600_NS6detail15normal_iteratorINSA_10device_ptrItEEEEPS6_NSA_18transform_iteratorI7is_evenItESF_NSA_11use_defaultESK_EENS0_5tupleIJSF_SF_EEENSM_IJSG_SG_EEES6_PlJS6_EEE10hipError_tPvRmT3_T4_T5_T6_T7_T9_mT8_P12ihipStream_tbDpT10_ENKUlT_T0_E_clISt17integral_constantIbLb1EES19_EEDaS14_S15_EUlS14_E_NS1_11comp_targetILNS1_3genE2ELNS1_11target_archE906ELNS1_3gpuE6ELNS1_3repE0EEENS1_30default_config_static_selectorELNS0_4arch9wavefront6targetE1EEEvT1_.kd
    .uniform_work_group_size: 1
    .uses_dynamic_stack: false
    .vgpr_count:     0
    .vgpr_spill_count: 0
    .wavefront_size: 64
  - .agpr_count:     0
    .args:
      - .offset:         0
        .size:           144
        .value_kind:     by_value
    .group_segment_fixed_size: 0
    .kernarg_segment_align: 8
    .kernarg_segment_size: 144
    .language:       OpenCL C
    .language_version:
      - 2
      - 0
    .max_flat_workgroup_size: 384
    .name:           _ZN7rocprim17ROCPRIM_400000_NS6detail17trampoline_kernelINS0_14default_configENS1_25partition_config_selectorILNS1_17partition_subalgoE1EtNS0_10empty_typeEbEEZZNS1_14partition_implILS5_1ELb0ES3_jN6thrust23THRUST_200600_302600_NS6detail15normal_iteratorINSA_10device_ptrItEEEEPS6_NSA_18transform_iteratorI7is_evenItESF_NSA_11use_defaultESK_EENS0_5tupleIJSF_SF_EEENSM_IJSG_SG_EEES6_PlJS6_EEE10hipError_tPvRmT3_T4_T5_T6_T7_T9_mT8_P12ihipStream_tbDpT10_ENKUlT_T0_E_clISt17integral_constantIbLb1EES19_EEDaS14_S15_EUlS14_E_NS1_11comp_targetILNS1_3genE10ELNS1_11target_archE1200ELNS1_3gpuE4ELNS1_3repE0EEENS1_30default_config_static_selectorELNS0_4arch9wavefront6targetE1EEEvT1_
    .private_segment_fixed_size: 0
    .sgpr_count:     4
    .sgpr_spill_count: 0
    .symbol:         _ZN7rocprim17ROCPRIM_400000_NS6detail17trampoline_kernelINS0_14default_configENS1_25partition_config_selectorILNS1_17partition_subalgoE1EtNS0_10empty_typeEbEEZZNS1_14partition_implILS5_1ELb0ES3_jN6thrust23THRUST_200600_302600_NS6detail15normal_iteratorINSA_10device_ptrItEEEEPS6_NSA_18transform_iteratorI7is_evenItESF_NSA_11use_defaultESK_EENS0_5tupleIJSF_SF_EEENSM_IJSG_SG_EEES6_PlJS6_EEE10hipError_tPvRmT3_T4_T5_T6_T7_T9_mT8_P12ihipStream_tbDpT10_ENKUlT_T0_E_clISt17integral_constantIbLb1EES19_EEDaS14_S15_EUlS14_E_NS1_11comp_targetILNS1_3genE10ELNS1_11target_archE1200ELNS1_3gpuE4ELNS1_3repE0EEENS1_30default_config_static_selectorELNS0_4arch9wavefront6targetE1EEEvT1_.kd
    .uniform_work_group_size: 1
    .uses_dynamic_stack: false
    .vgpr_count:     0
    .vgpr_spill_count: 0
    .wavefront_size: 64
  - .agpr_count:     0
    .args:
      - .offset:         0
        .size:           144
        .value_kind:     by_value
    .group_segment_fixed_size: 0
    .kernarg_segment_align: 8
    .kernarg_segment_size: 144
    .language:       OpenCL C
    .language_version:
      - 2
      - 0
    .max_flat_workgroup_size: 128
    .name:           _ZN7rocprim17ROCPRIM_400000_NS6detail17trampoline_kernelINS0_14default_configENS1_25partition_config_selectorILNS1_17partition_subalgoE1EtNS0_10empty_typeEbEEZZNS1_14partition_implILS5_1ELb0ES3_jN6thrust23THRUST_200600_302600_NS6detail15normal_iteratorINSA_10device_ptrItEEEEPS6_NSA_18transform_iteratorI7is_evenItESF_NSA_11use_defaultESK_EENS0_5tupleIJSF_SF_EEENSM_IJSG_SG_EEES6_PlJS6_EEE10hipError_tPvRmT3_T4_T5_T6_T7_T9_mT8_P12ihipStream_tbDpT10_ENKUlT_T0_E_clISt17integral_constantIbLb1EES19_EEDaS14_S15_EUlS14_E_NS1_11comp_targetILNS1_3genE9ELNS1_11target_archE1100ELNS1_3gpuE3ELNS1_3repE0EEENS1_30default_config_static_selectorELNS0_4arch9wavefront6targetE1EEEvT1_
    .private_segment_fixed_size: 0
    .sgpr_count:     4
    .sgpr_spill_count: 0
    .symbol:         _ZN7rocprim17ROCPRIM_400000_NS6detail17trampoline_kernelINS0_14default_configENS1_25partition_config_selectorILNS1_17partition_subalgoE1EtNS0_10empty_typeEbEEZZNS1_14partition_implILS5_1ELb0ES3_jN6thrust23THRUST_200600_302600_NS6detail15normal_iteratorINSA_10device_ptrItEEEEPS6_NSA_18transform_iteratorI7is_evenItESF_NSA_11use_defaultESK_EENS0_5tupleIJSF_SF_EEENSM_IJSG_SG_EEES6_PlJS6_EEE10hipError_tPvRmT3_T4_T5_T6_T7_T9_mT8_P12ihipStream_tbDpT10_ENKUlT_T0_E_clISt17integral_constantIbLb1EES19_EEDaS14_S15_EUlS14_E_NS1_11comp_targetILNS1_3genE9ELNS1_11target_archE1100ELNS1_3gpuE3ELNS1_3repE0EEENS1_30default_config_static_selectorELNS0_4arch9wavefront6targetE1EEEvT1_.kd
    .uniform_work_group_size: 1
    .uses_dynamic_stack: false
    .vgpr_count:     0
    .vgpr_spill_count: 0
    .wavefront_size: 64
  - .agpr_count:     0
    .args:
      - .offset:         0
        .size:           144
        .value_kind:     by_value
    .group_segment_fixed_size: 0
    .kernarg_segment_align: 8
    .kernarg_segment_size: 144
    .language:       OpenCL C
    .language_version:
      - 2
      - 0
    .max_flat_workgroup_size: 512
    .name:           _ZN7rocprim17ROCPRIM_400000_NS6detail17trampoline_kernelINS0_14default_configENS1_25partition_config_selectorILNS1_17partition_subalgoE1EtNS0_10empty_typeEbEEZZNS1_14partition_implILS5_1ELb0ES3_jN6thrust23THRUST_200600_302600_NS6detail15normal_iteratorINSA_10device_ptrItEEEEPS6_NSA_18transform_iteratorI7is_evenItESF_NSA_11use_defaultESK_EENS0_5tupleIJSF_SF_EEENSM_IJSG_SG_EEES6_PlJS6_EEE10hipError_tPvRmT3_T4_T5_T6_T7_T9_mT8_P12ihipStream_tbDpT10_ENKUlT_T0_E_clISt17integral_constantIbLb1EES19_EEDaS14_S15_EUlS14_E_NS1_11comp_targetILNS1_3genE8ELNS1_11target_archE1030ELNS1_3gpuE2ELNS1_3repE0EEENS1_30default_config_static_selectorELNS0_4arch9wavefront6targetE1EEEvT1_
    .private_segment_fixed_size: 0
    .sgpr_count:     4
    .sgpr_spill_count: 0
    .symbol:         _ZN7rocprim17ROCPRIM_400000_NS6detail17trampoline_kernelINS0_14default_configENS1_25partition_config_selectorILNS1_17partition_subalgoE1EtNS0_10empty_typeEbEEZZNS1_14partition_implILS5_1ELb0ES3_jN6thrust23THRUST_200600_302600_NS6detail15normal_iteratorINSA_10device_ptrItEEEEPS6_NSA_18transform_iteratorI7is_evenItESF_NSA_11use_defaultESK_EENS0_5tupleIJSF_SF_EEENSM_IJSG_SG_EEES6_PlJS6_EEE10hipError_tPvRmT3_T4_T5_T6_T7_T9_mT8_P12ihipStream_tbDpT10_ENKUlT_T0_E_clISt17integral_constantIbLb1EES19_EEDaS14_S15_EUlS14_E_NS1_11comp_targetILNS1_3genE8ELNS1_11target_archE1030ELNS1_3gpuE2ELNS1_3repE0EEENS1_30default_config_static_selectorELNS0_4arch9wavefront6targetE1EEEvT1_.kd
    .uniform_work_group_size: 1
    .uses_dynamic_stack: false
    .vgpr_count:     0
    .vgpr_spill_count: 0
    .wavefront_size: 64
  - .agpr_count:     0
    .args:
      - .offset:         0
        .size:           128
        .value_kind:     by_value
    .group_segment_fixed_size: 0
    .kernarg_segment_align: 8
    .kernarg_segment_size: 128
    .language:       OpenCL C
    .language_version:
      - 2
      - 0
    .max_flat_workgroup_size: 256
    .name:           _ZN7rocprim17ROCPRIM_400000_NS6detail17trampoline_kernelINS0_14default_configENS1_25partition_config_selectorILNS1_17partition_subalgoE1EtNS0_10empty_typeEbEEZZNS1_14partition_implILS5_1ELb0ES3_jN6thrust23THRUST_200600_302600_NS6detail15normal_iteratorINSA_10device_ptrItEEEEPS6_NSA_18transform_iteratorI7is_evenItESF_NSA_11use_defaultESK_EENS0_5tupleIJSF_SF_EEENSM_IJSG_SG_EEES6_PlJS6_EEE10hipError_tPvRmT3_T4_T5_T6_T7_T9_mT8_P12ihipStream_tbDpT10_ENKUlT_T0_E_clISt17integral_constantIbLb1EES18_IbLb0EEEEDaS14_S15_EUlS14_E_NS1_11comp_targetILNS1_3genE0ELNS1_11target_archE4294967295ELNS1_3gpuE0ELNS1_3repE0EEENS1_30default_config_static_selectorELNS0_4arch9wavefront6targetE1EEEvT1_
    .private_segment_fixed_size: 0
    .sgpr_count:     4
    .sgpr_spill_count: 0
    .symbol:         _ZN7rocprim17ROCPRIM_400000_NS6detail17trampoline_kernelINS0_14default_configENS1_25partition_config_selectorILNS1_17partition_subalgoE1EtNS0_10empty_typeEbEEZZNS1_14partition_implILS5_1ELb0ES3_jN6thrust23THRUST_200600_302600_NS6detail15normal_iteratorINSA_10device_ptrItEEEEPS6_NSA_18transform_iteratorI7is_evenItESF_NSA_11use_defaultESK_EENS0_5tupleIJSF_SF_EEENSM_IJSG_SG_EEES6_PlJS6_EEE10hipError_tPvRmT3_T4_T5_T6_T7_T9_mT8_P12ihipStream_tbDpT10_ENKUlT_T0_E_clISt17integral_constantIbLb1EES18_IbLb0EEEEDaS14_S15_EUlS14_E_NS1_11comp_targetILNS1_3genE0ELNS1_11target_archE4294967295ELNS1_3gpuE0ELNS1_3repE0EEENS1_30default_config_static_selectorELNS0_4arch9wavefront6targetE1EEEvT1_.kd
    .uniform_work_group_size: 1
    .uses_dynamic_stack: false
    .vgpr_count:     0
    .vgpr_spill_count: 0
    .wavefront_size: 64
  - .agpr_count:     0
    .args:
      - .offset:         0
        .size:           128
        .value_kind:     by_value
    .group_segment_fixed_size: 0
    .kernarg_segment_align: 8
    .kernarg_segment_size: 128
    .language:       OpenCL C
    .language_version:
      - 2
      - 0
    .max_flat_workgroup_size: 512
    .name:           _ZN7rocprim17ROCPRIM_400000_NS6detail17trampoline_kernelINS0_14default_configENS1_25partition_config_selectorILNS1_17partition_subalgoE1EtNS0_10empty_typeEbEEZZNS1_14partition_implILS5_1ELb0ES3_jN6thrust23THRUST_200600_302600_NS6detail15normal_iteratorINSA_10device_ptrItEEEEPS6_NSA_18transform_iteratorI7is_evenItESF_NSA_11use_defaultESK_EENS0_5tupleIJSF_SF_EEENSM_IJSG_SG_EEES6_PlJS6_EEE10hipError_tPvRmT3_T4_T5_T6_T7_T9_mT8_P12ihipStream_tbDpT10_ENKUlT_T0_E_clISt17integral_constantIbLb1EES18_IbLb0EEEEDaS14_S15_EUlS14_E_NS1_11comp_targetILNS1_3genE5ELNS1_11target_archE942ELNS1_3gpuE9ELNS1_3repE0EEENS1_30default_config_static_selectorELNS0_4arch9wavefront6targetE1EEEvT1_
    .private_segment_fixed_size: 0
    .sgpr_count:     4
    .sgpr_spill_count: 0
    .symbol:         _ZN7rocprim17ROCPRIM_400000_NS6detail17trampoline_kernelINS0_14default_configENS1_25partition_config_selectorILNS1_17partition_subalgoE1EtNS0_10empty_typeEbEEZZNS1_14partition_implILS5_1ELb0ES3_jN6thrust23THRUST_200600_302600_NS6detail15normal_iteratorINSA_10device_ptrItEEEEPS6_NSA_18transform_iteratorI7is_evenItESF_NSA_11use_defaultESK_EENS0_5tupleIJSF_SF_EEENSM_IJSG_SG_EEES6_PlJS6_EEE10hipError_tPvRmT3_T4_T5_T6_T7_T9_mT8_P12ihipStream_tbDpT10_ENKUlT_T0_E_clISt17integral_constantIbLb1EES18_IbLb0EEEEDaS14_S15_EUlS14_E_NS1_11comp_targetILNS1_3genE5ELNS1_11target_archE942ELNS1_3gpuE9ELNS1_3repE0EEENS1_30default_config_static_selectorELNS0_4arch9wavefront6targetE1EEEvT1_.kd
    .uniform_work_group_size: 1
    .uses_dynamic_stack: false
    .vgpr_count:     0
    .vgpr_spill_count: 0
    .wavefront_size: 64
  - .agpr_count:     0
    .args:
      - .offset:         0
        .size:           128
        .value_kind:     by_value
    .group_segment_fixed_size: 10248
    .kernarg_segment_align: 8
    .kernarg_segment_size: 128
    .language:       OpenCL C
    .language_version:
      - 2
      - 0
    .max_flat_workgroup_size: 256
    .name:           _ZN7rocprim17ROCPRIM_400000_NS6detail17trampoline_kernelINS0_14default_configENS1_25partition_config_selectorILNS1_17partition_subalgoE1EtNS0_10empty_typeEbEEZZNS1_14partition_implILS5_1ELb0ES3_jN6thrust23THRUST_200600_302600_NS6detail15normal_iteratorINSA_10device_ptrItEEEEPS6_NSA_18transform_iteratorI7is_evenItESF_NSA_11use_defaultESK_EENS0_5tupleIJSF_SF_EEENSM_IJSG_SG_EEES6_PlJS6_EEE10hipError_tPvRmT3_T4_T5_T6_T7_T9_mT8_P12ihipStream_tbDpT10_ENKUlT_T0_E_clISt17integral_constantIbLb1EES18_IbLb0EEEEDaS14_S15_EUlS14_E_NS1_11comp_targetILNS1_3genE4ELNS1_11target_archE910ELNS1_3gpuE8ELNS1_3repE0EEENS1_30default_config_static_selectorELNS0_4arch9wavefront6targetE1EEEvT1_
    .private_segment_fixed_size: 0
    .sgpr_count:     48
    .sgpr_spill_count: 0
    .symbol:         _ZN7rocprim17ROCPRIM_400000_NS6detail17trampoline_kernelINS0_14default_configENS1_25partition_config_selectorILNS1_17partition_subalgoE1EtNS0_10empty_typeEbEEZZNS1_14partition_implILS5_1ELb0ES3_jN6thrust23THRUST_200600_302600_NS6detail15normal_iteratorINSA_10device_ptrItEEEEPS6_NSA_18transform_iteratorI7is_evenItESF_NSA_11use_defaultESK_EENS0_5tupleIJSF_SF_EEENSM_IJSG_SG_EEES6_PlJS6_EEE10hipError_tPvRmT3_T4_T5_T6_T7_T9_mT8_P12ihipStream_tbDpT10_ENKUlT_T0_E_clISt17integral_constantIbLb1EES18_IbLb0EEEEDaS14_S15_EUlS14_E_NS1_11comp_targetILNS1_3genE4ELNS1_11target_archE910ELNS1_3gpuE8ELNS1_3repE0EEENS1_30default_config_static_selectorELNS0_4arch9wavefront6targetE1EEEvT1_.kd
    .uniform_work_group_size: 1
    .uses_dynamic_stack: false
    .vgpr_count:     65
    .vgpr_spill_count: 0
    .wavefront_size: 64
  - .agpr_count:     0
    .args:
      - .offset:         0
        .size:           128
        .value_kind:     by_value
    .group_segment_fixed_size: 0
    .kernarg_segment_align: 8
    .kernarg_segment_size: 128
    .language:       OpenCL C
    .language_version:
      - 2
      - 0
    .max_flat_workgroup_size: 256
    .name:           _ZN7rocprim17ROCPRIM_400000_NS6detail17trampoline_kernelINS0_14default_configENS1_25partition_config_selectorILNS1_17partition_subalgoE1EtNS0_10empty_typeEbEEZZNS1_14partition_implILS5_1ELb0ES3_jN6thrust23THRUST_200600_302600_NS6detail15normal_iteratorINSA_10device_ptrItEEEEPS6_NSA_18transform_iteratorI7is_evenItESF_NSA_11use_defaultESK_EENS0_5tupleIJSF_SF_EEENSM_IJSG_SG_EEES6_PlJS6_EEE10hipError_tPvRmT3_T4_T5_T6_T7_T9_mT8_P12ihipStream_tbDpT10_ENKUlT_T0_E_clISt17integral_constantIbLb1EES18_IbLb0EEEEDaS14_S15_EUlS14_E_NS1_11comp_targetILNS1_3genE3ELNS1_11target_archE908ELNS1_3gpuE7ELNS1_3repE0EEENS1_30default_config_static_selectorELNS0_4arch9wavefront6targetE1EEEvT1_
    .private_segment_fixed_size: 0
    .sgpr_count:     4
    .sgpr_spill_count: 0
    .symbol:         _ZN7rocprim17ROCPRIM_400000_NS6detail17trampoline_kernelINS0_14default_configENS1_25partition_config_selectorILNS1_17partition_subalgoE1EtNS0_10empty_typeEbEEZZNS1_14partition_implILS5_1ELb0ES3_jN6thrust23THRUST_200600_302600_NS6detail15normal_iteratorINSA_10device_ptrItEEEEPS6_NSA_18transform_iteratorI7is_evenItESF_NSA_11use_defaultESK_EENS0_5tupleIJSF_SF_EEENSM_IJSG_SG_EEES6_PlJS6_EEE10hipError_tPvRmT3_T4_T5_T6_T7_T9_mT8_P12ihipStream_tbDpT10_ENKUlT_T0_E_clISt17integral_constantIbLb1EES18_IbLb0EEEEDaS14_S15_EUlS14_E_NS1_11comp_targetILNS1_3genE3ELNS1_11target_archE908ELNS1_3gpuE7ELNS1_3repE0EEENS1_30default_config_static_selectorELNS0_4arch9wavefront6targetE1EEEvT1_.kd
    .uniform_work_group_size: 1
    .uses_dynamic_stack: false
    .vgpr_count:     0
    .vgpr_spill_count: 0
    .wavefront_size: 64
  - .agpr_count:     0
    .args:
      - .offset:         0
        .size:           128
        .value_kind:     by_value
    .group_segment_fixed_size: 0
    .kernarg_segment_align: 8
    .kernarg_segment_size: 128
    .language:       OpenCL C
    .language_version:
      - 2
      - 0
    .max_flat_workgroup_size: 256
    .name:           _ZN7rocprim17ROCPRIM_400000_NS6detail17trampoline_kernelINS0_14default_configENS1_25partition_config_selectorILNS1_17partition_subalgoE1EtNS0_10empty_typeEbEEZZNS1_14partition_implILS5_1ELb0ES3_jN6thrust23THRUST_200600_302600_NS6detail15normal_iteratorINSA_10device_ptrItEEEEPS6_NSA_18transform_iteratorI7is_evenItESF_NSA_11use_defaultESK_EENS0_5tupleIJSF_SF_EEENSM_IJSG_SG_EEES6_PlJS6_EEE10hipError_tPvRmT3_T4_T5_T6_T7_T9_mT8_P12ihipStream_tbDpT10_ENKUlT_T0_E_clISt17integral_constantIbLb1EES18_IbLb0EEEEDaS14_S15_EUlS14_E_NS1_11comp_targetILNS1_3genE2ELNS1_11target_archE906ELNS1_3gpuE6ELNS1_3repE0EEENS1_30default_config_static_selectorELNS0_4arch9wavefront6targetE1EEEvT1_
    .private_segment_fixed_size: 0
    .sgpr_count:     4
    .sgpr_spill_count: 0
    .symbol:         _ZN7rocprim17ROCPRIM_400000_NS6detail17trampoline_kernelINS0_14default_configENS1_25partition_config_selectorILNS1_17partition_subalgoE1EtNS0_10empty_typeEbEEZZNS1_14partition_implILS5_1ELb0ES3_jN6thrust23THRUST_200600_302600_NS6detail15normal_iteratorINSA_10device_ptrItEEEEPS6_NSA_18transform_iteratorI7is_evenItESF_NSA_11use_defaultESK_EENS0_5tupleIJSF_SF_EEENSM_IJSG_SG_EEES6_PlJS6_EEE10hipError_tPvRmT3_T4_T5_T6_T7_T9_mT8_P12ihipStream_tbDpT10_ENKUlT_T0_E_clISt17integral_constantIbLb1EES18_IbLb0EEEEDaS14_S15_EUlS14_E_NS1_11comp_targetILNS1_3genE2ELNS1_11target_archE906ELNS1_3gpuE6ELNS1_3repE0EEENS1_30default_config_static_selectorELNS0_4arch9wavefront6targetE1EEEvT1_.kd
    .uniform_work_group_size: 1
    .uses_dynamic_stack: false
    .vgpr_count:     0
    .vgpr_spill_count: 0
    .wavefront_size: 64
  - .agpr_count:     0
    .args:
      - .offset:         0
        .size:           128
        .value_kind:     by_value
    .group_segment_fixed_size: 0
    .kernarg_segment_align: 8
    .kernarg_segment_size: 128
    .language:       OpenCL C
    .language_version:
      - 2
      - 0
    .max_flat_workgroup_size: 384
    .name:           _ZN7rocprim17ROCPRIM_400000_NS6detail17trampoline_kernelINS0_14default_configENS1_25partition_config_selectorILNS1_17partition_subalgoE1EtNS0_10empty_typeEbEEZZNS1_14partition_implILS5_1ELb0ES3_jN6thrust23THRUST_200600_302600_NS6detail15normal_iteratorINSA_10device_ptrItEEEEPS6_NSA_18transform_iteratorI7is_evenItESF_NSA_11use_defaultESK_EENS0_5tupleIJSF_SF_EEENSM_IJSG_SG_EEES6_PlJS6_EEE10hipError_tPvRmT3_T4_T5_T6_T7_T9_mT8_P12ihipStream_tbDpT10_ENKUlT_T0_E_clISt17integral_constantIbLb1EES18_IbLb0EEEEDaS14_S15_EUlS14_E_NS1_11comp_targetILNS1_3genE10ELNS1_11target_archE1200ELNS1_3gpuE4ELNS1_3repE0EEENS1_30default_config_static_selectorELNS0_4arch9wavefront6targetE1EEEvT1_
    .private_segment_fixed_size: 0
    .sgpr_count:     4
    .sgpr_spill_count: 0
    .symbol:         _ZN7rocprim17ROCPRIM_400000_NS6detail17trampoline_kernelINS0_14default_configENS1_25partition_config_selectorILNS1_17partition_subalgoE1EtNS0_10empty_typeEbEEZZNS1_14partition_implILS5_1ELb0ES3_jN6thrust23THRUST_200600_302600_NS6detail15normal_iteratorINSA_10device_ptrItEEEEPS6_NSA_18transform_iteratorI7is_evenItESF_NSA_11use_defaultESK_EENS0_5tupleIJSF_SF_EEENSM_IJSG_SG_EEES6_PlJS6_EEE10hipError_tPvRmT3_T4_T5_T6_T7_T9_mT8_P12ihipStream_tbDpT10_ENKUlT_T0_E_clISt17integral_constantIbLb1EES18_IbLb0EEEEDaS14_S15_EUlS14_E_NS1_11comp_targetILNS1_3genE10ELNS1_11target_archE1200ELNS1_3gpuE4ELNS1_3repE0EEENS1_30default_config_static_selectorELNS0_4arch9wavefront6targetE1EEEvT1_.kd
    .uniform_work_group_size: 1
    .uses_dynamic_stack: false
    .vgpr_count:     0
    .vgpr_spill_count: 0
    .wavefront_size: 64
  - .agpr_count:     0
    .args:
      - .offset:         0
        .size:           128
        .value_kind:     by_value
    .group_segment_fixed_size: 0
    .kernarg_segment_align: 8
    .kernarg_segment_size: 128
    .language:       OpenCL C
    .language_version:
      - 2
      - 0
    .max_flat_workgroup_size: 128
    .name:           _ZN7rocprim17ROCPRIM_400000_NS6detail17trampoline_kernelINS0_14default_configENS1_25partition_config_selectorILNS1_17partition_subalgoE1EtNS0_10empty_typeEbEEZZNS1_14partition_implILS5_1ELb0ES3_jN6thrust23THRUST_200600_302600_NS6detail15normal_iteratorINSA_10device_ptrItEEEEPS6_NSA_18transform_iteratorI7is_evenItESF_NSA_11use_defaultESK_EENS0_5tupleIJSF_SF_EEENSM_IJSG_SG_EEES6_PlJS6_EEE10hipError_tPvRmT3_T4_T5_T6_T7_T9_mT8_P12ihipStream_tbDpT10_ENKUlT_T0_E_clISt17integral_constantIbLb1EES18_IbLb0EEEEDaS14_S15_EUlS14_E_NS1_11comp_targetILNS1_3genE9ELNS1_11target_archE1100ELNS1_3gpuE3ELNS1_3repE0EEENS1_30default_config_static_selectorELNS0_4arch9wavefront6targetE1EEEvT1_
    .private_segment_fixed_size: 0
    .sgpr_count:     4
    .sgpr_spill_count: 0
    .symbol:         _ZN7rocprim17ROCPRIM_400000_NS6detail17trampoline_kernelINS0_14default_configENS1_25partition_config_selectorILNS1_17partition_subalgoE1EtNS0_10empty_typeEbEEZZNS1_14partition_implILS5_1ELb0ES3_jN6thrust23THRUST_200600_302600_NS6detail15normal_iteratorINSA_10device_ptrItEEEEPS6_NSA_18transform_iteratorI7is_evenItESF_NSA_11use_defaultESK_EENS0_5tupleIJSF_SF_EEENSM_IJSG_SG_EEES6_PlJS6_EEE10hipError_tPvRmT3_T4_T5_T6_T7_T9_mT8_P12ihipStream_tbDpT10_ENKUlT_T0_E_clISt17integral_constantIbLb1EES18_IbLb0EEEEDaS14_S15_EUlS14_E_NS1_11comp_targetILNS1_3genE9ELNS1_11target_archE1100ELNS1_3gpuE3ELNS1_3repE0EEENS1_30default_config_static_selectorELNS0_4arch9wavefront6targetE1EEEvT1_.kd
    .uniform_work_group_size: 1
    .uses_dynamic_stack: false
    .vgpr_count:     0
    .vgpr_spill_count: 0
    .wavefront_size: 64
  - .agpr_count:     0
    .args:
      - .offset:         0
        .size:           128
        .value_kind:     by_value
    .group_segment_fixed_size: 0
    .kernarg_segment_align: 8
    .kernarg_segment_size: 128
    .language:       OpenCL C
    .language_version:
      - 2
      - 0
    .max_flat_workgroup_size: 512
    .name:           _ZN7rocprim17ROCPRIM_400000_NS6detail17trampoline_kernelINS0_14default_configENS1_25partition_config_selectorILNS1_17partition_subalgoE1EtNS0_10empty_typeEbEEZZNS1_14partition_implILS5_1ELb0ES3_jN6thrust23THRUST_200600_302600_NS6detail15normal_iteratorINSA_10device_ptrItEEEEPS6_NSA_18transform_iteratorI7is_evenItESF_NSA_11use_defaultESK_EENS0_5tupleIJSF_SF_EEENSM_IJSG_SG_EEES6_PlJS6_EEE10hipError_tPvRmT3_T4_T5_T6_T7_T9_mT8_P12ihipStream_tbDpT10_ENKUlT_T0_E_clISt17integral_constantIbLb1EES18_IbLb0EEEEDaS14_S15_EUlS14_E_NS1_11comp_targetILNS1_3genE8ELNS1_11target_archE1030ELNS1_3gpuE2ELNS1_3repE0EEENS1_30default_config_static_selectorELNS0_4arch9wavefront6targetE1EEEvT1_
    .private_segment_fixed_size: 0
    .sgpr_count:     4
    .sgpr_spill_count: 0
    .symbol:         _ZN7rocprim17ROCPRIM_400000_NS6detail17trampoline_kernelINS0_14default_configENS1_25partition_config_selectorILNS1_17partition_subalgoE1EtNS0_10empty_typeEbEEZZNS1_14partition_implILS5_1ELb0ES3_jN6thrust23THRUST_200600_302600_NS6detail15normal_iteratorINSA_10device_ptrItEEEEPS6_NSA_18transform_iteratorI7is_evenItESF_NSA_11use_defaultESK_EENS0_5tupleIJSF_SF_EEENSM_IJSG_SG_EEES6_PlJS6_EEE10hipError_tPvRmT3_T4_T5_T6_T7_T9_mT8_P12ihipStream_tbDpT10_ENKUlT_T0_E_clISt17integral_constantIbLb1EES18_IbLb0EEEEDaS14_S15_EUlS14_E_NS1_11comp_targetILNS1_3genE8ELNS1_11target_archE1030ELNS1_3gpuE2ELNS1_3repE0EEENS1_30default_config_static_selectorELNS0_4arch9wavefront6targetE1EEEvT1_.kd
    .uniform_work_group_size: 1
    .uses_dynamic_stack: false
    .vgpr_count:     0
    .vgpr_spill_count: 0
    .wavefront_size: 64
  - .agpr_count:     0
    .args:
      - .offset:         0
        .size:           144
        .value_kind:     by_value
    .group_segment_fixed_size: 0
    .kernarg_segment_align: 8
    .kernarg_segment_size: 144
    .language:       OpenCL C
    .language_version:
      - 2
      - 0
    .max_flat_workgroup_size: 256
    .name:           _ZN7rocprim17ROCPRIM_400000_NS6detail17trampoline_kernelINS0_14default_configENS1_25partition_config_selectorILNS1_17partition_subalgoE1EtNS0_10empty_typeEbEEZZNS1_14partition_implILS5_1ELb0ES3_jN6thrust23THRUST_200600_302600_NS6detail15normal_iteratorINSA_10device_ptrItEEEEPS6_NSA_18transform_iteratorI7is_evenItESF_NSA_11use_defaultESK_EENS0_5tupleIJSF_SF_EEENSM_IJSG_SG_EEES6_PlJS6_EEE10hipError_tPvRmT3_T4_T5_T6_T7_T9_mT8_P12ihipStream_tbDpT10_ENKUlT_T0_E_clISt17integral_constantIbLb0EES18_IbLb1EEEEDaS14_S15_EUlS14_E_NS1_11comp_targetILNS1_3genE0ELNS1_11target_archE4294967295ELNS1_3gpuE0ELNS1_3repE0EEENS1_30default_config_static_selectorELNS0_4arch9wavefront6targetE1EEEvT1_
    .private_segment_fixed_size: 0
    .sgpr_count:     4
    .sgpr_spill_count: 0
    .symbol:         _ZN7rocprim17ROCPRIM_400000_NS6detail17trampoline_kernelINS0_14default_configENS1_25partition_config_selectorILNS1_17partition_subalgoE1EtNS0_10empty_typeEbEEZZNS1_14partition_implILS5_1ELb0ES3_jN6thrust23THRUST_200600_302600_NS6detail15normal_iteratorINSA_10device_ptrItEEEEPS6_NSA_18transform_iteratorI7is_evenItESF_NSA_11use_defaultESK_EENS0_5tupleIJSF_SF_EEENSM_IJSG_SG_EEES6_PlJS6_EEE10hipError_tPvRmT3_T4_T5_T6_T7_T9_mT8_P12ihipStream_tbDpT10_ENKUlT_T0_E_clISt17integral_constantIbLb0EES18_IbLb1EEEEDaS14_S15_EUlS14_E_NS1_11comp_targetILNS1_3genE0ELNS1_11target_archE4294967295ELNS1_3gpuE0ELNS1_3repE0EEENS1_30default_config_static_selectorELNS0_4arch9wavefront6targetE1EEEvT1_.kd
    .uniform_work_group_size: 1
    .uses_dynamic_stack: false
    .vgpr_count:     0
    .vgpr_spill_count: 0
    .wavefront_size: 64
  - .agpr_count:     0
    .args:
      - .offset:         0
        .size:           144
        .value_kind:     by_value
    .group_segment_fixed_size: 0
    .kernarg_segment_align: 8
    .kernarg_segment_size: 144
    .language:       OpenCL C
    .language_version:
      - 2
      - 0
    .max_flat_workgroup_size: 512
    .name:           _ZN7rocprim17ROCPRIM_400000_NS6detail17trampoline_kernelINS0_14default_configENS1_25partition_config_selectorILNS1_17partition_subalgoE1EtNS0_10empty_typeEbEEZZNS1_14partition_implILS5_1ELb0ES3_jN6thrust23THRUST_200600_302600_NS6detail15normal_iteratorINSA_10device_ptrItEEEEPS6_NSA_18transform_iteratorI7is_evenItESF_NSA_11use_defaultESK_EENS0_5tupleIJSF_SF_EEENSM_IJSG_SG_EEES6_PlJS6_EEE10hipError_tPvRmT3_T4_T5_T6_T7_T9_mT8_P12ihipStream_tbDpT10_ENKUlT_T0_E_clISt17integral_constantIbLb0EES18_IbLb1EEEEDaS14_S15_EUlS14_E_NS1_11comp_targetILNS1_3genE5ELNS1_11target_archE942ELNS1_3gpuE9ELNS1_3repE0EEENS1_30default_config_static_selectorELNS0_4arch9wavefront6targetE1EEEvT1_
    .private_segment_fixed_size: 0
    .sgpr_count:     4
    .sgpr_spill_count: 0
    .symbol:         _ZN7rocprim17ROCPRIM_400000_NS6detail17trampoline_kernelINS0_14default_configENS1_25partition_config_selectorILNS1_17partition_subalgoE1EtNS0_10empty_typeEbEEZZNS1_14partition_implILS5_1ELb0ES3_jN6thrust23THRUST_200600_302600_NS6detail15normal_iteratorINSA_10device_ptrItEEEEPS6_NSA_18transform_iteratorI7is_evenItESF_NSA_11use_defaultESK_EENS0_5tupleIJSF_SF_EEENSM_IJSG_SG_EEES6_PlJS6_EEE10hipError_tPvRmT3_T4_T5_T6_T7_T9_mT8_P12ihipStream_tbDpT10_ENKUlT_T0_E_clISt17integral_constantIbLb0EES18_IbLb1EEEEDaS14_S15_EUlS14_E_NS1_11comp_targetILNS1_3genE5ELNS1_11target_archE942ELNS1_3gpuE9ELNS1_3repE0EEENS1_30default_config_static_selectorELNS0_4arch9wavefront6targetE1EEEvT1_.kd
    .uniform_work_group_size: 1
    .uses_dynamic_stack: false
    .vgpr_count:     0
    .vgpr_spill_count: 0
    .wavefront_size: 64
  - .agpr_count:     0
    .args:
      - .offset:         0
        .size:           144
        .value_kind:     by_value
    .group_segment_fixed_size: 10248
    .kernarg_segment_align: 8
    .kernarg_segment_size: 144
    .language:       OpenCL C
    .language_version:
      - 2
      - 0
    .max_flat_workgroup_size: 256
    .name:           _ZN7rocprim17ROCPRIM_400000_NS6detail17trampoline_kernelINS0_14default_configENS1_25partition_config_selectorILNS1_17partition_subalgoE1EtNS0_10empty_typeEbEEZZNS1_14partition_implILS5_1ELb0ES3_jN6thrust23THRUST_200600_302600_NS6detail15normal_iteratorINSA_10device_ptrItEEEEPS6_NSA_18transform_iteratorI7is_evenItESF_NSA_11use_defaultESK_EENS0_5tupleIJSF_SF_EEENSM_IJSG_SG_EEES6_PlJS6_EEE10hipError_tPvRmT3_T4_T5_T6_T7_T9_mT8_P12ihipStream_tbDpT10_ENKUlT_T0_E_clISt17integral_constantIbLb0EES18_IbLb1EEEEDaS14_S15_EUlS14_E_NS1_11comp_targetILNS1_3genE4ELNS1_11target_archE910ELNS1_3gpuE8ELNS1_3repE0EEENS1_30default_config_static_selectorELNS0_4arch9wavefront6targetE1EEEvT1_
    .private_segment_fixed_size: 0
    .sgpr_count:     48
    .sgpr_spill_count: 0
    .symbol:         _ZN7rocprim17ROCPRIM_400000_NS6detail17trampoline_kernelINS0_14default_configENS1_25partition_config_selectorILNS1_17partition_subalgoE1EtNS0_10empty_typeEbEEZZNS1_14partition_implILS5_1ELb0ES3_jN6thrust23THRUST_200600_302600_NS6detail15normal_iteratorINSA_10device_ptrItEEEEPS6_NSA_18transform_iteratorI7is_evenItESF_NSA_11use_defaultESK_EENS0_5tupleIJSF_SF_EEENSM_IJSG_SG_EEES6_PlJS6_EEE10hipError_tPvRmT3_T4_T5_T6_T7_T9_mT8_P12ihipStream_tbDpT10_ENKUlT_T0_E_clISt17integral_constantIbLb0EES18_IbLb1EEEEDaS14_S15_EUlS14_E_NS1_11comp_targetILNS1_3genE4ELNS1_11target_archE910ELNS1_3gpuE8ELNS1_3repE0EEENS1_30default_config_static_selectorELNS0_4arch9wavefront6targetE1EEEvT1_.kd
    .uniform_work_group_size: 1
    .uses_dynamic_stack: false
    .vgpr_count:     69
    .vgpr_spill_count: 0
    .wavefront_size: 64
  - .agpr_count:     0
    .args:
      - .offset:         0
        .size:           144
        .value_kind:     by_value
    .group_segment_fixed_size: 0
    .kernarg_segment_align: 8
    .kernarg_segment_size: 144
    .language:       OpenCL C
    .language_version:
      - 2
      - 0
    .max_flat_workgroup_size: 256
    .name:           _ZN7rocprim17ROCPRIM_400000_NS6detail17trampoline_kernelINS0_14default_configENS1_25partition_config_selectorILNS1_17partition_subalgoE1EtNS0_10empty_typeEbEEZZNS1_14partition_implILS5_1ELb0ES3_jN6thrust23THRUST_200600_302600_NS6detail15normal_iteratorINSA_10device_ptrItEEEEPS6_NSA_18transform_iteratorI7is_evenItESF_NSA_11use_defaultESK_EENS0_5tupleIJSF_SF_EEENSM_IJSG_SG_EEES6_PlJS6_EEE10hipError_tPvRmT3_T4_T5_T6_T7_T9_mT8_P12ihipStream_tbDpT10_ENKUlT_T0_E_clISt17integral_constantIbLb0EES18_IbLb1EEEEDaS14_S15_EUlS14_E_NS1_11comp_targetILNS1_3genE3ELNS1_11target_archE908ELNS1_3gpuE7ELNS1_3repE0EEENS1_30default_config_static_selectorELNS0_4arch9wavefront6targetE1EEEvT1_
    .private_segment_fixed_size: 0
    .sgpr_count:     4
    .sgpr_spill_count: 0
    .symbol:         _ZN7rocprim17ROCPRIM_400000_NS6detail17trampoline_kernelINS0_14default_configENS1_25partition_config_selectorILNS1_17partition_subalgoE1EtNS0_10empty_typeEbEEZZNS1_14partition_implILS5_1ELb0ES3_jN6thrust23THRUST_200600_302600_NS6detail15normal_iteratorINSA_10device_ptrItEEEEPS6_NSA_18transform_iteratorI7is_evenItESF_NSA_11use_defaultESK_EENS0_5tupleIJSF_SF_EEENSM_IJSG_SG_EEES6_PlJS6_EEE10hipError_tPvRmT3_T4_T5_T6_T7_T9_mT8_P12ihipStream_tbDpT10_ENKUlT_T0_E_clISt17integral_constantIbLb0EES18_IbLb1EEEEDaS14_S15_EUlS14_E_NS1_11comp_targetILNS1_3genE3ELNS1_11target_archE908ELNS1_3gpuE7ELNS1_3repE0EEENS1_30default_config_static_selectorELNS0_4arch9wavefront6targetE1EEEvT1_.kd
    .uniform_work_group_size: 1
    .uses_dynamic_stack: false
    .vgpr_count:     0
    .vgpr_spill_count: 0
    .wavefront_size: 64
  - .agpr_count:     0
    .args:
      - .offset:         0
        .size:           144
        .value_kind:     by_value
    .group_segment_fixed_size: 0
    .kernarg_segment_align: 8
    .kernarg_segment_size: 144
    .language:       OpenCL C
    .language_version:
      - 2
      - 0
    .max_flat_workgroup_size: 256
    .name:           _ZN7rocprim17ROCPRIM_400000_NS6detail17trampoline_kernelINS0_14default_configENS1_25partition_config_selectorILNS1_17partition_subalgoE1EtNS0_10empty_typeEbEEZZNS1_14partition_implILS5_1ELb0ES3_jN6thrust23THRUST_200600_302600_NS6detail15normal_iteratorINSA_10device_ptrItEEEEPS6_NSA_18transform_iteratorI7is_evenItESF_NSA_11use_defaultESK_EENS0_5tupleIJSF_SF_EEENSM_IJSG_SG_EEES6_PlJS6_EEE10hipError_tPvRmT3_T4_T5_T6_T7_T9_mT8_P12ihipStream_tbDpT10_ENKUlT_T0_E_clISt17integral_constantIbLb0EES18_IbLb1EEEEDaS14_S15_EUlS14_E_NS1_11comp_targetILNS1_3genE2ELNS1_11target_archE906ELNS1_3gpuE6ELNS1_3repE0EEENS1_30default_config_static_selectorELNS0_4arch9wavefront6targetE1EEEvT1_
    .private_segment_fixed_size: 0
    .sgpr_count:     4
    .sgpr_spill_count: 0
    .symbol:         _ZN7rocprim17ROCPRIM_400000_NS6detail17trampoline_kernelINS0_14default_configENS1_25partition_config_selectorILNS1_17partition_subalgoE1EtNS0_10empty_typeEbEEZZNS1_14partition_implILS5_1ELb0ES3_jN6thrust23THRUST_200600_302600_NS6detail15normal_iteratorINSA_10device_ptrItEEEEPS6_NSA_18transform_iteratorI7is_evenItESF_NSA_11use_defaultESK_EENS0_5tupleIJSF_SF_EEENSM_IJSG_SG_EEES6_PlJS6_EEE10hipError_tPvRmT3_T4_T5_T6_T7_T9_mT8_P12ihipStream_tbDpT10_ENKUlT_T0_E_clISt17integral_constantIbLb0EES18_IbLb1EEEEDaS14_S15_EUlS14_E_NS1_11comp_targetILNS1_3genE2ELNS1_11target_archE906ELNS1_3gpuE6ELNS1_3repE0EEENS1_30default_config_static_selectorELNS0_4arch9wavefront6targetE1EEEvT1_.kd
    .uniform_work_group_size: 1
    .uses_dynamic_stack: false
    .vgpr_count:     0
    .vgpr_spill_count: 0
    .wavefront_size: 64
  - .agpr_count:     0
    .args:
      - .offset:         0
        .size:           144
        .value_kind:     by_value
    .group_segment_fixed_size: 0
    .kernarg_segment_align: 8
    .kernarg_segment_size: 144
    .language:       OpenCL C
    .language_version:
      - 2
      - 0
    .max_flat_workgroup_size: 384
    .name:           _ZN7rocprim17ROCPRIM_400000_NS6detail17trampoline_kernelINS0_14default_configENS1_25partition_config_selectorILNS1_17partition_subalgoE1EtNS0_10empty_typeEbEEZZNS1_14partition_implILS5_1ELb0ES3_jN6thrust23THRUST_200600_302600_NS6detail15normal_iteratorINSA_10device_ptrItEEEEPS6_NSA_18transform_iteratorI7is_evenItESF_NSA_11use_defaultESK_EENS0_5tupleIJSF_SF_EEENSM_IJSG_SG_EEES6_PlJS6_EEE10hipError_tPvRmT3_T4_T5_T6_T7_T9_mT8_P12ihipStream_tbDpT10_ENKUlT_T0_E_clISt17integral_constantIbLb0EES18_IbLb1EEEEDaS14_S15_EUlS14_E_NS1_11comp_targetILNS1_3genE10ELNS1_11target_archE1200ELNS1_3gpuE4ELNS1_3repE0EEENS1_30default_config_static_selectorELNS0_4arch9wavefront6targetE1EEEvT1_
    .private_segment_fixed_size: 0
    .sgpr_count:     4
    .sgpr_spill_count: 0
    .symbol:         _ZN7rocprim17ROCPRIM_400000_NS6detail17trampoline_kernelINS0_14default_configENS1_25partition_config_selectorILNS1_17partition_subalgoE1EtNS0_10empty_typeEbEEZZNS1_14partition_implILS5_1ELb0ES3_jN6thrust23THRUST_200600_302600_NS6detail15normal_iteratorINSA_10device_ptrItEEEEPS6_NSA_18transform_iteratorI7is_evenItESF_NSA_11use_defaultESK_EENS0_5tupleIJSF_SF_EEENSM_IJSG_SG_EEES6_PlJS6_EEE10hipError_tPvRmT3_T4_T5_T6_T7_T9_mT8_P12ihipStream_tbDpT10_ENKUlT_T0_E_clISt17integral_constantIbLb0EES18_IbLb1EEEEDaS14_S15_EUlS14_E_NS1_11comp_targetILNS1_3genE10ELNS1_11target_archE1200ELNS1_3gpuE4ELNS1_3repE0EEENS1_30default_config_static_selectorELNS0_4arch9wavefront6targetE1EEEvT1_.kd
    .uniform_work_group_size: 1
    .uses_dynamic_stack: false
    .vgpr_count:     0
    .vgpr_spill_count: 0
    .wavefront_size: 64
  - .agpr_count:     0
    .args:
      - .offset:         0
        .size:           144
        .value_kind:     by_value
    .group_segment_fixed_size: 0
    .kernarg_segment_align: 8
    .kernarg_segment_size: 144
    .language:       OpenCL C
    .language_version:
      - 2
      - 0
    .max_flat_workgroup_size: 128
    .name:           _ZN7rocprim17ROCPRIM_400000_NS6detail17trampoline_kernelINS0_14default_configENS1_25partition_config_selectorILNS1_17partition_subalgoE1EtNS0_10empty_typeEbEEZZNS1_14partition_implILS5_1ELb0ES3_jN6thrust23THRUST_200600_302600_NS6detail15normal_iteratorINSA_10device_ptrItEEEEPS6_NSA_18transform_iteratorI7is_evenItESF_NSA_11use_defaultESK_EENS0_5tupleIJSF_SF_EEENSM_IJSG_SG_EEES6_PlJS6_EEE10hipError_tPvRmT3_T4_T5_T6_T7_T9_mT8_P12ihipStream_tbDpT10_ENKUlT_T0_E_clISt17integral_constantIbLb0EES18_IbLb1EEEEDaS14_S15_EUlS14_E_NS1_11comp_targetILNS1_3genE9ELNS1_11target_archE1100ELNS1_3gpuE3ELNS1_3repE0EEENS1_30default_config_static_selectorELNS0_4arch9wavefront6targetE1EEEvT1_
    .private_segment_fixed_size: 0
    .sgpr_count:     4
    .sgpr_spill_count: 0
    .symbol:         _ZN7rocprim17ROCPRIM_400000_NS6detail17trampoline_kernelINS0_14default_configENS1_25partition_config_selectorILNS1_17partition_subalgoE1EtNS0_10empty_typeEbEEZZNS1_14partition_implILS5_1ELb0ES3_jN6thrust23THRUST_200600_302600_NS6detail15normal_iteratorINSA_10device_ptrItEEEEPS6_NSA_18transform_iteratorI7is_evenItESF_NSA_11use_defaultESK_EENS0_5tupleIJSF_SF_EEENSM_IJSG_SG_EEES6_PlJS6_EEE10hipError_tPvRmT3_T4_T5_T6_T7_T9_mT8_P12ihipStream_tbDpT10_ENKUlT_T0_E_clISt17integral_constantIbLb0EES18_IbLb1EEEEDaS14_S15_EUlS14_E_NS1_11comp_targetILNS1_3genE9ELNS1_11target_archE1100ELNS1_3gpuE3ELNS1_3repE0EEENS1_30default_config_static_selectorELNS0_4arch9wavefront6targetE1EEEvT1_.kd
    .uniform_work_group_size: 1
    .uses_dynamic_stack: false
    .vgpr_count:     0
    .vgpr_spill_count: 0
    .wavefront_size: 64
  - .agpr_count:     0
    .args:
      - .offset:         0
        .size:           144
        .value_kind:     by_value
    .group_segment_fixed_size: 0
    .kernarg_segment_align: 8
    .kernarg_segment_size: 144
    .language:       OpenCL C
    .language_version:
      - 2
      - 0
    .max_flat_workgroup_size: 512
    .name:           _ZN7rocprim17ROCPRIM_400000_NS6detail17trampoline_kernelINS0_14default_configENS1_25partition_config_selectorILNS1_17partition_subalgoE1EtNS0_10empty_typeEbEEZZNS1_14partition_implILS5_1ELb0ES3_jN6thrust23THRUST_200600_302600_NS6detail15normal_iteratorINSA_10device_ptrItEEEEPS6_NSA_18transform_iteratorI7is_evenItESF_NSA_11use_defaultESK_EENS0_5tupleIJSF_SF_EEENSM_IJSG_SG_EEES6_PlJS6_EEE10hipError_tPvRmT3_T4_T5_T6_T7_T9_mT8_P12ihipStream_tbDpT10_ENKUlT_T0_E_clISt17integral_constantIbLb0EES18_IbLb1EEEEDaS14_S15_EUlS14_E_NS1_11comp_targetILNS1_3genE8ELNS1_11target_archE1030ELNS1_3gpuE2ELNS1_3repE0EEENS1_30default_config_static_selectorELNS0_4arch9wavefront6targetE1EEEvT1_
    .private_segment_fixed_size: 0
    .sgpr_count:     4
    .sgpr_spill_count: 0
    .symbol:         _ZN7rocprim17ROCPRIM_400000_NS6detail17trampoline_kernelINS0_14default_configENS1_25partition_config_selectorILNS1_17partition_subalgoE1EtNS0_10empty_typeEbEEZZNS1_14partition_implILS5_1ELb0ES3_jN6thrust23THRUST_200600_302600_NS6detail15normal_iteratorINSA_10device_ptrItEEEEPS6_NSA_18transform_iteratorI7is_evenItESF_NSA_11use_defaultESK_EENS0_5tupleIJSF_SF_EEENSM_IJSG_SG_EEES6_PlJS6_EEE10hipError_tPvRmT3_T4_T5_T6_T7_T9_mT8_P12ihipStream_tbDpT10_ENKUlT_T0_E_clISt17integral_constantIbLb0EES18_IbLb1EEEEDaS14_S15_EUlS14_E_NS1_11comp_targetILNS1_3genE8ELNS1_11target_archE1030ELNS1_3gpuE2ELNS1_3repE0EEENS1_30default_config_static_selectorELNS0_4arch9wavefront6targetE1EEEvT1_.kd
    .uniform_work_group_size: 1
    .uses_dynamic_stack: false
    .vgpr_count:     0
    .vgpr_spill_count: 0
    .wavefront_size: 64
  - .agpr_count:     0
    .args:
      - .offset:         0
        .size:           136
        .value_kind:     by_value
    .group_segment_fixed_size: 0
    .kernarg_segment_align: 8
    .kernarg_segment_size: 136
    .language:       OpenCL C
    .language_version:
      - 2
      - 0
    .max_flat_workgroup_size: 128
    .name:           _ZN7rocprim17ROCPRIM_400000_NS6detail17trampoline_kernelINS0_14default_configENS1_25partition_config_selectorILNS1_17partition_subalgoE0EyNS0_10empty_typeEbEEZZNS1_14partition_implILS5_0ELb0ES3_jN6thrust23THRUST_200600_302600_NS6detail15normal_iteratorINSA_10device_ptrIyEEEEPS6_SG_NS0_5tupleIJNSA_16discard_iteratorINSA_11use_defaultEEESK_EEENSH_IJSG_SG_EEES6_PlJ7is_evenIyEEEE10hipError_tPvRmT3_T4_T5_T6_T7_T9_mT8_P12ihipStream_tbDpT10_ENKUlT_T0_E_clISt17integral_constantIbLb0EES19_EEDaS14_S15_EUlS14_E_NS1_11comp_targetILNS1_3genE0ELNS1_11target_archE4294967295ELNS1_3gpuE0ELNS1_3repE0EEENS1_30default_config_static_selectorELNS0_4arch9wavefront6targetE1EEEvT1_
    .private_segment_fixed_size: 0
    .sgpr_count:     4
    .sgpr_spill_count: 0
    .symbol:         _ZN7rocprim17ROCPRIM_400000_NS6detail17trampoline_kernelINS0_14default_configENS1_25partition_config_selectorILNS1_17partition_subalgoE0EyNS0_10empty_typeEbEEZZNS1_14partition_implILS5_0ELb0ES3_jN6thrust23THRUST_200600_302600_NS6detail15normal_iteratorINSA_10device_ptrIyEEEEPS6_SG_NS0_5tupleIJNSA_16discard_iteratorINSA_11use_defaultEEESK_EEENSH_IJSG_SG_EEES6_PlJ7is_evenIyEEEE10hipError_tPvRmT3_T4_T5_T6_T7_T9_mT8_P12ihipStream_tbDpT10_ENKUlT_T0_E_clISt17integral_constantIbLb0EES19_EEDaS14_S15_EUlS14_E_NS1_11comp_targetILNS1_3genE0ELNS1_11target_archE4294967295ELNS1_3gpuE0ELNS1_3repE0EEENS1_30default_config_static_selectorELNS0_4arch9wavefront6targetE1EEEvT1_.kd
    .uniform_work_group_size: 1
    .uses_dynamic_stack: false
    .vgpr_count:     0
    .vgpr_spill_count: 0
    .wavefront_size: 64
  - .agpr_count:     0
    .args:
      - .offset:         0
        .size:           136
        .value_kind:     by_value
    .group_segment_fixed_size: 0
    .kernarg_segment_align: 8
    .kernarg_segment_size: 136
    .language:       OpenCL C
    .language_version:
      - 2
      - 0
    .max_flat_workgroup_size: 512
    .name:           _ZN7rocprim17ROCPRIM_400000_NS6detail17trampoline_kernelINS0_14default_configENS1_25partition_config_selectorILNS1_17partition_subalgoE0EyNS0_10empty_typeEbEEZZNS1_14partition_implILS5_0ELb0ES3_jN6thrust23THRUST_200600_302600_NS6detail15normal_iteratorINSA_10device_ptrIyEEEEPS6_SG_NS0_5tupleIJNSA_16discard_iteratorINSA_11use_defaultEEESK_EEENSH_IJSG_SG_EEES6_PlJ7is_evenIyEEEE10hipError_tPvRmT3_T4_T5_T6_T7_T9_mT8_P12ihipStream_tbDpT10_ENKUlT_T0_E_clISt17integral_constantIbLb0EES19_EEDaS14_S15_EUlS14_E_NS1_11comp_targetILNS1_3genE5ELNS1_11target_archE942ELNS1_3gpuE9ELNS1_3repE0EEENS1_30default_config_static_selectorELNS0_4arch9wavefront6targetE1EEEvT1_
    .private_segment_fixed_size: 0
    .sgpr_count:     4
    .sgpr_spill_count: 0
    .symbol:         _ZN7rocprim17ROCPRIM_400000_NS6detail17trampoline_kernelINS0_14default_configENS1_25partition_config_selectorILNS1_17partition_subalgoE0EyNS0_10empty_typeEbEEZZNS1_14partition_implILS5_0ELb0ES3_jN6thrust23THRUST_200600_302600_NS6detail15normal_iteratorINSA_10device_ptrIyEEEEPS6_SG_NS0_5tupleIJNSA_16discard_iteratorINSA_11use_defaultEEESK_EEENSH_IJSG_SG_EEES6_PlJ7is_evenIyEEEE10hipError_tPvRmT3_T4_T5_T6_T7_T9_mT8_P12ihipStream_tbDpT10_ENKUlT_T0_E_clISt17integral_constantIbLb0EES19_EEDaS14_S15_EUlS14_E_NS1_11comp_targetILNS1_3genE5ELNS1_11target_archE942ELNS1_3gpuE9ELNS1_3repE0EEENS1_30default_config_static_selectorELNS0_4arch9wavefront6targetE1EEEvT1_.kd
    .uniform_work_group_size: 1
    .uses_dynamic_stack: false
    .vgpr_count:     0
    .vgpr_spill_count: 0
    .wavefront_size: 64
  - .agpr_count:     0
    .args:
      - .offset:         0
        .size:           136
        .value_kind:     by_value
    .group_segment_fixed_size: 6344
    .kernarg_segment_align: 8
    .kernarg_segment_size: 136
    .language:       OpenCL C
    .language_version:
      - 2
      - 0
    .max_flat_workgroup_size: 192
    .name:           _ZN7rocprim17ROCPRIM_400000_NS6detail17trampoline_kernelINS0_14default_configENS1_25partition_config_selectorILNS1_17partition_subalgoE0EyNS0_10empty_typeEbEEZZNS1_14partition_implILS5_0ELb0ES3_jN6thrust23THRUST_200600_302600_NS6detail15normal_iteratorINSA_10device_ptrIyEEEEPS6_SG_NS0_5tupleIJNSA_16discard_iteratorINSA_11use_defaultEEESK_EEENSH_IJSG_SG_EEES6_PlJ7is_evenIyEEEE10hipError_tPvRmT3_T4_T5_T6_T7_T9_mT8_P12ihipStream_tbDpT10_ENKUlT_T0_E_clISt17integral_constantIbLb0EES19_EEDaS14_S15_EUlS14_E_NS1_11comp_targetILNS1_3genE4ELNS1_11target_archE910ELNS1_3gpuE8ELNS1_3repE0EEENS1_30default_config_static_selectorELNS0_4arch9wavefront6targetE1EEEvT1_
    .private_segment_fixed_size: 0
    .sgpr_count:     40
    .sgpr_spill_count: 0
    .symbol:         _ZN7rocprim17ROCPRIM_400000_NS6detail17trampoline_kernelINS0_14default_configENS1_25partition_config_selectorILNS1_17partition_subalgoE0EyNS0_10empty_typeEbEEZZNS1_14partition_implILS5_0ELb0ES3_jN6thrust23THRUST_200600_302600_NS6detail15normal_iteratorINSA_10device_ptrIyEEEEPS6_SG_NS0_5tupleIJNSA_16discard_iteratorINSA_11use_defaultEEESK_EEENSH_IJSG_SG_EEES6_PlJ7is_evenIyEEEE10hipError_tPvRmT3_T4_T5_T6_T7_T9_mT8_P12ihipStream_tbDpT10_ENKUlT_T0_E_clISt17integral_constantIbLb0EES19_EEDaS14_S15_EUlS14_E_NS1_11comp_targetILNS1_3genE4ELNS1_11target_archE910ELNS1_3gpuE8ELNS1_3repE0EEENS1_30default_config_static_selectorELNS0_4arch9wavefront6targetE1EEEvT1_.kd
    .uniform_work_group_size: 1
    .uses_dynamic_stack: false
    .vgpr_count:     42
    .vgpr_spill_count: 0
    .wavefront_size: 64
  - .agpr_count:     0
    .args:
      - .offset:         0
        .size:           136
        .value_kind:     by_value
    .group_segment_fixed_size: 0
    .kernarg_segment_align: 8
    .kernarg_segment_size: 136
    .language:       OpenCL C
    .language_version:
      - 2
      - 0
    .max_flat_workgroup_size: 128
    .name:           _ZN7rocprim17ROCPRIM_400000_NS6detail17trampoline_kernelINS0_14default_configENS1_25partition_config_selectorILNS1_17partition_subalgoE0EyNS0_10empty_typeEbEEZZNS1_14partition_implILS5_0ELb0ES3_jN6thrust23THRUST_200600_302600_NS6detail15normal_iteratorINSA_10device_ptrIyEEEEPS6_SG_NS0_5tupleIJNSA_16discard_iteratorINSA_11use_defaultEEESK_EEENSH_IJSG_SG_EEES6_PlJ7is_evenIyEEEE10hipError_tPvRmT3_T4_T5_T6_T7_T9_mT8_P12ihipStream_tbDpT10_ENKUlT_T0_E_clISt17integral_constantIbLb0EES19_EEDaS14_S15_EUlS14_E_NS1_11comp_targetILNS1_3genE3ELNS1_11target_archE908ELNS1_3gpuE7ELNS1_3repE0EEENS1_30default_config_static_selectorELNS0_4arch9wavefront6targetE1EEEvT1_
    .private_segment_fixed_size: 0
    .sgpr_count:     4
    .sgpr_spill_count: 0
    .symbol:         _ZN7rocprim17ROCPRIM_400000_NS6detail17trampoline_kernelINS0_14default_configENS1_25partition_config_selectorILNS1_17partition_subalgoE0EyNS0_10empty_typeEbEEZZNS1_14partition_implILS5_0ELb0ES3_jN6thrust23THRUST_200600_302600_NS6detail15normal_iteratorINSA_10device_ptrIyEEEEPS6_SG_NS0_5tupleIJNSA_16discard_iteratorINSA_11use_defaultEEESK_EEENSH_IJSG_SG_EEES6_PlJ7is_evenIyEEEE10hipError_tPvRmT3_T4_T5_T6_T7_T9_mT8_P12ihipStream_tbDpT10_ENKUlT_T0_E_clISt17integral_constantIbLb0EES19_EEDaS14_S15_EUlS14_E_NS1_11comp_targetILNS1_3genE3ELNS1_11target_archE908ELNS1_3gpuE7ELNS1_3repE0EEENS1_30default_config_static_selectorELNS0_4arch9wavefront6targetE1EEEvT1_.kd
    .uniform_work_group_size: 1
    .uses_dynamic_stack: false
    .vgpr_count:     0
    .vgpr_spill_count: 0
    .wavefront_size: 64
  - .agpr_count:     0
    .args:
      - .offset:         0
        .size:           136
        .value_kind:     by_value
    .group_segment_fixed_size: 0
    .kernarg_segment_align: 8
    .kernarg_segment_size: 136
    .language:       OpenCL C
    .language_version:
      - 2
      - 0
    .max_flat_workgroup_size: 256
    .name:           _ZN7rocprim17ROCPRIM_400000_NS6detail17trampoline_kernelINS0_14default_configENS1_25partition_config_selectorILNS1_17partition_subalgoE0EyNS0_10empty_typeEbEEZZNS1_14partition_implILS5_0ELb0ES3_jN6thrust23THRUST_200600_302600_NS6detail15normal_iteratorINSA_10device_ptrIyEEEEPS6_SG_NS0_5tupleIJNSA_16discard_iteratorINSA_11use_defaultEEESK_EEENSH_IJSG_SG_EEES6_PlJ7is_evenIyEEEE10hipError_tPvRmT3_T4_T5_T6_T7_T9_mT8_P12ihipStream_tbDpT10_ENKUlT_T0_E_clISt17integral_constantIbLb0EES19_EEDaS14_S15_EUlS14_E_NS1_11comp_targetILNS1_3genE2ELNS1_11target_archE906ELNS1_3gpuE6ELNS1_3repE0EEENS1_30default_config_static_selectorELNS0_4arch9wavefront6targetE1EEEvT1_
    .private_segment_fixed_size: 0
    .sgpr_count:     4
    .sgpr_spill_count: 0
    .symbol:         _ZN7rocprim17ROCPRIM_400000_NS6detail17trampoline_kernelINS0_14default_configENS1_25partition_config_selectorILNS1_17partition_subalgoE0EyNS0_10empty_typeEbEEZZNS1_14partition_implILS5_0ELb0ES3_jN6thrust23THRUST_200600_302600_NS6detail15normal_iteratorINSA_10device_ptrIyEEEEPS6_SG_NS0_5tupleIJNSA_16discard_iteratorINSA_11use_defaultEEESK_EEENSH_IJSG_SG_EEES6_PlJ7is_evenIyEEEE10hipError_tPvRmT3_T4_T5_T6_T7_T9_mT8_P12ihipStream_tbDpT10_ENKUlT_T0_E_clISt17integral_constantIbLb0EES19_EEDaS14_S15_EUlS14_E_NS1_11comp_targetILNS1_3genE2ELNS1_11target_archE906ELNS1_3gpuE6ELNS1_3repE0EEENS1_30default_config_static_selectorELNS0_4arch9wavefront6targetE1EEEvT1_.kd
    .uniform_work_group_size: 1
    .uses_dynamic_stack: false
    .vgpr_count:     0
    .vgpr_spill_count: 0
    .wavefront_size: 64
  - .agpr_count:     0
    .args:
      - .offset:         0
        .size:           136
        .value_kind:     by_value
    .group_segment_fixed_size: 0
    .kernarg_segment_align: 8
    .kernarg_segment_size: 136
    .language:       OpenCL C
    .language_version:
      - 2
      - 0
    .max_flat_workgroup_size: 512
    .name:           _ZN7rocprim17ROCPRIM_400000_NS6detail17trampoline_kernelINS0_14default_configENS1_25partition_config_selectorILNS1_17partition_subalgoE0EyNS0_10empty_typeEbEEZZNS1_14partition_implILS5_0ELb0ES3_jN6thrust23THRUST_200600_302600_NS6detail15normal_iteratorINSA_10device_ptrIyEEEEPS6_SG_NS0_5tupleIJNSA_16discard_iteratorINSA_11use_defaultEEESK_EEENSH_IJSG_SG_EEES6_PlJ7is_evenIyEEEE10hipError_tPvRmT3_T4_T5_T6_T7_T9_mT8_P12ihipStream_tbDpT10_ENKUlT_T0_E_clISt17integral_constantIbLb0EES19_EEDaS14_S15_EUlS14_E_NS1_11comp_targetILNS1_3genE10ELNS1_11target_archE1200ELNS1_3gpuE4ELNS1_3repE0EEENS1_30default_config_static_selectorELNS0_4arch9wavefront6targetE1EEEvT1_
    .private_segment_fixed_size: 0
    .sgpr_count:     4
    .sgpr_spill_count: 0
    .symbol:         _ZN7rocprim17ROCPRIM_400000_NS6detail17trampoline_kernelINS0_14default_configENS1_25partition_config_selectorILNS1_17partition_subalgoE0EyNS0_10empty_typeEbEEZZNS1_14partition_implILS5_0ELb0ES3_jN6thrust23THRUST_200600_302600_NS6detail15normal_iteratorINSA_10device_ptrIyEEEEPS6_SG_NS0_5tupleIJNSA_16discard_iteratorINSA_11use_defaultEEESK_EEENSH_IJSG_SG_EEES6_PlJ7is_evenIyEEEE10hipError_tPvRmT3_T4_T5_T6_T7_T9_mT8_P12ihipStream_tbDpT10_ENKUlT_T0_E_clISt17integral_constantIbLb0EES19_EEDaS14_S15_EUlS14_E_NS1_11comp_targetILNS1_3genE10ELNS1_11target_archE1200ELNS1_3gpuE4ELNS1_3repE0EEENS1_30default_config_static_selectorELNS0_4arch9wavefront6targetE1EEEvT1_.kd
    .uniform_work_group_size: 1
    .uses_dynamic_stack: false
    .vgpr_count:     0
    .vgpr_spill_count: 0
    .wavefront_size: 64
  - .agpr_count:     0
    .args:
      - .offset:         0
        .size:           136
        .value_kind:     by_value
    .group_segment_fixed_size: 0
    .kernarg_segment_align: 8
    .kernarg_segment_size: 136
    .language:       OpenCL C
    .language_version:
      - 2
      - 0
    .max_flat_workgroup_size: 512
    .name:           _ZN7rocprim17ROCPRIM_400000_NS6detail17trampoline_kernelINS0_14default_configENS1_25partition_config_selectorILNS1_17partition_subalgoE0EyNS0_10empty_typeEbEEZZNS1_14partition_implILS5_0ELb0ES3_jN6thrust23THRUST_200600_302600_NS6detail15normal_iteratorINSA_10device_ptrIyEEEEPS6_SG_NS0_5tupleIJNSA_16discard_iteratorINSA_11use_defaultEEESK_EEENSH_IJSG_SG_EEES6_PlJ7is_evenIyEEEE10hipError_tPvRmT3_T4_T5_T6_T7_T9_mT8_P12ihipStream_tbDpT10_ENKUlT_T0_E_clISt17integral_constantIbLb0EES19_EEDaS14_S15_EUlS14_E_NS1_11comp_targetILNS1_3genE9ELNS1_11target_archE1100ELNS1_3gpuE3ELNS1_3repE0EEENS1_30default_config_static_selectorELNS0_4arch9wavefront6targetE1EEEvT1_
    .private_segment_fixed_size: 0
    .sgpr_count:     4
    .sgpr_spill_count: 0
    .symbol:         _ZN7rocprim17ROCPRIM_400000_NS6detail17trampoline_kernelINS0_14default_configENS1_25partition_config_selectorILNS1_17partition_subalgoE0EyNS0_10empty_typeEbEEZZNS1_14partition_implILS5_0ELb0ES3_jN6thrust23THRUST_200600_302600_NS6detail15normal_iteratorINSA_10device_ptrIyEEEEPS6_SG_NS0_5tupleIJNSA_16discard_iteratorINSA_11use_defaultEEESK_EEENSH_IJSG_SG_EEES6_PlJ7is_evenIyEEEE10hipError_tPvRmT3_T4_T5_T6_T7_T9_mT8_P12ihipStream_tbDpT10_ENKUlT_T0_E_clISt17integral_constantIbLb0EES19_EEDaS14_S15_EUlS14_E_NS1_11comp_targetILNS1_3genE9ELNS1_11target_archE1100ELNS1_3gpuE3ELNS1_3repE0EEENS1_30default_config_static_selectorELNS0_4arch9wavefront6targetE1EEEvT1_.kd
    .uniform_work_group_size: 1
    .uses_dynamic_stack: false
    .vgpr_count:     0
    .vgpr_spill_count: 0
    .wavefront_size: 64
  - .agpr_count:     0
    .args:
      - .offset:         0
        .size:           136
        .value_kind:     by_value
    .group_segment_fixed_size: 0
    .kernarg_segment_align: 8
    .kernarg_segment_size: 136
    .language:       OpenCL C
    .language_version:
      - 2
      - 0
    .max_flat_workgroup_size: 512
    .name:           _ZN7rocprim17ROCPRIM_400000_NS6detail17trampoline_kernelINS0_14default_configENS1_25partition_config_selectorILNS1_17partition_subalgoE0EyNS0_10empty_typeEbEEZZNS1_14partition_implILS5_0ELb0ES3_jN6thrust23THRUST_200600_302600_NS6detail15normal_iteratorINSA_10device_ptrIyEEEEPS6_SG_NS0_5tupleIJNSA_16discard_iteratorINSA_11use_defaultEEESK_EEENSH_IJSG_SG_EEES6_PlJ7is_evenIyEEEE10hipError_tPvRmT3_T4_T5_T6_T7_T9_mT8_P12ihipStream_tbDpT10_ENKUlT_T0_E_clISt17integral_constantIbLb0EES19_EEDaS14_S15_EUlS14_E_NS1_11comp_targetILNS1_3genE8ELNS1_11target_archE1030ELNS1_3gpuE2ELNS1_3repE0EEENS1_30default_config_static_selectorELNS0_4arch9wavefront6targetE1EEEvT1_
    .private_segment_fixed_size: 0
    .sgpr_count:     4
    .sgpr_spill_count: 0
    .symbol:         _ZN7rocprim17ROCPRIM_400000_NS6detail17trampoline_kernelINS0_14default_configENS1_25partition_config_selectorILNS1_17partition_subalgoE0EyNS0_10empty_typeEbEEZZNS1_14partition_implILS5_0ELb0ES3_jN6thrust23THRUST_200600_302600_NS6detail15normal_iteratorINSA_10device_ptrIyEEEEPS6_SG_NS0_5tupleIJNSA_16discard_iteratorINSA_11use_defaultEEESK_EEENSH_IJSG_SG_EEES6_PlJ7is_evenIyEEEE10hipError_tPvRmT3_T4_T5_T6_T7_T9_mT8_P12ihipStream_tbDpT10_ENKUlT_T0_E_clISt17integral_constantIbLb0EES19_EEDaS14_S15_EUlS14_E_NS1_11comp_targetILNS1_3genE8ELNS1_11target_archE1030ELNS1_3gpuE2ELNS1_3repE0EEENS1_30default_config_static_selectorELNS0_4arch9wavefront6targetE1EEEvT1_.kd
    .uniform_work_group_size: 1
    .uses_dynamic_stack: false
    .vgpr_count:     0
    .vgpr_spill_count: 0
    .wavefront_size: 64
  - .agpr_count:     0
    .args:
      - .offset:         0
        .size:           152
        .value_kind:     by_value
    .group_segment_fixed_size: 0
    .kernarg_segment_align: 8
    .kernarg_segment_size: 152
    .language:       OpenCL C
    .language_version:
      - 2
      - 0
    .max_flat_workgroup_size: 128
    .name:           _ZN7rocprim17ROCPRIM_400000_NS6detail17trampoline_kernelINS0_14default_configENS1_25partition_config_selectorILNS1_17partition_subalgoE0EyNS0_10empty_typeEbEEZZNS1_14partition_implILS5_0ELb0ES3_jN6thrust23THRUST_200600_302600_NS6detail15normal_iteratorINSA_10device_ptrIyEEEEPS6_SG_NS0_5tupleIJNSA_16discard_iteratorINSA_11use_defaultEEESK_EEENSH_IJSG_SG_EEES6_PlJ7is_evenIyEEEE10hipError_tPvRmT3_T4_T5_T6_T7_T9_mT8_P12ihipStream_tbDpT10_ENKUlT_T0_E_clISt17integral_constantIbLb1EES19_EEDaS14_S15_EUlS14_E_NS1_11comp_targetILNS1_3genE0ELNS1_11target_archE4294967295ELNS1_3gpuE0ELNS1_3repE0EEENS1_30default_config_static_selectorELNS0_4arch9wavefront6targetE1EEEvT1_
    .private_segment_fixed_size: 0
    .sgpr_count:     4
    .sgpr_spill_count: 0
    .symbol:         _ZN7rocprim17ROCPRIM_400000_NS6detail17trampoline_kernelINS0_14default_configENS1_25partition_config_selectorILNS1_17partition_subalgoE0EyNS0_10empty_typeEbEEZZNS1_14partition_implILS5_0ELb0ES3_jN6thrust23THRUST_200600_302600_NS6detail15normal_iteratorINSA_10device_ptrIyEEEEPS6_SG_NS0_5tupleIJNSA_16discard_iteratorINSA_11use_defaultEEESK_EEENSH_IJSG_SG_EEES6_PlJ7is_evenIyEEEE10hipError_tPvRmT3_T4_T5_T6_T7_T9_mT8_P12ihipStream_tbDpT10_ENKUlT_T0_E_clISt17integral_constantIbLb1EES19_EEDaS14_S15_EUlS14_E_NS1_11comp_targetILNS1_3genE0ELNS1_11target_archE4294967295ELNS1_3gpuE0ELNS1_3repE0EEENS1_30default_config_static_selectorELNS0_4arch9wavefront6targetE1EEEvT1_.kd
    .uniform_work_group_size: 1
    .uses_dynamic_stack: false
    .vgpr_count:     0
    .vgpr_spill_count: 0
    .wavefront_size: 64
  - .agpr_count:     0
    .args:
      - .offset:         0
        .size:           152
        .value_kind:     by_value
    .group_segment_fixed_size: 0
    .kernarg_segment_align: 8
    .kernarg_segment_size: 152
    .language:       OpenCL C
    .language_version:
      - 2
      - 0
    .max_flat_workgroup_size: 512
    .name:           _ZN7rocprim17ROCPRIM_400000_NS6detail17trampoline_kernelINS0_14default_configENS1_25partition_config_selectorILNS1_17partition_subalgoE0EyNS0_10empty_typeEbEEZZNS1_14partition_implILS5_0ELb0ES3_jN6thrust23THRUST_200600_302600_NS6detail15normal_iteratorINSA_10device_ptrIyEEEEPS6_SG_NS0_5tupleIJNSA_16discard_iteratorINSA_11use_defaultEEESK_EEENSH_IJSG_SG_EEES6_PlJ7is_evenIyEEEE10hipError_tPvRmT3_T4_T5_T6_T7_T9_mT8_P12ihipStream_tbDpT10_ENKUlT_T0_E_clISt17integral_constantIbLb1EES19_EEDaS14_S15_EUlS14_E_NS1_11comp_targetILNS1_3genE5ELNS1_11target_archE942ELNS1_3gpuE9ELNS1_3repE0EEENS1_30default_config_static_selectorELNS0_4arch9wavefront6targetE1EEEvT1_
    .private_segment_fixed_size: 0
    .sgpr_count:     4
    .sgpr_spill_count: 0
    .symbol:         _ZN7rocprim17ROCPRIM_400000_NS6detail17trampoline_kernelINS0_14default_configENS1_25partition_config_selectorILNS1_17partition_subalgoE0EyNS0_10empty_typeEbEEZZNS1_14partition_implILS5_0ELb0ES3_jN6thrust23THRUST_200600_302600_NS6detail15normal_iteratorINSA_10device_ptrIyEEEEPS6_SG_NS0_5tupleIJNSA_16discard_iteratorINSA_11use_defaultEEESK_EEENSH_IJSG_SG_EEES6_PlJ7is_evenIyEEEE10hipError_tPvRmT3_T4_T5_T6_T7_T9_mT8_P12ihipStream_tbDpT10_ENKUlT_T0_E_clISt17integral_constantIbLb1EES19_EEDaS14_S15_EUlS14_E_NS1_11comp_targetILNS1_3genE5ELNS1_11target_archE942ELNS1_3gpuE9ELNS1_3repE0EEENS1_30default_config_static_selectorELNS0_4arch9wavefront6targetE1EEEvT1_.kd
    .uniform_work_group_size: 1
    .uses_dynamic_stack: false
    .vgpr_count:     0
    .vgpr_spill_count: 0
    .wavefront_size: 64
  - .agpr_count:     0
    .args:
      - .offset:         0
        .size:           152
        .value_kind:     by_value
    .group_segment_fixed_size: 6344
    .kernarg_segment_align: 8
    .kernarg_segment_size: 152
    .language:       OpenCL C
    .language_version:
      - 2
      - 0
    .max_flat_workgroup_size: 192
    .name:           _ZN7rocprim17ROCPRIM_400000_NS6detail17trampoline_kernelINS0_14default_configENS1_25partition_config_selectorILNS1_17partition_subalgoE0EyNS0_10empty_typeEbEEZZNS1_14partition_implILS5_0ELb0ES3_jN6thrust23THRUST_200600_302600_NS6detail15normal_iteratorINSA_10device_ptrIyEEEEPS6_SG_NS0_5tupleIJNSA_16discard_iteratorINSA_11use_defaultEEESK_EEENSH_IJSG_SG_EEES6_PlJ7is_evenIyEEEE10hipError_tPvRmT3_T4_T5_T6_T7_T9_mT8_P12ihipStream_tbDpT10_ENKUlT_T0_E_clISt17integral_constantIbLb1EES19_EEDaS14_S15_EUlS14_E_NS1_11comp_targetILNS1_3genE4ELNS1_11target_archE910ELNS1_3gpuE8ELNS1_3repE0EEENS1_30default_config_static_selectorELNS0_4arch9wavefront6targetE1EEEvT1_
    .private_segment_fixed_size: 0
    .sgpr_count:     40
    .sgpr_spill_count: 0
    .symbol:         _ZN7rocprim17ROCPRIM_400000_NS6detail17trampoline_kernelINS0_14default_configENS1_25partition_config_selectorILNS1_17partition_subalgoE0EyNS0_10empty_typeEbEEZZNS1_14partition_implILS5_0ELb0ES3_jN6thrust23THRUST_200600_302600_NS6detail15normal_iteratorINSA_10device_ptrIyEEEEPS6_SG_NS0_5tupleIJNSA_16discard_iteratorINSA_11use_defaultEEESK_EEENSH_IJSG_SG_EEES6_PlJ7is_evenIyEEEE10hipError_tPvRmT3_T4_T5_T6_T7_T9_mT8_P12ihipStream_tbDpT10_ENKUlT_T0_E_clISt17integral_constantIbLb1EES19_EEDaS14_S15_EUlS14_E_NS1_11comp_targetILNS1_3genE4ELNS1_11target_archE910ELNS1_3gpuE8ELNS1_3repE0EEENS1_30default_config_static_selectorELNS0_4arch9wavefront6targetE1EEEvT1_.kd
    .uniform_work_group_size: 1
    .uses_dynamic_stack: false
    .vgpr_count:     44
    .vgpr_spill_count: 0
    .wavefront_size: 64
  - .agpr_count:     0
    .args:
      - .offset:         0
        .size:           152
        .value_kind:     by_value
    .group_segment_fixed_size: 0
    .kernarg_segment_align: 8
    .kernarg_segment_size: 152
    .language:       OpenCL C
    .language_version:
      - 2
      - 0
    .max_flat_workgroup_size: 128
    .name:           _ZN7rocprim17ROCPRIM_400000_NS6detail17trampoline_kernelINS0_14default_configENS1_25partition_config_selectorILNS1_17partition_subalgoE0EyNS0_10empty_typeEbEEZZNS1_14partition_implILS5_0ELb0ES3_jN6thrust23THRUST_200600_302600_NS6detail15normal_iteratorINSA_10device_ptrIyEEEEPS6_SG_NS0_5tupleIJNSA_16discard_iteratorINSA_11use_defaultEEESK_EEENSH_IJSG_SG_EEES6_PlJ7is_evenIyEEEE10hipError_tPvRmT3_T4_T5_T6_T7_T9_mT8_P12ihipStream_tbDpT10_ENKUlT_T0_E_clISt17integral_constantIbLb1EES19_EEDaS14_S15_EUlS14_E_NS1_11comp_targetILNS1_3genE3ELNS1_11target_archE908ELNS1_3gpuE7ELNS1_3repE0EEENS1_30default_config_static_selectorELNS0_4arch9wavefront6targetE1EEEvT1_
    .private_segment_fixed_size: 0
    .sgpr_count:     4
    .sgpr_spill_count: 0
    .symbol:         _ZN7rocprim17ROCPRIM_400000_NS6detail17trampoline_kernelINS0_14default_configENS1_25partition_config_selectorILNS1_17partition_subalgoE0EyNS0_10empty_typeEbEEZZNS1_14partition_implILS5_0ELb0ES3_jN6thrust23THRUST_200600_302600_NS6detail15normal_iteratorINSA_10device_ptrIyEEEEPS6_SG_NS0_5tupleIJNSA_16discard_iteratorINSA_11use_defaultEEESK_EEENSH_IJSG_SG_EEES6_PlJ7is_evenIyEEEE10hipError_tPvRmT3_T4_T5_T6_T7_T9_mT8_P12ihipStream_tbDpT10_ENKUlT_T0_E_clISt17integral_constantIbLb1EES19_EEDaS14_S15_EUlS14_E_NS1_11comp_targetILNS1_3genE3ELNS1_11target_archE908ELNS1_3gpuE7ELNS1_3repE0EEENS1_30default_config_static_selectorELNS0_4arch9wavefront6targetE1EEEvT1_.kd
    .uniform_work_group_size: 1
    .uses_dynamic_stack: false
    .vgpr_count:     0
    .vgpr_spill_count: 0
    .wavefront_size: 64
  - .agpr_count:     0
    .args:
      - .offset:         0
        .size:           152
        .value_kind:     by_value
    .group_segment_fixed_size: 0
    .kernarg_segment_align: 8
    .kernarg_segment_size: 152
    .language:       OpenCL C
    .language_version:
      - 2
      - 0
    .max_flat_workgroup_size: 256
    .name:           _ZN7rocprim17ROCPRIM_400000_NS6detail17trampoline_kernelINS0_14default_configENS1_25partition_config_selectorILNS1_17partition_subalgoE0EyNS0_10empty_typeEbEEZZNS1_14partition_implILS5_0ELb0ES3_jN6thrust23THRUST_200600_302600_NS6detail15normal_iteratorINSA_10device_ptrIyEEEEPS6_SG_NS0_5tupleIJNSA_16discard_iteratorINSA_11use_defaultEEESK_EEENSH_IJSG_SG_EEES6_PlJ7is_evenIyEEEE10hipError_tPvRmT3_T4_T5_T6_T7_T9_mT8_P12ihipStream_tbDpT10_ENKUlT_T0_E_clISt17integral_constantIbLb1EES19_EEDaS14_S15_EUlS14_E_NS1_11comp_targetILNS1_3genE2ELNS1_11target_archE906ELNS1_3gpuE6ELNS1_3repE0EEENS1_30default_config_static_selectorELNS0_4arch9wavefront6targetE1EEEvT1_
    .private_segment_fixed_size: 0
    .sgpr_count:     4
    .sgpr_spill_count: 0
    .symbol:         _ZN7rocprim17ROCPRIM_400000_NS6detail17trampoline_kernelINS0_14default_configENS1_25partition_config_selectorILNS1_17partition_subalgoE0EyNS0_10empty_typeEbEEZZNS1_14partition_implILS5_0ELb0ES3_jN6thrust23THRUST_200600_302600_NS6detail15normal_iteratorINSA_10device_ptrIyEEEEPS6_SG_NS0_5tupleIJNSA_16discard_iteratorINSA_11use_defaultEEESK_EEENSH_IJSG_SG_EEES6_PlJ7is_evenIyEEEE10hipError_tPvRmT3_T4_T5_T6_T7_T9_mT8_P12ihipStream_tbDpT10_ENKUlT_T0_E_clISt17integral_constantIbLb1EES19_EEDaS14_S15_EUlS14_E_NS1_11comp_targetILNS1_3genE2ELNS1_11target_archE906ELNS1_3gpuE6ELNS1_3repE0EEENS1_30default_config_static_selectorELNS0_4arch9wavefront6targetE1EEEvT1_.kd
    .uniform_work_group_size: 1
    .uses_dynamic_stack: false
    .vgpr_count:     0
    .vgpr_spill_count: 0
    .wavefront_size: 64
  - .agpr_count:     0
    .args:
      - .offset:         0
        .size:           152
        .value_kind:     by_value
    .group_segment_fixed_size: 0
    .kernarg_segment_align: 8
    .kernarg_segment_size: 152
    .language:       OpenCL C
    .language_version:
      - 2
      - 0
    .max_flat_workgroup_size: 512
    .name:           _ZN7rocprim17ROCPRIM_400000_NS6detail17trampoline_kernelINS0_14default_configENS1_25partition_config_selectorILNS1_17partition_subalgoE0EyNS0_10empty_typeEbEEZZNS1_14partition_implILS5_0ELb0ES3_jN6thrust23THRUST_200600_302600_NS6detail15normal_iteratorINSA_10device_ptrIyEEEEPS6_SG_NS0_5tupleIJNSA_16discard_iteratorINSA_11use_defaultEEESK_EEENSH_IJSG_SG_EEES6_PlJ7is_evenIyEEEE10hipError_tPvRmT3_T4_T5_T6_T7_T9_mT8_P12ihipStream_tbDpT10_ENKUlT_T0_E_clISt17integral_constantIbLb1EES19_EEDaS14_S15_EUlS14_E_NS1_11comp_targetILNS1_3genE10ELNS1_11target_archE1200ELNS1_3gpuE4ELNS1_3repE0EEENS1_30default_config_static_selectorELNS0_4arch9wavefront6targetE1EEEvT1_
    .private_segment_fixed_size: 0
    .sgpr_count:     4
    .sgpr_spill_count: 0
    .symbol:         _ZN7rocprim17ROCPRIM_400000_NS6detail17trampoline_kernelINS0_14default_configENS1_25partition_config_selectorILNS1_17partition_subalgoE0EyNS0_10empty_typeEbEEZZNS1_14partition_implILS5_0ELb0ES3_jN6thrust23THRUST_200600_302600_NS6detail15normal_iteratorINSA_10device_ptrIyEEEEPS6_SG_NS0_5tupleIJNSA_16discard_iteratorINSA_11use_defaultEEESK_EEENSH_IJSG_SG_EEES6_PlJ7is_evenIyEEEE10hipError_tPvRmT3_T4_T5_T6_T7_T9_mT8_P12ihipStream_tbDpT10_ENKUlT_T0_E_clISt17integral_constantIbLb1EES19_EEDaS14_S15_EUlS14_E_NS1_11comp_targetILNS1_3genE10ELNS1_11target_archE1200ELNS1_3gpuE4ELNS1_3repE0EEENS1_30default_config_static_selectorELNS0_4arch9wavefront6targetE1EEEvT1_.kd
    .uniform_work_group_size: 1
    .uses_dynamic_stack: false
    .vgpr_count:     0
    .vgpr_spill_count: 0
    .wavefront_size: 64
  - .agpr_count:     0
    .args:
      - .offset:         0
        .size:           152
        .value_kind:     by_value
    .group_segment_fixed_size: 0
    .kernarg_segment_align: 8
    .kernarg_segment_size: 152
    .language:       OpenCL C
    .language_version:
      - 2
      - 0
    .max_flat_workgroup_size: 512
    .name:           _ZN7rocprim17ROCPRIM_400000_NS6detail17trampoline_kernelINS0_14default_configENS1_25partition_config_selectorILNS1_17partition_subalgoE0EyNS0_10empty_typeEbEEZZNS1_14partition_implILS5_0ELb0ES3_jN6thrust23THRUST_200600_302600_NS6detail15normal_iteratorINSA_10device_ptrIyEEEEPS6_SG_NS0_5tupleIJNSA_16discard_iteratorINSA_11use_defaultEEESK_EEENSH_IJSG_SG_EEES6_PlJ7is_evenIyEEEE10hipError_tPvRmT3_T4_T5_T6_T7_T9_mT8_P12ihipStream_tbDpT10_ENKUlT_T0_E_clISt17integral_constantIbLb1EES19_EEDaS14_S15_EUlS14_E_NS1_11comp_targetILNS1_3genE9ELNS1_11target_archE1100ELNS1_3gpuE3ELNS1_3repE0EEENS1_30default_config_static_selectorELNS0_4arch9wavefront6targetE1EEEvT1_
    .private_segment_fixed_size: 0
    .sgpr_count:     4
    .sgpr_spill_count: 0
    .symbol:         _ZN7rocprim17ROCPRIM_400000_NS6detail17trampoline_kernelINS0_14default_configENS1_25partition_config_selectorILNS1_17partition_subalgoE0EyNS0_10empty_typeEbEEZZNS1_14partition_implILS5_0ELb0ES3_jN6thrust23THRUST_200600_302600_NS6detail15normal_iteratorINSA_10device_ptrIyEEEEPS6_SG_NS0_5tupleIJNSA_16discard_iteratorINSA_11use_defaultEEESK_EEENSH_IJSG_SG_EEES6_PlJ7is_evenIyEEEE10hipError_tPvRmT3_T4_T5_T6_T7_T9_mT8_P12ihipStream_tbDpT10_ENKUlT_T0_E_clISt17integral_constantIbLb1EES19_EEDaS14_S15_EUlS14_E_NS1_11comp_targetILNS1_3genE9ELNS1_11target_archE1100ELNS1_3gpuE3ELNS1_3repE0EEENS1_30default_config_static_selectorELNS0_4arch9wavefront6targetE1EEEvT1_.kd
    .uniform_work_group_size: 1
    .uses_dynamic_stack: false
    .vgpr_count:     0
    .vgpr_spill_count: 0
    .wavefront_size: 64
  - .agpr_count:     0
    .args:
      - .offset:         0
        .size:           152
        .value_kind:     by_value
    .group_segment_fixed_size: 0
    .kernarg_segment_align: 8
    .kernarg_segment_size: 152
    .language:       OpenCL C
    .language_version:
      - 2
      - 0
    .max_flat_workgroup_size: 512
    .name:           _ZN7rocprim17ROCPRIM_400000_NS6detail17trampoline_kernelINS0_14default_configENS1_25partition_config_selectorILNS1_17partition_subalgoE0EyNS0_10empty_typeEbEEZZNS1_14partition_implILS5_0ELb0ES3_jN6thrust23THRUST_200600_302600_NS6detail15normal_iteratorINSA_10device_ptrIyEEEEPS6_SG_NS0_5tupleIJNSA_16discard_iteratorINSA_11use_defaultEEESK_EEENSH_IJSG_SG_EEES6_PlJ7is_evenIyEEEE10hipError_tPvRmT3_T4_T5_T6_T7_T9_mT8_P12ihipStream_tbDpT10_ENKUlT_T0_E_clISt17integral_constantIbLb1EES19_EEDaS14_S15_EUlS14_E_NS1_11comp_targetILNS1_3genE8ELNS1_11target_archE1030ELNS1_3gpuE2ELNS1_3repE0EEENS1_30default_config_static_selectorELNS0_4arch9wavefront6targetE1EEEvT1_
    .private_segment_fixed_size: 0
    .sgpr_count:     4
    .sgpr_spill_count: 0
    .symbol:         _ZN7rocprim17ROCPRIM_400000_NS6detail17trampoline_kernelINS0_14default_configENS1_25partition_config_selectorILNS1_17partition_subalgoE0EyNS0_10empty_typeEbEEZZNS1_14partition_implILS5_0ELb0ES3_jN6thrust23THRUST_200600_302600_NS6detail15normal_iteratorINSA_10device_ptrIyEEEEPS6_SG_NS0_5tupleIJNSA_16discard_iteratorINSA_11use_defaultEEESK_EEENSH_IJSG_SG_EEES6_PlJ7is_evenIyEEEE10hipError_tPvRmT3_T4_T5_T6_T7_T9_mT8_P12ihipStream_tbDpT10_ENKUlT_T0_E_clISt17integral_constantIbLb1EES19_EEDaS14_S15_EUlS14_E_NS1_11comp_targetILNS1_3genE8ELNS1_11target_archE1030ELNS1_3gpuE2ELNS1_3repE0EEENS1_30default_config_static_selectorELNS0_4arch9wavefront6targetE1EEEvT1_.kd
    .uniform_work_group_size: 1
    .uses_dynamic_stack: false
    .vgpr_count:     0
    .vgpr_spill_count: 0
    .wavefront_size: 64
  - .agpr_count:     0
    .args:
      - .offset:         0
        .size:           136
        .value_kind:     by_value
    .group_segment_fixed_size: 0
    .kernarg_segment_align: 8
    .kernarg_segment_size: 136
    .language:       OpenCL C
    .language_version:
      - 2
      - 0
    .max_flat_workgroup_size: 128
    .name:           _ZN7rocprim17ROCPRIM_400000_NS6detail17trampoline_kernelINS0_14default_configENS1_25partition_config_selectorILNS1_17partition_subalgoE0EyNS0_10empty_typeEbEEZZNS1_14partition_implILS5_0ELb0ES3_jN6thrust23THRUST_200600_302600_NS6detail15normal_iteratorINSA_10device_ptrIyEEEEPS6_SG_NS0_5tupleIJNSA_16discard_iteratorINSA_11use_defaultEEESK_EEENSH_IJSG_SG_EEES6_PlJ7is_evenIyEEEE10hipError_tPvRmT3_T4_T5_T6_T7_T9_mT8_P12ihipStream_tbDpT10_ENKUlT_T0_E_clISt17integral_constantIbLb1EES18_IbLb0EEEEDaS14_S15_EUlS14_E_NS1_11comp_targetILNS1_3genE0ELNS1_11target_archE4294967295ELNS1_3gpuE0ELNS1_3repE0EEENS1_30default_config_static_selectorELNS0_4arch9wavefront6targetE1EEEvT1_
    .private_segment_fixed_size: 0
    .sgpr_count:     4
    .sgpr_spill_count: 0
    .symbol:         _ZN7rocprim17ROCPRIM_400000_NS6detail17trampoline_kernelINS0_14default_configENS1_25partition_config_selectorILNS1_17partition_subalgoE0EyNS0_10empty_typeEbEEZZNS1_14partition_implILS5_0ELb0ES3_jN6thrust23THRUST_200600_302600_NS6detail15normal_iteratorINSA_10device_ptrIyEEEEPS6_SG_NS0_5tupleIJNSA_16discard_iteratorINSA_11use_defaultEEESK_EEENSH_IJSG_SG_EEES6_PlJ7is_evenIyEEEE10hipError_tPvRmT3_T4_T5_T6_T7_T9_mT8_P12ihipStream_tbDpT10_ENKUlT_T0_E_clISt17integral_constantIbLb1EES18_IbLb0EEEEDaS14_S15_EUlS14_E_NS1_11comp_targetILNS1_3genE0ELNS1_11target_archE4294967295ELNS1_3gpuE0ELNS1_3repE0EEENS1_30default_config_static_selectorELNS0_4arch9wavefront6targetE1EEEvT1_.kd
    .uniform_work_group_size: 1
    .uses_dynamic_stack: false
    .vgpr_count:     0
    .vgpr_spill_count: 0
    .wavefront_size: 64
  - .agpr_count:     0
    .args:
      - .offset:         0
        .size:           136
        .value_kind:     by_value
    .group_segment_fixed_size: 0
    .kernarg_segment_align: 8
    .kernarg_segment_size: 136
    .language:       OpenCL C
    .language_version:
      - 2
      - 0
    .max_flat_workgroup_size: 512
    .name:           _ZN7rocprim17ROCPRIM_400000_NS6detail17trampoline_kernelINS0_14default_configENS1_25partition_config_selectorILNS1_17partition_subalgoE0EyNS0_10empty_typeEbEEZZNS1_14partition_implILS5_0ELb0ES3_jN6thrust23THRUST_200600_302600_NS6detail15normal_iteratorINSA_10device_ptrIyEEEEPS6_SG_NS0_5tupleIJNSA_16discard_iteratorINSA_11use_defaultEEESK_EEENSH_IJSG_SG_EEES6_PlJ7is_evenIyEEEE10hipError_tPvRmT3_T4_T5_T6_T7_T9_mT8_P12ihipStream_tbDpT10_ENKUlT_T0_E_clISt17integral_constantIbLb1EES18_IbLb0EEEEDaS14_S15_EUlS14_E_NS1_11comp_targetILNS1_3genE5ELNS1_11target_archE942ELNS1_3gpuE9ELNS1_3repE0EEENS1_30default_config_static_selectorELNS0_4arch9wavefront6targetE1EEEvT1_
    .private_segment_fixed_size: 0
    .sgpr_count:     4
    .sgpr_spill_count: 0
    .symbol:         _ZN7rocprim17ROCPRIM_400000_NS6detail17trampoline_kernelINS0_14default_configENS1_25partition_config_selectorILNS1_17partition_subalgoE0EyNS0_10empty_typeEbEEZZNS1_14partition_implILS5_0ELb0ES3_jN6thrust23THRUST_200600_302600_NS6detail15normal_iteratorINSA_10device_ptrIyEEEEPS6_SG_NS0_5tupleIJNSA_16discard_iteratorINSA_11use_defaultEEESK_EEENSH_IJSG_SG_EEES6_PlJ7is_evenIyEEEE10hipError_tPvRmT3_T4_T5_T6_T7_T9_mT8_P12ihipStream_tbDpT10_ENKUlT_T0_E_clISt17integral_constantIbLb1EES18_IbLb0EEEEDaS14_S15_EUlS14_E_NS1_11comp_targetILNS1_3genE5ELNS1_11target_archE942ELNS1_3gpuE9ELNS1_3repE0EEENS1_30default_config_static_selectorELNS0_4arch9wavefront6targetE1EEEvT1_.kd
    .uniform_work_group_size: 1
    .uses_dynamic_stack: false
    .vgpr_count:     0
    .vgpr_spill_count: 0
    .wavefront_size: 64
  - .agpr_count:     0
    .args:
      - .offset:         0
        .size:           136
        .value_kind:     by_value
    .group_segment_fixed_size: 6344
    .kernarg_segment_align: 8
    .kernarg_segment_size: 136
    .language:       OpenCL C
    .language_version:
      - 2
      - 0
    .max_flat_workgroup_size: 192
    .name:           _ZN7rocprim17ROCPRIM_400000_NS6detail17trampoline_kernelINS0_14default_configENS1_25partition_config_selectorILNS1_17partition_subalgoE0EyNS0_10empty_typeEbEEZZNS1_14partition_implILS5_0ELb0ES3_jN6thrust23THRUST_200600_302600_NS6detail15normal_iteratorINSA_10device_ptrIyEEEEPS6_SG_NS0_5tupleIJNSA_16discard_iteratorINSA_11use_defaultEEESK_EEENSH_IJSG_SG_EEES6_PlJ7is_evenIyEEEE10hipError_tPvRmT3_T4_T5_T6_T7_T9_mT8_P12ihipStream_tbDpT10_ENKUlT_T0_E_clISt17integral_constantIbLb1EES18_IbLb0EEEEDaS14_S15_EUlS14_E_NS1_11comp_targetILNS1_3genE4ELNS1_11target_archE910ELNS1_3gpuE8ELNS1_3repE0EEENS1_30default_config_static_selectorELNS0_4arch9wavefront6targetE1EEEvT1_
    .private_segment_fixed_size: 0
    .sgpr_count:     40
    .sgpr_spill_count: 0
    .symbol:         _ZN7rocprim17ROCPRIM_400000_NS6detail17trampoline_kernelINS0_14default_configENS1_25partition_config_selectorILNS1_17partition_subalgoE0EyNS0_10empty_typeEbEEZZNS1_14partition_implILS5_0ELb0ES3_jN6thrust23THRUST_200600_302600_NS6detail15normal_iteratorINSA_10device_ptrIyEEEEPS6_SG_NS0_5tupleIJNSA_16discard_iteratorINSA_11use_defaultEEESK_EEENSH_IJSG_SG_EEES6_PlJ7is_evenIyEEEE10hipError_tPvRmT3_T4_T5_T6_T7_T9_mT8_P12ihipStream_tbDpT10_ENKUlT_T0_E_clISt17integral_constantIbLb1EES18_IbLb0EEEEDaS14_S15_EUlS14_E_NS1_11comp_targetILNS1_3genE4ELNS1_11target_archE910ELNS1_3gpuE8ELNS1_3repE0EEENS1_30default_config_static_selectorELNS0_4arch9wavefront6targetE1EEEvT1_.kd
    .uniform_work_group_size: 1
    .uses_dynamic_stack: false
    .vgpr_count:     42
    .vgpr_spill_count: 0
    .wavefront_size: 64
  - .agpr_count:     0
    .args:
      - .offset:         0
        .size:           136
        .value_kind:     by_value
    .group_segment_fixed_size: 0
    .kernarg_segment_align: 8
    .kernarg_segment_size: 136
    .language:       OpenCL C
    .language_version:
      - 2
      - 0
    .max_flat_workgroup_size: 128
    .name:           _ZN7rocprim17ROCPRIM_400000_NS6detail17trampoline_kernelINS0_14default_configENS1_25partition_config_selectorILNS1_17partition_subalgoE0EyNS0_10empty_typeEbEEZZNS1_14partition_implILS5_0ELb0ES3_jN6thrust23THRUST_200600_302600_NS6detail15normal_iteratorINSA_10device_ptrIyEEEEPS6_SG_NS0_5tupleIJNSA_16discard_iteratorINSA_11use_defaultEEESK_EEENSH_IJSG_SG_EEES6_PlJ7is_evenIyEEEE10hipError_tPvRmT3_T4_T5_T6_T7_T9_mT8_P12ihipStream_tbDpT10_ENKUlT_T0_E_clISt17integral_constantIbLb1EES18_IbLb0EEEEDaS14_S15_EUlS14_E_NS1_11comp_targetILNS1_3genE3ELNS1_11target_archE908ELNS1_3gpuE7ELNS1_3repE0EEENS1_30default_config_static_selectorELNS0_4arch9wavefront6targetE1EEEvT1_
    .private_segment_fixed_size: 0
    .sgpr_count:     4
    .sgpr_spill_count: 0
    .symbol:         _ZN7rocprim17ROCPRIM_400000_NS6detail17trampoline_kernelINS0_14default_configENS1_25partition_config_selectorILNS1_17partition_subalgoE0EyNS0_10empty_typeEbEEZZNS1_14partition_implILS5_0ELb0ES3_jN6thrust23THRUST_200600_302600_NS6detail15normal_iteratorINSA_10device_ptrIyEEEEPS6_SG_NS0_5tupleIJNSA_16discard_iteratorINSA_11use_defaultEEESK_EEENSH_IJSG_SG_EEES6_PlJ7is_evenIyEEEE10hipError_tPvRmT3_T4_T5_T6_T7_T9_mT8_P12ihipStream_tbDpT10_ENKUlT_T0_E_clISt17integral_constantIbLb1EES18_IbLb0EEEEDaS14_S15_EUlS14_E_NS1_11comp_targetILNS1_3genE3ELNS1_11target_archE908ELNS1_3gpuE7ELNS1_3repE0EEENS1_30default_config_static_selectorELNS0_4arch9wavefront6targetE1EEEvT1_.kd
    .uniform_work_group_size: 1
    .uses_dynamic_stack: false
    .vgpr_count:     0
    .vgpr_spill_count: 0
    .wavefront_size: 64
  - .agpr_count:     0
    .args:
      - .offset:         0
        .size:           136
        .value_kind:     by_value
    .group_segment_fixed_size: 0
    .kernarg_segment_align: 8
    .kernarg_segment_size: 136
    .language:       OpenCL C
    .language_version:
      - 2
      - 0
    .max_flat_workgroup_size: 256
    .name:           _ZN7rocprim17ROCPRIM_400000_NS6detail17trampoline_kernelINS0_14default_configENS1_25partition_config_selectorILNS1_17partition_subalgoE0EyNS0_10empty_typeEbEEZZNS1_14partition_implILS5_0ELb0ES3_jN6thrust23THRUST_200600_302600_NS6detail15normal_iteratorINSA_10device_ptrIyEEEEPS6_SG_NS0_5tupleIJNSA_16discard_iteratorINSA_11use_defaultEEESK_EEENSH_IJSG_SG_EEES6_PlJ7is_evenIyEEEE10hipError_tPvRmT3_T4_T5_T6_T7_T9_mT8_P12ihipStream_tbDpT10_ENKUlT_T0_E_clISt17integral_constantIbLb1EES18_IbLb0EEEEDaS14_S15_EUlS14_E_NS1_11comp_targetILNS1_3genE2ELNS1_11target_archE906ELNS1_3gpuE6ELNS1_3repE0EEENS1_30default_config_static_selectorELNS0_4arch9wavefront6targetE1EEEvT1_
    .private_segment_fixed_size: 0
    .sgpr_count:     4
    .sgpr_spill_count: 0
    .symbol:         _ZN7rocprim17ROCPRIM_400000_NS6detail17trampoline_kernelINS0_14default_configENS1_25partition_config_selectorILNS1_17partition_subalgoE0EyNS0_10empty_typeEbEEZZNS1_14partition_implILS5_0ELb0ES3_jN6thrust23THRUST_200600_302600_NS6detail15normal_iteratorINSA_10device_ptrIyEEEEPS6_SG_NS0_5tupleIJNSA_16discard_iteratorINSA_11use_defaultEEESK_EEENSH_IJSG_SG_EEES6_PlJ7is_evenIyEEEE10hipError_tPvRmT3_T4_T5_T6_T7_T9_mT8_P12ihipStream_tbDpT10_ENKUlT_T0_E_clISt17integral_constantIbLb1EES18_IbLb0EEEEDaS14_S15_EUlS14_E_NS1_11comp_targetILNS1_3genE2ELNS1_11target_archE906ELNS1_3gpuE6ELNS1_3repE0EEENS1_30default_config_static_selectorELNS0_4arch9wavefront6targetE1EEEvT1_.kd
    .uniform_work_group_size: 1
    .uses_dynamic_stack: false
    .vgpr_count:     0
    .vgpr_spill_count: 0
    .wavefront_size: 64
  - .agpr_count:     0
    .args:
      - .offset:         0
        .size:           136
        .value_kind:     by_value
    .group_segment_fixed_size: 0
    .kernarg_segment_align: 8
    .kernarg_segment_size: 136
    .language:       OpenCL C
    .language_version:
      - 2
      - 0
    .max_flat_workgroup_size: 512
    .name:           _ZN7rocprim17ROCPRIM_400000_NS6detail17trampoline_kernelINS0_14default_configENS1_25partition_config_selectorILNS1_17partition_subalgoE0EyNS0_10empty_typeEbEEZZNS1_14partition_implILS5_0ELb0ES3_jN6thrust23THRUST_200600_302600_NS6detail15normal_iteratorINSA_10device_ptrIyEEEEPS6_SG_NS0_5tupleIJNSA_16discard_iteratorINSA_11use_defaultEEESK_EEENSH_IJSG_SG_EEES6_PlJ7is_evenIyEEEE10hipError_tPvRmT3_T4_T5_T6_T7_T9_mT8_P12ihipStream_tbDpT10_ENKUlT_T0_E_clISt17integral_constantIbLb1EES18_IbLb0EEEEDaS14_S15_EUlS14_E_NS1_11comp_targetILNS1_3genE10ELNS1_11target_archE1200ELNS1_3gpuE4ELNS1_3repE0EEENS1_30default_config_static_selectorELNS0_4arch9wavefront6targetE1EEEvT1_
    .private_segment_fixed_size: 0
    .sgpr_count:     4
    .sgpr_spill_count: 0
    .symbol:         _ZN7rocprim17ROCPRIM_400000_NS6detail17trampoline_kernelINS0_14default_configENS1_25partition_config_selectorILNS1_17partition_subalgoE0EyNS0_10empty_typeEbEEZZNS1_14partition_implILS5_0ELb0ES3_jN6thrust23THRUST_200600_302600_NS6detail15normal_iteratorINSA_10device_ptrIyEEEEPS6_SG_NS0_5tupleIJNSA_16discard_iteratorINSA_11use_defaultEEESK_EEENSH_IJSG_SG_EEES6_PlJ7is_evenIyEEEE10hipError_tPvRmT3_T4_T5_T6_T7_T9_mT8_P12ihipStream_tbDpT10_ENKUlT_T0_E_clISt17integral_constantIbLb1EES18_IbLb0EEEEDaS14_S15_EUlS14_E_NS1_11comp_targetILNS1_3genE10ELNS1_11target_archE1200ELNS1_3gpuE4ELNS1_3repE0EEENS1_30default_config_static_selectorELNS0_4arch9wavefront6targetE1EEEvT1_.kd
    .uniform_work_group_size: 1
    .uses_dynamic_stack: false
    .vgpr_count:     0
    .vgpr_spill_count: 0
    .wavefront_size: 64
  - .agpr_count:     0
    .args:
      - .offset:         0
        .size:           136
        .value_kind:     by_value
    .group_segment_fixed_size: 0
    .kernarg_segment_align: 8
    .kernarg_segment_size: 136
    .language:       OpenCL C
    .language_version:
      - 2
      - 0
    .max_flat_workgroup_size: 512
    .name:           _ZN7rocprim17ROCPRIM_400000_NS6detail17trampoline_kernelINS0_14default_configENS1_25partition_config_selectorILNS1_17partition_subalgoE0EyNS0_10empty_typeEbEEZZNS1_14partition_implILS5_0ELb0ES3_jN6thrust23THRUST_200600_302600_NS6detail15normal_iteratorINSA_10device_ptrIyEEEEPS6_SG_NS0_5tupleIJNSA_16discard_iteratorINSA_11use_defaultEEESK_EEENSH_IJSG_SG_EEES6_PlJ7is_evenIyEEEE10hipError_tPvRmT3_T4_T5_T6_T7_T9_mT8_P12ihipStream_tbDpT10_ENKUlT_T0_E_clISt17integral_constantIbLb1EES18_IbLb0EEEEDaS14_S15_EUlS14_E_NS1_11comp_targetILNS1_3genE9ELNS1_11target_archE1100ELNS1_3gpuE3ELNS1_3repE0EEENS1_30default_config_static_selectorELNS0_4arch9wavefront6targetE1EEEvT1_
    .private_segment_fixed_size: 0
    .sgpr_count:     4
    .sgpr_spill_count: 0
    .symbol:         _ZN7rocprim17ROCPRIM_400000_NS6detail17trampoline_kernelINS0_14default_configENS1_25partition_config_selectorILNS1_17partition_subalgoE0EyNS0_10empty_typeEbEEZZNS1_14partition_implILS5_0ELb0ES3_jN6thrust23THRUST_200600_302600_NS6detail15normal_iteratorINSA_10device_ptrIyEEEEPS6_SG_NS0_5tupleIJNSA_16discard_iteratorINSA_11use_defaultEEESK_EEENSH_IJSG_SG_EEES6_PlJ7is_evenIyEEEE10hipError_tPvRmT3_T4_T5_T6_T7_T9_mT8_P12ihipStream_tbDpT10_ENKUlT_T0_E_clISt17integral_constantIbLb1EES18_IbLb0EEEEDaS14_S15_EUlS14_E_NS1_11comp_targetILNS1_3genE9ELNS1_11target_archE1100ELNS1_3gpuE3ELNS1_3repE0EEENS1_30default_config_static_selectorELNS0_4arch9wavefront6targetE1EEEvT1_.kd
    .uniform_work_group_size: 1
    .uses_dynamic_stack: false
    .vgpr_count:     0
    .vgpr_spill_count: 0
    .wavefront_size: 64
  - .agpr_count:     0
    .args:
      - .offset:         0
        .size:           136
        .value_kind:     by_value
    .group_segment_fixed_size: 0
    .kernarg_segment_align: 8
    .kernarg_segment_size: 136
    .language:       OpenCL C
    .language_version:
      - 2
      - 0
    .max_flat_workgroup_size: 512
    .name:           _ZN7rocprim17ROCPRIM_400000_NS6detail17trampoline_kernelINS0_14default_configENS1_25partition_config_selectorILNS1_17partition_subalgoE0EyNS0_10empty_typeEbEEZZNS1_14partition_implILS5_0ELb0ES3_jN6thrust23THRUST_200600_302600_NS6detail15normal_iteratorINSA_10device_ptrIyEEEEPS6_SG_NS0_5tupleIJNSA_16discard_iteratorINSA_11use_defaultEEESK_EEENSH_IJSG_SG_EEES6_PlJ7is_evenIyEEEE10hipError_tPvRmT3_T4_T5_T6_T7_T9_mT8_P12ihipStream_tbDpT10_ENKUlT_T0_E_clISt17integral_constantIbLb1EES18_IbLb0EEEEDaS14_S15_EUlS14_E_NS1_11comp_targetILNS1_3genE8ELNS1_11target_archE1030ELNS1_3gpuE2ELNS1_3repE0EEENS1_30default_config_static_selectorELNS0_4arch9wavefront6targetE1EEEvT1_
    .private_segment_fixed_size: 0
    .sgpr_count:     4
    .sgpr_spill_count: 0
    .symbol:         _ZN7rocprim17ROCPRIM_400000_NS6detail17trampoline_kernelINS0_14default_configENS1_25partition_config_selectorILNS1_17partition_subalgoE0EyNS0_10empty_typeEbEEZZNS1_14partition_implILS5_0ELb0ES3_jN6thrust23THRUST_200600_302600_NS6detail15normal_iteratorINSA_10device_ptrIyEEEEPS6_SG_NS0_5tupleIJNSA_16discard_iteratorINSA_11use_defaultEEESK_EEENSH_IJSG_SG_EEES6_PlJ7is_evenIyEEEE10hipError_tPvRmT3_T4_T5_T6_T7_T9_mT8_P12ihipStream_tbDpT10_ENKUlT_T0_E_clISt17integral_constantIbLb1EES18_IbLb0EEEEDaS14_S15_EUlS14_E_NS1_11comp_targetILNS1_3genE8ELNS1_11target_archE1030ELNS1_3gpuE2ELNS1_3repE0EEENS1_30default_config_static_selectorELNS0_4arch9wavefront6targetE1EEEvT1_.kd
    .uniform_work_group_size: 1
    .uses_dynamic_stack: false
    .vgpr_count:     0
    .vgpr_spill_count: 0
    .wavefront_size: 64
  - .agpr_count:     0
    .args:
      - .offset:         0
        .size:           152
        .value_kind:     by_value
    .group_segment_fixed_size: 0
    .kernarg_segment_align: 8
    .kernarg_segment_size: 152
    .language:       OpenCL C
    .language_version:
      - 2
      - 0
    .max_flat_workgroup_size: 128
    .name:           _ZN7rocprim17ROCPRIM_400000_NS6detail17trampoline_kernelINS0_14default_configENS1_25partition_config_selectorILNS1_17partition_subalgoE0EyNS0_10empty_typeEbEEZZNS1_14partition_implILS5_0ELb0ES3_jN6thrust23THRUST_200600_302600_NS6detail15normal_iteratorINSA_10device_ptrIyEEEEPS6_SG_NS0_5tupleIJNSA_16discard_iteratorINSA_11use_defaultEEESK_EEENSH_IJSG_SG_EEES6_PlJ7is_evenIyEEEE10hipError_tPvRmT3_T4_T5_T6_T7_T9_mT8_P12ihipStream_tbDpT10_ENKUlT_T0_E_clISt17integral_constantIbLb0EES18_IbLb1EEEEDaS14_S15_EUlS14_E_NS1_11comp_targetILNS1_3genE0ELNS1_11target_archE4294967295ELNS1_3gpuE0ELNS1_3repE0EEENS1_30default_config_static_selectorELNS0_4arch9wavefront6targetE1EEEvT1_
    .private_segment_fixed_size: 0
    .sgpr_count:     4
    .sgpr_spill_count: 0
    .symbol:         _ZN7rocprim17ROCPRIM_400000_NS6detail17trampoline_kernelINS0_14default_configENS1_25partition_config_selectorILNS1_17partition_subalgoE0EyNS0_10empty_typeEbEEZZNS1_14partition_implILS5_0ELb0ES3_jN6thrust23THRUST_200600_302600_NS6detail15normal_iteratorINSA_10device_ptrIyEEEEPS6_SG_NS0_5tupleIJNSA_16discard_iteratorINSA_11use_defaultEEESK_EEENSH_IJSG_SG_EEES6_PlJ7is_evenIyEEEE10hipError_tPvRmT3_T4_T5_T6_T7_T9_mT8_P12ihipStream_tbDpT10_ENKUlT_T0_E_clISt17integral_constantIbLb0EES18_IbLb1EEEEDaS14_S15_EUlS14_E_NS1_11comp_targetILNS1_3genE0ELNS1_11target_archE4294967295ELNS1_3gpuE0ELNS1_3repE0EEENS1_30default_config_static_selectorELNS0_4arch9wavefront6targetE1EEEvT1_.kd
    .uniform_work_group_size: 1
    .uses_dynamic_stack: false
    .vgpr_count:     0
    .vgpr_spill_count: 0
    .wavefront_size: 64
  - .agpr_count:     0
    .args:
      - .offset:         0
        .size:           152
        .value_kind:     by_value
    .group_segment_fixed_size: 0
    .kernarg_segment_align: 8
    .kernarg_segment_size: 152
    .language:       OpenCL C
    .language_version:
      - 2
      - 0
    .max_flat_workgroup_size: 512
    .name:           _ZN7rocprim17ROCPRIM_400000_NS6detail17trampoline_kernelINS0_14default_configENS1_25partition_config_selectorILNS1_17partition_subalgoE0EyNS0_10empty_typeEbEEZZNS1_14partition_implILS5_0ELb0ES3_jN6thrust23THRUST_200600_302600_NS6detail15normal_iteratorINSA_10device_ptrIyEEEEPS6_SG_NS0_5tupleIJNSA_16discard_iteratorINSA_11use_defaultEEESK_EEENSH_IJSG_SG_EEES6_PlJ7is_evenIyEEEE10hipError_tPvRmT3_T4_T5_T6_T7_T9_mT8_P12ihipStream_tbDpT10_ENKUlT_T0_E_clISt17integral_constantIbLb0EES18_IbLb1EEEEDaS14_S15_EUlS14_E_NS1_11comp_targetILNS1_3genE5ELNS1_11target_archE942ELNS1_3gpuE9ELNS1_3repE0EEENS1_30default_config_static_selectorELNS0_4arch9wavefront6targetE1EEEvT1_
    .private_segment_fixed_size: 0
    .sgpr_count:     4
    .sgpr_spill_count: 0
    .symbol:         _ZN7rocprim17ROCPRIM_400000_NS6detail17trampoline_kernelINS0_14default_configENS1_25partition_config_selectorILNS1_17partition_subalgoE0EyNS0_10empty_typeEbEEZZNS1_14partition_implILS5_0ELb0ES3_jN6thrust23THRUST_200600_302600_NS6detail15normal_iteratorINSA_10device_ptrIyEEEEPS6_SG_NS0_5tupleIJNSA_16discard_iteratorINSA_11use_defaultEEESK_EEENSH_IJSG_SG_EEES6_PlJ7is_evenIyEEEE10hipError_tPvRmT3_T4_T5_T6_T7_T9_mT8_P12ihipStream_tbDpT10_ENKUlT_T0_E_clISt17integral_constantIbLb0EES18_IbLb1EEEEDaS14_S15_EUlS14_E_NS1_11comp_targetILNS1_3genE5ELNS1_11target_archE942ELNS1_3gpuE9ELNS1_3repE0EEENS1_30default_config_static_selectorELNS0_4arch9wavefront6targetE1EEEvT1_.kd
    .uniform_work_group_size: 1
    .uses_dynamic_stack: false
    .vgpr_count:     0
    .vgpr_spill_count: 0
    .wavefront_size: 64
  - .agpr_count:     0
    .args:
      - .offset:         0
        .size:           152
        .value_kind:     by_value
    .group_segment_fixed_size: 6344
    .kernarg_segment_align: 8
    .kernarg_segment_size: 152
    .language:       OpenCL C
    .language_version:
      - 2
      - 0
    .max_flat_workgroup_size: 192
    .name:           _ZN7rocprim17ROCPRIM_400000_NS6detail17trampoline_kernelINS0_14default_configENS1_25partition_config_selectorILNS1_17partition_subalgoE0EyNS0_10empty_typeEbEEZZNS1_14partition_implILS5_0ELb0ES3_jN6thrust23THRUST_200600_302600_NS6detail15normal_iteratorINSA_10device_ptrIyEEEEPS6_SG_NS0_5tupleIJNSA_16discard_iteratorINSA_11use_defaultEEESK_EEENSH_IJSG_SG_EEES6_PlJ7is_evenIyEEEE10hipError_tPvRmT3_T4_T5_T6_T7_T9_mT8_P12ihipStream_tbDpT10_ENKUlT_T0_E_clISt17integral_constantIbLb0EES18_IbLb1EEEEDaS14_S15_EUlS14_E_NS1_11comp_targetILNS1_3genE4ELNS1_11target_archE910ELNS1_3gpuE8ELNS1_3repE0EEENS1_30default_config_static_selectorELNS0_4arch9wavefront6targetE1EEEvT1_
    .private_segment_fixed_size: 0
    .sgpr_count:     40
    .sgpr_spill_count: 0
    .symbol:         _ZN7rocprim17ROCPRIM_400000_NS6detail17trampoline_kernelINS0_14default_configENS1_25partition_config_selectorILNS1_17partition_subalgoE0EyNS0_10empty_typeEbEEZZNS1_14partition_implILS5_0ELb0ES3_jN6thrust23THRUST_200600_302600_NS6detail15normal_iteratorINSA_10device_ptrIyEEEEPS6_SG_NS0_5tupleIJNSA_16discard_iteratorINSA_11use_defaultEEESK_EEENSH_IJSG_SG_EEES6_PlJ7is_evenIyEEEE10hipError_tPvRmT3_T4_T5_T6_T7_T9_mT8_P12ihipStream_tbDpT10_ENKUlT_T0_E_clISt17integral_constantIbLb0EES18_IbLb1EEEEDaS14_S15_EUlS14_E_NS1_11comp_targetILNS1_3genE4ELNS1_11target_archE910ELNS1_3gpuE8ELNS1_3repE0EEENS1_30default_config_static_selectorELNS0_4arch9wavefront6targetE1EEEvT1_.kd
    .uniform_work_group_size: 1
    .uses_dynamic_stack: false
    .vgpr_count:     44
    .vgpr_spill_count: 0
    .wavefront_size: 64
  - .agpr_count:     0
    .args:
      - .offset:         0
        .size:           152
        .value_kind:     by_value
    .group_segment_fixed_size: 0
    .kernarg_segment_align: 8
    .kernarg_segment_size: 152
    .language:       OpenCL C
    .language_version:
      - 2
      - 0
    .max_flat_workgroup_size: 128
    .name:           _ZN7rocprim17ROCPRIM_400000_NS6detail17trampoline_kernelINS0_14default_configENS1_25partition_config_selectorILNS1_17partition_subalgoE0EyNS0_10empty_typeEbEEZZNS1_14partition_implILS5_0ELb0ES3_jN6thrust23THRUST_200600_302600_NS6detail15normal_iteratorINSA_10device_ptrIyEEEEPS6_SG_NS0_5tupleIJNSA_16discard_iteratorINSA_11use_defaultEEESK_EEENSH_IJSG_SG_EEES6_PlJ7is_evenIyEEEE10hipError_tPvRmT3_T4_T5_T6_T7_T9_mT8_P12ihipStream_tbDpT10_ENKUlT_T0_E_clISt17integral_constantIbLb0EES18_IbLb1EEEEDaS14_S15_EUlS14_E_NS1_11comp_targetILNS1_3genE3ELNS1_11target_archE908ELNS1_3gpuE7ELNS1_3repE0EEENS1_30default_config_static_selectorELNS0_4arch9wavefront6targetE1EEEvT1_
    .private_segment_fixed_size: 0
    .sgpr_count:     4
    .sgpr_spill_count: 0
    .symbol:         _ZN7rocprim17ROCPRIM_400000_NS6detail17trampoline_kernelINS0_14default_configENS1_25partition_config_selectorILNS1_17partition_subalgoE0EyNS0_10empty_typeEbEEZZNS1_14partition_implILS5_0ELb0ES3_jN6thrust23THRUST_200600_302600_NS6detail15normal_iteratorINSA_10device_ptrIyEEEEPS6_SG_NS0_5tupleIJNSA_16discard_iteratorINSA_11use_defaultEEESK_EEENSH_IJSG_SG_EEES6_PlJ7is_evenIyEEEE10hipError_tPvRmT3_T4_T5_T6_T7_T9_mT8_P12ihipStream_tbDpT10_ENKUlT_T0_E_clISt17integral_constantIbLb0EES18_IbLb1EEEEDaS14_S15_EUlS14_E_NS1_11comp_targetILNS1_3genE3ELNS1_11target_archE908ELNS1_3gpuE7ELNS1_3repE0EEENS1_30default_config_static_selectorELNS0_4arch9wavefront6targetE1EEEvT1_.kd
    .uniform_work_group_size: 1
    .uses_dynamic_stack: false
    .vgpr_count:     0
    .vgpr_spill_count: 0
    .wavefront_size: 64
  - .agpr_count:     0
    .args:
      - .offset:         0
        .size:           152
        .value_kind:     by_value
    .group_segment_fixed_size: 0
    .kernarg_segment_align: 8
    .kernarg_segment_size: 152
    .language:       OpenCL C
    .language_version:
      - 2
      - 0
    .max_flat_workgroup_size: 256
    .name:           _ZN7rocprim17ROCPRIM_400000_NS6detail17trampoline_kernelINS0_14default_configENS1_25partition_config_selectorILNS1_17partition_subalgoE0EyNS0_10empty_typeEbEEZZNS1_14partition_implILS5_0ELb0ES3_jN6thrust23THRUST_200600_302600_NS6detail15normal_iteratorINSA_10device_ptrIyEEEEPS6_SG_NS0_5tupleIJNSA_16discard_iteratorINSA_11use_defaultEEESK_EEENSH_IJSG_SG_EEES6_PlJ7is_evenIyEEEE10hipError_tPvRmT3_T4_T5_T6_T7_T9_mT8_P12ihipStream_tbDpT10_ENKUlT_T0_E_clISt17integral_constantIbLb0EES18_IbLb1EEEEDaS14_S15_EUlS14_E_NS1_11comp_targetILNS1_3genE2ELNS1_11target_archE906ELNS1_3gpuE6ELNS1_3repE0EEENS1_30default_config_static_selectorELNS0_4arch9wavefront6targetE1EEEvT1_
    .private_segment_fixed_size: 0
    .sgpr_count:     4
    .sgpr_spill_count: 0
    .symbol:         _ZN7rocprim17ROCPRIM_400000_NS6detail17trampoline_kernelINS0_14default_configENS1_25partition_config_selectorILNS1_17partition_subalgoE0EyNS0_10empty_typeEbEEZZNS1_14partition_implILS5_0ELb0ES3_jN6thrust23THRUST_200600_302600_NS6detail15normal_iteratorINSA_10device_ptrIyEEEEPS6_SG_NS0_5tupleIJNSA_16discard_iteratorINSA_11use_defaultEEESK_EEENSH_IJSG_SG_EEES6_PlJ7is_evenIyEEEE10hipError_tPvRmT3_T4_T5_T6_T7_T9_mT8_P12ihipStream_tbDpT10_ENKUlT_T0_E_clISt17integral_constantIbLb0EES18_IbLb1EEEEDaS14_S15_EUlS14_E_NS1_11comp_targetILNS1_3genE2ELNS1_11target_archE906ELNS1_3gpuE6ELNS1_3repE0EEENS1_30default_config_static_selectorELNS0_4arch9wavefront6targetE1EEEvT1_.kd
    .uniform_work_group_size: 1
    .uses_dynamic_stack: false
    .vgpr_count:     0
    .vgpr_spill_count: 0
    .wavefront_size: 64
  - .agpr_count:     0
    .args:
      - .offset:         0
        .size:           152
        .value_kind:     by_value
    .group_segment_fixed_size: 0
    .kernarg_segment_align: 8
    .kernarg_segment_size: 152
    .language:       OpenCL C
    .language_version:
      - 2
      - 0
    .max_flat_workgroup_size: 512
    .name:           _ZN7rocprim17ROCPRIM_400000_NS6detail17trampoline_kernelINS0_14default_configENS1_25partition_config_selectorILNS1_17partition_subalgoE0EyNS0_10empty_typeEbEEZZNS1_14partition_implILS5_0ELb0ES3_jN6thrust23THRUST_200600_302600_NS6detail15normal_iteratorINSA_10device_ptrIyEEEEPS6_SG_NS0_5tupleIJNSA_16discard_iteratorINSA_11use_defaultEEESK_EEENSH_IJSG_SG_EEES6_PlJ7is_evenIyEEEE10hipError_tPvRmT3_T4_T5_T6_T7_T9_mT8_P12ihipStream_tbDpT10_ENKUlT_T0_E_clISt17integral_constantIbLb0EES18_IbLb1EEEEDaS14_S15_EUlS14_E_NS1_11comp_targetILNS1_3genE10ELNS1_11target_archE1200ELNS1_3gpuE4ELNS1_3repE0EEENS1_30default_config_static_selectorELNS0_4arch9wavefront6targetE1EEEvT1_
    .private_segment_fixed_size: 0
    .sgpr_count:     4
    .sgpr_spill_count: 0
    .symbol:         _ZN7rocprim17ROCPRIM_400000_NS6detail17trampoline_kernelINS0_14default_configENS1_25partition_config_selectorILNS1_17partition_subalgoE0EyNS0_10empty_typeEbEEZZNS1_14partition_implILS5_0ELb0ES3_jN6thrust23THRUST_200600_302600_NS6detail15normal_iteratorINSA_10device_ptrIyEEEEPS6_SG_NS0_5tupleIJNSA_16discard_iteratorINSA_11use_defaultEEESK_EEENSH_IJSG_SG_EEES6_PlJ7is_evenIyEEEE10hipError_tPvRmT3_T4_T5_T6_T7_T9_mT8_P12ihipStream_tbDpT10_ENKUlT_T0_E_clISt17integral_constantIbLb0EES18_IbLb1EEEEDaS14_S15_EUlS14_E_NS1_11comp_targetILNS1_3genE10ELNS1_11target_archE1200ELNS1_3gpuE4ELNS1_3repE0EEENS1_30default_config_static_selectorELNS0_4arch9wavefront6targetE1EEEvT1_.kd
    .uniform_work_group_size: 1
    .uses_dynamic_stack: false
    .vgpr_count:     0
    .vgpr_spill_count: 0
    .wavefront_size: 64
  - .agpr_count:     0
    .args:
      - .offset:         0
        .size:           152
        .value_kind:     by_value
    .group_segment_fixed_size: 0
    .kernarg_segment_align: 8
    .kernarg_segment_size: 152
    .language:       OpenCL C
    .language_version:
      - 2
      - 0
    .max_flat_workgroup_size: 512
    .name:           _ZN7rocprim17ROCPRIM_400000_NS6detail17trampoline_kernelINS0_14default_configENS1_25partition_config_selectorILNS1_17partition_subalgoE0EyNS0_10empty_typeEbEEZZNS1_14partition_implILS5_0ELb0ES3_jN6thrust23THRUST_200600_302600_NS6detail15normal_iteratorINSA_10device_ptrIyEEEEPS6_SG_NS0_5tupleIJNSA_16discard_iteratorINSA_11use_defaultEEESK_EEENSH_IJSG_SG_EEES6_PlJ7is_evenIyEEEE10hipError_tPvRmT3_T4_T5_T6_T7_T9_mT8_P12ihipStream_tbDpT10_ENKUlT_T0_E_clISt17integral_constantIbLb0EES18_IbLb1EEEEDaS14_S15_EUlS14_E_NS1_11comp_targetILNS1_3genE9ELNS1_11target_archE1100ELNS1_3gpuE3ELNS1_3repE0EEENS1_30default_config_static_selectorELNS0_4arch9wavefront6targetE1EEEvT1_
    .private_segment_fixed_size: 0
    .sgpr_count:     4
    .sgpr_spill_count: 0
    .symbol:         _ZN7rocprim17ROCPRIM_400000_NS6detail17trampoline_kernelINS0_14default_configENS1_25partition_config_selectorILNS1_17partition_subalgoE0EyNS0_10empty_typeEbEEZZNS1_14partition_implILS5_0ELb0ES3_jN6thrust23THRUST_200600_302600_NS6detail15normal_iteratorINSA_10device_ptrIyEEEEPS6_SG_NS0_5tupleIJNSA_16discard_iteratorINSA_11use_defaultEEESK_EEENSH_IJSG_SG_EEES6_PlJ7is_evenIyEEEE10hipError_tPvRmT3_T4_T5_T6_T7_T9_mT8_P12ihipStream_tbDpT10_ENKUlT_T0_E_clISt17integral_constantIbLb0EES18_IbLb1EEEEDaS14_S15_EUlS14_E_NS1_11comp_targetILNS1_3genE9ELNS1_11target_archE1100ELNS1_3gpuE3ELNS1_3repE0EEENS1_30default_config_static_selectorELNS0_4arch9wavefront6targetE1EEEvT1_.kd
    .uniform_work_group_size: 1
    .uses_dynamic_stack: false
    .vgpr_count:     0
    .vgpr_spill_count: 0
    .wavefront_size: 64
  - .agpr_count:     0
    .args:
      - .offset:         0
        .size:           152
        .value_kind:     by_value
    .group_segment_fixed_size: 0
    .kernarg_segment_align: 8
    .kernarg_segment_size: 152
    .language:       OpenCL C
    .language_version:
      - 2
      - 0
    .max_flat_workgroup_size: 512
    .name:           _ZN7rocprim17ROCPRIM_400000_NS6detail17trampoline_kernelINS0_14default_configENS1_25partition_config_selectorILNS1_17partition_subalgoE0EyNS0_10empty_typeEbEEZZNS1_14partition_implILS5_0ELb0ES3_jN6thrust23THRUST_200600_302600_NS6detail15normal_iteratorINSA_10device_ptrIyEEEEPS6_SG_NS0_5tupleIJNSA_16discard_iteratorINSA_11use_defaultEEESK_EEENSH_IJSG_SG_EEES6_PlJ7is_evenIyEEEE10hipError_tPvRmT3_T4_T5_T6_T7_T9_mT8_P12ihipStream_tbDpT10_ENKUlT_T0_E_clISt17integral_constantIbLb0EES18_IbLb1EEEEDaS14_S15_EUlS14_E_NS1_11comp_targetILNS1_3genE8ELNS1_11target_archE1030ELNS1_3gpuE2ELNS1_3repE0EEENS1_30default_config_static_selectorELNS0_4arch9wavefront6targetE1EEEvT1_
    .private_segment_fixed_size: 0
    .sgpr_count:     4
    .sgpr_spill_count: 0
    .symbol:         _ZN7rocprim17ROCPRIM_400000_NS6detail17trampoline_kernelINS0_14default_configENS1_25partition_config_selectorILNS1_17partition_subalgoE0EyNS0_10empty_typeEbEEZZNS1_14partition_implILS5_0ELb0ES3_jN6thrust23THRUST_200600_302600_NS6detail15normal_iteratorINSA_10device_ptrIyEEEEPS6_SG_NS0_5tupleIJNSA_16discard_iteratorINSA_11use_defaultEEESK_EEENSH_IJSG_SG_EEES6_PlJ7is_evenIyEEEE10hipError_tPvRmT3_T4_T5_T6_T7_T9_mT8_P12ihipStream_tbDpT10_ENKUlT_T0_E_clISt17integral_constantIbLb0EES18_IbLb1EEEEDaS14_S15_EUlS14_E_NS1_11comp_targetILNS1_3genE8ELNS1_11target_archE1030ELNS1_3gpuE2ELNS1_3repE0EEENS1_30default_config_static_selectorELNS0_4arch9wavefront6targetE1EEEvT1_.kd
    .uniform_work_group_size: 1
    .uses_dynamic_stack: false
    .vgpr_count:     0
    .vgpr_spill_count: 0
    .wavefront_size: 64
  - .agpr_count:     0
    .args:
      - .offset:         0
        .size:           128
        .value_kind:     by_value
    .group_segment_fixed_size: 0
    .kernarg_segment_align: 8
    .kernarg_segment_size: 128
    .language:       OpenCL C
    .language_version:
      - 2
      - 0
    .max_flat_workgroup_size: 128
    .name:           _ZN7rocprim17ROCPRIM_400000_NS6detail17trampoline_kernelINS0_14default_configENS1_25partition_config_selectorILNS1_17partition_subalgoE0EyNS0_10empty_typeEbEEZZNS1_14partition_implILS5_0ELb0ES3_jN6thrust23THRUST_200600_302600_NS6detail15normal_iteratorINSA_10device_ptrIyEEEEPS6_SG_NS0_5tupleIJSF_NSA_16discard_iteratorINSA_11use_defaultEEEEEENSH_IJSG_SG_EEES6_PlJ7is_evenIyEEEE10hipError_tPvRmT3_T4_T5_T6_T7_T9_mT8_P12ihipStream_tbDpT10_ENKUlT_T0_E_clISt17integral_constantIbLb0EES19_EEDaS14_S15_EUlS14_E_NS1_11comp_targetILNS1_3genE0ELNS1_11target_archE4294967295ELNS1_3gpuE0ELNS1_3repE0EEENS1_30default_config_static_selectorELNS0_4arch9wavefront6targetE1EEEvT1_
    .private_segment_fixed_size: 0
    .sgpr_count:     4
    .sgpr_spill_count: 0
    .symbol:         _ZN7rocprim17ROCPRIM_400000_NS6detail17trampoline_kernelINS0_14default_configENS1_25partition_config_selectorILNS1_17partition_subalgoE0EyNS0_10empty_typeEbEEZZNS1_14partition_implILS5_0ELb0ES3_jN6thrust23THRUST_200600_302600_NS6detail15normal_iteratorINSA_10device_ptrIyEEEEPS6_SG_NS0_5tupleIJSF_NSA_16discard_iteratorINSA_11use_defaultEEEEEENSH_IJSG_SG_EEES6_PlJ7is_evenIyEEEE10hipError_tPvRmT3_T4_T5_T6_T7_T9_mT8_P12ihipStream_tbDpT10_ENKUlT_T0_E_clISt17integral_constantIbLb0EES19_EEDaS14_S15_EUlS14_E_NS1_11comp_targetILNS1_3genE0ELNS1_11target_archE4294967295ELNS1_3gpuE0ELNS1_3repE0EEENS1_30default_config_static_selectorELNS0_4arch9wavefront6targetE1EEEvT1_.kd
    .uniform_work_group_size: 1
    .uses_dynamic_stack: false
    .vgpr_count:     0
    .vgpr_spill_count: 0
    .wavefront_size: 64
  - .agpr_count:     0
    .args:
      - .offset:         0
        .size:           128
        .value_kind:     by_value
    .group_segment_fixed_size: 0
    .kernarg_segment_align: 8
    .kernarg_segment_size: 128
    .language:       OpenCL C
    .language_version:
      - 2
      - 0
    .max_flat_workgroup_size: 512
    .name:           _ZN7rocprim17ROCPRIM_400000_NS6detail17trampoline_kernelINS0_14default_configENS1_25partition_config_selectorILNS1_17partition_subalgoE0EyNS0_10empty_typeEbEEZZNS1_14partition_implILS5_0ELb0ES3_jN6thrust23THRUST_200600_302600_NS6detail15normal_iteratorINSA_10device_ptrIyEEEEPS6_SG_NS0_5tupleIJSF_NSA_16discard_iteratorINSA_11use_defaultEEEEEENSH_IJSG_SG_EEES6_PlJ7is_evenIyEEEE10hipError_tPvRmT3_T4_T5_T6_T7_T9_mT8_P12ihipStream_tbDpT10_ENKUlT_T0_E_clISt17integral_constantIbLb0EES19_EEDaS14_S15_EUlS14_E_NS1_11comp_targetILNS1_3genE5ELNS1_11target_archE942ELNS1_3gpuE9ELNS1_3repE0EEENS1_30default_config_static_selectorELNS0_4arch9wavefront6targetE1EEEvT1_
    .private_segment_fixed_size: 0
    .sgpr_count:     4
    .sgpr_spill_count: 0
    .symbol:         _ZN7rocprim17ROCPRIM_400000_NS6detail17trampoline_kernelINS0_14default_configENS1_25partition_config_selectorILNS1_17partition_subalgoE0EyNS0_10empty_typeEbEEZZNS1_14partition_implILS5_0ELb0ES3_jN6thrust23THRUST_200600_302600_NS6detail15normal_iteratorINSA_10device_ptrIyEEEEPS6_SG_NS0_5tupleIJSF_NSA_16discard_iteratorINSA_11use_defaultEEEEEENSH_IJSG_SG_EEES6_PlJ7is_evenIyEEEE10hipError_tPvRmT3_T4_T5_T6_T7_T9_mT8_P12ihipStream_tbDpT10_ENKUlT_T0_E_clISt17integral_constantIbLb0EES19_EEDaS14_S15_EUlS14_E_NS1_11comp_targetILNS1_3genE5ELNS1_11target_archE942ELNS1_3gpuE9ELNS1_3repE0EEENS1_30default_config_static_selectorELNS0_4arch9wavefront6targetE1EEEvT1_.kd
    .uniform_work_group_size: 1
    .uses_dynamic_stack: false
    .vgpr_count:     0
    .vgpr_spill_count: 0
    .wavefront_size: 64
  - .agpr_count:     0
    .args:
      - .offset:         0
        .size:           128
        .value_kind:     by_value
    .group_segment_fixed_size: 6344
    .kernarg_segment_align: 8
    .kernarg_segment_size: 128
    .language:       OpenCL C
    .language_version:
      - 2
      - 0
    .max_flat_workgroup_size: 192
    .name:           _ZN7rocprim17ROCPRIM_400000_NS6detail17trampoline_kernelINS0_14default_configENS1_25partition_config_selectorILNS1_17partition_subalgoE0EyNS0_10empty_typeEbEEZZNS1_14partition_implILS5_0ELb0ES3_jN6thrust23THRUST_200600_302600_NS6detail15normal_iteratorINSA_10device_ptrIyEEEEPS6_SG_NS0_5tupleIJSF_NSA_16discard_iteratorINSA_11use_defaultEEEEEENSH_IJSG_SG_EEES6_PlJ7is_evenIyEEEE10hipError_tPvRmT3_T4_T5_T6_T7_T9_mT8_P12ihipStream_tbDpT10_ENKUlT_T0_E_clISt17integral_constantIbLb0EES19_EEDaS14_S15_EUlS14_E_NS1_11comp_targetILNS1_3genE4ELNS1_11target_archE910ELNS1_3gpuE8ELNS1_3repE0EEENS1_30default_config_static_selectorELNS0_4arch9wavefront6targetE1EEEvT1_
    .private_segment_fixed_size: 0
    .sgpr_count:     44
    .sgpr_spill_count: 0
    .symbol:         _ZN7rocprim17ROCPRIM_400000_NS6detail17trampoline_kernelINS0_14default_configENS1_25partition_config_selectorILNS1_17partition_subalgoE0EyNS0_10empty_typeEbEEZZNS1_14partition_implILS5_0ELb0ES3_jN6thrust23THRUST_200600_302600_NS6detail15normal_iteratorINSA_10device_ptrIyEEEEPS6_SG_NS0_5tupleIJSF_NSA_16discard_iteratorINSA_11use_defaultEEEEEENSH_IJSG_SG_EEES6_PlJ7is_evenIyEEEE10hipError_tPvRmT3_T4_T5_T6_T7_T9_mT8_P12ihipStream_tbDpT10_ENKUlT_T0_E_clISt17integral_constantIbLb0EES19_EEDaS14_S15_EUlS14_E_NS1_11comp_targetILNS1_3genE4ELNS1_11target_archE910ELNS1_3gpuE8ELNS1_3repE0EEENS1_30default_config_static_selectorELNS0_4arch9wavefront6targetE1EEEvT1_.kd
    .uniform_work_group_size: 1
    .uses_dynamic_stack: false
    .vgpr_count:     43
    .vgpr_spill_count: 0
    .wavefront_size: 64
  - .agpr_count:     0
    .args:
      - .offset:         0
        .size:           128
        .value_kind:     by_value
    .group_segment_fixed_size: 0
    .kernarg_segment_align: 8
    .kernarg_segment_size: 128
    .language:       OpenCL C
    .language_version:
      - 2
      - 0
    .max_flat_workgroup_size: 128
    .name:           _ZN7rocprim17ROCPRIM_400000_NS6detail17trampoline_kernelINS0_14default_configENS1_25partition_config_selectorILNS1_17partition_subalgoE0EyNS0_10empty_typeEbEEZZNS1_14partition_implILS5_0ELb0ES3_jN6thrust23THRUST_200600_302600_NS6detail15normal_iteratorINSA_10device_ptrIyEEEEPS6_SG_NS0_5tupleIJSF_NSA_16discard_iteratorINSA_11use_defaultEEEEEENSH_IJSG_SG_EEES6_PlJ7is_evenIyEEEE10hipError_tPvRmT3_T4_T5_T6_T7_T9_mT8_P12ihipStream_tbDpT10_ENKUlT_T0_E_clISt17integral_constantIbLb0EES19_EEDaS14_S15_EUlS14_E_NS1_11comp_targetILNS1_3genE3ELNS1_11target_archE908ELNS1_3gpuE7ELNS1_3repE0EEENS1_30default_config_static_selectorELNS0_4arch9wavefront6targetE1EEEvT1_
    .private_segment_fixed_size: 0
    .sgpr_count:     4
    .sgpr_spill_count: 0
    .symbol:         _ZN7rocprim17ROCPRIM_400000_NS6detail17trampoline_kernelINS0_14default_configENS1_25partition_config_selectorILNS1_17partition_subalgoE0EyNS0_10empty_typeEbEEZZNS1_14partition_implILS5_0ELb0ES3_jN6thrust23THRUST_200600_302600_NS6detail15normal_iteratorINSA_10device_ptrIyEEEEPS6_SG_NS0_5tupleIJSF_NSA_16discard_iteratorINSA_11use_defaultEEEEEENSH_IJSG_SG_EEES6_PlJ7is_evenIyEEEE10hipError_tPvRmT3_T4_T5_T6_T7_T9_mT8_P12ihipStream_tbDpT10_ENKUlT_T0_E_clISt17integral_constantIbLb0EES19_EEDaS14_S15_EUlS14_E_NS1_11comp_targetILNS1_3genE3ELNS1_11target_archE908ELNS1_3gpuE7ELNS1_3repE0EEENS1_30default_config_static_selectorELNS0_4arch9wavefront6targetE1EEEvT1_.kd
    .uniform_work_group_size: 1
    .uses_dynamic_stack: false
    .vgpr_count:     0
    .vgpr_spill_count: 0
    .wavefront_size: 64
  - .agpr_count:     0
    .args:
      - .offset:         0
        .size:           128
        .value_kind:     by_value
    .group_segment_fixed_size: 0
    .kernarg_segment_align: 8
    .kernarg_segment_size: 128
    .language:       OpenCL C
    .language_version:
      - 2
      - 0
    .max_flat_workgroup_size: 256
    .name:           _ZN7rocprim17ROCPRIM_400000_NS6detail17trampoline_kernelINS0_14default_configENS1_25partition_config_selectorILNS1_17partition_subalgoE0EyNS0_10empty_typeEbEEZZNS1_14partition_implILS5_0ELb0ES3_jN6thrust23THRUST_200600_302600_NS6detail15normal_iteratorINSA_10device_ptrIyEEEEPS6_SG_NS0_5tupleIJSF_NSA_16discard_iteratorINSA_11use_defaultEEEEEENSH_IJSG_SG_EEES6_PlJ7is_evenIyEEEE10hipError_tPvRmT3_T4_T5_T6_T7_T9_mT8_P12ihipStream_tbDpT10_ENKUlT_T0_E_clISt17integral_constantIbLb0EES19_EEDaS14_S15_EUlS14_E_NS1_11comp_targetILNS1_3genE2ELNS1_11target_archE906ELNS1_3gpuE6ELNS1_3repE0EEENS1_30default_config_static_selectorELNS0_4arch9wavefront6targetE1EEEvT1_
    .private_segment_fixed_size: 0
    .sgpr_count:     4
    .sgpr_spill_count: 0
    .symbol:         _ZN7rocprim17ROCPRIM_400000_NS6detail17trampoline_kernelINS0_14default_configENS1_25partition_config_selectorILNS1_17partition_subalgoE0EyNS0_10empty_typeEbEEZZNS1_14partition_implILS5_0ELb0ES3_jN6thrust23THRUST_200600_302600_NS6detail15normal_iteratorINSA_10device_ptrIyEEEEPS6_SG_NS0_5tupleIJSF_NSA_16discard_iteratorINSA_11use_defaultEEEEEENSH_IJSG_SG_EEES6_PlJ7is_evenIyEEEE10hipError_tPvRmT3_T4_T5_T6_T7_T9_mT8_P12ihipStream_tbDpT10_ENKUlT_T0_E_clISt17integral_constantIbLb0EES19_EEDaS14_S15_EUlS14_E_NS1_11comp_targetILNS1_3genE2ELNS1_11target_archE906ELNS1_3gpuE6ELNS1_3repE0EEENS1_30default_config_static_selectorELNS0_4arch9wavefront6targetE1EEEvT1_.kd
    .uniform_work_group_size: 1
    .uses_dynamic_stack: false
    .vgpr_count:     0
    .vgpr_spill_count: 0
    .wavefront_size: 64
  - .agpr_count:     0
    .args:
      - .offset:         0
        .size:           128
        .value_kind:     by_value
    .group_segment_fixed_size: 0
    .kernarg_segment_align: 8
    .kernarg_segment_size: 128
    .language:       OpenCL C
    .language_version:
      - 2
      - 0
    .max_flat_workgroup_size: 512
    .name:           _ZN7rocprim17ROCPRIM_400000_NS6detail17trampoline_kernelINS0_14default_configENS1_25partition_config_selectorILNS1_17partition_subalgoE0EyNS0_10empty_typeEbEEZZNS1_14partition_implILS5_0ELb0ES3_jN6thrust23THRUST_200600_302600_NS6detail15normal_iteratorINSA_10device_ptrIyEEEEPS6_SG_NS0_5tupleIJSF_NSA_16discard_iteratorINSA_11use_defaultEEEEEENSH_IJSG_SG_EEES6_PlJ7is_evenIyEEEE10hipError_tPvRmT3_T4_T5_T6_T7_T9_mT8_P12ihipStream_tbDpT10_ENKUlT_T0_E_clISt17integral_constantIbLb0EES19_EEDaS14_S15_EUlS14_E_NS1_11comp_targetILNS1_3genE10ELNS1_11target_archE1200ELNS1_3gpuE4ELNS1_3repE0EEENS1_30default_config_static_selectorELNS0_4arch9wavefront6targetE1EEEvT1_
    .private_segment_fixed_size: 0
    .sgpr_count:     4
    .sgpr_spill_count: 0
    .symbol:         _ZN7rocprim17ROCPRIM_400000_NS6detail17trampoline_kernelINS0_14default_configENS1_25partition_config_selectorILNS1_17partition_subalgoE0EyNS0_10empty_typeEbEEZZNS1_14partition_implILS5_0ELb0ES3_jN6thrust23THRUST_200600_302600_NS6detail15normal_iteratorINSA_10device_ptrIyEEEEPS6_SG_NS0_5tupleIJSF_NSA_16discard_iteratorINSA_11use_defaultEEEEEENSH_IJSG_SG_EEES6_PlJ7is_evenIyEEEE10hipError_tPvRmT3_T4_T5_T6_T7_T9_mT8_P12ihipStream_tbDpT10_ENKUlT_T0_E_clISt17integral_constantIbLb0EES19_EEDaS14_S15_EUlS14_E_NS1_11comp_targetILNS1_3genE10ELNS1_11target_archE1200ELNS1_3gpuE4ELNS1_3repE0EEENS1_30default_config_static_selectorELNS0_4arch9wavefront6targetE1EEEvT1_.kd
    .uniform_work_group_size: 1
    .uses_dynamic_stack: false
    .vgpr_count:     0
    .vgpr_spill_count: 0
    .wavefront_size: 64
  - .agpr_count:     0
    .args:
      - .offset:         0
        .size:           128
        .value_kind:     by_value
    .group_segment_fixed_size: 0
    .kernarg_segment_align: 8
    .kernarg_segment_size: 128
    .language:       OpenCL C
    .language_version:
      - 2
      - 0
    .max_flat_workgroup_size: 512
    .name:           _ZN7rocprim17ROCPRIM_400000_NS6detail17trampoline_kernelINS0_14default_configENS1_25partition_config_selectorILNS1_17partition_subalgoE0EyNS0_10empty_typeEbEEZZNS1_14partition_implILS5_0ELb0ES3_jN6thrust23THRUST_200600_302600_NS6detail15normal_iteratorINSA_10device_ptrIyEEEEPS6_SG_NS0_5tupleIJSF_NSA_16discard_iteratorINSA_11use_defaultEEEEEENSH_IJSG_SG_EEES6_PlJ7is_evenIyEEEE10hipError_tPvRmT3_T4_T5_T6_T7_T9_mT8_P12ihipStream_tbDpT10_ENKUlT_T0_E_clISt17integral_constantIbLb0EES19_EEDaS14_S15_EUlS14_E_NS1_11comp_targetILNS1_3genE9ELNS1_11target_archE1100ELNS1_3gpuE3ELNS1_3repE0EEENS1_30default_config_static_selectorELNS0_4arch9wavefront6targetE1EEEvT1_
    .private_segment_fixed_size: 0
    .sgpr_count:     4
    .sgpr_spill_count: 0
    .symbol:         _ZN7rocprim17ROCPRIM_400000_NS6detail17trampoline_kernelINS0_14default_configENS1_25partition_config_selectorILNS1_17partition_subalgoE0EyNS0_10empty_typeEbEEZZNS1_14partition_implILS5_0ELb0ES3_jN6thrust23THRUST_200600_302600_NS6detail15normal_iteratorINSA_10device_ptrIyEEEEPS6_SG_NS0_5tupleIJSF_NSA_16discard_iteratorINSA_11use_defaultEEEEEENSH_IJSG_SG_EEES6_PlJ7is_evenIyEEEE10hipError_tPvRmT3_T4_T5_T6_T7_T9_mT8_P12ihipStream_tbDpT10_ENKUlT_T0_E_clISt17integral_constantIbLb0EES19_EEDaS14_S15_EUlS14_E_NS1_11comp_targetILNS1_3genE9ELNS1_11target_archE1100ELNS1_3gpuE3ELNS1_3repE0EEENS1_30default_config_static_selectorELNS0_4arch9wavefront6targetE1EEEvT1_.kd
    .uniform_work_group_size: 1
    .uses_dynamic_stack: false
    .vgpr_count:     0
    .vgpr_spill_count: 0
    .wavefront_size: 64
  - .agpr_count:     0
    .args:
      - .offset:         0
        .size:           128
        .value_kind:     by_value
    .group_segment_fixed_size: 0
    .kernarg_segment_align: 8
    .kernarg_segment_size: 128
    .language:       OpenCL C
    .language_version:
      - 2
      - 0
    .max_flat_workgroup_size: 512
    .name:           _ZN7rocprim17ROCPRIM_400000_NS6detail17trampoline_kernelINS0_14default_configENS1_25partition_config_selectorILNS1_17partition_subalgoE0EyNS0_10empty_typeEbEEZZNS1_14partition_implILS5_0ELb0ES3_jN6thrust23THRUST_200600_302600_NS6detail15normal_iteratorINSA_10device_ptrIyEEEEPS6_SG_NS0_5tupleIJSF_NSA_16discard_iteratorINSA_11use_defaultEEEEEENSH_IJSG_SG_EEES6_PlJ7is_evenIyEEEE10hipError_tPvRmT3_T4_T5_T6_T7_T9_mT8_P12ihipStream_tbDpT10_ENKUlT_T0_E_clISt17integral_constantIbLb0EES19_EEDaS14_S15_EUlS14_E_NS1_11comp_targetILNS1_3genE8ELNS1_11target_archE1030ELNS1_3gpuE2ELNS1_3repE0EEENS1_30default_config_static_selectorELNS0_4arch9wavefront6targetE1EEEvT1_
    .private_segment_fixed_size: 0
    .sgpr_count:     4
    .sgpr_spill_count: 0
    .symbol:         _ZN7rocprim17ROCPRIM_400000_NS6detail17trampoline_kernelINS0_14default_configENS1_25partition_config_selectorILNS1_17partition_subalgoE0EyNS0_10empty_typeEbEEZZNS1_14partition_implILS5_0ELb0ES3_jN6thrust23THRUST_200600_302600_NS6detail15normal_iteratorINSA_10device_ptrIyEEEEPS6_SG_NS0_5tupleIJSF_NSA_16discard_iteratorINSA_11use_defaultEEEEEENSH_IJSG_SG_EEES6_PlJ7is_evenIyEEEE10hipError_tPvRmT3_T4_T5_T6_T7_T9_mT8_P12ihipStream_tbDpT10_ENKUlT_T0_E_clISt17integral_constantIbLb0EES19_EEDaS14_S15_EUlS14_E_NS1_11comp_targetILNS1_3genE8ELNS1_11target_archE1030ELNS1_3gpuE2ELNS1_3repE0EEENS1_30default_config_static_selectorELNS0_4arch9wavefront6targetE1EEEvT1_.kd
    .uniform_work_group_size: 1
    .uses_dynamic_stack: false
    .vgpr_count:     0
    .vgpr_spill_count: 0
    .wavefront_size: 64
  - .agpr_count:     0
    .args:
      - .offset:         0
        .size:           144
        .value_kind:     by_value
    .group_segment_fixed_size: 0
    .kernarg_segment_align: 8
    .kernarg_segment_size: 144
    .language:       OpenCL C
    .language_version:
      - 2
      - 0
    .max_flat_workgroup_size: 128
    .name:           _ZN7rocprim17ROCPRIM_400000_NS6detail17trampoline_kernelINS0_14default_configENS1_25partition_config_selectorILNS1_17partition_subalgoE0EyNS0_10empty_typeEbEEZZNS1_14partition_implILS5_0ELb0ES3_jN6thrust23THRUST_200600_302600_NS6detail15normal_iteratorINSA_10device_ptrIyEEEEPS6_SG_NS0_5tupleIJSF_NSA_16discard_iteratorINSA_11use_defaultEEEEEENSH_IJSG_SG_EEES6_PlJ7is_evenIyEEEE10hipError_tPvRmT3_T4_T5_T6_T7_T9_mT8_P12ihipStream_tbDpT10_ENKUlT_T0_E_clISt17integral_constantIbLb1EES19_EEDaS14_S15_EUlS14_E_NS1_11comp_targetILNS1_3genE0ELNS1_11target_archE4294967295ELNS1_3gpuE0ELNS1_3repE0EEENS1_30default_config_static_selectorELNS0_4arch9wavefront6targetE1EEEvT1_
    .private_segment_fixed_size: 0
    .sgpr_count:     4
    .sgpr_spill_count: 0
    .symbol:         _ZN7rocprim17ROCPRIM_400000_NS6detail17trampoline_kernelINS0_14default_configENS1_25partition_config_selectorILNS1_17partition_subalgoE0EyNS0_10empty_typeEbEEZZNS1_14partition_implILS5_0ELb0ES3_jN6thrust23THRUST_200600_302600_NS6detail15normal_iteratorINSA_10device_ptrIyEEEEPS6_SG_NS0_5tupleIJSF_NSA_16discard_iteratorINSA_11use_defaultEEEEEENSH_IJSG_SG_EEES6_PlJ7is_evenIyEEEE10hipError_tPvRmT3_T4_T5_T6_T7_T9_mT8_P12ihipStream_tbDpT10_ENKUlT_T0_E_clISt17integral_constantIbLb1EES19_EEDaS14_S15_EUlS14_E_NS1_11comp_targetILNS1_3genE0ELNS1_11target_archE4294967295ELNS1_3gpuE0ELNS1_3repE0EEENS1_30default_config_static_selectorELNS0_4arch9wavefront6targetE1EEEvT1_.kd
    .uniform_work_group_size: 1
    .uses_dynamic_stack: false
    .vgpr_count:     0
    .vgpr_spill_count: 0
    .wavefront_size: 64
  - .agpr_count:     0
    .args:
      - .offset:         0
        .size:           144
        .value_kind:     by_value
    .group_segment_fixed_size: 0
    .kernarg_segment_align: 8
    .kernarg_segment_size: 144
    .language:       OpenCL C
    .language_version:
      - 2
      - 0
    .max_flat_workgroup_size: 512
    .name:           _ZN7rocprim17ROCPRIM_400000_NS6detail17trampoline_kernelINS0_14default_configENS1_25partition_config_selectorILNS1_17partition_subalgoE0EyNS0_10empty_typeEbEEZZNS1_14partition_implILS5_0ELb0ES3_jN6thrust23THRUST_200600_302600_NS6detail15normal_iteratorINSA_10device_ptrIyEEEEPS6_SG_NS0_5tupleIJSF_NSA_16discard_iteratorINSA_11use_defaultEEEEEENSH_IJSG_SG_EEES6_PlJ7is_evenIyEEEE10hipError_tPvRmT3_T4_T5_T6_T7_T9_mT8_P12ihipStream_tbDpT10_ENKUlT_T0_E_clISt17integral_constantIbLb1EES19_EEDaS14_S15_EUlS14_E_NS1_11comp_targetILNS1_3genE5ELNS1_11target_archE942ELNS1_3gpuE9ELNS1_3repE0EEENS1_30default_config_static_selectorELNS0_4arch9wavefront6targetE1EEEvT1_
    .private_segment_fixed_size: 0
    .sgpr_count:     4
    .sgpr_spill_count: 0
    .symbol:         _ZN7rocprim17ROCPRIM_400000_NS6detail17trampoline_kernelINS0_14default_configENS1_25partition_config_selectorILNS1_17partition_subalgoE0EyNS0_10empty_typeEbEEZZNS1_14partition_implILS5_0ELb0ES3_jN6thrust23THRUST_200600_302600_NS6detail15normal_iteratorINSA_10device_ptrIyEEEEPS6_SG_NS0_5tupleIJSF_NSA_16discard_iteratorINSA_11use_defaultEEEEEENSH_IJSG_SG_EEES6_PlJ7is_evenIyEEEE10hipError_tPvRmT3_T4_T5_T6_T7_T9_mT8_P12ihipStream_tbDpT10_ENKUlT_T0_E_clISt17integral_constantIbLb1EES19_EEDaS14_S15_EUlS14_E_NS1_11comp_targetILNS1_3genE5ELNS1_11target_archE942ELNS1_3gpuE9ELNS1_3repE0EEENS1_30default_config_static_selectorELNS0_4arch9wavefront6targetE1EEEvT1_.kd
    .uniform_work_group_size: 1
    .uses_dynamic_stack: false
    .vgpr_count:     0
    .vgpr_spill_count: 0
    .wavefront_size: 64
  - .agpr_count:     0
    .args:
      - .offset:         0
        .size:           144
        .value_kind:     by_value
    .group_segment_fixed_size: 6344
    .kernarg_segment_align: 8
    .kernarg_segment_size: 144
    .language:       OpenCL C
    .language_version:
      - 2
      - 0
    .max_flat_workgroup_size: 192
    .name:           _ZN7rocprim17ROCPRIM_400000_NS6detail17trampoline_kernelINS0_14default_configENS1_25partition_config_selectorILNS1_17partition_subalgoE0EyNS0_10empty_typeEbEEZZNS1_14partition_implILS5_0ELb0ES3_jN6thrust23THRUST_200600_302600_NS6detail15normal_iteratorINSA_10device_ptrIyEEEEPS6_SG_NS0_5tupleIJSF_NSA_16discard_iteratorINSA_11use_defaultEEEEEENSH_IJSG_SG_EEES6_PlJ7is_evenIyEEEE10hipError_tPvRmT3_T4_T5_T6_T7_T9_mT8_P12ihipStream_tbDpT10_ENKUlT_T0_E_clISt17integral_constantIbLb1EES19_EEDaS14_S15_EUlS14_E_NS1_11comp_targetILNS1_3genE4ELNS1_11target_archE910ELNS1_3gpuE8ELNS1_3repE0EEENS1_30default_config_static_selectorELNS0_4arch9wavefront6targetE1EEEvT1_
    .private_segment_fixed_size: 0
    .sgpr_count:     44
    .sgpr_spill_count: 0
    .symbol:         _ZN7rocprim17ROCPRIM_400000_NS6detail17trampoline_kernelINS0_14default_configENS1_25partition_config_selectorILNS1_17partition_subalgoE0EyNS0_10empty_typeEbEEZZNS1_14partition_implILS5_0ELb0ES3_jN6thrust23THRUST_200600_302600_NS6detail15normal_iteratorINSA_10device_ptrIyEEEEPS6_SG_NS0_5tupleIJSF_NSA_16discard_iteratorINSA_11use_defaultEEEEEENSH_IJSG_SG_EEES6_PlJ7is_evenIyEEEE10hipError_tPvRmT3_T4_T5_T6_T7_T9_mT8_P12ihipStream_tbDpT10_ENKUlT_T0_E_clISt17integral_constantIbLb1EES19_EEDaS14_S15_EUlS14_E_NS1_11comp_targetILNS1_3genE4ELNS1_11target_archE910ELNS1_3gpuE8ELNS1_3repE0EEENS1_30default_config_static_selectorELNS0_4arch9wavefront6targetE1EEEvT1_.kd
    .uniform_work_group_size: 1
    .uses_dynamic_stack: false
    .vgpr_count:     45
    .vgpr_spill_count: 0
    .wavefront_size: 64
  - .agpr_count:     0
    .args:
      - .offset:         0
        .size:           144
        .value_kind:     by_value
    .group_segment_fixed_size: 0
    .kernarg_segment_align: 8
    .kernarg_segment_size: 144
    .language:       OpenCL C
    .language_version:
      - 2
      - 0
    .max_flat_workgroup_size: 128
    .name:           _ZN7rocprim17ROCPRIM_400000_NS6detail17trampoline_kernelINS0_14default_configENS1_25partition_config_selectorILNS1_17partition_subalgoE0EyNS0_10empty_typeEbEEZZNS1_14partition_implILS5_0ELb0ES3_jN6thrust23THRUST_200600_302600_NS6detail15normal_iteratorINSA_10device_ptrIyEEEEPS6_SG_NS0_5tupleIJSF_NSA_16discard_iteratorINSA_11use_defaultEEEEEENSH_IJSG_SG_EEES6_PlJ7is_evenIyEEEE10hipError_tPvRmT3_T4_T5_T6_T7_T9_mT8_P12ihipStream_tbDpT10_ENKUlT_T0_E_clISt17integral_constantIbLb1EES19_EEDaS14_S15_EUlS14_E_NS1_11comp_targetILNS1_3genE3ELNS1_11target_archE908ELNS1_3gpuE7ELNS1_3repE0EEENS1_30default_config_static_selectorELNS0_4arch9wavefront6targetE1EEEvT1_
    .private_segment_fixed_size: 0
    .sgpr_count:     4
    .sgpr_spill_count: 0
    .symbol:         _ZN7rocprim17ROCPRIM_400000_NS6detail17trampoline_kernelINS0_14default_configENS1_25partition_config_selectorILNS1_17partition_subalgoE0EyNS0_10empty_typeEbEEZZNS1_14partition_implILS5_0ELb0ES3_jN6thrust23THRUST_200600_302600_NS6detail15normal_iteratorINSA_10device_ptrIyEEEEPS6_SG_NS0_5tupleIJSF_NSA_16discard_iteratorINSA_11use_defaultEEEEEENSH_IJSG_SG_EEES6_PlJ7is_evenIyEEEE10hipError_tPvRmT3_T4_T5_T6_T7_T9_mT8_P12ihipStream_tbDpT10_ENKUlT_T0_E_clISt17integral_constantIbLb1EES19_EEDaS14_S15_EUlS14_E_NS1_11comp_targetILNS1_3genE3ELNS1_11target_archE908ELNS1_3gpuE7ELNS1_3repE0EEENS1_30default_config_static_selectorELNS0_4arch9wavefront6targetE1EEEvT1_.kd
    .uniform_work_group_size: 1
    .uses_dynamic_stack: false
    .vgpr_count:     0
    .vgpr_spill_count: 0
    .wavefront_size: 64
  - .agpr_count:     0
    .args:
      - .offset:         0
        .size:           144
        .value_kind:     by_value
    .group_segment_fixed_size: 0
    .kernarg_segment_align: 8
    .kernarg_segment_size: 144
    .language:       OpenCL C
    .language_version:
      - 2
      - 0
    .max_flat_workgroup_size: 256
    .name:           _ZN7rocprim17ROCPRIM_400000_NS6detail17trampoline_kernelINS0_14default_configENS1_25partition_config_selectorILNS1_17partition_subalgoE0EyNS0_10empty_typeEbEEZZNS1_14partition_implILS5_0ELb0ES3_jN6thrust23THRUST_200600_302600_NS6detail15normal_iteratorINSA_10device_ptrIyEEEEPS6_SG_NS0_5tupleIJSF_NSA_16discard_iteratorINSA_11use_defaultEEEEEENSH_IJSG_SG_EEES6_PlJ7is_evenIyEEEE10hipError_tPvRmT3_T4_T5_T6_T7_T9_mT8_P12ihipStream_tbDpT10_ENKUlT_T0_E_clISt17integral_constantIbLb1EES19_EEDaS14_S15_EUlS14_E_NS1_11comp_targetILNS1_3genE2ELNS1_11target_archE906ELNS1_3gpuE6ELNS1_3repE0EEENS1_30default_config_static_selectorELNS0_4arch9wavefront6targetE1EEEvT1_
    .private_segment_fixed_size: 0
    .sgpr_count:     4
    .sgpr_spill_count: 0
    .symbol:         _ZN7rocprim17ROCPRIM_400000_NS6detail17trampoline_kernelINS0_14default_configENS1_25partition_config_selectorILNS1_17partition_subalgoE0EyNS0_10empty_typeEbEEZZNS1_14partition_implILS5_0ELb0ES3_jN6thrust23THRUST_200600_302600_NS6detail15normal_iteratorINSA_10device_ptrIyEEEEPS6_SG_NS0_5tupleIJSF_NSA_16discard_iteratorINSA_11use_defaultEEEEEENSH_IJSG_SG_EEES6_PlJ7is_evenIyEEEE10hipError_tPvRmT3_T4_T5_T6_T7_T9_mT8_P12ihipStream_tbDpT10_ENKUlT_T0_E_clISt17integral_constantIbLb1EES19_EEDaS14_S15_EUlS14_E_NS1_11comp_targetILNS1_3genE2ELNS1_11target_archE906ELNS1_3gpuE6ELNS1_3repE0EEENS1_30default_config_static_selectorELNS0_4arch9wavefront6targetE1EEEvT1_.kd
    .uniform_work_group_size: 1
    .uses_dynamic_stack: false
    .vgpr_count:     0
    .vgpr_spill_count: 0
    .wavefront_size: 64
  - .agpr_count:     0
    .args:
      - .offset:         0
        .size:           144
        .value_kind:     by_value
    .group_segment_fixed_size: 0
    .kernarg_segment_align: 8
    .kernarg_segment_size: 144
    .language:       OpenCL C
    .language_version:
      - 2
      - 0
    .max_flat_workgroup_size: 512
    .name:           _ZN7rocprim17ROCPRIM_400000_NS6detail17trampoline_kernelINS0_14default_configENS1_25partition_config_selectorILNS1_17partition_subalgoE0EyNS0_10empty_typeEbEEZZNS1_14partition_implILS5_0ELb0ES3_jN6thrust23THRUST_200600_302600_NS6detail15normal_iteratorINSA_10device_ptrIyEEEEPS6_SG_NS0_5tupleIJSF_NSA_16discard_iteratorINSA_11use_defaultEEEEEENSH_IJSG_SG_EEES6_PlJ7is_evenIyEEEE10hipError_tPvRmT3_T4_T5_T6_T7_T9_mT8_P12ihipStream_tbDpT10_ENKUlT_T0_E_clISt17integral_constantIbLb1EES19_EEDaS14_S15_EUlS14_E_NS1_11comp_targetILNS1_3genE10ELNS1_11target_archE1200ELNS1_3gpuE4ELNS1_3repE0EEENS1_30default_config_static_selectorELNS0_4arch9wavefront6targetE1EEEvT1_
    .private_segment_fixed_size: 0
    .sgpr_count:     4
    .sgpr_spill_count: 0
    .symbol:         _ZN7rocprim17ROCPRIM_400000_NS6detail17trampoline_kernelINS0_14default_configENS1_25partition_config_selectorILNS1_17partition_subalgoE0EyNS0_10empty_typeEbEEZZNS1_14partition_implILS5_0ELb0ES3_jN6thrust23THRUST_200600_302600_NS6detail15normal_iteratorINSA_10device_ptrIyEEEEPS6_SG_NS0_5tupleIJSF_NSA_16discard_iteratorINSA_11use_defaultEEEEEENSH_IJSG_SG_EEES6_PlJ7is_evenIyEEEE10hipError_tPvRmT3_T4_T5_T6_T7_T9_mT8_P12ihipStream_tbDpT10_ENKUlT_T0_E_clISt17integral_constantIbLb1EES19_EEDaS14_S15_EUlS14_E_NS1_11comp_targetILNS1_3genE10ELNS1_11target_archE1200ELNS1_3gpuE4ELNS1_3repE0EEENS1_30default_config_static_selectorELNS0_4arch9wavefront6targetE1EEEvT1_.kd
    .uniform_work_group_size: 1
    .uses_dynamic_stack: false
    .vgpr_count:     0
    .vgpr_spill_count: 0
    .wavefront_size: 64
  - .agpr_count:     0
    .args:
      - .offset:         0
        .size:           144
        .value_kind:     by_value
    .group_segment_fixed_size: 0
    .kernarg_segment_align: 8
    .kernarg_segment_size: 144
    .language:       OpenCL C
    .language_version:
      - 2
      - 0
    .max_flat_workgroup_size: 512
    .name:           _ZN7rocprim17ROCPRIM_400000_NS6detail17trampoline_kernelINS0_14default_configENS1_25partition_config_selectorILNS1_17partition_subalgoE0EyNS0_10empty_typeEbEEZZNS1_14partition_implILS5_0ELb0ES3_jN6thrust23THRUST_200600_302600_NS6detail15normal_iteratorINSA_10device_ptrIyEEEEPS6_SG_NS0_5tupleIJSF_NSA_16discard_iteratorINSA_11use_defaultEEEEEENSH_IJSG_SG_EEES6_PlJ7is_evenIyEEEE10hipError_tPvRmT3_T4_T5_T6_T7_T9_mT8_P12ihipStream_tbDpT10_ENKUlT_T0_E_clISt17integral_constantIbLb1EES19_EEDaS14_S15_EUlS14_E_NS1_11comp_targetILNS1_3genE9ELNS1_11target_archE1100ELNS1_3gpuE3ELNS1_3repE0EEENS1_30default_config_static_selectorELNS0_4arch9wavefront6targetE1EEEvT1_
    .private_segment_fixed_size: 0
    .sgpr_count:     4
    .sgpr_spill_count: 0
    .symbol:         _ZN7rocprim17ROCPRIM_400000_NS6detail17trampoline_kernelINS0_14default_configENS1_25partition_config_selectorILNS1_17partition_subalgoE0EyNS0_10empty_typeEbEEZZNS1_14partition_implILS5_0ELb0ES3_jN6thrust23THRUST_200600_302600_NS6detail15normal_iteratorINSA_10device_ptrIyEEEEPS6_SG_NS0_5tupleIJSF_NSA_16discard_iteratorINSA_11use_defaultEEEEEENSH_IJSG_SG_EEES6_PlJ7is_evenIyEEEE10hipError_tPvRmT3_T4_T5_T6_T7_T9_mT8_P12ihipStream_tbDpT10_ENKUlT_T0_E_clISt17integral_constantIbLb1EES19_EEDaS14_S15_EUlS14_E_NS1_11comp_targetILNS1_3genE9ELNS1_11target_archE1100ELNS1_3gpuE3ELNS1_3repE0EEENS1_30default_config_static_selectorELNS0_4arch9wavefront6targetE1EEEvT1_.kd
    .uniform_work_group_size: 1
    .uses_dynamic_stack: false
    .vgpr_count:     0
    .vgpr_spill_count: 0
    .wavefront_size: 64
  - .agpr_count:     0
    .args:
      - .offset:         0
        .size:           144
        .value_kind:     by_value
    .group_segment_fixed_size: 0
    .kernarg_segment_align: 8
    .kernarg_segment_size: 144
    .language:       OpenCL C
    .language_version:
      - 2
      - 0
    .max_flat_workgroup_size: 512
    .name:           _ZN7rocprim17ROCPRIM_400000_NS6detail17trampoline_kernelINS0_14default_configENS1_25partition_config_selectorILNS1_17partition_subalgoE0EyNS0_10empty_typeEbEEZZNS1_14partition_implILS5_0ELb0ES3_jN6thrust23THRUST_200600_302600_NS6detail15normal_iteratorINSA_10device_ptrIyEEEEPS6_SG_NS0_5tupleIJSF_NSA_16discard_iteratorINSA_11use_defaultEEEEEENSH_IJSG_SG_EEES6_PlJ7is_evenIyEEEE10hipError_tPvRmT3_T4_T5_T6_T7_T9_mT8_P12ihipStream_tbDpT10_ENKUlT_T0_E_clISt17integral_constantIbLb1EES19_EEDaS14_S15_EUlS14_E_NS1_11comp_targetILNS1_3genE8ELNS1_11target_archE1030ELNS1_3gpuE2ELNS1_3repE0EEENS1_30default_config_static_selectorELNS0_4arch9wavefront6targetE1EEEvT1_
    .private_segment_fixed_size: 0
    .sgpr_count:     4
    .sgpr_spill_count: 0
    .symbol:         _ZN7rocprim17ROCPRIM_400000_NS6detail17trampoline_kernelINS0_14default_configENS1_25partition_config_selectorILNS1_17partition_subalgoE0EyNS0_10empty_typeEbEEZZNS1_14partition_implILS5_0ELb0ES3_jN6thrust23THRUST_200600_302600_NS6detail15normal_iteratorINSA_10device_ptrIyEEEEPS6_SG_NS0_5tupleIJSF_NSA_16discard_iteratorINSA_11use_defaultEEEEEENSH_IJSG_SG_EEES6_PlJ7is_evenIyEEEE10hipError_tPvRmT3_T4_T5_T6_T7_T9_mT8_P12ihipStream_tbDpT10_ENKUlT_T0_E_clISt17integral_constantIbLb1EES19_EEDaS14_S15_EUlS14_E_NS1_11comp_targetILNS1_3genE8ELNS1_11target_archE1030ELNS1_3gpuE2ELNS1_3repE0EEENS1_30default_config_static_selectorELNS0_4arch9wavefront6targetE1EEEvT1_.kd
    .uniform_work_group_size: 1
    .uses_dynamic_stack: false
    .vgpr_count:     0
    .vgpr_spill_count: 0
    .wavefront_size: 64
  - .agpr_count:     0
    .args:
      - .offset:         0
        .size:           128
        .value_kind:     by_value
    .group_segment_fixed_size: 0
    .kernarg_segment_align: 8
    .kernarg_segment_size: 128
    .language:       OpenCL C
    .language_version:
      - 2
      - 0
    .max_flat_workgroup_size: 128
    .name:           _ZN7rocprim17ROCPRIM_400000_NS6detail17trampoline_kernelINS0_14default_configENS1_25partition_config_selectorILNS1_17partition_subalgoE0EyNS0_10empty_typeEbEEZZNS1_14partition_implILS5_0ELb0ES3_jN6thrust23THRUST_200600_302600_NS6detail15normal_iteratorINSA_10device_ptrIyEEEEPS6_SG_NS0_5tupleIJSF_NSA_16discard_iteratorINSA_11use_defaultEEEEEENSH_IJSG_SG_EEES6_PlJ7is_evenIyEEEE10hipError_tPvRmT3_T4_T5_T6_T7_T9_mT8_P12ihipStream_tbDpT10_ENKUlT_T0_E_clISt17integral_constantIbLb1EES18_IbLb0EEEEDaS14_S15_EUlS14_E_NS1_11comp_targetILNS1_3genE0ELNS1_11target_archE4294967295ELNS1_3gpuE0ELNS1_3repE0EEENS1_30default_config_static_selectorELNS0_4arch9wavefront6targetE1EEEvT1_
    .private_segment_fixed_size: 0
    .sgpr_count:     4
    .sgpr_spill_count: 0
    .symbol:         _ZN7rocprim17ROCPRIM_400000_NS6detail17trampoline_kernelINS0_14default_configENS1_25partition_config_selectorILNS1_17partition_subalgoE0EyNS0_10empty_typeEbEEZZNS1_14partition_implILS5_0ELb0ES3_jN6thrust23THRUST_200600_302600_NS6detail15normal_iteratorINSA_10device_ptrIyEEEEPS6_SG_NS0_5tupleIJSF_NSA_16discard_iteratorINSA_11use_defaultEEEEEENSH_IJSG_SG_EEES6_PlJ7is_evenIyEEEE10hipError_tPvRmT3_T4_T5_T6_T7_T9_mT8_P12ihipStream_tbDpT10_ENKUlT_T0_E_clISt17integral_constantIbLb1EES18_IbLb0EEEEDaS14_S15_EUlS14_E_NS1_11comp_targetILNS1_3genE0ELNS1_11target_archE4294967295ELNS1_3gpuE0ELNS1_3repE0EEENS1_30default_config_static_selectorELNS0_4arch9wavefront6targetE1EEEvT1_.kd
    .uniform_work_group_size: 1
    .uses_dynamic_stack: false
    .vgpr_count:     0
    .vgpr_spill_count: 0
    .wavefront_size: 64
  - .agpr_count:     0
    .args:
      - .offset:         0
        .size:           128
        .value_kind:     by_value
    .group_segment_fixed_size: 0
    .kernarg_segment_align: 8
    .kernarg_segment_size: 128
    .language:       OpenCL C
    .language_version:
      - 2
      - 0
    .max_flat_workgroup_size: 512
    .name:           _ZN7rocprim17ROCPRIM_400000_NS6detail17trampoline_kernelINS0_14default_configENS1_25partition_config_selectorILNS1_17partition_subalgoE0EyNS0_10empty_typeEbEEZZNS1_14partition_implILS5_0ELb0ES3_jN6thrust23THRUST_200600_302600_NS6detail15normal_iteratorINSA_10device_ptrIyEEEEPS6_SG_NS0_5tupleIJSF_NSA_16discard_iteratorINSA_11use_defaultEEEEEENSH_IJSG_SG_EEES6_PlJ7is_evenIyEEEE10hipError_tPvRmT3_T4_T5_T6_T7_T9_mT8_P12ihipStream_tbDpT10_ENKUlT_T0_E_clISt17integral_constantIbLb1EES18_IbLb0EEEEDaS14_S15_EUlS14_E_NS1_11comp_targetILNS1_3genE5ELNS1_11target_archE942ELNS1_3gpuE9ELNS1_3repE0EEENS1_30default_config_static_selectorELNS0_4arch9wavefront6targetE1EEEvT1_
    .private_segment_fixed_size: 0
    .sgpr_count:     4
    .sgpr_spill_count: 0
    .symbol:         _ZN7rocprim17ROCPRIM_400000_NS6detail17trampoline_kernelINS0_14default_configENS1_25partition_config_selectorILNS1_17partition_subalgoE0EyNS0_10empty_typeEbEEZZNS1_14partition_implILS5_0ELb0ES3_jN6thrust23THRUST_200600_302600_NS6detail15normal_iteratorINSA_10device_ptrIyEEEEPS6_SG_NS0_5tupleIJSF_NSA_16discard_iteratorINSA_11use_defaultEEEEEENSH_IJSG_SG_EEES6_PlJ7is_evenIyEEEE10hipError_tPvRmT3_T4_T5_T6_T7_T9_mT8_P12ihipStream_tbDpT10_ENKUlT_T0_E_clISt17integral_constantIbLb1EES18_IbLb0EEEEDaS14_S15_EUlS14_E_NS1_11comp_targetILNS1_3genE5ELNS1_11target_archE942ELNS1_3gpuE9ELNS1_3repE0EEENS1_30default_config_static_selectorELNS0_4arch9wavefront6targetE1EEEvT1_.kd
    .uniform_work_group_size: 1
    .uses_dynamic_stack: false
    .vgpr_count:     0
    .vgpr_spill_count: 0
    .wavefront_size: 64
  - .agpr_count:     0
    .args:
      - .offset:         0
        .size:           128
        .value_kind:     by_value
    .group_segment_fixed_size: 6344
    .kernarg_segment_align: 8
    .kernarg_segment_size: 128
    .language:       OpenCL C
    .language_version:
      - 2
      - 0
    .max_flat_workgroup_size: 192
    .name:           _ZN7rocprim17ROCPRIM_400000_NS6detail17trampoline_kernelINS0_14default_configENS1_25partition_config_selectorILNS1_17partition_subalgoE0EyNS0_10empty_typeEbEEZZNS1_14partition_implILS5_0ELb0ES3_jN6thrust23THRUST_200600_302600_NS6detail15normal_iteratorINSA_10device_ptrIyEEEEPS6_SG_NS0_5tupleIJSF_NSA_16discard_iteratorINSA_11use_defaultEEEEEENSH_IJSG_SG_EEES6_PlJ7is_evenIyEEEE10hipError_tPvRmT3_T4_T5_T6_T7_T9_mT8_P12ihipStream_tbDpT10_ENKUlT_T0_E_clISt17integral_constantIbLb1EES18_IbLb0EEEEDaS14_S15_EUlS14_E_NS1_11comp_targetILNS1_3genE4ELNS1_11target_archE910ELNS1_3gpuE8ELNS1_3repE0EEENS1_30default_config_static_selectorELNS0_4arch9wavefront6targetE1EEEvT1_
    .private_segment_fixed_size: 0
    .sgpr_count:     44
    .sgpr_spill_count: 0
    .symbol:         _ZN7rocprim17ROCPRIM_400000_NS6detail17trampoline_kernelINS0_14default_configENS1_25partition_config_selectorILNS1_17partition_subalgoE0EyNS0_10empty_typeEbEEZZNS1_14partition_implILS5_0ELb0ES3_jN6thrust23THRUST_200600_302600_NS6detail15normal_iteratorINSA_10device_ptrIyEEEEPS6_SG_NS0_5tupleIJSF_NSA_16discard_iteratorINSA_11use_defaultEEEEEENSH_IJSG_SG_EEES6_PlJ7is_evenIyEEEE10hipError_tPvRmT3_T4_T5_T6_T7_T9_mT8_P12ihipStream_tbDpT10_ENKUlT_T0_E_clISt17integral_constantIbLb1EES18_IbLb0EEEEDaS14_S15_EUlS14_E_NS1_11comp_targetILNS1_3genE4ELNS1_11target_archE910ELNS1_3gpuE8ELNS1_3repE0EEENS1_30default_config_static_selectorELNS0_4arch9wavefront6targetE1EEEvT1_.kd
    .uniform_work_group_size: 1
    .uses_dynamic_stack: false
    .vgpr_count:     43
    .vgpr_spill_count: 0
    .wavefront_size: 64
  - .agpr_count:     0
    .args:
      - .offset:         0
        .size:           128
        .value_kind:     by_value
    .group_segment_fixed_size: 0
    .kernarg_segment_align: 8
    .kernarg_segment_size: 128
    .language:       OpenCL C
    .language_version:
      - 2
      - 0
    .max_flat_workgroup_size: 128
    .name:           _ZN7rocprim17ROCPRIM_400000_NS6detail17trampoline_kernelINS0_14default_configENS1_25partition_config_selectorILNS1_17partition_subalgoE0EyNS0_10empty_typeEbEEZZNS1_14partition_implILS5_0ELb0ES3_jN6thrust23THRUST_200600_302600_NS6detail15normal_iteratorINSA_10device_ptrIyEEEEPS6_SG_NS0_5tupleIJSF_NSA_16discard_iteratorINSA_11use_defaultEEEEEENSH_IJSG_SG_EEES6_PlJ7is_evenIyEEEE10hipError_tPvRmT3_T4_T5_T6_T7_T9_mT8_P12ihipStream_tbDpT10_ENKUlT_T0_E_clISt17integral_constantIbLb1EES18_IbLb0EEEEDaS14_S15_EUlS14_E_NS1_11comp_targetILNS1_3genE3ELNS1_11target_archE908ELNS1_3gpuE7ELNS1_3repE0EEENS1_30default_config_static_selectorELNS0_4arch9wavefront6targetE1EEEvT1_
    .private_segment_fixed_size: 0
    .sgpr_count:     4
    .sgpr_spill_count: 0
    .symbol:         _ZN7rocprim17ROCPRIM_400000_NS6detail17trampoline_kernelINS0_14default_configENS1_25partition_config_selectorILNS1_17partition_subalgoE0EyNS0_10empty_typeEbEEZZNS1_14partition_implILS5_0ELb0ES3_jN6thrust23THRUST_200600_302600_NS6detail15normal_iteratorINSA_10device_ptrIyEEEEPS6_SG_NS0_5tupleIJSF_NSA_16discard_iteratorINSA_11use_defaultEEEEEENSH_IJSG_SG_EEES6_PlJ7is_evenIyEEEE10hipError_tPvRmT3_T4_T5_T6_T7_T9_mT8_P12ihipStream_tbDpT10_ENKUlT_T0_E_clISt17integral_constantIbLb1EES18_IbLb0EEEEDaS14_S15_EUlS14_E_NS1_11comp_targetILNS1_3genE3ELNS1_11target_archE908ELNS1_3gpuE7ELNS1_3repE0EEENS1_30default_config_static_selectorELNS0_4arch9wavefront6targetE1EEEvT1_.kd
    .uniform_work_group_size: 1
    .uses_dynamic_stack: false
    .vgpr_count:     0
    .vgpr_spill_count: 0
    .wavefront_size: 64
  - .agpr_count:     0
    .args:
      - .offset:         0
        .size:           128
        .value_kind:     by_value
    .group_segment_fixed_size: 0
    .kernarg_segment_align: 8
    .kernarg_segment_size: 128
    .language:       OpenCL C
    .language_version:
      - 2
      - 0
    .max_flat_workgroup_size: 256
    .name:           _ZN7rocprim17ROCPRIM_400000_NS6detail17trampoline_kernelINS0_14default_configENS1_25partition_config_selectorILNS1_17partition_subalgoE0EyNS0_10empty_typeEbEEZZNS1_14partition_implILS5_0ELb0ES3_jN6thrust23THRUST_200600_302600_NS6detail15normal_iteratorINSA_10device_ptrIyEEEEPS6_SG_NS0_5tupleIJSF_NSA_16discard_iteratorINSA_11use_defaultEEEEEENSH_IJSG_SG_EEES6_PlJ7is_evenIyEEEE10hipError_tPvRmT3_T4_T5_T6_T7_T9_mT8_P12ihipStream_tbDpT10_ENKUlT_T0_E_clISt17integral_constantIbLb1EES18_IbLb0EEEEDaS14_S15_EUlS14_E_NS1_11comp_targetILNS1_3genE2ELNS1_11target_archE906ELNS1_3gpuE6ELNS1_3repE0EEENS1_30default_config_static_selectorELNS0_4arch9wavefront6targetE1EEEvT1_
    .private_segment_fixed_size: 0
    .sgpr_count:     4
    .sgpr_spill_count: 0
    .symbol:         _ZN7rocprim17ROCPRIM_400000_NS6detail17trampoline_kernelINS0_14default_configENS1_25partition_config_selectorILNS1_17partition_subalgoE0EyNS0_10empty_typeEbEEZZNS1_14partition_implILS5_0ELb0ES3_jN6thrust23THRUST_200600_302600_NS6detail15normal_iteratorINSA_10device_ptrIyEEEEPS6_SG_NS0_5tupleIJSF_NSA_16discard_iteratorINSA_11use_defaultEEEEEENSH_IJSG_SG_EEES6_PlJ7is_evenIyEEEE10hipError_tPvRmT3_T4_T5_T6_T7_T9_mT8_P12ihipStream_tbDpT10_ENKUlT_T0_E_clISt17integral_constantIbLb1EES18_IbLb0EEEEDaS14_S15_EUlS14_E_NS1_11comp_targetILNS1_3genE2ELNS1_11target_archE906ELNS1_3gpuE6ELNS1_3repE0EEENS1_30default_config_static_selectorELNS0_4arch9wavefront6targetE1EEEvT1_.kd
    .uniform_work_group_size: 1
    .uses_dynamic_stack: false
    .vgpr_count:     0
    .vgpr_spill_count: 0
    .wavefront_size: 64
  - .agpr_count:     0
    .args:
      - .offset:         0
        .size:           128
        .value_kind:     by_value
    .group_segment_fixed_size: 0
    .kernarg_segment_align: 8
    .kernarg_segment_size: 128
    .language:       OpenCL C
    .language_version:
      - 2
      - 0
    .max_flat_workgroup_size: 512
    .name:           _ZN7rocprim17ROCPRIM_400000_NS6detail17trampoline_kernelINS0_14default_configENS1_25partition_config_selectorILNS1_17partition_subalgoE0EyNS0_10empty_typeEbEEZZNS1_14partition_implILS5_0ELb0ES3_jN6thrust23THRUST_200600_302600_NS6detail15normal_iteratorINSA_10device_ptrIyEEEEPS6_SG_NS0_5tupleIJSF_NSA_16discard_iteratorINSA_11use_defaultEEEEEENSH_IJSG_SG_EEES6_PlJ7is_evenIyEEEE10hipError_tPvRmT3_T4_T5_T6_T7_T9_mT8_P12ihipStream_tbDpT10_ENKUlT_T0_E_clISt17integral_constantIbLb1EES18_IbLb0EEEEDaS14_S15_EUlS14_E_NS1_11comp_targetILNS1_3genE10ELNS1_11target_archE1200ELNS1_3gpuE4ELNS1_3repE0EEENS1_30default_config_static_selectorELNS0_4arch9wavefront6targetE1EEEvT1_
    .private_segment_fixed_size: 0
    .sgpr_count:     4
    .sgpr_spill_count: 0
    .symbol:         _ZN7rocprim17ROCPRIM_400000_NS6detail17trampoline_kernelINS0_14default_configENS1_25partition_config_selectorILNS1_17partition_subalgoE0EyNS0_10empty_typeEbEEZZNS1_14partition_implILS5_0ELb0ES3_jN6thrust23THRUST_200600_302600_NS6detail15normal_iteratorINSA_10device_ptrIyEEEEPS6_SG_NS0_5tupleIJSF_NSA_16discard_iteratorINSA_11use_defaultEEEEEENSH_IJSG_SG_EEES6_PlJ7is_evenIyEEEE10hipError_tPvRmT3_T4_T5_T6_T7_T9_mT8_P12ihipStream_tbDpT10_ENKUlT_T0_E_clISt17integral_constantIbLb1EES18_IbLb0EEEEDaS14_S15_EUlS14_E_NS1_11comp_targetILNS1_3genE10ELNS1_11target_archE1200ELNS1_3gpuE4ELNS1_3repE0EEENS1_30default_config_static_selectorELNS0_4arch9wavefront6targetE1EEEvT1_.kd
    .uniform_work_group_size: 1
    .uses_dynamic_stack: false
    .vgpr_count:     0
    .vgpr_spill_count: 0
    .wavefront_size: 64
  - .agpr_count:     0
    .args:
      - .offset:         0
        .size:           128
        .value_kind:     by_value
    .group_segment_fixed_size: 0
    .kernarg_segment_align: 8
    .kernarg_segment_size: 128
    .language:       OpenCL C
    .language_version:
      - 2
      - 0
    .max_flat_workgroup_size: 512
    .name:           _ZN7rocprim17ROCPRIM_400000_NS6detail17trampoline_kernelINS0_14default_configENS1_25partition_config_selectorILNS1_17partition_subalgoE0EyNS0_10empty_typeEbEEZZNS1_14partition_implILS5_0ELb0ES3_jN6thrust23THRUST_200600_302600_NS6detail15normal_iteratorINSA_10device_ptrIyEEEEPS6_SG_NS0_5tupleIJSF_NSA_16discard_iteratorINSA_11use_defaultEEEEEENSH_IJSG_SG_EEES6_PlJ7is_evenIyEEEE10hipError_tPvRmT3_T4_T5_T6_T7_T9_mT8_P12ihipStream_tbDpT10_ENKUlT_T0_E_clISt17integral_constantIbLb1EES18_IbLb0EEEEDaS14_S15_EUlS14_E_NS1_11comp_targetILNS1_3genE9ELNS1_11target_archE1100ELNS1_3gpuE3ELNS1_3repE0EEENS1_30default_config_static_selectorELNS0_4arch9wavefront6targetE1EEEvT1_
    .private_segment_fixed_size: 0
    .sgpr_count:     4
    .sgpr_spill_count: 0
    .symbol:         _ZN7rocprim17ROCPRIM_400000_NS6detail17trampoline_kernelINS0_14default_configENS1_25partition_config_selectorILNS1_17partition_subalgoE0EyNS0_10empty_typeEbEEZZNS1_14partition_implILS5_0ELb0ES3_jN6thrust23THRUST_200600_302600_NS6detail15normal_iteratorINSA_10device_ptrIyEEEEPS6_SG_NS0_5tupleIJSF_NSA_16discard_iteratorINSA_11use_defaultEEEEEENSH_IJSG_SG_EEES6_PlJ7is_evenIyEEEE10hipError_tPvRmT3_T4_T5_T6_T7_T9_mT8_P12ihipStream_tbDpT10_ENKUlT_T0_E_clISt17integral_constantIbLb1EES18_IbLb0EEEEDaS14_S15_EUlS14_E_NS1_11comp_targetILNS1_3genE9ELNS1_11target_archE1100ELNS1_3gpuE3ELNS1_3repE0EEENS1_30default_config_static_selectorELNS0_4arch9wavefront6targetE1EEEvT1_.kd
    .uniform_work_group_size: 1
    .uses_dynamic_stack: false
    .vgpr_count:     0
    .vgpr_spill_count: 0
    .wavefront_size: 64
  - .agpr_count:     0
    .args:
      - .offset:         0
        .size:           128
        .value_kind:     by_value
    .group_segment_fixed_size: 0
    .kernarg_segment_align: 8
    .kernarg_segment_size: 128
    .language:       OpenCL C
    .language_version:
      - 2
      - 0
    .max_flat_workgroup_size: 512
    .name:           _ZN7rocprim17ROCPRIM_400000_NS6detail17trampoline_kernelINS0_14default_configENS1_25partition_config_selectorILNS1_17partition_subalgoE0EyNS0_10empty_typeEbEEZZNS1_14partition_implILS5_0ELb0ES3_jN6thrust23THRUST_200600_302600_NS6detail15normal_iteratorINSA_10device_ptrIyEEEEPS6_SG_NS0_5tupleIJSF_NSA_16discard_iteratorINSA_11use_defaultEEEEEENSH_IJSG_SG_EEES6_PlJ7is_evenIyEEEE10hipError_tPvRmT3_T4_T5_T6_T7_T9_mT8_P12ihipStream_tbDpT10_ENKUlT_T0_E_clISt17integral_constantIbLb1EES18_IbLb0EEEEDaS14_S15_EUlS14_E_NS1_11comp_targetILNS1_3genE8ELNS1_11target_archE1030ELNS1_3gpuE2ELNS1_3repE0EEENS1_30default_config_static_selectorELNS0_4arch9wavefront6targetE1EEEvT1_
    .private_segment_fixed_size: 0
    .sgpr_count:     4
    .sgpr_spill_count: 0
    .symbol:         _ZN7rocprim17ROCPRIM_400000_NS6detail17trampoline_kernelINS0_14default_configENS1_25partition_config_selectorILNS1_17partition_subalgoE0EyNS0_10empty_typeEbEEZZNS1_14partition_implILS5_0ELb0ES3_jN6thrust23THRUST_200600_302600_NS6detail15normal_iteratorINSA_10device_ptrIyEEEEPS6_SG_NS0_5tupleIJSF_NSA_16discard_iteratorINSA_11use_defaultEEEEEENSH_IJSG_SG_EEES6_PlJ7is_evenIyEEEE10hipError_tPvRmT3_T4_T5_T6_T7_T9_mT8_P12ihipStream_tbDpT10_ENKUlT_T0_E_clISt17integral_constantIbLb1EES18_IbLb0EEEEDaS14_S15_EUlS14_E_NS1_11comp_targetILNS1_3genE8ELNS1_11target_archE1030ELNS1_3gpuE2ELNS1_3repE0EEENS1_30default_config_static_selectorELNS0_4arch9wavefront6targetE1EEEvT1_.kd
    .uniform_work_group_size: 1
    .uses_dynamic_stack: false
    .vgpr_count:     0
    .vgpr_spill_count: 0
    .wavefront_size: 64
  - .agpr_count:     0
    .args:
      - .offset:         0
        .size:           144
        .value_kind:     by_value
    .group_segment_fixed_size: 0
    .kernarg_segment_align: 8
    .kernarg_segment_size: 144
    .language:       OpenCL C
    .language_version:
      - 2
      - 0
    .max_flat_workgroup_size: 128
    .name:           _ZN7rocprim17ROCPRIM_400000_NS6detail17trampoline_kernelINS0_14default_configENS1_25partition_config_selectorILNS1_17partition_subalgoE0EyNS0_10empty_typeEbEEZZNS1_14partition_implILS5_0ELb0ES3_jN6thrust23THRUST_200600_302600_NS6detail15normal_iteratorINSA_10device_ptrIyEEEEPS6_SG_NS0_5tupleIJSF_NSA_16discard_iteratorINSA_11use_defaultEEEEEENSH_IJSG_SG_EEES6_PlJ7is_evenIyEEEE10hipError_tPvRmT3_T4_T5_T6_T7_T9_mT8_P12ihipStream_tbDpT10_ENKUlT_T0_E_clISt17integral_constantIbLb0EES18_IbLb1EEEEDaS14_S15_EUlS14_E_NS1_11comp_targetILNS1_3genE0ELNS1_11target_archE4294967295ELNS1_3gpuE0ELNS1_3repE0EEENS1_30default_config_static_selectorELNS0_4arch9wavefront6targetE1EEEvT1_
    .private_segment_fixed_size: 0
    .sgpr_count:     4
    .sgpr_spill_count: 0
    .symbol:         _ZN7rocprim17ROCPRIM_400000_NS6detail17trampoline_kernelINS0_14default_configENS1_25partition_config_selectorILNS1_17partition_subalgoE0EyNS0_10empty_typeEbEEZZNS1_14partition_implILS5_0ELb0ES3_jN6thrust23THRUST_200600_302600_NS6detail15normal_iteratorINSA_10device_ptrIyEEEEPS6_SG_NS0_5tupleIJSF_NSA_16discard_iteratorINSA_11use_defaultEEEEEENSH_IJSG_SG_EEES6_PlJ7is_evenIyEEEE10hipError_tPvRmT3_T4_T5_T6_T7_T9_mT8_P12ihipStream_tbDpT10_ENKUlT_T0_E_clISt17integral_constantIbLb0EES18_IbLb1EEEEDaS14_S15_EUlS14_E_NS1_11comp_targetILNS1_3genE0ELNS1_11target_archE4294967295ELNS1_3gpuE0ELNS1_3repE0EEENS1_30default_config_static_selectorELNS0_4arch9wavefront6targetE1EEEvT1_.kd
    .uniform_work_group_size: 1
    .uses_dynamic_stack: false
    .vgpr_count:     0
    .vgpr_spill_count: 0
    .wavefront_size: 64
  - .agpr_count:     0
    .args:
      - .offset:         0
        .size:           144
        .value_kind:     by_value
    .group_segment_fixed_size: 0
    .kernarg_segment_align: 8
    .kernarg_segment_size: 144
    .language:       OpenCL C
    .language_version:
      - 2
      - 0
    .max_flat_workgroup_size: 512
    .name:           _ZN7rocprim17ROCPRIM_400000_NS6detail17trampoline_kernelINS0_14default_configENS1_25partition_config_selectorILNS1_17partition_subalgoE0EyNS0_10empty_typeEbEEZZNS1_14partition_implILS5_0ELb0ES3_jN6thrust23THRUST_200600_302600_NS6detail15normal_iteratorINSA_10device_ptrIyEEEEPS6_SG_NS0_5tupleIJSF_NSA_16discard_iteratorINSA_11use_defaultEEEEEENSH_IJSG_SG_EEES6_PlJ7is_evenIyEEEE10hipError_tPvRmT3_T4_T5_T6_T7_T9_mT8_P12ihipStream_tbDpT10_ENKUlT_T0_E_clISt17integral_constantIbLb0EES18_IbLb1EEEEDaS14_S15_EUlS14_E_NS1_11comp_targetILNS1_3genE5ELNS1_11target_archE942ELNS1_3gpuE9ELNS1_3repE0EEENS1_30default_config_static_selectorELNS0_4arch9wavefront6targetE1EEEvT1_
    .private_segment_fixed_size: 0
    .sgpr_count:     4
    .sgpr_spill_count: 0
    .symbol:         _ZN7rocprim17ROCPRIM_400000_NS6detail17trampoline_kernelINS0_14default_configENS1_25partition_config_selectorILNS1_17partition_subalgoE0EyNS0_10empty_typeEbEEZZNS1_14partition_implILS5_0ELb0ES3_jN6thrust23THRUST_200600_302600_NS6detail15normal_iteratorINSA_10device_ptrIyEEEEPS6_SG_NS0_5tupleIJSF_NSA_16discard_iteratorINSA_11use_defaultEEEEEENSH_IJSG_SG_EEES6_PlJ7is_evenIyEEEE10hipError_tPvRmT3_T4_T5_T6_T7_T9_mT8_P12ihipStream_tbDpT10_ENKUlT_T0_E_clISt17integral_constantIbLb0EES18_IbLb1EEEEDaS14_S15_EUlS14_E_NS1_11comp_targetILNS1_3genE5ELNS1_11target_archE942ELNS1_3gpuE9ELNS1_3repE0EEENS1_30default_config_static_selectorELNS0_4arch9wavefront6targetE1EEEvT1_.kd
    .uniform_work_group_size: 1
    .uses_dynamic_stack: false
    .vgpr_count:     0
    .vgpr_spill_count: 0
    .wavefront_size: 64
  - .agpr_count:     0
    .args:
      - .offset:         0
        .size:           144
        .value_kind:     by_value
    .group_segment_fixed_size: 6344
    .kernarg_segment_align: 8
    .kernarg_segment_size: 144
    .language:       OpenCL C
    .language_version:
      - 2
      - 0
    .max_flat_workgroup_size: 192
    .name:           _ZN7rocprim17ROCPRIM_400000_NS6detail17trampoline_kernelINS0_14default_configENS1_25partition_config_selectorILNS1_17partition_subalgoE0EyNS0_10empty_typeEbEEZZNS1_14partition_implILS5_0ELb0ES3_jN6thrust23THRUST_200600_302600_NS6detail15normal_iteratorINSA_10device_ptrIyEEEEPS6_SG_NS0_5tupleIJSF_NSA_16discard_iteratorINSA_11use_defaultEEEEEENSH_IJSG_SG_EEES6_PlJ7is_evenIyEEEE10hipError_tPvRmT3_T4_T5_T6_T7_T9_mT8_P12ihipStream_tbDpT10_ENKUlT_T0_E_clISt17integral_constantIbLb0EES18_IbLb1EEEEDaS14_S15_EUlS14_E_NS1_11comp_targetILNS1_3genE4ELNS1_11target_archE910ELNS1_3gpuE8ELNS1_3repE0EEENS1_30default_config_static_selectorELNS0_4arch9wavefront6targetE1EEEvT1_
    .private_segment_fixed_size: 0
    .sgpr_count:     44
    .sgpr_spill_count: 0
    .symbol:         _ZN7rocprim17ROCPRIM_400000_NS6detail17trampoline_kernelINS0_14default_configENS1_25partition_config_selectorILNS1_17partition_subalgoE0EyNS0_10empty_typeEbEEZZNS1_14partition_implILS5_0ELb0ES3_jN6thrust23THRUST_200600_302600_NS6detail15normal_iteratorINSA_10device_ptrIyEEEEPS6_SG_NS0_5tupleIJSF_NSA_16discard_iteratorINSA_11use_defaultEEEEEENSH_IJSG_SG_EEES6_PlJ7is_evenIyEEEE10hipError_tPvRmT3_T4_T5_T6_T7_T9_mT8_P12ihipStream_tbDpT10_ENKUlT_T0_E_clISt17integral_constantIbLb0EES18_IbLb1EEEEDaS14_S15_EUlS14_E_NS1_11comp_targetILNS1_3genE4ELNS1_11target_archE910ELNS1_3gpuE8ELNS1_3repE0EEENS1_30default_config_static_selectorELNS0_4arch9wavefront6targetE1EEEvT1_.kd
    .uniform_work_group_size: 1
    .uses_dynamic_stack: false
    .vgpr_count:     45
    .vgpr_spill_count: 0
    .wavefront_size: 64
  - .agpr_count:     0
    .args:
      - .offset:         0
        .size:           144
        .value_kind:     by_value
    .group_segment_fixed_size: 0
    .kernarg_segment_align: 8
    .kernarg_segment_size: 144
    .language:       OpenCL C
    .language_version:
      - 2
      - 0
    .max_flat_workgroup_size: 128
    .name:           _ZN7rocprim17ROCPRIM_400000_NS6detail17trampoline_kernelINS0_14default_configENS1_25partition_config_selectorILNS1_17partition_subalgoE0EyNS0_10empty_typeEbEEZZNS1_14partition_implILS5_0ELb0ES3_jN6thrust23THRUST_200600_302600_NS6detail15normal_iteratorINSA_10device_ptrIyEEEEPS6_SG_NS0_5tupleIJSF_NSA_16discard_iteratorINSA_11use_defaultEEEEEENSH_IJSG_SG_EEES6_PlJ7is_evenIyEEEE10hipError_tPvRmT3_T4_T5_T6_T7_T9_mT8_P12ihipStream_tbDpT10_ENKUlT_T0_E_clISt17integral_constantIbLb0EES18_IbLb1EEEEDaS14_S15_EUlS14_E_NS1_11comp_targetILNS1_3genE3ELNS1_11target_archE908ELNS1_3gpuE7ELNS1_3repE0EEENS1_30default_config_static_selectorELNS0_4arch9wavefront6targetE1EEEvT1_
    .private_segment_fixed_size: 0
    .sgpr_count:     4
    .sgpr_spill_count: 0
    .symbol:         _ZN7rocprim17ROCPRIM_400000_NS6detail17trampoline_kernelINS0_14default_configENS1_25partition_config_selectorILNS1_17partition_subalgoE0EyNS0_10empty_typeEbEEZZNS1_14partition_implILS5_0ELb0ES3_jN6thrust23THRUST_200600_302600_NS6detail15normal_iteratorINSA_10device_ptrIyEEEEPS6_SG_NS0_5tupleIJSF_NSA_16discard_iteratorINSA_11use_defaultEEEEEENSH_IJSG_SG_EEES6_PlJ7is_evenIyEEEE10hipError_tPvRmT3_T4_T5_T6_T7_T9_mT8_P12ihipStream_tbDpT10_ENKUlT_T0_E_clISt17integral_constantIbLb0EES18_IbLb1EEEEDaS14_S15_EUlS14_E_NS1_11comp_targetILNS1_3genE3ELNS1_11target_archE908ELNS1_3gpuE7ELNS1_3repE0EEENS1_30default_config_static_selectorELNS0_4arch9wavefront6targetE1EEEvT1_.kd
    .uniform_work_group_size: 1
    .uses_dynamic_stack: false
    .vgpr_count:     0
    .vgpr_spill_count: 0
    .wavefront_size: 64
  - .agpr_count:     0
    .args:
      - .offset:         0
        .size:           144
        .value_kind:     by_value
    .group_segment_fixed_size: 0
    .kernarg_segment_align: 8
    .kernarg_segment_size: 144
    .language:       OpenCL C
    .language_version:
      - 2
      - 0
    .max_flat_workgroup_size: 256
    .name:           _ZN7rocprim17ROCPRIM_400000_NS6detail17trampoline_kernelINS0_14default_configENS1_25partition_config_selectorILNS1_17partition_subalgoE0EyNS0_10empty_typeEbEEZZNS1_14partition_implILS5_0ELb0ES3_jN6thrust23THRUST_200600_302600_NS6detail15normal_iteratorINSA_10device_ptrIyEEEEPS6_SG_NS0_5tupleIJSF_NSA_16discard_iteratorINSA_11use_defaultEEEEEENSH_IJSG_SG_EEES6_PlJ7is_evenIyEEEE10hipError_tPvRmT3_T4_T5_T6_T7_T9_mT8_P12ihipStream_tbDpT10_ENKUlT_T0_E_clISt17integral_constantIbLb0EES18_IbLb1EEEEDaS14_S15_EUlS14_E_NS1_11comp_targetILNS1_3genE2ELNS1_11target_archE906ELNS1_3gpuE6ELNS1_3repE0EEENS1_30default_config_static_selectorELNS0_4arch9wavefront6targetE1EEEvT1_
    .private_segment_fixed_size: 0
    .sgpr_count:     4
    .sgpr_spill_count: 0
    .symbol:         _ZN7rocprim17ROCPRIM_400000_NS6detail17trampoline_kernelINS0_14default_configENS1_25partition_config_selectorILNS1_17partition_subalgoE0EyNS0_10empty_typeEbEEZZNS1_14partition_implILS5_0ELb0ES3_jN6thrust23THRUST_200600_302600_NS6detail15normal_iteratorINSA_10device_ptrIyEEEEPS6_SG_NS0_5tupleIJSF_NSA_16discard_iteratorINSA_11use_defaultEEEEEENSH_IJSG_SG_EEES6_PlJ7is_evenIyEEEE10hipError_tPvRmT3_T4_T5_T6_T7_T9_mT8_P12ihipStream_tbDpT10_ENKUlT_T0_E_clISt17integral_constantIbLb0EES18_IbLb1EEEEDaS14_S15_EUlS14_E_NS1_11comp_targetILNS1_3genE2ELNS1_11target_archE906ELNS1_3gpuE6ELNS1_3repE0EEENS1_30default_config_static_selectorELNS0_4arch9wavefront6targetE1EEEvT1_.kd
    .uniform_work_group_size: 1
    .uses_dynamic_stack: false
    .vgpr_count:     0
    .vgpr_spill_count: 0
    .wavefront_size: 64
  - .agpr_count:     0
    .args:
      - .offset:         0
        .size:           144
        .value_kind:     by_value
    .group_segment_fixed_size: 0
    .kernarg_segment_align: 8
    .kernarg_segment_size: 144
    .language:       OpenCL C
    .language_version:
      - 2
      - 0
    .max_flat_workgroup_size: 512
    .name:           _ZN7rocprim17ROCPRIM_400000_NS6detail17trampoline_kernelINS0_14default_configENS1_25partition_config_selectorILNS1_17partition_subalgoE0EyNS0_10empty_typeEbEEZZNS1_14partition_implILS5_0ELb0ES3_jN6thrust23THRUST_200600_302600_NS6detail15normal_iteratorINSA_10device_ptrIyEEEEPS6_SG_NS0_5tupleIJSF_NSA_16discard_iteratorINSA_11use_defaultEEEEEENSH_IJSG_SG_EEES6_PlJ7is_evenIyEEEE10hipError_tPvRmT3_T4_T5_T6_T7_T9_mT8_P12ihipStream_tbDpT10_ENKUlT_T0_E_clISt17integral_constantIbLb0EES18_IbLb1EEEEDaS14_S15_EUlS14_E_NS1_11comp_targetILNS1_3genE10ELNS1_11target_archE1200ELNS1_3gpuE4ELNS1_3repE0EEENS1_30default_config_static_selectorELNS0_4arch9wavefront6targetE1EEEvT1_
    .private_segment_fixed_size: 0
    .sgpr_count:     4
    .sgpr_spill_count: 0
    .symbol:         _ZN7rocprim17ROCPRIM_400000_NS6detail17trampoline_kernelINS0_14default_configENS1_25partition_config_selectorILNS1_17partition_subalgoE0EyNS0_10empty_typeEbEEZZNS1_14partition_implILS5_0ELb0ES3_jN6thrust23THRUST_200600_302600_NS6detail15normal_iteratorINSA_10device_ptrIyEEEEPS6_SG_NS0_5tupleIJSF_NSA_16discard_iteratorINSA_11use_defaultEEEEEENSH_IJSG_SG_EEES6_PlJ7is_evenIyEEEE10hipError_tPvRmT3_T4_T5_T6_T7_T9_mT8_P12ihipStream_tbDpT10_ENKUlT_T0_E_clISt17integral_constantIbLb0EES18_IbLb1EEEEDaS14_S15_EUlS14_E_NS1_11comp_targetILNS1_3genE10ELNS1_11target_archE1200ELNS1_3gpuE4ELNS1_3repE0EEENS1_30default_config_static_selectorELNS0_4arch9wavefront6targetE1EEEvT1_.kd
    .uniform_work_group_size: 1
    .uses_dynamic_stack: false
    .vgpr_count:     0
    .vgpr_spill_count: 0
    .wavefront_size: 64
  - .agpr_count:     0
    .args:
      - .offset:         0
        .size:           144
        .value_kind:     by_value
    .group_segment_fixed_size: 0
    .kernarg_segment_align: 8
    .kernarg_segment_size: 144
    .language:       OpenCL C
    .language_version:
      - 2
      - 0
    .max_flat_workgroup_size: 512
    .name:           _ZN7rocprim17ROCPRIM_400000_NS6detail17trampoline_kernelINS0_14default_configENS1_25partition_config_selectorILNS1_17partition_subalgoE0EyNS0_10empty_typeEbEEZZNS1_14partition_implILS5_0ELb0ES3_jN6thrust23THRUST_200600_302600_NS6detail15normal_iteratorINSA_10device_ptrIyEEEEPS6_SG_NS0_5tupleIJSF_NSA_16discard_iteratorINSA_11use_defaultEEEEEENSH_IJSG_SG_EEES6_PlJ7is_evenIyEEEE10hipError_tPvRmT3_T4_T5_T6_T7_T9_mT8_P12ihipStream_tbDpT10_ENKUlT_T0_E_clISt17integral_constantIbLb0EES18_IbLb1EEEEDaS14_S15_EUlS14_E_NS1_11comp_targetILNS1_3genE9ELNS1_11target_archE1100ELNS1_3gpuE3ELNS1_3repE0EEENS1_30default_config_static_selectorELNS0_4arch9wavefront6targetE1EEEvT1_
    .private_segment_fixed_size: 0
    .sgpr_count:     4
    .sgpr_spill_count: 0
    .symbol:         _ZN7rocprim17ROCPRIM_400000_NS6detail17trampoline_kernelINS0_14default_configENS1_25partition_config_selectorILNS1_17partition_subalgoE0EyNS0_10empty_typeEbEEZZNS1_14partition_implILS5_0ELb0ES3_jN6thrust23THRUST_200600_302600_NS6detail15normal_iteratorINSA_10device_ptrIyEEEEPS6_SG_NS0_5tupleIJSF_NSA_16discard_iteratorINSA_11use_defaultEEEEEENSH_IJSG_SG_EEES6_PlJ7is_evenIyEEEE10hipError_tPvRmT3_T4_T5_T6_T7_T9_mT8_P12ihipStream_tbDpT10_ENKUlT_T0_E_clISt17integral_constantIbLb0EES18_IbLb1EEEEDaS14_S15_EUlS14_E_NS1_11comp_targetILNS1_3genE9ELNS1_11target_archE1100ELNS1_3gpuE3ELNS1_3repE0EEENS1_30default_config_static_selectorELNS0_4arch9wavefront6targetE1EEEvT1_.kd
    .uniform_work_group_size: 1
    .uses_dynamic_stack: false
    .vgpr_count:     0
    .vgpr_spill_count: 0
    .wavefront_size: 64
  - .agpr_count:     0
    .args:
      - .offset:         0
        .size:           144
        .value_kind:     by_value
    .group_segment_fixed_size: 0
    .kernarg_segment_align: 8
    .kernarg_segment_size: 144
    .language:       OpenCL C
    .language_version:
      - 2
      - 0
    .max_flat_workgroup_size: 512
    .name:           _ZN7rocprim17ROCPRIM_400000_NS6detail17trampoline_kernelINS0_14default_configENS1_25partition_config_selectorILNS1_17partition_subalgoE0EyNS0_10empty_typeEbEEZZNS1_14partition_implILS5_0ELb0ES3_jN6thrust23THRUST_200600_302600_NS6detail15normal_iteratorINSA_10device_ptrIyEEEEPS6_SG_NS0_5tupleIJSF_NSA_16discard_iteratorINSA_11use_defaultEEEEEENSH_IJSG_SG_EEES6_PlJ7is_evenIyEEEE10hipError_tPvRmT3_T4_T5_T6_T7_T9_mT8_P12ihipStream_tbDpT10_ENKUlT_T0_E_clISt17integral_constantIbLb0EES18_IbLb1EEEEDaS14_S15_EUlS14_E_NS1_11comp_targetILNS1_3genE8ELNS1_11target_archE1030ELNS1_3gpuE2ELNS1_3repE0EEENS1_30default_config_static_selectorELNS0_4arch9wavefront6targetE1EEEvT1_
    .private_segment_fixed_size: 0
    .sgpr_count:     4
    .sgpr_spill_count: 0
    .symbol:         _ZN7rocprim17ROCPRIM_400000_NS6detail17trampoline_kernelINS0_14default_configENS1_25partition_config_selectorILNS1_17partition_subalgoE0EyNS0_10empty_typeEbEEZZNS1_14partition_implILS5_0ELb0ES3_jN6thrust23THRUST_200600_302600_NS6detail15normal_iteratorINSA_10device_ptrIyEEEEPS6_SG_NS0_5tupleIJSF_NSA_16discard_iteratorINSA_11use_defaultEEEEEENSH_IJSG_SG_EEES6_PlJ7is_evenIyEEEE10hipError_tPvRmT3_T4_T5_T6_T7_T9_mT8_P12ihipStream_tbDpT10_ENKUlT_T0_E_clISt17integral_constantIbLb0EES18_IbLb1EEEEDaS14_S15_EUlS14_E_NS1_11comp_targetILNS1_3genE8ELNS1_11target_archE1030ELNS1_3gpuE2ELNS1_3repE0EEENS1_30default_config_static_selectorELNS0_4arch9wavefront6targetE1EEEvT1_.kd
    .uniform_work_group_size: 1
    .uses_dynamic_stack: false
    .vgpr_count:     0
    .vgpr_spill_count: 0
    .wavefront_size: 64
  - .agpr_count:     0
    .args:
      - .offset:         0
        .size:           128
        .value_kind:     by_value
    .group_segment_fixed_size: 0
    .kernarg_segment_align: 8
    .kernarg_segment_size: 128
    .language:       OpenCL C
    .language_version:
      - 2
      - 0
    .max_flat_workgroup_size: 128
    .name:           _ZN7rocprim17ROCPRIM_400000_NS6detail17trampoline_kernelINS0_14default_configENS1_25partition_config_selectorILNS1_17partition_subalgoE0EyNS0_10empty_typeEbEEZZNS1_14partition_implILS5_0ELb0ES3_jN6thrust23THRUST_200600_302600_NS6detail15normal_iteratorINSA_10device_ptrIyEEEEPS6_SG_NS0_5tupleIJNSA_16discard_iteratorINSA_11use_defaultEEESF_EEENSH_IJSG_SG_EEES6_PlJ7is_evenIyEEEE10hipError_tPvRmT3_T4_T5_T6_T7_T9_mT8_P12ihipStream_tbDpT10_ENKUlT_T0_E_clISt17integral_constantIbLb0EES19_EEDaS14_S15_EUlS14_E_NS1_11comp_targetILNS1_3genE0ELNS1_11target_archE4294967295ELNS1_3gpuE0ELNS1_3repE0EEENS1_30default_config_static_selectorELNS0_4arch9wavefront6targetE1EEEvT1_
    .private_segment_fixed_size: 0
    .sgpr_count:     4
    .sgpr_spill_count: 0
    .symbol:         _ZN7rocprim17ROCPRIM_400000_NS6detail17trampoline_kernelINS0_14default_configENS1_25partition_config_selectorILNS1_17partition_subalgoE0EyNS0_10empty_typeEbEEZZNS1_14partition_implILS5_0ELb0ES3_jN6thrust23THRUST_200600_302600_NS6detail15normal_iteratorINSA_10device_ptrIyEEEEPS6_SG_NS0_5tupleIJNSA_16discard_iteratorINSA_11use_defaultEEESF_EEENSH_IJSG_SG_EEES6_PlJ7is_evenIyEEEE10hipError_tPvRmT3_T4_T5_T6_T7_T9_mT8_P12ihipStream_tbDpT10_ENKUlT_T0_E_clISt17integral_constantIbLb0EES19_EEDaS14_S15_EUlS14_E_NS1_11comp_targetILNS1_3genE0ELNS1_11target_archE4294967295ELNS1_3gpuE0ELNS1_3repE0EEENS1_30default_config_static_selectorELNS0_4arch9wavefront6targetE1EEEvT1_.kd
    .uniform_work_group_size: 1
    .uses_dynamic_stack: false
    .vgpr_count:     0
    .vgpr_spill_count: 0
    .wavefront_size: 64
  - .agpr_count:     0
    .args:
      - .offset:         0
        .size:           128
        .value_kind:     by_value
    .group_segment_fixed_size: 0
    .kernarg_segment_align: 8
    .kernarg_segment_size: 128
    .language:       OpenCL C
    .language_version:
      - 2
      - 0
    .max_flat_workgroup_size: 512
    .name:           _ZN7rocprim17ROCPRIM_400000_NS6detail17trampoline_kernelINS0_14default_configENS1_25partition_config_selectorILNS1_17partition_subalgoE0EyNS0_10empty_typeEbEEZZNS1_14partition_implILS5_0ELb0ES3_jN6thrust23THRUST_200600_302600_NS6detail15normal_iteratorINSA_10device_ptrIyEEEEPS6_SG_NS0_5tupleIJNSA_16discard_iteratorINSA_11use_defaultEEESF_EEENSH_IJSG_SG_EEES6_PlJ7is_evenIyEEEE10hipError_tPvRmT3_T4_T5_T6_T7_T9_mT8_P12ihipStream_tbDpT10_ENKUlT_T0_E_clISt17integral_constantIbLb0EES19_EEDaS14_S15_EUlS14_E_NS1_11comp_targetILNS1_3genE5ELNS1_11target_archE942ELNS1_3gpuE9ELNS1_3repE0EEENS1_30default_config_static_selectorELNS0_4arch9wavefront6targetE1EEEvT1_
    .private_segment_fixed_size: 0
    .sgpr_count:     4
    .sgpr_spill_count: 0
    .symbol:         _ZN7rocprim17ROCPRIM_400000_NS6detail17trampoline_kernelINS0_14default_configENS1_25partition_config_selectorILNS1_17partition_subalgoE0EyNS0_10empty_typeEbEEZZNS1_14partition_implILS5_0ELb0ES3_jN6thrust23THRUST_200600_302600_NS6detail15normal_iteratorINSA_10device_ptrIyEEEEPS6_SG_NS0_5tupleIJNSA_16discard_iteratorINSA_11use_defaultEEESF_EEENSH_IJSG_SG_EEES6_PlJ7is_evenIyEEEE10hipError_tPvRmT3_T4_T5_T6_T7_T9_mT8_P12ihipStream_tbDpT10_ENKUlT_T0_E_clISt17integral_constantIbLb0EES19_EEDaS14_S15_EUlS14_E_NS1_11comp_targetILNS1_3genE5ELNS1_11target_archE942ELNS1_3gpuE9ELNS1_3repE0EEENS1_30default_config_static_selectorELNS0_4arch9wavefront6targetE1EEEvT1_.kd
    .uniform_work_group_size: 1
    .uses_dynamic_stack: false
    .vgpr_count:     0
    .vgpr_spill_count: 0
    .wavefront_size: 64
  - .agpr_count:     0
    .args:
      - .offset:         0
        .size:           128
        .value_kind:     by_value
    .group_segment_fixed_size: 6344
    .kernarg_segment_align: 8
    .kernarg_segment_size: 128
    .language:       OpenCL C
    .language_version:
      - 2
      - 0
    .max_flat_workgroup_size: 192
    .name:           _ZN7rocprim17ROCPRIM_400000_NS6detail17trampoline_kernelINS0_14default_configENS1_25partition_config_selectorILNS1_17partition_subalgoE0EyNS0_10empty_typeEbEEZZNS1_14partition_implILS5_0ELb0ES3_jN6thrust23THRUST_200600_302600_NS6detail15normal_iteratorINSA_10device_ptrIyEEEEPS6_SG_NS0_5tupleIJNSA_16discard_iteratorINSA_11use_defaultEEESF_EEENSH_IJSG_SG_EEES6_PlJ7is_evenIyEEEE10hipError_tPvRmT3_T4_T5_T6_T7_T9_mT8_P12ihipStream_tbDpT10_ENKUlT_T0_E_clISt17integral_constantIbLb0EES19_EEDaS14_S15_EUlS14_E_NS1_11comp_targetILNS1_3genE4ELNS1_11target_archE910ELNS1_3gpuE8ELNS1_3repE0EEENS1_30default_config_static_selectorELNS0_4arch9wavefront6targetE1EEEvT1_
    .private_segment_fixed_size: 0
    .sgpr_count:     48
    .sgpr_spill_count: 0
    .symbol:         _ZN7rocprim17ROCPRIM_400000_NS6detail17trampoline_kernelINS0_14default_configENS1_25partition_config_selectorILNS1_17partition_subalgoE0EyNS0_10empty_typeEbEEZZNS1_14partition_implILS5_0ELb0ES3_jN6thrust23THRUST_200600_302600_NS6detail15normal_iteratorINSA_10device_ptrIyEEEEPS6_SG_NS0_5tupleIJNSA_16discard_iteratorINSA_11use_defaultEEESF_EEENSH_IJSG_SG_EEES6_PlJ7is_evenIyEEEE10hipError_tPvRmT3_T4_T5_T6_T7_T9_mT8_P12ihipStream_tbDpT10_ENKUlT_T0_E_clISt17integral_constantIbLb0EES19_EEDaS14_S15_EUlS14_E_NS1_11comp_targetILNS1_3genE4ELNS1_11target_archE910ELNS1_3gpuE8ELNS1_3repE0EEENS1_30default_config_static_selectorELNS0_4arch9wavefront6targetE1EEEvT1_.kd
    .uniform_work_group_size: 1
    .uses_dynamic_stack: false
    .vgpr_count:     43
    .vgpr_spill_count: 0
    .wavefront_size: 64
  - .agpr_count:     0
    .args:
      - .offset:         0
        .size:           128
        .value_kind:     by_value
    .group_segment_fixed_size: 0
    .kernarg_segment_align: 8
    .kernarg_segment_size: 128
    .language:       OpenCL C
    .language_version:
      - 2
      - 0
    .max_flat_workgroup_size: 128
    .name:           _ZN7rocprim17ROCPRIM_400000_NS6detail17trampoline_kernelINS0_14default_configENS1_25partition_config_selectorILNS1_17partition_subalgoE0EyNS0_10empty_typeEbEEZZNS1_14partition_implILS5_0ELb0ES3_jN6thrust23THRUST_200600_302600_NS6detail15normal_iteratorINSA_10device_ptrIyEEEEPS6_SG_NS0_5tupleIJNSA_16discard_iteratorINSA_11use_defaultEEESF_EEENSH_IJSG_SG_EEES6_PlJ7is_evenIyEEEE10hipError_tPvRmT3_T4_T5_T6_T7_T9_mT8_P12ihipStream_tbDpT10_ENKUlT_T0_E_clISt17integral_constantIbLb0EES19_EEDaS14_S15_EUlS14_E_NS1_11comp_targetILNS1_3genE3ELNS1_11target_archE908ELNS1_3gpuE7ELNS1_3repE0EEENS1_30default_config_static_selectorELNS0_4arch9wavefront6targetE1EEEvT1_
    .private_segment_fixed_size: 0
    .sgpr_count:     4
    .sgpr_spill_count: 0
    .symbol:         _ZN7rocprim17ROCPRIM_400000_NS6detail17trampoline_kernelINS0_14default_configENS1_25partition_config_selectorILNS1_17partition_subalgoE0EyNS0_10empty_typeEbEEZZNS1_14partition_implILS5_0ELb0ES3_jN6thrust23THRUST_200600_302600_NS6detail15normal_iteratorINSA_10device_ptrIyEEEEPS6_SG_NS0_5tupleIJNSA_16discard_iteratorINSA_11use_defaultEEESF_EEENSH_IJSG_SG_EEES6_PlJ7is_evenIyEEEE10hipError_tPvRmT3_T4_T5_T6_T7_T9_mT8_P12ihipStream_tbDpT10_ENKUlT_T0_E_clISt17integral_constantIbLb0EES19_EEDaS14_S15_EUlS14_E_NS1_11comp_targetILNS1_3genE3ELNS1_11target_archE908ELNS1_3gpuE7ELNS1_3repE0EEENS1_30default_config_static_selectorELNS0_4arch9wavefront6targetE1EEEvT1_.kd
    .uniform_work_group_size: 1
    .uses_dynamic_stack: false
    .vgpr_count:     0
    .vgpr_spill_count: 0
    .wavefront_size: 64
  - .agpr_count:     0
    .args:
      - .offset:         0
        .size:           128
        .value_kind:     by_value
    .group_segment_fixed_size: 0
    .kernarg_segment_align: 8
    .kernarg_segment_size: 128
    .language:       OpenCL C
    .language_version:
      - 2
      - 0
    .max_flat_workgroup_size: 256
    .name:           _ZN7rocprim17ROCPRIM_400000_NS6detail17trampoline_kernelINS0_14default_configENS1_25partition_config_selectorILNS1_17partition_subalgoE0EyNS0_10empty_typeEbEEZZNS1_14partition_implILS5_0ELb0ES3_jN6thrust23THRUST_200600_302600_NS6detail15normal_iteratorINSA_10device_ptrIyEEEEPS6_SG_NS0_5tupleIJNSA_16discard_iteratorINSA_11use_defaultEEESF_EEENSH_IJSG_SG_EEES6_PlJ7is_evenIyEEEE10hipError_tPvRmT3_T4_T5_T6_T7_T9_mT8_P12ihipStream_tbDpT10_ENKUlT_T0_E_clISt17integral_constantIbLb0EES19_EEDaS14_S15_EUlS14_E_NS1_11comp_targetILNS1_3genE2ELNS1_11target_archE906ELNS1_3gpuE6ELNS1_3repE0EEENS1_30default_config_static_selectorELNS0_4arch9wavefront6targetE1EEEvT1_
    .private_segment_fixed_size: 0
    .sgpr_count:     4
    .sgpr_spill_count: 0
    .symbol:         _ZN7rocprim17ROCPRIM_400000_NS6detail17trampoline_kernelINS0_14default_configENS1_25partition_config_selectorILNS1_17partition_subalgoE0EyNS0_10empty_typeEbEEZZNS1_14partition_implILS5_0ELb0ES3_jN6thrust23THRUST_200600_302600_NS6detail15normal_iteratorINSA_10device_ptrIyEEEEPS6_SG_NS0_5tupleIJNSA_16discard_iteratorINSA_11use_defaultEEESF_EEENSH_IJSG_SG_EEES6_PlJ7is_evenIyEEEE10hipError_tPvRmT3_T4_T5_T6_T7_T9_mT8_P12ihipStream_tbDpT10_ENKUlT_T0_E_clISt17integral_constantIbLb0EES19_EEDaS14_S15_EUlS14_E_NS1_11comp_targetILNS1_3genE2ELNS1_11target_archE906ELNS1_3gpuE6ELNS1_3repE0EEENS1_30default_config_static_selectorELNS0_4arch9wavefront6targetE1EEEvT1_.kd
    .uniform_work_group_size: 1
    .uses_dynamic_stack: false
    .vgpr_count:     0
    .vgpr_spill_count: 0
    .wavefront_size: 64
  - .agpr_count:     0
    .args:
      - .offset:         0
        .size:           128
        .value_kind:     by_value
    .group_segment_fixed_size: 0
    .kernarg_segment_align: 8
    .kernarg_segment_size: 128
    .language:       OpenCL C
    .language_version:
      - 2
      - 0
    .max_flat_workgroup_size: 512
    .name:           _ZN7rocprim17ROCPRIM_400000_NS6detail17trampoline_kernelINS0_14default_configENS1_25partition_config_selectorILNS1_17partition_subalgoE0EyNS0_10empty_typeEbEEZZNS1_14partition_implILS5_0ELb0ES3_jN6thrust23THRUST_200600_302600_NS6detail15normal_iteratorINSA_10device_ptrIyEEEEPS6_SG_NS0_5tupleIJNSA_16discard_iteratorINSA_11use_defaultEEESF_EEENSH_IJSG_SG_EEES6_PlJ7is_evenIyEEEE10hipError_tPvRmT3_T4_T5_T6_T7_T9_mT8_P12ihipStream_tbDpT10_ENKUlT_T0_E_clISt17integral_constantIbLb0EES19_EEDaS14_S15_EUlS14_E_NS1_11comp_targetILNS1_3genE10ELNS1_11target_archE1200ELNS1_3gpuE4ELNS1_3repE0EEENS1_30default_config_static_selectorELNS0_4arch9wavefront6targetE1EEEvT1_
    .private_segment_fixed_size: 0
    .sgpr_count:     4
    .sgpr_spill_count: 0
    .symbol:         _ZN7rocprim17ROCPRIM_400000_NS6detail17trampoline_kernelINS0_14default_configENS1_25partition_config_selectorILNS1_17partition_subalgoE0EyNS0_10empty_typeEbEEZZNS1_14partition_implILS5_0ELb0ES3_jN6thrust23THRUST_200600_302600_NS6detail15normal_iteratorINSA_10device_ptrIyEEEEPS6_SG_NS0_5tupleIJNSA_16discard_iteratorINSA_11use_defaultEEESF_EEENSH_IJSG_SG_EEES6_PlJ7is_evenIyEEEE10hipError_tPvRmT3_T4_T5_T6_T7_T9_mT8_P12ihipStream_tbDpT10_ENKUlT_T0_E_clISt17integral_constantIbLb0EES19_EEDaS14_S15_EUlS14_E_NS1_11comp_targetILNS1_3genE10ELNS1_11target_archE1200ELNS1_3gpuE4ELNS1_3repE0EEENS1_30default_config_static_selectorELNS0_4arch9wavefront6targetE1EEEvT1_.kd
    .uniform_work_group_size: 1
    .uses_dynamic_stack: false
    .vgpr_count:     0
    .vgpr_spill_count: 0
    .wavefront_size: 64
  - .agpr_count:     0
    .args:
      - .offset:         0
        .size:           128
        .value_kind:     by_value
    .group_segment_fixed_size: 0
    .kernarg_segment_align: 8
    .kernarg_segment_size: 128
    .language:       OpenCL C
    .language_version:
      - 2
      - 0
    .max_flat_workgroup_size: 512
    .name:           _ZN7rocprim17ROCPRIM_400000_NS6detail17trampoline_kernelINS0_14default_configENS1_25partition_config_selectorILNS1_17partition_subalgoE0EyNS0_10empty_typeEbEEZZNS1_14partition_implILS5_0ELb0ES3_jN6thrust23THRUST_200600_302600_NS6detail15normal_iteratorINSA_10device_ptrIyEEEEPS6_SG_NS0_5tupleIJNSA_16discard_iteratorINSA_11use_defaultEEESF_EEENSH_IJSG_SG_EEES6_PlJ7is_evenIyEEEE10hipError_tPvRmT3_T4_T5_T6_T7_T9_mT8_P12ihipStream_tbDpT10_ENKUlT_T0_E_clISt17integral_constantIbLb0EES19_EEDaS14_S15_EUlS14_E_NS1_11comp_targetILNS1_3genE9ELNS1_11target_archE1100ELNS1_3gpuE3ELNS1_3repE0EEENS1_30default_config_static_selectorELNS0_4arch9wavefront6targetE1EEEvT1_
    .private_segment_fixed_size: 0
    .sgpr_count:     4
    .sgpr_spill_count: 0
    .symbol:         _ZN7rocprim17ROCPRIM_400000_NS6detail17trampoline_kernelINS0_14default_configENS1_25partition_config_selectorILNS1_17partition_subalgoE0EyNS0_10empty_typeEbEEZZNS1_14partition_implILS5_0ELb0ES3_jN6thrust23THRUST_200600_302600_NS6detail15normal_iteratorINSA_10device_ptrIyEEEEPS6_SG_NS0_5tupleIJNSA_16discard_iteratorINSA_11use_defaultEEESF_EEENSH_IJSG_SG_EEES6_PlJ7is_evenIyEEEE10hipError_tPvRmT3_T4_T5_T6_T7_T9_mT8_P12ihipStream_tbDpT10_ENKUlT_T0_E_clISt17integral_constantIbLb0EES19_EEDaS14_S15_EUlS14_E_NS1_11comp_targetILNS1_3genE9ELNS1_11target_archE1100ELNS1_3gpuE3ELNS1_3repE0EEENS1_30default_config_static_selectorELNS0_4arch9wavefront6targetE1EEEvT1_.kd
    .uniform_work_group_size: 1
    .uses_dynamic_stack: false
    .vgpr_count:     0
    .vgpr_spill_count: 0
    .wavefront_size: 64
  - .agpr_count:     0
    .args:
      - .offset:         0
        .size:           128
        .value_kind:     by_value
    .group_segment_fixed_size: 0
    .kernarg_segment_align: 8
    .kernarg_segment_size: 128
    .language:       OpenCL C
    .language_version:
      - 2
      - 0
    .max_flat_workgroup_size: 512
    .name:           _ZN7rocprim17ROCPRIM_400000_NS6detail17trampoline_kernelINS0_14default_configENS1_25partition_config_selectorILNS1_17partition_subalgoE0EyNS0_10empty_typeEbEEZZNS1_14partition_implILS5_0ELb0ES3_jN6thrust23THRUST_200600_302600_NS6detail15normal_iteratorINSA_10device_ptrIyEEEEPS6_SG_NS0_5tupleIJNSA_16discard_iteratorINSA_11use_defaultEEESF_EEENSH_IJSG_SG_EEES6_PlJ7is_evenIyEEEE10hipError_tPvRmT3_T4_T5_T6_T7_T9_mT8_P12ihipStream_tbDpT10_ENKUlT_T0_E_clISt17integral_constantIbLb0EES19_EEDaS14_S15_EUlS14_E_NS1_11comp_targetILNS1_3genE8ELNS1_11target_archE1030ELNS1_3gpuE2ELNS1_3repE0EEENS1_30default_config_static_selectorELNS0_4arch9wavefront6targetE1EEEvT1_
    .private_segment_fixed_size: 0
    .sgpr_count:     4
    .sgpr_spill_count: 0
    .symbol:         _ZN7rocprim17ROCPRIM_400000_NS6detail17trampoline_kernelINS0_14default_configENS1_25partition_config_selectorILNS1_17partition_subalgoE0EyNS0_10empty_typeEbEEZZNS1_14partition_implILS5_0ELb0ES3_jN6thrust23THRUST_200600_302600_NS6detail15normal_iteratorINSA_10device_ptrIyEEEEPS6_SG_NS0_5tupleIJNSA_16discard_iteratorINSA_11use_defaultEEESF_EEENSH_IJSG_SG_EEES6_PlJ7is_evenIyEEEE10hipError_tPvRmT3_T4_T5_T6_T7_T9_mT8_P12ihipStream_tbDpT10_ENKUlT_T0_E_clISt17integral_constantIbLb0EES19_EEDaS14_S15_EUlS14_E_NS1_11comp_targetILNS1_3genE8ELNS1_11target_archE1030ELNS1_3gpuE2ELNS1_3repE0EEENS1_30default_config_static_selectorELNS0_4arch9wavefront6targetE1EEEvT1_.kd
    .uniform_work_group_size: 1
    .uses_dynamic_stack: false
    .vgpr_count:     0
    .vgpr_spill_count: 0
    .wavefront_size: 64
  - .agpr_count:     0
    .args:
      - .offset:         0
        .size:           144
        .value_kind:     by_value
    .group_segment_fixed_size: 0
    .kernarg_segment_align: 8
    .kernarg_segment_size: 144
    .language:       OpenCL C
    .language_version:
      - 2
      - 0
    .max_flat_workgroup_size: 128
    .name:           _ZN7rocprim17ROCPRIM_400000_NS6detail17trampoline_kernelINS0_14default_configENS1_25partition_config_selectorILNS1_17partition_subalgoE0EyNS0_10empty_typeEbEEZZNS1_14partition_implILS5_0ELb0ES3_jN6thrust23THRUST_200600_302600_NS6detail15normal_iteratorINSA_10device_ptrIyEEEEPS6_SG_NS0_5tupleIJNSA_16discard_iteratorINSA_11use_defaultEEESF_EEENSH_IJSG_SG_EEES6_PlJ7is_evenIyEEEE10hipError_tPvRmT3_T4_T5_T6_T7_T9_mT8_P12ihipStream_tbDpT10_ENKUlT_T0_E_clISt17integral_constantIbLb1EES19_EEDaS14_S15_EUlS14_E_NS1_11comp_targetILNS1_3genE0ELNS1_11target_archE4294967295ELNS1_3gpuE0ELNS1_3repE0EEENS1_30default_config_static_selectorELNS0_4arch9wavefront6targetE1EEEvT1_
    .private_segment_fixed_size: 0
    .sgpr_count:     4
    .sgpr_spill_count: 0
    .symbol:         _ZN7rocprim17ROCPRIM_400000_NS6detail17trampoline_kernelINS0_14default_configENS1_25partition_config_selectorILNS1_17partition_subalgoE0EyNS0_10empty_typeEbEEZZNS1_14partition_implILS5_0ELb0ES3_jN6thrust23THRUST_200600_302600_NS6detail15normal_iteratorINSA_10device_ptrIyEEEEPS6_SG_NS0_5tupleIJNSA_16discard_iteratorINSA_11use_defaultEEESF_EEENSH_IJSG_SG_EEES6_PlJ7is_evenIyEEEE10hipError_tPvRmT3_T4_T5_T6_T7_T9_mT8_P12ihipStream_tbDpT10_ENKUlT_T0_E_clISt17integral_constantIbLb1EES19_EEDaS14_S15_EUlS14_E_NS1_11comp_targetILNS1_3genE0ELNS1_11target_archE4294967295ELNS1_3gpuE0ELNS1_3repE0EEENS1_30default_config_static_selectorELNS0_4arch9wavefront6targetE1EEEvT1_.kd
    .uniform_work_group_size: 1
    .uses_dynamic_stack: false
    .vgpr_count:     0
    .vgpr_spill_count: 0
    .wavefront_size: 64
  - .agpr_count:     0
    .args:
      - .offset:         0
        .size:           144
        .value_kind:     by_value
    .group_segment_fixed_size: 0
    .kernarg_segment_align: 8
    .kernarg_segment_size: 144
    .language:       OpenCL C
    .language_version:
      - 2
      - 0
    .max_flat_workgroup_size: 512
    .name:           _ZN7rocprim17ROCPRIM_400000_NS6detail17trampoline_kernelINS0_14default_configENS1_25partition_config_selectorILNS1_17partition_subalgoE0EyNS0_10empty_typeEbEEZZNS1_14partition_implILS5_0ELb0ES3_jN6thrust23THRUST_200600_302600_NS6detail15normal_iteratorINSA_10device_ptrIyEEEEPS6_SG_NS0_5tupleIJNSA_16discard_iteratorINSA_11use_defaultEEESF_EEENSH_IJSG_SG_EEES6_PlJ7is_evenIyEEEE10hipError_tPvRmT3_T4_T5_T6_T7_T9_mT8_P12ihipStream_tbDpT10_ENKUlT_T0_E_clISt17integral_constantIbLb1EES19_EEDaS14_S15_EUlS14_E_NS1_11comp_targetILNS1_3genE5ELNS1_11target_archE942ELNS1_3gpuE9ELNS1_3repE0EEENS1_30default_config_static_selectorELNS0_4arch9wavefront6targetE1EEEvT1_
    .private_segment_fixed_size: 0
    .sgpr_count:     4
    .sgpr_spill_count: 0
    .symbol:         _ZN7rocprim17ROCPRIM_400000_NS6detail17trampoline_kernelINS0_14default_configENS1_25partition_config_selectorILNS1_17partition_subalgoE0EyNS0_10empty_typeEbEEZZNS1_14partition_implILS5_0ELb0ES3_jN6thrust23THRUST_200600_302600_NS6detail15normal_iteratorINSA_10device_ptrIyEEEEPS6_SG_NS0_5tupleIJNSA_16discard_iteratorINSA_11use_defaultEEESF_EEENSH_IJSG_SG_EEES6_PlJ7is_evenIyEEEE10hipError_tPvRmT3_T4_T5_T6_T7_T9_mT8_P12ihipStream_tbDpT10_ENKUlT_T0_E_clISt17integral_constantIbLb1EES19_EEDaS14_S15_EUlS14_E_NS1_11comp_targetILNS1_3genE5ELNS1_11target_archE942ELNS1_3gpuE9ELNS1_3repE0EEENS1_30default_config_static_selectorELNS0_4arch9wavefront6targetE1EEEvT1_.kd
    .uniform_work_group_size: 1
    .uses_dynamic_stack: false
    .vgpr_count:     0
    .vgpr_spill_count: 0
    .wavefront_size: 64
  - .agpr_count:     0
    .args:
      - .offset:         0
        .size:           144
        .value_kind:     by_value
    .group_segment_fixed_size: 6344
    .kernarg_segment_align: 8
    .kernarg_segment_size: 144
    .language:       OpenCL C
    .language_version:
      - 2
      - 0
    .max_flat_workgroup_size: 192
    .name:           _ZN7rocprim17ROCPRIM_400000_NS6detail17trampoline_kernelINS0_14default_configENS1_25partition_config_selectorILNS1_17partition_subalgoE0EyNS0_10empty_typeEbEEZZNS1_14partition_implILS5_0ELb0ES3_jN6thrust23THRUST_200600_302600_NS6detail15normal_iteratorINSA_10device_ptrIyEEEEPS6_SG_NS0_5tupleIJNSA_16discard_iteratorINSA_11use_defaultEEESF_EEENSH_IJSG_SG_EEES6_PlJ7is_evenIyEEEE10hipError_tPvRmT3_T4_T5_T6_T7_T9_mT8_P12ihipStream_tbDpT10_ENKUlT_T0_E_clISt17integral_constantIbLb1EES19_EEDaS14_S15_EUlS14_E_NS1_11comp_targetILNS1_3genE4ELNS1_11target_archE910ELNS1_3gpuE8ELNS1_3repE0EEENS1_30default_config_static_selectorELNS0_4arch9wavefront6targetE1EEEvT1_
    .private_segment_fixed_size: 0
    .sgpr_count:     46
    .sgpr_spill_count: 0
    .symbol:         _ZN7rocprim17ROCPRIM_400000_NS6detail17trampoline_kernelINS0_14default_configENS1_25partition_config_selectorILNS1_17partition_subalgoE0EyNS0_10empty_typeEbEEZZNS1_14partition_implILS5_0ELb0ES3_jN6thrust23THRUST_200600_302600_NS6detail15normal_iteratorINSA_10device_ptrIyEEEEPS6_SG_NS0_5tupleIJNSA_16discard_iteratorINSA_11use_defaultEEESF_EEENSH_IJSG_SG_EEES6_PlJ7is_evenIyEEEE10hipError_tPvRmT3_T4_T5_T6_T7_T9_mT8_P12ihipStream_tbDpT10_ENKUlT_T0_E_clISt17integral_constantIbLb1EES19_EEDaS14_S15_EUlS14_E_NS1_11comp_targetILNS1_3genE4ELNS1_11target_archE910ELNS1_3gpuE8ELNS1_3repE0EEENS1_30default_config_static_selectorELNS0_4arch9wavefront6targetE1EEEvT1_.kd
    .uniform_work_group_size: 1
    .uses_dynamic_stack: false
    .vgpr_count:     47
    .vgpr_spill_count: 0
    .wavefront_size: 64
  - .agpr_count:     0
    .args:
      - .offset:         0
        .size:           144
        .value_kind:     by_value
    .group_segment_fixed_size: 0
    .kernarg_segment_align: 8
    .kernarg_segment_size: 144
    .language:       OpenCL C
    .language_version:
      - 2
      - 0
    .max_flat_workgroup_size: 128
    .name:           _ZN7rocprim17ROCPRIM_400000_NS6detail17trampoline_kernelINS0_14default_configENS1_25partition_config_selectorILNS1_17partition_subalgoE0EyNS0_10empty_typeEbEEZZNS1_14partition_implILS5_0ELb0ES3_jN6thrust23THRUST_200600_302600_NS6detail15normal_iteratorINSA_10device_ptrIyEEEEPS6_SG_NS0_5tupleIJNSA_16discard_iteratorINSA_11use_defaultEEESF_EEENSH_IJSG_SG_EEES6_PlJ7is_evenIyEEEE10hipError_tPvRmT3_T4_T5_T6_T7_T9_mT8_P12ihipStream_tbDpT10_ENKUlT_T0_E_clISt17integral_constantIbLb1EES19_EEDaS14_S15_EUlS14_E_NS1_11comp_targetILNS1_3genE3ELNS1_11target_archE908ELNS1_3gpuE7ELNS1_3repE0EEENS1_30default_config_static_selectorELNS0_4arch9wavefront6targetE1EEEvT1_
    .private_segment_fixed_size: 0
    .sgpr_count:     4
    .sgpr_spill_count: 0
    .symbol:         _ZN7rocprim17ROCPRIM_400000_NS6detail17trampoline_kernelINS0_14default_configENS1_25partition_config_selectorILNS1_17partition_subalgoE0EyNS0_10empty_typeEbEEZZNS1_14partition_implILS5_0ELb0ES3_jN6thrust23THRUST_200600_302600_NS6detail15normal_iteratorINSA_10device_ptrIyEEEEPS6_SG_NS0_5tupleIJNSA_16discard_iteratorINSA_11use_defaultEEESF_EEENSH_IJSG_SG_EEES6_PlJ7is_evenIyEEEE10hipError_tPvRmT3_T4_T5_T6_T7_T9_mT8_P12ihipStream_tbDpT10_ENKUlT_T0_E_clISt17integral_constantIbLb1EES19_EEDaS14_S15_EUlS14_E_NS1_11comp_targetILNS1_3genE3ELNS1_11target_archE908ELNS1_3gpuE7ELNS1_3repE0EEENS1_30default_config_static_selectorELNS0_4arch9wavefront6targetE1EEEvT1_.kd
    .uniform_work_group_size: 1
    .uses_dynamic_stack: false
    .vgpr_count:     0
    .vgpr_spill_count: 0
    .wavefront_size: 64
  - .agpr_count:     0
    .args:
      - .offset:         0
        .size:           144
        .value_kind:     by_value
    .group_segment_fixed_size: 0
    .kernarg_segment_align: 8
    .kernarg_segment_size: 144
    .language:       OpenCL C
    .language_version:
      - 2
      - 0
    .max_flat_workgroup_size: 256
    .name:           _ZN7rocprim17ROCPRIM_400000_NS6detail17trampoline_kernelINS0_14default_configENS1_25partition_config_selectorILNS1_17partition_subalgoE0EyNS0_10empty_typeEbEEZZNS1_14partition_implILS5_0ELb0ES3_jN6thrust23THRUST_200600_302600_NS6detail15normal_iteratorINSA_10device_ptrIyEEEEPS6_SG_NS0_5tupleIJNSA_16discard_iteratorINSA_11use_defaultEEESF_EEENSH_IJSG_SG_EEES6_PlJ7is_evenIyEEEE10hipError_tPvRmT3_T4_T5_T6_T7_T9_mT8_P12ihipStream_tbDpT10_ENKUlT_T0_E_clISt17integral_constantIbLb1EES19_EEDaS14_S15_EUlS14_E_NS1_11comp_targetILNS1_3genE2ELNS1_11target_archE906ELNS1_3gpuE6ELNS1_3repE0EEENS1_30default_config_static_selectorELNS0_4arch9wavefront6targetE1EEEvT1_
    .private_segment_fixed_size: 0
    .sgpr_count:     4
    .sgpr_spill_count: 0
    .symbol:         _ZN7rocprim17ROCPRIM_400000_NS6detail17trampoline_kernelINS0_14default_configENS1_25partition_config_selectorILNS1_17partition_subalgoE0EyNS0_10empty_typeEbEEZZNS1_14partition_implILS5_0ELb0ES3_jN6thrust23THRUST_200600_302600_NS6detail15normal_iteratorINSA_10device_ptrIyEEEEPS6_SG_NS0_5tupleIJNSA_16discard_iteratorINSA_11use_defaultEEESF_EEENSH_IJSG_SG_EEES6_PlJ7is_evenIyEEEE10hipError_tPvRmT3_T4_T5_T6_T7_T9_mT8_P12ihipStream_tbDpT10_ENKUlT_T0_E_clISt17integral_constantIbLb1EES19_EEDaS14_S15_EUlS14_E_NS1_11comp_targetILNS1_3genE2ELNS1_11target_archE906ELNS1_3gpuE6ELNS1_3repE0EEENS1_30default_config_static_selectorELNS0_4arch9wavefront6targetE1EEEvT1_.kd
    .uniform_work_group_size: 1
    .uses_dynamic_stack: false
    .vgpr_count:     0
    .vgpr_spill_count: 0
    .wavefront_size: 64
  - .agpr_count:     0
    .args:
      - .offset:         0
        .size:           144
        .value_kind:     by_value
    .group_segment_fixed_size: 0
    .kernarg_segment_align: 8
    .kernarg_segment_size: 144
    .language:       OpenCL C
    .language_version:
      - 2
      - 0
    .max_flat_workgroup_size: 512
    .name:           _ZN7rocprim17ROCPRIM_400000_NS6detail17trampoline_kernelINS0_14default_configENS1_25partition_config_selectorILNS1_17partition_subalgoE0EyNS0_10empty_typeEbEEZZNS1_14partition_implILS5_0ELb0ES3_jN6thrust23THRUST_200600_302600_NS6detail15normal_iteratorINSA_10device_ptrIyEEEEPS6_SG_NS0_5tupleIJNSA_16discard_iteratorINSA_11use_defaultEEESF_EEENSH_IJSG_SG_EEES6_PlJ7is_evenIyEEEE10hipError_tPvRmT3_T4_T5_T6_T7_T9_mT8_P12ihipStream_tbDpT10_ENKUlT_T0_E_clISt17integral_constantIbLb1EES19_EEDaS14_S15_EUlS14_E_NS1_11comp_targetILNS1_3genE10ELNS1_11target_archE1200ELNS1_3gpuE4ELNS1_3repE0EEENS1_30default_config_static_selectorELNS0_4arch9wavefront6targetE1EEEvT1_
    .private_segment_fixed_size: 0
    .sgpr_count:     4
    .sgpr_spill_count: 0
    .symbol:         _ZN7rocprim17ROCPRIM_400000_NS6detail17trampoline_kernelINS0_14default_configENS1_25partition_config_selectorILNS1_17partition_subalgoE0EyNS0_10empty_typeEbEEZZNS1_14partition_implILS5_0ELb0ES3_jN6thrust23THRUST_200600_302600_NS6detail15normal_iteratorINSA_10device_ptrIyEEEEPS6_SG_NS0_5tupleIJNSA_16discard_iteratorINSA_11use_defaultEEESF_EEENSH_IJSG_SG_EEES6_PlJ7is_evenIyEEEE10hipError_tPvRmT3_T4_T5_T6_T7_T9_mT8_P12ihipStream_tbDpT10_ENKUlT_T0_E_clISt17integral_constantIbLb1EES19_EEDaS14_S15_EUlS14_E_NS1_11comp_targetILNS1_3genE10ELNS1_11target_archE1200ELNS1_3gpuE4ELNS1_3repE0EEENS1_30default_config_static_selectorELNS0_4arch9wavefront6targetE1EEEvT1_.kd
    .uniform_work_group_size: 1
    .uses_dynamic_stack: false
    .vgpr_count:     0
    .vgpr_spill_count: 0
    .wavefront_size: 64
  - .agpr_count:     0
    .args:
      - .offset:         0
        .size:           144
        .value_kind:     by_value
    .group_segment_fixed_size: 0
    .kernarg_segment_align: 8
    .kernarg_segment_size: 144
    .language:       OpenCL C
    .language_version:
      - 2
      - 0
    .max_flat_workgroup_size: 512
    .name:           _ZN7rocprim17ROCPRIM_400000_NS6detail17trampoline_kernelINS0_14default_configENS1_25partition_config_selectorILNS1_17partition_subalgoE0EyNS0_10empty_typeEbEEZZNS1_14partition_implILS5_0ELb0ES3_jN6thrust23THRUST_200600_302600_NS6detail15normal_iteratorINSA_10device_ptrIyEEEEPS6_SG_NS0_5tupleIJNSA_16discard_iteratorINSA_11use_defaultEEESF_EEENSH_IJSG_SG_EEES6_PlJ7is_evenIyEEEE10hipError_tPvRmT3_T4_T5_T6_T7_T9_mT8_P12ihipStream_tbDpT10_ENKUlT_T0_E_clISt17integral_constantIbLb1EES19_EEDaS14_S15_EUlS14_E_NS1_11comp_targetILNS1_3genE9ELNS1_11target_archE1100ELNS1_3gpuE3ELNS1_3repE0EEENS1_30default_config_static_selectorELNS0_4arch9wavefront6targetE1EEEvT1_
    .private_segment_fixed_size: 0
    .sgpr_count:     4
    .sgpr_spill_count: 0
    .symbol:         _ZN7rocprim17ROCPRIM_400000_NS6detail17trampoline_kernelINS0_14default_configENS1_25partition_config_selectorILNS1_17partition_subalgoE0EyNS0_10empty_typeEbEEZZNS1_14partition_implILS5_0ELb0ES3_jN6thrust23THRUST_200600_302600_NS6detail15normal_iteratorINSA_10device_ptrIyEEEEPS6_SG_NS0_5tupleIJNSA_16discard_iteratorINSA_11use_defaultEEESF_EEENSH_IJSG_SG_EEES6_PlJ7is_evenIyEEEE10hipError_tPvRmT3_T4_T5_T6_T7_T9_mT8_P12ihipStream_tbDpT10_ENKUlT_T0_E_clISt17integral_constantIbLb1EES19_EEDaS14_S15_EUlS14_E_NS1_11comp_targetILNS1_3genE9ELNS1_11target_archE1100ELNS1_3gpuE3ELNS1_3repE0EEENS1_30default_config_static_selectorELNS0_4arch9wavefront6targetE1EEEvT1_.kd
    .uniform_work_group_size: 1
    .uses_dynamic_stack: false
    .vgpr_count:     0
    .vgpr_spill_count: 0
    .wavefront_size: 64
  - .agpr_count:     0
    .args:
      - .offset:         0
        .size:           144
        .value_kind:     by_value
    .group_segment_fixed_size: 0
    .kernarg_segment_align: 8
    .kernarg_segment_size: 144
    .language:       OpenCL C
    .language_version:
      - 2
      - 0
    .max_flat_workgroup_size: 512
    .name:           _ZN7rocprim17ROCPRIM_400000_NS6detail17trampoline_kernelINS0_14default_configENS1_25partition_config_selectorILNS1_17partition_subalgoE0EyNS0_10empty_typeEbEEZZNS1_14partition_implILS5_0ELb0ES3_jN6thrust23THRUST_200600_302600_NS6detail15normal_iteratorINSA_10device_ptrIyEEEEPS6_SG_NS0_5tupleIJNSA_16discard_iteratorINSA_11use_defaultEEESF_EEENSH_IJSG_SG_EEES6_PlJ7is_evenIyEEEE10hipError_tPvRmT3_T4_T5_T6_T7_T9_mT8_P12ihipStream_tbDpT10_ENKUlT_T0_E_clISt17integral_constantIbLb1EES19_EEDaS14_S15_EUlS14_E_NS1_11comp_targetILNS1_3genE8ELNS1_11target_archE1030ELNS1_3gpuE2ELNS1_3repE0EEENS1_30default_config_static_selectorELNS0_4arch9wavefront6targetE1EEEvT1_
    .private_segment_fixed_size: 0
    .sgpr_count:     4
    .sgpr_spill_count: 0
    .symbol:         _ZN7rocprim17ROCPRIM_400000_NS6detail17trampoline_kernelINS0_14default_configENS1_25partition_config_selectorILNS1_17partition_subalgoE0EyNS0_10empty_typeEbEEZZNS1_14partition_implILS5_0ELb0ES3_jN6thrust23THRUST_200600_302600_NS6detail15normal_iteratorINSA_10device_ptrIyEEEEPS6_SG_NS0_5tupleIJNSA_16discard_iteratorINSA_11use_defaultEEESF_EEENSH_IJSG_SG_EEES6_PlJ7is_evenIyEEEE10hipError_tPvRmT3_T4_T5_T6_T7_T9_mT8_P12ihipStream_tbDpT10_ENKUlT_T0_E_clISt17integral_constantIbLb1EES19_EEDaS14_S15_EUlS14_E_NS1_11comp_targetILNS1_3genE8ELNS1_11target_archE1030ELNS1_3gpuE2ELNS1_3repE0EEENS1_30default_config_static_selectorELNS0_4arch9wavefront6targetE1EEEvT1_.kd
    .uniform_work_group_size: 1
    .uses_dynamic_stack: false
    .vgpr_count:     0
    .vgpr_spill_count: 0
    .wavefront_size: 64
  - .agpr_count:     0
    .args:
      - .offset:         0
        .size:           128
        .value_kind:     by_value
    .group_segment_fixed_size: 0
    .kernarg_segment_align: 8
    .kernarg_segment_size: 128
    .language:       OpenCL C
    .language_version:
      - 2
      - 0
    .max_flat_workgroup_size: 128
    .name:           _ZN7rocprim17ROCPRIM_400000_NS6detail17trampoline_kernelINS0_14default_configENS1_25partition_config_selectorILNS1_17partition_subalgoE0EyNS0_10empty_typeEbEEZZNS1_14partition_implILS5_0ELb0ES3_jN6thrust23THRUST_200600_302600_NS6detail15normal_iteratorINSA_10device_ptrIyEEEEPS6_SG_NS0_5tupleIJNSA_16discard_iteratorINSA_11use_defaultEEESF_EEENSH_IJSG_SG_EEES6_PlJ7is_evenIyEEEE10hipError_tPvRmT3_T4_T5_T6_T7_T9_mT8_P12ihipStream_tbDpT10_ENKUlT_T0_E_clISt17integral_constantIbLb1EES18_IbLb0EEEEDaS14_S15_EUlS14_E_NS1_11comp_targetILNS1_3genE0ELNS1_11target_archE4294967295ELNS1_3gpuE0ELNS1_3repE0EEENS1_30default_config_static_selectorELNS0_4arch9wavefront6targetE1EEEvT1_
    .private_segment_fixed_size: 0
    .sgpr_count:     4
    .sgpr_spill_count: 0
    .symbol:         _ZN7rocprim17ROCPRIM_400000_NS6detail17trampoline_kernelINS0_14default_configENS1_25partition_config_selectorILNS1_17partition_subalgoE0EyNS0_10empty_typeEbEEZZNS1_14partition_implILS5_0ELb0ES3_jN6thrust23THRUST_200600_302600_NS6detail15normal_iteratorINSA_10device_ptrIyEEEEPS6_SG_NS0_5tupleIJNSA_16discard_iteratorINSA_11use_defaultEEESF_EEENSH_IJSG_SG_EEES6_PlJ7is_evenIyEEEE10hipError_tPvRmT3_T4_T5_T6_T7_T9_mT8_P12ihipStream_tbDpT10_ENKUlT_T0_E_clISt17integral_constantIbLb1EES18_IbLb0EEEEDaS14_S15_EUlS14_E_NS1_11comp_targetILNS1_3genE0ELNS1_11target_archE4294967295ELNS1_3gpuE0ELNS1_3repE0EEENS1_30default_config_static_selectorELNS0_4arch9wavefront6targetE1EEEvT1_.kd
    .uniform_work_group_size: 1
    .uses_dynamic_stack: false
    .vgpr_count:     0
    .vgpr_spill_count: 0
    .wavefront_size: 64
  - .agpr_count:     0
    .args:
      - .offset:         0
        .size:           128
        .value_kind:     by_value
    .group_segment_fixed_size: 0
    .kernarg_segment_align: 8
    .kernarg_segment_size: 128
    .language:       OpenCL C
    .language_version:
      - 2
      - 0
    .max_flat_workgroup_size: 512
    .name:           _ZN7rocprim17ROCPRIM_400000_NS6detail17trampoline_kernelINS0_14default_configENS1_25partition_config_selectorILNS1_17partition_subalgoE0EyNS0_10empty_typeEbEEZZNS1_14partition_implILS5_0ELb0ES3_jN6thrust23THRUST_200600_302600_NS6detail15normal_iteratorINSA_10device_ptrIyEEEEPS6_SG_NS0_5tupleIJNSA_16discard_iteratorINSA_11use_defaultEEESF_EEENSH_IJSG_SG_EEES6_PlJ7is_evenIyEEEE10hipError_tPvRmT3_T4_T5_T6_T7_T9_mT8_P12ihipStream_tbDpT10_ENKUlT_T0_E_clISt17integral_constantIbLb1EES18_IbLb0EEEEDaS14_S15_EUlS14_E_NS1_11comp_targetILNS1_3genE5ELNS1_11target_archE942ELNS1_3gpuE9ELNS1_3repE0EEENS1_30default_config_static_selectorELNS0_4arch9wavefront6targetE1EEEvT1_
    .private_segment_fixed_size: 0
    .sgpr_count:     4
    .sgpr_spill_count: 0
    .symbol:         _ZN7rocprim17ROCPRIM_400000_NS6detail17trampoline_kernelINS0_14default_configENS1_25partition_config_selectorILNS1_17partition_subalgoE0EyNS0_10empty_typeEbEEZZNS1_14partition_implILS5_0ELb0ES3_jN6thrust23THRUST_200600_302600_NS6detail15normal_iteratorINSA_10device_ptrIyEEEEPS6_SG_NS0_5tupleIJNSA_16discard_iteratorINSA_11use_defaultEEESF_EEENSH_IJSG_SG_EEES6_PlJ7is_evenIyEEEE10hipError_tPvRmT3_T4_T5_T6_T7_T9_mT8_P12ihipStream_tbDpT10_ENKUlT_T0_E_clISt17integral_constantIbLb1EES18_IbLb0EEEEDaS14_S15_EUlS14_E_NS1_11comp_targetILNS1_3genE5ELNS1_11target_archE942ELNS1_3gpuE9ELNS1_3repE0EEENS1_30default_config_static_selectorELNS0_4arch9wavefront6targetE1EEEvT1_.kd
    .uniform_work_group_size: 1
    .uses_dynamic_stack: false
    .vgpr_count:     0
    .vgpr_spill_count: 0
    .wavefront_size: 64
  - .agpr_count:     0
    .args:
      - .offset:         0
        .size:           128
        .value_kind:     by_value
    .group_segment_fixed_size: 6344
    .kernarg_segment_align: 8
    .kernarg_segment_size: 128
    .language:       OpenCL C
    .language_version:
      - 2
      - 0
    .max_flat_workgroup_size: 192
    .name:           _ZN7rocprim17ROCPRIM_400000_NS6detail17trampoline_kernelINS0_14default_configENS1_25partition_config_selectorILNS1_17partition_subalgoE0EyNS0_10empty_typeEbEEZZNS1_14partition_implILS5_0ELb0ES3_jN6thrust23THRUST_200600_302600_NS6detail15normal_iteratorINSA_10device_ptrIyEEEEPS6_SG_NS0_5tupleIJNSA_16discard_iteratorINSA_11use_defaultEEESF_EEENSH_IJSG_SG_EEES6_PlJ7is_evenIyEEEE10hipError_tPvRmT3_T4_T5_T6_T7_T9_mT8_P12ihipStream_tbDpT10_ENKUlT_T0_E_clISt17integral_constantIbLb1EES18_IbLb0EEEEDaS14_S15_EUlS14_E_NS1_11comp_targetILNS1_3genE4ELNS1_11target_archE910ELNS1_3gpuE8ELNS1_3repE0EEENS1_30default_config_static_selectorELNS0_4arch9wavefront6targetE1EEEvT1_
    .private_segment_fixed_size: 0
    .sgpr_count:     48
    .sgpr_spill_count: 0
    .symbol:         _ZN7rocprim17ROCPRIM_400000_NS6detail17trampoline_kernelINS0_14default_configENS1_25partition_config_selectorILNS1_17partition_subalgoE0EyNS0_10empty_typeEbEEZZNS1_14partition_implILS5_0ELb0ES3_jN6thrust23THRUST_200600_302600_NS6detail15normal_iteratorINSA_10device_ptrIyEEEEPS6_SG_NS0_5tupleIJNSA_16discard_iteratorINSA_11use_defaultEEESF_EEENSH_IJSG_SG_EEES6_PlJ7is_evenIyEEEE10hipError_tPvRmT3_T4_T5_T6_T7_T9_mT8_P12ihipStream_tbDpT10_ENKUlT_T0_E_clISt17integral_constantIbLb1EES18_IbLb0EEEEDaS14_S15_EUlS14_E_NS1_11comp_targetILNS1_3genE4ELNS1_11target_archE910ELNS1_3gpuE8ELNS1_3repE0EEENS1_30default_config_static_selectorELNS0_4arch9wavefront6targetE1EEEvT1_.kd
    .uniform_work_group_size: 1
    .uses_dynamic_stack: false
    .vgpr_count:     43
    .vgpr_spill_count: 0
    .wavefront_size: 64
  - .agpr_count:     0
    .args:
      - .offset:         0
        .size:           128
        .value_kind:     by_value
    .group_segment_fixed_size: 0
    .kernarg_segment_align: 8
    .kernarg_segment_size: 128
    .language:       OpenCL C
    .language_version:
      - 2
      - 0
    .max_flat_workgroup_size: 128
    .name:           _ZN7rocprim17ROCPRIM_400000_NS6detail17trampoline_kernelINS0_14default_configENS1_25partition_config_selectorILNS1_17partition_subalgoE0EyNS0_10empty_typeEbEEZZNS1_14partition_implILS5_0ELb0ES3_jN6thrust23THRUST_200600_302600_NS6detail15normal_iteratorINSA_10device_ptrIyEEEEPS6_SG_NS0_5tupleIJNSA_16discard_iteratorINSA_11use_defaultEEESF_EEENSH_IJSG_SG_EEES6_PlJ7is_evenIyEEEE10hipError_tPvRmT3_T4_T5_T6_T7_T9_mT8_P12ihipStream_tbDpT10_ENKUlT_T0_E_clISt17integral_constantIbLb1EES18_IbLb0EEEEDaS14_S15_EUlS14_E_NS1_11comp_targetILNS1_3genE3ELNS1_11target_archE908ELNS1_3gpuE7ELNS1_3repE0EEENS1_30default_config_static_selectorELNS0_4arch9wavefront6targetE1EEEvT1_
    .private_segment_fixed_size: 0
    .sgpr_count:     4
    .sgpr_spill_count: 0
    .symbol:         _ZN7rocprim17ROCPRIM_400000_NS6detail17trampoline_kernelINS0_14default_configENS1_25partition_config_selectorILNS1_17partition_subalgoE0EyNS0_10empty_typeEbEEZZNS1_14partition_implILS5_0ELb0ES3_jN6thrust23THRUST_200600_302600_NS6detail15normal_iteratorINSA_10device_ptrIyEEEEPS6_SG_NS0_5tupleIJNSA_16discard_iteratorINSA_11use_defaultEEESF_EEENSH_IJSG_SG_EEES6_PlJ7is_evenIyEEEE10hipError_tPvRmT3_T4_T5_T6_T7_T9_mT8_P12ihipStream_tbDpT10_ENKUlT_T0_E_clISt17integral_constantIbLb1EES18_IbLb0EEEEDaS14_S15_EUlS14_E_NS1_11comp_targetILNS1_3genE3ELNS1_11target_archE908ELNS1_3gpuE7ELNS1_3repE0EEENS1_30default_config_static_selectorELNS0_4arch9wavefront6targetE1EEEvT1_.kd
    .uniform_work_group_size: 1
    .uses_dynamic_stack: false
    .vgpr_count:     0
    .vgpr_spill_count: 0
    .wavefront_size: 64
  - .agpr_count:     0
    .args:
      - .offset:         0
        .size:           128
        .value_kind:     by_value
    .group_segment_fixed_size: 0
    .kernarg_segment_align: 8
    .kernarg_segment_size: 128
    .language:       OpenCL C
    .language_version:
      - 2
      - 0
    .max_flat_workgroup_size: 256
    .name:           _ZN7rocprim17ROCPRIM_400000_NS6detail17trampoline_kernelINS0_14default_configENS1_25partition_config_selectorILNS1_17partition_subalgoE0EyNS0_10empty_typeEbEEZZNS1_14partition_implILS5_0ELb0ES3_jN6thrust23THRUST_200600_302600_NS6detail15normal_iteratorINSA_10device_ptrIyEEEEPS6_SG_NS0_5tupleIJNSA_16discard_iteratorINSA_11use_defaultEEESF_EEENSH_IJSG_SG_EEES6_PlJ7is_evenIyEEEE10hipError_tPvRmT3_T4_T5_T6_T7_T9_mT8_P12ihipStream_tbDpT10_ENKUlT_T0_E_clISt17integral_constantIbLb1EES18_IbLb0EEEEDaS14_S15_EUlS14_E_NS1_11comp_targetILNS1_3genE2ELNS1_11target_archE906ELNS1_3gpuE6ELNS1_3repE0EEENS1_30default_config_static_selectorELNS0_4arch9wavefront6targetE1EEEvT1_
    .private_segment_fixed_size: 0
    .sgpr_count:     4
    .sgpr_spill_count: 0
    .symbol:         _ZN7rocprim17ROCPRIM_400000_NS6detail17trampoline_kernelINS0_14default_configENS1_25partition_config_selectorILNS1_17partition_subalgoE0EyNS0_10empty_typeEbEEZZNS1_14partition_implILS5_0ELb0ES3_jN6thrust23THRUST_200600_302600_NS6detail15normal_iteratorINSA_10device_ptrIyEEEEPS6_SG_NS0_5tupleIJNSA_16discard_iteratorINSA_11use_defaultEEESF_EEENSH_IJSG_SG_EEES6_PlJ7is_evenIyEEEE10hipError_tPvRmT3_T4_T5_T6_T7_T9_mT8_P12ihipStream_tbDpT10_ENKUlT_T0_E_clISt17integral_constantIbLb1EES18_IbLb0EEEEDaS14_S15_EUlS14_E_NS1_11comp_targetILNS1_3genE2ELNS1_11target_archE906ELNS1_3gpuE6ELNS1_3repE0EEENS1_30default_config_static_selectorELNS0_4arch9wavefront6targetE1EEEvT1_.kd
    .uniform_work_group_size: 1
    .uses_dynamic_stack: false
    .vgpr_count:     0
    .vgpr_spill_count: 0
    .wavefront_size: 64
  - .agpr_count:     0
    .args:
      - .offset:         0
        .size:           128
        .value_kind:     by_value
    .group_segment_fixed_size: 0
    .kernarg_segment_align: 8
    .kernarg_segment_size: 128
    .language:       OpenCL C
    .language_version:
      - 2
      - 0
    .max_flat_workgroup_size: 512
    .name:           _ZN7rocprim17ROCPRIM_400000_NS6detail17trampoline_kernelINS0_14default_configENS1_25partition_config_selectorILNS1_17partition_subalgoE0EyNS0_10empty_typeEbEEZZNS1_14partition_implILS5_0ELb0ES3_jN6thrust23THRUST_200600_302600_NS6detail15normal_iteratorINSA_10device_ptrIyEEEEPS6_SG_NS0_5tupleIJNSA_16discard_iteratorINSA_11use_defaultEEESF_EEENSH_IJSG_SG_EEES6_PlJ7is_evenIyEEEE10hipError_tPvRmT3_T4_T5_T6_T7_T9_mT8_P12ihipStream_tbDpT10_ENKUlT_T0_E_clISt17integral_constantIbLb1EES18_IbLb0EEEEDaS14_S15_EUlS14_E_NS1_11comp_targetILNS1_3genE10ELNS1_11target_archE1200ELNS1_3gpuE4ELNS1_3repE0EEENS1_30default_config_static_selectorELNS0_4arch9wavefront6targetE1EEEvT1_
    .private_segment_fixed_size: 0
    .sgpr_count:     4
    .sgpr_spill_count: 0
    .symbol:         _ZN7rocprim17ROCPRIM_400000_NS6detail17trampoline_kernelINS0_14default_configENS1_25partition_config_selectorILNS1_17partition_subalgoE0EyNS0_10empty_typeEbEEZZNS1_14partition_implILS5_0ELb0ES3_jN6thrust23THRUST_200600_302600_NS6detail15normal_iteratorINSA_10device_ptrIyEEEEPS6_SG_NS0_5tupleIJNSA_16discard_iteratorINSA_11use_defaultEEESF_EEENSH_IJSG_SG_EEES6_PlJ7is_evenIyEEEE10hipError_tPvRmT3_T4_T5_T6_T7_T9_mT8_P12ihipStream_tbDpT10_ENKUlT_T0_E_clISt17integral_constantIbLb1EES18_IbLb0EEEEDaS14_S15_EUlS14_E_NS1_11comp_targetILNS1_3genE10ELNS1_11target_archE1200ELNS1_3gpuE4ELNS1_3repE0EEENS1_30default_config_static_selectorELNS0_4arch9wavefront6targetE1EEEvT1_.kd
    .uniform_work_group_size: 1
    .uses_dynamic_stack: false
    .vgpr_count:     0
    .vgpr_spill_count: 0
    .wavefront_size: 64
  - .agpr_count:     0
    .args:
      - .offset:         0
        .size:           128
        .value_kind:     by_value
    .group_segment_fixed_size: 0
    .kernarg_segment_align: 8
    .kernarg_segment_size: 128
    .language:       OpenCL C
    .language_version:
      - 2
      - 0
    .max_flat_workgroup_size: 512
    .name:           _ZN7rocprim17ROCPRIM_400000_NS6detail17trampoline_kernelINS0_14default_configENS1_25partition_config_selectorILNS1_17partition_subalgoE0EyNS0_10empty_typeEbEEZZNS1_14partition_implILS5_0ELb0ES3_jN6thrust23THRUST_200600_302600_NS6detail15normal_iteratorINSA_10device_ptrIyEEEEPS6_SG_NS0_5tupleIJNSA_16discard_iteratorINSA_11use_defaultEEESF_EEENSH_IJSG_SG_EEES6_PlJ7is_evenIyEEEE10hipError_tPvRmT3_T4_T5_T6_T7_T9_mT8_P12ihipStream_tbDpT10_ENKUlT_T0_E_clISt17integral_constantIbLb1EES18_IbLb0EEEEDaS14_S15_EUlS14_E_NS1_11comp_targetILNS1_3genE9ELNS1_11target_archE1100ELNS1_3gpuE3ELNS1_3repE0EEENS1_30default_config_static_selectorELNS0_4arch9wavefront6targetE1EEEvT1_
    .private_segment_fixed_size: 0
    .sgpr_count:     4
    .sgpr_spill_count: 0
    .symbol:         _ZN7rocprim17ROCPRIM_400000_NS6detail17trampoline_kernelINS0_14default_configENS1_25partition_config_selectorILNS1_17partition_subalgoE0EyNS0_10empty_typeEbEEZZNS1_14partition_implILS5_0ELb0ES3_jN6thrust23THRUST_200600_302600_NS6detail15normal_iteratorINSA_10device_ptrIyEEEEPS6_SG_NS0_5tupleIJNSA_16discard_iteratorINSA_11use_defaultEEESF_EEENSH_IJSG_SG_EEES6_PlJ7is_evenIyEEEE10hipError_tPvRmT3_T4_T5_T6_T7_T9_mT8_P12ihipStream_tbDpT10_ENKUlT_T0_E_clISt17integral_constantIbLb1EES18_IbLb0EEEEDaS14_S15_EUlS14_E_NS1_11comp_targetILNS1_3genE9ELNS1_11target_archE1100ELNS1_3gpuE3ELNS1_3repE0EEENS1_30default_config_static_selectorELNS0_4arch9wavefront6targetE1EEEvT1_.kd
    .uniform_work_group_size: 1
    .uses_dynamic_stack: false
    .vgpr_count:     0
    .vgpr_spill_count: 0
    .wavefront_size: 64
  - .agpr_count:     0
    .args:
      - .offset:         0
        .size:           128
        .value_kind:     by_value
    .group_segment_fixed_size: 0
    .kernarg_segment_align: 8
    .kernarg_segment_size: 128
    .language:       OpenCL C
    .language_version:
      - 2
      - 0
    .max_flat_workgroup_size: 512
    .name:           _ZN7rocprim17ROCPRIM_400000_NS6detail17trampoline_kernelINS0_14default_configENS1_25partition_config_selectorILNS1_17partition_subalgoE0EyNS0_10empty_typeEbEEZZNS1_14partition_implILS5_0ELb0ES3_jN6thrust23THRUST_200600_302600_NS6detail15normal_iteratorINSA_10device_ptrIyEEEEPS6_SG_NS0_5tupleIJNSA_16discard_iteratorINSA_11use_defaultEEESF_EEENSH_IJSG_SG_EEES6_PlJ7is_evenIyEEEE10hipError_tPvRmT3_T4_T5_T6_T7_T9_mT8_P12ihipStream_tbDpT10_ENKUlT_T0_E_clISt17integral_constantIbLb1EES18_IbLb0EEEEDaS14_S15_EUlS14_E_NS1_11comp_targetILNS1_3genE8ELNS1_11target_archE1030ELNS1_3gpuE2ELNS1_3repE0EEENS1_30default_config_static_selectorELNS0_4arch9wavefront6targetE1EEEvT1_
    .private_segment_fixed_size: 0
    .sgpr_count:     4
    .sgpr_spill_count: 0
    .symbol:         _ZN7rocprim17ROCPRIM_400000_NS6detail17trampoline_kernelINS0_14default_configENS1_25partition_config_selectorILNS1_17partition_subalgoE0EyNS0_10empty_typeEbEEZZNS1_14partition_implILS5_0ELb0ES3_jN6thrust23THRUST_200600_302600_NS6detail15normal_iteratorINSA_10device_ptrIyEEEEPS6_SG_NS0_5tupleIJNSA_16discard_iteratorINSA_11use_defaultEEESF_EEENSH_IJSG_SG_EEES6_PlJ7is_evenIyEEEE10hipError_tPvRmT3_T4_T5_T6_T7_T9_mT8_P12ihipStream_tbDpT10_ENKUlT_T0_E_clISt17integral_constantIbLb1EES18_IbLb0EEEEDaS14_S15_EUlS14_E_NS1_11comp_targetILNS1_3genE8ELNS1_11target_archE1030ELNS1_3gpuE2ELNS1_3repE0EEENS1_30default_config_static_selectorELNS0_4arch9wavefront6targetE1EEEvT1_.kd
    .uniform_work_group_size: 1
    .uses_dynamic_stack: false
    .vgpr_count:     0
    .vgpr_spill_count: 0
    .wavefront_size: 64
  - .agpr_count:     0
    .args:
      - .offset:         0
        .size:           144
        .value_kind:     by_value
    .group_segment_fixed_size: 0
    .kernarg_segment_align: 8
    .kernarg_segment_size: 144
    .language:       OpenCL C
    .language_version:
      - 2
      - 0
    .max_flat_workgroup_size: 128
    .name:           _ZN7rocprim17ROCPRIM_400000_NS6detail17trampoline_kernelINS0_14default_configENS1_25partition_config_selectorILNS1_17partition_subalgoE0EyNS0_10empty_typeEbEEZZNS1_14partition_implILS5_0ELb0ES3_jN6thrust23THRUST_200600_302600_NS6detail15normal_iteratorINSA_10device_ptrIyEEEEPS6_SG_NS0_5tupleIJNSA_16discard_iteratorINSA_11use_defaultEEESF_EEENSH_IJSG_SG_EEES6_PlJ7is_evenIyEEEE10hipError_tPvRmT3_T4_T5_T6_T7_T9_mT8_P12ihipStream_tbDpT10_ENKUlT_T0_E_clISt17integral_constantIbLb0EES18_IbLb1EEEEDaS14_S15_EUlS14_E_NS1_11comp_targetILNS1_3genE0ELNS1_11target_archE4294967295ELNS1_3gpuE0ELNS1_3repE0EEENS1_30default_config_static_selectorELNS0_4arch9wavefront6targetE1EEEvT1_
    .private_segment_fixed_size: 0
    .sgpr_count:     4
    .sgpr_spill_count: 0
    .symbol:         _ZN7rocprim17ROCPRIM_400000_NS6detail17trampoline_kernelINS0_14default_configENS1_25partition_config_selectorILNS1_17partition_subalgoE0EyNS0_10empty_typeEbEEZZNS1_14partition_implILS5_0ELb0ES3_jN6thrust23THRUST_200600_302600_NS6detail15normal_iteratorINSA_10device_ptrIyEEEEPS6_SG_NS0_5tupleIJNSA_16discard_iteratorINSA_11use_defaultEEESF_EEENSH_IJSG_SG_EEES6_PlJ7is_evenIyEEEE10hipError_tPvRmT3_T4_T5_T6_T7_T9_mT8_P12ihipStream_tbDpT10_ENKUlT_T0_E_clISt17integral_constantIbLb0EES18_IbLb1EEEEDaS14_S15_EUlS14_E_NS1_11comp_targetILNS1_3genE0ELNS1_11target_archE4294967295ELNS1_3gpuE0ELNS1_3repE0EEENS1_30default_config_static_selectorELNS0_4arch9wavefront6targetE1EEEvT1_.kd
    .uniform_work_group_size: 1
    .uses_dynamic_stack: false
    .vgpr_count:     0
    .vgpr_spill_count: 0
    .wavefront_size: 64
  - .agpr_count:     0
    .args:
      - .offset:         0
        .size:           144
        .value_kind:     by_value
    .group_segment_fixed_size: 0
    .kernarg_segment_align: 8
    .kernarg_segment_size: 144
    .language:       OpenCL C
    .language_version:
      - 2
      - 0
    .max_flat_workgroup_size: 512
    .name:           _ZN7rocprim17ROCPRIM_400000_NS6detail17trampoline_kernelINS0_14default_configENS1_25partition_config_selectorILNS1_17partition_subalgoE0EyNS0_10empty_typeEbEEZZNS1_14partition_implILS5_0ELb0ES3_jN6thrust23THRUST_200600_302600_NS6detail15normal_iteratorINSA_10device_ptrIyEEEEPS6_SG_NS0_5tupleIJNSA_16discard_iteratorINSA_11use_defaultEEESF_EEENSH_IJSG_SG_EEES6_PlJ7is_evenIyEEEE10hipError_tPvRmT3_T4_T5_T6_T7_T9_mT8_P12ihipStream_tbDpT10_ENKUlT_T0_E_clISt17integral_constantIbLb0EES18_IbLb1EEEEDaS14_S15_EUlS14_E_NS1_11comp_targetILNS1_3genE5ELNS1_11target_archE942ELNS1_3gpuE9ELNS1_3repE0EEENS1_30default_config_static_selectorELNS0_4arch9wavefront6targetE1EEEvT1_
    .private_segment_fixed_size: 0
    .sgpr_count:     4
    .sgpr_spill_count: 0
    .symbol:         _ZN7rocprim17ROCPRIM_400000_NS6detail17trampoline_kernelINS0_14default_configENS1_25partition_config_selectorILNS1_17partition_subalgoE0EyNS0_10empty_typeEbEEZZNS1_14partition_implILS5_0ELb0ES3_jN6thrust23THRUST_200600_302600_NS6detail15normal_iteratorINSA_10device_ptrIyEEEEPS6_SG_NS0_5tupleIJNSA_16discard_iteratorINSA_11use_defaultEEESF_EEENSH_IJSG_SG_EEES6_PlJ7is_evenIyEEEE10hipError_tPvRmT3_T4_T5_T6_T7_T9_mT8_P12ihipStream_tbDpT10_ENKUlT_T0_E_clISt17integral_constantIbLb0EES18_IbLb1EEEEDaS14_S15_EUlS14_E_NS1_11comp_targetILNS1_3genE5ELNS1_11target_archE942ELNS1_3gpuE9ELNS1_3repE0EEENS1_30default_config_static_selectorELNS0_4arch9wavefront6targetE1EEEvT1_.kd
    .uniform_work_group_size: 1
    .uses_dynamic_stack: false
    .vgpr_count:     0
    .vgpr_spill_count: 0
    .wavefront_size: 64
  - .agpr_count:     0
    .args:
      - .offset:         0
        .size:           144
        .value_kind:     by_value
    .group_segment_fixed_size: 6344
    .kernarg_segment_align: 8
    .kernarg_segment_size: 144
    .language:       OpenCL C
    .language_version:
      - 2
      - 0
    .max_flat_workgroup_size: 192
    .name:           _ZN7rocprim17ROCPRIM_400000_NS6detail17trampoline_kernelINS0_14default_configENS1_25partition_config_selectorILNS1_17partition_subalgoE0EyNS0_10empty_typeEbEEZZNS1_14partition_implILS5_0ELb0ES3_jN6thrust23THRUST_200600_302600_NS6detail15normal_iteratorINSA_10device_ptrIyEEEEPS6_SG_NS0_5tupleIJNSA_16discard_iteratorINSA_11use_defaultEEESF_EEENSH_IJSG_SG_EEES6_PlJ7is_evenIyEEEE10hipError_tPvRmT3_T4_T5_T6_T7_T9_mT8_P12ihipStream_tbDpT10_ENKUlT_T0_E_clISt17integral_constantIbLb0EES18_IbLb1EEEEDaS14_S15_EUlS14_E_NS1_11comp_targetILNS1_3genE4ELNS1_11target_archE910ELNS1_3gpuE8ELNS1_3repE0EEENS1_30default_config_static_selectorELNS0_4arch9wavefront6targetE1EEEvT1_
    .private_segment_fixed_size: 0
    .sgpr_count:     46
    .sgpr_spill_count: 0
    .symbol:         _ZN7rocprim17ROCPRIM_400000_NS6detail17trampoline_kernelINS0_14default_configENS1_25partition_config_selectorILNS1_17partition_subalgoE0EyNS0_10empty_typeEbEEZZNS1_14partition_implILS5_0ELb0ES3_jN6thrust23THRUST_200600_302600_NS6detail15normal_iteratorINSA_10device_ptrIyEEEEPS6_SG_NS0_5tupleIJNSA_16discard_iteratorINSA_11use_defaultEEESF_EEENSH_IJSG_SG_EEES6_PlJ7is_evenIyEEEE10hipError_tPvRmT3_T4_T5_T6_T7_T9_mT8_P12ihipStream_tbDpT10_ENKUlT_T0_E_clISt17integral_constantIbLb0EES18_IbLb1EEEEDaS14_S15_EUlS14_E_NS1_11comp_targetILNS1_3genE4ELNS1_11target_archE910ELNS1_3gpuE8ELNS1_3repE0EEENS1_30default_config_static_selectorELNS0_4arch9wavefront6targetE1EEEvT1_.kd
    .uniform_work_group_size: 1
    .uses_dynamic_stack: false
    .vgpr_count:     47
    .vgpr_spill_count: 0
    .wavefront_size: 64
  - .agpr_count:     0
    .args:
      - .offset:         0
        .size:           144
        .value_kind:     by_value
    .group_segment_fixed_size: 0
    .kernarg_segment_align: 8
    .kernarg_segment_size: 144
    .language:       OpenCL C
    .language_version:
      - 2
      - 0
    .max_flat_workgroup_size: 128
    .name:           _ZN7rocprim17ROCPRIM_400000_NS6detail17trampoline_kernelINS0_14default_configENS1_25partition_config_selectorILNS1_17partition_subalgoE0EyNS0_10empty_typeEbEEZZNS1_14partition_implILS5_0ELb0ES3_jN6thrust23THRUST_200600_302600_NS6detail15normal_iteratorINSA_10device_ptrIyEEEEPS6_SG_NS0_5tupleIJNSA_16discard_iteratorINSA_11use_defaultEEESF_EEENSH_IJSG_SG_EEES6_PlJ7is_evenIyEEEE10hipError_tPvRmT3_T4_T5_T6_T7_T9_mT8_P12ihipStream_tbDpT10_ENKUlT_T0_E_clISt17integral_constantIbLb0EES18_IbLb1EEEEDaS14_S15_EUlS14_E_NS1_11comp_targetILNS1_3genE3ELNS1_11target_archE908ELNS1_3gpuE7ELNS1_3repE0EEENS1_30default_config_static_selectorELNS0_4arch9wavefront6targetE1EEEvT1_
    .private_segment_fixed_size: 0
    .sgpr_count:     4
    .sgpr_spill_count: 0
    .symbol:         _ZN7rocprim17ROCPRIM_400000_NS6detail17trampoline_kernelINS0_14default_configENS1_25partition_config_selectorILNS1_17partition_subalgoE0EyNS0_10empty_typeEbEEZZNS1_14partition_implILS5_0ELb0ES3_jN6thrust23THRUST_200600_302600_NS6detail15normal_iteratorINSA_10device_ptrIyEEEEPS6_SG_NS0_5tupleIJNSA_16discard_iteratorINSA_11use_defaultEEESF_EEENSH_IJSG_SG_EEES6_PlJ7is_evenIyEEEE10hipError_tPvRmT3_T4_T5_T6_T7_T9_mT8_P12ihipStream_tbDpT10_ENKUlT_T0_E_clISt17integral_constantIbLb0EES18_IbLb1EEEEDaS14_S15_EUlS14_E_NS1_11comp_targetILNS1_3genE3ELNS1_11target_archE908ELNS1_3gpuE7ELNS1_3repE0EEENS1_30default_config_static_selectorELNS0_4arch9wavefront6targetE1EEEvT1_.kd
    .uniform_work_group_size: 1
    .uses_dynamic_stack: false
    .vgpr_count:     0
    .vgpr_spill_count: 0
    .wavefront_size: 64
  - .agpr_count:     0
    .args:
      - .offset:         0
        .size:           144
        .value_kind:     by_value
    .group_segment_fixed_size: 0
    .kernarg_segment_align: 8
    .kernarg_segment_size: 144
    .language:       OpenCL C
    .language_version:
      - 2
      - 0
    .max_flat_workgroup_size: 256
    .name:           _ZN7rocprim17ROCPRIM_400000_NS6detail17trampoline_kernelINS0_14default_configENS1_25partition_config_selectorILNS1_17partition_subalgoE0EyNS0_10empty_typeEbEEZZNS1_14partition_implILS5_0ELb0ES3_jN6thrust23THRUST_200600_302600_NS6detail15normal_iteratorINSA_10device_ptrIyEEEEPS6_SG_NS0_5tupleIJNSA_16discard_iteratorINSA_11use_defaultEEESF_EEENSH_IJSG_SG_EEES6_PlJ7is_evenIyEEEE10hipError_tPvRmT3_T4_T5_T6_T7_T9_mT8_P12ihipStream_tbDpT10_ENKUlT_T0_E_clISt17integral_constantIbLb0EES18_IbLb1EEEEDaS14_S15_EUlS14_E_NS1_11comp_targetILNS1_3genE2ELNS1_11target_archE906ELNS1_3gpuE6ELNS1_3repE0EEENS1_30default_config_static_selectorELNS0_4arch9wavefront6targetE1EEEvT1_
    .private_segment_fixed_size: 0
    .sgpr_count:     4
    .sgpr_spill_count: 0
    .symbol:         _ZN7rocprim17ROCPRIM_400000_NS6detail17trampoline_kernelINS0_14default_configENS1_25partition_config_selectorILNS1_17partition_subalgoE0EyNS0_10empty_typeEbEEZZNS1_14partition_implILS5_0ELb0ES3_jN6thrust23THRUST_200600_302600_NS6detail15normal_iteratorINSA_10device_ptrIyEEEEPS6_SG_NS0_5tupleIJNSA_16discard_iteratorINSA_11use_defaultEEESF_EEENSH_IJSG_SG_EEES6_PlJ7is_evenIyEEEE10hipError_tPvRmT3_T4_T5_T6_T7_T9_mT8_P12ihipStream_tbDpT10_ENKUlT_T0_E_clISt17integral_constantIbLb0EES18_IbLb1EEEEDaS14_S15_EUlS14_E_NS1_11comp_targetILNS1_3genE2ELNS1_11target_archE906ELNS1_3gpuE6ELNS1_3repE0EEENS1_30default_config_static_selectorELNS0_4arch9wavefront6targetE1EEEvT1_.kd
    .uniform_work_group_size: 1
    .uses_dynamic_stack: false
    .vgpr_count:     0
    .vgpr_spill_count: 0
    .wavefront_size: 64
  - .agpr_count:     0
    .args:
      - .offset:         0
        .size:           144
        .value_kind:     by_value
    .group_segment_fixed_size: 0
    .kernarg_segment_align: 8
    .kernarg_segment_size: 144
    .language:       OpenCL C
    .language_version:
      - 2
      - 0
    .max_flat_workgroup_size: 512
    .name:           _ZN7rocprim17ROCPRIM_400000_NS6detail17trampoline_kernelINS0_14default_configENS1_25partition_config_selectorILNS1_17partition_subalgoE0EyNS0_10empty_typeEbEEZZNS1_14partition_implILS5_0ELb0ES3_jN6thrust23THRUST_200600_302600_NS6detail15normal_iteratorINSA_10device_ptrIyEEEEPS6_SG_NS0_5tupleIJNSA_16discard_iteratorINSA_11use_defaultEEESF_EEENSH_IJSG_SG_EEES6_PlJ7is_evenIyEEEE10hipError_tPvRmT3_T4_T5_T6_T7_T9_mT8_P12ihipStream_tbDpT10_ENKUlT_T0_E_clISt17integral_constantIbLb0EES18_IbLb1EEEEDaS14_S15_EUlS14_E_NS1_11comp_targetILNS1_3genE10ELNS1_11target_archE1200ELNS1_3gpuE4ELNS1_3repE0EEENS1_30default_config_static_selectorELNS0_4arch9wavefront6targetE1EEEvT1_
    .private_segment_fixed_size: 0
    .sgpr_count:     4
    .sgpr_spill_count: 0
    .symbol:         _ZN7rocprim17ROCPRIM_400000_NS6detail17trampoline_kernelINS0_14default_configENS1_25partition_config_selectorILNS1_17partition_subalgoE0EyNS0_10empty_typeEbEEZZNS1_14partition_implILS5_0ELb0ES3_jN6thrust23THRUST_200600_302600_NS6detail15normal_iteratorINSA_10device_ptrIyEEEEPS6_SG_NS0_5tupleIJNSA_16discard_iteratorINSA_11use_defaultEEESF_EEENSH_IJSG_SG_EEES6_PlJ7is_evenIyEEEE10hipError_tPvRmT3_T4_T5_T6_T7_T9_mT8_P12ihipStream_tbDpT10_ENKUlT_T0_E_clISt17integral_constantIbLb0EES18_IbLb1EEEEDaS14_S15_EUlS14_E_NS1_11comp_targetILNS1_3genE10ELNS1_11target_archE1200ELNS1_3gpuE4ELNS1_3repE0EEENS1_30default_config_static_selectorELNS0_4arch9wavefront6targetE1EEEvT1_.kd
    .uniform_work_group_size: 1
    .uses_dynamic_stack: false
    .vgpr_count:     0
    .vgpr_spill_count: 0
    .wavefront_size: 64
  - .agpr_count:     0
    .args:
      - .offset:         0
        .size:           144
        .value_kind:     by_value
    .group_segment_fixed_size: 0
    .kernarg_segment_align: 8
    .kernarg_segment_size: 144
    .language:       OpenCL C
    .language_version:
      - 2
      - 0
    .max_flat_workgroup_size: 512
    .name:           _ZN7rocprim17ROCPRIM_400000_NS6detail17trampoline_kernelINS0_14default_configENS1_25partition_config_selectorILNS1_17partition_subalgoE0EyNS0_10empty_typeEbEEZZNS1_14partition_implILS5_0ELb0ES3_jN6thrust23THRUST_200600_302600_NS6detail15normal_iteratorINSA_10device_ptrIyEEEEPS6_SG_NS0_5tupleIJNSA_16discard_iteratorINSA_11use_defaultEEESF_EEENSH_IJSG_SG_EEES6_PlJ7is_evenIyEEEE10hipError_tPvRmT3_T4_T5_T6_T7_T9_mT8_P12ihipStream_tbDpT10_ENKUlT_T0_E_clISt17integral_constantIbLb0EES18_IbLb1EEEEDaS14_S15_EUlS14_E_NS1_11comp_targetILNS1_3genE9ELNS1_11target_archE1100ELNS1_3gpuE3ELNS1_3repE0EEENS1_30default_config_static_selectorELNS0_4arch9wavefront6targetE1EEEvT1_
    .private_segment_fixed_size: 0
    .sgpr_count:     4
    .sgpr_spill_count: 0
    .symbol:         _ZN7rocprim17ROCPRIM_400000_NS6detail17trampoline_kernelINS0_14default_configENS1_25partition_config_selectorILNS1_17partition_subalgoE0EyNS0_10empty_typeEbEEZZNS1_14partition_implILS5_0ELb0ES3_jN6thrust23THRUST_200600_302600_NS6detail15normal_iteratorINSA_10device_ptrIyEEEEPS6_SG_NS0_5tupleIJNSA_16discard_iteratorINSA_11use_defaultEEESF_EEENSH_IJSG_SG_EEES6_PlJ7is_evenIyEEEE10hipError_tPvRmT3_T4_T5_T6_T7_T9_mT8_P12ihipStream_tbDpT10_ENKUlT_T0_E_clISt17integral_constantIbLb0EES18_IbLb1EEEEDaS14_S15_EUlS14_E_NS1_11comp_targetILNS1_3genE9ELNS1_11target_archE1100ELNS1_3gpuE3ELNS1_3repE0EEENS1_30default_config_static_selectorELNS0_4arch9wavefront6targetE1EEEvT1_.kd
    .uniform_work_group_size: 1
    .uses_dynamic_stack: false
    .vgpr_count:     0
    .vgpr_spill_count: 0
    .wavefront_size: 64
  - .agpr_count:     0
    .args:
      - .offset:         0
        .size:           144
        .value_kind:     by_value
    .group_segment_fixed_size: 0
    .kernarg_segment_align: 8
    .kernarg_segment_size: 144
    .language:       OpenCL C
    .language_version:
      - 2
      - 0
    .max_flat_workgroup_size: 512
    .name:           _ZN7rocprim17ROCPRIM_400000_NS6detail17trampoline_kernelINS0_14default_configENS1_25partition_config_selectorILNS1_17partition_subalgoE0EyNS0_10empty_typeEbEEZZNS1_14partition_implILS5_0ELb0ES3_jN6thrust23THRUST_200600_302600_NS6detail15normal_iteratorINSA_10device_ptrIyEEEEPS6_SG_NS0_5tupleIJNSA_16discard_iteratorINSA_11use_defaultEEESF_EEENSH_IJSG_SG_EEES6_PlJ7is_evenIyEEEE10hipError_tPvRmT3_T4_T5_T6_T7_T9_mT8_P12ihipStream_tbDpT10_ENKUlT_T0_E_clISt17integral_constantIbLb0EES18_IbLb1EEEEDaS14_S15_EUlS14_E_NS1_11comp_targetILNS1_3genE8ELNS1_11target_archE1030ELNS1_3gpuE2ELNS1_3repE0EEENS1_30default_config_static_selectorELNS0_4arch9wavefront6targetE1EEEvT1_
    .private_segment_fixed_size: 0
    .sgpr_count:     4
    .sgpr_spill_count: 0
    .symbol:         _ZN7rocprim17ROCPRIM_400000_NS6detail17trampoline_kernelINS0_14default_configENS1_25partition_config_selectorILNS1_17partition_subalgoE0EyNS0_10empty_typeEbEEZZNS1_14partition_implILS5_0ELb0ES3_jN6thrust23THRUST_200600_302600_NS6detail15normal_iteratorINSA_10device_ptrIyEEEEPS6_SG_NS0_5tupleIJNSA_16discard_iteratorINSA_11use_defaultEEESF_EEENSH_IJSG_SG_EEES6_PlJ7is_evenIyEEEE10hipError_tPvRmT3_T4_T5_T6_T7_T9_mT8_P12ihipStream_tbDpT10_ENKUlT_T0_E_clISt17integral_constantIbLb0EES18_IbLb1EEEEDaS14_S15_EUlS14_E_NS1_11comp_targetILNS1_3genE8ELNS1_11target_archE1030ELNS1_3gpuE2ELNS1_3repE0EEENS1_30default_config_static_selectorELNS0_4arch9wavefront6targetE1EEEvT1_.kd
    .uniform_work_group_size: 1
    .uses_dynamic_stack: false
    .vgpr_count:     0
    .vgpr_spill_count: 0
    .wavefront_size: 64
  - .agpr_count:     0
    .args:
      - .offset:         0
        .size:           136
        .value_kind:     by_value
    .group_segment_fixed_size: 0
    .kernarg_segment_align: 8
    .kernarg_segment_size: 136
    .language:       OpenCL C
    .language_version:
      - 2
      - 0
    .max_flat_workgroup_size: 256
    .name:           _ZN7rocprim17ROCPRIM_400000_NS6detail17trampoline_kernelINS0_14default_configENS1_25partition_config_selectorILNS1_17partition_subalgoE0EjNS0_10empty_typeEbEEZZNS1_14partition_implILS5_0ELb0ES3_jN6thrust23THRUST_200600_302600_NS6detail15normal_iteratorINSA_10device_ptrIjEEEEPS6_SG_NS0_5tupleIJNSA_16discard_iteratorINSA_11use_defaultEEESK_EEENSH_IJSG_SG_EEES6_PlJ7is_evenIjEEEE10hipError_tPvRmT3_T4_T5_T6_T7_T9_mT8_P12ihipStream_tbDpT10_ENKUlT_T0_E_clISt17integral_constantIbLb0EES19_EEDaS14_S15_EUlS14_E_NS1_11comp_targetILNS1_3genE0ELNS1_11target_archE4294967295ELNS1_3gpuE0ELNS1_3repE0EEENS1_30default_config_static_selectorELNS0_4arch9wavefront6targetE1EEEvT1_
    .private_segment_fixed_size: 0
    .sgpr_count:     4
    .sgpr_spill_count: 0
    .symbol:         _ZN7rocprim17ROCPRIM_400000_NS6detail17trampoline_kernelINS0_14default_configENS1_25partition_config_selectorILNS1_17partition_subalgoE0EjNS0_10empty_typeEbEEZZNS1_14partition_implILS5_0ELb0ES3_jN6thrust23THRUST_200600_302600_NS6detail15normal_iteratorINSA_10device_ptrIjEEEEPS6_SG_NS0_5tupleIJNSA_16discard_iteratorINSA_11use_defaultEEESK_EEENSH_IJSG_SG_EEES6_PlJ7is_evenIjEEEE10hipError_tPvRmT3_T4_T5_T6_T7_T9_mT8_P12ihipStream_tbDpT10_ENKUlT_T0_E_clISt17integral_constantIbLb0EES19_EEDaS14_S15_EUlS14_E_NS1_11comp_targetILNS1_3genE0ELNS1_11target_archE4294967295ELNS1_3gpuE0ELNS1_3repE0EEENS1_30default_config_static_selectorELNS0_4arch9wavefront6targetE1EEEvT1_.kd
    .uniform_work_group_size: 1
    .uses_dynamic_stack: false
    .vgpr_count:     0
    .vgpr_spill_count: 0
    .wavefront_size: 64
  - .agpr_count:     0
    .args:
      - .offset:         0
        .size:           136
        .value_kind:     by_value
    .group_segment_fixed_size: 0
    .kernarg_segment_align: 8
    .kernarg_segment_size: 136
    .language:       OpenCL C
    .language_version:
      - 2
      - 0
    .max_flat_workgroup_size: 512
    .name:           _ZN7rocprim17ROCPRIM_400000_NS6detail17trampoline_kernelINS0_14default_configENS1_25partition_config_selectorILNS1_17partition_subalgoE0EjNS0_10empty_typeEbEEZZNS1_14partition_implILS5_0ELb0ES3_jN6thrust23THRUST_200600_302600_NS6detail15normal_iteratorINSA_10device_ptrIjEEEEPS6_SG_NS0_5tupleIJNSA_16discard_iteratorINSA_11use_defaultEEESK_EEENSH_IJSG_SG_EEES6_PlJ7is_evenIjEEEE10hipError_tPvRmT3_T4_T5_T6_T7_T9_mT8_P12ihipStream_tbDpT10_ENKUlT_T0_E_clISt17integral_constantIbLb0EES19_EEDaS14_S15_EUlS14_E_NS1_11comp_targetILNS1_3genE5ELNS1_11target_archE942ELNS1_3gpuE9ELNS1_3repE0EEENS1_30default_config_static_selectorELNS0_4arch9wavefront6targetE1EEEvT1_
    .private_segment_fixed_size: 0
    .sgpr_count:     4
    .sgpr_spill_count: 0
    .symbol:         _ZN7rocprim17ROCPRIM_400000_NS6detail17trampoline_kernelINS0_14default_configENS1_25partition_config_selectorILNS1_17partition_subalgoE0EjNS0_10empty_typeEbEEZZNS1_14partition_implILS5_0ELb0ES3_jN6thrust23THRUST_200600_302600_NS6detail15normal_iteratorINSA_10device_ptrIjEEEEPS6_SG_NS0_5tupleIJNSA_16discard_iteratorINSA_11use_defaultEEESK_EEENSH_IJSG_SG_EEES6_PlJ7is_evenIjEEEE10hipError_tPvRmT3_T4_T5_T6_T7_T9_mT8_P12ihipStream_tbDpT10_ENKUlT_T0_E_clISt17integral_constantIbLb0EES19_EEDaS14_S15_EUlS14_E_NS1_11comp_targetILNS1_3genE5ELNS1_11target_archE942ELNS1_3gpuE9ELNS1_3repE0EEENS1_30default_config_static_selectorELNS0_4arch9wavefront6targetE1EEEvT1_.kd
    .uniform_work_group_size: 1
    .uses_dynamic_stack: false
    .vgpr_count:     0
    .vgpr_spill_count: 0
    .wavefront_size: 64
  - .agpr_count:     0
    .args:
      - .offset:         0
        .size:           136
        .value_kind:     by_value
    .group_segment_fixed_size: 10248
    .kernarg_segment_align: 8
    .kernarg_segment_size: 136
    .language:       OpenCL C
    .language_version:
      - 2
      - 0
    .max_flat_workgroup_size: 256
    .name:           _ZN7rocprim17ROCPRIM_400000_NS6detail17trampoline_kernelINS0_14default_configENS1_25partition_config_selectorILNS1_17partition_subalgoE0EjNS0_10empty_typeEbEEZZNS1_14partition_implILS5_0ELb0ES3_jN6thrust23THRUST_200600_302600_NS6detail15normal_iteratorINSA_10device_ptrIjEEEEPS6_SG_NS0_5tupleIJNSA_16discard_iteratorINSA_11use_defaultEEESK_EEENSH_IJSG_SG_EEES6_PlJ7is_evenIjEEEE10hipError_tPvRmT3_T4_T5_T6_T7_T9_mT8_P12ihipStream_tbDpT10_ENKUlT_T0_E_clISt17integral_constantIbLb0EES19_EEDaS14_S15_EUlS14_E_NS1_11comp_targetILNS1_3genE4ELNS1_11target_archE910ELNS1_3gpuE8ELNS1_3repE0EEENS1_30default_config_static_selectorELNS0_4arch9wavefront6targetE1EEEvT1_
    .private_segment_fixed_size: 0
    .sgpr_count:     40
    .sgpr_spill_count: 0
    .symbol:         _ZN7rocprim17ROCPRIM_400000_NS6detail17trampoline_kernelINS0_14default_configENS1_25partition_config_selectorILNS1_17partition_subalgoE0EjNS0_10empty_typeEbEEZZNS1_14partition_implILS5_0ELb0ES3_jN6thrust23THRUST_200600_302600_NS6detail15normal_iteratorINSA_10device_ptrIjEEEEPS6_SG_NS0_5tupleIJNSA_16discard_iteratorINSA_11use_defaultEEESK_EEENSH_IJSG_SG_EEES6_PlJ7is_evenIjEEEE10hipError_tPvRmT3_T4_T5_T6_T7_T9_mT8_P12ihipStream_tbDpT10_ENKUlT_T0_E_clISt17integral_constantIbLb0EES19_EEDaS14_S15_EUlS14_E_NS1_11comp_targetILNS1_3genE4ELNS1_11target_archE910ELNS1_3gpuE8ELNS1_3repE0EEENS1_30default_config_static_selectorELNS0_4arch9wavefront6targetE1EEEvT1_.kd
    .uniform_work_group_size: 1
    .uses_dynamic_stack: false
    .vgpr_count:     53
    .vgpr_spill_count: 0
    .wavefront_size: 64
  - .agpr_count:     0
    .args:
      - .offset:         0
        .size:           136
        .value_kind:     by_value
    .group_segment_fixed_size: 0
    .kernarg_segment_align: 8
    .kernarg_segment_size: 136
    .language:       OpenCL C
    .language_version:
      - 2
      - 0
    .max_flat_workgroup_size: 256
    .name:           _ZN7rocprim17ROCPRIM_400000_NS6detail17trampoline_kernelINS0_14default_configENS1_25partition_config_selectorILNS1_17partition_subalgoE0EjNS0_10empty_typeEbEEZZNS1_14partition_implILS5_0ELb0ES3_jN6thrust23THRUST_200600_302600_NS6detail15normal_iteratorINSA_10device_ptrIjEEEEPS6_SG_NS0_5tupleIJNSA_16discard_iteratorINSA_11use_defaultEEESK_EEENSH_IJSG_SG_EEES6_PlJ7is_evenIjEEEE10hipError_tPvRmT3_T4_T5_T6_T7_T9_mT8_P12ihipStream_tbDpT10_ENKUlT_T0_E_clISt17integral_constantIbLb0EES19_EEDaS14_S15_EUlS14_E_NS1_11comp_targetILNS1_3genE3ELNS1_11target_archE908ELNS1_3gpuE7ELNS1_3repE0EEENS1_30default_config_static_selectorELNS0_4arch9wavefront6targetE1EEEvT1_
    .private_segment_fixed_size: 0
    .sgpr_count:     4
    .sgpr_spill_count: 0
    .symbol:         _ZN7rocprim17ROCPRIM_400000_NS6detail17trampoline_kernelINS0_14default_configENS1_25partition_config_selectorILNS1_17partition_subalgoE0EjNS0_10empty_typeEbEEZZNS1_14partition_implILS5_0ELb0ES3_jN6thrust23THRUST_200600_302600_NS6detail15normal_iteratorINSA_10device_ptrIjEEEEPS6_SG_NS0_5tupleIJNSA_16discard_iteratorINSA_11use_defaultEEESK_EEENSH_IJSG_SG_EEES6_PlJ7is_evenIjEEEE10hipError_tPvRmT3_T4_T5_T6_T7_T9_mT8_P12ihipStream_tbDpT10_ENKUlT_T0_E_clISt17integral_constantIbLb0EES19_EEDaS14_S15_EUlS14_E_NS1_11comp_targetILNS1_3genE3ELNS1_11target_archE908ELNS1_3gpuE7ELNS1_3repE0EEENS1_30default_config_static_selectorELNS0_4arch9wavefront6targetE1EEEvT1_.kd
    .uniform_work_group_size: 1
    .uses_dynamic_stack: false
    .vgpr_count:     0
    .vgpr_spill_count: 0
    .wavefront_size: 64
  - .agpr_count:     0
    .args:
      - .offset:         0
        .size:           136
        .value_kind:     by_value
    .group_segment_fixed_size: 0
    .kernarg_segment_align: 8
    .kernarg_segment_size: 136
    .language:       OpenCL C
    .language_version:
      - 2
      - 0
    .max_flat_workgroup_size: 192
    .name:           _ZN7rocprim17ROCPRIM_400000_NS6detail17trampoline_kernelINS0_14default_configENS1_25partition_config_selectorILNS1_17partition_subalgoE0EjNS0_10empty_typeEbEEZZNS1_14partition_implILS5_0ELb0ES3_jN6thrust23THRUST_200600_302600_NS6detail15normal_iteratorINSA_10device_ptrIjEEEEPS6_SG_NS0_5tupleIJNSA_16discard_iteratorINSA_11use_defaultEEESK_EEENSH_IJSG_SG_EEES6_PlJ7is_evenIjEEEE10hipError_tPvRmT3_T4_T5_T6_T7_T9_mT8_P12ihipStream_tbDpT10_ENKUlT_T0_E_clISt17integral_constantIbLb0EES19_EEDaS14_S15_EUlS14_E_NS1_11comp_targetILNS1_3genE2ELNS1_11target_archE906ELNS1_3gpuE6ELNS1_3repE0EEENS1_30default_config_static_selectorELNS0_4arch9wavefront6targetE1EEEvT1_
    .private_segment_fixed_size: 0
    .sgpr_count:     4
    .sgpr_spill_count: 0
    .symbol:         _ZN7rocprim17ROCPRIM_400000_NS6detail17trampoline_kernelINS0_14default_configENS1_25partition_config_selectorILNS1_17partition_subalgoE0EjNS0_10empty_typeEbEEZZNS1_14partition_implILS5_0ELb0ES3_jN6thrust23THRUST_200600_302600_NS6detail15normal_iteratorINSA_10device_ptrIjEEEEPS6_SG_NS0_5tupleIJNSA_16discard_iteratorINSA_11use_defaultEEESK_EEENSH_IJSG_SG_EEES6_PlJ7is_evenIjEEEE10hipError_tPvRmT3_T4_T5_T6_T7_T9_mT8_P12ihipStream_tbDpT10_ENKUlT_T0_E_clISt17integral_constantIbLb0EES19_EEDaS14_S15_EUlS14_E_NS1_11comp_targetILNS1_3genE2ELNS1_11target_archE906ELNS1_3gpuE6ELNS1_3repE0EEENS1_30default_config_static_selectorELNS0_4arch9wavefront6targetE1EEEvT1_.kd
    .uniform_work_group_size: 1
    .uses_dynamic_stack: false
    .vgpr_count:     0
    .vgpr_spill_count: 0
    .wavefront_size: 64
  - .agpr_count:     0
    .args:
      - .offset:         0
        .size:           136
        .value_kind:     by_value
    .group_segment_fixed_size: 0
    .kernarg_segment_align: 8
    .kernarg_segment_size: 136
    .language:       OpenCL C
    .language_version:
      - 2
      - 0
    .max_flat_workgroup_size: 512
    .name:           _ZN7rocprim17ROCPRIM_400000_NS6detail17trampoline_kernelINS0_14default_configENS1_25partition_config_selectorILNS1_17partition_subalgoE0EjNS0_10empty_typeEbEEZZNS1_14partition_implILS5_0ELb0ES3_jN6thrust23THRUST_200600_302600_NS6detail15normal_iteratorINSA_10device_ptrIjEEEEPS6_SG_NS0_5tupleIJNSA_16discard_iteratorINSA_11use_defaultEEESK_EEENSH_IJSG_SG_EEES6_PlJ7is_evenIjEEEE10hipError_tPvRmT3_T4_T5_T6_T7_T9_mT8_P12ihipStream_tbDpT10_ENKUlT_T0_E_clISt17integral_constantIbLb0EES19_EEDaS14_S15_EUlS14_E_NS1_11comp_targetILNS1_3genE10ELNS1_11target_archE1200ELNS1_3gpuE4ELNS1_3repE0EEENS1_30default_config_static_selectorELNS0_4arch9wavefront6targetE1EEEvT1_
    .private_segment_fixed_size: 0
    .sgpr_count:     4
    .sgpr_spill_count: 0
    .symbol:         _ZN7rocprim17ROCPRIM_400000_NS6detail17trampoline_kernelINS0_14default_configENS1_25partition_config_selectorILNS1_17partition_subalgoE0EjNS0_10empty_typeEbEEZZNS1_14partition_implILS5_0ELb0ES3_jN6thrust23THRUST_200600_302600_NS6detail15normal_iteratorINSA_10device_ptrIjEEEEPS6_SG_NS0_5tupleIJNSA_16discard_iteratorINSA_11use_defaultEEESK_EEENSH_IJSG_SG_EEES6_PlJ7is_evenIjEEEE10hipError_tPvRmT3_T4_T5_T6_T7_T9_mT8_P12ihipStream_tbDpT10_ENKUlT_T0_E_clISt17integral_constantIbLb0EES19_EEDaS14_S15_EUlS14_E_NS1_11comp_targetILNS1_3genE10ELNS1_11target_archE1200ELNS1_3gpuE4ELNS1_3repE0EEENS1_30default_config_static_selectorELNS0_4arch9wavefront6targetE1EEEvT1_.kd
    .uniform_work_group_size: 1
    .uses_dynamic_stack: false
    .vgpr_count:     0
    .vgpr_spill_count: 0
    .wavefront_size: 64
  - .agpr_count:     0
    .args:
      - .offset:         0
        .size:           136
        .value_kind:     by_value
    .group_segment_fixed_size: 0
    .kernarg_segment_align: 8
    .kernarg_segment_size: 136
    .language:       OpenCL C
    .language_version:
      - 2
      - 0
    .max_flat_workgroup_size: 128
    .name:           _ZN7rocprim17ROCPRIM_400000_NS6detail17trampoline_kernelINS0_14default_configENS1_25partition_config_selectorILNS1_17partition_subalgoE0EjNS0_10empty_typeEbEEZZNS1_14partition_implILS5_0ELb0ES3_jN6thrust23THRUST_200600_302600_NS6detail15normal_iteratorINSA_10device_ptrIjEEEEPS6_SG_NS0_5tupleIJNSA_16discard_iteratorINSA_11use_defaultEEESK_EEENSH_IJSG_SG_EEES6_PlJ7is_evenIjEEEE10hipError_tPvRmT3_T4_T5_T6_T7_T9_mT8_P12ihipStream_tbDpT10_ENKUlT_T0_E_clISt17integral_constantIbLb0EES19_EEDaS14_S15_EUlS14_E_NS1_11comp_targetILNS1_3genE9ELNS1_11target_archE1100ELNS1_3gpuE3ELNS1_3repE0EEENS1_30default_config_static_selectorELNS0_4arch9wavefront6targetE1EEEvT1_
    .private_segment_fixed_size: 0
    .sgpr_count:     4
    .sgpr_spill_count: 0
    .symbol:         _ZN7rocprim17ROCPRIM_400000_NS6detail17trampoline_kernelINS0_14default_configENS1_25partition_config_selectorILNS1_17partition_subalgoE0EjNS0_10empty_typeEbEEZZNS1_14partition_implILS5_0ELb0ES3_jN6thrust23THRUST_200600_302600_NS6detail15normal_iteratorINSA_10device_ptrIjEEEEPS6_SG_NS0_5tupleIJNSA_16discard_iteratorINSA_11use_defaultEEESK_EEENSH_IJSG_SG_EEES6_PlJ7is_evenIjEEEE10hipError_tPvRmT3_T4_T5_T6_T7_T9_mT8_P12ihipStream_tbDpT10_ENKUlT_T0_E_clISt17integral_constantIbLb0EES19_EEDaS14_S15_EUlS14_E_NS1_11comp_targetILNS1_3genE9ELNS1_11target_archE1100ELNS1_3gpuE3ELNS1_3repE0EEENS1_30default_config_static_selectorELNS0_4arch9wavefront6targetE1EEEvT1_.kd
    .uniform_work_group_size: 1
    .uses_dynamic_stack: false
    .vgpr_count:     0
    .vgpr_spill_count: 0
    .wavefront_size: 64
  - .agpr_count:     0
    .args:
      - .offset:         0
        .size:           136
        .value_kind:     by_value
    .group_segment_fixed_size: 0
    .kernarg_segment_align: 8
    .kernarg_segment_size: 136
    .language:       OpenCL C
    .language_version:
      - 2
      - 0
    .max_flat_workgroup_size: 512
    .name:           _ZN7rocprim17ROCPRIM_400000_NS6detail17trampoline_kernelINS0_14default_configENS1_25partition_config_selectorILNS1_17partition_subalgoE0EjNS0_10empty_typeEbEEZZNS1_14partition_implILS5_0ELb0ES3_jN6thrust23THRUST_200600_302600_NS6detail15normal_iteratorINSA_10device_ptrIjEEEEPS6_SG_NS0_5tupleIJNSA_16discard_iteratorINSA_11use_defaultEEESK_EEENSH_IJSG_SG_EEES6_PlJ7is_evenIjEEEE10hipError_tPvRmT3_T4_T5_T6_T7_T9_mT8_P12ihipStream_tbDpT10_ENKUlT_T0_E_clISt17integral_constantIbLb0EES19_EEDaS14_S15_EUlS14_E_NS1_11comp_targetILNS1_3genE8ELNS1_11target_archE1030ELNS1_3gpuE2ELNS1_3repE0EEENS1_30default_config_static_selectorELNS0_4arch9wavefront6targetE1EEEvT1_
    .private_segment_fixed_size: 0
    .sgpr_count:     4
    .sgpr_spill_count: 0
    .symbol:         _ZN7rocprim17ROCPRIM_400000_NS6detail17trampoline_kernelINS0_14default_configENS1_25partition_config_selectorILNS1_17partition_subalgoE0EjNS0_10empty_typeEbEEZZNS1_14partition_implILS5_0ELb0ES3_jN6thrust23THRUST_200600_302600_NS6detail15normal_iteratorINSA_10device_ptrIjEEEEPS6_SG_NS0_5tupleIJNSA_16discard_iteratorINSA_11use_defaultEEESK_EEENSH_IJSG_SG_EEES6_PlJ7is_evenIjEEEE10hipError_tPvRmT3_T4_T5_T6_T7_T9_mT8_P12ihipStream_tbDpT10_ENKUlT_T0_E_clISt17integral_constantIbLb0EES19_EEDaS14_S15_EUlS14_E_NS1_11comp_targetILNS1_3genE8ELNS1_11target_archE1030ELNS1_3gpuE2ELNS1_3repE0EEENS1_30default_config_static_selectorELNS0_4arch9wavefront6targetE1EEEvT1_.kd
    .uniform_work_group_size: 1
    .uses_dynamic_stack: false
    .vgpr_count:     0
    .vgpr_spill_count: 0
    .wavefront_size: 64
  - .agpr_count:     0
    .args:
      - .offset:         0
        .size:           152
        .value_kind:     by_value
    .group_segment_fixed_size: 0
    .kernarg_segment_align: 8
    .kernarg_segment_size: 152
    .language:       OpenCL C
    .language_version:
      - 2
      - 0
    .max_flat_workgroup_size: 256
    .name:           _ZN7rocprim17ROCPRIM_400000_NS6detail17trampoline_kernelINS0_14default_configENS1_25partition_config_selectorILNS1_17partition_subalgoE0EjNS0_10empty_typeEbEEZZNS1_14partition_implILS5_0ELb0ES3_jN6thrust23THRUST_200600_302600_NS6detail15normal_iteratorINSA_10device_ptrIjEEEEPS6_SG_NS0_5tupleIJNSA_16discard_iteratorINSA_11use_defaultEEESK_EEENSH_IJSG_SG_EEES6_PlJ7is_evenIjEEEE10hipError_tPvRmT3_T4_T5_T6_T7_T9_mT8_P12ihipStream_tbDpT10_ENKUlT_T0_E_clISt17integral_constantIbLb1EES19_EEDaS14_S15_EUlS14_E_NS1_11comp_targetILNS1_3genE0ELNS1_11target_archE4294967295ELNS1_3gpuE0ELNS1_3repE0EEENS1_30default_config_static_selectorELNS0_4arch9wavefront6targetE1EEEvT1_
    .private_segment_fixed_size: 0
    .sgpr_count:     4
    .sgpr_spill_count: 0
    .symbol:         _ZN7rocprim17ROCPRIM_400000_NS6detail17trampoline_kernelINS0_14default_configENS1_25partition_config_selectorILNS1_17partition_subalgoE0EjNS0_10empty_typeEbEEZZNS1_14partition_implILS5_0ELb0ES3_jN6thrust23THRUST_200600_302600_NS6detail15normal_iteratorINSA_10device_ptrIjEEEEPS6_SG_NS0_5tupleIJNSA_16discard_iteratorINSA_11use_defaultEEESK_EEENSH_IJSG_SG_EEES6_PlJ7is_evenIjEEEE10hipError_tPvRmT3_T4_T5_T6_T7_T9_mT8_P12ihipStream_tbDpT10_ENKUlT_T0_E_clISt17integral_constantIbLb1EES19_EEDaS14_S15_EUlS14_E_NS1_11comp_targetILNS1_3genE0ELNS1_11target_archE4294967295ELNS1_3gpuE0ELNS1_3repE0EEENS1_30default_config_static_selectorELNS0_4arch9wavefront6targetE1EEEvT1_.kd
    .uniform_work_group_size: 1
    .uses_dynamic_stack: false
    .vgpr_count:     0
    .vgpr_spill_count: 0
    .wavefront_size: 64
  - .agpr_count:     0
    .args:
      - .offset:         0
        .size:           152
        .value_kind:     by_value
    .group_segment_fixed_size: 0
    .kernarg_segment_align: 8
    .kernarg_segment_size: 152
    .language:       OpenCL C
    .language_version:
      - 2
      - 0
    .max_flat_workgroup_size: 512
    .name:           _ZN7rocprim17ROCPRIM_400000_NS6detail17trampoline_kernelINS0_14default_configENS1_25partition_config_selectorILNS1_17partition_subalgoE0EjNS0_10empty_typeEbEEZZNS1_14partition_implILS5_0ELb0ES3_jN6thrust23THRUST_200600_302600_NS6detail15normal_iteratorINSA_10device_ptrIjEEEEPS6_SG_NS0_5tupleIJNSA_16discard_iteratorINSA_11use_defaultEEESK_EEENSH_IJSG_SG_EEES6_PlJ7is_evenIjEEEE10hipError_tPvRmT3_T4_T5_T6_T7_T9_mT8_P12ihipStream_tbDpT10_ENKUlT_T0_E_clISt17integral_constantIbLb1EES19_EEDaS14_S15_EUlS14_E_NS1_11comp_targetILNS1_3genE5ELNS1_11target_archE942ELNS1_3gpuE9ELNS1_3repE0EEENS1_30default_config_static_selectorELNS0_4arch9wavefront6targetE1EEEvT1_
    .private_segment_fixed_size: 0
    .sgpr_count:     4
    .sgpr_spill_count: 0
    .symbol:         _ZN7rocprim17ROCPRIM_400000_NS6detail17trampoline_kernelINS0_14default_configENS1_25partition_config_selectorILNS1_17partition_subalgoE0EjNS0_10empty_typeEbEEZZNS1_14partition_implILS5_0ELb0ES3_jN6thrust23THRUST_200600_302600_NS6detail15normal_iteratorINSA_10device_ptrIjEEEEPS6_SG_NS0_5tupleIJNSA_16discard_iteratorINSA_11use_defaultEEESK_EEENSH_IJSG_SG_EEES6_PlJ7is_evenIjEEEE10hipError_tPvRmT3_T4_T5_T6_T7_T9_mT8_P12ihipStream_tbDpT10_ENKUlT_T0_E_clISt17integral_constantIbLb1EES19_EEDaS14_S15_EUlS14_E_NS1_11comp_targetILNS1_3genE5ELNS1_11target_archE942ELNS1_3gpuE9ELNS1_3repE0EEENS1_30default_config_static_selectorELNS0_4arch9wavefront6targetE1EEEvT1_.kd
    .uniform_work_group_size: 1
    .uses_dynamic_stack: false
    .vgpr_count:     0
    .vgpr_spill_count: 0
    .wavefront_size: 64
  - .agpr_count:     0
    .args:
      - .offset:         0
        .size:           152
        .value_kind:     by_value
    .group_segment_fixed_size: 10248
    .kernarg_segment_align: 8
    .kernarg_segment_size: 152
    .language:       OpenCL C
    .language_version:
      - 2
      - 0
    .max_flat_workgroup_size: 256
    .name:           _ZN7rocprim17ROCPRIM_400000_NS6detail17trampoline_kernelINS0_14default_configENS1_25partition_config_selectorILNS1_17partition_subalgoE0EjNS0_10empty_typeEbEEZZNS1_14partition_implILS5_0ELb0ES3_jN6thrust23THRUST_200600_302600_NS6detail15normal_iteratorINSA_10device_ptrIjEEEEPS6_SG_NS0_5tupleIJNSA_16discard_iteratorINSA_11use_defaultEEESK_EEENSH_IJSG_SG_EEES6_PlJ7is_evenIjEEEE10hipError_tPvRmT3_T4_T5_T6_T7_T9_mT8_P12ihipStream_tbDpT10_ENKUlT_T0_E_clISt17integral_constantIbLb1EES19_EEDaS14_S15_EUlS14_E_NS1_11comp_targetILNS1_3genE4ELNS1_11target_archE910ELNS1_3gpuE8ELNS1_3repE0EEENS1_30default_config_static_selectorELNS0_4arch9wavefront6targetE1EEEvT1_
    .private_segment_fixed_size: 0
    .sgpr_count:     40
    .sgpr_spill_count: 0
    .symbol:         _ZN7rocprim17ROCPRIM_400000_NS6detail17trampoline_kernelINS0_14default_configENS1_25partition_config_selectorILNS1_17partition_subalgoE0EjNS0_10empty_typeEbEEZZNS1_14partition_implILS5_0ELb0ES3_jN6thrust23THRUST_200600_302600_NS6detail15normal_iteratorINSA_10device_ptrIjEEEEPS6_SG_NS0_5tupleIJNSA_16discard_iteratorINSA_11use_defaultEEESK_EEENSH_IJSG_SG_EEES6_PlJ7is_evenIjEEEE10hipError_tPvRmT3_T4_T5_T6_T7_T9_mT8_P12ihipStream_tbDpT10_ENKUlT_T0_E_clISt17integral_constantIbLb1EES19_EEDaS14_S15_EUlS14_E_NS1_11comp_targetILNS1_3genE4ELNS1_11target_archE910ELNS1_3gpuE8ELNS1_3repE0EEENS1_30default_config_static_selectorELNS0_4arch9wavefront6targetE1EEEvT1_.kd
    .uniform_work_group_size: 1
    .uses_dynamic_stack: false
    .vgpr_count:     55
    .vgpr_spill_count: 0
    .wavefront_size: 64
  - .agpr_count:     0
    .args:
      - .offset:         0
        .size:           152
        .value_kind:     by_value
    .group_segment_fixed_size: 0
    .kernarg_segment_align: 8
    .kernarg_segment_size: 152
    .language:       OpenCL C
    .language_version:
      - 2
      - 0
    .max_flat_workgroup_size: 256
    .name:           _ZN7rocprim17ROCPRIM_400000_NS6detail17trampoline_kernelINS0_14default_configENS1_25partition_config_selectorILNS1_17partition_subalgoE0EjNS0_10empty_typeEbEEZZNS1_14partition_implILS5_0ELb0ES3_jN6thrust23THRUST_200600_302600_NS6detail15normal_iteratorINSA_10device_ptrIjEEEEPS6_SG_NS0_5tupleIJNSA_16discard_iteratorINSA_11use_defaultEEESK_EEENSH_IJSG_SG_EEES6_PlJ7is_evenIjEEEE10hipError_tPvRmT3_T4_T5_T6_T7_T9_mT8_P12ihipStream_tbDpT10_ENKUlT_T0_E_clISt17integral_constantIbLb1EES19_EEDaS14_S15_EUlS14_E_NS1_11comp_targetILNS1_3genE3ELNS1_11target_archE908ELNS1_3gpuE7ELNS1_3repE0EEENS1_30default_config_static_selectorELNS0_4arch9wavefront6targetE1EEEvT1_
    .private_segment_fixed_size: 0
    .sgpr_count:     4
    .sgpr_spill_count: 0
    .symbol:         _ZN7rocprim17ROCPRIM_400000_NS6detail17trampoline_kernelINS0_14default_configENS1_25partition_config_selectorILNS1_17partition_subalgoE0EjNS0_10empty_typeEbEEZZNS1_14partition_implILS5_0ELb0ES3_jN6thrust23THRUST_200600_302600_NS6detail15normal_iteratorINSA_10device_ptrIjEEEEPS6_SG_NS0_5tupleIJNSA_16discard_iteratorINSA_11use_defaultEEESK_EEENSH_IJSG_SG_EEES6_PlJ7is_evenIjEEEE10hipError_tPvRmT3_T4_T5_T6_T7_T9_mT8_P12ihipStream_tbDpT10_ENKUlT_T0_E_clISt17integral_constantIbLb1EES19_EEDaS14_S15_EUlS14_E_NS1_11comp_targetILNS1_3genE3ELNS1_11target_archE908ELNS1_3gpuE7ELNS1_3repE0EEENS1_30default_config_static_selectorELNS0_4arch9wavefront6targetE1EEEvT1_.kd
    .uniform_work_group_size: 1
    .uses_dynamic_stack: false
    .vgpr_count:     0
    .vgpr_spill_count: 0
    .wavefront_size: 64
  - .agpr_count:     0
    .args:
      - .offset:         0
        .size:           152
        .value_kind:     by_value
    .group_segment_fixed_size: 0
    .kernarg_segment_align: 8
    .kernarg_segment_size: 152
    .language:       OpenCL C
    .language_version:
      - 2
      - 0
    .max_flat_workgroup_size: 192
    .name:           _ZN7rocprim17ROCPRIM_400000_NS6detail17trampoline_kernelINS0_14default_configENS1_25partition_config_selectorILNS1_17partition_subalgoE0EjNS0_10empty_typeEbEEZZNS1_14partition_implILS5_0ELb0ES3_jN6thrust23THRUST_200600_302600_NS6detail15normal_iteratorINSA_10device_ptrIjEEEEPS6_SG_NS0_5tupleIJNSA_16discard_iteratorINSA_11use_defaultEEESK_EEENSH_IJSG_SG_EEES6_PlJ7is_evenIjEEEE10hipError_tPvRmT3_T4_T5_T6_T7_T9_mT8_P12ihipStream_tbDpT10_ENKUlT_T0_E_clISt17integral_constantIbLb1EES19_EEDaS14_S15_EUlS14_E_NS1_11comp_targetILNS1_3genE2ELNS1_11target_archE906ELNS1_3gpuE6ELNS1_3repE0EEENS1_30default_config_static_selectorELNS0_4arch9wavefront6targetE1EEEvT1_
    .private_segment_fixed_size: 0
    .sgpr_count:     4
    .sgpr_spill_count: 0
    .symbol:         _ZN7rocprim17ROCPRIM_400000_NS6detail17trampoline_kernelINS0_14default_configENS1_25partition_config_selectorILNS1_17partition_subalgoE0EjNS0_10empty_typeEbEEZZNS1_14partition_implILS5_0ELb0ES3_jN6thrust23THRUST_200600_302600_NS6detail15normal_iteratorINSA_10device_ptrIjEEEEPS6_SG_NS0_5tupleIJNSA_16discard_iteratorINSA_11use_defaultEEESK_EEENSH_IJSG_SG_EEES6_PlJ7is_evenIjEEEE10hipError_tPvRmT3_T4_T5_T6_T7_T9_mT8_P12ihipStream_tbDpT10_ENKUlT_T0_E_clISt17integral_constantIbLb1EES19_EEDaS14_S15_EUlS14_E_NS1_11comp_targetILNS1_3genE2ELNS1_11target_archE906ELNS1_3gpuE6ELNS1_3repE0EEENS1_30default_config_static_selectorELNS0_4arch9wavefront6targetE1EEEvT1_.kd
    .uniform_work_group_size: 1
    .uses_dynamic_stack: false
    .vgpr_count:     0
    .vgpr_spill_count: 0
    .wavefront_size: 64
  - .agpr_count:     0
    .args:
      - .offset:         0
        .size:           152
        .value_kind:     by_value
    .group_segment_fixed_size: 0
    .kernarg_segment_align: 8
    .kernarg_segment_size: 152
    .language:       OpenCL C
    .language_version:
      - 2
      - 0
    .max_flat_workgroup_size: 512
    .name:           _ZN7rocprim17ROCPRIM_400000_NS6detail17trampoline_kernelINS0_14default_configENS1_25partition_config_selectorILNS1_17partition_subalgoE0EjNS0_10empty_typeEbEEZZNS1_14partition_implILS5_0ELb0ES3_jN6thrust23THRUST_200600_302600_NS6detail15normal_iteratorINSA_10device_ptrIjEEEEPS6_SG_NS0_5tupleIJNSA_16discard_iteratorINSA_11use_defaultEEESK_EEENSH_IJSG_SG_EEES6_PlJ7is_evenIjEEEE10hipError_tPvRmT3_T4_T5_T6_T7_T9_mT8_P12ihipStream_tbDpT10_ENKUlT_T0_E_clISt17integral_constantIbLb1EES19_EEDaS14_S15_EUlS14_E_NS1_11comp_targetILNS1_3genE10ELNS1_11target_archE1200ELNS1_3gpuE4ELNS1_3repE0EEENS1_30default_config_static_selectorELNS0_4arch9wavefront6targetE1EEEvT1_
    .private_segment_fixed_size: 0
    .sgpr_count:     4
    .sgpr_spill_count: 0
    .symbol:         _ZN7rocprim17ROCPRIM_400000_NS6detail17trampoline_kernelINS0_14default_configENS1_25partition_config_selectorILNS1_17partition_subalgoE0EjNS0_10empty_typeEbEEZZNS1_14partition_implILS5_0ELb0ES3_jN6thrust23THRUST_200600_302600_NS6detail15normal_iteratorINSA_10device_ptrIjEEEEPS6_SG_NS0_5tupleIJNSA_16discard_iteratorINSA_11use_defaultEEESK_EEENSH_IJSG_SG_EEES6_PlJ7is_evenIjEEEE10hipError_tPvRmT3_T4_T5_T6_T7_T9_mT8_P12ihipStream_tbDpT10_ENKUlT_T0_E_clISt17integral_constantIbLb1EES19_EEDaS14_S15_EUlS14_E_NS1_11comp_targetILNS1_3genE10ELNS1_11target_archE1200ELNS1_3gpuE4ELNS1_3repE0EEENS1_30default_config_static_selectorELNS0_4arch9wavefront6targetE1EEEvT1_.kd
    .uniform_work_group_size: 1
    .uses_dynamic_stack: false
    .vgpr_count:     0
    .vgpr_spill_count: 0
    .wavefront_size: 64
  - .agpr_count:     0
    .args:
      - .offset:         0
        .size:           152
        .value_kind:     by_value
    .group_segment_fixed_size: 0
    .kernarg_segment_align: 8
    .kernarg_segment_size: 152
    .language:       OpenCL C
    .language_version:
      - 2
      - 0
    .max_flat_workgroup_size: 128
    .name:           _ZN7rocprim17ROCPRIM_400000_NS6detail17trampoline_kernelINS0_14default_configENS1_25partition_config_selectorILNS1_17partition_subalgoE0EjNS0_10empty_typeEbEEZZNS1_14partition_implILS5_0ELb0ES3_jN6thrust23THRUST_200600_302600_NS6detail15normal_iteratorINSA_10device_ptrIjEEEEPS6_SG_NS0_5tupleIJNSA_16discard_iteratorINSA_11use_defaultEEESK_EEENSH_IJSG_SG_EEES6_PlJ7is_evenIjEEEE10hipError_tPvRmT3_T4_T5_T6_T7_T9_mT8_P12ihipStream_tbDpT10_ENKUlT_T0_E_clISt17integral_constantIbLb1EES19_EEDaS14_S15_EUlS14_E_NS1_11comp_targetILNS1_3genE9ELNS1_11target_archE1100ELNS1_3gpuE3ELNS1_3repE0EEENS1_30default_config_static_selectorELNS0_4arch9wavefront6targetE1EEEvT1_
    .private_segment_fixed_size: 0
    .sgpr_count:     4
    .sgpr_spill_count: 0
    .symbol:         _ZN7rocprim17ROCPRIM_400000_NS6detail17trampoline_kernelINS0_14default_configENS1_25partition_config_selectorILNS1_17partition_subalgoE0EjNS0_10empty_typeEbEEZZNS1_14partition_implILS5_0ELb0ES3_jN6thrust23THRUST_200600_302600_NS6detail15normal_iteratorINSA_10device_ptrIjEEEEPS6_SG_NS0_5tupleIJNSA_16discard_iteratorINSA_11use_defaultEEESK_EEENSH_IJSG_SG_EEES6_PlJ7is_evenIjEEEE10hipError_tPvRmT3_T4_T5_T6_T7_T9_mT8_P12ihipStream_tbDpT10_ENKUlT_T0_E_clISt17integral_constantIbLb1EES19_EEDaS14_S15_EUlS14_E_NS1_11comp_targetILNS1_3genE9ELNS1_11target_archE1100ELNS1_3gpuE3ELNS1_3repE0EEENS1_30default_config_static_selectorELNS0_4arch9wavefront6targetE1EEEvT1_.kd
    .uniform_work_group_size: 1
    .uses_dynamic_stack: false
    .vgpr_count:     0
    .vgpr_spill_count: 0
    .wavefront_size: 64
  - .agpr_count:     0
    .args:
      - .offset:         0
        .size:           152
        .value_kind:     by_value
    .group_segment_fixed_size: 0
    .kernarg_segment_align: 8
    .kernarg_segment_size: 152
    .language:       OpenCL C
    .language_version:
      - 2
      - 0
    .max_flat_workgroup_size: 512
    .name:           _ZN7rocprim17ROCPRIM_400000_NS6detail17trampoline_kernelINS0_14default_configENS1_25partition_config_selectorILNS1_17partition_subalgoE0EjNS0_10empty_typeEbEEZZNS1_14partition_implILS5_0ELb0ES3_jN6thrust23THRUST_200600_302600_NS6detail15normal_iteratorINSA_10device_ptrIjEEEEPS6_SG_NS0_5tupleIJNSA_16discard_iteratorINSA_11use_defaultEEESK_EEENSH_IJSG_SG_EEES6_PlJ7is_evenIjEEEE10hipError_tPvRmT3_T4_T5_T6_T7_T9_mT8_P12ihipStream_tbDpT10_ENKUlT_T0_E_clISt17integral_constantIbLb1EES19_EEDaS14_S15_EUlS14_E_NS1_11comp_targetILNS1_3genE8ELNS1_11target_archE1030ELNS1_3gpuE2ELNS1_3repE0EEENS1_30default_config_static_selectorELNS0_4arch9wavefront6targetE1EEEvT1_
    .private_segment_fixed_size: 0
    .sgpr_count:     4
    .sgpr_spill_count: 0
    .symbol:         _ZN7rocprim17ROCPRIM_400000_NS6detail17trampoline_kernelINS0_14default_configENS1_25partition_config_selectorILNS1_17partition_subalgoE0EjNS0_10empty_typeEbEEZZNS1_14partition_implILS5_0ELb0ES3_jN6thrust23THRUST_200600_302600_NS6detail15normal_iteratorINSA_10device_ptrIjEEEEPS6_SG_NS0_5tupleIJNSA_16discard_iteratorINSA_11use_defaultEEESK_EEENSH_IJSG_SG_EEES6_PlJ7is_evenIjEEEE10hipError_tPvRmT3_T4_T5_T6_T7_T9_mT8_P12ihipStream_tbDpT10_ENKUlT_T0_E_clISt17integral_constantIbLb1EES19_EEDaS14_S15_EUlS14_E_NS1_11comp_targetILNS1_3genE8ELNS1_11target_archE1030ELNS1_3gpuE2ELNS1_3repE0EEENS1_30default_config_static_selectorELNS0_4arch9wavefront6targetE1EEEvT1_.kd
    .uniform_work_group_size: 1
    .uses_dynamic_stack: false
    .vgpr_count:     0
    .vgpr_spill_count: 0
    .wavefront_size: 64
  - .agpr_count:     0
    .args:
      - .offset:         0
        .size:           136
        .value_kind:     by_value
    .group_segment_fixed_size: 0
    .kernarg_segment_align: 8
    .kernarg_segment_size: 136
    .language:       OpenCL C
    .language_version:
      - 2
      - 0
    .max_flat_workgroup_size: 256
    .name:           _ZN7rocprim17ROCPRIM_400000_NS6detail17trampoline_kernelINS0_14default_configENS1_25partition_config_selectorILNS1_17partition_subalgoE0EjNS0_10empty_typeEbEEZZNS1_14partition_implILS5_0ELb0ES3_jN6thrust23THRUST_200600_302600_NS6detail15normal_iteratorINSA_10device_ptrIjEEEEPS6_SG_NS0_5tupleIJNSA_16discard_iteratorINSA_11use_defaultEEESK_EEENSH_IJSG_SG_EEES6_PlJ7is_evenIjEEEE10hipError_tPvRmT3_T4_T5_T6_T7_T9_mT8_P12ihipStream_tbDpT10_ENKUlT_T0_E_clISt17integral_constantIbLb1EES18_IbLb0EEEEDaS14_S15_EUlS14_E_NS1_11comp_targetILNS1_3genE0ELNS1_11target_archE4294967295ELNS1_3gpuE0ELNS1_3repE0EEENS1_30default_config_static_selectorELNS0_4arch9wavefront6targetE1EEEvT1_
    .private_segment_fixed_size: 0
    .sgpr_count:     4
    .sgpr_spill_count: 0
    .symbol:         _ZN7rocprim17ROCPRIM_400000_NS6detail17trampoline_kernelINS0_14default_configENS1_25partition_config_selectorILNS1_17partition_subalgoE0EjNS0_10empty_typeEbEEZZNS1_14partition_implILS5_0ELb0ES3_jN6thrust23THRUST_200600_302600_NS6detail15normal_iteratorINSA_10device_ptrIjEEEEPS6_SG_NS0_5tupleIJNSA_16discard_iteratorINSA_11use_defaultEEESK_EEENSH_IJSG_SG_EEES6_PlJ7is_evenIjEEEE10hipError_tPvRmT3_T4_T5_T6_T7_T9_mT8_P12ihipStream_tbDpT10_ENKUlT_T0_E_clISt17integral_constantIbLb1EES18_IbLb0EEEEDaS14_S15_EUlS14_E_NS1_11comp_targetILNS1_3genE0ELNS1_11target_archE4294967295ELNS1_3gpuE0ELNS1_3repE0EEENS1_30default_config_static_selectorELNS0_4arch9wavefront6targetE1EEEvT1_.kd
    .uniform_work_group_size: 1
    .uses_dynamic_stack: false
    .vgpr_count:     0
    .vgpr_spill_count: 0
    .wavefront_size: 64
  - .agpr_count:     0
    .args:
      - .offset:         0
        .size:           136
        .value_kind:     by_value
    .group_segment_fixed_size: 0
    .kernarg_segment_align: 8
    .kernarg_segment_size: 136
    .language:       OpenCL C
    .language_version:
      - 2
      - 0
    .max_flat_workgroup_size: 512
    .name:           _ZN7rocprim17ROCPRIM_400000_NS6detail17trampoline_kernelINS0_14default_configENS1_25partition_config_selectorILNS1_17partition_subalgoE0EjNS0_10empty_typeEbEEZZNS1_14partition_implILS5_0ELb0ES3_jN6thrust23THRUST_200600_302600_NS6detail15normal_iteratorINSA_10device_ptrIjEEEEPS6_SG_NS0_5tupleIJNSA_16discard_iteratorINSA_11use_defaultEEESK_EEENSH_IJSG_SG_EEES6_PlJ7is_evenIjEEEE10hipError_tPvRmT3_T4_T5_T6_T7_T9_mT8_P12ihipStream_tbDpT10_ENKUlT_T0_E_clISt17integral_constantIbLb1EES18_IbLb0EEEEDaS14_S15_EUlS14_E_NS1_11comp_targetILNS1_3genE5ELNS1_11target_archE942ELNS1_3gpuE9ELNS1_3repE0EEENS1_30default_config_static_selectorELNS0_4arch9wavefront6targetE1EEEvT1_
    .private_segment_fixed_size: 0
    .sgpr_count:     4
    .sgpr_spill_count: 0
    .symbol:         _ZN7rocprim17ROCPRIM_400000_NS6detail17trampoline_kernelINS0_14default_configENS1_25partition_config_selectorILNS1_17partition_subalgoE0EjNS0_10empty_typeEbEEZZNS1_14partition_implILS5_0ELb0ES3_jN6thrust23THRUST_200600_302600_NS6detail15normal_iteratorINSA_10device_ptrIjEEEEPS6_SG_NS0_5tupleIJNSA_16discard_iteratorINSA_11use_defaultEEESK_EEENSH_IJSG_SG_EEES6_PlJ7is_evenIjEEEE10hipError_tPvRmT3_T4_T5_T6_T7_T9_mT8_P12ihipStream_tbDpT10_ENKUlT_T0_E_clISt17integral_constantIbLb1EES18_IbLb0EEEEDaS14_S15_EUlS14_E_NS1_11comp_targetILNS1_3genE5ELNS1_11target_archE942ELNS1_3gpuE9ELNS1_3repE0EEENS1_30default_config_static_selectorELNS0_4arch9wavefront6targetE1EEEvT1_.kd
    .uniform_work_group_size: 1
    .uses_dynamic_stack: false
    .vgpr_count:     0
    .vgpr_spill_count: 0
    .wavefront_size: 64
  - .agpr_count:     0
    .args:
      - .offset:         0
        .size:           136
        .value_kind:     by_value
    .group_segment_fixed_size: 10248
    .kernarg_segment_align: 8
    .kernarg_segment_size: 136
    .language:       OpenCL C
    .language_version:
      - 2
      - 0
    .max_flat_workgroup_size: 256
    .name:           _ZN7rocprim17ROCPRIM_400000_NS6detail17trampoline_kernelINS0_14default_configENS1_25partition_config_selectorILNS1_17partition_subalgoE0EjNS0_10empty_typeEbEEZZNS1_14partition_implILS5_0ELb0ES3_jN6thrust23THRUST_200600_302600_NS6detail15normal_iteratorINSA_10device_ptrIjEEEEPS6_SG_NS0_5tupleIJNSA_16discard_iteratorINSA_11use_defaultEEESK_EEENSH_IJSG_SG_EEES6_PlJ7is_evenIjEEEE10hipError_tPvRmT3_T4_T5_T6_T7_T9_mT8_P12ihipStream_tbDpT10_ENKUlT_T0_E_clISt17integral_constantIbLb1EES18_IbLb0EEEEDaS14_S15_EUlS14_E_NS1_11comp_targetILNS1_3genE4ELNS1_11target_archE910ELNS1_3gpuE8ELNS1_3repE0EEENS1_30default_config_static_selectorELNS0_4arch9wavefront6targetE1EEEvT1_
    .private_segment_fixed_size: 0
    .sgpr_count:     40
    .sgpr_spill_count: 0
    .symbol:         _ZN7rocprim17ROCPRIM_400000_NS6detail17trampoline_kernelINS0_14default_configENS1_25partition_config_selectorILNS1_17partition_subalgoE0EjNS0_10empty_typeEbEEZZNS1_14partition_implILS5_0ELb0ES3_jN6thrust23THRUST_200600_302600_NS6detail15normal_iteratorINSA_10device_ptrIjEEEEPS6_SG_NS0_5tupleIJNSA_16discard_iteratorINSA_11use_defaultEEESK_EEENSH_IJSG_SG_EEES6_PlJ7is_evenIjEEEE10hipError_tPvRmT3_T4_T5_T6_T7_T9_mT8_P12ihipStream_tbDpT10_ENKUlT_T0_E_clISt17integral_constantIbLb1EES18_IbLb0EEEEDaS14_S15_EUlS14_E_NS1_11comp_targetILNS1_3genE4ELNS1_11target_archE910ELNS1_3gpuE8ELNS1_3repE0EEENS1_30default_config_static_selectorELNS0_4arch9wavefront6targetE1EEEvT1_.kd
    .uniform_work_group_size: 1
    .uses_dynamic_stack: false
    .vgpr_count:     53
    .vgpr_spill_count: 0
    .wavefront_size: 64
  - .agpr_count:     0
    .args:
      - .offset:         0
        .size:           136
        .value_kind:     by_value
    .group_segment_fixed_size: 0
    .kernarg_segment_align: 8
    .kernarg_segment_size: 136
    .language:       OpenCL C
    .language_version:
      - 2
      - 0
    .max_flat_workgroup_size: 256
    .name:           _ZN7rocprim17ROCPRIM_400000_NS6detail17trampoline_kernelINS0_14default_configENS1_25partition_config_selectorILNS1_17partition_subalgoE0EjNS0_10empty_typeEbEEZZNS1_14partition_implILS5_0ELb0ES3_jN6thrust23THRUST_200600_302600_NS6detail15normal_iteratorINSA_10device_ptrIjEEEEPS6_SG_NS0_5tupleIJNSA_16discard_iteratorINSA_11use_defaultEEESK_EEENSH_IJSG_SG_EEES6_PlJ7is_evenIjEEEE10hipError_tPvRmT3_T4_T5_T6_T7_T9_mT8_P12ihipStream_tbDpT10_ENKUlT_T0_E_clISt17integral_constantIbLb1EES18_IbLb0EEEEDaS14_S15_EUlS14_E_NS1_11comp_targetILNS1_3genE3ELNS1_11target_archE908ELNS1_3gpuE7ELNS1_3repE0EEENS1_30default_config_static_selectorELNS0_4arch9wavefront6targetE1EEEvT1_
    .private_segment_fixed_size: 0
    .sgpr_count:     4
    .sgpr_spill_count: 0
    .symbol:         _ZN7rocprim17ROCPRIM_400000_NS6detail17trampoline_kernelINS0_14default_configENS1_25partition_config_selectorILNS1_17partition_subalgoE0EjNS0_10empty_typeEbEEZZNS1_14partition_implILS5_0ELb0ES3_jN6thrust23THRUST_200600_302600_NS6detail15normal_iteratorINSA_10device_ptrIjEEEEPS6_SG_NS0_5tupleIJNSA_16discard_iteratorINSA_11use_defaultEEESK_EEENSH_IJSG_SG_EEES6_PlJ7is_evenIjEEEE10hipError_tPvRmT3_T4_T5_T6_T7_T9_mT8_P12ihipStream_tbDpT10_ENKUlT_T0_E_clISt17integral_constantIbLb1EES18_IbLb0EEEEDaS14_S15_EUlS14_E_NS1_11comp_targetILNS1_3genE3ELNS1_11target_archE908ELNS1_3gpuE7ELNS1_3repE0EEENS1_30default_config_static_selectorELNS0_4arch9wavefront6targetE1EEEvT1_.kd
    .uniform_work_group_size: 1
    .uses_dynamic_stack: false
    .vgpr_count:     0
    .vgpr_spill_count: 0
    .wavefront_size: 64
  - .agpr_count:     0
    .args:
      - .offset:         0
        .size:           136
        .value_kind:     by_value
    .group_segment_fixed_size: 0
    .kernarg_segment_align: 8
    .kernarg_segment_size: 136
    .language:       OpenCL C
    .language_version:
      - 2
      - 0
    .max_flat_workgroup_size: 192
    .name:           _ZN7rocprim17ROCPRIM_400000_NS6detail17trampoline_kernelINS0_14default_configENS1_25partition_config_selectorILNS1_17partition_subalgoE0EjNS0_10empty_typeEbEEZZNS1_14partition_implILS5_0ELb0ES3_jN6thrust23THRUST_200600_302600_NS6detail15normal_iteratorINSA_10device_ptrIjEEEEPS6_SG_NS0_5tupleIJNSA_16discard_iteratorINSA_11use_defaultEEESK_EEENSH_IJSG_SG_EEES6_PlJ7is_evenIjEEEE10hipError_tPvRmT3_T4_T5_T6_T7_T9_mT8_P12ihipStream_tbDpT10_ENKUlT_T0_E_clISt17integral_constantIbLb1EES18_IbLb0EEEEDaS14_S15_EUlS14_E_NS1_11comp_targetILNS1_3genE2ELNS1_11target_archE906ELNS1_3gpuE6ELNS1_3repE0EEENS1_30default_config_static_selectorELNS0_4arch9wavefront6targetE1EEEvT1_
    .private_segment_fixed_size: 0
    .sgpr_count:     4
    .sgpr_spill_count: 0
    .symbol:         _ZN7rocprim17ROCPRIM_400000_NS6detail17trampoline_kernelINS0_14default_configENS1_25partition_config_selectorILNS1_17partition_subalgoE0EjNS0_10empty_typeEbEEZZNS1_14partition_implILS5_0ELb0ES3_jN6thrust23THRUST_200600_302600_NS6detail15normal_iteratorINSA_10device_ptrIjEEEEPS6_SG_NS0_5tupleIJNSA_16discard_iteratorINSA_11use_defaultEEESK_EEENSH_IJSG_SG_EEES6_PlJ7is_evenIjEEEE10hipError_tPvRmT3_T4_T5_T6_T7_T9_mT8_P12ihipStream_tbDpT10_ENKUlT_T0_E_clISt17integral_constantIbLb1EES18_IbLb0EEEEDaS14_S15_EUlS14_E_NS1_11comp_targetILNS1_3genE2ELNS1_11target_archE906ELNS1_3gpuE6ELNS1_3repE0EEENS1_30default_config_static_selectorELNS0_4arch9wavefront6targetE1EEEvT1_.kd
    .uniform_work_group_size: 1
    .uses_dynamic_stack: false
    .vgpr_count:     0
    .vgpr_spill_count: 0
    .wavefront_size: 64
  - .agpr_count:     0
    .args:
      - .offset:         0
        .size:           136
        .value_kind:     by_value
    .group_segment_fixed_size: 0
    .kernarg_segment_align: 8
    .kernarg_segment_size: 136
    .language:       OpenCL C
    .language_version:
      - 2
      - 0
    .max_flat_workgroup_size: 512
    .name:           _ZN7rocprim17ROCPRIM_400000_NS6detail17trampoline_kernelINS0_14default_configENS1_25partition_config_selectorILNS1_17partition_subalgoE0EjNS0_10empty_typeEbEEZZNS1_14partition_implILS5_0ELb0ES3_jN6thrust23THRUST_200600_302600_NS6detail15normal_iteratorINSA_10device_ptrIjEEEEPS6_SG_NS0_5tupleIJNSA_16discard_iteratorINSA_11use_defaultEEESK_EEENSH_IJSG_SG_EEES6_PlJ7is_evenIjEEEE10hipError_tPvRmT3_T4_T5_T6_T7_T9_mT8_P12ihipStream_tbDpT10_ENKUlT_T0_E_clISt17integral_constantIbLb1EES18_IbLb0EEEEDaS14_S15_EUlS14_E_NS1_11comp_targetILNS1_3genE10ELNS1_11target_archE1200ELNS1_3gpuE4ELNS1_3repE0EEENS1_30default_config_static_selectorELNS0_4arch9wavefront6targetE1EEEvT1_
    .private_segment_fixed_size: 0
    .sgpr_count:     4
    .sgpr_spill_count: 0
    .symbol:         _ZN7rocprim17ROCPRIM_400000_NS6detail17trampoline_kernelINS0_14default_configENS1_25partition_config_selectorILNS1_17partition_subalgoE0EjNS0_10empty_typeEbEEZZNS1_14partition_implILS5_0ELb0ES3_jN6thrust23THRUST_200600_302600_NS6detail15normal_iteratorINSA_10device_ptrIjEEEEPS6_SG_NS0_5tupleIJNSA_16discard_iteratorINSA_11use_defaultEEESK_EEENSH_IJSG_SG_EEES6_PlJ7is_evenIjEEEE10hipError_tPvRmT3_T4_T5_T6_T7_T9_mT8_P12ihipStream_tbDpT10_ENKUlT_T0_E_clISt17integral_constantIbLb1EES18_IbLb0EEEEDaS14_S15_EUlS14_E_NS1_11comp_targetILNS1_3genE10ELNS1_11target_archE1200ELNS1_3gpuE4ELNS1_3repE0EEENS1_30default_config_static_selectorELNS0_4arch9wavefront6targetE1EEEvT1_.kd
    .uniform_work_group_size: 1
    .uses_dynamic_stack: false
    .vgpr_count:     0
    .vgpr_spill_count: 0
    .wavefront_size: 64
  - .agpr_count:     0
    .args:
      - .offset:         0
        .size:           136
        .value_kind:     by_value
    .group_segment_fixed_size: 0
    .kernarg_segment_align: 8
    .kernarg_segment_size: 136
    .language:       OpenCL C
    .language_version:
      - 2
      - 0
    .max_flat_workgroup_size: 128
    .name:           _ZN7rocprim17ROCPRIM_400000_NS6detail17trampoline_kernelINS0_14default_configENS1_25partition_config_selectorILNS1_17partition_subalgoE0EjNS0_10empty_typeEbEEZZNS1_14partition_implILS5_0ELb0ES3_jN6thrust23THRUST_200600_302600_NS6detail15normal_iteratorINSA_10device_ptrIjEEEEPS6_SG_NS0_5tupleIJNSA_16discard_iteratorINSA_11use_defaultEEESK_EEENSH_IJSG_SG_EEES6_PlJ7is_evenIjEEEE10hipError_tPvRmT3_T4_T5_T6_T7_T9_mT8_P12ihipStream_tbDpT10_ENKUlT_T0_E_clISt17integral_constantIbLb1EES18_IbLb0EEEEDaS14_S15_EUlS14_E_NS1_11comp_targetILNS1_3genE9ELNS1_11target_archE1100ELNS1_3gpuE3ELNS1_3repE0EEENS1_30default_config_static_selectorELNS0_4arch9wavefront6targetE1EEEvT1_
    .private_segment_fixed_size: 0
    .sgpr_count:     4
    .sgpr_spill_count: 0
    .symbol:         _ZN7rocprim17ROCPRIM_400000_NS6detail17trampoline_kernelINS0_14default_configENS1_25partition_config_selectorILNS1_17partition_subalgoE0EjNS0_10empty_typeEbEEZZNS1_14partition_implILS5_0ELb0ES3_jN6thrust23THRUST_200600_302600_NS6detail15normal_iteratorINSA_10device_ptrIjEEEEPS6_SG_NS0_5tupleIJNSA_16discard_iteratorINSA_11use_defaultEEESK_EEENSH_IJSG_SG_EEES6_PlJ7is_evenIjEEEE10hipError_tPvRmT3_T4_T5_T6_T7_T9_mT8_P12ihipStream_tbDpT10_ENKUlT_T0_E_clISt17integral_constantIbLb1EES18_IbLb0EEEEDaS14_S15_EUlS14_E_NS1_11comp_targetILNS1_3genE9ELNS1_11target_archE1100ELNS1_3gpuE3ELNS1_3repE0EEENS1_30default_config_static_selectorELNS0_4arch9wavefront6targetE1EEEvT1_.kd
    .uniform_work_group_size: 1
    .uses_dynamic_stack: false
    .vgpr_count:     0
    .vgpr_spill_count: 0
    .wavefront_size: 64
  - .agpr_count:     0
    .args:
      - .offset:         0
        .size:           136
        .value_kind:     by_value
    .group_segment_fixed_size: 0
    .kernarg_segment_align: 8
    .kernarg_segment_size: 136
    .language:       OpenCL C
    .language_version:
      - 2
      - 0
    .max_flat_workgroup_size: 512
    .name:           _ZN7rocprim17ROCPRIM_400000_NS6detail17trampoline_kernelINS0_14default_configENS1_25partition_config_selectorILNS1_17partition_subalgoE0EjNS0_10empty_typeEbEEZZNS1_14partition_implILS5_0ELb0ES3_jN6thrust23THRUST_200600_302600_NS6detail15normal_iteratorINSA_10device_ptrIjEEEEPS6_SG_NS0_5tupleIJNSA_16discard_iteratorINSA_11use_defaultEEESK_EEENSH_IJSG_SG_EEES6_PlJ7is_evenIjEEEE10hipError_tPvRmT3_T4_T5_T6_T7_T9_mT8_P12ihipStream_tbDpT10_ENKUlT_T0_E_clISt17integral_constantIbLb1EES18_IbLb0EEEEDaS14_S15_EUlS14_E_NS1_11comp_targetILNS1_3genE8ELNS1_11target_archE1030ELNS1_3gpuE2ELNS1_3repE0EEENS1_30default_config_static_selectorELNS0_4arch9wavefront6targetE1EEEvT1_
    .private_segment_fixed_size: 0
    .sgpr_count:     4
    .sgpr_spill_count: 0
    .symbol:         _ZN7rocprim17ROCPRIM_400000_NS6detail17trampoline_kernelINS0_14default_configENS1_25partition_config_selectorILNS1_17partition_subalgoE0EjNS0_10empty_typeEbEEZZNS1_14partition_implILS5_0ELb0ES3_jN6thrust23THRUST_200600_302600_NS6detail15normal_iteratorINSA_10device_ptrIjEEEEPS6_SG_NS0_5tupleIJNSA_16discard_iteratorINSA_11use_defaultEEESK_EEENSH_IJSG_SG_EEES6_PlJ7is_evenIjEEEE10hipError_tPvRmT3_T4_T5_T6_T7_T9_mT8_P12ihipStream_tbDpT10_ENKUlT_T0_E_clISt17integral_constantIbLb1EES18_IbLb0EEEEDaS14_S15_EUlS14_E_NS1_11comp_targetILNS1_3genE8ELNS1_11target_archE1030ELNS1_3gpuE2ELNS1_3repE0EEENS1_30default_config_static_selectorELNS0_4arch9wavefront6targetE1EEEvT1_.kd
    .uniform_work_group_size: 1
    .uses_dynamic_stack: false
    .vgpr_count:     0
    .vgpr_spill_count: 0
    .wavefront_size: 64
  - .agpr_count:     0
    .args:
      - .offset:         0
        .size:           152
        .value_kind:     by_value
    .group_segment_fixed_size: 0
    .kernarg_segment_align: 8
    .kernarg_segment_size: 152
    .language:       OpenCL C
    .language_version:
      - 2
      - 0
    .max_flat_workgroup_size: 256
    .name:           _ZN7rocprim17ROCPRIM_400000_NS6detail17trampoline_kernelINS0_14default_configENS1_25partition_config_selectorILNS1_17partition_subalgoE0EjNS0_10empty_typeEbEEZZNS1_14partition_implILS5_0ELb0ES3_jN6thrust23THRUST_200600_302600_NS6detail15normal_iteratorINSA_10device_ptrIjEEEEPS6_SG_NS0_5tupleIJNSA_16discard_iteratorINSA_11use_defaultEEESK_EEENSH_IJSG_SG_EEES6_PlJ7is_evenIjEEEE10hipError_tPvRmT3_T4_T5_T6_T7_T9_mT8_P12ihipStream_tbDpT10_ENKUlT_T0_E_clISt17integral_constantIbLb0EES18_IbLb1EEEEDaS14_S15_EUlS14_E_NS1_11comp_targetILNS1_3genE0ELNS1_11target_archE4294967295ELNS1_3gpuE0ELNS1_3repE0EEENS1_30default_config_static_selectorELNS0_4arch9wavefront6targetE1EEEvT1_
    .private_segment_fixed_size: 0
    .sgpr_count:     4
    .sgpr_spill_count: 0
    .symbol:         _ZN7rocprim17ROCPRIM_400000_NS6detail17trampoline_kernelINS0_14default_configENS1_25partition_config_selectorILNS1_17partition_subalgoE0EjNS0_10empty_typeEbEEZZNS1_14partition_implILS5_0ELb0ES3_jN6thrust23THRUST_200600_302600_NS6detail15normal_iteratorINSA_10device_ptrIjEEEEPS6_SG_NS0_5tupleIJNSA_16discard_iteratorINSA_11use_defaultEEESK_EEENSH_IJSG_SG_EEES6_PlJ7is_evenIjEEEE10hipError_tPvRmT3_T4_T5_T6_T7_T9_mT8_P12ihipStream_tbDpT10_ENKUlT_T0_E_clISt17integral_constantIbLb0EES18_IbLb1EEEEDaS14_S15_EUlS14_E_NS1_11comp_targetILNS1_3genE0ELNS1_11target_archE4294967295ELNS1_3gpuE0ELNS1_3repE0EEENS1_30default_config_static_selectorELNS0_4arch9wavefront6targetE1EEEvT1_.kd
    .uniform_work_group_size: 1
    .uses_dynamic_stack: false
    .vgpr_count:     0
    .vgpr_spill_count: 0
    .wavefront_size: 64
  - .agpr_count:     0
    .args:
      - .offset:         0
        .size:           152
        .value_kind:     by_value
    .group_segment_fixed_size: 0
    .kernarg_segment_align: 8
    .kernarg_segment_size: 152
    .language:       OpenCL C
    .language_version:
      - 2
      - 0
    .max_flat_workgroup_size: 512
    .name:           _ZN7rocprim17ROCPRIM_400000_NS6detail17trampoline_kernelINS0_14default_configENS1_25partition_config_selectorILNS1_17partition_subalgoE0EjNS0_10empty_typeEbEEZZNS1_14partition_implILS5_0ELb0ES3_jN6thrust23THRUST_200600_302600_NS6detail15normal_iteratorINSA_10device_ptrIjEEEEPS6_SG_NS0_5tupleIJNSA_16discard_iteratorINSA_11use_defaultEEESK_EEENSH_IJSG_SG_EEES6_PlJ7is_evenIjEEEE10hipError_tPvRmT3_T4_T5_T6_T7_T9_mT8_P12ihipStream_tbDpT10_ENKUlT_T0_E_clISt17integral_constantIbLb0EES18_IbLb1EEEEDaS14_S15_EUlS14_E_NS1_11comp_targetILNS1_3genE5ELNS1_11target_archE942ELNS1_3gpuE9ELNS1_3repE0EEENS1_30default_config_static_selectorELNS0_4arch9wavefront6targetE1EEEvT1_
    .private_segment_fixed_size: 0
    .sgpr_count:     4
    .sgpr_spill_count: 0
    .symbol:         _ZN7rocprim17ROCPRIM_400000_NS6detail17trampoline_kernelINS0_14default_configENS1_25partition_config_selectorILNS1_17partition_subalgoE0EjNS0_10empty_typeEbEEZZNS1_14partition_implILS5_0ELb0ES3_jN6thrust23THRUST_200600_302600_NS6detail15normal_iteratorINSA_10device_ptrIjEEEEPS6_SG_NS0_5tupleIJNSA_16discard_iteratorINSA_11use_defaultEEESK_EEENSH_IJSG_SG_EEES6_PlJ7is_evenIjEEEE10hipError_tPvRmT3_T4_T5_T6_T7_T9_mT8_P12ihipStream_tbDpT10_ENKUlT_T0_E_clISt17integral_constantIbLb0EES18_IbLb1EEEEDaS14_S15_EUlS14_E_NS1_11comp_targetILNS1_3genE5ELNS1_11target_archE942ELNS1_3gpuE9ELNS1_3repE0EEENS1_30default_config_static_selectorELNS0_4arch9wavefront6targetE1EEEvT1_.kd
    .uniform_work_group_size: 1
    .uses_dynamic_stack: false
    .vgpr_count:     0
    .vgpr_spill_count: 0
    .wavefront_size: 64
  - .agpr_count:     0
    .args:
      - .offset:         0
        .size:           152
        .value_kind:     by_value
    .group_segment_fixed_size: 10248
    .kernarg_segment_align: 8
    .kernarg_segment_size: 152
    .language:       OpenCL C
    .language_version:
      - 2
      - 0
    .max_flat_workgroup_size: 256
    .name:           _ZN7rocprim17ROCPRIM_400000_NS6detail17trampoline_kernelINS0_14default_configENS1_25partition_config_selectorILNS1_17partition_subalgoE0EjNS0_10empty_typeEbEEZZNS1_14partition_implILS5_0ELb0ES3_jN6thrust23THRUST_200600_302600_NS6detail15normal_iteratorINSA_10device_ptrIjEEEEPS6_SG_NS0_5tupleIJNSA_16discard_iteratorINSA_11use_defaultEEESK_EEENSH_IJSG_SG_EEES6_PlJ7is_evenIjEEEE10hipError_tPvRmT3_T4_T5_T6_T7_T9_mT8_P12ihipStream_tbDpT10_ENKUlT_T0_E_clISt17integral_constantIbLb0EES18_IbLb1EEEEDaS14_S15_EUlS14_E_NS1_11comp_targetILNS1_3genE4ELNS1_11target_archE910ELNS1_3gpuE8ELNS1_3repE0EEENS1_30default_config_static_selectorELNS0_4arch9wavefront6targetE1EEEvT1_
    .private_segment_fixed_size: 0
    .sgpr_count:     40
    .sgpr_spill_count: 0
    .symbol:         _ZN7rocprim17ROCPRIM_400000_NS6detail17trampoline_kernelINS0_14default_configENS1_25partition_config_selectorILNS1_17partition_subalgoE0EjNS0_10empty_typeEbEEZZNS1_14partition_implILS5_0ELb0ES3_jN6thrust23THRUST_200600_302600_NS6detail15normal_iteratorINSA_10device_ptrIjEEEEPS6_SG_NS0_5tupleIJNSA_16discard_iteratorINSA_11use_defaultEEESK_EEENSH_IJSG_SG_EEES6_PlJ7is_evenIjEEEE10hipError_tPvRmT3_T4_T5_T6_T7_T9_mT8_P12ihipStream_tbDpT10_ENKUlT_T0_E_clISt17integral_constantIbLb0EES18_IbLb1EEEEDaS14_S15_EUlS14_E_NS1_11comp_targetILNS1_3genE4ELNS1_11target_archE910ELNS1_3gpuE8ELNS1_3repE0EEENS1_30default_config_static_selectorELNS0_4arch9wavefront6targetE1EEEvT1_.kd
    .uniform_work_group_size: 1
    .uses_dynamic_stack: false
    .vgpr_count:     55
    .vgpr_spill_count: 0
    .wavefront_size: 64
  - .agpr_count:     0
    .args:
      - .offset:         0
        .size:           152
        .value_kind:     by_value
    .group_segment_fixed_size: 0
    .kernarg_segment_align: 8
    .kernarg_segment_size: 152
    .language:       OpenCL C
    .language_version:
      - 2
      - 0
    .max_flat_workgroup_size: 256
    .name:           _ZN7rocprim17ROCPRIM_400000_NS6detail17trampoline_kernelINS0_14default_configENS1_25partition_config_selectorILNS1_17partition_subalgoE0EjNS0_10empty_typeEbEEZZNS1_14partition_implILS5_0ELb0ES3_jN6thrust23THRUST_200600_302600_NS6detail15normal_iteratorINSA_10device_ptrIjEEEEPS6_SG_NS0_5tupleIJNSA_16discard_iteratorINSA_11use_defaultEEESK_EEENSH_IJSG_SG_EEES6_PlJ7is_evenIjEEEE10hipError_tPvRmT3_T4_T5_T6_T7_T9_mT8_P12ihipStream_tbDpT10_ENKUlT_T0_E_clISt17integral_constantIbLb0EES18_IbLb1EEEEDaS14_S15_EUlS14_E_NS1_11comp_targetILNS1_3genE3ELNS1_11target_archE908ELNS1_3gpuE7ELNS1_3repE0EEENS1_30default_config_static_selectorELNS0_4arch9wavefront6targetE1EEEvT1_
    .private_segment_fixed_size: 0
    .sgpr_count:     4
    .sgpr_spill_count: 0
    .symbol:         _ZN7rocprim17ROCPRIM_400000_NS6detail17trampoline_kernelINS0_14default_configENS1_25partition_config_selectorILNS1_17partition_subalgoE0EjNS0_10empty_typeEbEEZZNS1_14partition_implILS5_0ELb0ES3_jN6thrust23THRUST_200600_302600_NS6detail15normal_iteratorINSA_10device_ptrIjEEEEPS6_SG_NS0_5tupleIJNSA_16discard_iteratorINSA_11use_defaultEEESK_EEENSH_IJSG_SG_EEES6_PlJ7is_evenIjEEEE10hipError_tPvRmT3_T4_T5_T6_T7_T9_mT8_P12ihipStream_tbDpT10_ENKUlT_T0_E_clISt17integral_constantIbLb0EES18_IbLb1EEEEDaS14_S15_EUlS14_E_NS1_11comp_targetILNS1_3genE3ELNS1_11target_archE908ELNS1_3gpuE7ELNS1_3repE0EEENS1_30default_config_static_selectorELNS0_4arch9wavefront6targetE1EEEvT1_.kd
    .uniform_work_group_size: 1
    .uses_dynamic_stack: false
    .vgpr_count:     0
    .vgpr_spill_count: 0
    .wavefront_size: 64
  - .agpr_count:     0
    .args:
      - .offset:         0
        .size:           152
        .value_kind:     by_value
    .group_segment_fixed_size: 0
    .kernarg_segment_align: 8
    .kernarg_segment_size: 152
    .language:       OpenCL C
    .language_version:
      - 2
      - 0
    .max_flat_workgroup_size: 192
    .name:           _ZN7rocprim17ROCPRIM_400000_NS6detail17trampoline_kernelINS0_14default_configENS1_25partition_config_selectorILNS1_17partition_subalgoE0EjNS0_10empty_typeEbEEZZNS1_14partition_implILS5_0ELb0ES3_jN6thrust23THRUST_200600_302600_NS6detail15normal_iteratorINSA_10device_ptrIjEEEEPS6_SG_NS0_5tupleIJNSA_16discard_iteratorINSA_11use_defaultEEESK_EEENSH_IJSG_SG_EEES6_PlJ7is_evenIjEEEE10hipError_tPvRmT3_T4_T5_T6_T7_T9_mT8_P12ihipStream_tbDpT10_ENKUlT_T0_E_clISt17integral_constantIbLb0EES18_IbLb1EEEEDaS14_S15_EUlS14_E_NS1_11comp_targetILNS1_3genE2ELNS1_11target_archE906ELNS1_3gpuE6ELNS1_3repE0EEENS1_30default_config_static_selectorELNS0_4arch9wavefront6targetE1EEEvT1_
    .private_segment_fixed_size: 0
    .sgpr_count:     4
    .sgpr_spill_count: 0
    .symbol:         _ZN7rocprim17ROCPRIM_400000_NS6detail17trampoline_kernelINS0_14default_configENS1_25partition_config_selectorILNS1_17partition_subalgoE0EjNS0_10empty_typeEbEEZZNS1_14partition_implILS5_0ELb0ES3_jN6thrust23THRUST_200600_302600_NS6detail15normal_iteratorINSA_10device_ptrIjEEEEPS6_SG_NS0_5tupleIJNSA_16discard_iteratorINSA_11use_defaultEEESK_EEENSH_IJSG_SG_EEES6_PlJ7is_evenIjEEEE10hipError_tPvRmT3_T4_T5_T6_T7_T9_mT8_P12ihipStream_tbDpT10_ENKUlT_T0_E_clISt17integral_constantIbLb0EES18_IbLb1EEEEDaS14_S15_EUlS14_E_NS1_11comp_targetILNS1_3genE2ELNS1_11target_archE906ELNS1_3gpuE6ELNS1_3repE0EEENS1_30default_config_static_selectorELNS0_4arch9wavefront6targetE1EEEvT1_.kd
    .uniform_work_group_size: 1
    .uses_dynamic_stack: false
    .vgpr_count:     0
    .vgpr_spill_count: 0
    .wavefront_size: 64
  - .agpr_count:     0
    .args:
      - .offset:         0
        .size:           152
        .value_kind:     by_value
    .group_segment_fixed_size: 0
    .kernarg_segment_align: 8
    .kernarg_segment_size: 152
    .language:       OpenCL C
    .language_version:
      - 2
      - 0
    .max_flat_workgroup_size: 512
    .name:           _ZN7rocprim17ROCPRIM_400000_NS6detail17trampoline_kernelINS0_14default_configENS1_25partition_config_selectorILNS1_17partition_subalgoE0EjNS0_10empty_typeEbEEZZNS1_14partition_implILS5_0ELb0ES3_jN6thrust23THRUST_200600_302600_NS6detail15normal_iteratorINSA_10device_ptrIjEEEEPS6_SG_NS0_5tupleIJNSA_16discard_iteratorINSA_11use_defaultEEESK_EEENSH_IJSG_SG_EEES6_PlJ7is_evenIjEEEE10hipError_tPvRmT3_T4_T5_T6_T7_T9_mT8_P12ihipStream_tbDpT10_ENKUlT_T0_E_clISt17integral_constantIbLb0EES18_IbLb1EEEEDaS14_S15_EUlS14_E_NS1_11comp_targetILNS1_3genE10ELNS1_11target_archE1200ELNS1_3gpuE4ELNS1_3repE0EEENS1_30default_config_static_selectorELNS0_4arch9wavefront6targetE1EEEvT1_
    .private_segment_fixed_size: 0
    .sgpr_count:     4
    .sgpr_spill_count: 0
    .symbol:         _ZN7rocprim17ROCPRIM_400000_NS6detail17trampoline_kernelINS0_14default_configENS1_25partition_config_selectorILNS1_17partition_subalgoE0EjNS0_10empty_typeEbEEZZNS1_14partition_implILS5_0ELb0ES3_jN6thrust23THRUST_200600_302600_NS6detail15normal_iteratorINSA_10device_ptrIjEEEEPS6_SG_NS0_5tupleIJNSA_16discard_iteratorINSA_11use_defaultEEESK_EEENSH_IJSG_SG_EEES6_PlJ7is_evenIjEEEE10hipError_tPvRmT3_T4_T5_T6_T7_T9_mT8_P12ihipStream_tbDpT10_ENKUlT_T0_E_clISt17integral_constantIbLb0EES18_IbLb1EEEEDaS14_S15_EUlS14_E_NS1_11comp_targetILNS1_3genE10ELNS1_11target_archE1200ELNS1_3gpuE4ELNS1_3repE0EEENS1_30default_config_static_selectorELNS0_4arch9wavefront6targetE1EEEvT1_.kd
    .uniform_work_group_size: 1
    .uses_dynamic_stack: false
    .vgpr_count:     0
    .vgpr_spill_count: 0
    .wavefront_size: 64
  - .agpr_count:     0
    .args:
      - .offset:         0
        .size:           152
        .value_kind:     by_value
    .group_segment_fixed_size: 0
    .kernarg_segment_align: 8
    .kernarg_segment_size: 152
    .language:       OpenCL C
    .language_version:
      - 2
      - 0
    .max_flat_workgroup_size: 128
    .name:           _ZN7rocprim17ROCPRIM_400000_NS6detail17trampoline_kernelINS0_14default_configENS1_25partition_config_selectorILNS1_17partition_subalgoE0EjNS0_10empty_typeEbEEZZNS1_14partition_implILS5_0ELb0ES3_jN6thrust23THRUST_200600_302600_NS6detail15normal_iteratorINSA_10device_ptrIjEEEEPS6_SG_NS0_5tupleIJNSA_16discard_iteratorINSA_11use_defaultEEESK_EEENSH_IJSG_SG_EEES6_PlJ7is_evenIjEEEE10hipError_tPvRmT3_T4_T5_T6_T7_T9_mT8_P12ihipStream_tbDpT10_ENKUlT_T0_E_clISt17integral_constantIbLb0EES18_IbLb1EEEEDaS14_S15_EUlS14_E_NS1_11comp_targetILNS1_3genE9ELNS1_11target_archE1100ELNS1_3gpuE3ELNS1_3repE0EEENS1_30default_config_static_selectorELNS0_4arch9wavefront6targetE1EEEvT1_
    .private_segment_fixed_size: 0
    .sgpr_count:     4
    .sgpr_spill_count: 0
    .symbol:         _ZN7rocprim17ROCPRIM_400000_NS6detail17trampoline_kernelINS0_14default_configENS1_25partition_config_selectorILNS1_17partition_subalgoE0EjNS0_10empty_typeEbEEZZNS1_14partition_implILS5_0ELb0ES3_jN6thrust23THRUST_200600_302600_NS6detail15normal_iteratorINSA_10device_ptrIjEEEEPS6_SG_NS0_5tupleIJNSA_16discard_iteratorINSA_11use_defaultEEESK_EEENSH_IJSG_SG_EEES6_PlJ7is_evenIjEEEE10hipError_tPvRmT3_T4_T5_T6_T7_T9_mT8_P12ihipStream_tbDpT10_ENKUlT_T0_E_clISt17integral_constantIbLb0EES18_IbLb1EEEEDaS14_S15_EUlS14_E_NS1_11comp_targetILNS1_3genE9ELNS1_11target_archE1100ELNS1_3gpuE3ELNS1_3repE0EEENS1_30default_config_static_selectorELNS0_4arch9wavefront6targetE1EEEvT1_.kd
    .uniform_work_group_size: 1
    .uses_dynamic_stack: false
    .vgpr_count:     0
    .vgpr_spill_count: 0
    .wavefront_size: 64
  - .agpr_count:     0
    .args:
      - .offset:         0
        .size:           152
        .value_kind:     by_value
    .group_segment_fixed_size: 0
    .kernarg_segment_align: 8
    .kernarg_segment_size: 152
    .language:       OpenCL C
    .language_version:
      - 2
      - 0
    .max_flat_workgroup_size: 512
    .name:           _ZN7rocprim17ROCPRIM_400000_NS6detail17trampoline_kernelINS0_14default_configENS1_25partition_config_selectorILNS1_17partition_subalgoE0EjNS0_10empty_typeEbEEZZNS1_14partition_implILS5_0ELb0ES3_jN6thrust23THRUST_200600_302600_NS6detail15normal_iteratorINSA_10device_ptrIjEEEEPS6_SG_NS0_5tupleIJNSA_16discard_iteratorINSA_11use_defaultEEESK_EEENSH_IJSG_SG_EEES6_PlJ7is_evenIjEEEE10hipError_tPvRmT3_T4_T5_T6_T7_T9_mT8_P12ihipStream_tbDpT10_ENKUlT_T0_E_clISt17integral_constantIbLb0EES18_IbLb1EEEEDaS14_S15_EUlS14_E_NS1_11comp_targetILNS1_3genE8ELNS1_11target_archE1030ELNS1_3gpuE2ELNS1_3repE0EEENS1_30default_config_static_selectorELNS0_4arch9wavefront6targetE1EEEvT1_
    .private_segment_fixed_size: 0
    .sgpr_count:     4
    .sgpr_spill_count: 0
    .symbol:         _ZN7rocprim17ROCPRIM_400000_NS6detail17trampoline_kernelINS0_14default_configENS1_25partition_config_selectorILNS1_17partition_subalgoE0EjNS0_10empty_typeEbEEZZNS1_14partition_implILS5_0ELb0ES3_jN6thrust23THRUST_200600_302600_NS6detail15normal_iteratorINSA_10device_ptrIjEEEEPS6_SG_NS0_5tupleIJNSA_16discard_iteratorINSA_11use_defaultEEESK_EEENSH_IJSG_SG_EEES6_PlJ7is_evenIjEEEE10hipError_tPvRmT3_T4_T5_T6_T7_T9_mT8_P12ihipStream_tbDpT10_ENKUlT_T0_E_clISt17integral_constantIbLb0EES18_IbLb1EEEEDaS14_S15_EUlS14_E_NS1_11comp_targetILNS1_3genE8ELNS1_11target_archE1030ELNS1_3gpuE2ELNS1_3repE0EEENS1_30default_config_static_selectorELNS0_4arch9wavefront6targetE1EEEvT1_.kd
    .uniform_work_group_size: 1
    .uses_dynamic_stack: false
    .vgpr_count:     0
    .vgpr_spill_count: 0
    .wavefront_size: 64
  - .agpr_count:     0
    .args:
      - .offset:         0
        .size:           128
        .value_kind:     by_value
    .group_segment_fixed_size: 0
    .kernarg_segment_align: 8
    .kernarg_segment_size: 128
    .language:       OpenCL C
    .language_version:
      - 2
      - 0
    .max_flat_workgroup_size: 256
    .name:           _ZN7rocprim17ROCPRIM_400000_NS6detail17trampoline_kernelINS0_14default_configENS1_25partition_config_selectorILNS1_17partition_subalgoE0EjNS0_10empty_typeEbEEZZNS1_14partition_implILS5_0ELb0ES3_jN6thrust23THRUST_200600_302600_NS6detail15normal_iteratorINSA_10device_ptrIjEEEEPS6_SG_NS0_5tupleIJSF_NSA_16discard_iteratorINSA_11use_defaultEEEEEENSH_IJSG_SG_EEES6_PlJ7is_evenIjEEEE10hipError_tPvRmT3_T4_T5_T6_T7_T9_mT8_P12ihipStream_tbDpT10_ENKUlT_T0_E_clISt17integral_constantIbLb0EES19_EEDaS14_S15_EUlS14_E_NS1_11comp_targetILNS1_3genE0ELNS1_11target_archE4294967295ELNS1_3gpuE0ELNS1_3repE0EEENS1_30default_config_static_selectorELNS0_4arch9wavefront6targetE1EEEvT1_
    .private_segment_fixed_size: 0
    .sgpr_count:     4
    .sgpr_spill_count: 0
    .symbol:         _ZN7rocprim17ROCPRIM_400000_NS6detail17trampoline_kernelINS0_14default_configENS1_25partition_config_selectorILNS1_17partition_subalgoE0EjNS0_10empty_typeEbEEZZNS1_14partition_implILS5_0ELb0ES3_jN6thrust23THRUST_200600_302600_NS6detail15normal_iteratorINSA_10device_ptrIjEEEEPS6_SG_NS0_5tupleIJSF_NSA_16discard_iteratorINSA_11use_defaultEEEEEENSH_IJSG_SG_EEES6_PlJ7is_evenIjEEEE10hipError_tPvRmT3_T4_T5_T6_T7_T9_mT8_P12ihipStream_tbDpT10_ENKUlT_T0_E_clISt17integral_constantIbLb0EES19_EEDaS14_S15_EUlS14_E_NS1_11comp_targetILNS1_3genE0ELNS1_11target_archE4294967295ELNS1_3gpuE0ELNS1_3repE0EEENS1_30default_config_static_selectorELNS0_4arch9wavefront6targetE1EEEvT1_.kd
    .uniform_work_group_size: 1
    .uses_dynamic_stack: false
    .vgpr_count:     0
    .vgpr_spill_count: 0
    .wavefront_size: 64
  - .agpr_count:     0
    .args:
      - .offset:         0
        .size:           128
        .value_kind:     by_value
    .group_segment_fixed_size: 0
    .kernarg_segment_align: 8
    .kernarg_segment_size: 128
    .language:       OpenCL C
    .language_version:
      - 2
      - 0
    .max_flat_workgroup_size: 512
    .name:           _ZN7rocprim17ROCPRIM_400000_NS6detail17trampoline_kernelINS0_14default_configENS1_25partition_config_selectorILNS1_17partition_subalgoE0EjNS0_10empty_typeEbEEZZNS1_14partition_implILS5_0ELb0ES3_jN6thrust23THRUST_200600_302600_NS6detail15normal_iteratorINSA_10device_ptrIjEEEEPS6_SG_NS0_5tupleIJSF_NSA_16discard_iteratorINSA_11use_defaultEEEEEENSH_IJSG_SG_EEES6_PlJ7is_evenIjEEEE10hipError_tPvRmT3_T4_T5_T6_T7_T9_mT8_P12ihipStream_tbDpT10_ENKUlT_T0_E_clISt17integral_constantIbLb0EES19_EEDaS14_S15_EUlS14_E_NS1_11comp_targetILNS1_3genE5ELNS1_11target_archE942ELNS1_3gpuE9ELNS1_3repE0EEENS1_30default_config_static_selectorELNS0_4arch9wavefront6targetE1EEEvT1_
    .private_segment_fixed_size: 0
    .sgpr_count:     4
    .sgpr_spill_count: 0
    .symbol:         _ZN7rocprim17ROCPRIM_400000_NS6detail17trampoline_kernelINS0_14default_configENS1_25partition_config_selectorILNS1_17partition_subalgoE0EjNS0_10empty_typeEbEEZZNS1_14partition_implILS5_0ELb0ES3_jN6thrust23THRUST_200600_302600_NS6detail15normal_iteratorINSA_10device_ptrIjEEEEPS6_SG_NS0_5tupleIJSF_NSA_16discard_iteratorINSA_11use_defaultEEEEEENSH_IJSG_SG_EEES6_PlJ7is_evenIjEEEE10hipError_tPvRmT3_T4_T5_T6_T7_T9_mT8_P12ihipStream_tbDpT10_ENKUlT_T0_E_clISt17integral_constantIbLb0EES19_EEDaS14_S15_EUlS14_E_NS1_11comp_targetILNS1_3genE5ELNS1_11target_archE942ELNS1_3gpuE9ELNS1_3repE0EEENS1_30default_config_static_selectorELNS0_4arch9wavefront6targetE1EEEvT1_.kd
    .uniform_work_group_size: 1
    .uses_dynamic_stack: false
    .vgpr_count:     0
    .vgpr_spill_count: 0
    .wavefront_size: 64
  - .agpr_count:     0
    .args:
      - .offset:         0
        .size:           128
        .value_kind:     by_value
    .group_segment_fixed_size: 10248
    .kernarg_segment_align: 8
    .kernarg_segment_size: 128
    .language:       OpenCL C
    .language_version:
      - 2
      - 0
    .max_flat_workgroup_size: 256
    .name:           _ZN7rocprim17ROCPRIM_400000_NS6detail17trampoline_kernelINS0_14default_configENS1_25partition_config_selectorILNS1_17partition_subalgoE0EjNS0_10empty_typeEbEEZZNS1_14partition_implILS5_0ELb0ES3_jN6thrust23THRUST_200600_302600_NS6detail15normal_iteratorINSA_10device_ptrIjEEEEPS6_SG_NS0_5tupleIJSF_NSA_16discard_iteratorINSA_11use_defaultEEEEEENSH_IJSG_SG_EEES6_PlJ7is_evenIjEEEE10hipError_tPvRmT3_T4_T5_T6_T7_T9_mT8_P12ihipStream_tbDpT10_ENKUlT_T0_E_clISt17integral_constantIbLb0EES19_EEDaS14_S15_EUlS14_E_NS1_11comp_targetILNS1_3genE4ELNS1_11target_archE910ELNS1_3gpuE8ELNS1_3repE0EEENS1_30default_config_static_selectorELNS0_4arch9wavefront6targetE1EEEvT1_
    .private_segment_fixed_size: 0
    .sgpr_count:     44
    .sgpr_spill_count: 0
    .symbol:         _ZN7rocprim17ROCPRIM_400000_NS6detail17trampoline_kernelINS0_14default_configENS1_25partition_config_selectorILNS1_17partition_subalgoE0EjNS0_10empty_typeEbEEZZNS1_14partition_implILS5_0ELb0ES3_jN6thrust23THRUST_200600_302600_NS6detail15normal_iteratorINSA_10device_ptrIjEEEEPS6_SG_NS0_5tupleIJSF_NSA_16discard_iteratorINSA_11use_defaultEEEEEENSH_IJSG_SG_EEES6_PlJ7is_evenIjEEEE10hipError_tPvRmT3_T4_T5_T6_T7_T9_mT8_P12ihipStream_tbDpT10_ENKUlT_T0_E_clISt17integral_constantIbLb0EES19_EEDaS14_S15_EUlS14_E_NS1_11comp_targetILNS1_3genE4ELNS1_11target_archE910ELNS1_3gpuE8ELNS1_3repE0EEENS1_30default_config_static_selectorELNS0_4arch9wavefront6targetE1EEEvT1_.kd
    .uniform_work_group_size: 1
    .uses_dynamic_stack: false
    .vgpr_count:     54
    .vgpr_spill_count: 0
    .wavefront_size: 64
  - .agpr_count:     0
    .args:
      - .offset:         0
        .size:           128
        .value_kind:     by_value
    .group_segment_fixed_size: 0
    .kernarg_segment_align: 8
    .kernarg_segment_size: 128
    .language:       OpenCL C
    .language_version:
      - 2
      - 0
    .max_flat_workgroup_size: 256
    .name:           _ZN7rocprim17ROCPRIM_400000_NS6detail17trampoline_kernelINS0_14default_configENS1_25partition_config_selectorILNS1_17partition_subalgoE0EjNS0_10empty_typeEbEEZZNS1_14partition_implILS5_0ELb0ES3_jN6thrust23THRUST_200600_302600_NS6detail15normal_iteratorINSA_10device_ptrIjEEEEPS6_SG_NS0_5tupleIJSF_NSA_16discard_iteratorINSA_11use_defaultEEEEEENSH_IJSG_SG_EEES6_PlJ7is_evenIjEEEE10hipError_tPvRmT3_T4_T5_T6_T7_T9_mT8_P12ihipStream_tbDpT10_ENKUlT_T0_E_clISt17integral_constantIbLb0EES19_EEDaS14_S15_EUlS14_E_NS1_11comp_targetILNS1_3genE3ELNS1_11target_archE908ELNS1_3gpuE7ELNS1_3repE0EEENS1_30default_config_static_selectorELNS0_4arch9wavefront6targetE1EEEvT1_
    .private_segment_fixed_size: 0
    .sgpr_count:     4
    .sgpr_spill_count: 0
    .symbol:         _ZN7rocprim17ROCPRIM_400000_NS6detail17trampoline_kernelINS0_14default_configENS1_25partition_config_selectorILNS1_17partition_subalgoE0EjNS0_10empty_typeEbEEZZNS1_14partition_implILS5_0ELb0ES3_jN6thrust23THRUST_200600_302600_NS6detail15normal_iteratorINSA_10device_ptrIjEEEEPS6_SG_NS0_5tupleIJSF_NSA_16discard_iteratorINSA_11use_defaultEEEEEENSH_IJSG_SG_EEES6_PlJ7is_evenIjEEEE10hipError_tPvRmT3_T4_T5_T6_T7_T9_mT8_P12ihipStream_tbDpT10_ENKUlT_T0_E_clISt17integral_constantIbLb0EES19_EEDaS14_S15_EUlS14_E_NS1_11comp_targetILNS1_3genE3ELNS1_11target_archE908ELNS1_3gpuE7ELNS1_3repE0EEENS1_30default_config_static_selectorELNS0_4arch9wavefront6targetE1EEEvT1_.kd
    .uniform_work_group_size: 1
    .uses_dynamic_stack: false
    .vgpr_count:     0
    .vgpr_spill_count: 0
    .wavefront_size: 64
  - .agpr_count:     0
    .args:
      - .offset:         0
        .size:           128
        .value_kind:     by_value
    .group_segment_fixed_size: 0
    .kernarg_segment_align: 8
    .kernarg_segment_size: 128
    .language:       OpenCL C
    .language_version:
      - 2
      - 0
    .max_flat_workgroup_size: 192
    .name:           _ZN7rocprim17ROCPRIM_400000_NS6detail17trampoline_kernelINS0_14default_configENS1_25partition_config_selectorILNS1_17partition_subalgoE0EjNS0_10empty_typeEbEEZZNS1_14partition_implILS5_0ELb0ES3_jN6thrust23THRUST_200600_302600_NS6detail15normal_iteratorINSA_10device_ptrIjEEEEPS6_SG_NS0_5tupleIJSF_NSA_16discard_iteratorINSA_11use_defaultEEEEEENSH_IJSG_SG_EEES6_PlJ7is_evenIjEEEE10hipError_tPvRmT3_T4_T5_T6_T7_T9_mT8_P12ihipStream_tbDpT10_ENKUlT_T0_E_clISt17integral_constantIbLb0EES19_EEDaS14_S15_EUlS14_E_NS1_11comp_targetILNS1_3genE2ELNS1_11target_archE906ELNS1_3gpuE6ELNS1_3repE0EEENS1_30default_config_static_selectorELNS0_4arch9wavefront6targetE1EEEvT1_
    .private_segment_fixed_size: 0
    .sgpr_count:     4
    .sgpr_spill_count: 0
    .symbol:         _ZN7rocprim17ROCPRIM_400000_NS6detail17trampoline_kernelINS0_14default_configENS1_25partition_config_selectorILNS1_17partition_subalgoE0EjNS0_10empty_typeEbEEZZNS1_14partition_implILS5_0ELb0ES3_jN6thrust23THRUST_200600_302600_NS6detail15normal_iteratorINSA_10device_ptrIjEEEEPS6_SG_NS0_5tupleIJSF_NSA_16discard_iteratorINSA_11use_defaultEEEEEENSH_IJSG_SG_EEES6_PlJ7is_evenIjEEEE10hipError_tPvRmT3_T4_T5_T6_T7_T9_mT8_P12ihipStream_tbDpT10_ENKUlT_T0_E_clISt17integral_constantIbLb0EES19_EEDaS14_S15_EUlS14_E_NS1_11comp_targetILNS1_3genE2ELNS1_11target_archE906ELNS1_3gpuE6ELNS1_3repE0EEENS1_30default_config_static_selectorELNS0_4arch9wavefront6targetE1EEEvT1_.kd
    .uniform_work_group_size: 1
    .uses_dynamic_stack: false
    .vgpr_count:     0
    .vgpr_spill_count: 0
    .wavefront_size: 64
  - .agpr_count:     0
    .args:
      - .offset:         0
        .size:           128
        .value_kind:     by_value
    .group_segment_fixed_size: 0
    .kernarg_segment_align: 8
    .kernarg_segment_size: 128
    .language:       OpenCL C
    .language_version:
      - 2
      - 0
    .max_flat_workgroup_size: 512
    .name:           _ZN7rocprim17ROCPRIM_400000_NS6detail17trampoline_kernelINS0_14default_configENS1_25partition_config_selectorILNS1_17partition_subalgoE0EjNS0_10empty_typeEbEEZZNS1_14partition_implILS5_0ELb0ES3_jN6thrust23THRUST_200600_302600_NS6detail15normal_iteratorINSA_10device_ptrIjEEEEPS6_SG_NS0_5tupleIJSF_NSA_16discard_iteratorINSA_11use_defaultEEEEEENSH_IJSG_SG_EEES6_PlJ7is_evenIjEEEE10hipError_tPvRmT3_T4_T5_T6_T7_T9_mT8_P12ihipStream_tbDpT10_ENKUlT_T0_E_clISt17integral_constantIbLb0EES19_EEDaS14_S15_EUlS14_E_NS1_11comp_targetILNS1_3genE10ELNS1_11target_archE1200ELNS1_3gpuE4ELNS1_3repE0EEENS1_30default_config_static_selectorELNS0_4arch9wavefront6targetE1EEEvT1_
    .private_segment_fixed_size: 0
    .sgpr_count:     4
    .sgpr_spill_count: 0
    .symbol:         _ZN7rocprim17ROCPRIM_400000_NS6detail17trampoline_kernelINS0_14default_configENS1_25partition_config_selectorILNS1_17partition_subalgoE0EjNS0_10empty_typeEbEEZZNS1_14partition_implILS5_0ELb0ES3_jN6thrust23THRUST_200600_302600_NS6detail15normal_iteratorINSA_10device_ptrIjEEEEPS6_SG_NS0_5tupleIJSF_NSA_16discard_iteratorINSA_11use_defaultEEEEEENSH_IJSG_SG_EEES6_PlJ7is_evenIjEEEE10hipError_tPvRmT3_T4_T5_T6_T7_T9_mT8_P12ihipStream_tbDpT10_ENKUlT_T0_E_clISt17integral_constantIbLb0EES19_EEDaS14_S15_EUlS14_E_NS1_11comp_targetILNS1_3genE10ELNS1_11target_archE1200ELNS1_3gpuE4ELNS1_3repE0EEENS1_30default_config_static_selectorELNS0_4arch9wavefront6targetE1EEEvT1_.kd
    .uniform_work_group_size: 1
    .uses_dynamic_stack: false
    .vgpr_count:     0
    .vgpr_spill_count: 0
    .wavefront_size: 64
  - .agpr_count:     0
    .args:
      - .offset:         0
        .size:           128
        .value_kind:     by_value
    .group_segment_fixed_size: 0
    .kernarg_segment_align: 8
    .kernarg_segment_size: 128
    .language:       OpenCL C
    .language_version:
      - 2
      - 0
    .max_flat_workgroup_size: 128
    .name:           _ZN7rocprim17ROCPRIM_400000_NS6detail17trampoline_kernelINS0_14default_configENS1_25partition_config_selectorILNS1_17partition_subalgoE0EjNS0_10empty_typeEbEEZZNS1_14partition_implILS5_0ELb0ES3_jN6thrust23THRUST_200600_302600_NS6detail15normal_iteratorINSA_10device_ptrIjEEEEPS6_SG_NS0_5tupleIJSF_NSA_16discard_iteratorINSA_11use_defaultEEEEEENSH_IJSG_SG_EEES6_PlJ7is_evenIjEEEE10hipError_tPvRmT3_T4_T5_T6_T7_T9_mT8_P12ihipStream_tbDpT10_ENKUlT_T0_E_clISt17integral_constantIbLb0EES19_EEDaS14_S15_EUlS14_E_NS1_11comp_targetILNS1_3genE9ELNS1_11target_archE1100ELNS1_3gpuE3ELNS1_3repE0EEENS1_30default_config_static_selectorELNS0_4arch9wavefront6targetE1EEEvT1_
    .private_segment_fixed_size: 0
    .sgpr_count:     4
    .sgpr_spill_count: 0
    .symbol:         _ZN7rocprim17ROCPRIM_400000_NS6detail17trampoline_kernelINS0_14default_configENS1_25partition_config_selectorILNS1_17partition_subalgoE0EjNS0_10empty_typeEbEEZZNS1_14partition_implILS5_0ELb0ES3_jN6thrust23THRUST_200600_302600_NS6detail15normal_iteratorINSA_10device_ptrIjEEEEPS6_SG_NS0_5tupleIJSF_NSA_16discard_iteratorINSA_11use_defaultEEEEEENSH_IJSG_SG_EEES6_PlJ7is_evenIjEEEE10hipError_tPvRmT3_T4_T5_T6_T7_T9_mT8_P12ihipStream_tbDpT10_ENKUlT_T0_E_clISt17integral_constantIbLb0EES19_EEDaS14_S15_EUlS14_E_NS1_11comp_targetILNS1_3genE9ELNS1_11target_archE1100ELNS1_3gpuE3ELNS1_3repE0EEENS1_30default_config_static_selectorELNS0_4arch9wavefront6targetE1EEEvT1_.kd
    .uniform_work_group_size: 1
    .uses_dynamic_stack: false
    .vgpr_count:     0
    .vgpr_spill_count: 0
    .wavefront_size: 64
  - .agpr_count:     0
    .args:
      - .offset:         0
        .size:           128
        .value_kind:     by_value
    .group_segment_fixed_size: 0
    .kernarg_segment_align: 8
    .kernarg_segment_size: 128
    .language:       OpenCL C
    .language_version:
      - 2
      - 0
    .max_flat_workgroup_size: 512
    .name:           _ZN7rocprim17ROCPRIM_400000_NS6detail17trampoline_kernelINS0_14default_configENS1_25partition_config_selectorILNS1_17partition_subalgoE0EjNS0_10empty_typeEbEEZZNS1_14partition_implILS5_0ELb0ES3_jN6thrust23THRUST_200600_302600_NS6detail15normal_iteratorINSA_10device_ptrIjEEEEPS6_SG_NS0_5tupleIJSF_NSA_16discard_iteratorINSA_11use_defaultEEEEEENSH_IJSG_SG_EEES6_PlJ7is_evenIjEEEE10hipError_tPvRmT3_T4_T5_T6_T7_T9_mT8_P12ihipStream_tbDpT10_ENKUlT_T0_E_clISt17integral_constantIbLb0EES19_EEDaS14_S15_EUlS14_E_NS1_11comp_targetILNS1_3genE8ELNS1_11target_archE1030ELNS1_3gpuE2ELNS1_3repE0EEENS1_30default_config_static_selectorELNS0_4arch9wavefront6targetE1EEEvT1_
    .private_segment_fixed_size: 0
    .sgpr_count:     4
    .sgpr_spill_count: 0
    .symbol:         _ZN7rocprim17ROCPRIM_400000_NS6detail17trampoline_kernelINS0_14default_configENS1_25partition_config_selectorILNS1_17partition_subalgoE0EjNS0_10empty_typeEbEEZZNS1_14partition_implILS5_0ELb0ES3_jN6thrust23THRUST_200600_302600_NS6detail15normal_iteratorINSA_10device_ptrIjEEEEPS6_SG_NS0_5tupleIJSF_NSA_16discard_iteratorINSA_11use_defaultEEEEEENSH_IJSG_SG_EEES6_PlJ7is_evenIjEEEE10hipError_tPvRmT3_T4_T5_T6_T7_T9_mT8_P12ihipStream_tbDpT10_ENKUlT_T0_E_clISt17integral_constantIbLb0EES19_EEDaS14_S15_EUlS14_E_NS1_11comp_targetILNS1_3genE8ELNS1_11target_archE1030ELNS1_3gpuE2ELNS1_3repE0EEENS1_30default_config_static_selectorELNS0_4arch9wavefront6targetE1EEEvT1_.kd
    .uniform_work_group_size: 1
    .uses_dynamic_stack: false
    .vgpr_count:     0
    .vgpr_spill_count: 0
    .wavefront_size: 64
  - .agpr_count:     0
    .args:
      - .offset:         0
        .size:           144
        .value_kind:     by_value
    .group_segment_fixed_size: 0
    .kernarg_segment_align: 8
    .kernarg_segment_size: 144
    .language:       OpenCL C
    .language_version:
      - 2
      - 0
    .max_flat_workgroup_size: 256
    .name:           _ZN7rocprim17ROCPRIM_400000_NS6detail17trampoline_kernelINS0_14default_configENS1_25partition_config_selectorILNS1_17partition_subalgoE0EjNS0_10empty_typeEbEEZZNS1_14partition_implILS5_0ELb0ES3_jN6thrust23THRUST_200600_302600_NS6detail15normal_iteratorINSA_10device_ptrIjEEEEPS6_SG_NS0_5tupleIJSF_NSA_16discard_iteratorINSA_11use_defaultEEEEEENSH_IJSG_SG_EEES6_PlJ7is_evenIjEEEE10hipError_tPvRmT3_T4_T5_T6_T7_T9_mT8_P12ihipStream_tbDpT10_ENKUlT_T0_E_clISt17integral_constantIbLb1EES19_EEDaS14_S15_EUlS14_E_NS1_11comp_targetILNS1_3genE0ELNS1_11target_archE4294967295ELNS1_3gpuE0ELNS1_3repE0EEENS1_30default_config_static_selectorELNS0_4arch9wavefront6targetE1EEEvT1_
    .private_segment_fixed_size: 0
    .sgpr_count:     4
    .sgpr_spill_count: 0
    .symbol:         _ZN7rocprim17ROCPRIM_400000_NS6detail17trampoline_kernelINS0_14default_configENS1_25partition_config_selectorILNS1_17partition_subalgoE0EjNS0_10empty_typeEbEEZZNS1_14partition_implILS5_0ELb0ES3_jN6thrust23THRUST_200600_302600_NS6detail15normal_iteratorINSA_10device_ptrIjEEEEPS6_SG_NS0_5tupleIJSF_NSA_16discard_iteratorINSA_11use_defaultEEEEEENSH_IJSG_SG_EEES6_PlJ7is_evenIjEEEE10hipError_tPvRmT3_T4_T5_T6_T7_T9_mT8_P12ihipStream_tbDpT10_ENKUlT_T0_E_clISt17integral_constantIbLb1EES19_EEDaS14_S15_EUlS14_E_NS1_11comp_targetILNS1_3genE0ELNS1_11target_archE4294967295ELNS1_3gpuE0ELNS1_3repE0EEENS1_30default_config_static_selectorELNS0_4arch9wavefront6targetE1EEEvT1_.kd
    .uniform_work_group_size: 1
    .uses_dynamic_stack: false
    .vgpr_count:     0
    .vgpr_spill_count: 0
    .wavefront_size: 64
  - .agpr_count:     0
    .args:
      - .offset:         0
        .size:           144
        .value_kind:     by_value
    .group_segment_fixed_size: 0
    .kernarg_segment_align: 8
    .kernarg_segment_size: 144
    .language:       OpenCL C
    .language_version:
      - 2
      - 0
    .max_flat_workgroup_size: 512
    .name:           _ZN7rocprim17ROCPRIM_400000_NS6detail17trampoline_kernelINS0_14default_configENS1_25partition_config_selectorILNS1_17partition_subalgoE0EjNS0_10empty_typeEbEEZZNS1_14partition_implILS5_0ELb0ES3_jN6thrust23THRUST_200600_302600_NS6detail15normal_iteratorINSA_10device_ptrIjEEEEPS6_SG_NS0_5tupleIJSF_NSA_16discard_iteratorINSA_11use_defaultEEEEEENSH_IJSG_SG_EEES6_PlJ7is_evenIjEEEE10hipError_tPvRmT3_T4_T5_T6_T7_T9_mT8_P12ihipStream_tbDpT10_ENKUlT_T0_E_clISt17integral_constantIbLb1EES19_EEDaS14_S15_EUlS14_E_NS1_11comp_targetILNS1_3genE5ELNS1_11target_archE942ELNS1_3gpuE9ELNS1_3repE0EEENS1_30default_config_static_selectorELNS0_4arch9wavefront6targetE1EEEvT1_
    .private_segment_fixed_size: 0
    .sgpr_count:     4
    .sgpr_spill_count: 0
    .symbol:         _ZN7rocprim17ROCPRIM_400000_NS6detail17trampoline_kernelINS0_14default_configENS1_25partition_config_selectorILNS1_17partition_subalgoE0EjNS0_10empty_typeEbEEZZNS1_14partition_implILS5_0ELb0ES3_jN6thrust23THRUST_200600_302600_NS6detail15normal_iteratorINSA_10device_ptrIjEEEEPS6_SG_NS0_5tupleIJSF_NSA_16discard_iteratorINSA_11use_defaultEEEEEENSH_IJSG_SG_EEES6_PlJ7is_evenIjEEEE10hipError_tPvRmT3_T4_T5_T6_T7_T9_mT8_P12ihipStream_tbDpT10_ENKUlT_T0_E_clISt17integral_constantIbLb1EES19_EEDaS14_S15_EUlS14_E_NS1_11comp_targetILNS1_3genE5ELNS1_11target_archE942ELNS1_3gpuE9ELNS1_3repE0EEENS1_30default_config_static_selectorELNS0_4arch9wavefront6targetE1EEEvT1_.kd
    .uniform_work_group_size: 1
    .uses_dynamic_stack: false
    .vgpr_count:     0
    .vgpr_spill_count: 0
    .wavefront_size: 64
  - .agpr_count:     0
    .args:
      - .offset:         0
        .size:           144
        .value_kind:     by_value
    .group_segment_fixed_size: 10248
    .kernarg_segment_align: 8
    .kernarg_segment_size: 144
    .language:       OpenCL C
    .language_version:
      - 2
      - 0
    .max_flat_workgroup_size: 256
    .name:           _ZN7rocprim17ROCPRIM_400000_NS6detail17trampoline_kernelINS0_14default_configENS1_25partition_config_selectorILNS1_17partition_subalgoE0EjNS0_10empty_typeEbEEZZNS1_14partition_implILS5_0ELb0ES3_jN6thrust23THRUST_200600_302600_NS6detail15normal_iteratorINSA_10device_ptrIjEEEEPS6_SG_NS0_5tupleIJSF_NSA_16discard_iteratorINSA_11use_defaultEEEEEENSH_IJSG_SG_EEES6_PlJ7is_evenIjEEEE10hipError_tPvRmT3_T4_T5_T6_T7_T9_mT8_P12ihipStream_tbDpT10_ENKUlT_T0_E_clISt17integral_constantIbLb1EES19_EEDaS14_S15_EUlS14_E_NS1_11comp_targetILNS1_3genE4ELNS1_11target_archE910ELNS1_3gpuE8ELNS1_3repE0EEENS1_30default_config_static_selectorELNS0_4arch9wavefront6targetE1EEEvT1_
    .private_segment_fixed_size: 0
    .sgpr_count:     44
    .sgpr_spill_count: 0
    .symbol:         _ZN7rocprim17ROCPRIM_400000_NS6detail17trampoline_kernelINS0_14default_configENS1_25partition_config_selectorILNS1_17partition_subalgoE0EjNS0_10empty_typeEbEEZZNS1_14partition_implILS5_0ELb0ES3_jN6thrust23THRUST_200600_302600_NS6detail15normal_iteratorINSA_10device_ptrIjEEEEPS6_SG_NS0_5tupleIJSF_NSA_16discard_iteratorINSA_11use_defaultEEEEEENSH_IJSG_SG_EEES6_PlJ7is_evenIjEEEE10hipError_tPvRmT3_T4_T5_T6_T7_T9_mT8_P12ihipStream_tbDpT10_ENKUlT_T0_E_clISt17integral_constantIbLb1EES19_EEDaS14_S15_EUlS14_E_NS1_11comp_targetILNS1_3genE4ELNS1_11target_archE910ELNS1_3gpuE8ELNS1_3repE0EEENS1_30default_config_static_selectorELNS0_4arch9wavefront6targetE1EEEvT1_.kd
    .uniform_work_group_size: 1
    .uses_dynamic_stack: false
    .vgpr_count:     56
    .vgpr_spill_count: 0
    .wavefront_size: 64
  - .agpr_count:     0
    .args:
      - .offset:         0
        .size:           144
        .value_kind:     by_value
    .group_segment_fixed_size: 0
    .kernarg_segment_align: 8
    .kernarg_segment_size: 144
    .language:       OpenCL C
    .language_version:
      - 2
      - 0
    .max_flat_workgroup_size: 256
    .name:           _ZN7rocprim17ROCPRIM_400000_NS6detail17trampoline_kernelINS0_14default_configENS1_25partition_config_selectorILNS1_17partition_subalgoE0EjNS0_10empty_typeEbEEZZNS1_14partition_implILS5_0ELb0ES3_jN6thrust23THRUST_200600_302600_NS6detail15normal_iteratorINSA_10device_ptrIjEEEEPS6_SG_NS0_5tupleIJSF_NSA_16discard_iteratorINSA_11use_defaultEEEEEENSH_IJSG_SG_EEES6_PlJ7is_evenIjEEEE10hipError_tPvRmT3_T4_T5_T6_T7_T9_mT8_P12ihipStream_tbDpT10_ENKUlT_T0_E_clISt17integral_constantIbLb1EES19_EEDaS14_S15_EUlS14_E_NS1_11comp_targetILNS1_3genE3ELNS1_11target_archE908ELNS1_3gpuE7ELNS1_3repE0EEENS1_30default_config_static_selectorELNS0_4arch9wavefront6targetE1EEEvT1_
    .private_segment_fixed_size: 0
    .sgpr_count:     4
    .sgpr_spill_count: 0
    .symbol:         _ZN7rocprim17ROCPRIM_400000_NS6detail17trampoline_kernelINS0_14default_configENS1_25partition_config_selectorILNS1_17partition_subalgoE0EjNS0_10empty_typeEbEEZZNS1_14partition_implILS5_0ELb0ES3_jN6thrust23THRUST_200600_302600_NS6detail15normal_iteratorINSA_10device_ptrIjEEEEPS6_SG_NS0_5tupleIJSF_NSA_16discard_iteratorINSA_11use_defaultEEEEEENSH_IJSG_SG_EEES6_PlJ7is_evenIjEEEE10hipError_tPvRmT3_T4_T5_T6_T7_T9_mT8_P12ihipStream_tbDpT10_ENKUlT_T0_E_clISt17integral_constantIbLb1EES19_EEDaS14_S15_EUlS14_E_NS1_11comp_targetILNS1_3genE3ELNS1_11target_archE908ELNS1_3gpuE7ELNS1_3repE0EEENS1_30default_config_static_selectorELNS0_4arch9wavefront6targetE1EEEvT1_.kd
    .uniform_work_group_size: 1
    .uses_dynamic_stack: false
    .vgpr_count:     0
    .vgpr_spill_count: 0
    .wavefront_size: 64
  - .agpr_count:     0
    .args:
      - .offset:         0
        .size:           144
        .value_kind:     by_value
    .group_segment_fixed_size: 0
    .kernarg_segment_align: 8
    .kernarg_segment_size: 144
    .language:       OpenCL C
    .language_version:
      - 2
      - 0
    .max_flat_workgroup_size: 192
    .name:           _ZN7rocprim17ROCPRIM_400000_NS6detail17trampoline_kernelINS0_14default_configENS1_25partition_config_selectorILNS1_17partition_subalgoE0EjNS0_10empty_typeEbEEZZNS1_14partition_implILS5_0ELb0ES3_jN6thrust23THRUST_200600_302600_NS6detail15normal_iteratorINSA_10device_ptrIjEEEEPS6_SG_NS0_5tupleIJSF_NSA_16discard_iteratorINSA_11use_defaultEEEEEENSH_IJSG_SG_EEES6_PlJ7is_evenIjEEEE10hipError_tPvRmT3_T4_T5_T6_T7_T9_mT8_P12ihipStream_tbDpT10_ENKUlT_T0_E_clISt17integral_constantIbLb1EES19_EEDaS14_S15_EUlS14_E_NS1_11comp_targetILNS1_3genE2ELNS1_11target_archE906ELNS1_3gpuE6ELNS1_3repE0EEENS1_30default_config_static_selectorELNS0_4arch9wavefront6targetE1EEEvT1_
    .private_segment_fixed_size: 0
    .sgpr_count:     4
    .sgpr_spill_count: 0
    .symbol:         _ZN7rocprim17ROCPRIM_400000_NS6detail17trampoline_kernelINS0_14default_configENS1_25partition_config_selectorILNS1_17partition_subalgoE0EjNS0_10empty_typeEbEEZZNS1_14partition_implILS5_0ELb0ES3_jN6thrust23THRUST_200600_302600_NS6detail15normal_iteratorINSA_10device_ptrIjEEEEPS6_SG_NS0_5tupleIJSF_NSA_16discard_iteratorINSA_11use_defaultEEEEEENSH_IJSG_SG_EEES6_PlJ7is_evenIjEEEE10hipError_tPvRmT3_T4_T5_T6_T7_T9_mT8_P12ihipStream_tbDpT10_ENKUlT_T0_E_clISt17integral_constantIbLb1EES19_EEDaS14_S15_EUlS14_E_NS1_11comp_targetILNS1_3genE2ELNS1_11target_archE906ELNS1_3gpuE6ELNS1_3repE0EEENS1_30default_config_static_selectorELNS0_4arch9wavefront6targetE1EEEvT1_.kd
    .uniform_work_group_size: 1
    .uses_dynamic_stack: false
    .vgpr_count:     0
    .vgpr_spill_count: 0
    .wavefront_size: 64
  - .agpr_count:     0
    .args:
      - .offset:         0
        .size:           144
        .value_kind:     by_value
    .group_segment_fixed_size: 0
    .kernarg_segment_align: 8
    .kernarg_segment_size: 144
    .language:       OpenCL C
    .language_version:
      - 2
      - 0
    .max_flat_workgroup_size: 512
    .name:           _ZN7rocprim17ROCPRIM_400000_NS6detail17trampoline_kernelINS0_14default_configENS1_25partition_config_selectorILNS1_17partition_subalgoE0EjNS0_10empty_typeEbEEZZNS1_14partition_implILS5_0ELb0ES3_jN6thrust23THRUST_200600_302600_NS6detail15normal_iteratorINSA_10device_ptrIjEEEEPS6_SG_NS0_5tupleIJSF_NSA_16discard_iteratorINSA_11use_defaultEEEEEENSH_IJSG_SG_EEES6_PlJ7is_evenIjEEEE10hipError_tPvRmT3_T4_T5_T6_T7_T9_mT8_P12ihipStream_tbDpT10_ENKUlT_T0_E_clISt17integral_constantIbLb1EES19_EEDaS14_S15_EUlS14_E_NS1_11comp_targetILNS1_3genE10ELNS1_11target_archE1200ELNS1_3gpuE4ELNS1_3repE0EEENS1_30default_config_static_selectorELNS0_4arch9wavefront6targetE1EEEvT1_
    .private_segment_fixed_size: 0
    .sgpr_count:     4
    .sgpr_spill_count: 0
    .symbol:         _ZN7rocprim17ROCPRIM_400000_NS6detail17trampoline_kernelINS0_14default_configENS1_25partition_config_selectorILNS1_17partition_subalgoE0EjNS0_10empty_typeEbEEZZNS1_14partition_implILS5_0ELb0ES3_jN6thrust23THRUST_200600_302600_NS6detail15normal_iteratorINSA_10device_ptrIjEEEEPS6_SG_NS0_5tupleIJSF_NSA_16discard_iteratorINSA_11use_defaultEEEEEENSH_IJSG_SG_EEES6_PlJ7is_evenIjEEEE10hipError_tPvRmT3_T4_T5_T6_T7_T9_mT8_P12ihipStream_tbDpT10_ENKUlT_T0_E_clISt17integral_constantIbLb1EES19_EEDaS14_S15_EUlS14_E_NS1_11comp_targetILNS1_3genE10ELNS1_11target_archE1200ELNS1_3gpuE4ELNS1_3repE0EEENS1_30default_config_static_selectorELNS0_4arch9wavefront6targetE1EEEvT1_.kd
    .uniform_work_group_size: 1
    .uses_dynamic_stack: false
    .vgpr_count:     0
    .vgpr_spill_count: 0
    .wavefront_size: 64
  - .agpr_count:     0
    .args:
      - .offset:         0
        .size:           144
        .value_kind:     by_value
    .group_segment_fixed_size: 0
    .kernarg_segment_align: 8
    .kernarg_segment_size: 144
    .language:       OpenCL C
    .language_version:
      - 2
      - 0
    .max_flat_workgroup_size: 128
    .name:           _ZN7rocprim17ROCPRIM_400000_NS6detail17trampoline_kernelINS0_14default_configENS1_25partition_config_selectorILNS1_17partition_subalgoE0EjNS0_10empty_typeEbEEZZNS1_14partition_implILS5_0ELb0ES3_jN6thrust23THRUST_200600_302600_NS6detail15normal_iteratorINSA_10device_ptrIjEEEEPS6_SG_NS0_5tupleIJSF_NSA_16discard_iteratorINSA_11use_defaultEEEEEENSH_IJSG_SG_EEES6_PlJ7is_evenIjEEEE10hipError_tPvRmT3_T4_T5_T6_T7_T9_mT8_P12ihipStream_tbDpT10_ENKUlT_T0_E_clISt17integral_constantIbLb1EES19_EEDaS14_S15_EUlS14_E_NS1_11comp_targetILNS1_3genE9ELNS1_11target_archE1100ELNS1_3gpuE3ELNS1_3repE0EEENS1_30default_config_static_selectorELNS0_4arch9wavefront6targetE1EEEvT1_
    .private_segment_fixed_size: 0
    .sgpr_count:     4
    .sgpr_spill_count: 0
    .symbol:         _ZN7rocprim17ROCPRIM_400000_NS6detail17trampoline_kernelINS0_14default_configENS1_25partition_config_selectorILNS1_17partition_subalgoE0EjNS0_10empty_typeEbEEZZNS1_14partition_implILS5_0ELb0ES3_jN6thrust23THRUST_200600_302600_NS6detail15normal_iteratorINSA_10device_ptrIjEEEEPS6_SG_NS0_5tupleIJSF_NSA_16discard_iteratorINSA_11use_defaultEEEEEENSH_IJSG_SG_EEES6_PlJ7is_evenIjEEEE10hipError_tPvRmT3_T4_T5_T6_T7_T9_mT8_P12ihipStream_tbDpT10_ENKUlT_T0_E_clISt17integral_constantIbLb1EES19_EEDaS14_S15_EUlS14_E_NS1_11comp_targetILNS1_3genE9ELNS1_11target_archE1100ELNS1_3gpuE3ELNS1_3repE0EEENS1_30default_config_static_selectorELNS0_4arch9wavefront6targetE1EEEvT1_.kd
    .uniform_work_group_size: 1
    .uses_dynamic_stack: false
    .vgpr_count:     0
    .vgpr_spill_count: 0
    .wavefront_size: 64
  - .agpr_count:     0
    .args:
      - .offset:         0
        .size:           144
        .value_kind:     by_value
    .group_segment_fixed_size: 0
    .kernarg_segment_align: 8
    .kernarg_segment_size: 144
    .language:       OpenCL C
    .language_version:
      - 2
      - 0
    .max_flat_workgroup_size: 512
    .name:           _ZN7rocprim17ROCPRIM_400000_NS6detail17trampoline_kernelINS0_14default_configENS1_25partition_config_selectorILNS1_17partition_subalgoE0EjNS0_10empty_typeEbEEZZNS1_14partition_implILS5_0ELb0ES3_jN6thrust23THRUST_200600_302600_NS6detail15normal_iteratorINSA_10device_ptrIjEEEEPS6_SG_NS0_5tupleIJSF_NSA_16discard_iteratorINSA_11use_defaultEEEEEENSH_IJSG_SG_EEES6_PlJ7is_evenIjEEEE10hipError_tPvRmT3_T4_T5_T6_T7_T9_mT8_P12ihipStream_tbDpT10_ENKUlT_T0_E_clISt17integral_constantIbLb1EES19_EEDaS14_S15_EUlS14_E_NS1_11comp_targetILNS1_3genE8ELNS1_11target_archE1030ELNS1_3gpuE2ELNS1_3repE0EEENS1_30default_config_static_selectorELNS0_4arch9wavefront6targetE1EEEvT1_
    .private_segment_fixed_size: 0
    .sgpr_count:     4
    .sgpr_spill_count: 0
    .symbol:         _ZN7rocprim17ROCPRIM_400000_NS6detail17trampoline_kernelINS0_14default_configENS1_25partition_config_selectorILNS1_17partition_subalgoE0EjNS0_10empty_typeEbEEZZNS1_14partition_implILS5_0ELb0ES3_jN6thrust23THRUST_200600_302600_NS6detail15normal_iteratorINSA_10device_ptrIjEEEEPS6_SG_NS0_5tupleIJSF_NSA_16discard_iteratorINSA_11use_defaultEEEEEENSH_IJSG_SG_EEES6_PlJ7is_evenIjEEEE10hipError_tPvRmT3_T4_T5_T6_T7_T9_mT8_P12ihipStream_tbDpT10_ENKUlT_T0_E_clISt17integral_constantIbLb1EES19_EEDaS14_S15_EUlS14_E_NS1_11comp_targetILNS1_3genE8ELNS1_11target_archE1030ELNS1_3gpuE2ELNS1_3repE0EEENS1_30default_config_static_selectorELNS0_4arch9wavefront6targetE1EEEvT1_.kd
    .uniform_work_group_size: 1
    .uses_dynamic_stack: false
    .vgpr_count:     0
    .vgpr_spill_count: 0
    .wavefront_size: 64
  - .agpr_count:     0
    .args:
      - .offset:         0
        .size:           128
        .value_kind:     by_value
    .group_segment_fixed_size: 0
    .kernarg_segment_align: 8
    .kernarg_segment_size: 128
    .language:       OpenCL C
    .language_version:
      - 2
      - 0
    .max_flat_workgroup_size: 256
    .name:           _ZN7rocprim17ROCPRIM_400000_NS6detail17trampoline_kernelINS0_14default_configENS1_25partition_config_selectorILNS1_17partition_subalgoE0EjNS0_10empty_typeEbEEZZNS1_14partition_implILS5_0ELb0ES3_jN6thrust23THRUST_200600_302600_NS6detail15normal_iteratorINSA_10device_ptrIjEEEEPS6_SG_NS0_5tupleIJSF_NSA_16discard_iteratorINSA_11use_defaultEEEEEENSH_IJSG_SG_EEES6_PlJ7is_evenIjEEEE10hipError_tPvRmT3_T4_T5_T6_T7_T9_mT8_P12ihipStream_tbDpT10_ENKUlT_T0_E_clISt17integral_constantIbLb1EES18_IbLb0EEEEDaS14_S15_EUlS14_E_NS1_11comp_targetILNS1_3genE0ELNS1_11target_archE4294967295ELNS1_3gpuE0ELNS1_3repE0EEENS1_30default_config_static_selectorELNS0_4arch9wavefront6targetE1EEEvT1_
    .private_segment_fixed_size: 0
    .sgpr_count:     4
    .sgpr_spill_count: 0
    .symbol:         _ZN7rocprim17ROCPRIM_400000_NS6detail17trampoline_kernelINS0_14default_configENS1_25partition_config_selectorILNS1_17partition_subalgoE0EjNS0_10empty_typeEbEEZZNS1_14partition_implILS5_0ELb0ES3_jN6thrust23THRUST_200600_302600_NS6detail15normal_iteratorINSA_10device_ptrIjEEEEPS6_SG_NS0_5tupleIJSF_NSA_16discard_iteratorINSA_11use_defaultEEEEEENSH_IJSG_SG_EEES6_PlJ7is_evenIjEEEE10hipError_tPvRmT3_T4_T5_T6_T7_T9_mT8_P12ihipStream_tbDpT10_ENKUlT_T0_E_clISt17integral_constantIbLb1EES18_IbLb0EEEEDaS14_S15_EUlS14_E_NS1_11comp_targetILNS1_3genE0ELNS1_11target_archE4294967295ELNS1_3gpuE0ELNS1_3repE0EEENS1_30default_config_static_selectorELNS0_4arch9wavefront6targetE1EEEvT1_.kd
    .uniform_work_group_size: 1
    .uses_dynamic_stack: false
    .vgpr_count:     0
    .vgpr_spill_count: 0
    .wavefront_size: 64
  - .agpr_count:     0
    .args:
      - .offset:         0
        .size:           128
        .value_kind:     by_value
    .group_segment_fixed_size: 0
    .kernarg_segment_align: 8
    .kernarg_segment_size: 128
    .language:       OpenCL C
    .language_version:
      - 2
      - 0
    .max_flat_workgroup_size: 512
    .name:           _ZN7rocprim17ROCPRIM_400000_NS6detail17trampoline_kernelINS0_14default_configENS1_25partition_config_selectorILNS1_17partition_subalgoE0EjNS0_10empty_typeEbEEZZNS1_14partition_implILS5_0ELb0ES3_jN6thrust23THRUST_200600_302600_NS6detail15normal_iteratorINSA_10device_ptrIjEEEEPS6_SG_NS0_5tupleIJSF_NSA_16discard_iteratorINSA_11use_defaultEEEEEENSH_IJSG_SG_EEES6_PlJ7is_evenIjEEEE10hipError_tPvRmT3_T4_T5_T6_T7_T9_mT8_P12ihipStream_tbDpT10_ENKUlT_T0_E_clISt17integral_constantIbLb1EES18_IbLb0EEEEDaS14_S15_EUlS14_E_NS1_11comp_targetILNS1_3genE5ELNS1_11target_archE942ELNS1_3gpuE9ELNS1_3repE0EEENS1_30default_config_static_selectorELNS0_4arch9wavefront6targetE1EEEvT1_
    .private_segment_fixed_size: 0
    .sgpr_count:     4
    .sgpr_spill_count: 0
    .symbol:         _ZN7rocprim17ROCPRIM_400000_NS6detail17trampoline_kernelINS0_14default_configENS1_25partition_config_selectorILNS1_17partition_subalgoE0EjNS0_10empty_typeEbEEZZNS1_14partition_implILS5_0ELb0ES3_jN6thrust23THRUST_200600_302600_NS6detail15normal_iteratorINSA_10device_ptrIjEEEEPS6_SG_NS0_5tupleIJSF_NSA_16discard_iteratorINSA_11use_defaultEEEEEENSH_IJSG_SG_EEES6_PlJ7is_evenIjEEEE10hipError_tPvRmT3_T4_T5_T6_T7_T9_mT8_P12ihipStream_tbDpT10_ENKUlT_T0_E_clISt17integral_constantIbLb1EES18_IbLb0EEEEDaS14_S15_EUlS14_E_NS1_11comp_targetILNS1_3genE5ELNS1_11target_archE942ELNS1_3gpuE9ELNS1_3repE0EEENS1_30default_config_static_selectorELNS0_4arch9wavefront6targetE1EEEvT1_.kd
    .uniform_work_group_size: 1
    .uses_dynamic_stack: false
    .vgpr_count:     0
    .vgpr_spill_count: 0
    .wavefront_size: 64
  - .agpr_count:     0
    .args:
      - .offset:         0
        .size:           128
        .value_kind:     by_value
    .group_segment_fixed_size: 10248
    .kernarg_segment_align: 8
    .kernarg_segment_size: 128
    .language:       OpenCL C
    .language_version:
      - 2
      - 0
    .max_flat_workgroup_size: 256
    .name:           _ZN7rocprim17ROCPRIM_400000_NS6detail17trampoline_kernelINS0_14default_configENS1_25partition_config_selectorILNS1_17partition_subalgoE0EjNS0_10empty_typeEbEEZZNS1_14partition_implILS5_0ELb0ES3_jN6thrust23THRUST_200600_302600_NS6detail15normal_iteratorINSA_10device_ptrIjEEEEPS6_SG_NS0_5tupleIJSF_NSA_16discard_iteratorINSA_11use_defaultEEEEEENSH_IJSG_SG_EEES6_PlJ7is_evenIjEEEE10hipError_tPvRmT3_T4_T5_T6_T7_T9_mT8_P12ihipStream_tbDpT10_ENKUlT_T0_E_clISt17integral_constantIbLb1EES18_IbLb0EEEEDaS14_S15_EUlS14_E_NS1_11comp_targetILNS1_3genE4ELNS1_11target_archE910ELNS1_3gpuE8ELNS1_3repE0EEENS1_30default_config_static_selectorELNS0_4arch9wavefront6targetE1EEEvT1_
    .private_segment_fixed_size: 0
    .sgpr_count:     44
    .sgpr_spill_count: 0
    .symbol:         _ZN7rocprim17ROCPRIM_400000_NS6detail17trampoline_kernelINS0_14default_configENS1_25partition_config_selectorILNS1_17partition_subalgoE0EjNS0_10empty_typeEbEEZZNS1_14partition_implILS5_0ELb0ES3_jN6thrust23THRUST_200600_302600_NS6detail15normal_iteratorINSA_10device_ptrIjEEEEPS6_SG_NS0_5tupleIJSF_NSA_16discard_iteratorINSA_11use_defaultEEEEEENSH_IJSG_SG_EEES6_PlJ7is_evenIjEEEE10hipError_tPvRmT3_T4_T5_T6_T7_T9_mT8_P12ihipStream_tbDpT10_ENKUlT_T0_E_clISt17integral_constantIbLb1EES18_IbLb0EEEEDaS14_S15_EUlS14_E_NS1_11comp_targetILNS1_3genE4ELNS1_11target_archE910ELNS1_3gpuE8ELNS1_3repE0EEENS1_30default_config_static_selectorELNS0_4arch9wavefront6targetE1EEEvT1_.kd
    .uniform_work_group_size: 1
    .uses_dynamic_stack: false
    .vgpr_count:     54
    .vgpr_spill_count: 0
    .wavefront_size: 64
  - .agpr_count:     0
    .args:
      - .offset:         0
        .size:           128
        .value_kind:     by_value
    .group_segment_fixed_size: 0
    .kernarg_segment_align: 8
    .kernarg_segment_size: 128
    .language:       OpenCL C
    .language_version:
      - 2
      - 0
    .max_flat_workgroup_size: 256
    .name:           _ZN7rocprim17ROCPRIM_400000_NS6detail17trampoline_kernelINS0_14default_configENS1_25partition_config_selectorILNS1_17partition_subalgoE0EjNS0_10empty_typeEbEEZZNS1_14partition_implILS5_0ELb0ES3_jN6thrust23THRUST_200600_302600_NS6detail15normal_iteratorINSA_10device_ptrIjEEEEPS6_SG_NS0_5tupleIJSF_NSA_16discard_iteratorINSA_11use_defaultEEEEEENSH_IJSG_SG_EEES6_PlJ7is_evenIjEEEE10hipError_tPvRmT3_T4_T5_T6_T7_T9_mT8_P12ihipStream_tbDpT10_ENKUlT_T0_E_clISt17integral_constantIbLb1EES18_IbLb0EEEEDaS14_S15_EUlS14_E_NS1_11comp_targetILNS1_3genE3ELNS1_11target_archE908ELNS1_3gpuE7ELNS1_3repE0EEENS1_30default_config_static_selectorELNS0_4arch9wavefront6targetE1EEEvT1_
    .private_segment_fixed_size: 0
    .sgpr_count:     4
    .sgpr_spill_count: 0
    .symbol:         _ZN7rocprim17ROCPRIM_400000_NS6detail17trampoline_kernelINS0_14default_configENS1_25partition_config_selectorILNS1_17partition_subalgoE0EjNS0_10empty_typeEbEEZZNS1_14partition_implILS5_0ELb0ES3_jN6thrust23THRUST_200600_302600_NS6detail15normal_iteratorINSA_10device_ptrIjEEEEPS6_SG_NS0_5tupleIJSF_NSA_16discard_iteratorINSA_11use_defaultEEEEEENSH_IJSG_SG_EEES6_PlJ7is_evenIjEEEE10hipError_tPvRmT3_T4_T5_T6_T7_T9_mT8_P12ihipStream_tbDpT10_ENKUlT_T0_E_clISt17integral_constantIbLb1EES18_IbLb0EEEEDaS14_S15_EUlS14_E_NS1_11comp_targetILNS1_3genE3ELNS1_11target_archE908ELNS1_3gpuE7ELNS1_3repE0EEENS1_30default_config_static_selectorELNS0_4arch9wavefront6targetE1EEEvT1_.kd
    .uniform_work_group_size: 1
    .uses_dynamic_stack: false
    .vgpr_count:     0
    .vgpr_spill_count: 0
    .wavefront_size: 64
  - .agpr_count:     0
    .args:
      - .offset:         0
        .size:           128
        .value_kind:     by_value
    .group_segment_fixed_size: 0
    .kernarg_segment_align: 8
    .kernarg_segment_size: 128
    .language:       OpenCL C
    .language_version:
      - 2
      - 0
    .max_flat_workgroup_size: 192
    .name:           _ZN7rocprim17ROCPRIM_400000_NS6detail17trampoline_kernelINS0_14default_configENS1_25partition_config_selectorILNS1_17partition_subalgoE0EjNS0_10empty_typeEbEEZZNS1_14partition_implILS5_0ELb0ES3_jN6thrust23THRUST_200600_302600_NS6detail15normal_iteratorINSA_10device_ptrIjEEEEPS6_SG_NS0_5tupleIJSF_NSA_16discard_iteratorINSA_11use_defaultEEEEEENSH_IJSG_SG_EEES6_PlJ7is_evenIjEEEE10hipError_tPvRmT3_T4_T5_T6_T7_T9_mT8_P12ihipStream_tbDpT10_ENKUlT_T0_E_clISt17integral_constantIbLb1EES18_IbLb0EEEEDaS14_S15_EUlS14_E_NS1_11comp_targetILNS1_3genE2ELNS1_11target_archE906ELNS1_3gpuE6ELNS1_3repE0EEENS1_30default_config_static_selectorELNS0_4arch9wavefront6targetE1EEEvT1_
    .private_segment_fixed_size: 0
    .sgpr_count:     4
    .sgpr_spill_count: 0
    .symbol:         _ZN7rocprim17ROCPRIM_400000_NS6detail17trampoline_kernelINS0_14default_configENS1_25partition_config_selectorILNS1_17partition_subalgoE0EjNS0_10empty_typeEbEEZZNS1_14partition_implILS5_0ELb0ES3_jN6thrust23THRUST_200600_302600_NS6detail15normal_iteratorINSA_10device_ptrIjEEEEPS6_SG_NS0_5tupleIJSF_NSA_16discard_iteratorINSA_11use_defaultEEEEEENSH_IJSG_SG_EEES6_PlJ7is_evenIjEEEE10hipError_tPvRmT3_T4_T5_T6_T7_T9_mT8_P12ihipStream_tbDpT10_ENKUlT_T0_E_clISt17integral_constantIbLb1EES18_IbLb0EEEEDaS14_S15_EUlS14_E_NS1_11comp_targetILNS1_3genE2ELNS1_11target_archE906ELNS1_3gpuE6ELNS1_3repE0EEENS1_30default_config_static_selectorELNS0_4arch9wavefront6targetE1EEEvT1_.kd
    .uniform_work_group_size: 1
    .uses_dynamic_stack: false
    .vgpr_count:     0
    .vgpr_spill_count: 0
    .wavefront_size: 64
  - .agpr_count:     0
    .args:
      - .offset:         0
        .size:           128
        .value_kind:     by_value
    .group_segment_fixed_size: 0
    .kernarg_segment_align: 8
    .kernarg_segment_size: 128
    .language:       OpenCL C
    .language_version:
      - 2
      - 0
    .max_flat_workgroup_size: 512
    .name:           _ZN7rocprim17ROCPRIM_400000_NS6detail17trampoline_kernelINS0_14default_configENS1_25partition_config_selectorILNS1_17partition_subalgoE0EjNS0_10empty_typeEbEEZZNS1_14partition_implILS5_0ELb0ES3_jN6thrust23THRUST_200600_302600_NS6detail15normal_iteratorINSA_10device_ptrIjEEEEPS6_SG_NS0_5tupleIJSF_NSA_16discard_iteratorINSA_11use_defaultEEEEEENSH_IJSG_SG_EEES6_PlJ7is_evenIjEEEE10hipError_tPvRmT3_T4_T5_T6_T7_T9_mT8_P12ihipStream_tbDpT10_ENKUlT_T0_E_clISt17integral_constantIbLb1EES18_IbLb0EEEEDaS14_S15_EUlS14_E_NS1_11comp_targetILNS1_3genE10ELNS1_11target_archE1200ELNS1_3gpuE4ELNS1_3repE0EEENS1_30default_config_static_selectorELNS0_4arch9wavefront6targetE1EEEvT1_
    .private_segment_fixed_size: 0
    .sgpr_count:     4
    .sgpr_spill_count: 0
    .symbol:         _ZN7rocprim17ROCPRIM_400000_NS6detail17trampoline_kernelINS0_14default_configENS1_25partition_config_selectorILNS1_17partition_subalgoE0EjNS0_10empty_typeEbEEZZNS1_14partition_implILS5_0ELb0ES3_jN6thrust23THRUST_200600_302600_NS6detail15normal_iteratorINSA_10device_ptrIjEEEEPS6_SG_NS0_5tupleIJSF_NSA_16discard_iteratorINSA_11use_defaultEEEEEENSH_IJSG_SG_EEES6_PlJ7is_evenIjEEEE10hipError_tPvRmT3_T4_T5_T6_T7_T9_mT8_P12ihipStream_tbDpT10_ENKUlT_T0_E_clISt17integral_constantIbLb1EES18_IbLb0EEEEDaS14_S15_EUlS14_E_NS1_11comp_targetILNS1_3genE10ELNS1_11target_archE1200ELNS1_3gpuE4ELNS1_3repE0EEENS1_30default_config_static_selectorELNS0_4arch9wavefront6targetE1EEEvT1_.kd
    .uniform_work_group_size: 1
    .uses_dynamic_stack: false
    .vgpr_count:     0
    .vgpr_spill_count: 0
    .wavefront_size: 64
  - .agpr_count:     0
    .args:
      - .offset:         0
        .size:           128
        .value_kind:     by_value
    .group_segment_fixed_size: 0
    .kernarg_segment_align: 8
    .kernarg_segment_size: 128
    .language:       OpenCL C
    .language_version:
      - 2
      - 0
    .max_flat_workgroup_size: 128
    .name:           _ZN7rocprim17ROCPRIM_400000_NS6detail17trampoline_kernelINS0_14default_configENS1_25partition_config_selectorILNS1_17partition_subalgoE0EjNS0_10empty_typeEbEEZZNS1_14partition_implILS5_0ELb0ES3_jN6thrust23THRUST_200600_302600_NS6detail15normal_iteratorINSA_10device_ptrIjEEEEPS6_SG_NS0_5tupleIJSF_NSA_16discard_iteratorINSA_11use_defaultEEEEEENSH_IJSG_SG_EEES6_PlJ7is_evenIjEEEE10hipError_tPvRmT3_T4_T5_T6_T7_T9_mT8_P12ihipStream_tbDpT10_ENKUlT_T0_E_clISt17integral_constantIbLb1EES18_IbLb0EEEEDaS14_S15_EUlS14_E_NS1_11comp_targetILNS1_3genE9ELNS1_11target_archE1100ELNS1_3gpuE3ELNS1_3repE0EEENS1_30default_config_static_selectorELNS0_4arch9wavefront6targetE1EEEvT1_
    .private_segment_fixed_size: 0
    .sgpr_count:     4
    .sgpr_spill_count: 0
    .symbol:         _ZN7rocprim17ROCPRIM_400000_NS6detail17trampoline_kernelINS0_14default_configENS1_25partition_config_selectorILNS1_17partition_subalgoE0EjNS0_10empty_typeEbEEZZNS1_14partition_implILS5_0ELb0ES3_jN6thrust23THRUST_200600_302600_NS6detail15normal_iteratorINSA_10device_ptrIjEEEEPS6_SG_NS0_5tupleIJSF_NSA_16discard_iteratorINSA_11use_defaultEEEEEENSH_IJSG_SG_EEES6_PlJ7is_evenIjEEEE10hipError_tPvRmT3_T4_T5_T6_T7_T9_mT8_P12ihipStream_tbDpT10_ENKUlT_T0_E_clISt17integral_constantIbLb1EES18_IbLb0EEEEDaS14_S15_EUlS14_E_NS1_11comp_targetILNS1_3genE9ELNS1_11target_archE1100ELNS1_3gpuE3ELNS1_3repE0EEENS1_30default_config_static_selectorELNS0_4arch9wavefront6targetE1EEEvT1_.kd
    .uniform_work_group_size: 1
    .uses_dynamic_stack: false
    .vgpr_count:     0
    .vgpr_spill_count: 0
    .wavefront_size: 64
  - .agpr_count:     0
    .args:
      - .offset:         0
        .size:           128
        .value_kind:     by_value
    .group_segment_fixed_size: 0
    .kernarg_segment_align: 8
    .kernarg_segment_size: 128
    .language:       OpenCL C
    .language_version:
      - 2
      - 0
    .max_flat_workgroup_size: 512
    .name:           _ZN7rocprim17ROCPRIM_400000_NS6detail17trampoline_kernelINS0_14default_configENS1_25partition_config_selectorILNS1_17partition_subalgoE0EjNS0_10empty_typeEbEEZZNS1_14partition_implILS5_0ELb0ES3_jN6thrust23THRUST_200600_302600_NS6detail15normal_iteratorINSA_10device_ptrIjEEEEPS6_SG_NS0_5tupleIJSF_NSA_16discard_iteratorINSA_11use_defaultEEEEEENSH_IJSG_SG_EEES6_PlJ7is_evenIjEEEE10hipError_tPvRmT3_T4_T5_T6_T7_T9_mT8_P12ihipStream_tbDpT10_ENKUlT_T0_E_clISt17integral_constantIbLb1EES18_IbLb0EEEEDaS14_S15_EUlS14_E_NS1_11comp_targetILNS1_3genE8ELNS1_11target_archE1030ELNS1_3gpuE2ELNS1_3repE0EEENS1_30default_config_static_selectorELNS0_4arch9wavefront6targetE1EEEvT1_
    .private_segment_fixed_size: 0
    .sgpr_count:     4
    .sgpr_spill_count: 0
    .symbol:         _ZN7rocprim17ROCPRIM_400000_NS6detail17trampoline_kernelINS0_14default_configENS1_25partition_config_selectorILNS1_17partition_subalgoE0EjNS0_10empty_typeEbEEZZNS1_14partition_implILS5_0ELb0ES3_jN6thrust23THRUST_200600_302600_NS6detail15normal_iteratorINSA_10device_ptrIjEEEEPS6_SG_NS0_5tupleIJSF_NSA_16discard_iteratorINSA_11use_defaultEEEEEENSH_IJSG_SG_EEES6_PlJ7is_evenIjEEEE10hipError_tPvRmT3_T4_T5_T6_T7_T9_mT8_P12ihipStream_tbDpT10_ENKUlT_T0_E_clISt17integral_constantIbLb1EES18_IbLb0EEEEDaS14_S15_EUlS14_E_NS1_11comp_targetILNS1_3genE8ELNS1_11target_archE1030ELNS1_3gpuE2ELNS1_3repE0EEENS1_30default_config_static_selectorELNS0_4arch9wavefront6targetE1EEEvT1_.kd
    .uniform_work_group_size: 1
    .uses_dynamic_stack: false
    .vgpr_count:     0
    .vgpr_spill_count: 0
    .wavefront_size: 64
  - .agpr_count:     0
    .args:
      - .offset:         0
        .size:           144
        .value_kind:     by_value
    .group_segment_fixed_size: 0
    .kernarg_segment_align: 8
    .kernarg_segment_size: 144
    .language:       OpenCL C
    .language_version:
      - 2
      - 0
    .max_flat_workgroup_size: 256
    .name:           _ZN7rocprim17ROCPRIM_400000_NS6detail17trampoline_kernelINS0_14default_configENS1_25partition_config_selectorILNS1_17partition_subalgoE0EjNS0_10empty_typeEbEEZZNS1_14partition_implILS5_0ELb0ES3_jN6thrust23THRUST_200600_302600_NS6detail15normal_iteratorINSA_10device_ptrIjEEEEPS6_SG_NS0_5tupleIJSF_NSA_16discard_iteratorINSA_11use_defaultEEEEEENSH_IJSG_SG_EEES6_PlJ7is_evenIjEEEE10hipError_tPvRmT3_T4_T5_T6_T7_T9_mT8_P12ihipStream_tbDpT10_ENKUlT_T0_E_clISt17integral_constantIbLb0EES18_IbLb1EEEEDaS14_S15_EUlS14_E_NS1_11comp_targetILNS1_3genE0ELNS1_11target_archE4294967295ELNS1_3gpuE0ELNS1_3repE0EEENS1_30default_config_static_selectorELNS0_4arch9wavefront6targetE1EEEvT1_
    .private_segment_fixed_size: 0
    .sgpr_count:     4
    .sgpr_spill_count: 0
    .symbol:         _ZN7rocprim17ROCPRIM_400000_NS6detail17trampoline_kernelINS0_14default_configENS1_25partition_config_selectorILNS1_17partition_subalgoE0EjNS0_10empty_typeEbEEZZNS1_14partition_implILS5_0ELb0ES3_jN6thrust23THRUST_200600_302600_NS6detail15normal_iteratorINSA_10device_ptrIjEEEEPS6_SG_NS0_5tupleIJSF_NSA_16discard_iteratorINSA_11use_defaultEEEEEENSH_IJSG_SG_EEES6_PlJ7is_evenIjEEEE10hipError_tPvRmT3_T4_T5_T6_T7_T9_mT8_P12ihipStream_tbDpT10_ENKUlT_T0_E_clISt17integral_constantIbLb0EES18_IbLb1EEEEDaS14_S15_EUlS14_E_NS1_11comp_targetILNS1_3genE0ELNS1_11target_archE4294967295ELNS1_3gpuE0ELNS1_3repE0EEENS1_30default_config_static_selectorELNS0_4arch9wavefront6targetE1EEEvT1_.kd
    .uniform_work_group_size: 1
    .uses_dynamic_stack: false
    .vgpr_count:     0
    .vgpr_spill_count: 0
    .wavefront_size: 64
  - .agpr_count:     0
    .args:
      - .offset:         0
        .size:           144
        .value_kind:     by_value
    .group_segment_fixed_size: 0
    .kernarg_segment_align: 8
    .kernarg_segment_size: 144
    .language:       OpenCL C
    .language_version:
      - 2
      - 0
    .max_flat_workgroup_size: 512
    .name:           _ZN7rocprim17ROCPRIM_400000_NS6detail17trampoline_kernelINS0_14default_configENS1_25partition_config_selectorILNS1_17partition_subalgoE0EjNS0_10empty_typeEbEEZZNS1_14partition_implILS5_0ELb0ES3_jN6thrust23THRUST_200600_302600_NS6detail15normal_iteratorINSA_10device_ptrIjEEEEPS6_SG_NS0_5tupleIJSF_NSA_16discard_iteratorINSA_11use_defaultEEEEEENSH_IJSG_SG_EEES6_PlJ7is_evenIjEEEE10hipError_tPvRmT3_T4_T5_T6_T7_T9_mT8_P12ihipStream_tbDpT10_ENKUlT_T0_E_clISt17integral_constantIbLb0EES18_IbLb1EEEEDaS14_S15_EUlS14_E_NS1_11comp_targetILNS1_3genE5ELNS1_11target_archE942ELNS1_3gpuE9ELNS1_3repE0EEENS1_30default_config_static_selectorELNS0_4arch9wavefront6targetE1EEEvT1_
    .private_segment_fixed_size: 0
    .sgpr_count:     4
    .sgpr_spill_count: 0
    .symbol:         _ZN7rocprim17ROCPRIM_400000_NS6detail17trampoline_kernelINS0_14default_configENS1_25partition_config_selectorILNS1_17partition_subalgoE0EjNS0_10empty_typeEbEEZZNS1_14partition_implILS5_0ELb0ES3_jN6thrust23THRUST_200600_302600_NS6detail15normal_iteratorINSA_10device_ptrIjEEEEPS6_SG_NS0_5tupleIJSF_NSA_16discard_iteratorINSA_11use_defaultEEEEEENSH_IJSG_SG_EEES6_PlJ7is_evenIjEEEE10hipError_tPvRmT3_T4_T5_T6_T7_T9_mT8_P12ihipStream_tbDpT10_ENKUlT_T0_E_clISt17integral_constantIbLb0EES18_IbLb1EEEEDaS14_S15_EUlS14_E_NS1_11comp_targetILNS1_3genE5ELNS1_11target_archE942ELNS1_3gpuE9ELNS1_3repE0EEENS1_30default_config_static_selectorELNS0_4arch9wavefront6targetE1EEEvT1_.kd
    .uniform_work_group_size: 1
    .uses_dynamic_stack: false
    .vgpr_count:     0
    .vgpr_spill_count: 0
    .wavefront_size: 64
  - .agpr_count:     0
    .args:
      - .offset:         0
        .size:           144
        .value_kind:     by_value
    .group_segment_fixed_size: 10248
    .kernarg_segment_align: 8
    .kernarg_segment_size: 144
    .language:       OpenCL C
    .language_version:
      - 2
      - 0
    .max_flat_workgroup_size: 256
    .name:           _ZN7rocprim17ROCPRIM_400000_NS6detail17trampoline_kernelINS0_14default_configENS1_25partition_config_selectorILNS1_17partition_subalgoE0EjNS0_10empty_typeEbEEZZNS1_14partition_implILS5_0ELb0ES3_jN6thrust23THRUST_200600_302600_NS6detail15normal_iteratorINSA_10device_ptrIjEEEEPS6_SG_NS0_5tupleIJSF_NSA_16discard_iteratorINSA_11use_defaultEEEEEENSH_IJSG_SG_EEES6_PlJ7is_evenIjEEEE10hipError_tPvRmT3_T4_T5_T6_T7_T9_mT8_P12ihipStream_tbDpT10_ENKUlT_T0_E_clISt17integral_constantIbLb0EES18_IbLb1EEEEDaS14_S15_EUlS14_E_NS1_11comp_targetILNS1_3genE4ELNS1_11target_archE910ELNS1_3gpuE8ELNS1_3repE0EEENS1_30default_config_static_selectorELNS0_4arch9wavefront6targetE1EEEvT1_
    .private_segment_fixed_size: 0
    .sgpr_count:     44
    .sgpr_spill_count: 0
    .symbol:         _ZN7rocprim17ROCPRIM_400000_NS6detail17trampoline_kernelINS0_14default_configENS1_25partition_config_selectorILNS1_17partition_subalgoE0EjNS0_10empty_typeEbEEZZNS1_14partition_implILS5_0ELb0ES3_jN6thrust23THRUST_200600_302600_NS6detail15normal_iteratorINSA_10device_ptrIjEEEEPS6_SG_NS0_5tupleIJSF_NSA_16discard_iteratorINSA_11use_defaultEEEEEENSH_IJSG_SG_EEES6_PlJ7is_evenIjEEEE10hipError_tPvRmT3_T4_T5_T6_T7_T9_mT8_P12ihipStream_tbDpT10_ENKUlT_T0_E_clISt17integral_constantIbLb0EES18_IbLb1EEEEDaS14_S15_EUlS14_E_NS1_11comp_targetILNS1_3genE4ELNS1_11target_archE910ELNS1_3gpuE8ELNS1_3repE0EEENS1_30default_config_static_selectorELNS0_4arch9wavefront6targetE1EEEvT1_.kd
    .uniform_work_group_size: 1
    .uses_dynamic_stack: false
    .vgpr_count:     56
    .vgpr_spill_count: 0
    .wavefront_size: 64
  - .agpr_count:     0
    .args:
      - .offset:         0
        .size:           144
        .value_kind:     by_value
    .group_segment_fixed_size: 0
    .kernarg_segment_align: 8
    .kernarg_segment_size: 144
    .language:       OpenCL C
    .language_version:
      - 2
      - 0
    .max_flat_workgroup_size: 256
    .name:           _ZN7rocprim17ROCPRIM_400000_NS6detail17trampoline_kernelINS0_14default_configENS1_25partition_config_selectorILNS1_17partition_subalgoE0EjNS0_10empty_typeEbEEZZNS1_14partition_implILS5_0ELb0ES3_jN6thrust23THRUST_200600_302600_NS6detail15normal_iteratorINSA_10device_ptrIjEEEEPS6_SG_NS0_5tupleIJSF_NSA_16discard_iteratorINSA_11use_defaultEEEEEENSH_IJSG_SG_EEES6_PlJ7is_evenIjEEEE10hipError_tPvRmT3_T4_T5_T6_T7_T9_mT8_P12ihipStream_tbDpT10_ENKUlT_T0_E_clISt17integral_constantIbLb0EES18_IbLb1EEEEDaS14_S15_EUlS14_E_NS1_11comp_targetILNS1_3genE3ELNS1_11target_archE908ELNS1_3gpuE7ELNS1_3repE0EEENS1_30default_config_static_selectorELNS0_4arch9wavefront6targetE1EEEvT1_
    .private_segment_fixed_size: 0
    .sgpr_count:     4
    .sgpr_spill_count: 0
    .symbol:         _ZN7rocprim17ROCPRIM_400000_NS6detail17trampoline_kernelINS0_14default_configENS1_25partition_config_selectorILNS1_17partition_subalgoE0EjNS0_10empty_typeEbEEZZNS1_14partition_implILS5_0ELb0ES3_jN6thrust23THRUST_200600_302600_NS6detail15normal_iteratorINSA_10device_ptrIjEEEEPS6_SG_NS0_5tupleIJSF_NSA_16discard_iteratorINSA_11use_defaultEEEEEENSH_IJSG_SG_EEES6_PlJ7is_evenIjEEEE10hipError_tPvRmT3_T4_T5_T6_T7_T9_mT8_P12ihipStream_tbDpT10_ENKUlT_T0_E_clISt17integral_constantIbLb0EES18_IbLb1EEEEDaS14_S15_EUlS14_E_NS1_11comp_targetILNS1_3genE3ELNS1_11target_archE908ELNS1_3gpuE7ELNS1_3repE0EEENS1_30default_config_static_selectorELNS0_4arch9wavefront6targetE1EEEvT1_.kd
    .uniform_work_group_size: 1
    .uses_dynamic_stack: false
    .vgpr_count:     0
    .vgpr_spill_count: 0
    .wavefront_size: 64
  - .agpr_count:     0
    .args:
      - .offset:         0
        .size:           144
        .value_kind:     by_value
    .group_segment_fixed_size: 0
    .kernarg_segment_align: 8
    .kernarg_segment_size: 144
    .language:       OpenCL C
    .language_version:
      - 2
      - 0
    .max_flat_workgroup_size: 192
    .name:           _ZN7rocprim17ROCPRIM_400000_NS6detail17trampoline_kernelINS0_14default_configENS1_25partition_config_selectorILNS1_17partition_subalgoE0EjNS0_10empty_typeEbEEZZNS1_14partition_implILS5_0ELb0ES3_jN6thrust23THRUST_200600_302600_NS6detail15normal_iteratorINSA_10device_ptrIjEEEEPS6_SG_NS0_5tupleIJSF_NSA_16discard_iteratorINSA_11use_defaultEEEEEENSH_IJSG_SG_EEES6_PlJ7is_evenIjEEEE10hipError_tPvRmT3_T4_T5_T6_T7_T9_mT8_P12ihipStream_tbDpT10_ENKUlT_T0_E_clISt17integral_constantIbLb0EES18_IbLb1EEEEDaS14_S15_EUlS14_E_NS1_11comp_targetILNS1_3genE2ELNS1_11target_archE906ELNS1_3gpuE6ELNS1_3repE0EEENS1_30default_config_static_selectorELNS0_4arch9wavefront6targetE1EEEvT1_
    .private_segment_fixed_size: 0
    .sgpr_count:     4
    .sgpr_spill_count: 0
    .symbol:         _ZN7rocprim17ROCPRIM_400000_NS6detail17trampoline_kernelINS0_14default_configENS1_25partition_config_selectorILNS1_17partition_subalgoE0EjNS0_10empty_typeEbEEZZNS1_14partition_implILS5_0ELb0ES3_jN6thrust23THRUST_200600_302600_NS6detail15normal_iteratorINSA_10device_ptrIjEEEEPS6_SG_NS0_5tupleIJSF_NSA_16discard_iteratorINSA_11use_defaultEEEEEENSH_IJSG_SG_EEES6_PlJ7is_evenIjEEEE10hipError_tPvRmT3_T4_T5_T6_T7_T9_mT8_P12ihipStream_tbDpT10_ENKUlT_T0_E_clISt17integral_constantIbLb0EES18_IbLb1EEEEDaS14_S15_EUlS14_E_NS1_11comp_targetILNS1_3genE2ELNS1_11target_archE906ELNS1_3gpuE6ELNS1_3repE0EEENS1_30default_config_static_selectorELNS0_4arch9wavefront6targetE1EEEvT1_.kd
    .uniform_work_group_size: 1
    .uses_dynamic_stack: false
    .vgpr_count:     0
    .vgpr_spill_count: 0
    .wavefront_size: 64
  - .agpr_count:     0
    .args:
      - .offset:         0
        .size:           144
        .value_kind:     by_value
    .group_segment_fixed_size: 0
    .kernarg_segment_align: 8
    .kernarg_segment_size: 144
    .language:       OpenCL C
    .language_version:
      - 2
      - 0
    .max_flat_workgroup_size: 512
    .name:           _ZN7rocprim17ROCPRIM_400000_NS6detail17trampoline_kernelINS0_14default_configENS1_25partition_config_selectorILNS1_17partition_subalgoE0EjNS0_10empty_typeEbEEZZNS1_14partition_implILS5_0ELb0ES3_jN6thrust23THRUST_200600_302600_NS6detail15normal_iteratorINSA_10device_ptrIjEEEEPS6_SG_NS0_5tupleIJSF_NSA_16discard_iteratorINSA_11use_defaultEEEEEENSH_IJSG_SG_EEES6_PlJ7is_evenIjEEEE10hipError_tPvRmT3_T4_T5_T6_T7_T9_mT8_P12ihipStream_tbDpT10_ENKUlT_T0_E_clISt17integral_constantIbLb0EES18_IbLb1EEEEDaS14_S15_EUlS14_E_NS1_11comp_targetILNS1_3genE10ELNS1_11target_archE1200ELNS1_3gpuE4ELNS1_3repE0EEENS1_30default_config_static_selectorELNS0_4arch9wavefront6targetE1EEEvT1_
    .private_segment_fixed_size: 0
    .sgpr_count:     4
    .sgpr_spill_count: 0
    .symbol:         _ZN7rocprim17ROCPRIM_400000_NS6detail17trampoline_kernelINS0_14default_configENS1_25partition_config_selectorILNS1_17partition_subalgoE0EjNS0_10empty_typeEbEEZZNS1_14partition_implILS5_0ELb0ES3_jN6thrust23THRUST_200600_302600_NS6detail15normal_iteratorINSA_10device_ptrIjEEEEPS6_SG_NS0_5tupleIJSF_NSA_16discard_iteratorINSA_11use_defaultEEEEEENSH_IJSG_SG_EEES6_PlJ7is_evenIjEEEE10hipError_tPvRmT3_T4_T5_T6_T7_T9_mT8_P12ihipStream_tbDpT10_ENKUlT_T0_E_clISt17integral_constantIbLb0EES18_IbLb1EEEEDaS14_S15_EUlS14_E_NS1_11comp_targetILNS1_3genE10ELNS1_11target_archE1200ELNS1_3gpuE4ELNS1_3repE0EEENS1_30default_config_static_selectorELNS0_4arch9wavefront6targetE1EEEvT1_.kd
    .uniform_work_group_size: 1
    .uses_dynamic_stack: false
    .vgpr_count:     0
    .vgpr_spill_count: 0
    .wavefront_size: 64
  - .agpr_count:     0
    .args:
      - .offset:         0
        .size:           144
        .value_kind:     by_value
    .group_segment_fixed_size: 0
    .kernarg_segment_align: 8
    .kernarg_segment_size: 144
    .language:       OpenCL C
    .language_version:
      - 2
      - 0
    .max_flat_workgroup_size: 128
    .name:           _ZN7rocprim17ROCPRIM_400000_NS6detail17trampoline_kernelINS0_14default_configENS1_25partition_config_selectorILNS1_17partition_subalgoE0EjNS0_10empty_typeEbEEZZNS1_14partition_implILS5_0ELb0ES3_jN6thrust23THRUST_200600_302600_NS6detail15normal_iteratorINSA_10device_ptrIjEEEEPS6_SG_NS0_5tupleIJSF_NSA_16discard_iteratorINSA_11use_defaultEEEEEENSH_IJSG_SG_EEES6_PlJ7is_evenIjEEEE10hipError_tPvRmT3_T4_T5_T6_T7_T9_mT8_P12ihipStream_tbDpT10_ENKUlT_T0_E_clISt17integral_constantIbLb0EES18_IbLb1EEEEDaS14_S15_EUlS14_E_NS1_11comp_targetILNS1_3genE9ELNS1_11target_archE1100ELNS1_3gpuE3ELNS1_3repE0EEENS1_30default_config_static_selectorELNS0_4arch9wavefront6targetE1EEEvT1_
    .private_segment_fixed_size: 0
    .sgpr_count:     4
    .sgpr_spill_count: 0
    .symbol:         _ZN7rocprim17ROCPRIM_400000_NS6detail17trampoline_kernelINS0_14default_configENS1_25partition_config_selectorILNS1_17partition_subalgoE0EjNS0_10empty_typeEbEEZZNS1_14partition_implILS5_0ELb0ES3_jN6thrust23THRUST_200600_302600_NS6detail15normal_iteratorINSA_10device_ptrIjEEEEPS6_SG_NS0_5tupleIJSF_NSA_16discard_iteratorINSA_11use_defaultEEEEEENSH_IJSG_SG_EEES6_PlJ7is_evenIjEEEE10hipError_tPvRmT3_T4_T5_T6_T7_T9_mT8_P12ihipStream_tbDpT10_ENKUlT_T0_E_clISt17integral_constantIbLb0EES18_IbLb1EEEEDaS14_S15_EUlS14_E_NS1_11comp_targetILNS1_3genE9ELNS1_11target_archE1100ELNS1_3gpuE3ELNS1_3repE0EEENS1_30default_config_static_selectorELNS0_4arch9wavefront6targetE1EEEvT1_.kd
    .uniform_work_group_size: 1
    .uses_dynamic_stack: false
    .vgpr_count:     0
    .vgpr_spill_count: 0
    .wavefront_size: 64
  - .agpr_count:     0
    .args:
      - .offset:         0
        .size:           144
        .value_kind:     by_value
    .group_segment_fixed_size: 0
    .kernarg_segment_align: 8
    .kernarg_segment_size: 144
    .language:       OpenCL C
    .language_version:
      - 2
      - 0
    .max_flat_workgroup_size: 512
    .name:           _ZN7rocprim17ROCPRIM_400000_NS6detail17trampoline_kernelINS0_14default_configENS1_25partition_config_selectorILNS1_17partition_subalgoE0EjNS0_10empty_typeEbEEZZNS1_14partition_implILS5_0ELb0ES3_jN6thrust23THRUST_200600_302600_NS6detail15normal_iteratorINSA_10device_ptrIjEEEEPS6_SG_NS0_5tupleIJSF_NSA_16discard_iteratorINSA_11use_defaultEEEEEENSH_IJSG_SG_EEES6_PlJ7is_evenIjEEEE10hipError_tPvRmT3_T4_T5_T6_T7_T9_mT8_P12ihipStream_tbDpT10_ENKUlT_T0_E_clISt17integral_constantIbLb0EES18_IbLb1EEEEDaS14_S15_EUlS14_E_NS1_11comp_targetILNS1_3genE8ELNS1_11target_archE1030ELNS1_3gpuE2ELNS1_3repE0EEENS1_30default_config_static_selectorELNS0_4arch9wavefront6targetE1EEEvT1_
    .private_segment_fixed_size: 0
    .sgpr_count:     4
    .sgpr_spill_count: 0
    .symbol:         _ZN7rocprim17ROCPRIM_400000_NS6detail17trampoline_kernelINS0_14default_configENS1_25partition_config_selectorILNS1_17partition_subalgoE0EjNS0_10empty_typeEbEEZZNS1_14partition_implILS5_0ELb0ES3_jN6thrust23THRUST_200600_302600_NS6detail15normal_iteratorINSA_10device_ptrIjEEEEPS6_SG_NS0_5tupleIJSF_NSA_16discard_iteratorINSA_11use_defaultEEEEEENSH_IJSG_SG_EEES6_PlJ7is_evenIjEEEE10hipError_tPvRmT3_T4_T5_T6_T7_T9_mT8_P12ihipStream_tbDpT10_ENKUlT_T0_E_clISt17integral_constantIbLb0EES18_IbLb1EEEEDaS14_S15_EUlS14_E_NS1_11comp_targetILNS1_3genE8ELNS1_11target_archE1030ELNS1_3gpuE2ELNS1_3repE0EEENS1_30default_config_static_selectorELNS0_4arch9wavefront6targetE1EEEvT1_.kd
    .uniform_work_group_size: 1
    .uses_dynamic_stack: false
    .vgpr_count:     0
    .vgpr_spill_count: 0
    .wavefront_size: 64
  - .agpr_count:     0
    .args:
      - .offset:         0
        .size:           128
        .value_kind:     by_value
    .group_segment_fixed_size: 0
    .kernarg_segment_align: 8
    .kernarg_segment_size: 128
    .language:       OpenCL C
    .language_version:
      - 2
      - 0
    .max_flat_workgroup_size: 256
    .name:           _ZN7rocprim17ROCPRIM_400000_NS6detail17trampoline_kernelINS0_14default_configENS1_25partition_config_selectorILNS1_17partition_subalgoE0EjNS0_10empty_typeEbEEZZNS1_14partition_implILS5_0ELb0ES3_jN6thrust23THRUST_200600_302600_NS6detail15normal_iteratorINSA_10device_ptrIjEEEEPS6_SG_NS0_5tupleIJNSA_16discard_iteratorINSA_11use_defaultEEESF_EEENSH_IJSG_SG_EEES6_PlJ7is_evenIjEEEE10hipError_tPvRmT3_T4_T5_T6_T7_T9_mT8_P12ihipStream_tbDpT10_ENKUlT_T0_E_clISt17integral_constantIbLb0EES19_EEDaS14_S15_EUlS14_E_NS1_11comp_targetILNS1_3genE0ELNS1_11target_archE4294967295ELNS1_3gpuE0ELNS1_3repE0EEENS1_30default_config_static_selectorELNS0_4arch9wavefront6targetE1EEEvT1_
    .private_segment_fixed_size: 0
    .sgpr_count:     4
    .sgpr_spill_count: 0
    .symbol:         _ZN7rocprim17ROCPRIM_400000_NS6detail17trampoline_kernelINS0_14default_configENS1_25partition_config_selectorILNS1_17partition_subalgoE0EjNS0_10empty_typeEbEEZZNS1_14partition_implILS5_0ELb0ES3_jN6thrust23THRUST_200600_302600_NS6detail15normal_iteratorINSA_10device_ptrIjEEEEPS6_SG_NS0_5tupleIJNSA_16discard_iteratorINSA_11use_defaultEEESF_EEENSH_IJSG_SG_EEES6_PlJ7is_evenIjEEEE10hipError_tPvRmT3_T4_T5_T6_T7_T9_mT8_P12ihipStream_tbDpT10_ENKUlT_T0_E_clISt17integral_constantIbLb0EES19_EEDaS14_S15_EUlS14_E_NS1_11comp_targetILNS1_3genE0ELNS1_11target_archE4294967295ELNS1_3gpuE0ELNS1_3repE0EEENS1_30default_config_static_selectorELNS0_4arch9wavefront6targetE1EEEvT1_.kd
    .uniform_work_group_size: 1
    .uses_dynamic_stack: false
    .vgpr_count:     0
    .vgpr_spill_count: 0
    .wavefront_size: 64
  - .agpr_count:     0
    .args:
      - .offset:         0
        .size:           128
        .value_kind:     by_value
    .group_segment_fixed_size: 0
    .kernarg_segment_align: 8
    .kernarg_segment_size: 128
    .language:       OpenCL C
    .language_version:
      - 2
      - 0
    .max_flat_workgroup_size: 512
    .name:           _ZN7rocprim17ROCPRIM_400000_NS6detail17trampoline_kernelINS0_14default_configENS1_25partition_config_selectorILNS1_17partition_subalgoE0EjNS0_10empty_typeEbEEZZNS1_14partition_implILS5_0ELb0ES3_jN6thrust23THRUST_200600_302600_NS6detail15normal_iteratorINSA_10device_ptrIjEEEEPS6_SG_NS0_5tupleIJNSA_16discard_iteratorINSA_11use_defaultEEESF_EEENSH_IJSG_SG_EEES6_PlJ7is_evenIjEEEE10hipError_tPvRmT3_T4_T5_T6_T7_T9_mT8_P12ihipStream_tbDpT10_ENKUlT_T0_E_clISt17integral_constantIbLb0EES19_EEDaS14_S15_EUlS14_E_NS1_11comp_targetILNS1_3genE5ELNS1_11target_archE942ELNS1_3gpuE9ELNS1_3repE0EEENS1_30default_config_static_selectorELNS0_4arch9wavefront6targetE1EEEvT1_
    .private_segment_fixed_size: 0
    .sgpr_count:     4
    .sgpr_spill_count: 0
    .symbol:         _ZN7rocprim17ROCPRIM_400000_NS6detail17trampoline_kernelINS0_14default_configENS1_25partition_config_selectorILNS1_17partition_subalgoE0EjNS0_10empty_typeEbEEZZNS1_14partition_implILS5_0ELb0ES3_jN6thrust23THRUST_200600_302600_NS6detail15normal_iteratorINSA_10device_ptrIjEEEEPS6_SG_NS0_5tupleIJNSA_16discard_iteratorINSA_11use_defaultEEESF_EEENSH_IJSG_SG_EEES6_PlJ7is_evenIjEEEE10hipError_tPvRmT3_T4_T5_T6_T7_T9_mT8_P12ihipStream_tbDpT10_ENKUlT_T0_E_clISt17integral_constantIbLb0EES19_EEDaS14_S15_EUlS14_E_NS1_11comp_targetILNS1_3genE5ELNS1_11target_archE942ELNS1_3gpuE9ELNS1_3repE0EEENS1_30default_config_static_selectorELNS0_4arch9wavefront6targetE1EEEvT1_.kd
    .uniform_work_group_size: 1
    .uses_dynamic_stack: false
    .vgpr_count:     0
    .vgpr_spill_count: 0
    .wavefront_size: 64
  - .agpr_count:     0
    .args:
      - .offset:         0
        .size:           128
        .value_kind:     by_value
    .group_segment_fixed_size: 10248
    .kernarg_segment_align: 8
    .kernarg_segment_size: 128
    .language:       OpenCL C
    .language_version:
      - 2
      - 0
    .max_flat_workgroup_size: 256
    .name:           _ZN7rocprim17ROCPRIM_400000_NS6detail17trampoline_kernelINS0_14default_configENS1_25partition_config_selectorILNS1_17partition_subalgoE0EjNS0_10empty_typeEbEEZZNS1_14partition_implILS5_0ELb0ES3_jN6thrust23THRUST_200600_302600_NS6detail15normal_iteratorINSA_10device_ptrIjEEEEPS6_SG_NS0_5tupleIJNSA_16discard_iteratorINSA_11use_defaultEEESF_EEENSH_IJSG_SG_EEES6_PlJ7is_evenIjEEEE10hipError_tPvRmT3_T4_T5_T6_T7_T9_mT8_P12ihipStream_tbDpT10_ENKUlT_T0_E_clISt17integral_constantIbLb0EES19_EEDaS14_S15_EUlS14_E_NS1_11comp_targetILNS1_3genE4ELNS1_11target_archE910ELNS1_3gpuE8ELNS1_3repE0EEENS1_30default_config_static_selectorELNS0_4arch9wavefront6targetE1EEEvT1_
    .private_segment_fixed_size: 0
    .sgpr_count:     48
    .sgpr_spill_count: 0
    .symbol:         _ZN7rocprim17ROCPRIM_400000_NS6detail17trampoline_kernelINS0_14default_configENS1_25partition_config_selectorILNS1_17partition_subalgoE0EjNS0_10empty_typeEbEEZZNS1_14partition_implILS5_0ELb0ES3_jN6thrust23THRUST_200600_302600_NS6detail15normal_iteratorINSA_10device_ptrIjEEEEPS6_SG_NS0_5tupleIJNSA_16discard_iteratorINSA_11use_defaultEEESF_EEENSH_IJSG_SG_EEES6_PlJ7is_evenIjEEEE10hipError_tPvRmT3_T4_T5_T6_T7_T9_mT8_P12ihipStream_tbDpT10_ENKUlT_T0_E_clISt17integral_constantIbLb0EES19_EEDaS14_S15_EUlS14_E_NS1_11comp_targetILNS1_3genE4ELNS1_11target_archE910ELNS1_3gpuE8ELNS1_3repE0EEENS1_30default_config_static_selectorELNS0_4arch9wavefront6targetE1EEEvT1_.kd
    .uniform_work_group_size: 1
    .uses_dynamic_stack: false
    .vgpr_count:     54
    .vgpr_spill_count: 0
    .wavefront_size: 64
  - .agpr_count:     0
    .args:
      - .offset:         0
        .size:           128
        .value_kind:     by_value
    .group_segment_fixed_size: 0
    .kernarg_segment_align: 8
    .kernarg_segment_size: 128
    .language:       OpenCL C
    .language_version:
      - 2
      - 0
    .max_flat_workgroup_size: 256
    .name:           _ZN7rocprim17ROCPRIM_400000_NS6detail17trampoline_kernelINS0_14default_configENS1_25partition_config_selectorILNS1_17partition_subalgoE0EjNS0_10empty_typeEbEEZZNS1_14partition_implILS5_0ELb0ES3_jN6thrust23THRUST_200600_302600_NS6detail15normal_iteratorINSA_10device_ptrIjEEEEPS6_SG_NS0_5tupleIJNSA_16discard_iteratorINSA_11use_defaultEEESF_EEENSH_IJSG_SG_EEES6_PlJ7is_evenIjEEEE10hipError_tPvRmT3_T4_T5_T6_T7_T9_mT8_P12ihipStream_tbDpT10_ENKUlT_T0_E_clISt17integral_constantIbLb0EES19_EEDaS14_S15_EUlS14_E_NS1_11comp_targetILNS1_3genE3ELNS1_11target_archE908ELNS1_3gpuE7ELNS1_3repE0EEENS1_30default_config_static_selectorELNS0_4arch9wavefront6targetE1EEEvT1_
    .private_segment_fixed_size: 0
    .sgpr_count:     4
    .sgpr_spill_count: 0
    .symbol:         _ZN7rocprim17ROCPRIM_400000_NS6detail17trampoline_kernelINS0_14default_configENS1_25partition_config_selectorILNS1_17partition_subalgoE0EjNS0_10empty_typeEbEEZZNS1_14partition_implILS5_0ELb0ES3_jN6thrust23THRUST_200600_302600_NS6detail15normal_iteratorINSA_10device_ptrIjEEEEPS6_SG_NS0_5tupleIJNSA_16discard_iteratorINSA_11use_defaultEEESF_EEENSH_IJSG_SG_EEES6_PlJ7is_evenIjEEEE10hipError_tPvRmT3_T4_T5_T6_T7_T9_mT8_P12ihipStream_tbDpT10_ENKUlT_T0_E_clISt17integral_constantIbLb0EES19_EEDaS14_S15_EUlS14_E_NS1_11comp_targetILNS1_3genE3ELNS1_11target_archE908ELNS1_3gpuE7ELNS1_3repE0EEENS1_30default_config_static_selectorELNS0_4arch9wavefront6targetE1EEEvT1_.kd
    .uniform_work_group_size: 1
    .uses_dynamic_stack: false
    .vgpr_count:     0
    .vgpr_spill_count: 0
    .wavefront_size: 64
  - .agpr_count:     0
    .args:
      - .offset:         0
        .size:           128
        .value_kind:     by_value
    .group_segment_fixed_size: 0
    .kernarg_segment_align: 8
    .kernarg_segment_size: 128
    .language:       OpenCL C
    .language_version:
      - 2
      - 0
    .max_flat_workgroup_size: 192
    .name:           _ZN7rocprim17ROCPRIM_400000_NS6detail17trampoline_kernelINS0_14default_configENS1_25partition_config_selectorILNS1_17partition_subalgoE0EjNS0_10empty_typeEbEEZZNS1_14partition_implILS5_0ELb0ES3_jN6thrust23THRUST_200600_302600_NS6detail15normal_iteratorINSA_10device_ptrIjEEEEPS6_SG_NS0_5tupleIJNSA_16discard_iteratorINSA_11use_defaultEEESF_EEENSH_IJSG_SG_EEES6_PlJ7is_evenIjEEEE10hipError_tPvRmT3_T4_T5_T6_T7_T9_mT8_P12ihipStream_tbDpT10_ENKUlT_T0_E_clISt17integral_constantIbLb0EES19_EEDaS14_S15_EUlS14_E_NS1_11comp_targetILNS1_3genE2ELNS1_11target_archE906ELNS1_3gpuE6ELNS1_3repE0EEENS1_30default_config_static_selectorELNS0_4arch9wavefront6targetE1EEEvT1_
    .private_segment_fixed_size: 0
    .sgpr_count:     4
    .sgpr_spill_count: 0
    .symbol:         _ZN7rocprim17ROCPRIM_400000_NS6detail17trampoline_kernelINS0_14default_configENS1_25partition_config_selectorILNS1_17partition_subalgoE0EjNS0_10empty_typeEbEEZZNS1_14partition_implILS5_0ELb0ES3_jN6thrust23THRUST_200600_302600_NS6detail15normal_iteratorINSA_10device_ptrIjEEEEPS6_SG_NS0_5tupleIJNSA_16discard_iteratorINSA_11use_defaultEEESF_EEENSH_IJSG_SG_EEES6_PlJ7is_evenIjEEEE10hipError_tPvRmT3_T4_T5_T6_T7_T9_mT8_P12ihipStream_tbDpT10_ENKUlT_T0_E_clISt17integral_constantIbLb0EES19_EEDaS14_S15_EUlS14_E_NS1_11comp_targetILNS1_3genE2ELNS1_11target_archE906ELNS1_3gpuE6ELNS1_3repE0EEENS1_30default_config_static_selectorELNS0_4arch9wavefront6targetE1EEEvT1_.kd
    .uniform_work_group_size: 1
    .uses_dynamic_stack: false
    .vgpr_count:     0
    .vgpr_spill_count: 0
    .wavefront_size: 64
  - .agpr_count:     0
    .args:
      - .offset:         0
        .size:           128
        .value_kind:     by_value
    .group_segment_fixed_size: 0
    .kernarg_segment_align: 8
    .kernarg_segment_size: 128
    .language:       OpenCL C
    .language_version:
      - 2
      - 0
    .max_flat_workgroup_size: 512
    .name:           _ZN7rocprim17ROCPRIM_400000_NS6detail17trampoline_kernelINS0_14default_configENS1_25partition_config_selectorILNS1_17partition_subalgoE0EjNS0_10empty_typeEbEEZZNS1_14partition_implILS5_0ELb0ES3_jN6thrust23THRUST_200600_302600_NS6detail15normal_iteratorINSA_10device_ptrIjEEEEPS6_SG_NS0_5tupleIJNSA_16discard_iteratorINSA_11use_defaultEEESF_EEENSH_IJSG_SG_EEES6_PlJ7is_evenIjEEEE10hipError_tPvRmT3_T4_T5_T6_T7_T9_mT8_P12ihipStream_tbDpT10_ENKUlT_T0_E_clISt17integral_constantIbLb0EES19_EEDaS14_S15_EUlS14_E_NS1_11comp_targetILNS1_3genE10ELNS1_11target_archE1200ELNS1_3gpuE4ELNS1_3repE0EEENS1_30default_config_static_selectorELNS0_4arch9wavefront6targetE1EEEvT1_
    .private_segment_fixed_size: 0
    .sgpr_count:     4
    .sgpr_spill_count: 0
    .symbol:         _ZN7rocprim17ROCPRIM_400000_NS6detail17trampoline_kernelINS0_14default_configENS1_25partition_config_selectorILNS1_17partition_subalgoE0EjNS0_10empty_typeEbEEZZNS1_14partition_implILS5_0ELb0ES3_jN6thrust23THRUST_200600_302600_NS6detail15normal_iteratorINSA_10device_ptrIjEEEEPS6_SG_NS0_5tupleIJNSA_16discard_iteratorINSA_11use_defaultEEESF_EEENSH_IJSG_SG_EEES6_PlJ7is_evenIjEEEE10hipError_tPvRmT3_T4_T5_T6_T7_T9_mT8_P12ihipStream_tbDpT10_ENKUlT_T0_E_clISt17integral_constantIbLb0EES19_EEDaS14_S15_EUlS14_E_NS1_11comp_targetILNS1_3genE10ELNS1_11target_archE1200ELNS1_3gpuE4ELNS1_3repE0EEENS1_30default_config_static_selectorELNS0_4arch9wavefront6targetE1EEEvT1_.kd
    .uniform_work_group_size: 1
    .uses_dynamic_stack: false
    .vgpr_count:     0
    .vgpr_spill_count: 0
    .wavefront_size: 64
  - .agpr_count:     0
    .args:
      - .offset:         0
        .size:           128
        .value_kind:     by_value
    .group_segment_fixed_size: 0
    .kernarg_segment_align: 8
    .kernarg_segment_size: 128
    .language:       OpenCL C
    .language_version:
      - 2
      - 0
    .max_flat_workgroup_size: 128
    .name:           _ZN7rocprim17ROCPRIM_400000_NS6detail17trampoline_kernelINS0_14default_configENS1_25partition_config_selectorILNS1_17partition_subalgoE0EjNS0_10empty_typeEbEEZZNS1_14partition_implILS5_0ELb0ES3_jN6thrust23THRUST_200600_302600_NS6detail15normal_iteratorINSA_10device_ptrIjEEEEPS6_SG_NS0_5tupleIJNSA_16discard_iteratorINSA_11use_defaultEEESF_EEENSH_IJSG_SG_EEES6_PlJ7is_evenIjEEEE10hipError_tPvRmT3_T4_T5_T6_T7_T9_mT8_P12ihipStream_tbDpT10_ENKUlT_T0_E_clISt17integral_constantIbLb0EES19_EEDaS14_S15_EUlS14_E_NS1_11comp_targetILNS1_3genE9ELNS1_11target_archE1100ELNS1_3gpuE3ELNS1_3repE0EEENS1_30default_config_static_selectorELNS0_4arch9wavefront6targetE1EEEvT1_
    .private_segment_fixed_size: 0
    .sgpr_count:     4
    .sgpr_spill_count: 0
    .symbol:         _ZN7rocprim17ROCPRIM_400000_NS6detail17trampoline_kernelINS0_14default_configENS1_25partition_config_selectorILNS1_17partition_subalgoE0EjNS0_10empty_typeEbEEZZNS1_14partition_implILS5_0ELb0ES3_jN6thrust23THRUST_200600_302600_NS6detail15normal_iteratorINSA_10device_ptrIjEEEEPS6_SG_NS0_5tupleIJNSA_16discard_iteratorINSA_11use_defaultEEESF_EEENSH_IJSG_SG_EEES6_PlJ7is_evenIjEEEE10hipError_tPvRmT3_T4_T5_T6_T7_T9_mT8_P12ihipStream_tbDpT10_ENKUlT_T0_E_clISt17integral_constantIbLb0EES19_EEDaS14_S15_EUlS14_E_NS1_11comp_targetILNS1_3genE9ELNS1_11target_archE1100ELNS1_3gpuE3ELNS1_3repE0EEENS1_30default_config_static_selectorELNS0_4arch9wavefront6targetE1EEEvT1_.kd
    .uniform_work_group_size: 1
    .uses_dynamic_stack: false
    .vgpr_count:     0
    .vgpr_spill_count: 0
    .wavefront_size: 64
  - .agpr_count:     0
    .args:
      - .offset:         0
        .size:           128
        .value_kind:     by_value
    .group_segment_fixed_size: 0
    .kernarg_segment_align: 8
    .kernarg_segment_size: 128
    .language:       OpenCL C
    .language_version:
      - 2
      - 0
    .max_flat_workgroup_size: 512
    .name:           _ZN7rocprim17ROCPRIM_400000_NS6detail17trampoline_kernelINS0_14default_configENS1_25partition_config_selectorILNS1_17partition_subalgoE0EjNS0_10empty_typeEbEEZZNS1_14partition_implILS5_0ELb0ES3_jN6thrust23THRUST_200600_302600_NS6detail15normal_iteratorINSA_10device_ptrIjEEEEPS6_SG_NS0_5tupleIJNSA_16discard_iteratorINSA_11use_defaultEEESF_EEENSH_IJSG_SG_EEES6_PlJ7is_evenIjEEEE10hipError_tPvRmT3_T4_T5_T6_T7_T9_mT8_P12ihipStream_tbDpT10_ENKUlT_T0_E_clISt17integral_constantIbLb0EES19_EEDaS14_S15_EUlS14_E_NS1_11comp_targetILNS1_3genE8ELNS1_11target_archE1030ELNS1_3gpuE2ELNS1_3repE0EEENS1_30default_config_static_selectorELNS0_4arch9wavefront6targetE1EEEvT1_
    .private_segment_fixed_size: 0
    .sgpr_count:     4
    .sgpr_spill_count: 0
    .symbol:         _ZN7rocprim17ROCPRIM_400000_NS6detail17trampoline_kernelINS0_14default_configENS1_25partition_config_selectorILNS1_17partition_subalgoE0EjNS0_10empty_typeEbEEZZNS1_14partition_implILS5_0ELb0ES3_jN6thrust23THRUST_200600_302600_NS6detail15normal_iteratorINSA_10device_ptrIjEEEEPS6_SG_NS0_5tupleIJNSA_16discard_iteratorINSA_11use_defaultEEESF_EEENSH_IJSG_SG_EEES6_PlJ7is_evenIjEEEE10hipError_tPvRmT3_T4_T5_T6_T7_T9_mT8_P12ihipStream_tbDpT10_ENKUlT_T0_E_clISt17integral_constantIbLb0EES19_EEDaS14_S15_EUlS14_E_NS1_11comp_targetILNS1_3genE8ELNS1_11target_archE1030ELNS1_3gpuE2ELNS1_3repE0EEENS1_30default_config_static_selectorELNS0_4arch9wavefront6targetE1EEEvT1_.kd
    .uniform_work_group_size: 1
    .uses_dynamic_stack: false
    .vgpr_count:     0
    .vgpr_spill_count: 0
    .wavefront_size: 64
  - .agpr_count:     0
    .args:
      - .offset:         0
        .size:           144
        .value_kind:     by_value
    .group_segment_fixed_size: 0
    .kernarg_segment_align: 8
    .kernarg_segment_size: 144
    .language:       OpenCL C
    .language_version:
      - 2
      - 0
    .max_flat_workgroup_size: 256
    .name:           _ZN7rocprim17ROCPRIM_400000_NS6detail17trampoline_kernelINS0_14default_configENS1_25partition_config_selectorILNS1_17partition_subalgoE0EjNS0_10empty_typeEbEEZZNS1_14partition_implILS5_0ELb0ES3_jN6thrust23THRUST_200600_302600_NS6detail15normal_iteratorINSA_10device_ptrIjEEEEPS6_SG_NS0_5tupleIJNSA_16discard_iteratorINSA_11use_defaultEEESF_EEENSH_IJSG_SG_EEES6_PlJ7is_evenIjEEEE10hipError_tPvRmT3_T4_T5_T6_T7_T9_mT8_P12ihipStream_tbDpT10_ENKUlT_T0_E_clISt17integral_constantIbLb1EES19_EEDaS14_S15_EUlS14_E_NS1_11comp_targetILNS1_3genE0ELNS1_11target_archE4294967295ELNS1_3gpuE0ELNS1_3repE0EEENS1_30default_config_static_selectorELNS0_4arch9wavefront6targetE1EEEvT1_
    .private_segment_fixed_size: 0
    .sgpr_count:     4
    .sgpr_spill_count: 0
    .symbol:         _ZN7rocprim17ROCPRIM_400000_NS6detail17trampoline_kernelINS0_14default_configENS1_25partition_config_selectorILNS1_17partition_subalgoE0EjNS0_10empty_typeEbEEZZNS1_14partition_implILS5_0ELb0ES3_jN6thrust23THRUST_200600_302600_NS6detail15normal_iteratorINSA_10device_ptrIjEEEEPS6_SG_NS0_5tupleIJNSA_16discard_iteratorINSA_11use_defaultEEESF_EEENSH_IJSG_SG_EEES6_PlJ7is_evenIjEEEE10hipError_tPvRmT3_T4_T5_T6_T7_T9_mT8_P12ihipStream_tbDpT10_ENKUlT_T0_E_clISt17integral_constantIbLb1EES19_EEDaS14_S15_EUlS14_E_NS1_11comp_targetILNS1_3genE0ELNS1_11target_archE4294967295ELNS1_3gpuE0ELNS1_3repE0EEENS1_30default_config_static_selectorELNS0_4arch9wavefront6targetE1EEEvT1_.kd
    .uniform_work_group_size: 1
    .uses_dynamic_stack: false
    .vgpr_count:     0
    .vgpr_spill_count: 0
    .wavefront_size: 64
  - .agpr_count:     0
    .args:
      - .offset:         0
        .size:           144
        .value_kind:     by_value
    .group_segment_fixed_size: 0
    .kernarg_segment_align: 8
    .kernarg_segment_size: 144
    .language:       OpenCL C
    .language_version:
      - 2
      - 0
    .max_flat_workgroup_size: 512
    .name:           _ZN7rocprim17ROCPRIM_400000_NS6detail17trampoline_kernelINS0_14default_configENS1_25partition_config_selectorILNS1_17partition_subalgoE0EjNS0_10empty_typeEbEEZZNS1_14partition_implILS5_0ELb0ES3_jN6thrust23THRUST_200600_302600_NS6detail15normal_iteratorINSA_10device_ptrIjEEEEPS6_SG_NS0_5tupleIJNSA_16discard_iteratorINSA_11use_defaultEEESF_EEENSH_IJSG_SG_EEES6_PlJ7is_evenIjEEEE10hipError_tPvRmT3_T4_T5_T6_T7_T9_mT8_P12ihipStream_tbDpT10_ENKUlT_T0_E_clISt17integral_constantIbLb1EES19_EEDaS14_S15_EUlS14_E_NS1_11comp_targetILNS1_3genE5ELNS1_11target_archE942ELNS1_3gpuE9ELNS1_3repE0EEENS1_30default_config_static_selectorELNS0_4arch9wavefront6targetE1EEEvT1_
    .private_segment_fixed_size: 0
    .sgpr_count:     4
    .sgpr_spill_count: 0
    .symbol:         _ZN7rocprim17ROCPRIM_400000_NS6detail17trampoline_kernelINS0_14default_configENS1_25partition_config_selectorILNS1_17partition_subalgoE0EjNS0_10empty_typeEbEEZZNS1_14partition_implILS5_0ELb0ES3_jN6thrust23THRUST_200600_302600_NS6detail15normal_iteratorINSA_10device_ptrIjEEEEPS6_SG_NS0_5tupleIJNSA_16discard_iteratorINSA_11use_defaultEEESF_EEENSH_IJSG_SG_EEES6_PlJ7is_evenIjEEEE10hipError_tPvRmT3_T4_T5_T6_T7_T9_mT8_P12ihipStream_tbDpT10_ENKUlT_T0_E_clISt17integral_constantIbLb1EES19_EEDaS14_S15_EUlS14_E_NS1_11comp_targetILNS1_3genE5ELNS1_11target_archE942ELNS1_3gpuE9ELNS1_3repE0EEENS1_30default_config_static_selectorELNS0_4arch9wavefront6targetE1EEEvT1_.kd
    .uniform_work_group_size: 1
    .uses_dynamic_stack: false
    .vgpr_count:     0
    .vgpr_spill_count: 0
    .wavefront_size: 64
  - .agpr_count:     0
    .args:
      - .offset:         0
        .size:           144
        .value_kind:     by_value
    .group_segment_fixed_size: 10248
    .kernarg_segment_align: 8
    .kernarg_segment_size: 144
    .language:       OpenCL C
    .language_version:
      - 2
      - 0
    .max_flat_workgroup_size: 256
    .name:           _ZN7rocprim17ROCPRIM_400000_NS6detail17trampoline_kernelINS0_14default_configENS1_25partition_config_selectorILNS1_17partition_subalgoE0EjNS0_10empty_typeEbEEZZNS1_14partition_implILS5_0ELb0ES3_jN6thrust23THRUST_200600_302600_NS6detail15normal_iteratorINSA_10device_ptrIjEEEEPS6_SG_NS0_5tupleIJNSA_16discard_iteratorINSA_11use_defaultEEESF_EEENSH_IJSG_SG_EEES6_PlJ7is_evenIjEEEE10hipError_tPvRmT3_T4_T5_T6_T7_T9_mT8_P12ihipStream_tbDpT10_ENKUlT_T0_E_clISt17integral_constantIbLb1EES19_EEDaS14_S15_EUlS14_E_NS1_11comp_targetILNS1_3genE4ELNS1_11target_archE910ELNS1_3gpuE8ELNS1_3repE0EEENS1_30default_config_static_selectorELNS0_4arch9wavefront6targetE1EEEvT1_
    .private_segment_fixed_size: 0
    .sgpr_count:     46
    .sgpr_spill_count: 0
    .symbol:         _ZN7rocprim17ROCPRIM_400000_NS6detail17trampoline_kernelINS0_14default_configENS1_25partition_config_selectorILNS1_17partition_subalgoE0EjNS0_10empty_typeEbEEZZNS1_14partition_implILS5_0ELb0ES3_jN6thrust23THRUST_200600_302600_NS6detail15normal_iteratorINSA_10device_ptrIjEEEEPS6_SG_NS0_5tupleIJNSA_16discard_iteratorINSA_11use_defaultEEESF_EEENSH_IJSG_SG_EEES6_PlJ7is_evenIjEEEE10hipError_tPvRmT3_T4_T5_T6_T7_T9_mT8_P12ihipStream_tbDpT10_ENKUlT_T0_E_clISt17integral_constantIbLb1EES19_EEDaS14_S15_EUlS14_E_NS1_11comp_targetILNS1_3genE4ELNS1_11target_archE910ELNS1_3gpuE8ELNS1_3repE0EEENS1_30default_config_static_selectorELNS0_4arch9wavefront6targetE1EEEvT1_.kd
    .uniform_work_group_size: 1
    .uses_dynamic_stack: false
    .vgpr_count:     58
    .vgpr_spill_count: 0
    .wavefront_size: 64
  - .agpr_count:     0
    .args:
      - .offset:         0
        .size:           144
        .value_kind:     by_value
    .group_segment_fixed_size: 0
    .kernarg_segment_align: 8
    .kernarg_segment_size: 144
    .language:       OpenCL C
    .language_version:
      - 2
      - 0
    .max_flat_workgroup_size: 256
    .name:           _ZN7rocprim17ROCPRIM_400000_NS6detail17trampoline_kernelINS0_14default_configENS1_25partition_config_selectorILNS1_17partition_subalgoE0EjNS0_10empty_typeEbEEZZNS1_14partition_implILS5_0ELb0ES3_jN6thrust23THRUST_200600_302600_NS6detail15normal_iteratorINSA_10device_ptrIjEEEEPS6_SG_NS0_5tupleIJNSA_16discard_iteratorINSA_11use_defaultEEESF_EEENSH_IJSG_SG_EEES6_PlJ7is_evenIjEEEE10hipError_tPvRmT3_T4_T5_T6_T7_T9_mT8_P12ihipStream_tbDpT10_ENKUlT_T0_E_clISt17integral_constantIbLb1EES19_EEDaS14_S15_EUlS14_E_NS1_11comp_targetILNS1_3genE3ELNS1_11target_archE908ELNS1_3gpuE7ELNS1_3repE0EEENS1_30default_config_static_selectorELNS0_4arch9wavefront6targetE1EEEvT1_
    .private_segment_fixed_size: 0
    .sgpr_count:     4
    .sgpr_spill_count: 0
    .symbol:         _ZN7rocprim17ROCPRIM_400000_NS6detail17trampoline_kernelINS0_14default_configENS1_25partition_config_selectorILNS1_17partition_subalgoE0EjNS0_10empty_typeEbEEZZNS1_14partition_implILS5_0ELb0ES3_jN6thrust23THRUST_200600_302600_NS6detail15normal_iteratorINSA_10device_ptrIjEEEEPS6_SG_NS0_5tupleIJNSA_16discard_iteratorINSA_11use_defaultEEESF_EEENSH_IJSG_SG_EEES6_PlJ7is_evenIjEEEE10hipError_tPvRmT3_T4_T5_T6_T7_T9_mT8_P12ihipStream_tbDpT10_ENKUlT_T0_E_clISt17integral_constantIbLb1EES19_EEDaS14_S15_EUlS14_E_NS1_11comp_targetILNS1_3genE3ELNS1_11target_archE908ELNS1_3gpuE7ELNS1_3repE0EEENS1_30default_config_static_selectorELNS0_4arch9wavefront6targetE1EEEvT1_.kd
    .uniform_work_group_size: 1
    .uses_dynamic_stack: false
    .vgpr_count:     0
    .vgpr_spill_count: 0
    .wavefront_size: 64
  - .agpr_count:     0
    .args:
      - .offset:         0
        .size:           144
        .value_kind:     by_value
    .group_segment_fixed_size: 0
    .kernarg_segment_align: 8
    .kernarg_segment_size: 144
    .language:       OpenCL C
    .language_version:
      - 2
      - 0
    .max_flat_workgroup_size: 192
    .name:           _ZN7rocprim17ROCPRIM_400000_NS6detail17trampoline_kernelINS0_14default_configENS1_25partition_config_selectorILNS1_17partition_subalgoE0EjNS0_10empty_typeEbEEZZNS1_14partition_implILS5_0ELb0ES3_jN6thrust23THRUST_200600_302600_NS6detail15normal_iteratorINSA_10device_ptrIjEEEEPS6_SG_NS0_5tupleIJNSA_16discard_iteratorINSA_11use_defaultEEESF_EEENSH_IJSG_SG_EEES6_PlJ7is_evenIjEEEE10hipError_tPvRmT3_T4_T5_T6_T7_T9_mT8_P12ihipStream_tbDpT10_ENKUlT_T0_E_clISt17integral_constantIbLb1EES19_EEDaS14_S15_EUlS14_E_NS1_11comp_targetILNS1_3genE2ELNS1_11target_archE906ELNS1_3gpuE6ELNS1_3repE0EEENS1_30default_config_static_selectorELNS0_4arch9wavefront6targetE1EEEvT1_
    .private_segment_fixed_size: 0
    .sgpr_count:     4
    .sgpr_spill_count: 0
    .symbol:         _ZN7rocprim17ROCPRIM_400000_NS6detail17trampoline_kernelINS0_14default_configENS1_25partition_config_selectorILNS1_17partition_subalgoE0EjNS0_10empty_typeEbEEZZNS1_14partition_implILS5_0ELb0ES3_jN6thrust23THRUST_200600_302600_NS6detail15normal_iteratorINSA_10device_ptrIjEEEEPS6_SG_NS0_5tupleIJNSA_16discard_iteratorINSA_11use_defaultEEESF_EEENSH_IJSG_SG_EEES6_PlJ7is_evenIjEEEE10hipError_tPvRmT3_T4_T5_T6_T7_T9_mT8_P12ihipStream_tbDpT10_ENKUlT_T0_E_clISt17integral_constantIbLb1EES19_EEDaS14_S15_EUlS14_E_NS1_11comp_targetILNS1_3genE2ELNS1_11target_archE906ELNS1_3gpuE6ELNS1_3repE0EEENS1_30default_config_static_selectorELNS0_4arch9wavefront6targetE1EEEvT1_.kd
    .uniform_work_group_size: 1
    .uses_dynamic_stack: false
    .vgpr_count:     0
    .vgpr_spill_count: 0
    .wavefront_size: 64
  - .agpr_count:     0
    .args:
      - .offset:         0
        .size:           144
        .value_kind:     by_value
    .group_segment_fixed_size: 0
    .kernarg_segment_align: 8
    .kernarg_segment_size: 144
    .language:       OpenCL C
    .language_version:
      - 2
      - 0
    .max_flat_workgroup_size: 512
    .name:           _ZN7rocprim17ROCPRIM_400000_NS6detail17trampoline_kernelINS0_14default_configENS1_25partition_config_selectorILNS1_17partition_subalgoE0EjNS0_10empty_typeEbEEZZNS1_14partition_implILS5_0ELb0ES3_jN6thrust23THRUST_200600_302600_NS6detail15normal_iteratorINSA_10device_ptrIjEEEEPS6_SG_NS0_5tupleIJNSA_16discard_iteratorINSA_11use_defaultEEESF_EEENSH_IJSG_SG_EEES6_PlJ7is_evenIjEEEE10hipError_tPvRmT3_T4_T5_T6_T7_T9_mT8_P12ihipStream_tbDpT10_ENKUlT_T0_E_clISt17integral_constantIbLb1EES19_EEDaS14_S15_EUlS14_E_NS1_11comp_targetILNS1_3genE10ELNS1_11target_archE1200ELNS1_3gpuE4ELNS1_3repE0EEENS1_30default_config_static_selectorELNS0_4arch9wavefront6targetE1EEEvT1_
    .private_segment_fixed_size: 0
    .sgpr_count:     4
    .sgpr_spill_count: 0
    .symbol:         _ZN7rocprim17ROCPRIM_400000_NS6detail17trampoline_kernelINS0_14default_configENS1_25partition_config_selectorILNS1_17partition_subalgoE0EjNS0_10empty_typeEbEEZZNS1_14partition_implILS5_0ELb0ES3_jN6thrust23THRUST_200600_302600_NS6detail15normal_iteratorINSA_10device_ptrIjEEEEPS6_SG_NS0_5tupleIJNSA_16discard_iteratorINSA_11use_defaultEEESF_EEENSH_IJSG_SG_EEES6_PlJ7is_evenIjEEEE10hipError_tPvRmT3_T4_T5_T6_T7_T9_mT8_P12ihipStream_tbDpT10_ENKUlT_T0_E_clISt17integral_constantIbLb1EES19_EEDaS14_S15_EUlS14_E_NS1_11comp_targetILNS1_3genE10ELNS1_11target_archE1200ELNS1_3gpuE4ELNS1_3repE0EEENS1_30default_config_static_selectorELNS0_4arch9wavefront6targetE1EEEvT1_.kd
    .uniform_work_group_size: 1
    .uses_dynamic_stack: false
    .vgpr_count:     0
    .vgpr_spill_count: 0
    .wavefront_size: 64
  - .agpr_count:     0
    .args:
      - .offset:         0
        .size:           144
        .value_kind:     by_value
    .group_segment_fixed_size: 0
    .kernarg_segment_align: 8
    .kernarg_segment_size: 144
    .language:       OpenCL C
    .language_version:
      - 2
      - 0
    .max_flat_workgroup_size: 128
    .name:           _ZN7rocprim17ROCPRIM_400000_NS6detail17trampoline_kernelINS0_14default_configENS1_25partition_config_selectorILNS1_17partition_subalgoE0EjNS0_10empty_typeEbEEZZNS1_14partition_implILS5_0ELb0ES3_jN6thrust23THRUST_200600_302600_NS6detail15normal_iteratorINSA_10device_ptrIjEEEEPS6_SG_NS0_5tupleIJNSA_16discard_iteratorINSA_11use_defaultEEESF_EEENSH_IJSG_SG_EEES6_PlJ7is_evenIjEEEE10hipError_tPvRmT3_T4_T5_T6_T7_T9_mT8_P12ihipStream_tbDpT10_ENKUlT_T0_E_clISt17integral_constantIbLb1EES19_EEDaS14_S15_EUlS14_E_NS1_11comp_targetILNS1_3genE9ELNS1_11target_archE1100ELNS1_3gpuE3ELNS1_3repE0EEENS1_30default_config_static_selectorELNS0_4arch9wavefront6targetE1EEEvT1_
    .private_segment_fixed_size: 0
    .sgpr_count:     4
    .sgpr_spill_count: 0
    .symbol:         _ZN7rocprim17ROCPRIM_400000_NS6detail17trampoline_kernelINS0_14default_configENS1_25partition_config_selectorILNS1_17partition_subalgoE0EjNS0_10empty_typeEbEEZZNS1_14partition_implILS5_0ELb0ES3_jN6thrust23THRUST_200600_302600_NS6detail15normal_iteratorINSA_10device_ptrIjEEEEPS6_SG_NS0_5tupleIJNSA_16discard_iteratorINSA_11use_defaultEEESF_EEENSH_IJSG_SG_EEES6_PlJ7is_evenIjEEEE10hipError_tPvRmT3_T4_T5_T6_T7_T9_mT8_P12ihipStream_tbDpT10_ENKUlT_T0_E_clISt17integral_constantIbLb1EES19_EEDaS14_S15_EUlS14_E_NS1_11comp_targetILNS1_3genE9ELNS1_11target_archE1100ELNS1_3gpuE3ELNS1_3repE0EEENS1_30default_config_static_selectorELNS0_4arch9wavefront6targetE1EEEvT1_.kd
    .uniform_work_group_size: 1
    .uses_dynamic_stack: false
    .vgpr_count:     0
    .vgpr_spill_count: 0
    .wavefront_size: 64
  - .agpr_count:     0
    .args:
      - .offset:         0
        .size:           144
        .value_kind:     by_value
    .group_segment_fixed_size: 0
    .kernarg_segment_align: 8
    .kernarg_segment_size: 144
    .language:       OpenCL C
    .language_version:
      - 2
      - 0
    .max_flat_workgroup_size: 512
    .name:           _ZN7rocprim17ROCPRIM_400000_NS6detail17trampoline_kernelINS0_14default_configENS1_25partition_config_selectorILNS1_17partition_subalgoE0EjNS0_10empty_typeEbEEZZNS1_14partition_implILS5_0ELb0ES3_jN6thrust23THRUST_200600_302600_NS6detail15normal_iteratorINSA_10device_ptrIjEEEEPS6_SG_NS0_5tupleIJNSA_16discard_iteratorINSA_11use_defaultEEESF_EEENSH_IJSG_SG_EEES6_PlJ7is_evenIjEEEE10hipError_tPvRmT3_T4_T5_T6_T7_T9_mT8_P12ihipStream_tbDpT10_ENKUlT_T0_E_clISt17integral_constantIbLb1EES19_EEDaS14_S15_EUlS14_E_NS1_11comp_targetILNS1_3genE8ELNS1_11target_archE1030ELNS1_3gpuE2ELNS1_3repE0EEENS1_30default_config_static_selectorELNS0_4arch9wavefront6targetE1EEEvT1_
    .private_segment_fixed_size: 0
    .sgpr_count:     4
    .sgpr_spill_count: 0
    .symbol:         _ZN7rocprim17ROCPRIM_400000_NS6detail17trampoline_kernelINS0_14default_configENS1_25partition_config_selectorILNS1_17partition_subalgoE0EjNS0_10empty_typeEbEEZZNS1_14partition_implILS5_0ELb0ES3_jN6thrust23THRUST_200600_302600_NS6detail15normal_iteratorINSA_10device_ptrIjEEEEPS6_SG_NS0_5tupleIJNSA_16discard_iteratorINSA_11use_defaultEEESF_EEENSH_IJSG_SG_EEES6_PlJ7is_evenIjEEEE10hipError_tPvRmT3_T4_T5_T6_T7_T9_mT8_P12ihipStream_tbDpT10_ENKUlT_T0_E_clISt17integral_constantIbLb1EES19_EEDaS14_S15_EUlS14_E_NS1_11comp_targetILNS1_3genE8ELNS1_11target_archE1030ELNS1_3gpuE2ELNS1_3repE0EEENS1_30default_config_static_selectorELNS0_4arch9wavefront6targetE1EEEvT1_.kd
    .uniform_work_group_size: 1
    .uses_dynamic_stack: false
    .vgpr_count:     0
    .vgpr_spill_count: 0
    .wavefront_size: 64
  - .agpr_count:     0
    .args:
      - .offset:         0
        .size:           128
        .value_kind:     by_value
    .group_segment_fixed_size: 0
    .kernarg_segment_align: 8
    .kernarg_segment_size: 128
    .language:       OpenCL C
    .language_version:
      - 2
      - 0
    .max_flat_workgroup_size: 256
    .name:           _ZN7rocprim17ROCPRIM_400000_NS6detail17trampoline_kernelINS0_14default_configENS1_25partition_config_selectorILNS1_17partition_subalgoE0EjNS0_10empty_typeEbEEZZNS1_14partition_implILS5_0ELb0ES3_jN6thrust23THRUST_200600_302600_NS6detail15normal_iteratorINSA_10device_ptrIjEEEEPS6_SG_NS0_5tupleIJNSA_16discard_iteratorINSA_11use_defaultEEESF_EEENSH_IJSG_SG_EEES6_PlJ7is_evenIjEEEE10hipError_tPvRmT3_T4_T5_T6_T7_T9_mT8_P12ihipStream_tbDpT10_ENKUlT_T0_E_clISt17integral_constantIbLb1EES18_IbLb0EEEEDaS14_S15_EUlS14_E_NS1_11comp_targetILNS1_3genE0ELNS1_11target_archE4294967295ELNS1_3gpuE0ELNS1_3repE0EEENS1_30default_config_static_selectorELNS0_4arch9wavefront6targetE1EEEvT1_
    .private_segment_fixed_size: 0
    .sgpr_count:     4
    .sgpr_spill_count: 0
    .symbol:         _ZN7rocprim17ROCPRIM_400000_NS6detail17trampoline_kernelINS0_14default_configENS1_25partition_config_selectorILNS1_17partition_subalgoE0EjNS0_10empty_typeEbEEZZNS1_14partition_implILS5_0ELb0ES3_jN6thrust23THRUST_200600_302600_NS6detail15normal_iteratorINSA_10device_ptrIjEEEEPS6_SG_NS0_5tupleIJNSA_16discard_iteratorINSA_11use_defaultEEESF_EEENSH_IJSG_SG_EEES6_PlJ7is_evenIjEEEE10hipError_tPvRmT3_T4_T5_T6_T7_T9_mT8_P12ihipStream_tbDpT10_ENKUlT_T0_E_clISt17integral_constantIbLb1EES18_IbLb0EEEEDaS14_S15_EUlS14_E_NS1_11comp_targetILNS1_3genE0ELNS1_11target_archE4294967295ELNS1_3gpuE0ELNS1_3repE0EEENS1_30default_config_static_selectorELNS0_4arch9wavefront6targetE1EEEvT1_.kd
    .uniform_work_group_size: 1
    .uses_dynamic_stack: false
    .vgpr_count:     0
    .vgpr_spill_count: 0
    .wavefront_size: 64
  - .agpr_count:     0
    .args:
      - .offset:         0
        .size:           128
        .value_kind:     by_value
    .group_segment_fixed_size: 0
    .kernarg_segment_align: 8
    .kernarg_segment_size: 128
    .language:       OpenCL C
    .language_version:
      - 2
      - 0
    .max_flat_workgroup_size: 512
    .name:           _ZN7rocprim17ROCPRIM_400000_NS6detail17trampoline_kernelINS0_14default_configENS1_25partition_config_selectorILNS1_17partition_subalgoE0EjNS0_10empty_typeEbEEZZNS1_14partition_implILS5_0ELb0ES3_jN6thrust23THRUST_200600_302600_NS6detail15normal_iteratorINSA_10device_ptrIjEEEEPS6_SG_NS0_5tupleIJNSA_16discard_iteratorINSA_11use_defaultEEESF_EEENSH_IJSG_SG_EEES6_PlJ7is_evenIjEEEE10hipError_tPvRmT3_T4_T5_T6_T7_T9_mT8_P12ihipStream_tbDpT10_ENKUlT_T0_E_clISt17integral_constantIbLb1EES18_IbLb0EEEEDaS14_S15_EUlS14_E_NS1_11comp_targetILNS1_3genE5ELNS1_11target_archE942ELNS1_3gpuE9ELNS1_3repE0EEENS1_30default_config_static_selectorELNS0_4arch9wavefront6targetE1EEEvT1_
    .private_segment_fixed_size: 0
    .sgpr_count:     4
    .sgpr_spill_count: 0
    .symbol:         _ZN7rocprim17ROCPRIM_400000_NS6detail17trampoline_kernelINS0_14default_configENS1_25partition_config_selectorILNS1_17partition_subalgoE0EjNS0_10empty_typeEbEEZZNS1_14partition_implILS5_0ELb0ES3_jN6thrust23THRUST_200600_302600_NS6detail15normal_iteratorINSA_10device_ptrIjEEEEPS6_SG_NS0_5tupleIJNSA_16discard_iteratorINSA_11use_defaultEEESF_EEENSH_IJSG_SG_EEES6_PlJ7is_evenIjEEEE10hipError_tPvRmT3_T4_T5_T6_T7_T9_mT8_P12ihipStream_tbDpT10_ENKUlT_T0_E_clISt17integral_constantIbLb1EES18_IbLb0EEEEDaS14_S15_EUlS14_E_NS1_11comp_targetILNS1_3genE5ELNS1_11target_archE942ELNS1_3gpuE9ELNS1_3repE0EEENS1_30default_config_static_selectorELNS0_4arch9wavefront6targetE1EEEvT1_.kd
    .uniform_work_group_size: 1
    .uses_dynamic_stack: false
    .vgpr_count:     0
    .vgpr_spill_count: 0
    .wavefront_size: 64
  - .agpr_count:     0
    .args:
      - .offset:         0
        .size:           128
        .value_kind:     by_value
    .group_segment_fixed_size: 10248
    .kernarg_segment_align: 8
    .kernarg_segment_size: 128
    .language:       OpenCL C
    .language_version:
      - 2
      - 0
    .max_flat_workgroup_size: 256
    .name:           _ZN7rocprim17ROCPRIM_400000_NS6detail17trampoline_kernelINS0_14default_configENS1_25partition_config_selectorILNS1_17partition_subalgoE0EjNS0_10empty_typeEbEEZZNS1_14partition_implILS5_0ELb0ES3_jN6thrust23THRUST_200600_302600_NS6detail15normal_iteratorINSA_10device_ptrIjEEEEPS6_SG_NS0_5tupleIJNSA_16discard_iteratorINSA_11use_defaultEEESF_EEENSH_IJSG_SG_EEES6_PlJ7is_evenIjEEEE10hipError_tPvRmT3_T4_T5_T6_T7_T9_mT8_P12ihipStream_tbDpT10_ENKUlT_T0_E_clISt17integral_constantIbLb1EES18_IbLb0EEEEDaS14_S15_EUlS14_E_NS1_11comp_targetILNS1_3genE4ELNS1_11target_archE910ELNS1_3gpuE8ELNS1_3repE0EEENS1_30default_config_static_selectorELNS0_4arch9wavefront6targetE1EEEvT1_
    .private_segment_fixed_size: 0
    .sgpr_count:     48
    .sgpr_spill_count: 0
    .symbol:         _ZN7rocprim17ROCPRIM_400000_NS6detail17trampoline_kernelINS0_14default_configENS1_25partition_config_selectorILNS1_17partition_subalgoE0EjNS0_10empty_typeEbEEZZNS1_14partition_implILS5_0ELb0ES3_jN6thrust23THRUST_200600_302600_NS6detail15normal_iteratorINSA_10device_ptrIjEEEEPS6_SG_NS0_5tupleIJNSA_16discard_iteratorINSA_11use_defaultEEESF_EEENSH_IJSG_SG_EEES6_PlJ7is_evenIjEEEE10hipError_tPvRmT3_T4_T5_T6_T7_T9_mT8_P12ihipStream_tbDpT10_ENKUlT_T0_E_clISt17integral_constantIbLb1EES18_IbLb0EEEEDaS14_S15_EUlS14_E_NS1_11comp_targetILNS1_3genE4ELNS1_11target_archE910ELNS1_3gpuE8ELNS1_3repE0EEENS1_30default_config_static_selectorELNS0_4arch9wavefront6targetE1EEEvT1_.kd
    .uniform_work_group_size: 1
    .uses_dynamic_stack: false
    .vgpr_count:     54
    .vgpr_spill_count: 0
    .wavefront_size: 64
  - .agpr_count:     0
    .args:
      - .offset:         0
        .size:           128
        .value_kind:     by_value
    .group_segment_fixed_size: 0
    .kernarg_segment_align: 8
    .kernarg_segment_size: 128
    .language:       OpenCL C
    .language_version:
      - 2
      - 0
    .max_flat_workgroup_size: 256
    .name:           _ZN7rocprim17ROCPRIM_400000_NS6detail17trampoline_kernelINS0_14default_configENS1_25partition_config_selectorILNS1_17partition_subalgoE0EjNS0_10empty_typeEbEEZZNS1_14partition_implILS5_0ELb0ES3_jN6thrust23THRUST_200600_302600_NS6detail15normal_iteratorINSA_10device_ptrIjEEEEPS6_SG_NS0_5tupleIJNSA_16discard_iteratorINSA_11use_defaultEEESF_EEENSH_IJSG_SG_EEES6_PlJ7is_evenIjEEEE10hipError_tPvRmT3_T4_T5_T6_T7_T9_mT8_P12ihipStream_tbDpT10_ENKUlT_T0_E_clISt17integral_constantIbLb1EES18_IbLb0EEEEDaS14_S15_EUlS14_E_NS1_11comp_targetILNS1_3genE3ELNS1_11target_archE908ELNS1_3gpuE7ELNS1_3repE0EEENS1_30default_config_static_selectorELNS0_4arch9wavefront6targetE1EEEvT1_
    .private_segment_fixed_size: 0
    .sgpr_count:     4
    .sgpr_spill_count: 0
    .symbol:         _ZN7rocprim17ROCPRIM_400000_NS6detail17trampoline_kernelINS0_14default_configENS1_25partition_config_selectorILNS1_17partition_subalgoE0EjNS0_10empty_typeEbEEZZNS1_14partition_implILS5_0ELb0ES3_jN6thrust23THRUST_200600_302600_NS6detail15normal_iteratorINSA_10device_ptrIjEEEEPS6_SG_NS0_5tupleIJNSA_16discard_iteratorINSA_11use_defaultEEESF_EEENSH_IJSG_SG_EEES6_PlJ7is_evenIjEEEE10hipError_tPvRmT3_T4_T5_T6_T7_T9_mT8_P12ihipStream_tbDpT10_ENKUlT_T0_E_clISt17integral_constantIbLb1EES18_IbLb0EEEEDaS14_S15_EUlS14_E_NS1_11comp_targetILNS1_3genE3ELNS1_11target_archE908ELNS1_3gpuE7ELNS1_3repE0EEENS1_30default_config_static_selectorELNS0_4arch9wavefront6targetE1EEEvT1_.kd
    .uniform_work_group_size: 1
    .uses_dynamic_stack: false
    .vgpr_count:     0
    .vgpr_spill_count: 0
    .wavefront_size: 64
  - .agpr_count:     0
    .args:
      - .offset:         0
        .size:           128
        .value_kind:     by_value
    .group_segment_fixed_size: 0
    .kernarg_segment_align: 8
    .kernarg_segment_size: 128
    .language:       OpenCL C
    .language_version:
      - 2
      - 0
    .max_flat_workgroup_size: 192
    .name:           _ZN7rocprim17ROCPRIM_400000_NS6detail17trampoline_kernelINS0_14default_configENS1_25partition_config_selectorILNS1_17partition_subalgoE0EjNS0_10empty_typeEbEEZZNS1_14partition_implILS5_0ELb0ES3_jN6thrust23THRUST_200600_302600_NS6detail15normal_iteratorINSA_10device_ptrIjEEEEPS6_SG_NS0_5tupleIJNSA_16discard_iteratorINSA_11use_defaultEEESF_EEENSH_IJSG_SG_EEES6_PlJ7is_evenIjEEEE10hipError_tPvRmT3_T4_T5_T6_T7_T9_mT8_P12ihipStream_tbDpT10_ENKUlT_T0_E_clISt17integral_constantIbLb1EES18_IbLb0EEEEDaS14_S15_EUlS14_E_NS1_11comp_targetILNS1_3genE2ELNS1_11target_archE906ELNS1_3gpuE6ELNS1_3repE0EEENS1_30default_config_static_selectorELNS0_4arch9wavefront6targetE1EEEvT1_
    .private_segment_fixed_size: 0
    .sgpr_count:     4
    .sgpr_spill_count: 0
    .symbol:         _ZN7rocprim17ROCPRIM_400000_NS6detail17trampoline_kernelINS0_14default_configENS1_25partition_config_selectorILNS1_17partition_subalgoE0EjNS0_10empty_typeEbEEZZNS1_14partition_implILS5_0ELb0ES3_jN6thrust23THRUST_200600_302600_NS6detail15normal_iteratorINSA_10device_ptrIjEEEEPS6_SG_NS0_5tupleIJNSA_16discard_iteratorINSA_11use_defaultEEESF_EEENSH_IJSG_SG_EEES6_PlJ7is_evenIjEEEE10hipError_tPvRmT3_T4_T5_T6_T7_T9_mT8_P12ihipStream_tbDpT10_ENKUlT_T0_E_clISt17integral_constantIbLb1EES18_IbLb0EEEEDaS14_S15_EUlS14_E_NS1_11comp_targetILNS1_3genE2ELNS1_11target_archE906ELNS1_3gpuE6ELNS1_3repE0EEENS1_30default_config_static_selectorELNS0_4arch9wavefront6targetE1EEEvT1_.kd
    .uniform_work_group_size: 1
    .uses_dynamic_stack: false
    .vgpr_count:     0
    .vgpr_spill_count: 0
    .wavefront_size: 64
  - .agpr_count:     0
    .args:
      - .offset:         0
        .size:           128
        .value_kind:     by_value
    .group_segment_fixed_size: 0
    .kernarg_segment_align: 8
    .kernarg_segment_size: 128
    .language:       OpenCL C
    .language_version:
      - 2
      - 0
    .max_flat_workgroup_size: 512
    .name:           _ZN7rocprim17ROCPRIM_400000_NS6detail17trampoline_kernelINS0_14default_configENS1_25partition_config_selectorILNS1_17partition_subalgoE0EjNS0_10empty_typeEbEEZZNS1_14partition_implILS5_0ELb0ES3_jN6thrust23THRUST_200600_302600_NS6detail15normal_iteratorINSA_10device_ptrIjEEEEPS6_SG_NS0_5tupleIJNSA_16discard_iteratorINSA_11use_defaultEEESF_EEENSH_IJSG_SG_EEES6_PlJ7is_evenIjEEEE10hipError_tPvRmT3_T4_T5_T6_T7_T9_mT8_P12ihipStream_tbDpT10_ENKUlT_T0_E_clISt17integral_constantIbLb1EES18_IbLb0EEEEDaS14_S15_EUlS14_E_NS1_11comp_targetILNS1_3genE10ELNS1_11target_archE1200ELNS1_3gpuE4ELNS1_3repE0EEENS1_30default_config_static_selectorELNS0_4arch9wavefront6targetE1EEEvT1_
    .private_segment_fixed_size: 0
    .sgpr_count:     4
    .sgpr_spill_count: 0
    .symbol:         _ZN7rocprim17ROCPRIM_400000_NS6detail17trampoline_kernelINS0_14default_configENS1_25partition_config_selectorILNS1_17partition_subalgoE0EjNS0_10empty_typeEbEEZZNS1_14partition_implILS5_0ELb0ES3_jN6thrust23THRUST_200600_302600_NS6detail15normal_iteratorINSA_10device_ptrIjEEEEPS6_SG_NS0_5tupleIJNSA_16discard_iteratorINSA_11use_defaultEEESF_EEENSH_IJSG_SG_EEES6_PlJ7is_evenIjEEEE10hipError_tPvRmT3_T4_T5_T6_T7_T9_mT8_P12ihipStream_tbDpT10_ENKUlT_T0_E_clISt17integral_constantIbLb1EES18_IbLb0EEEEDaS14_S15_EUlS14_E_NS1_11comp_targetILNS1_3genE10ELNS1_11target_archE1200ELNS1_3gpuE4ELNS1_3repE0EEENS1_30default_config_static_selectorELNS0_4arch9wavefront6targetE1EEEvT1_.kd
    .uniform_work_group_size: 1
    .uses_dynamic_stack: false
    .vgpr_count:     0
    .vgpr_spill_count: 0
    .wavefront_size: 64
  - .agpr_count:     0
    .args:
      - .offset:         0
        .size:           128
        .value_kind:     by_value
    .group_segment_fixed_size: 0
    .kernarg_segment_align: 8
    .kernarg_segment_size: 128
    .language:       OpenCL C
    .language_version:
      - 2
      - 0
    .max_flat_workgroup_size: 128
    .name:           _ZN7rocprim17ROCPRIM_400000_NS6detail17trampoline_kernelINS0_14default_configENS1_25partition_config_selectorILNS1_17partition_subalgoE0EjNS0_10empty_typeEbEEZZNS1_14partition_implILS5_0ELb0ES3_jN6thrust23THRUST_200600_302600_NS6detail15normal_iteratorINSA_10device_ptrIjEEEEPS6_SG_NS0_5tupleIJNSA_16discard_iteratorINSA_11use_defaultEEESF_EEENSH_IJSG_SG_EEES6_PlJ7is_evenIjEEEE10hipError_tPvRmT3_T4_T5_T6_T7_T9_mT8_P12ihipStream_tbDpT10_ENKUlT_T0_E_clISt17integral_constantIbLb1EES18_IbLb0EEEEDaS14_S15_EUlS14_E_NS1_11comp_targetILNS1_3genE9ELNS1_11target_archE1100ELNS1_3gpuE3ELNS1_3repE0EEENS1_30default_config_static_selectorELNS0_4arch9wavefront6targetE1EEEvT1_
    .private_segment_fixed_size: 0
    .sgpr_count:     4
    .sgpr_spill_count: 0
    .symbol:         _ZN7rocprim17ROCPRIM_400000_NS6detail17trampoline_kernelINS0_14default_configENS1_25partition_config_selectorILNS1_17partition_subalgoE0EjNS0_10empty_typeEbEEZZNS1_14partition_implILS5_0ELb0ES3_jN6thrust23THRUST_200600_302600_NS6detail15normal_iteratorINSA_10device_ptrIjEEEEPS6_SG_NS0_5tupleIJNSA_16discard_iteratorINSA_11use_defaultEEESF_EEENSH_IJSG_SG_EEES6_PlJ7is_evenIjEEEE10hipError_tPvRmT3_T4_T5_T6_T7_T9_mT8_P12ihipStream_tbDpT10_ENKUlT_T0_E_clISt17integral_constantIbLb1EES18_IbLb0EEEEDaS14_S15_EUlS14_E_NS1_11comp_targetILNS1_3genE9ELNS1_11target_archE1100ELNS1_3gpuE3ELNS1_3repE0EEENS1_30default_config_static_selectorELNS0_4arch9wavefront6targetE1EEEvT1_.kd
    .uniform_work_group_size: 1
    .uses_dynamic_stack: false
    .vgpr_count:     0
    .vgpr_spill_count: 0
    .wavefront_size: 64
  - .agpr_count:     0
    .args:
      - .offset:         0
        .size:           128
        .value_kind:     by_value
    .group_segment_fixed_size: 0
    .kernarg_segment_align: 8
    .kernarg_segment_size: 128
    .language:       OpenCL C
    .language_version:
      - 2
      - 0
    .max_flat_workgroup_size: 512
    .name:           _ZN7rocprim17ROCPRIM_400000_NS6detail17trampoline_kernelINS0_14default_configENS1_25partition_config_selectorILNS1_17partition_subalgoE0EjNS0_10empty_typeEbEEZZNS1_14partition_implILS5_0ELb0ES3_jN6thrust23THRUST_200600_302600_NS6detail15normal_iteratorINSA_10device_ptrIjEEEEPS6_SG_NS0_5tupleIJNSA_16discard_iteratorINSA_11use_defaultEEESF_EEENSH_IJSG_SG_EEES6_PlJ7is_evenIjEEEE10hipError_tPvRmT3_T4_T5_T6_T7_T9_mT8_P12ihipStream_tbDpT10_ENKUlT_T0_E_clISt17integral_constantIbLb1EES18_IbLb0EEEEDaS14_S15_EUlS14_E_NS1_11comp_targetILNS1_3genE8ELNS1_11target_archE1030ELNS1_3gpuE2ELNS1_3repE0EEENS1_30default_config_static_selectorELNS0_4arch9wavefront6targetE1EEEvT1_
    .private_segment_fixed_size: 0
    .sgpr_count:     4
    .sgpr_spill_count: 0
    .symbol:         _ZN7rocprim17ROCPRIM_400000_NS6detail17trampoline_kernelINS0_14default_configENS1_25partition_config_selectorILNS1_17partition_subalgoE0EjNS0_10empty_typeEbEEZZNS1_14partition_implILS5_0ELb0ES3_jN6thrust23THRUST_200600_302600_NS6detail15normal_iteratorINSA_10device_ptrIjEEEEPS6_SG_NS0_5tupleIJNSA_16discard_iteratorINSA_11use_defaultEEESF_EEENSH_IJSG_SG_EEES6_PlJ7is_evenIjEEEE10hipError_tPvRmT3_T4_T5_T6_T7_T9_mT8_P12ihipStream_tbDpT10_ENKUlT_T0_E_clISt17integral_constantIbLb1EES18_IbLb0EEEEDaS14_S15_EUlS14_E_NS1_11comp_targetILNS1_3genE8ELNS1_11target_archE1030ELNS1_3gpuE2ELNS1_3repE0EEENS1_30default_config_static_selectorELNS0_4arch9wavefront6targetE1EEEvT1_.kd
    .uniform_work_group_size: 1
    .uses_dynamic_stack: false
    .vgpr_count:     0
    .vgpr_spill_count: 0
    .wavefront_size: 64
  - .agpr_count:     0
    .args:
      - .offset:         0
        .size:           144
        .value_kind:     by_value
    .group_segment_fixed_size: 0
    .kernarg_segment_align: 8
    .kernarg_segment_size: 144
    .language:       OpenCL C
    .language_version:
      - 2
      - 0
    .max_flat_workgroup_size: 256
    .name:           _ZN7rocprim17ROCPRIM_400000_NS6detail17trampoline_kernelINS0_14default_configENS1_25partition_config_selectorILNS1_17partition_subalgoE0EjNS0_10empty_typeEbEEZZNS1_14partition_implILS5_0ELb0ES3_jN6thrust23THRUST_200600_302600_NS6detail15normal_iteratorINSA_10device_ptrIjEEEEPS6_SG_NS0_5tupleIJNSA_16discard_iteratorINSA_11use_defaultEEESF_EEENSH_IJSG_SG_EEES6_PlJ7is_evenIjEEEE10hipError_tPvRmT3_T4_T5_T6_T7_T9_mT8_P12ihipStream_tbDpT10_ENKUlT_T0_E_clISt17integral_constantIbLb0EES18_IbLb1EEEEDaS14_S15_EUlS14_E_NS1_11comp_targetILNS1_3genE0ELNS1_11target_archE4294967295ELNS1_3gpuE0ELNS1_3repE0EEENS1_30default_config_static_selectorELNS0_4arch9wavefront6targetE1EEEvT1_
    .private_segment_fixed_size: 0
    .sgpr_count:     4
    .sgpr_spill_count: 0
    .symbol:         _ZN7rocprim17ROCPRIM_400000_NS6detail17trampoline_kernelINS0_14default_configENS1_25partition_config_selectorILNS1_17partition_subalgoE0EjNS0_10empty_typeEbEEZZNS1_14partition_implILS5_0ELb0ES3_jN6thrust23THRUST_200600_302600_NS6detail15normal_iteratorINSA_10device_ptrIjEEEEPS6_SG_NS0_5tupleIJNSA_16discard_iteratorINSA_11use_defaultEEESF_EEENSH_IJSG_SG_EEES6_PlJ7is_evenIjEEEE10hipError_tPvRmT3_T4_T5_T6_T7_T9_mT8_P12ihipStream_tbDpT10_ENKUlT_T0_E_clISt17integral_constantIbLb0EES18_IbLb1EEEEDaS14_S15_EUlS14_E_NS1_11comp_targetILNS1_3genE0ELNS1_11target_archE4294967295ELNS1_3gpuE0ELNS1_3repE0EEENS1_30default_config_static_selectorELNS0_4arch9wavefront6targetE1EEEvT1_.kd
    .uniform_work_group_size: 1
    .uses_dynamic_stack: false
    .vgpr_count:     0
    .vgpr_spill_count: 0
    .wavefront_size: 64
  - .agpr_count:     0
    .args:
      - .offset:         0
        .size:           144
        .value_kind:     by_value
    .group_segment_fixed_size: 0
    .kernarg_segment_align: 8
    .kernarg_segment_size: 144
    .language:       OpenCL C
    .language_version:
      - 2
      - 0
    .max_flat_workgroup_size: 512
    .name:           _ZN7rocprim17ROCPRIM_400000_NS6detail17trampoline_kernelINS0_14default_configENS1_25partition_config_selectorILNS1_17partition_subalgoE0EjNS0_10empty_typeEbEEZZNS1_14partition_implILS5_0ELb0ES3_jN6thrust23THRUST_200600_302600_NS6detail15normal_iteratorINSA_10device_ptrIjEEEEPS6_SG_NS0_5tupleIJNSA_16discard_iteratorINSA_11use_defaultEEESF_EEENSH_IJSG_SG_EEES6_PlJ7is_evenIjEEEE10hipError_tPvRmT3_T4_T5_T6_T7_T9_mT8_P12ihipStream_tbDpT10_ENKUlT_T0_E_clISt17integral_constantIbLb0EES18_IbLb1EEEEDaS14_S15_EUlS14_E_NS1_11comp_targetILNS1_3genE5ELNS1_11target_archE942ELNS1_3gpuE9ELNS1_3repE0EEENS1_30default_config_static_selectorELNS0_4arch9wavefront6targetE1EEEvT1_
    .private_segment_fixed_size: 0
    .sgpr_count:     4
    .sgpr_spill_count: 0
    .symbol:         _ZN7rocprim17ROCPRIM_400000_NS6detail17trampoline_kernelINS0_14default_configENS1_25partition_config_selectorILNS1_17partition_subalgoE0EjNS0_10empty_typeEbEEZZNS1_14partition_implILS5_0ELb0ES3_jN6thrust23THRUST_200600_302600_NS6detail15normal_iteratorINSA_10device_ptrIjEEEEPS6_SG_NS0_5tupleIJNSA_16discard_iteratorINSA_11use_defaultEEESF_EEENSH_IJSG_SG_EEES6_PlJ7is_evenIjEEEE10hipError_tPvRmT3_T4_T5_T6_T7_T9_mT8_P12ihipStream_tbDpT10_ENKUlT_T0_E_clISt17integral_constantIbLb0EES18_IbLb1EEEEDaS14_S15_EUlS14_E_NS1_11comp_targetILNS1_3genE5ELNS1_11target_archE942ELNS1_3gpuE9ELNS1_3repE0EEENS1_30default_config_static_selectorELNS0_4arch9wavefront6targetE1EEEvT1_.kd
    .uniform_work_group_size: 1
    .uses_dynamic_stack: false
    .vgpr_count:     0
    .vgpr_spill_count: 0
    .wavefront_size: 64
  - .agpr_count:     0
    .args:
      - .offset:         0
        .size:           144
        .value_kind:     by_value
    .group_segment_fixed_size: 10248
    .kernarg_segment_align: 8
    .kernarg_segment_size: 144
    .language:       OpenCL C
    .language_version:
      - 2
      - 0
    .max_flat_workgroup_size: 256
    .name:           _ZN7rocprim17ROCPRIM_400000_NS6detail17trampoline_kernelINS0_14default_configENS1_25partition_config_selectorILNS1_17partition_subalgoE0EjNS0_10empty_typeEbEEZZNS1_14partition_implILS5_0ELb0ES3_jN6thrust23THRUST_200600_302600_NS6detail15normal_iteratorINSA_10device_ptrIjEEEEPS6_SG_NS0_5tupleIJNSA_16discard_iteratorINSA_11use_defaultEEESF_EEENSH_IJSG_SG_EEES6_PlJ7is_evenIjEEEE10hipError_tPvRmT3_T4_T5_T6_T7_T9_mT8_P12ihipStream_tbDpT10_ENKUlT_T0_E_clISt17integral_constantIbLb0EES18_IbLb1EEEEDaS14_S15_EUlS14_E_NS1_11comp_targetILNS1_3genE4ELNS1_11target_archE910ELNS1_3gpuE8ELNS1_3repE0EEENS1_30default_config_static_selectorELNS0_4arch9wavefront6targetE1EEEvT1_
    .private_segment_fixed_size: 0
    .sgpr_count:     46
    .sgpr_spill_count: 0
    .symbol:         _ZN7rocprim17ROCPRIM_400000_NS6detail17trampoline_kernelINS0_14default_configENS1_25partition_config_selectorILNS1_17partition_subalgoE0EjNS0_10empty_typeEbEEZZNS1_14partition_implILS5_0ELb0ES3_jN6thrust23THRUST_200600_302600_NS6detail15normal_iteratorINSA_10device_ptrIjEEEEPS6_SG_NS0_5tupleIJNSA_16discard_iteratorINSA_11use_defaultEEESF_EEENSH_IJSG_SG_EEES6_PlJ7is_evenIjEEEE10hipError_tPvRmT3_T4_T5_T6_T7_T9_mT8_P12ihipStream_tbDpT10_ENKUlT_T0_E_clISt17integral_constantIbLb0EES18_IbLb1EEEEDaS14_S15_EUlS14_E_NS1_11comp_targetILNS1_3genE4ELNS1_11target_archE910ELNS1_3gpuE8ELNS1_3repE0EEENS1_30default_config_static_selectorELNS0_4arch9wavefront6targetE1EEEvT1_.kd
    .uniform_work_group_size: 1
    .uses_dynamic_stack: false
    .vgpr_count:     58
    .vgpr_spill_count: 0
    .wavefront_size: 64
  - .agpr_count:     0
    .args:
      - .offset:         0
        .size:           144
        .value_kind:     by_value
    .group_segment_fixed_size: 0
    .kernarg_segment_align: 8
    .kernarg_segment_size: 144
    .language:       OpenCL C
    .language_version:
      - 2
      - 0
    .max_flat_workgroup_size: 256
    .name:           _ZN7rocprim17ROCPRIM_400000_NS6detail17trampoline_kernelINS0_14default_configENS1_25partition_config_selectorILNS1_17partition_subalgoE0EjNS0_10empty_typeEbEEZZNS1_14partition_implILS5_0ELb0ES3_jN6thrust23THRUST_200600_302600_NS6detail15normal_iteratorINSA_10device_ptrIjEEEEPS6_SG_NS0_5tupleIJNSA_16discard_iteratorINSA_11use_defaultEEESF_EEENSH_IJSG_SG_EEES6_PlJ7is_evenIjEEEE10hipError_tPvRmT3_T4_T5_T6_T7_T9_mT8_P12ihipStream_tbDpT10_ENKUlT_T0_E_clISt17integral_constantIbLb0EES18_IbLb1EEEEDaS14_S15_EUlS14_E_NS1_11comp_targetILNS1_3genE3ELNS1_11target_archE908ELNS1_3gpuE7ELNS1_3repE0EEENS1_30default_config_static_selectorELNS0_4arch9wavefront6targetE1EEEvT1_
    .private_segment_fixed_size: 0
    .sgpr_count:     4
    .sgpr_spill_count: 0
    .symbol:         _ZN7rocprim17ROCPRIM_400000_NS6detail17trampoline_kernelINS0_14default_configENS1_25partition_config_selectorILNS1_17partition_subalgoE0EjNS0_10empty_typeEbEEZZNS1_14partition_implILS5_0ELb0ES3_jN6thrust23THRUST_200600_302600_NS6detail15normal_iteratorINSA_10device_ptrIjEEEEPS6_SG_NS0_5tupleIJNSA_16discard_iteratorINSA_11use_defaultEEESF_EEENSH_IJSG_SG_EEES6_PlJ7is_evenIjEEEE10hipError_tPvRmT3_T4_T5_T6_T7_T9_mT8_P12ihipStream_tbDpT10_ENKUlT_T0_E_clISt17integral_constantIbLb0EES18_IbLb1EEEEDaS14_S15_EUlS14_E_NS1_11comp_targetILNS1_3genE3ELNS1_11target_archE908ELNS1_3gpuE7ELNS1_3repE0EEENS1_30default_config_static_selectorELNS0_4arch9wavefront6targetE1EEEvT1_.kd
    .uniform_work_group_size: 1
    .uses_dynamic_stack: false
    .vgpr_count:     0
    .vgpr_spill_count: 0
    .wavefront_size: 64
  - .agpr_count:     0
    .args:
      - .offset:         0
        .size:           144
        .value_kind:     by_value
    .group_segment_fixed_size: 0
    .kernarg_segment_align: 8
    .kernarg_segment_size: 144
    .language:       OpenCL C
    .language_version:
      - 2
      - 0
    .max_flat_workgroup_size: 192
    .name:           _ZN7rocprim17ROCPRIM_400000_NS6detail17trampoline_kernelINS0_14default_configENS1_25partition_config_selectorILNS1_17partition_subalgoE0EjNS0_10empty_typeEbEEZZNS1_14partition_implILS5_0ELb0ES3_jN6thrust23THRUST_200600_302600_NS6detail15normal_iteratorINSA_10device_ptrIjEEEEPS6_SG_NS0_5tupleIJNSA_16discard_iteratorINSA_11use_defaultEEESF_EEENSH_IJSG_SG_EEES6_PlJ7is_evenIjEEEE10hipError_tPvRmT3_T4_T5_T6_T7_T9_mT8_P12ihipStream_tbDpT10_ENKUlT_T0_E_clISt17integral_constantIbLb0EES18_IbLb1EEEEDaS14_S15_EUlS14_E_NS1_11comp_targetILNS1_3genE2ELNS1_11target_archE906ELNS1_3gpuE6ELNS1_3repE0EEENS1_30default_config_static_selectorELNS0_4arch9wavefront6targetE1EEEvT1_
    .private_segment_fixed_size: 0
    .sgpr_count:     4
    .sgpr_spill_count: 0
    .symbol:         _ZN7rocprim17ROCPRIM_400000_NS6detail17trampoline_kernelINS0_14default_configENS1_25partition_config_selectorILNS1_17partition_subalgoE0EjNS0_10empty_typeEbEEZZNS1_14partition_implILS5_0ELb0ES3_jN6thrust23THRUST_200600_302600_NS6detail15normal_iteratorINSA_10device_ptrIjEEEEPS6_SG_NS0_5tupleIJNSA_16discard_iteratorINSA_11use_defaultEEESF_EEENSH_IJSG_SG_EEES6_PlJ7is_evenIjEEEE10hipError_tPvRmT3_T4_T5_T6_T7_T9_mT8_P12ihipStream_tbDpT10_ENKUlT_T0_E_clISt17integral_constantIbLb0EES18_IbLb1EEEEDaS14_S15_EUlS14_E_NS1_11comp_targetILNS1_3genE2ELNS1_11target_archE906ELNS1_3gpuE6ELNS1_3repE0EEENS1_30default_config_static_selectorELNS0_4arch9wavefront6targetE1EEEvT1_.kd
    .uniform_work_group_size: 1
    .uses_dynamic_stack: false
    .vgpr_count:     0
    .vgpr_spill_count: 0
    .wavefront_size: 64
  - .agpr_count:     0
    .args:
      - .offset:         0
        .size:           144
        .value_kind:     by_value
    .group_segment_fixed_size: 0
    .kernarg_segment_align: 8
    .kernarg_segment_size: 144
    .language:       OpenCL C
    .language_version:
      - 2
      - 0
    .max_flat_workgroup_size: 512
    .name:           _ZN7rocprim17ROCPRIM_400000_NS6detail17trampoline_kernelINS0_14default_configENS1_25partition_config_selectorILNS1_17partition_subalgoE0EjNS0_10empty_typeEbEEZZNS1_14partition_implILS5_0ELb0ES3_jN6thrust23THRUST_200600_302600_NS6detail15normal_iteratorINSA_10device_ptrIjEEEEPS6_SG_NS0_5tupleIJNSA_16discard_iteratorINSA_11use_defaultEEESF_EEENSH_IJSG_SG_EEES6_PlJ7is_evenIjEEEE10hipError_tPvRmT3_T4_T5_T6_T7_T9_mT8_P12ihipStream_tbDpT10_ENKUlT_T0_E_clISt17integral_constantIbLb0EES18_IbLb1EEEEDaS14_S15_EUlS14_E_NS1_11comp_targetILNS1_3genE10ELNS1_11target_archE1200ELNS1_3gpuE4ELNS1_3repE0EEENS1_30default_config_static_selectorELNS0_4arch9wavefront6targetE1EEEvT1_
    .private_segment_fixed_size: 0
    .sgpr_count:     4
    .sgpr_spill_count: 0
    .symbol:         _ZN7rocprim17ROCPRIM_400000_NS6detail17trampoline_kernelINS0_14default_configENS1_25partition_config_selectorILNS1_17partition_subalgoE0EjNS0_10empty_typeEbEEZZNS1_14partition_implILS5_0ELb0ES3_jN6thrust23THRUST_200600_302600_NS6detail15normal_iteratorINSA_10device_ptrIjEEEEPS6_SG_NS0_5tupleIJNSA_16discard_iteratorINSA_11use_defaultEEESF_EEENSH_IJSG_SG_EEES6_PlJ7is_evenIjEEEE10hipError_tPvRmT3_T4_T5_T6_T7_T9_mT8_P12ihipStream_tbDpT10_ENKUlT_T0_E_clISt17integral_constantIbLb0EES18_IbLb1EEEEDaS14_S15_EUlS14_E_NS1_11comp_targetILNS1_3genE10ELNS1_11target_archE1200ELNS1_3gpuE4ELNS1_3repE0EEENS1_30default_config_static_selectorELNS0_4arch9wavefront6targetE1EEEvT1_.kd
    .uniform_work_group_size: 1
    .uses_dynamic_stack: false
    .vgpr_count:     0
    .vgpr_spill_count: 0
    .wavefront_size: 64
  - .agpr_count:     0
    .args:
      - .offset:         0
        .size:           144
        .value_kind:     by_value
    .group_segment_fixed_size: 0
    .kernarg_segment_align: 8
    .kernarg_segment_size: 144
    .language:       OpenCL C
    .language_version:
      - 2
      - 0
    .max_flat_workgroup_size: 128
    .name:           _ZN7rocprim17ROCPRIM_400000_NS6detail17trampoline_kernelINS0_14default_configENS1_25partition_config_selectorILNS1_17partition_subalgoE0EjNS0_10empty_typeEbEEZZNS1_14partition_implILS5_0ELb0ES3_jN6thrust23THRUST_200600_302600_NS6detail15normal_iteratorINSA_10device_ptrIjEEEEPS6_SG_NS0_5tupleIJNSA_16discard_iteratorINSA_11use_defaultEEESF_EEENSH_IJSG_SG_EEES6_PlJ7is_evenIjEEEE10hipError_tPvRmT3_T4_T5_T6_T7_T9_mT8_P12ihipStream_tbDpT10_ENKUlT_T0_E_clISt17integral_constantIbLb0EES18_IbLb1EEEEDaS14_S15_EUlS14_E_NS1_11comp_targetILNS1_3genE9ELNS1_11target_archE1100ELNS1_3gpuE3ELNS1_3repE0EEENS1_30default_config_static_selectorELNS0_4arch9wavefront6targetE1EEEvT1_
    .private_segment_fixed_size: 0
    .sgpr_count:     4
    .sgpr_spill_count: 0
    .symbol:         _ZN7rocprim17ROCPRIM_400000_NS6detail17trampoline_kernelINS0_14default_configENS1_25partition_config_selectorILNS1_17partition_subalgoE0EjNS0_10empty_typeEbEEZZNS1_14partition_implILS5_0ELb0ES3_jN6thrust23THRUST_200600_302600_NS6detail15normal_iteratorINSA_10device_ptrIjEEEEPS6_SG_NS0_5tupleIJNSA_16discard_iteratorINSA_11use_defaultEEESF_EEENSH_IJSG_SG_EEES6_PlJ7is_evenIjEEEE10hipError_tPvRmT3_T4_T5_T6_T7_T9_mT8_P12ihipStream_tbDpT10_ENKUlT_T0_E_clISt17integral_constantIbLb0EES18_IbLb1EEEEDaS14_S15_EUlS14_E_NS1_11comp_targetILNS1_3genE9ELNS1_11target_archE1100ELNS1_3gpuE3ELNS1_3repE0EEENS1_30default_config_static_selectorELNS0_4arch9wavefront6targetE1EEEvT1_.kd
    .uniform_work_group_size: 1
    .uses_dynamic_stack: false
    .vgpr_count:     0
    .vgpr_spill_count: 0
    .wavefront_size: 64
  - .agpr_count:     0
    .args:
      - .offset:         0
        .size:           144
        .value_kind:     by_value
    .group_segment_fixed_size: 0
    .kernarg_segment_align: 8
    .kernarg_segment_size: 144
    .language:       OpenCL C
    .language_version:
      - 2
      - 0
    .max_flat_workgroup_size: 512
    .name:           _ZN7rocprim17ROCPRIM_400000_NS6detail17trampoline_kernelINS0_14default_configENS1_25partition_config_selectorILNS1_17partition_subalgoE0EjNS0_10empty_typeEbEEZZNS1_14partition_implILS5_0ELb0ES3_jN6thrust23THRUST_200600_302600_NS6detail15normal_iteratorINSA_10device_ptrIjEEEEPS6_SG_NS0_5tupleIJNSA_16discard_iteratorINSA_11use_defaultEEESF_EEENSH_IJSG_SG_EEES6_PlJ7is_evenIjEEEE10hipError_tPvRmT3_T4_T5_T6_T7_T9_mT8_P12ihipStream_tbDpT10_ENKUlT_T0_E_clISt17integral_constantIbLb0EES18_IbLb1EEEEDaS14_S15_EUlS14_E_NS1_11comp_targetILNS1_3genE8ELNS1_11target_archE1030ELNS1_3gpuE2ELNS1_3repE0EEENS1_30default_config_static_selectorELNS0_4arch9wavefront6targetE1EEEvT1_
    .private_segment_fixed_size: 0
    .sgpr_count:     4
    .sgpr_spill_count: 0
    .symbol:         _ZN7rocprim17ROCPRIM_400000_NS6detail17trampoline_kernelINS0_14default_configENS1_25partition_config_selectorILNS1_17partition_subalgoE0EjNS0_10empty_typeEbEEZZNS1_14partition_implILS5_0ELb0ES3_jN6thrust23THRUST_200600_302600_NS6detail15normal_iteratorINSA_10device_ptrIjEEEEPS6_SG_NS0_5tupleIJNSA_16discard_iteratorINSA_11use_defaultEEESF_EEENSH_IJSG_SG_EEES6_PlJ7is_evenIjEEEE10hipError_tPvRmT3_T4_T5_T6_T7_T9_mT8_P12ihipStream_tbDpT10_ENKUlT_T0_E_clISt17integral_constantIbLb0EES18_IbLb1EEEEDaS14_S15_EUlS14_E_NS1_11comp_targetILNS1_3genE8ELNS1_11target_archE1030ELNS1_3gpuE2ELNS1_3repE0EEENS1_30default_config_static_selectorELNS0_4arch9wavefront6targetE1EEEvT1_.kd
    .uniform_work_group_size: 1
    .uses_dynamic_stack: false
    .vgpr_count:     0
    .vgpr_spill_count: 0
    .wavefront_size: 64
  - .agpr_count:     0
    .args:
      - .offset:         0
        .size:           136
        .value_kind:     by_value
    .group_segment_fixed_size: 0
    .kernarg_segment_align: 8
    .kernarg_segment_size: 136
    .language:       OpenCL C
    .language_version:
      - 2
      - 0
    .max_flat_workgroup_size: 256
    .name:           _ZN7rocprim17ROCPRIM_400000_NS6detail17trampoline_kernelINS0_14default_configENS1_25partition_config_selectorILNS1_17partition_subalgoE0EtNS0_10empty_typeEbEEZZNS1_14partition_implILS5_0ELb0ES3_jN6thrust23THRUST_200600_302600_NS6detail15normal_iteratorINSA_10device_ptrItEEEEPS6_SG_NS0_5tupleIJNSA_16discard_iteratorINSA_11use_defaultEEESK_EEENSH_IJSG_SG_EEES6_PlJ7is_evenItEEEE10hipError_tPvRmT3_T4_T5_T6_T7_T9_mT8_P12ihipStream_tbDpT10_ENKUlT_T0_E_clISt17integral_constantIbLb0EES19_EEDaS14_S15_EUlS14_E_NS1_11comp_targetILNS1_3genE0ELNS1_11target_archE4294967295ELNS1_3gpuE0ELNS1_3repE0EEENS1_30default_config_static_selectorELNS0_4arch9wavefront6targetE1EEEvT1_
    .private_segment_fixed_size: 0
    .sgpr_count:     4
    .sgpr_spill_count: 0
    .symbol:         _ZN7rocprim17ROCPRIM_400000_NS6detail17trampoline_kernelINS0_14default_configENS1_25partition_config_selectorILNS1_17partition_subalgoE0EtNS0_10empty_typeEbEEZZNS1_14partition_implILS5_0ELb0ES3_jN6thrust23THRUST_200600_302600_NS6detail15normal_iteratorINSA_10device_ptrItEEEEPS6_SG_NS0_5tupleIJNSA_16discard_iteratorINSA_11use_defaultEEESK_EEENSH_IJSG_SG_EEES6_PlJ7is_evenItEEEE10hipError_tPvRmT3_T4_T5_T6_T7_T9_mT8_P12ihipStream_tbDpT10_ENKUlT_T0_E_clISt17integral_constantIbLb0EES19_EEDaS14_S15_EUlS14_E_NS1_11comp_targetILNS1_3genE0ELNS1_11target_archE4294967295ELNS1_3gpuE0ELNS1_3repE0EEENS1_30default_config_static_selectorELNS0_4arch9wavefront6targetE1EEEvT1_.kd
    .uniform_work_group_size: 1
    .uses_dynamic_stack: false
    .vgpr_count:     0
    .vgpr_spill_count: 0
    .wavefront_size: 64
  - .agpr_count:     0
    .args:
      - .offset:         0
        .size:           136
        .value_kind:     by_value
    .group_segment_fixed_size: 0
    .kernarg_segment_align: 8
    .kernarg_segment_size: 136
    .language:       OpenCL C
    .language_version:
      - 2
      - 0
    .max_flat_workgroup_size: 512
    .name:           _ZN7rocprim17ROCPRIM_400000_NS6detail17trampoline_kernelINS0_14default_configENS1_25partition_config_selectorILNS1_17partition_subalgoE0EtNS0_10empty_typeEbEEZZNS1_14partition_implILS5_0ELb0ES3_jN6thrust23THRUST_200600_302600_NS6detail15normal_iteratorINSA_10device_ptrItEEEEPS6_SG_NS0_5tupleIJNSA_16discard_iteratorINSA_11use_defaultEEESK_EEENSH_IJSG_SG_EEES6_PlJ7is_evenItEEEE10hipError_tPvRmT3_T4_T5_T6_T7_T9_mT8_P12ihipStream_tbDpT10_ENKUlT_T0_E_clISt17integral_constantIbLb0EES19_EEDaS14_S15_EUlS14_E_NS1_11comp_targetILNS1_3genE5ELNS1_11target_archE942ELNS1_3gpuE9ELNS1_3repE0EEENS1_30default_config_static_selectorELNS0_4arch9wavefront6targetE1EEEvT1_
    .private_segment_fixed_size: 0
    .sgpr_count:     4
    .sgpr_spill_count: 0
    .symbol:         _ZN7rocprim17ROCPRIM_400000_NS6detail17trampoline_kernelINS0_14default_configENS1_25partition_config_selectorILNS1_17partition_subalgoE0EtNS0_10empty_typeEbEEZZNS1_14partition_implILS5_0ELb0ES3_jN6thrust23THRUST_200600_302600_NS6detail15normal_iteratorINSA_10device_ptrItEEEEPS6_SG_NS0_5tupleIJNSA_16discard_iteratorINSA_11use_defaultEEESK_EEENSH_IJSG_SG_EEES6_PlJ7is_evenItEEEE10hipError_tPvRmT3_T4_T5_T6_T7_T9_mT8_P12ihipStream_tbDpT10_ENKUlT_T0_E_clISt17integral_constantIbLb0EES19_EEDaS14_S15_EUlS14_E_NS1_11comp_targetILNS1_3genE5ELNS1_11target_archE942ELNS1_3gpuE9ELNS1_3repE0EEENS1_30default_config_static_selectorELNS0_4arch9wavefront6targetE1EEEvT1_.kd
    .uniform_work_group_size: 1
    .uses_dynamic_stack: false
    .vgpr_count:     0
    .vgpr_spill_count: 0
    .wavefront_size: 64
  - .agpr_count:     0
    .args:
      - .offset:         0
        .size:           136
        .value_kind:     by_value
    .group_segment_fixed_size: 14344
    .kernarg_segment_align: 8
    .kernarg_segment_size: 136
    .language:       OpenCL C
    .language_version:
      - 2
      - 0
    .max_flat_workgroup_size: 256
    .name:           _ZN7rocprim17ROCPRIM_400000_NS6detail17trampoline_kernelINS0_14default_configENS1_25partition_config_selectorILNS1_17partition_subalgoE0EtNS0_10empty_typeEbEEZZNS1_14partition_implILS5_0ELb0ES3_jN6thrust23THRUST_200600_302600_NS6detail15normal_iteratorINSA_10device_ptrItEEEEPS6_SG_NS0_5tupleIJNSA_16discard_iteratorINSA_11use_defaultEEESK_EEENSH_IJSG_SG_EEES6_PlJ7is_evenItEEEE10hipError_tPvRmT3_T4_T5_T6_T7_T9_mT8_P12ihipStream_tbDpT10_ENKUlT_T0_E_clISt17integral_constantIbLb0EES19_EEDaS14_S15_EUlS14_E_NS1_11comp_targetILNS1_3genE4ELNS1_11target_archE910ELNS1_3gpuE8ELNS1_3repE0EEENS1_30default_config_static_selectorELNS0_4arch9wavefront6targetE1EEEvT1_
    .private_segment_fixed_size: 0
    .sgpr_count:     40
    .sgpr_spill_count: 0
    .symbol:         _ZN7rocprim17ROCPRIM_400000_NS6detail17trampoline_kernelINS0_14default_configENS1_25partition_config_selectorILNS1_17partition_subalgoE0EtNS0_10empty_typeEbEEZZNS1_14partition_implILS5_0ELb0ES3_jN6thrust23THRUST_200600_302600_NS6detail15normal_iteratorINSA_10device_ptrItEEEEPS6_SG_NS0_5tupleIJNSA_16discard_iteratorINSA_11use_defaultEEESK_EEENSH_IJSG_SG_EEES6_PlJ7is_evenItEEEE10hipError_tPvRmT3_T4_T5_T6_T7_T9_mT8_P12ihipStream_tbDpT10_ENKUlT_T0_E_clISt17integral_constantIbLb0EES19_EEDaS14_S15_EUlS14_E_NS1_11comp_targetILNS1_3genE4ELNS1_11target_archE910ELNS1_3gpuE8ELNS1_3repE0EEENS1_30default_config_static_selectorELNS0_4arch9wavefront6targetE1EEEvT1_.kd
    .uniform_work_group_size: 1
    .uses_dynamic_stack: false
    .vgpr_count:     113
    .vgpr_spill_count: 0
    .wavefront_size: 64
  - .agpr_count:     0
    .args:
      - .offset:         0
        .size:           136
        .value_kind:     by_value
    .group_segment_fixed_size: 0
    .kernarg_segment_align: 8
    .kernarg_segment_size: 136
    .language:       OpenCL C
    .language_version:
      - 2
      - 0
    .max_flat_workgroup_size: 256
    .name:           _ZN7rocprim17ROCPRIM_400000_NS6detail17trampoline_kernelINS0_14default_configENS1_25partition_config_selectorILNS1_17partition_subalgoE0EtNS0_10empty_typeEbEEZZNS1_14partition_implILS5_0ELb0ES3_jN6thrust23THRUST_200600_302600_NS6detail15normal_iteratorINSA_10device_ptrItEEEEPS6_SG_NS0_5tupleIJNSA_16discard_iteratorINSA_11use_defaultEEESK_EEENSH_IJSG_SG_EEES6_PlJ7is_evenItEEEE10hipError_tPvRmT3_T4_T5_T6_T7_T9_mT8_P12ihipStream_tbDpT10_ENKUlT_T0_E_clISt17integral_constantIbLb0EES19_EEDaS14_S15_EUlS14_E_NS1_11comp_targetILNS1_3genE3ELNS1_11target_archE908ELNS1_3gpuE7ELNS1_3repE0EEENS1_30default_config_static_selectorELNS0_4arch9wavefront6targetE1EEEvT1_
    .private_segment_fixed_size: 0
    .sgpr_count:     4
    .sgpr_spill_count: 0
    .symbol:         _ZN7rocprim17ROCPRIM_400000_NS6detail17trampoline_kernelINS0_14default_configENS1_25partition_config_selectorILNS1_17partition_subalgoE0EtNS0_10empty_typeEbEEZZNS1_14partition_implILS5_0ELb0ES3_jN6thrust23THRUST_200600_302600_NS6detail15normal_iteratorINSA_10device_ptrItEEEEPS6_SG_NS0_5tupleIJNSA_16discard_iteratorINSA_11use_defaultEEESK_EEENSH_IJSG_SG_EEES6_PlJ7is_evenItEEEE10hipError_tPvRmT3_T4_T5_T6_T7_T9_mT8_P12ihipStream_tbDpT10_ENKUlT_T0_E_clISt17integral_constantIbLb0EES19_EEDaS14_S15_EUlS14_E_NS1_11comp_targetILNS1_3genE3ELNS1_11target_archE908ELNS1_3gpuE7ELNS1_3repE0EEENS1_30default_config_static_selectorELNS0_4arch9wavefront6targetE1EEEvT1_.kd
    .uniform_work_group_size: 1
    .uses_dynamic_stack: false
    .vgpr_count:     0
    .vgpr_spill_count: 0
    .wavefront_size: 64
  - .agpr_count:     0
    .args:
      - .offset:         0
        .size:           136
        .value_kind:     by_value
    .group_segment_fixed_size: 0
    .kernarg_segment_align: 8
    .kernarg_segment_size: 136
    .language:       OpenCL C
    .language_version:
      - 2
      - 0
    .max_flat_workgroup_size: 256
    .name:           _ZN7rocprim17ROCPRIM_400000_NS6detail17trampoline_kernelINS0_14default_configENS1_25partition_config_selectorILNS1_17partition_subalgoE0EtNS0_10empty_typeEbEEZZNS1_14partition_implILS5_0ELb0ES3_jN6thrust23THRUST_200600_302600_NS6detail15normal_iteratorINSA_10device_ptrItEEEEPS6_SG_NS0_5tupleIJNSA_16discard_iteratorINSA_11use_defaultEEESK_EEENSH_IJSG_SG_EEES6_PlJ7is_evenItEEEE10hipError_tPvRmT3_T4_T5_T6_T7_T9_mT8_P12ihipStream_tbDpT10_ENKUlT_T0_E_clISt17integral_constantIbLb0EES19_EEDaS14_S15_EUlS14_E_NS1_11comp_targetILNS1_3genE2ELNS1_11target_archE906ELNS1_3gpuE6ELNS1_3repE0EEENS1_30default_config_static_selectorELNS0_4arch9wavefront6targetE1EEEvT1_
    .private_segment_fixed_size: 0
    .sgpr_count:     4
    .sgpr_spill_count: 0
    .symbol:         _ZN7rocprim17ROCPRIM_400000_NS6detail17trampoline_kernelINS0_14default_configENS1_25partition_config_selectorILNS1_17partition_subalgoE0EtNS0_10empty_typeEbEEZZNS1_14partition_implILS5_0ELb0ES3_jN6thrust23THRUST_200600_302600_NS6detail15normal_iteratorINSA_10device_ptrItEEEEPS6_SG_NS0_5tupleIJNSA_16discard_iteratorINSA_11use_defaultEEESK_EEENSH_IJSG_SG_EEES6_PlJ7is_evenItEEEE10hipError_tPvRmT3_T4_T5_T6_T7_T9_mT8_P12ihipStream_tbDpT10_ENKUlT_T0_E_clISt17integral_constantIbLb0EES19_EEDaS14_S15_EUlS14_E_NS1_11comp_targetILNS1_3genE2ELNS1_11target_archE906ELNS1_3gpuE6ELNS1_3repE0EEENS1_30default_config_static_selectorELNS0_4arch9wavefront6targetE1EEEvT1_.kd
    .uniform_work_group_size: 1
    .uses_dynamic_stack: false
    .vgpr_count:     0
    .vgpr_spill_count: 0
    .wavefront_size: 64
  - .agpr_count:     0
    .args:
      - .offset:         0
        .size:           136
        .value_kind:     by_value
    .group_segment_fixed_size: 0
    .kernarg_segment_align: 8
    .kernarg_segment_size: 136
    .language:       OpenCL C
    .language_version:
      - 2
      - 0
    .max_flat_workgroup_size: 384
    .name:           _ZN7rocprim17ROCPRIM_400000_NS6detail17trampoline_kernelINS0_14default_configENS1_25partition_config_selectorILNS1_17partition_subalgoE0EtNS0_10empty_typeEbEEZZNS1_14partition_implILS5_0ELb0ES3_jN6thrust23THRUST_200600_302600_NS6detail15normal_iteratorINSA_10device_ptrItEEEEPS6_SG_NS0_5tupleIJNSA_16discard_iteratorINSA_11use_defaultEEESK_EEENSH_IJSG_SG_EEES6_PlJ7is_evenItEEEE10hipError_tPvRmT3_T4_T5_T6_T7_T9_mT8_P12ihipStream_tbDpT10_ENKUlT_T0_E_clISt17integral_constantIbLb0EES19_EEDaS14_S15_EUlS14_E_NS1_11comp_targetILNS1_3genE10ELNS1_11target_archE1200ELNS1_3gpuE4ELNS1_3repE0EEENS1_30default_config_static_selectorELNS0_4arch9wavefront6targetE1EEEvT1_
    .private_segment_fixed_size: 0
    .sgpr_count:     4
    .sgpr_spill_count: 0
    .symbol:         _ZN7rocprim17ROCPRIM_400000_NS6detail17trampoline_kernelINS0_14default_configENS1_25partition_config_selectorILNS1_17partition_subalgoE0EtNS0_10empty_typeEbEEZZNS1_14partition_implILS5_0ELb0ES3_jN6thrust23THRUST_200600_302600_NS6detail15normal_iteratorINSA_10device_ptrItEEEEPS6_SG_NS0_5tupleIJNSA_16discard_iteratorINSA_11use_defaultEEESK_EEENSH_IJSG_SG_EEES6_PlJ7is_evenItEEEE10hipError_tPvRmT3_T4_T5_T6_T7_T9_mT8_P12ihipStream_tbDpT10_ENKUlT_T0_E_clISt17integral_constantIbLb0EES19_EEDaS14_S15_EUlS14_E_NS1_11comp_targetILNS1_3genE10ELNS1_11target_archE1200ELNS1_3gpuE4ELNS1_3repE0EEENS1_30default_config_static_selectorELNS0_4arch9wavefront6targetE1EEEvT1_.kd
    .uniform_work_group_size: 1
    .uses_dynamic_stack: false
    .vgpr_count:     0
    .vgpr_spill_count: 0
    .wavefront_size: 64
  - .agpr_count:     0
    .args:
      - .offset:         0
        .size:           136
        .value_kind:     by_value
    .group_segment_fixed_size: 0
    .kernarg_segment_align: 8
    .kernarg_segment_size: 136
    .language:       OpenCL C
    .language_version:
      - 2
      - 0
    .max_flat_workgroup_size: 128
    .name:           _ZN7rocprim17ROCPRIM_400000_NS6detail17trampoline_kernelINS0_14default_configENS1_25partition_config_selectorILNS1_17partition_subalgoE0EtNS0_10empty_typeEbEEZZNS1_14partition_implILS5_0ELb0ES3_jN6thrust23THRUST_200600_302600_NS6detail15normal_iteratorINSA_10device_ptrItEEEEPS6_SG_NS0_5tupleIJNSA_16discard_iteratorINSA_11use_defaultEEESK_EEENSH_IJSG_SG_EEES6_PlJ7is_evenItEEEE10hipError_tPvRmT3_T4_T5_T6_T7_T9_mT8_P12ihipStream_tbDpT10_ENKUlT_T0_E_clISt17integral_constantIbLb0EES19_EEDaS14_S15_EUlS14_E_NS1_11comp_targetILNS1_3genE9ELNS1_11target_archE1100ELNS1_3gpuE3ELNS1_3repE0EEENS1_30default_config_static_selectorELNS0_4arch9wavefront6targetE1EEEvT1_
    .private_segment_fixed_size: 0
    .sgpr_count:     4
    .sgpr_spill_count: 0
    .symbol:         _ZN7rocprim17ROCPRIM_400000_NS6detail17trampoline_kernelINS0_14default_configENS1_25partition_config_selectorILNS1_17partition_subalgoE0EtNS0_10empty_typeEbEEZZNS1_14partition_implILS5_0ELb0ES3_jN6thrust23THRUST_200600_302600_NS6detail15normal_iteratorINSA_10device_ptrItEEEEPS6_SG_NS0_5tupleIJNSA_16discard_iteratorINSA_11use_defaultEEESK_EEENSH_IJSG_SG_EEES6_PlJ7is_evenItEEEE10hipError_tPvRmT3_T4_T5_T6_T7_T9_mT8_P12ihipStream_tbDpT10_ENKUlT_T0_E_clISt17integral_constantIbLb0EES19_EEDaS14_S15_EUlS14_E_NS1_11comp_targetILNS1_3genE9ELNS1_11target_archE1100ELNS1_3gpuE3ELNS1_3repE0EEENS1_30default_config_static_selectorELNS0_4arch9wavefront6targetE1EEEvT1_.kd
    .uniform_work_group_size: 1
    .uses_dynamic_stack: false
    .vgpr_count:     0
    .vgpr_spill_count: 0
    .wavefront_size: 64
  - .agpr_count:     0
    .args:
      - .offset:         0
        .size:           136
        .value_kind:     by_value
    .group_segment_fixed_size: 0
    .kernarg_segment_align: 8
    .kernarg_segment_size: 136
    .language:       OpenCL C
    .language_version:
      - 2
      - 0
    .max_flat_workgroup_size: 128
    .name:           _ZN7rocprim17ROCPRIM_400000_NS6detail17trampoline_kernelINS0_14default_configENS1_25partition_config_selectorILNS1_17partition_subalgoE0EtNS0_10empty_typeEbEEZZNS1_14partition_implILS5_0ELb0ES3_jN6thrust23THRUST_200600_302600_NS6detail15normal_iteratorINSA_10device_ptrItEEEEPS6_SG_NS0_5tupleIJNSA_16discard_iteratorINSA_11use_defaultEEESK_EEENSH_IJSG_SG_EEES6_PlJ7is_evenItEEEE10hipError_tPvRmT3_T4_T5_T6_T7_T9_mT8_P12ihipStream_tbDpT10_ENKUlT_T0_E_clISt17integral_constantIbLb0EES19_EEDaS14_S15_EUlS14_E_NS1_11comp_targetILNS1_3genE8ELNS1_11target_archE1030ELNS1_3gpuE2ELNS1_3repE0EEENS1_30default_config_static_selectorELNS0_4arch9wavefront6targetE1EEEvT1_
    .private_segment_fixed_size: 0
    .sgpr_count:     4
    .sgpr_spill_count: 0
    .symbol:         _ZN7rocprim17ROCPRIM_400000_NS6detail17trampoline_kernelINS0_14default_configENS1_25partition_config_selectorILNS1_17partition_subalgoE0EtNS0_10empty_typeEbEEZZNS1_14partition_implILS5_0ELb0ES3_jN6thrust23THRUST_200600_302600_NS6detail15normal_iteratorINSA_10device_ptrItEEEEPS6_SG_NS0_5tupleIJNSA_16discard_iteratorINSA_11use_defaultEEESK_EEENSH_IJSG_SG_EEES6_PlJ7is_evenItEEEE10hipError_tPvRmT3_T4_T5_T6_T7_T9_mT8_P12ihipStream_tbDpT10_ENKUlT_T0_E_clISt17integral_constantIbLb0EES19_EEDaS14_S15_EUlS14_E_NS1_11comp_targetILNS1_3genE8ELNS1_11target_archE1030ELNS1_3gpuE2ELNS1_3repE0EEENS1_30default_config_static_selectorELNS0_4arch9wavefront6targetE1EEEvT1_.kd
    .uniform_work_group_size: 1
    .uses_dynamic_stack: false
    .vgpr_count:     0
    .vgpr_spill_count: 0
    .wavefront_size: 64
  - .agpr_count:     0
    .args:
      - .offset:         0
        .size:           152
        .value_kind:     by_value
    .group_segment_fixed_size: 0
    .kernarg_segment_align: 8
    .kernarg_segment_size: 152
    .language:       OpenCL C
    .language_version:
      - 2
      - 0
    .max_flat_workgroup_size: 256
    .name:           _ZN7rocprim17ROCPRIM_400000_NS6detail17trampoline_kernelINS0_14default_configENS1_25partition_config_selectorILNS1_17partition_subalgoE0EtNS0_10empty_typeEbEEZZNS1_14partition_implILS5_0ELb0ES3_jN6thrust23THRUST_200600_302600_NS6detail15normal_iteratorINSA_10device_ptrItEEEEPS6_SG_NS0_5tupleIJNSA_16discard_iteratorINSA_11use_defaultEEESK_EEENSH_IJSG_SG_EEES6_PlJ7is_evenItEEEE10hipError_tPvRmT3_T4_T5_T6_T7_T9_mT8_P12ihipStream_tbDpT10_ENKUlT_T0_E_clISt17integral_constantIbLb1EES19_EEDaS14_S15_EUlS14_E_NS1_11comp_targetILNS1_3genE0ELNS1_11target_archE4294967295ELNS1_3gpuE0ELNS1_3repE0EEENS1_30default_config_static_selectorELNS0_4arch9wavefront6targetE1EEEvT1_
    .private_segment_fixed_size: 0
    .sgpr_count:     4
    .sgpr_spill_count: 0
    .symbol:         _ZN7rocprim17ROCPRIM_400000_NS6detail17trampoline_kernelINS0_14default_configENS1_25partition_config_selectorILNS1_17partition_subalgoE0EtNS0_10empty_typeEbEEZZNS1_14partition_implILS5_0ELb0ES3_jN6thrust23THRUST_200600_302600_NS6detail15normal_iteratorINSA_10device_ptrItEEEEPS6_SG_NS0_5tupleIJNSA_16discard_iteratorINSA_11use_defaultEEESK_EEENSH_IJSG_SG_EEES6_PlJ7is_evenItEEEE10hipError_tPvRmT3_T4_T5_T6_T7_T9_mT8_P12ihipStream_tbDpT10_ENKUlT_T0_E_clISt17integral_constantIbLb1EES19_EEDaS14_S15_EUlS14_E_NS1_11comp_targetILNS1_3genE0ELNS1_11target_archE4294967295ELNS1_3gpuE0ELNS1_3repE0EEENS1_30default_config_static_selectorELNS0_4arch9wavefront6targetE1EEEvT1_.kd
    .uniform_work_group_size: 1
    .uses_dynamic_stack: false
    .vgpr_count:     0
    .vgpr_spill_count: 0
    .wavefront_size: 64
  - .agpr_count:     0
    .args:
      - .offset:         0
        .size:           152
        .value_kind:     by_value
    .group_segment_fixed_size: 0
    .kernarg_segment_align: 8
    .kernarg_segment_size: 152
    .language:       OpenCL C
    .language_version:
      - 2
      - 0
    .max_flat_workgroup_size: 512
    .name:           _ZN7rocprim17ROCPRIM_400000_NS6detail17trampoline_kernelINS0_14default_configENS1_25partition_config_selectorILNS1_17partition_subalgoE0EtNS0_10empty_typeEbEEZZNS1_14partition_implILS5_0ELb0ES3_jN6thrust23THRUST_200600_302600_NS6detail15normal_iteratorINSA_10device_ptrItEEEEPS6_SG_NS0_5tupleIJNSA_16discard_iteratorINSA_11use_defaultEEESK_EEENSH_IJSG_SG_EEES6_PlJ7is_evenItEEEE10hipError_tPvRmT3_T4_T5_T6_T7_T9_mT8_P12ihipStream_tbDpT10_ENKUlT_T0_E_clISt17integral_constantIbLb1EES19_EEDaS14_S15_EUlS14_E_NS1_11comp_targetILNS1_3genE5ELNS1_11target_archE942ELNS1_3gpuE9ELNS1_3repE0EEENS1_30default_config_static_selectorELNS0_4arch9wavefront6targetE1EEEvT1_
    .private_segment_fixed_size: 0
    .sgpr_count:     4
    .sgpr_spill_count: 0
    .symbol:         _ZN7rocprim17ROCPRIM_400000_NS6detail17trampoline_kernelINS0_14default_configENS1_25partition_config_selectorILNS1_17partition_subalgoE0EtNS0_10empty_typeEbEEZZNS1_14partition_implILS5_0ELb0ES3_jN6thrust23THRUST_200600_302600_NS6detail15normal_iteratorINSA_10device_ptrItEEEEPS6_SG_NS0_5tupleIJNSA_16discard_iteratorINSA_11use_defaultEEESK_EEENSH_IJSG_SG_EEES6_PlJ7is_evenItEEEE10hipError_tPvRmT3_T4_T5_T6_T7_T9_mT8_P12ihipStream_tbDpT10_ENKUlT_T0_E_clISt17integral_constantIbLb1EES19_EEDaS14_S15_EUlS14_E_NS1_11comp_targetILNS1_3genE5ELNS1_11target_archE942ELNS1_3gpuE9ELNS1_3repE0EEENS1_30default_config_static_selectorELNS0_4arch9wavefront6targetE1EEEvT1_.kd
    .uniform_work_group_size: 1
    .uses_dynamic_stack: false
    .vgpr_count:     0
    .vgpr_spill_count: 0
    .wavefront_size: 64
  - .agpr_count:     0
    .args:
      - .offset:         0
        .size:           152
        .value_kind:     by_value
    .group_segment_fixed_size: 14344
    .kernarg_segment_align: 8
    .kernarg_segment_size: 152
    .language:       OpenCL C
    .language_version:
      - 2
      - 0
    .max_flat_workgroup_size: 256
    .name:           _ZN7rocprim17ROCPRIM_400000_NS6detail17trampoline_kernelINS0_14default_configENS1_25partition_config_selectorILNS1_17partition_subalgoE0EtNS0_10empty_typeEbEEZZNS1_14partition_implILS5_0ELb0ES3_jN6thrust23THRUST_200600_302600_NS6detail15normal_iteratorINSA_10device_ptrItEEEEPS6_SG_NS0_5tupleIJNSA_16discard_iteratorINSA_11use_defaultEEESK_EEENSH_IJSG_SG_EEES6_PlJ7is_evenItEEEE10hipError_tPvRmT3_T4_T5_T6_T7_T9_mT8_P12ihipStream_tbDpT10_ENKUlT_T0_E_clISt17integral_constantIbLb1EES19_EEDaS14_S15_EUlS14_E_NS1_11comp_targetILNS1_3genE4ELNS1_11target_archE910ELNS1_3gpuE8ELNS1_3repE0EEENS1_30default_config_static_selectorELNS0_4arch9wavefront6targetE1EEEvT1_
    .private_segment_fixed_size: 0
    .sgpr_count:     40
    .sgpr_spill_count: 0
    .symbol:         _ZN7rocprim17ROCPRIM_400000_NS6detail17trampoline_kernelINS0_14default_configENS1_25partition_config_selectorILNS1_17partition_subalgoE0EtNS0_10empty_typeEbEEZZNS1_14partition_implILS5_0ELb0ES3_jN6thrust23THRUST_200600_302600_NS6detail15normal_iteratorINSA_10device_ptrItEEEEPS6_SG_NS0_5tupleIJNSA_16discard_iteratorINSA_11use_defaultEEESK_EEENSH_IJSG_SG_EEES6_PlJ7is_evenItEEEE10hipError_tPvRmT3_T4_T5_T6_T7_T9_mT8_P12ihipStream_tbDpT10_ENKUlT_T0_E_clISt17integral_constantIbLb1EES19_EEDaS14_S15_EUlS14_E_NS1_11comp_targetILNS1_3genE4ELNS1_11target_archE910ELNS1_3gpuE8ELNS1_3repE0EEENS1_30default_config_static_selectorELNS0_4arch9wavefront6targetE1EEEvT1_.kd
    .uniform_work_group_size: 1
    .uses_dynamic_stack: false
    .vgpr_count:     115
    .vgpr_spill_count: 0
    .wavefront_size: 64
  - .agpr_count:     0
    .args:
      - .offset:         0
        .size:           152
        .value_kind:     by_value
    .group_segment_fixed_size: 0
    .kernarg_segment_align: 8
    .kernarg_segment_size: 152
    .language:       OpenCL C
    .language_version:
      - 2
      - 0
    .max_flat_workgroup_size: 256
    .name:           _ZN7rocprim17ROCPRIM_400000_NS6detail17trampoline_kernelINS0_14default_configENS1_25partition_config_selectorILNS1_17partition_subalgoE0EtNS0_10empty_typeEbEEZZNS1_14partition_implILS5_0ELb0ES3_jN6thrust23THRUST_200600_302600_NS6detail15normal_iteratorINSA_10device_ptrItEEEEPS6_SG_NS0_5tupleIJNSA_16discard_iteratorINSA_11use_defaultEEESK_EEENSH_IJSG_SG_EEES6_PlJ7is_evenItEEEE10hipError_tPvRmT3_T4_T5_T6_T7_T9_mT8_P12ihipStream_tbDpT10_ENKUlT_T0_E_clISt17integral_constantIbLb1EES19_EEDaS14_S15_EUlS14_E_NS1_11comp_targetILNS1_3genE3ELNS1_11target_archE908ELNS1_3gpuE7ELNS1_3repE0EEENS1_30default_config_static_selectorELNS0_4arch9wavefront6targetE1EEEvT1_
    .private_segment_fixed_size: 0
    .sgpr_count:     4
    .sgpr_spill_count: 0
    .symbol:         _ZN7rocprim17ROCPRIM_400000_NS6detail17trampoline_kernelINS0_14default_configENS1_25partition_config_selectorILNS1_17partition_subalgoE0EtNS0_10empty_typeEbEEZZNS1_14partition_implILS5_0ELb0ES3_jN6thrust23THRUST_200600_302600_NS6detail15normal_iteratorINSA_10device_ptrItEEEEPS6_SG_NS0_5tupleIJNSA_16discard_iteratorINSA_11use_defaultEEESK_EEENSH_IJSG_SG_EEES6_PlJ7is_evenItEEEE10hipError_tPvRmT3_T4_T5_T6_T7_T9_mT8_P12ihipStream_tbDpT10_ENKUlT_T0_E_clISt17integral_constantIbLb1EES19_EEDaS14_S15_EUlS14_E_NS1_11comp_targetILNS1_3genE3ELNS1_11target_archE908ELNS1_3gpuE7ELNS1_3repE0EEENS1_30default_config_static_selectorELNS0_4arch9wavefront6targetE1EEEvT1_.kd
    .uniform_work_group_size: 1
    .uses_dynamic_stack: false
    .vgpr_count:     0
    .vgpr_spill_count: 0
    .wavefront_size: 64
  - .agpr_count:     0
    .args:
      - .offset:         0
        .size:           152
        .value_kind:     by_value
    .group_segment_fixed_size: 0
    .kernarg_segment_align: 8
    .kernarg_segment_size: 152
    .language:       OpenCL C
    .language_version:
      - 2
      - 0
    .max_flat_workgroup_size: 256
    .name:           _ZN7rocprim17ROCPRIM_400000_NS6detail17trampoline_kernelINS0_14default_configENS1_25partition_config_selectorILNS1_17partition_subalgoE0EtNS0_10empty_typeEbEEZZNS1_14partition_implILS5_0ELb0ES3_jN6thrust23THRUST_200600_302600_NS6detail15normal_iteratorINSA_10device_ptrItEEEEPS6_SG_NS0_5tupleIJNSA_16discard_iteratorINSA_11use_defaultEEESK_EEENSH_IJSG_SG_EEES6_PlJ7is_evenItEEEE10hipError_tPvRmT3_T4_T5_T6_T7_T9_mT8_P12ihipStream_tbDpT10_ENKUlT_T0_E_clISt17integral_constantIbLb1EES19_EEDaS14_S15_EUlS14_E_NS1_11comp_targetILNS1_3genE2ELNS1_11target_archE906ELNS1_3gpuE6ELNS1_3repE0EEENS1_30default_config_static_selectorELNS0_4arch9wavefront6targetE1EEEvT1_
    .private_segment_fixed_size: 0
    .sgpr_count:     4
    .sgpr_spill_count: 0
    .symbol:         _ZN7rocprim17ROCPRIM_400000_NS6detail17trampoline_kernelINS0_14default_configENS1_25partition_config_selectorILNS1_17partition_subalgoE0EtNS0_10empty_typeEbEEZZNS1_14partition_implILS5_0ELb0ES3_jN6thrust23THRUST_200600_302600_NS6detail15normal_iteratorINSA_10device_ptrItEEEEPS6_SG_NS0_5tupleIJNSA_16discard_iteratorINSA_11use_defaultEEESK_EEENSH_IJSG_SG_EEES6_PlJ7is_evenItEEEE10hipError_tPvRmT3_T4_T5_T6_T7_T9_mT8_P12ihipStream_tbDpT10_ENKUlT_T0_E_clISt17integral_constantIbLb1EES19_EEDaS14_S15_EUlS14_E_NS1_11comp_targetILNS1_3genE2ELNS1_11target_archE906ELNS1_3gpuE6ELNS1_3repE0EEENS1_30default_config_static_selectorELNS0_4arch9wavefront6targetE1EEEvT1_.kd
    .uniform_work_group_size: 1
    .uses_dynamic_stack: false
    .vgpr_count:     0
    .vgpr_spill_count: 0
    .wavefront_size: 64
  - .agpr_count:     0
    .args:
      - .offset:         0
        .size:           152
        .value_kind:     by_value
    .group_segment_fixed_size: 0
    .kernarg_segment_align: 8
    .kernarg_segment_size: 152
    .language:       OpenCL C
    .language_version:
      - 2
      - 0
    .max_flat_workgroup_size: 384
    .name:           _ZN7rocprim17ROCPRIM_400000_NS6detail17trampoline_kernelINS0_14default_configENS1_25partition_config_selectorILNS1_17partition_subalgoE0EtNS0_10empty_typeEbEEZZNS1_14partition_implILS5_0ELb0ES3_jN6thrust23THRUST_200600_302600_NS6detail15normal_iteratorINSA_10device_ptrItEEEEPS6_SG_NS0_5tupleIJNSA_16discard_iteratorINSA_11use_defaultEEESK_EEENSH_IJSG_SG_EEES6_PlJ7is_evenItEEEE10hipError_tPvRmT3_T4_T5_T6_T7_T9_mT8_P12ihipStream_tbDpT10_ENKUlT_T0_E_clISt17integral_constantIbLb1EES19_EEDaS14_S15_EUlS14_E_NS1_11comp_targetILNS1_3genE10ELNS1_11target_archE1200ELNS1_3gpuE4ELNS1_3repE0EEENS1_30default_config_static_selectorELNS0_4arch9wavefront6targetE1EEEvT1_
    .private_segment_fixed_size: 0
    .sgpr_count:     4
    .sgpr_spill_count: 0
    .symbol:         _ZN7rocprim17ROCPRIM_400000_NS6detail17trampoline_kernelINS0_14default_configENS1_25partition_config_selectorILNS1_17partition_subalgoE0EtNS0_10empty_typeEbEEZZNS1_14partition_implILS5_0ELb0ES3_jN6thrust23THRUST_200600_302600_NS6detail15normal_iteratorINSA_10device_ptrItEEEEPS6_SG_NS0_5tupleIJNSA_16discard_iteratorINSA_11use_defaultEEESK_EEENSH_IJSG_SG_EEES6_PlJ7is_evenItEEEE10hipError_tPvRmT3_T4_T5_T6_T7_T9_mT8_P12ihipStream_tbDpT10_ENKUlT_T0_E_clISt17integral_constantIbLb1EES19_EEDaS14_S15_EUlS14_E_NS1_11comp_targetILNS1_3genE10ELNS1_11target_archE1200ELNS1_3gpuE4ELNS1_3repE0EEENS1_30default_config_static_selectorELNS0_4arch9wavefront6targetE1EEEvT1_.kd
    .uniform_work_group_size: 1
    .uses_dynamic_stack: false
    .vgpr_count:     0
    .vgpr_spill_count: 0
    .wavefront_size: 64
  - .agpr_count:     0
    .args:
      - .offset:         0
        .size:           152
        .value_kind:     by_value
    .group_segment_fixed_size: 0
    .kernarg_segment_align: 8
    .kernarg_segment_size: 152
    .language:       OpenCL C
    .language_version:
      - 2
      - 0
    .max_flat_workgroup_size: 128
    .name:           _ZN7rocprim17ROCPRIM_400000_NS6detail17trampoline_kernelINS0_14default_configENS1_25partition_config_selectorILNS1_17partition_subalgoE0EtNS0_10empty_typeEbEEZZNS1_14partition_implILS5_0ELb0ES3_jN6thrust23THRUST_200600_302600_NS6detail15normal_iteratorINSA_10device_ptrItEEEEPS6_SG_NS0_5tupleIJNSA_16discard_iteratorINSA_11use_defaultEEESK_EEENSH_IJSG_SG_EEES6_PlJ7is_evenItEEEE10hipError_tPvRmT3_T4_T5_T6_T7_T9_mT8_P12ihipStream_tbDpT10_ENKUlT_T0_E_clISt17integral_constantIbLb1EES19_EEDaS14_S15_EUlS14_E_NS1_11comp_targetILNS1_3genE9ELNS1_11target_archE1100ELNS1_3gpuE3ELNS1_3repE0EEENS1_30default_config_static_selectorELNS0_4arch9wavefront6targetE1EEEvT1_
    .private_segment_fixed_size: 0
    .sgpr_count:     4
    .sgpr_spill_count: 0
    .symbol:         _ZN7rocprim17ROCPRIM_400000_NS6detail17trampoline_kernelINS0_14default_configENS1_25partition_config_selectorILNS1_17partition_subalgoE0EtNS0_10empty_typeEbEEZZNS1_14partition_implILS5_0ELb0ES3_jN6thrust23THRUST_200600_302600_NS6detail15normal_iteratorINSA_10device_ptrItEEEEPS6_SG_NS0_5tupleIJNSA_16discard_iteratorINSA_11use_defaultEEESK_EEENSH_IJSG_SG_EEES6_PlJ7is_evenItEEEE10hipError_tPvRmT3_T4_T5_T6_T7_T9_mT8_P12ihipStream_tbDpT10_ENKUlT_T0_E_clISt17integral_constantIbLb1EES19_EEDaS14_S15_EUlS14_E_NS1_11comp_targetILNS1_3genE9ELNS1_11target_archE1100ELNS1_3gpuE3ELNS1_3repE0EEENS1_30default_config_static_selectorELNS0_4arch9wavefront6targetE1EEEvT1_.kd
    .uniform_work_group_size: 1
    .uses_dynamic_stack: false
    .vgpr_count:     0
    .vgpr_spill_count: 0
    .wavefront_size: 64
  - .agpr_count:     0
    .args:
      - .offset:         0
        .size:           152
        .value_kind:     by_value
    .group_segment_fixed_size: 0
    .kernarg_segment_align: 8
    .kernarg_segment_size: 152
    .language:       OpenCL C
    .language_version:
      - 2
      - 0
    .max_flat_workgroup_size: 128
    .name:           _ZN7rocprim17ROCPRIM_400000_NS6detail17trampoline_kernelINS0_14default_configENS1_25partition_config_selectorILNS1_17partition_subalgoE0EtNS0_10empty_typeEbEEZZNS1_14partition_implILS5_0ELb0ES3_jN6thrust23THRUST_200600_302600_NS6detail15normal_iteratorINSA_10device_ptrItEEEEPS6_SG_NS0_5tupleIJNSA_16discard_iteratorINSA_11use_defaultEEESK_EEENSH_IJSG_SG_EEES6_PlJ7is_evenItEEEE10hipError_tPvRmT3_T4_T5_T6_T7_T9_mT8_P12ihipStream_tbDpT10_ENKUlT_T0_E_clISt17integral_constantIbLb1EES19_EEDaS14_S15_EUlS14_E_NS1_11comp_targetILNS1_3genE8ELNS1_11target_archE1030ELNS1_3gpuE2ELNS1_3repE0EEENS1_30default_config_static_selectorELNS0_4arch9wavefront6targetE1EEEvT1_
    .private_segment_fixed_size: 0
    .sgpr_count:     4
    .sgpr_spill_count: 0
    .symbol:         _ZN7rocprim17ROCPRIM_400000_NS6detail17trampoline_kernelINS0_14default_configENS1_25partition_config_selectorILNS1_17partition_subalgoE0EtNS0_10empty_typeEbEEZZNS1_14partition_implILS5_0ELb0ES3_jN6thrust23THRUST_200600_302600_NS6detail15normal_iteratorINSA_10device_ptrItEEEEPS6_SG_NS0_5tupleIJNSA_16discard_iteratorINSA_11use_defaultEEESK_EEENSH_IJSG_SG_EEES6_PlJ7is_evenItEEEE10hipError_tPvRmT3_T4_T5_T6_T7_T9_mT8_P12ihipStream_tbDpT10_ENKUlT_T0_E_clISt17integral_constantIbLb1EES19_EEDaS14_S15_EUlS14_E_NS1_11comp_targetILNS1_3genE8ELNS1_11target_archE1030ELNS1_3gpuE2ELNS1_3repE0EEENS1_30default_config_static_selectorELNS0_4arch9wavefront6targetE1EEEvT1_.kd
    .uniform_work_group_size: 1
    .uses_dynamic_stack: false
    .vgpr_count:     0
    .vgpr_spill_count: 0
    .wavefront_size: 64
  - .agpr_count:     0
    .args:
      - .offset:         0
        .size:           136
        .value_kind:     by_value
    .group_segment_fixed_size: 0
    .kernarg_segment_align: 8
    .kernarg_segment_size: 136
    .language:       OpenCL C
    .language_version:
      - 2
      - 0
    .max_flat_workgroup_size: 256
    .name:           _ZN7rocprim17ROCPRIM_400000_NS6detail17trampoline_kernelINS0_14default_configENS1_25partition_config_selectorILNS1_17partition_subalgoE0EtNS0_10empty_typeEbEEZZNS1_14partition_implILS5_0ELb0ES3_jN6thrust23THRUST_200600_302600_NS6detail15normal_iteratorINSA_10device_ptrItEEEEPS6_SG_NS0_5tupleIJNSA_16discard_iteratorINSA_11use_defaultEEESK_EEENSH_IJSG_SG_EEES6_PlJ7is_evenItEEEE10hipError_tPvRmT3_T4_T5_T6_T7_T9_mT8_P12ihipStream_tbDpT10_ENKUlT_T0_E_clISt17integral_constantIbLb1EES18_IbLb0EEEEDaS14_S15_EUlS14_E_NS1_11comp_targetILNS1_3genE0ELNS1_11target_archE4294967295ELNS1_3gpuE0ELNS1_3repE0EEENS1_30default_config_static_selectorELNS0_4arch9wavefront6targetE1EEEvT1_
    .private_segment_fixed_size: 0
    .sgpr_count:     4
    .sgpr_spill_count: 0
    .symbol:         _ZN7rocprim17ROCPRIM_400000_NS6detail17trampoline_kernelINS0_14default_configENS1_25partition_config_selectorILNS1_17partition_subalgoE0EtNS0_10empty_typeEbEEZZNS1_14partition_implILS5_0ELb0ES3_jN6thrust23THRUST_200600_302600_NS6detail15normal_iteratorINSA_10device_ptrItEEEEPS6_SG_NS0_5tupleIJNSA_16discard_iteratorINSA_11use_defaultEEESK_EEENSH_IJSG_SG_EEES6_PlJ7is_evenItEEEE10hipError_tPvRmT3_T4_T5_T6_T7_T9_mT8_P12ihipStream_tbDpT10_ENKUlT_T0_E_clISt17integral_constantIbLb1EES18_IbLb0EEEEDaS14_S15_EUlS14_E_NS1_11comp_targetILNS1_3genE0ELNS1_11target_archE4294967295ELNS1_3gpuE0ELNS1_3repE0EEENS1_30default_config_static_selectorELNS0_4arch9wavefront6targetE1EEEvT1_.kd
    .uniform_work_group_size: 1
    .uses_dynamic_stack: false
    .vgpr_count:     0
    .vgpr_spill_count: 0
    .wavefront_size: 64
  - .agpr_count:     0
    .args:
      - .offset:         0
        .size:           136
        .value_kind:     by_value
    .group_segment_fixed_size: 0
    .kernarg_segment_align: 8
    .kernarg_segment_size: 136
    .language:       OpenCL C
    .language_version:
      - 2
      - 0
    .max_flat_workgroup_size: 512
    .name:           _ZN7rocprim17ROCPRIM_400000_NS6detail17trampoline_kernelINS0_14default_configENS1_25partition_config_selectorILNS1_17partition_subalgoE0EtNS0_10empty_typeEbEEZZNS1_14partition_implILS5_0ELb0ES3_jN6thrust23THRUST_200600_302600_NS6detail15normal_iteratorINSA_10device_ptrItEEEEPS6_SG_NS0_5tupleIJNSA_16discard_iteratorINSA_11use_defaultEEESK_EEENSH_IJSG_SG_EEES6_PlJ7is_evenItEEEE10hipError_tPvRmT3_T4_T5_T6_T7_T9_mT8_P12ihipStream_tbDpT10_ENKUlT_T0_E_clISt17integral_constantIbLb1EES18_IbLb0EEEEDaS14_S15_EUlS14_E_NS1_11comp_targetILNS1_3genE5ELNS1_11target_archE942ELNS1_3gpuE9ELNS1_3repE0EEENS1_30default_config_static_selectorELNS0_4arch9wavefront6targetE1EEEvT1_
    .private_segment_fixed_size: 0
    .sgpr_count:     4
    .sgpr_spill_count: 0
    .symbol:         _ZN7rocprim17ROCPRIM_400000_NS6detail17trampoline_kernelINS0_14default_configENS1_25partition_config_selectorILNS1_17partition_subalgoE0EtNS0_10empty_typeEbEEZZNS1_14partition_implILS5_0ELb0ES3_jN6thrust23THRUST_200600_302600_NS6detail15normal_iteratorINSA_10device_ptrItEEEEPS6_SG_NS0_5tupleIJNSA_16discard_iteratorINSA_11use_defaultEEESK_EEENSH_IJSG_SG_EEES6_PlJ7is_evenItEEEE10hipError_tPvRmT3_T4_T5_T6_T7_T9_mT8_P12ihipStream_tbDpT10_ENKUlT_T0_E_clISt17integral_constantIbLb1EES18_IbLb0EEEEDaS14_S15_EUlS14_E_NS1_11comp_targetILNS1_3genE5ELNS1_11target_archE942ELNS1_3gpuE9ELNS1_3repE0EEENS1_30default_config_static_selectorELNS0_4arch9wavefront6targetE1EEEvT1_.kd
    .uniform_work_group_size: 1
    .uses_dynamic_stack: false
    .vgpr_count:     0
    .vgpr_spill_count: 0
    .wavefront_size: 64
  - .agpr_count:     0
    .args:
      - .offset:         0
        .size:           136
        .value_kind:     by_value
    .group_segment_fixed_size: 14344
    .kernarg_segment_align: 8
    .kernarg_segment_size: 136
    .language:       OpenCL C
    .language_version:
      - 2
      - 0
    .max_flat_workgroup_size: 256
    .name:           _ZN7rocprim17ROCPRIM_400000_NS6detail17trampoline_kernelINS0_14default_configENS1_25partition_config_selectorILNS1_17partition_subalgoE0EtNS0_10empty_typeEbEEZZNS1_14partition_implILS5_0ELb0ES3_jN6thrust23THRUST_200600_302600_NS6detail15normal_iteratorINSA_10device_ptrItEEEEPS6_SG_NS0_5tupleIJNSA_16discard_iteratorINSA_11use_defaultEEESK_EEENSH_IJSG_SG_EEES6_PlJ7is_evenItEEEE10hipError_tPvRmT3_T4_T5_T6_T7_T9_mT8_P12ihipStream_tbDpT10_ENKUlT_T0_E_clISt17integral_constantIbLb1EES18_IbLb0EEEEDaS14_S15_EUlS14_E_NS1_11comp_targetILNS1_3genE4ELNS1_11target_archE910ELNS1_3gpuE8ELNS1_3repE0EEENS1_30default_config_static_selectorELNS0_4arch9wavefront6targetE1EEEvT1_
    .private_segment_fixed_size: 0
    .sgpr_count:     40
    .sgpr_spill_count: 0
    .symbol:         _ZN7rocprim17ROCPRIM_400000_NS6detail17trampoline_kernelINS0_14default_configENS1_25partition_config_selectorILNS1_17partition_subalgoE0EtNS0_10empty_typeEbEEZZNS1_14partition_implILS5_0ELb0ES3_jN6thrust23THRUST_200600_302600_NS6detail15normal_iteratorINSA_10device_ptrItEEEEPS6_SG_NS0_5tupleIJNSA_16discard_iteratorINSA_11use_defaultEEESK_EEENSH_IJSG_SG_EEES6_PlJ7is_evenItEEEE10hipError_tPvRmT3_T4_T5_T6_T7_T9_mT8_P12ihipStream_tbDpT10_ENKUlT_T0_E_clISt17integral_constantIbLb1EES18_IbLb0EEEEDaS14_S15_EUlS14_E_NS1_11comp_targetILNS1_3genE4ELNS1_11target_archE910ELNS1_3gpuE8ELNS1_3repE0EEENS1_30default_config_static_selectorELNS0_4arch9wavefront6targetE1EEEvT1_.kd
    .uniform_work_group_size: 1
    .uses_dynamic_stack: false
    .vgpr_count:     113
    .vgpr_spill_count: 0
    .wavefront_size: 64
  - .agpr_count:     0
    .args:
      - .offset:         0
        .size:           136
        .value_kind:     by_value
    .group_segment_fixed_size: 0
    .kernarg_segment_align: 8
    .kernarg_segment_size: 136
    .language:       OpenCL C
    .language_version:
      - 2
      - 0
    .max_flat_workgroup_size: 256
    .name:           _ZN7rocprim17ROCPRIM_400000_NS6detail17trampoline_kernelINS0_14default_configENS1_25partition_config_selectorILNS1_17partition_subalgoE0EtNS0_10empty_typeEbEEZZNS1_14partition_implILS5_0ELb0ES3_jN6thrust23THRUST_200600_302600_NS6detail15normal_iteratorINSA_10device_ptrItEEEEPS6_SG_NS0_5tupleIJNSA_16discard_iteratorINSA_11use_defaultEEESK_EEENSH_IJSG_SG_EEES6_PlJ7is_evenItEEEE10hipError_tPvRmT3_T4_T5_T6_T7_T9_mT8_P12ihipStream_tbDpT10_ENKUlT_T0_E_clISt17integral_constantIbLb1EES18_IbLb0EEEEDaS14_S15_EUlS14_E_NS1_11comp_targetILNS1_3genE3ELNS1_11target_archE908ELNS1_3gpuE7ELNS1_3repE0EEENS1_30default_config_static_selectorELNS0_4arch9wavefront6targetE1EEEvT1_
    .private_segment_fixed_size: 0
    .sgpr_count:     4
    .sgpr_spill_count: 0
    .symbol:         _ZN7rocprim17ROCPRIM_400000_NS6detail17trampoline_kernelINS0_14default_configENS1_25partition_config_selectorILNS1_17partition_subalgoE0EtNS0_10empty_typeEbEEZZNS1_14partition_implILS5_0ELb0ES3_jN6thrust23THRUST_200600_302600_NS6detail15normal_iteratorINSA_10device_ptrItEEEEPS6_SG_NS0_5tupleIJNSA_16discard_iteratorINSA_11use_defaultEEESK_EEENSH_IJSG_SG_EEES6_PlJ7is_evenItEEEE10hipError_tPvRmT3_T4_T5_T6_T7_T9_mT8_P12ihipStream_tbDpT10_ENKUlT_T0_E_clISt17integral_constantIbLb1EES18_IbLb0EEEEDaS14_S15_EUlS14_E_NS1_11comp_targetILNS1_3genE3ELNS1_11target_archE908ELNS1_3gpuE7ELNS1_3repE0EEENS1_30default_config_static_selectorELNS0_4arch9wavefront6targetE1EEEvT1_.kd
    .uniform_work_group_size: 1
    .uses_dynamic_stack: false
    .vgpr_count:     0
    .vgpr_spill_count: 0
    .wavefront_size: 64
  - .agpr_count:     0
    .args:
      - .offset:         0
        .size:           136
        .value_kind:     by_value
    .group_segment_fixed_size: 0
    .kernarg_segment_align: 8
    .kernarg_segment_size: 136
    .language:       OpenCL C
    .language_version:
      - 2
      - 0
    .max_flat_workgroup_size: 256
    .name:           _ZN7rocprim17ROCPRIM_400000_NS6detail17trampoline_kernelINS0_14default_configENS1_25partition_config_selectorILNS1_17partition_subalgoE0EtNS0_10empty_typeEbEEZZNS1_14partition_implILS5_0ELb0ES3_jN6thrust23THRUST_200600_302600_NS6detail15normal_iteratorINSA_10device_ptrItEEEEPS6_SG_NS0_5tupleIJNSA_16discard_iteratorINSA_11use_defaultEEESK_EEENSH_IJSG_SG_EEES6_PlJ7is_evenItEEEE10hipError_tPvRmT3_T4_T5_T6_T7_T9_mT8_P12ihipStream_tbDpT10_ENKUlT_T0_E_clISt17integral_constantIbLb1EES18_IbLb0EEEEDaS14_S15_EUlS14_E_NS1_11comp_targetILNS1_3genE2ELNS1_11target_archE906ELNS1_3gpuE6ELNS1_3repE0EEENS1_30default_config_static_selectorELNS0_4arch9wavefront6targetE1EEEvT1_
    .private_segment_fixed_size: 0
    .sgpr_count:     4
    .sgpr_spill_count: 0
    .symbol:         _ZN7rocprim17ROCPRIM_400000_NS6detail17trampoline_kernelINS0_14default_configENS1_25partition_config_selectorILNS1_17partition_subalgoE0EtNS0_10empty_typeEbEEZZNS1_14partition_implILS5_0ELb0ES3_jN6thrust23THRUST_200600_302600_NS6detail15normal_iteratorINSA_10device_ptrItEEEEPS6_SG_NS0_5tupleIJNSA_16discard_iteratorINSA_11use_defaultEEESK_EEENSH_IJSG_SG_EEES6_PlJ7is_evenItEEEE10hipError_tPvRmT3_T4_T5_T6_T7_T9_mT8_P12ihipStream_tbDpT10_ENKUlT_T0_E_clISt17integral_constantIbLb1EES18_IbLb0EEEEDaS14_S15_EUlS14_E_NS1_11comp_targetILNS1_3genE2ELNS1_11target_archE906ELNS1_3gpuE6ELNS1_3repE0EEENS1_30default_config_static_selectorELNS0_4arch9wavefront6targetE1EEEvT1_.kd
    .uniform_work_group_size: 1
    .uses_dynamic_stack: false
    .vgpr_count:     0
    .vgpr_spill_count: 0
    .wavefront_size: 64
  - .agpr_count:     0
    .args:
      - .offset:         0
        .size:           136
        .value_kind:     by_value
    .group_segment_fixed_size: 0
    .kernarg_segment_align: 8
    .kernarg_segment_size: 136
    .language:       OpenCL C
    .language_version:
      - 2
      - 0
    .max_flat_workgroup_size: 384
    .name:           _ZN7rocprim17ROCPRIM_400000_NS6detail17trampoline_kernelINS0_14default_configENS1_25partition_config_selectorILNS1_17partition_subalgoE0EtNS0_10empty_typeEbEEZZNS1_14partition_implILS5_0ELb0ES3_jN6thrust23THRUST_200600_302600_NS6detail15normal_iteratorINSA_10device_ptrItEEEEPS6_SG_NS0_5tupleIJNSA_16discard_iteratorINSA_11use_defaultEEESK_EEENSH_IJSG_SG_EEES6_PlJ7is_evenItEEEE10hipError_tPvRmT3_T4_T5_T6_T7_T9_mT8_P12ihipStream_tbDpT10_ENKUlT_T0_E_clISt17integral_constantIbLb1EES18_IbLb0EEEEDaS14_S15_EUlS14_E_NS1_11comp_targetILNS1_3genE10ELNS1_11target_archE1200ELNS1_3gpuE4ELNS1_3repE0EEENS1_30default_config_static_selectorELNS0_4arch9wavefront6targetE1EEEvT1_
    .private_segment_fixed_size: 0
    .sgpr_count:     4
    .sgpr_spill_count: 0
    .symbol:         _ZN7rocprim17ROCPRIM_400000_NS6detail17trampoline_kernelINS0_14default_configENS1_25partition_config_selectorILNS1_17partition_subalgoE0EtNS0_10empty_typeEbEEZZNS1_14partition_implILS5_0ELb0ES3_jN6thrust23THRUST_200600_302600_NS6detail15normal_iteratorINSA_10device_ptrItEEEEPS6_SG_NS0_5tupleIJNSA_16discard_iteratorINSA_11use_defaultEEESK_EEENSH_IJSG_SG_EEES6_PlJ7is_evenItEEEE10hipError_tPvRmT3_T4_T5_T6_T7_T9_mT8_P12ihipStream_tbDpT10_ENKUlT_T0_E_clISt17integral_constantIbLb1EES18_IbLb0EEEEDaS14_S15_EUlS14_E_NS1_11comp_targetILNS1_3genE10ELNS1_11target_archE1200ELNS1_3gpuE4ELNS1_3repE0EEENS1_30default_config_static_selectorELNS0_4arch9wavefront6targetE1EEEvT1_.kd
    .uniform_work_group_size: 1
    .uses_dynamic_stack: false
    .vgpr_count:     0
    .vgpr_spill_count: 0
    .wavefront_size: 64
  - .agpr_count:     0
    .args:
      - .offset:         0
        .size:           136
        .value_kind:     by_value
    .group_segment_fixed_size: 0
    .kernarg_segment_align: 8
    .kernarg_segment_size: 136
    .language:       OpenCL C
    .language_version:
      - 2
      - 0
    .max_flat_workgroup_size: 128
    .name:           _ZN7rocprim17ROCPRIM_400000_NS6detail17trampoline_kernelINS0_14default_configENS1_25partition_config_selectorILNS1_17partition_subalgoE0EtNS0_10empty_typeEbEEZZNS1_14partition_implILS5_0ELb0ES3_jN6thrust23THRUST_200600_302600_NS6detail15normal_iteratorINSA_10device_ptrItEEEEPS6_SG_NS0_5tupleIJNSA_16discard_iteratorINSA_11use_defaultEEESK_EEENSH_IJSG_SG_EEES6_PlJ7is_evenItEEEE10hipError_tPvRmT3_T4_T5_T6_T7_T9_mT8_P12ihipStream_tbDpT10_ENKUlT_T0_E_clISt17integral_constantIbLb1EES18_IbLb0EEEEDaS14_S15_EUlS14_E_NS1_11comp_targetILNS1_3genE9ELNS1_11target_archE1100ELNS1_3gpuE3ELNS1_3repE0EEENS1_30default_config_static_selectorELNS0_4arch9wavefront6targetE1EEEvT1_
    .private_segment_fixed_size: 0
    .sgpr_count:     4
    .sgpr_spill_count: 0
    .symbol:         _ZN7rocprim17ROCPRIM_400000_NS6detail17trampoline_kernelINS0_14default_configENS1_25partition_config_selectorILNS1_17partition_subalgoE0EtNS0_10empty_typeEbEEZZNS1_14partition_implILS5_0ELb0ES3_jN6thrust23THRUST_200600_302600_NS6detail15normal_iteratorINSA_10device_ptrItEEEEPS6_SG_NS0_5tupleIJNSA_16discard_iteratorINSA_11use_defaultEEESK_EEENSH_IJSG_SG_EEES6_PlJ7is_evenItEEEE10hipError_tPvRmT3_T4_T5_T6_T7_T9_mT8_P12ihipStream_tbDpT10_ENKUlT_T0_E_clISt17integral_constantIbLb1EES18_IbLb0EEEEDaS14_S15_EUlS14_E_NS1_11comp_targetILNS1_3genE9ELNS1_11target_archE1100ELNS1_3gpuE3ELNS1_3repE0EEENS1_30default_config_static_selectorELNS0_4arch9wavefront6targetE1EEEvT1_.kd
    .uniform_work_group_size: 1
    .uses_dynamic_stack: false
    .vgpr_count:     0
    .vgpr_spill_count: 0
    .wavefront_size: 64
  - .agpr_count:     0
    .args:
      - .offset:         0
        .size:           136
        .value_kind:     by_value
    .group_segment_fixed_size: 0
    .kernarg_segment_align: 8
    .kernarg_segment_size: 136
    .language:       OpenCL C
    .language_version:
      - 2
      - 0
    .max_flat_workgroup_size: 128
    .name:           _ZN7rocprim17ROCPRIM_400000_NS6detail17trampoline_kernelINS0_14default_configENS1_25partition_config_selectorILNS1_17partition_subalgoE0EtNS0_10empty_typeEbEEZZNS1_14partition_implILS5_0ELb0ES3_jN6thrust23THRUST_200600_302600_NS6detail15normal_iteratorINSA_10device_ptrItEEEEPS6_SG_NS0_5tupleIJNSA_16discard_iteratorINSA_11use_defaultEEESK_EEENSH_IJSG_SG_EEES6_PlJ7is_evenItEEEE10hipError_tPvRmT3_T4_T5_T6_T7_T9_mT8_P12ihipStream_tbDpT10_ENKUlT_T0_E_clISt17integral_constantIbLb1EES18_IbLb0EEEEDaS14_S15_EUlS14_E_NS1_11comp_targetILNS1_3genE8ELNS1_11target_archE1030ELNS1_3gpuE2ELNS1_3repE0EEENS1_30default_config_static_selectorELNS0_4arch9wavefront6targetE1EEEvT1_
    .private_segment_fixed_size: 0
    .sgpr_count:     4
    .sgpr_spill_count: 0
    .symbol:         _ZN7rocprim17ROCPRIM_400000_NS6detail17trampoline_kernelINS0_14default_configENS1_25partition_config_selectorILNS1_17partition_subalgoE0EtNS0_10empty_typeEbEEZZNS1_14partition_implILS5_0ELb0ES3_jN6thrust23THRUST_200600_302600_NS6detail15normal_iteratorINSA_10device_ptrItEEEEPS6_SG_NS0_5tupleIJNSA_16discard_iteratorINSA_11use_defaultEEESK_EEENSH_IJSG_SG_EEES6_PlJ7is_evenItEEEE10hipError_tPvRmT3_T4_T5_T6_T7_T9_mT8_P12ihipStream_tbDpT10_ENKUlT_T0_E_clISt17integral_constantIbLb1EES18_IbLb0EEEEDaS14_S15_EUlS14_E_NS1_11comp_targetILNS1_3genE8ELNS1_11target_archE1030ELNS1_3gpuE2ELNS1_3repE0EEENS1_30default_config_static_selectorELNS0_4arch9wavefront6targetE1EEEvT1_.kd
    .uniform_work_group_size: 1
    .uses_dynamic_stack: false
    .vgpr_count:     0
    .vgpr_spill_count: 0
    .wavefront_size: 64
  - .agpr_count:     0
    .args:
      - .offset:         0
        .size:           152
        .value_kind:     by_value
    .group_segment_fixed_size: 0
    .kernarg_segment_align: 8
    .kernarg_segment_size: 152
    .language:       OpenCL C
    .language_version:
      - 2
      - 0
    .max_flat_workgroup_size: 256
    .name:           _ZN7rocprim17ROCPRIM_400000_NS6detail17trampoline_kernelINS0_14default_configENS1_25partition_config_selectorILNS1_17partition_subalgoE0EtNS0_10empty_typeEbEEZZNS1_14partition_implILS5_0ELb0ES3_jN6thrust23THRUST_200600_302600_NS6detail15normal_iteratorINSA_10device_ptrItEEEEPS6_SG_NS0_5tupleIJNSA_16discard_iteratorINSA_11use_defaultEEESK_EEENSH_IJSG_SG_EEES6_PlJ7is_evenItEEEE10hipError_tPvRmT3_T4_T5_T6_T7_T9_mT8_P12ihipStream_tbDpT10_ENKUlT_T0_E_clISt17integral_constantIbLb0EES18_IbLb1EEEEDaS14_S15_EUlS14_E_NS1_11comp_targetILNS1_3genE0ELNS1_11target_archE4294967295ELNS1_3gpuE0ELNS1_3repE0EEENS1_30default_config_static_selectorELNS0_4arch9wavefront6targetE1EEEvT1_
    .private_segment_fixed_size: 0
    .sgpr_count:     4
    .sgpr_spill_count: 0
    .symbol:         _ZN7rocprim17ROCPRIM_400000_NS6detail17trampoline_kernelINS0_14default_configENS1_25partition_config_selectorILNS1_17partition_subalgoE0EtNS0_10empty_typeEbEEZZNS1_14partition_implILS5_0ELb0ES3_jN6thrust23THRUST_200600_302600_NS6detail15normal_iteratorINSA_10device_ptrItEEEEPS6_SG_NS0_5tupleIJNSA_16discard_iteratorINSA_11use_defaultEEESK_EEENSH_IJSG_SG_EEES6_PlJ7is_evenItEEEE10hipError_tPvRmT3_T4_T5_T6_T7_T9_mT8_P12ihipStream_tbDpT10_ENKUlT_T0_E_clISt17integral_constantIbLb0EES18_IbLb1EEEEDaS14_S15_EUlS14_E_NS1_11comp_targetILNS1_3genE0ELNS1_11target_archE4294967295ELNS1_3gpuE0ELNS1_3repE0EEENS1_30default_config_static_selectorELNS0_4arch9wavefront6targetE1EEEvT1_.kd
    .uniform_work_group_size: 1
    .uses_dynamic_stack: false
    .vgpr_count:     0
    .vgpr_spill_count: 0
    .wavefront_size: 64
  - .agpr_count:     0
    .args:
      - .offset:         0
        .size:           152
        .value_kind:     by_value
    .group_segment_fixed_size: 0
    .kernarg_segment_align: 8
    .kernarg_segment_size: 152
    .language:       OpenCL C
    .language_version:
      - 2
      - 0
    .max_flat_workgroup_size: 512
    .name:           _ZN7rocprim17ROCPRIM_400000_NS6detail17trampoline_kernelINS0_14default_configENS1_25partition_config_selectorILNS1_17partition_subalgoE0EtNS0_10empty_typeEbEEZZNS1_14partition_implILS5_0ELb0ES3_jN6thrust23THRUST_200600_302600_NS6detail15normal_iteratorINSA_10device_ptrItEEEEPS6_SG_NS0_5tupleIJNSA_16discard_iteratorINSA_11use_defaultEEESK_EEENSH_IJSG_SG_EEES6_PlJ7is_evenItEEEE10hipError_tPvRmT3_T4_T5_T6_T7_T9_mT8_P12ihipStream_tbDpT10_ENKUlT_T0_E_clISt17integral_constantIbLb0EES18_IbLb1EEEEDaS14_S15_EUlS14_E_NS1_11comp_targetILNS1_3genE5ELNS1_11target_archE942ELNS1_3gpuE9ELNS1_3repE0EEENS1_30default_config_static_selectorELNS0_4arch9wavefront6targetE1EEEvT1_
    .private_segment_fixed_size: 0
    .sgpr_count:     4
    .sgpr_spill_count: 0
    .symbol:         _ZN7rocprim17ROCPRIM_400000_NS6detail17trampoline_kernelINS0_14default_configENS1_25partition_config_selectorILNS1_17partition_subalgoE0EtNS0_10empty_typeEbEEZZNS1_14partition_implILS5_0ELb0ES3_jN6thrust23THRUST_200600_302600_NS6detail15normal_iteratorINSA_10device_ptrItEEEEPS6_SG_NS0_5tupleIJNSA_16discard_iteratorINSA_11use_defaultEEESK_EEENSH_IJSG_SG_EEES6_PlJ7is_evenItEEEE10hipError_tPvRmT3_T4_T5_T6_T7_T9_mT8_P12ihipStream_tbDpT10_ENKUlT_T0_E_clISt17integral_constantIbLb0EES18_IbLb1EEEEDaS14_S15_EUlS14_E_NS1_11comp_targetILNS1_3genE5ELNS1_11target_archE942ELNS1_3gpuE9ELNS1_3repE0EEENS1_30default_config_static_selectorELNS0_4arch9wavefront6targetE1EEEvT1_.kd
    .uniform_work_group_size: 1
    .uses_dynamic_stack: false
    .vgpr_count:     0
    .vgpr_spill_count: 0
    .wavefront_size: 64
  - .agpr_count:     0
    .args:
      - .offset:         0
        .size:           152
        .value_kind:     by_value
    .group_segment_fixed_size: 14344
    .kernarg_segment_align: 8
    .kernarg_segment_size: 152
    .language:       OpenCL C
    .language_version:
      - 2
      - 0
    .max_flat_workgroup_size: 256
    .name:           _ZN7rocprim17ROCPRIM_400000_NS6detail17trampoline_kernelINS0_14default_configENS1_25partition_config_selectorILNS1_17partition_subalgoE0EtNS0_10empty_typeEbEEZZNS1_14partition_implILS5_0ELb0ES3_jN6thrust23THRUST_200600_302600_NS6detail15normal_iteratorINSA_10device_ptrItEEEEPS6_SG_NS0_5tupleIJNSA_16discard_iteratorINSA_11use_defaultEEESK_EEENSH_IJSG_SG_EEES6_PlJ7is_evenItEEEE10hipError_tPvRmT3_T4_T5_T6_T7_T9_mT8_P12ihipStream_tbDpT10_ENKUlT_T0_E_clISt17integral_constantIbLb0EES18_IbLb1EEEEDaS14_S15_EUlS14_E_NS1_11comp_targetILNS1_3genE4ELNS1_11target_archE910ELNS1_3gpuE8ELNS1_3repE0EEENS1_30default_config_static_selectorELNS0_4arch9wavefront6targetE1EEEvT1_
    .private_segment_fixed_size: 0
    .sgpr_count:     40
    .sgpr_spill_count: 0
    .symbol:         _ZN7rocprim17ROCPRIM_400000_NS6detail17trampoline_kernelINS0_14default_configENS1_25partition_config_selectorILNS1_17partition_subalgoE0EtNS0_10empty_typeEbEEZZNS1_14partition_implILS5_0ELb0ES3_jN6thrust23THRUST_200600_302600_NS6detail15normal_iteratorINSA_10device_ptrItEEEEPS6_SG_NS0_5tupleIJNSA_16discard_iteratorINSA_11use_defaultEEESK_EEENSH_IJSG_SG_EEES6_PlJ7is_evenItEEEE10hipError_tPvRmT3_T4_T5_T6_T7_T9_mT8_P12ihipStream_tbDpT10_ENKUlT_T0_E_clISt17integral_constantIbLb0EES18_IbLb1EEEEDaS14_S15_EUlS14_E_NS1_11comp_targetILNS1_3genE4ELNS1_11target_archE910ELNS1_3gpuE8ELNS1_3repE0EEENS1_30default_config_static_selectorELNS0_4arch9wavefront6targetE1EEEvT1_.kd
    .uniform_work_group_size: 1
    .uses_dynamic_stack: false
    .vgpr_count:     115
    .vgpr_spill_count: 0
    .wavefront_size: 64
  - .agpr_count:     0
    .args:
      - .offset:         0
        .size:           152
        .value_kind:     by_value
    .group_segment_fixed_size: 0
    .kernarg_segment_align: 8
    .kernarg_segment_size: 152
    .language:       OpenCL C
    .language_version:
      - 2
      - 0
    .max_flat_workgroup_size: 256
    .name:           _ZN7rocprim17ROCPRIM_400000_NS6detail17trampoline_kernelINS0_14default_configENS1_25partition_config_selectorILNS1_17partition_subalgoE0EtNS0_10empty_typeEbEEZZNS1_14partition_implILS5_0ELb0ES3_jN6thrust23THRUST_200600_302600_NS6detail15normal_iteratorINSA_10device_ptrItEEEEPS6_SG_NS0_5tupleIJNSA_16discard_iteratorINSA_11use_defaultEEESK_EEENSH_IJSG_SG_EEES6_PlJ7is_evenItEEEE10hipError_tPvRmT3_T4_T5_T6_T7_T9_mT8_P12ihipStream_tbDpT10_ENKUlT_T0_E_clISt17integral_constantIbLb0EES18_IbLb1EEEEDaS14_S15_EUlS14_E_NS1_11comp_targetILNS1_3genE3ELNS1_11target_archE908ELNS1_3gpuE7ELNS1_3repE0EEENS1_30default_config_static_selectorELNS0_4arch9wavefront6targetE1EEEvT1_
    .private_segment_fixed_size: 0
    .sgpr_count:     4
    .sgpr_spill_count: 0
    .symbol:         _ZN7rocprim17ROCPRIM_400000_NS6detail17trampoline_kernelINS0_14default_configENS1_25partition_config_selectorILNS1_17partition_subalgoE0EtNS0_10empty_typeEbEEZZNS1_14partition_implILS5_0ELb0ES3_jN6thrust23THRUST_200600_302600_NS6detail15normal_iteratorINSA_10device_ptrItEEEEPS6_SG_NS0_5tupleIJNSA_16discard_iteratorINSA_11use_defaultEEESK_EEENSH_IJSG_SG_EEES6_PlJ7is_evenItEEEE10hipError_tPvRmT3_T4_T5_T6_T7_T9_mT8_P12ihipStream_tbDpT10_ENKUlT_T0_E_clISt17integral_constantIbLb0EES18_IbLb1EEEEDaS14_S15_EUlS14_E_NS1_11comp_targetILNS1_3genE3ELNS1_11target_archE908ELNS1_3gpuE7ELNS1_3repE0EEENS1_30default_config_static_selectorELNS0_4arch9wavefront6targetE1EEEvT1_.kd
    .uniform_work_group_size: 1
    .uses_dynamic_stack: false
    .vgpr_count:     0
    .vgpr_spill_count: 0
    .wavefront_size: 64
  - .agpr_count:     0
    .args:
      - .offset:         0
        .size:           152
        .value_kind:     by_value
    .group_segment_fixed_size: 0
    .kernarg_segment_align: 8
    .kernarg_segment_size: 152
    .language:       OpenCL C
    .language_version:
      - 2
      - 0
    .max_flat_workgroup_size: 256
    .name:           _ZN7rocprim17ROCPRIM_400000_NS6detail17trampoline_kernelINS0_14default_configENS1_25partition_config_selectorILNS1_17partition_subalgoE0EtNS0_10empty_typeEbEEZZNS1_14partition_implILS5_0ELb0ES3_jN6thrust23THRUST_200600_302600_NS6detail15normal_iteratorINSA_10device_ptrItEEEEPS6_SG_NS0_5tupleIJNSA_16discard_iteratorINSA_11use_defaultEEESK_EEENSH_IJSG_SG_EEES6_PlJ7is_evenItEEEE10hipError_tPvRmT3_T4_T5_T6_T7_T9_mT8_P12ihipStream_tbDpT10_ENKUlT_T0_E_clISt17integral_constantIbLb0EES18_IbLb1EEEEDaS14_S15_EUlS14_E_NS1_11comp_targetILNS1_3genE2ELNS1_11target_archE906ELNS1_3gpuE6ELNS1_3repE0EEENS1_30default_config_static_selectorELNS0_4arch9wavefront6targetE1EEEvT1_
    .private_segment_fixed_size: 0
    .sgpr_count:     4
    .sgpr_spill_count: 0
    .symbol:         _ZN7rocprim17ROCPRIM_400000_NS6detail17trampoline_kernelINS0_14default_configENS1_25partition_config_selectorILNS1_17partition_subalgoE0EtNS0_10empty_typeEbEEZZNS1_14partition_implILS5_0ELb0ES3_jN6thrust23THRUST_200600_302600_NS6detail15normal_iteratorINSA_10device_ptrItEEEEPS6_SG_NS0_5tupleIJNSA_16discard_iteratorINSA_11use_defaultEEESK_EEENSH_IJSG_SG_EEES6_PlJ7is_evenItEEEE10hipError_tPvRmT3_T4_T5_T6_T7_T9_mT8_P12ihipStream_tbDpT10_ENKUlT_T0_E_clISt17integral_constantIbLb0EES18_IbLb1EEEEDaS14_S15_EUlS14_E_NS1_11comp_targetILNS1_3genE2ELNS1_11target_archE906ELNS1_3gpuE6ELNS1_3repE0EEENS1_30default_config_static_selectorELNS0_4arch9wavefront6targetE1EEEvT1_.kd
    .uniform_work_group_size: 1
    .uses_dynamic_stack: false
    .vgpr_count:     0
    .vgpr_spill_count: 0
    .wavefront_size: 64
  - .agpr_count:     0
    .args:
      - .offset:         0
        .size:           152
        .value_kind:     by_value
    .group_segment_fixed_size: 0
    .kernarg_segment_align: 8
    .kernarg_segment_size: 152
    .language:       OpenCL C
    .language_version:
      - 2
      - 0
    .max_flat_workgroup_size: 384
    .name:           _ZN7rocprim17ROCPRIM_400000_NS6detail17trampoline_kernelINS0_14default_configENS1_25partition_config_selectorILNS1_17partition_subalgoE0EtNS0_10empty_typeEbEEZZNS1_14partition_implILS5_0ELb0ES3_jN6thrust23THRUST_200600_302600_NS6detail15normal_iteratorINSA_10device_ptrItEEEEPS6_SG_NS0_5tupleIJNSA_16discard_iteratorINSA_11use_defaultEEESK_EEENSH_IJSG_SG_EEES6_PlJ7is_evenItEEEE10hipError_tPvRmT3_T4_T5_T6_T7_T9_mT8_P12ihipStream_tbDpT10_ENKUlT_T0_E_clISt17integral_constantIbLb0EES18_IbLb1EEEEDaS14_S15_EUlS14_E_NS1_11comp_targetILNS1_3genE10ELNS1_11target_archE1200ELNS1_3gpuE4ELNS1_3repE0EEENS1_30default_config_static_selectorELNS0_4arch9wavefront6targetE1EEEvT1_
    .private_segment_fixed_size: 0
    .sgpr_count:     4
    .sgpr_spill_count: 0
    .symbol:         _ZN7rocprim17ROCPRIM_400000_NS6detail17trampoline_kernelINS0_14default_configENS1_25partition_config_selectorILNS1_17partition_subalgoE0EtNS0_10empty_typeEbEEZZNS1_14partition_implILS5_0ELb0ES3_jN6thrust23THRUST_200600_302600_NS6detail15normal_iteratorINSA_10device_ptrItEEEEPS6_SG_NS0_5tupleIJNSA_16discard_iteratorINSA_11use_defaultEEESK_EEENSH_IJSG_SG_EEES6_PlJ7is_evenItEEEE10hipError_tPvRmT3_T4_T5_T6_T7_T9_mT8_P12ihipStream_tbDpT10_ENKUlT_T0_E_clISt17integral_constantIbLb0EES18_IbLb1EEEEDaS14_S15_EUlS14_E_NS1_11comp_targetILNS1_3genE10ELNS1_11target_archE1200ELNS1_3gpuE4ELNS1_3repE0EEENS1_30default_config_static_selectorELNS0_4arch9wavefront6targetE1EEEvT1_.kd
    .uniform_work_group_size: 1
    .uses_dynamic_stack: false
    .vgpr_count:     0
    .vgpr_spill_count: 0
    .wavefront_size: 64
  - .agpr_count:     0
    .args:
      - .offset:         0
        .size:           152
        .value_kind:     by_value
    .group_segment_fixed_size: 0
    .kernarg_segment_align: 8
    .kernarg_segment_size: 152
    .language:       OpenCL C
    .language_version:
      - 2
      - 0
    .max_flat_workgroup_size: 128
    .name:           _ZN7rocprim17ROCPRIM_400000_NS6detail17trampoline_kernelINS0_14default_configENS1_25partition_config_selectorILNS1_17partition_subalgoE0EtNS0_10empty_typeEbEEZZNS1_14partition_implILS5_0ELb0ES3_jN6thrust23THRUST_200600_302600_NS6detail15normal_iteratorINSA_10device_ptrItEEEEPS6_SG_NS0_5tupleIJNSA_16discard_iteratorINSA_11use_defaultEEESK_EEENSH_IJSG_SG_EEES6_PlJ7is_evenItEEEE10hipError_tPvRmT3_T4_T5_T6_T7_T9_mT8_P12ihipStream_tbDpT10_ENKUlT_T0_E_clISt17integral_constantIbLb0EES18_IbLb1EEEEDaS14_S15_EUlS14_E_NS1_11comp_targetILNS1_3genE9ELNS1_11target_archE1100ELNS1_3gpuE3ELNS1_3repE0EEENS1_30default_config_static_selectorELNS0_4arch9wavefront6targetE1EEEvT1_
    .private_segment_fixed_size: 0
    .sgpr_count:     4
    .sgpr_spill_count: 0
    .symbol:         _ZN7rocprim17ROCPRIM_400000_NS6detail17trampoline_kernelINS0_14default_configENS1_25partition_config_selectorILNS1_17partition_subalgoE0EtNS0_10empty_typeEbEEZZNS1_14partition_implILS5_0ELb0ES3_jN6thrust23THRUST_200600_302600_NS6detail15normal_iteratorINSA_10device_ptrItEEEEPS6_SG_NS0_5tupleIJNSA_16discard_iteratorINSA_11use_defaultEEESK_EEENSH_IJSG_SG_EEES6_PlJ7is_evenItEEEE10hipError_tPvRmT3_T4_T5_T6_T7_T9_mT8_P12ihipStream_tbDpT10_ENKUlT_T0_E_clISt17integral_constantIbLb0EES18_IbLb1EEEEDaS14_S15_EUlS14_E_NS1_11comp_targetILNS1_3genE9ELNS1_11target_archE1100ELNS1_3gpuE3ELNS1_3repE0EEENS1_30default_config_static_selectorELNS0_4arch9wavefront6targetE1EEEvT1_.kd
    .uniform_work_group_size: 1
    .uses_dynamic_stack: false
    .vgpr_count:     0
    .vgpr_spill_count: 0
    .wavefront_size: 64
  - .agpr_count:     0
    .args:
      - .offset:         0
        .size:           152
        .value_kind:     by_value
    .group_segment_fixed_size: 0
    .kernarg_segment_align: 8
    .kernarg_segment_size: 152
    .language:       OpenCL C
    .language_version:
      - 2
      - 0
    .max_flat_workgroup_size: 128
    .name:           _ZN7rocprim17ROCPRIM_400000_NS6detail17trampoline_kernelINS0_14default_configENS1_25partition_config_selectorILNS1_17partition_subalgoE0EtNS0_10empty_typeEbEEZZNS1_14partition_implILS5_0ELb0ES3_jN6thrust23THRUST_200600_302600_NS6detail15normal_iteratorINSA_10device_ptrItEEEEPS6_SG_NS0_5tupleIJNSA_16discard_iteratorINSA_11use_defaultEEESK_EEENSH_IJSG_SG_EEES6_PlJ7is_evenItEEEE10hipError_tPvRmT3_T4_T5_T6_T7_T9_mT8_P12ihipStream_tbDpT10_ENKUlT_T0_E_clISt17integral_constantIbLb0EES18_IbLb1EEEEDaS14_S15_EUlS14_E_NS1_11comp_targetILNS1_3genE8ELNS1_11target_archE1030ELNS1_3gpuE2ELNS1_3repE0EEENS1_30default_config_static_selectorELNS0_4arch9wavefront6targetE1EEEvT1_
    .private_segment_fixed_size: 0
    .sgpr_count:     4
    .sgpr_spill_count: 0
    .symbol:         _ZN7rocprim17ROCPRIM_400000_NS6detail17trampoline_kernelINS0_14default_configENS1_25partition_config_selectorILNS1_17partition_subalgoE0EtNS0_10empty_typeEbEEZZNS1_14partition_implILS5_0ELb0ES3_jN6thrust23THRUST_200600_302600_NS6detail15normal_iteratorINSA_10device_ptrItEEEEPS6_SG_NS0_5tupleIJNSA_16discard_iteratorINSA_11use_defaultEEESK_EEENSH_IJSG_SG_EEES6_PlJ7is_evenItEEEE10hipError_tPvRmT3_T4_T5_T6_T7_T9_mT8_P12ihipStream_tbDpT10_ENKUlT_T0_E_clISt17integral_constantIbLb0EES18_IbLb1EEEEDaS14_S15_EUlS14_E_NS1_11comp_targetILNS1_3genE8ELNS1_11target_archE1030ELNS1_3gpuE2ELNS1_3repE0EEENS1_30default_config_static_selectorELNS0_4arch9wavefront6targetE1EEEvT1_.kd
    .uniform_work_group_size: 1
    .uses_dynamic_stack: false
    .vgpr_count:     0
    .vgpr_spill_count: 0
    .wavefront_size: 64
  - .agpr_count:     0
    .args:
      - .offset:         0
        .size:           128
        .value_kind:     by_value
    .group_segment_fixed_size: 0
    .kernarg_segment_align: 8
    .kernarg_segment_size: 128
    .language:       OpenCL C
    .language_version:
      - 2
      - 0
    .max_flat_workgroup_size: 256
    .name:           _ZN7rocprim17ROCPRIM_400000_NS6detail17trampoline_kernelINS0_14default_configENS1_25partition_config_selectorILNS1_17partition_subalgoE0EtNS0_10empty_typeEbEEZZNS1_14partition_implILS5_0ELb0ES3_jN6thrust23THRUST_200600_302600_NS6detail15normal_iteratorINSA_10device_ptrItEEEEPS6_SG_NS0_5tupleIJSF_NSA_16discard_iteratorINSA_11use_defaultEEEEEENSH_IJSG_SG_EEES6_PlJ7is_evenItEEEE10hipError_tPvRmT3_T4_T5_T6_T7_T9_mT8_P12ihipStream_tbDpT10_ENKUlT_T0_E_clISt17integral_constantIbLb0EES19_EEDaS14_S15_EUlS14_E_NS1_11comp_targetILNS1_3genE0ELNS1_11target_archE4294967295ELNS1_3gpuE0ELNS1_3repE0EEENS1_30default_config_static_selectorELNS0_4arch9wavefront6targetE1EEEvT1_
    .private_segment_fixed_size: 0
    .sgpr_count:     4
    .sgpr_spill_count: 0
    .symbol:         _ZN7rocprim17ROCPRIM_400000_NS6detail17trampoline_kernelINS0_14default_configENS1_25partition_config_selectorILNS1_17partition_subalgoE0EtNS0_10empty_typeEbEEZZNS1_14partition_implILS5_0ELb0ES3_jN6thrust23THRUST_200600_302600_NS6detail15normal_iteratorINSA_10device_ptrItEEEEPS6_SG_NS0_5tupleIJSF_NSA_16discard_iteratorINSA_11use_defaultEEEEEENSH_IJSG_SG_EEES6_PlJ7is_evenItEEEE10hipError_tPvRmT3_T4_T5_T6_T7_T9_mT8_P12ihipStream_tbDpT10_ENKUlT_T0_E_clISt17integral_constantIbLb0EES19_EEDaS14_S15_EUlS14_E_NS1_11comp_targetILNS1_3genE0ELNS1_11target_archE4294967295ELNS1_3gpuE0ELNS1_3repE0EEENS1_30default_config_static_selectorELNS0_4arch9wavefront6targetE1EEEvT1_.kd
    .uniform_work_group_size: 1
    .uses_dynamic_stack: false
    .vgpr_count:     0
    .vgpr_spill_count: 0
    .wavefront_size: 64
  - .agpr_count:     0
    .args:
      - .offset:         0
        .size:           128
        .value_kind:     by_value
    .group_segment_fixed_size: 0
    .kernarg_segment_align: 8
    .kernarg_segment_size: 128
    .language:       OpenCL C
    .language_version:
      - 2
      - 0
    .max_flat_workgroup_size: 512
    .name:           _ZN7rocprim17ROCPRIM_400000_NS6detail17trampoline_kernelINS0_14default_configENS1_25partition_config_selectorILNS1_17partition_subalgoE0EtNS0_10empty_typeEbEEZZNS1_14partition_implILS5_0ELb0ES3_jN6thrust23THRUST_200600_302600_NS6detail15normal_iteratorINSA_10device_ptrItEEEEPS6_SG_NS0_5tupleIJSF_NSA_16discard_iteratorINSA_11use_defaultEEEEEENSH_IJSG_SG_EEES6_PlJ7is_evenItEEEE10hipError_tPvRmT3_T4_T5_T6_T7_T9_mT8_P12ihipStream_tbDpT10_ENKUlT_T0_E_clISt17integral_constantIbLb0EES19_EEDaS14_S15_EUlS14_E_NS1_11comp_targetILNS1_3genE5ELNS1_11target_archE942ELNS1_3gpuE9ELNS1_3repE0EEENS1_30default_config_static_selectorELNS0_4arch9wavefront6targetE1EEEvT1_
    .private_segment_fixed_size: 0
    .sgpr_count:     4
    .sgpr_spill_count: 0
    .symbol:         _ZN7rocprim17ROCPRIM_400000_NS6detail17trampoline_kernelINS0_14default_configENS1_25partition_config_selectorILNS1_17partition_subalgoE0EtNS0_10empty_typeEbEEZZNS1_14partition_implILS5_0ELb0ES3_jN6thrust23THRUST_200600_302600_NS6detail15normal_iteratorINSA_10device_ptrItEEEEPS6_SG_NS0_5tupleIJSF_NSA_16discard_iteratorINSA_11use_defaultEEEEEENSH_IJSG_SG_EEES6_PlJ7is_evenItEEEE10hipError_tPvRmT3_T4_T5_T6_T7_T9_mT8_P12ihipStream_tbDpT10_ENKUlT_T0_E_clISt17integral_constantIbLb0EES19_EEDaS14_S15_EUlS14_E_NS1_11comp_targetILNS1_3genE5ELNS1_11target_archE942ELNS1_3gpuE9ELNS1_3repE0EEENS1_30default_config_static_selectorELNS0_4arch9wavefront6targetE1EEEvT1_.kd
    .uniform_work_group_size: 1
    .uses_dynamic_stack: false
    .vgpr_count:     0
    .vgpr_spill_count: 0
    .wavefront_size: 64
  - .agpr_count:     0
    .args:
      - .offset:         0
        .size:           128
        .value_kind:     by_value
    .group_segment_fixed_size: 14344
    .kernarg_segment_align: 8
    .kernarg_segment_size: 128
    .language:       OpenCL C
    .language_version:
      - 2
      - 0
    .max_flat_workgroup_size: 256
    .name:           _ZN7rocprim17ROCPRIM_400000_NS6detail17trampoline_kernelINS0_14default_configENS1_25partition_config_selectorILNS1_17partition_subalgoE0EtNS0_10empty_typeEbEEZZNS1_14partition_implILS5_0ELb0ES3_jN6thrust23THRUST_200600_302600_NS6detail15normal_iteratorINSA_10device_ptrItEEEEPS6_SG_NS0_5tupleIJSF_NSA_16discard_iteratorINSA_11use_defaultEEEEEENSH_IJSG_SG_EEES6_PlJ7is_evenItEEEE10hipError_tPvRmT3_T4_T5_T6_T7_T9_mT8_P12ihipStream_tbDpT10_ENKUlT_T0_E_clISt17integral_constantIbLb0EES19_EEDaS14_S15_EUlS14_E_NS1_11comp_targetILNS1_3genE4ELNS1_11target_archE910ELNS1_3gpuE8ELNS1_3repE0EEENS1_30default_config_static_selectorELNS0_4arch9wavefront6targetE1EEEvT1_
    .private_segment_fixed_size: 0
    .sgpr_count:     44
    .sgpr_spill_count: 0
    .symbol:         _ZN7rocprim17ROCPRIM_400000_NS6detail17trampoline_kernelINS0_14default_configENS1_25partition_config_selectorILNS1_17partition_subalgoE0EtNS0_10empty_typeEbEEZZNS1_14partition_implILS5_0ELb0ES3_jN6thrust23THRUST_200600_302600_NS6detail15normal_iteratorINSA_10device_ptrItEEEEPS6_SG_NS0_5tupleIJSF_NSA_16discard_iteratorINSA_11use_defaultEEEEEENSH_IJSG_SG_EEES6_PlJ7is_evenItEEEE10hipError_tPvRmT3_T4_T5_T6_T7_T9_mT8_P12ihipStream_tbDpT10_ENKUlT_T0_E_clISt17integral_constantIbLb0EES19_EEDaS14_S15_EUlS14_E_NS1_11comp_targetILNS1_3genE4ELNS1_11target_archE910ELNS1_3gpuE8ELNS1_3repE0EEENS1_30default_config_static_selectorELNS0_4arch9wavefront6targetE1EEEvT1_.kd
    .uniform_work_group_size: 1
    .uses_dynamic_stack: false
    .vgpr_count:     114
    .vgpr_spill_count: 0
    .wavefront_size: 64
  - .agpr_count:     0
    .args:
      - .offset:         0
        .size:           128
        .value_kind:     by_value
    .group_segment_fixed_size: 0
    .kernarg_segment_align: 8
    .kernarg_segment_size: 128
    .language:       OpenCL C
    .language_version:
      - 2
      - 0
    .max_flat_workgroup_size: 256
    .name:           _ZN7rocprim17ROCPRIM_400000_NS6detail17trampoline_kernelINS0_14default_configENS1_25partition_config_selectorILNS1_17partition_subalgoE0EtNS0_10empty_typeEbEEZZNS1_14partition_implILS5_0ELb0ES3_jN6thrust23THRUST_200600_302600_NS6detail15normal_iteratorINSA_10device_ptrItEEEEPS6_SG_NS0_5tupleIJSF_NSA_16discard_iteratorINSA_11use_defaultEEEEEENSH_IJSG_SG_EEES6_PlJ7is_evenItEEEE10hipError_tPvRmT3_T4_T5_T6_T7_T9_mT8_P12ihipStream_tbDpT10_ENKUlT_T0_E_clISt17integral_constantIbLb0EES19_EEDaS14_S15_EUlS14_E_NS1_11comp_targetILNS1_3genE3ELNS1_11target_archE908ELNS1_3gpuE7ELNS1_3repE0EEENS1_30default_config_static_selectorELNS0_4arch9wavefront6targetE1EEEvT1_
    .private_segment_fixed_size: 0
    .sgpr_count:     4
    .sgpr_spill_count: 0
    .symbol:         _ZN7rocprim17ROCPRIM_400000_NS6detail17trampoline_kernelINS0_14default_configENS1_25partition_config_selectorILNS1_17partition_subalgoE0EtNS0_10empty_typeEbEEZZNS1_14partition_implILS5_0ELb0ES3_jN6thrust23THRUST_200600_302600_NS6detail15normal_iteratorINSA_10device_ptrItEEEEPS6_SG_NS0_5tupleIJSF_NSA_16discard_iteratorINSA_11use_defaultEEEEEENSH_IJSG_SG_EEES6_PlJ7is_evenItEEEE10hipError_tPvRmT3_T4_T5_T6_T7_T9_mT8_P12ihipStream_tbDpT10_ENKUlT_T0_E_clISt17integral_constantIbLb0EES19_EEDaS14_S15_EUlS14_E_NS1_11comp_targetILNS1_3genE3ELNS1_11target_archE908ELNS1_3gpuE7ELNS1_3repE0EEENS1_30default_config_static_selectorELNS0_4arch9wavefront6targetE1EEEvT1_.kd
    .uniform_work_group_size: 1
    .uses_dynamic_stack: false
    .vgpr_count:     0
    .vgpr_spill_count: 0
    .wavefront_size: 64
  - .agpr_count:     0
    .args:
      - .offset:         0
        .size:           128
        .value_kind:     by_value
    .group_segment_fixed_size: 0
    .kernarg_segment_align: 8
    .kernarg_segment_size: 128
    .language:       OpenCL C
    .language_version:
      - 2
      - 0
    .max_flat_workgroup_size: 256
    .name:           _ZN7rocprim17ROCPRIM_400000_NS6detail17trampoline_kernelINS0_14default_configENS1_25partition_config_selectorILNS1_17partition_subalgoE0EtNS0_10empty_typeEbEEZZNS1_14partition_implILS5_0ELb0ES3_jN6thrust23THRUST_200600_302600_NS6detail15normal_iteratorINSA_10device_ptrItEEEEPS6_SG_NS0_5tupleIJSF_NSA_16discard_iteratorINSA_11use_defaultEEEEEENSH_IJSG_SG_EEES6_PlJ7is_evenItEEEE10hipError_tPvRmT3_T4_T5_T6_T7_T9_mT8_P12ihipStream_tbDpT10_ENKUlT_T0_E_clISt17integral_constantIbLb0EES19_EEDaS14_S15_EUlS14_E_NS1_11comp_targetILNS1_3genE2ELNS1_11target_archE906ELNS1_3gpuE6ELNS1_3repE0EEENS1_30default_config_static_selectorELNS0_4arch9wavefront6targetE1EEEvT1_
    .private_segment_fixed_size: 0
    .sgpr_count:     4
    .sgpr_spill_count: 0
    .symbol:         _ZN7rocprim17ROCPRIM_400000_NS6detail17trampoline_kernelINS0_14default_configENS1_25partition_config_selectorILNS1_17partition_subalgoE0EtNS0_10empty_typeEbEEZZNS1_14partition_implILS5_0ELb0ES3_jN6thrust23THRUST_200600_302600_NS6detail15normal_iteratorINSA_10device_ptrItEEEEPS6_SG_NS0_5tupleIJSF_NSA_16discard_iteratorINSA_11use_defaultEEEEEENSH_IJSG_SG_EEES6_PlJ7is_evenItEEEE10hipError_tPvRmT3_T4_T5_T6_T7_T9_mT8_P12ihipStream_tbDpT10_ENKUlT_T0_E_clISt17integral_constantIbLb0EES19_EEDaS14_S15_EUlS14_E_NS1_11comp_targetILNS1_3genE2ELNS1_11target_archE906ELNS1_3gpuE6ELNS1_3repE0EEENS1_30default_config_static_selectorELNS0_4arch9wavefront6targetE1EEEvT1_.kd
    .uniform_work_group_size: 1
    .uses_dynamic_stack: false
    .vgpr_count:     0
    .vgpr_spill_count: 0
    .wavefront_size: 64
  - .agpr_count:     0
    .args:
      - .offset:         0
        .size:           128
        .value_kind:     by_value
    .group_segment_fixed_size: 0
    .kernarg_segment_align: 8
    .kernarg_segment_size: 128
    .language:       OpenCL C
    .language_version:
      - 2
      - 0
    .max_flat_workgroup_size: 384
    .name:           _ZN7rocprim17ROCPRIM_400000_NS6detail17trampoline_kernelINS0_14default_configENS1_25partition_config_selectorILNS1_17partition_subalgoE0EtNS0_10empty_typeEbEEZZNS1_14partition_implILS5_0ELb0ES3_jN6thrust23THRUST_200600_302600_NS6detail15normal_iteratorINSA_10device_ptrItEEEEPS6_SG_NS0_5tupleIJSF_NSA_16discard_iteratorINSA_11use_defaultEEEEEENSH_IJSG_SG_EEES6_PlJ7is_evenItEEEE10hipError_tPvRmT3_T4_T5_T6_T7_T9_mT8_P12ihipStream_tbDpT10_ENKUlT_T0_E_clISt17integral_constantIbLb0EES19_EEDaS14_S15_EUlS14_E_NS1_11comp_targetILNS1_3genE10ELNS1_11target_archE1200ELNS1_3gpuE4ELNS1_3repE0EEENS1_30default_config_static_selectorELNS0_4arch9wavefront6targetE1EEEvT1_
    .private_segment_fixed_size: 0
    .sgpr_count:     4
    .sgpr_spill_count: 0
    .symbol:         _ZN7rocprim17ROCPRIM_400000_NS6detail17trampoline_kernelINS0_14default_configENS1_25partition_config_selectorILNS1_17partition_subalgoE0EtNS0_10empty_typeEbEEZZNS1_14partition_implILS5_0ELb0ES3_jN6thrust23THRUST_200600_302600_NS6detail15normal_iteratorINSA_10device_ptrItEEEEPS6_SG_NS0_5tupleIJSF_NSA_16discard_iteratorINSA_11use_defaultEEEEEENSH_IJSG_SG_EEES6_PlJ7is_evenItEEEE10hipError_tPvRmT3_T4_T5_T6_T7_T9_mT8_P12ihipStream_tbDpT10_ENKUlT_T0_E_clISt17integral_constantIbLb0EES19_EEDaS14_S15_EUlS14_E_NS1_11comp_targetILNS1_3genE10ELNS1_11target_archE1200ELNS1_3gpuE4ELNS1_3repE0EEENS1_30default_config_static_selectorELNS0_4arch9wavefront6targetE1EEEvT1_.kd
    .uniform_work_group_size: 1
    .uses_dynamic_stack: false
    .vgpr_count:     0
    .vgpr_spill_count: 0
    .wavefront_size: 64
  - .agpr_count:     0
    .args:
      - .offset:         0
        .size:           128
        .value_kind:     by_value
    .group_segment_fixed_size: 0
    .kernarg_segment_align: 8
    .kernarg_segment_size: 128
    .language:       OpenCL C
    .language_version:
      - 2
      - 0
    .max_flat_workgroup_size: 128
    .name:           _ZN7rocprim17ROCPRIM_400000_NS6detail17trampoline_kernelINS0_14default_configENS1_25partition_config_selectorILNS1_17partition_subalgoE0EtNS0_10empty_typeEbEEZZNS1_14partition_implILS5_0ELb0ES3_jN6thrust23THRUST_200600_302600_NS6detail15normal_iteratorINSA_10device_ptrItEEEEPS6_SG_NS0_5tupleIJSF_NSA_16discard_iteratorINSA_11use_defaultEEEEEENSH_IJSG_SG_EEES6_PlJ7is_evenItEEEE10hipError_tPvRmT3_T4_T5_T6_T7_T9_mT8_P12ihipStream_tbDpT10_ENKUlT_T0_E_clISt17integral_constantIbLb0EES19_EEDaS14_S15_EUlS14_E_NS1_11comp_targetILNS1_3genE9ELNS1_11target_archE1100ELNS1_3gpuE3ELNS1_3repE0EEENS1_30default_config_static_selectorELNS0_4arch9wavefront6targetE1EEEvT1_
    .private_segment_fixed_size: 0
    .sgpr_count:     4
    .sgpr_spill_count: 0
    .symbol:         _ZN7rocprim17ROCPRIM_400000_NS6detail17trampoline_kernelINS0_14default_configENS1_25partition_config_selectorILNS1_17partition_subalgoE0EtNS0_10empty_typeEbEEZZNS1_14partition_implILS5_0ELb0ES3_jN6thrust23THRUST_200600_302600_NS6detail15normal_iteratorINSA_10device_ptrItEEEEPS6_SG_NS0_5tupleIJSF_NSA_16discard_iteratorINSA_11use_defaultEEEEEENSH_IJSG_SG_EEES6_PlJ7is_evenItEEEE10hipError_tPvRmT3_T4_T5_T6_T7_T9_mT8_P12ihipStream_tbDpT10_ENKUlT_T0_E_clISt17integral_constantIbLb0EES19_EEDaS14_S15_EUlS14_E_NS1_11comp_targetILNS1_3genE9ELNS1_11target_archE1100ELNS1_3gpuE3ELNS1_3repE0EEENS1_30default_config_static_selectorELNS0_4arch9wavefront6targetE1EEEvT1_.kd
    .uniform_work_group_size: 1
    .uses_dynamic_stack: false
    .vgpr_count:     0
    .vgpr_spill_count: 0
    .wavefront_size: 64
  - .agpr_count:     0
    .args:
      - .offset:         0
        .size:           128
        .value_kind:     by_value
    .group_segment_fixed_size: 0
    .kernarg_segment_align: 8
    .kernarg_segment_size: 128
    .language:       OpenCL C
    .language_version:
      - 2
      - 0
    .max_flat_workgroup_size: 128
    .name:           _ZN7rocprim17ROCPRIM_400000_NS6detail17trampoline_kernelINS0_14default_configENS1_25partition_config_selectorILNS1_17partition_subalgoE0EtNS0_10empty_typeEbEEZZNS1_14partition_implILS5_0ELb0ES3_jN6thrust23THRUST_200600_302600_NS6detail15normal_iteratorINSA_10device_ptrItEEEEPS6_SG_NS0_5tupleIJSF_NSA_16discard_iteratorINSA_11use_defaultEEEEEENSH_IJSG_SG_EEES6_PlJ7is_evenItEEEE10hipError_tPvRmT3_T4_T5_T6_T7_T9_mT8_P12ihipStream_tbDpT10_ENKUlT_T0_E_clISt17integral_constantIbLb0EES19_EEDaS14_S15_EUlS14_E_NS1_11comp_targetILNS1_3genE8ELNS1_11target_archE1030ELNS1_3gpuE2ELNS1_3repE0EEENS1_30default_config_static_selectorELNS0_4arch9wavefront6targetE1EEEvT1_
    .private_segment_fixed_size: 0
    .sgpr_count:     4
    .sgpr_spill_count: 0
    .symbol:         _ZN7rocprim17ROCPRIM_400000_NS6detail17trampoline_kernelINS0_14default_configENS1_25partition_config_selectorILNS1_17partition_subalgoE0EtNS0_10empty_typeEbEEZZNS1_14partition_implILS5_0ELb0ES3_jN6thrust23THRUST_200600_302600_NS6detail15normal_iteratorINSA_10device_ptrItEEEEPS6_SG_NS0_5tupleIJSF_NSA_16discard_iteratorINSA_11use_defaultEEEEEENSH_IJSG_SG_EEES6_PlJ7is_evenItEEEE10hipError_tPvRmT3_T4_T5_T6_T7_T9_mT8_P12ihipStream_tbDpT10_ENKUlT_T0_E_clISt17integral_constantIbLb0EES19_EEDaS14_S15_EUlS14_E_NS1_11comp_targetILNS1_3genE8ELNS1_11target_archE1030ELNS1_3gpuE2ELNS1_3repE0EEENS1_30default_config_static_selectorELNS0_4arch9wavefront6targetE1EEEvT1_.kd
    .uniform_work_group_size: 1
    .uses_dynamic_stack: false
    .vgpr_count:     0
    .vgpr_spill_count: 0
    .wavefront_size: 64
  - .agpr_count:     0
    .args:
      - .offset:         0
        .size:           144
        .value_kind:     by_value
    .group_segment_fixed_size: 0
    .kernarg_segment_align: 8
    .kernarg_segment_size: 144
    .language:       OpenCL C
    .language_version:
      - 2
      - 0
    .max_flat_workgroup_size: 256
    .name:           _ZN7rocprim17ROCPRIM_400000_NS6detail17trampoline_kernelINS0_14default_configENS1_25partition_config_selectorILNS1_17partition_subalgoE0EtNS0_10empty_typeEbEEZZNS1_14partition_implILS5_0ELb0ES3_jN6thrust23THRUST_200600_302600_NS6detail15normal_iteratorINSA_10device_ptrItEEEEPS6_SG_NS0_5tupleIJSF_NSA_16discard_iteratorINSA_11use_defaultEEEEEENSH_IJSG_SG_EEES6_PlJ7is_evenItEEEE10hipError_tPvRmT3_T4_T5_T6_T7_T9_mT8_P12ihipStream_tbDpT10_ENKUlT_T0_E_clISt17integral_constantIbLb1EES19_EEDaS14_S15_EUlS14_E_NS1_11comp_targetILNS1_3genE0ELNS1_11target_archE4294967295ELNS1_3gpuE0ELNS1_3repE0EEENS1_30default_config_static_selectorELNS0_4arch9wavefront6targetE1EEEvT1_
    .private_segment_fixed_size: 0
    .sgpr_count:     4
    .sgpr_spill_count: 0
    .symbol:         _ZN7rocprim17ROCPRIM_400000_NS6detail17trampoline_kernelINS0_14default_configENS1_25partition_config_selectorILNS1_17partition_subalgoE0EtNS0_10empty_typeEbEEZZNS1_14partition_implILS5_0ELb0ES3_jN6thrust23THRUST_200600_302600_NS6detail15normal_iteratorINSA_10device_ptrItEEEEPS6_SG_NS0_5tupleIJSF_NSA_16discard_iteratorINSA_11use_defaultEEEEEENSH_IJSG_SG_EEES6_PlJ7is_evenItEEEE10hipError_tPvRmT3_T4_T5_T6_T7_T9_mT8_P12ihipStream_tbDpT10_ENKUlT_T0_E_clISt17integral_constantIbLb1EES19_EEDaS14_S15_EUlS14_E_NS1_11comp_targetILNS1_3genE0ELNS1_11target_archE4294967295ELNS1_3gpuE0ELNS1_3repE0EEENS1_30default_config_static_selectorELNS0_4arch9wavefront6targetE1EEEvT1_.kd
    .uniform_work_group_size: 1
    .uses_dynamic_stack: false
    .vgpr_count:     0
    .vgpr_spill_count: 0
    .wavefront_size: 64
  - .agpr_count:     0
    .args:
      - .offset:         0
        .size:           144
        .value_kind:     by_value
    .group_segment_fixed_size: 0
    .kernarg_segment_align: 8
    .kernarg_segment_size: 144
    .language:       OpenCL C
    .language_version:
      - 2
      - 0
    .max_flat_workgroup_size: 512
    .name:           _ZN7rocprim17ROCPRIM_400000_NS6detail17trampoline_kernelINS0_14default_configENS1_25partition_config_selectorILNS1_17partition_subalgoE0EtNS0_10empty_typeEbEEZZNS1_14partition_implILS5_0ELb0ES3_jN6thrust23THRUST_200600_302600_NS6detail15normal_iteratorINSA_10device_ptrItEEEEPS6_SG_NS0_5tupleIJSF_NSA_16discard_iteratorINSA_11use_defaultEEEEEENSH_IJSG_SG_EEES6_PlJ7is_evenItEEEE10hipError_tPvRmT3_T4_T5_T6_T7_T9_mT8_P12ihipStream_tbDpT10_ENKUlT_T0_E_clISt17integral_constantIbLb1EES19_EEDaS14_S15_EUlS14_E_NS1_11comp_targetILNS1_3genE5ELNS1_11target_archE942ELNS1_3gpuE9ELNS1_3repE0EEENS1_30default_config_static_selectorELNS0_4arch9wavefront6targetE1EEEvT1_
    .private_segment_fixed_size: 0
    .sgpr_count:     4
    .sgpr_spill_count: 0
    .symbol:         _ZN7rocprim17ROCPRIM_400000_NS6detail17trampoline_kernelINS0_14default_configENS1_25partition_config_selectorILNS1_17partition_subalgoE0EtNS0_10empty_typeEbEEZZNS1_14partition_implILS5_0ELb0ES3_jN6thrust23THRUST_200600_302600_NS6detail15normal_iteratorINSA_10device_ptrItEEEEPS6_SG_NS0_5tupleIJSF_NSA_16discard_iteratorINSA_11use_defaultEEEEEENSH_IJSG_SG_EEES6_PlJ7is_evenItEEEE10hipError_tPvRmT3_T4_T5_T6_T7_T9_mT8_P12ihipStream_tbDpT10_ENKUlT_T0_E_clISt17integral_constantIbLb1EES19_EEDaS14_S15_EUlS14_E_NS1_11comp_targetILNS1_3genE5ELNS1_11target_archE942ELNS1_3gpuE9ELNS1_3repE0EEENS1_30default_config_static_selectorELNS0_4arch9wavefront6targetE1EEEvT1_.kd
    .uniform_work_group_size: 1
    .uses_dynamic_stack: false
    .vgpr_count:     0
    .vgpr_spill_count: 0
    .wavefront_size: 64
  - .agpr_count:     0
    .args:
      - .offset:         0
        .size:           144
        .value_kind:     by_value
    .group_segment_fixed_size: 14344
    .kernarg_segment_align: 8
    .kernarg_segment_size: 144
    .language:       OpenCL C
    .language_version:
      - 2
      - 0
    .max_flat_workgroup_size: 256
    .name:           _ZN7rocprim17ROCPRIM_400000_NS6detail17trampoline_kernelINS0_14default_configENS1_25partition_config_selectorILNS1_17partition_subalgoE0EtNS0_10empty_typeEbEEZZNS1_14partition_implILS5_0ELb0ES3_jN6thrust23THRUST_200600_302600_NS6detail15normal_iteratorINSA_10device_ptrItEEEEPS6_SG_NS0_5tupleIJSF_NSA_16discard_iteratorINSA_11use_defaultEEEEEENSH_IJSG_SG_EEES6_PlJ7is_evenItEEEE10hipError_tPvRmT3_T4_T5_T6_T7_T9_mT8_P12ihipStream_tbDpT10_ENKUlT_T0_E_clISt17integral_constantIbLb1EES19_EEDaS14_S15_EUlS14_E_NS1_11comp_targetILNS1_3genE4ELNS1_11target_archE910ELNS1_3gpuE8ELNS1_3repE0EEENS1_30default_config_static_selectorELNS0_4arch9wavefront6targetE1EEEvT1_
    .private_segment_fixed_size: 0
    .sgpr_count:     44
    .sgpr_spill_count: 0
    .symbol:         _ZN7rocprim17ROCPRIM_400000_NS6detail17trampoline_kernelINS0_14default_configENS1_25partition_config_selectorILNS1_17partition_subalgoE0EtNS0_10empty_typeEbEEZZNS1_14partition_implILS5_0ELb0ES3_jN6thrust23THRUST_200600_302600_NS6detail15normal_iteratorINSA_10device_ptrItEEEEPS6_SG_NS0_5tupleIJSF_NSA_16discard_iteratorINSA_11use_defaultEEEEEENSH_IJSG_SG_EEES6_PlJ7is_evenItEEEE10hipError_tPvRmT3_T4_T5_T6_T7_T9_mT8_P12ihipStream_tbDpT10_ENKUlT_T0_E_clISt17integral_constantIbLb1EES19_EEDaS14_S15_EUlS14_E_NS1_11comp_targetILNS1_3genE4ELNS1_11target_archE910ELNS1_3gpuE8ELNS1_3repE0EEENS1_30default_config_static_selectorELNS0_4arch9wavefront6targetE1EEEvT1_.kd
    .uniform_work_group_size: 1
    .uses_dynamic_stack: false
    .vgpr_count:     116
    .vgpr_spill_count: 0
    .wavefront_size: 64
  - .agpr_count:     0
    .args:
      - .offset:         0
        .size:           144
        .value_kind:     by_value
    .group_segment_fixed_size: 0
    .kernarg_segment_align: 8
    .kernarg_segment_size: 144
    .language:       OpenCL C
    .language_version:
      - 2
      - 0
    .max_flat_workgroup_size: 256
    .name:           _ZN7rocprim17ROCPRIM_400000_NS6detail17trampoline_kernelINS0_14default_configENS1_25partition_config_selectorILNS1_17partition_subalgoE0EtNS0_10empty_typeEbEEZZNS1_14partition_implILS5_0ELb0ES3_jN6thrust23THRUST_200600_302600_NS6detail15normal_iteratorINSA_10device_ptrItEEEEPS6_SG_NS0_5tupleIJSF_NSA_16discard_iteratorINSA_11use_defaultEEEEEENSH_IJSG_SG_EEES6_PlJ7is_evenItEEEE10hipError_tPvRmT3_T4_T5_T6_T7_T9_mT8_P12ihipStream_tbDpT10_ENKUlT_T0_E_clISt17integral_constantIbLb1EES19_EEDaS14_S15_EUlS14_E_NS1_11comp_targetILNS1_3genE3ELNS1_11target_archE908ELNS1_3gpuE7ELNS1_3repE0EEENS1_30default_config_static_selectorELNS0_4arch9wavefront6targetE1EEEvT1_
    .private_segment_fixed_size: 0
    .sgpr_count:     4
    .sgpr_spill_count: 0
    .symbol:         _ZN7rocprim17ROCPRIM_400000_NS6detail17trampoline_kernelINS0_14default_configENS1_25partition_config_selectorILNS1_17partition_subalgoE0EtNS0_10empty_typeEbEEZZNS1_14partition_implILS5_0ELb0ES3_jN6thrust23THRUST_200600_302600_NS6detail15normal_iteratorINSA_10device_ptrItEEEEPS6_SG_NS0_5tupleIJSF_NSA_16discard_iteratorINSA_11use_defaultEEEEEENSH_IJSG_SG_EEES6_PlJ7is_evenItEEEE10hipError_tPvRmT3_T4_T5_T6_T7_T9_mT8_P12ihipStream_tbDpT10_ENKUlT_T0_E_clISt17integral_constantIbLb1EES19_EEDaS14_S15_EUlS14_E_NS1_11comp_targetILNS1_3genE3ELNS1_11target_archE908ELNS1_3gpuE7ELNS1_3repE0EEENS1_30default_config_static_selectorELNS0_4arch9wavefront6targetE1EEEvT1_.kd
    .uniform_work_group_size: 1
    .uses_dynamic_stack: false
    .vgpr_count:     0
    .vgpr_spill_count: 0
    .wavefront_size: 64
  - .agpr_count:     0
    .args:
      - .offset:         0
        .size:           144
        .value_kind:     by_value
    .group_segment_fixed_size: 0
    .kernarg_segment_align: 8
    .kernarg_segment_size: 144
    .language:       OpenCL C
    .language_version:
      - 2
      - 0
    .max_flat_workgroup_size: 256
    .name:           _ZN7rocprim17ROCPRIM_400000_NS6detail17trampoline_kernelINS0_14default_configENS1_25partition_config_selectorILNS1_17partition_subalgoE0EtNS0_10empty_typeEbEEZZNS1_14partition_implILS5_0ELb0ES3_jN6thrust23THRUST_200600_302600_NS6detail15normal_iteratorINSA_10device_ptrItEEEEPS6_SG_NS0_5tupleIJSF_NSA_16discard_iteratorINSA_11use_defaultEEEEEENSH_IJSG_SG_EEES6_PlJ7is_evenItEEEE10hipError_tPvRmT3_T4_T5_T6_T7_T9_mT8_P12ihipStream_tbDpT10_ENKUlT_T0_E_clISt17integral_constantIbLb1EES19_EEDaS14_S15_EUlS14_E_NS1_11comp_targetILNS1_3genE2ELNS1_11target_archE906ELNS1_3gpuE6ELNS1_3repE0EEENS1_30default_config_static_selectorELNS0_4arch9wavefront6targetE1EEEvT1_
    .private_segment_fixed_size: 0
    .sgpr_count:     4
    .sgpr_spill_count: 0
    .symbol:         _ZN7rocprim17ROCPRIM_400000_NS6detail17trampoline_kernelINS0_14default_configENS1_25partition_config_selectorILNS1_17partition_subalgoE0EtNS0_10empty_typeEbEEZZNS1_14partition_implILS5_0ELb0ES3_jN6thrust23THRUST_200600_302600_NS6detail15normal_iteratorINSA_10device_ptrItEEEEPS6_SG_NS0_5tupleIJSF_NSA_16discard_iteratorINSA_11use_defaultEEEEEENSH_IJSG_SG_EEES6_PlJ7is_evenItEEEE10hipError_tPvRmT3_T4_T5_T6_T7_T9_mT8_P12ihipStream_tbDpT10_ENKUlT_T0_E_clISt17integral_constantIbLb1EES19_EEDaS14_S15_EUlS14_E_NS1_11comp_targetILNS1_3genE2ELNS1_11target_archE906ELNS1_3gpuE6ELNS1_3repE0EEENS1_30default_config_static_selectorELNS0_4arch9wavefront6targetE1EEEvT1_.kd
    .uniform_work_group_size: 1
    .uses_dynamic_stack: false
    .vgpr_count:     0
    .vgpr_spill_count: 0
    .wavefront_size: 64
  - .agpr_count:     0
    .args:
      - .offset:         0
        .size:           144
        .value_kind:     by_value
    .group_segment_fixed_size: 0
    .kernarg_segment_align: 8
    .kernarg_segment_size: 144
    .language:       OpenCL C
    .language_version:
      - 2
      - 0
    .max_flat_workgroup_size: 384
    .name:           _ZN7rocprim17ROCPRIM_400000_NS6detail17trampoline_kernelINS0_14default_configENS1_25partition_config_selectorILNS1_17partition_subalgoE0EtNS0_10empty_typeEbEEZZNS1_14partition_implILS5_0ELb0ES3_jN6thrust23THRUST_200600_302600_NS6detail15normal_iteratorINSA_10device_ptrItEEEEPS6_SG_NS0_5tupleIJSF_NSA_16discard_iteratorINSA_11use_defaultEEEEEENSH_IJSG_SG_EEES6_PlJ7is_evenItEEEE10hipError_tPvRmT3_T4_T5_T6_T7_T9_mT8_P12ihipStream_tbDpT10_ENKUlT_T0_E_clISt17integral_constantIbLb1EES19_EEDaS14_S15_EUlS14_E_NS1_11comp_targetILNS1_3genE10ELNS1_11target_archE1200ELNS1_3gpuE4ELNS1_3repE0EEENS1_30default_config_static_selectorELNS0_4arch9wavefront6targetE1EEEvT1_
    .private_segment_fixed_size: 0
    .sgpr_count:     4
    .sgpr_spill_count: 0
    .symbol:         _ZN7rocprim17ROCPRIM_400000_NS6detail17trampoline_kernelINS0_14default_configENS1_25partition_config_selectorILNS1_17partition_subalgoE0EtNS0_10empty_typeEbEEZZNS1_14partition_implILS5_0ELb0ES3_jN6thrust23THRUST_200600_302600_NS6detail15normal_iteratorINSA_10device_ptrItEEEEPS6_SG_NS0_5tupleIJSF_NSA_16discard_iteratorINSA_11use_defaultEEEEEENSH_IJSG_SG_EEES6_PlJ7is_evenItEEEE10hipError_tPvRmT3_T4_T5_T6_T7_T9_mT8_P12ihipStream_tbDpT10_ENKUlT_T0_E_clISt17integral_constantIbLb1EES19_EEDaS14_S15_EUlS14_E_NS1_11comp_targetILNS1_3genE10ELNS1_11target_archE1200ELNS1_3gpuE4ELNS1_3repE0EEENS1_30default_config_static_selectorELNS0_4arch9wavefront6targetE1EEEvT1_.kd
    .uniform_work_group_size: 1
    .uses_dynamic_stack: false
    .vgpr_count:     0
    .vgpr_spill_count: 0
    .wavefront_size: 64
  - .agpr_count:     0
    .args:
      - .offset:         0
        .size:           144
        .value_kind:     by_value
    .group_segment_fixed_size: 0
    .kernarg_segment_align: 8
    .kernarg_segment_size: 144
    .language:       OpenCL C
    .language_version:
      - 2
      - 0
    .max_flat_workgroup_size: 128
    .name:           _ZN7rocprim17ROCPRIM_400000_NS6detail17trampoline_kernelINS0_14default_configENS1_25partition_config_selectorILNS1_17partition_subalgoE0EtNS0_10empty_typeEbEEZZNS1_14partition_implILS5_0ELb0ES3_jN6thrust23THRUST_200600_302600_NS6detail15normal_iteratorINSA_10device_ptrItEEEEPS6_SG_NS0_5tupleIJSF_NSA_16discard_iteratorINSA_11use_defaultEEEEEENSH_IJSG_SG_EEES6_PlJ7is_evenItEEEE10hipError_tPvRmT3_T4_T5_T6_T7_T9_mT8_P12ihipStream_tbDpT10_ENKUlT_T0_E_clISt17integral_constantIbLb1EES19_EEDaS14_S15_EUlS14_E_NS1_11comp_targetILNS1_3genE9ELNS1_11target_archE1100ELNS1_3gpuE3ELNS1_3repE0EEENS1_30default_config_static_selectorELNS0_4arch9wavefront6targetE1EEEvT1_
    .private_segment_fixed_size: 0
    .sgpr_count:     4
    .sgpr_spill_count: 0
    .symbol:         _ZN7rocprim17ROCPRIM_400000_NS6detail17trampoline_kernelINS0_14default_configENS1_25partition_config_selectorILNS1_17partition_subalgoE0EtNS0_10empty_typeEbEEZZNS1_14partition_implILS5_0ELb0ES3_jN6thrust23THRUST_200600_302600_NS6detail15normal_iteratorINSA_10device_ptrItEEEEPS6_SG_NS0_5tupleIJSF_NSA_16discard_iteratorINSA_11use_defaultEEEEEENSH_IJSG_SG_EEES6_PlJ7is_evenItEEEE10hipError_tPvRmT3_T4_T5_T6_T7_T9_mT8_P12ihipStream_tbDpT10_ENKUlT_T0_E_clISt17integral_constantIbLb1EES19_EEDaS14_S15_EUlS14_E_NS1_11comp_targetILNS1_3genE9ELNS1_11target_archE1100ELNS1_3gpuE3ELNS1_3repE0EEENS1_30default_config_static_selectorELNS0_4arch9wavefront6targetE1EEEvT1_.kd
    .uniform_work_group_size: 1
    .uses_dynamic_stack: false
    .vgpr_count:     0
    .vgpr_spill_count: 0
    .wavefront_size: 64
  - .agpr_count:     0
    .args:
      - .offset:         0
        .size:           144
        .value_kind:     by_value
    .group_segment_fixed_size: 0
    .kernarg_segment_align: 8
    .kernarg_segment_size: 144
    .language:       OpenCL C
    .language_version:
      - 2
      - 0
    .max_flat_workgroup_size: 128
    .name:           _ZN7rocprim17ROCPRIM_400000_NS6detail17trampoline_kernelINS0_14default_configENS1_25partition_config_selectorILNS1_17partition_subalgoE0EtNS0_10empty_typeEbEEZZNS1_14partition_implILS5_0ELb0ES3_jN6thrust23THRUST_200600_302600_NS6detail15normal_iteratorINSA_10device_ptrItEEEEPS6_SG_NS0_5tupleIJSF_NSA_16discard_iteratorINSA_11use_defaultEEEEEENSH_IJSG_SG_EEES6_PlJ7is_evenItEEEE10hipError_tPvRmT3_T4_T5_T6_T7_T9_mT8_P12ihipStream_tbDpT10_ENKUlT_T0_E_clISt17integral_constantIbLb1EES19_EEDaS14_S15_EUlS14_E_NS1_11comp_targetILNS1_3genE8ELNS1_11target_archE1030ELNS1_3gpuE2ELNS1_3repE0EEENS1_30default_config_static_selectorELNS0_4arch9wavefront6targetE1EEEvT1_
    .private_segment_fixed_size: 0
    .sgpr_count:     4
    .sgpr_spill_count: 0
    .symbol:         _ZN7rocprim17ROCPRIM_400000_NS6detail17trampoline_kernelINS0_14default_configENS1_25partition_config_selectorILNS1_17partition_subalgoE0EtNS0_10empty_typeEbEEZZNS1_14partition_implILS5_0ELb0ES3_jN6thrust23THRUST_200600_302600_NS6detail15normal_iteratorINSA_10device_ptrItEEEEPS6_SG_NS0_5tupleIJSF_NSA_16discard_iteratorINSA_11use_defaultEEEEEENSH_IJSG_SG_EEES6_PlJ7is_evenItEEEE10hipError_tPvRmT3_T4_T5_T6_T7_T9_mT8_P12ihipStream_tbDpT10_ENKUlT_T0_E_clISt17integral_constantIbLb1EES19_EEDaS14_S15_EUlS14_E_NS1_11comp_targetILNS1_3genE8ELNS1_11target_archE1030ELNS1_3gpuE2ELNS1_3repE0EEENS1_30default_config_static_selectorELNS0_4arch9wavefront6targetE1EEEvT1_.kd
    .uniform_work_group_size: 1
    .uses_dynamic_stack: false
    .vgpr_count:     0
    .vgpr_spill_count: 0
    .wavefront_size: 64
  - .agpr_count:     0
    .args:
      - .offset:         0
        .size:           128
        .value_kind:     by_value
    .group_segment_fixed_size: 0
    .kernarg_segment_align: 8
    .kernarg_segment_size: 128
    .language:       OpenCL C
    .language_version:
      - 2
      - 0
    .max_flat_workgroup_size: 256
    .name:           _ZN7rocprim17ROCPRIM_400000_NS6detail17trampoline_kernelINS0_14default_configENS1_25partition_config_selectorILNS1_17partition_subalgoE0EtNS0_10empty_typeEbEEZZNS1_14partition_implILS5_0ELb0ES3_jN6thrust23THRUST_200600_302600_NS6detail15normal_iteratorINSA_10device_ptrItEEEEPS6_SG_NS0_5tupleIJSF_NSA_16discard_iteratorINSA_11use_defaultEEEEEENSH_IJSG_SG_EEES6_PlJ7is_evenItEEEE10hipError_tPvRmT3_T4_T5_T6_T7_T9_mT8_P12ihipStream_tbDpT10_ENKUlT_T0_E_clISt17integral_constantIbLb1EES18_IbLb0EEEEDaS14_S15_EUlS14_E_NS1_11comp_targetILNS1_3genE0ELNS1_11target_archE4294967295ELNS1_3gpuE0ELNS1_3repE0EEENS1_30default_config_static_selectorELNS0_4arch9wavefront6targetE1EEEvT1_
    .private_segment_fixed_size: 0
    .sgpr_count:     4
    .sgpr_spill_count: 0
    .symbol:         _ZN7rocprim17ROCPRIM_400000_NS6detail17trampoline_kernelINS0_14default_configENS1_25partition_config_selectorILNS1_17partition_subalgoE0EtNS0_10empty_typeEbEEZZNS1_14partition_implILS5_0ELb0ES3_jN6thrust23THRUST_200600_302600_NS6detail15normal_iteratorINSA_10device_ptrItEEEEPS6_SG_NS0_5tupleIJSF_NSA_16discard_iteratorINSA_11use_defaultEEEEEENSH_IJSG_SG_EEES6_PlJ7is_evenItEEEE10hipError_tPvRmT3_T4_T5_T6_T7_T9_mT8_P12ihipStream_tbDpT10_ENKUlT_T0_E_clISt17integral_constantIbLb1EES18_IbLb0EEEEDaS14_S15_EUlS14_E_NS1_11comp_targetILNS1_3genE0ELNS1_11target_archE4294967295ELNS1_3gpuE0ELNS1_3repE0EEENS1_30default_config_static_selectorELNS0_4arch9wavefront6targetE1EEEvT1_.kd
    .uniform_work_group_size: 1
    .uses_dynamic_stack: false
    .vgpr_count:     0
    .vgpr_spill_count: 0
    .wavefront_size: 64
  - .agpr_count:     0
    .args:
      - .offset:         0
        .size:           128
        .value_kind:     by_value
    .group_segment_fixed_size: 0
    .kernarg_segment_align: 8
    .kernarg_segment_size: 128
    .language:       OpenCL C
    .language_version:
      - 2
      - 0
    .max_flat_workgroup_size: 512
    .name:           _ZN7rocprim17ROCPRIM_400000_NS6detail17trampoline_kernelINS0_14default_configENS1_25partition_config_selectorILNS1_17partition_subalgoE0EtNS0_10empty_typeEbEEZZNS1_14partition_implILS5_0ELb0ES3_jN6thrust23THRUST_200600_302600_NS6detail15normal_iteratorINSA_10device_ptrItEEEEPS6_SG_NS0_5tupleIJSF_NSA_16discard_iteratorINSA_11use_defaultEEEEEENSH_IJSG_SG_EEES6_PlJ7is_evenItEEEE10hipError_tPvRmT3_T4_T5_T6_T7_T9_mT8_P12ihipStream_tbDpT10_ENKUlT_T0_E_clISt17integral_constantIbLb1EES18_IbLb0EEEEDaS14_S15_EUlS14_E_NS1_11comp_targetILNS1_3genE5ELNS1_11target_archE942ELNS1_3gpuE9ELNS1_3repE0EEENS1_30default_config_static_selectorELNS0_4arch9wavefront6targetE1EEEvT1_
    .private_segment_fixed_size: 0
    .sgpr_count:     4
    .sgpr_spill_count: 0
    .symbol:         _ZN7rocprim17ROCPRIM_400000_NS6detail17trampoline_kernelINS0_14default_configENS1_25partition_config_selectorILNS1_17partition_subalgoE0EtNS0_10empty_typeEbEEZZNS1_14partition_implILS5_0ELb0ES3_jN6thrust23THRUST_200600_302600_NS6detail15normal_iteratorINSA_10device_ptrItEEEEPS6_SG_NS0_5tupleIJSF_NSA_16discard_iteratorINSA_11use_defaultEEEEEENSH_IJSG_SG_EEES6_PlJ7is_evenItEEEE10hipError_tPvRmT3_T4_T5_T6_T7_T9_mT8_P12ihipStream_tbDpT10_ENKUlT_T0_E_clISt17integral_constantIbLb1EES18_IbLb0EEEEDaS14_S15_EUlS14_E_NS1_11comp_targetILNS1_3genE5ELNS1_11target_archE942ELNS1_3gpuE9ELNS1_3repE0EEENS1_30default_config_static_selectorELNS0_4arch9wavefront6targetE1EEEvT1_.kd
    .uniform_work_group_size: 1
    .uses_dynamic_stack: false
    .vgpr_count:     0
    .vgpr_spill_count: 0
    .wavefront_size: 64
  - .agpr_count:     0
    .args:
      - .offset:         0
        .size:           128
        .value_kind:     by_value
    .group_segment_fixed_size: 14344
    .kernarg_segment_align: 8
    .kernarg_segment_size: 128
    .language:       OpenCL C
    .language_version:
      - 2
      - 0
    .max_flat_workgroup_size: 256
    .name:           _ZN7rocprim17ROCPRIM_400000_NS6detail17trampoline_kernelINS0_14default_configENS1_25partition_config_selectorILNS1_17partition_subalgoE0EtNS0_10empty_typeEbEEZZNS1_14partition_implILS5_0ELb0ES3_jN6thrust23THRUST_200600_302600_NS6detail15normal_iteratorINSA_10device_ptrItEEEEPS6_SG_NS0_5tupleIJSF_NSA_16discard_iteratorINSA_11use_defaultEEEEEENSH_IJSG_SG_EEES6_PlJ7is_evenItEEEE10hipError_tPvRmT3_T4_T5_T6_T7_T9_mT8_P12ihipStream_tbDpT10_ENKUlT_T0_E_clISt17integral_constantIbLb1EES18_IbLb0EEEEDaS14_S15_EUlS14_E_NS1_11comp_targetILNS1_3genE4ELNS1_11target_archE910ELNS1_3gpuE8ELNS1_3repE0EEENS1_30default_config_static_selectorELNS0_4arch9wavefront6targetE1EEEvT1_
    .private_segment_fixed_size: 0
    .sgpr_count:     44
    .sgpr_spill_count: 0
    .symbol:         _ZN7rocprim17ROCPRIM_400000_NS6detail17trampoline_kernelINS0_14default_configENS1_25partition_config_selectorILNS1_17partition_subalgoE0EtNS0_10empty_typeEbEEZZNS1_14partition_implILS5_0ELb0ES3_jN6thrust23THRUST_200600_302600_NS6detail15normal_iteratorINSA_10device_ptrItEEEEPS6_SG_NS0_5tupleIJSF_NSA_16discard_iteratorINSA_11use_defaultEEEEEENSH_IJSG_SG_EEES6_PlJ7is_evenItEEEE10hipError_tPvRmT3_T4_T5_T6_T7_T9_mT8_P12ihipStream_tbDpT10_ENKUlT_T0_E_clISt17integral_constantIbLb1EES18_IbLb0EEEEDaS14_S15_EUlS14_E_NS1_11comp_targetILNS1_3genE4ELNS1_11target_archE910ELNS1_3gpuE8ELNS1_3repE0EEENS1_30default_config_static_selectorELNS0_4arch9wavefront6targetE1EEEvT1_.kd
    .uniform_work_group_size: 1
    .uses_dynamic_stack: false
    .vgpr_count:     114
    .vgpr_spill_count: 0
    .wavefront_size: 64
  - .agpr_count:     0
    .args:
      - .offset:         0
        .size:           128
        .value_kind:     by_value
    .group_segment_fixed_size: 0
    .kernarg_segment_align: 8
    .kernarg_segment_size: 128
    .language:       OpenCL C
    .language_version:
      - 2
      - 0
    .max_flat_workgroup_size: 256
    .name:           _ZN7rocprim17ROCPRIM_400000_NS6detail17trampoline_kernelINS0_14default_configENS1_25partition_config_selectorILNS1_17partition_subalgoE0EtNS0_10empty_typeEbEEZZNS1_14partition_implILS5_0ELb0ES3_jN6thrust23THRUST_200600_302600_NS6detail15normal_iteratorINSA_10device_ptrItEEEEPS6_SG_NS0_5tupleIJSF_NSA_16discard_iteratorINSA_11use_defaultEEEEEENSH_IJSG_SG_EEES6_PlJ7is_evenItEEEE10hipError_tPvRmT3_T4_T5_T6_T7_T9_mT8_P12ihipStream_tbDpT10_ENKUlT_T0_E_clISt17integral_constantIbLb1EES18_IbLb0EEEEDaS14_S15_EUlS14_E_NS1_11comp_targetILNS1_3genE3ELNS1_11target_archE908ELNS1_3gpuE7ELNS1_3repE0EEENS1_30default_config_static_selectorELNS0_4arch9wavefront6targetE1EEEvT1_
    .private_segment_fixed_size: 0
    .sgpr_count:     4
    .sgpr_spill_count: 0
    .symbol:         _ZN7rocprim17ROCPRIM_400000_NS6detail17trampoline_kernelINS0_14default_configENS1_25partition_config_selectorILNS1_17partition_subalgoE0EtNS0_10empty_typeEbEEZZNS1_14partition_implILS5_0ELb0ES3_jN6thrust23THRUST_200600_302600_NS6detail15normal_iteratorINSA_10device_ptrItEEEEPS6_SG_NS0_5tupleIJSF_NSA_16discard_iteratorINSA_11use_defaultEEEEEENSH_IJSG_SG_EEES6_PlJ7is_evenItEEEE10hipError_tPvRmT3_T4_T5_T6_T7_T9_mT8_P12ihipStream_tbDpT10_ENKUlT_T0_E_clISt17integral_constantIbLb1EES18_IbLb0EEEEDaS14_S15_EUlS14_E_NS1_11comp_targetILNS1_3genE3ELNS1_11target_archE908ELNS1_3gpuE7ELNS1_3repE0EEENS1_30default_config_static_selectorELNS0_4arch9wavefront6targetE1EEEvT1_.kd
    .uniform_work_group_size: 1
    .uses_dynamic_stack: false
    .vgpr_count:     0
    .vgpr_spill_count: 0
    .wavefront_size: 64
  - .agpr_count:     0
    .args:
      - .offset:         0
        .size:           128
        .value_kind:     by_value
    .group_segment_fixed_size: 0
    .kernarg_segment_align: 8
    .kernarg_segment_size: 128
    .language:       OpenCL C
    .language_version:
      - 2
      - 0
    .max_flat_workgroup_size: 256
    .name:           _ZN7rocprim17ROCPRIM_400000_NS6detail17trampoline_kernelINS0_14default_configENS1_25partition_config_selectorILNS1_17partition_subalgoE0EtNS0_10empty_typeEbEEZZNS1_14partition_implILS5_0ELb0ES3_jN6thrust23THRUST_200600_302600_NS6detail15normal_iteratorINSA_10device_ptrItEEEEPS6_SG_NS0_5tupleIJSF_NSA_16discard_iteratorINSA_11use_defaultEEEEEENSH_IJSG_SG_EEES6_PlJ7is_evenItEEEE10hipError_tPvRmT3_T4_T5_T6_T7_T9_mT8_P12ihipStream_tbDpT10_ENKUlT_T0_E_clISt17integral_constantIbLb1EES18_IbLb0EEEEDaS14_S15_EUlS14_E_NS1_11comp_targetILNS1_3genE2ELNS1_11target_archE906ELNS1_3gpuE6ELNS1_3repE0EEENS1_30default_config_static_selectorELNS0_4arch9wavefront6targetE1EEEvT1_
    .private_segment_fixed_size: 0
    .sgpr_count:     4
    .sgpr_spill_count: 0
    .symbol:         _ZN7rocprim17ROCPRIM_400000_NS6detail17trampoline_kernelINS0_14default_configENS1_25partition_config_selectorILNS1_17partition_subalgoE0EtNS0_10empty_typeEbEEZZNS1_14partition_implILS5_0ELb0ES3_jN6thrust23THRUST_200600_302600_NS6detail15normal_iteratorINSA_10device_ptrItEEEEPS6_SG_NS0_5tupleIJSF_NSA_16discard_iteratorINSA_11use_defaultEEEEEENSH_IJSG_SG_EEES6_PlJ7is_evenItEEEE10hipError_tPvRmT3_T4_T5_T6_T7_T9_mT8_P12ihipStream_tbDpT10_ENKUlT_T0_E_clISt17integral_constantIbLb1EES18_IbLb0EEEEDaS14_S15_EUlS14_E_NS1_11comp_targetILNS1_3genE2ELNS1_11target_archE906ELNS1_3gpuE6ELNS1_3repE0EEENS1_30default_config_static_selectorELNS0_4arch9wavefront6targetE1EEEvT1_.kd
    .uniform_work_group_size: 1
    .uses_dynamic_stack: false
    .vgpr_count:     0
    .vgpr_spill_count: 0
    .wavefront_size: 64
  - .agpr_count:     0
    .args:
      - .offset:         0
        .size:           128
        .value_kind:     by_value
    .group_segment_fixed_size: 0
    .kernarg_segment_align: 8
    .kernarg_segment_size: 128
    .language:       OpenCL C
    .language_version:
      - 2
      - 0
    .max_flat_workgroup_size: 384
    .name:           _ZN7rocprim17ROCPRIM_400000_NS6detail17trampoline_kernelINS0_14default_configENS1_25partition_config_selectorILNS1_17partition_subalgoE0EtNS0_10empty_typeEbEEZZNS1_14partition_implILS5_0ELb0ES3_jN6thrust23THRUST_200600_302600_NS6detail15normal_iteratorINSA_10device_ptrItEEEEPS6_SG_NS0_5tupleIJSF_NSA_16discard_iteratorINSA_11use_defaultEEEEEENSH_IJSG_SG_EEES6_PlJ7is_evenItEEEE10hipError_tPvRmT3_T4_T5_T6_T7_T9_mT8_P12ihipStream_tbDpT10_ENKUlT_T0_E_clISt17integral_constantIbLb1EES18_IbLb0EEEEDaS14_S15_EUlS14_E_NS1_11comp_targetILNS1_3genE10ELNS1_11target_archE1200ELNS1_3gpuE4ELNS1_3repE0EEENS1_30default_config_static_selectorELNS0_4arch9wavefront6targetE1EEEvT1_
    .private_segment_fixed_size: 0
    .sgpr_count:     4
    .sgpr_spill_count: 0
    .symbol:         _ZN7rocprim17ROCPRIM_400000_NS6detail17trampoline_kernelINS0_14default_configENS1_25partition_config_selectorILNS1_17partition_subalgoE0EtNS0_10empty_typeEbEEZZNS1_14partition_implILS5_0ELb0ES3_jN6thrust23THRUST_200600_302600_NS6detail15normal_iteratorINSA_10device_ptrItEEEEPS6_SG_NS0_5tupleIJSF_NSA_16discard_iteratorINSA_11use_defaultEEEEEENSH_IJSG_SG_EEES6_PlJ7is_evenItEEEE10hipError_tPvRmT3_T4_T5_T6_T7_T9_mT8_P12ihipStream_tbDpT10_ENKUlT_T0_E_clISt17integral_constantIbLb1EES18_IbLb0EEEEDaS14_S15_EUlS14_E_NS1_11comp_targetILNS1_3genE10ELNS1_11target_archE1200ELNS1_3gpuE4ELNS1_3repE0EEENS1_30default_config_static_selectorELNS0_4arch9wavefront6targetE1EEEvT1_.kd
    .uniform_work_group_size: 1
    .uses_dynamic_stack: false
    .vgpr_count:     0
    .vgpr_spill_count: 0
    .wavefront_size: 64
  - .agpr_count:     0
    .args:
      - .offset:         0
        .size:           128
        .value_kind:     by_value
    .group_segment_fixed_size: 0
    .kernarg_segment_align: 8
    .kernarg_segment_size: 128
    .language:       OpenCL C
    .language_version:
      - 2
      - 0
    .max_flat_workgroup_size: 128
    .name:           _ZN7rocprim17ROCPRIM_400000_NS6detail17trampoline_kernelINS0_14default_configENS1_25partition_config_selectorILNS1_17partition_subalgoE0EtNS0_10empty_typeEbEEZZNS1_14partition_implILS5_0ELb0ES3_jN6thrust23THRUST_200600_302600_NS6detail15normal_iteratorINSA_10device_ptrItEEEEPS6_SG_NS0_5tupleIJSF_NSA_16discard_iteratorINSA_11use_defaultEEEEEENSH_IJSG_SG_EEES6_PlJ7is_evenItEEEE10hipError_tPvRmT3_T4_T5_T6_T7_T9_mT8_P12ihipStream_tbDpT10_ENKUlT_T0_E_clISt17integral_constantIbLb1EES18_IbLb0EEEEDaS14_S15_EUlS14_E_NS1_11comp_targetILNS1_3genE9ELNS1_11target_archE1100ELNS1_3gpuE3ELNS1_3repE0EEENS1_30default_config_static_selectorELNS0_4arch9wavefront6targetE1EEEvT1_
    .private_segment_fixed_size: 0
    .sgpr_count:     4
    .sgpr_spill_count: 0
    .symbol:         _ZN7rocprim17ROCPRIM_400000_NS6detail17trampoline_kernelINS0_14default_configENS1_25partition_config_selectorILNS1_17partition_subalgoE0EtNS0_10empty_typeEbEEZZNS1_14partition_implILS5_0ELb0ES3_jN6thrust23THRUST_200600_302600_NS6detail15normal_iteratorINSA_10device_ptrItEEEEPS6_SG_NS0_5tupleIJSF_NSA_16discard_iteratorINSA_11use_defaultEEEEEENSH_IJSG_SG_EEES6_PlJ7is_evenItEEEE10hipError_tPvRmT3_T4_T5_T6_T7_T9_mT8_P12ihipStream_tbDpT10_ENKUlT_T0_E_clISt17integral_constantIbLb1EES18_IbLb0EEEEDaS14_S15_EUlS14_E_NS1_11comp_targetILNS1_3genE9ELNS1_11target_archE1100ELNS1_3gpuE3ELNS1_3repE0EEENS1_30default_config_static_selectorELNS0_4arch9wavefront6targetE1EEEvT1_.kd
    .uniform_work_group_size: 1
    .uses_dynamic_stack: false
    .vgpr_count:     0
    .vgpr_spill_count: 0
    .wavefront_size: 64
  - .agpr_count:     0
    .args:
      - .offset:         0
        .size:           128
        .value_kind:     by_value
    .group_segment_fixed_size: 0
    .kernarg_segment_align: 8
    .kernarg_segment_size: 128
    .language:       OpenCL C
    .language_version:
      - 2
      - 0
    .max_flat_workgroup_size: 128
    .name:           _ZN7rocprim17ROCPRIM_400000_NS6detail17trampoline_kernelINS0_14default_configENS1_25partition_config_selectorILNS1_17partition_subalgoE0EtNS0_10empty_typeEbEEZZNS1_14partition_implILS5_0ELb0ES3_jN6thrust23THRUST_200600_302600_NS6detail15normal_iteratorINSA_10device_ptrItEEEEPS6_SG_NS0_5tupleIJSF_NSA_16discard_iteratorINSA_11use_defaultEEEEEENSH_IJSG_SG_EEES6_PlJ7is_evenItEEEE10hipError_tPvRmT3_T4_T5_T6_T7_T9_mT8_P12ihipStream_tbDpT10_ENKUlT_T0_E_clISt17integral_constantIbLb1EES18_IbLb0EEEEDaS14_S15_EUlS14_E_NS1_11comp_targetILNS1_3genE8ELNS1_11target_archE1030ELNS1_3gpuE2ELNS1_3repE0EEENS1_30default_config_static_selectorELNS0_4arch9wavefront6targetE1EEEvT1_
    .private_segment_fixed_size: 0
    .sgpr_count:     4
    .sgpr_spill_count: 0
    .symbol:         _ZN7rocprim17ROCPRIM_400000_NS6detail17trampoline_kernelINS0_14default_configENS1_25partition_config_selectorILNS1_17partition_subalgoE0EtNS0_10empty_typeEbEEZZNS1_14partition_implILS5_0ELb0ES3_jN6thrust23THRUST_200600_302600_NS6detail15normal_iteratorINSA_10device_ptrItEEEEPS6_SG_NS0_5tupleIJSF_NSA_16discard_iteratorINSA_11use_defaultEEEEEENSH_IJSG_SG_EEES6_PlJ7is_evenItEEEE10hipError_tPvRmT3_T4_T5_T6_T7_T9_mT8_P12ihipStream_tbDpT10_ENKUlT_T0_E_clISt17integral_constantIbLb1EES18_IbLb0EEEEDaS14_S15_EUlS14_E_NS1_11comp_targetILNS1_3genE8ELNS1_11target_archE1030ELNS1_3gpuE2ELNS1_3repE0EEENS1_30default_config_static_selectorELNS0_4arch9wavefront6targetE1EEEvT1_.kd
    .uniform_work_group_size: 1
    .uses_dynamic_stack: false
    .vgpr_count:     0
    .vgpr_spill_count: 0
    .wavefront_size: 64
  - .agpr_count:     0
    .args:
      - .offset:         0
        .size:           144
        .value_kind:     by_value
    .group_segment_fixed_size: 0
    .kernarg_segment_align: 8
    .kernarg_segment_size: 144
    .language:       OpenCL C
    .language_version:
      - 2
      - 0
    .max_flat_workgroup_size: 256
    .name:           _ZN7rocprim17ROCPRIM_400000_NS6detail17trampoline_kernelINS0_14default_configENS1_25partition_config_selectorILNS1_17partition_subalgoE0EtNS0_10empty_typeEbEEZZNS1_14partition_implILS5_0ELb0ES3_jN6thrust23THRUST_200600_302600_NS6detail15normal_iteratorINSA_10device_ptrItEEEEPS6_SG_NS0_5tupleIJSF_NSA_16discard_iteratorINSA_11use_defaultEEEEEENSH_IJSG_SG_EEES6_PlJ7is_evenItEEEE10hipError_tPvRmT3_T4_T5_T6_T7_T9_mT8_P12ihipStream_tbDpT10_ENKUlT_T0_E_clISt17integral_constantIbLb0EES18_IbLb1EEEEDaS14_S15_EUlS14_E_NS1_11comp_targetILNS1_3genE0ELNS1_11target_archE4294967295ELNS1_3gpuE0ELNS1_3repE0EEENS1_30default_config_static_selectorELNS0_4arch9wavefront6targetE1EEEvT1_
    .private_segment_fixed_size: 0
    .sgpr_count:     4
    .sgpr_spill_count: 0
    .symbol:         _ZN7rocprim17ROCPRIM_400000_NS6detail17trampoline_kernelINS0_14default_configENS1_25partition_config_selectorILNS1_17partition_subalgoE0EtNS0_10empty_typeEbEEZZNS1_14partition_implILS5_0ELb0ES3_jN6thrust23THRUST_200600_302600_NS6detail15normal_iteratorINSA_10device_ptrItEEEEPS6_SG_NS0_5tupleIJSF_NSA_16discard_iteratorINSA_11use_defaultEEEEEENSH_IJSG_SG_EEES6_PlJ7is_evenItEEEE10hipError_tPvRmT3_T4_T5_T6_T7_T9_mT8_P12ihipStream_tbDpT10_ENKUlT_T0_E_clISt17integral_constantIbLb0EES18_IbLb1EEEEDaS14_S15_EUlS14_E_NS1_11comp_targetILNS1_3genE0ELNS1_11target_archE4294967295ELNS1_3gpuE0ELNS1_3repE0EEENS1_30default_config_static_selectorELNS0_4arch9wavefront6targetE1EEEvT1_.kd
    .uniform_work_group_size: 1
    .uses_dynamic_stack: false
    .vgpr_count:     0
    .vgpr_spill_count: 0
    .wavefront_size: 64
  - .agpr_count:     0
    .args:
      - .offset:         0
        .size:           144
        .value_kind:     by_value
    .group_segment_fixed_size: 0
    .kernarg_segment_align: 8
    .kernarg_segment_size: 144
    .language:       OpenCL C
    .language_version:
      - 2
      - 0
    .max_flat_workgroup_size: 512
    .name:           _ZN7rocprim17ROCPRIM_400000_NS6detail17trampoline_kernelINS0_14default_configENS1_25partition_config_selectorILNS1_17partition_subalgoE0EtNS0_10empty_typeEbEEZZNS1_14partition_implILS5_0ELb0ES3_jN6thrust23THRUST_200600_302600_NS6detail15normal_iteratorINSA_10device_ptrItEEEEPS6_SG_NS0_5tupleIJSF_NSA_16discard_iteratorINSA_11use_defaultEEEEEENSH_IJSG_SG_EEES6_PlJ7is_evenItEEEE10hipError_tPvRmT3_T4_T5_T6_T7_T9_mT8_P12ihipStream_tbDpT10_ENKUlT_T0_E_clISt17integral_constantIbLb0EES18_IbLb1EEEEDaS14_S15_EUlS14_E_NS1_11comp_targetILNS1_3genE5ELNS1_11target_archE942ELNS1_3gpuE9ELNS1_3repE0EEENS1_30default_config_static_selectorELNS0_4arch9wavefront6targetE1EEEvT1_
    .private_segment_fixed_size: 0
    .sgpr_count:     4
    .sgpr_spill_count: 0
    .symbol:         _ZN7rocprim17ROCPRIM_400000_NS6detail17trampoline_kernelINS0_14default_configENS1_25partition_config_selectorILNS1_17partition_subalgoE0EtNS0_10empty_typeEbEEZZNS1_14partition_implILS5_0ELb0ES3_jN6thrust23THRUST_200600_302600_NS6detail15normal_iteratorINSA_10device_ptrItEEEEPS6_SG_NS0_5tupleIJSF_NSA_16discard_iteratorINSA_11use_defaultEEEEEENSH_IJSG_SG_EEES6_PlJ7is_evenItEEEE10hipError_tPvRmT3_T4_T5_T6_T7_T9_mT8_P12ihipStream_tbDpT10_ENKUlT_T0_E_clISt17integral_constantIbLb0EES18_IbLb1EEEEDaS14_S15_EUlS14_E_NS1_11comp_targetILNS1_3genE5ELNS1_11target_archE942ELNS1_3gpuE9ELNS1_3repE0EEENS1_30default_config_static_selectorELNS0_4arch9wavefront6targetE1EEEvT1_.kd
    .uniform_work_group_size: 1
    .uses_dynamic_stack: false
    .vgpr_count:     0
    .vgpr_spill_count: 0
    .wavefront_size: 64
  - .agpr_count:     0
    .args:
      - .offset:         0
        .size:           144
        .value_kind:     by_value
    .group_segment_fixed_size: 14344
    .kernarg_segment_align: 8
    .kernarg_segment_size: 144
    .language:       OpenCL C
    .language_version:
      - 2
      - 0
    .max_flat_workgroup_size: 256
    .name:           _ZN7rocprim17ROCPRIM_400000_NS6detail17trampoline_kernelINS0_14default_configENS1_25partition_config_selectorILNS1_17partition_subalgoE0EtNS0_10empty_typeEbEEZZNS1_14partition_implILS5_0ELb0ES3_jN6thrust23THRUST_200600_302600_NS6detail15normal_iteratorINSA_10device_ptrItEEEEPS6_SG_NS0_5tupleIJSF_NSA_16discard_iteratorINSA_11use_defaultEEEEEENSH_IJSG_SG_EEES6_PlJ7is_evenItEEEE10hipError_tPvRmT3_T4_T5_T6_T7_T9_mT8_P12ihipStream_tbDpT10_ENKUlT_T0_E_clISt17integral_constantIbLb0EES18_IbLb1EEEEDaS14_S15_EUlS14_E_NS1_11comp_targetILNS1_3genE4ELNS1_11target_archE910ELNS1_3gpuE8ELNS1_3repE0EEENS1_30default_config_static_selectorELNS0_4arch9wavefront6targetE1EEEvT1_
    .private_segment_fixed_size: 0
    .sgpr_count:     44
    .sgpr_spill_count: 0
    .symbol:         _ZN7rocprim17ROCPRIM_400000_NS6detail17trampoline_kernelINS0_14default_configENS1_25partition_config_selectorILNS1_17partition_subalgoE0EtNS0_10empty_typeEbEEZZNS1_14partition_implILS5_0ELb0ES3_jN6thrust23THRUST_200600_302600_NS6detail15normal_iteratorINSA_10device_ptrItEEEEPS6_SG_NS0_5tupleIJSF_NSA_16discard_iteratorINSA_11use_defaultEEEEEENSH_IJSG_SG_EEES6_PlJ7is_evenItEEEE10hipError_tPvRmT3_T4_T5_T6_T7_T9_mT8_P12ihipStream_tbDpT10_ENKUlT_T0_E_clISt17integral_constantIbLb0EES18_IbLb1EEEEDaS14_S15_EUlS14_E_NS1_11comp_targetILNS1_3genE4ELNS1_11target_archE910ELNS1_3gpuE8ELNS1_3repE0EEENS1_30default_config_static_selectorELNS0_4arch9wavefront6targetE1EEEvT1_.kd
    .uniform_work_group_size: 1
    .uses_dynamic_stack: false
    .vgpr_count:     116
    .vgpr_spill_count: 0
    .wavefront_size: 64
  - .agpr_count:     0
    .args:
      - .offset:         0
        .size:           144
        .value_kind:     by_value
    .group_segment_fixed_size: 0
    .kernarg_segment_align: 8
    .kernarg_segment_size: 144
    .language:       OpenCL C
    .language_version:
      - 2
      - 0
    .max_flat_workgroup_size: 256
    .name:           _ZN7rocprim17ROCPRIM_400000_NS6detail17trampoline_kernelINS0_14default_configENS1_25partition_config_selectorILNS1_17partition_subalgoE0EtNS0_10empty_typeEbEEZZNS1_14partition_implILS5_0ELb0ES3_jN6thrust23THRUST_200600_302600_NS6detail15normal_iteratorINSA_10device_ptrItEEEEPS6_SG_NS0_5tupleIJSF_NSA_16discard_iteratorINSA_11use_defaultEEEEEENSH_IJSG_SG_EEES6_PlJ7is_evenItEEEE10hipError_tPvRmT3_T4_T5_T6_T7_T9_mT8_P12ihipStream_tbDpT10_ENKUlT_T0_E_clISt17integral_constantIbLb0EES18_IbLb1EEEEDaS14_S15_EUlS14_E_NS1_11comp_targetILNS1_3genE3ELNS1_11target_archE908ELNS1_3gpuE7ELNS1_3repE0EEENS1_30default_config_static_selectorELNS0_4arch9wavefront6targetE1EEEvT1_
    .private_segment_fixed_size: 0
    .sgpr_count:     4
    .sgpr_spill_count: 0
    .symbol:         _ZN7rocprim17ROCPRIM_400000_NS6detail17trampoline_kernelINS0_14default_configENS1_25partition_config_selectorILNS1_17partition_subalgoE0EtNS0_10empty_typeEbEEZZNS1_14partition_implILS5_0ELb0ES3_jN6thrust23THRUST_200600_302600_NS6detail15normal_iteratorINSA_10device_ptrItEEEEPS6_SG_NS0_5tupleIJSF_NSA_16discard_iteratorINSA_11use_defaultEEEEEENSH_IJSG_SG_EEES6_PlJ7is_evenItEEEE10hipError_tPvRmT3_T4_T5_T6_T7_T9_mT8_P12ihipStream_tbDpT10_ENKUlT_T0_E_clISt17integral_constantIbLb0EES18_IbLb1EEEEDaS14_S15_EUlS14_E_NS1_11comp_targetILNS1_3genE3ELNS1_11target_archE908ELNS1_3gpuE7ELNS1_3repE0EEENS1_30default_config_static_selectorELNS0_4arch9wavefront6targetE1EEEvT1_.kd
    .uniform_work_group_size: 1
    .uses_dynamic_stack: false
    .vgpr_count:     0
    .vgpr_spill_count: 0
    .wavefront_size: 64
  - .agpr_count:     0
    .args:
      - .offset:         0
        .size:           144
        .value_kind:     by_value
    .group_segment_fixed_size: 0
    .kernarg_segment_align: 8
    .kernarg_segment_size: 144
    .language:       OpenCL C
    .language_version:
      - 2
      - 0
    .max_flat_workgroup_size: 256
    .name:           _ZN7rocprim17ROCPRIM_400000_NS6detail17trampoline_kernelINS0_14default_configENS1_25partition_config_selectorILNS1_17partition_subalgoE0EtNS0_10empty_typeEbEEZZNS1_14partition_implILS5_0ELb0ES3_jN6thrust23THRUST_200600_302600_NS6detail15normal_iteratorINSA_10device_ptrItEEEEPS6_SG_NS0_5tupleIJSF_NSA_16discard_iteratorINSA_11use_defaultEEEEEENSH_IJSG_SG_EEES6_PlJ7is_evenItEEEE10hipError_tPvRmT3_T4_T5_T6_T7_T9_mT8_P12ihipStream_tbDpT10_ENKUlT_T0_E_clISt17integral_constantIbLb0EES18_IbLb1EEEEDaS14_S15_EUlS14_E_NS1_11comp_targetILNS1_3genE2ELNS1_11target_archE906ELNS1_3gpuE6ELNS1_3repE0EEENS1_30default_config_static_selectorELNS0_4arch9wavefront6targetE1EEEvT1_
    .private_segment_fixed_size: 0
    .sgpr_count:     4
    .sgpr_spill_count: 0
    .symbol:         _ZN7rocprim17ROCPRIM_400000_NS6detail17trampoline_kernelINS0_14default_configENS1_25partition_config_selectorILNS1_17partition_subalgoE0EtNS0_10empty_typeEbEEZZNS1_14partition_implILS5_0ELb0ES3_jN6thrust23THRUST_200600_302600_NS6detail15normal_iteratorINSA_10device_ptrItEEEEPS6_SG_NS0_5tupleIJSF_NSA_16discard_iteratorINSA_11use_defaultEEEEEENSH_IJSG_SG_EEES6_PlJ7is_evenItEEEE10hipError_tPvRmT3_T4_T5_T6_T7_T9_mT8_P12ihipStream_tbDpT10_ENKUlT_T0_E_clISt17integral_constantIbLb0EES18_IbLb1EEEEDaS14_S15_EUlS14_E_NS1_11comp_targetILNS1_3genE2ELNS1_11target_archE906ELNS1_3gpuE6ELNS1_3repE0EEENS1_30default_config_static_selectorELNS0_4arch9wavefront6targetE1EEEvT1_.kd
    .uniform_work_group_size: 1
    .uses_dynamic_stack: false
    .vgpr_count:     0
    .vgpr_spill_count: 0
    .wavefront_size: 64
  - .agpr_count:     0
    .args:
      - .offset:         0
        .size:           144
        .value_kind:     by_value
    .group_segment_fixed_size: 0
    .kernarg_segment_align: 8
    .kernarg_segment_size: 144
    .language:       OpenCL C
    .language_version:
      - 2
      - 0
    .max_flat_workgroup_size: 384
    .name:           _ZN7rocprim17ROCPRIM_400000_NS6detail17trampoline_kernelINS0_14default_configENS1_25partition_config_selectorILNS1_17partition_subalgoE0EtNS0_10empty_typeEbEEZZNS1_14partition_implILS5_0ELb0ES3_jN6thrust23THRUST_200600_302600_NS6detail15normal_iteratorINSA_10device_ptrItEEEEPS6_SG_NS0_5tupleIJSF_NSA_16discard_iteratorINSA_11use_defaultEEEEEENSH_IJSG_SG_EEES6_PlJ7is_evenItEEEE10hipError_tPvRmT3_T4_T5_T6_T7_T9_mT8_P12ihipStream_tbDpT10_ENKUlT_T0_E_clISt17integral_constantIbLb0EES18_IbLb1EEEEDaS14_S15_EUlS14_E_NS1_11comp_targetILNS1_3genE10ELNS1_11target_archE1200ELNS1_3gpuE4ELNS1_3repE0EEENS1_30default_config_static_selectorELNS0_4arch9wavefront6targetE1EEEvT1_
    .private_segment_fixed_size: 0
    .sgpr_count:     4
    .sgpr_spill_count: 0
    .symbol:         _ZN7rocprim17ROCPRIM_400000_NS6detail17trampoline_kernelINS0_14default_configENS1_25partition_config_selectorILNS1_17partition_subalgoE0EtNS0_10empty_typeEbEEZZNS1_14partition_implILS5_0ELb0ES3_jN6thrust23THRUST_200600_302600_NS6detail15normal_iteratorINSA_10device_ptrItEEEEPS6_SG_NS0_5tupleIJSF_NSA_16discard_iteratorINSA_11use_defaultEEEEEENSH_IJSG_SG_EEES6_PlJ7is_evenItEEEE10hipError_tPvRmT3_T4_T5_T6_T7_T9_mT8_P12ihipStream_tbDpT10_ENKUlT_T0_E_clISt17integral_constantIbLb0EES18_IbLb1EEEEDaS14_S15_EUlS14_E_NS1_11comp_targetILNS1_3genE10ELNS1_11target_archE1200ELNS1_3gpuE4ELNS1_3repE0EEENS1_30default_config_static_selectorELNS0_4arch9wavefront6targetE1EEEvT1_.kd
    .uniform_work_group_size: 1
    .uses_dynamic_stack: false
    .vgpr_count:     0
    .vgpr_spill_count: 0
    .wavefront_size: 64
  - .agpr_count:     0
    .args:
      - .offset:         0
        .size:           144
        .value_kind:     by_value
    .group_segment_fixed_size: 0
    .kernarg_segment_align: 8
    .kernarg_segment_size: 144
    .language:       OpenCL C
    .language_version:
      - 2
      - 0
    .max_flat_workgroup_size: 128
    .name:           _ZN7rocprim17ROCPRIM_400000_NS6detail17trampoline_kernelINS0_14default_configENS1_25partition_config_selectorILNS1_17partition_subalgoE0EtNS0_10empty_typeEbEEZZNS1_14partition_implILS5_0ELb0ES3_jN6thrust23THRUST_200600_302600_NS6detail15normal_iteratorINSA_10device_ptrItEEEEPS6_SG_NS0_5tupleIJSF_NSA_16discard_iteratorINSA_11use_defaultEEEEEENSH_IJSG_SG_EEES6_PlJ7is_evenItEEEE10hipError_tPvRmT3_T4_T5_T6_T7_T9_mT8_P12ihipStream_tbDpT10_ENKUlT_T0_E_clISt17integral_constantIbLb0EES18_IbLb1EEEEDaS14_S15_EUlS14_E_NS1_11comp_targetILNS1_3genE9ELNS1_11target_archE1100ELNS1_3gpuE3ELNS1_3repE0EEENS1_30default_config_static_selectorELNS0_4arch9wavefront6targetE1EEEvT1_
    .private_segment_fixed_size: 0
    .sgpr_count:     4
    .sgpr_spill_count: 0
    .symbol:         _ZN7rocprim17ROCPRIM_400000_NS6detail17trampoline_kernelINS0_14default_configENS1_25partition_config_selectorILNS1_17partition_subalgoE0EtNS0_10empty_typeEbEEZZNS1_14partition_implILS5_0ELb0ES3_jN6thrust23THRUST_200600_302600_NS6detail15normal_iteratorINSA_10device_ptrItEEEEPS6_SG_NS0_5tupleIJSF_NSA_16discard_iteratorINSA_11use_defaultEEEEEENSH_IJSG_SG_EEES6_PlJ7is_evenItEEEE10hipError_tPvRmT3_T4_T5_T6_T7_T9_mT8_P12ihipStream_tbDpT10_ENKUlT_T0_E_clISt17integral_constantIbLb0EES18_IbLb1EEEEDaS14_S15_EUlS14_E_NS1_11comp_targetILNS1_3genE9ELNS1_11target_archE1100ELNS1_3gpuE3ELNS1_3repE0EEENS1_30default_config_static_selectorELNS0_4arch9wavefront6targetE1EEEvT1_.kd
    .uniform_work_group_size: 1
    .uses_dynamic_stack: false
    .vgpr_count:     0
    .vgpr_spill_count: 0
    .wavefront_size: 64
  - .agpr_count:     0
    .args:
      - .offset:         0
        .size:           144
        .value_kind:     by_value
    .group_segment_fixed_size: 0
    .kernarg_segment_align: 8
    .kernarg_segment_size: 144
    .language:       OpenCL C
    .language_version:
      - 2
      - 0
    .max_flat_workgroup_size: 128
    .name:           _ZN7rocprim17ROCPRIM_400000_NS6detail17trampoline_kernelINS0_14default_configENS1_25partition_config_selectorILNS1_17partition_subalgoE0EtNS0_10empty_typeEbEEZZNS1_14partition_implILS5_0ELb0ES3_jN6thrust23THRUST_200600_302600_NS6detail15normal_iteratorINSA_10device_ptrItEEEEPS6_SG_NS0_5tupleIJSF_NSA_16discard_iteratorINSA_11use_defaultEEEEEENSH_IJSG_SG_EEES6_PlJ7is_evenItEEEE10hipError_tPvRmT3_T4_T5_T6_T7_T9_mT8_P12ihipStream_tbDpT10_ENKUlT_T0_E_clISt17integral_constantIbLb0EES18_IbLb1EEEEDaS14_S15_EUlS14_E_NS1_11comp_targetILNS1_3genE8ELNS1_11target_archE1030ELNS1_3gpuE2ELNS1_3repE0EEENS1_30default_config_static_selectorELNS0_4arch9wavefront6targetE1EEEvT1_
    .private_segment_fixed_size: 0
    .sgpr_count:     4
    .sgpr_spill_count: 0
    .symbol:         _ZN7rocprim17ROCPRIM_400000_NS6detail17trampoline_kernelINS0_14default_configENS1_25partition_config_selectorILNS1_17partition_subalgoE0EtNS0_10empty_typeEbEEZZNS1_14partition_implILS5_0ELb0ES3_jN6thrust23THRUST_200600_302600_NS6detail15normal_iteratorINSA_10device_ptrItEEEEPS6_SG_NS0_5tupleIJSF_NSA_16discard_iteratorINSA_11use_defaultEEEEEENSH_IJSG_SG_EEES6_PlJ7is_evenItEEEE10hipError_tPvRmT3_T4_T5_T6_T7_T9_mT8_P12ihipStream_tbDpT10_ENKUlT_T0_E_clISt17integral_constantIbLb0EES18_IbLb1EEEEDaS14_S15_EUlS14_E_NS1_11comp_targetILNS1_3genE8ELNS1_11target_archE1030ELNS1_3gpuE2ELNS1_3repE0EEENS1_30default_config_static_selectorELNS0_4arch9wavefront6targetE1EEEvT1_.kd
    .uniform_work_group_size: 1
    .uses_dynamic_stack: false
    .vgpr_count:     0
    .vgpr_spill_count: 0
    .wavefront_size: 64
  - .agpr_count:     0
    .args:
      - .offset:         0
        .size:           128
        .value_kind:     by_value
    .group_segment_fixed_size: 0
    .kernarg_segment_align: 8
    .kernarg_segment_size: 128
    .language:       OpenCL C
    .language_version:
      - 2
      - 0
    .max_flat_workgroup_size: 256
    .name:           _ZN7rocprim17ROCPRIM_400000_NS6detail17trampoline_kernelINS0_14default_configENS1_25partition_config_selectorILNS1_17partition_subalgoE0EtNS0_10empty_typeEbEEZZNS1_14partition_implILS5_0ELb0ES3_jN6thrust23THRUST_200600_302600_NS6detail15normal_iteratorINSA_10device_ptrItEEEEPS6_SG_NS0_5tupleIJNSA_16discard_iteratorINSA_11use_defaultEEESF_EEENSH_IJSG_SG_EEES6_PlJ7is_evenItEEEE10hipError_tPvRmT3_T4_T5_T6_T7_T9_mT8_P12ihipStream_tbDpT10_ENKUlT_T0_E_clISt17integral_constantIbLb0EES19_EEDaS14_S15_EUlS14_E_NS1_11comp_targetILNS1_3genE0ELNS1_11target_archE4294967295ELNS1_3gpuE0ELNS1_3repE0EEENS1_30default_config_static_selectorELNS0_4arch9wavefront6targetE1EEEvT1_
    .private_segment_fixed_size: 0
    .sgpr_count:     4
    .sgpr_spill_count: 0
    .symbol:         _ZN7rocprim17ROCPRIM_400000_NS6detail17trampoline_kernelINS0_14default_configENS1_25partition_config_selectorILNS1_17partition_subalgoE0EtNS0_10empty_typeEbEEZZNS1_14partition_implILS5_0ELb0ES3_jN6thrust23THRUST_200600_302600_NS6detail15normal_iteratorINSA_10device_ptrItEEEEPS6_SG_NS0_5tupleIJNSA_16discard_iteratorINSA_11use_defaultEEESF_EEENSH_IJSG_SG_EEES6_PlJ7is_evenItEEEE10hipError_tPvRmT3_T4_T5_T6_T7_T9_mT8_P12ihipStream_tbDpT10_ENKUlT_T0_E_clISt17integral_constantIbLb0EES19_EEDaS14_S15_EUlS14_E_NS1_11comp_targetILNS1_3genE0ELNS1_11target_archE4294967295ELNS1_3gpuE0ELNS1_3repE0EEENS1_30default_config_static_selectorELNS0_4arch9wavefront6targetE1EEEvT1_.kd
    .uniform_work_group_size: 1
    .uses_dynamic_stack: false
    .vgpr_count:     0
    .vgpr_spill_count: 0
    .wavefront_size: 64
  - .agpr_count:     0
    .args:
      - .offset:         0
        .size:           128
        .value_kind:     by_value
    .group_segment_fixed_size: 0
    .kernarg_segment_align: 8
    .kernarg_segment_size: 128
    .language:       OpenCL C
    .language_version:
      - 2
      - 0
    .max_flat_workgroup_size: 512
    .name:           _ZN7rocprim17ROCPRIM_400000_NS6detail17trampoline_kernelINS0_14default_configENS1_25partition_config_selectorILNS1_17partition_subalgoE0EtNS0_10empty_typeEbEEZZNS1_14partition_implILS5_0ELb0ES3_jN6thrust23THRUST_200600_302600_NS6detail15normal_iteratorINSA_10device_ptrItEEEEPS6_SG_NS0_5tupleIJNSA_16discard_iteratorINSA_11use_defaultEEESF_EEENSH_IJSG_SG_EEES6_PlJ7is_evenItEEEE10hipError_tPvRmT3_T4_T5_T6_T7_T9_mT8_P12ihipStream_tbDpT10_ENKUlT_T0_E_clISt17integral_constantIbLb0EES19_EEDaS14_S15_EUlS14_E_NS1_11comp_targetILNS1_3genE5ELNS1_11target_archE942ELNS1_3gpuE9ELNS1_3repE0EEENS1_30default_config_static_selectorELNS0_4arch9wavefront6targetE1EEEvT1_
    .private_segment_fixed_size: 0
    .sgpr_count:     4
    .sgpr_spill_count: 0
    .symbol:         _ZN7rocprim17ROCPRIM_400000_NS6detail17trampoline_kernelINS0_14default_configENS1_25partition_config_selectorILNS1_17partition_subalgoE0EtNS0_10empty_typeEbEEZZNS1_14partition_implILS5_0ELb0ES3_jN6thrust23THRUST_200600_302600_NS6detail15normal_iteratorINSA_10device_ptrItEEEEPS6_SG_NS0_5tupleIJNSA_16discard_iteratorINSA_11use_defaultEEESF_EEENSH_IJSG_SG_EEES6_PlJ7is_evenItEEEE10hipError_tPvRmT3_T4_T5_T6_T7_T9_mT8_P12ihipStream_tbDpT10_ENKUlT_T0_E_clISt17integral_constantIbLb0EES19_EEDaS14_S15_EUlS14_E_NS1_11comp_targetILNS1_3genE5ELNS1_11target_archE942ELNS1_3gpuE9ELNS1_3repE0EEENS1_30default_config_static_selectorELNS0_4arch9wavefront6targetE1EEEvT1_.kd
    .uniform_work_group_size: 1
    .uses_dynamic_stack: false
    .vgpr_count:     0
    .vgpr_spill_count: 0
    .wavefront_size: 64
  - .agpr_count:     0
    .args:
      - .offset:         0
        .size:           128
        .value_kind:     by_value
    .group_segment_fixed_size: 14344
    .kernarg_segment_align: 8
    .kernarg_segment_size: 128
    .language:       OpenCL C
    .language_version:
      - 2
      - 0
    .max_flat_workgroup_size: 256
    .name:           _ZN7rocprim17ROCPRIM_400000_NS6detail17trampoline_kernelINS0_14default_configENS1_25partition_config_selectorILNS1_17partition_subalgoE0EtNS0_10empty_typeEbEEZZNS1_14partition_implILS5_0ELb0ES3_jN6thrust23THRUST_200600_302600_NS6detail15normal_iteratorINSA_10device_ptrItEEEEPS6_SG_NS0_5tupleIJNSA_16discard_iteratorINSA_11use_defaultEEESF_EEENSH_IJSG_SG_EEES6_PlJ7is_evenItEEEE10hipError_tPvRmT3_T4_T5_T6_T7_T9_mT8_P12ihipStream_tbDpT10_ENKUlT_T0_E_clISt17integral_constantIbLb0EES19_EEDaS14_S15_EUlS14_E_NS1_11comp_targetILNS1_3genE4ELNS1_11target_archE910ELNS1_3gpuE8ELNS1_3repE0EEENS1_30default_config_static_selectorELNS0_4arch9wavefront6targetE1EEEvT1_
    .private_segment_fixed_size: 0
    .sgpr_count:     48
    .sgpr_spill_count: 0
    .symbol:         _ZN7rocprim17ROCPRIM_400000_NS6detail17trampoline_kernelINS0_14default_configENS1_25partition_config_selectorILNS1_17partition_subalgoE0EtNS0_10empty_typeEbEEZZNS1_14partition_implILS5_0ELb0ES3_jN6thrust23THRUST_200600_302600_NS6detail15normal_iteratorINSA_10device_ptrItEEEEPS6_SG_NS0_5tupleIJNSA_16discard_iteratorINSA_11use_defaultEEESF_EEENSH_IJSG_SG_EEES6_PlJ7is_evenItEEEE10hipError_tPvRmT3_T4_T5_T6_T7_T9_mT8_P12ihipStream_tbDpT10_ENKUlT_T0_E_clISt17integral_constantIbLb0EES19_EEDaS14_S15_EUlS14_E_NS1_11comp_targetILNS1_3genE4ELNS1_11target_archE910ELNS1_3gpuE8ELNS1_3repE0EEENS1_30default_config_static_selectorELNS0_4arch9wavefront6targetE1EEEvT1_.kd
    .uniform_work_group_size: 1
    .uses_dynamic_stack: false
    .vgpr_count:     114
    .vgpr_spill_count: 0
    .wavefront_size: 64
  - .agpr_count:     0
    .args:
      - .offset:         0
        .size:           128
        .value_kind:     by_value
    .group_segment_fixed_size: 0
    .kernarg_segment_align: 8
    .kernarg_segment_size: 128
    .language:       OpenCL C
    .language_version:
      - 2
      - 0
    .max_flat_workgroup_size: 256
    .name:           _ZN7rocprim17ROCPRIM_400000_NS6detail17trampoline_kernelINS0_14default_configENS1_25partition_config_selectorILNS1_17partition_subalgoE0EtNS0_10empty_typeEbEEZZNS1_14partition_implILS5_0ELb0ES3_jN6thrust23THRUST_200600_302600_NS6detail15normal_iteratorINSA_10device_ptrItEEEEPS6_SG_NS0_5tupleIJNSA_16discard_iteratorINSA_11use_defaultEEESF_EEENSH_IJSG_SG_EEES6_PlJ7is_evenItEEEE10hipError_tPvRmT3_T4_T5_T6_T7_T9_mT8_P12ihipStream_tbDpT10_ENKUlT_T0_E_clISt17integral_constantIbLb0EES19_EEDaS14_S15_EUlS14_E_NS1_11comp_targetILNS1_3genE3ELNS1_11target_archE908ELNS1_3gpuE7ELNS1_3repE0EEENS1_30default_config_static_selectorELNS0_4arch9wavefront6targetE1EEEvT1_
    .private_segment_fixed_size: 0
    .sgpr_count:     4
    .sgpr_spill_count: 0
    .symbol:         _ZN7rocprim17ROCPRIM_400000_NS6detail17trampoline_kernelINS0_14default_configENS1_25partition_config_selectorILNS1_17partition_subalgoE0EtNS0_10empty_typeEbEEZZNS1_14partition_implILS5_0ELb0ES3_jN6thrust23THRUST_200600_302600_NS6detail15normal_iteratorINSA_10device_ptrItEEEEPS6_SG_NS0_5tupleIJNSA_16discard_iteratorINSA_11use_defaultEEESF_EEENSH_IJSG_SG_EEES6_PlJ7is_evenItEEEE10hipError_tPvRmT3_T4_T5_T6_T7_T9_mT8_P12ihipStream_tbDpT10_ENKUlT_T0_E_clISt17integral_constantIbLb0EES19_EEDaS14_S15_EUlS14_E_NS1_11comp_targetILNS1_3genE3ELNS1_11target_archE908ELNS1_3gpuE7ELNS1_3repE0EEENS1_30default_config_static_selectorELNS0_4arch9wavefront6targetE1EEEvT1_.kd
    .uniform_work_group_size: 1
    .uses_dynamic_stack: false
    .vgpr_count:     0
    .vgpr_spill_count: 0
    .wavefront_size: 64
  - .agpr_count:     0
    .args:
      - .offset:         0
        .size:           128
        .value_kind:     by_value
    .group_segment_fixed_size: 0
    .kernarg_segment_align: 8
    .kernarg_segment_size: 128
    .language:       OpenCL C
    .language_version:
      - 2
      - 0
    .max_flat_workgroup_size: 256
    .name:           _ZN7rocprim17ROCPRIM_400000_NS6detail17trampoline_kernelINS0_14default_configENS1_25partition_config_selectorILNS1_17partition_subalgoE0EtNS0_10empty_typeEbEEZZNS1_14partition_implILS5_0ELb0ES3_jN6thrust23THRUST_200600_302600_NS6detail15normal_iteratorINSA_10device_ptrItEEEEPS6_SG_NS0_5tupleIJNSA_16discard_iteratorINSA_11use_defaultEEESF_EEENSH_IJSG_SG_EEES6_PlJ7is_evenItEEEE10hipError_tPvRmT3_T4_T5_T6_T7_T9_mT8_P12ihipStream_tbDpT10_ENKUlT_T0_E_clISt17integral_constantIbLb0EES19_EEDaS14_S15_EUlS14_E_NS1_11comp_targetILNS1_3genE2ELNS1_11target_archE906ELNS1_3gpuE6ELNS1_3repE0EEENS1_30default_config_static_selectorELNS0_4arch9wavefront6targetE1EEEvT1_
    .private_segment_fixed_size: 0
    .sgpr_count:     4
    .sgpr_spill_count: 0
    .symbol:         _ZN7rocprim17ROCPRIM_400000_NS6detail17trampoline_kernelINS0_14default_configENS1_25partition_config_selectorILNS1_17partition_subalgoE0EtNS0_10empty_typeEbEEZZNS1_14partition_implILS5_0ELb0ES3_jN6thrust23THRUST_200600_302600_NS6detail15normal_iteratorINSA_10device_ptrItEEEEPS6_SG_NS0_5tupleIJNSA_16discard_iteratorINSA_11use_defaultEEESF_EEENSH_IJSG_SG_EEES6_PlJ7is_evenItEEEE10hipError_tPvRmT3_T4_T5_T6_T7_T9_mT8_P12ihipStream_tbDpT10_ENKUlT_T0_E_clISt17integral_constantIbLb0EES19_EEDaS14_S15_EUlS14_E_NS1_11comp_targetILNS1_3genE2ELNS1_11target_archE906ELNS1_3gpuE6ELNS1_3repE0EEENS1_30default_config_static_selectorELNS0_4arch9wavefront6targetE1EEEvT1_.kd
    .uniform_work_group_size: 1
    .uses_dynamic_stack: false
    .vgpr_count:     0
    .vgpr_spill_count: 0
    .wavefront_size: 64
  - .agpr_count:     0
    .args:
      - .offset:         0
        .size:           128
        .value_kind:     by_value
    .group_segment_fixed_size: 0
    .kernarg_segment_align: 8
    .kernarg_segment_size: 128
    .language:       OpenCL C
    .language_version:
      - 2
      - 0
    .max_flat_workgroup_size: 384
    .name:           _ZN7rocprim17ROCPRIM_400000_NS6detail17trampoline_kernelINS0_14default_configENS1_25partition_config_selectorILNS1_17partition_subalgoE0EtNS0_10empty_typeEbEEZZNS1_14partition_implILS5_0ELb0ES3_jN6thrust23THRUST_200600_302600_NS6detail15normal_iteratorINSA_10device_ptrItEEEEPS6_SG_NS0_5tupleIJNSA_16discard_iteratorINSA_11use_defaultEEESF_EEENSH_IJSG_SG_EEES6_PlJ7is_evenItEEEE10hipError_tPvRmT3_T4_T5_T6_T7_T9_mT8_P12ihipStream_tbDpT10_ENKUlT_T0_E_clISt17integral_constantIbLb0EES19_EEDaS14_S15_EUlS14_E_NS1_11comp_targetILNS1_3genE10ELNS1_11target_archE1200ELNS1_3gpuE4ELNS1_3repE0EEENS1_30default_config_static_selectorELNS0_4arch9wavefront6targetE1EEEvT1_
    .private_segment_fixed_size: 0
    .sgpr_count:     4
    .sgpr_spill_count: 0
    .symbol:         _ZN7rocprim17ROCPRIM_400000_NS6detail17trampoline_kernelINS0_14default_configENS1_25partition_config_selectorILNS1_17partition_subalgoE0EtNS0_10empty_typeEbEEZZNS1_14partition_implILS5_0ELb0ES3_jN6thrust23THRUST_200600_302600_NS6detail15normal_iteratorINSA_10device_ptrItEEEEPS6_SG_NS0_5tupleIJNSA_16discard_iteratorINSA_11use_defaultEEESF_EEENSH_IJSG_SG_EEES6_PlJ7is_evenItEEEE10hipError_tPvRmT3_T4_T5_T6_T7_T9_mT8_P12ihipStream_tbDpT10_ENKUlT_T0_E_clISt17integral_constantIbLb0EES19_EEDaS14_S15_EUlS14_E_NS1_11comp_targetILNS1_3genE10ELNS1_11target_archE1200ELNS1_3gpuE4ELNS1_3repE0EEENS1_30default_config_static_selectorELNS0_4arch9wavefront6targetE1EEEvT1_.kd
    .uniform_work_group_size: 1
    .uses_dynamic_stack: false
    .vgpr_count:     0
    .vgpr_spill_count: 0
    .wavefront_size: 64
  - .agpr_count:     0
    .args:
      - .offset:         0
        .size:           128
        .value_kind:     by_value
    .group_segment_fixed_size: 0
    .kernarg_segment_align: 8
    .kernarg_segment_size: 128
    .language:       OpenCL C
    .language_version:
      - 2
      - 0
    .max_flat_workgroup_size: 128
    .name:           _ZN7rocprim17ROCPRIM_400000_NS6detail17trampoline_kernelINS0_14default_configENS1_25partition_config_selectorILNS1_17partition_subalgoE0EtNS0_10empty_typeEbEEZZNS1_14partition_implILS5_0ELb0ES3_jN6thrust23THRUST_200600_302600_NS6detail15normal_iteratorINSA_10device_ptrItEEEEPS6_SG_NS0_5tupleIJNSA_16discard_iteratorINSA_11use_defaultEEESF_EEENSH_IJSG_SG_EEES6_PlJ7is_evenItEEEE10hipError_tPvRmT3_T4_T5_T6_T7_T9_mT8_P12ihipStream_tbDpT10_ENKUlT_T0_E_clISt17integral_constantIbLb0EES19_EEDaS14_S15_EUlS14_E_NS1_11comp_targetILNS1_3genE9ELNS1_11target_archE1100ELNS1_3gpuE3ELNS1_3repE0EEENS1_30default_config_static_selectorELNS0_4arch9wavefront6targetE1EEEvT1_
    .private_segment_fixed_size: 0
    .sgpr_count:     4
    .sgpr_spill_count: 0
    .symbol:         _ZN7rocprim17ROCPRIM_400000_NS6detail17trampoline_kernelINS0_14default_configENS1_25partition_config_selectorILNS1_17partition_subalgoE0EtNS0_10empty_typeEbEEZZNS1_14partition_implILS5_0ELb0ES3_jN6thrust23THRUST_200600_302600_NS6detail15normal_iteratorINSA_10device_ptrItEEEEPS6_SG_NS0_5tupleIJNSA_16discard_iteratorINSA_11use_defaultEEESF_EEENSH_IJSG_SG_EEES6_PlJ7is_evenItEEEE10hipError_tPvRmT3_T4_T5_T6_T7_T9_mT8_P12ihipStream_tbDpT10_ENKUlT_T0_E_clISt17integral_constantIbLb0EES19_EEDaS14_S15_EUlS14_E_NS1_11comp_targetILNS1_3genE9ELNS1_11target_archE1100ELNS1_3gpuE3ELNS1_3repE0EEENS1_30default_config_static_selectorELNS0_4arch9wavefront6targetE1EEEvT1_.kd
    .uniform_work_group_size: 1
    .uses_dynamic_stack: false
    .vgpr_count:     0
    .vgpr_spill_count: 0
    .wavefront_size: 64
  - .agpr_count:     0
    .args:
      - .offset:         0
        .size:           128
        .value_kind:     by_value
    .group_segment_fixed_size: 0
    .kernarg_segment_align: 8
    .kernarg_segment_size: 128
    .language:       OpenCL C
    .language_version:
      - 2
      - 0
    .max_flat_workgroup_size: 128
    .name:           _ZN7rocprim17ROCPRIM_400000_NS6detail17trampoline_kernelINS0_14default_configENS1_25partition_config_selectorILNS1_17partition_subalgoE0EtNS0_10empty_typeEbEEZZNS1_14partition_implILS5_0ELb0ES3_jN6thrust23THRUST_200600_302600_NS6detail15normal_iteratorINSA_10device_ptrItEEEEPS6_SG_NS0_5tupleIJNSA_16discard_iteratorINSA_11use_defaultEEESF_EEENSH_IJSG_SG_EEES6_PlJ7is_evenItEEEE10hipError_tPvRmT3_T4_T5_T6_T7_T9_mT8_P12ihipStream_tbDpT10_ENKUlT_T0_E_clISt17integral_constantIbLb0EES19_EEDaS14_S15_EUlS14_E_NS1_11comp_targetILNS1_3genE8ELNS1_11target_archE1030ELNS1_3gpuE2ELNS1_3repE0EEENS1_30default_config_static_selectorELNS0_4arch9wavefront6targetE1EEEvT1_
    .private_segment_fixed_size: 0
    .sgpr_count:     4
    .sgpr_spill_count: 0
    .symbol:         _ZN7rocprim17ROCPRIM_400000_NS6detail17trampoline_kernelINS0_14default_configENS1_25partition_config_selectorILNS1_17partition_subalgoE0EtNS0_10empty_typeEbEEZZNS1_14partition_implILS5_0ELb0ES3_jN6thrust23THRUST_200600_302600_NS6detail15normal_iteratorINSA_10device_ptrItEEEEPS6_SG_NS0_5tupleIJNSA_16discard_iteratorINSA_11use_defaultEEESF_EEENSH_IJSG_SG_EEES6_PlJ7is_evenItEEEE10hipError_tPvRmT3_T4_T5_T6_T7_T9_mT8_P12ihipStream_tbDpT10_ENKUlT_T0_E_clISt17integral_constantIbLb0EES19_EEDaS14_S15_EUlS14_E_NS1_11comp_targetILNS1_3genE8ELNS1_11target_archE1030ELNS1_3gpuE2ELNS1_3repE0EEENS1_30default_config_static_selectorELNS0_4arch9wavefront6targetE1EEEvT1_.kd
    .uniform_work_group_size: 1
    .uses_dynamic_stack: false
    .vgpr_count:     0
    .vgpr_spill_count: 0
    .wavefront_size: 64
  - .agpr_count:     0
    .args:
      - .offset:         0
        .size:           144
        .value_kind:     by_value
    .group_segment_fixed_size: 0
    .kernarg_segment_align: 8
    .kernarg_segment_size: 144
    .language:       OpenCL C
    .language_version:
      - 2
      - 0
    .max_flat_workgroup_size: 256
    .name:           _ZN7rocprim17ROCPRIM_400000_NS6detail17trampoline_kernelINS0_14default_configENS1_25partition_config_selectorILNS1_17partition_subalgoE0EtNS0_10empty_typeEbEEZZNS1_14partition_implILS5_0ELb0ES3_jN6thrust23THRUST_200600_302600_NS6detail15normal_iteratorINSA_10device_ptrItEEEEPS6_SG_NS0_5tupleIJNSA_16discard_iteratorINSA_11use_defaultEEESF_EEENSH_IJSG_SG_EEES6_PlJ7is_evenItEEEE10hipError_tPvRmT3_T4_T5_T6_T7_T9_mT8_P12ihipStream_tbDpT10_ENKUlT_T0_E_clISt17integral_constantIbLb1EES19_EEDaS14_S15_EUlS14_E_NS1_11comp_targetILNS1_3genE0ELNS1_11target_archE4294967295ELNS1_3gpuE0ELNS1_3repE0EEENS1_30default_config_static_selectorELNS0_4arch9wavefront6targetE1EEEvT1_
    .private_segment_fixed_size: 0
    .sgpr_count:     4
    .sgpr_spill_count: 0
    .symbol:         _ZN7rocprim17ROCPRIM_400000_NS6detail17trampoline_kernelINS0_14default_configENS1_25partition_config_selectorILNS1_17partition_subalgoE0EtNS0_10empty_typeEbEEZZNS1_14partition_implILS5_0ELb0ES3_jN6thrust23THRUST_200600_302600_NS6detail15normal_iteratorINSA_10device_ptrItEEEEPS6_SG_NS0_5tupleIJNSA_16discard_iteratorINSA_11use_defaultEEESF_EEENSH_IJSG_SG_EEES6_PlJ7is_evenItEEEE10hipError_tPvRmT3_T4_T5_T6_T7_T9_mT8_P12ihipStream_tbDpT10_ENKUlT_T0_E_clISt17integral_constantIbLb1EES19_EEDaS14_S15_EUlS14_E_NS1_11comp_targetILNS1_3genE0ELNS1_11target_archE4294967295ELNS1_3gpuE0ELNS1_3repE0EEENS1_30default_config_static_selectorELNS0_4arch9wavefront6targetE1EEEvT1_.kd
    .uniform_work_group_size: 1
    .uses_dynamic_stack: false
    .vgpr_count:     0
    .vgpr_spill_count: 0
    .wavefront_size: 64
  - .agpr_count:     0
    .args:
      - .offset:         0
        .size:           144
        .value_kind:     by_value
    .group_segment_fixed_size: 0
    .kernarg_segment_align: 8
    .kernarg_segment_size: 144
    .language:       OpenCL C
    .language_version:
      - 2
      - 0
    .max_flat_workgroup_size: 512
    .name:           _ZN7rocprim17ROCPRIM_400000_NS6detail17trampoline_kernelINS0_14default_configENS1_25partition_config_selectorILNS1_17partition_subalgoE0EtNS0_10empty_typeEbEEZZNS1_14partition_implILS5_0ELb0ES3_jN6thrust23THRUST_200600_302600_NS6detail15normal_iteratorINSA_10device_ptrItEEEEPS6_SG_NS0_5tupleIJNSA_16discard_iteratorINSA_11use_defaultEEESF_EEENSH_IJSG_SG_EEES6_PlJ7is_evenItEEEE10hipError_tPvRmT3_T4_T5_T6_T7_T9_mT8_P12ihipStream_tbDpT10_ENKUlT_T0_E_clISt17integral_constantIbLb1EES19_EEDaS14_S15_EUlS14_E_NS1_11comp_targetILNS1_3genE5ELNS1_11target_archE942ELNS1_3gpuE9ELNS1_3repE0EEENS1_30default_config_static_selectorELNS0_4arch9wavefront6targetE1EEEvT1_
    .private_segment_fixed_size: 0
    .sgpr_count:     4
    .sgpr_spill_count: 0
    .symbol:         _ZN7rocprim17ROCPRIM_400000_NS6detail17trampoline_kernelINS0_14default_configENS1_25partition_config_selectorILNS1_17partition_subalgoE0EtNS0_10empty_typeEbEEZZNS1_14partition_implILS5_0ELb0ES3_jN6thrust23THRUST_200600_302600_NS6detail15normal_iteratorINSA_10device_ptrItEEEEPS6_SG_NS0_5tupleIJNSA_16discard_iteratorINSA_11use_defaultEEESF_EEENSH_IJSG_SG_EEES6_PlJ7is_evenItEEEE10hipError_tPvRmT3_T4_T5_T6_T7_T9_mT8_P12ihipStream_tbDpT10_ENKUlT_T0_E_clISt17integral_constantIbLb1EES19_EEDaS14_S15_EUlS14_E_NS1_11comp_targetILNS1_3genE5ELNS1_11target_archE942ELNS1_3gpuE9ELNS1_3repE0EEENS1_30default_config_static_selectorELNS0_4arch9wavefront6targetE1EEEvT1_.kd
    .uniform_work_group_size: 1
    .uses_dynamic_stack: false
    .vgpr_count:     0
    .vgpr_spill_count: 0
    .wavefront_size: 64
  - .agpr_count:     0
    .args:
      - .offset:         0
        .size:           144
        .value_kind:     by_value
    .group_segment_fixed_size: 14344
    .kernarg_segment_align: 8
    .kernarg_segment_size: 144
    .language:       OpenCL C
    .language_version:
      - 2
      - 0
    .max_flat_workgroup_size: 256
    .name:           _ZN7rocprim17ROCPRIM_400000_NS6detail17trampoline_kernelINS0_14default_configENS1_25partition_config_selectorILNS1_17partition_subalgoE0EtNS0_10empty_typeEbEEZZNS1_14partition_implILS5_0ELb0ES3_jN6thrust23THRUST_200600_302600_NS6detail15normal_iteratorINSA_10device_ptrItEEEEPS6_SG_NS0_5tupleIJNSA_16discard_iteratorINSA_11use_defaultEEESF_EEENSH_IJSG_SG_EEES6_PlJ7is_evenItEEEE10hipError_tPvRmT3_T4_T5_T6_T7_T9_mT8_P12ihipStream_tbDpT10_ENKUlT_T0_E_clISt17integral_constantIbLb1EES19_EEDaS14_S15_EUlS14_E_NS1_11comp_targetILNS1_3genE4ELNS1_11target_archE910ELNS1_3gpuE8ELNS1_3repE0EEENS1_30default_config_static_selectorELNS0_4arch9wavefront6targetE1EEEvT1_
    .private_segment_fixed_size: 0
    .sgpr_count:     46
    .sgpr_spill_count: 0
    .symbol:         _ZN7rocprim17ROCPRIM_400000_NS6detail17trampoline_kernelINS0_14default_configENS1_25partition_config_selectorILNS1_17partition_subalgoE0EtNS0_10empty_typeEbEEZZNS1_14partition_implILS5_0ELb0ES3_jN6thrust23THRUST_200600_302600_NS6detail15normal_iteratorINSA_10device_ptrItEEEEPS6_SG_NS0_5tupleIJNSA_16discard_iteratorINSA_11use_defaultEEESF_EEENSH_IJSG_SG_EEES6_PlJ7is_evenItEEEE10hipError_tPvRmT3_T4_T5_T6_T7_T9_mT8_P12ihipStream_tbDpT10_ENKUlT_T0_E_clISt17integral_constantIbLb1EES19_EEDaS14_S15_EUlS14_E_NS1_11comp_targetILNS1_3genE4ELNS1_11target_archE910ELNS1_3gpuE8ELNS1_3repE0EEENS1_30default_config_static_selectorELNS0_4arch9wavefront6targetE1EEEvT1_.kd
    .uniform_work_group_size: 1
    .uses_dynamic_stack: false
    .vgpr_count:     118
    .vgpr_spill_count: 0
    .wavefront_size: 64
  - .agpr_count:     0
    .args:
      - .offset:         0
        .size:           144
        .value_kind:     by_value
    .group_segment_fixed_size: 0
    .kernarg_segment_align: 8
    .kernarg_segment_size: 144
    .language:       OpenCL C
    .language_version:
      - 2
      - 0
    .max_flat_workgroup_size: 256
    .name:           _ZN7rocprim17ROCPRIM_400000_NS6detail17trampoline_kernelINS0_14default_configENS1_25partition_config_selectorILNS1_17partition_subalgoE0EtNS0_10empty_typeEbEEZZNS1_14partition_implILS5_0ELb0ES3_jN6thrust23THRUST_200600_302600_NS6detail15normal_iteratorINSA_10device_ptrItEEEEPS6_SG_NS0_5tupleIJNSA_16discard_iteratorINSA_11use_defaultEEESF_EEENSH_IJSG_SG_EEES6_PlJ7is_evenItEEEE10hipError_tPvRmT3_T4_T5_T6_T7_T9_mT8_P12ihipStream_tbDpT10_ENKUlT_T0_E_clISt17integral_constantIbLb1EES19_EEDaS14_S15_EUlS14_E_NS1_11comp_targetILNS1_3genE3ELNS1_11target_archE908ELNS1_3gpuE7ELNS1_3repE0EEENS1_30default_config_static_selectorELNS0_4arch9wavefront6targetE1EEEvT1_
    .private_segment_fixed_size: 0
    .sgpr_count:     4
    .sgpr_spill_count: 0
    .symbol:         _ZN7rocprim17ROCPRIM_400000_NS6detail17trampoline_kernelINS0_14default_configENS1_25partition_config_selectorILNS1_17partition_subalgoE0EtNS0_10empty_typeEbEEZZNS1_14partition_implILS5_0ELb0ES3_jN6thrust23THRUST_200600_302600_NS6detail15normal_iteratorINSA_10device_ptrItEEEEPS6_SG_NS0_5tupleIJNSA_16discard_iteratorINSA_11use_defaultEEESF_EEENSH_IJSG_SG_EEES6_PlJ7is_evenItEEEE10hipError_tPvRmT3_T4_T5_T6_T7_T9_mT8_P12ihipStream_tbDpT10_ENKUlT_T0_E_clISt17integral_constantIbLb1EES19_EEDaS14_S15_EUlS14_E_NS1_11comp_targetILNS1_3genE3ELNS1_11target_archE908ELNS1_3gpuE7ELNS1_3repE0EEENS1_30default_config_static_selectorELNS0_4arch9wavefront6targetE1EEEvT1_.kd
    .uniform_work_group_size: 1
    .uses_dynamic_stack: false
    .vgpr_count:     0
    .vgpr_spill_count: 0
    .wavefront_size: 64
  - .agpr_count:     0
    .args:
      - .offset:         0
        .size:           144
        .value_kind:     by_value
    .group_segment_fixed_size: 0
    .kernarg_segment_align: 8
    .kernarg_segment_size: 144
    .language:       OpenCL C
    .language_version:
      - 2
      - 0
    .max_flat_workgroup_size: 256
    .name:           _ZN7rocprim17ROCPRIM_400000_NS6detail17trampoline_kernelINS0_14default_configENS1_25partition_config_selectorILNS1_17partition_subalgoE0EtNS0_10empty_typeEbEEZZNS1_14partition_implILS5_0ELb0ES3_jN6thrust23THRUST_200600_302600_NS6detail15normal_iteratorINSA_10device_ptrItEEEEPS6_SG_NS0_5tupleIJNSA_16discard_iteratorINSA_11use_defaultEEESF_EEENSH_IJSG_SG_EEES6_PlJ7is_evenItEEEE10hipError_tPvRmT3_T4_T5_T6_T7_T9_mT8_P12ihipStream_tbDpT10_ENKUlT_T0_E_clISt17integral_constantIbLb1EES19_EEDaS14_S15_EUlS14_E_NS1_11comp_targetILNS1_3genE2ELNS1_11target_archE906ELNS1_3gpuE6ELNS1_3repE0EEENS1_30default_config_static_selectorELNS0_4arch9wavefront6targetE1EEEvT1_
    .private_segment_fixed_size: 0
    .sgpr_count:     4
    .sgpr_spill_count: 0
    .symbol:         _ZN7rocprim17ROCPRIM_400000_NS6detail17trampoline_kernelINS0_14default_configENS1_25partition_config_selectorILNS1_17partition_subalgoE0EtNS0_10empty_typeEbEEZZNS1_14partition_implILS5_0ELb0ES3_jN6thrust23THRUST_200600_302600_NS6detail15normal_iteratorINSA_10device_ptrItEEEEPS6_SG_NS0_5tupleIJNSA_16discard_iteratorINSA_11use_defaultEEESF_EEENSH_IJSG_SG_EEES6_PlJ7is_evenItEEEE10hipError_tPvRmT3_T4_T5_T6_T7_T9_mT8_P12ihipStream_tbDpT10_ENKUlT_T0_E_clISt17integral_constantIbLb1EES19_EEDaS14_S15_EUlS14_E_NS1_11comp_targetILNS1_3genE2ELNS1_11target_archE906ELNS1_3gpuE6ELNS1_3repE0EEENS1_30default_config_static_selectorELNS0_4arch9wavefront6targetE1EEEvT1_.kd
    .uniform_work_group_size: 1
    .uses_dynamic_stack: false
    .vgpr_count:     0
    .vgpr_spill_count: 0
    .wavefront_size: 64
  - .agpr_count:     0
    .args:
      - .offset:         0
        .size:           144
        .value_kind:     by_value
    .group_segment_fixed_size: 0
    .kernarg_segment_align: 8
    .kernarg_segment_size: 144
    .language:       OpenCL C
    .language_version:
      - 2
      - 0
    .max_flat_workgroup_size: 384
    .name:           _ZN7rocprim17ROCPRIM_400000_NS6detail17trampoline_kernelINS0_14default_configENS1_25partition_config_selectorILNS1_17partition_subalgoE0EtNS0_10empty_typeEbEEZZNS1_14partition_implILS5_0ELb0ES3_jN6thrust23THRUST_200600_302600_NS6detail15normal_iteratorINSA_10device_ptrItEEEEPS6_SG_NS0_5tupleIJNSA_16discard_iteratorINSA_11use_defaultEEESF_EEENSH_IJSG_SG_EEES6_PlJ7is_evenItEEEE10hipError_tPvRmT3_T4_T5_T6_T7_T9_mT8_P12ihipStream_tbDpT10_ENKUlT_T0_E_clISt17integral_constantIbLb1EES19_EEDaS14_S15_EUlS14_E_NS1_11comp_targetILNS1_3genE10ELNS1_11target_archE1200ELNS1_3gpuE4ELNS1_3repE0EEENS1_30default_config_static_selectorELNS0_4arch9wavefront6targetE1EEEvT1_
    .private_segment_fixed_size: 0
    .sgpr_count:     4
    .sgpr_spill_count: 0
    .symbol:         _ZN7rocprim17ROCPRIM_400000_NS6detail17trampoline_kernelINS0_14default_configENS1_25partition_config_selectorILNS1_17partition_subalgoE0EtNS0_10empty_typeEbEEZZNS1_14partition_implILS5_0ELb0ES3_jN6thrust23THRUST_200600_302600_NS6detail15normal_iteratorINSA_10device_ptrItEEEEPS6_SG_NS0_5tupleIJNSA_16discard_iteratorINSA_11use_defaultEEESF_EEENSH_IJSG_SG_EEES6_PlJ7is_evenItEEEE10hipError_tPvRmT3_T4_T5_T6_T7_T9_mT8_P12ihipStream_tbDpT10_ENKUlT_T0_E_clISt17integral_constantIbLb1EES19_EEDaS14_S15_EUlS14_E_NS1_11comp_targetILNS1_3genE10ELNS1_11target_archE1200ELNS1_3gpuE4ELNS1_3repE0EEENS1_30default_config_static_selectorELNS0_4arch9wavefront6targetE1EEEvT1_.kd
    .uniform_work_group_size: 1
    .uses_dynamic_stack: false
    .vgpr_count:     0
    .vgpr_spill_count: 0
    .wavefront_size: 64
  - .agpr_count:     0
    .args:
      - .offset:         0
        .size:           144
        .value_kind:     by_value
    .group_segment_fixed_size: 0
    .kernarg_segment_align: 8
    .kernarg_segment_size: 144
    .language:       OpenCL C
    .language_version:
      - 2
      - 0
    .max_flat_workgroup_size: 128
    .name:           _ZN7rocprim17ROCPRIM_400000_NS6detail17trampoline_kernelINS0_14default_configENS1_25partition_config_selectorILNS1_17partition_subalgoE0EtNS0_10empty_typeEbEEZZNS1_14partition_implILS5_0ELb0ES3_jN6thrust23THRUST_200600_302600_NS6detail15normal_iteratorINSA_10device_ptrItEEEEPS6_SG_NS0_5tupleIJNSA_16discard_iteratorINSA_11use_defaultEEESF_EEENSH_IJSG_SG_EEES6_PlJ7is_evenItEEEE10hipError_tPvRmT3_T4_T5_T6_T7_T9_mT8_P12ihipStream_tbDpT10_ENKUlT_T0_E_clISt17integral_constantIbLb1EES19_EEDaS14_S15_EUlS14_E_NS1_11comp_targetILNS1_3genE9ELNS1_11target_archE1100ELNS1_3gpuE3ELNS1_3repE0EEENS1_30default_config_static_selectorELNS0_4arch9wavefront6targetE1EEEvT1_
    .private_segment_fixed_size: 0
    .sgpr_count:     4
    .sgpr_spill_count: 0
    .symbol:         _ZN7rocprim17ROCPRIM_400000_NS6detail17trampoline_kernelINS0_14default_configENS1_25partition_config_selectorILNS1_17partition_subalgoE0EtNS0_10empty_typeEbEEZZNS1_14partition_implILS5_0ELb0ES3_jN6thrust23THRUST_200600_302600_NS6detail15normal_iteratorINSA_10device_ptrItEEEEPS6_SG_NS0_5tupleIJNSA_16discard_iteratorINSA_11use_defaultEEESF_EEENSH_IJSG_SG_EEES6_PlJ7is_evenItEEEE10hipError_tPvRmT3_T4_T5_T6_T7_T9_mT8_P12ihipStream_tbDpT10_ENKUlT_T0_E_clISt17integral_constantIbLb1EES19_EEDaS14_S15_EUlS14_E_NS1_11comp_targetILNS1_3genE9ELNS1_11target_archE1100ELNS1_3gpuE3ELNS1_3repE0EEENS1_30default_config_static_selectorELNS0_4arch9wavefront6targetE1EEEvT1_.kd
    .uniform_work_group_size: 1
    .uses_dynamic_stack: false
    .vgpr_count:     0
    .vgpr_spill_count: 0
    .wavefront_size: 64
  - .agpr_count:     0
    .args:
      - .offset:         0
        .size:           144
        .value_kind:     by_value
    .group_segment_fixed_size: 0
    .kernarg_segment_align: 8
    .kernarg_segment_size: 144
    .language:       OpenCL C
    .language_version:
      - 2
      - 0
    .max_flat_workgroup_size: 128
    .name:           _ZN7rocprim17ROCPRIM_400000_NS6detail17trampoline_kernelINS0_14default_configENS1_25partition_config_selectorILNS1_17partition_subalgoE0EtNS0_10empty_typeEbEEZZNS1_14partition_implILS5_0ELb0ES3_jN6thrust23THRUST_200600_302600_NS6detail15normal_iteratorINSA_10device_ptrItEEEEPS6_SG_NS0_5tupleIJNSA_16discard_iteratorINSA_11use_defaultEEESF_EEENSH_IJSG_SG_EEES6_PlJ7is_evenItEEEE10hipError_tPvRmT3_T4_T5_T6_T7_T9_mT8_P12ihipStream_tbDpT10_ENKUlT_T0_E_clISt17integral_constantIbLb1EES19_EEDaS14_S15_EUlS14_E_NS1_11comp_targetILNS1_3genE8ELNS1_11target_archE1030ELNS1_3gpuE2ELNS1_3repE0EEENS1_30default_config_static_selectorELNS0_4arch9wavefront6targetE1EEEvT1_
    .private_segment_fixed_size: 0
    .sgpr_count:     4
    .sgpr_spill_count: 0
    .symbol:         _ZN7rocprim17ROCPRIM_400000_NS6detail17trampoline_kernelINS0_14default_configENS1_25partition_config_selectorILNS1_17partition_subalgoE0EtNS0_10empty_typeEbEEZZNS1_14partition_implILS5_0ELb0ES3_jN6thrust23THRUST_200600_302600_NS6detail15normal_iteratorINSA_10device_ptrItEEEEPS6_SG_NS0_5tupleIJNSA_16discard_iteratorINSA_11use_defaultEEESF_EEENSH_IJSG_SG_EEES6_PlJ7is_evenItEEEE10hipError_tPvRmT3_T4_T5_T6_T7_T9_mT8_P12ihipStream_tbDpT10_ENKUlT_T0_E_clISt17integral_constantIbLb1EES19_EEDaS14_S15_EUlS14_E_NS1_11comp_targetILNS1_3genE8ELNS1_11target_archE1030ELNS1_3gpuE2ELNS1_3repE0EEENS1_30default_config_static_selectorELNS0_4arch9wavefront6targetE1EEEvT1_.kd
    .uniform_work_group_size: 1
    .uses_dynamic_stack: false
    .vgpr_count:     0
    .vgpr_spill_count: 0
    .wavefront_size: 64
  - .agpr_count:     0
    .args:
      - .offset:         0
        .size:           128
        .value_kind:     by_value
    .group_segment_fixed_size: 0
    .kernarg_segment_align: 8
    .kernarg_segment_size: 128
    .language:       OpenCL C
    .language_version:
      - 2
      - 0
    .max_flat_workgroup_size: 256
    .name:           _ZN7rocprim17ROCPRIM_400000_NS6detail17trampoline_kernelINS0_14default_configENS1_25partition_config_selectorILNS1_17partition_subalgoE0EtNS0_10empty_typeEbEEZZNS1_14partition_implILS5_0ELb0ES3_jN6thrust23THRUST_200600_302600_NS6detail15normal_iteratorINSA_10device_ptrItEEEEPS6_SG_NS0_5tupleIJNSA_16discard_iteratorINSA_11use_defaultEEESF_EEENSH_IJSG_SG_EEES6_PlJ7is_evenItEEEE10hipError_tPvRmT3_T4_T5_T6_T7_T9_mT8_P12ihipStream_tbDpT10_ENKUlT_T0_E_clISt17integral_constantIbLb1EES18_IbLb0EEEEDaS14_S15_EUlS14_E_NS1_11comp_targetILNS1_3genE0ELNS1_11target_archE4294967295ELNS1_3gpuE0ELNS1_3repE0EEENS1_30default_config_static_selectorELNS0_4arch9wavefront6targetE1EEEvT1_
    .private_segment_fixed_size: 0
    .sgpr_count:     4
    .sgpr_spill_count: 0
    .symbol:         _ZN7rocprim17ROCPRIM_400000_NS6detail17trampoline_kernelINS0_14default_configENS1_25partition_config_selectorILNS1_17partition_subalgoE0EtNS0_10empty_typeEbEEZZNS1_14partition_implILS5_0ELb0ES3_jN6thrust23THRUST_200600_302600_NS6detail15normal_iteratorINSA_10device_ptrItEEEEPS6_SG_NS0_5tupleIJNSA_16discard_iteratorINSA_11use_defaultEEESF_EEENSH_IJSG_SG_EEES6_PlJ7is_evenItEEEE10hipError_tPvRmT3_T4_T5_T6_T7_T9_mT8_P12ihipStream_tbDpT10_ENKUlT_T0_E_clISt17integral_constantIbLb1EES18_IbLb0EEEEDaS14_S15_EUlS14_E_NS1_11comp_targetILNS1_3genE0ELNS1_11target_archE4294967295ELNS1_3gpuE0ELNS1_3repE0EEENS1_30default_config_static_selectorELNS0_4arch9wavefront6targetE1EEEvT1_.kd
    .uniform_work_group_size: 1
    .uses_dynamic_stack: false
    .vgpr_count:     0
    .vgpr_spill_count: 0
    .wavefront_size: 64
  - .agpr_count:     0
    .args:
      - .offset:         0
        .size:           128
        .value_kind:     by_value
    .group_segment_fixed_size: 0
    .kernarg_segment_align: 8
    .kernarg_segment_size: 128
    .language:       OpenCL C
    .language_version:
      - 2
      - 0
    .max_flat_workgroup_size: 512
    .name:           _ZN7rocprim17ROCPRIM_400000_NS6detail17trampoline_kernelINS0_14default_configENS1_25partition_config_selectorILNS1_17partition_subalgoE0EtNS0_10empty_typeEbEEZZNS1_14partition_implILS5_0ELb0ES3_jN6thrust23THRUST_200600_302600_NS6detail15normal_iteratorINSA_10device_ptrItEEEEPS6_SG_NS0_5tupleIJNSA_16discard_iteratorINSA_11use_defaultEEESF_EEENSH_IJSG_SG_EEES6_PlJ7is_evenItEEEE10hipError_tPvRmT3_T4_T5_T6_T7_T9_mT8_P12ihipStream_tbDpT10_ENKUlT_T0_E_clISt17integral_constantIbLb1EES18_IbLb0EEEEDaS14_S15_EUlS14_E_NS1_11comp_targetILNS1_3genE5ELNS1_11target_archE942ELNS1_3gpuE9ELNS1_3repE0EEENS1_30default_config_static_selectorELNS0_4arch9wavefront6targetE1EEEvT1_
    .private_segment_fixed_size: 0
    .sgpr_count:     4
    .sgpr_spill_count: 0
    .symbol:         _ZN7rocprim17ROCPRIM_400000_NS6detail17trampoline_kernelINS0_14default_configENS1_25partition_config_selectorILNS1_17partition_subalgoE0EtNS0_10empty_typeEbEEZZNS1_14partition_implILS5_0ELb0ES3_jN6thrust23THRUST_200600_302600_NS6detail15normal_iteratorINSA_10device_ptrItEEEEPS6_SG_NS0_5tupleIJNSA_16discard_iteratorINSA_11use_defaultEEESF_EEENSH_IJSG_SG_EEES6_PlJ7is_evenItEEEE10hipError_tPvRmT3_T4_T5_T6_T7_T9_mT8_P12ihipStream_tbDpT10_ENKUlT_T0_E_clISt17integral_constantIbLb1EES18_IbLb0EEEEDaS14_S15_EUlS14_E_NS1_11comp_targetILNS1_3genE5ELNS1_11target_archE942ELNS1_3gpuE9ELNS1_3repE0EEENS1_30default_config_static_selectorELNS0_4arch9wavefront6targetE1EEEvT1_.kd
    .uniform_work_group_size: 1
    .uses_dynamic_stack: false
    .vgpr_count:     0
    .vgpr_spill_count: 0
    .wavefront_size: 64
  - .agpr_count:     0
    .args:
      - .offset:         0
        .size:           128
        .value_kind:     by_value
    .group_segment_fixed_size: 14344
    .kernarg_segment_align: 8
    .kernarg_segment_size: 128
    .language:       OpenCL C
    .language_version:
      - 2
      - 0
    .max_flat_workgroup_size: 256
    .name:           _ZN7rocprim17ROCPRIM_400000_NS6detail17trampoline_kernelINS0_14default_configENS1_25partition_config_selectorILNS1_17partition_subalgoE0EtNS0_10empty_typeEbEEZZNS1_14partition_implILS5_0ELb0ES3_jN6thrust23THRUST_200600_302600_NS6detail15normal_iteratorINSA_10device_ptrItEEEEPS6_SG_NS0_5tupleIJNSA_16discard_iteratorINSA_11use_defaultEEESF_EEENSH_IJSG_SG_EEES6_PlJ7is_evenItEEEE10hipError_tPvRmT3_T4_T5_T6_T7_T9_mT8_P12ihipStream_tbDpT10_ENKUlT_T0_E_clISt17integral_constantIbLb1EES18_IbLb0EEEEDaS14_S15_EUlS14_E_NS1_11comp_targetILNS1_3genE4ELNS1_11target_archE910ELNS1_3gpuE8ELNS1_3repE0EEENS1_30default_config_static_selectorELNS0_4arch9wavefront6targetE1EEEvT1_
    .private_segment_fixed_size: 0
    .sgpr_count:     48
    .sgpr_spill_count: 0
    .symbol:         _ZN7rocprim17ROCPRIM_400000_NS6detail17trampoline_kernelINS0_14default_configENS1_25partition_config_selectorILNS1_17partition_subalgoE0EtNS0_10empty_typeEbEEZZNS1_14partition_implILS5_0ELb0ES3_jN6thrust23THRUST_200600_302600_NS6detail15normal_iteratorINSA_10device_ptrItEEEEPS6_SG_NS0_5tupleIJNSA_16discard_iteratorINSA_11use_defaultEEESF_EEENSH_IJSG_SG_EEES6_PlJ7is_evenItEEEE10hipError_tPvRmT3_T4_T5_T6_T7_T9_mT8_P12ihipStream_tbDpT10_ENKUlT_T0_E_clISt17integral_constantIbLb1EES18_IbLb0EEEEDaS14_S15_EUlS14_E_NS1_11comp_targetILNS1_3genE4ELNS1_11target_archE910ELNS1_3gpuE8ELNS1_3repE0EEENS1_30default_config_static_selectorELNS0_4arch9wavefront6targetE1EEEvT1_.kd
    .uniform_work_group_size: 1
    .uses_dynamic_stack: false
    .vgpr_count:     114
    .vgpr_spill_count: 0
    .wavefront_size: 64
  - .agpr_count:     0
    .args:
      - .offset:         0
        .size:           128
        .value_kind:     by_value
    .group_segment_fixed_size: 0
    .kernarg_segment_align: 8
    .kernarg_segment_size: 128
    .language:       OpenCL C
    .language_version:
      - 2
      - 0
    .max_flat_workgroup_size: 256
    .name:           _ZN7rocprim17ROCPRIM_400000_NS6detail17trampoline_kernelINS0_14default_configENS1_25partition_config_selectorILNS1_17partition_subalgoE0EtNS0_10empty_typeEbEEZZNS1_14partition_implILS5_0ELb0ES3_jN6thrust23THRUST_200600_302600_NS6detail15normal_iteratorINSA_10device_ptrItEEEEPS6_SG_NS0_5tupleIJNSA_16discard_iteratorINSA_11use_defaultEEESF_EEENSH_IJSG_SG_EEES6_PlJ7is_evenItEEEE10hipError_tPvRmT3_T4_T5_T6_T7_T9_mT8_P12ihipStream_tbDpT10_ENKUlT_T0_E_clISt17integral_constantIbLb1EES18_IbLb0EEEEDaS14_S15_EUlS14_E_NS1_11comp_targetILNS1_3genE3ELNS1_11target_archE908ELNS1_3gpuE7ELNS1_3repE0EEENS1_30default_config_static_selectorELNS0_4arch9wavefront6targetE1EEEvT1_
    .private_segment_fixed_size: 0
    .sgpr_count:     4
    .sgpr_spill_count: 0
    .symbol:         _ZN7rocprim17ROCPRIM_400000_NS6detail17trampoline_kernelINS0_14default_configENS1_25partition_config_selectorILNS1_17partition_subalgoE0EtNS0_10empty_typeEbEEZZNS1_14partition_implILS5_0ELb0ES3_jN6thrust23THRUST_200600_302600_NS6detail15normal_iteratorINSA_10device_ptrItEEEEPS6_SG_NS0_5tupleIJNSA_16discard_iteratorINSA_11use_defaultEEESF_EEENSH_IJSG_SG_EEES6_PlJ7is_evenItEEEE10hipError_tPvRmT3_T4_T5_T6_T7_T9_mT8_P12ihipStream_tbDpT10_ENKUlT_T0_E_clISt17integral_constantIbLb1EES18_IbLb0EEEEDaS14_S15_EUlS14_E_NS1_11comp_targetILNS1_3genE3ELNS1_11target_archE908ELNS1_3gpuE7ELNS1_3repE0EEENS1_30default_config_static_selectorELNS0_4arch9wavefront6targetE1EEEvT1_.kd
    .uniform_work_group_size: 1
    .uses_dynamic_stack: false
    .vgpr_count:     0
    .vgpr_spill_count: 0
    .wavefront_size: 64
  - .agpr_count:     0
    .args:
      - .offset:         0
        .size:           128
        .value_kind:     by_value
    .group_segment_fixed_size: 0
    .kernarg_segment_align: 8
    .kernarg_segment_size: 128
    .language:       OpenCL C
    .language_version:
      - 2
      - 0
    .max_flat_workgroup_size: 256
    .name:           _ZN7rocprim17ROCPRIM_400000_NS6detail17trampoline_kernelINS0_14default_configENS1_25partition_config_selectorILNS1_17partition_subalgoE0EtNS0_10empty_typeEbEEZZNS1_14partition_implILS5_0ELb0ES3_jN6thrust23THRUST_200600_302600_NS6detail15normal_iteratorINSA_10device_ptrItEEEEPS6_SG_NS0_5tupleIJNSA_16discard_iteratorINSA_11use_defaultEEESF_EEENSH_IJSG_SG_EEES6_PlJ7is_evenItEEEE10hipError_tPvRmT3_T4_T5_T6_T7_T9_mT8_P12ihipStream_tbDpT10_ENKUlT_T0_E_clISt17integral_constantIbLb1EES18_IbLb0EEEEDaS14_S15_EUlS14_E_NS1_11comp_targetILNS1_3genE2ELNS1_11target_archE906ELNS1_3gpuE6ELNS1_3repE0EEENS1_30default_config_static_selectorELNS0_4arch9wavefront6targetE1EEEvT1_
    .private_segment_fixed_size: 0
    .sgpr_count:     4
    .sgpr_spill_count: 0
    .symbol:         _ZN7rocprim17ROCPRIM_400000_NS6detail17trampoline_kernelINS0_14default_configENS1_25partition_config_selectorILNS1_17partition_subalgoE0EtNS0_10empty_typeEbEEZZNS1_14partition_implILS5_0ELb0ES3_jN6thrust23THRUST_200600_302600_NS6detail15normal_iteratorINSA_10device_ptrItEEEEPS6_SG_NS0_5tupleIJNSA_16discard_iteratorINSA_11use_defaultEEESF_EEENSH_IJSG_SG_EEES6_PlJ7is_evenItEEEE10hipError_tPvRmT3_T4_T5_T6_T7_T9_mT8_P12ihipStream_tbDpT10_ENKUlT_T0_E_clISt17integral_constantIbLb1EES18_IbLb0EEEEDaS14_S15_EUlS14_E_NS1_11comp_targetILNS1_3genE2ELNS1_11target_archE906ELNS1_3gpuE6ELNS1_3repE0EEENS1_30default_config_static_selectorELNS0_4arch9wavefront6targetE1EEEvT1_.kd
    .uniform_work_group_size: 1
    .uses_dynamic_stack: false
    .vgpr_count:     0
    .vgpr_spill_count: 0
    .wavefront_size: 64
  - .agpr_count:     0
    .args:
      - .offset:         0
        .size:           128
        .value_kind:     by_value
    .group_segment_fixed_size: 0
    .kernarg_segment_align: 8
    .kernarg_segment_size: 128
    .language:       OpenCL C
    .language_version:
      - 2
      - 0
    .max_flat_workgroup_size: 384
    .name:           _ZN7rocprim17ROCPRIM_400000_NS6detail17trampoline_kernelINS0_14default_configENS1_25partition_config_selectorILNS1_17partition_subalgoE0EtNS0_10empty_typeEbEEZZNS1_14partition_implILS5_0ELb0ES3_jN6thrust23THRUST_200600_302600_NS6detail15normal_iteratorINSA_10device_ptrItEEEEPS6_SG_NS0_5tupleIJNSA_16discard_iteratorINSA_11use_defaultEEESF_EEENSH_IJSG_SG_EEES6_PlJ7is_evenItEEEE10hipError_tPvRmT3_T4_T5_T6_T7_T9_mT8_P12ihipStream_tbDpT10_ENKUlT_T0_E_clISt17integral_constantIbLb1EES18_IbLb0EEEEDaS14_S15_EUlS14_E_NS1_11comp_targetILNS1_3genE10ELNS1_11target_archE1200ELNS1_3gpuE4ELNS1_3repE0EEENS1_30default_config_static_selectorELNS0_4arch9wavefront6targetE1EEEvT1_
    .private_segment_fixed_size: 0
    .sgpr_count:     4
    .sgpr_spill_count: 0
    .symbol:         _ZN7rocprim17ROCPRIM_400000_NS6detail17trampoline_kernelINS0_14default_configENS1_25partition_config_selectorILNS1_17partition_subalgoE0EtNS0_10empty_typeEbEEZZNS1_14partition_implILS5_0ELb0ES3_jN6thrust23THRUST_200600_302600_NS6detail15normal_iteratorINSA_10device_ptrItEEEEPS6_SG_NS0_5tupleIJNSA_16discard_iteratorINSA_11use_defaultEEESF_EEENSH_IJSG_SG_EEES6_PlJ7is_evenItEEEE10hipError_tPvRmT3_T4_T5_T6_T7_T9_mT8_P12ihipStream_tbDpT10_ENKUlT_T0_E_clISt17integral_constantIbLb1EES18_IbLb0EEEEDaS14_S15_EUlS14_E_NS1_11comp_targetILNS1_3genE10ELNS1_11target_archE1200ELNS1_3gpuE4ELNS1_3repE0EEENS1_30default_config_static_selectorELNS0_4arch9wavefront6targetE1EEEvT1_.kd
    .uniform_work_group_size: 1
    .uses_dynamic_stack: false
    .vgpr_count:     0
    .vgpr_spill_count: 0
    .wavefront_size: 64
  - .agpr_count:     0
    .args:
      - .offset:         0
        .size:           128
        .value_kind:     by_value
    .group_segment_fixed_size: 0
    .kernarg_segment_align: 8
    .kernarg_segment_size: 128
    .language:       OpenCL C
    .language_version:
      - 2
      - 0
    .max_flat_workgroup_size: 128
    .name:           _ZN7rocprim17ROCPRIM_400000_NS6detail17trampoline_kernelINS0_14default_configENS1_25partition_config_selectorILNS1_17partition_subalgoE0EtNS0_10empty_typeEbEEZZNS1_14partition_implILS5_0ELb0ES3_jN6thrust23THRUST_200600_302600_NS6detail15normal_iteratorINSA_10device_ptrItEEEEPS6_SG_NS0_5tupleIJNSA_16discard_iteratorINSA_11use_defaultEEESF_EEENSH_IJSG_SG_EEES6_PlJ7is_evenItEEEE10hipError_tPvRmT3_T4_T5_T6_T7_T9_mT8_P12ihipStream_tbDpT10_ENKUlT_T0_E_clISt17integral_constantIbLb1EES18_IbLb0EEEEDaS14_S15_EUlS14_E_NS1_11comp_targetILNS1_3genE9ELNS1_11target_archE1100ELNS1_3gpuE3ELNS1_3repE0EEENS1_30default_config_static_selectorELNS0_4arch9wavefront6targetE1EEEvT1_
    .private_segment_fixed_size: 0
    .sgpr_count:     4
    .sgpr_spill_count: 0
    .symbol:         _ZN7rocprim17ROCPRIM_400000_NS6detail17trampoline_kernelINS0_14default_configENS1_25partition_config_selectorILNS1_17partition_subalgoE0EtNS0_10empty_typeEbEEZZNS1_14partition_implILS5_0ELb0ES3_jN6thrust23THRUST_200600_302600_NS6detail15normal_iteratorINSA_10device_ptrItEEEEPS6_SG_NS0_5tupleIJNSA_16discard_iteratorINSA_11use_defaultEEESF_EEENSH_IJSG_SG_EEES6_PlJ7is_evenItEEEE10hipError_tPvRmT3_T4_T5_T6_T7_T9_mT8_P12ihipStream_tbDpT10_ENKUlT_T0_E_clISt17integral_constantIbLb1EES18_IbLb0EEEEDaS14_S15_EUlS14_E_NS1_11comp_targetILNS1_3genE9ELNS1_11target_archE1100ELNS1_3gpuE3ELNS1_3repE0EEENS1_30default_config_static_selectorELNS0_4arch9wavefront6targetE1EEEvT1_.kd
    .uniform_work_group_size: 1
    .uses_dynamic_stack: false
    .vgpr_count:     0
    .vgpr_spill_count: 0
    .wavefront_size: 64
  - .agpr_count:     0
    .args:
      - .offset:         0
        .size:           128
        .value_kind:     by_value
    .group_segment_fixed_size: 0
    .kernarg_segment_align: 8
    .kernarg_segment_size: 128
    .language:       OpenCL C
    .language_version:
      - 2
      - 0
    .max_flat_workgroup_size: 128
    .name:           _ZN7rocprim17ROCPRIM_400000_NS6detail17trampoline_kernelINS0_14default_configENS1_25partition_config_selectorILNS1_17partition_subalgoE0EtNS0_10empty_typeEbEEZZNS1_14partition_implILS5_0ELb0ES3_jN6thrust23THRUST_200600_302600_NS6detail15normal_iteratorINSA_10device_ptrItEEEEPS6_SG_NS0_5tupleIJNSA_16discard_iteratorINSA_11use_defaultEEESF_EEENSH_IJSG_SG_EEES6_PlJ7is_evenItEEEE10hipError_tPvRmT3_T4_T5_T6_T7_T9_mT8_P12ihipStream_tbDpT10_ENKUlT_T0_E_clISt17integral_constantIbLb1EES18_IbLb0EEEEDaS14_S15_EUlS14_E_NS1_11comp_targetILNS1_3genE8ELNS1_11target_archE1030ELNS1_3gpuE2ELNS1_3repE0EEENS1_30default_config_static_selectorELNS0_4arch9wavefront6targetE1EEEvT1_
    .private_segment_fixed_size: 0
    .sgpr_count:     4
    .sgpr_spill_count: 0
    .symbol:         _ZN7rocprim17ROCPRIM_400000_NS6detail17trampoline_kernelINS0_14default_configENS1_25partition_config_selectorILNS1_17partition_subalgoE0EtNS0_10empty_typeEbEEZZNS1_14partition_implILS5_0ELb0ES3_jN6thrust23THRUST_200600_302600_NS6detail15normal_iteratorINSA_10device_ptrItEEEEPS6_SG_NS0_5tupleIJNSA_16discard_iteratorINSA_11use_defaultEEESF_EEENSH_IJSG_SG_EEES6_PlJ7is_evenItEEEE10hipError_tPvRmT3_T4_T5_T6_T7_T9_mT8_P12ihipStream_tbDpT10_ENKUlT_T0_E_clISt17integral_constantIbLb1EES18_IbLb0EEEEDaS14_S15_EUlS14_E_NS1_11comp_targetILNS1_3genE8ELNS1_11target_archE1030ELNS1_3gpuE2ELNS1_3repE0EEENS1_30default_config_static_selectorELNS0_4arch9wavefront6targetE1EEEvT1_.kd
    .uniform_work_group_size: 1
    .uses_dynamic_stack: false
    .vgpr_count:     0
    .vgpr_spill_count: 0
    .wavefront_size: 64
  - .agpr_count:     0
    .args:
      - .offset:         0
        .size:           144
        .value_kind:     by_value
    .group_segment_fixed_size: 0
    .kernarg_segment_align: 8
    .kernarg_segment_size: 144
    .language:       OpenCL C
    .language_version:
      - 2
      - 0
    .max_flat_workgroup_size: 256
    .name:           _ZN7rocprim17ROCPRIM_400000_NS6detail17trampoline_kernelINS0_14default_configENS1_25partition_config_selectorILNS1_17partition_subalgoE0EtNS0_10empty_typeEbEEZZNS1_14partition_implILS5_0ELb0ES3_jN6thrust23THRUST_200600_302600_NS6detail15normal_iteratorINSA_10device_ptrItEEEEPS6_SG_NS0_5tupleIJNSA_16discard_iteratorINSA_11use_defaultEEESF_EEENSH_IJSG_SG_EEES6_PlJ7is_evenItEEEE10hipError_tPvRmT3_T4_T5_T6_T7_T9_mT8_P12ihipStream_tbDpT10_ENKUlT_T0_E_clISt17integral_constantIbLb0EES18_IbLb1EEEEDaS14_S15_EUlS14_E_NS1_11comp_targetILNS1_3genE0ELNS1_11target_archE4294967295ELNS1_3gpuE0ELNS1_3repE0EEENS1_30default_config_static_selectorELNS0_4arch9wavefront6targetE1EEEvT1_
    .private_segment_fixed_size: 0
    .sgpr_count:     4
    .sgpr_spill_count: 0
    .symbol:         _ZN7rocprim17ROCPRIM_400000_NS6detail17trampoline_kernelINS0_14default_configENS1_25partition_config_selectorILNS1_17partition_subalgoE0EtNS0_10empty_typeEbEEZZNS1_14partition_implILS5_0ELb0ES3_jN6thrust23THRUST_200600_302600_NS6detail15normal_iteratorINSA_10device_ptrItEEEEPS6_SG_NS0_5tupleIJNSA_16discard_iteratorINSA_11use_defaultEEESF_EEENSH_IJSG_SG_EEES6_PlJ7is_evenItEEEE10hipError_tPvRmT3_T4_T5_T6_T7_T9_mT8_P12ihipStream_tbDpT10_ENKUlT_T0_E_clISt17integral_constantIbLb0EES18_IbLb1EEEEDaS14_S15_EUlS14_E_NS1_11comp_targetILNS1_3genE0ELNS1_11target_archE4294967295ELNS1_3gpuE0ELNS1_3repE0EEENS1_30default_config_static_selectorELNS0_4arch9wavefront6targetE1EEEvT1_.kd
    .uniform_work_group_size: 1
    .uses_dynamic_stack: false
    .vgpr_count:     0
    .vgpr_spill_count: 0
    .wavefront_size: 64
  - .agpr_count:     0
    .args:
      - .offset:         0
        .size:           144
        .value_kind:     by_value
    .group_segment_fixed_size: 0
    .kernarg_segment_align: 8
    .kernarg_segment_size: 144
    .language:       OpenCL C
    .language_version:
      - 2
      - 0
    .max_flat_workgroup_size: 512
    .name:           _ZN7rocprim17ROCPRIM_400000_NS6detail17trampoline_kernelINS0_14default_configENS1_25partition_config_selectorILNS1_17partition_subalgoE0EtNS0_10empty_typeEbEEZZNS1_14partition_implILS5_0ELb0ES3_jN6thrust23THRUST_200600_302600_NS6detail15normal_iteratorINSA_10device_ptrItEEEEPS6_SG_NS0_5tupleIJNSA_16discard_iteratorINSA_11use_defaultEEESF_EEENSH_IJSG_SG_EEES6_PlJ7is_evenItEEEE10hipError_tPvRmT3_T4_T5_T6_T7_T9_mT8_P12ihipStream_tbDpT10_ENKUlT_T0_E_clISt17integral_constantIbLb0EES18_IbLb1EEEEDaS14_S15_EUlS14_E_NS1_11comp_targetILNS1_3genE5ELNS1_11target_archE942ELNS1_3gpuE9ELNS1_3repE0EEENS1_30default_config_static_selectorELNS0_4arch9wavefront6targetE1EEEvT1_
    .private_segment_fixed_size: 0
    .sgpr_count:     4
    .sgpr_spill_count: 0
    .symbol:         _ZN7rocprim17ROCPRIM_400000_NS6detail17trampoline_kernelINS0_14default_configENS1_25partition_config_selectorILNS1_17partition_subalgoE0EtNS0_10empty_typeEbEEZZNS1_14partition_implILS5_0ELb0ES3_jN6thrust23THRUST_200600_302600_NS6detail15normal_iteratorINSA_10device_ptrItEEEEPS6_SG_NS0_5tupleIJNSA_16discard_iteratorINSA_11use_defaultEEESF_EEENSH_IJSG_SG_EEES6_PlJ7is_evenItEEEE10hipError_tPvRmT3_T4_T5_T6_T7_T9_mT8_P12ihipStream_tbDpT10_ENKUlT_T0_E_clISt17integral_constantIbLb0EES18_IbLb1EEEEDaS14_S15_EUlS14_E_NS1_11comp_targetILNS1_3genE5ELNS1_11target_archE942ELNS1_3gpuE9ELNS1_3repE0EEENS1_30default_config_static_selectorELNS0_4arch9wavefront6targetE1EEEvT1_.kd
    .uniform_work_group_size: 1
    .uses_dynamic_stack: false
    .vgpr_count:     0
    .vgpr_spill_count: 0
    .wavefront_size: 64
  - .agpr_count:     0
    .args:
      - .offset:         0
        .size:           144
        .value_kind:     by_value
    .group_segment_fixed_size: 14344
    .kernarg_segment_align: 8
    .kernarg_segment_size: 144
    .language:       OpenCL C
    .language_version:
      - 2
      - 0
    .max_flat_workgroup_size: 256
    .name:           _ZN7rocprim17ROCPRIM_400000_NS6detail17trampoline_kernelINS0_14default_configENS1_25partition_config_selectorILNS1_17partition_subalgoE0EtNS0_10empty_typeEbEEZZNS1_14partition_implILS5_0ELb0ES3_jN6thrust23THRUST_200600_302600_NS6detail15normal_iteratorINSA_10device_ptrItEEEEPS6_SG_NS0_5tupleIJNSA_16discard_iteratorINSA_11use_defaultEEESF_EEENSH_IJSG_SG_EEES6_PlJ7is_evenItEEEE10hipError_tPvRmT3_T4_T5_T6_T7_T9_mT8_P12ihipStream_tbDpT10_ENKUlT_T0_E_clISt17integral_constantIbLb0EES18_IbLb1EEEEDaS14_S15_EUlS14_E_NS1_11comp_targetILNS1_3genE4ELNS1_11target_archE910ELNS1_3gpuE8ELNS1_3repE0EEENS1_30default_config_static_selectorELNS0_4arch9wavefront6targetE1EEEvT1_
    .private_segment_fixed_size: 0
    .sgpr_count:     46
    .sgpr_spill_count: 0
    .symbol:         _ZN7rocprim17ROCPRIM_400000_NS6detail17trampoline_kernelINS0_14default_configENS1_25partition_config_selectorILNS1_17partition_subalgoE0EtNS0_10empty_typeEbEEZZNS1_14partition_implILS5_0ELb0ES3_jN6thrust23THRUST_200600_302600_NS6detail15normal_iteratorINSA_10device_ptrItEEEEPS6_SG_NS0_5tupleIJNSA_16discard_iteratorINSA_11use_defaultEEESF_EEENSH_IJSG_SG_EEES6_PlJ7is_evenItEEEE10hipError_tPvRmT3_T4_T5_T6_T7_T9_mT8_P12ihipStream_tbDpT10_ENKUlT_T0_E_clISt17integral_constantIbLb0EES18_IbLb1EEEEDaS14_S15_EUlS14_E_NS1_11comp_targetILNS1_3genE4ELNS1_11target_archE910ELNS1_3gpuE8ELNS1_3repE0EEENS1_30default_config_static_selectorELNS0_4arch9wavefront6targetE1EEEvT1_.kd
    .uniform_work_group_size: 1
    .uses_dynamic_stack: false
    .vgpr_count:     118
    .vgpr_spill_count: 0
    .wavefront_size: 64
  - .agpr_count:     0
    .args:
      - .offset:         0
        .size:           144
        .value_kind:     by_value
    .group_segment_fixed_size: 0
    .kernarg_segment_align: 8
    .kernarg_segment_size: 144
    .language:       OpenCL C
    .language_version:
      - 2
      - 0
    .max_flat_workgroup_size: 256
    .name:           _ZN7rocprim17ROCPRIM_400000_NS6detail17trampoline_kernelINS0_14default_configENS1_25partition_config_selectorILNS1_17partition_subalgoE0EtNS0_10empty_typeEbEEZZNS1_14partition_implILS5_0ELb0ES3_jN6thrust23THRUST_200600_302600_NS6detail15normal_iteratorINSA_10device_ptrItEEEEPS6_SG_NS0_5tupleIJNSA_16discard_iteratorINSA_11use_defaultEEESF_EEENSH_IJSG_SG_EEES6_PlJ7is_evenItEEEE10hipError_tPvRmT3_T4_T5_T6_T7_T9_mT8_P12ihipStream_tbDpT10_ENKUlT_T0_E_clISt17integral_constantIbLb0EES18_IbLb1EEEEDaS14_S15_EUlS14_E_NS1_11comp_targetILNS1_3genE3ELNS1_11target_archE908ELNS1_3gpuE7ELNS1_3repE0EEENS1_30default_config_static_selectorELNS0_4arch9wavefront6targetE1EEEvT1_
    .private_segment_fixed_size: 0
    .sgpr_count:     4
    .sgpr_spill_count: 0
    .symbol:         _ZN7rocprim17ROCPRIM_400000_NS6detail17trampoline_kernelINS0_14default_configENS1_25partition_config_selectorILNS1_17partition_subalgoE0EtNS0_10empty_typeEbEEZZNS1_14partition_implILS5_0ELb0ES3_jN6thrust23THRUST_200600_302600_NS6detail15normal_iteratorINSA_10device_ptrItEEEEPS6_SG_NS0_5tupleIJNSA_16discard_iteratorINSA_11use_defaultEEESF_EEENSH_IJSG_SG_EEES6_PlJ7is_evenItEEEE10hipError_tPvRmT3_T4_T5_T6_T7_T9_mT8_P12ihipStream_tbDpT10_ENKUlT_T0_E_clISt17integral_constantIbLb0EES18_IbLb1EEEEDaS14_S15_EUlS14_E_NS1_11comp_targetILNS1_3genE3ELNS1_11target_archE908ELNS1_3gpuE7ELNS1_3repE0EEENS1_30default_config_static_selectorELNS0_4arch9wavefront6targetE1EEEvT1_.kd
    .uniform_work_group_size: 1
    .uses_dynamic_stack: false
    .vgpr_count:     0
    .vgpr_spill_count: 0
    .wavefront_size: 64
  - .agpr_count:     0
    .args:
      - .offset:         0
        .size:           144
        .value_kind:     by_value
    .group_segment_fixed_size: 0
    .kernarg_segment_align: 8
    .kernarg_segment_size: 144
    .language:       OpenCL C
    .language_version:
      - 2
      - 0
    .max_flat_workgroup_size: 256
    .name:           _ZN7rocprim17ROCPRIM_400000_NS6detail17trampoline_kernelINS0_14default_configENS1_25partition_config_selectorILNS1_17partition_subalgoE0EtNS0_10empty_typeEbEEZZNS1_14partition_implILS5_0ELb0ES3_jN6thrust23THRUST_200600_302600_NS6detail15normal_iteratorINSA_10device_ptrItEEEEPS6_SG_NS0_5tupleIJNSA_16discard_iteratorINSA_11use_defaultEEESF_EEENSH_IJSG_SG_EEES6_PlJ7is_evenItEEEE10hipError_tPvRmT3_T4_T5_T6_T7_T9_mT8_P12ihipStream_tbDpT10_ENKUlT_T0_E_clISt17integral_constantIbLb0EES18_IbLb1EEEEDaS14_S15_EUlS14_E_NS1_11comp_targetILNS1_3genE2ELNS1_11target_archE906ELNS1_3gpuE6ELNS1_3repE0EEENS1_30default_config_static_selectorELNS0_4arch9wavefront6targetE1EEEvT1_
    .private_segment_fixed_size: 0
    .sgpr_count:     4
    .sgpr_spill_count: 0
    .symbol:         _ZN7rocprim17ROCPRIM_400000_NS6detail17trampoline_kernelINS0_14default_configENS1_25partition_config_selectorILNS1_17partition_subalgoE0EtNS0_10empty_typeEbEEZZNS1_14partition_implILS5_0ELb0ES3_jN6thrust23THRUST_200600_302600_NS6detail15normal_iteratorINSA_10device_ptrItEEEEPS6_SG_NS0_5tupleIJNSA_16discard_iteratorINSA_11use_defaultEEESF_EEENSH_IJSG_SG_EEES6_PlJ7is_evenItEEEE10hipError_tPvRmT3_T4_T5_T6_T7_T9_mT8_P12ihipStream_tbDpT10_ENKUlT_T0_E_clISt17integral_constantIbLb0EES18_IbLb1EEEEDaS14_S15_EUlS14_E_NS1_11comp_targetILNS1_3genE2ELNS1_11target_archE906ELNS1_3gpuE6ELNS1_3repE0EEENS1_30default_config_static_selectorELNS0_4arch9wavefront6targetE1EEEvT1_.kd
    .uniform_work_group_size: 1
    .uses_dynamic_stack: false
    .vgpr_count:     0
    .vgpr_spill_count: 0
    .wavefront_size: 64
  - .agpr_count:     0
    .args:
      - .offset:         0
        .size:           144
        .value_kind:     by_value
    .group_segment_fixed_size: 0
    .kernarg_segment_align: 8
    .kernarg_segment_size: 144
    .language:       OpenCL C
    .language_version:
      - 2
      - 0
    .max_flat_workgroup_size: 384
    .name:           _ZN7rocprim17ROCPRIM_400000_NS6detail17trampoline_kernelINS0_14default_configENS1_25partition_config_selectorILNS1_17partition_subalgoE0EtNS0_10empty_typeEbEEZZNS1_14partition_implILS5_0ELb0ES3_jN6thrust23THRUST_200600_302600_NS6detail15normal_iteratorINSA_10device_ptrItEEEEPS6_SG_NS0_5tupleIJNSA_16discard_iteratorINSA_11use_defaultEEESF_EEENSH_IJSG_SG_EEES6_PlJ7is_evenItEEEE10hipError_tPvRmT3_T4_T5_T6_T7_T9_mT8_P12ihipStream_tbDpT10_ENKUlT_T0_E_clISt17integral_constantIbLb0EES18_IbLb1EEEEDaS14_S15_EUlS14_E_NS1_11comp_targetILNS1_3genE10ELNS1_11target_archE1200ELNS1_3gpuE4ELNS1_3repE0EEENS1_30default_config_static_selectorELNS0_4arch9wavefront6targetE1EEEvT1_
    .private_segment_fixed_size: 0
    .sgpr_count:     4
    .sgpr_spill_count: 0
    .symbol:         _ZN7rocprim17ROCPRIM_400000_NS6detail17trampoline_kernelINS0_14default_configENS1_25partition_config_selectorILNS1_17partition_subalgoE0EtNS0_10empty_typeEbEEZZNS1_14partition_implILS5_0ELb0ES3_jN6thrust23THRUST_200600_302600_NS6detail15normal_iteratorINSA_10device_ptrItEEEEPS6_SG_NS0_5tupleIJNSA_16discard_iteratorINSA_11use_defaultEEESF_EEENSH_IJSG_SG_EEES6_PlJ7is_evenItEEEE10hipError_tPvRmT3_T4_T5_T6_T7_T9_mT8_P12ihipStream_tbDpT10_ENKUlT_T0_E_clISt17integral_constantIbLb0EES18_IbLb1EEEEDaS14_S15_EUlS14_E_NS1_11comp_targetILNS1_3genE10ELNS1_11target_archE1200ELNS1_3gpuE4ELNS1_3repE0EEENS1_30default_config_static_selectorELNS0_4arch9wavefront6targetE1EEEvT1_.kd
    .uniform_work_group_size: 1
    .uses_dynamic_stack: false
    .vgpr_count:     0
    .vgpr_spill_count: 0
    .wavefront_size: 64
  - .agpr_count:     0
    .args:
      - .offset:         0
        .size:           144
        .value_kind:     by_value
    .group_segment_fixed_size: 0
    .kernarg_segment_align: 8
    .kernarg_segment_size: 144
    .language:       OpenCL C
    .language_version:
      - 2
      - 0
    .max_flat_workgroup_size: 128
    .name:           _ZN7rocprim17ROCPRIM_400000_NS6detail17trampoline_kernelINS0_14default_configENS1_25partition_config_selectorILNS1_17partition_subalgoE0EtNS0_10empty_typeEbEEZZNS1_14partition_implILS5_0ELb0ES3_jN6thrust23THRUST_200600_302600_NS6detail15normal_iteratorINSA_10device_ptrItEEEEPS6_SG_NS0_5tupleIJNSA_16discard_iteratorINSA_11use_defaultEEESF_EEENSH_IJSG_SG_EEES6_PlJ7is_evenItEEEE10hipError_tPvRmT3_T4_T5_T6_T7_T9_mT8_P12ihipStream_tbDpT10_ENKUlT_T0_E_clISt17integral_constantIbLb0EES18_IbLb1EEEEDaS14_S15_EUlS14_E_NS1_11comp_targetILNS1_3genE9ELNS1_11target_archE1100ELNS1_3gpuE3ELNS1_3repE0EEENS1_30default_config_static_selectorELNS0_4arch9wavefront6targetE1EEEvT1_
    .private_segment_fixed_size: 0
    .sgpr_count:     4
    .sgpr_spill_count: 0
    .symbol:         _ZN7rocprim17ROCPRIM_400000_NS6detail17trampoline_kernelINS0_14default_configENS1_25partition_config_selectorILNS1_17partition_subalgoE0EtNS0_10empty_typeEbEEZZNS1_14partition_implILS5_0ELb0ES3_jN6thrust23THRUST_200600_302600_NS6detail15normal_iteratorINSA_10device_ptrItEEEEPS6_SG_NS0_5tupleIJNSA_16discard_iteratorINSA_11use_defaultEEESF_EEENSH_IJSG_SG_EEES6_PlJ7is_evenItEEEE10hipError_tPvRmT3_T4_T5_T6_T7_T9_mT8_P12ihipStream_tbDpT10_ENKUlT_T0_E_clISt17integral_constantIbLb0EES18_IbLb1EEEEDaS14_S15_EUlS14_E_NS1_11comp_targetILNS1_3genE9ELNS1_11target_archE1100ELNS1_3gpuE3ELNS1_3repE0EEENS1_30default_config_static_selectorELNS0_4arch9wavefront6targetE1EEEvT1_.kd
    .uniform_work_group_size: 1
    .uses_dynamic_stack: false
    .vgpr_count:     0
    .vgpr_spill_count: 0
    .wavefront_size: 64
  - .agpr_count:     0
    .args:
      - .offset:         0
        .size:           144
        .value_kind:     by_value
    .group_segment_fixed_size: 0
    .kernarg_segment_align: 8
    .kernarg_segment_size: 144
    .language:       OpenCL C
    .language_version:
      - 2
      - 0
    .max_flat_workgroup_size: 128
    .name:           _ZN7rocprim17ROCPRIM_400000_NS6detail17trampoline_kernelINS0_14default_configENS1_25partition_config_selectorILNS1_17partition_subalgoE0EtNS0_10empty_typeEbEEZZNS1_14partition_implILS5_0ELb0ES3_jN6thrust23THRUST_200600_302600_NS6detail15normal_iteratorINSA_10device_ptrItEEEEPS6_SG_NS0_5tupleIJNSA_16discard_iteratorINSA_11use_defaultEEESF_EEENSH_IJSG_SG_EEES6_PlJ7is_evenItEEEE10hipError_tPvRmT3_T4_T5_T6_T7_T9_mT8_P12ihipStream_tbDpT10_ENKUlT_T0_E_clISt17integral_constantIbLb0EES18_IbLb1EEEEDaS14_S15_EUlS14_E_NS1_11comp_targetILNS1_3genE8ELNS1_11target_archE1030ELNS1_3gpuE2ELNS1_3repE0EEENS1_30default_config_static_selectorELNS0_4arch9wavefront6targetE1EEEvT1_
    .private_segment_fixed_size: 0
    .sgpr_count:     4
    .sgpr_spill_count: 0
    .symbol:         _ZN7rocprim17ROCPRIM_400000_NS6detail17trampoline_kernelINS0_14default_configENS1_25partition_config_selectorILNS1_17partition_subalgoE0EtNS0_10empty_typeEbEEZZNS1_14partition_implILS5_0ELb0ES3_jN6thrust23THRUST_200600_302600_NS6detail15normal_iteratorINSA_10device_ptrItEEEEPS6_SG_NS0_5tupleIJNSA_16discard_iteratorINSA_11use_defaultEEESF_EEENSH_IJSG_SG_EEES6_PlJ7is_evenItEEEE10hipError_tPvRmT3_T4_T5_T6_T7_T9_mT8_P12ihipStream_tbDpT10_ENKUlT_T0_E_clISt17integral_constantIbLb0EES18_IbLb1EEEEDaS14_S15_EUlS14_E_NS1_11comp_targetILNS1_3genE8ELNS1_11target_archE1030ELNS1_3gpuE2ELNS1_3repE0EEENS1_30default_config_static_selectorELNS0_4arch9wavefront6targetE1EEEvT1_.kd
    .uniform_work_group_size: 1
    .uses_dynamic_stack: false
    .vgpr_count:     0
    .vgpr_spill_count: 0
    .wavefront_size: 64
  - .agpr_count:     0
    .args:
      - .offset:         0
        .size:           136
        .value_kind:     by_value
    .group_segment_fixed_size: 0
    .kernarg_segment_align: 8
    .kernarg_segment_size: 136
    .language:       OpenCL C
    .language_version:
      - 2
      - 0
    .max_flat_workgroup_size: 128
    .name:           _ZN7rocprim17ROCPRIM_400000_NS6detail17trampoline_kernelINS0_14default_configENS1_25partition_config_selectorILNS1_17partition_subalgoE0ExNS0_10empty_typeEbEEZZNS1_14partition_implILS5_0ELb0ES3_jN6thrust23THRUST_200600_302600_NS6detail15normal_iteratorINSA_10device_ptrIxEEEEPS6_SG_NS0_5tupleIJNSA_16discard_iteratorINSA_11use_defaultEEESK_EEENSH_IJSG_SG_EEES6_PlJ7is_evenIxEEEE10hipError_tPvRmT3_T4_T5_T6_T7_T9_mT8_P12ihipStream_tbDpT10_ENKUlT_T0_E_clISt17integral_constantIbLb0EES19_EEDaS14_S15_EUlS14_E_NS1_11comp_targetILNS1_3genE0ELNS1_11target_archE4294967295ELNS1_3gpuE0ELNS1_3repE0EEENS1_30default_config_static_selectorELNS0_4arch9wavefront6targetE1EEEvT1_
    .private_segment_fixed_size: 0
    .sgpr_count:     4
    .sgpr_spill_count: 0
    .symbol:         _ZN7rocprim17ROCPRIM_400000_NS6detail17trampoline_kernelINS0_14default_configENS1_25partition_config_selectorILNS1_17partition_subalgoE0ExNS0_10empty_typeEbEEZZNS1_14partition_implILS5_0ELb0ES3_jN6thrust23THRUST_200600_302600_NS6detail15normal_iteratorINSA_10device_ptrIxEEEEPS6_SG_NS0_5tupleIJNSA_16discard_iteratorINSA_11use_defaultEEESK_EEENSH_IJSG_SG_EEES6_PlJ7is_evenIxEEEE10hipError_tPvRmT3_T4_T5_T6_T7_T9_mT8_P12ihipStream_tbDpT10_ENKUlT_T0_E_clISt17integral_constantIbLb0EES19_EEDaS14_S15_EUlS14_E_NS1_11comp_targetILNS1_3genE0ELNS1_11target_archE4294967295ELNS1_3gpuE0ELNS1_3repE0EEENS1_30default_config_static_selectorELNS0_4arch9wavefront6targetE1EEEvT1_.kd
    .uniform_work_group_size: 1
    .uses_dynamic_stack: false
    .vgpr_count:     0
    .vgpr_spill_count: 0
    .wavefront_size: 64
  - .agpr_count:     0
    .args:
      - .offset:         0
        .size:           136
        .value_kind:     by_value
    .group_segment_fixed_size: 0
    .kernarg_segment_align: 8
    .kernarg_segment_size: 136
    .language:       OpenCL C
    .language_version:
      - 2
      - 0
    .max_flat_workgroup_size: 512
    .name:           _ZN7rocprim17ROCPRIM_400000_NS6detail17trampoline_kernelINS0_14default_configENS1_25partition_config_selectorILNS1_17partition_subalgoE0ExNS0_10empty_typeEbEEZZNS1_14partition_implILS5_0ELb0ES3_jN6thrust23THRUST_200600_302600_NS6detail15normal_iteratorINSA_10device_ptrIxEEEEPS6_SG_NS0_5tupleIJNSA_16discard_iteratorINSA_11use_defaultEEESK_EEENSH_IJSG_SG_EEES6_PlJ7is_evenIxEEEE10hipError_tPvRmT3_T4_T5_T6_T7_T9_mT8_P12ihipStream_tbDpT10_ENKUlT_T0_E_clISt17integral_constantIbLb0EES19_EEDaS14_S15_EUlS14_E_NS1_11comp_targetILNS1_3genE5ELNS1_11target_archE942ELNS1_3gpuE9ELNS1_3repE0EEENS1_30default_config_static_selectorELNS0_4arch9wavefront6targetE1EEEvT1_
    .private_segment_fixed_size: 0
    .sgpr_count:     4
    .sgpr_spill_count: 0
    .symbol:         _ZN7rocprim17ROCPRIM_400000_NS6detail17trampoline_kernelINS0_14default_configENS1_25partition_config_selectorILNS1_17partition_subalgoE0ExNS0_10empty_typeEbEEZZNS1_14partition_implILS5_0ELb0ES3_jN6thrust23THRUST_200600_302600_NS6detail15normal_iteratorINSA_10device_ptrIxEEEEPS6_SG_NS0_5tupleIJNSA_16discard_iteratorINSA_11use_defaultEEESK_EEENSH_IJSG_SG_EEES6_PlJ7is_evenIxEEEE10hipError_tPvRmT3_T4_T5_T6_T7_T9_mT8_P12ihipStream_tbDpT10_ENKUlT_T0_E_clISt17integral_constantIbLb0EES19_EEDaS14_S15_EUlS14_E_NS1_11comp_targetILNS1_3genE5ELNS1_11target_archE942ELNS1_3gpuE9ELNS1_3repE0EEENS1_30default_config_static_selectorELNS0_4arch9wavefront6targetE1EEEvT1_.kd
    .uniform_work_group_size: 1
    .uses_dynamic_stack: false
    .vgpr_count:     0
    .vgpr_spill_count: 0
    .wavefront_size: 64
  - .agpr_count:     0
    .args:
      - .offset:         0
        .size:           136
        .value_kind:     by_value
    .group_segment_fixed_size: 6344
    .kernarg_segment_align: 8
    .kernarg_segment_size: 136
    .language:       OpenCL C
    .language_version:
      - 2
      - 0
    .max_flat_workgroup_size: 192
    .name:           _ZN7rocprim17ROCPRIM_400000_NS6detail17trampoline_kernelINS0_14default_configENS1_25partition_config_selectorILNS1_17partition_subalgoE0ExNS0_10empty_typeEbEEZZNS1_14partition_implILS5_0ELb0ES3_jN6thrust23THRUST_200600_302600_NS6detail15normal_iteratorINSA_10device_ptrIxEEEEPS6_SG_NS0_5tupleIJNSA_16discard_iteratorINSA_11use_defaultEEESK_EEENSH_IJSG_SG_EEES6_PlJ7is_evenIxEEEE10hipError_tPvRmT3_T4_T5_T6_T7_T9_mT8_P12ihipStream_tbDpT10_ENKUlT_T0_E_clISt17integral_constantIbLb0EES19_EEDaS14_S15_EUlS14_E_NS1_11comp_targetILNS1_3genE4ELNS1_11target_archE910ELNS1_3gpuE8ELNS1_3repE0EEENS1_30default_config_static_selectorELNS0_4arch9wavefront6targetE1EEEvT1_
    .private_segment_fixed_size: 0
    .sgpr_count:     40
    .sgpr_spill_count: 0
    .symbol:         _ZN7rocprim17ROCPRIM_400000_NS6detail17trampoline_kernelINS0_14default_configENS1_25partition_config_selectorILNS1_17partition_subalgoE0ExNS0_10empty_typeEbEEZZNS1_14partition_implILS5_0ELb0ES3_jN6thrust23THRUST_200600_302600_NS6detail15normal_iteratorINSA_10device_ptrIxEEEEPS6_SG_NS0_5tupleIJNSA_16discard_iteratorINSA_11use_defaultEEESK_EEENSH_IJSG_SG_EEES6_PlJ7is_evenIxEEEE10hipError_tPvRmT3_T4_T5_T6_T7_T9_mT8_P12ihipStream_tbDpT10_ENKUlT_T0_E_clISt17integral_constantIbLb0EES19_EEDaS14_S15_EUlS14_E_NS1_11comp_targetILNS1_3genE4ELNS1_11target_archE910ELNS1_3gpuE8ELNS1_3repE0EEENS1_30default_config_static_selectorELNS0_4arch9wavefront6targetE1EEEvT1_.kd
    .uniform_work_group_size: 1
    .uses_dynamic_stack: false
    .vgpr_count:     42
    .vgpr_spill_count: 0
    .wavefront_size: 64
  - .agpr_count:     0
    .args:
      - .offset:         0
        .size:           136
        .value_kind:     by_value
    .group_segment_fixed_size: 0
    .kernarg_segment_align: 8
    .kernarg_segment_size: 136
    .language:       OpenCL C
    .language_version:
      - 2
      - 0
    .max_flat_workgroup_size: 128
    .name:           _ZN7rocprim17ROCPRIM_400000_NS6detail17trampoline_kernelINS0_14default_configENS1_25partition_config_selectorILNS1_17partition_subalgoE0ExNS0_10empty_typeEbEEZZNS1_14partition_implILS5_0ELb0ES3_jN6thrust23THRUST_200600_302600_NS6detail15normal_iteratorINSA_10device_ptrIxEEEEPS6_SG_NS0_5tupleIJNSA_16discard_iteratorINSA_11use_defaultEEESK_EEENSH_IJSG_SG_EEES6_PlJ7is_evenIxEEEE10hipError_tPvRmT3_T4_T5_T6_T7_T9_mT8_P12ihipStream_tbDpT10_ENKUlT_T0_E_clISt17integral_constantIbLb0EES19_EEDaS14_S15_EUlS14_E_NS1_11comp_targetILNS1_3genE3ELNS1_11target_archE908ELNS1_3gpuE7ELNS1_3repE0EEENS1_30default_config_static_selectorELNS0_4arch9wavefront6targetE1EEEvT1_
    .private_segment_fixed_size: 0
    .sgpr_count:     4
    .sgpr_spill_count: 0
    .symbol:         _ZN7rocprim17ROCPRIM_400000_NS6detail17trampoline_kernelINS0_14default_configENS1_25partition_config_selectorILNS1_17partition_subalgoE0ExNS0_10empty_typeEbEEZZNS1_14partition_implILS5_0ELb0ES3_jN6thrust23THRUST_200600_302600_NS6detail15normal_iteratorINSA_10device_ptrIxEEEEPS6_SG_NS0_5tupleIJNSA_16discard_iteratorINSA_11use_defaultEEESK_EEENSH_IJSG_SG_EEES6_PlJ7is_evenIxEEEE10hipError_tPvRmT3_T4_T5_T6_T7_T9_mT8_P12ihipStream_tbDpT10_ENKUlT_T0_E_clISt17integral_constantIbLb0EES19_EEDaS14_S15_EUlS14_E_NS1_11comp_targetILNS1_3genE3ELNS1_11target_archE908ELNS1_3gpuE7ELNS1_3repE0EEENS1_30default_config_static_selectorELNS0_4arch9wavefront6targetE1EEEvT1_.kd
    .uniform_work_group_size: 1
    .uses_dynamic_stack: false
    .vgpr_count:     0
    .vgpr_spill_count: 0
    .wavefront_size: 64
  - .agpr_count:     0
    .args:
      - .offset:         0
        .size:           136
        .value_kind:     by_value
    .group_segment_fixed_size: 0
    .kernarg_segment_align: 8
    .kernarg_segment_size: 136
    .language:       OpenCL C
    .language_version:
      - 2
      - 0
    .max_flat_workgroup_size: 256
    .name:           _ZN7rocprim17ROCPRIM_400000_NS6detail17trampoline_kernelINS0_14default_configENS1_25partition_config_selectorILNS1_17partition_subalgoE0ExNS0_10empty_typeEbEEZZNS1_14partition_implILS5_0ELb0ES3_jN6thrust23THRUST_200600_302600_NS6detail15normal_iteratorINSA_10device_ptrIxEEEEPS6_SG_NS0_5tupleIJNSA_16discard_iteratorINSA_11use_defaultEEESK_EEENSH_IJSG_SG_EEES6_PlJ7is_evenIxEEEE10hipError_tPvRmT3_T4_T5_T6_T7_T9_mT8_P12ihipStream_tbDpT10_ENKUlT_T0_E_clISt17integral_constantIbLb0EES19_EEDaS14_S15_EUlS14_E_NS1_11comp_targetILNS1_3genE2ELNS1_11target_archE906ELNS1_3gpuE6ELNS1_3repE0EEENS1_30default_config_static_selectorELNS0_4arch9wavefront6targetE1EEEvT1_
    .private_segment_fixed_size: 0
    .sgpr_count:     4
    .sgpr_spill_count: 0
    .symbol:         _ZN7rocprim17ROCPRIM_400000_NS6detail17trampoline_kernelINS0_14default_configENS1_25partition_config_selectorILNS1_17partition_subalgoE0ExNS0_10empty_typeEbEEZZNS1_14partition_implILS5_0ELb0ES3_jN6thrust23THRUST_200600_302600_NS6detail15normal_iteratorINSA_10device_ptrIxEEEEPS6_SG_NS0_5tupleIJNSA_16discard_iteratorINSA_11use_defaultEEESK_EEENSH_IJSG_SG_EEES6_PlJ7is_evenIxEEEE10hipError_tPvRmT3_T4_T5_T6_T7_T9_mT8_P12ihipStream_tbDpT10_ENKUlT_T0_E_clISt17integral_constantIbLb0EES19_EEDaS14_S15_EUlS14_E_NS1_11comp_targetILNS1_3genE2ELNS1_11target_archE906ELNS1_3gpuE6ELNS1_3repE0EEENS1_30default_config_static_selectorELNS0_4arch9wavefront6targetE1EEEvT1_.kd
    .uniform_work_group_size: 1
    .uses_dynamic_stack: false
    .vgpr_count:     0
    .vgpr_spill_count: 0
    .wavefront_size: 64
  - .agpr_count:     0
    .args:
      - .offset:         0
        .size:           136
        .value_kind:     by_value
    .group_segment_fixed_size: 0
    .kernarg_segment_align: 8
    .kernarg_segment_size: 136
    .language:       OpenCL C
    .language_version:
      - 2
      - 0
    .max_flat_workgroup_size: 512
    .name:           _ZN7rocprim17ROCPRIM_400000_NS6detail17trampoline_kernelINS0_14default_configENS1_25partition_config_selectorILNS1_17partition_subalgoE0ExNS0_10empty_typeEbEEZZNS1_14partition_implILS5_0ELb0ES3_jN6thrust23THRUST_200600_302600_NS6detail15normal_iteratorINSA_10device_ptrIxEEEEPS6_SG_NS0_5tupleIJNSA_16discard_iteratorINSA_11use_defaultEEESK_EEENSH_IJSG_SG_EEES6_PlJ7is_evenIxEEEE10hipError_tPvRmT3_T4_T5_T6_T7_T9_mT8_P12ihipStream_tbDpT10_ENKUlT_T0_E_clISt17integral_constantIbLb0EES19_EEDaS14_S15_EUlS14_E_NS1_11comp_targetILNS1_3genE10ELNS1_11target_archE1200ELNS1_3gpuE4ELNS1_3repE0EEENS1_30default_config_static_selectorELNS0_4arch9wavefront6targetE1EEEvT1_
    .private_segment_fixed_size: 0
    .sgpr_count:     4
    .sgpr_spill_count: 0
    .symbol:         _ZN7rocprim17ROCPRIM_400000_NS6detail17trampoline_kernelINS0_14default_configENS1_25partition_config_selectorILNS1_17partition_subalgoE0ExNS0_10empty_typeEbEEZZNS1_14partition_implILS5_0ELb0ES3_jN6thrust23THRUST_200600_302600_NS6detail15normal_iteratorINSA_10device_ptrIxEEEEPS6_SG_NS0_5tupleIJNSA_16discard_iteratorINSA_11use_defaultEEESK_EEENSH_IJSG_SG_EEES6_PlJ7is_evenIxEEEE10hipError_tPvRmT3_T4_T5_T6_T7_T9_mT8_P12ihipStream_tbDpT10_ENKUlT_T0_E_clISt17integral_constantIbLb0EES19_EEDaS14_S15_EUlS14_E_NS1_11comp_targetILNS1_3genE10ELNS1_11target_archE1200ELNS1_3gpuE4ELNS1_3repE0EEENS1_30default_config_static_selectorELNS0_4arch9wavefront6targetE1EEEvT1_.kd
    .uniform_work_group_size: 1
    .uses_dynamic_stack: false
    .vgpr_count:     0
    .vgpr_spill_count: 0
    .wavefront_size: 64
  - .agpr_count:     0
    .args:
      - .offset:         0
        .size:           136
        .value_kind:     by_value
    .group_segment_fixed_size: 0
    .kernarg_segment_align: 8
    .kernarg_segment_size: 136
    .language:       OpenCL C
    .language_version:
      - 2
      - 0
    .max_flat_workgroup_size: 512
    .name:           _ZN7rocprim17ROCPRIM_400000_NS6detail17trampoline_kernelINS0_14default_configENS1_25partition_config_selectorILNS1_17partition_subalgoE0ExNS0_10empty_typeEbEEZZNS1_14partition_implILS5_0ELb0ES3_jN6thrust23THRUST_200600_302600_NS6detail15normal_iteratorINSA_10device_ptrIxEEEEPS6_SG_NS0_5tupleIJNSA_16discard_iteratorINSA_11use_defaultEEESK_EEENSH_IJSG_SG_EEES6_PlJ7is_evenIxEEEE10hipError_tPvRmT3_T4_T5_T6_T7_T9_mT8_P12ihipStream_tbDpT10_ENKUlT_T0_E_clISt17integral_constantIbLb0EES19_EEDaS14_S15_EUlS14_E_NS1_11comp_targetILNS1_3genE9ELNS1_11target_archE1100ELNS1_3gpuE3ELNS1_3repE0EEENS1_30default_config_static_selectorELNS0_4arch9wavefront6targetE1EEEvT1_
    .private_segment_fixed_size: 0
    .sgpr_count:     4
    .sgpr_spill_count: 0
    .symbol:         _ZN7rocprim17ROCPRIM_400000_NS6detail17trampoline_kernelINS0_14default_configENS1_25partition_config_selectorILNS1_17partition_subalgoE0ExNS0_10empty_typeEbEEZZNS1_14partition_implILS5_0ELb0ES3_jN6thrust23THRUST_200600_302600_NS6detail15normal_iteratorINSA_10device_ptrIxEEEEPS6_SG_NS0_5tupleIJNSA_16discard_iteratorINSA_11use_defaultEEESK_EEENSH_IJSG_SG_EEES6_PlJ7is_evenIxEEEE10hipError_tPvRmT3_T4_T5_T6_T7_T9_mT8_P12ihipStream_tbDpT10_ENKUlT_T0_E_clISt17integral_constantIbLb0EES19_EEDaS14_S15_EUlS14_E_NS1_11comp_targetILNS1_3genE9ELNS1_11target_archE1100ELNS1_3gpuE3ELNS1_3repE0EEENS1_30default_config_static_selectorELNS0_4arch9wavefront6targetE1EEEvT1_.kd
    .uniform_work_group_size: 1
    .uses_dynamic_stack: false
    .vgpr_count:     0
    .vgpr_spill_count: 0
    .wavefront_size: 64
  - .agpr_count:     0
    .args:
      - .offset:         0
        .size:           136
        .value_kind:     by_value
    .group_segment_fixed_size: 0
    .kernarg_segment_align: 8
    .kernarg_segment_size: 136
    .language:       OpenCL C
    .language_version:
      - 2
      - 0
    .max_flat_workgroup_size: 512
    .name:           _ZN7rocprim17ROCPRIM_400000_NS6detail17trampoline_kernelINS0_14default_configENS1_25partition_config_selectorILNS1_17partition_subalgoE0ExNS0_10empty_typeEbEEZZNS1_14partition_implILS5_0ELb0ES3_jN6thrust23THRUST_200600_302600_NS6detail15normal_iteratorINSA_10device_ptrIxEEEEPS6_SG_NS0_5tupleIJNSA_16discard_iteratorINSA_11use_defaultEEESK_EEENSH_IJSG_SG_EEES6_PlJ7is_evenIxEEEE10hipError_tPvRmT3_T4_T5_T6_T7_T9_mT8_P12ihipStream_tbDpT10_ENKUlT_T0_E_clISt17integral_constantIbLb0EES19_EEDaS14_S15_EUlS14_E_NS1_11comp_targetILNS1_3genE8ELNS1_11target_archE1030ELNS1_3gpuE2ELNS1_3repE0EEENS1_30default_config_static_selectorELNS0_4arch9wavefront6targetE1EEEvT1_
    .private_segment_fixed_size: 0
    .sgpr_count:     4
    .sgpr_spill_count: 0
    .symbol:         _ZN7rocprim17ROCPRIM_400000_NS6detail17trampoline_kernelINS0_14default_configENS1_25partition_config_selectorILNS1_17partition_subalgoE0ExNS0_10empty_typeEbEEZZNS1_14partition_implILS5_0ELb0ES3_jN6thrust23THRUST_200600_302600_NS6detail15normal_iteratorINSA_10device_ptrIxEEEEPS6_SG_NS0_5tupleIJNSA_16discard_iteratorINSA_11use_defaultEEESK_EEENSH_IJSG_SG_EEES6_PlJ7is_evenIxEEEE10hipError_tPvRmT3_T4_T5_T6_T7_T9_mT8_P12ihipStream_tbDpT10_ENKUlT_T0_E_clISt17integral_constantIbLb0EES19_EEDaS14_S15_EUlS14_E_NS1_11comp_targetILNS1_3genE8ELNS1_11target_archE1030ELNS1_3gpuE2ELNS1_3repE0EEENS1_30default_config_static_selectorELNS0_4arch9wavefront6targetE1EEEvT1_.kd
    .uniform_work_group_size: 1
    .uses_dynamic_stack: false
    .vgpr_count:     0
    .vgpr_spill_count: 0
    .wavefront_size: 64
  - .agpr_count:     0
    .args:
      - .offset:         0
        .size:           152
        .value_kind:     by_value
    .group_segment_fixed_size: 0
    .kernarg_segment_align: 8
    .kernarg_segment_size: 152
    .language:       OpenCL C
    .language_version:
      - 2
      - 0
    .max_flat_workgroup_size: 128
    .name:           _ZN7rocprim17ROCPRIM_400000_NS6detail17trampoline_kernelINS0_14default_configENS1_25partition_config_selectorILNS1_17partition_subalgoE0ExNS0_10empty_typeEbEEZZNS1_14partition_implILS5_0ELb0ES3_jN6thrust23THRUST_200600_302600_NS6detail15normal_iteratorINSA_10device_ptrIxEEEEPS6_SG_NS0_5tupleIJNSA_16discard_iteratorINSA_11use_defaultEEESK_EEENSH_IJSG_SG_EEES6_PlJ7is_evenIxEEEE10hipError_tPvRmT3_T4_T5_T6_T7_T9_mT8_P12ihipStream_tbDpT10_ENKUlT_T0_E_clISt17integral_constantIbLb1EES19_EEDaS14_S15_EUlS14_E_NS1_11comp_targetILNS1_3genE0ELNS1_11target_archE4294967295ELNS1_3gpuE0ELNS1_3repE0EEENS1_30default_config_static_selectorELNS0_4arch9wavefront6targetE1EEEvT1_
    .private_segment_fixed_size: 0
    .sgpr_count:     4
    .sgpr_spill_count: 0
    .symbol:         _ZN7rocprim17ROCPRIM_400000_NS6detail17trampoline_kernelINS0_14default_configENS1_25partition_config_selectorILNS1_17partition_subalgoE0ExNS0_10empty_typeEbEEZZNS1_14partition_implILS5_0ELb0ES3_jN6thrust23THRUST_200600_302600_NS6detail15normal_iteratorINSA_10device_ptrIxEEEEPS6_SG_NS0_5tupleIJNSA_16discard_iteratorINSA_11use_defaultEEESK_EEENSH_IJSG_SG_EEES6_PlJ7is_evenIxEEEE10hipError_tPvRmT3_T4_T5_T6_T7_T9_mT8_P12ihipStream_tbDpT10_ENKUlT_T0_E_clISt17integral_constantIbLb1EES19_EEDaS14_S15_EUlS14_E_NS1_11comp_targetILNS1_3genE0ELNS1_11target_archE4294967295ELNS1_3gpuE0ELNS1_3repE0EEENS1_30default_config_static_selectorELNS0_4arch9wavefront6targetE1EEEvT1_.kd
    .uniform_work_group_size: 1
    .uses_dynamic_stack: false
    .vgpr_count:     0
    .vgpr_spill_count: 0
    .wavefront_size: 64
  - .agpr_count:     0
    .args:
      - .offset:         0
        .size:           152
        .value_kind:     by_value
    .group_segment_fixed_size: 0
    .kernarg_segment_align: 8
    .kernarg_segment_size: 152
    .language:       OpenCL C
    .language_version:
      - 2
      - 0
    .max_flat_workgroup_size: 512
    .name:           _ZN7rocprim17ROCPRIM_400000_NS6detail17trampoline_kernelINS0_14default_configENS1_25partition_config_selectorILNS1_17partition_subalgoE0ExNS0_10empty_typeEbEEZZNS1_14partition_implILS5_0ELb0ES3_jN6thrust23THRUST_200600_302600_NS6detail15normal_iteratorINSA_10device_ptrIxEEEEPS6_SG_NS0_5tupleIJNSA_16discard_iteratorINSA_11use_defaultEEESK_EEENSH_IJSG_SG_EEES6_PlJ7is_evenIxEEEE10hipError_tPvRmT3_T4_T5_T6_T7_T9_mT8_P12ihipStream_tbDpT10_ENKUlT_T0_E_clISt17integral_constantIbLb1EES19_EEDaS14_S15_EUlS14_E_NS1_11comp_targetILNS1_3genE5ELNS1_11target_archE942ELNS1_3gpuE9ELNS1_3repE0EEENS1_30default_config_static_selectorELNS0_4arch9wavefront6targetE1EEEvT1_
    .private_segment_fixed_size: 0
    .sgpr_count:     4
    .sgpr_spill_count: 0
    .symbol:         _ZN7rocprim17ROCPRIM_400000_NS6detail17trampoline_kernelINS0_14default_configENS1_25partition_config_selectorILNS1_17partition_subalgoE0ExNS0_10empty_typeEbEEZZNS1_14partition_implILS5_0ELb0ES3_jN6thrust23THRUST_200600_302600_NS6detail15normal_iteratorINSA_10device_ptrIxEEEEPS6_SG_NS0_5tupleIJNSA_16discard_iteratorINSA_11use_defaultEEESK_EEENSH_IJSG_SG_EEES6_PlJ7is_evenIxEEEE10hipError_tPvRmT3_T4_T5_T6_T7_T9_mT8_P12ihipStream_tbDpT10_ENKUlT_T0_E_clISt17integral_constantIbLb1EES19_EEDaS14_S15_EUlS14_E_NS1_11comp_targetILNS1_3genE5ELNS1_11target_archE942ELNS1_3gpuE9ELNS1_3repE0EEENS1_30default_config_static_selectorELNS0_4arch9wavefront6targetE1EEEvT1_.kd
    .uniform_work_group_size: 1
    .uses_dynamic_stack: false
    .vgpr_count:     0
    .vgpr_spill_count: 0
    .wavefront_size: 64
  - .agpr_count:     0
    .args:
      - .offset:         0
        .size:           152
        .value_kind:     by_value
    .group_segment_fixed_size: 6344
    .kernarg_segment_align: 8
    .kernarg_segment_size: 152
    .language:       OpenCL C
    .language_version:
      - 2
      - 0
    .max_flat_workgroup_size: 192
    .name:           _ZN7rocprim17ROCPRIM_400000_NS6detail17trampoline_kernelINS0_14default_configENS1_25partition_config_selectorILNS1_17partition_subalgoE0ExNS0_10empty_typeEbEEZZNS1_14partition_implILS5_0ELb0ES3_jN6thrust23THRUST_200600_302600_NS6detail15normal_iteratorINSA_10device_ptrIxEEEEPS6_SG_NS0_5tupleIJNSA_16discard_iteratorINSA_11use_defaultEEESK_EEENSH_IJSG_SG_EEES6_PlJ7is_evenIxEEEE10hipError_tPvRmT3_T4_T5_T6_T7_T9_mT8_P12ihipStream_tbDpT10_ENKUlT_T0_E_clISt17integral_constantIbLb1EES19_EEDaS14_S15_EUlS14_E_NS1_11comp_targetILNS1_3genE4ELNS1_11target_archE910ELNS1_3gpuE8ELNS1_3repE0EEENS1_30default_config_static_selectorELNS0_4arch9wavefront6targetE1EEEvT1_
    .private_segment_fixed_size: 0
    .sgpr_count:     40
    .sgpr_spill_count: 0
    .symbol:         _ZN7rocprim17ROCPRIM_400000_NS6detail17trampoline_kernelINS0_14default_configENS1_25partition_config_selectorILNS1_17partition_subalgoE0ExNS0_10empty_typeEbEEZZNS1_14partition_implILS5_0ELb0ES3_jN6thrust23THRUST_200600_302600_NS6detail15normal_iteratorINSA_10device_ptrIxEEEEPS6_SG_NS0_5tupleIJNSA_16discard_iteratorINSA_11use_defaultEEESK_EEENSH_IJSG_SG_EEES6_PlJ7is_evenIxEEEE10hipError_tPvRmT3_T4_T5_T6_T7_T9_mT8_P12ihipStream_tbDpT10_ENKUlT_T0_E_clISt17integral_constantIbLb1EES19_EEDaS14_S15_EUlS14_E_NS1_11comp_targetILNS1_3genE4ELNS1_11target_archE910ELNS1_3gpuE8ELNS1_3repE0EEENS1_30default_config_static_selectorELNS0_4arch9wavefront6targetE1EEEvT1_.kd
    .uniform_work_group_size: 1
    .uses_dynamic_stack: false
    .vgpr_count:     44
    .vgpr_spill_count: 0
    .wavefront_size: 64
  - .agpr_count:     0
    .args:
      - .offset:         0
        .size:           152
        .value_kind:     by_value
    .group_segment_fixed_size: 0
    .kernarg_segment_align: 8
    .kernarg_segment_size: 152
    .language:       OpenCL C
    .language_version:
      - 2
      - 0
    .max_flat_workgroup_size: 128
    .name:           _ZN7rocprim17ROCPRIM_400000_NS6detail17trampoline_kernelINS0_14default_configENS1_25partition_config_selectorILNS1_17partition_subalgoE0ExNS0_10empty_typeEbEEZZNS1_14partition_implILS5_0ELb0ES3_jN6thrust23THRUST_200600_302600_NS6detail15normal_iteratorINSA_10device_ptrIxEEEEPS6_SG_NS0_5tupleIJNSA_16discard_iteratorINSA_11use_defaultEEESK_EEENSH_IJSG_SG_EEES6_PlJ7is_evenIxEEEE10hipError_tPvRmT3_T4_T5_T6_T7_T9_mT8_P12ihipStream_tbDpT10_ENKUlT_T0_E_clISt17integral_constantIbLb1EES19_EEDaS14_S15_EUlS14_E_NS1_11comp_targetILNS1_3genE3ELNS1_11target_archE908ELNS1_3gpuE7ELNS1_3repE0EEENS1_30default_config_static_selectorELNS0_4arch9wavefront6targetE1EEEvT1_
    .private_segment_fixed_size: 0
    .sgpr_count:     4
    .sgpr_spill_count: 0
    .symbol:         _ZN7rocprim17ROCPRIM_400000_NS6detail17trampoline_kernelINS0_14default_configENS1_25partition_config_selectorILNS1_17partition_subalgoE0ExNS0_10empty_typeEbEEZZNS1_14partition_implILS5_0ELb0ES3_jN6thrust23THRUST_200600_302600_NS6detail15normal_iteratorINSA_10device_ptrIxEEEEPS6_SG_NS0_5tupleIJNSA_16discard_iteratorINSA_11use_defaultEEESK_EEENSH_IJSG_SG_EEES6_PlJ7is_evenIxEEEE10hipError_tPvRmT3_T4_T5_T6_T7_T9_mT8_P12ihipStream_tbDpT10_ENKUlT_T0_E_clISt17integral_constantIbLb1EES19_EEDaS14_S15_EUlS14_E_NS1_11comp_targetILNS1_3genE3ELNS1_11target_archE908ELNS1_3gpuE7ELNS1_3repE0EEENS1_30default_config_static_selectorELNS0_4arch9wavefront6targetE1EEEvT1_.kd
    .uniform_work_group_size: 1
    .uses_dynamic_stack: false
    .vgpr_count:     0
    .vgpr_spill_count: 0
    .wavefront_size: 64
  - .agpr_count:     0
    .args:
      - .offset:         0
        .size:           152
        .value_kind:     by_value
    .group_segment_fixed_size: 0
    .kernarg_segment_align: 8
    .kernarg_segment_size: 152
    .language:       OpenCL C
    .language_version:
      - 2
      - 0
    .max_flat_workgroup_size: 256
    .name:           _ZN7rocprim17ROCPRIM_400000_NS6detail17trampoline_kernelINS0_14default_configENS1_25partition_config_selectorILNS1_17partition_subalgoE0ExNS0_10empty_typeEbEEZZNS1_14partition_implILS5_0ELb0ES3_jN6thrust23THRUST_200600_302600_NS6detail15normal_iteratorINSA_10device_ptrIxEEEEPS6_SG_NS0_5tupleIJNSA_16discard_iteratorINSA_11use_defaultEEESK_EEENSH_IJSG_SG_EEES6_PlJ7is_evenIxEEEE10hipError_tPvRmT3_T4_T5_T6_T7_T9_mT8_P12ihipStream_tbDpT10_ENKUlT_T0_E_clISt17integral_constantIbLb1EES19_EEDaS14_S15_EUlS14_E_NS1_11comp_targetILNS1_3genE2ELNS1_11target_archE906ELNS1_3gpuE6ELNS1_3repE0EEENS1_30default_config_static_selectorELNS0_4arch9wavefront6targetE1EEEvT1_
    .private_segment_fixed_size: 0
    .sgpr_count:     4
    .sgpr_spill_count: 0
    .symbol:         _ZN7rocprim17ROCPRIM_400000_NS6detail17trampoline_kernelINS0_14default_configENS1_25partition_config_selectorILNS1_17partition_subalgoE0ExNS0_10empty_typeEbEEZZNS1_14partition_implILS5_0ELb0ES3_jN6thrust23THRUST_200600_302600_NS6detail15normal_iteratorINSA_10device_ptrIxEEEEPS6_SG_NS0_5tupleIJNSA_16discard_iteratorINSA_11use_defaultEEESK_EEENSH_IJSG_SG_EEES6_PlJ7is_evenIxEEEE10hipError_tPvRmT3_T4_T5_T6_T7_T9_mT8_P12ihipStream_tbDpT10_ENKUlT_T0_E_clISt17integral_constantIbLb1EES19_EEDaS14_S15_EUlS14_E_NS1_11comp_targetILNS1_3genE2ELNS1_11target_archE906ELNS1_3gpuE6ELNS1_3repE0EEENS1_30default_config_static_selectorELNS0_4arch9wavefront6targetE1EEEvT1_.kd
    .uniform_work_group_size: 1
    .uses_dynamic_stack: false
    .vgpr_count:     0
    .vgpr_spill_count: 0
    .wavefront_size: 64
  - .agpr_count:     0
    .args:
      - .offset:         0
        .size:           152
        .value_kind:     by_value
    .group_segment_fixed_size: 0
    .kernarg_segment_align: 8
    .kernarg_segment_size: 152
    .language:       OpenCL C
    .language_version:
      - 2
      - 0
    .max_flat_workgroup_size: 512
    .name:           _ZN7rocprim17ROCPRIM_400000_NS6detail17trampoline_kernelINS0_14default_configENS1_25partition_config_selectorILNS1_17partition_subalgoE0ExNS0_10empty_typeEbEEZZNS1_14partition_implILS5_0ELb0ES3_jN6thrust23THRUST_200600_302600_NS6detail15normal_iteratorINSA_10device_ptrIxEEEEPS6_SG_NS0_5tupleIJNSA_16discard_iteratorINSA_11use_defaultEEESK_EEENSH_IJSG_SG_EEES6_PlJ7is_evenIxEEEE10hipError_tPvRmT3_T4_T5_T6_T7_T9_mT8_P12ihipStream_tbDpT10_ENKUlT_T0_E_clISt17integral_constantIbLb1EES19_EEDaS14_S15_EUlS14_E_NS1_11comp_targetILNS1_3genE10ELNS1_11target_archE1200ELNS1_3gpuE4ELNS1_3repE0EEENS1_30default_config_static_selectorELNS0_4arch9wavefront6targetE1EEEvT1_
    .private_segment_fixed_size: 0
    .sgpr_count:     4
    .sgpr_spill_count: 0
    .symbol:         _ZN7rocprim17ROCPRIM_400000_NS6detail17trampoline_kernelINS0_14default_configENS1_25partition_config_selectorILNS1_17partition_subalgoE0ExNS0_10empty_typeEbEEZZNS1_14partition_implILS5_0ELb0ES3_jN6thrust23THRUST_200600_302600_NS6detail15normal_iteratorINSA_10device_ptrIxEEEEPS6_SG_NS0_5tupleIJNSA_16discard_iteratorINSA_11use_defaultEEESK_EEENSH_IJSG_SG_EEES6_PlJ7is_evenIxEEEE10hipError_tPvRmT3_T4_T5_T6_T7_T9_mT8_P12ihipStream_tbDpT10_ENKUlT_T0_E_clISt17integral_constantIbLb1EES19_EEDaS14_S15_EUlS14_E_NS1_11comp_targetILNS1_3genE10ELNS1_11target_archE1200ELNS1_3gpuE4ELNS1_3repE0EEENS1_30default_config_static_selectorELNS0_4arch9wavefront6targetE1EEEvT1_.kd
    .uniform_work_group_size: 1
    .uses_dynamic_stack: false
    .vgpr_count:     0
    .vgpr_spill_count: 0
    .wavefront_size: 64
  - .agpr_count:     0
    .args:
      - .offset:         0
        .size:           152
        .value_kind:     by_value
    .group_segment_fixed_size: 0
    .kernarg_segment_align: 8
    .kernarg_segment_size: 152
    .language:       OpenCL C
    .language_version:
      - 2
      - 0
    .max_flat_workgroup_size: 512
    .name:           _ZN7rocprim17ROCPRIM_400000_NS6detail17trampoline_kernelINS0_14default_configENS1_25partition_config_selectorILNS1_17partition_subalgoE0ExNS0_10empty_typeEbEEZZNS1_14partition_implILS5_0ELb0ES3_jN6thrust23THRUST_200600_302600_NS6detail15normal_iteratorINSA_10device_ptrIxEEEEPS6_SG_NS0_5tupleIJNSA_16discard_iteratorINSA_11use_defaultEEESK_EEENSH_IJSG_SG_EEES6_PlJ7is_evenIxEEEE10hipError_tPvRmT3_T4_T5_T6_T7_T9_mT8_P12ihipStream_tbDpT10_ENKUlT_T0_E_clISt17integral_constantIbLb1EES19_EEDaS14_S15_EUlS14_E_NS1_11comp_targetILNS1_3genE9ELNS1_11target_archE1100ELNS1_3gpuE3ELNS1_3repE0EEENS1_30default_config_static_selectorELNS0_4arch9wavefront6targetE1EEEvT1_
    .private_segment_fixed_size: 0
    .sgpr_count:     4
    .sgpr_spill_count: 0
    .symbol:         _ZN7rocprim17ROCPRIM_400000_NS6detail17trampoline_kernelINS0_14default_configENS1_25partition_config_selectorILNS1_17partition_subalgoE0ExNS0_10empty_typeEbEEZZNS1_14partition_implILS5_0ELb0ES3_jN6thrust23THRUST_200600_302600_NS6detail15normal_iteratorINSA_10device_ptrIxEEEEPS6_SG_NS0_5tupleIJNSA_16discard_iteratorINSA_11use_defaultEEESK_EEENSH_IJSG_SG_EEES6_PlJ7is_evenIxEEEE10hipError_tPvRmT3_T4_T5_T6_T7_T9_mT8_P12ihipStream_tbDpT10_ENKUlT_T0_E_clISt17integral_constantIbLb1EES19_EEDaS14_S15_EUlS14_E_NS1_11comp_targetILNS1_3genE9ELNS1_11target_archE1100ELNS1_3gpuE3ELNS1_3repE0EEENS1_30default_config_static_selectorELNS0_4arch9wavefront6targetE1EEEvT1_.kd
    .uniform_work_group_size: 1
    .uses_dynamic_stack: false
    .vgpr_count:     0
    .vgpr_spill_count: 0
    .wavefront_size: 64
  - .agpr_count:     0
    .args:
      - .offset:         0
        .size:           152
        .value_kind:     by_value
    .group_segment_fixed_size: 0
    .kernarg_segment_align: 8
    .kernarg_segment_size: 152
    .language:       OpenCL C
    .language_version:
      - 2
      - 0
    .max_flat_workgroup_size: 512
    .name:           _ZN7rocprim17ROCPRIM_400000_NS6detail17trampoline_kernelINS0_14default_configENS1_25partition_config_selectorILNS1_17partition_subalgoE0ExNS0_10empty_typeEbEEZZNS1_14partition_implILS5_0ELb0ES3_jN6thrust23THRUST_200600_302600_NS6detail15normal_iteratorINSA_10device_ptrIxEEEEPS6_SG_NS0_5tupleIJNSA_16discard_iteratorINSA_11use_defaultEEESK_EEENSH_IJSG_SG_EEES6_PlJ7is_evenIxEEEE10hipError_tPvRmT3_T4_T5_T6_T7_T9_mT8_P12ihipStream_tbDpT10_ENKUlT_T0_E_clISt17integral_constantIbLb1EES19_EEDaS14_S15_EUlS14_E_NS1_11comp_targetILNS1_3genE8ELNS1_11target_archE1030ELNS1_3gpuE2ELNS1_3repE0EEENS1_30default_config_static_selectorELNS0_4arch9wavefront6targetE1EEEvT1_
    .private_segment_fixed_size: 0
    .sgpr_count:     4
    .sgpr_spill_count: 0
    .symbol:         _ZN7rocprim17ROCPRIM_400000_NS6detail17trampoline_kernelINS0_14default_configENS1_25partition_config_selectorILNS1_17partition_subalgoE0ExNS0_10empty_typeEbEEZZNS1_14partition_implILS5_0ELb0ES3_jN6thrust23THRUST_200600_302600_NS6detail15normal_iteratorINSA_10device_ptrIxEEEEPS6_SG_NS0_5tupleIJNSA_16discard_iteratorINSA_11use_defaultEEESK_EEENSH_IJSG_SG_EEES6_PlJ7is_evenIxEEEE10hipError_tPvRmT3_T4_T5_T6_T7_T9_mT8_P12ihipStream_tbDpT10_ENKUlT_T0_E_clISt17integral_constantIbLb1EES19_EEDaS14_S15_EUlS14_E_NS1_11comp_targetILNS1_3genE8ELNS1_11target_archE1030ELNS1_3gpuE2ELNS1_3repE0EEENS1_30default_config_static_selectorELNS0_4arch9wavefront6targetE1EEEvT1_.kd
    .uniform_work_group_size: 1
    .uses_dynamic_stack: false
    .vgpr_count:     0
    .vgpr_spill_count: 0
    .wavefront_size: 64
  - .agpr_count:     0
    .args:
      - .offset:         0
        .size:           136
        .value_kind:     by_value
    .group_segment_fixed_size: 0
    .kernarg_segment_align: 8
    .kernarg_segment_size: 136
    .language:       OpenCL C
    .language_version:
      - 2
      - 0
    .max_flat_workgroup_size: 128
    .name:           _ZN7rocprim17ROCPRIM_400000_NS6detail17trampoline_kernelINS0_14default_configENS1_25partition_config_selectorILNS1_17partition_subalgoE0ExNS0_10empty_typeEbEEZZNS1_14partition_implILS5_0ELb0ES3_jN6thrust23THRUST_200600_302600_NS6detail15normal_iteratorINSA_10device_ptrIxEEEEPS6_SG_NS0_5tupleIJNSA_16discard_iteratorINSA_11use_defaultEEESK_EEENSH_IJSG_SG_EEES6_PlJ7is_evenIxEEEE10hipError_tPvRmT3_T4_T5_T6_T7_T9_mT8_P12ihipStream_tbDpT10_ENKUlT_T0_E_clISt17integral_constantIbLb1EES18_IbLb0EEEEDaS14_S15_EUlS14_E_NS1_11comp_targetILNS1_3genE0ELNS1_11target_archE4294967295ELNS1_3gpuE0ELNS1_3repE0EEENS1_30default_config_static_selectorELNS0_4arch9wavefront6targetE1EEEvT1_
    .private_segment_fixed_size: 0
    .sgpr_count:     4
    .sgpr_spill_count: 0
    .symbol:         _ZN7rocprim17ROCPRIM_400000_NS6detail17trampoline_kernelINS0_14default_configENS1_25partition_config_selectorILNS1_17partition_subalgoE0ExNS0_10empty_typeEbEEZZNS1_14partition_implILS5_0ELb0ES3_jN6thrust23THRUST_200600_302600_NS6detail15normal_iteratorINSA_10device_ptrIxEEEEPS6_SG_NS0_5tupleIJNSA_16discard_iteratorINSA_11use_defaultEEESK_EEENSH_IJSG_SG_EEES6_PlJ7is_evenIxEEEE10hipError_tPvRmT3_T4_T5_T6_T7_T9_mT8_P12ihipStream_tbDpT10_ENKUlT_T0_E_clISt17integral_constantIbLb1EES18_IbLb0EEEEDaS14_S15_EUlS14_E_NS1_11comp_targetILNS1_3genE0ELNS1_11target_archE4294967295ELNS1_3gpuE0ELNS1_3repE0EEENS1_30default_config_static_selectorELNS0_4arch9wavefront6targetE1EEEvT1_.kd
    .uniform_work_group_size: 1
    .uses_dynamic_stack: false
    .vgpr_count:     0
    .vgpr_spill_count: 0
    .wavefront_size: 64
  - .agpr_count:     0
    .args:
      - .offset:         0
        .size:           136
        .value_kind:     by_value
    .group_segment_fixed_size: 0
    .kernarg_segment_align: 8
    .kernarg_segment_size: 136
    .language:       OpenCL C
    .language_version:
      - 2
      - 0
    .max_flat_workgroup_size: 512
    .name:           _ZN7rocprim17ROCPRIM_400000_NS6detail17trampoline_kernelINS0_14default_configENS1_25partition_config_selectorILNS1_17partition_subalgoE0ExNS0_10empty_typeEbEEZZNS1_14partition_implILS5_0ELb0ES3_jN6thrust23THRUST_200600_302600_NS6detail15normal_iteratorINSA_10device_ptrIxEEEEPS6_SG_NS0_5tupleIJNSA_16discard_iteratorINSA_11use_defaultEEESK_EEENSH_IJSG_SG_EEES6_PlJ7is_evenIxEEEE10hipError_tPvRmT3_T4_T5_T6_T7_T9_mT8_P12ihipStream_tbDpT10_ENKUlT_T0_E_clISt17integral_constantIbLb1EES18_IbLb0EEEEDaS14_S15_EUlS14_E_NS1_11comp_targetILNS1_3genE5ELNS1_11target_archE942ELNS1_3gpuE9ELNS1_3repE0EEENS1_30default_config_static_selectorELNS0_4arch9wavefront6targetE1EEEvT1_
    .private_segment_fixed_size: 0
    .sgpr_count:     4
    .sgpr_spill_count: 0
    .symbol:         _ZN7rocprim17ROCPRIM_400000_NS6detail17trampoline_kernelINS0_14default_configENS1_25partition_config_selectorILNS1_17partition_subalgoE0ExNS0_10empty_typeEbEEZZNS1_14partition_implILS5_0ELb0ES3_jN6thrust23THRUST_200600_302600_NS6detail15normal_iteratorINSA_10device_ptrIxEEEEPS6_SG_NS0_5tupleIJNSA_16discard_iteratorINSA_11use_defaultEEESK_EEENSH_IJSG_SG_EEES6_PlJ7is_evenIxEEEE10hipError_tPvRmT3_T4_T5_T6_T7_T9_mT8_P12ihipStream_tbDpT10_ENKUlT_T0_E_clISt17integral_constantIbLb1EES18_IbLb0EEEEDaS14_S15_EUlS14_E_NS1_11comp_targetILNS1_3genE5ELNS1_11target_archE942ELNS1_3gpuE9ELNS1_3repE0EEENS1_30default_config_static_selectorELNS0_4arch9wavefront6targetE1EEEvT1_.kd
    .uniform_work_group_size: 1
    .uses_dynamic_stack: false
    .vgpr_count:     0
    .vgpr_spill_count: 0
    .wavefront_size: 64
  - .agpr_count:     0
    .args:
      - .offset:         0
        .size:           136
        .value_kind:     by_value
    .group_segment_fixed_size: 6344
    .kernarg_segment_align: 8
    .kernarg_segment_size: 136
    .language:       OpenCL C
    .language_version:
      - 2
      - 0
    .max_flat_workgroup_size: 192
    .name:           _ZN7rocprim17ROCPRIM_400000_NS6detail17trampoline_kernelINS0_14default_configENS1_25partition_config_selectorILNS1_17partition_subalgoE0ExNS0_10empty_typeEbEEZZNS1_14partition_implILS5_0ELb0ES3_jN6thrust23THRUST_200600_302600_NS6detail15normal_iteratorINSA_10device_ptrIxEEEEPS6_SG_NS0_5tupleIJNSA_16discard_iteratorINSA_11use_defaultEEESK_EEENSH_IJSG_SG_EEES6_PlJ7is_evenIxEEEE10hipError_tPvRmT3_T4_T5_T6_T7_T9_mT8_P12ihipStream_tbDpT10_ENKUlT_T0_E_clISt17integral_constantIbLb1EES18_IbLb0EEEEDaS14_S15_EUlS14_E_NS1_11comp_targetILNS1_3genE4ELNS1_11target_archE910ELNS1_3gpuE8ELNS1_3repE0EEENS1_30default_config_static_selectorELNS0_4arch9wavefront6targetE1EEEvT1_
    .private_segment_fixed_size: 0
    .sgpr_count:     40
    .sgpr_spill_count: 0
    .symbol:         _ZN7rocprim17ROCPRIM_400000_NS6detail17trampoline_kernelINS0_14default_configENS1_25partition_config_selectorILNS1_17partition_subalgoE0ExNS0_10empty_typeEbEEZZNS1_14partition_implILS5_0ELb0ES3_jN6thrust23THRUST_200600_302600_NS6detail15normal_iteratorINSA_10device_ptrIxEEEEPS6_SG_NS0_5tupleIJNSA_16discard_iteratorINSA_11use_defaultEEESK_EEENSH_IJSG_SG_EEES6_PlJ7is_evenIxEEEE10hipError_tPvRmT3_T4_T5_T6_T7_T9_mT8_P12ihipStream_tbDpT10_ENKUlT_T0_E_clISt17integral_constantIbLb1EES18_IbLb0EEEEDaS14_S15_EUlS14_E_NS1_11comp_targetILNS1_3genE4ELNS1_11target_archE910ELNS1_3gpuE8ELNS1_3repE0EEENS1_30default_config_static_selectorELNS0_4arch9wavefront6targetE1EEEvT1_.kd
    .uniform_work_group_size: 1
    .uses_dynamic_stack: false
    .vgpr_count:     42
    .vgpr_spill_count: 0
    .wavefront_size: 64
  - .agpr_count:     0
    .args:
      - .offset:         0
        .size:           136
        .value_kind:     by_value
    .group_segment_fixed_size: 0
    .kernarg_segment_align: 8
    .kernarg_segment_size: 136
    .language:       OpenCL C
    .language_version:
      - 2
      - 0
    .max_flat_workgroup_size: 128
    .name:           _ZN7rocprim17ROCPRIM_400000_NS6detail17trampoline_kernelINS0_14default_configENS1_25partition_config_selectorILNS1_17partition_subalgoE0ExNS0_10empty_typeEbEEZZNS1_14partition_implILS5_0ELb0ES3_jN6thrust23THRUST_200600_302600_NS6detail15normal_iteratorINSA_10device_ptrIxEEEEPS6_SG_NS0_5tupleIJNSA_16discard_iteratorINSA_11use_defaultEEESK_EEENSH_IJSG_SG_EEES6_PlJ7is_evenIxEEEE10hipError_tPvRmT3_T4_T5_T6_T7_T9_mT8_P12ihipStream_tbDpT10_ENKUlT_T0_E_clISt17integral_constantIbLb1EES18_IbLb0EEEEDaS14_S15_EUlS14_E_NS1_11comp_targetILNS1_3genE3ELNS1_11target_archE908ELNS1_3gpuE7ELNS1_3repE0EEENS1_30default_config_static_selectorELNS0_4arch9wavefront6targetE1EEEvT1_
    .private_segment_fixed_size: 0
    .sgpr_count:     4
    .sgpr_spill_count: 0
    .symbol:         _ZN7rocprim17ROCPRIM_400000_NS6detail17trampoline_kernelINS0_14default_configENS1_25partition_config_selectorILNS1_17partition_subalgoE0ExNS0_10empty_typeEbEEZZNS1_14partition_implILS5_0ELb0ES3_jN6thrust23THRUST_200600_302600_NS6detail15normal_iteratorINSA_10device_ptrIxEEEEPS6_SG_NS0_5tupleIJNSA_16discard_iteratorINSA_11use_defaultEEESK_EEENSH_IJSG_SG_EEES6_PlJ7is_evenIxEEEE10hipError_tPvRmT3_T4_T5_T6_T7_T9_mT8_P12ihipStream_tbDpT10_ENKUlT_T0_E_clISt17integral_constantIbLb1EES18_IbLb0EEEEDaS14_S15_EUlS14_E_NS1_11comp_targetILNS1_3genE3ELNS1_11target_archE908ELNS1_3gpuE7ELNS1_3repE0EEENS1_30default_config_static_selectorELNS0_4arch9wavefront6targetE1EEEvT1_.kd
    .uniform_work_group_size: 1
    .uses_dynamic_stack: false
    .vgpr_count:     0
    .vgpr_spill_count: 0
    .wavefront_size: 64
  - .agpr_count:     0
    .args:
      - .offset:         0
        .size:           136
        .value_kind:     by_value
    .group_segment_fixed_size: 0
    .kernarg_segment_align: 8
    .kernarg_segment_size: 136
    .language:       OpenCL C
    .language_version:
      - 2
      - 0
    .max_flat_workgroup_size: 256
    .name:           _ZN7rocprim17ROCPRIM_400000_NS6detail17trampoline_kernelINS0_14default_configENS1_25partition_config_selectorILNS1_17partition_subalgoE0ExNS0_10empty_typeEbEEZZNS1_14partition_implILS5_0ELb0ES3_jN6thrust23THRUST_200600_302600_NS6detail15normal_iteratorINSA_10device_ptrIxEEEEPS6_SG_NS0_5tupleIJNSA_16discard_iteratorINSA_11use_defaultEEESK_EEENSH_IJSG_SG_EEES6_PlJ7is_evenIxEEEE10hipError_tPvRmT3_T4_T5_T6_T7_T9_mT8_P12ihipStream_tbDpT10_ENKUlT_T0_E_clISt17integral_constantIbLb1EES18_IbLb0EEEEDaS14_S15_EUlS14_E_NS1_11comp_targetILNS1_3genE2ELNS1_11target_archE906ELNS1_3gpuE6ELNS1_3repE0EEENS1_30default_config_static_selectorELNS0_4arch9wavefront6targetE1EEEvT1_
    .private_segment_fixed_size: 0
    .sgpr_count:     4
    .sgpr_spill_count: 0
    .symbol:         _ZN7rocprim17ROCPRIM_400000_NS6detail17trampoline_kernelINS0_14default_configENS1_25partition_config_selectorILNS1_17partition_subalgoE0ExNS0_10empty_typeEbEEZZNS1_14partition_implILS5_0ELb0ES3_jN6thrust23THRUST_200600_302600_NS6detail15normal_iteratorINSA_10device_ptrIxEEEEPS6_SG_NS0_5tupleIJNSA_16discard_iteratorINSA_11use_defaultEEESK_EEENSH_IJSG_SG_EEES6_PlJ7is_evenIxEEEE10hipError_tPvRmT3_T4_T5_T6_T7_T9_mT8_P12ihipStream_tbDpT10_ENKUlT_T0_E_clISt17integral_constantIbLb1EES18_IbLb0EEEEDaS14_S15_EUlS14_E_NS1_11comp_targetILNS1_3genE2ELNS1_11target_archE906ELNS1_3gpuE6ELNS1_3repE0EEENS1_30default_config_static_selectorELNS0_4arch9wavefront6targetE1EEEvT1_.kd
    .uniform_work_group_size: 1
    .uses_dynamic_stack: false
    .vgpr_count:     0
    .vgpr_spill_count: 0
    .wavefront_size: 64
  - .agpr_count:     0
    .args:
      - .offset:         0
        .size:           136
        .value_kind:     by_value
    .group_segment_fixed_size: 0
    .kernarg_segment_align: 8
    .kernarg_segment_size: 136
    .language:       OpenCL C
    .language_version:
      - 2
      - 0
    .max_flat_workgroup_size: 512
    .name:           _ZN7rocprim17ROCPRIM_400000_NS6detail17trampoline_kernelINS0_14default_configENS1_25partition_config_selectorILNS1_17partition_subalgoE0ExNS0_10empty_typeEbEEZZNS1_14partition_implILS5_0ELb0ES3_jN6thrust23THRUST_200600_302600_NS6detail15normal_iteratorINSA_10device_ptrIxEEEEPS6_SG_NS0_5tupleIJNSA_16discard_iteratorINSA_11use_defaultEEESK_EEENSH_IJSG_SG_EEES6_PlJ7is_evenIxEEEE10hipError_tPvRmT3_T4_T5_T6_T7_T9_mT8_P12ihipStream_tbDpT10_ENKUlT_T0_E_clISt17integral_constantIbLb1EES18_IbLb0EEEEDaS14_S15_EUlS14_E_NS1_11comp_targetILNS1_3genE10ELNS1_11target_archE1200ELNS1_3gpuE4ELNS1_3repE0EEENS1_30default_config_static_selectorELNS0_4arch9wavefront6targetE1EEEvT1_
    .private_segment_fixed_size: 0
    .sgpr_count:     4
    .sgpr_spill_count: 0
    .symbol:         _ZN7rocprim17ROCPRIM_400000_NS6detail17trampoline_kernelINS0_14default_configENS1_25partition_config_selectorILNS1_17partition_subalgoE0ExNS0_10empty_typeEbEEZZNS1_14partition_implILS5_0ELb0ES3_jN6thrust23THRUST_200600_302600_NS6detail15normal_iteratorINSA_10device_ptrIxEEEEPS6_SG_NS0_5tupleIJNSA_16discard_iteratorINSA_11use_defaultEEESK_EEENSH_IJSG_SG_EEES6_PlJ7is_evenIxEEEE10hipError_tPvRmT3_T4_T5_T6_T7_T9_mT8_P12ihipStream_tbDpT10_ENKUlT_T0_E_clISt17integral_constantIbLb1EES18_IbLb0EEEEDaS14_S15_EUlS14_E_NS1_11comp_targetILNS1_3genE10ELNS1_11target_archE1200ELNS1_3gpuE4ELNS1_3repE0EEENS1_30default_config_static_selectorELNS0_4arch9wavefront6targetE1EEEvT1_.kd
    .uniform_work_group_size: 1
    .uses_dynamic_stack: false
    .vgpr_count:     0
    .vgpr_spill_count: 0
    .wavefront_size: 64
  - .agpr_count:     0
    .args:
      - .offset:         0
        .size:           136
        .value_kind:     by_value
    .group_segment_fixed_size: 0
    .kernarg_segment_align: 8
    .kernarg_segment_size: 136
    .language:       OpenCL C
    .language_version:
      - 2
      - 0
    .max_flat_workgroup_size: 512
    .name:           _ZN7rocprim17ROCPRIM_400000_NS6detail17trampoline_kernelINS0_14default_configENS1_25partition_config_selectorILNS1_17partition_subalgoE0ExNS0_10empty_typeEbEEZZNS1_14partition_implILS5_0ELb0ES3_jN6thrust23THRUST_200600_302600_NS6detail15normal_iteratorINSA_10device_ptrIxEEEEPS6_SG_NS0_5tupleIJNSA_16discard_iteratorINSA_11use_defaultEEESK_EEENSH_IJSG_SG_EEES6_PlJ7is_evenIxEEEE10hipError_tPvRmT3_T4_T5_T6_T7_T9_mT8_P12ihipStream_tbDpT10_ENKUlT_T0_E_clISt17integral_constantIbLb1EES18_IbLb0EEEEDaS14_S15_EUlS14_E_NS1_11comp_targetILNS1_3genE9ELNS1_11target_archE1100ELNS1_3gpuE3ELNS1_3repE0EEENS1_30default_config_static_selectorELNS0_4arch9wavefront6targetE1EEEvT1_
    .private_segment_fixed_size: 0
    .sgpr_count:     4
    .sgpr_spill_count: 0
    .symbol:         _ZN7rocprim17ROCPRIM_400000_NS6detail17trampoline_kernelINS0_14default_configENS1_25partition_config_selectorILNS1_17partition_subalgoE0ExNS0_10empty_typeEbEEZZNS1_14partition_implILS5_0ELb0ES3_jN6thrust23THRUST_200600_302600_NS6detail15normal_iteratorINSA_10device_ptrIxEEEEPS6_SG_NS0_5tupleIJNSA_16discard_iteratorINSA_11use_defaultEEESK_EEENSH_IJSG_SG_EEES6_PlJ7is_evenIxEEEE10hipError_tPvRmT3_T4_T5_T6_T7_T9_mT8_P12ihipStream_tbDpT10_ENKUlT_T0_E_clISt17integral_constantIbLb1EES18_IbLb0EEEEDaS14_S15_EUlS14_E_NS1_11comp_targetILNS1_3genE9ELNS1_11target_archE1100ELNS1_3gpuE3ELNS1_3repE0EEENS1_30default_config_static_selectorELNS0_4arch9wavefront6targetE1EEEvT1_.kd
    .uniform_work_group_size: 1
    .uses_dynamic_stack: false
    .vgpr_count:     0
    .vgpr_spill_count: 0
    .wavefront_size: 64
  - .agpr_count:     0
    .args:
      - .offset:         0
        .size:           136
        .value_kind:     by_value
    .group_segment_fixed_size: 0
    .kernarg_segment_align: 8
    .kernarg_segment_size: 136
    .language:       OpenCL C
    .language_version:
      - 2
      - 0
    .max_flat_workgroup_size: 512
    .name:           _ZN7rocprim17ROCPRIM_400000_NS6detail17trampoline_kernelINS0_14default_configENS1_25partition_config_selectorILNS1_17partition_subalgoE0ExNS0_10empty_typeEbEEZZNS1_14partition_implILS5_0ELb0ES3_jN6thrust23THRUST_200600_302600_NS6detail15normal_iteratorINSA_10device_ptrIxEEEEPS6_SG_NS0_5tupleIJNSA_16discard_iteratorINSA_11use_defaultEEESK_EEENSH_IJSG_SG_EEES6_PlJ7is_evenIxEEEE10hipError_tPvRmT3_T4_T5_T6_T7_T9_mT8_P12ihipStream_tbDpT10_ENKUlT_T0_E_clISt17integral_constantIbLb1EES18_IbLb0EEEEDaS14_S15_EUlS14_E_NS1_11comp_targetILNS1_3genE8ELNS1_11target_archE1030ELNS1_3gpuE2ELNS1_3repE0EEENS1_30default_config_static_selectorELNS0_4arch9wavefront6targetE1EEEvT1_
    .private_segment_fixed_size: 0
    .sgpr_count:     4
    .sgpr_spill_count: 0
    .symbol:         _ZN7rocprim17ROCPRIM_400000_NS6detail17trampoline_kernelINS0_14default_configENS1_25partition_config_selectorILNS1_17partition_subalgoE0ExNS0_10empty_typeEbEEZZNS1_14partition_implILS5_0ELb0ES3_jN6thrust23THRUST_200600_302600_NS6detail15normal_iteratorINSA_10device_ptrIxEEEEPS6_SG_NS0_5tupleIJNSA_16discard_iteratorINSA_11use_defaultEEESK_EEENSH_IJSG_SG_EEES6_PlJ7is_evenIxEEEE10hipError_tPvRmT3_T4_T5_T6_T7_T9_mT8_P12ihipStream_tbDpT10_ENKUlT_T0_E_clISt17integral_constantIbLb1EES18_IbLb0EEEEDaS14_S15_EUlS14_E_NS1_11comp_targetILNS1_3genE8ELNS1_11target_archE1030ELNS1_3gpuE2ELNS1_3repE0EEENS1_30default_config_static_selectorELNS0_4arch9wavefront6targetE1EEEvT1_.kd
    .uniform_work_group_size: 1
    .uses_dynamic_stack: false
    .vgpr_count:     0
    .vgpr_spill_count: 0
    .wavefront_size: 64
  - .agpr_count:     0
    .args:
      - .offset:         0
        .size:           152
        .value_kind:     by_value
    .group_segment_fixed_size: 0
    .kernarg_segment_align: 8
    .kernarg_segment_size: 152
    .language:       OpenCL C
    .language_version:
      - 2
      - 0
    .max_flat_workgroup_size: 128
    .name:           _ZN7rocprim17ROCPRIM_400000_NS6detail17trampoline_kernelINS0_14default_configENS1_25partition_config_selectorILNS1_17partition_subalgoE0ExNS0_10empty_typeEbEEZZNS1_14partition_implILS5_0ELb0ES3_jN6thrust23THRUST_200600_302600_NS6detail15normal_iteratorINSA_10device_ptrIxEEEEPS6_SG_NS0_5tupleIJNSA_16discard_iteratorINSA_11use_defaultEEESK_EEENSH_IJSG_SG_EEES6_PlJ7is_evenIxEEEE10hipError_tPvRmT3_T4_T5_T6_T7_T9_mT8_P12ihipStream_tbDpT10_ENKUlT_T0_E_clISt17integral_constantIbLb0EES18_IbLb1EEEEDaS14_S15_EUlS14_E_NS1_11comp_targetILNS1_3genE0ELNS1_11target_archE4294967295ELNS1_3gpuE0ELNS1_3repE0EEENS1_30default_config_static_selectorELNS0_4arch9wavefront6targetE1EEEvT1_
    .private_segment_fixed_size: 0
    .sgpr_count:     4
    .sgpr_spill_count: 0
    .symbol:         _ZN7rocprim17ROCPRIM_400000_NS6detail17trampoline_kernelINS0_14default_configENS1_25partition_config_selectorILNS1_17partition_subalgoE0ExNS0_10empty_typeEbEEZZNS1_14partition_implILS5_0ELb0ES3_jN6thrust23THRUST_200600_302600_NS6detail15normal_iteratorINSA_10device_ptrIxEEEEPS6_SG_NS0_5tupleIJNSA_16discard_iteratorINSA_11use_defaultEEESK_EEENSH_IJSG_SG_EEES6_PlJ7is_evenIxEEEE10hipError_tPvRmT3_T4_T5_T6_T7_T9_mT8_P12ihipStream_tbDpT10_ENKUlT_T0_E_clISt17integral_constantIbLb0EES18_IbLb1EEEEDaS14_S15_EUlS14_E_NS1_11comp_targetILNS1_3genE0ELNS1_11target_archE4294967295ELNS1_3gpuE0ELNS1_3repE0EEENS1_30default_config_static_selectorELNS0_4arch9wavefront6targetE1EEEvT1_.kd
    .uniform_work_group_size: 1
    .uses_dynamic_stack: false
    .vgpr_count:     0
    .vgpr_spill_count: 0
    .wavefront_size: 64
  - .agpr_count:     0
    .args:
      - .offset:         0
        .size:           152
        .value_kind:     by_value
    .group_segment_fixed_size: 0
    .kernarg_segment_align: 8
    .kernarg_segment_size: 152
    .language:       OpenCL C
    .language_version:
      - 2
      - 0
    .max_flat_workgroup_size: 512
    .name:           _ZN7rocprim17ROCPRIM_400000_NS6detail17trampoline_kernelINS0_14default_configENS1_25partition_config_selectorILNS1_17partition_subalgoE0ExNS0_10empty_typeEbEEZZNS1_14partition_implILS5_0ELb0ES3_jN6thrust23THRUST_200600_302600_NS6detail15normal_iteratorINSA_10device_ptrIxEEEEPS6_SG_NS0_5tupleIJNSA_16discard_iteratorINSA_11use_defaultEEESK_EEENSH_IJSG_SG_EEES6_PlJ7is_evenIxEEEE10hipError_tPvRmT3_T4_T5_T6_T7_T9_mT8_P12ihipStream_tbDpT10_ENKUlT_T0_E_clISt17integral_constantIbLb0EES18_IbLb1EEEEDaS14_S15_EUlS14_E_NS1_11comp_targetILNS1_3genE5ELNS1_11target_archE942ELNS1_3gpuE9ELNS1_3repE0EEENS1_30default_config_static_selectorELNS0_4arch9wavefront6targetE1EEEvT1_
    .private_segment_fixed_size: 0
    .sgpr_count:     4
    .sgpr_spill_count: 0
    .symbol:         _ZN7rocprim17ROCPRIM_400000_NS6detail17trampoline_kernelINS0_14default_configENS1_25partition_config_selectorILNS1_17partition_subalgoE0ExNS0_10empty_typeEbEEZZNS1_14partition_implILS5_0ELb0ES3_jN6thrust23THRUST_200600_302600_NS6detail15normal_iteratorINSA_10device_ptrIxEEEEPS6_SG_NS0_5tupleIJNSA_16discard_iteratorINSA_11use_defaultEEESK_EEENSH_IJSG_SG_EEES6_PlJ7is_evenIxEEEE10hipError_tPvRmT3_T4_T5_T6_T7_T9_mT8_P12ihipStream_tbDpT10_ENKUlT_T0_E_clISt17integral_constantIbLb0EES18_IbLb1EEEEDaS14_S15_EUlS14_E_NS1_11comp_targetILNS1_3genE5ELNS1_11target_archE942ELNS1_3gpuE9ELNS1_3repE0EEENS1_30default_config_static_selectorELNS0_4arch9wavefront6targetE1EEEvT1_.kd
    .uniform_work_group_size: 1
    .uses_dynamic_stack: false
    .vgpr_count:     0
    .vgpr_spill_count: 0
    .wavefront_size: 64
  - .agpr_count:     0
    .args:
      - .offset:         0
        .size:           152
        .value_kind:     by_value
    .group_segment_fixed_size: 6344
    .kernarg_segment_align: 8
    .kernarg_segment_size: 152
    .language:       OpenCL C
    .language_version:
      - 2
      - 0
    .max_flat_workgroup_size: 192
    .name:           _ZN7rocprim17ROCPRIM_400000_NS6detail17trampoline_kernelINS0_14default_configENS1_25partition_config_selectorILNS1_17partition_subalgoE0ExNS0_10empty_typeEbEEZZNS1_14partition_implILS5_0ELb0ES3_jN6thrust23THRUST_200600_302600_NS6detail15normal_iteratorINSA_10device_ptrIxEEEEPS6_SG_NS0_5tupleIJNSA_16discard_iteratorINSA_11use_defaultEEESK_EEENSH_IJSG_SG_EEES6_PlJ7is_evenIxEEEE10hipError_tPvRmT3_T4_T5_T6_T7_T9_mT8_P12ihipStream_tbDpT10_ENKUlT_T0_E_clISt17integral_constantIbLb0EES18_IbLb1EEEEDaS14_S15_EUlS14_E_NS1_11comp_targetILNS1_3genE4ELNS1_11target_archE910ELNS1_3gpuE8ELNS1_3repE0EEENS1_30default_config_static_selectorELNS0_4arch9wavefront6targetE1EEEvT1_
    .private_segment_fixed_size: 0
    .sgpr_count:     40
    .sgpr_spill_count: 0
    .symbol:         _ZN7rocprim17ROCPRIM_400000_NS6detail17trampoline_kernelINS0_14default_configENS1_25partition_config_selectorILNS1_17partition_subalgoE0ExNS0_10empty_typeEbEEZZNS1_14partition_implILS5_0ELb0ES3_jN6thrust23THRUST_200600_302600_NS6detail15normal_iteratorINSA_10device_ptrIxEEEEPS6_SG_NS0_5tupleIJNSA_16discard_iteratorINSA_11use_defaultEEESK_EEENSH_IJSG_SG_EEES6_PlJ7is_evenIxEEEE10hipError_tPvRmT3_T4_T5_T6_T7_T9_mT8_P12ihipStream_tbDpT10_ENKUlT_T0_E_clISt17integral_constantIbLb0EES18_IbLb1EEEEDaS14_S15_EUlS14_E_NS1_11comp_targetILNS1_3genE4ELNS1_11target_archE910ELNS1_3gpuE8ELNS1_3repE0EEENS1_30default_config_static_selectorELNS0_4arch9wavefront6targetE1EEEvT1_.kd
    .uniform_work_group_size: 1
    .uses_dynamic_stack: false
    .vgpr_count:     44
    .vgpr_spill_count: 0
    .wavefront_size: 64
  - .agpr_count:     0
    .args:
      - .offset:         0
        .size:           152
        .value_kind:     by_value
    .group_segment_fixed_size: 0
    .kernarg_segment_align: 8
    .kernarg_segment_size: 152
    .language:       OpenCL C
    .language_version:
      - 2
      - 0
    .max_flat_workgroup_size: 128
    .name:           _ZN7rocprim17ROCPRIM_400000_NS6detail17trampoline_kernelINS0_14default_configENS1_25partition_config_selectorILNS1_17partition_subalgoE0ExNS0_10empty_typeEbEEZZNS1_14partition_implILS5_0ELb0ES3_jN6thrust23THRUST_200600_302600_NS6detail15normal_iteratorINSA_10device_ptrIxEEEEPS6_SG_NS0_5tupleIJNSA_16discard_iteratorINSA_11use_defaultEEESK_EEENSH_IJSG_SG_EEES6_PlJ7is_evenIxEEEE10hipError_tPvRmT3_T4_T5_T6_T7_T9_mT8_P12ihipStream_tbDpT10_ENKUlT_T0_E_clISt17integral_constantIbLb0EES18_IbLb1EEEEDaS14_S15_EUlS14_E_NS1_11comp_targetILNS1_3genE3ELNS1_11target_archE908ELNS1_3gpuE7ELNS1_3repE0EEENS1_30default_config_static_selectorELNS0_4arch9wavefront6targetE1EEEvT1_
    .private_segment_fixed_size: 0
    .sgpr_count:     4
    .sgpr_spill_count: 0
    .symbol:         _ZN7rocprim17ROCPRIM_400000_NS6detail17trampoline_kernelINS0_14default_configENS1_25partition_config_selectorILNS1_17partition_subalgoE0ExNS0_10empty_typeEbEEZZNS1_14partition_implILS5_0ELb0ES3_jN6thrust23THRUST_200600_302600_NS6detail15normal_iteratorINSA_10device_ptrIxEEEEPS6_SG_NS0_5tupleIJNSA_16discard_iteratorINSA_11use_defaultEEESK_EEENSH_IJSG_SG_EEES6_PlJ7is_evenIxEEEE10hipError_tPvRmT3_T4_T5_T6_T7_T9_mT8_P12ihipStream_tbDpT10_ENKUlT_T0_E_clISt17integral_constantIbLb0EES18_IbLb1EEEEDaS14_S15_EUlS14_E_NS1_11comp_targetILNS1_3genE3ELNS1_11target_archE908ELNS1_3gpuE7ELNS1_3repE0EEENS1_30default_config_static_selectorELNS0_4arch9wavefront6targetE1EEEvT1_.kd
    .uniform_work_group_size: 1
    .uses_dynamic_stack: false
    .vgpr_count:     0
    .vgpr_spill_count: 0
    .wavefront_size: 64
  - .agpr_count:     0
    .args:
      - .offset:         0
        .size:           152
        .value_kind:     by_value
    .group_segment_fixed_size: 0
    .kernarg_segment_align: 8
    .kernarg_segment_size: 152
    .language:       OpenCL C
    .language_version:
      - 2
      - 0
    .max_flat_workgroup_size: 256
    .name:           _ZN7rocprim17ROCPRIM_400000_NS6detail17trampoline_kernelINS0_14default_configENS1_25partition_config_selectorILNS1_17partition_subalgoE0ExNS0_10empty_typeEbEEZZNS1_14partition_implILS5_0ELb0ES3_jN6thrust23THRUST_200600_302600_NS6detail15normal_iteratorINSA_10device_ptrIxEEEEPS6_SG_NS0_5tupleIJNSA_16discard_iteratorINSA_11use_defaultEEESK_EEENSH_IJSG_SG_EEES6_PlJ7is_evenIxEEEE10hipError_tPvRmT3_T4_T5_T6_T7_T9_mT8_P12ihipStream_tbDpT10_ENKUlT_T0_E_clISt17integral_constantIbLb0EES18_IbLb1EEEEDaS14_S15_EUlS14_E_NS1_11comp_targetILNS1_3genE2ELNS1_11target_archE906ELNS1_3gpuE6ELNS1_3repE0EEENS1_30default_config_static_selectorELNS0_4arch9wavefront6targetE1EEEvT1_
    .private_segment_fixed_size: 0
    .sgpr_count:     4
    .sgpr_spill_count: 0
    .symbol:         _ZN7rocprim17ROCPRIM_400000_NS6detail17trampoline_kernelINS0_14default_configENS1_25partition_config_selectorILNS1_17partition_subalgoE0ExNS0_10empty_typeEbEEZZNS1_14partition_implILS5_0ELb0ES3_jN6thrust23THRUST_200600_302600_NS6detail15normal_iteratorINSA_10device_ptrIxEEEEPS6_SG_NS0_5tupleIJNSA_16discard_iteratorINSA_11use_defaultEEESK_EEENSH_IJSG_SG_EEES6_PlJ7is_evenIxEEEE10hipError_tPvRmT3_T4_T5_T6_T7_T9_mT8_P12ihipStream_tbDpT10_ENKUlT_T0_E_clISt17integral_constantIbLb0EES18_IbLb1EEEEDaS14_S15_EUlS14_E_NS1_11comp_targetILNS1_3genE2ELNS1_11target_archE906ELNS1_3gpuE6ELNS1_3repE0EEENS1_30default_config_static_selectorELNS0_4arch9wavefront6targetE1EEEvT1_.kd
    .uniform_work_group_size: 1
    .uses_dynamic_stack: false
    .vgpr_count:     0
    .vgpr_spill_count: 0
    .wavefront_size: 64
  - .agpr_count:     0
    .args:
      - .offset:         0
        .size:           152
        .value_kind:     by_value
    .group_segment_fixed_size: 0
    .kernarg_segment_align: 8
    .kernarg_segment_size: 152
    .language:       OpenCL C
    .language_version:
      - 2
      - 0
    .max_flat_workgroup_size: 512
    .name:           _ZN7rocprim17ROCPRIM_400000_NS6detail17trampoline_kernelINS0_14default_configENS1_25partition_config_selectorILNS1_17partition_subalgoE0ExNS0_10empty_typeEbEEZZNS1_14partition_implILS5_0ELb0ES3_jN6thrust23THRUST_200600_302600_NS6detail15normal_iteratorINSA_10device_ptrIxEEEEPS6_SG_NS0_5tupleIJNSA_16discard_iteratorINSA_11use_defaultEEESK_EEENSH_IJSG_SG_EEES6_PlJ7is_evenIxEEEE10hipError_tPvRmT3_T4_T5_T6_T7_T9_mT8_P12ihipStream_tbDpT10_ENKUlT_T0_E_clISt17integral_constantIbLb0EES18_IbLb1EEEEDaS14_S15_EUlS14_E_NS1_11comp_targetILNS1_3genE10ELNS1_11target_archE1200ELNS1_3gpuE4ELNS1_3repE0EEENS1_30default_config_static_selectorELNS0_4arch9wavefront6targetE1EEEvT1_
    .private_segment_fixed_size: 0
    .sgpr_count:     4
    .sgpr_spill_count: 0
    .symbol:         _ZN7rocprim17ROCPRIM_400000_NS6detail17trampoline_kernelINS0_14default_configENS1_25partition_config_selectorILNS1_17partition_subalgoE0ExNS0_10empty_typeEbEEZZNS1_14partition_implILS5_0ELb0ES3_jN6thrust23THRUST_200600_302600_NS6detail15normal_iteratorINSA_10device_ptrIxEEEEPS6_SG_NS0_5tupleIJNSA_16discard_iteratorINSA_11use_defaultEEESK_EEENSH_IJSG_SG_EEES6_PlJ7is_evenIxEEEE10hipError_tPvRmT3_T4_T5_T6_T7_T9_mT8_P12ihipStream_tbDpT10_ENKUlT_T0_E_clISt17integral_constantIbLb0EES18_IbLb1EEEEDaS14_S15_EUlS14_E_NS1_11comp_targetILNS1_3genE10ELNS1_11target_archE1200ELNS1_3gpuE4ELNS1_3repE0EEENS1_30default_config_static_selectorELNS0_4arch9wavefront6targetE1EEEvT1_.kd
    .uniform_work_group_size: 1
    .uses_dynamic_stack: false
    .vgpr_count:     0
    .vgpr_spill_count: 0
    .wavefront_size: 64
  - .agpr_count:     0
    .args:
      - .offset:         0
        .size:           152
        .value_kind:     by_value
    .group_segment_fixed_size: 0
    .kernarg_segment_align: 8
    .kernarg_segment_size: 152
    .language:       OpenCL C
    .language_version:
      - 2
      - 0
    .max_flat_workgroup_size: 512
    .name:           _ZN7rocprim17ROCPRIM_400000_NS6detail17trampoline_kernelINS0_14default_configENS1_25partition_config_selectorILNS1_17partition_subalgoE0ExNS0_10empty_typeEbEEZZNS1_14partition_implILS5_0ELb0ES3_jN6thrust23THRUST_200600_302600_NS6detail15normal_iteratorINSA_10device_ptrIxEEEEPS6_SG_NS0_5tupleIJNSA_16discard_iteratorINSA_11use_defaultEEESK_EEENSH_IJSG_SG_EEES6_PlJ7is_evenIxEEEE10hipError_tPvRmT3_T4_T5_T6_T7_T9_mT8_P12ihipStream_tbDpT10_ENKUlT_T0_E_clISt17integral_constantIbLb0EES18_IbLb1EEEEDaS14_S15_EUlS14_E_NS1_11comp_targetILNS1_3genE9ELNS1_11target_archE1100ELNS1_3gpuE3ELNS1_3repE0EEENS1_30default_config_static_selectorELNS0_4arch9wavefront6targetE1EEEvT1_
    .private_segment_fixed_size: 0
    .sgpr_count:     4
    .sgpr_spill_count: 0
    .symbol:         _ZN7rocprim17ROCPRIM_400000_NS6detail17trampoline_kernelINS0_14default_configENS1_25partition_config_selectorILNS1_17partition_subalgoE0ExNS0_10empty_typeEbEEZZNS1_14partition_implILS5_0ELb0ES3_jN6thrust23THRUST_200600_302600_NS6detail15normal_iteratorINSA_10device_ptrIxEEEEPS6_SG_NS0_5tupleIJNSA_16discard_iteratorINSA_11use_defaultEEESK_EEENSH_IJSG_SG_EEES6_PlJ7is_evenIxEEEE10hipError_tPvRmT3_T4_T5_T6_T7_T9_mT8_P12ihipStream_tbDpT10_ENKUlT_T0_E_clISt17integral_constantIbLb0EES18_IbLb1EEEEDaS14_S15_EUlS14_E_NS1_11comp_targetILNS1_3genE9ELNS1_11target_archE1100ELNS1_3gpuE3ELNS1_3repE0EEENS1_30default_config_static_selectorELNS0_4arch9wavefront6targetE1EEEvT1_.kd
    .uniform_work_group_size: 1
    .uses_dynamic_stack: false
    .vgpr_count:     0
    .vgpr_spill_count: 0
    .wavefront_size: 64
  - .agpr_count:     0
    .args:
      - .offset:         0
        .size:           152
        .value_kind:     by_value
    .group_segment_fixed_size: 0
    .kernarg_segment_align: 8
    .kernarg_segment_size: 152
    .language:       OpenCL C
    .language_version:
      - 2
      - 0
    .max_flat_workgroup_size: 512
    .name:           _ZN7rocprim17ROCPRIM_400000_NS6detail17trampoline_kernelINS0_14default_configENS1_25partition_config_selectorILNS1_17partition_subalgoE0ExNS0_10empty_typeEbEEZZNS1_14partition_implILS5_0ELb0ES3_jN6thrust23THRUST_200600_302600_NS6detail15normal_iteratorINSA_10device_ptrIxEEEEPS6_SG_NS0_5tupleIJNSA_16discard_iteratorINSA_11use_defaultEEESK_EEENSH_IJSG_SG_EEES6_PlJ7is_evenIxEEEE10hipError_tPvRmT3_T4_T5_T6_T7_T9_mT8_P12ihipStream_tbDpT10_ENKUlT_T0_E_clISt17integral_constantIbLb0EES18_IbLb1EEEEDaS14_S15_EUlS14_E_NS1_11comp_targetILNS1_3genE8ELNS1_11target_archE1030ELNS1_3gpuE2ELNS1_3repE0EEENS1_30default_config_static_selectorELNS0_4arch9wavefront6targetE1EEEvT1_
    .private_segment_fixed_size: 0
    .sgpr_count:     4
    .sgpr_spill_count: 0
    .symbol:         _ZN7rocprim17ROCPRIM_400000_NS6detail17trampoline_kernelINS0_14default_configENS1_25partition_config_selectorILNS1_17partition_subalgoE0ExNS0_10empty_typeEbEEZZNS1_14partition_implILS5_0ELb0ES3_jN6thrust23THRUST_200600_302600_NS6detail15normal_iteratorINSA_10device_ptrIxEEEEPS6_SG_NS0_5tupleIJNSA_16discard_iteratorINSA_11use_defaultEEESK_EEENSH_IJSG_SG_EEES6_PlJ7is_evenIxEEEE10hipError_tPvRmT3_T4_T5_T6_T7_T9_mT8_P12ihipStream_tbDpT10_ENKUlT_T0_E_clISt17integral_constantIbLb0EES18_IbLb1EEEEDaS14_S15_EUlS14_E_NS1_11comp_targetILNS1_3genE8ELNS1_11target_archE1030ELNS1_3gpuE2ELNS1_3repE0EEENS1_30default_config_static_selectorELNS0_4arch9wavefront6targetE1EEEvT1_.kd
    .uniform_work_group_size: 1
    .uses_dynamic_stack: false
    .vgpr_count:     0
    .vgpr_spill_count: 0
    .wavefront_size: 64
  - .agpr_count:     0
    .args:
      - .offset:         0
        .size:           128
        .value_kind:     by_value
    .group_segment_fixed_size: 0
    .kernarg_segment_align: 8
    .kernarg_segment_size: 128
    .language:       OpenCL C
    .language_version:
      - 2
      - 0
    .max_flat_workgroup_size: 128
    .name:           _ZN7rocprim17ROCPRIM_400000_NS6detail17trampoline_kernelINS0_14default_configENS1_25partition_config_selectorILNS1_17partition_subalgoE0ExNS0_10empty_typeEbEEZZNS1_14partition_implILS5_0ELb0ES3_jN6thrust23THRUST_200600_302600_NS6detail15normal_iteratorINSA_10device_ptrIxEEEEPS6_SG_NS0_5tupleIJSF_NSA_16discard_iteratorINSA_11use_defaultEEEEEENSH_IJSG_SG_EEES6_PlJ7is_evenIxEEEE10hipError_tPvRmT3_T4_T5_T6_T7_T9_mT8_P12ihipStream_tbDpT10_ENKUlT_T0_E_clISt17integral_constantIbLb0EES19_EEDaS14_S15_EUlS14_E_NS1_11comp_targetILNS1_3genE0ELNS1_11target_archE4294967295ELNS1_3gpuE0ELNS1_3repE0EEENS1_30default_config_static_selectorELNS0_4arch9wavefront6targetE1EEEvT1_
    .private_segment_fixed_size: 0
    .sgpr_count:     4
    .sgpr_spill_count: 0
    .symbol:         _ZN7rocprim17ROCPRIM_400000_NS6detail17trampoline_kernelINS0_14default_configENS1_25partition_config_selectorILNS1_17partition_subalgoE0ExNS0_10empty_typeEbEEZZNS1_14partition_implILS5_0ELb0ES3_jN6thrust23THRUST_200600_302600_NS6detail15normal_iteratorINSA_10device_ptrIxEEEEPS6_SG_NS0_5tupleIJSF_NSA_16discard_iteratorINSA_11use_defaultEEEEEENSH_IJSG_SG_EEES6_PlJ7is_evenIxEEEE10hipError_tPvRmT3_T4_T5_T6_T7_T9_mT8_P12ihipStream_tbDpT10_ENKUlT_T0_E_clISt17integral_constantIbLb0EES19_EEDaS14_S15_EUlS14_E_NS1_11comp_targetILNS1_3genE0ELNS1_11target_archE4294967295ELNS1_3gpuE0ELNS1_3repE0EEENS1_30default_config_static_selectorELNS0_4arch9wavefront6targetE1EEEvT1_.kd
    .uniform_work_group_size: 1
    .uses_dynamic_stack: false
    .vgpr_count:     0
    .vgpr_spill_count: 0
    .wavefront_size: 64
  - .agpr_count:     0
    .args:
      - .offset:         0
        .size:           128
        .value_kind:     by_value
    .group_segment_fixed_size: 0
    .kernarg_segment_align: 8
    .kernarg_segment_size: 128
    .language:       OpenCL C
    .language_version:
      - 2
      - 0
    .max_flat_workgroup_size: 512
    .name:           _ZN7rocprim17ROCPRIM_400000_NS6detail17trampoline_kernelINS0_14default_configENS1_25partition_config_selectorILNS1_17partition_subalgoE0ExNS0_10empty_typeEbEEZZNS1_14partition_implILS5_0ELb0ES3_jN6thrust23THRUST_200600_302600_NS6detail15normal_iteratorINSA_10device_ptrIxEEEEPS6_SG_NS0_5tupleIJSF_NSA_16discard_iteratorINSA_11use_defaultEEEEEENSH_IJSG_SG_EEES6_PlJ7is_evenIxEEEE10hipError_tPvRmT3_T4_T5_T6_T7_T9_mT8_P12ihipStream_tbDpT10_ENKUlT_T0_E_clISt17integral_constantIbLb0EES19_EEDaS14_S15_EUlS14_E_NS1_11comp_targetILNS1_3genE5ELNS1_11target_archE942ELNS1_3gpuE9ELNS1_3repE0EEENS1_30default_config_static_selectorELNS0_4arch9wavefront6targetE1EEEvT1_
    .private_segment_fixed_size: 0
    .sgpr_count:     4
    .sgpr_spill_count: 0
    .symbol:         _ZN7rocprim17ROCPRIM_400000_NS6detail17trampoline_kernelINS0_14default_configENS1_25partition_config_selectorILNS1_17partition_subalgoE0ExNS0_10empty_typeEbEEZZNS1_14partition_implILS5_0ELb0ES3_jN6thrust23THRUST_200600_302600_NS6detail15normal_iteratorINSA_10device_ptrIxEEEEPS6_SG_NS0_5tupleIJSF_NSA_16discard_iteratorINSA_11use_defaultEEEEEENSH_IJSG_SG_EEES6_PlJ7is_evenIxEEEE10hipError_tPvRmT3_T4_T5_T6_T7_T9_mT8_P12ihipStream_tbDpT10_ENKUlT_T0_E_clISt17integral_constantIbLb0EES19_EEDaS14_S15_EUlS14_E_NS1_11comp_targetILNS1_3genE5ELNS1_11target_archE942ELNS1_3gpuE9ELNS1_3repE0EEENS1_30default_config_static_selectorELNS0_4arch9wavefront6targetE1EEEvT1_.kd
    .uniform_work_group_size: 1
    .uses_dynamic_stack: false
    .vgpr_count:     0
    .vgpr_spill_count: 0
    .wavefront_size: 64
  - .agpr_count:     0
    .args:
      - .offset:         0
        .size:           128
        .value_kind:     by_value
    .group_segment_fixed_size: 6344
    .kernarg_segment_align: 8
    .kernarg_segment_size: 128
    .language:       OpenCL C
    .language_version:
      - 2
      - 0
    .max_flat_workgroup_size: 192
    .name:           _ZN7rocprim17ROCPRIM_400000_NS6detail17trampoline_kernelINS0_14default_configENS1_25partition_config_selectorILNS1_17partition_subalgoE0ExNS0_10empty_typeEbEEZZNS1_14partition_implILS5_0ELb0ES3_jN6thrust23THRUST_200600_302600_NS6detail15normal_iteratorINSA_10device_ptrIxEEEEPS6_SG_NS0_5tupleIJSF_NSA_16discard_iteratorINSA_11use_defaultEEEEEENSH_IJSG_SG_EEES6_PlJ7is_evenIxEEEE10hipError_tPvRmT3_T4_T5_T6_T7_T9_mT8_P12ihipStream_tbDpT10_ENKUlT_T0_E_clISt17integral_constantIbLb0EES19_EEDaS14_S15_EUlS14_E_NS1_11comp_targetILNS1_3genE4ELNS1_11target_archE910ELNS1_3gpuE8ELNS1_3repE0EEENS1_30default_config_static_selectorELNS0_4arch9wavefront6targetE1EEEvT1_
    .private_segment_fixed_size: 0
    .sgpr_count:     44
    .sgpr_spill_count: 0
    .symbol:         _ZN7rocprim17ROCPRIM_400000_NS6detail17trampoline_kernelINS0_14default_configENS1_25partition_config_selectorILNS1_17partition_subalgoE0ExNS0_10empty_typeEbEEZZNS1_14partition_implILS5_0ELb0ES3_jN6thrust23THRUST_200600_302600_NS6detail15normal_iteratorINSA_10device_ptrIxEEEEPS6_SG_NS0_5tupleIJSF_NSA_16discard_iteratorINSA_11use_defaultEEEEEENSH_IJSG_SG_EEES6_PlJ7is_evenIxEEEE10hipError_tPvRmT3_T4_T5_T6_T7_T9_mT8_P12ihipStream_tbDpT10_ENKUlT_T0_E_clISt17integral_constantIbLb0EES19_EEDaS14_S15_EUlS14_E_NS1_11comp_targetILNS1_3genE4ELNS1_11target_archE910ELNS1_3gpuE8ELNS1_3repE0EEENS1_30default_config_static_selectorELNS0_4arch9wavefront6targetE1EEEvT1_.kd
    .uniform_work_group_size: 1
    .uses_dynamic_stack: false
    .vgpr_count:     43
    .vgpr_spill_count: 0
    .wavefront_size: 64
  - .agpr_count:     0
    .args:
      - .offset:         0
        .size:           128
        .value_kind:     by_value
    .group_segment_fixed_size: 0
    .kernarg_segment_align: 8
    .kernarg_segment_size: 128
    .language:       OpenCL C
    .language_version:
      - 2
      - 0
    .max_flat_workgroup_size: 128
    .name:           _ZN7rocprim17ROCPRIM_400000_NS6detail17trampoline_kernelINS0_14default_configENS1_25partition_config_selectorILNS1_17partition_subalgoE0ExNS0_10empty_typeEbEEZZNS1_14partition_implILS5_0ELb0ES3_jN6thrust23THRUST_200600_302600_NS6detail15normal_iteratorINSA_10device_ptrIxEEEEPS6_SG_NS0_5tupleIJSF_NSA_16discard_iteratorINSA_11use_defaultEEEEEENSH_IJSG_SG_EEES6_PlJ7is_evenIxEEEE10hipError_tPvRmT3_T4_T5_T6_T7_T9_mT8_P12ihipStream_tbDpT10_ENKUlT_T0_E_clISt17integral_constantIbLb0EES19_EEDaS14_S15_EUlS14_E_NS1_11comp_targetILNS1_3genE3ELNS1_11target_archE908ELNS1_3gpuE7ELNS1_3repE0EEENS1_30default_config_static_selectorELNS0_4arch9wavefront6targetE1EEEvT1_
    .private_segment_fixed_size: 0
    .sgpr_count:     4
    .sgpr_spill_count: 0
    .symbol:         _ZN7rocprim17ROCPRIM_400000_NS6detail17trampoline_kernelINS0_14default_configENS1_25partition_config_selectorILNS1_17partition_subalgoE0ExNS0_10empty_typeEbEEZZNS1_14partition_implILS5_0ELb0ES3_jN6thrust23THRUST_200600_302600_NS6detail15normal_iteratorINSA_10device_ptrIxEEEEPS6_SG_NS0_5tupleIJSF_NSA_16discard_iteratorINSA_11use_defaultEEEEEENSH_IJSG_SG_EEES6_PlJ7is_evenIxEEEE10hipError_tPvRmT3_T4_T5_T6_T7_T9_mT8_P12ihipStream_tbDpT10_ENKUlT_T0_E_clISt17integral_constantIbLb0EES19_EEDaS14_S15_EUlS14_E_NS1_11comp_targetILNS1_3genE3ELNS1_11target_archE908ELNS1_3gpuE7ELNS1_3repE0EEENS1_30default_config_static_selectorELNS0_4arch9wavefront6targetE1EEEvT1_.kd
    .uniform_work_group_size: 1
    .uses_dynamic_stack: false
    .vgpr_count:     0
    .vgpr_spill_count: 0
    .wavefront_size: 64
  - .agpr_count:     0
    .args:
      - .offset:         0
        .size:           128
        .value_kind:     by_value
    .group_segment_fixed_size: 0
    .kernarg_segment_align: 8
    .kernarg_segment_size: 128
    .language:       OpenCL C
    .language_version:
      - 2
      - 0
    .max_flat_workgroup_size: 256
    .name:           _ZN7rocprim17ROCPRIM_400000_NS6detail17trampoline_kernelINS0_14default_configENS1_25partition_config_selectorILNS1_17partition_subalgoE0ExNS0_10empty_typeEbEEZZNS1_14partition_implILS5_0ELb0ES3_jN6thrust23THRUST_200600_302600_NS6detail15normal_iteratorINSA_10device_ptrIxEEEEPS6_SG_NS0_5tupleIJSF_NSA_16discard_iteratorINSA_11use_defaultEEEEEENSH_IJSG_SG_EEES6_PlJ7is_evenIxEEEE10hipError_tPvRmT3_T4_T5_T6_T7_T9_mT8_P12ihipStream_tbDpT10_ENKUlT_T0_E_clISt17integral_constantIbLb0EES19_EEDaS14_S15_EUlS14_E_NS1_11comp_targetILNS1_3genE2ELNS1_11target_archE906ELNS1_3gpuE6ELNS1_3repE0EEENS1_30default_config_static_selectorELNS0_4arch9wavefront6targetE1EEEvT1_
    .private_segment_fixed_size: 0
    .sgpr_count:     4
    .sgpr_spill_count: 0
    .symbol:         _ZN7rocprim17ROCPRIM_400000_NS6detail17trampoline_kernelINS0_14default_configENS1_25partition_config_selectorILNS1_17partition_subalgoE0ExNS0_10empty_typeEbEEZZNS1_14partition_implILS5_0ELb0ES3_jN6thrust23THRUST_200600_302600_NS6detail15normal_iteratorINSA_10device_ptrIxEEEEPS6_SG_NS0_5tupleIJSF_NSA_16discard_iteratorINSA_11use_defaultEEEEEENSH_IJSG_SG_EEES6_PlJ7is_evenIxEEEE10hipError_tPvRmT3_T4_T5_T6_T7_T9_mT8_P12ihipStream_tbDpT10_ENKUlT_T0_E_clISt17integral_constantIbLb0EES19_EEDaS14_S15_EUlS14_E_NS1_11comp_targetILNS1_3genE2ELNS1_11target_archE906ELNS1_3gpuE6ELNS1_3repE0EEENS1_30default_config_static_selectorELNS0_4arch9wavefront6targetE1EEEvT1_.kd
    .uniform_work_group_size: 1
    .uses_dynamic_stack: false
    .vgpr_count:     0
    .vgpr_spill_count: 0
    .wavefront_size: 64
  - .agpr_count:     0
    .args:
      - .offset:         0
        .size:           128
        .value_kind:     by_value
    .group_segment_fixed_size: 0
    .kernarg_segment_align: 8
    .kernarg_segment_size: 128
    .language:       OpenCL C
    .language_version:
      - 2
      - 0
    .max_flat_workgroup_size: 512
    .name:           _ZN7rocprim17ROCPRIM_400000_NS6detail17trampoline_kernelINS0_14default_configENS1_25partition_config_selectorILNS1_17partition_subalgoE0ExNS0_10empty_typeEbEEZZNS1_14partition_implILS5_0ELb0ES3_jN6thrust23THRUST_200600_302600_NS6detail15normal_iteratorINSA_10device_ptrIxEEEEPS6_SG_NS0_5tupleIJSF_NSA_16discard_iteratorINSA_11use_defaultEEEEEENSH_IJSG_SG_EEES6_PlJ7is_evenIxEEEE10hipError_tPvRmT3_T4_T5_T6_T7_T9_mT8_P12ihipStream_tbDpT10_ENKUlT_T0_E_clISt17integral_constantIbLb0EES19_EEDaS14_S15_EUlS14_E_NS1_11comp_targetILNS1_3genE10ELNS1_11target_archE1200ELNS1_3gpuE4ELNS1_3repE0EEENS1_30default_config_static_selectorELNS0_4arch9wavefront6targetE1EEEvT1_
    .private_segment_fixed_size: 0
    .sgpr_count:     4
    .sgpr_spill_count: 0
    .symbol:         _ZN7rocprim17ROCPRIM_400000_NS6detail17trampoline_kernelINS0_14default_configENS1_25partition_config_selectorILNS1_17partition_subalgoE0ExNS0_10empty_typeEbEEZZNS1_14partition_implILS5_0ELb0ES3_jN6thrust23THRUST_200600_302600_NS6detail15normal_iteratorINSA_10device_ptrIxEEEEPS6_SG_NS0_5tupleIJSF_NSA_16discard_iteratorINSA_11use_defaultEEEEEENSH_IJSG_SG_EEES6_PlJ7is_evenIxEEEE10hipError_tPvRmT3_T4_T5_T6_T7_T9_mT8_P12ihipStream_tbDpT10_ENKUlT_T0_E_clISt17integral_constantIbLb0EES19_EEDaS14_S15_EUlS14_E_NS1_11comp_targetILNS1_3genE10ELNS1_11target_archE1200ELNS1_3gpuE4ELNS1_3repE0EEENS1_30default_config_static_selectorELNS0_4arch9wavefront6targetE1EEEvT1_.kd
    .uniform_work_group_size: 1
    .uses_dynamic_stack: false
    .vgpr_count:     0
    .vgpr_spill_count: 0
    .wavefront_size: 64
  - .agpr_count:     0
    .args:
      - .offset:         0
        .size:           128
        .value_kind:     by_value
    .group_segment_fixed_size: 0
    .kernarg_segment_align: 8
    .kernarg_segment_size: 128
    .language:       OpenCL C
    .language_version:
      - 2
      - 0
    .max_flat_workgroup_size: 512
    .name:           _ZN7rocprim17ROCPRIM_400000_NS6detail17trampoline_kernelINS0_14default_configENS1_25partition_config_selectorILNS1_17partition_subalgoE0ExNS0_10empty_typeEbEEZZNS1_14partition_implILS5_0ELb0ES3_jN6thrust23THRUST_200600_302600_NS6detail15normal_iteratorINSA_10device_ptrIxEEEEPS6_SG_NS0_5tupleIJSF_NSA_16discard_iteratorINSA_11use_defaultEEEEEENSH_IJSG_SG_EEES6_PlJ7is_evenIxEEEE10hipError_tPvRmT3_T4_T5_T6_T7_T9_mT8_P12ihipStream_tbDpT10_ENKUlT_T0_E_clISt17integral_constantIbLb0EES19_EEDaS14_S15_EUlS14_E_NS1_11comp_targetILNS1_3genE9ELNS1_11target_archE1100ELNS1_3gpuE3ELNS1_3repE0EEENS1_30default_config_static_selectorELNS0_4arch9wavefront6targetE1EEEvT1_
    .private_segment_fixed_size: 0
    .sgpr_count:     4
    .sgpr_spill_count: 0
    .symbol:         _ZN7rocprim17ROCPRIM_400000_NS6detail17trampoline_kernelINS0_14default_configENS1_25partition_config_selectorILNS1_17partition_subalgoE0ExNS0_10empty_typeEbEEZZNS1_14partition_implILS5_0ELb0ES3_jN6thrust23THRUST_200600_302600_NS6detail15normal_iteratorINSA_10device_ptrIxEEEEPS6_SG_NS0_5tupleIJSF_NSA_16discard_iteratorINSA_11use_defaultEEEEEENSH_IJSG_SG_EEES6_PlJ7is_evenIxEEEE10hipError_tPvRmT3_T4_T5_T6_T7_T9_mT8_P12ihipStream_tbDpT10_ENKUlT_T0_E_clISt17integral_constantIbLb0EES19_EEDaS14_S15_EUlS14_E_NS1_11comp_targetILNS1_3genE9ELNS1_11target_archE1100ELNS1_3gpuE3ELNS1_3repE0EEENS1_30default_config_static_selectorELNS0_4arch9wavefront6targetE1EEEvT1_.kd
    .uniform_work_group_size: 1
    .uses_dynamic_stack: false
    .vgpr_count:     0
    .vgpr_spill_count: 0
    .wavefront_size: 64
  - .agpr_count:     0
    .args:
      - .offset:         0
        .size:           128
        .value_kind:     by_value
    .group_segment_fixed_size: 0
    .kernarg_segment_align: 8
    .kernarg_segment_size: 128
    .language:       OpenCL C
    .language_version:
      - 2
      - 0
    .max_flat_workgroup_size: 512
    .name:           _ZN7rocprim17ROCPRIM_400000_NS6detail17trampoline_kernelINS0_14default_configENS1_25partition_config_selectorILNS1_17partition_subalgoE0ExNS0_10empty_typeEbEEZZNS1_14partition_implILS5_0ELb0ES3_jN6thrust23THRUST_200600_302600_NS6detail15normal_iteratorINSA_10device_ptrIxEEEEPS6_SG_NS0_5tupleIJSF_NSA_16discard_iteratorINSA_11use_defaultEEEEEENSH_IJSG_SG_EEES6_PlJ7is_evenIxEEEE10hipError_tPvRmT3_T4_T5_T6_T7_T9_mT8_P12ihipStream_tbDpT10_ENKUlT_T0_E_clISt17integral_constantIbLb0EES19_EEDaS14_S15_EUlS14_E_NS1_11comp_targetILNS1_3genE8ELNS1_11target_archE1030ELNS1_3gpuE2ELNS1_3repE0EEENS1_30default_config_static_selectorELNS0_4arch9wavefront6targetE1EEEvT1_
    .private_segment_fixed_size: 0
    .sgpr_count:     4
    .sgpr_spill_count: 0
    .symbol:         _ZN7rocprim17ROCPRIM_400000_NS6detail17trampoline_kernelINS0_14default_configENS1_25partition_config_selectorILNS1_17partition_subalgoE0ExNS0_10empty_typeEbEEZZNS1_14partition_implILS5_0ELb0ES3_jN6thrust23THRUST_200600_302600_NS6detail15normal_iteratorINSA_10device_ptrIxEEEEPS6_SG_NS0_5tupleIJSF_NSA_16discard_iteratorINSA_11use_defaultEEEEEENSH_IJSG_SG_EEES6_PlJ7is_evenIxEEEE10hipError_tPvRmT3_T4_T5_T6_T7_T9_mT8_P12ihipStream_tbDpT10_ENKUlT_T0_E_clISt17integral_constantIbLb0EES19_EEDaS14_S15_EUlS14_E_NS1_11comp_targetILNS1_3genE8ELNS1_11target_archE1030ELNS1_3gpuE2ELNS1_3repE0EEENS1_30default_config_static_selectorELNS0_4arch9wavefront6targetE1EEEvT1_.kd
    .uniform_work_group_size: 1
    .uses_dynamic_stack: false
    .vgpr_count:     0
    .vgpr_spill_count: 0
    .wavefront_size: 64
  - .agpr_count:     0
    .args:
      - .offset:         0
        .size:           144
        .value_kind:     by_value
    .group_segment_fixed_size: 0
    .kernarg_segment_align: 8
    .kernarg_segment_size: 144
    .language:       OpenCL C
    .language_version:
      - 2
      - 0
    .max_flat_workgroup_size: 128
    .name:           _ZN7rocprim17ROCPRIM_400000_NS6detail17trampoline_kernelINS0_14default_configENS1_25partition_config_selectorILNS1_17partition_subalgoE0ExNS0_10empty_typeEbEEZZNS1_14partition_implILS5_0ELb0ES3_jN6thrust23THRUST_200600_302600_NS6detail15normal_iteratorINSA_10device_ptrIxEEEEPS6_SG_NS0_5tupleIJSF_NSA_16discard_iteratorINSA_11use_defaultEEEEEENSH_IJSG_SG_EEES6_PlJ7is_evenIxEEEE10hipError_tPvRmT3_T4_T5_T6_T7_T9_mT8_P12ihipStream_tbDpT10_ENKUlT_T0_E_clISt17integral_constantIbLb1EES19_EEDaS14_S15_EUlS14_E_NS1_11comp_targetILNS1_3genE0ELNS1_11target_archE4294967295ELNS1_3gpuE0ELNS1_3repE0EEENS1_30default_config_static_selectorELNS0_4arch9wavefront6targetE1EEEvT1_
    .private_segment_fixed_size: 0
    .sgpr_count:     4
    .sgpr_spill_count: 0
    .symbol:         _ZN7rocprim17ROCPRIM_400000_NS6detail17trampoline_kernelINS0_14default_configENS1_25partition_config_selectorILNS1_17partition_subalgoE0ExNS0_10empty_typeEbEEZZNS1_14partition_implILS5_0ELb0ES3_jN6thrust23THRUST_200600_302600_NS6detail15normal_iteratorINSA_10device_ptrIxEEEEPS6_SG_NS0_5tupleIJSF_NSA_16discard_iteratorINSA_11use_defaultEEEEEENSH_IJSG_SG_EEES6_PlJ7is_evenIxEEEE10hipError_tPvRmT3_T4_T5_T6_T7_T9_mT8_P12ihipStream_tbDpT10_ENKUlT_T0_E_clISt17integral_constantIbLb1EES19_EEDaS14_S15_EUlS14_E_NS1_11comp_targetILNS1_3genE0ELNS1_11target_archE4294967295ELNS1_3gpuE0ELNS1_3repE0EEENS1_30default_config_static_selectorELNS0_4arch9wavefront6targetE1EEEvT1_.kd
    .uniform_work_group_size: 1
    .uses_dynamic_stack: false
    .vgpr_count:     0
    .vgpr_spill_count: 0
    .wavefront_size: 64
  - .agpr_count:     0
    .args:
      - .offset:         0
        .size:           144
        .value_kind:     by_value
    .group_segment_fixed_size: 0
    .kernarg_segment_align: 8
    .kernarg_segment_size: 144
    .language:       OpenCL C
    .language_version:
      - 2
      - 0
    .max_flat_workgroup_size: 512
    .name:           _ZN7rocprim17ROCPRIM_400000_NS6detail17trampoline_kernelINS0_14default_configENS1_25partition_config_selectorILNS1_17partition_subalgoE0ExNS0_10empty_typeEbEEZZNS1_14partition_implILS5_0ELb0ES3_jN6thrust23THRUST_200600_302600_NS6detail15normal_iteratorINSA_10device_ptrIxEEEEPS6_SG_NS0_5tupleIJSF_NSA_16discard_iteratorINSA_11use_defaultEEEEEENSH_IJSG_SG_EEES6_PlJ7is_evenIxEEEE10hipError_tPvRmT3_T4_T5_T6_T7_T9_mT8_P12ihipStream_tbDpT10_ENKUlT_T0_E_clISt17integral_constantIbLb1EES19_EEDaS14_S15_EUlS14_E_NS1_11comp_targetILNS1_3genE5ELNS1_11target_archE942ELNS1_3gpuE9ELNS1_3repE0EEENS1_30default_config_static_selectorELNS0_4arch9wavefront6targetE1EEEvT1_
    .private_segment_fixed_size: 0
    .sgpr_count:     4
    .sgpr_spill_count: 0
    .symbol:         _ZN7rocprim17ROCPRIM_400000_NS6detail17trampoline_kernelINS0_14default_configENS1_25partition_config_selectorILNS1_17partition_subalgoE0ExNS0_10empty_typeEbEEZZNS1_14partition_implILS5_0ELb0ES3_jN6thrust23THRUST_200600_302600_NS6detail15normal_iteratorINSA_10device_ptrIxEEEEPS6_SG_NS0_5tupleIJSF_NSA_16discard_iteratorINSA_11use_defaultEEEEEENSH_IJSG_SG_EEES6_PlJ7is_evenIxEEEE10hipError_tPvRmT3_T4_T5_T6_T7_T9_mT8_P12ihipStream_tbDpT10_ENKUlT_T0_E_clISt17integral_constantIbLb1EES19_EEDaS14_S15_EUlS14_E_NS1_11comp_targetILNS1_3genE5ELNS1_11target_archE942ELNS1_3gpuE9ELNS1_3repE0EEENS1_30default_config_static_selectorELNS0_4arch9wavefront6targetE1EEEvT1_.kd
    .uniform_work_group_size: 1
    .uses_dynamic_stack: false
    .vgpr_count:     0
    .vgpr_spill_count: 0
    .wavefront_size: 64
  - .agpr_count:     0
    .args:
      - .offset:         0
        .size:           144
        .value_kind:     by_value
    .group_segment_fixed_size: 6344
    .kernarg_segment_align: 8
    .kernarg_segment_size: 144
    .language:       OpenCL C
    .language_version:
      - 2
      - 0
    .max_flat_workgroup_size: 192
    .name:           _ZN7rocprim17ROCPRIM_400000_NS6detail17trampoline_kernelINS0_14default_configENS1_25partition_config_selectorILNS1_17partition_subalgoE0ExNS0_10empty_typeEbEEZZNS1_14partition_implILS5_0ELb0ES3_jN6thrust23THRUST_200600_302600_NS6detail15normal_iteratorINSA_10device_ptrIxEEEEPS6_SG_NS0_5tupleIJSF_NSA_16discard_iteratorINSA_11use_defaultEEEEEENSH_IJSG_SG_EEES6_PlJ7is_evenIxEEEE10hipError_tPvRmT3_T4_T5_T6_T7_T9_mT8_P12ihipStream_tbDpT10_ENKUlT_T0_E_clISt17integral_constantIbLb1EES19_EEDaS14_S15_EUlS14_E_NS1_11comp_targetILNS1_3genE4ELNS1_11target_archE910ELNS1_3gpuE8ELNS1_3repE0EEENS1_30default_config_static_selectorELNS0_4arch9wavefront6targetE1EEEvT1_
    .private_segment_fixed_size: 0
    .sgpr_count:     44
    .sgpr_spill_count: 0
    .symbol:         _ZN7rocprim17ROCPRIM_400000_NS6detail17trampoline_kernelINS0_14default_configENS1_25partition_config_selectorILNS1_17partition_subalgoE0ExNS0_10empty_typeEbEEZZNS1_14partition_implILS5_0ELb0ES3_jN6thrust23THRUST_200600_302600_NS6detail15normal_iteratorINSA_10device_ptrIxEEEEPS6_SG_NS0_5tupleIJSF_NSA_16discard_iteratorINSA_11use_defaultEEEEEENSH_IJSG_SG_EEES6_PlJ7is_evenIxEEEE10hipError_tPvRmT3_T4_T5_T6_T7_T9_mT8_P12ihipStream_tbDpT10_ENKUlT_T0_E_clISt17integral_constantIbLb1EES19_EEDaS14_S15_EUlS14_E_NS1_11comp_targetILNS1_3genE4ELNS1_11target_archE910ELNS1_3gpuE8ELNS1_3repE0EEENS1_30default_config_static_selectorELNS0_4arch9wavefront6targetE1EEEvT1_.kd
    .uniform_work_group_size: 1
    .uses_dynamic_stack: false
    .vgpr_count:     45
    .vgpr_spill_count: 0
    .wavefront_size: 64
  - .agpr_count:     0
    .args:
      - .offset:         0
        .size:           144
        .value_kind:     by_value
    .group_segment_fixed_size: 0
    .kernarg_segment_align: 8
    .kernarg_segment_size: 144
    .language:       OpenCL C
    .language_version:
      - 2
      - 0
    .max_flat_workgroup_size: 128
    .name:           _ZN7rocprim17ROCPRIM_400000_NS6detail17trampoline_kernelINS0_14default_configENS1_25partition_config_selectorILNS1_17partition_subalgoE0ExNS0_10empty_typeEbEEZZNS1_14partition_implILS5_0ELb0ES3_jN6thrust23THRUST_200600_302600_NS6detail15normal_iteratorINSA_10device_ptrIxEEEEPS6_SG_NS0_5tupleIJSF_NSA_16discard_iteratorINSA_11use_defaultEEEEEENSH_IJSG_SG_EEES6_PlJ7is_evenIxEEEE10hipError_tPvRmT3_T4_T5_T6_T7_T9_mT8_P12ihipStream_tbDpT10_ENKUlT_T0_E_clISt17integral_constantIbLb1EES19_EEDaS14_S15_EUlS14_E_NS1_11comp_targetILNS1_3genE3ELNS1_11target_archE908ELNS1_3gpuE7ELNS1_3repE0EEENS1_30default_config_static_selectorELNS0_4arch9wavefront6targetE1EEEvT1_
    .private_segment_fixed_size: 0
    .sgpr_count:     4
    .sgpr_spill_count: 0
    .symbol:         _ZN7rocprim17ROCPRIM_400000_NS6detail17trampoline_kernelINS0_14default_configENS1_25partition_config_selectorILNS1_17partition_subalgoE0ExNS0_10empty_typeEbEEZZNS1_14partition_implILS5_0ELb0ES3_jN6thrust23THRUST_200600_302600_NS6detail15normal_iteratorINSA_10device_ptrIxEEEEPS6_SG_NS0_5tupleIJSF_NSA_16discard_iteratorINSA_11use_defaultEEEEEENSH_IJSG_SG_EEES6_PlJ7is_evenIxEEEE10hipError_tPvRmT3_T4_T5_T6_T7_T9_mT8_P12ihipStream_tbDpT10_ENKUlT_T0_E_clISt17integral_constantIbLb1EES19_EEDaS14_S15_EUlS14_E_NS1_11comp_targetILNS1_3genE3ELNS1_11target_archE908ELNS1_3gpuE7ELNS1_3repE0EEENS1_30default_config_static_selectorELNS0_4arch9wavefront6targetE1EEEvT1_.kd
    .uniform_work_group_size: 1
    .uses_dynamic_stack: false
    .vgpr_count:     0
    .vgpr_spill_count: 0
    .wavefront_size: 64
  - .agpr_count:     0
    .args:
      - .offset:         0
        .size:           144
        .value_kind:     by_value
    .group_segment_fixed_size: 0
    .kernarg_segment_align: 8
    .kernarg_segment_size: 144
    .language:       OpenCL C
    .language_version:
      - 2
      - 0
    .max_flat_workgroup_size: 256
    .name:           _ZN7rocprim17ROCPRIM_400000_NS6detail17trampoline_kernelINS0_14default_configENS1_25partition_config_selectorILNS1_17partition_subalgoE0ExNS0_10empty_typeEbEEZZNS1_14partition_implILS5_0ELb0ES3_jN6thrust23THRUST_200600_302600_NS6detail15normal_iteratorINSA_10device_ptrIxEEEEPS6_SG_NS0_5tupleIJSF_NSA_16discard_iteratorINSA_11use_defaultEEEEEENSH_IJSG_SG_EEES6_PlJ7is_evenIxEEEE10hipError_tPvRmT3_T4_T5_T6_T7_T9_mT8_P12ihipStream_tbDpT10_ENKUlT_T0_E_clISt17integral_constantIbLb1EES19_EEDaS14_S15_EUlS14_E_NS1_11comp_targetILNS1_3genE2ELNS1_11target_archE906ELNS1_3gpuE6ELNS1_3repE0EEENS1_30default_config_static_selectorELNS0_4arch9wavefront6targetE1EEEvT1_
    .private_segment_fixed_size: 0
    .sgpr_count:     4
    .sgpr_spill_count: 0
    .symbol:         _ZN7rocprim17ROCPRIM_400000_NS6detail17trampoline_kernelINS0_14default_configENS1_25partition_config_selectorILNS1_17partition_subalgoE0ExNS0_10empty_typeEbEEZZNS1_14partition_implILS5_0ELb0ES3_jN6thrust23THRUST_200600_302600_NS6detail15normal_iteratorINSA_10device_ptrIxEEEEPS6_SG_NS0_5tupleIJSF_NSA_16discard_iteratorINSA_11use_defaultEEEEEENSH_IJSG_SG_EEES6_PlJ7is_evenIxEEEE10hipError_tPvRmT3_T4_T5_T6_T7_T9_mT8_P12ihipStream_tbDpT10_ENKUlT_T0_E_clISt17integral_constantIbLb1EES19_EEDaS14_S15_EUlS14_E_NS1_11comp_targetILNS1_3genE2ELNS1_11target_archE906ELNS1_3gpuE6ELNS1_3repE0EEENS1_30default_config_static_selectorELNS0_4arch9wavefront6targetE1EEEvT1_.kd
    .uniform_work_group_size: 1
    .uses_dynamic_stack: false
    .vgpr_count:     0
    .vgpr_spill_count: 0
    .wavefront_size: 64
  - .agpr_count:     0
    .args:
      - .offset:         0
        .size:           144
        .value_kind:     by_value
    .group_segment_fixed_size: 0
    .kernarg_segment_align: 8
    .kernarg_segment_size: 144
    .language:       OpenCL C
    .language_version:
      - 2
      - 0
    .max_flat_workgroup_size: 512
    .name:           _ZN7rocprim17ROCPRIM_400000_NS6detail17trampoline_kernelINS0_14default_configENS1_25partition_config_selectorILNS1_17partition_subalgoE0ExNS0_10empty_typeEbEEZZNS1_14partition_implILS5_0ELb0ES3_jN6thrust23THRUST_200600_302600_NS6detail15normal_iteratorINSA_10device_ptrIxEEEEPS6_SG_NS0_5tupleIJSF_NSA_16discard_iteratorINSA_11use_defaultEEEEEENSH_IJSG_SG_EEES6_PlJ7is_evenIxEEEE10hipError_tPvRmT3_T4_T5_T6_T7_T9_mT8_P12ihipStream_tbDpT10_ENKUlT_T0_E_clISt17integral_constantIbLb1EES19_EEDaS14_S15_EUlS14_E_NS1_11comp_targetILNS1_3genE10ELNS1_11target_archE1200ELNS1_3gpuE4ELNS1_3repE0EEENS1_30default_config_static_selectorELNS0_4arch9wavefront6targetE1EEEvT1_
    .private_segment_fixed_size: 0
    .sgpr_count:     4
    .sgpr_spill_count: 0
    .symbol:         _ZN7rocprim17ROCPRIM_400000_NS6detail17trampoline_kernelINS0_14default_configENS1_25partition_config_selectorILNS1_17partition_subalgoE0ExNS0_10empty_typeEbEEZZNS1_14partition_implILS5_0ELb0ES3_jN6thrust23THRUST_200600_302600_NS6detail15normal_iteratorINSA_10device_ptrIxEEEEPS6_SG_NS0_5tupleIJSF_NSA_16discard_iteratorINSA_11use_defaultEEEEEENSH_IJSG_SG_EEES6_PlJ7is_evenIxEEEE10hipError_tPvRmT3_T4_T5_T6_T7_T9_mT8_P12ihipStream_tbDpT10_ENKUlT_T0_E_clISt17integral_constantIbLb1EES19_EEDaS14_S15_EUlS14_E_NS1_11comp_targetILNS1_3genE10ELNS1_11target_archE1200ELNS1_3gpuE4ELNS1_3repE0EEENS1_30default_config_static_selectorELNS0_4arch9wavefront6targetE1EEEvT1_.kd
    .uniform_work_group_size: 1
    .uses_dynamic_stack: false
    .vgpr_count:     0
    .vgpr_spill_count: 0
    .wavefront_size: 64
  - .agpr_count:     0
    .args:
      - .offset:         0
        .size:           144
        .value_kind:     by_value
    .group_segment_fixed_size: 0
    .kernarg_segment_align: 8
    .kernarg_segment_size: 144
    .language:       OpenCL C
    .language_version:
      - 2
      - 0
    .max_flat_workgroup_size: 512
    .name:           _ZN7rocprim17ROCPRIM_400000_NS6detail17trampoline_kernelINS0_14default_configENS1_25partition_config_selectorILNS1_17partition_subalgoE0ExNS0_10empty_typeEbEEZZNS1_14partition_implILS5_0ELb0ES3_jN6thrust23THRUST_200600_302600_NS6detail15normal_iteratorINSA_10device_ptrIxEEEEPS6_SG_NS0_5tupleIJSF_NSA_16discard_iteratorINSA_11use_defaultEEEEEENSH_IJSG_SG_EEES6_PlJ7is_evenIxEEEE10hipError_tPvRmT3_T4_T5_T6_T7_T9_mT8_P12ihipStream_tbDpT10_ENKUlT_T0_E_clISt17integral_constantIbLb1EES19_EEDaS14_S15_EUlS14_E_NS1_11comp_targetILNS1_3genE9ELNS1_11target_archE1100ELNS1_3gpuE3ELNS1_3repE0EEENS1_30default_config_static_selectorELNS0_4arch9wavefront6targetE1EEEvT1_
    .private_segment_fixed_size: 0
    .sgpr_count:     4
    .sgpr_spill_count: 0
    .symbol:         _ZN7rocprim17ROCPRIM_400000_NS6detail17trampoline_kernelINS0_14default_configENS1_25partition_config_selectorILNS1_17partition_subalgoE0ExNS0_10empty_typeEbEEZZNS1_14partition_implILS5_0ELb0ES3_jN6thrust23THRUST_200600_302600_NS6detail15normal_iteratorINSA_10device_ptrIxEEEEPS6_SG_NS0_5tupleIJSF_NSA_16discard_iteratorINSA_11use_defaultEEEEEENSH_IJSG_SG_EEES6_PlJ7is_evenIxEEEE10hipError_tPvRmT3_T4_T5_T6_T7_T9_mT8_P12ihipStream_tbDpT10_ENKUlT_T0_E_clISt17integral_constantIbLb1EES19_EEDaS14_S15_EUlS14_E_NS1_11comp_targetILNS1_3genE9ELNS1_11target_archE1100ELNS1_3gpuE3ELNS1_3repE0EEENS1_30default_config_static_selectorELNS0_4arch9wavefront6targetE1EEEvT1_.kd
    .uniform_work_group_size: 1
    .uses_dynamic_stack: false
    .vgpr_count:     0
    .vgpr_spill_count: 0
    .wavefront_size: 64
  - .agpr_count:     0
    .args:
      - .offset:         0
        .size:           144
        .value_kind:     by_value
    .group_segment_fixed_size: 0
    .kernarg_segment_align: 8
    .kernarg_segment_size: 144
    .language:       OpenCL C
    .language_version:
      - 2
      - 0
    .max_flat_workgroup_size: 512
    .name:           _ZN7rocprim17ROCPRIM_400000_NS6detail17trampoline_kernelINS0_14default_configENS1_25partition_config_selectorILNS1_17partition_subalgoE0ExNS0_10empty_typeEbEEZZNS1_14partition_implILS5_0ELb0ES3_jN6thrust23THRUST_200600_302600_NS6detail15normal_iteratorINSA_10device_ptrIxEEEEPS6_SG_NS0_5tupleIJSF_NSA_16discard_iteratorINSA_11use_defaultEEEEEENSH_IJSG_SG_EEES6_PlJ7is_evenIxEEEE10hipError_tPvRmT3_T4_T5_T6_T7_T9_mT8_P12ihipStream_tbDpT10_ENKUlT_T0_E_clISt17integral_constantIbLb1EES19_EEDaS14_S15_EUlS14_E_NS1_11comp_targetILNS1_3genE8ELNS1_11target_archE1030ELNS1_3gpuE2ELNS1_3repE0EEENS1_30default_config_static_selectorELNS0_4arch9wavefront6targetE1EEEvT1_
    .private_segment_fixed_size: 0
    .sgpr_count:     4
    .sgpr_spill_count: 0
    .symbol:         _ZN7rocprim17ROCPRIM_400000_NS6detail17trampoline_kernelINS0_14default_configENS1_25partition_config_selectorILNS1_17partition_subalgoE0ExNS0_10empty_typeEbEEZZNS1_14partition_implILS5_0ELb0ES3_jN6thrust23THRUST_200600_302600_NS6detail15normal_iteratorINSA_10device_ptrIxEEEEPS6_SG_NS0_5tupleIJSF_NSA_16discard_iteratorINSA_11use_defaultEEEEEENSH_IJSG_SG_EEES6_PlJ7is_evenIxEEEE10hipError_tPvRmT3_T4_T5_T6_T7_T9_mT8_P12ihipStream_tbDpT10_ENKUlT_T0_E_clISt17integral_constantIbLb1EES19_EEDaS14_S15_EUlS14_E_NS1_11comp_targetILNS1_3genE8ELNS1_11target_archE1030ELNS1_3gpuE2ELNS1_3repE0EEENS1_30default_config_static_selectorELNS0_4arch9wavefront6targetE1EEEvT1_.kd
    .uniform_work_group_size: 1
    .uses_dynamic_stack: false
    .vgpr_count:     0
    .vgpr_spill_count: 0
    .wavefront_size: 64
  - .agpr_count:     0
    .args:
      - .offset:         0
        .size:           128
        .value_kind:     by_value
    .group_segment_fixed_size: 0
    .kernarg_segment_align: 8
    .kernarg_segment_size: 128
    .language:       OpenCL C
    .language_version:
      - 2
      - 0
    .max_flat_workgroup_size: 128
    .name:           _ZN7rocprim17ROCPRIM_400000_NS6detail17trampoline_kernelINS0_14default_configENS1_25partition_config_selectorILNS1_17partition_subalgoE0ExNS0_10empty_typeEbEEZZNS1_14partition_implILS5_0ELb0ES3_jN6thrust23THRUST_200600_302600_NS6detail15normal_iteratorINSA_10device_ptrIxEEEEPS6_SG_NS0_5tupleIJSF_NSA_16discard_iteratorINSA_11use_defaultEEEEEENSH_IJSG_SG_EEES6_PlJ7is_evenIxEEEE10hipError_tPvRmT3_T4_T5_T6_T7_T9_mT8_P12ihipStream_tbDpT10_ENKUlT_T0_E_clISt17integral_constantIbLb1EES18_IbLb0EEEEDaS14_S15_EUlS14_E_NS1_11comp_targetILNS1_3genE0ELNS1_11target_archE4294967295ELNS1_3gpuE0ELNS1_3repE0EEENS1_30default_config_static_selectorELNS0_4arch9wavefront6targetE1EEEvT1_
    .private_segment_fixed_size: 0
    .sgpr_count:     4
    .sgpr_spill_count: 0
    .symbol:         _ZN7rocprim17ROCPRIM_400000_NS6detail17trampoline_kernelINS0_14default_configENS1_25partition_config_selectorILNS1_17partition_subalgoE0ExNS0_10empty_typeEbEEZZNS1_14partition_implILS5_0ELb0ES3_jN6thrust23THRUST_200600_302600_NS6detail15normal_iteratorINSA_10device_ptrIxEEEEPS6_SG_NS0_5tupleIJSF_NSA_16discard_iteratorINSA_11use_defaultEEEEEENSH_IJSG_SG_EEES6_PlJ7is_evenIxEEEE10hipError_tPvRmT3_T4_T5_T6_T7_T9_mT8_P12ihipStream_tbDpT10_ENKUlT_T0_E_clISt17integral_constantIbLb1EES18_IbLb0EEEEDaS14_S15_EUlS14_E_NS1_11comp_targetILNS1_3genE0ELNS1_11target_archE4294967295ELNS1_3gpuE0ELNS1_3repE0EEENS1_30default_config_static_selectorELNS0_4arch9wavefront6targetE1EEEvT1_.kd
    .uniform_work_group_size: 1
    .uses_dynamic_stack: false
    .vgpr_count:     0
    .vgpr_spill_count: 0
    .wavefront_size: 64
  - .agpr_count:     0
    .args:
      - .offset:         0
        .size:           128
        .value_kind:     by_value
    .group_segment_fixed_size: 0
    .kernarg_segment_align: 8
    .kernarg_segment_size: 128
    .language:       OpenCL C
    .language_version:
      - 2
      - 0
    .max_flat_workgroup_size: 512
    .name:           _ZN7rocprim17ROCPRIM_400000_NS6detail17trampoline_kernelINS0_14default_configENS1_25partition_config_selectorILNS1_17partition_subalgoE0ExNS0_10empty_typeEbEEZZNS1_14partition_implILS5_0ELb0ES3_jN6thrust23THRUST_200600_302600_NS6detail15normal_iteratorINSA_10device_ptrIxEEEEPS6_SG_NS0_5tupleIJSF_NSA_16discard_iteratorINSA_11use_defaultEEEEEENSH_IJSG_SG_EEES6_PlJ7is_evenIxEEEE10hipError_tPvRmT3_T4_T5_T6_T7_T9_mT8_P12ihipStream_tbDpT10_ENKUlT_T0_E_clISt17integral_constantIbLb1EES18_IbLb0EEEEDaS14_S15_EUlS14_E_NS1_11comp_targetILNS1_3genE5ELNS1_11target_archE942ELNS1_3gpuE9ELNS1_3repE0EEENS1_30default_config_static_selectorELNS0_4arch9wavefront6targetE1EEEvT1_
    .private_segment_fixed_size: 0
    .sgpr_count:     4
    .sgpr_spill_count: 0
    .symbol:         _ZN7rocprim17ROCPRIM_400000_NS6detail17trampoline_kernelINS0_14default_configENS1_25partition_config_selectorILNS1_17partition_subalgoE0ExNS0_10empty_typeEbEEZZNS1_14partition_implILS5_0ELb0ES3_jN6thrust23THRUST_200600_302600_NS6detail15normal_iteratorINSA_10device_ptrIxEEEEPS6_SG_NS0_5tupleIJSF_NSA_16discard_iteratorINSA_11use_defaultEEEEEENSH_IJSG_SG_EEES6_PlJ7is_evenIxEEEE10hipError_tPvRmT3_T4_T5_T6_T7_T9_mT8_P12ihipStream_tbDpT10_ENKUlT_T0_E_clISt17integral_constantIbLb1EES18_IbLb0EEEEDaS14_S15_EUlS14_E_NS1_11comp_targetILNS1_3genE5ELNS1_11target_archE942ELNS1_3gpuE9ELNS1_3repE0EEENS1_30default_config_static_selectorELNS0_4arch9wavefront6targetE1EEEvT1_.kd
    .uniform_work_group_size: 1
    .uses_dynamic_stack: false
    .vgpr_count:     0
    .vgpr_spill_count: 0
    .wavefront_size: 64
  - .agpr_count:     0
    .args:
      - .offset:         0
        .size:           128
        .value_kind:     by_value
    .group_segment_fixed_size: 6344
    .kernarg_segment_align: 8
    .kernarg_segment_size: 128
    .language:       OpenCL C
    .language_version:
      - 2
      - 0
    .max_flat_workgroup_size: 192
    .name:           _ZN7rocprim17ROCPRIM_400000_NS6detail17trampoline_kernelINS0_14default_configENS1_25partition_config_selectorILNS1_17partition_subalgoE0ExNS0_10empty_typeEbEEZZNS1_14partition_implILS5_0ELb0ES3_jN6thrust23THRUST_200600_302600_NS6detail15normal_iteratorINSA_10device_ptrIxEEEEPS6_SG_NS0_5tupleIJSF_NSA_16discard_iteratorINSA_11use_defaultEEEEEENSH_IJSG_SG_EEES6_PlJ7is_evenIxEEEE10hipError_tPvRmT3_T4_T5_T6_T7_T9_mT8_P12ihipStream_tbDpT10_ENKUlT_T0_E_clISt17integral_constantIbLb1EES18_IbLb0EEEEDaS14_S15_EUlS14_E_NS1_11comp_targetILNS1_3genE4ELNS1_11target_archE910ELNS1_3gpuE8ELNS1_3repE0EEENS1_30default_config_static_selectorELNS0_4arch9wavefront6targetE1EEEvT1_
    .private_segment_fixed_size: 0
    .sgpr_count:     44
    .sgpr_spill_count: 0
    .symbol:         _ZN7rocprim17ROCPRIM_400000_NS6detail17trampoline_kernelINS0_14default_configENS1_25partition_config_selectorILNS1_17partition_subalgoE0ExNS0_10empty_typeEbEEZZNS1_14partition_implILS5_0ELb0ES3_jN6thrust23THRUST_200600_302600_NS6detail15normal_iteratorINSA_10device_ptrIxEEEEPS6_SG_NS0_5tupleIJSF_NSA_16discard_iteratorINSA_11use_defaultEEEEEENSH_IJSG_SG_EEES6_PlJ7is_evenIxEEEE10hipError_tPvRmT3_T4_T5_T6_T7_T9_mT8_P12ihipStream_tbDpT10_ENKUlT_T0_E_clISt17integral_constantIbLb1EES18_IbLb0EEEEDaS14_S15_EUlS14_E_NS1_11comp_targetILNS1_3genE4ELNS1_11target_archE910ELNS1_3gpuE8ELNS1_3repE0EEENS1_30default_config_static_selectorELNS0_4arch9wavefront6targetE1EEEvT1_.kd
    .uniform_work_group_size: 1
    .uses_dynamic_stack: false
    .vgpr_count:     43
    .vgpr_spill_count: 0
    .wavefront_size: 64
  - .agpr_count:     0
    .args:
      - .offset:         0
        .size:           128
        .value_kind:     by_value
    .group_segment_fixed_size: 0
    .kernarg_segment_align: 8
    .kernarg_segment_size: 128
    .language:       OpenCL C
    .language_version:
      - 2
      - 0
    .max_flat_workgroup_size: 128
    .name:           _ZN7rocprim17ROCPRIM_400000_NS6detail17trampoline_kernelINS0_14default_configENS1_25partition_config_selectorILNS1_17partition_subalgoE0ExNS0_10empty_typeEbEEZZNS1_14partition_implILS5_0ELb0ES3_jN6thrust23THRUST_200600_302600_NS6detail15normal_iteratorINSA_10device_ptrIxEEEEPS6_SG_NS0_5tupleIJSF_NSA_16discard_iteratorINSA_11use_defaultEEEEEENSH_IJSG_SG_EEES6_PlJ7is_evenIxEEEE10hipError_tPvRmT3_T4_T5_T6_T7_T9_mT8_P12ihipStream_tbDpT10_ENKUlT_T0_E_clISt17integral_constantIbLb1EES18_IbLb0EEEEDaS14_S15_EUlS14_E_NS1_11comp_targetILNS1_3genE3ELNS1_11target_archE908ELNS1_3gpuE7ELNS1_3repE0EEENS1_30default_config_static_selectorELNS0_4arch9wavefront6targetE1EEEvT1_
    .private_segment_fixed_size: 0
    .sgpr_count:     4
    .sgpr_spill_count: 0
    .symbol:         _ZN7rocprim17ROCPRIM_400000_NS6detail17trampoline_kernelINS0_14default_configENS1_25partition_config_selectorILNS1_17partition_subalgoE0ExNS0_10empty_typeEbEEZZNS1_14partition_implILS5_0ELb0ES3_jN6thrust23THRUST_200600_302600_NS6detail15normal_iteratorINSA_10device_ptrIxEEEEPS6_SG_NS0_5tupleIJSF_NSA_16discard_iteratorINSA_11use_defaultEEEEEENSH_IJSG_SG_EEES6_PlJ7is_evenIxEEEE10hipError_tPvRmT3_T4_T5_T6_T7_T9_mT8_P12ihipStream_tbDpT10_ENKUlT_T0_E_clISt17integral_constantIbLb1EES18_IbLb0EEEEDaS14_S15_EUlS14_E_NS1_11comp_targetILNS1_3genE3ELNS1_11target_archE908ELNS1_3gpuE7ELNS1_3repE0EEENS1_30default_config_static_selectorELNS0_4arch9wavefront6targetE1EEEvT1_.kd
    .uniform_work_group_size: 1
    .uses_dynamic_stack: false
    .vgpr_count:     0
    .vgpr_spill_count: 0
    .wavefront_size: 64
  - .agpr_count:     0
    .args:
      - .offset:         0
        .size:           128
        .value_kind:     by_value
    .group_segment_fixed_size: 0
    .kernarg_segment_align: 8
    .kernarg_segment_size: 128
    .language:       OpenCL C
    .language_version:
      - 2
      - 0
    .max_flat_workgroup_size: 256
    .name:           _ZN7rocprim17ROCPRIM_400000_NS6detail17trampoline_kernelINS0_14default_configENS1_25partition_config_selectorILNS1_17partition_subalgoE0ExNS0_10empty_typeEbEEZZNS1_14partition_implILS5_0ELb0ES3_jN6thrust23THRUST_200600_302600_NS6detail15normal_iteratorINSA_10device_ptrIxEEEEPS6_SG_NS0_5tupleIJSF_NSA_16discard_iteratorINSA_11use_defaultEEEEEENSH_IJSG_SG_EEES6_PlJ7is_evenIxEEEE10hipError_tPvRmT3_T4_T5_T6_T7_T9_mT8_P12ihipStream_tbDpT10_ENKUlT_T0_E_clISt17integral_constantIbLb1EES18_IbLb0EEEEDaS14_S15_EUlS14_E_NS1_11comp_targetILNS1_3genE2ELNS1_11target_archE906ELNS1_3gpuE6ELNS1_3repE0EEENS1_30default_config_static_selectorELNS0_4arch9wavefront6targetE1EEEvT1_
    .private_segment_fixed_size: 0
    .sgpr_count:     4
    .sgpr_spill_count: 0
    .symbol:         _ZN7rocprim17ROCPRIM_400000_NS6detail17trampoline_kernelINS0_14default_configENS1_25partition_config_selectorILNS1_17partition_subalgoE0ExNS0_10empty_typeEbEEZZNS1_14partition_implILS5_0ELb0ES3_jN6thrust23THRUST_200600_302600_NS6detail15normal_iteratorINSA_10device_ptrIxEEEEPS6_SG_NS0_5tupleIJSF_NSA_16discard_iteratorINSA_11use_defaultEEEEEENSH_IJSG_SG_EEES6_PlJ7is_evenIxEEEE10hipError_tPvRmT3_T4_T5_T6_T7_T9_mT8_P12ihipStream_tbDpT10_ENKUlT_T0_E_clISt17integral_constantIbLb1EES18_IbLb0EEEEDaS14_S15_EUlS14_E_NS1_11comp_targetILNS1_3genE2ELNS1_11target_archE906ELNS1_3gpuE6ELNS1_3repE0EEENS1_30default_config_static_selectorELNS0_4arch9wavefront6targetE1EEEvT1_.kd
    .uniform_work_group_size: 1
    .uses_dynamic_stack: false
    .vgpr_count:     0
    .vgpr_spill_count: 0
    .wavefront_size: 64
  - .agpr_count:     0
    .args:
      - .offset:         0
        .size:           128
        .value_kind:     by_value
    .group_segment_fixed_size: 0
    .kernarg_segment_align: 8
    .kernarg_segment_size: 128
    .language:       OpenCL C
    .language_version:
      - 2
      - 0
    .max_flat_workgroup_size: 512
    .name:           _ZN7rocprim17ROCPRIM_400000_NS6detail17trampoline_kernelINS0_14default_configENS1_25partition_config_selectorILNS1_17partition_subalgoE0ExNS0_10empty_typeEbEEZZNS1_14partition_implILS5_0ELb0ES3_jN6thrust23THRUST_200600_302600_NS6detail15normal_iteratorINSA_10device_ptrIxEEEEPS6_SG_NS0_5tupleIJSF_NSA_16discard_iteratorINSA_11use_defaultEEEEEENSH_IJSG_SG_EEES6_PlJ7is_evenIxEEEE10hipError_tPvRmT3_T4_T5_T6_T7_T9_mT8_P12ihipStream_tbDpT10_ENKUlT_T0_E_clISt17integral_constantIbLb1EES18_IbLb0EEEEDaS14_S15_EUlS14_E_NS1_11comp_targetILNS1_3genE10ELNS1_11target_archE1200ELNS1_3gpuE4ELNS1_3repE0EEENS1_30default_config_static_selectorELNS0_4arch9wavefront6targetE1EEEvT1_
    .private_segment_fixed_size: 0
    .sgpr_count:     4
    .sgpr_spill_count: 0
    .symbol:         _ZN7rocprim17ROCPRIM_400000_NS6detail17trampoline_kernelINS0_14default_configENS1_25partition_config_selectorILNS1_17partition_subalgoE0ExNS0_10empty_typeEbEEZZNS1_14partition_implILS5_0ELb0ES3_jN6thrust23THRUST_200600_302600_NS6detail15normal_iteratorINSA_10device_ptrIxEEEEPS6_SG_NS0_5tupleIJSF_NSA_16discard_iteratorINSA_11use_defaultEEEEEENSH_IJSG_SG_EEES6_PlJ7is_evenIxEEEE10hipError_tPvRmT3_T4_T5_T6_T7_T9_mT8_P12ihipStream_tbDpT10_ENKUlT_T0_E_clISt17integral_constantIbLb1EES18_IbLb0EEEEDaS14_S15_EUlS14_E_NS1_11comp_targetILNS1_3genE10ELNS1_11target_archE1200ELNS1_3gpuE4ELNS1_3repE0EEENS1_30default_config_static_selectorELNS0_4arch9wavefront6targetE1EEEvT1_.kd
    .uniform_work_group_size: 1
    .uses_dynamic_stack: false
    .vgpr_count:     0
    .vgpr_spill_count: 0
    .wavefront_size: 64
  - .agpr_count:     0
    .args:
      - .offset:         0
        .size:           128
        .value_kind:     by_value
    .group_segment_fixed_size: 0
    .kernarg_segment_align: 8
    .kernarg_segment_size: 128
    .language:       OpenCL C
    .language_version:
      - 2
      - 0
    .max_flat_workgroup_size: 512
    .name:           _ZN7rocprim17ROCPRIM_400000_NS6detail17trampoline_kernelINS0_14default_configENS1_25partition_config_selectorILNS1_17partition_subalgoE0ExNS0_10empty_typeEbEEZZNS1_14partition_implILS5_0ELb0ES3_jN6thrust23THRUST_200600_302600_NS6detail15normal_iteratorINSA_10device_ptrIxEEEEPS6_SG_NS0_5tupleIJSF_NSA_16discard_iteratorINSA_11use_defaultEEEEEENSH_IJSG_SG_EEES6_PlJ7is_evenIxEEEE10hipError_tPvRmT3_T4_T5_T6_T7_T9_mT8_P12ihipStream_tbDpT10_ENKUlT_T0_E_clISt17integral_constantIbLb1EES18_IbLb0EEEEDaS14_S15_EUlS14_E_NS1_11comp_targetILNS1_3genE9ELNS1_11target_archE1100ELNS1_3gpuE3ELNS1_3repE0EEENS1_30default_config_static_selectorELNS0_4arch9wavefront6targetE1EEEvT1_
    .private_segment_fixed_size: 0
    .sgpr_count:     4
    .sgpr_spill_count: 0
    .symbol:         _ZN7rocprim17ROCPRIM_400000_NS6detail17trampoline_kernelINS0_14default_configENS1_25partition_config_selectorILNS1_17partition_subalgoE0ExNS0_10empty_typeEbEEZZNS1_14partition_implILS5_0ELb0ES3_jN6thrust23THRUST_200600_302600_NS6detail15normal_iteratorINSA_10device_ptrIxEEEEPS6_SG_NS0_5tupleIJSF_NSA_16discard_iteratorINSA_11use_defaultEEEEEENSH_IJSG_SG_EEES6_PlJ7is_evenIxEEEE10hipError_tPvRmT3_T4_T5_T6_T7_T9_mT8_P12ihipStream_tbDpT10_ENKUlT_T0_E_clISt17integral_constantIbLb1EES18_IbLb0EEEEDaS14_S15_EUlS14_E_NS1_11comp_targetILNS1_3genE9ELNS1_11target_archE1100ELNS1_3gpuE3ELNS1_3repE0EEENS1_30default_config_static_selectorELNS0_4arch9wavefront6targetE1EEEvT1_.kd
    .uniform_work_group_size: 1
    .uses_dynamic_stack: false
    .vgpr_count:     0
    .vgpr_spill_count: 0
    .wavefront_size: 64
  - .agpr_count:     0
    .args:
      - .offset:         0
        .size:           128
        .value_kind:     by_value
    .group_segment_fixed_size: 0
    .kernarg_segment_align: 8
    .kernarg_segment_size: 128
    .language:       OpenCL C
    .language_version:
      - 2
      - 0
    .max_flat_workgroup_size: 512
    .name:           _ZN7rocprim17ROCPRIM_400000_NS6detail17trampoline_kernelINS0_14default_configENS1_25partition_config_selectorILNS1_17partition_subalgoE0ExNS0_10empty_typeEbEEZZNS1_14partition_implILS5_0ELb0ES3_jN6thrust23THRUST_200600_302600_NS6detail15normal_iteratorINSA_10device_ptrIxEEEEPS6_SG_NS0_5tupleIJSF_NSA_16discard_iteratorINSA_11use_defaultEEEEEENSH_IJSG_SG_EEES6_PlJ7is_evenIxEEEE10hipError_tPvRmT3_T4_T5_T6_T7_T9_mT8_P12ihipStream_tbDpT10_ENKUlT_T0_E_clISt17integral_constantIbLb1EES18_IbLb0EEEEDaS14_S15_EUlS14_E_NS1_11comp_targetILNS1_3genE8ELNS1_11target_archE1030ELNS1_3gpuE2ELNS1_3repE0EEENS1_30default_config_static_selectorELNS0_4arch9wavefront6targetE1EEEvT1_
    .private_segment_fixed_size: 0
    .sgpr_count:     4
    .sgpr_spill_count: 0
    .symbol:         _ZN7rocprim17ROCPRIM_400000_NS6detail17trampoline_kernelINS0_14default_configENS1_25partition_config_selectorILNS1_17partition_subalgoE0ExNS0_10empty_typeEbEEZZNS1_14partition_implILS5_0ELb0ES3_jN6thrust23THRUST_200600_302600_NS6detail15normal_iteratorINSA_10device_ptrIxEEEEPS6_SG_NS0_5tupleIJSF_NSA_16discard_iteratorINSA_11use_defaultEEEEEENSH_IJSG_SG_EEES6_PlJ7is_evenIxEEEE10hipError_tPvRmT3_T4_T5_T6_T7_T9_mT8_P12ihipStream_tbDpT10_ENKUlT_T0_E_clISt17integral_constantIbLb1EES18_IbLb0EEEEDaS14_S15_EUlS14_E_NS1_11comp_targetILNS1_3genE8ELNS1_11target_archE1030ELNS1_3gpuE2ELNS1_3repE0EEENS1_30default_config_static_selectorELNS0_4arch9wavefront6targetE1EEEvT1_.kd
    .uniform_work_group_size: 1
    .uses_dynamic_stack: false
    .vgpr_count:     0
    .vgpr_spill_count: 0
    .wavefront_size: 64
  - .agpr_count:     0
    .args:
      - .offset:         0
        .size:           144
        .value_kind:     by_value
    .group_segment_fixed_size: 0
    .kernarg_segment_align: 8
    .kernarg_segment_size: 144
    .language:       OpenCL C
    .language_version:
      - 2
      - 0
    .max_flat_workgroup_size: 128
    .name:           _ZN7rocprim17ROCPRIM_400000_NS6detail17trampoline_kernelINS0_14default_configENS1_25partition_config_selectorILNS1_17partition_subalgoE0ExNS0_10empty_typeEbEEZZNS1_14partition_implILS5_0ELb0ES3_jN6thrust23THRUST_200600_302600_NS6detail15normal_iteratorINSA_10device_ptrIxEEEEPS6_SG_NS0_5tupleIJSF_NSA_16discard_iteratorINSA_11use_defaultEEEEEENSH_IJSG_SG_EEES6_PlJ7is_evenIxEEEE10hipError_tPvRmT3_T4_T5_T6_T7_T9_mT8_P12ihipStream_tbDpT10_ENKUlT_T0_E_clISt17integral_constantIbLb0EES18_IbLb1EEEEDaS14_S15_EUlS14_E_NS1_11comp_targetILNS1_3genE0ELNS1_11target_archE4294967295ELNS1_3gpuE0ELNS1_3repE0EEENS1_30default_config_static_selectorELNS0_4arch9wavefront6targetE1EEEvT1_
    .private_segment_fixed_size: 0
    .sgpr_count:     4
    .sgpr_spill_count: 0
    .symbol:         _ZN7rocprim17ROCPRIM_400000_NS6detail17trampoline_kernelINS0_14default_configENS1_25partition_config_selectorILNS1_17partition_subalgoE0ExNS0_10empty_typeEbEEZZNS1_14partition_implILS5_0ELb0ES3_jN6thrust23THRUST_200600_302600_NS6detail15normal_iteratorINSA_10device_ptrIxEEEEPS6_SG_NS0_5tupleIJSF_NSA_16discard_iteratorINSA_11use_defaultEEEEEENSH_IJSG_SG_EEES6_PlJ7is_evenIxEEEE10hipError_tPvRmT3_T4_T5_T6_T7_T9_mT8_P12ihipStream_tbDpT10_ENKUlT_T0_E_clISt17integral_constantIbLb0EES18_IbLb1EEEEDaS14_S15_EUlS14_E_NS1_11comp_targetILNS1_3genE0ELNS1_11target_archE4294967295ELNS1_3gpuE0ELNS1_3repE0EEENS1_30default_config_static_selectorELNS0_4arch9wavefront6targetE1EEEvT1_.kd
    .uniform_work_group_size: 1
    .uses_dynamic_stack: false
    .vgpr_count:     0
    .vgpr_spill_count: 0
    .wavefront_size: 64
  - .agpr_count:     0
    .args:
      - .offset:         0
        .size:           144
        .value_kind:     by_value
    .group_segment_fixed_size: 0
    .kernarg_segment_align: 8
    .kernarg_segment_size: 144
    .language:       OpenCL C
    .language_version:
      - 2
      - 0
    .max_flat_workgroup_size: 512
    .name:           _ZN7rocprim17ROCPRIM_400000_NS6detail17trampoline_kernelINS0_14default_configENS1_25partition_config_selectorILNS1_17partition_subalgoE0ExNS0_10empty_typeEbEEZZNS1_14partition_implILS5_0ELb0ES3_jN6thrust23THRUST_200600_302600_NS6detail15normal_iteratorINSA_10device_ptrIxEEEEPS6_SG_NS0_5tupleIJSF_NSA_16discard_iteratorINSA_11use_defaultEEEEEENSH_IJSG_SG_EEES6_PlJ7is_evenIxEEEE10hipError_tPvRmT3_T4_T5_T6_T7_T9_mT8_P12ihipStream_tbDpT10_ENKUlT_T0_E_clISt17integral_constantIbLb0EES18_IbLb1EEEEDaS14_S15_EUlS14_E_NS1_11comp_targetILNS1_3genE5ELNS1_11target_archE942ELNS1_3gpuE9ELNS1_3repE0EEENS1_30default_config_static_selectorELNS0_4arch9wavefront6targetE1EEEvT1_
    .private_segment_fixed_size: 0
    .sgpr_count:     4
    .sgpr_spill_count: 0
    .symbol:         _ZN7rocprim17ROCPRIM_400000_NS6detail17trampoline_kernelINS0_14default_configENS1_25partition_config_selectorILNS1_17partition_subalgoE0ExNS0_10empty_typeEbEEZZNS1_14partition_implILS5_0ELb0ES3_jN6thrust23THRUST_200600_302600_NS6detail15normal_iteratorINSA_10device_ptrIxEEEEPS6_SG_NS0_5tupleIJSF_NSA_16discard_iteratorINSA_11use_defaultEEEEEENSH_IJSG_SG_EEES6_PlJ7is_evenIxEEEE10hipError_tPvRmT3_T4_T5_T6_T7_T9_mT8_P12ihipStream_tbDpT10_ENKUlT_T0_E_clISt17integral_constantIbLb0EES18_IbLb1EEEEDaS14_S15_EUlS14_E_NS1_11comp_targetILNS1_3genE5ELNS1_11target_archE942ELNS1_3gpuE9ELNS1_3repE0EEENS1_30default_config_static_selectorELNS0_4arch9wavefront6targetE1EEEvT1_.kd
    .uniform_work_group_size: 1
    .uses_dynamic_stack: false
    .vgpr_count:     0
    .vgpr_spill_count: 0
    .wavefront_size: 64
  - .agpr_count:     0
    .args:
      - .offset:         0
        .size:           144
        .value_kind:     by_value
    .group_segment_fixed_size: 6344
    .kernarg_segment_align: 8
    .kernarg_segment_size: 144
    .language:       OpenCL C
    .language_version:
      - 2
      - 0
    .max_flat_workgroup_size: 192
    .name:           _ZN7rocprim17ROCPRIM_400000_NS6detail17trampoline_kernelINS0_14default_configENS1_25partition_config_selectorILNS1_17partition_subalgoE0ExNS0_10empty_typeEbEEZZNS1_14partition_implILS5_0ELb0ES3_jN6thrust23THRUST_200600_302600_NS6detail15normal_iteratorINSA_10device_ptrIxEEEEPS6_SG_NS0_5tupleIJSF_NSA_16discard_iteratorINSA_11use_defaultEEEEEENSH_IJSG_SG_EEES6_PlJ7is_evenIxEEEE10hipError_tPvRmT3_T4_T5_T6_T7_T9_mT8_P12ihipStream_tbDpT10_ENKUlT_T0_E_clISt17integral_constantIbLb0EES18_IbLb1EEEEDaS14_S15_EUlS14_E_NS1_11comp_targetILNS1_3genE4ELNS1_11target_archE910ELNS1_3gpuE8ELNS1_3repE0EEENS1_30default_config_static_selectorELNS0_4arch9wavefront6targetE1EEEvT1_
    .private_segment_fixed_size: 0
    .sgpr_count:     44
    .sgpr_spill_count: 0
    .symbol:         _ZN7rocprim17ROCPRIM_400000_NS6detail17trampoline_kernelINS0_14default_configENS1_25partition_config_selectorILNS1_17partition_subalgoE0ExNS0_10empty_typeEbEEZZNS1_14partition_implILS5_0ELb0ES3_jN6thrust23THRUST_200600_302600_NS6detail15normal_iteratorINSA_10device_ptrIxEEEEPS6_SG_NS0_5tupleIJSF_NSA_16discard_iteratorINSA_11use_defaultEEEEEENSH_IJSG_SG_EEES6_PlJ7is_evenIxEEEE10hipError_tPvRmT3_T4_T5_T6_T7_T9_mT8_P12ihipStream_tbDpT10_ENKUlT_T0_E_clISt17integral_constantIbLb0EES18_IbLb1EEEEDaS14_S15_EUlS14_E_NS1_11comp_targetILNS1_3genE4ELNS1_11target_archE910ELNS1_3gpuE8ELNS1_3repE0EEENS1_30default_config_static_selectorELNS0_4arch9wavefront6targetE1EEEvT1_.kd
    .uniform_work_group_size: 1
    .uses_dynamic_stack: false
    .vgpr_count:     45
    .vgpr_spill_count: 0
    .wavefront_size: 64
  - .agpr_count:     0
    .args:
      - .offset:         0
        .size:           144
        .value_kind:     by_value
    .group_segment_fixed_size: 0
    .kernarg_segment_align: 8
    .kernarg_segment_size: 144
    .language:       OpenCL C
    .language_version:
      - 2
      - 0
    .max_flat_workgroup_size: 128
    .name:           _ZN7rocprim17ROCPRIM_400000_NS6detail17trampoline_kernelINS0_14default_configENS1_25partition_config_selectorILNS1_17partition_subalgoE0ExNS0_10empty_typeEbEEZZNS1_14partition_implILS5_0ELb0ES3_jN6thrust23THRUST_200600_302600_NS6detail15normal_iteratorINSA_10device_ptrIxEEEEPS6_SG_NS0_5tupleIJSF_NSA_16discard_iteratorINSA_11use_defaultEEEEEENSH_IJSG_SG_EEES6_PlJ7is_evenIxEEEE10hipError_tPvRmT3_T4_T5_T6_T7_T9_mT8_P12ihipStream_tbDpT10_ENKUlT_T0_E_clISt17integral_constantIbLb0EES18_IbLb1EEEEDaS14_S15_EUlS14_E_NS1_11comp_targetILNS1_3genE3ELNS1_11target_archE908ELNS1_3gpuE7ELNS1_3repE0EEENS1_30default_config_static_selectorELNS0_4arch9wavefront6targetE1EEEvT1_
    .private_segment_fixed_size: 0
    .sgpr_count:     4
    .sgpr_spill_count: 0
    .symbol:         _ZN7rocprim17ROCPRIM_400000_NS6detail17trampoline_kernelINS0_14default_configENS1_25partition_config_selectorILNS1_17partition_subalgoE0ExNS0_10empty_typeEbEEZZNS1_14partition_implILS5_0ELb0ES3_jN6thrust23THRUST_200600_302600_NS6detail15normal_iteratorINSA_10device_ptrIxEEEEPS6_SG_NS0_5tupleIJSF_NSA_16discard_iteratorINSA_11use_defaultEEEEEENSH_IJSG_SG_EEES6_PlJ7is_evenIxEEEE10hipError_tPvRmT3_T4_T5_T6_T7_T9_mT8_P12ihipStream_tbDpT10_ENKUlT_T0_E_clISt17integral_constantIbLb0EES18_IbLb1EEEEDaS14_S15_EUlS14_E_NS1_11comp_targetILNS1_3genE3ELNS1_11target_archE908ELNS1_3gpuE7ELNS1_3repE0EEENS1_30default_config_static_selectorELNS0_4arch9wavefront6targetE1EEEvT1_.kd
    .uniform_work_group_size: 1
    .uses_dynamic_stack: false
    .vgpr_count:     0
    .vgpr_spill_count: 0
    .wavefront_size: 64
  - .agpr_count:     0
    .args:
      - .offset:         0
        .size:           144
        .value_kind:     by_value
    .group_segment_fixed_size: 0
    .kernarg_segment_align: 8
    .kernarg_segment_size: 144
    .language:       OpenCL C
    .language_version:
      - 2
      - 0
    .max_flat_workgroup_size: 256
    .name:           _ZN7rocprim17ROCPRIM_400000_NS6detail17trampoline_kernelINS0_14default_configENS1_25partition_config_selectorILNS1_17partition_subalgoE0ExNS0_10empty_typeEbEEZZNS1_14partition_implILS5_0ELb0ES3_jN6thrust23THRUST_200600_302600_NS6detail15normal_iteratorINSA_10device_ptrIxEEEEPS6_SG_NS0_5tupleIJSF_NSA_16discard_iteratorINSA_11use_defaultEEEEEENSH_IJSG_SG_EEES6_PlJ7is_evenIxEEEE10hipError_tPvRmT3_T4_T5_T6_T7_T9_mT8_P12ihipStream_tbDpT10_ENKUlT_T0_E_clISt17integral_constantIbLb0EES18_IbLb1EEEEDaS14_S15_EUlS14_E_NS1_11comp_targetILNS1_3genE2ELNS1_11target_archE906ELNS1_3gpuE6ELNS1_3repE0EEENS1_30default_config_static_selectorELNS0_4arch9wavefront6targetE1EEEvT1_
    .private_segment_fixed_size: 0
    .sgpr_count:     4
    .sgpr_spill_count: 0
    .symbol:         _ZN7rocprim17ROCPRIM_400000_NS6detail17trampoline_kernelINS0_14default_configENS1_25partition_config_selectorILNS1_17partition_subalgoE0ExNS0_10empty_typeEbEEZZNS1_14partition_implILS5_0ELb0ES3_jN6thrust23THRUST_200600_302600_NS6detail15normal_iteratorINSA_10device_ptrIxEEEEPS6_SG_NS0_5tupleIJSF_NSA_16discard_iteratorINSA_11use_defaultEEEEEENSH_IJSG_SG_EEES6_PlJ7is_evenIxEEEE10hipError_tPvRmT3_T4_T5_T6_T7_T9_mT8_P12ihipStream_tbDpT10_ENKUlT_T0_E_clISt17integral_constantIbLb0EES18_IbLb1EEEEDaS14_S15_EUlS14_E_NS1_11comp_targetILNS1_3genE2ELNS1_11target_archE906ELNS1_3gpuE6ELNS1_3repE0EEENS1_30default_config_static_selectorELNS0_4arch9wavefront6targetE1EEEvT1_.kd
    .uniform_work_group_size: 1
    .uses_dynamic_stack: false
    .vgpr_count:     0
    .vgpr_spill_count: 0
    .wavefront_size: 64
  - .agpr_count:     0
    .args:
      - .offset:         0
        .size:           144
        .value_kind:     by_value
    .group_segment_fixed_size: 0
    .kernarg_segment_align: 8
    .kernarg_segment_size: 144
    .language:       OpenCL C
    .language_version:
      - 2
      - 0
    .max_flat_workgroup_size: 512
    .name:           _ZN7rocprim17ROCPRIM_400000_NS6detail17trampoline_kernelINS0_14default_configENS1_25partition_config_selectorILNS1_17partition_subalgoE0ExNS0_10empty_typeEbEEZZNS1_14partition_implILS5_0ELb0ES3_jN6thrust23THRUST_200600_302600_NS6detail15normal_iteratorINSA_10device_ptrIxEEEEPS6_SG_NS0_5tupleIJSF_NSA_16discard_iteratorINSA_11use_defaultEEEEEENSH_IJSG_SG_EEES6_PlJ7is_evenIxEEEE10hipError_tPvRmT3_T4_T5_T6_T7_T9_mT8_P12ihipStream_tbDpT10_ENKUlT_T0_E_clISt17integral_constantIbLb0EES18_IbLb1EEEEDaS14_S15_EUlS14_E_NS1_11comp_targetILNS1_3genE10ELNS1_11target_archE1200ELNS1_3gpuE4ELNS1_3repE0EEENS1_30default_config_static_selectorELNS0_4arch9wavefront6targetE1EEEvT1_
    .private_segment_fixed_size: 0
    .sgpr_count:     4
    .sgpr_spill_count: 0
    .symbol:         _ZN7rocprim17ROCPRIM_400000_NS6detail17trampoline_kernelINS0_14default_configENS1_25partition_config_selectorILNS1_17partition_subalgoE0ExNS0_10empty_typeEbEEZZNS1_14partition_implILS5_0ELb0ES3_jN6thrust23THRUST_200600_302600_NS6detail15normal_iteratorINSA_10device_ptrIxEEEEPS6_SG_NS0_5tupleIJSF_NSA_16discard_iteratorINSA_11use_defaultEEEEEENSH_IJSG_SG_EEES6_PlJ7is_evenIxEEEE10hipError_tPvRmT3_T4_T5_T6_T7_T9_mT8_P12ihipStream_tbDpT10_ENKUlT_T0_E_clISt17integral_constantIbLb0EES18_IbLb1EEEEDaS14_S15_EUlS14_E_NS1_11comp_targetILNS1_3genE10ELNS1_11target_archE1200ELNS1_3gpuE4ELNS1_3repE0EEENS1_30default_config_static_selectorELNS0_4arch9wavefront6targetE1EEEvT1_.kd
    .uniform_work_group_size: 1
    .uses_dynamic_stack: false
    .vgpr_count:     0
    .vgpr_spill_count: 0
    .wavefront_size: 64
  - .agpr_count:     0
    .args:
      - .offset:         0
        .size:           144
        .value_kind:     by_value
    .group_segment_fixed_size: 0
    .kernarg_segment_align: 8
    .kernarg_segment_size: 144
    .language:       OpenCL C
    .language_version:
      - 2
      - 0
    .max_flat_workgroup_size: 512
    .name:           _ZN7rocprim17ROCPRIM_400000_NS6detail17trampoline_kernelINS0_14default_configENS1_25partition_config_selectorILNS1_17partition_subalgoE0ExNS0_10empty_typeEbEEZZNS1_14partition_implILS5_0ELb0ES3_jN6thrust23THRUST_200600_302600_NS6detail15normal_iteratorINSA_10device_ptrIxEEEEPS6_SG_NS0_5tupleIJSF_NSA_16discard_iteratorINSA_11use_defaultEEEEEENSH_IJSG_SG_EEES6_PlJ7is_evenIxEEEE10hipError_tPvRmT3_T4_T5_T6_T7_T9_mT8_P12ihipStream_tbDpT10_ENKUlT_T0_E_clISt17integral_constantIbLb0EES18_IbLb1EEEEDaS14_S15_EUlS14_E_NS1_11comp_targetILNS1_3genE9ELNS1_11target_archE1100ELNS1_3gpuE3ELNS1_3repE0EEENS1_30default_config_static_selectorELNS0_4arch9wavefront6targetE1EEEvT1_
    .private_segment_fixed_size: 0
    .sgpr_count:     4
    .sgpr_spill_count: 0
    .symbol:         _ZN7rocprim17ROCPRIM_400000_NS6detail17trampoline_kernelINS0_14default_configENS1_25partition_config_selectorILNS1_17partition_subalgoE0ExNS0_10empty_typeEbEEZZNS1_14partition_implILS5_0ELb0ES3_jN6thrust23THRUST_200600_302600_NS6detail15normal_iteratorINSA_10device_ptrIxEEEEPS6_SG_NS0_5tupleIJSF_NSA_16discard_iteratorINSA_11use_defaultEEEEEENSH_IJSG_SG_EEES6_PlJ7is_evenIxEEEE10hipError_tPvRmT3_T4_T5_T6_T7_T9_mT8_P12ihipStream_tbDpT10_ENKUlT_T0_E_clISt17integral_constantIbLb0EES18_IbLb1EEEEDaS14_S15_EUlS14_E_NS1_11comp_targetILNS1_3genE9ELNS1_11target_archE1100ELNS1_3gpuE3ELNS1_3repE0EEENS1_30default_config_static_selectorELNS0_4arch9wavefront6targetE1EEEvT1_.kd
    .uniform_work_group_size: 1
    .uses_dynamic_stack: false
    .vgpr_count:     0
    .vgpr_spill_count: 0
    .wavefront_size: 64
  - .agpr_count:     0
    .args:
      - .offset:         0
        .size:           144
        .value_kind:     by_value
    .group_segment_fixed_size: 0
    .kernarg_segment_align: 8
    .kernarg_segment_size: 144
    .language:       OpenCL C
    .language_version:
      - 2
      - 0
    .max_flat_workgroup_size: 512
    .name:           _ZN7rocprim17ROCPRIM_400000_NS6detail17trampoline_kernelINS0_14default_configENS1_25partition_config_selectorILNS1_17partition_subalgoE0ExNS0_10empty_typeEbEEZZNS1_14partition_implILS5_0ELb0ES3_jN6thrust23THRUST_200600_302600_NS6detail15normal_iteratorINSA_10device_ptrIxEEEEPS6_SG_NS0_5tupleIJSF_NSA_16discard_iteratorINSA_11use_defaultEEEEEENSH_IJSG_SG_EEES6_PlJ7is_evenIxEEEE10hipError_tPvRmT3_T4_T5_T6_T7_T9_mT8_P12ihipStream_tbDpT10_ENKUlT_T0_E_clISt17integral_constantIbLb0EES18_IbLb1EEEEDaS14_S15_EUlS14_E_NS1_11comp_targetILNS1_3genE8ELNS1_11target_archE1030ELNS1_3gpuE2ELNS1_3repE0EEENS1_30default_config_static_selectorELNS0_4arch9wavefront6targetE1EEEvT1_
    .private_segment_fixed_size: 0
    .sgpr_count:     4
    .sgpr_spill_count: 0
    .symbol:         _ZN7rocprim17ROCPRIM_400000_NS6detail17trampoline_kernelINS0_14default_configENS1_25partition_config_selectorILNS1_17partition_subalgoE0ExNS0_10empty_typeEbEEZZNS1_14partition_implILS5_0ELb0ES3_jN6thrust23THRUST_200600_302600_NS6detail15normal_iteratorINSA_10device_ptrIxEEEEPS6_SG_NS0_5tupleIJSF_NSA_16discard_iteratorINSA_11use_defaultEEEEEENSH_IJSG_SG_EEES6_PlJ7is_evenIxEEEE10hipError_tPvRmT3_T4_T5_T6_T7_T9_mT8_P12ihipStream_tbDpT10_ENKUlT_T0_E_clISt17integral_constantIbLb0EES18_IbLb1EEEEDaS14_S15_EUlS14_E_NS1_11comp_targetILNS1_3genE8ELNS1_11target_archE1030ELNS1_3gpuE2ELNS1_3repE0EEENS1_30default_config_static_selectorELNS0_4arch9wavefront6targetE1EEEvT1_.kd
    .uniform_work_group_size: 1
    .uses_dynamic_stack: false
    .vgpr_count:     0
    .vgpr_spill_count: 0
    .wavefront_size: 64
  - .agpr_count:     0
    .args:
      - .offset:         0
        .size:           128
        .value_kind:     by_value
    .group_segment_fixed_size: 0
    .kernarg_segment_align: 8
    .kernarg_segment_size: 128
    .language:       OpenCL C
    .language_version:
      - 2
      - 0
    .max_flat_workgroup_size: 128
    .name:           _ZN7rocprim17ROCPRIM_400000_NS6detail17trampoline_kernelINS0_14default_configENS1_25partition_config_selectorILNS1_17partition_subalgoE0ExNS0_10empty_typeEbEEZZNS1_14partition_implILS5_0ELb0ES3_jN6thrust23THRUST_200600_302600_NS6detail15normal_iteratorINSA_10device_ptrIxEEEEPS6_SG_NS0_5tupleIJNSA_16discard_iteratorINSA_11use_defaultEEESF_EEENSH_IJSG_SG_EEES6_PlJ7is_evenIxEEEE10hipError_tPvRmT3_T4_T5_T6_T7_T9_mT8_P12ihipStream_tbDpT10_ENKUlT_T0_E_clISt17integral_constantIbLb0EES19_EEDaS14_S15_EUlS14_E_NS1_11comp_targetILNS1_3genE0ELNS1_11target_archE4294967295ELNS1_3gpuE0ELNS1_3repE0EEENS1_30default_config_static_selectorELNS0_4arch9wavefront6targetE1EEEvT1_
    .private_segment_fixed_size: 0
    .sgpr_count:     4
    .sgpr_spill_count: 0
    .symbol:         _ZN7rocprim17ROCPRIM_400000_NS6detail17trampoline_kernelINS0_14default_configENS1_25partition_config_selectorILNS1_17partition_subalgoE0ExNS0_10empty_typeEbEEZZNS1_14partition_implILS5_0ELb0ES3_jN6thrust23THRUST_200600_302600_NS6detail15normal_iteratorINSA_10device_ptrIxEEEEPS6_SG_NS0_5tupleIJNSA_16discard_iteratorINSA_11use_defaultEEESF_EEENSH_IJSG_SG_EEES6_PlJ7is_evenIxEEEE10hipError_tPvRmT3_T4_T5_T6_T7_T9_mT8_P12ihipStream_tbDpT10_ENKUlT_T0_E_clISt17integral_constantIbLb0EES19_EEDaS14_S15_EUlS14_E_NS1_11comp_targetILNS1_3genE0ELNS1_11target_archE4294967295ELNS1_3gpuE0ELNS1_3repE0EEENS1_30default_config_static_selectorELNS0_4arch9wavefront6targetE1EEEvT1_.kd
    .uniform_work_group_size: 1
    .uses_dynamic_stack: false
    .vgpr_count:     0
    .vgpr_spill_count: 0
    .wavefront_size: 64
  - .agpr_count:     0
    .args:
      - .offset:         0
        .size:           128
        .value_kind:     by_value
    .group_segment_fixed_size: 0
    .kernarg_segment_align: 8
    .kernarg_segment_size: 128
    .language:       OpenCL C
    .language_version:
      - 2
      - 0
    .max_flat_workgroup_size: 512
    .name:           _ZN7rocprim17ROCPRIM_400000_NS6detail17trampoline_kernelINS0_14default_configENS1_25partition_config_selectorILNS1_17partition_subalgoE0ExNS0_10empty_typeEbEEZZNS1_14partition_implILS5_0ELb0ES3_jN6thrust23THRUST_200600_302600_NS6detail15normal_iteratorINSA_10device_ptrIxEEEEPS6_SG_NS0_5tupleIJNSA_16discard_iteratorINSA_11use_defaultEEESF_EEENSH_IJSG_SG_EEES6_PlJ7is_evenIxEEEE10hipError_tPvRmT3_T4_T5_T6_T7_T9_mT8_P12ihipStream_tbDpT10_ENKUlT_T0_E_clISt17integral_constantIbLb0EES19_EEDaS14_S15_EUlS14_E_NS1_11comp_targetILNS1_3genE5ELNS1_11target_archE942ELNS1_3gpuE9ELNS1_3repE0EEENS1_30default_config_static_selectorELNS0_4arch9wavefront6targetE1EEEvT1_
    .private_segment_fixed_size: 0
    .sgpr_count:     4
    .sgpr_spill_count: 0
    .symbol:         _ZN7rocprim17ROCPRIM_400000_NS6detail17trampoline_kernelINS0_14default_configENS1_25partition_config_selectorILNS1_17partition_subalgoE0ExNS0_10empty_typeEbEEZZNS1_14partition_implILS5_0ELb0ES3_jN6thrust23THRUST_200600_302600_NS6detail15normal_iteratorINSA_10device_ptrIxEEEEPS6_SG_NS0_5tupleIJNSA_16discard_iteratorINSA_11use_defaultEEESF_EEENSH_IJSG_SG_EEES6_PlJ7is_evenIxEEEE10hipError_tPvRmT3_T4_T5_T6_T7_T9_mT8_P12ihipStream_tbDpT10_ENKUlT_T0_E_clISt17integral_constantIbLb0EES19_EEDaS14_S15_EUlS14_E_NS1_11comp_targetILNS1_3genE5ELNS1_11target_archE942ELNS1_3gpuE9ELNS1_3repE0EEENS1_30default_config_static_selectorELNS0_4arch9wavefront6targetE1EEEvT1_.kd
    .uniform_work_group_size: 1
    .uses_dynamic_stack: false
    .vgpr_count:     0
    .vgpr_spill_count: 0
    .wavefront_size: 64
  - .agpr_count:     0
    .args:
      - .offset:         0
        .size:           128
        .value_kind:     by_value
    .group_segment_fixed_size: 6344
    .kernarg_segment_align: 8
    .kernarg_segment_size: 128
    .language:       OpenCL C
    .language_version:
      - 2
      - 0
    .max_flat_workgroup_size: 192
    .name:           _ZN7rocprim17ROCPRIM_400000_NS6detail17trampoline_kernelINS0_14default_configENS1_25partition_config_selectorILNS1_17partition_subalgoE0ExNS0_10empty_typeEbEEZZNS1_14partition_implILS5_0ELb0ES3_jN6thrust23THRUST_200600_302600_NS6detail15normal_iteratorINSA_10device_ptrIxEEEEPS6_SG_NS0_5tupleIJNSA_16discard_iteratorINSA_11use_defaultEEESF_EEENSH_IJSG_SG_EEES6_PlJ7is_evenIxEEEE10hipError_tPvRmT3_T4_T5_T6_T7_T9_mT8_P12ihipStream_tbDpT10_ENKUlT_T0_E_clISt17integral_constantIbLb0EES19_EEDaS14_S15_EUlS14_E_NS1_11comp_targetILNS1_3genE4ELNS1_11target_archE910ELNS1_3gpuE8ELNS1_3repE0EEENS1_30default_config_static_selectorELNS0_4arch9wavefront6targetE1EEEvT1_
    .private_segment_fixed_size: 0
    .sgpr_count:     48
    .sgpr_spill_count: 0
    .symbol:         _ZN7rocprim17ROCPRIM_400000_NS6detail17trampoline_kernelINS0_14default_configENS1_25partition_config_selectorILNS1_17partition_subalgoE0ExNS0_10empty_typeEbEEZZNS1_14partition_implILS5_0ELb0ES3_jN6thrust23THRUST_200600_302600_NS6detail15normal_iteratorINSA_10device_ptrIxEEEEPS6_SG_NS0_5tupleIJNSA_16discard_iteratorINSA_11use_defaultEEESF_EEENSH_IJSG_SG_EEES6_PlJ7is_evenIxEEEE10hipError_tPvRmT3_T4_T5_T6_T7_T9_mT8_P12ihipStream_tbDpT10_ENKUlT_T0_E_clISt17integral_constantIbLb0EES19_EEDaS14_S15_EUlS14_E_NS1_11comp_targetILNS1_3genE4ELNS1_11target_archE910ELNS1_3gpuE8ELNS1_3repE0EEENS1_30default_config_static_selectorELNS0_4arch9wavefront6targetE1EEEvT1_.kd
    .uniform_work_group_size: 1
    .uses_dynamic_stack: false
    .vgpr_count:     43
    .vgpr_spill_count: 0
    .wavefront_size: 64
  - .agpr_count:     0
    .args:
      - .offset:         0
        .size:           128
        .value_kind:     by_value
    .group_segment_fixed_size: 0
    .kernarg_segment_align: 8
    .kernarg_segment_size: 128
    .language:       OpenCL C
    .language_version:
      - 2
      - 0
    .max_flat_workgroup_size: 128
    .name:           _ZN7rocprim17ROCPRIM_400000_NS6detail17trampoline_kernelINS0_14default_configENS1_25partition_config_selectorILNS1_17partition_subalgoE0ExNS0_10empty_typeEbEEZZNS1_14partition_implILS5_0ELb0ES3_jN6thrust23THRUST_200600_302600_NS6detail15normal_iteratorINSA_10device_ptrIxEEEEPS6_SG_NS0_5tupleIJNSA_16discard_iteratorINSA_11use_defaultEEESF_EEENSH_IJSG_SG_EEES6_PlJ7is_evenIxEEEE10hipError_tPvRmT3_T4_T5_T6_T7_T9_mT8_P12ihipStream_tbDpT10_ENKUlT_T0_E_clISt17integral_constantIbLb0EES19_EEDaS14_S15_EUlS14_E_NS1_11comp_targetILNS1_3genE3ELNS1_11target_archE908ELNS1_3gpuE7ELNS1_3repE0EEENS1_30default_config_static_selectorELNS0_4arch9wavefront6targetE1EEEvT1_
    .private_segment_fixed_size: 0
    .sgpr_count:     4
    .sgpr_spill_count: 0
    .symbol:         _ZN7rocprim17ROCPRIM_400000_NS6detail17trampoline_kernelINS0_14default_configENS1_25partition_config_selectorILNS1_17partition_subalgoE0ExNS0_10empty_typeEbEEZZNS1_14partition_implILS5_0ELb0ES3_jN6thrust23THRUST_200600_302600_NS6detail15normal_iteratorINSA_10device_ptrIxEEEEPS6_SG_NS0_5tupleIJNSA_16discard_iteratorINSA_11use_defaultEEESF_EEENSH_IJSG_SG_EEES6_PlJ7is_evenIxEEEE10hipError_tPvRmT3_T4_T5_T6_T7_T9_mT8_P12ihipStream_tbDpT10_ENKUlT_T0_E_clISt17integral_constantIbLb0EES19_EEDaS14_S15_EUlS14_E_NS1_11comp_targetILNS1_3genE3ELNS1_11target_archE908ELNS1_3gpuE7ELNS1_3repE0EEENS1_30default_config_static_selectorELNS0_4arch9wavefront6targetE1EEEvT1_.kd
    .uniform_work_group_size: 1
    .uses_dynamic_stack: false
    .vgpr_count:     0
    .vgpr_spill_count: 0
    .wavefront_size: 64
  - .agpr_count:     0
    .args:
      - .offset:         0
        .size:           128
        .value_kind:     by_value
    .group_segment_fixed_size: 0
    .kernarg_segment_align: 8
    .kernarg_segment_size: 128
    .language:       OpenCL C
    .language_version:
      - 2
      - 0
    .max_flat_workgroup_size: 256
    .name:           _ZN7rocprim17ROCPRIM_400000_NS6detail17trampoline_kernelINS0_14default_configENS1_25partition_config_selectorILNS1_17partition_subalgoE0ExNS0_10empty_typeEbEEZZNS1_14partition_implILS5_0ELb0ES3_jN6thrust23THRUST_200600_302600_NS6detail15normal_iteratorINSA_10device_ptrIxEEEEPS6_SG_NS0_5tupleIJNSA_16discard_iteratorINSA_11use_defaultEEESF_EEENSH_IJSG_SG_EEES6_PlJ7is_evenIxEEEE10hipError_tPvRmT3_T4_T5_T6_T7_T9_mT8_P12ihipStream_tbDpT10_ENKUlT_T0_E_clISt17integral_constantIbLb0EES19_EEDaS14_S15_EUlS14_E_NS1_11comp_targetILNS1_3genE2ELNS1_11target_archE906ELNS1_3gpuE6ELNS1_3repE0EEENS1_30default_config_static_selectorELNS0_4arch9wavefront6targetE1EEEvT1_
    .private_segment_fixed_size: 0
    .sgpr_count:     4
    .sgpr_spill_count: 0
    .symbol:         _ZN7rocprim17ROCPRIM_400000_NS6detail17trampoline_kernelINS0_14default_configENS1_25partition_config_selectorILNS1_17partition_subalgoE0ExNS0_10empty_typeEbEEZZNS1_14partition_implILS5_0ELb0ES3_jN6thrust23THRUST_200600_302600_NS6detail15normal_iteratorINSA_10device_ptrIxEEEEPS6_SG_NS0_5tupleIJNSA_16discard_iteratorINSA_11use_defaultEEESF_EEENSH_IJSG_SG_EEES6_PlJ7is_evenIxEEEE10hipError_tPvRmT3_T4_T5_T6_T7_T9_mT8_P12ihipStream_tbDpT10_ENKUlT_T0_E_clISt17integral_constantIbLb0EES19_EEDaS14_S15_EUlS14_E_NS1_11comp_targetILNS1_3genE2ELNS1_11target_archE906ELNS1_3gpuE6ELNS1_3repE0EEENS1_30default_config_static_selectorELNS0_4arch9wavefront6targetE1EEEvT1_.kd
    .uniform_work_group_size: 1
    .uses_dynamic_stack: false
    .vgpr_count:     0
    .vgpr_spill_count: 0
    .wavefront_size: 64
  - .agpr_count:     0
    .args:
      - .offset:         0
        .size:           128
        .value_kind:     by_value
    .group_segment_fixed_size: 0
    .kernarg_segment_align: 8
    .kernarg_segment_size: 128
    .language:       OpenCL C
    .language_version:
      - 2
      - 0
    .max_flat_workgroup_size: 512
    .name:           _ZN7rocprim17ROCPRIM_400000_NS6detail17trampoline_kernelINS0_14default_configENS1_25partition_config_selectorILNS1_17partition_subalgoE0ExNS0_10empty_typeEbEEZZNS1_14partition_implILS5_0ELb0ES3_jN6thrust23THRUST_200600_302600_NS6detail15normal_iteratorINSA_10device_ptrIxEEEEPS6_SG_NS0_5tupleIJNSA_16discard_iteratorINSA_11use_defaultEEESF_EEENSH_IJSG_SG_EEES6_PlJ7is_evenIxEEEE10hipError_tPvRmT3_T4_T5_T6_T7_T9_mT8_P12ihipStream_tbDpT10_ENKUlT_T0_E_clISt17integral_constantIbLb0EES19_EEDaS14_S15_EUlS14_E_NS1_11comp_targetILNS1_3genE10ELNS1_11target_archE1200ELNS1_3gpuE4ELNS1_3repE0EEENS1_30default_config_static_selectorELNS0_4arch9wavefront6targetE1EEEvT1_
    .private_segment_fixed_size: 0
    .sgpr_count:     4
    .sgpr_spill_count: 0
    .symbol:         _ZN7rocprim17ROCPRIM_400000_NS6detail17trampoline_kernelINS0_14default_configENS1_25partition_config_selectorILNS1_17partition_subalgoE0ExNS0_10empty_typeEbEEZZNS1_14partition_implILS5_0ELb0ES3_jN6thrust23THRUST_200600_302600_NS6detail15normal_iteratorINSA_10device_ptrIxEEEEPS6_SG_NS0_5tupleIJNSA_16discard_iteratorINSA_11use_defaultEEESF_EEENSH_IJSG_SG_EEES6_PlJ7is_evenIxEEEE10hipError_tPvRmT3_T4_T5_T6_T7_T9_mT8_P12ihipStream_tbDpT10_ENKUlT_T0_E_clISt17integral_constantIbLb0EES19_EEDaS14_S15_EUlS14_E_NS1_11comp_targetILNS1_3genE10ELNS1_11target_archE1200ELNS1_3gpuE4ELNS1_3repE0EEENS1_30default_config_static_selectorELNS0_4arch9wavefront6targetE1EEEvT1_.kd
    .uniform_work_group_size: 1
    .uses_dynamic_stack: false
    .vgpr_count:     0
    .vgpr_spill_count: 0
    .wavefront_size: 64
  - .agpr_count:     0
    .args:
      - .offset:         0
        .size:           128
        .value_kind:     by_value
    .group_segment_fixed_size: 0
    .kernarg_segment_align: 8
    .kernarg_segment_size: 128
    .language:       OpenCL C
    .language_version:
      - 2
      - 0
    .max_flat_workgroup_size: 512
    .name:           _ZN7rocprim17ROCPRIM_400000_NS6detail17trampoline_kernelINS0_14default_configENS1_25partition_config_selectorILNS1_17partition_subalgoE0ExNS0_10empty_typeEbEEZZNS1_14partition_implILS5_0ELb0ES3_jN6thrust23THRUST_200600_302600_NS6detail15normal_iteratorINSA_10device_ptrIxEEEEPS6_SG_NS0_5tupleIJNSA_16discard_iteratorINSA_11use_defaultEEESF_EEENSH_IJSG_SG_EEES6_PlJ7is_evenIxEEEE10hipError_tPvRmT3_T4_T5_T6_T7_T9_mT8_P12ihipStream_tbDpT10_ENKUlT_T0_E_clISt17integral_constantIbLb0EES19_EEDaS14_S15_EUlS14_E_NS1_11comp_targetILNS1_3genE9ELNS1_11target_archE1100ELNS1_3gpuE3ELNS1_3repE0EEENS1_30default_config_static_selectorELNS0_4arch9wavefront6targetE1EEEvT1_
    .private_segment_fixed_size: 0
    .sgpr_count:     4
    .sgpr_spill_count: 0
    .symbol:         _ZN7rocprim17ROCPRIM_400000_NS6detail17trampoline_kernelINS0_14default_configENS1_25partition_config_selectorILNS1_17partition_subalgoE0ExNS0_10empty_typeEbEEZZNS1_14partition_implILS5_0ELb0ES3_jN6thrust23THRUST_200600_302600_NS6detail15normal_iteratorINSA_10device_ptrIxEEEEPS6_SG_NS0_5tupleIJNSA_16discard_iteratorINSA_11use_defaultEEESF_EEENSH_IJSG_SG_EEES6_PlJ7is_evenIxEEEE10hipError_tPvRmT3_T4_T5_T6_T7_T9_mT8_P12ihipStream_tbDpT10_ENKUlT_T0_E_clISt17integral_constantIbLb0EES19_EEDaS14_S15_EUlS14_E_NS1_11comp_targetILNS1_3genE9ELNS1_11target_archE1100ELNS1_3gpuE3ELNS1_3repE0EEENS1_30default_config_static_selectorELNS0_4arch9wavefront6targetE1EEEvT1_.kd
    .uniform_work_group_size: 1
    .uses_dynamic_stack: false
    .vgpr_count:     0
    .vgpr_spill_count: 0
    .wavefront_size: 64
  - .agpr_count:     0
    .args:
      - .offset:         0
        .size:           128
        .value_kind:     by_value
    .group_segment_fixed_size: 0
    .kernarg_segment_align: 8
    .kernarg_segment_size: 128
    .language:       OpenCL C
    .language_version:
      - 2
      - 0
    .max_flat_workgroup_size: 512
    .name:           _ZN7rocprim17ROCPRIM_400000_NS6detail17trampoline_kernelINS0_14default_configENS1_25partition_config_selectorILNS1_17partition_subalgoE0ExNS0_10empty_typeEbEEZZNS1_14partition_implILS5_0ELb0ES3_jN6thrust23THRUST_200600_302600_NS6detail15normal_iteratorINSA_10device_ptrIxEEEEPS6_SG_NS0_5tupleIJNSA_16discard_iteratorINSA_11use_defaultEEESF_EEENSH_IJSG_SG_EEES6_PlJ7is_evenIxEEEE10hipError_tPvRmT3_T4_T5_T6_T7_T9_mT8_P12ihipStream_tbDpT10_ENKUlT_T0_E_clISt17integral_constantIbLb0EES19_EEDaS14_S15_EUlS14_E_NS1_11comp_targetILNS1_3genE8ELNS1_11target_archE1030ELNS1_3gpuE2ELNS1_3repE0EEENS1_30default_config_static_selectorELNS0_4arch9wavefront6targetE1EEEvT1_
    .private_segment_fixed_size: 0
    .sgpr_count:     4
    .sgpr_spill_count: 0
    .symbol:         _ZN7rocprim17ROCPRIM_400000_NS6detail17trampoline_kernelINS0_14default_configENS1_25partition_config_selectorILNS1_17partition_subalgoE0ExNS0_10empty_typeEbEEZZNS1_14partition_implILS5_0ELb0ES3_jN6thrust23THRUST_200600_302600_NS6detail15normal_iteratorINSA_10device_ptrIxEEEEPS6_SG_NS0_5tupleIJNSA_16discard_iteratorINSA_11use_defaultEEESF_EEENSH_IJSG_SG_EEES6_PlJ7is_evenIxEEEE10hipError_tPvRmT3_T4_T5_T6_T7_T9_mT8_P12ihipStream_tbDpT10_ENKUlT_T0_E_clISt17integral_constantIbLb0EES19_EEDaS14_S15_EUlS14_E_NS1_11comp_targetILNS1_3genE8ELNS1_11target_archE1030ELNS1_3gpuE2ELNS1_3repE0EEENS1_30default_config_static_selectorELNS0_4arch9wavefront6targetE1EEEvT1_.kd
    .uniform_work_group_size: 1
    .uses_dynamic_stack: false
    .vgpr_count:     0
    .vgpr_spill_count: 0
    .wavefront_size: 64
  - .agpr_count:     0
    .args:
      - .offset:         0
        .size:           144
        .value_kind:     by_value
    .group_segment_fixed_size: 0
    .kernarg_segment_align: 8
    .kernarg_segment_size: 144
    .language:       OpenCL C
    .language_version:
      - 2
      - 0
    .max_flat_workgroup_size: 128
    .name:           _ZN7rocprim17ROCPRIM_400000_NS6detail17trampoline_kernelINS0_14default_configENS1_25partition_config_selectorILNS1_17partition_subalgoE0ExNS0_10empty_typeEbEEZZNS1_14partition_implILS5_0ELb0ES3_jN6thrust23THRUST_200600_302600_NS6detail15normal_iteratorINSA_10device_ptrIxEEEEPS6_SG_NS0_5tupleIJNSA_16discard_iteratorINSA_11use_defaultEEESF_EEENSH_IJSG_SG_EEES6_PlJ7is_evenIxEEEE10hipError_tPvRmT3_T4_T5_T6_T7_T9_mT8_P12ihipStream_tbDpT10_ENKUlT_T0_E_clISt17integral_constantIbLb1EES19_EEDaS14_S15_EUlS14_E_NS1_11comp_targetILNS1_3genE0ELNS1_11target_archE4294967295ELNS1_3gpuE0ELNS1_3repE0EEENS1_30default_config_static_selectorELNS0_4arch9wavefront6targetE1EEEvT1_
    .private_segment_fixed_size: 0
    .sgpr_count:     4
    .sgpr_spill_count: 0
    .symbol:         _ZN7rocprim17ROCPRIM_400000_NS6detail17trampoline_kernelINS0_14default_configENS1_25partition_config_selectorILNS1_17partition_subalgoE0ExNS0_10empty_typeEbEEZZNS1_14partition_implILS5_0ELb0ES3_jN6thrust23THRUST_200600_302600_NS6detail15normal_iteratorINSA_10device_ptrIxEEEEPS6_SG_NS0_5tupleIJNSA_16discard_iteratorINSA_11use_defaultEEESF_EEENSH_IJSG_SG_EEES6_PlJ7is_evenIxEEEE10hipError_tPvRmT3_T4_T5_T6_T7_T9_mT8_P12ihipStream_tbDpT10_ENKUlT_T0_E_clISt17integral_constantIbLb1EES19_EEDaS14_S15_EUlS14_E_NS1_11comp_targetILNS1_3genE0ELNS1_11target_archE4294967295ELNS1_3gpuE0ELNS1_3repE0EEENS1_30default_config_static_selectorELNS0_4arch9wavefront6targetE1EEEvT1_.kd
    .uniform_work_group_size: 1
    .uses_dynamic_stack: false
    .vgpr_count:     0
    .vgpr_spill_count: 0
    .wavefront_size: 64
  - .agpr_count:     0
    .args:
      - .offset:         0
        .size:           144
        .value_kind:     by_value
    .group_segment_fixed_size: 0
    .kernarg_segment_align: 8
    .kernarg_segment_size: 144
    .language:       OpenCL C
    .language_version:
      - 2
      - 0
    .max_flat_workgroup_size: 512
    .name:           _ZN7rocprim17ROCPRIM_400000_NS6detail17trampoline_kernelINS0_14default_configENS1_25partition_config_selectorILNS1_17partition_subalgoE0ExNS0_10empty_typeEbEEZZNS1_14partition_implILS5_0ELb0ES3_jN6thrust23THRUST_200600_302600_NS6detail15normal_iteratorINSA_10device_ptrIxEEEEPS6_SG_NS0_5tupleIJNSA_16discard_iteratorINSA_11use_defaultEEESF_EEENSH_IJSG_SG_EEES6_PlJ7is_evenIxEEEE10hipError_tPvRmT3_T4_T5_T6_T7_T9_mT8_P12ihipStream_tbDpT10_ENKUlT_T0_E_clISt17integral_constantIbLb1EES19_EEDaS14_S15_EUlS14_E_NS1_11comp_targetILNS1_3genE5ELNS1_11target_archE942ELNS1_3gpuE9ELNS1_3repE0EEENS1_30default_config_static_selectorELNS0_4arch9wavefront6targetE1EEEvT1_
    .private_segment_fixed_size: 0
    .sgpr_count:     4
    .sgpr_spill_count: 0
    .symbol:         _ZN7rocprim17ROCPRIM_400000_NS6detail17trampoline_kernelINS0_14default_configENS1_25partition_config_selectorILNS1_17partition_subalgoE0ExNS0_10empty_typeEbEEZZNS1_14partition_implILS5_0ELb0ES3_jN6thrust23THRUST_200600_302600_NS6detail15normal_iteratorINSA_10device_ptrIxEEEEPS6_SG_NS0_5tupleIJNSA_16discard_iteratorINSA_11use_defaultEEESF_EEENSH_IJSG_SG_EEES6_PlJ7is_evenIxEEEE10hipError_tPvRmT3_T4_T5_T6_T7_T9_mT8_P12ihipStream_tbDpT10_ENKUlT_T0_E_clISt17integral_constantIbLb1EES19_EEDaS14_S15_EUlS14_E_NS1_11comp_targetILNS1_3genE5ELNS1_11target_archE942ELNS1_3gpuE9ELNS1_3repE0EEENS1_30default_config_static_selectorELNS0_4arch9wavefront6targetE1EEEvT1_.kd
    .uniform_work_group_size: 1
    .uses_dynamic_stack: false
    .vgpr_count:     0
    .vgpr_spill_count: 0
    .wavefront_size: 64
  - .agpr_count:     0
    .args:
      - .offset:         0
        .size:           144
        .value_kind:     by_value
    .group_segment_fixed_size: 6344
    .kernarg_segment_align: 8
    .kernarg_segment_size: 144
    .language:       OpenCL C
    .language_version:
      - 2
      - 0
    .max_flat_workgroup_size: 192
    .name:           _ZN7rocprim17ROCPRIM_400000_NS6detail17trampoline_kernelINS0_14default_configENS1_25partition_config_selectorILNS1_17partition_subalgoE0ExNS0_10empty_typeEbEEZZNS1_14partition_implILS5_0ELb0ES3_jN6thrust23THRUST_200600_302600_NS6detail15normal_iteratorINSA_10device_ptrIxEEEEPS6_SG_NS0_5tupleIJNSA_16discard_iteratorINSA_11use_defaultEEESF_EEENSH_IJSG_SG_EEES6_PlJ7is_evenIxEEEE10hipError_tPvRmT3_T4_T5_T6_T7_T9_mT8_P12ihipStream_tbDpT10_ENKUlT_T0_E_clISt17integral_constantIbLb1EES19_EEDaS14_S15_EUlS14_E_NS1_11comp_targetILNS1_3genE4ELNS1_11target_archE910ELNS1_3gpuE8ELNS1_3repE0EEENS1_30default_config_static_selectorELNS0_4arch9wavefront6targetE1EEEvT1_
    .private_segment_fixed_size: 0
    .sgpr_count:     46
    .sgpr_spill_count: 0
    .symbol:         _ZN7rocprim17ROCPRIM_400000_NS6detail17trampoline_kernelINS0_14default_configENS1_25partition_config_selectorILNS1_17partition_subalgoE0ExNS0_10empty_typeEbEEZZNS1_14partition_implILS5_0ELb0ES3_jN6thrust23THRUST_200600_302600_NS6detail15normal_iteratorINSA_10device_ptrIxEEEEPS6_SG_NS0_5tupleIJNSA_16discard_iteratorINSA_11use_defaultEEESF_EEENSH_IJSG_SG_EEES6_PlJ7is_evenIxEEEE10hipError_tPvRmT3_T4_T5_T6_T7_T9_mT8_P12ihipStream_tbDpT10_ENKUlT_T0_E_clISt17integral_constantIbLb1EES19_EEDaS14_S15_EUlS14_E_NS1_11comp_targetILNS1_3genE4ELNS1_11target_archE910ELNS1_3gpuE8ELNS1_3repE0EEENS1_30default_config_static_selectorELNS0_4arch9wavefront6targetE1EEEvT1_.kd
    .uniform_work_group_size: 1
    .uses_dynamic_stack: false
    .vgpr_count:     47
    .vgpr_spill_count: 0
    .wavefront_size: 64
  - .agpr_count:     0
    .args:
      - .offset:         0
        .size:           144
        .value_kind:     by_value
    .group_segment_fixed_size: 0
    .kernarg_segment_align: 8
    .kernarg_segment_size: 144
    .language:       OpenCL C
    .language_version:
      - 2
      - 0
    .max_flat_workgroup_size: 128
    .name:           _ZN7rocprim17ROCPRIM_400000_NS6detail17trampoline_kernelINS0_14default_configENS1_25partition_config_selectorILNS1_17partition_subalgoE0ExNS0_10empty_typeEbEEZZNS1_14partition_implILS5_0ELb0ES3_jN6thrust23THRUST_200600_302600_NS6detail15normal_iteratorINSA_10device_ptrIxEEEEPS6_SG_NS0_5tupleIJNSA_16discard_iteratorINSA_11use_defaultEEESF_EEENSH_IJSG_SG_EEES6_PlJ7is_evenIxEEEE10hipError_tPvRmT3_T4_T5_T6_T7_T9_mT8_P12ihipStream_tbDpT10_ENKUlT_T0_E_clISt17integral_constantIbLb1EES19_EEDaS14_S15_EUlS14_E_NS1_11comp_targetILNS1_3genE3ELNS1_11target_archE908ELNS1_3gpuE7ELNS1_3repE0EEENS1_30default_config_static_selectorELNS0_4arch9wavefront6targetE1EEEvT1_
    .private_segment_fixed_size: 0
    .sgpr_count:     4
    .sgpr_spill_count: 0
    .symbol:         _ZN7rocprim17ROCPRIM_400000_NS6detail17trampoline_kernelINS0_14default_configENS1_25partition_config_selectorILNS1_17partition_subalgoE0ExNS0_10empty_typeEbEEZZNS1_14partition_implILS5_0ELb0ES3_jN6thrust23THRUST_200600_302600_NS6detail15normal_iteratorINSA_10device_ptrIxEEEEPS6_SG_NS0_5tupleIJNSA_16discard_iteratorINSA_11use_defaultEEESF_EEENSH_IJSG_SG_EEES6_PlJ7is_evenIxEEEE10hipError_tPvRmT3_T4_T5_T6_T7_T9_mT8_P12ihipStream_tbDpT10_ENKUlT_T0_E_clISt17integral_constantIbLb1EES19_EEDaS14_S15_EUlS14_E_NS1_11comp_targetILNS1_3genE3ELNS1_11target_archE908ELNS1_3gpuE7ELNS1_3repE0EEENS1_30default_config_static_selectorELNS0_4arch9wavefront6targetE1EEEvT1_.kd
    .uniform_work_group_size: 1
    .uses_dynamic_stack: false
    .vgpr_count:     0
    .vgpr_spill_count: 0
    .wavefront_size: 64
  - .agpr_count:     0
    .args:
      - .offset:         0
        .size:           144
        .value_kind:     by_value
    .group_segment_fixed_size: 0
    .kernarg_segment_align: 8
    .kernarg_segment_size: 144
    .language:       OpenCL C
    .language_version:
      - 2
      - 0
    .max_flat_workgroup_size: 256
    .name:           _ZN7rocprim17ROCPRIM_400000_NS6detail17trampoline_kernelINS0_14default_configENS1_25partition_config_selectorILNS1_17partition_subalgoE0ExNS0_10empty_typeEbEEZZNS1_14partition_implILS5_0ELb0ES3_jN6thrust23THRUST_200600_302600_NS6detail15normal_iteratorINSA_10device_ptrIxEEEEPS6_SG_NS0_5tupleIJNSA_16discard_iteratorINSA_11use_defaultEEESF_EEENSH_IJSG_SG_EEES6_PlJ7is_evenIxEEEE10hipError_tPvRmT3_T4_T5_T6_T7_T9_mT8_P12ihipStream_tbDpT10_ENKUlT_T0_E_clISt17integral_constantIbLb1EES19_EEDaS14_S15_EUlS14_E_NS1_11comp_targetILNS1_3genE2ELNS1_11target_archE906ELNS1_3gpuE6ELNS1_3repE0EEENS1_30default_config_static_selectorELNS0_4arch9wavefront6targetE1EEEvT1_
    .private_segment_fixed_size: 0
    .sgpr_count:     4
    .sgpr_spill_count: 0
    .symbol:         _ZN7rocprim17ROCPRIM_400000_NS6detail17trampoline_kernelINS0_14default_configENS1_25partition_config_selectorILNS1_17partition_subalgoE0ExNS0_10empty_typeEbEEZZNS1_14partition_implILS5_0ELb0ES3_jN6thrust23THRUST_200600_302600_NS6detail15normal_iteratorINSA_10device_ptrIxEEEEPS6_SG_NS0_5tupleIJNSA_16discard_iteratorINSA_11use_defaultEEESF_EEENSH_IJSG_SG_EEES6_PlJ7is_evenIxEEEE10hipError_tPvRmT3_T4_T5_T6_T7_T9_mT8_P12ihipStream_tbDpT10_ENKUlT_T0_E_clISt17integral_constantIbLb1EES19_EEDaS14_S15_EUlS14_E_NS1_11comp_targetILNS1_3genE2ELNS1_11target_archE906ELNS1_3gpuE6ELNS1_3repE0EEENS1_30default_config_static_selectorELNS0_4arch9wavefront6targetE1EEEvT1_.kd
    .uniform_work_group_size: 1
    .uses_dynamic_stack: false
    .vgpr_count:     0
    .vgpr_spill_count: 0
    .wavefront_size: 64
  - .agpr_count:     0
    .args:
      - .offset:         0
        .size:           144
        .value_kind:     by_value
    .group_segment_fixed_size: 0
    .kernarg_segment_align: 8
    .kernarg_segment_size: 144
    .language:       OpenCL C
    .language_version:
      - 2
      - 0
    .max_flat_workgroup_size: 512
    .name:           _ZN7rocprim17ROCPRIM_400000_NS6detail17trampoline_kernelINS0_14default_configENS1_25partition_config_selectorILNS1_17partition_subalgoE0ExNS0_10empty_typeEbEEZZNS1_14partition_implILS5_0ELb0ES3_jN6thrust23THRUST_200600_302600_NS6detail15normal_iteratorINSA_10device_ptrIxEEEEPS6_SG_NS0_5tupleIJNSA_16discard_iteratorINSA_11use_defaultEEESF_EEENSH_IJSG_SG_EEES6_PlJ7is_evenIxEEEE10hipError_tPvRmT3_T4_T5_T6_T7_T9_mT8_P12ihipStream_tbDpT10_ENKUlT_T0_E_clISt17integral_constantIbLb1EES19_EEDaS14_S15_EUlS14_E_NS1_11comp_targetILNS1_3genE10ELNS1_11target_archE1200ELNS1_3gpuE4ELNS1_3repE0EEENS1_30default_config_static_selectorELNS0_4arch9wavefront6targetE1EEEvT1_
    .private_segment_fixed_size: 0
    .sgpr_count:     4
    .sgpr_spill_count: 0
    .symbol:         _ZN7rocprim17ROCPRIM_400000_NS6detail17trampoline_kernelINS0_14default_configENS1_25partition_config_selectorILNS1_17partition_subalgoE0ExNS0_10empty_typeEbEEZZNS1_14partition_implILS5_0ELb0ES3_jN6thrust23THRUST_200600_302600_NS6detail15normal_iteratorINSA_10device_ptrIxEEEEPS6_SG_NS0_5tupleIJNSA_16discard_iteratorINSA_11use_defaultEEESF_EEENSH_IJSG_SG_EEES6_PlJ7is_evenIxEEEE10hipError_tPvRmT3_T4_T5_T6_T7_T9_mT8_P12ihipStream_tbDpT10_ENKUlT_T0_E_clISt17integral_constantIbLb1EES19_EEDaS14_S15_EUlS14_E_NS1_11comp_targetILNS1_3genE10ELNS1_11target_archE1200ELNS1_3gpuE4ELNS1_3repE0EEENS1_30default_config_static_selectorELNS0_4arch9wavefront6targetE1EEEvT1_.kd
    .uniform_work_group_size: 1
    .uses_dynamic_stack: false
    .vgpr_count:     0
    .vgpr_spill_count: 0
    .wavefront_size: 64
  - .agpr_count:     0
    .args:
      - .offset:         0
        .size:           144
        .value_kind:     by_value
    .group_segment_fixed_size: 0
    .kernarg_segment_align: 8
    .kernarg_segment_size: 144
    .language:       OpenCL C
    .language_version:
      - 2
      - 0
    .max_flat_workgroup_size: 512
    .name:           _ZN7rocprim17ROCPRIM_400000_NS6detail17trampoline_kernelINS0_14default_configENS1_25partition_config_selectorILNS1_17partition_subalgoE0ExNS0_10empty_typeEbEEZZNS1_14partition_implILS5_0ELb0ES3_jN6thrust23THRUST_200600_302600_NS6detail15normal_iteratorINSA_10device_ptrIxEEEEPS6_SG_NS0_5tupleIJNSA_16discard_iteratorINSA_11use_defaultEEESF_EEENSH_IJSG_SG_EEES6_PlJ7is_evenIxEEEE10hipError_tPvRmT3_T4_T5_T6_T7_T9_mT8_P12ihipStream_tbDpT10_ENKUlT_T0_E_clISt17integral_constantIbLb1EES19_EEDaS14_S15_EUlS14_E_NS1_11comp_targetILNS1_3genE9ELNS1_11target_archE1100ELNS1_3gpuE3ELNS1_3repE0EEENS1_30default_config_static_selectorELNS0_4arch9wavefront6targetE1EEEvT1_
    .private_segment_fixed_size: 0
    .sgpr_count:     4
    .sgpr_spill_count: 0
    .symbol:         _ZN7rocprim17ROCPRIM_400000_NS6detail17trampoline_kernelINS0_14default_configENS1_25partition_config_selectorILNS1_17partition_subalgoE0ExNS0_10empty_typeEbEEZZNS1_14partition_implILS5_0ELb0ES3_jN6thrust23THRUST_200600_302600_NS6detail15normal_iteratorINSA_10device_ptrIxEEEEPS6_SG_NS0_5tupleIJNSA_16discard_iteratorINSA_11use_defaultEEESF_EEENSH_IJSG_SG_EEES6_PlJ7is_evenIxEEEE10hipError_tPvRmT3_T4_T5_T6_T7_T9_mT8_P12ihipStream_tbDpT10_ENKUlT_T0_E_clISt17integral_constantIbLb1EES19_EEDaS14_S15_EUlS14_E_NS1_11comp_targetILNS1_3genE9ELNS1_11target_archE1100ELNS1_3gpuE3ELNS1_3repE0EEENS1_30default_config_static_selectorELNS0_4arch9wavefront6targetE1EEEvT1_.kd
    .uniform_work_group_size: 1
    .uses_dynamic_stack: false
    .vgpr_count:     0
    .vgpr_spill_count: 0
    .wavefront_size: 64
  - .agpr_count:     0
    .args:
      - .offset:         0
        .size:           144
        .value_kind:     by_value
    .group_segment_fixed_size: 0
    .kernarg_segment_align: 8
    .kernarg_segment_size: 144
    .language:       OpenCL C
    .language_version:
      - 2
      - 0
    .max_flat_workgroup_size: 512
    .name:           _ZN7rocprim17ROCPRIM_400000_NS6detail17trampoline_kernelINS0_14default_configENS1_25partition_config_selectorILNS1_17partition_subalgoE0ExNS0_10empty_typeEbEEZZNS1_14partition_implILS5_0ELb0ES3_jN6thrust23THRUST_200600_302600_NS6detail15normal_iteratorINSA_10device_ptrIxEEEEPS6_SG_NS0_5tupleIJNSA_16discard_iteratorINSA_11use_defaultEEESF_EEENSH_IJSG_SG_EEES6_PlJ7is_evenIxEEEE10hipError_tPvRmT3_T4_T5_T6_T7_T9_mT8_P12ihipStream_tbDpT10_ENKUlT_T0_E_clISt17integral_constantIbLb1EES19_EEDaS14_S15_EUlS14_E_NS1_11comp_targetILNS1_3genE8ELNS1_11target_archE1030ELNS1_3gpuE2ELNS1_3repE0EEENS1_30default_config_static_selectorELNS0_4arch9wavefront6targetE1EEEvT1_
    .private_segment_fixed_size: 0
    .sgpr_count:     4
    .sgpr_spill_count: 0
    .symbol:         _ZN7rocprim17ROCPRIM_400000_NS6detail17trampoline_kernelINS0_14default_configENS1_25partition_config_selectorILNS1_17partition_subalgoE0ExNS0_10empty_typeEbEEZZNS1_14partition_implILS5_0ELb0ES3_jN6thrust23THRUST_200600_302600_NS6detail15normal_iteratorINSA_10device_ptrIxEEEEPS6_SG_NS0_5tupleIJNSA_16discard_iteratorINSA_11use_defaultEEESF_EEENSH_IJSG_SG_EEES6_PlJ7is_evenIxEEEE10hipError_tPvRmT3_T4_T5_T6_T7_T9_mT8_P12ihipStream_tbDpT10_ENKUlT_T0_E_clISt17integral_constantIbLb1EES19_EEDaS14_S15_EUlS14_E_NS1_11comp_targetILNS1_3genE8ELNS1_11target_archE1030ELNS1_3gpuE2ELNS1_3repE0EEENS1_30default_config_static_selectorELNS0_4arch9wavefront6targetE1EEEvT1_.kd
    .uniform_work_group_size: 1
    .uses_dynamic_stack: false
    .vgpr_count:     0
    .vgpr_spill_count: 0
    .wavefront_size: 64
  - .agpr_count:     0
    .args:
      - .offset:         0
        .size:           128
        .value_kind:     by_value
    .group_segment_fixed_size: 0
    .kernarg_segment_align: 8
    .kernarg_segment_size: 128
    .language:       OpenCL C
    .language_version:
      - 2
      - 0
    .max_flat_workgroup_size: 128
    .name:           _ZN7rocprim17ROCPRIM_400000_NS6detail17trampoline_kernelINS0_14default_configENS1_25partition_config_selectorILNS1_17partition_subalgoE0ExNS0_10empty_typeEbEEZZNS1_14partition_implILS5_0ELb0ES3_jN6thrust23THRUST_200600_302600_NS6detail15normal_iteratorINSA_10device_ptrIxEEEEPS6_SG_NS0_5tupleIJNSA_16discard_iteratorINSA_11use_defaultEEESF_EEENSH_IJSG_SG_EEES6_PlJ7is_evenIxEEEE10hipError_tPvRmT3_T4_T5_T6_T7_T9_mT8_P12ihipStream_tbDpT10_ENKUlT_T0_E_clISt17integral_constantIbLb1EES18_IbLb0EEEEDaS14_S15_EUlS14_E_NS1_11comp_targetILNS1_3genE0ELNS1_11target_archE4294967295ELNS1_3gpuE0ELNS1_3repE0EEENS1_30default_config_static_selectorELNS0_4arch9wavefront6targetE1EEEvT1_
    .private_segment_fixed_size: 0
    .sgpr_count:     4
    .sgpr_spill_count: 0
    .symbol:         _ZN7rocprim17ROCPRIM_400000_NS6detail17trampoline_kernelINS0_14default_configENS1_25partition_config_selectorILNS1_17partition_subalgoE0ExNS0_10empty_typeEbEEZZNS1_14partition_implILS5_0ELb0ES3_jN6thrust23THRUST_200600_302600_NS6detail15normal_iteratorINSA_10device_ptrIxEEEEPS6_SG_NS0_5tupleIJNSA_16discard_iteratorINSA_11use_defaultEEESF_EEENSH_IJSG_SG_EEES6_PlJ7is_evenIxEEEE10hipError_tPvRmT3_T4_T5_T6_T7_T9_mT8_P12ihipStream_tbDpT10_ENKUlT_T0_E_clISt17integral_constantIbLb1EES18_IbLb0EEEEDaS14_S15_EUlS14_E_NS1_11comp_targetILNS1_3genE0ELNS1_11target_archE4294967295ELNS1_3gpuE0ELNS1_3repE0EEENS1_30default_config_static_selectorELNS0_4arch9wavefront6targetE1EEEvT1_.kd
    .uniform_work_group_size: 1
    .uses_dynamic_stack: false
    .vgpr_count:     0
    .vgpr_spill_count: 0
    .wavefront_size: 64
  - .agpr_count:     0
    .args:
      - .offset:         0
        .size:           128
        .value_kind:     by_value
    .group_segment_fixed_size: 0
    .kernarg_segment_align: 8
    .kernarg_segment_size: 128
    .language:       OpenCL C
    .language_version:
      - 2
      - 0
    .max_flat_workgroup_size: 512
    .name:           _ZN7rocprim17ROCPRIM_400000_NS6detail17trampoline_kernelINS0_14default_configENS1_25partition_config_selectorILNS1_17partition_subalgoE0ExNS0_10empty_typeEbEEZZNS1_14partition_implILS5_0ELb0ES3_jN6thrust23THRUST_200600_302600_NS6detail15normal_iteratorINSA_10device_ptrIxEEEEPS6_SG_NS0_5tupleIJNSA_16discard_iteratorINSA_11use_defaultEEESF_EEENSH_IJSG_SG_EEES6_PlJ7is_evenIxEEEE10hipError_tPvRmT3_T4_T5_T6_T7_T9_mT8_P12ihipStream_tbDpT10_ENKUlT_T0_E_clISt17integral_constantIbLb1EES18_IbLb0EEEEDaS14_S15_EUlS14_E_NS1_11comp_targetILNS1_3genE5ELNS1_11target_archE942ELNS1_3gpuE9ELNS1_3repE0EEENS1_30default_config_static_selectorELNS0_4arch9wavefront6targetE1EEEvT1_
    .private_segment_fixed_size: 0
    .sgpr_count:     4
    .sgpr_spill_count: 0
    .symbol:         _ZN7rocprim17ROCPRIM_400000_NS6detail17trampoline_kernelINS0_14default_configENS1_25partition_config_selectorILNS1_17partition_subalgoE0ExNS0_10empty_typeEbEEZZNS1_14partition_implILS5_0ELb0ES3_jN6thrust23THRUST_200600_302600_NS6detail15normal_iteratorINSA_10device_ptrIxEEEEPS6_SG_NS0_5tupleIJNSA_16discard_iteratorINSA_11use_defaultEEESF_EEENSH_IJSG_SG_EEES6_PlJ7is_evenIxEEEE10hipError_tPvRmT3_T4_T5_T6_T7_T9_mT8_P12ihipStream_tbDpT10_ENKUlT_T0_E_clISt17integral_constantIbLb1EES18_IbLb0EEEEDaS14_S15_EUlS14_E_NS1_11comp_targetILNS1_3genE5ELNS1_11target_archE942ELNS1_3gpuE9ELNS1_3repE0EEENS1_30default_config_static_selectorELNS0_4arch9wavefront6targetE1EEEvT1_.kd
    .uniform_work_group_size: 1
    .uses_dynamic_stack: false
    .vgpr_count:     0
    .vgpr_spill_count: 0
    .wavefront_size: 64
  - .agpr_count:     0
    .args:
      - .offset:         0
        .size:           128
        .value_kind:     by_value
    .group_segment_fixed_size: 6344
    .kernarg_segment_align: 8
    .kernarg_segment_size: 128
    .language:       OpenCL C
    .language_version:
      - 2
      - 0
    .max_flat_workgroup_size: 192
    .name:           _ZN7rocprim17ROCPRIM_400000_NS6detail17trampoline_kernelINS0_14default_configENS1_25partition_config_selectorILNS1_17partition_subalgoE0ExNS0_10empty_typeEbEEZZNS1_14partition_implILS5_0ELb0ES3_jN6thrust23THRUST_200600_302600_NS6detail15normal_iteratorINSA_10device_ptrIxEEEEPS6_SG_NS0_5tupleIJNSA_16discard_iteratorINSA_11use_defaultEEESF_EEENSH_IJSG_SG_EEES6_PlJ7is_evenIxEEEE10hipError_tPvRmT3_T4_T5_T6_T7_T9_mT8_P12ihipStream_tbDpT10_ENKUlT_T0_E_clISt17integral_constantIbLb1EES18_IbLb0EEEEDaS14_S15_EUlS14_E_NS1_11comp_targetILNS1_3genE4ELNS1_11target_archE910ELNS1_3gpuE8ELNS1_3repE0EEENS1_30default_config_static_selectorELNS0_4arch9wavefront6targetE1EEEvT1_
    .private_segment_fixed_size: 0
    .sgpr_count:     48
    .sgpr_spill_count: 0
    .symbol:         _ZN7rocprim17ROCPRIM_400000_NS6detail17trampoline_kernelINS0_14default_configENS1_25partition_config_selectorILNS1_17partition_subalgoE0ExNS0_10empty_typeEbEEZZNS1_14partition_implILS5_0ELb0ES3_jN6thrust23THRUST_200600_302600_NS6detail15normal_iteratorINSA_10device_ptrIxEEEEPS6_SG_NS0_5tupleIJNSA_16discard_iteratorINSA_11use_defaultEEESF_EEENSH_IJSG_SG_EEES6_PlJ7is_evenIxEEEE10hipError_tPvRmT3_T4_T5_T6_T7_T9_mT8_P12ihipStream_tbDpT10_ENKUlT_T0_E_clISt17integral_constantIbLb1EES18_IbLb0EEEEDaS14_S15_EUlS14_E_NS1_11comp_targetILNS1_3genE4ELNS1_11target_archE910ELNS1_3gpuE8ELNS1_3repE0EEENS1_30default_config_static_selectorELNS0_4arch9wavefront6targetE1EEEvT1_.kd
    .uniform_work_group_size: 1
    .uses_dynamic_stack: false
    .vgpr_count:     43
    .vgpr_spill_count: 0
    .wavefront_size: 64
  - .agpr_count:     0
    .args:
      - .offset:         0
        .size:           128
        .value_kind:     by_value
    .group_segment_fixed_size: 0
    .kernarg_segment_align: 8
    .kernarg_segment_size: 128
    .language:       OpenCL C
    .language_version:
      - 2
      - 0
    .max_flat_workgroup_size: 128
    .name:           _ZN7rocprim17ROCPRIM_400000_NS6detail17trampoline_kernelINS0_14default_configENS1_25partition_config_selectorILNS1_17partition_subalgoE0ExNS0_10empty_typeEbEEZZNS1_14partition_implILS5_0ELb0ES3_jN6thrust23THRUST_200600_302600_NS6detail15normal_iteratorINSA_10device_ptrIxEEEEPS6_SG_NS0_5tupleIJNSA_16discard_iteratorINSA_11use_defaultEEESF_EEENSH_IJSG_SG_EEES6_PlJ7is_evenIxEEEE10hipError_tPvRmT3_T4_T5_T6_T7_T9_mT8_P12ihipStream_tbDpT10_ENKUlT_T0_E_clISt17integral_constantIbLb1EES18_IbLb0EEEEDaS14_S15_EUlS14_E_NS1_11comp_targetILNS1_3genE3ELNS1_11target_archE908ELNS1_3gpuE7ELNS1_3repE0EEENS1_30default_config_static_selectorELNS0_4arch9wavefront6targetE1EEEvT1_
    .private_segment_fixed_size: 0
    .sgpr_count:     4
    .sgpr_spill_count: 0
    .symbol:         _ZN7rocprim17ROCPRIM_400000_NS6detail17trampoline_kernelINS0_14default_configENS1_25partition_config_selectorILNS1_17partition_subalgoE0ExNS0_10empty_typeEbEEZZNS1_14partition_implILS5_0ELb0ES3_jN6thrust23THRUST_200600_302600_NS6detail15normal_iteratorINSA_10device_ptrIxEEEEPS6_SG_NS0_5tupleIJNSA_16discard_iteratorINSA_11use_defaultEEESF_EEENSH_IJSG_SG_EEES6_PlJ7is_evenIxEEEE10hipError_tPvRmT3_T4_T5_T6_T7_T9_mT8_P12ihipStream_tbDpT10_ENKUlT_T0_E_clISt17integral_constantIbLb1EES18_IbLb0EEEEDaS14_S15_EUlS14_E_NS1_11comp_targetILNS1_3genE3ELNS1_11target_archE908ELNS1_3gpuE7ELNS1_3repE0EEENS1_30default_config_static_selectorELNS0_4arch9wavefront6targetE1EEEvT1_.kd
    .uniform_work_group_size: 1
    .uses_dynamic_stack: false
    .vgpr_count:     0
    .vgpr_spill_count: 0
    .wavefront_size: 64
  - .agpr_count:     0
    .args:
      - .offset:         0
        .size:           128
        .value_kind:     by_value
    .group_segment_fixed_size: 0
    .kernarg_segment_align: 8
    .kernarg_segment_size: 128
    .language:       OpenCL C
    .language_version:
      - 2
      - 0
    .max_flat_workgroup_size: 256
    .name:           _ZN7rocprim17ROCPRIM_400000_NS6detail17trampoline_kernelINS0_14default_configENS1_25partition_config_selectorILNS1_17partition_subalgoE0ExNS0_10empty_typeEbEEZZNS1_14partition_implILS5_0ELb0ES3_jN6thrust23THRUST_200600_302600_NS6detail15normal_iteratorINSA_10device_ptrIxEEEEPS6_SG_NS0_5tupleIJNSA_16discard_iteratorINSA_11use_defaultEEESF_EEENSH_IJSG_SG_EEES6_PlJ7is_evenIxEEEE10hipError_tPvRmT3_T4_T5_T6_T7_T9_mT8_P12ihipStream_tbDpT10_ENKUlT_T0_E_clISt17integral_constantIbLb1EES18_IbLb0EEEEDaS14_S15_EUlS14_E_NS1_11comp_targetILNS1_3genE2ELNS1_11target_archE906ELNS1_3gpuE6ELNS1_3repE0EEENS1_30default_config_static_selectorELNS0_4arch9wavefront6targetE1EEEvT1_
    .private_segment_fixed_size: 0
    .sgpr_count:     4
    .sgpr_spill_count: 0
    .symbol:         _ZN7rocprim17ROCPRIM_400000_NS6detail17trampoline_kernelINS0_14default_configENS1_25partition_config_selectorILNS1_17partition_subalgoE0ExNS0_10empty_typeEbEEZZNS1_14partition_implILS5_0ELb0ES3_jN6thrust23THRUST_200600_302600_NS6detail15normal_iteratorINSA_10device_ptrIxEEEEPS6_SG_NS0_5tupleIJNSA_16discard_iteratorINSA_11use_defaultEEESF_EEENSH_IJSG_SG_EEES6_PlJ7is_evenIxEEEE10hipError_tPvRmT3_T4_T5_T6_T7_T9_mT8_P12ihipStream_tbDpT10_ENKUlT_T0_E_clISt17integral_constantIbLb1EES18_IbLb0EEEEDaS14_S15_EUlS14_E_NS1_11comp_targetILNS1_3genE2ELNS1_11target_archE906ELNS1_3gpuE6ELNS1_3repE0EEENS1_30default_config_static_selectorELNS0_4arch9wavefront6targetE1EEEvT1_.kd
    .uniform_work_group_size: 1
    .uses_dynamic_stack: false
    .vgpr_count:     0
    .vgpr_spill_count: 0
    .wavefront_size: 64
  - .agpr_count:     0
    .args:
      - .offset:         0
        .size:           128
        .value_kind:     by_value
    .group_segment_fixed_size: 0
    .kernarg_segment_align: 8
    .kernarg_segment_size: 128
    .language:       OpenCL C
    .language_version:
      - 2
      - 0
    .max_flat_workgroup_size: 512
    .name:           _ZN7rocprim17ROCPRIM_400000_NS6detail17trampoline_kernelINS0_14default_configENS1_25partition_config_selectorILNS1_17partition_subalgoE0ExNS0_10empty_typeEbEEZZNS1_14partition_implILS5_0ELb0ES3_jN6thrust23THRUST_200600_302600_NS6detail15normal_iteratorINSA_10device_ptrIxEEEEPS6_SG_NS0_5tupleIJNSA_16discard_iteratorINSA_11use_defaultEEESF_EEENSH_IJSG_SG_EEES6_PlJ7is_evenIxEEEE10hipError_tPvRmT3_T4_T5_T6_T7_T9_mT8_P12ihipStream_tbDpT10_ENKUlT_T0_E_clISt17integral_constantIbLb1EES18_IbLb0EEEEDaS14_S15_EUlS14_E_NS1_11comp_targetILNS1_3genE10ELNS1_11target_archE1200ELNS1_3gpuE4ELNS1_3repE0EEENS1_30default_config_static_selectorELNS0_4arch9wavefront6targetE1EEEvT1_
    .private_segment_fixed_size: 0
    .sgpr_count:     4
    .sgpr_spill_count: 0
    .symbol:         _ZN7rocprim17ROCPRIM_400000_NS6detail17trampoline_kernelINS0_14default_configENS1_25partition_config_selectorILNS1_17partition_subalgoE0ExNS0_10empty_typeEbEEZZNS1_14partition_implILS5_0ELb0ES3_jN6thrust23THRUST_200600_302600_NS6detail15normal_iteratorINSA_10device_ptrIxEEEEPS6_SG_NS0_5tupleIJNSA_16discard_iteratorINSA_11use_defaultEEESF_EEENSH_IJSG_SG_EEES6_PlJ7is_evenIxEEEE10hipError_tPvRmT3_T4_T5_T6_T7_T9_mT8_P12ihipStream_tbDpT10_ENKUlT_T0_E_clISt17integral_constantIbLb1EES18_IbLb0EEEEDaS14_S15_EUlS14_E_NS1_11comp_targetILNS1_3genE10ELNS1_11target_archE1200ELNS1_3gpuE4ELNS1_3repE0EEENS1_30default_config_static_selectorELNS0_4arch9wavefront6targetE1EEEvT1_.kd
    .uniform_work_group_size: 1
    .uses_dynamic_stack: false
    .vgpr_count:     0
    .vgpr_spill_count: 0
    .wavefront_size: 64
  - .agpr_count:     0
    .args:
      - .offset:         0
        .size:           128
        .value_kind:     by_value
    .group_segment_fixed_size: 0
    .kernarg_segment_align: 8
    .kernarg_segment_size: 128
    .language:       OpenCL C
    .language_version:
      - 2
      - 0
    .max_flat_workgroup_size: 512
    .name:           _ZN7rocprim17ROCPRIM_400000_NS6detail17trampoline_kernelINS0_14default_configENS1_25partition_config_selectorILNS1_17partition_subalgoE0ExNS0_10empty_typeEbEEZZNS1_14partition_implILS5_0ELb0ES3_jN6thrust23THRUST_200600_302600_NS6detail15normal_iteratorINSA_10device_ptrIxEEEEPS6_SG_NS0_5tupleIJNSA_16discard_iteratorINSA_11use_defaultEEESF_EEENSH_IJSG_SG_EEES6_PlJ7is_evenIxEEEE10hipError_tPvRmT3_T4_T5_T6_T7_T9_mT8_P12ihipStream_tbDpT10_ENKUlT_T0_E_clISt17integral_constantIbLb1EES18_IbLb0EEEEDaS14_S15_EUlS14_E_NS1_11comp_targetILNS1_3genE9ELNS1_11target_archE1100ELNS1_3gpuE3ELNS1_3repE0EEENS1_30default_config_static_selectorELNS0_4arch9wavefront6targetE1EEEvT1_
    .private_segment_fixed_size: 0
    .sgpr_count:     4
    .sgpr_spill_count: 0
    .symbol:         _ZN7rocprim17ROCPRIM_400000_NS6detail17trampoline_kernelINS0_14default_configENS1_25partition_config_selectorILNS1_17partition_subalgoE0ExNS0_10empty_typeEbEEZZNS1_14partition_implILS5_0ELb0ES3_jN6thrust23THRUST_200600_302600_NS6detail15normal_iteratorINSA_10device_ptrIxEEEEPS6_SG_NS0_5tupleIJNSA_16discard_iteratorINSA_11use_defaultEEESF_EEENSH_IJSG_SG_EEES6_PlJ7is_evenIxEEEE10hipError_tPvRmT3_T4_T5_T6_T7_T9_mT8_P12ihipStream_tbDpT10_ENKUlT_T0_E_clISt17integral_constantIbLb1EES18_IbLb0EEEEDaS14_S15_EUlS14_E_NS1_11comp_targetILNS1_3genE9ELNS1_11target_archE1100ELNS1_3gpuE3ELNS1_3repE0EEENS1_30default_config_static_selectorELNS0_4arch9wavefront6targetE1EEEvT1_.kd
    .uniform_work_group_size: 1
    .uses_dynamic_stack: false
    .vgpr_count:     0
    .vgpr_spill_count: 0
    .wavefront_size: 64
  - .agpr_count:     0
    .args:
      - .offset:         0
        .size:           128
        .value_kind:     by_value
    .group_segment_fixed_size: 0
    .kernarg_segment_align: 8
    .kernarg_segment_size: 128
    .language:       OpenCL C
    .language_version:
      - 2
      - 0
    .max_flat_workgroup_size: 512
    .name:           _ZN7rocprim17ROCPRIM_400000_NS6detail17trampoline_kernelINS0_14default_configENS1_25partition_config_selectorILNS1_17partition_subalgoE0ExNS0_10empty_typeEbEEZZNS1_14partition_implILS5_0ELb0ES3_jN6thrust23THRUST_200600_302600_NS6detail15normal_iteratorINSA_10device_ptrIxEEEEPS6_SG_NS0_5tupleIJNSA_16discard_iteratorINSA_11use_defaultEEESF_EEENSH_IJSG_SG_EEES6_PlJ7is_evenIxEEEE10hipError_tPvRmT3_T4_T5_T6_T7_T9_mT8_P12ihipStream_tbDpT10_ENKUlT_T0_E_clISt17integral_constantIbLb1EES18_IbLb0EEEEDaS14_S15_EUlS14_E_NS1_11comp_targetILNS1_3genE8ELNS1_11target_archE1030ELNS1_3gpuE2ELNS1_3repE0EEENS1_30default_config_static_selectorELNS0_4arch9wavefront6targetE1EEEvT1_
    .private_segment_fixed_size: 0
    .sgpr_count:     4
    .sgpr_spill_count: 0
    .symbol:         _ZN7rocprim17ROCPRIM_400000_NS6detail17trampoline_kernelINS0_14default_configENS1_25partition_config_selectorILNS1_17partition_subalgoE0ExNS0_10empty_typeEbEEZZNS1_14partition_implILS5_0ELb0ES3_jN6thrust23THRUST_200600_302600_NS6detail15normal_iteratorINSA_10device_ptrIxEEEEPS6_SG_NS0_5tupleIJNSA_16discard_iteratorINSA_11use_defaultEEESF_EEENSH_IJSG_SG_EEES6_PlJ7is_evenIxEEEE10hipError_tPvRmT3_T4_T5_T6_T7_T9_mT8_P12ihipStream_tbDpT10_ENKUlT_T0_E_clISt17integral_constantIbLb1EES18_IbLb0EEEEDaS14_S15_EUlS14_E_NS1_11comp_targetILNS1_3genE8ELNS1_11target_archE1030ELNS1_3gpuE2ELNS1_3repE0EEENS1_30default_config_static_selectorELNS0_4arch9wavefront6targetE1EEEvT1_.kd
    .uniform_work_group_size: 1
    .uses_dynamic_stack: false
    .vgpr_count:     0
    .vgpr_spill_count: 0
    .wavefront_size: 64
  - .agpr_count:     0
    .args:
      - .offset:         0
        .size:           144
        .value_kind:     by_value
    .group_segment_fixed_size: 0
    .kernarg_segment_align: 8
    .kernarg_segment_size: 144
    .language:       OpenCL C
    .language_version:
      - 2
      - 0
    .max_flat_workgroup_size: 128
    .name:           _ZN7rocprim17ROCPRIM_400000_NS6detail17trampoline_kernelINS0_14default_configENS1_25partition_config_selectorILNS1_17partition_subalgoE0ExNS0_10empty_typeEbEEZZNS1_14partition_implILS5_0ELb0ES3_jN6thrust23THRUST_200600_302600_NS6detail15normal_iteratorINSA_10device_ptrIxEEEEPS6_SG_NS0_5tupleIJNSA_16discard_iteratorINSA_11use_defaultEEESF_EEENSH_IJSG_SG_EEES6_PlJ7is_evenIxEEEE10hipError_tPvRmT3_T4_T5_T6_T7_T9_mT8_P12ihipStream_tbDpT10_ENKUlT_T0_E_clISt17integral_constantIbLb0EES18_IbLb1EEEEDaS14_S15_EUlS14_E_NS1_11comp_targetILNS1_3genE0ELNS1_11target_archE4294967295ELNS1_3gpuE0ELNS1_3repE0EEENS1_30default_config_static_selectorELNS0_4arch9wavefront6targetE1EEEvT1_
    .private_segment_fixed_size: 0
    .sgpr_count:     4
    .sgpr_spill_count: 0
    .symbol:         _ZN7rocprim17ROCPRIM_400000_NS6detail17trampoline_kernelINS0_14default_configENS1_25partition_config_selectorILNS1_17partition_subalgoE0ExNS0_10empty_typeEbEEZZNS1_14partition_implILS5_0ELb0ES3_jN6thrust23THRUST_200600_302600_NS6detail15normal_iteratorINSA_10device_ptrIxEEEEPS6_SG_NS0_5tupleIJNSA_16discard_iteratorINSA_11use_defaultEEESF_EEENSH_IJSG_SG_EEES6_PlJ7is_evenIxEEEE10hipError_tPvRmT3_T4_T5_T6_T7_T9_mT8_P12ihipStream_tbDpT10_ENKUlT_T0_E_clISt17integral_constantIbLb0EES18_IbLb1EEEEDaS14_S15_EUlS14_E_NS1_11comp_targetILNS1_3genE0ELNS1_11target_archE4294967295ELNS1_3gpuE0ELNS1_3repE0EEENS1_30default_config_static_selectorELNS0_4arch9wavefront6targetE1EEEvT1_.kd
    .uniform_work_group_size: 1
    .uses_dynamic_stack: false
    .vgpr_count:     0
    .vgpr_spill_count: 0
    .wavefront_size: 64
  - .agpr_count:     0
    .args:
      - .offset:         0
        .size:           144
        .value_kind:     by_value
    .group_segment_fixed_size: 0
    .kernarg_segment_align: 8
    .kernarg_segment_size: 144
    .language:       OpenCL C
    .language_version:
      - 2
      - 0
    .max_flat_workgroup_size: 512
    .name:           _ZN7rocprim17ROCPRIM_400000_NS6detail17trampoline_kernelINS0_14default_configENS1_25partition_config_selectorILNS1_17partition_subalgoE0ExNS0_10empty_typeEbEEZZNS1_14partition_implILS5_0ELb0ES3_jN6thrust23THRUST_200600_302600_NS6detail15normal_iteratorINSA_10device_ptrIxEEEEPS6_SG_NS0_5tupleIJNSA_16discard_iteratorINSA_11use_defaultEEESF_EEENSH_IJSG_SG_EEES6_PlJ7is_evenIxEEEE10hipError_tPvRmT3_T4_T5_T6_T7_T9_mT8_P12ihipStream_tbDpT10_ENKUlT_T0_E_clISt17integral_constantIbLb0EES18_IbLb1EEEEDaS14_S15_EUlS14_E_NS1_11comp_targetILNS1_3genE5ELNS1_11target_archE942ELNS1_3gpuE9ELNS1_3repE0EEENS1_30default_config_static_selectorELNS0_4arch9wavefront6targetE1EEEvT1_
    .private_segment_fixed_size: 0
    .sgpr_count:     4
    .sgpr_spill_count: 0
    .symbol:         _ZN7rocprim17ROCPRIM_400000_NS6detail17trampoline_kernelINS0_14default_configENS1_25partition_config_selectorILNS1_17partition_subalgoE0ExNS0_10empty_typeEbEEZZNS1_14partition_implILS5_0ELb0ES3_jN6thrust23THRUST_200600_302600_NS6detail15normal_iteratorINSA_10device_ptrIxEEEEPS6_SG_NS0_5tupleIJNSA_16discard_iteratorINSA_11use_defaultEEESF_EEENSH_IJSG_SG_EEES6_PlJ7is_evenIxEEEE10hipError_tPvRmT3_T4_T5_T6_T7_T9_mT8_P12ihipStream_tbDpT10_ENKUlT_T0_E_clISt17integral_constantIbLb0EES18_IbLb1EEEEDaS14_S15_EUlS14_E_NS1_11comp_targetILNS1_3genE5ELNS1_11target_archE942ELNS1_3gpuE9ELNS1_3repE0EEENS1_30default_config_static_selectorELNS0_4arch9wavefront6targetE1EEEvT1_.kd
    .uniform_work_group_size: 1
    .uses_dynamic_stack: false
    .vgpr_count:     0
    .vgpr_spill_count: 0
    .wavefront_size: 64
  - .agpr_count:     0
    .args:
      - .offset:         0
        .size:           144
        .value_kind:     by_value
    .group_segment_fixed_size: 6344
    .kernarg_segment_align: 8
    .kernarg_segment_size: 144
    .language:       OpenCL C
    .language_version:
      - 2
      - 0
    .max_flat_workgroup_size: 192
    .name:           _ZN7rocprim17ROCPRIM_400000_NS6detail17trampoline_kernelINS0_14default_configENS1_25partition_config_selectorILNS1_17partition_subalgoE0ExNS0_10empty_typeEbEEZZNS1_14partition_implILS5_0ELb0ES3_jN6thrust23THRUST_200600_302600_NS6detail15normal_iteratorINSA_10device_ptrIxEEEEPS6_SG_NS0_5tupleIJNSA_16discard_iteratorINSA_11use_defaultEEESF_EEENSH_IJSG_SG_EEES6_PlJ7is_evenIxEEEE10hipError_tPvRmT3_T4_T5_T6_T7_T9_mT8_P12ihipStream_tbDpT10_ENKUlT_T0_E_clISt17integral_constantIbLb0EES18_IbLb1EEEEDaS14_S15_EUlS14_E_NS1_11comp_targetILNS1_3genE4ELNS1_11target_archE910ELNS1_3gpuE8ELNS1_3repE0EEENS1_30default_config_static_selectorELNS0_4arch9wavefront6targetE1EEEvT1_
    .private_segment_fixed_size: 0
    .sgpr_count:     46
    .sgpr_spill_count: 0
    .symbol:         _ZN7rocprim17ROCPRIM_400000_NS6detail17trampoline_kernelINS0_14default_configENS1_25partition_config_selectorILNS1_17partition_subalgoE0ExNS0_10empty_typeEbEEZZNS1_14partition_implILS5_0ELb0ES3_jN6thrust23THRUST_200600_302600_NS6detail15normal_iteratorINSA_10device_ptrIxEEEEPS6_SG_NS0_5tupleIJNSA_16discard_iteratorINSA_11use_defaultEEESF_EEENSH_IJSG_SG_EEES6_PlJ7is_evenIxEEEE10hipError_tPvRmT3_T4_T5_T6_T7_T9_mT8_P12ihipStream_tbDpT10_ENKUlT_T0_E_clISt17integral_constantIbLb0EES18_IbLb1EEEEDaS14_S15_EUlS14_E_NS1_11comp_targetILNS1_3genE4ELNS1_11target_archE910ELNS1_3gpuE8ELNS1_3repE0EEENS1_30default_config_static_selectorELNS0_4arch9wavefront6targetE1EEEvT1_.kd
    .uniform_work_group_size: 1
    .uses_dynamic_stack: false
    .vgpr_count:     47
    .vgpr_spill_count: 0
    .wavefront_size: 64
  - .agpr_count:     0
    .args:
      - .offset:         0
        .size:           144
        .value_kind:     by_value
    .group_segment_fixed_size: 0
    .kernarg_segment_align: 8
    .kernarg_segment_size: 144
    .language:       OpenCL C
    .language_version:
      - 2
      - 0
    .max_flat_workgroup_size: 128
    .name:           _ZN7rocprim17ROCPRIM_400000_NS6detail17trampoline_kernelINS0_14default_configENS1_25partition_config_selectorILNS1_17partition_subalgoE0ExNS0_10empty_typeEbEEZZNS1_14partition_implILS5_0ELb0ES3_jN6thrust23THRUST_200600_302600_NS6detail15normal_iteratorINSA_10device_ptrIxEEEEPS6_SG_NS0_5tupleIJNSA_16discard_iteratorINSA_11use_defaultEEESF_EEENSH_IJSG_SG_EEES6_PlJ7is_evenIxEEEE10hipError_tPvRmT3_T4_T5_T6_T7_T9_mT8_P12ihipStream_tbDpT10_ENKUlT_T0_E_clISt17integral_constantIbLb0EES18_IbLb1EEEEDaS14_S15_EUlS14_E_NS1_11comp_targetILNS1_3genE3ELNS1_11target_archE908ELNS1_3gpuE7ELNS1_3repE0EEENS1_30default_config_static_selectorELNS0_4arch9wavefront6targetE1EEEvT1_
    .private_segment_fixed_size: 0
    .sgpr_count:     4
    .sgpr_spill_count: 0
    .symbol:         _ZN7rocprim17ROCPRIM_400000_NS6detail17trampoline_kernelINS0_14default_configENS1_25partition_config_selectorILNS1_17partition_subalgoE0ExNS0_10empty_typeEbEEZZNS1_14partition_implILS5_0ELb0ES3_jN6thrust23THRUST_200600_302600_NS6detail15normal_iteratorINSA_10device_ptrIxEEEEPS6_SG_NS0_5tupleIJNSA_16discard_iteratorINSA_11use_defaultEEESF_EEENSH_IJSG_SG_EEES6_PlJ7is_evenIxEEEE10hipError_tPvRmT3_T4_T5_T6_T7_T9_mT8_P12ihipStream_tbDpT10_ENKUlT_T0_E_clISt17integral_constantIbLb0EES18_IbLb1EEEEDaS14_S15_EUlS14_E_NS1_11comp_targetILNS1_3genE3ELNS1_11target_archE908ELNS1_3gpuE7ELNS1_3repE0EEENS1_30default_config_static_selectorELNS0_4arch9wavefront6targetE1EEEvT1_.kd
    .uniform_work_group_size: 1
    .uses_dynamic_stack: false
    .vgpr_count:     0
    .vgpr_spill_count: 0
    .wavefront_size: 64
  - .agpr_count:     0
    .args:
      - .offset:         0
        .size:           144
        .value_kind:     by_value
    .group_segment_fixed_size: 0
    .kernarg_segment_align: 8
    .kernarg_segment_size: 144
    .language:       OpenCL C
    .language_version:
      - 2
      - 0
    .max_flat_workgroup_size: 256
    .name:           _ZN7rocprim17ROCPRIM_400000_NS6detail17trampoline_kernelINS0_14default_configENS1_25partition_config_selectorILNS1_17partition_subalgoE0ExNS0_10empty_typeEbEEZZNS1_14partition_implILS5_0ELb0ES3_jN6thrust23THRUST_200600_302600_NS6detail15normal_iteratorINSA_10device_ptrIxEEEEPS6_SG_NS0_5tupleIJNSA_16discard_iteratorINSA_11use_defaultEEESF_EEENSH_IJSG_SG_EEES6_PlJ7is_evenIxEEEE10hipError_tPvRmT3_T4_T5_T6_T7_T9_mT8_P12ihipStream_tbDpT10_ENKUlT_T0_E_clISt17integral_constantIbLb0EES18_IbLb1EEEEDaS14_S15_EUlS14_E_NS1_11comp_targetILNS1_3genE2ELNS1_11target_archE906ELNS1_3gpuE6ELNS1_3repE0EEENS1_30default_config_static_selectorELNS0_4arch9wavefront6targetE1EEEvT1_
    .private_segment_fixed_size: 0
    .sgpr_count:     4
    .sgpr_spill_count: 0
    .symbol:         _ZN7rocprim17ROCPRIM_400000_NS6detail17trampoline_kernelINS0_14default_configENS1_25partition_config_selectorILNS1_17partition_subalgoE0ExNS0_10empty_typeEbEEZZNS1_14partition_implILS5_0ELb0ES3_jN6thrust23THRUST_200600_302600_NS6detail15normal_iteratorINSA_10device_ptrIxEEEEPS6_SG_NS0_5tupleIJNSA_16discard_iteratorINSA_11use_defaultEEESF_EEENSH_IJSG_SG_EEES6_PlJ7is_evenIxEEEE10hipError_tPvRmT3_T4_T5_T6_T7_T9_mT8_P12ihipStream_tbDpT10_ENKUlT_T0_E_clISt17integral_constantIbLb0EES18_IbLb1EEEEDaS14_S15_EUlS14_E_NS1_11comp_targetILNS1_3genE2ELNS1_11target_archE906ELNS1_3gpuE6ELNS1_3repE0EEENS1_30default_config_static_selectorELNS0_4arch9wavefront6targetE1EEEvT1_.kd
    .uniform_work_group_size: 1
    .uses_dynamic_stack: false
    .vgpr_count:     0
    .vgpr_spill_count: 0
    .wavefront_size: 64
  - .agpr_count:     0
    .args:
      - .offset:         0
        .size:           144
        .value_kind:     by_value
    .group_segment_fixed_size: 0
    .kernarg_segment_align: 8
    .kernarg_segment_size: 144
    .language:       OpenCL C
    .language_version:
      - 2
      - 0
    .max_flat_workgroup_size: 512
    .name:           _ZN7rocprim17ROCPRIM_400000_NS6detail17trampoline_kernelINS0_14default_configENS1_25partition_config_selectorILNS1_17partition_subalgoE0ExNS0_10empty_typeEbEEZZNS1_14partition_implILS5_0ELb0ES3_jN6thrust23THRUST_200600_302600_NS6detail15normal_iteratorINSA_10device_ptrIxEEEEPS6_SG_NS0_5tupleIJNSA_16discard_iteratorINSA_11use_defaultEEESF_EEENSH_IJSG_SG_EEES6_PlJ7is_evenIxEEEE10hipError_tPvRmT3_T4_T5_T6_T7_T9_mT8_P12ihipStream_tbDpT10_ENKUlT_T0_E_clISt17integral_constantIbLb0EES18_IbLb1EEEEDaS14_S15_EUlS14_E_NS1_11comp_targetILNS1_3genE10ELNS1_11target_archE1200ELNS1_3gpuE4ELNS1_3repE0EEENS1_30default_config_static_selectorELNS0_4arch9wavefront6targetE1EEEvT1_
    .private_segment_fixed_size: 0
    .sgpr_count:     4
    .sgpr_spill_count: 0
    .symbol:         _ZN7rocprim17ROCPRIM_400000_NS6detail17trampoline_kernelINS0_14default_configENS1_25partition_config_selectorILNS1_17partition_subalgoE0ExNS0_10empty_typeEbEEZZNS1_14partition_implILS5_0ELb0ES3_jN6thrust23THRUST_200600_302600_NS6detail15normal_iteratorINSA_10device_ptrIxEEEEPS6_SG_NS0_5tupleIJNSA_16discard_iteratorINSA_11use_defaultEEESF_EEENSH_IJSG_SG_EEES6_PlJ7is_evenIxEEEE10hipError_tPvRmT3_T4_T5_T6_T7_T9_mT8_P12ihipStream_tbDpT10_ENKUlT_T0_E_clISt17integral_constantIbLb0EES18_IbLb1EEEEDaS14_S15_EUlS14_E_NS1_11comp_targetILNS1_3genE10ELNS1_11target_archE1200ELNS1_3gpuE4ELNS1_3repE0EEENS1_30default_config_static_selectorELNS0_4arch9wavefront6targetE1EEEvT1_.kd
    .uniform_work_group_size: 1
    .uses_dynamic_stack: false
    .vgpr_count:     0
    .vgpr_spill_count: 0
    .wavefront_size: 64
  - .agpr_count:     0
    .args:
      - .offset:         0
        .size:           144
        .value_kind:     by_value
    .group_segment_fixed_size: 0
    .kernarg_segment_align: 8
    .kernarg_segment_size: 144
    .language:       OpenCL C
    .language_version:
      - 2
      - 0
    .max_flat_workgroup_size: 512
    .name:           _ZN7rocprim17ROCPRIM_400000_NS6detail17trampoline_kernelINS0_14default_configENS1_25partition_config_selectorILNS1_17partition_subalgoE0ExNS0_10empty_typeEbEEZZNS1_14partition_implILS5_0ELb0ES3_jN6thrust23THRUST_200600_302600_NS6detail15normal_iteratorINSA_10device_ptrIxEEEEPS6_SG_NS0_5tupleIJNSA_16discard_iteratorINSA_11use_defaultEEESF_EEENSH_IJSG_SG_EEES6_PlJ7is_evenIxEEEE10hipError_tPvRmT3_T4_T5_T6_T7_T9_mT8_P12ihipStream_tbDpT10_ENKUlT_T0_E_clISt17integral_constantIbLb0EES18_IbLb1EEEEDaS14_S15_EUlS14_E_NS1_11comp_targetILNS1_3genE9ELNS1_11target_archE1100ELNS1_3gpuE3ELNS1_3repE0EEENS1_30default_config_static_selectorELNS0_4arch9wavefront6targetE1EEEvT1_
    .private_segment_fixed_size: 0
    .sgpr_count:     4
    .sgpr_spill_count: 0
    .symbol:         _ZN7rocprim17ROCPRIM_400000_NS6detail17trampoline_kernelINS0_14default_configENS1_25partition_config_selectorILNS1_17partition_subalgoE0ExNS0_10empty_typeEbEEZZNS1_14partition_implILS5_0ELb0ES3_jN6thrust23THRUST_200600_302600_NS6detail15normal_iteratorINSA_10device_ptrIxEEEEPS6_SG_NS0_5tupleIJNSA_16discard_iteratorINSA_11use_defaultEEESF_EEENSH_IJSG_SG_EEES6_PlJ7is_evenIxEEEE10hipError_tPvRmT3_T4_T5_T6_T7_T9_mT8_P12ihipStream_tbDpT10_ENKUlT_T0_E_clISt17integral_constantIbLb0EES18_IbLb1EEEEDaS14_S15_EUlS14_E_NS1_11comp_targetILNS1_3genE9ELNS1_11target_archE1100ELNS1_3gpuE3ELNS1_3repE0EEENS1_30default_config_static_selectorELNS0_4arch9wavefront6targetE1EEEvT1_.kd
    .uniform_work_group_size: 1
    .uses_dynamic_stack: false
    .vgpr_count:     0
    .vgpr_spill_count: 0
    .wavefront_size: 64
  - .agpr_count:     0
    .args:
      - .offset:         0
        .size:           144
        .value_kind:     by_value
    .group_segment_fixed_size: 0
    .kernarg_segment_align: 8
    .kernarg_segment_size: 144
    .language:       OpenCL C
    .language_version:
      - 2
      - 0
    .max_flat_workgroup_size: 512
    .name:           _ZN7rocprim17ROCPRIM_400000_NS6detail17trampoline_kernelINS0_14default_configENS1_25partition_config_selectorILNS1_17partition_subalgoE0ExNS0_10empty_typeEbEEZZNS1_14partition_implILS5_0ELb0ES3_jN6thrust23THRUST_200600_302600_NS6detail15normal_iteratorINSA_10device_ptrIxEEEEPS6_SG_NS0_5tupleIJNSA_16discard_iteratorINSA_11use_defaultEEESF_EEENSH_IJSG_SG_EEES6_PlJ7is_evenIxEEEE10hipError_tPvRmT3_T4_T5_T6_T7_T9_mT8_P12ihipStream_tbDpT10_ENKUlT_T0_E_clISt17integral_constantIbLb0EES18_IbLb1EEEEDaS14_S15_EUlS14_E_NS1_11comp_targetILNS1_3genE8ELNS1_11target_archE1030ELNS1_3gpuE2ELNS1_3repE0EEENS1_30default_config_static_selectorELNS0_4arch9wavefront6targetE1EEEvT1_
    .private_segment_fixed_size: 0
    .sgpr_count:     4
    .sgpr_spill_count: 0
    .symbol:         _ZN7rocprim17ROCPRIM_400000_NS6detail17trampoline_kernelINS0_14default_configENS1_25partition_config_selectorILNS1_17partition_subalgoE0ExNS0_10empty_typeEbEEZZNS1_14partition_implILS5_0ELb0ES3_jN6thrust23THRUST_200600_302600_NS6detail15normal_iteratorINSA_10device_ptrIxEEEEPS6_SG_NS0_5tupleIJNSA_16discard_iteratorINSA_11use_defaultEEESF_EEENSH_IJSG_SG_EEES6_PlJ7is_evenIxEEEE10hipError_tPvRmT3_T4_T5_T6_T7_T9_mT8_P12ihipStream_tbDpT10_ENKUlT_T0_E_clISt17integral_constantIbLb0EES18_IbLb1EEEEDaS14_S15_EUlS14_E_NS1_11comp_targetILNS1_3genE8ELNS1_11target_archE1030ELNS1_3gpuE2ELNS1_3repE0EEENS1_30default_config_static_selectorELNS0_4arch9wavefront6targetE1EEEvT1_.kd
    .uniform_work_group_size: 1
    .uses_dynamic_stack: false
    .vgpr_count:     0
    .vgpr_spill_count: 0
    .wavefront_size: 64
  - .agpr_count:     0
    .args:
      - .offset:         0
        .size:           136
        .value_kind:     by_value
    .group_segment_fixed_size: 0
    .kernarg_segment_align: 8
    .kernarg_segment_size: 136
    .language:       OpenCL C
    .language_version:
      - 2
      - 0
    .max_flat_workgroup_size: 256
    .name:           _ZN7rocprim17ROCPRIM_400000_NS6detail17trampoline_kernelINS0_14default_configENS1_25partition_config_selectorILNS1_17partition_subalgoE0EiNS0_10empty_typeEbEEZZNS1_14partition_implILS5_0ELb0ES3_jN6thrust23THRUST_200600_302600_NS6detail15normal_iteratorINSA_10device_ptrIiEEEEPS6_SG_NS0_5tupleIJNSA_16discard_iteratorINSA_11use_defaultEEESK_EEENSH_IJSG_SG_EEES6_PlJ7is_evenIiEEEE10hipError_tPvRmT3_T4_T5_T6_T7_T9_mT8_P12ihipStream_tbDpT10_ENKUlT_T0_E_clISt17integral_constantIbLb0EES19_EEDaS14_S15_EUlS14_E_NS1_11comp_targetILNS1_3genE0ELNS1_11target_archE4294967295ELNS1_3gpuE0ELNS1_3repE0EEENS1_30default_config_static_selectorELNS0_4arch9wavefront6targetE1EEEvT1_
    .private_segment_fixed_size: 0
    .sgpr_count:     4
    .sgpr_spill_count: 0
    .symbol:         _ZN7rocprim17ROCPRIM_400000_NS6detail17trampoline_kernelINS0_14default_configENS1_25partition_config_selectorILNS1_17partition_subalgoE0EiNS0_10empty_typeEbEEZZNS1_14partition_implILS5_0ELb0ES3_jN6thrust23THRUST_200600_302600_NS6detail15normal_iteratorINSA_10device_ptrIiEEEEPS6_SG_NS0_5tupleIJNSA_16discard_iteratorINSA_11use_defaultEEESK_EEENSH_IJSG_SG_EEES6_PlJ7is_evenIiEEEE10hipError_tPvRmT3_T4_T5_T6_T7_T9_mT8_P12ihipStream_tbDpT10_ENKUlT_T0_E_clISt17integral_constantIbLb0EES19_EEDaS14_S15_EUlS14_E_NS1_11comp_targetILNS1_3genE0ELNS1_11target_archE4294967295ELNS1_3gpuE0ELNS1_3repE0EEENS1_30default_config_static_selectorELNS0_4arch9wavefront6targetE1EEEvT1_.kd
    .uniform_work_group_size: 1
    .uses_dynamic_stack: false
    .vgpr_count:     0
    .vgpr_spill_count: 0
    .wavefront_size: 64
  - .agpr_count:     0
    .args:
      - .offset:         0
        .size:           136
        .value_kind:     by_value
    .group_segment_fixed_size: 0
    .kernarg_segment_align: 8
    .kernarg_segment_size: 136
    .language:       OpenCL C
    .language_version:
      - 2
      - 0
    .max_flat_workgroup_size: 512
    .name:           _ZN7rocprim17ROCPRIM_400000_NS6detail17trampoline_kernelINS0_14default_configENS1_25partition_config_selectorILNS1_17partition_subalgoE0EiNS0_10empty_typeEbEEZZNS1_14partition_implILS5_0ELb0ES3_jN6thrust23THRUST_200600_302600_NS6detail15normal_iteratorINSA_10device_ptrIiEEEEPS6_SG_NS0_5tupleIJNSA_16discard_iteratorINSA_11use_defaultEEESK_EEENSH_IJSG_SG_EEES6_PlJ7is_evenIiEEEE10hipError_tPvRmT3_T4_T5_T6_T7_T9_mT8_P12ihipStream_tbDpT10_ENKUlT_T0_E_clISt17integral_constantIbLb0EES19_EEDaS14_S15_EUlS14_E_NS1_11comp_targetILNS1_3genE5ELNS1_11target_archE942ELNS1_3gpuE9ELNS1_3repE0EEENS1_30default_config_static_selectorELNS0_4arch9wavefront6targetE1EEEvT1_
    .private_segment_fixed_size: 0
    .sgpr_count:     4
    .sgpr_spill_count: 0
    .symbol:         _ZN7rocprim17ROCPRIM_400000_NS6detail17trampoline_kernelINS0_14default_configENS1_25partition_config_selectorILNS1_17partition_subalgoE0EiNS0_10empty_typeEbEEZZNS1_14partition_implILS5_0ELb0ES3_jN6thrust23THRUST_200600_302600_NS6detail15normal_iteratorINSA_10device_ptrIiEEEEPS6_SG_NS0_5tupleIJNSA_16discard_iteratorINSA_11use_defaultEEESK_EEENSH_IJSG_SG_EEES6_PlJ7is_evenIiEEEE10hipError_tPvRmT3_T4_T5_T6_T7_T9_mT8_P12ihipStream_tbDpT10_ENKUlT_T0_E_clISt17integral_constantIbLb0EES19_EEDaS14_S15_EUlS14_E_NS1_11comp_targetILNS1_3genE5ELNS1_11target_archE942ELNS1_3gpuE9ELNS1_3repE0EEENS1_30default_config_static_selectorELNS0_4arch9wavefront6targetE1EEEvT1_.kd
    .uniform_work_group_size: 1
    .uses_dynamic_stack: false
    .vgpr_count:     0
    .vgpr_spill_count: 0
    .wavefront_size: 64
  - .agpr_count:     0
    .args:
      - .offset:         0
        .size:           136
        .value_kind:     by_value
    .group_segment_fixed_size: 10248
    .kernarg_segment_align: 8
    .kernarg_segment_size: 136
    .language:       OpenCL C
    .language_version:
      - 2
      - 0
    .max_flat_workgroup_size: 256
    .name:           _ZN7rocprim17ROCPRIM_400000_NS6detail17trampoline_kernelINS0_14default_configENS1_25partition_config_selectorILNS1_17partition_subalgoE0EiNS0_10empty_typeEbEEZZNS1_14partition_implILS5_0ELb0ES3_jN6thrust23THRUST_200600_302600_NS6detail15normal_iteratorINSA_10device_ptrIiEEEEPS6_SG_NS0_5tupleIJNSA_16discard_iteratorINSA_11use_defaultEEESK_EEENSH_IJSG_SG_EEES6_PlJ7is_evenIiEEEE10hipError_tPvRmT3_T4_T5_T6_T7_T9_mT8_P12ihipStream_tbDpT10_ENKUlT_T0_E_clISt17integral_constantIbLb0EES19_EEDaS14_S15_EUlS14_E_NS1_11comp_targetILNS1_3genE4ELNS1_11target_archE910ELNS1_3gpuE8ELNS1_3repE0EEENS1_30default_config_static_selectorELNS0_4arch9wavefront6targetE1EEEvT1_
    .private_segment_fixed_size: 0
    .sgpr_count:     40
    .sgpr_spill_count: 0
    .symbol:         _ZN7rocprim17ROCPRIM_400000_NS6detail17trampoline_kernelINS0_14default_configENS1_25partition_config_selectorILNS1_17partition_subalgoE0EiNS0_10empty_typeEbEEZZNS1_14partition_implILS5_0ELb0ES3_jN6thrust23THRUST_200600_302600_NS6detail15normal_iteratorINSA_10device_ptrIiEEEEPS6_SG_NS0_5tupleIJNSA_16discard_iteratorINSA_11use_defaultEEESK_EEENSH_IJSG_SG_EEES6_PlJ7is_evenIiEEEE10hipError_tPvRmT3_T4_T5_T6_T7_T9_mT8_P12ihipStream_tbDpT10_ENKUlT_T0_E_clISt17integral_constantIbLb0EES19_EEDaS14_S15_EUlS14_E_NS1_11comp_targetILNS1_3genE4ELNS1_11target_archE910ELNS1_3gpuE8ELNS1_3repE0EEENS1_30default_config_static_selectorELNS0_4arch9wavefront6targetE1EEEvT1_.kd
    .uniform_work_group_size: 1
    .uses_dynamic_stack: false
    .vgpr_count:     53
    .vgpr_spill_count: 0
    .wavefront_size: 64
  - .agpr_count:     0
    .args:
      - .offset:         0
        .size:           136
        .value_kind:     by_value
    .group_segment_fixed_size: 0
    .kernarg_segment_align: 8
    .kernarg_segment_size: 136
    .language:       OpenCL C
    .language_version:
      - 2
      - 0
    .max_flat_workgroup_size: 256
    .name:           _ZN7rocprim17ROCPRIM_400000_NS6detail17trampoline_kernelINS0_14default_configENS1_25partition_config_selectorILNS1_17partition_subalgoE0EiNS0_10empty_typeEbEEZZNS1_14partition_implILS5_0ELb0ES3_jN6thrust23THRUST_200600_302600_NS6detail15normal_iteratorINSA_10device_ptrIiEEEEPS6_SG_NS0_5tupleIJNSA_16discard_iteratorINSA_11use_defaultEEESK_EEENSH_IJSG_SG_EEES6_PlJ7is_evenIiEEEE10hipError_tPvRmT3_T4_T5_T6_T7_T9_mT8_P12ihipStream_tbDpT10_ENKUlT_T0_E_clISt17integral_constantIbLb0EES19_EEDaS14_S15_EUlS14_E_NS1_11comp_targetILNS1_3genE3ELNS1_11target_archE908ELNS1_3gpuE7ELNS1_3repE0EEENS1_30default_config_static_selectorELNS0_4arch9wavefront6targetE1EEEvT1_
    .private_segment_fixed_size: 0
    .sgpr_count:     4
    .sgpr_spill_count: 0
    .symbol:         _ZN7rocprim17ROCPRIM_400000_NS6detail17trampoline_kernelINS0_14default_configENS1_25partition_config_selectorILNS1_17partition_subalgoE0EiNS0_10empty_typeEbEEZZNS1_14partition_implILS5_0ELb0ES3_jN6thrust23THRUST_200600_302600_NS6detail15normal_iteratorINSA_10device_ptrIiEEEEPS6_SG_NS0_5tupleIJNSA_16discard_iteratorINSA_11use_defaultEEESK_EEENSH_IJSG_SG_EEES6_PlJ7is_evenIiEEEE10hipError_tPvRmT3_T4_T5_T6_T7_T9_mT8_P12ihipStream_tbDpT10_ENKUlT_T0_E_clISt17integral_constantIbLb0EES19_EEDaS14_S15_EUlS14_E_NS1_11comp_targetILNS1_3genE3ELNS1_11target_archE908ELNS1_3gpuE7ELNS1_3repE0EEENS1_30default_config_static_selectorELNS0_4arch9wavefront6targetE1EEEvT1_.kd
    .uniform_work_group_size: 1
    .uses_dynamic_stack: false
    .vgpr_count:     0
    .vgpr_spill_count: 0
    .wavefront_size: 64
  - .agpr_count:     0
    .args:
      - .offset:         0
        .size:           136
        .value_kind:     by_value
    .group_segment_fixed_size: 0
    .kernarg_segment_align: 8
    .kernarg_segment_size: 136
    .language:       OpenCL C
    .language_version:
      - 2
      - 0
    .max_flat_workgroup_size: 192
    .name:           _ZN7rocprim17ROCPRIM_400000_NS6detail17trampoline_kernelINS0_14default_configENS1_25partition_config_selectorILNS1_17partition_subalgoE0EiNS0_10empty_typeEbEEZZNS1_14partition_implILS5_0ELb0ES3_jN6thrust23THRUST_200600_302600_NS6detail15normal_iteratorINSA_10device_ptrIiEEEEPS6_SG_NS0_5tupleIJNSA_16discard_iteratorINSA_11use_defaultEEESK_EEENSH_IJSG_SG_EEES6_PlJ7is_evenIiEEEE10hipError_tPvRmT3_T4_T5_T6_T7_T9_mT8_P12ihipStream_tbDpT10_ENKUlT_T0_E_clISt17integral_constantIbLb0EES19_EEDaS14_S15_EUlS14_E_NS1_11comp_targetILNS1_3genE2ELNS1_11target_archE906ELNS1_3gpuE6ELNS1_3repE0EEENS1_30default_config_static_selectorELNS0_4arch9wavefront6targetE1EEEvT1_
    .private_segment_fixed_size: 0
    .sgpr_count:     4
    .sgpr_spill_count: 0
    .symbol:         _ZN7rocprim17ROCPRIM_400000_NS6detail17trampoline_kernelINS0_14default_configENS1_25partition_config_selectorILNS1_17partition_subalgoE0EiNS0_10empty_typeEbEEZZNS1_14partition_implILS5_0ELb0ES3_jN6thrust23THRUST_200600_302600_NS6detail15normal_iteratorINSA_10device_ptrIiEEEEPS6_SG_NS0_5tupleIJNSA_16discard_iteratorINSA_11use_defaultEEESK_EEENSH_IJSG_SG_EEES6_PlJ7is_evenIiEEEE10hipError_tPvRmT3_T4_T5_T6_T7_T9_mT8_P12ihipStream_tbDpT10_ENKUlT_T0_E_clISt17integral_constantIbLb0EES19_EEDaS14_S15_EUlS14_E_NS1_11comp_targetILNS1_3genE2ELNS1_11target_archE906ELNS1_3gpuE6ELNS1_3repE0EEENS1_30default_config_static_selectorELNS0_4arch9wavefront6targetE1EEEvT1_.kd
    .uniform_work_group_size: 1
    .uses_dynamic_stack: false
    .vgpr_count:     0
    .vgpr_spill_count: 0
    .wavefront_size: 64
  - .agpr_count:     0
    .args:
      - .offset:         0
        .size:           136
        .value_kind:     by_value
    .group_segment_fixed_size: 0
    .kernarg_segment_align: 8
    .kernarg_segment_size: 136
    .language:       OpenCL C
    .language_version:
      - 2
      - 0
    .max_flat_workgroup_size: 512
    .name:           _ZN7rocprim17ROCPRIM_400000_NS6detail17trampoline_kernelINS0_14default_configENS1_25partition_config_selectorILNS1_17partition_subalgoE0EiNS0_10empty_typeEbEEZZNS1_14partition_implILS5_0ELb0ES3_jN6thrust23THRUST_200600_302600_NS6detail15normal_iteratorINSA_10device_ptrIiEEEEPS6_SG_NS0_5tupleIJNSA_16discard_iteratorINSA_11use_defaultEEESK_EEENSH_IJSG_SG_EEES6_PlJ7is_evenIiEEEE10hipError_tPvRmT3_T4_T5_T6_T7_T9_mT8_P12ihipStream_tbDpT10_ENKUlT_T0_E_clISt17integral_constantIbLb0EES19_EEDaS14_S15_EUlS14_E_NS1_11comp_targetILNS1_3genE10ELNS1_11target_archE1200ELNS1_3gpuE4ELNS1_3repE0EEENS1_30default_config_static_selectorELNS0_4arch9wavefront6targetE1EEEvT1_
    .private_segment_fixed_size: 0
    .sgpr_count:     4
    .sgpr_spill_count: 0
    .symbol:         _ZN7rocprim17ROCPRIM_400000_NS6detail17trampoline_kernelINS0_14default_configENS1_25partition_config_selectorILNS1_17partition_subalgoE0EiNS0_10empty_typeEbEEZZNS1_14partition_implILS5_0ELb0ES3_jN6thrust23THRUST_200600_302600_NS6detail15normal_iteratorINSA_10device_ptrIiEEEEPS6_SG_NS0_5tupleIJNSA_16discard_iteratorINSA_11use_defaultEEESK_EEENSH_IJSG_SG_EEES6_PlJ7is_evenIiEEEE10hipError_tPvRmT3_T4_T5_T6_T7_T9_mT8_P12ihipStream_tbDpT10_ENKUlT_T0_E_clISt17integral_constantIbLb0EES19_EEDaS14_S15_EUlS14_E_NS1_11comp_targetILNS1_3genE10ELNS1_11target_archE1200ELNS1_3gpuE4ELNS1_3repE0EEENS1_30default_config_static_selectorELNS0_4arch9wavefront6targetE1EEEvT1_.kd
    .uniform_work_group_size: 1
    .uses_dynamic_stack: false
    .vgpr_count:     0
    .vgpr_spill_count: 0
    .wavefront_size: 64
  - .agpr_count:     0
    .args:
      - .offset:         0
        .size:           136
        .value_kind:     by_value
    .group_segment_fixed_size: 0
    .kernarg_segment_align: 8
    .kernarg_segment_size: 136
    .language:       OpenCL C
    .language_version:
      - 2
      - 0
    .max_flat_workgroup_size: 128
    .name:           _ZN7rocprim17ROCPRIM_400000_NS6detail17trampoline_kernelINS0_14default_configENS1_25partition_config_selectorILNS1_17partition_subalgoE0EiNS0_10empty_typeEbEEZZNS1_14partition_implILS5_0ELb0ES3_jN6thrust23THRUST_200600_302600_NS6detail15normal_iteratorINSA_10device_ptrIiEEEEPS6_SG_NS0_5tupleIJNSA_16discard_iteratorINSA_11use_defaultEEESK_EEENSH_IJSG_SG_EEES6_PlJ7is_evenIiEEEE10hipError_tPvRmT3_T4_T5_T6_T7_T9_mT8_P12ihipStream_tbDpT10_ENKUlT_T0_E_clISt17integral_constantIbLb0EES19_EEDaS14_S15_EUlS14_E_NS1_11comp_targetILNS1_3genE9ELNS1_11target_archE1100ELNS1_3gpuE3ELNS1_3repE0EEENS1_30default_config_static_selectorELNS0_4arch9wavefront6targetE1EEEvT1_
    .private_segment_fixed_size: 0
    .sgpr_count:     4
    .sgpr_spill_count: 0
    .symbol:         _ZN7rocprim17ROCPRIM_400000_NS6detail17trampoline_kernelINS0_14default_configENS1_25partition_config_selectorILNS1_17partition_subalgoE0EiNS0_10empty_typeEbEEZZNS1_14partition_implILS5_0ELb0ES3_jN6thrust23THRUST_200600_302600_NS6detail15normal_iteratorINSA_10device_ptrIiEEEEPS6_SG_NS0_5tupleIJNSA_16discard_iteratorINSA_11use_defaultEEESK_EEENSH_IJSG_SG_EEES6_PlJ7is_evenIiEEEE10hipError_tPvRmT3_T4_T5_T6_T7_T9_mT8_P12ihipStream_tbDpT10_ENKUlT_T0_E_clISt17integral_constantIbLb0EES19_EEDaS14_S15_EUlS14_E_NS1_11comp_targetILNS1_3genE9ELNS1_11target_archE1100ELNS1_3gpuE3ELNS1_3repE0EEENS1_30default_config_static_selectorELNS0_4arch9wavefront6targetE1EEEvT1_.kd
    .uniform_work_group_size: 1
    .uses_dynamic_stack: false
    .vgpr_count:     0
    .vgpr_spill_count: 0
    .wavefront_size: 64
  - .agpr_count:     0
    .args:
      - .offset:         0
        .size:           136
        .value_kind:     by_value
    .group_segment_fixed_size: 0
    .kernarg_segment_align: 8
    .kernarg_segment_size: 136
    .language:       OpenCL C
    .language_version:
      - 2
      - 0
    .max_flat_workgroup_size: 512
    .name:           _ZN7rocprim17ROCPRIM_400000_NS6detail17trampoline_kernelINS0_14default_configENS1_25partition_config_selectorILNS1_17partition_subalgoE0EiNS0_10empty_typeEbEEZZNS1_14partition_implILS5_0ELb0ES3_jN6thrust23THRUST_200600_302600_NS6detail15normal_iteratorINSA_10device_ptrIiEEEEPS6_SG_NS0_5tupleIJNSA_16discard_iteratorINSA_11use_defaultEEESK_EEENSH_IJSG_SG_EEES6_PlJ7is_evenIiEEEE10hipError_tPvRmT3_T4_T5_T6_T7_T9_mT8_P12ihipStream_tbDpT10_ENKUlT_T0_E_clISt17integral_constantIbLb0EES19_EEDaS14_S15_EUlS14_E_NS1_11comp_targetILNS1_3genE8ELNS1_11target_archE1030ELNS1_3gpuE2ELNS1_3repE0EEENS1_30default_config_static_selectorELNS0_4arch9wavefront6targetE1EEEvT1_
    .private_segment_fixed_size: 0
    .sgpr_count:     4
    .sgpr_spill_count: 0
    .symbol:         _ZN7rocprim17ROCPRIM_400000_NS6detail17trampoline_kernelINS0_14default_configENS1_25partition_config_selectorILNS1_17partition_subalgoE0EiNS0_10empty_typeEbEEZZNS1_14partition_implILS5_0ELb0ES3_jN6thrust23THRUST_200600_302600_NS6detail15normal_iteratorINSA_10device_ptrIiEEEEPS6_SG_NS0_5tupleIJNSA_16discard_iteratorINSA_11use_defaultEEESK_EEENSH_IJSG_SG_EEES6_PlJ7is_evenIiEEEE10hipError_tPvRmT3_T4_T5_T6_T7_T9_mT8_P12ihipStream_tbDpT10_ENKUlT_T0_E_clISt17integral_constantIbLb0EES19_EEDaS14_S15_EUlS14_E_NS1_11comp_targetILNS1_3genE8ELNS1_11target_archE1030ELNS1_3gpuE2ELNS1_3repE0EEENS1_30default_config_static_selectorELNS0_4arch9wavefront6targetE1EEEvT1_.kd
    .uniform_work_group_size: 1
    .uses_dynamic_stack: false
    .vgpr_count:     0
    .vgpr_spill_count: 0
    .wavefront_size: 64
  - .agpr_count:     0
    .args:
      - .offset:         0
        .size:           152
        .value_kind:     by_value
    .group_segment_fixed_size: 0
    .kernarg_segment_align: 8
    .kernarg_segment_size: 152
    .language:       OpenCL C
    .language_version:
      - 2
      - 0
    .max_flat_workgroup_size: 256
    .name:           _ZN7rocprim17ROCPRIM_400000_NS6detail17trampoline_kernelINS0_14default_configENS1_25partition_config_selectorILNS1_17partition_subalgoE0EiNS0_10empty_typeEbEEZZNS1_14partition_implILS5_0ELb0ES3_jN6thrust23THRUST_200600_302600_NS6detail15normal_iteratorINSA_10device_ptrIiEEEEPS6_SG_NS0_5tupleIJNSA_16discard_iteratorINSA_11use_defaultEEESK_EEENSH_IJSG_SG_EEES6_PlJ7is_evenIiEEEE10hipError_tPvRmT3_T4_T5_T6_T7_T9_mT8_P12ihipStream_tbDpT10_ENKUlT_T0_E_clISt17integral_constantIbLb1EES19_EEDaS14_S15_EUlS14_E_NS1_11comp_targetILNS1_3genE0ELNS1_11target_archE4294967295ELNS1_3gpuE0ELNS1_3repE0EEENS1_30default_config_static_selectorELNS0_4arch9wavefront6targetE1EEEvT1_
    .private_segment_fixed_size: 0
    .sgpr_count:     4
    .sgpr_spill_count: 0
    .symbol:         _ZN7rocprim17ROCPRIM_400000_NS6detail17trampoline_kernelINS0_14default_configENS1_25partition_config_selectorILNS1_17partition_subalgoE0EiNS0_10empty_typeEbEEZZNS1_14partition_implILS5_0ELb0ES3_jN6thrust23THRUST_200600_302600_NS6detail15normal_iteratorINSA_10device_ptrIiEEEEPS6_SG_NS0_5tupleIJNSA_16discard_iteratorINSA_11use_defaultEEESK_EEENSH_IJSG_SG_EEES6_PlJ7is_evenIiEEEE10hipError_tPvRmT3_T4_T5_T6_T7_T9_mT8_P12ihipStream_tbDpT10_ENKUlT_T0_E_clISt17integral_constantIbLb1EES19_EEDaS14_S15_EUlS14_E_NS1_11comp_targetILNS1_3genE0ELNS1_11target_archE4294967295ELNS1_3gpuE0ELNS1_3repE0EEENS1_30default_config_static_selectorELNS0_4arch9wavefront6targetE1EEEvT1_.kd
    .uniform_work_group_size: 1
    .uses_dynamic_stack: false
    .vgpr_count:     0
    .vgpr_spill_count: 0
    .wavefront_size: 64
  - .agpr_count:     0
    .args:
      - .offset:         0
        .size:           152
        .value_kind:     by_value
    .group_segment_fixed_size: 0
    .kernarg_segment_align: 8
    .kernarg_segment_size: 152
    .language:       OpenCL C
    .language_version:
      - 2
      - 0
    .max_flat_workgroup_size: 512
    .name:           _ZN7rocprim17ROCPRIM_400000_NS6detail17trampoline_kernelINS0_14default_configENS1_25partition_config_selectorILNS1_17partition_subalgoE0EiNS0_10empty_typeEbEEZZNS1_14partition_implILS5_0ELb0ES3_jN6thrust23THRUST_200600_302600_NS6detail15normal_iteratorINSA_10device_ptrIiEEEEPS6_SG_NS0_5tupleIJNSA_16discard_iteratorINSA_11use_defaultEEESK_EEENSH_IJSG_SG_EEES6_PlJ7is_evenIiEEEE10hipError_tPvRmT3_T4_T5_T6_T7_T9_mT8_P12ihipStream_tbDpT10_ENKUlT_T0_E_clISt17integral_constantIbLb1EES19_EEDaS14_S15_EUlS14_E_NS1_11comp_targetILNS1_3genE5ELNS1_11target_archE942ELNS1_3gpuE9ELNS1_3repE0EEENS1_30default_config_static_selectorELNS0_4arch9wavefront6targetE1EEEvT1_
    .private_segment_fixed_size: 0
    .sgpr_count:     4
    .sgpr_spill_count: 0
    .symbol:         _ZN7rocprim17ROCPRIM_400000_NS6detail17trampoline_kernelINS0_14default_configENS1_25partition_config_selectorILNS1_17partition_subalgoE0EiNS0_10empty_typeEbEEZZNS1_14partition_implILS5_0ELb0ES3_jN6thrust23THRUST_200600_302600_NS6detail15normal_iteratorINSA_10device_ptrIiEEEEPS6_SG_NS0_5tupleIJNSA_16discard_iteratorINSA_11use_defaultEEESK_EEENSH_IJSG_SG_EEES6_PlJ7is_evenIiEEEE10hipError_tPvRmT3_T4_T5_T6_T7_T9_mT8_P12ihipStream_tbDpT10_ENKUlT_T0_E_clISt17integral_constantIbLb1EES19_EEDaS14_S15_EUlS14_E_NS1_11comp_targetILNS1_3genE5ELNS1_11target_archE942ELNS1_3gpuE9ELNS1_3repE0EEENS1_30default_config_static_selectorELNS0_4arch9wavefront6targetE1EEEvT1_.kd
    .uniform_work_group_size: 1
    .uses_dynamic_stack: false
    .vgpr_count:     0
    .vgpr_spill_count: 0
    .wavefront_size: 64
  - .agpr_count:     0
    .args:
      - .offset:         0
        .size:           152
        .value_kind:     by_value
    .group_segment_fixed_size: 10248
    .kernarg_segment_align: 8
    .kernarg_segment_size: 152
    .language:       OpenCL C
    .language_version:
      - 2
      - 0
    .max_flat_workgroup_size: 256
    .name:           _ZN7rocprim17ROCPRIM_400000_NS6detail17trampoline_kernelINS0_14default_configENS1_25partition_config_selectorILNS1_17partition_subalgoE0EiNS0_10empty_typeEbEEZZNS1_14partition_implILS5_0ELb0ES3_jN6thrust23THRUST_200600_302600_NS6detail15normal_iteratorINSA_10device_ptrIiEEEEPS6_SG_NS0_5tupleIJNSA_16discard_iteratorINSA_11use_defaultEEESK_EEENSH_IJSG_SG_EEES6_PlJ7is_evenIiEEEE10hipError_tPvRmT3_T4_T5_T6_T7_T9_mT8_P12ihipStream_tbDpT10_ENKUlT_T0_E_clISt17integral_constantIbLb1EES19_EEDaS14_S15_EUlS14_E_NS1_11comp_targetILNS1_3genE4ELNS1_11target_archE910ELNS1_3gpuE8ELNS1_3repE0EEENS1_30default_config_static_selectorELNS0_4arch9wavefront6targetE1EEEvT1_
    .private_segment_fixed_size: 0
    .sgpr_count:     40
    .sgpr_spill_count: 0
    .symbol:         _ZN7rocprim17ROCPRIM_400000_NS6detail17trampoline_kernelINS0_14default_configENS1_25partition_config_selectorILNS1_17partition_subalgoE0EiNS0_10empty_typeEbEEZZNS1_14partition_implILS5_0ELb0ES3_jN6thrust23THRUST_200600_302600_NS6detail15normal_iteratorINSA_10device_ptrIiEEEEPS6_SG_NS0_5tupleIJNSA_16discard_iteratorINSA_11use_defaultEEESK_EEENSH_IJSG_SG_EEES6_PlJ7is_evenIiEEEE10hipError_tPvRmT3_T4_T5_T6_T7_T9_mT8_P12ihipStream_tbDpT10_ENKUlT_T0_E_clISt17integral_constantIbLb1EES19_EEDaS14_S15_EUlS14_E_NS1_11comp_targetILNS1_3genE4ELNS1_11target_archE910ELNS1_3gpuE8ELNS1_3repE0EEENS1_30default_config_static_selectorELNS0_4arch9wavefront6targetE1EEEvT1_.kd
    .uniform_work_group_size: 1
    .uses_dynamic_stack: false
    .vgpr_count:     55
    .vgpr_spill_count: 0
    .wavefront_size: 64
  - .agpr_count:     0
    .args:
      - .offset:         0
        .size:           152
        .value_kind:     by_value
    .group_segment_fixed_size: 0
    .kernarg_segment_align: 8
    .kernarg_segment_size: 152
    .language:       OpenCL C
    .language_version:
      - 2
      - 0
    .max_flat_workgroup_size: 256
    .name:           _ZN7rocprim17ROCPRIM_400000_NS6detail17trampoline_kernelINS0_14default_configENS1_25partition_config_selectorILNS1_17partition_subalgoE0EiNS0_10empty_typeEbEEZZNS1_14partition_implILS5_0ELb0ES3_jN6thrust23THRUST_200600_302600_NS6detail15normal_iteratorINSA_10device_ptrIiEEEEPS6_SG_NS0_5tupleIJNSA_16discard_iteratorINSA_11use_defaultEEESK_EEENSH_IJSG_SG_EEES6_PlJ7is_evenIiEEEE10hipError_tPvRmT3_T4_T5_T6_T7_T9_mT8_P12ihipStream_tbDpT10_ENKUlT_T0_E_clISt17integral_constantIbLb1EES19_EEDaS14_S15_EUlS14_E_NS1_11comp_targetILNS1_3genE3ELNS1_11target_archE908ELNS1_3gpuE7ELNS1_3repE0EEENS1_30default_config_static_selectorELNS0_4arch9wavefront6targetE1EEEvT1_
    .private_segment_fixed_size: 0
    .sgpr_count:     4
    .sgpr_spill_count: 0
    .symbol:         _ZN7rocprim17ROCPRIM_400000_NS6detail17trampoline_kernelINS0_14default_configENS1_25partition_config_selectorILNS1_17partition_subalgoE0EiNS0_10empty_typeEbEEZZNS1_14partition_implILS5_0ELb0ES3_jN6thrust23THRUST_200600_302600_NS6detail15normal_iteratorINSA_10device_ptrIiEEEEPS6_SG_NS0_5tupleIJNSA_16discard_iteratorINSA_11use_defaultEEESK_EEENSH_IJSG_SG_EEES6_PlJ7is_evenIiEEEE10hipError_tPvRmT3_T4_T5_T6_T7_T9_mT8_P12ihipStream_tbDpT10_ENKUlT_T0_E_clISt17integral_constantIbLb1EES19_EEDaS14_S15_EUlS14_E_NS1_11comp_targetILNS1_3genE3ELNS1_11target_archE908ELNS1_3gpuE7ELNS1_3repE0EEENS1_30default_config_static_selectorELNS0_4arch9wavefront6targetE1EEEvT1_.kd
    .uniform_work_group_size: 1
    .uses_dynamic_stack: false
    .vgpr_count:     0
    .vgpr_spill_count: 0
    .wavefront_size: 64
  - .agpr_count:     0
    .args:
      - .offset:         0
        .size:           152
        .value_kind:     by_value
    .group_segment_fixed_size: 0
    .kernarg_segment_align: 8
    .kernarg_segment_size: 152
    .language:       OpenCL C
    .language_version:
      - 2
      - 0
    .max_flat_workgroup_size: 192
    .name:           _ZN7rocprim17ROCPRIM_400000_NS6detail17trampoline_kernelINS0_14default_configENS1_25partition_config_selectorILNS1_17partition_subalgoE0EiNS0_10empty_typeEbEEZZNS1_14partition_implILS5_0ELb0ES3_jN6thrust23THRUST_200600_302600_NS6detail15normal_iteratorINSA_10device_ptrIiEEEEPS6_SG_NS0_5tupleIJNSA_16discard_iteratorINSA_11use_defaultEEESK_EEENSH_IJSG_SG_EEES6_PlJ7is_evenIiEEEE10hipError_tPvRmT3_T4_T5_T6_T7_T9_mT8_P12ihipStream_tbDpT10_ENKUlT_T0_E_clISt17integral_constantIbLb1EES19_EEDaS14_S15_EUlS14_E_NS1_11comp_targetILNS1_3genE2ELNS1_11target_archE906ELNS1_3gpuE6ELNS1_3repE0EEENS1_30default_config_static_selectorELNS0_4arch9wavefront6targetE1EEEvT1_
    .private_segment_fixed_size: 0
    .sgpr_count:     4
    .sgpr_spill_count: 0
    .symbol:         _ZN7rocprim17ROCPRIM_400000_NS6detail17trampoline_kernelINS0_14default_configENS1_25partition_config_selectorILNS1_17partition_subalgoE0EiNS0_10empty_typeEbEEZZNS1_14partition_implILS5_0ELb0ES3_jN6thrust23THRUST_200600_302600_NS6detail15normal_iteratorINSA_10device_ptrIiEEEEPS6_SG_NS0_5tupleIJNSA_16discard_iteratorINSA_11use_defaultEEESK_EEENSH_IJSG_SG_EEES6_PlJ7is_evenIiEEEE10hipError_tPvRmT3_T4_T5_T6_T7_T9_mT8_P12ihipStream_tbDpT10_ENKUlT_T0_E_clISt17integral_constantIbLb1EES19_EEDaS14_S15_EUlS14_E_NS1_11comp_targetILNS1_3genE2ELNS1_11target_archE906ELNS1_3gpuE6ELNS1_3repE0EEENS1_30default_config_static_selectorELNS0_4arch9wavefront6targetE1EEEvT1_.kd
    .uniform_work_group_size: 1
    .uses_dynamic_stack: false
    .vgpr_count:     0
    .vgpr_spill_count: 0
    .wavefront_size: 64
  - .agpr_count:     0
    .args:
      - .offset:         0
        .size:           152
        .value_kind:     by_value
    .group_segment_fixed_size: 0
    .kernarg_segment_align: 8
    .kernarg_segment_size: 152
    .language:       OpenCL C
    .language_version:
      - 2
      - 0
    .max_flat_workgroup_size: 512
    .name:           _ZN7rocprim17ROCPRIM_400000_NS6detail17trampoline_kernelINS0_14default_configENS1_25partition_config_selectorILNS1_17partition_subalgoE0EiNS0_10empty_typeEbEEZZNS1_14partition_implILS5_0ELb0ES3_jN6thrust23THRUST_200600_302600_NS6detail15normal_iteratorINSA_10device_ptrIiEEEEPS6_SG_NS0_5tupleIJNSA_16discard_iteratorINSA_11use_defaultEEESK_EEENSH_IJSG_SG_EEES6_PlJ7is_evenIiEEEE10hipError_tPvRmT3_T4_T5_T6_T7_T9_mT8_P12ihipStream_tbDpT10_ENKUlT_T0_E_clISt17integral_constantIbLb1EES19_EEDaS14_S15_EUlS14_E_NS1_11comp_targetILNS1_3genE10ELNS1_11target_archE1200ELNS1_3gpuE4ELNS1_3repE0EEENS1_30default_config_static_selectorELNS0_4arch9wavefront6targetE1EEEvT1_
    .private_segment_fixed_size: 0
    .sgpr_count:     4
    .sgpr_spill_count: 0
    .symbol:         _ZN7rocprim17ROCPRIM_400000_NS6detail17trampoline_kernelINS0_14default_configENS1_25partition_config_selectorILNS1_17partition_subalgoE0EiNS0_10empty_typeEbEEZZNS1_14partition_implILS5_0ELb0ES3_jN6thrust23THRUST_200600_302600_NS6detail15normal_iteratorINSA_10device_ptrIiEEEEPS6_SG_NS0_5tupleIJNSA_16discard_iteratorINSA_11use_defaultEEESK_EEENSH_IJSG_SG_EEES6_PlJ7is_evenIiEEEE10hipError_tPvRmT3_T4_T5_T6_T7_T9_mT8_P12ihipStream_tbDpT10_ENKUlT_T0_E_clISt17integral_constantIbLb1EES19_EEDaS14_S15_EUlS14_E_NS1_11comp_targetILNS1_3genE10ELNS1_11target_archE1200ELNS1_3gpuE4ELNS1_3repE0EEENS1_30default_config_static_selectorELNS0_4arch9wavefront6targetE1EEEvT1_.kd
    .uniform_work_group_size: 1
    .uses_dynamic_stack: false
    .vgpr_count:     0
    .vgpr_spill_count: 0
    .wavefront_size: 64
  - .agpr_count:     0
    .args:
      - .offset:         0
        .size:           152
        .value_kind:     by_value
    .group_segment_fixed_size: 0
    .kernarg_segment_align: 8
    .kernarg_segment_size: 152
    .language:       OpenCL C
    .language_version:
      - 2
      - 0
    .max_flat_workgroup_size: 128
    .name:           _ZN7rocprim17ROCPRIM_400000_NS6detail17trampoline_kernelINS0_14default_configENS1_25partition_config_selectorILNS1_17partition_subalgoE0EiNS0_10empty_typeEbEEZZNS1_14partition_implILS5_0ELb0ES3_jN6thrust23THRUST_200600_302600_NS6detail15normal_iteratorINSA_10device_ptrIiEEEEPS6_SG_NS0_5tupleIJNSA_16discard_iteratorINSA_11use_defaultEEESK_EEENSH_IJSG_SG_EEES6_PlJ7is_evenIiEEEE10hipError_tPvRmT3_T4_T5_T6_T7_T9_mT8_P12ihipStream_tbDpT10_ENKUlT_T0_E_clISt17integral_constantIbLb1EES19_EEDaS14_S15_EUlS14_E_NS1_11comp_targetILNS1_3genE9ELNS1_11target_archE1100ELNS1_3gpuE3ELNS1_3repE0EEENS1_30default_config_static_selectorELNS0_4arch9wavefront6targetE1EEEvT1_
    .private_segment_fixed_size: 0
    .sgpr_count:     4
    .sgpr_spill_count: 0
    .symbol:         _ZN7rocprim17ROCPRIM_400000_NS6detail17trampoline_kernelINS0_14default_configENS1_25partition_config_selectorILNS1_17partition_subalgoE0EiNS0_10empty_typeEbEEZZNS1_14partition_implILS5_0ELb0ES3_jN6thrust23THRUST_200600_302600_NS6detail15normal_iteratorINSA_10device_ptrIiEEEEPS6_SG_NS0_5tupleIJNSA_16discard_iteratorINSA_11use_defaultEEESK_EEENSH_IJSG_SG_EEES6_PlJ7is_evenIiEEEE10hipError_tPvRmT3_T4_T5_T6_T7_T9_mT8_P12ihipStream_tbDpT10_ENKUlT_T0_E_clISt17integral_constantIbLb1EES19_EEDaS14_S15_EUlS14_E_NS1_11comp_targetILNS1_3genE9ELNS1_11target_archE1100ELNS1_3gpuE3ELNS1_3repE0EEENS1_30default_config_static_selectorELNS0_4arch9wavefront6targetE1EEEvT1_.kd
    .uniform_work_group_size: 1
    .uses_dynamic_stack: false
    .vgpr_count:     0
    .vgpr_spill_count: 0
    .wavefront_size: 64
  - .agpr_count:     0
    .args:
      - .offset:         0
        .size:           152
        .value_kind:     by_value
    .group_segment_fixed_size: 0
    .kernarg_segment_align: 8
    .kernarg_segment_size: 152
    .language:       OpenCL C
    .language_version:
      - 2
      - 0
    .max_flat_workgroup_size: 512
    .name:           _ZN7rocprim17ROCPRIM_400000_NS6detail17trampoline_kernelINS0_14default_configENS1_25partition_config_selectorILNS1_17partition_subalgoE0EiNS0_10empty_typeEbEEZZNS1_14partition_implILS5_0ELb0ES3_jN6thrust23THRUST_200600_302600_NS6detail15normal_iteratorINSA_10device_ptrIiEEEEPS6_SG_NS0_5tupleIJNSA_16discard_iteratorINSA_11use_defaultEEESK_EEENSH_IJSG_SG_EEES6_PlJ7is_evenIiEEEE10hipError_tPvRmT3_T4_T5_T6_T7_T9_mT8_P12ihipStream_tbDpT10_ENKUlT_T0_E_clISt17integral_constantIbLb1EES19_EEDaS14_S15_EUlS14_E_NS1_11comp_targetILNS1_3genE8ELNS1_11target_archE1030ELNS1_3gpuE2ELNS1_3repE0EEENS1_30default_config_static_selectorELNS0_4arch9wavefront6targetE1EEEvT1_
    .private_segment_fixed_size: 0
    .sgpr_count:     4
    .sgpr_spill_count: 0
    .symbol:         _ZN7rocprim17ROCPRIM_400000_NS6detail17trampoline_kernelINS0_14default_configENS1_25partition_config_selectorILNS1_17partition_subalgoE0EiNS0_10empty_typeEbEEZZNS1_14partition_implILS5_0ELb0ES3_jN6thrust23THRUST_200600_302600_NS6detail15normal_iteratorINSA_10device_ptrIiEEEEPS6_SG_NS0_5tupleIJNSA_16discard_iteratorINSA_11use_defaultEEESK_EEENSH_IJSG_SG_EEES6_PlJ7is_evenIiEEEE10hipError_tPvRmT3_T4_T5_T6_T7_T9_mT8_P12ihipStream_tbDpT10_ENKUlT_T0_E_clISt17integral_constantIbLb1EES19_EEDaS14_S15_EUlS14_E_NS1_11comp_targetILNS1_3genE8ELNS1_11target_archE1030ELNS1_3gpuE2ELNS1_3repE0EEENS1_30default_config_static_selectorELNS0_4arch9wavefront6targetE1EEEvT1_.kd
    .uniform_work_group_size: 1
    .uses_dynamic_stack: false
    .vgpr_count:     0
    .vgpr_spill_count: 0
    .wavefront_size: 64
  - .agpr_count:     0
    .args:
      - .offset:         0
        .size:           136
        .value_kind:     by_value
    .group_segment_fixed_size: 0
    .kernarg_segment_align: 8
    .kernarg_segment_size: 136
    .language:       OpenCL C
    .language_version:
      - 2
      - 0
    .max_flat_workgroup_size: 256
    .name:           _ZN7rocprim17ROCPRIM_400000_NS6detail17trampoline_kernelINS0_14default_configENS1_25partition_config_selectorILNS1_17partition_subalgoE0EiNS0_10empty_typeEbEEZZNS1_14partition_implILS5_0ELb0ES3_jN6thrust23THRUST_200600_302600_NS6detail15normal_iteratorINSA_10device_ptrIiEEEEPS6_SG_NS0_5tupleIJNSA_16discard_iteratorINSA_11use_defaultEEESK_EEENSH_IJSG_SG_EEES6_PlJ7is_evenIiEEEE10hipError_tPvRmT3_T4_T5_T6_T7_T9_mT8_P12ihipStream_tbDpT10_ENKUlT_T0_E_clISt17integral_constantIbLb1EES18_IbLb0EEEEDaS14_S15_EUlS14_E_NS1_11comp_targetILNS1_3genE0ELNS1_11target_archE4294967295ELNS1_3gpuE0ELNS1_3repE0EEENS1_30default_config_static_selectorELNS0_4arch9wavefront6targetE1EEEvT1_
    .private_segment_fixed_size: 0
    .sgpr_count:     4
    .sgpr_spill_count: 0
    .symbol:         _ZN7rocprim17ROCPRIM_400000_NS6detail17trampoline_kernelINS0_14default_configENS1_25partition_config_selectorILNS1_17partition_subalgoE0EiNS0_10empty_typeEbEEZZNS1_14partition_implILS5_0ELb0ES3_jN6thrust23THRUST_200600_302600_NS6detail15normal_iteratorINSA_10device_ptrIiEEEEPS6_SG_NS0_5tupleIJNSA_16discard_iteratorINSA_11use_defaultEEESK_EEENSH_IJSG_SG_EEES6_PlJ7is_evenIiEEEE10hipError_tPvRmT3_T4_T5_T6_T7_T9_mT8_P12ihipStream_tbDpT10_ENKUlT_T0_E_clISt17integral_constantIbLb1EES18_IbLb0EEEEDaS14_S15_EUlS14_E_NS1_11comp_targetILNS1_3genE0ELNS1_11target_archE4294967295ELNS1_3gpuE0ELNS1_3repE0EEENS1_30default_config_static_selectorELNS0_4arch9wavefront6targetE1EEEvT1_.kd
    .uniform_work_group_size: 1
    .uses_dynamic_stack: false
    .vgpr_count:     0
    .vgpr_spill_count: 0
    .wavefront_size: 64
  - .agpr_count:     0
    .args:
      - .offset:         0
        .size:           136
        .value_kind:     by_value
    .group_segment_fixed_size: 0
    .kernarg_segment_align: 8
    .kernarg_segment_size: 136
    .language:       OpenCL C
    .language_version:
      - 2
      - 0
    .max_flat_workgroup_size: 512
    .name:           _ZN7rocprim17ROCPRIM_400000_NS6detail17trampoline_kernelINS0_14default_configENS1_25partition_config_selectorILNS1_17partition_subalgoE0EiNS0_10empty_typeEbEEZZNS1_14partition_implILS5_0ELb0ES3_jN6thrust23THRUST_200600_302600_NS6detail15normal_iteratorINSA_10device_ptrIiEEEEPS6_SG_NS0_5tupleIJNSA_16discard_iteratorINSA_11use_defaultEEESK_EEENSH_IJSG_SG_EEES6_PlJ7is_evenIiEEEE10hipError_tPvRmT3_T4_T5_T6_T7_T9_mT8_P12ihipStream_tbDpT10_ENKUlT_T0_E_clISt17integral_constantIbLb1EES18_IbLb0EEEEDaS14_S15_EUlS14_E_NS1_11comp_targetILNS1_3genE5ELNS1_11target_archE942ELNS1_3gpuE9ELNS1_3repE0EEENS1_30default_config_static_selectorELNS0_4arch9wavefront6targetE1EEEvT1_
    .private_segment_fixed_size: 0
    .sgpr_count:     4
    .sgpr_spill_count: 0
    .symbol:         _ZN7rocprim17ROCPRIM_400000_NS6detail17trampoline_kernelINS0_14default_configENS1_25partition_config_selectorILNS1_17partition_subalgoE0EiNS0_10empty_typeEbEEZZNS1_14partition_implILS5_0ELb0ES3_jN6thrust23THRUST_200600_302600_NS6detail15normal_iteratorINSA_10device_ptrIiEEEEPS6_SG_NS0_5tupleIJNSA_16discard_iteratorINSA_11use_defaultEEESK_EEENSH_IJSG_SG_EEES6_PlJ7is_evenIiEEEE10hipError_tPvRmT3_T4_T5_T6_T7_T9_mT8_P12ihipStream_tbDpT10_ENKUlT_T0_E_clISt17integral_constantIbLb1EES18_IbLb0EEEEDaS14_S15_EUlS14_E_NS1_11comp_targetILNS1_3genE5ELNS1_11target_archE942ELNS1_3gpuE9ELNS1_3repE0EEENS1_30default_config_static_selectorELNS0_4arch9wavefront6targetE1EEEvT1_.kd
    .uniform_work_group_size: 1
    .uses_dynamic_stack: false
    .vgpr_count:     0
    .vgpr_spill_count: 0
    .wavefront_size: 64
  - .agpr_count:     0
    .args:
      - .offset:         0
        .size:           136
        .value_kind:     by_value
    .group_segment_fixed_size: 10248
    .kernarg_segment_align: 8
    .kernarg_segment_size: 136
    .language:       OpenCL C
    .language_version:
      - 2
      - 0
    .max_flat_workgroup_size: 256
    .name:           _ZN7rocprim17ROCPRIM_400000_NS6detail17trampoline_kernelINS0_14default_configENS1_25partition_config_selectorILNS1_17partition_subalgoE0EiNS0_10empty_typeEbEEZZNS1_14partition_implILS5_0ELb0ES3_jN6thrust23THRUST_200600_302600_NS6detail15normal_iteratorINSA_10device_ptrIiEEEEPS6_SG_NS0_5tupleIJNSA_16discard_iteratorINSA_11use_defaultEEESK_EEENSH_IJSG_SG_EEES6_PlJ7is_evenIiEEEE10hipError_tPvRmT3_T4_T5_T6_T7_T9_mT8_P12ihipStream_tbDpT10_ENKUlT_T0_E_clISt17integral_constantIbLb1EES18_IbLb0EEEEDaS14_S15_EUlS14_E_NS1_11comp_targetILNS1_3genE4ELNS1_11target_archE910ELNS1_3gpuE8ELNS1_3repE0EEENS1_30default_config_static_selectorELNS0_4arch9wavefront6targetE1EEEvT1_
    .private_segment_fixed_size: 0
    .sgpr_count:     40
    .sgpr_spill_count: 0
    .symbol:         _ZN7rocprim17ROCPRIM_400000_NS6detail17trampoline_kernelINS0_14default_configENS1_25partition_config_selectorILNS1_17partition_subalgoE0EiNS0_10empty_typeEbEEZZNS1_14partition_implILS5_0ELb0ES3_jN6thrust23THRUST_200600_302600_NS6detail15normal_iteratorINSA_10device_ptrIiEEEEPS6_SG_NS0_5tupleIJNSA_16discard_iteratorINSA_11use_defaultEEESK_EEENSH_IJSG_SG_EEES6_PlJ7is_evenIiEEEE10hipError_tPvRmT3_T4_T5_T6_T7_T9_mT8_P12ihipStream_tbDpT10_ENKUlT_T0_E_clISt17integral_constantIbLb1EES18_IbLb0EEEEDaS14_S15_EUlS14_E_NS1_11comp_targetILNS1_3genE4ELNS1_11target_archE910ELNS1_3gpuE8ELNS1_3repE0EEENS1_30default_config_static_selectorELNS0_4arch9wavefront6targetE1EEEvT1_.kd
    .uniform_work_group_size: 1
    .uses_dynamic_stack: false
    .vgpr_count:     53
    .vgpr_spill_count: 0
    .wavefront_size: 64
  - .agpr_count:     0
    .args:
      - .offset:         0
        .size:           136
        .value_kind:     by_value
    .group_segment_fixed_size: 0
    .kernarg_segment_align: 8
    .kernarg_segment_size: 136
    .language:       OpenCL C
    .language_version:
      - 2
      - 0
    .max_flat_workgroup_size: 256
    .name:           _ZN7rocprim17ROCPRIM_400000_NS6detail17trampoline_kernelINS0_14default_configENS1_25partition_config_selectorILNS1_17partition_subalgoE0EiNS0_10empty_typeEbEEZZNS1_14partition_implILS5_0ELb0ES3_jN6thrust23THRUST_200600_302600_NS6detail15normal_iteratorINSA_10device_ptrIiEEEEPS6_SG_NS0_5tupleIJNSA_16discard_iteratorINSA_11use_defaultEEESK_EEENSH_IJSG_SG_EEES6_PlJ7is_evenIiEEEE10hipError_tPvRmT3_T4_T5_T6_T7_T9_mT8_P12ihipStream_tbDpT10_ENKUlT_T0_E_clISt17integral_constantIbLb1EES18_IbLb0EEEEDaS14_S15_EUlS14_E_NS1_11comp_targetILNS1_3genE3ELNS1_11target_archE908ELNS1_3gpuE7ELNS1_3repE0EEENS1_30default_config_static_selectorELNS0_4arch9wavefront6targetE1EEEvT1_
    .private_segment_fixed_size: 0
    .sgpr_count:     4
    .sgpr_spill_count: 0
    .symbol:         _ZN7rocprim17ROCPRIM_400000_NS6detail17trampoline_kernelINS0_14default_configENS1_25partition_config_selectorILNS1_17partition_subalgoE0EiNS0_10empty_typeEbEEZZNS1_14partition_implILS5_0ELb0ES3_jN6thrust23THRUST_200600_302600_NS6detail15normal_iteratorINSA_10device_ptrIiEEEEPS6_SG_NS0_5tupleIJNSA_16discard_iteratorINSA_11use_defaultEEESK_EEENSH_IJSG_SG_EEES6_PlJ7is_evenIiEEEE10hipError_tPvRmT3_T4_T5_T6_T7_T9_mT8_P12ihipStream_tbDpT10_ENKUlT_T0_E_clISt17integral_constantIbLb1EES18_IbLb0EEEEDaS14_S15_EUlS14_E_NS1_11comp_targetILNS1_3genE3ELNS1_11target_archE908ELNS1_3gpuE7ELNS1_3repE0EEENS1_30default_config_static_selectorELNS0_4arch9wavefront6targetE1EEEvT1_.kd
    .uniform_work_group_size: 1
    .uses_dynamic_stack: false
    .vgpr_count:     0
    .vgpr_spill_count: 0
    .wavefront_size: 64
  - .agpr_count:     0
    .args:
      - .offset:         0
        .size:           136
        .value_kind:     by_value
    .group_segment_fixed_size: 0
    .kernarg_segment_align: 8
    .kernarg_segment_size: 136
    .language:       OpenCL C
    .language_version:
      - 2
      - 0
    .max_flat_workgroup_size: 192
    .name:           _ZN7rocprim17ROCPRIM_400000_NS6detail17trampoline_kernelINS0_14default_configENS1_25partition_config_selectorILNS1_17partition_subalgoE0EiNS0_10empty_typeEbEEZZNS1_14partition_implILS5_0ELb0ES3_jN6thrust23THRUST_200600_302600_NS6detail15normal_iteratorINSA_10device_ptrIiEEEEPS6_SG_NS0_5tupleIJNSA_16discard_iteratorINSA_11use_defaultEEESK_EEENSH_IJSG_SG_EEES6_PlJ7is_evenIiEEEE10hipError_tPvRmT3_T4_T5_T6_T7_T9_mT8_P12ihipStream_tbDpT10_ENKUlT_T0_E_clISt17integral_constantIbLb1EES18_IbLb0EEEEDaS14_S15_EUlS14_E_NS1_11comp_targetILNS1_3genE2ELNS1_11target_archE906ELNS1_3gpuE6ELNS1_3repE0EEENS1_30default_config_static_selectorELNS0_4arch9wavefront6targetE1EEEvT1_
    .private_segment_fixed_size: 0
    .sgpr_count:     4
    .sgpr_spill_count: 0
    .symbol:         _ZN7rocprim17ROCPRIM_400000_NS6detail17trampoline_kernelINS0_14default_configENS1_25partition_config_selectorILNS1_17partition_subalgoE0EiNS0_10empty_typeEbEEZZNS1_14partition_implILS5_0ELb0ES3_jN6thrust23THRUST_200600_302600_NS6detail15normal_iteratorINSA_10device_ptrIiEEEEPS6_SG_NS0_5tupleIJNSA_16discard_iteratorINSA_11use_defaultEEESK_EEENSH_IJSG_SG_EEES6_PlJ7is_evenIiEEEE10hipError_tPvRmT3_T4_T5_T6_T7_T9_mT8_P12ihipStream_tbDpT10_ENKUlT_T0_E_clISt17integral_constantIbLb1EES18_IbLb0EEEEDaS14_S15_EUlS14_E_NS1_11comp_targetILNS1_3genE2ELNS1_11target_archE906ELNS1_3gpuE6ELNS1_3repE0EEENS1_30default_config_static_selectorELNS0_4arch9wavefront6targetE1EEEvT1_.kd
    .uniform_work_group_size: 1
    .uses_dynamic_stack: false
    .vgpr_count:     0
    .vgpr_spill_count: 0
    .wavefront_size: 64
  - .agpr_count:     0
    .args:
      - .offset:         0
        .size:           136
        .value_kind:     by_value
    .group_segment_fixed_size: 0
    .kernarg_segment_align: 8
    .kernarg_segment_size: 136
    .language:       OpenCL C
    .language_version:
      - 2
      - 0
    .max_flat_workgroup_size: 512
    .name:           _ZN7rocprim17ROCPRIM_400000_NS6detail17trampoline_kernelINS0_14default_configENS1_25partition_config_selectorILNS1_17partition_subalgoE0EiNS0_10empty_typeEbEEZZNS1_14partition_implILS5_0ELb0ES3_jN6thrust23THRUST_200600_302600_NS6detail15normal_iteratorINSA_10device_ptrIiEEEEPS6_SG_NS0_5tupleIJNSA_16discard_iteratorINSA_11use_defaultEEESK_EEENSH_IJSG_SG_EEES6_PlJ7is_evenIiEEEE10hipError_tPvRmT3_T4_T5_T6_T7_T9_mT8_P12ihipStream_tbDpT10_ENKUlT_T0_E_clISt17integral_constantIbLb1EES18_IbLb0EEEEDaS14_S15_EUlS14_E_NS1_11comp_targetILNS1_3genE10ELNS1_11target_archE1200ELNS1_3gpuE4ELNS1_3repE0EEENS1_30default_config_static_selectorELNS0_4arch9wavefront6targetE1EEEvT1_
    .private_segment_fixed_size: 0
    .sgpr_count:     4
    .sgpr_spill_count: 0
    .symbol:         _ZN7rocprim17ROCPRIM_400000_NS6detail17trampoline_kernelINS0_14default_configENS1_25partition_config_selectorILNS1_17partition_subalgoE0EiNS0_10empty_typeEbEEZZNS1_14partition_implILS5_0ELb0ES3_jN6thrust23THRUST_200600_302600_NS6detail15normal_iteratorINSA_10device_ptrIiEEEEPS6_SG_NS0_5tupleIJNSA_16discard_iteratorINSA_11use_defaultEEESK_EEENSH_IJSG_SG_EEES6_PlJ7is_evenIiEEEE10hipError_tPvRmT3_T4_T5_T6_T7_T9_mT8_P12ihipStream_tbDpT10_ENKUlT_T0_E_clISt17integral_constantIbLb1EES18_IbLb0EEEEDaS14_S15_EUlS14_E_NS1_11comp_targetILNS1_3genE10ELNS1_11target_archE1200ELNS1_3gpuE4ELNS1_3repE0EEENS1_30default_config_static_selectorELNS0_4arch9wavefront6targetE1EEEvT1_.kd
    .uniform_work_group_size: 1
    .uses_dynamic_stack: false
    .vgpr_count:     0
    .vgpr_spill_count: 0
    .wavefront_size: 64
  - .agpr_count:     0
    .args:
      - .offset:         0
        .size:           136
        .value_kind:     by_value
    .group_segment_fixed_size: 0
    .kernarg_segment_align: 8
    .kernarg_segment_size: 136
    .language:       OpenCL C
    .language_version:
      - 2
      - 0
    .max_flat_workgroup_size: 128
    .name:           _ZN7rocprim17ROCPRIM_400000_NS6detail17trampoline_kernelINS0_14default_configENS1_25partition_config_selectorILNS1_17partition_subalgoE0EiNS0_10empty_typeEbEEZZNS1_14partition_implILS5_0ELb0ES3_jN6thrust23THRUST_200600_302600_NS6detail15normal_iteratorINSA_10device_ptrIiEEEEPS6_SG_NS0_5tupleIJNSA_16discard_iteratorINSA_11use_defaultEEESK_EEENSH_IJSG_SG_EEES6_PlJ7is_evenIiEEEE10hipError_tPvRmT3_T4_T5_T6_T7_T9_mT8_P12ihipStream_tbDpT10_ENKUlT_T0_E_clISt17integral_constantIbLb1EES18_IbLb0EEEEDaS14_S15_EUlS14_E_NS1_11comp_targetILNS1_3genE9ELNS1_11target_archE1100ELNS1_3gpuE3ELNS1_3repE0EEENS1_30default_config_static_selectorELNS0_4arch9wavefront6targetE1EEEvT1_
    .private_segment_fixed_size: 0
    .sgpr_count:     4
    .sgpr_spill_count: 0
    .symbol:         _ZN7rocprim17ROCPRIM_400000_NS6detail17trampoline_kernelINS0_14default_configENS1_25partition_config_selectorILNS1_17partition_subalgoE0EiNS0_10empty_typeEbEEZZNS1_14partition_implILS5_0ELb0ES3_jN6thrust23THRUST_200600_302600_NS6detail15normal_iteratorINSA_10device_ptrIiEEEEPS6_SG_NS0_5tupleIJNSA_16discard_iteratorINSA_11use_defaultEEESK_EEENSH_IJSG_SG_EEES6_PlJ7is_evenIiEEEE10hipError_tPvRmT3_T4_T5_T6_T7_T9_mT8_P12ihipStream_tbDpT10_ENKUlT_T0_E_clISt17integral_constantIbLb1EES18_IbLb0EEEEDaS14_S15_EUlS14_E_NS1_11comp_targetILNS1_3genE9ELNS1_11target_archE1100ELNS1_3gpuE3ELNS1_3repE0EEENS1_30default_config_static_selectorELNS0_4arch9wavefront6targetE1EEEvT1_.kd
    .uniform_work_group_size: 1
    .uses_dynamic_stack: false
    .vgpr_count:     0
    .vgpr_spill_count: 0
    .wavefront_size: 64
  - .agpr_count:     0
    .args:
      - .offset:         0
        .size:           136
        .value_kind:     by_value
    .group_segment_fixed_size: 0
    .kernarg_segment_align: 8
    .kernarg_segment_size: 136
    .language:       OpenCL C
    .language_version:
      - 2
      - 0
    .max_flat_workgroup_size: 512
    .name:           _ZN7rocprim17ROCPRIM_400000_NS6detail17trampoline_kernelINS0_14default_configENS1_25partition_config_selectorILNS1_17partition_subalgoE0EiNS0_10empty_typeEbEEZZNS1_14partition_implILS5_0ELb0ES3_jN6thrust23THRUST_200600_302600_NS6detail15normal_iteratorINSA_10device_ptrIiEEEEPS6_SG_NS0_5tupleIJNSA_16discard_iteratorINSA_11use_defaultEEESK_EEENSH_IJSG_SG_EEES6_PlJ7is_evenIiEEEE10hipError_tPvRmT3_T4_T5_T6_T7_T9_mT8_P12ihipStream_tbDpT10_ENKUlT_T0_E_clISt17integral_constantIbLb1EES18_IbLb0EEEEDaS14_S15_EUlS14_E_NS1_11comp_targetILNS1_3genE8ELNS1_11target_archE1030ELNS1_3gpuE2ELNS1_3repE0EEENS1_30default_config_static_selectorELNS0_4arch9wavefront6targetE1EEEvT1_
    .private_segment_fixed_size: 0
    .sgpr_count:     4
    .sgpr_spill_count: 0
    .symbol:         _ZN7rocprim17ROCPRIM_400000_NS6detail17trampoline_kernelINS0_14default_configENS1_25partition_config_selectorILNS1_17partition_subalgoE0EiNS0_10empty_typeEbEEZZNS1_14partition_implILS5_0ELb0ES3_jN6thrust23THRUST_200600_302600_NS6detail15normal_iteratorINSA_10device_ptrIiEEEEPS6_SG_NS0_5tupleIJNSA_16discard_iteratorINSA_11use_defaultEEESK_EEENSH_IJSG_SG_EEES6_PlJ7is_evenIiEEEE10hipError_tPvRmT3_T4_T5_T6_T7_T9_mT8_P12ihipStream_tbDpT10_ENKUlT_T0_E_clISt17integral_constantIbLb1EES18_IbLb0EEEEDaS14_S15_EUlS14_E_NS1_11comp_targetILNS1_3genE8ELNS1_11target_archE1030ELNS1_3gpuE2ELNS1_3repE0EEENS1_30default_config_static_selectorELNS0_4arch9wavefront6targetE1EEEvT1_.kd
    .uniform_work_group_size: 1
    .uses_dynamic_stack: false
    .vgpr_count:     0
    .vgpr_spill_count: 0
    .wavefront_size: 64
  - .agpr_count:     0
    .args:
      - .offset:         0
        .size:           152
        .value_kind:     by_value
    .group_segment_fixed_size: 0
    .kernarg_segment_align: 8
    .kernarg_segment_size: 152
    .language:       OpenCL C
    .language_version:
      - 2
      - 0
    .max_flat_workgroup_size: 256
    .name:           _ZN7rocprim17ROCPRIM_400000_NS6detail17trampoline_kernelINS0_14default_configENS1_25partition_config_selectorILNS1_17partition_subalgoE0EiNS0_10empty_typeEbEEZZNS1_14partition_implILS5_0ELb0ES3_jN6thrust23THRUST_200600_302600_NS6detail15normal_iteratorINSA_10device_ptrIiEEEEPS6_SG_NS0_5tupleIJNSA_16discard_iteratorINSA_11use_defaultEEESK_EEENSH_IJSG_SG_EEES6_PlJ7is_evenIiEEEE10hipError_tPvRmT3_T4_T5_T6_T7_T9_mT8_P12ihipStream_tbDpT10_ENKUlT_T0_E_clISt17integral_constantIbLb0EES18_IbLb1EEEEDaS14_S15_EUlS14_E_NS1_11comp_targetILNS1_3genE0ELNS1_11target_archE4294967295ELNS1_3gpuE0ELNS1_3repE0EEENS1_30default_config_static_selectorELNS0_4arch9wavefront6targetE1EEEvT1_
    .private_segment_fixed_size: 0
    .sgpr_count:     4
    .sgpr_spill_count: 0
    .symbol:         _ZN7rocprim17ROCPRIM_400000_NS6detail17trampoline_kernelINS0_14default_configENS1_25partition_config_selectorILNS1_17partition_subalgoE0EiNS0_10empty_typeEbEEZZNS1_14partition_implILS5_0ELb0ES3_jN6thrust23THRUST_200600_302600_NS6detail15normal_iteratorINSA_10device_ptrIiEEEEPS6_SG_NS0_5tupleIJNSA_16discard_iteratorINSA_11use_defaultEEESK_EEENSH_IJSG_SG_EEES6_PlJ7is_evenIiEEEE10hipError_tPvRmT3_T4_T5_T6_T7_T9_mT8_P12ihipStream_tbDpT10_ENKUlT_T0_E_clISt17integral_constantIbLb0EES18_IbLb1EEEEDaS14_S15_EUlS14_E_NS1_11comp_targetILNS1_3genE0ELNS1_11target_archE4294967295ELNS1_3gpuE0ELNS1_3repE0EEENS1_30default_config_static_selectorELNS0_4arch9wavefront6targetE1EEEvT1_.kd
    .uniform_work_group_size: 1
    .uses_dynamic_stack: false
    .vgpr_count:     0
    .vgpr_spill_count: 0
    .wavefront_size: 64
  - .agpr_count:     0
    .args:
      - .offset:         0
        .size:           152
        .value_kind:     by_value
    .group_segment_fixed_size: 0
    .kernarg_segment_align: 8
    .kernarg_segment_size: 152
    .language:       OpenCL C
    .language_version:
      - 2
      - 0
    .max_flat_workgroup_size: 512
    .name:           _ZN7rocprim17ROCPRIM_400000_NS6detail17trampoline_kernelINS0_14default_configENS1_25partition_config_selectorILNS1_17partition_subalgoE0EiNS0_10empty_typeEbEEZZNS1_14partition_implILS5_0ELb0ES3_jN6thrust23THRUST_200600_302600_NS6detail15normal_iteratorINSA_10device_ptrIiEEEEPS6_SG_NS0_5tupleIJNSA_16discard_iteratorINSA_11use_defaultEEESK_EEENSH_IJSG_SG_EEES6_PlJ7is_evenIiEEEE10hipError_tPvRmT3_T4_T5_T6_T7_T9_mT8_P12ihipStream_tbDpT10_ENKUlT_T0_E_clISt17integral_constantIbLb0EES18_IbLb1EEEEDaS14_S15_EUlS14_E_NS1_11comp_targetILNS1_3genE5ELNS1_11target_archE942ELNS1_3gpuE9ELNS1_3repE0EEENS1_30default_config_static_selectorELNS0_4arch9wavefront6targetE1EEEvT1_
    .private_segment_fixed_size: 0
    .sgpr_count:     4
    .sgpr_spill_count: 0
    .symbol:         _ZN7rocprim17ROCPRIM_400000_NS6detail17trampoline_kernelINS0_14default_configENS1_25partition_config_selectorILNS1_17partition_subalgoE0EiNS0_10empty_typeEbEEZZNS1_14partition_implILS5_0ELb0ES3_jN6thrust23THRUST_200600_302600_NS6detail15normal_iteratorINSA_10device_ptrIiEEEEPS6_SG_NS0_5tupleIJNSA_16discard_iteratorINSA_11use_defaultEEESK_EEENSH_IJSG_SG_EEES6_PlJ7is_evenIiEEEE10hipError_tPvRmT3_T4_T5_T6_T7_T9_mT8_P12ihipStream_tbDpT10_ENKUlT_T0_E_clISt17integral_constantIbLb0EES18_IbLb1EEEEDaS14_S15_EUlS14_E_NS1_11comp_targetILNS1_3genE5ELNS1_11target_archE942ELNS1_3gpuE9ELNS1_3repE0EEENS1_30default_config_static_selectorELNS0_4arch9wavefront6targetE1EEEvT1_.kd
    .uniform_work_group_size: 1
    .uses_dynamic_stack: false
    .vgpr_count:     0
    .vgpr_spill_count: 0
    .wavefront_size: 64
  - .agpr_count:     0
    .args:
      - .offset:         0
        .size:           152
        .value_kind:     by_value
    .group_segment_fixed_size: 10248
    .kernarg_segment_align: 8
    .kernarg_segment_size: 152
    .language:       OpenCL C
    .language_version:
      - 2
      - 0
    .max_flat_workgroup_size: 256
    .name:           _ZN7rocprim17ROCPRIM_400000_NS6detail17trampoline_kernelINS0_14default_configENS1_25partition_config_selectorILNS1_17partition_subalgoE0EiNS0_10empty_typeEbEEZZNS1_14partition_implILS5_0ELb0ES3_jN6thrust23THRUST_200600_302600_NS6detail15normal_iteratorINSA_10device_ptrIiEEEEPS6_SG_NS0_5tupleIJNSA_16discard_iteratorINSA_11use_defaultEEESK_EEENSH_IJSG_SG_EEES6_PlJ7is_evenIiEEEE10hipError_tPvRmT3_T4_T5_T6_T7_T9_mT8_P12ihipStream_tbDpT10_ENKUlT_T0_E_clISt17integral_constantIbLb0EES18_IbLb1EEEEDaS14_S15_EUlS14_E_NS1_11comp_targetILNS1_3genE4ELNS1_11target_archE910ELNS1_3gpuE8ELNS1_3repE0EEENS1_30default_config_static_selectorELNS0_4arch9wavefront6targetE1EEEvT1_
    .private_segment_fixed_size: 0
    .sgpr_count:     40
    .sgpr_spill_count: 0
    .symbol:         _ZN7rocprim17ROCPRIM_400000_NS6detail17trampoline_kernelINS0_14default_configENS1_25partition_config_selectorILNS1_17partition_subalgoE0EiNS0_10empty_typeEbEEZZNS1_14partition_implILS5_0ELb0ES3_jN6thrust23THRUST_200600_302600_NS6detail15normal_iteratorINSA_10device_ptrIiEEEEPS6_SG_NS0_5tupleIJNSA_16discard_iteratorINSA_11use_defaultEEESK_EEENSH_IJSG_SG_EEES6_PlJ7is_evenIiEEEE10hipError_tPvRmT3_T4_T5_T6_T7_T9_mT8_P12ihipStream_tbDpT10_ENKUlT_T0_E_clISt17integral_constantIbLb0EES18_IbLb1EEEEDaS14_S15_EUlS14_E_NS1_11comp_targetILNS1_3genE4ELNS1_11target_archE910ELNS1_3gpuE8ELNS1_3repE0EEENS1_30default_config_static_selectorELNS0_4arch9wavefront6targetE1EEEvT1_.kd
    .uniform_work_group_size: 1
    .uses_dynamic_stack: false
    .vgpr_count:     55
    .vgpr_spill_count: 0
    .wavefront_size: 64
  - .agpr_count:     0
    .args:
      - .offset:         0
        .size:           152
        .value_kind:     by_value
    .group_segment_fixed_size: 0
    .kernarg_segment_align: 8
    .kernarg_segment_size: 152
    .language:       OpenCL C
    .language_version:
      - 2
      - 0
    .max_flat_workgroup_size: 256
    .name:           _ZN7rocprim17ROCPRIM_400000_NS6detail17trampoline_kernelINS0_14default_configENS1_25partition_config_selectorILNS1_17partition_subalgoE0EiNS0_10empty_typeEbEEZZNS1_14partition_implILS5_0ELb0ES3_jN6thrust23THRUST_200600_302600_NS6detail15normal_iteratorINSA_10device_ptrIiEEEEPS6_SG_NS0_5tupleIJNSA_16discard_iteratorINSA_11use_defaultEEESK_EEENSH_IJSG_SG_EEES6_PlJ7is_evenIiEEEE10hipError_tPvRmT3_T4_T5_T6_T7_T9_mT8_P12ihipStream_tbDpT10_ENKUlT_T0_E_clISt17integral_constantIbLb0EES18_IbLb1EEEEDaS14_S15_EUlS14_E_NS1_11comp_targetILNS1_3genE3ELNS1_11target_archE908ELNS1_3gpuE7ELNS1_3repE0EEENS1_30default_config_static_selectorELNS0_4arch9wavefront6targetE1EEEvT1_
    .private_segment_fixed_size: 0
    .sgpr_count:     4
    .sgpr_spill_count: 0
    .symbol:         _ZN7rocprim17ROCPRIM_400000_NS6detail17trampoline_kernelINS0_14default_configENS1_25partition_config_selectorILNS1_17partition_subalgoE0EiNS0_10empty_typeEbEEZZNS1_14partition_implILS5_0ELb0ES3_jN6thrust23THRUST_200600_302600_NS6detail15normal_iteratorINSA_10device_ptrIiEEEEPS6_SG_NS0_5tupleIJNSA_16discard_iteratorINSA_11use_defaultEEESK_EEENSH_IJSG_SG_EEES6_PlJ7is_evenIiEEEE10hipError_tPvRmT3_T4_T5_T6_T7_T9_mT8_P12ihipStream_tbDpT10_ENKUlT_T0_E_clISt17integral_constantIbLb0EES18_IbLb1EEEEDaS14_S15_EUlS14_E_NS1_11comp_targetILNS1_3genE3ELNS1_11target_archE908ELNS1_3gpuE7ELNS1_3repE0EEENS1_30default_config_static_selectorELNS0_4arch9wavefront6targetE1EEEvT1_.kd
    .uniform_work_group_size: 1
    .uses_dynamic_stack: false
    .vgpr_count:     0
    .vgpr_spill_count: 0
    .wavefront_size: 64
  - .agpr_count:     0
    .args:
      - .offset:         0
        .size:           152
        .value_kind:     by_value
    .group_segment_fixed_size: 0
    .kernarg_segment_align: 8
    .kernarg_segment_size: 152
    .language:       OpenCL C
    .language_version:
      - 2
      - 0
    .max_flat_workgroup_size: 192
    .name:           _ZN7rocprim17ROCPRIM_400000_NS6detail17trampoline_kernelINS0_14default_configENS1_25partition_config_selectorILNS1_17partition_subalgoE0EiNS0_10empty_typeEbEEZZNS1_14partition_implILS5_0ELb0ES3_jN6thrust23THRUST_200600_302600_NS6detail15normal_iteratorINSA_10device_ptrIiEEEEPS6_SG_NS0_5tupleIJNSA_16discard_iteratorINSA_11use_defaultEEESK_EEENSH_IJSG_SG_EEES6_PlJ7is_evenIiEEEE10hipError_tPvRmT3_T4_T5_T6_T7_T9_mT8_P12ihipStream_tbDpT10_ENKUlT_T0_E_clISt17integral_constantIbLb0EES18_IbLb1EEEEDaS14_S15_EUlS14_E_NS1_11comp_targetILNS1_3genE2ELNS1_11target_archE906ELNS1_3gpuE6ELNS1_3repE0EEENS1_30default_config_static_selectorELNS0_4arch9wavefront6targetE1EEEvT1_
    .private_segment_fixed_size: 0
    .sgpr_count:     4
    .sgpr_spill_count: 0
    .symbol:         _ZN7rocprim17ROCPRIM_400000_NS6detail17trampoline_kernelINS0_14default_configENS1_25partition_config_selectorILNS1_17partition_subalgoE0EiNS0_10empty_typeEbEEZZNS1_14partition_implILS5_0ELb0ES3_jN6thrust23THRUST_200600_302600_NS6detail15normal_iteratorINSA_10device_ptrIiEEEEPS6_SG_NS0_5tupleIJNSA_16discard_iteratorINSA_11use_defaultEEESK_EEENSH_IJSG_SG_EEES6_PlJ7is_evenIiEEEE10hipError_tPvRmT3_T4_T5_T6_T7_T9_mT8_P12ihipStream_tbDpT10_ENKUlT_T0_E_clISt17integral_constantIbLb0EES18_IbLb1EEEEDaS14_S15_EUlS14_E_NS1_11comp_targetILNS1_3genE2ELNS1_11target_archE906ELNS1_3gpuE6ELNS1_3repE0EEENS1_30default_config_static_selectorELNS0_4arch9wavefront6targetE1EEEvT1_.kd
    .uniform_work_group_size: 1
    .uses_dynamic_stack: false
    .vgpr_count:     0
    .vgpr_spill_count: 0
    .wavefront_size: 64
  - .agpr_count:     0
    .args:
      - .offset:         0
        .size:           152
        .value_kind:     by_value
    .group_segment_fixed_size: 0
    .kernarg_segment_align: 8
    .kernarg_segment_size: 152
    .language:       OpenCL C
    .language_version:
      - 2
      - 0
    .max_flat_workgroup_size: 512
    .name:           _ZN7rocprim17ROCPRIM_400000_NS6detail17trampoline_kernelINS0_14default_configENS1_25partition_config_selectorILNS1_17partition_subalgoE0EiNS0_10empty_typeEbEEZZNS1_14partition_implILS5_0ELb0ES3_jN6thrust23THRUST_200600_302600_NS6detail15normal_iteratorINSA_10device_ptrIiEEEEPS6_SG_NS0_5tupleIJNSA_16discard_iteratorINSA_11use_defaultEEESK_EEENSH_IJSG_SG_EEES6_PlJ7is_evenIiEEEE10hipError_tPvRmT3_T4_T5_T6_T7_T9_mT8_P12ihipStream_tbDpT10_ENKUlT_T0_E_clISt17integral_constantIbLb0EES18_IbLb1EEEEDaS14_S15_EUlS14_E_NS1_11comp_targetILNS1_3genE10ELNS1_11target_archE1200ELNS1_3gpuE4ELNS1_3repE0EEENS1_30default_config_static_selectorELNS0_4arch9wavefront6targetE1EEEvT1_
    .private_segment_fixed_size: 0
    .sgpr_count:     4
    .sgpr_spill_count: 0
    .symbol:         _ZN7rocprim17ROCPRIM_400000_NS6detail17trampoline_kernelINS0_14default_configENS1_25partition_config_selectorILNS1_17partition_subalgoE0EiNS0_10empty_typeEbEEZZNS1_14partition_implILS5_0ELb0ES3_jN6thrust23THRUST_200600_302600_NS6detail15normal_iteratorINSA_10device_ptrIiEEEEPS6_SG_NS0_5tupleIJNSA_16discard_iteratorINSA_11use_defaultEEESK_EEENSH_IJSG_SG_EEES6_PlJ7is_evenIiEEEE10hipError_tPvRmT3_T4_T5_T6_T7_T9_mT8_P12ihipStream_tbDpT10_ENKUlT_T0_E_clISt17integral_constantIbLb0EES18_IbLb1EEEEDaS14_S15_EUlS14_E_NS1_11comp_targetILNS1_3genE10ELNS1_11target_archE1200ELNS1_3gpuE4ELNS1_3repE0EEENS1_30default_config_static_selectorELNS0_4arch9wavefront6targetE1EEEvT1_.kd
    .uniform_work_group_size: 1
    .uses_dynamic_stack: false
    .vgpr_count:     0
    .vgpr_spill_count: 0
    .wavefront_size: 64
  - .agpr_count:     0
    .args:
      - .offset:         0
        .size:           152
        .value_kind:     by_value
    .group_segment_fixed_size: 0
    .kernarg_segment_align: 8
    .kernarg_segment_size: 152
    .language:       OpenCL C
    .language_version:
      - 2
      - 0
    .max_flat_workgroup_size: 128
    .name:           _ZN7rocprim17ROCPRIM_400000_NS6detail17trampoline_kernelINS0_14default_configENS1_25partition_config_selectorILNS1_17partition_subalgoE0EiNS0_10empty_typeEbEEZZNS1_14partition_implILS5_0ELb0ES3_jN6thrust23THRUST_200600_302600_NS6detail15normal_iteratorINSA_10device_ptrIiEEEEPS6_SG_NS0_5tupleIJNSA_16discard_iteratorINSA_11use_defaultEEESK_EEENSH_IJSG_SG_EEES6_PlJ7is_evenIiEEEE10hipError_tPvRmT3_T4_T5_T6_T7_T9_mT8_P12ihipStream_tbDpT10_ENKUlT_T0_E_clISt17integral_constantIbLb0EES18_IbLb1EEEEDaS14_S15_EUlS14_E_NS1_11comp_targetILNS1_3genE9ELNS1_11target_archE1100ELNS1_3gpuE3ELNS1_3repE0EEENS1_30default_config_static_selectorELNS0_4arch9wavefront6targetE1EEEvT1_
    .private_segment_fixed_size: 0
    .sgpr_count:     4
    .sgpr_spill_count: 0
    .symbol:         _ZN7rocprim17ROCPRIM_400000_NS6detail17trampoline_kernelINS0_14default_configENS1_25partition_config_selectorILNS1_17partition_subalgoE0EiNS0_10empty_typeEbEEZZNS1_14partition_implILS5_0ELb0ES3_jN6thrust23THRUST_200600_302600_NS6detail15normal_iteratorINSA_10device_ptrIiEEEEPS6_SG_NS0_5tupleIJNSA_16discard_iteratorINSA_11use_defaultEEESK_EEENSH_IJSG_SG_EEES6_PlJ7is_evenIiEEEE10hipError_tPvRmT3_T4_T5_T6_T7_T9_mT8_P12ihipStream_tbDpT10_ENKUlT_T0_E_clISt17integral_constantIbLb0EES18_IbLb1EEEEDaS14_S15_EUlS14_E_NS1_11comp_targetILNS1_3genE9ELNS1_11target_archE1100ELNS1_3gpuE3ELNS1_3repE0EEENS1_30default_config_static_selectorELNS0_4arch9wavefront6targetE1EEEvT1_.kd
    .uniform_work_group_size: 1
    .uses_dynamic_stack: false
    .vgpr_count:     0
    .vgpr_spill_count: 0
    .wavefront_size: 64
  - .agpr_count:     0
    .args:
      - .offset:         0
        .size:           152
        .value_kind:     by_value
    .group_segment_fixed_size: 0
    .kernarg_segment_align: 8
    .kernarg_segment_size: 152
    .language:       OpenCL C
    .language_version:
      - 2
      - 0
    .max_flat_workgroup_size: 512
    .name:           _ZN7rocprim17ROCPRIM_400000_NS6detail17trampoline_kernelINS0_14default_configENS1_25partition_config_selectorILNS1_17partition_subalgoE0EiNS0_10empty_typeEbEEZZNS1_14partition_implILS5_0ELb0ES3_jN6thrust23THRUST_200600_302600_NS6detail15normal_iteratorINSA_10device_ptrIiEEEEPS6_SG_NS0_5tupleIJNSA_16discard_iteratorINSA_11use_defaultEEESK_EEENSH_IJSG_SG_EEES6_PlJ7is_evenIiEEEE10hipError_tPvRmT3_T4_T5_T6_T7_T9_mT8_P12ihipStream_tbDpT10_ENKUlT_T0_E_clISt17integral_constantIbLb0EES18_IbLb1EEEEDaS14_S15_EUlS14_E_NS1_11comp_targetILNS1_3genE8ELNS1_11target_archE1030ELNS1_3gpuE2ELNS1_3repE0EEENS1_30default_config_static_selectorELNS0_4arch9wavefront6targetE1EEEvT1_
    .private_segment_fixed_size: 0
    .sgpr_count:     4
    .sgpr_spill_count: 0
    .symbol:         _ZN7rocprim17ROCPRIM_400000_NS6detail17trampoline_kernelINS0_14default_configENS1_25partition_config_selectorILNS1_17partition_subalgoE0EiNS0_10empty_typeEbEEZZNS1_14partition_implILS5_0ELb0ES3_jN6thrust23THRUST_200600_302600_NS6detail15normal_iteratorINSA_10device_ptrIiEEEEPS6_SG_NS0_5tupleIJNSA_16discard_iteratorINSA_11use_defaultEEESK_EEENSH_IJSG_SG_EEES6_PlJ7is_evenIiEEEE10hipError_tPvRmT3_T4_T5_T6_T7_T9_mT8_P12ihipStream_tbDpT10_ENKUlT_T0_E_clISt17integral_constantIbLb0EES18_IbLb1EEEEDaS14_S15_EUlS14_E_NS1_11comp_targetILNS1_3genE8ELNS1_11target_archE1030ELNS1_3gpuE2ELNS1_3repE0EEENS1_30default_config_static_selectorELNS0_4arch9wavefront6targetE1EEEvT1_.kd
    .uniform_work_group_size: 1
    .uses_dynamic_stack: false
    .vgpr_count:     0
    .vgpr_spill_count: 0
    .wavefront_size: 64
  - .agpr_count:     0
    .args:
      - .offset:         0
        .size:           128
        .value_kind:     by_value
    .group_segment_fixed_size: 0
    .kernarg_segment_align: 8
    .kernarg_segment_size: 128
    .language:       OpenCL C
    .language_version:
      - 2
      - 0
    .max_flat_workgroup_size: 256
    .name:           _ZN7rocprim17ROCPRIM_400000_NS6detail17trampoline_kernelINS0_14default_configENS1_25partition_config_selectorILNS1_17partition_subalgoE0EiNS0_10empty_typeEbEEZZNS1_14partition_implILS5_0ELb0ES3_jN6thrust23THRUST_200600_302600_NS6detail15normal_iteratorINSA_10device_ptrIiEEEEPS6_SG_NS0_5tupleIJSF_NSA_16discard_iteratorINSA_11use_defaultEEEEEENSH_IJSG_SG_EEES6_PlJ7is_evenIiEEEE10hipError_tPvRmT3_T4_T5_T6_T7_T9_mT8_P12ihipStream_tbDpT10_ENKUlT_T0_E_clISt17integral_constantIbLb0EES19_EEDaS14_S15_EUlS14_E_NS1_11comp_targetILNS1_3genE0ELNS1_11target_archE4294967295ELNS1_3gpuE0ELNS1_3repE0EEENS1_30default_config_static_selectorELNS0_4arch9wavefront6targetE1EEEvT1_
    .private_segment_fixed_size: 0
    .sgpr_count:     4
    .sgpr_spill_count: 0
    .symbol:         _ZN7rocprim17ROCPRIM_400000_NS6detail17trampoline_kernelINS0_14default_configENS1_25partition_config_selectorILNS1_17partition_subalgoE0EiNS0_10empty_typeEbEEZZNS1_14partition_implILS5_0ELb0ES3_jN6thrust23THRUST_200600_302600_NS6detail15normal_iteratorINSA_10device_ptrIiEEEEPS6_SG_NS0_5tupleIJSF_NSA_16discard_iteratorINSA_11use_defaultEEEEEENSH_IJSG_SG_EEES6_PlJ7is_evenIiEEEE10hipError_tPvRmT3_T4_T5_T6_T7_T9_mT8_P12ihipStream_tbDpT10_ENKUlT_T0_E_clISt17integral_constantIbLb0EES19_EEDaS14_S15_EUlS14_E_NS1_11comp_targetILNS1_3genE0ELNS1_11target_archE4294967295ELNS1_3gpuE0ELNS1_3repE0EEENS1_30default_config_static_selectorELNS0_4arch9wavefront6targetE1EEEvT1_.kd
    .uniform_work_group_size: 1
    .uses_dynamic_stack: false
    .vgpr_count:     0
    .vgpr_spill_count: 0
    .wavefront_size: 64
  - .agpr_count:     0
    .args:
      - .offset:         0
        .size:           128
        .value_kind:     by_value
    .group_segment_fixed_size: 0
    .kernarg_segment_align: 8
    .kernarg_segment_size: 128
    .language:       OpenCL C
    .language_version:
      - 2
      - 0
    .max_flat_workgroup_size: 512
    .name:           _ZN7rocprim17ROCPRIM_400000_NS6detail17trampoline_kernelINS0_14default_configENS1_25partition_config_selectorILNS1_17partition_subalgoE0EiNS0_10empty_typeEbEEZZNS1_14partition_implILS5_0ELb0ES3_jN6thrust23THRUST_200600_302600_NS6detail15normal_iteratorINSA_10device_ptrIiEEEEPS6_SG_NS0_5tupleIJSF_NSA_16discard_iteratorINSA_11use_defaultEEEEEENSH_IJSG_SG_EEES6_PlJ7is_evenIiEEEE10hipError_tPvRmT3_T4_T5_T6_T7_T9_mT8_P12ihipStream_tbDpT10_ENKUlT_T0_E_clISt17integral_constantIbLb0EES19_EEDaS14_S15_EUlS14_E_NS1_11comp_targetILNS1_3genE5ELNS1_11target_archE942ELNS1_3gpuE9ELNS1_3repE0EEENS1_30default_config_static_selectorELNS0_4arch9wavefront6targetE1EEEvT1_
    .private_segment_fixed_size: 0
    .sgpr_count:     4
    .sgpr_spill_count: 0
    .symbol:         _ZN7rocprim17ROCPRIM_400000_NS6detail17trampoline_kernelINS0_14default_configENS1_25partition_config_selectorILNS1_17partition_subalgoE0EiNS0_10empty_typeEbEEZZNS1_14partition_implILS5_0ELb0ES3_jN6thrust23THRUST_200600_302600_NS6detail15normal_iteratorINSA_10device_ptrIiEEEEPS6_SG_NS0_5tupleIJSF_NSA_16discard_iteratorINSA_11use_defaultEEEEEENSH_IJSG_SG_EEES6_PlJ7is_evenIiEEEE10hipError_tPvRmT3_T4_T5_T6_T7_T9_mT8_P12ihipStream_tbDpT10_ENKUlT_T0_E_clISt17integral_constantIbLb0EES19_EEDaS14_S15_EUlS14_E_NS1_11comp_targetILNS1_3genE5ELNS1_11target_archE942ELNS1_3gpuE9ELNS1_3repE0EEENS1_30default_config_static_selectorELNS0_4arch9wavefront6targetE1EEEvT1_.kd
    .uniform_work_group_size: 1
    .uses_dynamic_stack: false
    .vgpr_count:     0
    .vgpr_spill_count: 0
    .wavefront_size: 64
  - .agpr_count:     0
    .args:
      - .offset:         0
        .size:           128
        .value_kind:     by_value
    .group_segment_fixed_size: 10248
    .kernarg_segment_align: 8
    .kernarg_segment_size: 128
    .language:       OpenCL C
    .language_version:
      - 2
      - 0
    .max_flat_workgroup_size: 256
    .name:           _ZN7rocprim17ROCPRIM_400000_NS6detail17trampoline_kernelINS0_14default_configENS1_25partition_config_selectorILNS1_17partition_subalgoE0EiNS0_10empty_typeEbEEZZNS1_14partition_implILS5_0ELb0ES3_jN6thrust23THRUST_200600_302600_NS6detail15normal_iteratorINSA_10device_ptrIiEEEEPS6_SG_NS0_5tupleIJSF_NSA_16discard_iteratorINSA_11use_defaultEEEEEENSH_IJSG_SG_EEES6_PlJ7is_evenIiEEEE10hipError_tPvRmT3_T4_T5_T6_T7_T9_mT8_P12ihipStream_tbDpT10_ENKUlT_T0_E_clISt17integral_constantIbLb0EES19_EEDaS14_S15_EUlS14_E_NS1_11comp_targetILNS1_3genE4ELNS1_11target_archE910ELNS1_3gpuE8ELNS1_3repE0EEENS1_30default_config_static_selectorELNS0_4arch9wavefront6targetE1EEEvT1_
    .private_segment_fixed_size: 0
    .sgpr_count:     44
    .sgpr_spill_count: 0
    .symbol:         _ZN7rocprim17ROCPRIM_400000_NS6detail17trampoline_kernelINS0_14default_configENS1_25partition_config_selectorILNS1_17partition_subalgoE0EiNS0_10empty_typeEbEEZZNS1_14partition_implILS5_0ELb0ES3_jN6thrust23THRUST_200600_302600_NS6detail15normal_iteratorINSA_10device_ptrIiEEEEPS6_SG_NS0_5tupleIJSF_NSA_16discard_iteratorINSA_11use_defaultEEEEEENSH_IJSG_SG_EEES6_PlJ7is_evenIiEEEE10hipError_tPvRmT3_T4_T5_T6_T7_T9_mT8_P12ihipStream_tbDpT10_ENKUlT_T0_E_clISt17integral_constantIbLb0EES19_EEDaS14_S15_EUlS14_E_NS1_11comp_targetILNS1_3genE4ELNS1_11target_archE910ELNS1_3gpuE8ELNS1_3repE0EEENS1_30default_config_static_selectorELNS0_4arch9wavefront6targetE1EEEvT1_.kd
    .uniform_work_group_size: 1
    .uses_dynamic_stack: false
    .vgpr_count:     54
    .vgpr_spill_count: 0
    .wavefront_size: 64
  - .agpr_count:     0
    .args:
      - .offset:         0
        .size:           128
        .value_kind:     by_value
    .group_segment_fixed_size: 0
    .kernarg_segment_align: 8
    .kernarg_segment_size: 128
    .language:       OpenCL C
    .language_version:
      - 2
      - 0
    .max_flat_workgroup_size: 256
    .name:           _ZN7rocprim17ROCPRIM_400000_NS6detail17trampoline_kernelINS0_14default_configENS1_25partition_config_selectorILNS1_17partition_subalgoE0EiNS0_10empty_typeEbEEZZNS1_14partition_implILS5_0ELb0ES3_jN6thrust23THRUST_200600_302600_NS6detail15normal_iteratorINSA_10device_ptrIiEEEEPS6_SG_NS0_5tupleIJSF_NSA_16discard_iteratorINSA_11use_defaultEEEEEENSH_IJSG_SG_EEES6_PlJ7is_evenIiEEEE10hipError_tPvRmT3_T4_T5_T6_T7_T9_mT8_P12ihipStream_tbDpT10_ENKUlT_T0_E_clISt17integral_constantIbLb0EES19_EEDaS14_S15_EUlS14_E_NS1_11comp_targetILNS1_3genE3ELNS1_11target_archE908ELNS1_3gpuE7ELNS1_3repE0EEENS1_30default_config_static_selectorELNS0_4arch9wavefront6targetE1EEEvT1_
    .private_segment_fixed_size: 0
    .sgpr_count:     4
    .sgpr_spill_count: 0
    .symbol:         _ZN7rocprim17ROCPRIM_400000_NS6detail17trampoline_kernelINS0_14default_configENS1_25partition_config_selectorILNS1_17partition_subalgoE0EiNS0_10empty_typeEbEEZZNS1_14partition_implILS5_0ELb0ES3_jN6thrust23THRUST_200600_302600_NS6detail15normal_iteratorINSA_10device_ptrIiEEEEPS6_SG_NS0_5tupleIJSF_NSA_16discard_iteratorINSA_11use_defaultEEEEEENSH_IJSG_SG_EEES6_PlJ7is_evenIiEEEE10hipError_tPvRmT3_T4_T5_T6_T7_T9_mT8_P12ihipStream_tbDpT10_ENKUlT_T0_E_clISt17integral_constantIbLb0EES19_EEDaS14_S15_EUlS14_E_NS1_11comp_targetILNS1_3genE3ELNS1_11target_archE908ELNS1_3gpuE7ELNS1_3repE0EEENS1_30default_config_static_selectorELNS0_4arch9wavefront6targetE1EEEvT1_.kd
    .uniform_work_group_size: 1
    .uses_dynamic_stack: false
    .vgpr_count:     0
    .vgpr_spill_count: 0
    .wavefront_size: 64
  - .agpr_count:     0
    .args:
      - .offset:         0
        .size:           128
        .value_kind:     by_value
    .group_segment_fixed_size: 0
    .kernarg_segment_align: 8
    .kernarg_segment_size: 128
    .language:       OpenCL C
    .language_version:
      - 2
      - 0
    .max_flat_workgroup_size: 192
    .name:           _ZN7rocprim17ROCPRIM_400000_NS6detail17trampoline_kernelINS0_14default_configENS1_25partition_config_selectorILNS1_17partition_subalgoE0EiNS0_10empty_typeEbEEZZNS1_14partition_implILS5_0ELb0ES3_jN6thrust23THRUST_200600_302600_NS6detail15normal_iteratorINSA_10device_ptrIiEEEEPS6_SG_NS0_5tupleIJSF_NSA_16discard_iteratorINSA_11use_defaultEEEEEENSH_IJSG_SG_EEES6_PlJ7is_evenIiEEEE10hipError_tPvRmT3_T4_T5_T6_T7_T9_mT8_P12ihipStream_tbDpT10_ENKUlT_T0_E_clISt17integral_constantIbLb0EES19_EEDaS14_S15_EUlS14_E_NS1_11comp_targetILNS1_3genE2ELNS1_11target_archE906ELNS1_3gpuE6ELNS1_3repE0EEENS1_30default_config_static_selectorELNS0_4arch9wavefront6targetE1EEEvT1_
    .private_segment_fixed_size: 0
    .sgpr_count:     4
    .sgpr_spill_count: 0
    .symbol:         _ZN7rocprim17ROCPRIM_400000_NS6detail17trampoline_kernelINS0_14default_configENS1_25partition_config_selectorILNS1_17partition_subalgoE0EiNS0_10empty_typeEbEEZZNS1_14partition_implILS5_0ELb0ES3_jN6thrust23THRUST_200600_302600_NS6detail15normal_iteratorINSA_10device_ptrIiEEEEPS6_SG_NS0_5tupleIJSF_NSA_16discard_iteratorINSA_11use_defaultEEEEEENSH_IJSG_SG_EEES6_PlJ7is_evenIiEEEE10hipError_tPvRmT3_T4_T5_T6_T7_T9_mT8_P12ihipStream_tbDpT10_ENKUlT_T0_E_clISt17integral_constantIbLb0EES19_EEDaS14_S15_EUlS14_E_NS1_11comp_targetILNS1_3genE2ELNS1_11target_archE906ELNS1_3gpuE6ELNS1_3repE0EEENS1_30default_config_static_selectorELNS0_4arch9wavefront6targetE1EEEvT1_.kd
    .uniform_work_group_size: 1
    .uses_dynamic_stack: false
    .vgpr_count:     0
    .vgpr_spill_count: 0
    .wavefront_size: 64
  - .agpr_count:     0
    .args:
      - .offset:         0
        .size:           128
        .value_kind:     by_value
    .group_segment_fixed_size: 0
    .kernarg_segment_align: 8
    .kernarg_segment_size: 128
    .language:       OpenCL C
    .language_version:
      - 2
      - 0
    .max_flat_workgroup_size: 512
    .name:           _ZN7rocprim17ROCPRIM_400000_NS6detail17trampoline_kernelINS0_14default_configENS1_25partition_config_selectorILNS1_17partition_subalgoE0EiNS0_10empty_typeEbEEZZNS1_14partition_implILS5_0ELb0ES3_jN6thrust23THRUST_200600_302600_NS6detail15normal_iteratorINSA_10device_ptrIiEEEEPS6_SG_NS0_5tupleIJSF_NSA_16discard_iteratorINSA_11use_defaultEEEEEENSH_IJSG_SG_EEES6_PlJ7is_evenIiEEEE10hipError_tPvRmT3_T4_T5_T6_T7_T9_mT8_P12ihipStream_tbDpT10_ENKUlT_T0_E_clISt17integral_constantIbLb0EES19_EEDaS14_S15_EUlS14_E_NS1_11comp_targetILNS1_3genE10ELNS1_11target_archE1200ELNS1_3gpuE4ELNS1_3repE0EEENS1_30default_config_static_selectorELNS0_4arch9wavefront6targetE1EEEvT1_
    .private_segment_fixed_size: 0
    .sgpr_count:     4
    .sgpr_spill_count: 0
    .symbol:         _ZN7rocprim17ROCPRIM_400000_NS6detail17trampoline_kernelINS0_14default_configENS1_25partition_config_selectorILNS1_17partition_subalgoE0EiNS0_10empty_typeEbEEZZNS1_14partition_implILS5_0ELb0ES3_jN6thrust23THRUST_200600_302600_NS6detail15normal_iteratorINSA_10device_ptrIiEEEEPS6_SG_NS0_5tupleIJSF_NSA_16discard_iteratorINSA_11use_defaultEEEEEENSH_IJSG_SG_EEES6_PlJ7is_evenIiEEEE10hipError_tPvRmT3_T4_T5_T6_T7_T9_mT8_P12ihipStream_tbDpT10_ENKUlT_T0_E_clISt17integral_constantIbLb0EES19_EEDaS14_S15_EUlS14_E_NS1_11comp_targetILNS1_3genE10ELNS1_11target_archE1200ELNS1_3gpuE4ELNS1_3repE0EEENS1_30default_config_static_selectorELNS0_4arch9wavefront6targetE1EEEvT1_.kd
    .uniform_work_group_size: 1
    .uses_dynamic_stack: false
    .vgpr_count:     0
    .vgpr_spill_count: 0
    .wavefront_size: 64
  - .agpr_count:     0
    .args:
      - .offset:         0
        .size:           128
        .value_kind:     by_value
    .group_segment_fixed_size: 0
    .kernarg_segment_align: 8
    .kernarg_segment_size: 128
    .language:       OpenCL C
    .language_version:
      - 2
      - 0
    .max_flat_workgroup_size: 128
    .name:           _ZN7rocprim17ROCPRIM_400000_NS6detail17trampoline_kernelINS0_14default_configENS1_25partition_config_selectorILNS1_17partition_subalgoE0EiNS0_10empty_typeEbEEZZNS1_14partition_implILS5_0ELb0ES3_jN6thrust23THRUST_200600_302600_NS6detail15normal_iteratorINSA_10device_ptrIiEEEEPS6_SG_NS0_5tupleIJSF_NSA_16discard_iteratorINSA_11use_defaultEEEEEENSH_IJSG_SG_EEES6_PlJ7is_evenIiEEEE10hipError_tPvRmT3_T4_T5_T6_T7_T9_mT8_P12ihipStream_tbDpT10_ENKUlT_T0_E_clISt17integral_constantIbLb0EES19_EEDaS14_S15_EUlS14_E_NS1_11comp_targetILNS1_3genE9ELNS1_11target_archE1100ELNS1_3gpuE3ELNS1_3repE0EEENS1_30default_config_static_selectorELNS0_4arch9wavefront6targetE1EEEvT1_
    .private_segment_fixed_size: 0
    .sgpr_count:     4
    .sgpr_spill_count: 0
    .symbol:         _ZN7rocprim17ROCPRIM_400000_NS6detail17trampoline_kernelINS0_14default_configENS1_25partition_config_selectorILNS1_17partition_subalgoE0EiNS0_10empty_typeEbEEZZNS1_14partition_implILS5_0ELb0ES3_jN6thrust23THRUST_200600_302600_NS6detail15normal_iteratorINSA_10device_ptrIiEEEEPS6_SG_NS0_5tupleIJSF_NSA_16discard_iteratorINSA_11use_defaultEEEEEENSH_IJSG_SG_EEES6_PlJ7is_evenIiEEEE10hipError_tPvRmT3_T4_T5_T6_T7_T9_mT8_P12ihipStream_tbDpT10_ENKUlT_T0_E_clISt17integral_constantIbLb0EES19_EEDaS14_S15_EUlS14_E_NS1_11comp_targetILNS1_3genE9ELNS1_11target_archE1100ELNS1_3gpuE3ELNS1_3repE0EEENS1_30default_config_static_selectorELNS0_4arch9wavefront6targetE1EEEvT1_.kd
    .uniform_work_group_size: 1
    .uses_dynamic_stack: false
    .vgpr_count:     0
    .vgpr_spill_count: 0
    .wavefront_size: 64
  - .agpr_count:     0
    .args:
      - .offset:         0
        .size:           128
        .value_kind:     by_value
    .group_segment_fixed_size: 0
    .kernarg_segment_align: 8
    .kernarg_segment_size: 128
    .language:       OpenCL C
    .language_version:
      - 2
      - 0
    .max_flat_workgroup_size: 512
    .name:           _ZN7rocprim17ROCPRIM_400000_NS6detail17trampoline_kernelINS0_14default_configENS1_25partition_config_selectorILNS1_17partition_subalgoE0EiNS0_10empty_typeEbEEZZNS1_14partition_implILS5_0ELb0ES3_jN6thrust23THRUST_200600_302600_NS6detail15normal_iteratorINSA_10device_ptrIiEEEEPS6_SG_NS0_5tupleIJSF_NSA_16discard_iteratorINSA_11use_defaultEEEEEENSH_IJSG_SG_EEES6_PlJ7is_evenIiEEEE10hipError_tPvRmT3_T4_T5_T6_T7_T9_mT8_P12ihipStream_tbDpT10_ENKUlT_T0_E_clISt17integral_constantIbLb0EES19_EEDaS14_S15_EUlS14_E_NS1_11comp_targetILNS1_3genE8ELNS1_11target_archE1030ELNS1_3gpuE2ELNS1_3repE0EEENS1_30default_config_static_selectorELNS0_4arch9wavefront6targetE1EEEvT1_
    .private_segment_fixed_size: 0
    .sgpr_count:     4
    .sgpr_spill_count: 0
    .symbol:         _ZN7rocprim17ROCPRIM_400000_NS6detail17trampoline_kernelINS0_14default_configENS1_25partition_config_selectorILNS1_17partition_subalgoE0EiNS0_10empty_typeEbEEZZNS1_14partition_implILS5_0ELb0ES3_jN6thrust23THRUST_200600_302600_NS6detail15normal_iteratorINSA_10device_ptrIiEEEEPS6_SG_NS0_5tupleIJSF_NSA_16discard_iteratorINSA_11use_defaultEEEEEENSH_IJSG_SG_EEES6_PlJ7is_evenIiEEEE10hipError_tPvRmT3_T4_T5_T6_T7_T9_mT8_P12ihipStream_tbDpT10_ENKUlT_T0_E_clISt17integral_constantIbLb0EES19_EEDaS14_S15_EUlS14_E_NS1_11comp_targetILNS1_3genE8ELNS1_11target_archE1030ELNS1_3gpuE2ELNS1_3repE0EEENS1_30default_config_static_selectorELNS0_4arch9wavefront6targetE1EEEvT1_.kd
    .uniform_work_group_size: 1
    .uses_dynamic_stack: false
    .vgpr_count:     0
    .vgpr_spill_count: 0
    .wavefront_size: 64
  - .agpr_count:     0
    .args:
      - .offset:         0
        .size:           144
        .value_kind:     by_value
    .group_segment_fixed_size: 0
    .kernarg_segment_align: 8
    .kernarg_segment_size: 144
    .language:       OpenCL C
    .language_version:
      - 2
      - 0
    .max_flat_workgroup_size: 256
    .name:           _ZN7rocprim17ROCPRIM_400000_NS6detail17trampoline_kernelINS0_14default_configENS1_25partition_config_selectorILNS1_17partition_subalgoE0EiNS0_10empty_typeEbEEZZNS1_14partition_implILS5_0ELb0ES3_jN6thrust23THRUST_200600_302600_NS6detail15normal_iteratorINSA_10device_ptrIiEEEEPS6_SG_NS0_5tupleIJSF_NSA_16discard_iteratorINSA_11use_defaultEEEEEENSH_IJSG_SG_EEES6_PlJ7is_evenIiEEEE10hipError_tPvRmT3_T4_T5_T6_T7_T9_mT8_P12ihipStream_tbDpT10_ENKUlT_T0_E_clISt17integral_constantIbLb1EES19_EEDaS14_S15_EUlS14_E_NS1_11comp_targetILNS1_3genE0ELNS1_11target_archE4294967295ELNS1_3gpuE0ELNS1_3repE0EEENS1_30default_config_static_selectorELNS0_4arch9wavefront6targetE1EEEvT1_
    .private_segment_fixed_size: 0
    .sgpr_count:     4
    .sgpr_spill_count: 0
    .symbol:         _ZN7rocprim17ROCPRIM_400000_NS6detail17trampoline_kernelINS0_14default_configENS1_25partition_config_selectorILNS1_17partition_subalgoE0EiNS0_10empty_typeEbEEZZNS1_14partition_implILS5_0ELb0ES3_jN6thrust23THRUST_200600_302600_NS6detail15normal_iteratorINSA_10device_ptrIiEEEEPS6_SG_NS0_5tupleIJSF_NSA_16discard_iteratorINSA_11use_defaultEEEEEENSH_IJSG_SG_EEES6_PlJ7is_evenIiEEEE10hipError_tPvRmT3_T4_T5_T6_T7_T9_mT8_P12ihipStream_tbDpT10_ENKUlT_T0_E_clISt17integral_constantIbLb1EES19_EEDaS14_S15_EUlS14_E_NS1_11comp_targetILNS1_3genE0ELNS1_11target_archE4294967295ELNS1_3gpuE0ELNS1_3repE0EEENS1_30default_config_static_selectorELNS0_4arch9wavefront6targetE1EEEvT1_.kd
    .uniform_work_group_size: 1
    .uses_dynamic_stack: false
    .vgpr_count:     0
    .vgpr_spill_count: 0
    .wavefront_size: 64
  - .agpr_count:     0
    .args:
      - .offset:         0
        .size:           144
        .value_kind:     by_value
    .group_segment_fixed_size: 0
    .kernarg_segment_align: 8
    .kernarg_segment_size: 144
    .language:       OpenCL C
    .language_version:
      - 2
      - 0
    .max_flat_workgroup_size: 512
    .name:           _ZN7rocprim17ROCPRIM_400000_NS6detail17trampoline_kernelINS0_14default_configENS1_25partition_config_selectorILNS1_17partition_subalgoE0EiNS0_10empty_typeEbEEZZNS1_14partition_implILS5_0ELb0ES3_jN6thrust23THRUST_200600_302600_NS6detail15normal_iteratorINSA_10device_ptrIiEEEEPS6_SG_NS0_5tupleIJSF_NSA_16discard_iteratorINSA_11use_defaultEEEEEENSH_IJSG_SG_EEES6_PlJ7is_evenIiEEEE10hipError_tPvRmT3_T4_T5_T6_T7_T9_mT8_P12ihipStream_tbDpT10_ENKUlT_T0_E_clISt17integral_constantIbLb1EES19_EEDaS14_S15_EUlS14_E_NS1_11comp_targetILNS1_3genE5ELNS1_11target_archE942ELNS1_3gpuE9ELNS1_3repE0EEENS1_30default_config_static_selectorELNS0_4arch9wavefront6targetE1EEEvT1_
    .private_segment_fixed_size: 0
    .sgpr_count:     4
    .sgpr_spill_count: 0
    .symbol:         _ZN7rocprim17ROCPRIM_400000_NS6detail17trampoline_kernelINS0_14default_configENS1_25partition_config_selectorILNS1_17partition_subalgoE0EiNS0_10empty_typeEbEEZZNS1_14partition_implILS5_0ELb0ES3_jN6thrust23THRUST_200600_302600_NS6detail15normal_iteratorINSA_10device_ptrIiEEEEPS6_SG_NS0_5tupleIJSF_NSA_16discard_iteratorINSA_11use_defaultEEEEEENSH_IJSG_SG_EEES6_PlJ7is_evenIiEEEE10hipError_tPvRmT3_T4_T5_T6_T7_T9_mT8_P12ihipStream_tbDpT10_ENKUlT_T0_E_clISt17integral_constantIbLb1EES19_EEDaS14_S15_EUlS14_E_NS1_11comp_targetILNS1_3genE5ELNS1_11target_archE942ELNS1_3gpuE9ELNS1_3repE0EEENS1_30default_config_static_selectorELNS0_4arch9wavefront6targetE1EEEvT1_.kd
    .uniform_work_group_size: 1
    .uses_dynamic_stack: false
    .vgpr_count:     0
    .vgpr_spill_count: 0
    .wavefront_size: 64
  - .agpr_count:     0
    .args:
      - .offset:         0
        .size:           144
        .value_kind:     by_value
    .group_segment_fixed_size: 10248
    .kernarg_segment_align: 8
    .kernarg_segment_size: 144
    .language:       OpenCL C
    .language_version:
      - 2
      - 0
    .max_flat_workgroup_size: 256
    .name:           _ZN7rocprim17ROCPRIM_400000_NS6detail17trampoline_kernelINS0_14default_configENS1_25partition_config_selectorILNS1_17partition_subalgoE0EiNS0_10empty_typeEbEEZZNS1_14partition_implILS5_0ELb0ES3_jN6thrust23THRUST_200600_302600_NS6detail15normal_iteratorINSA_10device_ptrIiEEEEPS6_SG_NS0_5tupleIJSF_NSA_16discard_iteratorINSA_11use_defaultEEEEEENSH_IJSG_SG_EEES6_PlJ7is_evenIiEEEE10hipError_tPvRmT3_T4_T5_T6_T7_T9_mT8_P12ihipStream_tbDpT10_ENKUlT_T0_E_clISt17integral_constantIbLb1EES19_EEDaS14_S15_EUlS14_E_NS1_11comp_targetILNS1_3genE4ELNS1_11target_archE910ELNS1_3gpuE8ELNS1_3repE0EEENS1_30default_config_static_selectorELNS0_4arch9wavefront6targetE1EEEvT1_
    .private_segment_fixed_size: 0
    .sgpr_count:     44
    .sgpr_spill_count: 0
    .symbol:         _ZN7rocprim17ROCPRIM_400000_NS6detail17trampoline_kernelINS0_14default_configENS1_25partition_config_selectorILNS1_17partition_subalgoE0EiNS0_10empty_typeEbEEZZNS1_14partition_implILS5_0ELb0ES3_jN6thrust23THRUST_200600_302600_NS6detail15normal_iteratorINSA_10device_ptrIiEEEEPS6_SG_NS0_5tupleIJSF_NSA_16discard_iteratorINSA_11use_defaultEEEEEENSH_IJSG_SG_EEES6_PlJ7is_evenIiEEEE10hipError_tPvRmT3_T4_T5_T6_T7_T9_mT8_P12ihipStream_tbDpT10_ENKUlT_T0_E_clISt17integral_constantIbLb1EES19_EEDaS14_S15_EUlS14_E_NS1_11comp_targetILNS1_3genE4ELNS1_11target_archE910ELNS1_3gpuE8ELNS1_3repE0EEENS1_30default_config_static_selectorELNS0_4arch9wavefront6targetE1EEEvT1_.kd
    .uniform_work_group_size: 1
    .uses_dynamic_stack: false
    .vgpr_count:     56
    .vgpr_spill_count: 0
    .wavefront_size: 64
  - .agpr_count:     0
    .args:
      - .offset:         0
        .size:           144
        .value_kind:     by_value
    .group_segment_fixed_size: 0
    .kernarg_segment_align: 8
    .kernarg_segment_size: 144
    .language:       OpenCL C
    .language_version:
      - 2
      - 0
    .max_flat_workgroup_size: 256
    .name:           _ZN7rocprim17ROCPRIM_400000_NS6detail17trampoline_kernelINS0_14default_configENS1_25partition_config_selectorILNS1_17partition_subalgoE0EiNS0_10empty_typeEbEEZZNS1_14partition_implILS5_0ELb0ES3_jN6thrust23THRUST_200600_302600_NS6detail15normal_iteratorINSA_10device_ptrIiEEEEPS6_SG_NS0_5tupleIJSF_NSA_16discard_iteratorINSA_11use_defaultEEEEEENSH_IJSG_SG_EEES6_PlJ7is_evenIiEEEE10hipError_tPvRmT3_T4_T5_T6_T7_T9_mT8_P12ihipStream_tbDpT10_ENKUlT_T0_E_clISt17integral_constantIbLb1EES19_EEDaS14_S15_EUlS14_E_NS1_11comp_targetILNS1_3genE3ELNS1_11target_archE908ELNS1_3gpuE7ELNS1_3repE0EEENS1_30default_config_static_selectorELNS0_4arch9wavefront6targetE1EEEvT1_
    .private_segment_fixed_size: 0
    .sgpr_count:     4
    .sgpr_spill_count: 0
    .symbol:         _ZN7rocprim17ROCPRIM_400000_NS6detail17trampoline_kernelINS0_14default_configENS1_25partition_config_selectorILNS1_17partition_subalgoE0EiNS0_10empty_typeEbEEZZNS1_14partition_implILS5_0ELb0ES3_jN6thrust23THRUST_200600_302600_NS6detail15normal_iteratorINSA_10device_ptrIiEEEEPS6_SG_NS0_5tupleIJSF_NSA_16discard_iteratorINSA_11use_defaultEEEEEENSH_IJSG_SG_EEES6_PlJ7is_evenIiEEEE10hipError_tPvRmT3_T4_T5_T6_T7_T9_mT8_P12ihipStream_tbDpT10_ENKUlT_T0_E_clISt17integral_constantIbLb1EES19_EEDaS14_S15_EUlS14_E_NS1_11comp_targetILNS1_3genE3ELNS1_11target_archE908ELNS1_3gpuE7ELNS1_3repE0EEENS1_30default_config_static_selectorELNS0_4arch9wavefront6targetE1EEEvT1_.kd
    .uniform_work_group_size: 1
    .uses_dynamic_stack: false
    .vgpr_count:     0
    .vgpr_spill_count: 0
    .wavefront_size: 64
  - .agpr_count:     0
    .args:
      - .offset:         0
        .size:           144
        .value_kind:     by_value
    .group_segment_fixed_size: 0
    .kernarg_segment_align: 8
    .kernarg_segment_size: 144
    .language:       OpenCL C
    .language_version:
      - 2
      - 0
    .max_flat_workgroup_size: 192
    .name:           _ZN7rocprim17ROCPRIM_400000_NS6detail17trampoline_kernelINS0_14default_configENS1_25partition_config_selectorILNS1_17partition_subalgoE0EiNS0_10empty_typeEbEEZZNS1_14partition_implILS5_0ELb0ES3_jN6thrust23THRUST_200600_302600_NS6detail15normal_iteratorINSA_10device_ptrIiEEEEPS6_SG_NS0_5tupleIJSF_NSA_16discard_iteratorINSA_11use_defaultEEEEEENSH_IJSG_SG_EEES6_PlJ7is_evenIiEEEE10hipError_tPvRmT3_T4_T5_T6_T7_T9_mT8_P12ihipStream_tbDpT10_ENKUlT_T0_E_clISt17integral_constantIbLb1EES19_EEDaS14_S15_EUlS14_E_NS1_11comp_targetILNS1_3genE2ELNS1_11target_archE906ELNS1_3gpuE6ELNS1_3repE0EEENS1_30default_config_static_selectorELNS0_4arch9wavefront6targetE1EEEvT1_
    .private_segment_fixed_size: 0
    .sgpr_count:     4
    .sgpr_spill_count: 0
    .symbol:         _ZN7rocprim17ROCPRIM_400000_NS6detail17trampoline_kernelINS0_14default_configENS1_25partition_config_selectorILNS1_17partition_subalgoE0EiNS0_10empty_typeEbEEZZNS1_14partition_implILS5_0ELb0ES3_jN6thrust23THRUST_200600_302600_NS6detail15normal_iteratorINSA_10device_ptrIiEEEEPS6_SG_NS0_5tupleIJSF_NSA_16discard_iteratorINSA_11use_defaultEEEEEENSH_IJSG_SG_EEES6_PlJ7is_evenIiEEEE10hipError_tPvRmT3_T4_T5_T6_T7_T9_mT8_P12ihipStream_tbDpT10_ENKUlT_T0_E_clISt17integral_constantIbLb1EES19_EEDaS14_S15_EUlS14_E_NS1_11comp_targetILNS1_3genE2ELNS1_11target_archE906ELNS1_3gpuE6ELNS1_3repE0EEENS1_30default_config_static_selectorELNS0_4arch9wavefront6targetE1EEEvT1_.kd
    .uniform_work_group_size: 1
    .uses_dynamic_stack: false
    .vgpr_count:     0
    .vgpr_spill_count: 0
    .wavefront_size: 64
  - .agpr_count:     0
    .args:
      - .offset:         0
        .size:           144
        .value_kind:     by_value
    .group_segment_fixed_size: 0
    .kernarg_segment_align: 8
    .kernarg_segment_size: 144
    .language:       OpenCL C
    .language_version:
      - 2
      - 0
    .max_flat_workgroup_size: 512
    .name:           _ZN7rocprim17ROCPRIM_400000_NS6detail17trampoline_kernelINS0_14default_configENS1_25partition_config_selectorILNS1_17partition_subalgoE0EiNS0_10empty_typeEbEEZZNS1_14partition_implILS5_0ELb0ES3_jN6thrust23THRUST_200600_302600_NS6detail15normal_iteratorINSA_10device_ptrIiEEEEPS6_SG_NS0_5tupleIJSF_NSA_16discard_iteratorINSA_11use_defaultEEEEEENSH_IJSG_SG_EEES6_PlJ7is_evenIiEEEE10hipError_tPvRmT3_T4_T5_T6_T7_T9_mT8_P12ihipStream_tbDpT10_ENKUlT_T0_E_clISt17integral_constantIbLb1EES19_EEDaS14_S15_EUlS14_E_NS1_11comp_targetILNS1_3genE10ELNS1_11target_archE1200ELNS1_3gpuE4ELNS1_3repE0EEENS1_30default_config_static_selectorELNS0_4arch9wavefront6targetE1EEEvT1_
    .private_segment_fixed_size: 0
    .sgpr_count:     4
    .sgpr_spill_count: 0
    .symbol:         _ZN7rocprim17ROCPRIM_400000_NS6detail17trampoline_kernelINS0_14default_configENS1_25partition_config_selectorILNS1_17partition_subalgoE0EiNS0_10empty_typeEbEEZZNS1_14partition_implILS5_0ELb0ES3_jN6thrust23THRUST_200600_302600_NS6detail15normal_iteratorINSA_10device_ptrIiEEEEPS6_SG_NS0_5tupleIJSF_NSA_16discard_iteratorINSA_11use_defaultEEEEEENSH_IJSG_SG_EEES6_PlJ7is_evenIiEEEE10hipError_tPvRmT3_T4_T5_T6_T7_T9_mT8_P12ihipStream_tbDpT10_ENKUlT_T0_E_clISt17integral_constantIbLb1EES19_EEDaS14_S15_EUlS14_E_NS1_11comp_targetILNS1_3genE10ELNS1_11target_archE1200ELNS1_3gpuE4ELNS1_3repE0EEENS1_30default_config_static_selectorELNS0_4arch9wavefront6targetE1EEEvT1_.kd
    .uniform_work_group_size: 1
    .uses_dynamic_stack: false
    .vgpr_count:     0
    .vgpr_spill_count: 0
    .wavefront_size: 64
  - .agpr_count:     0
    .args:
      - .offset:         0
        .size:           144
        .value_kind:     by_value
    .group_segment_fixed_size: 0
    .kernarg_segment_align: 8
    .kernarg_segment_size: 144
    .language:       OpenCL C
    .language_version:
      - 2
      - 0
    .max_flat_workgroup_size: 128
    .name:           _ZN7rocprim17ROCPRIM_400000_NS6detail17trampoline_kernelINS0_14default_configENS1_25partition_config_selectorILNS1_17partition_subalgoE0EiNS0_10empty_typeEbEEZZNS1_14partition_implILS5_0ELb0ES3_jN6thrust23THRUST_200600_302600_NS6detail15normal_iteratorINSA_10device_ptrIiEEEEPS6_SG_NS0_5tupleIJSF_NSA_16discard_iteratorINSA_11use_defaultEEEEEENSH_IJSG_SG_EEES6_PlJ7is_evenIiEEEE10hipError_tPvRmT3_T4_T5_T6_T7_T9_mT8_P12ihipStream_tbDpT10_ENKUlT_T0_E_clISt17integral_constantIbLb1EES19_EEDaS14_S15_EUlS14_E_NS1_11comp_targetILNS1_3genE9ELNS1_11target_archE1100ELNS1_3gpuE3ELNS1_3repE0EEENS1_30default_config_static_selectorELNS0_4arch9wavefront6targetE1EEEvT1_
    .private_segment_fixed_size: 0
    .sgpr_count:     4
    .sgpr_spill_count: 0
    .symbol:         _ZN7rocprim17ROCPRIM_400000_NS6detail17trampoline_kernelINS0_14default_configENS1_25partition_config_selectorILNS1_17partition_subalgoE0EiNS0_10empty_typeEbEEZZNS1_14partition_implILS5_0ELb0ES3_jN6thrust23THRUST_200600_302600_NS6detail15normal_iteratorINSA_10device_ptrIiEEEEPS6_SG_NS0_5tupleIJSF_NSA_16discard_iteratorINSA_11use_defaultEEEEEENSH_IJSG_SG_EEES6_PlJ7is_evenIiEEEE10hipError_tPvRmT3_T4_T5_T6_T7_T9_mT8_P12ihipStream_tbDpT10_ENKUlT_T0_E_clISt17integral_constantIbLb1EES19_EEDaS14_S15_EUlS14_E_NS1_11comp_targetILNS1_3genE9ELNS1_11target_archE1100ELNS1_3gpuE3ELNS1_3repE0EEENS1_30default_config_static_selectorELNS0_4arch9wavefront6targetE1EEEvT1_.kd
    .uniform_work_group_size: 1
    .uses_dynamic_stack: false
    .vgpr_count:     0
    .vgpr_spill_count: 0
    .wavefront_size: 64
  - .agpr_count:     0
    .args:
      - .offset:         0
        .size:           144
        .value_kind:     by_value
    .group_segment_fixed_size: 0
    .kernarg_segment_align: 8
    .kernarg_segment_size: 144
    .language:       OpenCL C
    .language_version:
      - 2
      - 0
    .max_flat_workgroup_size: 512
    .name:           _ZN7rocprim17ROCPRIM_400000_NS6detail17trampoline_kernelINS0_14default_configENS1_25partition_config_selectorILNS1_17partition_subalgoE0EiNS0_10empty_typeEbEEZZNS1_14partition_implILS5_0ELb0ES3_jN6thrust23THRUST_200600_302600_NS6detail15normal_iteratorINSA_10device_ptrIiEEEEPS6_SG_NS0_5tupleIJSF_NSA_16discard_iteratorINSA_11use_defaultEEEEEENSH_IJSG_SG_EEES6_PlJ7is_evenIiEEEE10hipError_tPvRmT3_T4_T5_T6_T7_T9_mT8_P12ihipStream_tbDpT10_ENKUlT_T0_E_clISt17integral_constantIbLb1EES19_EEDaS14_S15_EUlS14_E_NS1_11comp_targetILNS1_3genE8ELNS1_11target_archE1030ELNS1_3gpuE2ELNS1_3repE0EEENS1_30default_config_static_selectorELNS0_4arch9wavefront6targetE1EEEvT1_
    .private_segment_fixed_size: 0
    .sgpr_count:     4
    .sgpr_spill_count: 0
    .symbol:         _ZN7rocprim17ROCPRIM_400000_NS6detail17trampoline_kernelINS0_14default_configENS1_25partition_config_selectorILNS1_17partition_subalgoE0EiNS0_10empty_typeEbEEZZNS1_14partition_implILS5_0ELb0ES3_jN6thrust23THRUST_200600_302600_NS6detail15normal_iteratorINSA_10device_ptrIiEEEEPS6_SG_NS0_5tupleIJSF_NSA_16discard_iteratorINSA_11use_defaultEEEEEENSH_IJSG_SG_EEES6_PlJ7is_evenIiEEEE10hipError_tPvRmT3_T4_T5_T6_T7_T9_mT8_P12ihipStream_tbDpT10_ENKUlT_T0_E_clISt17integral_constantIbLb1EES19_EEDaS14_S15_EUlS14_E_NS1_11comp_targetILNS1_3genE8ELNS1_11target_archE1030ELNS1_3gpuE2ELNS1_3repE0EEENS1_30default_config_static_selectorELNS0_4arch9wavefront6targetE1EEEvT1_.kd
    .uniform_work_group_size: 1
    .uses_dynamic_stack: false
    .vgpr_count:     0
    .vgpr_spill_count: 0
    .wavefront_size: 64
  - .agpr_count:     0
    .args:
      - .offset:         0
        .size:           128
        .value_kind:     by_value
    .group_segment_fixed_size: 0
    .kernarg_segment_align: 8
    .kernarg_segment_size: 128
    .language:       OpenCL C
    .language_version:
      - 2
      - 0
    .max_flat_workgroup_size: 256
    .name:           _ZN7rocprim17ROCPRIM_400000_NS6detail17trampoline_kernelINS0_14default_configENS1_25partition_config_selectorILNS1_17partition_subalgoE0EiNS0_10empty_typeEbEEZZNS1_14partition_implILS5_0ELb0ES3_jN6thrust23THRUST_200600_302600_NS6detail15normal_iteratorINSA_10device_ptrIiEEEEPS6_SG_NS0_5tupleIJSF_NSA_16discard_iteratorINSA_11use_defaultEEEEEENSH_IJSG_SG_EEES6_PlJ7is_evenIiEEEE10hipError_tPvRmT3_T4_T5_T6_T7_T9_mT8_P12ihipStream_tbDpT10_ENKUlT_T0_E_clISt17integral_constantIbLb1EES18_IbLb0EEEEDaS14_S15_EUlS14_E_NS1_11comp_targetILNS1_3genE0ELNS1_11target_archE4294967295ELNS1_3gpuE0ELNS1_3repE0EEENS1_30default_config_static_selectorELNS0_4arch9wavefront6targetE1EEEvT1_
    .private_segment_fixed_size: 0
    .sgpr_count:     4
    .sgpr_spill_count: 0
    .symbol:         _ZN7rocprim17ROCPRIM_400000_NS6detail17trampoline_kernelINS0_14default_configENS1_25partition_config_selectorILNS1_17partition_subalgoE0EiNS0_10empty_typeEbEEZZNS1_14partition_implILS5_0ELb0ES3_jN6thrust23THRUST_200600_302600_NS6detail15normal_iteratorINSA_10device_ptrIiEEEEPS6_SG_NS0_5tupleIJSF_NSA_16discard_iteratorINSA_11use_defaultEEEEEENSH_IJSG_SG_EEES6_PlJ7is_evenIiEEEE10hipError_tPvRmT3_T4_T5_T6_T7_T9_mT8_P12ihipStream_tbDpT10_ENKUlT_T0_E_clISt17integral_constantIbLb1EES18_IbLb0EEEEDaS14_S15_EUlS14_E_NS1_11comp_targetILNS1_3genE0ELNS1_11target_archE4294967295ELNS1_3gpuE0ELNS1_3repE0EEENS1_30default_config_static_selectorELNS0_4arch9wavefront6targetE1EEEvT1_.kd
    .uniform_work_group_size: 1
    .uses_dynamic_stack: false
    .vgpr_count:     0
    .vgpr_spill_count: 0
    .wavefront_size: 64
  - .agpr_count:     0
    .args:
      - .offset:         0
        .size:           128
        .value_kind:     by_value
    .group_segment_fixed_size: 0
    .kernarg_segment_align: 8
    .kernarg_segment_size: 128
    .language:       OpenCL C
    .language_version:
      - 2
      - 0
    .max_flat_workgroup_size: 512
    .name:           _ZN7rocprim17ROCPRIM_400000_NS6detail17trampoline_kernelINS0_14default_configENS1_25partition_config_selectorILNS1_17partition_subalgoE0EiNS0_10empty_typeEbEEZZNS1_14partition_implILS5_0ELb0ES3_jN6thrust23THRUST_200600_302600_NS6detail15normal_iteratorINSA_10device_ptrIiEEEEPS6_SG_NS0_5tupleIJSF_NSA_16discard_iteratorINSA_11use_defaultEEEEEENSH_IJSG_SG_EEES6_PlJ7is_evenIiEEEE10hipError_tPvRmT3_T4_T5_T6_T7_T9_mT8_P12ihipStream_tbDpT10_ENKUlT_T0_E_clISt17integral_constantIbLb1EES18_IbLb0EEEEDaS14_S15_EUlS14_E_NS1_11comp_targetILNS1_3genE5ELNS1_11target_archE942ELNS1_3gpuE9ELNS1_3repE0EEENS1_30default_config_static_selectorELNS0_4arch9wavefront6targetE1EEEvT1_
    .private_segment_fixed_size: 0
    .sgpr_count:     4
    .sgpr_spill_count: 0
    .symbol:         _ZN7rocprim17ROCPRIM_400000_NS6detail17trampoline_kernelINS0_14default_configENS1_25partition_config_selectorILNS1_17partition_subalgoE0EiNS0_10empty_typeEbEEZZNS1_14partition_implILS5_0ELb0ES3_jN6thrust23THRUST_200600_302600_NS6detail15normal_iteratorINSA_10device_ptrIiEEEEPS6_SG_NS0_5tupleIJSF_NSA_16discard_iteratorINSA_11use_defaultEEEEEENSH_IJSG_SG_EEES6_PlJ7is_evenIiEEEE10hipError_tPvRmT3_T4_T5_T6_T7_T9_mT8_P12ihipStream_tbDpT10_ENKUlT_T0_E_clISt17integral_constantIbLb1EES18_IbLb0EEEEDaS14_S15_EUlS14_E_NS1_11comp_targetILNS1_3genE5ELNS1_11target_archE942ELNS1_3gpuE9ELNS1_3repE0EEENS1_30default_config_static_selectorELNS0_4arch9wavefront6targetE1EEEvT1_.kd
    .uniform_work_group_size: 1
    .uses_dynamic_stack: false
    .vgpr_count:     0
    .vgpr_spill_count: 0
    .wavefront_size: 64
  - .agpr_count:     0
    .args:
      - .offset:         0
        .size:           128
        .value_kind:     by_value
    .group_segment_fixed_size: 10248
    .kernarg_segment_align: 8
    .kernarg_segment_size: 128
    .language:       OpenCL C
    .language_version:
      - 2
      - 0
    .max_flat_workgroup_size: 256
    .name:           _ZN7rocprim17ROCPRIM_400000_NS6detail17trampoline_kernelINS0_14default_configENS1_25partition_config_selectorILNS1_17partition_subalgoE0EiNS0_10empty_typeEbEEZZNS1_14partition_implILS5_0ELb0ES3_jN6thrust23THRUST_200600_302600_NS6detail15normal_iteratorINSA_10device_ptrIiEEEEPS6_SG_NS0_5tupleIJSF_NSA_16discard_iteratorINSA_11use_defaultEEEEEENSH_IJSG_SG_EEES6_PlJ7is_evenIiEEEE10hipError_tPvRmT3_T4_T5_T6_T7_T9_mT8_P12ihipStream_tbDpT10_ENKUlT_T0_E_clISt17integral_constantIbLb1EES18_IbLb0EEEEDaS14_S15_EUlS14_E_NS1_11comp_targetILNS1_3genE4ELNS1_11target_archE910ELNS1_3gpuE8ELNS1_3repE0EEENS1_30default_config_static_selectorELNS0_4arch9wavefront6targetE1EEEvT1_
    .private_segment_fixed_size: 0
    .sgpr_count:     44
    .sgpr_spill_count: 0
    .symbol:         _ZN7rocprim17ROCPRIM_400000_NS6detail17trampoline_kernelINS0_14default_configENS1_25partition_config_selectorILNS1_17partition_subalgoE0EiNS0_10empty_typeEbEEZZNS1_14partition_implILS5_0ELb0ES3_jN6thrust23THRUST_200600_302600_NS6detail15normal_iteratorINSA_10device_ptrIiEEEEPS6_SG_NS0_5tupleIJSF_NSA_16discard_iteratorINSA_11use_defaultEEEEEENSH_IJSG_SG_EEES6_PlJ7is_evenIiEEEE10hipError_tPvRmT3_T4_T5_T6_T7_T9_mT8_P12ihipStream_tbDpT10_ENKUlT_T0_E_clISt17integral_constantIbLb1EES18_IbLb0EEEEDaS14_S15_EUlS14_E_NS1_11comp_targetILNS1_3genE4ELNS1_11target_archE910ELNS1_3gpuE8ELNS1_3repE0EEENS1_30default_config_static_selectorELNS0_4arch9wavefront6targetE1EEEvT1_.kd
    .uniform_work_group_size: 1
    .uses_dynamic_stack: false
    .vgpr_count:     54
    .vgpr_spill_count: 0
    .wavefront_size: 64
  - .agpr_count:     0
    .args:
      - .offset:         0
        .size:           128
        .value_kind:     by_value
    .group_segment_fixed_size: 0
    .kernarg_segment_align: 8
    .kernarg_segment_size: 128
    .language:       OpenCL C
    .language_version:
      - 2
      - 0
    .max_flat_workgroup_size: 256
    .name:           _ZN7rocprim17ROCPRIM_400000_NS6detail17trampoline_kernelINS0_14default_configENS1_25partition_config_selectorILNS1_17partition_subalgoE0EiNS0_10empty_typeEbEEZZNS1_14partition_implILS5_0ELb0ES3_jN6thrust23THRUST_200600_302600_NS6detail15normal_iteratorINSA_10device_ptrIiEEEEPS6_SG_NS0_5tupleIJSF_NSA_16discard_iteratorINSA_11use_defaultEEEEEENSH_IJSG_SG_EEES6_PlJ7is_evenIiEEEE10hipError_tPvRmT3_T4_T5_T6_T7_T9_mT8_P12ihipStream_tbDpT10_ENKUlT_T0_E_clISt17integral_constantIbLb1EES18_IbLb0EEEEDaS14_S15_EUlS14_E_NS1_11comp_targetILNS1_3genE3ELNS1_11target_archE908ELNS1_3gpuE7ELNS1_3repE0EEENS1_30default_config_static_selectorELNS0_4arch9wavefront6targetE1EEEvT1_
    .private_segment_fixed_size: 0
    .sgpr_count:     4
    .sgpr_spill_count: 0
    .symbol:         _ZN7rocprim17ROCPRIM_400000_NS6detail17trampoline_kernelINS0_14default_configENS1_25partition_config_selectorILNS1_17partition_subalgoE0EiNS0_10empty_typeEbEEZZNS1_14partition_implILS5_0ELb0ES3_jN6thrust23THRUST_200600_302600_NS6detail15normal_iteratorINSA_10device_ptrIiEEEEPS6_SG_NS0_5tupleIJSF_NSA_16discard_iteratorINSA_11use_defaultEEEEEENSH_IJSG_SG_EEES6_PlJ7is_evenIiEEEE10hipError_tPvRmT3_T4_T5_T6_T7_T9_mT8_P12ihipStream_tbDpT10_ENKUlT_T0_E_clISt17integral_constantIbLb1EES18_IbLb0EEEEDaS14_S15_EUlS14_E_NS1_11comp_targetILNS1_3genE3ELNS1_11target_archE908ELNS1_3gpuE7ELNS1_3repE0EEENS1_30default_config_static_selectorELNS0_4arch9wavefront6targetE1EEEvT1_.kd
    .uniform_work_group_size: 1
    .uses_dynamic_stack: false
    .vgpr_count:     0
    .vgpr_spill_count: 0
    .wavefront_size: 64
  - .agpr_count:     0
    .args:
      - .offset:         0
        .size:           128
        .value_kind:     by_value
    .group_segment_fixed_size: 0
    .kernarg_segment_align: 8
    .kernarg_segment_size: 128
    .language:       OpenCL C
    .language_version:
      - 2
      - 0
    .max_flat_workgroup_size: 192
    .name:           _ZN7rocprim17ROCPRIM_400000_NS6detail17trampoline_kernelINS0_14default_configENS1_25partition_config_selectorILNS1_17partition_subalgoE0EiNS0_10empty_typeEbEEZZNS1_14partition_implILS5_0ELb0ES3_jN6thrust23THRUST_200600_302600_NS6detail15normal_iteratorINSA_10device_ptrIiEEEEPS6_SG_NS0_5tupleIJSF_NSA_16discard_iteratorINSA_11use_defaultEEEEEENSH_IJSG_SG_EEES6_PlJ7is_evenIiEEEE10hipError_tPvRmT3_T4_T5_T6_T7_T9_mT8_P12ihipStream_tbDpT10_ENKUlT_T0_E_clISt17integral_constantIbLb1EES18_IbLb0EEEEDaS14_S15_EUlS14_E_NS1_11comp_targetILNS1_3genE2ELNS1_11target_archE906ELNS1_3gpuE6ELNS1_3repE0EEENS1_30default_config_static_selectorELNS0_4arch9wavefront6targetE1EEEvT1_
    .private_segment_fixed_size: 0
    .sgpr_count:     4
    .sgpr_spill_count: 0
    .symbol:         _ZN7rocprim17ROCPRIM_400000_NS6detail17trampoline_kernelINS0_14default_configENS1_25partition_config_selectorILNS1_17partition_subalgoE0EiNS0_10empty_typeEbEEZZNS1_14partition_implILS5_0ELb0ES3_jN6thrust23THRUST_200600_302600_NS6detail15normal_iteratorINSA_10device_ptrIiEEEEPS6_SG_NS0_5tupleIJSF_NSA_16discard_iteratorINSA_11use_defaultEEEEEENSH_IJSG_SG_EEES6_PlJ7is_evenIiEEEE10hipError_tPvRmT3_T4_T5_T6_T7_T9_mT8_P12ihipStream_tbDpT10_ENKUlT_T0_E_clISt17integral_constantIbLb1EES18_IbLb0EEEEDaS14_S15_EUlS14_E_NS1_11comp_targetILNS1_3genE2ELNS1_11target_archE906ELNS1_3gpuE6ELNS1_3repE0EEENS1_30default_config_static_selectorELNS0_4arch9wavefront6targetE1EEEvT1_.kd
    .uniform_work_group_size: 1
    .uses_dynamic_stack: false
    .vgpr_count:     0
    .vgpr_spill_count: 0
    .wavefront_size: 64
  - .agpr_count:     0
    .args:
      - .offset:         0
        .size:           128
        .value_kind:     by_value
    .group_segment_fixed_size: 0
    .kernarg_segment_align: 8
    .kernarg_segment_size: 128
    .language:       OpenCL C
    .language_version:
      - 2
      - 0
    .max_flat_workgroup_size: 512
    .name:           _ZN7rocprim17ROCPRIM_400000_NS6detail17trampoline_kernelINS0_14default_configENS1_25partition_config_selectorILNS1_17partition_subalgoE0EiNS0_10empty_typeEbEEZZNS1_14partition_implILS5_0ELb0ES3_jN6thrust23THRUST_200600_302600_NS6detail15normal_iteratorINSA_10device_ptrIiEEEEPS6_SG_NS0_5tupleIJSF_NSA_16discard_iteratorINSA_11use_defaultEEEEEENSH_IJSG_SG_EEES6_PlJ7is_evenIiEEEE10hipError_tPvRmT3_T4_T5_T6_T7_T9_mT8_P12ihipStream_tbDpT10_ENKUlT_T0_E_clISt17integral_constantIbLb1EES18_IbLb0EEEEDaS14_S15_EUlS14_E_NS1_11comp_targetILNS1_3genE10ELNS1_11target_archE1200ELNS1_3gpuE4ELNS1_3repE0EEENS1_30default_config_static_selectorELNS0_4arch9wavefront6targetE1EEEvT1_
    .private_segment_fixed_size: 0
    .sgpr_count:     4
    .sgpr_spill_count: 0
    .symbol:         _ZN7rocprim17ROCPRIM_400000_NS6detail17trampoline_kernelINS0_14default_configENS1_25partition_config_selectorILNS1_17partition_subalgoE0EiNS0_10empty_typeEbEEZZNS1_14partition_implILS5_0ELb0ES3_jN6thrust23THRUST_200600_302600_NS6detail15normal_iteratorINSA_10device_ptrIiEEEEPS6_SG_NS0_5tupleIJSF_NSA_16discard_iteratorINSA_11use_defaultEEEEEENSH_IJSG_SG_EEES6_PlJ7is_evenIiEEEE10hipError_tPvRmT3_T4_T5_T6_T7_T9_mT8_P12ihipStream_tbDpT10_ENKUlT_T0_E_clISt17integral_constantIbLb1EES18_IbLb0EEEEDaS14_S15_EUlS14_E_NS1_11comp_targetILNS1_3genE10ELNS1_11target_archE1200ELNS1_3gpuE4ELNS1_3repE0EEENS1_30default_config_static_selectorELNS0_4arch9wavefront6targetE1EEEvT1_.kd
    .uniform_work_group_size: 1
    .uses_dynamic_stack: false
    .vgpr_count:     0
    .vgpr_spill_count: 0
    .wavefront_size: 64
  - .agpr_count:     0
    .args:
      - .offset:         0
        .size:           128
        .value_kind:     by_value
    .group_segment_fixed_size: 0
    .kernarg_segment_align: 8
    .kernarg_segment_size: 128
    .language:       OpenCL C
    .language_version:
      - 2
      - 0
    .max_flat_workgroup_size: 128
    .name:           _ZN7rocprim17ROCPRIM_400000_NS6detail17trampoline_kernelINS0_14default_configENS1_25partition_config_selectorILNS1_17partition_subalgoE0EiNS0_10empty_typeEbEEZZNS1_14partition_implILS5_0ELb0ES3_jN6thrust23THRUST_200600_302600_NS6detail15normal_iteratorINSA_10device_ptrIiEEEEPS6_SG_NS0_5tupleIJSF_NSA_16discard_iteratorINSA_11use_defaultEEEEEENSH_IJSG_SG_EEES6_PlJ7is_evenIiEEEE10hipError_tPvRmT3_T4_T5_T6_T7_T9_mT8_P12ihipStream_tbDpT10_ENKUlT_T0_E_clISt17integral_constantIbLb1EES18_IbLb0EEEEDaS14_S15_EUlS14_E_NS1_11comp_targetILNS1_3genE9ELNS1_11target_archE1100ELNS1_3gpuE3ELNS1_3repE0EEENS1_30default_config_static_selectorELNS0_4arch9wavefront6targetE1EEEvT1_
    .private_segment_fixed_size: 0
    .sgpr_count:     4
    .sgpr_spill_count: 0
    .symbol:         _ZN7rocprim17ROCPRIM_400000_NS6detail17trampoline_kernelINS0_14default_configENS1_25partition_config_selectorILNS1_17partition_subalgoE0EiNS0_10empty_typeEbEEZZNS1_14partition_implILS5_0ELb0ES3_jN6thrust23THRUST_200600_302600_NS6detail15normal_iteratorINSA_10device_ptrIiEEEEPS6_SG_NS0_5tupleIJSF_NSA_16discard_iteratorINSA_11use_defaultEEEEEENSH_IJSG_SG_EEES6_PlJ7is_evenIiEEEE10hipError_tPvRmT3_T4_T5_T6_T7_T9_mT8_P12ihipStream_tbDpT10_ENKUlT_T0_E_clISt17integral_constantIbLb1EES18_IbLb0EEEEDaS14_S15_EUlS14_E_NS1_11comp_targetILNS1_3genE9ELNS1_11target_archE1100ELNS1_3gpuE3ELNS1_3repE0EEENS1_30default_config_static_selectorELNS0_4arch9wavefront6targetE1EEEvT1_.kd
    .uniform_work_group_size: 1
    .uses_dynamic_stack: false
    .vgpr_count:     0
    .vgpr_spill_count: 0
    .wavefront_size: 64
  - .agpr_count:     0
    .args:
      - .offset:         0
        .size:           128
        .value_kind:     by_value
    .group_segment_fixed_size: 0
    .kernarg_segment_align: 8
    .kernarg_segment_size: 128
    .language:       OpenCL C
    .language_version:
      - 2
      - 0
    .max_flat_workgroup_size: 512
    .name:           _ZN7rocprim17ROCPRIM_400000_NS6detail17trampoline_kernelINS0_14default_configENS1_25partition_config_selectorILNS1_17partition_subalgoE0EiNS0_10empty_typeEbEEZZNS1_14partition_implILS5_0ELb0ES3_jN6thrust23THRUST_200600_302600_NS6detail15normal_iteratorINSA_10device_ptrIiEEEEPS6_SG_NS0_5tupleIJSF_NSA_16discard_iteratorINSA_11use_defaultEEEEEENSH_IJSG_SG_EEES6_PlJ7is_evenIiEEEE10hipError_tPvRmT3_T4_T5_T6_T7_T9_mT8_P12ihipStream_tbDpT10_ENKUlT_T0_E_clISt17integral_constantIbLb1EES18_IbLb0EEEEDaS14_S15_EUlS14_E_NS1_11comp_targetILNS1_3genE8ELNS1_11target_archE1030ELNS1_3gpuE2ELNS1_3repE0EEENS1_30default_config_static_selectorELNS0_4arch9wavefront6targetE1EEEvT1_
    .private_segment_fixed_size: 0
    .sgpr_count:     4
    .sgpr_spill_count: 0
    .symbol:         _ZN7rocprim17ROCPRIM_400000_NS6detail17trampoline_kernelINS0_14default_configENS1_25partition_config_selectorILNS1_17partition_subalgoE0EiNS0_10empty_typeEbEEZZNS1_14partition_implILS5_0ELb0ES3_jN6thrust23THRUST_200600_302600_NS6detail15normal_iteratorINSA_10device_ptrIiEEEEPS6_SG_NS0_5tupleIJSF_NSA_16discard_iteratorINSA_11use_defaultEEEEEENSH_IJSG_SG_EEES6_PlJ7is_evenIiEEEE10hipError_tPvRmT3_T4_T5_T6_T7_T9_mT8_P12ihipStream_tbDpT10_ENKUlT_T0_E_clISt17integral_constantIbLb1EES18_IbLb0EEEEDaS14_S15_EUlS14_E_NS1_11comp_targetILNS1_3genE8ELNS1_11target_archE1030ELNS1_3gpuE2ELNS1_3repE0EEENS1_30default_config_static_selectorELNS0_4arch9wavefront6targetE1EEEvT1_.kd
    .uniform_work_group_size: 1
    .uses_dynamic_stack: false
    .vgpr_count:     0
    .vgpr_spill_count: 0
    .wavefront_size: 64
  - .agpr_count:     0
    .args:
      - .offset:         0
        .size:           144
        .value_kind:     by_value
    .group_segment_fixed_size: 0
    .kernarg_segment_align: 8
    .kernarg_segment_size: 144
    .language:       OpenCL C
    .language_version:
      - 2
      - 0
    .max_flat_workgroup_size: 256
    .name:           _ZN7rocprim17ROCPRIM_400000_NS6detail17trampoline_kernelINS0_14default_configENS1_25partition_config_selectorILNS1_17partition_subalgoE0EiNS0_10empty_typeEbEEZZNS1_14partition_implILS5_0ELb0ES3_jN6thrust23THRUST_200600_302600_NS6detail15normal_iteratorINSA_10device_ptrIiEEEEPS6_SG_NS0_5tupleIJSF_NSA_16discard_iteratorINSA_11use_defaultEEEEEENSH_IJSG_SG_EEES6_PlJ7is_evenIiEEEE10hipError_tPvRmT3_T4_T5_T6_T7_T9_mT8_P12ihipStream_tbDpT10_ENKUlT_T0_E_clISt17integral_constantIbLb0EES18_IbLb1EEEEDaS14_S15_EUlS14_E_NS1_11comp_targetILNS1_3genE0ELNS1_11target_archE4294967295ELNS1_3gpuE0ELNS1_3repE0EEENS1_30default_config_static_selectorELNS0_4arch9wavefront6targetE1EEEvT1_
    .private_segment_fixed_size: 0
    .sgpr_count:     4
    .sgpr_spill_count: 0
    .symbol:         _ZN7rocprim17ROCPRIM_400000_NS6detail17trampoline_kernelINS0_14default_configENS1_25partition_config_selectorILNS1_17partition_subalgoE0EiNS0_10empty_typeEbEEZZNS1_14partition_implILS5_0ELb0ES3_jN6thrust23THRUST_200600_302600_NS6detail15normal_iteratorINSA_10device_ptrIiEEEEPS6_SG_NS0_5tupleIJSF_NSA_16discard_iteratorINSA_11use_defaultEEEEEENSH_IJSG_SG_EEES6_PlJ7is_evenIiEEEE10hipError_tPvRmT3_T4_T5_T6_T7_T9_mT8_P12ihipStream_tbDpT10_ENKUlT_T0_E_clISt17integral_constantIbLb0EES18_IbLb1EEEEDaS14_S15_EUlS14_E_NS1_11comp_targetILNS1_3genE0ELNS1_11target_archE4294967295ELNS1_3gpuE0ELNS1_3repE0EEENS1_30default_config_static_selectorELNS0_4arch9wavefront6targetE1EEEvT1_.kd
    .uniform_work_group_size: 1
    .uses_dynamic_stack: false
    .vgpr_count:     0
    .vgpr_spill_count: 0
    .wavefront_size: 64
  - .agpr_count:     0
    .args:
      - .offset:         0
        .size:           144
        .value_kind:     by_value
    .group_segment_fixed_size: 0
    .kernarg_segment_align: 8
    .kernarg_segment_size: 144
    .language:       OpenCL C
    .language_version:
      - 2
      - 0
    .max_flat_workgroup_size: 512
    .name:           _ZN7rocprim17ROCPRIM_400000_NS6detail17trampoline_kernelINS0_14default_configENS1_25partition_config_selectorILNS1_17partition_subalgoE0EiNS0_10empty_typeEbEEZZNS1_14partition_implILS5_0ELb0ES3_jN6thrust23THRUST_200600_302600_NS6detail15normal_iteratorINSA_10device_ptrIiEEEEPS6_SG_NS0_5tupleIJSF_NSA_16discard_iteratorINSA_11use_defaultEEEEEENSH_IJSG_SG_EEES6_PlJ7is_evenIiEEEE10hipError_tPvRmT3_T4_T5_T6_T7_T9_mT8_P12ihipStream_tbDpT10_ENKUlT_T0_E_clISt17integral_constantIbLb0EES18_IbLb1EEEEDaS14_S15_EUlS14_E_NS1_11comp_targetILNS1_3genE5ELNS1_11target_archE942ELNS1_3gpuE9ELNS1_3repE0EEENS1_30default_config_static_selectorELNS0_4arch9wavefront6targetE1EEEvT1_
    .private_segment_fixed_size: 0
    .sgpr_count:     4
    .sgpr_spill_count: 0
    .symbol:         _ZN7rocprim17ROCPRIM_400000_NS6detail17trampoline_kernelINS0_14default_configENS1_25partition_config_selectorILNS1_17partition_subalgoE0EiNS0_10empty_typeEbEEZZNS1_14partition_implILS5_0ELb0ES3_jN6thrust23THRUST_200600_302600_NS6detail15normal_iteratorINSA_10device_ptrIiEEEEPS6_SG_NS0_5tupleIJSF_NSA_16discard_iteratorINSA_11use_defaultEEEEEENSH_IJSG_SG_EEES6_PlJ7is_evenIiEEEE10hipError_tPvRmT3_T4_T5_T6_T7_T9_mT8_P12ihipStream_tbDpT10_ENKUlT_T0_E_clISt17integral_constantIbLb0EES18_IbLb1EEEEDaS14_S15_EUlS14_E_NS1_11comp_targetILNS1_3genE5ELNS1_11target_archE942ELNS1_3gpuE9ELNS1_3repE0EEENS1_30default_config_static_selectorELNS0_4arch9wavefront6targetE1EEEvT1_.kd
    .uniform_work_group_size: 1
    .uses_dynamic_stack: false
    .vgpr_count:     0
    .vgpr_spill_count: 0
    .wavefront_size: 64
  - .agpr_count:     0
    .args:
      - .offset:         0
        .size:           144
        .value_kind:     by_value
    .group_segment_fixed_size: 10248
    .kernarg_segment_align: 8
    .kernarg_segment_size: 144
    .language:       OpenCL C
    .language_version:
      - 2
      - 0
    .max_flat_workgroup_size: 256
    .name:           _ZN7rocprim17ROCPRIM_400000_NS6detail17trampoline_kernelINS0_14default_configENS1_25partition_config_selectorILNS1_17partition_subalgoE0EiNS0_10empty_typeEbEEZZNS1_14partition_implILS5_0ELb0ES3_jN6thrust23THRUST_200600_302600_NS6detail15normal_iteratorINSA_10device_ptrIiEEEEPS6_SG_NS0_5tupleIJSF_NSA_16discard_iteratorINSA_11use_defaultEEEEEENSH_IJSG_SG_EEES6_PlJ7is_evenIiEEEE10hipError_tPvRmT3_T4_T5_T6_T7_T9_mT8_P12ihipStream_tbDpT10_ENKUlT_T0_E_clISt17integral_constantIbLb0EES18_IbLb1EEEEDaS14_S15_EUlS14_E_NS1_11comp_targetILNS1_3genE4ELNS1_11target_archE910ELNS1_3gpuE8ELNS1_3repE0EEENS1_30default_config_static_selectorELNS0_4arch9wavefront6targetE1EEEvT1_
    .private_segment_fixed_size: 0
    .sgpr_count:     44
    .sgpr_spill_count: 0
    .symbol:         _ZN7rocprim17ROCPRIM_400000_NS6detail17trampoline_kernelINS0_14default_configENS1_25partition_config_selectorILNS1_17partition_subalgoE0EiNS0_10empty_typeEbEEZZNS1_14partition_implILS5_0ELb0ES3_jN6thrust23THRUST_200600_302600_NS6detail15normal_iteratorINSA_10device_ptrIiEEEEPS6_SG_NS0_5tupleIJSF_NSA_16discard_iteratorINSA_11use_defaultEEEEEENSH_IJSG_SG_EEES6_PlJ7is_evenIiEEEE10hipError_tPvRmT3_T4_T5_T6_T7_T9_mT8_P12ihipStream_tbDpT10_ENKUlT_T0_E_clISt17integral_constantIbLb0EES18_IbLb1EEEEDaS14_S15_EUlS14_E_NS1_11comp_targetILNS1_3genE4ELNS1_11target_archE910ELNS1_3gpuE8ELNS1_3repE0EEENS1_30default_config_static_selectorELNS0_4arch9wavefront6targetE1EEEvT1_.kd
    .uniform_work_group_size: 1
    .uses_dynamic_stack: false
    .vgpr_count:     56
    .vgpr_spill_count: 0
    .wavefront_size: 64
  - .agpr_count:     0
    .args:
      - .offset:         0
        .size:           144
        .value_kind:     by_value
    .group_segment_fixed_size: 0
    .kernarg_segment_align: 8
    .kernarg_segment_size: 144
    .language:       OpenCL C
    .language_version:
      - 2
      - 0
    .max_flat_workgroup_size: 256
    .name:           _ZN7rocprim17ROCPRIM_400000_NS6detail17trampoline_kernelINS0_14default_configENS1_25partition_config_selectorILNS1_17partition_subalgoE0EiNS0_10empty_typeEbEEZZNS1_14partition_implILS5_0ELb0ES3_jN6thrust23THRUST_200600_302600_NS6detail15normal_iteratorINSA_10device_ptrIiEEEEPS6_SG_NS0_5tupleIJSF_NSA_16discard_iteratorINSA_11use_defaultEEEEEENSH_IJSG_SG_EEES6_PlJ7is_evenIiEEEE10hipError_tPvRmT3_T4_T5_T6_T7_T9_mT8_P12ihipStream_tbDpT10_ENKUlT_T0_E_clISt17integral_constantIbLb0EES18_IbLb1EEEEDaS14_S15_EUlS14_E_NS1_11comp_targetILNS1_3genE3ELNS1_11target_archE908ELNS1_3gpuE7ELNS1_3repE0EEENS1_30default_config_static_selectorELNS0_4arch9wavefront6targetE1EEEvT1_
    .private_segment_fixed_size: 0
    .sgpr_count:     4
    .sgpr_spill_count: 0
    .symbol:         _ZN7rocprim17ROCPRIM_400000_NS6detail17trampoline_kernelINS0_14default_configENS1_25partition_config_selectorILNS1_17partition_subalgoE0EiNS0_10empty_typeEbEEZZNS1_14partition_implILS5_0ELb0ES3_jN6thrust23THRUST_200600_302600_NS6detail15normal_iteratorINSA_10device_ptrIiEEEEPS6_SG_NS0_5tupleIJSF_NSA_16discard_iteratorINSA_11use_defaultEEEEEENSH_IJSG_SG_EEES6_PlJ7is_evenIiEEEE10hipError_tPvRmT3_T4_T5_T6_T7_T9_mT8_P12ihipStream_tbDpT10_ENKUlT_T0_E_clISt17integral_constantIbLb0EES18_IbLb1EEEEDaS14_S15_EUlS14_E_NS1_11comp_targetILNS1_3genE3ELNS1_11target_archE908ELNS1_3gpuE7ELNS1_3repE0EEENS1_30default_config_static_selectorELNS0_4arch9wavefront6targetE1EEEvT1_.kd
    .uniform_work_group_size: 1
    .uses_dynamic_stack: false
    .vgpr_count:     0
    .vgpr_spill_count: 0
    .wavefront_size: 64
  - .agpr_count:     0
    .args:
      - .offset:         0
        .size:           144
        .value_kind:     by_value
    .group_segment_fixed_size: 0
    .kernarg_segment_align: 8
    .kernarg_segment_size: 144
    .language:       OpenCL C
    .language_version:
      - 2
      - 0
    .max_flat_workgroup_size: 192
    .name:           _ZN7rocprim17ROCPRIM_400000_NS6detail17trampoline_kernelINS0_14default_configENS1_25partition_config_selectorILNS1_17partition_subalgoE0EiNS0_10empty_typeEbEEZZNS1_14partition_implILS5_0ELb0ES3_jN6thrust23THRUST_200600_302600_NS6detail15normal_iteratorINSA_10device_ptrIiEEEEPS6_SG_NS0_5tupleIJSF_NSA_16discard_iteratorINSA_11use_defaultEEEEEENSH_IJSG_SG_EEES6_PlJ7is_evenIiEEEE10hipError_tPvRmT3_T4_T5_T6_T7_T9_mT8_P12ihipStream_tbDpT10_ENKUlT_T0_E_clISt17integral_constantIbLb0EES18_IbLb1EEEEDaS14_S15_EUlS14_E_NS1_11comp_targetILNS1_3genE2ELNS1_11target_archE906ELNS1_3gpuE6ELNS1_3repE0EEENS1_30default_config_static_selectorELNS0_4arch9wavefront6targetE1EEEvT1_
    .private_segment_fixed_size: 0
    .sgpr_count:     4
    .sgpr_spill_count: 0
    .symbol:         _ZN7rocprim17ROCPRIM_400000_NS6detail17trampoline_kernelINS0_14default_configENS1_25partition_config_selectorILNS1_17partition_subalgoE0EiNS0_10empty_typeEbEEZZNS1_14partition_implILS5_0ELb0ES3_jN6thrust23THRUST_200600_302600_NS6detail15normal_iteratorINSA_10device_ptrIiEEEEPS6_SG_NS0_5tupleIJSF_NSA_16discard_iteratorINSA_11use_defaultEEEEEENSH_IJSG_SG_EEES6_PlJ7is_evenIiEEEE10hipError_tPvRmT3_T4_T5_T6_T7_T9_mT8_P12ihipStream_tbDpT10_ENKUlT_T0_E_clISt17integral_constantIbLb0EES18_IbLb1EEEEDaS14_S15_EUlS14_E_NS1_11comp_targetILNS1_3genE2ELNS1_11target_archE906ELNS1_3gpuE6ELNS1_3repE0EEENS1_30default_config_static_selectorELNS0_4arch9wavefront6targetE1EEEvT1_.kd
    .uniform_work_group_size: 1
    .uses_dynamic_stack: false
    .vgpr_count:     0
    .vgpr_spill_count: 0
    .wavefront_size: 64
  - .agpr_count:     0
    .args:
      - .offset:         0
        .size:           144
        .value_kind:     by_value
    .group_segment_fixed_size: 0
    .kernarg_segment_align: 8
    .kernarg_segment_size: 144
    .language:       OpenCL C
    .language_version:
      - 2
      - 0
    .max_flat_workgroup_size: 512
    .name:           _ZN7rocprim17ROCPRIM_400000_NS6detail17trampoline_kernelINS0_14default_configENS1_25partition_config_selectorILNS1_17partition_subalgoE0EiNS0_10empty_typeEbEEZZNS1_14partition_implILS5_0ELb0ES3_jN6thrust23THRUST_200600_302600_NS6detail15normal_iteratorINSA_10device_ptrIiEEEEPS6_SG_NS0_5tupleIJSF_NSA_16discard_iteratorINSA_11use_defaultEEEEEENSH_IJSG_SG_EEES6_PlJ7is_evenIiEEEE10hipError_tPvRmT3_T4_T5_T6_T7_T9_mT8_P12ihipStream_tbDpT10_ENKUlT_T0_E_clISt17integral_constantIbLb0EES18_IbLb1EEEEDaS14_S15_EUlS14_E_NS1_11comp_targetILNS1_3genE10ELNS1_11target_archE1200ELNS1_3gpuE4ELNS1_3repE0EEENS1_30default_config_static_selectorELNS0_4arch9wavefront6targetE1EEEvT1_
    .private_segment_fixed_size: 0
    .sgpr_count:     4
    .sgpr_spill_count: 0
    .symbol:         _ZN7rocprim17ROCPRIM_400000_NS6detail17trampoline_kernelINS0_14default_configENS1_25partition_config_selectorILNS1_17partition_subalgoE0EiNS0_10empty_typeEbEEZZNS1_14partition_implILS5_0ELb0ES3_jN6thrust23THRUST_200600_302600_NS6detail15normal_iteratorINSA_10device_ptrIiEEEEPS6_SG_NS0_5tupleIJSF_NSA_16discard_iteratorINSA_11use_defaultEEEEEENSH_IJSG_SG_EEES6_PlJ7is_evenIiEEEE10hipError_tPvRmT3_T4_T5_T6_T7_T9_mT8_P12ihipStream_tbDpT10_ENKUlT_T0_E_clISt17integral_constantIbLb0EES18_IbLb1EEEEDaS14_S15_EUlS14_E_NS1_11comp_targetILNS1_3genE10ELNS1_11target_archE1200ELNS1_3gpuE4ELNS1_3repE0EEENS1_30default_config_static_selectorELNS0_4arch9wavefront6targetE1EEEvT1_.kd
    .uniform_work_group_size: 1
    .uses_dynamic_stack: false
    .vgpr_count:     0
    .vgpr_spill_count: 0
    .wavefront_size: 64
  - .agpr_count:     0
    .args:
      - .offset:         0
        .size:           144
        .value_kind:     by_value
    .group_segment_fixed_size: 0
    .kernarg_segment_align: 8
    .kernarg_segment_size: 144
    .language:       OpenCL C
    .language_version:
      - 2
      - 0
    .max_flat_workgroup_size: 128
    .name:           _ZN7rocprim17ROCPRIM_400000_NS6detail17trampoline_kernelINS0_14default_configENS1_25partition_config_selectorILNS1_17partition_subalgoE0EiNS0_10empty_typeEbEEZZNS1_14partition_implILS5_0ELb0ES3_jN6thrust23THRUST_200600_302600_NS6detail15normal_iteratorINSA_10device_ptrIiEEEEPS6_SG_NS0_5tupleIJSF_NSA_16discard_iteratorINSA_11use_defaultEEEEEENSH_IJSG_SG_EEES6_PlJ7is_evenIiEEEE10hipError_tPvRmT3_T4_T5_T6_T7_T9_mT8_P12ihipStream_tbDpT10_ENKUlT_T0_E_clISt17integral_constantIbLb0EES18_IbLb1EEEEDaS14_S15_EUlS14_E_NS1_11comp_targetILNS1_3genE9ELNS1_11target_archE1100ELNS1_3gpuE3ELNS1_3repE0EEENS1_30default_config_static_selectorELNS0_4arch9wavefront6targetE1EEEvT1_
    .private_segment_fixed_size: 0
    .sgpr_count:     4
    .sgpr_spill_count: 0
    .symbol:         _ZN7rocprim17ROCPRIM_400000_NS6detail17trampoline_kernelINS0_14default_configENS1_25partition_config_selectorILNS1_17partition_subalgoE0EiNS0_10empty_typeEbEEZZNS1_14partition_implILS5_0ELb0ES3_jN6thrust23THRUST_200600_302600_NS6detail15normal_iteratorINSA_10device_ptrIiEEEEPS6_SG_NS0_5tupleIJSF_NSA_16discard_iteratorINSA_11use_defaultEEEEEENSH_IJSG_SG_EEES6_PlJ7is_evenIiEEEE10hipError_tPvRmT3_T4_T5_T6_T7_T9_mT8_P12ihipStream_tbDpT10_ENKUlT_T0_E_clISt17integral_constantIbLb0EES18_IbLb1EEEEDaS14_S15_EUlS14_E_NS1_11comp_targetILNS1_3genE9ELNS1_11target_archE1100ELNS1_3gpuE3ELNS1_3repE0EEENS1_30default_config_static_selectorELNS0_4arch9wavefront6targetE1EEEvT1_.kd
    .uniform_work_group_size: 1
    .uses_dynamic_stack: false
    .vgpr_count:     0
    .vgpr_spill_count: 0
    .wavefront_size: 64
  - .agpr_count:     0
    .args:
      - .offset:         0
        .size:           144
        .value_kind:     by_value
    .group_segment_fixed_size: 0
    .kernarg_segment_align: 8
    .kernarg_segment_size: 144
    .language:       OpenCL C
    .language_version:
      - 2
      - 0
    .max_flat_workgroup_size: 512
    .name:           _ZN7rocprim17ROCPRIM_400000_NS6detail17trampoline_kernelINS0_14default_configENS1_25partition_config_selectorILNS1_17partition_subalgoE0EiNS0_10empty_typeEbEEZZNS1_14partition_implILS5_0ELb0ES3_jN6thrust23THRUST_200600_302600_NS6detail15normal_iteratorINSA_10device_ptrIiEEEEPS6_SG_NS0_5tupleIJSF_NSA_16discard_iteratorINSA_11use_defaultEEEEEENSH_IJSG_SG_EEES6_PlJ7is_evenIiEEEE10hipError_tPvRmT3_T4_T5_T6_T7_T9_mT8_P12ihipStream_tbDpT10_ENKUlT_T0_E_clISt17integral_constantIbLb0EES18_IbLb1EEEEDaS14_S15_EUlS14_E_NS1_11comp_targetILNS1_3genE8ELNS1_11target_archE1030ELNS1_3gpuE2ELNS1_3repE0EEENS1_30default_config_static_selectorELNS0_4arch9wavefront6targetE1EEEvT1_
    .private_segment_fixed_size: 0
    .sgpr_count:     4
    .sgpr_spill_count: 0
    .symbol:         _ZN7rocprim17ROCPRIM_400000_NS6detail17trampoline_kernelINS0_14default_configENS1_25partition_config_selectorILNS1_17partition_subalgoE0EiNS0_10empty_typeEbEEZZNS1_14partition_implILS5_0ELb0ES3_jN6thrust23THRUST_200600_302600_NS6detail15normal_iteratorINSA_10device_ptrIiEEEEPS6_SG_NS0_5tupleIJSF_NSA_16discard_iteratorINSA_11use_defaultEEEEEENSH_IJSG_SG_EEES6_PlJ7is_evenIiEEEE10hipError_tPvRmT3_T4_T5_T6_T7_T9_mT8_P12ihipStream_tbDpT10_ENKUlT_T0_E_clISt17integral_constantIbLb0EES18_IbLb1EEEEDaS14_S15_EUlS14_E_NS1_11comp_targetILNS1_3genE8ELNS1_11target_archE1030ELNS1_3gpuE2ELNS1_3repE0EEENS1_30default_config_static_selectorELNS0_4arch9wavefront6targetE1EEEvT1_.kd
    .uniform_work_group_size: 1
    .uses_dynamic_stack: false
    .vgpr_count:     0
    .vgpr_spill_count: 0
    .wavefront_size: 64
  - .agpr_count:     0
    .args:
      - .offset:         0
        .size:           128
        .value_kind:     by_value
    .group_segment_fixed_size: 0
    .kernarg_segment_align: 8
    .kernarg_segment_size: 128
    .language:       OpenCL C
    .language_version:
      - 2
      - 0
    .max_flat_workgroup_size: 256
    .name:           _ZN7rocprim17ROCPRIM_400000_NS6detail17trampoline_kernelINS0_14default_configENS1_25partition_config_selectorILNS1_17partition_subalgoE0EiNS0_10empty_typeEbEEZZNS1_14partition_implILS5_0ELb0ES3_jN6thrust23THRUST_200600_302600_NS6detail15normal_iteratorINSA_10device_ptrIiEEEEPS6_SG_NS0_5tupleIJNSA_16discard_iteratorINSA_11use_defaultEEESF_EEENSH_IJSG_SG_EEES6_PlJ7is_evenIiEEEE10hipError_tPvRmT3_T4_T5_T6_T7_T9_mT8_P12ihipStream_tbDpT10_ENKUlT_T0_E_clISt17integral_constantIbLb0EES19_EEDaS14_S15_EUlS14_E_NS1_11comp_targetILNS1_3genE0ELNS1_11target_archE4294967295ELNS1_3gpuE0ELNS1_3repE0EEENS1_30default_config_static_selectorELNS0_4arch9wavefront6targetE1EEEvT1_
    .private_segment_fixed_size: 0
    .sgpr_count:     4
    .sgpr_spill_count: 0
    .symbol:         _ZN7rocprim17ROCPRIM_400000_NS6detail17trampoline_kernelINS0_14default_configENS1_25partition_config_selectorILNS1_17partition_subalgoE0EiNS0_10empty_typeEbEEZZNS1_14partition_implILS5_0ELb0ES3_jN6thrust23THRUST_200600_302600_NS6detail15normal_iteratorINSA_10device_ptrIiEEEEPS6_SG_NS0_5tupleIJNSA_16discard_iteratorINSA_11use_defaultEEESF_EEENSH_IJSG_SG_EEES6_PlJ7is_evenIiEEEE10hipError_tPvRmT3_T4_T5_T6_T7_T9_mT8_P12ihipStream_tbDpT10_ENKUlT_T0_E_clISt17integral_constantIbLb0EES19_EEDaS14_S15_EUlS14_E_NS1_11comp_targetILNS1_3genE0ELNS1_11target_archE4294967295ELNS1_3gpuE0ELNS1_3repE0EEENS1_30default_config_static_selectorELNS0_4arch9wavefront6targetE1EEEvT1_.kd
    .uniform_work_group_size: 1
    .uses_dynamic_stack: false
    .vgpr_count:     0
    .vgpr_spill_count: 0
    .wavefront_size: 64
  - .agpr_count:     0
    .args:
      - .offset:         0
        .size:           128
        .value_kind:     by_value
    .group_segment_fixed_size: 0
    .kernarg_segment_align: 8
    .kernarg_segment_size: 128
    .language:       OpenCL C
    .language_version:
      - 2
      - 0
    .max_flat_workgroup_size: 512
    .name:           _ZN7rocprim17ROCPRIM_400000_NS6detail17trampoline_kernelINS0_14default_configENS1_25partition_config_selectorILNS1_17partition_subalgoE0EiNS0_10empty_typeEbEEZZNS1_14partition_implILS5_0ELb0ES3_jN6thrust23THRUST_200600_302600_NS6detail15normal_iteratorINSA_10device_ptrIiEEEEPS6_SG_NS0_5tupleIJNSA_16discard_iteratorINSA_11use_defaultEEESF_EEENSH_IJSG_SG_EEES6_PlJ7is_evenIiEEEE10hipError_tPvRmT3_T4_T5_T6_T7_T9_mT8_P12ihipStream_tbDpT10_ENKUlT_T0_E_clISt17integral_constantIbLb0EES19_EEDaS14_S15_EUlS14_E_NS1_11comp_targetILNS1_3genE5ELNS1_11target_archE942ELNS1_3gpuE9ELNS1_3repE0EEENS1_30default_config_static_selectorELNS0_4arch9wavefront6targetE1EEEvT1_
    .private_segment_fixed_size: 0
    .sgpr_count:     4
    .sgpr_spill_count: 0
    .symbol:         _ZN7rocprim17ROCPRIM_400000_NS6detail17trampoline_kernelINS0_14default_configENS1_25partition_config_selectorILNS1_17partition_subalgoE0EiNS0_10empty_typeEbEEZZNS1_14partition_implILS5_0ELb0ES3_jN6thrust23THRUST_200600_302600_NS6detail15normal_iteratorINSA_10device_ptrIiEEEEPS6_SG_NS0_5tupleIJNSA_16discard_iteratorINSA_11use_defaultEEESF_EEENSH_IJSG_SG_EEES6_PlJ7is_evenIiEEEE10hipError_tPvRmT3_T4_T5_T6_T7_T9_mT8_P12ihipStream_tbDpT10_ENKUlT_T0_E_clISt17integral_constantIbLb0EES19_EEDaS14_S15_EUlS14_E_NS1_11comp_targetILNS1_3genE5ELNS1_11target_archE942ELNS1_3gpuE9ELNS1_3repE0EEENS1_30default_config_static_selectorELNS0_4arch9wavefront6targetE1EEEvT1_.kd
    .uniform_work_group_size: 1
    .uses_dynamic_stack: false
    .vgpr_count:     0
    .vgpr_spill_count: 0
    .wavefront_size: 64
  - .agpr_count:     0
    .args:
      - .offset:         0
        .size:           128
        .value_kind:     by_value
    .group_segment_fixed_size: 10248
    .kernarg_segment_align: 8
    .kernarg_segment_size: 128
    .language:       OpenCL C
    .language_version:
      - 2
      - 0
    .max_flat_workgroup_size: 256
    .name:           _ZN7rocprim17ROCPRIM_400000_NS6detail17trampoline_kernelINS0_14default_configENS1_25partition_config_selectorILNS1_17partition_subalgoE0EiNS0_10empty_typeEbEEZZNS1_14partition_implILS5_0ELb0ES3_jN6thrust23THRUST_200600_302600_NS6detail15normal_iteratorINSA_10device_ptrIiEEEEPS6_SG_NS0_5tupleIJNSA_16discard_iteratorINSA_11use_defaultEEESF_EEENSH_IJSG_SG_EEES6_PlJ7is_evenIiEEEE10hipError_tPvRmT3_T4_T5_T6_T7_T9_mT8_P12ihipStream_tbDpT10_ENKUlT_T0_E_clISt17integral_constantIbLb0EES19_EEDaS14_S15_EUlS14_E_NS1_11comp_targetILNS1_3genE4ELNS1_11target_archE910ELNS1_3gpuE8ELNS1_3repE0EEENS1_30default_config_static_selectorELNS0_4arch9wavefront6targetE1EEEvT1_
    .private_segment_fixed_size: 0
    .sgpr_count:     48
    .sgpr_spill_count: 0
    .symbol:         _ZN7rocprim17ROCPRIM_400000_NS6detail17trampoline_kernelINS0_14default_configENS1_25partition_config_selectorILNS1_17partition_subalgoE0EiNS0_10empty_typeEbEEZZNS1_14partition_implILS5_0ELb0ES3_jN6thrust23THRUST_200600_302600_NS6detail15normal_iteratorINSA_10device_ptrIiEEEEPS6_SG_NS0_5tupleIJNSA_16discard_iteratorINSA_11use_defaultEEESF_EEENSH_IJSG_SG_EEES6_PlJ7is_evenIiEEEE10hipError_tPvRmT3_T4_T5_T6_T7_T9_mT8_P12ihipStream_tbDpT10_ENKUlT_T0_E_clISt17integral_constantIbLb0EES19_EEDaS14_S15_EUlS14_E_NS1_11comp_targetILNS1_3genE4ELNS1_11target_archE910ELNS1_3gpuE8ELNS1_3repE0EEENS1_30default_config_static_selectorELNS0_4arch9wavefront6targetE1EEEvT1_.kd
    .uniform_work_group_size: 1
    .uses_dynamic_stack: false
    .vgpr_count:     54
    .vgpr_spill_count: 0
    .wavefront_size: 64
  - .agpr_count:     0
    .args:
      - .offset:         0
        .size:           128
        .value_kind:     by_value
    .group_segment_fixed_size: 0
    .kernarg_segment_align: 8
    .kernarg_segment_size: 128
    .language:       OpenCL C
    .language_version:
      - 2
      - 0
    .max_flat_workgroup_size: 256
    .name:           _ZN7rocprim17ROCPRIM_400000_NS6detail17trampoline_kernelINS0_14default_configENS1_25partition_config_selectorILNS1_17partition_subalgoE0EiNS0_10empty_typeEbEEZZNS1_14partition_implILS5_0ELb0ES3_jN6thrust23THRUST_200600_302600_NS6detail15normal_iteratorINSA_10device_ptrIiEEEEPS6_SG_NS0_5tupleIJNSA_16discard_iteratorINSA_11use_defaultEEESF_EEENSH_IJSG_SG_EEES6_PlJ7is_evenIiEEEE10hipError_tPvRmT3_T4_T5_T6_T7_T9_mT8_P12ihipStream_tbDpT10_ENKUlT_T0_E_clISt17integral_constantIbLb0EES19_EEDaS14_S15_EUlS14_E_NS1_11comp_targetILNS1_3genE3ELNS1_11target_archE908ELNS1_3gpuE7ELNS1_3repE0EEENS1_30default_config_static_selectorELNS0_4arch9wavefront6targetE1EEEvT1_
    .private_segment_fixed_size: 0
    .sgpr_count:     4
    .sgpr_spill_count: 0
    .symbol:         _ZN7rocprim17ROCPRIM_400000_NS6detail17trampoline_kernelINS0_14default_configENS1_25partition_config_selectorILNS1_17partition_subalgoE0EiNS0_10empty_typeEbEEZZNS1_14partition_implILS5_0ELb0ES3_jN6thrust23THRUST_200600_302600_NS6detail15normal_iteratorINSA_10device_ptrIiEEEEPS6_SG_NS0_5tupleIJNSA_16discard_iteratorINSA_11use_defaultEEESF_EEENSH_IJSG_SG_EEES6_PlJ7is_evenIiEEEE10hipError_tPvRmT3_T4_T5_T6_T7_T9_mT8_P12ihipStream_tbDpT10_ENKUlT_T0_E_clISt17integral_constantIbLb0EES19_EEDaS14_S15_EUlS14_E_NS1_11comp_targetILNS1_3genE3ELNS1_11target_archE908ELNS1_3gpuE7ELNS1_3repE0EEENS1_30default_config_static_selectorELNS0_4arch9wavefront6targetE1EEEvT1_.kd
    .uniform_work_group_size: 1
    .uses_dynamic_stack: false
    .vgpr_count:     0
    .vgpr_spill_count: 0
    .wavefront_size: 64
  - .agpr_count:     0
    .args:
      - .offset:         0
        .size:           128
        .value_kind:     by_value
    .group_segment_fixed_size: 0
    .kernarg_segment_align: 8
    .kernarg_segment_size: 128
    .language:       OpenCL C
    .language_version:
      - 2
      - 0
    .max_flat_workgroup_size: 192
    .name:           _ZN7rocprim17ROCPRIM_400000_NS6detail17trampoline_kernelINS0_14default_configENS1_25partition_config_selectorILNS1_17partition_subalgoE0EiNS0_10empty_typeEbEEZZNS1_14partition_implILS5_0ELb0ES3_jN6thrust23THRUST_200600_302600_NS6detail15normal_iteratorINSA_10device_ptrIiEEEEPS6_SG_NS0_5tupleIJNSA_16discard_iteratorINSA_11use_defaultEEESF_EEENSH_IJSG_SG_EEES6_PlJ7is_evenIiEEEE10hipError_tPvRmT3_T4_T5_T6_T7_T9_mT8_P12ihipStream_tbDpT10_ENKUlT_T0_E_clISt17integral_constantIbLb0EES19_EEDaS14_S15_EUlS14_E_NS1_11comp_targetILNS1_3genE2ELNS1_11target_archE906ELNS1_3gpuE6ELNS1_3repE0EEENS1_30default_config_static_selectorELNS0_4arch9wavefront6targetE1EEEvT1_
    .private_segment_fixed_size: 0
    .sgpr_count:     4
    .sgpr_spill_count: 0
    .symbol:         _ZN7rocprim17ROCPRIM_400000_NS6detail17trampoline_kernelINS0_14default_configENS1_25partition_config_selectorILNS1_17partition_subalgoE0EiNS0_10empty_typeEbEEZZNS1_14partition_implILS5_0ELb0ES3_jN6thrust23THRUST_200600_302600_NS6detail15normal_iteratorINSA_10device_ptrIiEEEEPS6_SG_NS0_5tupleIJNSA_16discard_iteratorINSA_11use_defaultEEESF_EEENSH_IJSG_SG_EEES6_PlJ7is_evenIiEEEE10hipError_tPvRmT3_T4_T5_T6_T7_T9_mT8_P12ihipStream_tbDpT10_ENKUlT_T0_E_clISt17integral_constantIbLb0EES19_EEDaS14_S15_EUlS14_E_NS1_11comp_targetILNS1_3genE2ELNS1_11target_archE906ELNS1_3gpuE6ELNS1_3repE0EEENS1_30default_config_static_selectorELNS0_4arch9wavefront6targetE1EEEvT1_.kd
    .uniform_work_group_size: 1
    .uses_dynamic_stack: false
    .vgpr_count:     0
    .vgpr_spill_count: 0
    .wavefront_size: 64
  - .agpr_count:     0
    .args:
      - .offset:         0
        .size:           128
        .value_kind:     by_value
    .group_segment_fixed_size: 0
    .kernarg_segment_align: 8
    .kernarg_segment_size: 128
    .language:       OpenCL C
    .language_version:
      - 2
      - 0
    .max_flat_workgroup_size: 512
    .name:           _ZN7rocprim17ROCPRIM_400000_NS6detail17trampoline_kernelINS0_14default_configENS1_25partition_config_selectorILNS1_17partition_subalgoE0EiNS0_10empty_typeEbEEZZNS1_14partition_implILS5_0ELb0ES3_jN6thrust23THRUST_200600_302600_NS6detail15normal_iteratorINSA_10device_ptrIiEEEEPS6_SG_NS0_5tupleIJNSA_16discard_iteratorINSA_11use_defaultEEESF_EEENSH_IJSG_SG_EEES6_PlJ7is_evenIiEEEE10hipError_tPvRmT3_T4_T5_T6_T7_T9_mT8_P12ihipStream_tbDpT10_ENKUlT_T0_E_clISt17integral_constantIbLb0EES19_EEDaS14_S15_EUlS14_E_NS1_11comp_targetILNS1_3genE10ELNS1_11target_archE1200ELNS1_3gpuE4ELNS1_3repE0EEENS1_30default_config_static_selectorELNS0_4arch9wavefront6targetE1EEEvT1_
    .private_segment_fixed_size: 0
    .sgpr_count:     4
    .sgpr_spill_count: 0
    .symbol:         _ZN7rocprim17ROCPRIM_400000_NS6detail17trampoline_kernelINS0_14default_configENS1_25partition_config_selectorILNS1_17partition_subalgoE0EiNS0_10empty_typeEbEEZZNS1_14partition_implILS5_0ELb0ES3_jN6thrust23THRUST_200600_302600_NS6detail15normal_iteratorINSA_10device_ptrIiEEEEPS6_SG_NS0_5tupleIJNSA_16discard_iteratorINSA_11use_defaultEEESF_EEENSH_IJSG_SG_EEES6_PlJ7is_evenIiEEEE10hipError_tPvRmT3_T4_T5_T6_T7_T9_mT8_P12ihipStream_tbDpT10_ENKUlT_T0_E_clISt17integral_constantIbLb0EES19_EEDaS14_S15_EUlS14_E_NS1_11comp_targetILNS1_3genE10ELNS1_11target_archE1200ELNS1_3gpuE4ELNS1_3repE0EEENS1_30default_config_static_selectorELNS0_4arch9wavefront6targetE1EEEvT1_.kd
    .uniform_work_group_size: 1
    .uses_dynamic_stack: false
    .vgpr_count:     0
    .vgpr_spill_count: 0
    .wavefront_size: 64
  - .agpr_count:     0
    .args:
      - .offset:         0
        .size:           128
        .value_kind:     by_value
    .group_segment_fixed_size: 0
    .kernarg_segment_align: 8
    .kernarg_segment_size: 128
    .language:       OpenCL C
    .language_version:
      - 2
      - 0
    .max_flat_workgroup_size: 128
    .name:           _ZN7rocprim17ROCPRIM_400000_NS6detail17trampoline_kernelINS0_14default_configENS1_25partition_config_selectorILNS1_17partition_subalgoE0EiNS0_10empty_typeEbEEZZNS1_14partition_implILS5_0ELb0ES3_jN6thrust23THRUST_200600_302600_NS6detail15normal_iteratorINSA_10device_ptrIiEEEEPS6_SG_NS0_5tupleIJNSA_16discard_iteratorINSA_11use_defaultEEESF_EEENSH_IJSG_SG_EEES6_PlJ7is_evenIiEEEE10hipError_tPvRmT3_T4_T5_T6_T7_T9_mT8_P12ihipStream_tbDpT10_ENKUlT_T0_E_clISt17integral_constantIbLb0EES19_EEDaS14_S15_EUlS14_E_NS1_11comp_targetILNS1_3genE9ELNS1_11target_archE1100ELNS1_3gpuE3ELNS1_3repE0EEENS1_30default_config_static_selectorELNS0_4arch9wavefront6targetE1EEEvT1_
    .private_segment_fixed_size: 0
    .sgpr_count:     4
    .sgpr_spill_count: 0
    .symbol:         _ZN7rocprim17ROCPRIM_400000_NS6detail17trampoline_kernelINS0_14default_configENS1_25partition_config_selectorILNS1_17partition_subalgoE0EiNS0_10empty_typeEbEEZZNS1_14partition_implILS5_0ELb0ES3_jN6thrust23THRUST_200600_302600_NS6detail15normal_iteratorINSA_10device_ptrIiEEEEPS6_SG_NS0_5tupleIJNSA_16discard_iteratorINSA_11use_defaultEEESF_EEENSH_IJSG_SG_EEES6_PlJ7is_evenIiEEEE10hipError_tPvRmT3_T4_T5_T6_T7_T9_mT8_P12ihipStream_tbDpT10_ENKUlT_T0_E_clISt17integral_constantIbLb0EES19_EEDaS14_S15_EUlS14_E_NS1_11comp_targetILNS1_3genE9ELNS1_11target_archE1100ELNS1_3gpuE3ELNS1_3repE0EEENS1_30default_config_static_selectorELNS0_4arch9wavefront6targetE1EEEvT1_.kd
    .uniform_work_group_size: 1
    .uses_dynamic_stack: false
    .vgpr_count:     0
    .vgpr_spill_count: 0
    .wavefront_size: 64
  - .agpr_count:     0
    .args:
      - .offset:         0
        .size:           128
        .value_kind:     by_value
    .group_segment_fixed_size: 0
    .kernarg_segment_align: 8
    .kernarg_segment_size: 128
    .language:       OpenCL C
    .language_version:
      - 2
      - 0
    .max_flat_workgroup_size: 512
    .name:           _ZN7rocprim17ROCPRIM_400000_NS6detail17trampoline_kernelINS0_14default_configENS1_25partition_config_selectorILNS1_17partition_subalgoE0EiNS0_10empty_typeEbEEZZNS1_14partition_implILS5_0ELb0ES3_jN6thrust23THRUST_200600_302600_NS6detail15normal_iteratorINSA_10device_ptrIiEEEEPS6_SG_NS0_5tupleIJNSA_16discard_iteratorINSA_11use_defaultEEESF_EEENSH_IJSG_SG_EEES6_PlJ7is_evenIiEEEE10hipError_tPvRmT3_T4_T5_T6_T7_T9_mT8_P12ihipStream_tbDpT10_ENKUlT_T0_E_clISt17integral_constantIbLb0EES19_EEDaS14_S15_EUlS14_E_NS1_11comp_targetILNS1_3genE8ELNS1_11target_archE1030ELNS1_3gpuE2ELNS1_3repE0EEENS1_30default_config_static_selectorELNS0_4arch9wavefront6targetE1EEEvT1_
    .private_segment_fixed_size: 0
    .sgpr_count:     4
    .sgpr_spill_count: 0
    .symbol:         _ZN7rocprim17ROCPRIM_400000_NS6detail17trampoline_kernelINS0_14default_configENS1_25partition_config_selectorILNS1_17partition_subalgoE0EiNS0_10empty_typeEbEEZZNS1_14partition_implILS5_0ELb0ES3_jN6thrust23THRUST_200600_302600_NS6detail15normal_iteratorINSA_10device_ptrIiEEEEPS6_SG_NS0_5tupleIJNSA_16discard_iteratorINSA_11use_defaultEEESF_EEENSH_IJSG_SG_EEES6_PlJ7is_evenIiEEEE10hipError_tPvRmT3_T4_T5_T6_T7_T9_mT8_P12ihipStream_tbDpT10_ENKUlT_T0_E_clISt17integral_constantIbLb0EES19_EEDaS14_S15_EUlS14_E_NS1_11comp_targetILNS1_3genE8ELNS1_11target_archE1030ELNS1_3gpuE2ELNS1_3repE0EEENS1_30default_config_static_selectorELNS0_4arch9wavefront6targetE1EEEvT1_.kd
    .uniform_work_group_size: 1
    .uses_dynamic_stack: false
    .vgpr_count:     0
    .vgpr_spill_count: 0
    .wavefront_size: 64
  - .agpr_count:     0
    .args:
      - .offset:         0
        .size:           144
        .value_kind:     by_value
    .group_segment_fixed_size: 0
    .kernarg_segment_align: 8
    .kernarg_segment_size: 144
    .language:       OpenCL C
    .language_version:
      - 2
      - 0
    .max_flat_workgroup_size: 256
    .name:           _ZN7rocprim17ROCPRIM_400000_NS6detail17trampoline_kernelINS0_14default_configENS1_25partition_config_selectorILNS1_17partition_subalgoE0EiNS0_10empty_typeEbEEZZNS1_14partition_implILS5_0ELb0ES3_jN6thrust23THRUST_200600_302600_NS6detail15normal_iteratorINSA_10device_ptrIiEEEEPS6_SG_NS0_5tupleIJNSA_16discard_iteratorINSA_11use_defaultEEESF_EEENSH_IJSG_SG_EEES6_PlJ7is_evenIiEEEE10hipError_tPvRmT3_T4_T5_T6_T7_T9_mT8_P12ihipStream_tbDpT10_ENKUlT_T0_E_clISt17integral_constantIbLb1EES19_EEDaS14_S15_EUlS14_E_NS1_11comp_targetILNS1_3genE0ELNS1_11target_archE4294967295ELNS1_3gpuE0ELNS1_3repE0EEENS1_30default_config_static_selectorELNS0_4arch9wavefront6targetE1EEEvT1_
    .private_segment_fixed_size: 0
    .sgpr_count:     4
    .sgpr_spill_count: 0
    .symbol:         _ZN7rocprim17ROCPRIM_400000_NS6detail17trampoline_kernelINS0_14default_configENS1_25partition_config_selectorILNS1_17partition_subalgoE0EiNS0_10empty_typeEbEEZZNS1_14partition_implILS5_0ELb0ES3_jN6thrust23THRUST_200600_302600_NS6detail15normal_iteratorINSA_10device_ptrIiEEEEPS6_SG_NS0_5tupleIJNSA_16discard_iteratorINSA_11use_defaultEEESF_EEENSH_IJSG_SG_EEES6_PlJ7is_evenIiEEEE10hipError_tPvRmT3_T4_T5_T6_T7_T9_mT8_P12ihipStream_tbDpT10_ENKUlT_T0_E_clISt17integral_constantIbLb1EES19_EEDaS14_S15_EUlS14_E_NS1_11comp_targetILNS1_3genE0ELNS1_11target_archE4294967295ELNS1_3gpuE0ELNS1_3repE0EEENS1_30default_config_static_selectorELNS0_4arch9wavefront6targetE1EEEvT1_.kd
    .uniform_work_group_size: 1
    .uses_dynamic_stack: false
    .vgpr_count:     0
    .vgpr_spill_count: 0
    .wavefront_size: 64
  - .agpr_count:     0
    .args:
      - .offset:         0
        .size:           144
        .value_kind:     by_value
    .group_segment_fixed_size: 0
    .kernarg_segment_align: 8
    .kernarg_segment_size: 144
    .language:       OpenCL C
    .language_version:
      - 2
      - 0
    .max_flat_workgroup_size: 512
    .name:           _ZN7rocprim17ROCPRIM_400000_NS6detail17trampoline_kernelINS0_14default_configENS1_25partition_config_selectorILNS1_17partition_subalgoE0EiNS0_10empty_typeEbEEZZNS1_14partition_implILS5_0ELb0ES3_jN6thrust23THRUST_200600_302600_NS6detail15normal_iteratorINSA_10device_ptrIiEEEEPS6_SG_NS0_5tupleIJNSA_16discard_iteratorINSA_11use_defaultEEESF_EEENSH_IJSG_SG_EEES6_PlJ7is_evenIiEEEE10hipError_tPvRmT3_T4_T5_T6_T7_T9_mT8_P12ihipStream_tbDpT10_ENKUlT_T0_E_clISt17integral_constantIbLb1EES19_EEDaS14_S15_EUlS14_E_NS1_11comp_targetILNS1_3genE5ELNS1_11target_archE942ELNS1_3gpuE9ELNS1_3repE0EEENS1_30default_config_static_selectorELNS0_4arch9wavefront6targetE1EEEvT1_
    .private_segment_fixed_size: 0
    .sgpr_count:     4
    .sgpr_spill_count: 0
    .symbol:         _ZN7rocprim17ROCPRIM_400000_NS6detail17trampoline_kernelINS0_14default_configENS1_25partition_config_selectorILNS1_17partition_subalgoE0EiNS0_10empty_typeEbEEZZNS1_14partition_implILS5_0ELb0ES3_jN6thrust23THRUST_200600_302600_NS6detail15normal_iteratorINSA_10device_ptrIiEEEEPS6_SG_NS0_5tupleIJNSA_16discard_iteratorINSA_11use_defaultEEESF_EEENSH_IJSG_SG_EEES6_PlJ7is_evenIiEEEE10hipError_tPvRmT3_T4_T5_T6_T7_T9_mT8_P12ihipStream_tbDpT10_ENKUlT_T0_E_clISt17integral_constantIbLb1EES19_EEDaS14_S15_EUlS14_E_NS1_11comp_targetILNS1_3genE5ELNS1_11target_archE942ELNS1_3gpuE9ELNS1_3repE0EEENS1_30default_config_static_selectorELNS0_4arch9wavefront6targetE1EEEvT1_.kd
    .uniform_work_group_size: 1
    .uses_dynamic_stack: false
    .vgpr_count:     0
    .vgpr_spill_count: 0
    .wavefront_size: 64
  - .agpr_count:     0
    .args:
      - .offset:         0
        .size:           144
        .value_kind:     by_value
    .group_segment_fixed_size: 10248
    .kernarg_segment_align: 8
    .kernarg_segment_size: 144
    .language:       OpenCL C
    .language_version:
      - 2
      - 0
    .max_flat_workgroup_size: 256
    .name:           _ZN7rocprim17ROCPRIM_400000_NS6detail17trampoline_kernelINS0_14default_configENS1_25partition_config_selectorILNS1_17partition_subalgoE0EiNS0_10empty_typeEbEEZZNS1_14partition_implILS5_0ELb0ES3_jN6thrust23THRUST_200600_302600_NS6detail15normal_iteratorINSA_10device_ptrIiEEEEPS6_SG_NS0_5tupleIJNSA_16discard_iteratorINSA_11use_defaultEEESF_EEENSH_IJSG_SG_EEES6_PlJ7is_evenIiEEEE10hipError_tPvRmT3_T4_T5_T6_T7_T9_mT8_P12ihipStream_tbDpT10_ENKUlT_T0_E_clISt17integral_constantIbLb1EES19_EEDaS14_S15_EUlS14_E_NS1_11comp_targetILNS1_3genE4ELNS1_11target_archE910ELNS1_3gpuE8ELNS1_3repE0EEENS1_30default_config_static_selectorELNS0_4arch9wavefront6targetE1EEEvT1_
    .private_segment_fixed_size: 0
    .sgpr_count:     46
    .sgpr_spill_count: 0
    .symbol:         _ZN7rocprim17ROCPRIM_400000_NS6detail17trampoline_kernelINS0_14default_configENS1_25partition_config_selectorILNS1_17partition_subalgoE0EiNS0_10empty_typeEbEEZZNS1_14partition_implILS5_0ELb0ES3_jN6thrust23THRUST_200600_302600_NS6detail15normal_iteratorINSA_10device_ptrIiEEEEPS6_SG_NS0_5tupleIJNSA_16discard_iteratorINSA_11use_defaultEEESF_EEENSH_IJSG_SG_EEES6_PlJ7is_evenIiEEEE10hipError_tPvRmT3_T4_T5_T6_T7_T9_mT8_P12ihipStream_tbDpT10_ENKUlT_T0_E_clISt17integral_constantIbLb1EES19_EEDaS14_S15_EUlS14_E_NS1_11comp_targetILNS1_3genE4ELNS1_11target_archE910ELNS1_3gpuE8ELNS1_3repE0EEENS1_30default_config_static_selectorELNS0_4arch9wavefront6targetE1EEEvT1_.kd
    .uniform_work_group_size: 1
    .uses_dynamic_stack: false
    .vgpr_count:     58
    .vgpr_spill_count: 0
    .wavefront_size: 64
  - .agpr_count:     0
    .args:
      - .offset:         0
        .size:           144
        .value_kind:     by_value
    .group_segment_fixed_size: 0
    .kernarg_segment_align: 8
    .kernarg_segment_size: 144
    .language:       OpenCL C
    .language_version:
      - 2
      - 0
    .max_flat_workgroup_size: 256
    .name:           _ZN7rocprim17ROCPRIM_400000_NS6detail17trampoline_kernelINS0_14default_configENS1_25partition_config_selectorILNS1_17partition_subalgoE0EiNS0_10empty_typeEbEEZZNS1_14partition_implILS5_0ELb0ES3_jN6thrust23THRUST_200600_302600_NS6detail15normal_iteratorINSA_10device_ptrIiEEEEPS6_SG_NS0_5tupleIJNSA_16discard_iteratorINSA_11use_defaultEEESF_EEENSH_IJSG_SG_EEES6_PlJ7is_evenIiEEEE10hipError_tPvRmT3_T4_T5_T6_T7_T9_mT8_P12ihipStream_tbDpT10_ENKUlT_T0_E_clISt17integral_constantIbLb1EES19_EEDaS14_S15_EUlS14_E_NS1_11comp_targetILNS1_3genE3ELNS1_11target_archE908ELNS1_3gpuE7ELNS1_3repE0EEENS1_30default_config_static_selectorELNS0_4arch9wavefront6targetE1EEEvT1_
    .private_segment_fixed_size: 0
    .sgpr_count:     4
    .sgpr_spill_count: 0
    .symbol:         _ZN7rocprim17ROCPRIM_400000_NS6detail17trampoline_kernelINS0_14default_configENS1_25partition_config_selectorILNS1_17partition_subalgoE0EiNS0_10empty_typeEbEEZZNS1_14partition_implILS5_0ELb0ES3_jN6thrust23THRUST_200600_302600_NS6detail15normal_iteratorINSA_10device_ptrIiEEEEPS6_SG_NS0_5tupleIJNSA_16discard_iteratorINSA_11use_defaultEEESF_EEENSH_IJSG_SG_EEES6_PlJ7is_evenIiEEEE10hipError_tPvRmT3_T4_T5_T6_T7_T9_mT8_P12ihipStream_tbDpT10_ENKUlT_T0_E_clISt17integral_constantIbLb1EES19_EEDaS14_S15_EUlS14_E_NS1_11comp_targetILNS1_3genE3ELNS1_11target_archE908ELNS1_3gpuE7ELNS1_3repE0EEENS1_30default_config_static_selectorELNS0_4arch9wavefront6targetE1EEEvT1_.kd
    .uniform_work_group_size: 1
    .uses_dynamic_stack: false
    .vgpr_count:     0
    .vgpr_spill_count: 0
    .wavefront_size: 64
  - .agpr_count:     0
    .args:
      - .offset:         0
        .size:           144
        .value_kind:     by_value
    .group_segment_fixed_size: 0
    .kernarg_segment_align: 8
    .kernarg_segment_size: 144
    .language:       OpenCL C
    .language_version:
      - 2
      - 0
    .max_flat_workgroup_size: 192
    .name:           _ZN7rocprim17ROCPRIM_400000_NS6detail17trampoline_kernelINS0_14default_configENS1_25partition_config_selectorILNS1_17partition_subalgoE0EiNS0_10empty_typeEbEEZZNS1_14partition_implILS5_0ELb0ES3_jN6thrust23THRUST_200600_302600_NS6detail15normal_iteratorINSA_10device_ptrIiEEEEPS6_SG_NS0_5tupleIJNSA_16discard_iteratorINSA_11use_defaultEEESF_EEENSH_IJSG_SG_EEES6_PlJ7is_evenIiEEEE10hipError_tPvRmT3_T4_T5_T6_T7_T9_mT8_P12ihipStream_tbDpT10_ENKUlT_T0_E_clISt17integral_constantIbLb1EES19_EEDaS14_S15_EUlS14_E_NS1_11comp_targetILNS1_3genE2ELNS1_11target_archE906ELNS1_3gpuE6ELNS1_3repE0EEENS1_30default_config_static_selectorELNS0_4arch9wavefront6targetE1EEEvT1_
    .private_segment_fixed_size: 0
    .sgpr_count:     4
    .sgpr_spill_count: 0
    .symbol:         _ZN7rocprim17ROCPRIM_400000_NS6detail17trampoline_kernelINS0_14default_configENS1_25partition_config_selectorILNS1_17partition_subalgoE0EiNS0_10empty_typeEbEEZZNS1_14partition_implILS5_0ELb0ES3_jN6thrust23THRUST_200600_302600_NS6detail15normal_iteratorINSA_10device_ptrIiEEEEPS6_SG_NS0_5tupleIJNSA_16discard_iteratorINSA_11use_defaultEEESF_EEENSH_IJSG_SG_EEES6_PlJ7is_evenIiEEEE10hipError_tPvRmT3_T4_T5_T6_T7_T9_mT8_P12ihipStream_tbDpT10_ENKUlT_T0_E_clISt17integral_constantIbLb1EES19_EEDaS14_S15_EUlS14_E_NS1_11comp_targetILNS1_3genE2ELNS1_11target_archE906ELNS1_3gpuE6ELNS1_3repE0EEENS1_30default_config_static_selectorELNS0_4arch9wavefront6targetE1EEEvT1_.kd
    .uniform_work_group_size: 1
    .uses_dynamic_stack: false
    .vgpr_count:     0
    .vgpr_spill_count: 0
    .wavefront_size: 64
  - .agpr_count:     0
    .args:
      - .offset:         0
        .size:           144
        .value_kind:     by_value
    .group_segment_fixed_size: 0
    .kernarg_segment_align: 8
    .kernarg_segment_size: 144
    .language:       OpenCL C
    .language_version:
      - 2
      - 0
    .max_flat_workgroup_size: 512
    .name:           _ZN7rocprim17ROCPRIM_400000_NS6detail17trampoline_kernelINS0_14default_configENS1_25partition_config_selectorILNS1_17partition_subalgoE0EiNS0_10empty_typeEbEEZZNS1_14partition_implILS5_0ELb0ES3_jN6thrust23THRUST_200600_302600_NS6detail15normal_iteratorINSA_10device_ptrIiEEEEPS6_SG_NS0_5tupleIJNSA_16discard_iteratorINSA_11use_defaultEEESF_EEENSH_IJSG_SG_EEES6_PlJ7is_evenIiEEEE10hipError_tPvRmT3_T4_T5_T6_T7_T9_mT8_P12ihipStream_tbDpT10_ENKUlT_T0_E_clISt17integral_constantIbLb1EES19_EEDaS14_S15_EUlS14_E_NS1_11comp_targetILNS1_3genE10ELNS1_11target_archE1200ELNS1_3gpuE4ELNS1_3repE0EEENS1_30default_config_static_selectorELNS0_4arch9wavefront6targetE1EEEvT1_
    .private_segment_fixed_size: 0
    .sgpr_count:     4
    .sgpr_spill_count: 0
    .symbol:         _ZN7rocprim17ROCPRIM_400000_NS6detail17trampoline_kernelINS0_14default_configENS1_25partition_config_selectorILNS1_17partition_subalgoE0EiNS0_10empty_typeEbEEZZNS1_14partition_implILS5_0ELb0ES3_jN6thrust23THRUST_200600_302600_NS6detail15normal_iteratorINSA_10device_ptrIiEEEEPS6_SG_NS0_5tupleIJNSA_16discard_iteratorINSA_11use_defaultEEESF_EEENSH_IJSG_SG_EEES6_PlJ7is_evenIiEEEE10hipError_tPvRmT3_T4_T5_T6_T7_T9_mT8_P12ihipStream_tbDpT10_ENKUlT_T0_E_clISt17integral_constantIbLb1EES19_EEDaS14_S15_EUlS14_E_NS1_11comp_targetILNS1_3genE10ELNS1_11target_archE1200ELNS1_3gpuE4ELNS1_3repE0EEENS1_30default_config_static_selectorELNS0_4arch9wavefront6targetE1EEEvT1_.kd
    .uniform_work_group_size: 1
    .uses_dynamic_stack: false
    .vgpr_count:     0
    .vgpr_spill_count: 0
    .wavefront_size: 64
  - .agpr_count:     0
    .args:
      - .offset:         0
        .size:           144
        .value_kind:     by_value
    .group_segment_fixed_size: 0
    .kernarg_segment_align: 8
    .kernarg_segment_size: 144
    .language:       OpenCL C
    .language_version:
      - 2
      - 0
    .max_flat_workgroup_size: 128
    .name:           _ZN7rocprim17ROCPRIM_400000_NS6detail17trampoline_kernelINS0_14default_configENS1_25partition_config_selectorILNS1_17partition_subalgoE0EiNS0_10empty_typeEbEEZZNS1_14partition_implILS5_0ELb0ES3_jN6thrust23THRUST_200600_302600_NS6detail15normal_iteratorINSA_10device_ptrIiEEEEPS6_SG_NS0_5tupleIJNSA_16discard_iteratorINSA_11use_defaultEEESF_EEENSH_IJSG_SG_EEES6_PlJ7is_evenIiEEEE10hipError_tPvRmT3_T4_T5_T6_T7_T9_mT8_P12ihipStream_tbDpT10_ENKUlT_T0_E_clISt17integral_constantIbLb1EES19_EEDaS14_S15_EUlS14_E_NS1_11comp_targetILNS1_3genE9ELNS1_11target_archE1100ELNS1_3gpuE3ELNS1_3repE0EEENS1_30default_config_static_selectorELNS0_4arch9wavefront6targetE1EEEvT1_
    .private_segment_fixed_size: 0
    .sgpr_count:     4
    .sgpr_spill_count: 0
    .symbol:         _ZN7rocprim17ROCPRIM_400000_NS6detail17trampoline_kernelINS0_14default_configENS1_25partition_config_selectorILNS1_17partition_subalgoE0EiNS0_10empty_typeEbEEZZNS1_14partition_implILS5_0ELb0ES3_jN6thrust23THRUST_200600_302600_NS6detail15normal_iteratorINSA_10device_ptrIiEEEEPS6_SG_NS0_5tupleIJNSA_16discard_iteratorINSA_11use_defaultEEESF_EEENSH_IJSG_SG_EEES6_PlJ7is_evenIiEEEE10hipError_tPvRmT3_T4_T5_T6_T7_T9_mT8_P12ihipStream_tbDpT10_ENKUlT_T0_E_clISt17integral_constantIbLb1EES19_EEDaS14_S15_EUlS14_E_NS1_11comp_targetILNS1_3genE9ELNS1_11target_archE1100ELNS1_3gpuE3ELNS1_3repE0EEENS1_30default_config_static_selectorELNS0_4arch9wavefront6targetE1EEEvT1_.kd
    .uniform_work_group_size: 1
    .uses_dynamic_stack: false
    .vgpr_count:     0
    .vgpr_spill_count: 0
    .wavefront_size: 64
  - .agpr_count:     0
    .args:
      - .offset:         0
        .size:           144
        .value_kind:     by_value
    .group_segment_fixed_size: 0
    .kernarg_segment_align: 8
    .kernarg_segment_size: 144
    .language:       OpenCL C
    .language_version:
      - 2
      - 0
    .max_flat_workgroup_size: 512
    .name:           _ZN7rocprim17ROCPRIM_400000_NS6detail17trampoline_kernelINS0_14default_configENS1_25partition_config_selectorILNS1_17partition_subalgoE0EiNS0_10empty_typeEbEEZZNS1_14partition_implILS5_0ELb0ES3_jN6thrust23THRUST_200600_302600_NS6detail15normal_iteratorINSA_10device_ptrIiEEEEPS6_SG_NS0_5tupleIJNSA_16discard_iteratorINSA_11use_defaultEEESF_EEENSH_IJSG_SG_EEES6_PlJ7is_evenIiEEEE10hipError_tPvRmT3_T4_T5_T6_T7_T9_mT8_P12ihipStream_tbDpT10_ENKUlT_T0_E_clISt17integral_constantIbLb1EES19_EEDaS14_S15_EUlS14_E_NS1_11comp_targetILNS1_3genE8ELNS1_11target_archE1030ELNS1_3gpuE2ELNS1_3repE0EEENS1_30default_config_static_selectorELNS0_4arch9wavefront6targetE1EEEvT1_
    .private_segment_fixed_size: 0
    .sgpr_count:     4
    .sgpr_spill_count: 0
    .symbol:         _ZN7rocprim17ROCPRIM_400000_NS6detail17trampoline_kernelINS0_14default_configENS1_25partition_config_selectorILNS1_17partition_subalgoE0EiNS0_10empty_typeEbEEZZNS1_14partition_implILS5_0ELb0ES3_jN6thrust23THRUST_200600_302600_NS6detail15normal_iteratorINSA_10device_ptrIiEEEEPS6_SG_NS0_5tupleIJNSA_16discard_iteratorINSA_11use_defaultEEESF_EEENSH_IJSG_SG_EEES6_PlJ7is_evenIiEEEE10hipError_tPvRmT3_T4_T5_T6_T7_T9_mT8_P12ihipStream_tbDpT10_ENKUlT_T0_E_clISt17integral_constantIbLb1EES19_EEDaS14_S15_EUlS14_E_NS1_11comp_targetILNS1_3genE8ELNS1_11target_archE1030ELNS1_3gpuE2ELNS1_3repE0EEENS1_30default_config_static_selectorELNS0_4arch9wavefront6targetE1EEEvT1_.kd
    .uniform_work_group_size: 1
    .uses_dynamic_stack: false
    .vgpr_count:     0
    .vgpr_spill_count: 0
    .wavefront_size: 64
  - .agpr_count:     0
    .args:
      - .offset:         0
        .size:           128
        .value_kind:     by_value
    .group_segment_fixed_size: 0
    .kernarg_segment_align: 8
    .kernarg_segment_size: 128
    .language:       OpenCL C
    .language_version:
      - 2
      - 0
    .max_flat_workgroup_size: 256
    .name:           _ZN7rocprim17ROCPRIM_400000_NS6detail17trampoline_kernelINS0_14default_configENS1_25partition_config_selectorILNS1_17partition_subalgoE0EiNS0_10empty_typeEbEEZZNS1_14partition_implILS5_0ELb0ES3_jN6thrust23THRUST_200600_302600_NS6detail15normal_iteratorINSA_10device_ptrIiEEEEPS6_SG_NS0_5tupleIJNSA_16discard_iteratorINSA_11use_defaultEEESF_EEENSH_IJSG_SG_EEES6_PlJ7is_evenIiEEEE10hipError_tPvRmT3_T4_T5_T6_T7_T9_mT8_P12ihipStream_tbDpT10_ENKUlT_T0_E_clISt17integral_constantIbLb1EES18_IbLb0EEEEDaS14_S15_EUlS14_E_NS1_11comp_targetILNS1_3genE0ELNS1_11target_archE4294967295ELNS1_3gpuE0ELNS1_3repE0EEENS1_30default_config_static_selectorELNS0_4arch9wavefront6targetE1EEEvT1_
    .private_segment_fixed_size: 0
    .sgpr_count:     4
    .sgpr_spill_count: 0
    .symbol:         _ZN7rocprim17ROCPRIM_400000_NS6detail17trampoline_kernelINS0_14default_configENS1_25partition_config_selectorILNS1_17partition_subalgoE0EiNS0_10empty_typeEbEEZZNS1_14partition_implILS5_0ELb0ES3_jN6thrust23THRUST_200600_302600_NS6detail15normal_iteratorINSA_10device_ptrIiEEEEPS6_SG_NS0_5tupleIJNSA_16discard_iteratorINSA_11use_defaultEEESF_EEENSH_IJSG_SG_EEES6_PlJ7is_evenIiEEEE10hipError_tPvRmT3_T4_T5_T6_T7_T9_mT8_P12ihipStream_tbDpT10_ENKUlT_T0_E_clISt17integral_constantIbLb1EES18_IbLb0EEEEDaS14_S15_EUlS14_E_NS1_11comp_targetILNS1_3genE0ELNS1_11target_archE4294967295ELNS1_3gpuE0ELNS1_3repE0EEENS1_30default_config_static_selectorELNS0_4arch9wavefront6targetE1EEEvT1_.kd
    .uniform_work_group_size: 1
    .uses_dynamic_stack: false
    .vgpr_count:     0
    .vgpr_spill_count: 0
    .wavefront_size: 64
  - .agpr_count:     0
    .args:
      - .offset:         0
        .size:           128
        .value_kind:     by_value
    .group_segment_fixed_size: 0
    .kernarg_segment_align: 8
    .kernarg_segment_size: 128
    .language:       OpenCL C
    .language_version:
      - 2
      - 0
    .max_flat_workgroup_size: 512
    .name:           _ZN7rocprim17ROCPRIM_400000_NS6detail17trampoline_kernelINS0_14default_configENS1_25partition_config_selectorILNS1_17partition_subalgoE0EiNS0_10empty_typeEbEEZZNS1_14partition_implILS5_0ELb0ES3_jN6thrust23THRUST_200600_302600_NS6detail15normal_iteratorINSA_10device_ptrIiEEEEPS6_SG_NS0_5tupleIJNSA_16discard_iteratorINSA_11use_defaultEEESF_EEENSH_IJSG_SG_EEES6_PlJ7is_evenIiEEEE10hipError_tPvRmT3_T4_T5_T6_T7_T9_mT8_P12ihipStream_tbDpT10_ENKUlT_T0_E_clISt17integral_constantIbLb1EES18_IbLb0EEEEDaS14_S15_EUlS14_E_NS1_11comp_targetILNS1_3genE5ELNS1_11target_archE942ELNS1_3gpuE9ELNS1_3repE0EEENS1_30default_config_static_selectorELNS0_4arch9wavefront6targetE1EEEvT1_
    .private_segment_fixed_size: 0
    .sgpr_count:     4
    .sgpr_spill_count: 0
    .symbol:         _ZN7rocprim17ROCPRIM_400000_NS6detail17trampoline_kernelINS0_14default_configENS1_25partition_config_selectorILNS1_17partition_subalgoE0EiNS0_10empty_typeEbEEZZNS1_14partition_implILS5_0ELb0ES3_jN6thrust23THRUST_200600_302600_NS6detail15normal_iteratorINSA_10device_ptrIiEEEEPS6_SG_NS0_5tupleIJNSA_16discard_iteratorINSA_11use_defaultEEESF_EEENSH_IJSG_SG_EEES6_PlJ7is_evenIiEEEE10hipError_tPvRmT3_T4_T5_T6_T7_T9_mT8_P12ihipStream_tbDpT10_ENKUlT_T0_E_clISt17integral_constantIbLb1EES18_IbLb0EEEEDaS14_S15_EUlS14_E_NS1_11comp_targetILNS1_3genE5ELNS1_11target_archE942ELNS1_3gpuE9ELNS1_3repE0EEENS1_30default_config_static_selectorELNS0_4arch9wavefront6targetE1EEEvT1_.kd
    .uniform_work_group_size: 1
    .uses_dynamic_stack: false
    .vgpr_count:     0
    .vgpr_spill_count: 0
    .wavefront_size: 64
  - .agpr_count:     0
    .args:
      - .offset:         0
        .size:           128
        .value_kind:     by_value
    .group_segment_fixed_size: 10248
    .kernarg_segment_align: 8
    .kernarg_segment_size: 128
    .language:       OpenCL C
    .language_version:
      - 2
      - 0
    .max_flat_workgroup_size: 256
    .name:           _ZN7rocprim17ROCPRIM_400000_NS6detail17trampoline_kernelINS0_14default_configENS1_25partition_config_selectorILNS1_17partition_subalgoE0EiNS0_10empty_typeEbEEZZNS1_14partition_implILS5_0ELb0ES3_jN6thrust23THRUST_200600_302600_NS6detail15normal_iteratorINSA_10device_ptrIiEEEEPS6_SG_NS0_5tupleIJNSA_16discard_iteratorINSA_11use_defaultEEESF_EEENSH_IJSG_SG_EEES6_PlJ7is_evenIiEEEE10hipError_tPvRmT3_T4_T5_T6_T7_T9_mT8_P12ihipStream_tbDpT10_ENKUlT_T0_E_clISt17integral_constantIbLb1EES18_IbLb0EEEEDaS14_S15_EUlS14_E_NS1_11comp_targetILNS1_3genE4ELNS1_11target_archE910ELNS1_3gpuE8ELNS1_3repE0EEENS1_30default_config_static_selectorELNS0_4arch9wavefront6targetE1EEEvT1_
    .private_segment_fixed_size: 0
    .sgpr_count:     48
    .sgpr_spill_count: 0
    .symbol:         _ZN7rocprim17ROCPRIM_400000_NS6detail17trampoline_kernelINS0_14default_configENS1_25partition_config_selectorILNS1_17partition_subalgoE0EiNS0_10empty_typeEbEEZZNS1_14partition_implILS5_0ELb0ES3_jN6thrust23THRUST_200600_302600_NS6detail15normal_iteratorINSA_10device_ptrIiEEEEPS6_SG_NS0_5tupleIJNSA_16discard_iteratorINSA_11use_defaultEEESF_EEENSH_IJSG_SG_EEES6_PlJ7is_evenIiEEEE10hipError_tPvRmT3_T4_T5_T6_T7_T9_mT8_P12ihipStream_tbDpT10_ENKUlT_T0_E_clISt17integral_constantIbLb1EES18_IbLb0EEEEDaS14_S15_EUlS14_E_NS1_11comp_targetILNS1_3genE4ELNS1_11target_archE910ELNS1_3gpuE8ELNS1_3repE0EEENS1_30default_config_static_selectorELNS0_4arch9wavefront6targetE1EEEvT1_.kd
    .uniform_work_group_size: 1
    .uses_dynamic_stack: false
    .vgpr_count:     54
    .vgpr_spill_count: 0
    .wavefront_size: 64
  - .agpr_count:     0
    .args:
      - .offset:         0
        .size:           128
        .value_kind:     by_value
    .group_segment_fixed_size: 0
    .kernarg_segment_align: 8
    .kernarg_segment_size: 128
    .language:       OpenCL C
    .language_version:
      - 2
      - 0
    .max_flat_workgroup_size: 256
    .name:           _ZN7rocprim17ROCPRIM_400000_NS6detail17trampoline_kernelINS0_14default_configENS1_25partition_config_selectorILNS1_17partition_subalgoE0EiNS0_10empty_typeEbEEZZNS1_14partition_implILS5_0ELb0ES3_jN6thrust23THRUST_200600_302600_NS6detail15normal_iteratorINSA_10device_ptrIiEEEEPS6_SG_NS0_5tupleIJNSA_16discard_iteratorINSA_11use_defaultEEESF_EEENSH_IJSG_SG_EEES6_PlJ7is_evenIiEEEE10hipError_tPvRmT3_T4_T5_T6_T7_T9_mT8_P12ihipStream_tbDpT10_ENKUlT_T0_E_clISt17integral_constantIbLb1EES18_IbLb0EEEEDaS14_S15_EUlS14_E_NS1_11comp_targetILNS1_3genE3ELNS1_11target_archE908ELNS1_3gpuE7ELNS1_3repE0EEENS1_30default_config_static_selectorELNS0_4arch9wavefront6targetE1EEEvT1_
    .private_segment_fixed_size: 0
    .sgpr_count:     4
    .sgpr_spill_count: 0
    .symbol:         _ZN7rocprim17ROCPRIM_400000_NS6detail17trampoline_kernelINS0_14default_configENS1_25partition_config_selectorILNS1_17partition_subalgoE0EiNS0_10empty_typeEbEEZZNS1_14partition_implILS5_0ELb0ES3_jN6thrust23THRUST_200600_302600_NS6detail15normal_iteratorINSA_10device_ptrIiEEEEPS6_SG_NS0_5tupleIJNSA_16discard_iteratorINSA_11use_defaultEEESF_EEENSH_IJSG_SG_EEES6_PlJ7is_evenIiEEEE10hipError_tPvRmT3_T4_T5_T6_T7_T9_mT8_P12ihipStream_tbDpT10_ENKUlT_T0_E_clISt17integral_constantIbLb1EES18_IbLb0EEEEDaS14_S15_EUlS14_E_NS1_11comp_targetILNS1_3genE3ELNS1_11target_archE908ELNS1_3gpuE7ELNS1_3repE0EEENS1_30default_config_static_selectorELNS0_4arch9wavefront6targetE1EEEvT1_.kd
    .uniform_work_group_size: 1
    .uses_dynamic_stack: false
    .vgpr_count:     0
    .vgpr_spill_count: 0
    .wavefront_size: 64
  - .agpr_count:     0
    .args:
      - .offset:         0
        .size:           128
        .value_kind:     by_value
    .group_segment_fixed_size: 0
    .kernarg_segment_align: 8
    .kernarg_segment_size: 128
    .language:       OpenCL C
    .language_version:
      - 2
      - 0
    .max_flat_workgroup_size: 192
    .name:           _ZN7rocprim17ROCPRIM_400000_NS6detail17trampoline_kernelINS0_14default_configENS1_25partition_config_selectorILNS1_17partition_subalgoE0EiNS0_10empty_typeEbEEZZNS1_14partition_implILS5_0ELb0ES3_jN6thrust23THRUST_200600_302600_NS6detail15normal_iteratorINSA_10device_ptrIiEEEEPS6_SG_NS0_5tupleIJNSA_16discard_iteratorINSA_11use_defaultEEESF_EEENSH_IJSG_SG_EEES6_PlJ7is_evenIiEEEE10hipError_tPvRmT3_T4_T5_T6_T7_T9_mT8_P12ihipStream_tbDpT10_ENKUlT_T0_E_clISt17integral_constantIbLb1EES18_IbLb0EEEEDaS14_S15_EUlS14_E_NS1_11comp_targetILNS1_3genE2ELNS1_11target_archE906ELNS1_3gpuE6ELNS1_3repE0EEENS1_30default_config_static_selectorELNS0_4arch9wavefront6targetE1EEEvT1_
    .private_segment_fixed_size: 0
    .sgpr_count:     4
    .sgpr_spill_count: 0
    .symbol:         _ZN7rocprim17ROCPRIM_400000_NS6detail17trampoline_kernelINS0_14default_configENS1_25partition_config_selectorILNS1_17partition_subalgoE0EiNS0_10empty_typeEbEEZZNS1_14partition_implILS5_0ELb0ES3_jN6thrust23THRUST_200600_302600_NS6detail15normal_iteratorINSA_10device_ptrIiEEEEPS6_SG_NS0_5tupleIJNSA_16discard_iteratorINSA_11use_defaultEEESF_EEENSH_IJSG_SG_EEES6_PlJ7is_evenIiEEEE10hipError_tPvRmT3_T4_T5_T6_T7_T9_mT8_P12ihipStream_tbDpT10_ENKUlT_T0_E_clISt17integral_constantIbLb1EES18_IbLb0EEEEDaS14_S15_EUlS14_E_NS1_11comp_targetILNS1_3genE2ELNS1_11target_archE906ELNS1_3gpuE6ELNS1_3repE0EEENS1_30default_config_static_selectorELNS0_4arch9wavefront6targetE1EEEvT1_.kd
    .uniform_work_group_size: 1
    .uses_dynamic_stack: false
    .vgpr_count:     0
    .vgpr_spill_count: 0
    .wavefront_size: 64
  - .agpr_count:     0
    .args:
      - .offset:         0
        .size:           128
        .value_kind:     by_value
    .group_segment_fixed_size: 0
    .kernarg_segment_align: 8
    .kernarg_segment_size: 128
    .language:       OpenCL C
    .language_version:
      - 2
      - 0
    .max_flat_workgroup_size: 512
    .name:           _ZN7rocprim17ROCPRIM_400000_NS6detail17trampoline_kernelINS0_14default_configENS1_25partition_config_selectorILNS1_17partition_subalgoE0EiNS0_10empty_typeEbEEZZNS1_14partition_implILS5_0ELb0ES3_jN6thrust23THRUST_200600_302600_NS6detail15normal_iteratorINSA_10device_ptrIiEEEEPS6_SG_NS0_5tupleIJNSA_16discard_iteratorINSA_11use_defaultEEESF_EEENSH_IJSG_SG_EEES6_PlJ7is_evenIiEEEE10hipError_tPvRmT3_T4_T5_T6_T7_T9_mT8_P12ihipStream_tbDpT10_ENKUlT_T0_E_clISt17integral_constantIbLb1EES18_IbLb0EEEEDaS14_S15_EUlS14_E_NS1_11comp_targetILNS1_3genE10ELNS1_11target_archE1200ELNS1_3gpuE4ELNS1_3repE0EEENS1_30default_config_static_selectorELNS0_4arch9wavefront6targetE1EEEvT1_
    .private_segment_fixed_size: 0
    .sgpr_count:     4
    .sgpr_spill_count: 0
    .symbol:         _ZN7rocprim17ROCPRIM_400000_NS6detail17trampoline_kernelINS0_14default_configENS1_25partition_config_selectorILNS1_17partition_subalgoE0EiNS0_10empty_typeEbEEZZNS1_14partition_implILS5_0ELb0ES3_jN6thrust23THRUST_200600_302600_NS6detail15normal_iteratorINSA_10device_ptrIiEEEEPS6_SG_NS0_5tupleIJNSA_16discard_iteratorINSA_11use_defaultEEESF_EEENSH_IJSG_SG_EEES6_PlJ7is_evenIiEEEE10hipError_tPvRmT3_T4_T5_T6_T7_T9_mT8_P12ihipStream_tbDpT10_ENKUlT_T0_E_clISt17integral_constantIbLb1EES18_IbLb0EEEEDaS14_S15_EUlS14_E_NS1_11comp_targetILNS1_3genE10ELNS1_11target_archE1200ELNS1_3gpuE4ELNS1_3repE0EEENS1_30default_config_static_selectorELNS0_4arch9wavefront6targetE1EEEvT1_.kd
    .uniform_work_group_size: 1
    .uses_dynamic_stack: false
    .vgpr_count:     0
    .vgpr_spill_count: 0
    .wavefront_size: 64
  - .agpr_count:     0
    .args:
      - .offset:         0
        .size:           128
        .value_kind:     by_value
    .group_segment_fixed_size: 0
    .kernarg_segment_align: 8
    .kernarg_segment_size: 128
    .language:       OpenCL C
    .language_version:
      - 2
      - 0
    .max_flat_workgroup_size: 128
    .name:           _ZN7rocprim17ROCPRIM_400000_NS6detail17trampoline_kernelINS0_14default_configENS1_25partition_config_selectorILNS1_17partition_subalgoE0EiNS0_10empty_typeEbEEZZNS1_14partition_implILS5_0ELb0ES3_jN6thrust23THRUST_200600_302600_NS6detail15normal_iteratorINSA_10device_ptrIiEEEEPS6_SG_NS0_5tupleIJNSA_16discard_iteratorINSA_11use_defaultEEESF_EEENSH_IJSG_SG_EEES6_PlJ7is_evenIiEEEE10hipError_tPvRmT3_T4_T5_T6_T7_T9_mT8_P12ihipStream_tbDpT10_ENKUlT_T0_E_clISt17integral_constantIbLb1EES18_IbLb0EEEEDaS14_S15_EUlS14_E_NS1_11comp_targetILNS1_3genE9ELNS1_11target_archE1100ELNS1_3gpuE3ELNS1_3repE0EEENS1_30default_config_static_selectorELNS0_4arch9wavefront6targetE1EEEvT1_
    .private_segment_fixed_size: 0
    .sgpr_count:     4
    .sgpr_spill_count: 0
    .symbol:         _ZN7rocprim17ROCPRIM_400000_NS6detail17trampoline_kernelINS0_14default_configENS1_25partition_config_selectorILNS1_17partition_subalgoE0EiNS0_10empty_typeEbEEZZNS1_14partition_implILS5_0ELb0ES3_jN6thrust23THRUST_200600_302600_NS6detail15normal_iteratorINSA_10device_ptrIiEEEEPS6_SG_NS0_5tupleIJNSA_16discard_iteratorINSA_11use_defaultEEESF_EEENSH_IJSG_SG_EEES6_PlJ7is_evenIiEEEE10hipError_tPvRmT3_T4_T5_T6_T7_T9_mT8_P12ihipStream_tbDpT10_ENKUlT_T0_E_clISt17integral_constantIbLb1EES18_IbLb0EEEEDaS14_S15_EUlS14_E_NS1_11comp_targetILNS1_3genE9ELNS1_11target_archE1100ELNS1_3gpuE3ELNS1_3repE0EEENS1_30default_config_static_selectorELNS0_4arch9wavefront6targetE1EEEvT1_.kd
    .uniform_work_group_size: 1
    .uses_dynamic_stack: false
    .vgpr_count:     0
    .vgpr_spill_count: 0
    .wavefront_size: 64
  - .agpr_count:     0
    .args:
      - .offset:         0
        .size:           128
        .value_kind:     by_value
    .group_segment_fixed_size: 0
    .kernarg_segment_align: 8
    .kernarg_segment_size: 128
    .language:       OpenCL C
    .language_version:
      - 2
      - 0
    .max_flat_workgroup_size: 512
    .name:           _ZN7rocprim17ROCPRIM_400000_NS6detail17trampoline_kernelINS0_14default_configENS1_25partition_config_selectorILNS1_17partition_subalgoE0EiNS0_10empty_typeEbEEZZNS1_14partition_implILS5_0ELb0ES3_jN6thrust23THRUST_200600_302600_NS6detail15normal_iteratorINSA_10device_ptrIiEEEEPS6_SG_NS0_5tupleIJNSA_16discard_iteratorINSA_11use_defaultEEESF_EEENSH_IJSG_SG_EEES6_PlJ7is_evenIiEEEE10hipError_tPvRmT3_T4_T5_T6_T7_T9_mT8_P12ihipStream_tbDpT10_ENKUlT_T0_E_clISt17integral_constantIbLb1EES18_IbLb0EEEEDaS14_S15_EUlS14_E_NS1_11comp_targetILNS1_3genE8ELNS1_11target_archE1030ELNS1_3gpuE2ELNS1_3repE0EEENS1_30default_config_static_selectorELNS0_4arch9wavefront6targetE1EEEvT1_
    .private_segment_fixed_size: 0
    .sgpr_count:     4
    .sgpr_spill_count: 0
    .symbol:         _ZN7rocprim17ROCPRIM_400000_NS6detail17trampoline_kernelINS0_14default_configENS1_25partition_config_selectorILNS1_17partition_subalgoE0EiNS0_10empty_typeEbEEZZNS1_14partition_implILS5_0ELb0ES3_jN6thrust23THRUST_200600_302600_NS6detail15normal_iteratorINSA_10device_ptrIiEEEEPS6_SG_NS0_5tupleIJNSA_16discard_iteratorINSA_11use_defaultEEESF_EEENSH_IJSG_SG_EEES6_PlJ7is_evenIiEEEE10hipError_tPvRmT3_T4_T5_T6_T7_T9_mT8_P12ihipStream_tbDpT10_ENKUlT_T0_E_clISt17integral_constantIbLb1EES18_IbLb0EEEEDaS14_S15_EUlS14_E_NS1_11comp_targetILNS1_3genE8ELNS1_11target_archE1030ELNS1_3gpuE2ELNS1_3repE0EEENS1_30default_config_static_selectorELNS0_4arch9wavefront6targetE1EEEvT1_.kd
    .uniform_work_group_size: 1
    .uses_dynamic_stack: false
    .vgpr_count:     0
    .vgpr_spill_count: 0
    .wavefront_size: 64
  - .agpr_count:     0
    .args:
      - .offset:         0
        .size:           144
        .value_kind:     by_value
    .group_segment_fixed_size: 0
    .kernarg_segment_align: 8
    .kernarg_segment_size: 144
    .language:       OpenCL C
    .language_version:
      - 2
      - 0
    .max_flat_workgroup_size: 256
    .name:           _ZN7rocprim17ROCPRIM_400000_NS6detail17trampoline_kernelINS0_14default_configENS1_25partition_config_selectorILNS1_17partition_subalgoE0EiNS0_10empty_typeEbEEZZNS1_14partition_implILS5_0ELb0ES3_jN6thrust23THRUST_200600_302600_NS6detail15normal_iteratorINSA_10device_ptrIiEEEEPS6_SG_NS0_5tupleIJNSA_16discard_iteratorINSA_11use_defaultEEESF_EEENSH_IJSG_SG_EEES6_PlJ7is_evenIiEEEE10hipError_tPvRmT3_T4_T5_T6_T7_T9_mT8_P12ihipStream_tbDpT10_ENKUlT_T0_E_clISt17integral_constantIbLb0EES18_IbLb1EEEEDaS14_S15_EUlS14_E_NS1_11comp_targetILNS1_3genE0ELNS1_11target_archE4294967295ELNS1_3gpuE0ELNS1_3repE0EEENS1_30default_config_static_selectorELNS0_4arch9wavefront6targetE1EEEvT1_
    .private_segment_fixed_size: 0
    .sgpr_count:     4
    .sgpr_spill_count: 0
    .symbol:         _ZN7rocprim17ROCPRIM_400000_NS6detail17trampoline_kernelINS0_14default_configENS1_25partition_config_selectorILNS1_17partition_subalgoE0EiNS0_10empty_typeEbEEZZNS1_14partition_implILS5_0ELb0ES3_jN6thrust23THRUST_200600_302600_NS6detail15normal_iteratorINSA_10device_ptrIiEEEEPS6_SG_NS0_5tupleIJNSA_16discard_iteratorINSA_11use_defaultEEESF_EEENSH_IJSG_SG_EEES6_PlJ7is_evenIiEEEE10hipError_tPvRmT3_T4_T5_T6_T7_T9_mT8_P12ihipStream_tbDpT10_ENKUlT_T0_E_clISt17integral_constantIbLb0EES18_IbLb1EEEEDaS14_S15_EUlS14_E_NS1_11comp_targetILNS1_3genE0ELNS1_11target_archE4294967295ELNS1_3gpuE0ELNS1_3repE0EEENS1_30default_config_static_selectorELNS0_4arch9wavefront6targetE1EEEvT1_.kd
    .uniform_work_group_size: 1
    .uses_dynamic_stack: false
    .vgpr_count:     0
    .vgpr_spill_count: 0
    .wavefront_size: 64
  - .agpr_count:     0
    .args:
      - .offset:         0
        .size:           144
        .value_kind:     by_value
    .group_segment_fixed_size: 0
    .kernarg_segment_align: 8
    .kernarg_segment_size: 144
    .language:       OpenCL C
    .language_version:
      - 2
      - 0
    .max_flat_workgroup_size: 512
    .name:           _ZN7rocprim17ROCPRIM_400000_NS6detail17trampoline_kernelINS0_14default_configENS1_25partition_config_selectorILNS1_17partition_subalgoE0EiNS0_10empty_typeEbEEZZNS1_14partition_implILS5_0ELb0ES3_jN6thrust23THRUST_200600_302600_NS6detail15normal_iteratorINSA_10device_ptrIiEEEEPS6_SG_NS0_5tupleIJNSA_16discard_iteratorINSA_11use_defaultEEESF_EEENSH_IJSG_SG_EEES6_PlJ7is_evenIiEEEE10hipError_tPvRmT3_T4_T5_T6_T7_T9_mT8_P12ihipStream_tbDpT10_ENKUlT_T0_E_clISt17integral_constantIbLb0EES18_IbLb1EEEEDaS14_S15_EUlS14_E_NS1_11comp_targetILNS1_3genE5ELNS1_11target_archE942ELNS1_3gpuE9ELNS1_3repE0EEENS1_30default_config_static_selectorELNS0_4arch9wavefront6targetE1EEEvT1_
    .private_segment_fixed_size: 0
    .sgpr_count:     4
    .sgpr_spill_count: 0
    .symbol:         _ZN7rocprim17ROCPRIM_400000_NS6detail17trampoline_kernelINS0_14default_configENS1_25partition_config_selectorILNS1_17partition_subalgoE0EiNS0_10empty_typeEbEEZZNS1_14partition_implILS5_0ELb0ES3_jN6thrust23THRUST_200600_302600_NS6detail15normal_iteratorINSA_10device_ptrIiEEEEPS6_SG_NS0_5tupleIJNSA_16discard_iteratorINSA_11use_defaultEEESF_EEENSH_IJSG_SG_EEES6_PlJ7is_evenIiEEEE10hipError_tPvRmT3_T4_T5_T6_T7_T9_mT8_P12ihipStream_tbDpT10_ENKUlT_T0_E_clISt17integral_constantIbLb0EES18_IbLb1EEEEDaS14_S15_EUlS14_E_NS1_11comp_targetILNS1_3genE5ELNS1_11target_archE942ELNS1_3gpuE9ELNS1_3repE0EEENS1_30default_config_static_selectorELNS0_4arch9wavefront6targetE1EEEvT1_.kd
    .uniform_work_group_size: 1
    .uses_dynamic_stack: false
    .vgpr_count:     0
    .vgpr_spill_count: 0
    .wavefront_size: 64
  - .agpr_count:     0
    .args:
      - .offset:         0
        .size:           144
        .value_kind:     by_value
    .group_segment_fixed_size: 10248
    .kernarg_segment_align: 8
    .kernarg_segment_size: 144
    .language:       OpenCL C
    .language_version:
      - 2
      - 0
    .max_flat_workgroup_size: 256
    .name:           _ZN7rocprim17ROCPRIM_400000_NS6detail17trampoline_kernelINS0_14default_configENS1_25partition_config_selectorILNS1_17partition_subalgoE0EiNS0_10empty_typeEbEEZZNS1_14partition_implILS5_0ELb0ES3_jN6thrust23THRUST_200600_302600_NS6detail15normal_iteratorINSA_10device_ptrIiEEEEPS6_SG_NS0_5tupleIJNSA_16discard_iteratorINSA_11use_defaultEEESF_EEENSH_IJSG_SG_EEES6_PlJ7is_evenIiEEEE10hipError_tPvRmT3_T4_T5_T6_T7_T9_mT8_P12ihipStream_tbDpT10_ENKUlT_T0_E_clISt17integral_constantIbLb0EES18_IbLb1EEEEDaS14_S15_EUlS14_E_NS1_11comp_targetILNS1_3genE4ELNS1_11target_archE910ELNS1_3gpuE8ELNS1_3repE0EEENS1_30default_config_static_selectorELNS0_4arch9wavefront6targetE1EEEvT1_
    .private_segment_fixed_size: 0
    .sgpr_count:     46
    .sgpr_spill_count: 0
    .symbol:         _ZN7rocprim17ROCPRIM_400000_NS6detail17trampoline_kernelINS0_14default_configENS1_25partition_config_selectorILNS1_17partition_subalgoE0EiNS0_10empty_typeEbEEZZNS1_14partition_implILS5_0ELb0ES3_jN6thrust23THRUST_200600_302600_NS6detail15normal_iteratorINSA_10device_ptrIiEEEEPS6_SG_NS0_5tupleIJNSA_16discard_iteratorINSA_11use_defaultEEESF_EEENSH_IJSG_SG_EEES6_PlJ7is_evenIiEEEE10hipError_tPvRmT3_T4_T5_T6_T7_T9_mT8_P12ihipStream_tbDpT10_ENKUlT_T0_E_clISt17integral_constantIbLb0EES18_IbLb1EEEEDaS14_S15_EUlS14_E_NS1_11comp_targetILNS1_3genE4ELNS1_11target_archE910ELNS1_3gpuE8ELNS1_3repE0EEENS1_30default_config_static_selectorELNS0_4arch9wavefront6targetE1EEEvT1_.kd
    .uniform_work_group_size: 1
    .uses_dynamic_stack: false
    .vgpr_count:     58
    .vgpr_spill_count: 0
    .wavefront_size: 64
  - .agpr_count:     0
    .args:
      - .offset:         0
        .size:           144
        .value_kind:     by_value
    .group_segment_fixed_size: 0
    .kernarg_segment_align: 8
    .kernarg_segment_size: 144
    .language:       OpenCL C
    .language_version:
      - 2
      - 0
    .max_flat_workgroup_size: 256
    .name:           _ZN7rocprim17ROCPRIM_400000_NS6detail17trampoline_kernelINS0_14default_configENS1_25partition_config_selectorILNS1_17partition_subalgoE0EiNS0_10empty_typeEbEEZZNS1_14partition_implILS5_0ELb0ES3_jN6thrust23THRUST_200600_302600_NS6detail15normal_iteratorINSA_10device_ptrIiEEEEPS6_SG_NS0_5tupleIJNSA_16discard_iteratorINSA_11use_defaultEEESF_EEENSH_IJSG_SG_EEES6_PlJ7is_evenIiEEEE10hipError_tPvRmT3_T4_T5_T6_T7_T9_mT8_P12ihipStream_tbDpT10_ENKUlT_T0_E_clISt17integral_constantIbLb0EES18_IbLb1EEEEDaS14_S15_EUlS14_E_NS1_11comp_targetILNS1_3genE3ELNS1_11target_archE908ELNS1_3gpuE7ELNS1_3repE0EEENS1_30default_config_static_selectorELNS0_4arch9wavefront6targetE1EEEvT1_
    .private_segment_fixed_size: 0
    .sgpr_count:     4
    .sgpr_spill_count: 0
    .symbol:         _ZN7rocprim17ROCPRIM_400000_NS6detail17trampoline_kernelINS0_14default_configENS1_25partition_config_selectorILNS1_17partition_subalgoE0EiNS0_10empty_typeEbEEZZNS1_14partition_implILS5_0ELb0ES3_jN6thrust23THRUST_200600_302600_NS6detail15normal_iteratorINSA_10device_ptrIiEEEEPS6_SG_NS0_5tupleIJNSA_16discard_iteratorINSA_11use_defaultEEESF_EEENSH_IJSG_SG_EEES6_PlJ7is_evenIiEEEE10hipError_tPvRmT3_T4_T5_T6_T7_T9_mT8_P12ihipStream_tbDpT10_ENKUlT_T0_E_clISt17integral_constantIbLb0EES18_IbLb1EEEEDaS14_S15_EUlS14_E_NS1_11comp_targetILNS1_3genE3ELNS1_11target_archE908ELNS1_3gpuE7ELNS1_3repE0EEENS1_30default_config_static_selectorELNS0_4arch9wavefront6targetE1EEEvT1_.kd
    .uniform_work_group_size: 1
    .uses_dynamic_stack: false
    .vgpr_count:     0
    .vgpr_spill_count: 0
    .wavefront_size: 64
  - .agpr_count:     0
    .args:
      - .offset:         0
        .size:           144
        .value_kind:     by_value
    .group_segment_fixed_size: 0
    .kernarg_segment_align: 8
    .kernarg_segment_size: 144
    .language:       OpenCL C
    .language_version:
      - 2
      - 0
    .max_flat_workgroup_size: 192
    .name:           _ZN7rocprim17ROCPRIM_400000_NS6detail17trampoline_kernelINS0_14default_configENS1_25partition_config_selectorILNS1_17partition_subalgoE0EiNS0_10empty_typeEbEEZZNS1_14partition_implILS5_0ELb0ES3_jN6thrust23THRUST_200600_302600_NS6detail15normal_iteratorINSA_10device_ptrIiEEEEPS6_SG_NS0_5tupleIJNSA_16discard_iteratorINSA_11use_defaultEEESF_EEENSH_IJSG_SG_EEES6_PlJ7is_evenIiEEEE10hipError_tPvRmT3_T4_T5_T6_T7_T9_mT8_P12ihipStream_tbDpT10_ENKUlT_T0_E_clISt17integral_constantIbLb0EES18_IbLb1EEEEDaS14_S15_EUlS14_E_NS1_11comp_targetILNS1_3genE2ELNS1_11target_archE906ELNS1_3gpuE6ELNS1_3repE0EEENS1_30default_config_static_selectorELNS0_4arch9wavefront6targetE1EEEvT1_
    .private_segment_fixed_size: 0
    .sgpr_count:     4
    .sgpr_spill_count: 0
    .symbol:         _ZN7rocprim17ROCPRIM_400000_NS6detail17trampoline_kernelINS0_14default_configENS1_25partition_config_selectorILNS1_17partition_subalgoE0EiNS0_10empty_typeEbEEZZNS1_14partition_implILS5_0ELb0ES3_jN6thrust23THRUST_200600_302600_NS6detail15normal_iteratorINSA_10device_ptrIiEEEEPS6_SG_NS0_5tupleIJNSA_16discard_iteratorINSA_11use_defaultEEESF_EEENSH_IJSG_SG_EEES6_PlJ7is_evenIiEEEE10hipError_tPvRmT3_T4_T5_T6_T7_T9_mT8_P12ihipStream_tbDpT10_ENKUlT_T0_E_clISt17integral_constantIbLb0EES18_IbLb1EEEEDaS14_S15_EUlS14_E_NS1_11comp_targetILNS1_3genE2ELNS1_11target_archE906ELNS1_3gpuE6ELNS1_3repE0EEENS1_30default_config_static_selectorELNS0_4arch9wavefront6targetE1EEEvT1_.kd
    .uniform_work_group_size: 1
    .uses_dynamic_stack: false
    .vgpr_count:     0
    .vgpr_spill_count: 0
    .wavefront_size: 64
  - .agpr_count:     0
    .args:
      - .offset:         0
        .size:           144
        .value_kind:     by_value
    .group_segment_fixed_size: 0
    .kernarg_segment_align: 8
    .kernarg_segment_size: 144
    .language:       OpenCL C
    .language_version:
      - 2
      - 0
    .max_flat_workgroup_size: 512
    .name:           _ZN7rocprim17ROCPRIM_400000_NS6detail17trampoline_kernelINS0_14default_configENS1_25partition_config_selectorILNS1_17partition_subalgoE0EiNS0_10empty_typeEbEEZZNS1_14partition_implILS5_0ELb0ES3_jN6thrust23THRUST_200600_302600_NS6detail15normal_iteratorINSA_10device_ptrIiEEEEPS6_SG_NS0_5tupleIJNSA_16discard_iteratorINSA_11use_defaultEEESF_EEENSH_IJSG_SG_EEES6_PlJ7is_evenIiEEEE10hipError_tPvRmT3_T4_T5_T6_T7_T9_mT8_P12ihipStream_tbDpT10_ENKUlT_T0_E_clISt17integral_constantIbLb0EES18_IbLb1EEEEDaS14_S15_EUlS14_E_NS1_11comp_targetILNS1_3genE10ELNS1_11target_archE1200ELNS1_3gpuE4ELNS1_3repE0EEENS1_30default_config_static_selectorELNS0_4arch9wavefront6targetE1EEEvT1_
    .private_segment_fixed_size: 0
    .sgpr_count:     4
    .sgpr_spill_count: 0
    .symbol:         _ZN7rocprim17ROCPRIM_400000_NS6detail17trampoline_kernelINS0_14default_configENS1_25partition_config_selectorILNS1_17partition_subalgoE0EiNS0_10empty_typeEbEEZZNS1_14partition_implILS5_0ELb0ES3_jN6thrust23THRUST_200600_302600_NS6detail15normal_iteratorINSA_10device_ptrIiEEEEPS6_SG_NS0_5tupleIJNSA_16discard_iteratorINSA_11use_defaultEEESF_EEENSH_IJSG_SG_EEES6_PlJ7is_evenIiEEEE10hipError_tPvRmT3_T4_T5_T6_T7_T9_mT8_P12ihipStream_tbDpT10_ENKUlT_T0_E_clISt17integral_constantIbLb0EES18_IbLb1EEEEDaS14_S15_EUlS14_E_NS1_11comp_targetILNS1_3genE10ELNS1_11target_archE1200ELNS1_3gpuE4ELNS1_3repE0EEENS1_30default_config_static_selectorELNS0_4arch9wavefront6targetE1EEEvT1_.kd
    .uniform_work_group_size: 1
    .uses_dynamic_stack: false
    .vgpr_count:     0
    .vgpr_spill_count: 0
    .wavefront_size: 64
  - .agpr_count:     0
    .args:
      - .offset:         0
        .size:           144
        .value_kind:     by_value
    .group_segment_fixed_size: 0
    .kernarg_segment_align: 8
    .kernarg_segment_size: 144
    .language:       OpenCL C
    .language_version:
      - 2
      - 0
    .max_flat_workgroup_size: 128
    .name:           _ZN7rocprim17ROCPRIM_400000_NS6detail17trampoline_kernelINS0_14default_configENS1_25partition_config_selectorILNS1_17partition_subalgoE0EiNS0_10empty_typeEbEEZZNS1_14partition_implILS5_0ELb0ES3_jN6thrust23THRUST_200600_302600_NS6detail15normal_iteratorINSA_10device_ptrIiEEEEPS6_SG_NS0_5tupleIJNSA_16discard_iteratorINSA_11use_defaultEEESF_EEENSH_IJSG_SG_EEES6_PlJ7is_evenIiEEEE10hipError_tPvRmT3_T4_T5_T6_T7_T9_mT8_P12ihipStream_tbDpT10_ENKUlT_T0_E_clISt17integral_constantIbLb0EES18_IbLb1EEEEDaS14_S15_EUlS14_E_NS1_11comp_targetILNS1_3genE9ELNS1_11target_archE1100ELNS1_3gpuE3ELNS1_3repE0EEENS1_30default_config_static_selectorELNS0_4arch9wavefront6targetE1EEEvT1_
    .private_segment_fixed_size: 0
    .sgpr_count:     4
    .sgpr_spill_count: 0
    .symbol:         _ZN7rocprim17ROCPRIM_400000_NS6detail17trampoline_kernelINS0_14default_configENS1_25partition_config_selectorILNS1_17partition_subalgoE0EiNS0_10empty_typeEbEEZZNS1_14partition_implILS5_0ELb0ES3_jN6thrust23THRUST_200600_302600_NS6detail15normal_iteratorINSA_10device_ptrIiEEEEPS6_SG_NS0_5tupleIJNSA_16discard_iteratorINSA_11use_defaultEEESF_EEENSH_IJSG_SG_EEES6_PlJ7is_evenIiEEEE10hipError_tPvRmT3_T4_T5_T6_T7_T9_mT8_P12ihipStream_tbDpT10_ENKUlT_T0_E_clISt17integral_constantIbLb0EES18_IbLb1EEEEDaS14_S15_EUlS14_E_NS1_11comp_targetILNS1_3genE9ELNS1_11target_archE1100ELNS1_3gpuE3ELNS1_3repE0EEENS1_30default_config_static_selectorELNS0_4arch9wavefront6targetE1EEEvT1_.kd
    .uniform_work_group_size: 1
    .uses_dynamic_stack: false
    .vgpr_count:     0
    .vgpr_spill_count: 0
    .wavefront_size: 64
  - .agpr_count:     0
    .args:
      - .offset:         0
        .size:           144
        .value_kind:     by_value
    .group_segment_fixed_size: 0
    .kernarg_segment_align: 8
    .kernarg_segment_size: 144
    .language:       OpenCL C
    .language_version:
      - 2
      - 0
    .max_flat_workgroup_size: 512
    .name:           _ZN7rocprim17ROCPRIM_400000_NS6detail17trampoline_kernelINS0_14default_configENS1_25partition_config_selectorILNS1_17partition_subalgoE0EiNS0_10empty_typeEbEEZZNS1_14partition_implILS5_0ELb0ES3_jN6thrust23THRUST_200600_302600_NS6detail15normal_iteratorINSA_10device_ptrIiEEEEPS6_SG_NS0_5tupleIJNSA_16discard_iteratorINSA_11use_defaultEEESF_EEENSH_IJSG_SG_EEES6_PlJ7is_evenIiEEEE10hipError_tPvRmT3_T4_T5_T6_T7_T9_mT8_P12ihipStream_tbDpT10_ENKUlT_T0_E_clISt17integral_constantIbLb0EES18_IbLb1EEEEDaS14_S15_EUlS14_E_NS1_11comp_targetILNS1_3genE8ELNS1_11target_archE1030ELNS1_3gpuE2ELNS1_3repE0EEENS1_30default_config_static_selectorELNS0_4arch9wavefront6targetE1EEEvT1_
    .private_segment_fixed_size: 0
    .sgpr_count:     4
    .sgpr_spill_count: 0
    .symbol:         _ZN7rocprim17ROCPRIM_400000_NS6detail17trampoline_kernelINS0_14default_configENS1_25partition_config_selectorILNS1_17partition_subalgoE0EiNS0_10empty_typeEbEEZZNS1_14partition_implILS5_0ELb0ES3_jN6thrust23THRUST_200600_302600_NS6detail15normal_iteratorINSA_10device_ptrIiEEEEPS6_SG_NS0_5tupleIJNSA_16discard_iteratorINSA_11use_defaultEEESF_EEENSH_IJSG_SG_EEES6_PlJ7is_evenIiEEEE10hipError_tPvRmT3_T4_T5_T6_T7_T9_mT8_P12ihipStream_tbDpT10_ENKUlT_T0_E_clISt17integral_constantIbLb0EES18_IbLb1EEEEDaS14_S15_EUlS14_E_NS1_11comp_targetILNS1_3genE8ELNS1_11target_archE1030ELNS1_3gpuE2ELNS1_3repE0EEENS1_30default_config_static_selectorELNS0_4arch9wavefront6targetE1EEEvT1_.kd
    .uniform_work_group_size: 1
    .uses_dynamic_stack: false
    .vgpr_count:     0
    .vgpr_spill_count: 0
    .wavefront_size: 64
  - .agpr_count:     0
    .args:
      - .offset:         0
        .size:           136
        .value_kind:     by_value
    .group_segment_fixed_size: 0
    .kernarg_segment_align: 8
    .kernarg_segment_size: 136
    .language:       OpenCL C
    .language_version:
      - 2
      - 0
    .max_flat_workgroup_size: 256
    .name:           _ZN7rocprim17ROCPRIM_400000_NS6detail17trampoline_kernelINS0_14default_configENS1_25partition_config_selectorILNS1_17partition_subalgoE0EsNS0_10empty_typeEbEEZZNS1_14partition_implILS5_0ELb0ES3_jN6thrust23THRUST_200600_302600_NS6detail15normal_iteratorINSA_10device_ptrIsEEEEPS6_SG_NS0_5tupleIJNSA_16discard_iteratorINSA_11use_defaultEEESK_EEENSH_IJSG_SG_EEES6_PlJ7is_evenIsEEEE10hipError_tPvRmT3_T4_T5_T6_T7_T9_mT8_P12ihipStream_tbDpT10_ENKUlT_T0_E_clISt17integral_constantIbLb0EES19_EEDaS14_S15_EUlS14_E_NS1_11comp_targetILNS1_3genE0ELNS1_11target_archE4294967295ELNS1_3gpuE0ELNS1_3repE0EEENS1_30default_config_static_selectorELNS0_4arch9wavefront6targetE1EEEvT1_
    .private_segment_fixed_size: 0
    .sgpr_count:     4
    .sgpr_spill_count: 0
    .symbol:         _ZN7rocprim17ROCPRIM_400000_NS6detail17trampoline_kernelINS0_14default_configENS1_25partition_config_selectorILNS1_17partition_subalgoE0EsNS0_10empty_typeEbEEZZNS1_14partition_implILS5_0ELb0ES3_jN6thrust23THRUST_200600_302600_NS6detail15normal_iteratorINSA_10device_ptrIsEEEEPS6_SG_NS0_5tupleIJNSA_16discard_iteratorINSA_11use_defaultEEESK_EEENSH_IJSG_SG_EEES6_PlJ7is_evenIsEEEE10hipError_tPvRmT3_T4_T5_T6_T7_T9_mT8_P12ihipStream_tbDpT10_ENKUlT_T0_E_clISt17integral_constantIbLb0EES19_EEDaS14_S15_EUlS14_E_NS1_11comp_targetILNS1_3genE0ELNS1_11target_archE4294967295ELNS1_3gpuE0ELNS1_3repE0EEENS1_30default_config_static_selectorELNS0_4arch9wavefront6targetE1EEEvT1_.kd
    .uniform_work_group_size: 1
    .uses_dynamic_stack: false
    .vgpr_count:     0
    .vgpr_spill_count: 0
    .wavefront_size: 64
  - .agpr_count:     0
    .args:
      - .offset:         0
        .size:           136
        .value_kind:     by_value
    .group_segment_fixed_size: 0
    .kernarg_segment_align: 8
    .kernarg_segment_size: 136
    .language:       OpenCL C
    .language_version:
      - 2
      - 0
    .max_flat_workgroup_size: 512
    .name:           _ZN7rocprim17ROCPRIM_400000_NS6detail17trampoline_kernelINS0_14default_configENS1_25partition_config_selectorILNS1_17partition_subalgoE0EsNS0_10empty_typeEbEEZZNS1_14partition_implILS5_0ELb0ES3_jN6thrust23THRUST_200600_302600_NS6detail15normal_iteratorINSA_10device_ptrIsEEEEPS6_SG_NS0_5tupleIJNSA_16discard_iteratorINSA_11use_defaultEEESK_EEENSH_IJSG_SG_EEES6_PlJ7is_evenIsEEEE10hipError_tPvRmT3_T4_T5_T6_T7_T9_mT8_P12ihipStream_tbDpT10_ENKUlT_T0_E_clISt17integral_constantIbLb0EES19_EEDaS14_S15_EUlS14_E_NS1_11comp_targetILNS1_3genE5ELNS1_11target_archE942ELNS1_3gpuE9ELNS1_3repE0EEENS1_30default_config_static_selectorELNS0_4arch9wavefront6targetE1EEEvT1_
    .private_segment_fixed_size: 0
    .sgpr_count:     4
    .sgpr_spill_count: 0
    .symbol:         _ZN7rocprim17ROCPRIM_400000_NS6detail17trampoline_kernelINS0_14default_configENS1_25partition_config_selectorILNS1_17partition_subalgoE0EsNS0_10empty_typeEbEEZZNS1_14partition_implILS5_0ELb0ES3_jN6thrust23THRUST_200600_302600_NS6detail15normal_iteratorINSA_10device_ptrIsEEEEPS6_SG_NS0_5tupleIJNSA_16discard_iteratorINSA_11use_defaultEEESK_EEENSH_IJSG_SG_EEES6_PlJ7is_evenIsEEEE10hipError_tPvRmT3_T4_T5_T6_T7_T9_mT8_P12ihipStream_tbDpT10_ENKUlT_T0_E_clISt17integral_constantIbLb0EES19_EEDaS14_S15_EUlS14_E_NS1_11comp_targetILNS1_3genE5ELNS1_11target_archE942ELNS1_3gpuE9ELNS1_3repE0EEENS1_30default_config_static_selectorELNS0_4arch9wavefront6targetE1EEEvT1_.kd
    .uniform_work_group_size: 1
    .uses_dynamic_stack: false
    .vgpr_count:     0
    .vgpr_spill_count: 0
    .wavefront_size: 64
  - .agpr_count:     0
    .args:
      - .offset:         0
        .size:           136
        .value_kind:     by_value
    .group_segment_fixed_size: 14344
    .kernarg_segment_align: 8
    .kernarg_segment_size: 136
    .language:       OpenCL C
    .language_version:
      - 2
      - 0
    .max_flat_workgroup_size: 256
    .name:           _ZN7rocprim17ROCPRIM_400000_NS6detail17trampoline_kernelINS0_14default_configENS1_25partition_config_selectorILNS1_17partition_subalgoE0EsNS0_10empty_typeEbEEZZNS1_14partition_implILS5_0ELb0ES3_jN6thrust23THRUST_200600_302600_NS6detail15normal_iteratorINSA_10device_ptrIsEEEEPS6_SG_NS0_5tupleIJNSA_16discard_iteratorINSA_11use_defaultEEESK_EEENSH_IJSG_SG_EEES6_PlJ7is_evenIsEEEE10hipError_tPvRmT3_T4_T5_T6_T7_T9_mT8_P12ihipStream_tbDpT10_ENKUlT_T0_E_clISt17integral_constantIbLb0EES19_EEDaS14_S15_EUlS14_E_NS1_11comp_targetILNS1_3genE4ELNS1_11target_archE910ELNS1_3gpuE8ELNS1_3repE0EEENS1_30default_config_static_selectorELNS0_4arch9wavefront6targetE1EEEvT1_
    .private_segment_fixed_size: 0
    .sgpr_count:     40
    .sgpr_spill_count: 0
    .symbol:         _ZN7rocprim17ROCPRIM_400000_NS6detail17trampoline_kernelINS0_14default_configENS1_25partition_config_selectorILNS1_17partition_subalgoE0EsNS0_10empty_typeEbEEZZNS1_14partition_implILS5_0ELb0ES3_jN6thrust23THRUST_200600_302600_NS6detail15normal_iteratorINSA_10device_ptrIsEEEEPS6_SG_NS0_5tupleIJNSA_16discard_iteratorINSA_11use_defaultEEESK_EEENSH_IJSG_SG_EEES6_PlJ7is_evenIsEEEE10hipError_tPvRmT3_T4_T5_T6_T7_T9_mT8_P12ihipStream_tbDpT10_ENKUlT_T0_E_clISt17integral_constantIbLb0EES19_EEDaS14_S15_EUlS14_E_NS1_11comp_targetILNS1_3genE4ELNS1_11target_archE910ELNS1_3gpuE8ELNS1_3repE0EEENS1_30default_config_static_selectorELNS0_4arch9wavefront6targetE1EEEvT1_.kd
    .uniform_work_group_size: 1
    .uses_dynamic_stack: false
    .vgpr_count:     113
    .vgpr_spill_count: 0
    .wavefront_size: 64
  - .agpr_count:     0
    .args:
      - .offset:         0
        .size:           136
        .value_kind:     by_value
    .group_segment_fixed_size: 0
    .kernarg_segment_align: 8
    .kernarg_segment_size: 136
    .language:       OpenCL C
    .language_version:
      - 2
      - 0
    .max_flat_workgroup_size: 256
    .name:           _ZN7rocprim17ROCPRIM_400000_NS6detail17trampoline_kernelINS0_14default_configENS1_25partition_config_selectorILNS1_17partition_subalgoE0EsNS0_10empty_typeEbEEZZNS1_14partition_implILS5_0ELb0ES3_jN6thrust23THRUST_200600_302600_NS6detail15normal_iteratorINSA_10device_ptrIsEEEEPS6_SG_NS0_5tupleIJNSA_16discard_iteratorINSA_11use_defaultEEESK_EEENSH_IJSG_SG_EEES6_PlJ7is_evenIsEEEE10hipError_tPvRmT3_T4_T5_T6_T7_T9_mT8_P12ihipStream_tbDpT10_ENKUlT_T0_E_clISt17integral_constantIbLb0EES19_EEDaS14_S15_EUlS14_E_NS1_11comp_targetILNS1_3genE3ELNS1_11target_archE908ELNS1_3gpuE7ELNS1_3repE0EEENS1_30default_config_static_selectorELNS0_4arch9wavefront6targetE1EEEvT1_
    .private_segment_fixed_size: 0
    .sgpr_count:     4
    .sgpr_spill_count: 0
    .symbol:         _ZN7rocprim17ROCPRIM_400000_NS6detail17trampoline_kernelINS0_14default_configENS1_25partition_config_selectorILNS1_17partition_subalgoE0EsNS0_10empty_typeEbEEZZNS1_14partition_implILS5_0ELb0ES3_jN6thrust23THRUST_200600_302600_NS6detail15normal_iteratorINSA_10device_ptrIsEEEEPS6_SG_NS0_5tupleIJNSA_16discard_iteratorINSA_11use_defaultEEESK_EEENSH_IJSG_SG_EEES6_PlJ7is_evenIsEEEE10hipError_tPvRmT3_T4_T5_T6_T7_T9_mT8_P12ihipStream_tbDpT10_ENKUlT_T0_E_clISt17integral_constantIbLb0EES19_EEDaS14_S15_EUlS14_E_NS1_11comp_targetILNS1_3genE3ELNS1_11target_archE908ELNS1_3gpuE7ELNS1_3repE0EEENS1_30default_config_static_selectorELNS0_4arch9wavefront6targetE1EEEvT1_.kd
    .uniform_work_group_size: 1
    .uses_dynamic_stack: false
    .vgpr_count:     0
    .vgpr_spill_count: 0
    .wavefront_size: 64
  - .agpr_count:     0
    .args:
      - .offset:         0
        .size:           136
        .value_kind:     by_value
    .group_segment_fixed_size: 0
    .kernarg_segment_align: 8
    .kernarg_segment_size: 136
    .language:       OpenCL C
    .language_version:
      - 2
      - 0
    .max_flat_workgroup_size: 256
    .name:           _ZN7rocprim17ROCPRIM_400000_NS6detail17trampoline_kernelINS0_14default_configENS1_25partition_config_selectorILNS1_17partition_subalgoE0EsNS0_10empty_typeEbEEZZNS1_14partition_implILS5_0ELb0ES3_jN6thrust23THRUST_200600_302600_NS6detail15normal_iteratorINSA_10device_ptrIsEEEEPS6_SG_NS0_5tupleIJNSA_16discard_iteratorINSA_11use_defaultEEESK_EEENSH_IJSG_SG_EEES6_PlJ7is_evenIsEEEE10hipError_tPvRmT3_T4_T5_T6_T7_T9_mT8_P12ihipStream_tbDpT10_ENKUlT_T0_E_clISt17integral_constantIbLb0EES19_EEDaS14_S15_EUlS14_E_NS1_11comp_targetILNS1_3genE2ELNS1_11target_archE906ELNS1_3gpuE6ELNS1_3repE0EEENS1_30default_config_static_selectorELNS0_4arch9wavefront6targetE1EEEvT1_
    .private_segment_fixed_size: 0
    .sgpr_count:     4
    .sgpr_spill_count: 0
    .symbol:         _ZN7rocprim17ROCPRIM_400000_NS6detail17trampoline_kernelINS0_14default_configENS1_25partition_config_selectorILNS1_17partition_subalgoE0EsNS0_10empty_typeEbEEZZNS1_14partition_implILS5_0ELb0ES3_jN6thrust23THRUST_200600_302600_NS6detail15normal_iteratorINSA_10device_ptrIsEEEEPS6_SG_NS0_5tupleIJNSA_16discard_iteratorINSA_11use_defaultEEESK_EEENSH_IJSG_SG_EEES6_PlJ7is_evenIsEEEE10hipError_tPvRmT3_T4_T5_T6_T7_T9_mT8_P12ihipStream_tbDpT10_ENKUlT_T0_E_clISt17integral_constantIbLb0EES19_EEDaS14_S15_EUlS14_E_NS1_11comp_targetILNS1_3genE2ELNS1_11target_archE906ELNS1_3gpuE6ELNS1_3repE0EEENS1_30default_config_static_selectorELNS0_4arch9wavefront6targetE1EEEvT1_.kd
    .uniform_work_group_size: 1
    .uses_dynamic_stack: false
    .vgpr_count:     0
    .vgpr_spill_count: 0
    .wavefront_size: 64
  - .agpr_count:     0
    .args:
      - .offset:         0
        .size:           136
        .value_kind:     by_value
    .group_segment_fixed_size: 0
    .kernarg_segment_align: 8
    .kernarg_segment_size: 136
    .language:       OpenCL C
    .language_version:
      - 2
      - 0
    .max_flat_workgroup_size: 384
    .name:           _ZN7rocprim17ROCPRIM_400000_NS6detail17trampoline_kernelINS0_14default_configENS1_25partition_config_selectorILNS1_17partition_subalgoE0EsNS0_10empty_typeEbEEZZNS1_14partition_implILS5_0ELb0ES3_jN6thrust23THRUST_200600_302600_NS6detail15normal_iteratorINSA_10device_ptrIsEEEEPS6_SG_NS0_5tupleIJNSA_16discard_iteratorINSA_11use_defaultEEESK_EEENSH_IJSG_SG_EEES6_PlJ7is_evenIsEEEE10hipError_tPvRmT3_T4_T5_T6_T7_T9_mT8_P12ihipStream_tbDpT10_ENKUlT_T0_E_clISt17integral_constantIbLb0EES19_EEDaS14_S15_EUlS14_E_NS1_11comp_targetILNS1_3genE10ELNS1_11target_archE1200ELNS1_3gpuE4ELNS1_3repE0EEENS1_30default_config_static_selectorELNS0_4arch9wavefront6targetE1EEEvT1_
    .private_segment_fixed_size: 0
    .sgpr_count:     4
    .sgpr_spill_count: 0
    .symbol:         _ZN7rocprim17ROCPRIM_400000_NS6detail17trampoline_kernelINS0_14default_configENS1_25partition_config_selectorILNS1_17partition_subalgoE0EsNS0_10empty_typeEbEEZZNS1_14partition_implILS5_0ELb0ES3_jN6thrust23THRUST_200600_302600_NS6detail15normal_iteratorINSA_10device_ptrIsEEEEPS6_SG_NS0_5tupleIJNSA_16discard_iteratorINSA_11use_defaultEEESK_EEENSH_IJSG_SG_EEES6_PlJ7is_evenIsEEEE10hipError_tPvRmT3_T4_T5_T6_T7_T9_mT8_P12ihipStream_tbDpT10_ENKUlT_T0_E_clISt17integral_constantIbLb0EES19_EEDaS14_S15_EUlS14_E_NS1_11comp_targetILNS1_3genE10ELNS1_11target_archE1200ELNS1_3gpuE4ELNS1_3repE0EEENS1_30default_config_static_selectorELNS0_4arch9wavefront6targetE1EEEvT1_.kd
    .uniform_work_group_size: 1
    .uses_dynamic_stack: false
    .vgpr_count:     0
    .vgpr_spill_count: 0
    .wavefront_size: 64
  - .agpr_count:     0
    .args:
      - .offset:         0
        .size:           136
        .value_kind:     by_value
    .group_segment_fixed_size: 0
    .kernarg_segment_align: 8
    .kernarg_segment_size: 136
    .language:       OpenCL C
    .language_version:
      - 2
      - 0
    .max_flat_workgroup_size: 128
    .name:           _ZN7rocprim17ROCPRIM_400000_NS6detail17trampoline_kernelINS0_14default_configENS1_25partition_config_selectorILNS1_17partition_subalgoE0EsNS0_10empty_typeEbEEZZNS1_14partition_implILS5_0ELb0ES3_jN6thrust23THRUST_200600_302600_NS6detail15normal_iteratorINSA_10device_ptrIsEEEEPS6_SG_NS0_5tupleIJNSA_16discard_iteratorINSA_11use_defaultEEESK_EEENSH_IJSG_SG_EEES6_PlJ7is_evenIsEEEE10hipError_tPvRmT3_T4_T5_T6_T7_T9_mT8_P12ihipStream_tbDpT10_ENKUlT_T0_E_clISt17integral_constantIbLb0EES19_EEDaS14_S15_EUlS14_E_NS1_11comp_targetILNS1_3genE9ELNS1_11target_archE1100ELNS1_3gpuE3ELNS1_3repE0EEENS1_30default_config_static_selectorELNS0_4arch9wavefront6targetE1EEEvT1_
    .private_segment_fixed_size: 0
    .sgpr_count:     4
    .sgpr_spill_count: 0
    .symbol:         _ZN7rocprim17ROCPRIM_400000_NS6detail17trampoline_kernelINS0_14default_configENS1_25partition_config_selectorILNS1_17partition_subalgoE0EsNS0_10empty_typeEbEEZZNS1_14partition_implILS5_0ELb0ES3_jN6thrust23THRUST_200600_302600_NS6detail15normal_iteratorINSA_10device_ptrIsEEEEPS6_SG_NS0_5tupleIJNSA_16discard_iteratorINSA_11use_defaultEEESK_EEENSH_IJSG_SG_EEES6_PlJ7is_evenIsEEEE10hipError_tPvRmT3_T4_T5_T6_T7_T9_mT8_P12ihipStream_tbDpT10_ENKUlT_T0_E_clISt17integral_constantIbLb0EES19_EEDaS14_S15_EUlS14_E_NS1_11comp_targetILNS1_3genE9ELNS1_11target_archE1100ELNS1_3gpuE3ELNS1_3repE0EEENS1_30default_config_static_selectorELNS0_4arch9wavefront6targetE1EEEvT1_.kd
    .uniform_work_group_size: 1
    .uses_dynamic_stack: false
    .vgpr_count:     0
    .vgpr_spill_count: 0
    .wavefront_size: 64
  - .agpr_count:     0
    .args:
      - .offset:         0
        .size:           136
        .value_kind:     by_value
    .group_segment_fixed_size: 0
    .kernarg_segment_align: 8
    .kernarg_segment_size: 136
    .language:       OpenCL C
    .language_version:
      - 2
      - 0
    .max_flat_workgroup_size: 128
    .name:           _ZN7rocprim17ROCPRIM_400000_NS6detail17trampoline_kernelINS0_14default_configENS1_25partition_config_selectorILNS1_17partition_subalgoE0EsNS0_10empty_typeEbEEZZNS1_14partition_implILS5_0ELb0ES3_jN6thrust23THRUST_200600_302600_NS6detail15normal_iteratorINSA_10device_ptrIsEEEEPS6_SG_NS0_5tupleIJNSA_16discard_iteratorINSA_11use_defaultEEESK_EEENSH_IJSG_SG_EEES6_PlJ7is_evenIsEEEE10hipError_tPvRmT3_T4_T5_T6_T7_T9_mT8_P12ihipStream_tbDpT10_ENKUlT_T0_E_clISt17integral_constantIbLb0EES19_EEDaS14_S15_EUlS14_E_NS1_11comp_targetILNS1_3genE8ELNS1_11target_archE1030ELNS1_3gpuE2ELNS1_3repE0EEENS1_30default_config_static_selectorELNS0_4arch9wavefront6targetE1EEEvT1_
    .private_segment_fixed_size: 0
    .sgpr_count:     4
    .sgpr_spill_count: 0
    .symbol:         _ZN7rocprim17ROCPRIM_400000_NS6detail17trampoline_kernelINS0_14default_configENS1_25partition_config_selectorILNS1_17partition_subalgoE0EsNS0_10empty_typeEbEEZZNS1_14partition_implILS5_0ELb0ES3_jN6thrust23THRUST_200600_302600_NS6detail15normal_iteratorINSA_10device_ptrIsEEEEPS6_SG_NS0_5tupleIJNSA_16discard_iteratorINSA_11use_defaultEEESK_EEENSH_IJSG_SG_EEES6_PlJ7is_evenIsEEEE10hipError_tPvRmT3_T4_T5_T6_T7_T9_mT8_P12ihipStream_tbDpT10_ENKUlT_T0_E_clISt17integral_constantIbLb0EES19_EEDaS14_S15_EUlS14_E_NS1_11comp_targetILNS1_3genE8ELNS1_11target_archE1030ELNS1_3gpuE2ELNS1_3repE0EEENS1_30default_config_static_selectorELNS0_4arch9wavefront6targetE1EEEvT1_.kd
    .uniform_work_group_size: 1
    .uses_dynamic_stack: false
    .vgpr_count:     0
    .vgpr_spill_count: 0
    .wavefront_size: 64
  - .agpr_count:     0
    .args:
      - .offset:         0
        .size:           152
        .value_kind:     by_value
    .group_segment_fixed_size: 0
    .kernarg_segment_align: 8
    .kernarg_segment_size: 152
    .language:       OpenCL C
    .language_version:
      - 2
      - 0
    .max_flat_workgroup_size: 256
    .name:           _ZN7rocprim17ROCPRIM_400000_NS6detail17trampoline_kernelINS0_14default_configENS1_25partition_config_selectorILNS1_17partition_subalgoE0EsNS0_10empty_typeEbEEZZNS1_14partition_implILS5_0ELb0ES3_jN6thrust23THRUST_200600_302600_NS6detail15normal_iteratorINSA_10device_ptrIsEEEEPS6_SG_NS0_5tupleIJNSA_16discard_iteratorINSA_11use_defaultEEESK_EEENSH_IJSG_SG_EEES6_PlJ7is_evenIsEEEE10hipError_tPvRmT3_T4_T5_T6_T7_T9_mT8_P12ihipStream_tbDpT10_ENKUlT_T0_E_clISt17integral_constantIbLb1EES19_EEDaS14_S15_EUlS14_E_NS1_11comp_targetILNS1_3genE0ELNS1_11target_archE4294967295ELNS1_3gpuE0ELNS1_3repE0EEENS1_30default_config_static_selectorELNS0_4arch9wavefront6targetE1EEEvT1_
    .private_segment_fixed_size: 0
    .sgpr_count:     4
    .sgpr_spill_count: 0
    .symbol:         _ZN7rocprim17ROCPRIM_400000_NS6detail17trampoline_kernelINS0_14default_configENS1_25partition_config_selectorILNS1_17partition_subalgoE0EsNS0_10empty_typeEbEEZZNS1_14partition_implILS5_0ELb0ES3_jN6thrust23THRUST_200600_302600_NS6detail15normal_iteratorINSA_10device_ptrIsEEEEPS6_SG_NS0_5tupleIJNSA_16discard_iteratorINSA_11use_defaultEEESK_EEENSH_IJSG_SG_EEES6_PlJ7is_evenIsEEEE10hipError_tPvRmT3_T4_T5_T6_T7_T9_mT8_P12ihipStream_tbDpT10_ENKUlT_T0_E_clISt17integral_constantIbLb1EES19_EEDaS14_S15_EUlS14_E_NS1_11comp_targetILNS1_3genE0ELNS1_11target_archE4294967295ELNS1_3gpuE0ELNS1_3repE0EEENS1_30default_config_static_selectorELNS0_4arch9wavefront6targetE1EEEvT1_.kd
    .uniform_work_group_size: 1
    .uses_dynamic_stack: false
    .vgpr_count:     0
    .vgpr_spill_count: 0
    .wavefront_size: 64
  - .agpr_count:     0
    .args:
      - .offset:         0
        .size:           152
        .value_kind:     by_value
    .group_segment_fixed_size: 0
    .kernarg_segment_align: 8
    .kernarg_segment_size: 152
    .language:       OpenCL C
    .language_version:
      - 2
      - 0
    .max_flat_workgroup_size: 512
    .name:           _ZN7rocprim17ROCPRIM_400000_NS6detail17trampoline_kernelINS0_14default_configENS1_25partition_config_selectorILNS1_17partition_subalgoE0EsNS0_10empty_typeEbEEZZNS1_14partition_implILS5_0ELb0ES3_jN6thrust23THRUST_200600_302600_NS6detail15normal_iteratorINSA_10device_ptrIsEEEEPS6_SG_NS0_5tupleIJNSA_16discard_iteratorINSA_11use_defaultEEESK_EEENSH_IJSG_SG_EEES6_PlJ7is_evenIsEEEE10hipError_tPvRmT3_T4_T5_T6_T7_T9_mT8_P12ihipStream_tbDpT10_ENKUlT_T0_E_clISt17integral_constantIbLb1EES19_EEDaS14_S15_EUlS14_E_NS1_11comp_targetILNS1_3genE5ELNS1_11target_archE942ELNS1_3gpuE9ELNS1_3repE0EEENS1_30default_config_static_selectorELNS0_4arch9wavefront6targetE1EEEvT1_
    .private_segment_fixed_size: 0
    .sgpr_count:     4
    .sgpr_spill_count: 0
    .symbol:         _ZN7rocprim17ROCPRIM_400000_NS6detail17trampoline_kernelINS0_14default_configENS1_25partition_config_selectorILNS1_17partition_subalgoE0EsNS0_10empty_typeEbEEZZNS1_14partition_implILS5_0ELb0ES3_jN6thrust23THRUST_200600_302600_NS6detail15normal_iteratorINSA_10device_ptrIsEEEEPS6_SG_NS0_5tupleIJNSA_16discard_iteratorINSA_11use_defaultEEESK_EEENSH_IJSG_SG_EEES6_PlJ7is_evenIsEEEE10hipError_tPvRmT3_T4_T5_T6_T7_T9_mT8_P12ihipStream_tbDpT10_ENKUlT_T0_E_clISt17integral_constantIbLb1EES19_EEDaS14_S15_EUlS14_E_NS1_11comp_targetILNS1_3genE5ELNS1_11target_archE942ELNS1_3gpuE9ELNS1_3repE0EEENS1_30default_config_static_selectorELNS0_4arch9wavefront6targetE1EEEvT1_.kd
    .uniform_work_group_size: 1
    .uses_dynamic_stack: false
    .vgpr_count:     0
    .vgpr_spill_count: 0
    .wavefront_size: 64
  - .agpr_count:     0
    .args:
      - .offset:         0
        .size:           152
        .value_kind:     by_value
    .group_segment_fixed_size: 14344
    .kernarg_segment_align: 8
    .kernarg_segment_size: 152
    .language:       OpenCL C
    .language_version:
      - 2
      - 0
    .max_flat_workgroup_size: 256
    .name:           _ZN7rocprim17ROCPRIM_400000_NS6detail17trampoline_kernelINS0_14default_configENS1_25partition_config_selectorILNS1_17partition_subalgoE0EsNS0_10empty_typeEbEEZZNS1_14partition_implILS5_0ELb0ES3_jN6thrust23THRUST_200600_302600_NS6detail15normal_iteratorINSA_10device_ptrIsEEEEPS6_SG_NS0_5tupleIJNSA_16discard_iteratorINSA_11use_defaultEEESK_EEENSH_IJSG_SG_EEES6_PlJ7is_evenIsEEEE10hipError_tPvRmT3_T4_T5_T6_T7_T9_mT8_P12ihipStream_tbDpT10_ENKUlT_T0_E_clISt17integral_constantIbLb1EES19_EEDaS14_S15_EUlS14_E_NS1_11comp_targetILNS1_3genE4ELNS1_11target_archE910ELNS1_3gpuE8ELNS1_3repE0EEENS1_30default_config_static_selectorELNS0_4arch9wavefront6targetE1EEEvT1_
    .private_segment_fixed_size: 0
    .sgpr_count:     40
    .sgpr_spill_count: 0
    .symbol:         _ZN7rocprim17ROCPRIM_400000_NS6detail17trampoline_kernelINS0_14default_configENS1_25partition_config_selectorILNS1_17partition_subalgoE0EsNS0_10empty_typeEbEEZZNS1_14partition_implILS5_0ELb0ES3_jN6thrust23THRUST_200600_302600_NS6detail15normal_iteratorINSA_10device_ptrIsEEEEPS6_SG_NS0_5tupleIJNSA_16discard_iteratorINSA_11use_defaultEEESK_EEENSH_IJSG_SG_EEES6_PlJ7is_evenIsEEEE10hipError_tPvRmT3_T4_T5_T6_T7_T9_mT8_P12ihipStream_tbDpT10_ENKUlT_T0_E_clISt17integral_constantIbLb1EES19_EEDaS14_S15_EUlS14_E_NS1_11comp_targetILNS1_3genE4ELNS1_11target_archE910ELNS1_3gpuE8ELNS1_3repE0EEENS1_30default_config_static_selectorELNS0_4arch9wavefront6targetE1EEEvT1_.kd
    .uniform_work_group_size: 1
    .uses_dynamic_stack: false
    .vgpr_count:     115
    .vgpr_spill_count: 0
    .wavefront_size: 64
  - .agpr_count:     0
    .args:
      - .offset:         0
        .size:           152
        .value_kind:     by_value
    .group_segment_fixed_size: 0
    .kernarg_segment_align: 8
    .kernarg_segment_size: 152
    .language:       OpenCL C
    .language_version:
      - 2
      - 0
    .max_flat_workgroup_size: 256
    .name:           _ZN7rocprim17ROCPRIM_400000_NS6detail17trampoline_kernelINS0_14default_configENS1_25partition_config_selectorILNS1_17partition_subalgoE0EsNS0_10empty_typeEbEEZZNS1_14partition_implILS5_0ELb0ES3_jN6thrust23THRUST_200600_302600_NS6detail15normal_iteratorINSA_10device_ptrIsEEEEPS6_SG_NS0_5tupleIJNSA_16discard_iteratorINSA_11use_defaultEEESK_EEENSH_IJSG_SG_EEES6_PlJ7is_evenIsEEEE10hipError_tPvRmT3_T4_T5_T6_T7_T9_mT8_P12ihipStream_tbDpT10_ENKUlT_T0_E_clISt17integral_constantIbLb1EES19_EEDaS14_S15_EUlS14_E_NS1_11comp_targetILNS1_3genE3ELNS1_11target_archE908ELNS1_3gpuE7ELNS1_3repE0EEENS1_30default_config_static_selectorELNS0_4arch9wavefront6targetE1EEEvT1_
    .private_segment_fixed_size: 0
    .sgpr_count:     4
    .sgpr_spill_count: 0
    .symbol:         _ZN7rocprim17ROCPRIM_400000_NS6detail17trampoline_kernelINS0_14default_configENS1_25partition_config_selectorILNS1_17partition_subalgoE0EsNS0_10empty_typeEbEEZZNS1_14partition_implILS5_0ELb0ES3_jN6thrust23THRUST_200600_302600_NS6detail15normal_iteratorINSA_10device_ptrIsEEEEPS6_SG_NS0_5tupleIJNSA_16discard_iteratorINSA_11use_defaultEEESK_EEENSH_IJSG_SG_EEES6_PlJ7is_evenIsEEEE10hipError_tPvRmT3_T4_T5_T6_T7_T9_mT8_P12ihipStream_tbDpT10_ENKUlT_T0_E_clISt17integral_constantIbLb1EES19_EEDaS14_S15_EUlS14_E_NS1_11comp_targetILNS1_3genE3ELNS1_11target_archE908ELNS1_3gpuE7ELNS1_3repE0EEENS1_30default_config_static_selectorELNS0_4arch9wavefront6targetE1EEEvT1_.kd
    .uniform_work_group_size: 1
    .uses_dynamic_stack: false
    .vgpr_count:     0
    .vgpr_spill_count: 0
    .wavefront_size: 64
  - .agpr_count:     0
    .args:
      - .offset:         0
        .size:           152
        .value_kind:     by_value
    .group_segment_fixed_size: 0
    .kernarg_segment_align: 8
    .kernarg_segment_size: 152
    .language:       OpenCL C
    .language_version:
      - 2
      - 0
    .max_flat_workgroup_size: 256
    .name:           _ZN7rocprim17ROCPRIM_400000_NS6detail17trampoline_kernelINS0_14default_configENS1_25partition_config_selectorILNS1_17partition_subalgoE0EsNS0_10empty_typeEbEEZZNS1_14partition_implILS5_0ELb0ES3_jN6thrust23THRUST_200600_302600_NS6detail15normal_iteratorINSA_10device_ptrIsEEEEPS6_SG_NS0_5tupleIJNSA_16discard_iteratorINSA_11use_defaultEEESK_EEENSH_IJSG_SG_EEES6_PlJ7is_evenIsEEEE10hipError_tPvRmT3_T4_T5_T6_T7_T9_mT8_P12ihipStream_tbDpT10_ENKUlT_T0_E_clISt17integral_constantIbLb1EES19_EEDaS14_S15_EUlS14_E_NS1_11comp_targetILNS1_3genE2ELNS1_11target_archE906ELNS1_3gpuE6ELNS1_3repE0EEENS1_30default_config_static_selectorELNS0_4arch9wavefront6targetE1EEEvT1_
    .private_segment_fixed_size: 0
    .sgpr_count:     4
    .sgpr_spill_count: 0
    .symbol:         _ZN7rocprim17ROCPRIM_400000_NS6detail17trampoline_kernelINS0_14default_configENS1_25partition_config_selectorILNS1_17partition_subalgoE0EsNS0_10empty_typeEbEEZZNS1_14partition_implILS5_0ELb0ES3_jN6thrust23THRUST_200600_302600_NS6detail15normal_iteratorINSA_10device_ptrIsEEEEPS6_SG_NS0_5tupleIJNSA_16discard_iteratorINSA_11use_defaultEEESK_EEENSH_IJSG_SG_EEES6_PlJ7is_evenIsEEEE10hipError_tPvRmT3_T4_T5_T6_T7_T9_mT8_P12ihipStream_tbDpT10_ENKUlT_T0_E_clISt17integral_constantIbLb1EES19_EEDaS14_S15_EUlS14_E_NS1_11comp_targetILNS1_3genE2ELNS1_11target_archE906ELNS1_3gpuE6ELNS1_3repE0EEENS1_30default_config_static_selectorELNS0_4arch9wavefront6targetE1EEEvT1_.kd
    .uniform_work_group_size: 1
    .uses_dynamic_stack: false
    .vgpr_count:     0
    .vgpr_spill_count: 0
    .wavefront_size: 64
  - .agpr_count:     0
    .args:
      - .offset:         0
        .size:           152
        .value_kind:     by_value
    .group_segment_fixed_size: 0
    .kernarg_segment_align: 8
    .kernarg_segment_size: 152
    .language:       OpenCL C
    .language_version:
      - 2
      - 0
    .max_flat_workgroup_size: 384
    .name:           _ZN7rocprim17ROCPRIM_400000_NS6detail17trampoline_kernelINS0_14default_configENS1_25partition_config_selectorILNS1_17partition_subalgoE0EsNS0_10empty_typeEbEEZZNS1_14partition_implILS5_0ELb0ES3_jN6thrust23THRUST_200600_302600_NS6detail15normal_iteratorINSA_10device_ptrIsEEEEPS6_SG_NS0_5tupleIJNSA_16discard_iteratorINSA_11use_defaultEEESK_EEENSH_IJSG_SG_EEES6_PlJ7is_evenIsEEEE10hipError_tPvRmT3_T4_T5_T6_T7_T9_mT8_P12ihipStream_tbDpT10_ENKUlT_T0_E_clISt17integral_constantIbLb1EES19_EEDaS14_S15_EUlS14_E_NS1_11comp_targetILNS1_3genE10ELNS1_11target_archE1200ELNS1_3gpuE4ELNS1_3repE0EEENS1_30default_config_static_selectorELNS0_4arch9wavefront6targetE1EEEvT1_
    .private_segment_fixed_size: 0
    .sgpr_count:     4
    .sgpr_spill_count: 0
    .symbol:         _ZN7rocprim17ROCPRIM_400000_NS6detail17trampoline_kernelINS0_14default_configENS1_25partition_config_selectorILNS1_17partition_subalgoE0EsNS0_10empty_typeEbEEZZNS1_14partition_implILS5_0ELb0ES3_jN6thrust23THRUST_200600_302600_NS6detail15normal_iteratorINSA_10device_ptrIsEEEEPS6_SG_NS0_5tupleIJNSA_16discard_iteratorINSA_11use_defaultEEESK_EEENSH_IJSG_SG_EEES6_PlJ7is_evenIsEEEE10hipError_tPvRmT3_T4_T5_T6_T7_T9_mT8_P12ihipStream_tbDpT10_ENKUlT_T0_E_clISt17integral_constantIbLb1EES19_EEDaS14_S15_EUlS14_E_NS1_11comp_targetILNS1_3genE10ELNS1_11target_archE1200ELNS1_3gpuE4ELNS1_3repE0EEENS1_30default_config_static_selectorELNS0_4arch9wavefront6targetE1EEEvT1_.kd
    .uniform_work_group_size: 1
    .uses_dynamic_stack: false
    .vgpr_count:     0
    .vgpr_spill_count: 0
    .wavefront_size: 64
  - .agpr_count:     0
    .args:
      - .offset:         0
        .size:           152
        .value_kind:     by_value
    .group_segment_fixed_size: 0
    .kernarg_segment_align: 8
    .kernarg_segment_size: 152
    .language:       OpenCL C
    .language_version:
      - 2
      - 0
    .max_flat_workgroup_size: 128
    .name:           _ZN7rocprim17ROCPRIM_400000_NS6detail17trampoline_kernelINS0_14default_configENS1_25partition_config_selectorILNS1_17partition_subalgoE0EsNS0_10empty_typeEbEEZZNS1_14partition_implILS5_0ELb0ES3_jN6thrust23THRUST_200600_302600_NS6detail15normal_iteratorINSA_10device_ptrIsEEEEPS6_SG_NS0_5tupleIJNSA_16discard_iteratorINSA_11use_defaultEEESK_EEENSH_IJSG_SG_EEES6_PlJ7is_evenIsEEEE10hipError_tPvRmT3_T4_T5_T6_T7_T9_mT8_P12ihipStream_tbDpT10_ENKUlT_T0_E_clISt17integral_constantIbLb1EES19_EEDaS14_S15_EUlS14_E_NS1_11comp_targetILNS1_3genE9ELNS1_11target_archE1100ELNS1_3gpuE3ELNS1_3repE0EEENS1_30default_config_static_selectorELNS0_4arch9wavefront6targetE1EEEvT1_
    .private_segment_fixed_size: 0
    .sgpr_count:     4
    .sgpr_spill_count: 0
    .symbol:         _ZN7rocprim17ROCPRIM_400000_NS6detail17trampoline_kernelINS0_14default_configENS1_25partition_config_selectorILNS1_17partition_subalgoE0EsNS0_10empty_typeEbEEZZNS1_14partition_implILS5_0ELb0ES3_jN6thrust23THRUST_200600_302600_NS6detail15normal_iteratorINSA_10device_ptrIsEEEEPS6_SG_NS0_5tupleIJNSA_16discard_iteratorINSA_11use_defaultEEESK_EEENSH_IJSG_SG_EEES6_PlJ7is_evenIsEEEE10hipError_tPvRmT3_T4_T5_T6_T7_T9_mT8_P12ihipStream_tbDpT10_ENKUlT_T0_E_clISt17integral_constantIbLb1EES19_EEDaS14_S15_EUlS14_E_NS1_11comp_targetILNS1_3genE9ELNS1_11target_archE1100ELNS1_3gpuE3ELNS1_3repE0EEENS1_30default_config_static_selectorELNS0_4arch9wavefront6targetE1EEEvT1_.kd
    .uniform_work_group_size: 1
    .uses_dynamic_stack: false
    .vgpr_count:     0
    .vgpr_spill_count: 0
    .wavefront_size: 64
  - .agpr_count:     0
    .args:
      - .offset:         0
        .size:           152
        .value_kind:     by_value
    .group_segment_fixed_size: 0
    .kernarg_segment_align: 8
    .kernarg_segment_size: 152
    .language:       OpenCL C
    .language_version:
      - 2
      - 0
    .max_flat_workgroup_size: 128
    .name:           _ZN7rocprim17ROCPRIM_400000_NS6detail17trampoline_kernelINS0_14default_configENS1_25partition_config_selectorILNS1_17partition_subalgoE0EsNS0_10empty_typeEbEEZZNS1_14partition_implILS5_0ELb0ES3_jN6thrust23THRUST_200600_302600_NS6detail15normal_iteratorINSA_10device_ptrIsEEEEPS6_SG_NS0_5tupleIJNSA_16discard_iteratorINSA_11use_defaultEEESK_EEENSH_IJSG_SG_EEES6_PlJ7is_evenIsEEEE10hipError_tPvRmT3_T4_T5_T6_T7_T9_mT8_P12ihipStream_tbDpT10_ENKUlT_T0_E_clISt17integral_constantIbLb1EES19_EEDaS14_S15_EUlS14_E_NS1_11comp_targetILNS1_3genE8ELNS1_11target_archE1030ELNS1_3gpuE2ELNS1_3repE0EEENS1_30default_config_static_selectorELNS0_4arch9wavefront6targetE1EEEvT1_
    .private_segment_fixed_size: 0
    .sgpr_count:     4
    .sgpr_spill_count: 0
    .symbol:         _ZN7rocprim17ROCPRIM_400000_NS6detail17trampoline_kernelINS0_14default_configENS1_25partition_config_selectorILNS1_17partition_subalgoE0EsNS0_10empty_typeEbEEZZNS1_14partition_implILS5_0ELb0ES3_jN6thrust23THRUST_200600_302600_NS6detail15normal_iteratorINSA_10device_ptrIsEEEEPS6_SG_NS0_5tupleIJNSA_16discard_iteratorINSA_11use_defaultEEESK_EEENSH_IJSG_SG_EEES6_PlJ7is_evenIsEEEE10hipError_tPvRmT3_T4_T5_T6_T7_T9_mT8_P12ihipStream_tbDpT10_ENKUlT_T0_E_clISt17integral_constantIbLb1EES19_EEDaS14_S15_EUlS14_E_NS1_11comp_targetILNS1_3genE8ELNS1_11target_archE1030ELNS1_3gpuE2ELNS1_3repE0EEENS1_30default_config_static_selectorELNS0_4arch9wavefront6targetE1EEEvT1_.kd
    .uniform_work_group_size: 1
    .uses_dynamic_stack: false
    .vgpr_count:     0
    .vgpr_spill_count: 0
    .wavefront_size: 64
  - .agpr_count:     0
    .args:
      - .offset:         0
        .size:           136
        .value_kind:     by_value
    .group_segment_fixed_size: 0
    .kernarg_segment_align: 8
    .kernarg_segment_size: 136
    .language:       OpenCL C
    .language_version:
      - 2
      - 0
    .max_flat_workgroup_size: 256
    .name:           _ZN7rocprim17ROCPRIM_400000_NS6detail17trampoline_kernelINS0_14default_configENS1_25partition_config_selectorILNS1_17partition_subalgoE0EsNS0_10empty_typeEbEEZZNS1_14partition_implILS5_0ELb0ES3_jN6thrust23THRUST_200600_302600_NS6detail15normal_iteratorINSA_10device_ptrIsEEEEPS6_SG_NS0_5tupleIJNSA_16discard_iteratorINSA_11use_defaultEEESK_EEENSH_IJSG_SG_EEES6_PlJ7is_evenIsEEEE10hipError_tPvRmT3_T4_T5_T6_T7_T9_mT8_P12ihipStream_tbDpT10_ENKUlT_T0_E_clISt17integral_constantIbLb1EES18_IbLb0EEEEDaS14_S15_EUlS14_E_NS1_11comp_targetILNS1_3genE0ELNS1_11target_archE4294967295ELNS1_3gpuE0ELNS1_3repE0EEENS1_30default_config_static_selectorELNS0_4arch9wavefront6targetE1EEEvT1_
    .private_segment_fixed_size: 0
    .sgpr_count:     4
    .sgpr_spill_count: 0
    .symbol:         _ZN7rocprim17ROCPRIM_400000_NS6detail17trampoline_kernelINS0_14default_configENS1_25partition_config_selectorILNS1_17partition_subalgoE0EsNS0_10empty_typeEbEEZZNS1_14partition_implILS5_0ELb0ES3_jN6thrust23THRUST_200600_302600_NS6detail15normal_iteratorINSA_10device_ptrIsEEEEPS6_SG_NS0_5tupleIJNSA_16discard_iteratorINSA_11use_defaultEEESK_EEENSH_IJSG_SG_EEES6_PlJ7is_evenIsEEEE10hipError_tPvRmT3_T4_T5_T6_T7_T9_mT8_P12ihipStream_tbDpT10_ENKUlT_T0_E_clISt17integral_constantIbLb1EES18_IbLb0EEEEDaS14_S15_EUlS14_E_NS1_11comp_targetILNS1_3genE0ELNS1_11target_archE4294967295ELNS1_3gpuE0ELNS1_3repE0EEENS1_30default_config_static_selectorELNS0_4arch9wavefront6targetE1EEEvT1_.kd
    .uniform_work_group_size: 1
    .uses_dynamic_stack: false
    .vgpr_count:     0
    .vgpr_spill_count: 0
    .wavefront_size: 64
  - .agpr_count:     0
    .args:
      - .offset:         0
        .size:           136
        .value_kind:     by_value
    .group_segment_fixed_size: 0
    .kernarg_segment_align: 8
    .kernarg_segment_size: 136
    .language:       OpenCL C
    .language_version:
      - 2
      - 0
    .max_flat_workgroup_size: 512
    .name:           _ZN7rocprim17ROCPRIM_400000_NS6detail17trampoline_kernelINS0_14default_configENS1_25partition_config_selectorILNS1_17partition_subalgoE0EsNS0_10empty_typeEbEEZZNS1_14partition_implILS5_0ELb0ES3_jN6thrust23THRUST_200600_302600_NS6detail15normal_iteratorINSA_10device_ptrIsEEEEPS6_SG_NS0_5tupleIJNSA_16discard_iteratorINSA_11use_defaultEEESK_EEENSH_IJSG_SG_EEES6_PlJ7is_evenIsEEEE10hipError_tPvRmT3_T4_T5_T6_T7_T9_mT8_P12ihipStream_tbDpT10_ENKUlT_T0_E_clISt17integral_constantIbLb1EES18_IbLb0EEEEDaS14_S15_EUlS14_E_NS1_11comp_targetILNS1_3genE5ELNS1_11target_archE942ELNS1_3gpuE9ELNS1_3repE0EEENS1_30default_config_static_selectorELNS0_4arch9wavefront6targetE1EEEvT1_
    .private_segment_fixed_size: 0
    .sgpr_count:     4
    .sgpr_spill_count: 0
    .symbol:         _ZN7rocprim17ROCPRIM_400000_NS6detail17trampoline_kernelINS0_14default_configENS1_25partition_config_selectorILNS1_17partition_subalgoE0EsNS0_10empty_typeEbEEZZNS1_14partition_implILS5_0ELb0ES3_jN6thrust23THRUST_200600_302600_NS6detail15normal_iteratorINSA_10device_ptrIsEEEEPS6_SG_NS0_5tupleIJNSA_16discard_iteratorINSA_11use_defaultEEESK_EEENSH_IJSG_SG_EEES6_PlJ7is_evenIsEEEE10hipError_tPvRmT3_T4_T5_T6_T7_T9_mT8_P12ihipStream_tbDpT10_ENKUlT_T0_E_clISt17integral_constantIbLb1EES18_IbLb0EEEEDaS14_S15_EUlS14_E_NS1_11comp_targetILNS1_3genE5ELNS1_11target_archE942ELNS1_3gpuE9ELNS1_3repE0EEENS1_30default_config_static_selectorELNS0_4arch9wavefront6targetE1EEEvT1_.kd
    .uniform_work_group_size: 1
    .uses_dynamic_stack: false
    .vgpr_count:     0
    .vgpr_spill_count: 0
    .wavefront_size: 64
  - .agpr_count:     0
    .args:
      - .offset:         0
        .size:           136
        .value_kind:     by_value
    .group_segment_fixed_size: 14344
    .kernarg_segment_align: 8
    .kernarg_segment_size: 136
    .language:       OpenCL C
    .language_version:
      - 2
      - 0
    .max_flat_workgroup_size: 256
    .name:           _ZN7rocprim17ROCPRIM_400000_NS6detail17trampoline_kernelINS0_14default_configENS1_25partition_config_selectorILNS1_17partition_subalgoE0EsNS0_10empty_typeEbEEZZNS1_14partition_implILS5_0ELb0ES3_jN6thrust23THRUST_200600_302600_NS6detail15normal_iteratorINSA_10device_ptrIsEEEEPS6_SG_NS0_5tupleIJNSA_16discard_iteratorINSA_11use_defaultEEESK_EEENSH_IJSG_SG_EEES6_PlJ7is_evenIsEEEE10hipError_tPvRmT3_T4_T5_T6_T7_T9_mT8_P12ihipStream_tbDpT10_ENKUlT_T0_E_clISt17integral_constantIbLb1EES18_IbLb0EEEEDaS14_S15_EUlS14_E_NS1_11comp_targetILNS1_3genE4ELNS1_11target_archE910ELNS1_3gpuE8ELNS1_3repE0EEENS1_30default_config_static_selectorELNS0_4arch9wavefront6targetE1EEEvT1_
    .private_segment_fixed_size: 0
    .sgpr_count:     40
    .sgpr_spill_count: 0
    .symbol:         _ZN7rocprim17ROCPRIM_400000_NS6detail17trampoline_kernelINS0_14default_configENS1_25partition_config_selectorILNS1_17partition_subalgoE0EsNS0_10empty_typeEbEEZZNS1_14partition_implILS5_0ELb0ES3_jN6thrust23THRUST_200600_302600_NS6detail15normal_iteratorINSA_10device_ptrIsEEEEPS6_SG_NS0_5tupleIJNSA_16discard_iteratorINSA_11use_defaultEEESK_EEENSH_IJSG_SG_EEES6_PlJ7is_evenIsEEEE10hipError_tPvRmT3_T4_T5_T6_T7_T9_mT8_P12ihipStream_tbDpT10_ENKUlT_T0_E_clISt17integral_constantIbLb1EES18_IbLb0EEEEDaS14_S15_EUlS14_E_NS1_11comp_targetILNS1_3genE4ELNS1_11target_archE910ELNS1_3gpuE8ELNS1_3repE0EEENS1_30default_config_static_selectorELNS0_4arch9wavefront6targetE1EEEvT1_.kd
    .uniform_work_group_size: 1
    .uses_dynamic_stack: false
    .vgpr_count:     113
    .vgpr_spill_count: 0
    .wavefront_size: 64
  - .agpr_count:     0
    .args:
      - .offset:         0
        .size:           136
        .value_kind:     by_value
    .group_segment_fixed_size: 0
    .kernarg_segment_align: 8
    .kernarg_segment_size: 136
    .language:       OpenCL C
    .language_version:
      - 2
      - 0
    .max_flat_workgroup_size: 256
    .name:           _ZN7rocprim17ROCPRIM_400000_NS6detail17trampoline_kernelINS0_14default_configENS1_25partition_config_selectorILNS1_17partition_subalgoE0EsNS0_10empty_typeEbEEZZNS1_14partition_implILS5_0ELb0ES3_jN6thrust23THRUST_200600_302600_NS6detail15normal_iteratorINSA_10device_ptrIsEEEEPS6_SG_NS0_5tupleIJNSA_16discard_iteratorINSA_11use_defaultEEESK_EEENSH_IJSG_SG_EEES6_PlJ7is_evenIsEEEE10hipError_tPvRmT3_T4_T5_T6_T7_T9_mT8_P12ihipStream_tbDpT10_ENKUlT_T0_E_clISt17integral_constantIbLb1EES18_IbLb0EEEEDaS14_S15_EUlS14_E_NS1_11comp_targetILNS1_3genE3ELNS1_11target_archE908ELNS1_3gpuE7ELNS1_3repE0EEENS1_30default_config_static_selectorELNS0_4arch9wavefront6targetE1EEEvT1_
    .private_segment_fixed_size: 0
    .sgpr_count:     4
    .sgpr_spill_count: 0
    .symbol:         _ZN7rocprim17ROCPRIM_400000_NS6detail17trampoline_kernelINS0_14default_configENS1_25partition_config_selectorILNS1_17partition_subalgoE0EsNS0_10empty_typeEbEEZZNS1_14partition_implILS5_0ELb0ES3_jN6thrust23THRUST_200600_302600_NS6detail15normal_iteratorINSA_10device_ptrIsEEEEPS6_SG_NS0_5tupleIJNSA_16discard_iteratorINSA_11use_defaultEEESK_EEENSH_IJSG_SG_EEES6_PlJ7is_evenIsEEEE10hipError_tPvRmT3_T4_T5_T6_T7_T9_mT8_P12ihipStream_tbDpT10_ENKUlT_T0_E_clISt17integral_constantIbLb1EES18_IbLb0EEEEDaS14_S15_EUlS14_E_NS1_11comp_targetILNS1_3genE3ELNS1_11target_archE908ELNS1_3gpuE7ELNS1_3repE0EEENS1_30default_config_static_selectorELNS0_4arch9wavefront6targetE1EEEvT1_.kd
    .uniform_work_group_size: 1
    .uses_dynamic_stack: false
    .vgpr_count:     0
    .vgpr_spill_count: 0
    .wavefront_size: 64
  - .agpr_count:     0
    .args:
      - .offset:         0
        .size:           136
        .value_kind:     by_value
    .group_segment_fixed_size: 0
    .kernarg_segment_align: 8
    .kernarg_segment_size: 136
    .language:       OpenCL C
    .language_version:
      - 2
      - 0
    .max_flat_workgroup_size: 256
    .name:           _ZN7rocprim17ROCPRIM_400000_NS6detail17trampoline_kernelINS0_14default_configENS1_25partition_config_selectorILNS1_17partition_subalgoE0EsNS0_10empty_typeEbEEZZNS1_14partition_implILS5_0ELb0ES3_jN6thrust23THRUST_200600_302600_NS6detail15normal_iteratorINSA_10device_ptrIsEEEEPS6_SG_NS0_5tupleIJNSA_16discard_iteratorINSA_11use_defaultEEESK_EEENSH_IJSG_SG_EEES6_PlJ7is_evenIsEEEE10hipError_tPvRmT3_T4_T5_T6_T7_T9_mT8_P12ihipStream_tbDpT10_ENKUlT_T0_E_clISt17integral_constantIbLb1EES18_IbLb0EEEEDaS14_S15_EUlS14_E_NS1_11comp_targetILNS1_3genE2ELNS1_11target_archE906ELNS1_3gpuE6ELNS1_3repE0EEENS1_30default_config_static_selectorELNS0_4arch9wavefront6targetE1EEEvT1_
    .private_segment_fixed_size: 0
    .sgpr_count:     4
    .sgpr_spill_count: 0
    .symbol:         _ZN7rocprim17ROCPRIM_400000_NS6detail17trampoline_kernelINS0_14default_configENS1_25partition_config_selectorILNS1_17partition_subalgoE0EsNS0_10empty_typeEbEEZZNS1_14partition_implILS5_0ELb0ES3_jN6thrust23THRUST_200600_302600_NS6detail15normal_iteratorINSA_10device_ptrIsEEEEPS6_SG_NS0_5tupleIJNSA_16discard_iteratorINSA_11use_defaultEEESK_EEENSH_IJSG_SG_EEES6_PlJ7is_evenIsEEEE10hipError_tPvRmT3_T4_T5_T6_T7_T9_mT8_P12ihipStream_tbDpT10_ENKUlT_T0_E_clISt17integral_constantIbLb1EES18_IbLb0EEEEDaS14_S15_EUlS14_E_NS1_11comp_targetILNS1_3genE2ELNS1_11target_archE906ELNS1_3gpuE6ELNS1_3repE0EEENS1_30default_config_static_selectorELNS0_4arch9wavefront6targetE1EEEvT1_.kd
    .uniform_work_group_size: 1
    .uses_dynamic_stack: false
    .vgpr_count:     0
    .vgpr_spill_count: 0
    .wavefront_size: 64
  - .agpr_count:     0
    .args:
      - .offset:         0
        .size:           136
        .value_kind:     by_value
    .group_segment_fixed_size: 0
    .kernarg_segment_align: 8
    .kernarg_segment_size: 136
    .language:       OpenCL C
    .language_version:
      - 2
      - 0
    .max_flat_workgroup_size: 384
    .name:           _ZN7rocprim17ROCPRIM_400000_NS6detail17trampoline_kernelINS0_14default_configENS1_25partition_config_selectorILNS1_17partition_subalgoE0EsNS0_10empty_typeEbEEZZNS1_14partition_implILS5_0ELb0ES3_jN6thrust23THRUST_200600_302600_NS6detail15normal_iteratorINSA_10device_ptrIsEEEEPS6_SG_NS0_5tupleIJNSA_16discard_iteratorINSA_11use_defaultEEESK_EEENSH_IJSG_SG_EEES6_PlJ7is_evenIsEEEE10hipError_tPvRmT3_T4_T5_T6_T7_T9_mT8_P12ihipStream_tbDpT10_ENKUlT_T0_E_clISt17integral_constantIbLb1EES18_IbLb0EEEEDaS14_S15_EUlS14_E_NS1_11comp_targetILNS1_3genE10ELNS1_11target_archE1200ELNS1_3gpuE4ELNS1_3repE0EEENS1_30default_config_static_selectorELNS0_4arch9wavefront6targetE1EEEvT1_
    .private_segment_fixed_size: 0
    .sgpr_count:     4
    .sgpr_spill_count: 0
    .symbol:         _ZN7rocprim17ROCPRIM_400000_NS6detail17trampoline_kernelINS0_14default_configENS1_25partition_config_selectorILNS1_17partition_subalgoE0EsNS0_10empty_typeEbEEZZNS1_14partition_implILS5_0ELb0ES3_jN6thrust23THRUST_200600_302600_NS6detail15normal_iteratorINSA_10device_ptrIsEEEEPS6_SG_NS0_5tupleIJNSA_16discard_iteratorINSA_11use_defaultEEESK_EEENSH_IJSG_SG_EEES6_PlJ7is_evenIsEEEE10hipError_tPvRmT3_T4_T5_T6_T7_T9_mT8_P12ihipStream_tbDpT10_ENKUlT_T0_E_clISt17integral_constantIbLb1EES18_IbLb0EEEEDaS14_S15_EUlS14_E_NS1_11comp_targetILNS1_3genE10ELNS1_11target_archE1200ELNS1_3gpuE4ELNS1_3repE0EEENS1_30default_config_static_selectorELNS0_4arch9wavefront6targetE1EEEvT1_.kd
    .uniform_work_group_size: 1
    .uses_dynamic_stack: false
    .vgpr_count:     0
    .vgpr_spill_count: 0
    .wavefront_size: 64
  - .agpr_count:     0
    .args:
      - .offset:         0
        .size:           136
        .value_kind:     by_value
    .group_segment_fixed_size: 0
    .kernarg_segment_align: 8
    .kernarg_segment_size: 136
    .language:       OpenCL C
    .language_version:
      - 2
      - 0
    .max_flat_workgroup_size: 128
    .name:           _ZN7rocprim17ROCPRIM_400000_NS6detail17trampoline_kernelINS0_14default_configENS1_25partition_config_selectorILNS1_17partition_subalgoE0EsNS0_10empty_typeEbEEZZNS1_14partition_implILS5_0ELb0ES3_jN6thrust23THRUST_200600_302600_NS6detail15normal_iteratorINSA_10device_ptrIsEEEEPS6_SG_NS0_5tupleIJNSA_16discard_iteratorINSA_11use_defaultEEESK_EEENSH_IJSG_SG_EEES6_PlJ7is_evenIsEEEE10hipError_tPvRmT3_T4_T5_T6_T7_T9_mT8_P12ihipStream_tbDpT10_ENKUlT_T0_E_clISt17integral_constantIbLb1EES18_IbLb0EEEEDaS14_S15_EUlS14_E_NS1_11comp_targetILNS1_3genE9ELNS1_11target_archE1100ELNS1_3gpuE3ELNS1_3repE0EEENS1_30default_config_static_selectorELNS0_4arch9wavefront6targetE1EEEvT1_
    .private_segment_fixed_size: 0
    .sgpr_count:     4
    .sgpr_spill_count: 0
    .symbol:         _ZN7rocprim17ROCPRIM_400000_NS6detail17trampoline_kernelINS0_14default_configENS1_25partition_config_selectorILNS1_17partition_subalgoE0EsNS0_10empty_typeEbEEZZNS1_14partition_implILS5_0ELb0ES3_jN6thrust23THRUST_200600_302600_NS6detail15normal_iteratorINSA_10device_ptrIsEEEEPS6_SG_NS0_5tupleIJNSA_16discard_iteratorINSA_11use_defaultEEESK_EEENSH_IJSG_SG_EEES6_PlJ7is_evenIsEEEE10hipError_tPvRmT3_T4_T5_T6_T7_T9_mT8_P12ihipStream_tbDpT10_ENKUlT_T0_E_clISt17integral_constantIbLb1EES18_IbLb0EEEEDaS14_S15_EUlS14_E_NS1_11comp_targetILNS1_3genE9ELNS1_11target_archE1100ELNS1_3gpuE3ELNS1_3repE0EEENS1_30default_config_static_selectorELNS0_4arch9wavefront6targetE1EEEvT1_.kd
    .uniform_work_group_size: 1
    .uses_dynamic_stack: false
    .vgpr_count:     0
    .vgpr_spill_count: 0
    .wavefront_size: 64
  - .agpr_count:     0
    .args:
      - .offset:         0
        .size:           136
        .value_kind:     by_value
    .group_segment_fixed_size: 0
    .kernarg_segment_align: 8
    .kernarg_segment_size: 136
    .language:       OpenCL C
    .language_version:
      - 2
      - 0
    .max_flat_workgroup_size: 128
    .name:           _ZN7rocprim17ROCPRIM_400000_NS6detail17trampoline_kernelINS0_14default_configENS1_25partition_config_selectorILNS1_17partition_subalgoE0EsNS0_10empty_typeEbEEZZNS1_14partition_implILS5_0ELb0ES3_jN6thrust23THRUST_200600_302600_NS6detail15normal_iteratorINSA_10device_ptrIsEEEEPS6_SG_NS0_5tupleIJNSA_16discard_iteratorINSA_11use_defaultEEESK_EEENSH_IJSG_SG_EEES6_PlJ7is_evenIsEEEE10hipError_tPvRmT3_T4_T5_T6_T7_T9_mT8_P12ihipStream_tbDpT10_ENKUlT_T0_E_clISt17integral_constantIbLb1EES18_IbLb0EEEEDaS14_S15_EUlS14_E_NS1_11comp_targetILNS1_3genE8ELNS1_11target_archE1030ELNS1_3gpuE2ELNS1_3repE0EEENS1_30default_config_static_selectorELNS0_4arch9wavefront6targetE1EEEvT1_
    .private_segment_fixed_size: 0
    .sgpr_count:     4
    .sgpr_spill_count: 0
    .symbol:         _ZN7rocprim17ROCPRIM_400000_NS6detail17trampoline_kernelINS0_14default_configENS1_25partition_config_selectorILNS1_17partition_subalgoE0EsNS0_10empty_typeEbEEZZNS1_14partition_implILS5_0ELb0ES3_jN6thrust23THRUST_200600_302600_NS6detail15normal_iteratorINSA_10device_ptrIsEEEEPS6_SG_NS0_5tupleIJNSA_16discard_iteratorINSA_11use_defaultEEESK_EEENSH_IJSG_SG_EEES6_PlJ7is_evenIsEEEE10hipError_tPvRmT3_T4_T5_T6_T7_T9_mT8_P12ihipStream_tbDpT10_ENKUlT_T0_E_clISt17integral_constantIbLb1EES18_IbLb0EEEEDaS14_S15_EUlS14_E_NS1_11comp_targetILNS1_3genE8ELNS1_11target_archE1030ELNS1_3gpuE2ELNS1_3repE0EEENS1_30default_config_static_selectorELNS0_4arch9wavefront6targetE1EEEvT1_.kd
    .uniform_work_group_size: 1
    .uses_dynamic_stack: false
    .vgpr_count:     0
    .vgpr_spill_count: 0
    .wavefront_size: 64
  - .agpr_count:     0
    .args:
      - .offset:         0
        .size:           152
        .value_kind:     by_value
    .group_segment_fixed_size: 0
    .kernarg_segment_align: 8
    .kernarg_segment_size: 152
    .language:       OpenCL C
    .language_version:
      - 2
      - 0
    .max_flat_workgroup_size: 256
    .name:           _ZN7rocprim17ROCPRIM_400000_NS6detail17trampoline_kernelINS0_14default_configENS1_25partition_config_selectorILNS1_17partition_subalgoE0EsNS0_10empty_typeEbEEZZNS1_14partition_implILS5_0ELb0ES3_jN6thrust23THRUST_200600_302600_NS6detail15normal_iteratorINSA_10device_ptrIsEEEEPS6_SG_NS0_5tupleIJNSA_16discard_iteratorINSA_11use_defaultEEESK_EEENSH_IJSG_SG_EEES6_PlJ7is_evenIsEEEE10hipError_tPvRmT3_T4_T5_T6_T7_T9_mT8_P12ihipStream_tbDpT10_ENKUlT_T0_E_clISt17integral_constantIbLb0EES18_IbLb1EEEEDaS14_S15_EUlS14_E_NS1_11comp_targetILNS1_3genE0ELNS1_11target_archE4294967295ELNS1_3gpuE0ELNS1_3repE0EEENS1_30default_config_static_selectorELNS0_4arch9wavefront6targetE1EEEvT1_
    .private_segment_fixed_size: 0
    .sgpr_count:     4
    .sgpr_spill_count: 0
    .symbol:         _ZN7rocprim17ROCPRIM_400000_NS6detail17trampoline_kernelINS0_14default_configENS1_25partition_config_selectorILNS1_17partition_subalgoE0EsNS0_10empty_typeEbEEZZNS1_14partition_implILS5_0ELb0ES3_jN6thrust23THRUST_200600_302600_NS6detail15normal_iteratorINSA_10device_ptrIsEEEEPS6_SG_NS0_5tupleIJNSA_16discard_iteratorINSA_11use_defaultEEESK_EEENSH_IJSG_SG_EEES6_PlJ7is_evenIsEEEE10hipError_tPvRmT3_T4_T5_T6_T7_T9_mT8_P12ihipStream_tbDpT10_ENKUlT_T0_E_clISt17integral_constantIbLb0EES18_IbLb1EEEEDaS14_S15_EUlS14_E_NS1_11comp_targetILNS1_3genE0ELNS1_11target_archE4294967295ELNS1_3gpuE0ELNS1_3repE0EEENS1_30default_config_static_selectorELNS0_4arch9wavefront6targetE1EEEvT1_.kd
    .uniform_work_group_size: 1
    .uses_dynamic_stack: false
    .vgpr_count:     0
    .vgpr_spill_count: 0
    .wavefront_size: 64
  - .agpr_count:     0
    .args:
      - .offset:         0
        .size:           152
        .value_kind:     by_value
    .group_segment_fixed_size: 0
    .kernarg_segment_align: 8
    .kernarg_segment_size: 152
    .language:       OpenCL C
    .language_version:
      - 2
      - 0
    .max_flat_workgroup_size: 512
    .name:           _ZN7rocprim17ROCPRIM_400000_NS6detail17trampoline_kernelINS0_14default_configENS1_25partition_config_selectorILNS1_17partition_subalgoE0EsNS0_10empty_typeEbEEZZNS1_14partition_implILS5_0ELb0ES3_jN6thrust23THRUST_200600_302600_NS6detail15normal_iteratorINSA_10device_ptrIsEEEEPS6_SG_NS0_5tupleIJNSA_16discard_iteratorINSA_11use_defaultEEESK_EEENSH_IJSG_SG_EEES6_PlJ7is_evenIsEEEE10hipError_tPvRmT3_T4_T5_T6_T7_T9_mT8_P12ihipStream_tbDpT10_ENKUlT_T0_E_clISt17integral_constantIbLb0EES18_IbLb1EEEEDaS14_S15_EUlS14_E_NS1_11comp_targetILNS1_3genE5ELNS1_11target_archE942ELNS1_3gpuE9ELNS1_3repE0EEENS1_30default_config_static_selectorELNS0_4arch9wavefront6targetE1EEEvT1_
    .private_segment_fixed_size: 0
    .sgpr_count:     4
    .sgpr_spill_count: 0
    .symbol:         _ZN7rocprim17ROCPRIM_400000_NS6detail17trampoline_kernelINS0_14default_configENS1_25partition_config_selectorILNS1_17partition_subalgoE0EsNS0_10empty_typeEbEEZZNS1_14partition_implILS5_0ELb0ES3_jN6thrust23THRUST_200600_302600_NS6detail15normal_iteratorINSA_10device_ptrIsEEEEPS6_SG_NS0_5tupleIJNSA_16discard_iteratorINSA_11use_defaultEEESK_EEENSH_IJSG_SG_EEES6_PlJ7is_evenIsEEEE10hipError_tPvRmT3_T4_T5_T6_T7_T9_mT8_P12ihipStream_tbDpT10_ENKUlT_T0_E_clISt17integral_constantIbLb0EES18_IbLb1EEEEDaS14_S15_EUlS14_E_NS1_11comp_targetILNS1_3genE5ELNS1_11target_archE942ELNS1_3gpuE9ELNS1_3repE0EEENS1_30default_config_static_selectorELNS0_4arch9wavefront6targetE1EEEvT1_.kd
    .uniform_work_group_size: 1
    .uses_dynamic_stack: false
    .vgpr_count:     0
    .vgpr_spill_count: 0
    .wavefront_size: 64
  - .agpr_count:     0
    .args:
      - .offset:         0
        .size:           152
        .value_kind:     by_value
    .group_segment_fixed_size: 14344
    .kernarg_segment_align: 8
    .kernarg_segment_size: 152
    .language:       OpenCL C
    .language_version:
      - 2
      - 0
    .max_flat_workgroup_size: 256
    .name:           _ZN7rocprim17ROCPRIM_400000_NS6detail17trampoline_kernelINS0_14default_configENS1_25partition_config_selectorILNS1_17partition_subalgoE0EsNS0_10empty_typeEbEEZZNS1_14partition_implILS5_0ELb0ES3_jN6thrust23THRUST_200600_302600_NS6detail15normal_iteratorINSA_10device_ptrIsEEEEPS6_SG_NS0_5tupleIJNSA_16discard_iteratorINSA_11use_defaultEEESK_EEENSH_IJSG_SG_EEES6_PlJ7is_evenIsEEEE10hipError_tPvRmT3_T4_T5_T6_T7_T9_mT8_P12ihipStream_tbDpT10_ENKUlT_T0_E_clISt17integral_constantIbLb0EES18_IbLb1EEEEDaS14_S15_EUlS14_E_NS1_11comp_targetILNS1_3genE4ELNS1_11target_archE910ELNS1_3gpuE8ELNS1_3repE0EEENS1_30default_config_static_selectorELNS0_4arch9wavefront6targetE1EEEvT1_
    .private_segment_fixed_size: 0
    .sgpr_count:     40
    .sgpr_spill_count: 0
    .symbol:         _ZN7rocprim17ROCPRIM_400000_NS6detail17trampoline_kernelINS0_14default_configENS1_25partition_config_selectorILNS1_17partition_subalgoE0EsNS0_10empty_typeEbEEZZNS1_14partition_implILS5_0ELb0ES3_jN6thrust23THRUST_200600_302600_NS6detail15normal_iteratorINSA_10device_ptrIsEEEEPS6_SG_NS0_5tupleIJNSA_16discard_iteratorINSA_11use_defaultEEESK_EEENSH_IJSG_SG_EEES6_PlJ7is_evenIsEEEE10hipError_tPvRmT3_T4_T5_T6_T7_T9_mT8_P12ihipStream_tbDpT10_ENKUlT_T0_E_clISt17integral_constantIbLb0EES18_IbLb1EEEEDaS14_S15_EUlS14_E_NS1_11comp_targetILNS1_3genE4ELNS1_11target_archE910ELNS1_3gpuE8ELNS1_3repE0EEENS1_30default_config_static_selectorELNS0_4arch9wavefront6targetE1EEEvT1_.kd
    .uniform_work_group_size: 1
    .uses_dynamic_stack: false
    .vgpr_count:     115
    .vgpr_spill_count: 0
    .wavefront_size: 64
  - .agpr_count:     0
    .args:
      - .offset:         0
        .size:           152
        .value_kind:     by_value
    .group_segment_fixed_size: 0
    .kernarg_segment_align: 8
    .kernarg_segment_size: 152
    .language:       OpenCL C
    .language_version:
      - 2
      - 0
    .max_flat_workgroup_size: 256
    .name:           _ZN7rocprim17ROCPRIM_400000_NS6detail17trampoline_kernelINS0_14default_configENS1_25partition_config_selectorILNS1_17partition_subalgoE0EsNS0_10empty_typeEbEEZZNS1_14partition_implILS5_0ELb0ES3_jN6thrust23THRUST_200600_302600_NS6detail15normal_iteratorINSA_10device_ptrIsEEEEPS6_SG_NS0_5tupleIJNSA_16discard_iteratorINSA_11use_defaultEEESK_EEENSH_IJSG_SG_EEES6_PlJ7is_evenIsEEEE10hipError_tPvRmT3_T4_T5_T6_T7_T9_mT8_P12ihipStream_tbDpT10_ENKUlT_T0_E_clISt17integral_constantIbLb0EES18_IbLb1EEEEDaS14_S15_EUlS14_E_NS1_11comp_targetILNS1_3genE3ELNS1_11target_archE908ELNS1_3gpuE7ELNS1_3repE0EEENS1_30default_config_static_selectorELNS0_4arch9wavefront6targetE1EEEvT1_
    .private_segment_fixed_size: 0
    .sgpr_count:     4
    .sgpr_spill_count: 0
    .symbol:         _ZN7rocprim17ROCPRIM_400000_NS6detail17trampoline_kernelINS0_14default_configENS1_25partition_config_selectorILNS1_17partition_subalgoE0EsNS0_10empty_typeEbEEZZNS1_14partition_implILS5_0ELb0ES3_jN6thrust23THRUST_200600_302600_NS6detail15normal_iteratorINSA_10device_ptrIsEEEEPS6_SG_NS0_5tupleIJNSA_16discard_iteratorINSA_11use_defaultEEESK_EEENSH_IJSG_SG_EEES6_PlJ7is_evenIsEEEE10hipError_tPvRmT3_T4_T5_T6_T7_T9_mT8_P12ihipStream_tbDpT10_ENKUlT_T0_E_clISt17integral_constantIbLb0EES18_IbLb1EEEEDaS14_S15_EUlS14_E_NS1_11comp_targetILNS1_3genE3ELNS1_11target_archE908ELNS1_3gpuE7ELNS1_3repE0EEENS1_30default_config_static_selectorELNS0_4arch9wavefront6targetE1EEEvT1_.kd
    .uniform_work_group_size: 1
    .uses_dynamic_stack: false
    .vgpr_count:     0
    .vgpr_spill_count: 0
    .wavefront_size: 64
  - .agpr_count:     0
    .args:
      - .offset:         0
        .size:           152
        .value_kind:     by_value
    .group_segment_fixed_size: 0
    .kernarg_segment_align: 8
    .kernarg_segment_size: 152
    .language:       OpenCL C
    .language_version:
      - 2
      - 0
    .max_flat_workgroup_size: 256
    .name:           _ZN7rocprim17ROCPRIM_400000_NS6detail17trampoline_kernelINS0_14default_configENS1_25partition_config_selectorILNS1_17partition_subalgoE0EsNS0_10empty_typeEbEEZZNS1_14partition_implILS5_0ELb0ES3_jN6thrust23THRUST_200600_302600_NS6detail15normal_iteratorINSA_10device_ptrIsEEEEPS6_SG_NS0_5tupleIJNSA_16discard_iteratorINSA_11use_defaultEEESK_EEENSH_IJSG_SG_EEES6_PlJ7is_evenIsEEEE10hipError_tPvRmT3_T4_T5_T6_T7_T9_mT8_P12ihipStream_tbDpT10_ENKUlT_T0_E_clISt17integral_constantIbLb0EES18_IbLb1EEEEDaS14_S15_EUlS14_E_NS1_11comp_targetILNS1_3genE2ELNS1_11target_archE906ELNS1_3gpuE6ELNS1_3repE0EEENS1_30default_config_static_selectorELNS0_4arch9wavefront6targetE1EEEvT1_
    .private_segment_fixed_size: 0
    .sgpr_count:     4
    .sgpr_spill_count: 0
    .symbol:         _ZN7rocprim17ROCPRIM_400000_NS6detail17trampoline_kernelINS0_14default_configENS1_25partition_config_selectorILNS1_17partition_subalgoE0EsNS0_10empty_typeEbEEZZNS1_14partition_implILS5_0ELb0ES3_jN6thrust23THRUST_200600_302600_NS6detail15normal_iteratorINSA_10device_ptrIsEEEEPS6_SG_NS0_5tupleIJNSA_16discard_iteratorINSA_11use_defaultEEESK_EEENSH_IJSG_SG_EEES6_PlJ7is_evenIsEEEE10hipError_tPvRmT3_T4_T5_T6_T7_T9_mT8_P12ihipStream_tbDpT10_ENKUlT_T0_E_clISt17integral_constantIbLb0EES18_IbLb1EEEEDaS14_S15_EUlS14_E_NS1_11comp_targetILNS1_3genE2ELNS1_11target_archE906ELNS1_3gpuE6ELNS1_3repE0EEENS1_30default_config_static_selectorELNS0_4arch9wavefront6targetE1EEEvT1_.kd
    .uniform_work_group_size: 1
    .uses_dynamic_stack: false
    .vgpr_count:     0
    .vgpr_spill_count: 0
    .wavefront_size: 64
  - .agpr_count:     0
    .args:
      - .offset:         0
        .size:           152
        .value_kind:     by_value
    .group_segment_fixed_size: 0
    .kernarg_segment_align: 8
    .kernarg_segment_size: 152
    .language:       OpenCL C
    .language_version:
      - 2
      - 0
    .max_flat_workgroup_size: 384
    .name:           _ZN7rocprim17ROCPRIM_400000_NS6detail17trampoline_kernelINS0_14default_configENS1_25partition_config_selectorILNS1_17partition_subalgoE0EsNS0_10empty_typeEbEEZZNS1_14partition_implILS5_0ELb0ES3_jN6thrust23THRUST_200600_302600_NS6detail15normal_iteratorINSA_10device_ptrIsEEEEPS6_SG_NS0_5tupleIJNSA_16discard_iteratorINSA_11use_defaultEEESK_EEENSH_IJSG_SG_EEES6_PlJ7is_evenIsEEEE10hipError_tPvRmT3_T4_T5_T6_T7_T9_mT8_P12ihipStream_tbDpT10_ENKUlT_T0_E_clISt17integral_constantIbLb0EES18_IbLb1EEEEDaS14_S15_EUlS14_E_NS1_11comp_targetILNS1_3genE10ELNS1_11target_archE1200ELNS1_3gpuE4ELNS1_3repE0EEENS1_30default_config_static_selectorELNS0_4arch9wavefront6targetE1EEEvT1_
    .private_segment_fixed_size: 0
    .sgpr_count:     4
    .sgpr_spill_count: 0
    .symbol:         _ZN7rocprim17ROCPRIM_400000_NS6detail17trampoline_kernelINS0_14default_configENS1_25partition_config_selectorILNS1_17partition_subalgoE0EsNS0_10empty_typeEbEEZZNS1_14partition_implILS5_0ELb0ES3_jN6thrust23THRUST_200600_302600_NS6detail15normal_iteratorINSA_10device_ptrIsEEEEPS6_SG_NS0_5tupleIJNSA_16discard_iteratorINSA_11use_defaultEEESK_EEENSH_IJSG_SG_EEES6_PlJ7is_evenIsEEEE10hipError_tPvRmT3_T4_T5_T6_T7_T9_mT8_P12ihipStream_tbDpT10_ENKUlT_T0_E_clISt17integral_constantIbLb0EES18_IbLb1EEEEDaS14_S15_EUlS14_E_NS1_11comp_targetILNS1_3genE10ELNS1_11target_archE1200ELNS1_3gpuE4ELNS1_3repE0EEENS1_30default_config_static_selectorELNS0_4arch9wavefront6targetE1EEEvT1_.kd
    .uniform_work_group_size: 1
    .uses_dynamic_stack: false
    .vgpr_count:     0
    .vgpr_spill_count: 0
    .wavefront_size: 64
  - .agpr_count:     0
    .args:
      - .offset:         0
        .size:           152
        .value_kind:     by_value
    .group_segment_fixed_size: 0
    .kernarg_segment_align: 8
    .kernarg_segment_size: 152
    .language:       OpenCL C
    .language_version:
      - 2
      - 0
    .max_flat_workgroup_size: 128
    .name:           _ZN7rocprim17ROCPRIM_400000_NS6detail17trampoline_kernelINS0_14default_configENS1_25partition_config_selectorILNS1_17partition_subalgoE0EsNS0_10empty_typeEbEEZZNS1_14partition_implILS5_0ELb0ES3_jN6thrust23THRUST_200600_302600_NS6detail15normal_iteratorINSA_10device_ptrIsEEEEPS6_SG_NS0_5tupleIJNSA_16discard_iteratorINSA_11use_defaultEEESK_EEENSH_IJSG_SG_EEES6_PlJ7is_evenIsEEEE10hipError_tPvRmT3_T4_T5_T6_T7_T9_mT8_P12ihipStream_tbDpT10_ENKUlT_T0_E_clISt17integral_constantIbLb0EES18_IbLb1EEEEDaS14_S15_EUlS14_E_NS1_11comp_targetILNS1_3genE9ELNS1_11target_archE1100ELNS1_3gpuE3ELNS1_3repE0EEENS1_30default_config_static_selectorELNS0_4arch9wavefront6targetE1EEEvT1_
    .private_segment_fixed_size: 0
    .sgpr_count:     4
    .sgpr_spill_count: 0
    .symbol:         _ZN7rocprim17ROCPRIM_400000_NS6detail17trampoline_kernelINS0_14default_configENS1_25partition_config_selectorILNS1_17partition_subalgoE0EsNS0_10empty_typeEbEEZZNS1_14partition_implILS5_0ELb0ES3_jN6thrust23THRUST_200600_302600_NS6detail15normal_iteratorINSA_10device_ptrIsEEEEPS6_SG_NS0_5tupleIJNSA_16discard_iteratorINSA_11use_defaultEEESK_EEENSH_IJSG_SG_EEES6_PlJ7is_evenIsEEEE10hipError_tPvRmT3_T4_T5_T6_T7_T9_mT8_P12ihipStream_tbDpT10_ENKUlT_T0_E_clISt17integral_constantIbLb0EES18_IbLb1EEEEDaS14_S15_EUlS14_E_NS1_11comp_targetILNS1_3genE9ELNS1_11target_archE1100ELNS1_3gpuE3ELNS1_3repE0EEENS1_30default_config_static_selectorELNS0_4arch9wavefront6targetE1EEEvT1_.kd
    .uniform_work_group_size: 1
    .uses_dynamic_stack: false
    .vgpr_count:     0
    .vgpr_spill_count: 0
    .wavefront_size: 64
  - .agpr_count:     0
    .args:
      - .offset:         0
        .size:           152
        .value_kind:     by_value
    .group_segment_fixed_size: 0
    .kernarg_segment_align: 8
    .kernarg_segment_size: 152
    .language:       OpenCL C
    .language_version:
      - 2
      - 0
    .max_flat_workgroup_size: 128
    .name:           _ZN7rocprim17ROCPRIM_400000_NS6detail17trampoline_kernelINS0_14default_configENS1_25partition_config_selectorILNS1_17partition_subalgoE0EsNS0_10empty_typeEbEEZZNS1_14partition_implILS5_0ELb0ES3_jN6thrust23THRUST_200600_302600_NS6detail15normal_iteratorINSA_10device_ptrIsEEEEPS6_SG_NS0_5tupleIJNSA_16discard_iteratorINSA_11use_defaultEEESK_EEENSH_IJSG_SG_EEES6_PlJ7is_evenIsEEEE10hipError_tPvRmT3_T4_T5_T6_T7_T9_mT8_P12ihipStream_tbDpT10_ENKUlT_T0_E_clISt17integral_constantIbLb0EES18_IbLb1EEEEDaS14_S15_EUlS14_E_NS1_11comp_targetILNS1_3genE8ELNS1_11target_archE1030ELNS1_3gpuE2ELNS1_3repE0EEENS1_30default_config_static_selectorELNS0_4arch9wavefront6targetE1EEEvT1_
    .private_segment_fixed_size: 0
    .sgpr_count:     4
    .sgpr_spill_count: 0
    .symbol:         _ZN7rocprim17ROCPRIM_400000_NS6detail17trampoline_kernelINS0_14default_configENS1_25partition_config_selectorILNS1_17partition_subalgoE0EsNS0_10empty_typeEbEEZZNS1_14partition_implILS5_0ELb0ES3_jN6thrust23THRUST_200600_302600_NS6detail15normal_iteratorINSA_10device_ptrIsEEEEPS6_SG_NS0_5tupleIJNSA_16discard_iteratorINSA_11use_defaultEEESK_EEENSH_IJSG_SG_EEES6_PlJ7is_evenIsEEEE10hipError_tPvRmT3_T4_T5_T6_T7_T9_mT8_P12ihipStream_tbDpT10_ENKUlT_T0_E_clISt17integral_constantIbLb0EES18_IbLb1EEEEDaS14_S15_EUlS14_E_NS1_11comp_targetILNS1_3genE8ELNS1_11target_archE1030ELNS1_3gpuE2ELNS1_3repE0EEENS1_30default_config_static_selectorELNS0_4arch9wavefront6targetE1EEEvT1_.kd
    .uniform_work_group_size: 1
    .uses_dynamic_stack: false
    .vgpr_count:     0
    .vgpr_spill_count: 0
    .wavefront_size: 64
  - .agpr_count:     0
    .args:
      - .offset:         0
        .size:           128
        .value_kind:     by_value
    .group_segment_fixed_size: 0
    .kernarg_segment_align: 8
    .kernarg_segment_size: 128
    .language:       OpenCL C
    .language_version:
      - 2
      - 0
    .max_flat_workgroup_size: 256
    .name:           _ZN7rocprim17ROCPRIM_400000_NS6detail17trampoline_kernelINS0_14default_configENS1_25partition_config_selectorILNS1_17partition_subalgoE0EsNS0_10empty_typeEbEEZZNS1_14partition_implILS5_0ELb0ES3_jN6thrust23THRUST_200600_302600_NS6detail15normal_iteratorINSA_10device_ptrIsEEEEPS6_SG_NS0_5tupleIJSF_NSA_16discard_iteratorINSA_11use_defaultEEEEEENSH_IJSG_SG_EEES6_PlJ7is_evenIsEEEE10hipError_tPvRmT3_T4_T5_T6_T7_T9_mT8_P12ihipStream_tbDpT10_ENKUlT_T0_E_clISt17integral_constantIbLb0EES19_EEDaS14_S15_EUlS14_E_NS1_11comp_targetILNS1_3genE0ELNS1_11target_archE4294967295ELNS1_3gpuE0ELNS1_3repE0EEENS1_30default_config_static_selectorELNS0_4arch9wavefront6targetE1EEEvT1_
    .private_segment_fixed_size: 0
    .sgpr_count:     4
    .sgpr_spill_count: 0
    .symbol:         _ZN7rocprim17ROCPRIM_400000_NS6detail17trampoline_kernelINS0_14default_configENS1_25partition_config_selectorILNS1_17partition_subalgoE0EsNS0_10empty_typeEbEEZZNS1_14partition_implILS5_0ELb0ES3_jN6thrust23THRUST_200600_302600_NS6detail15normal_iteratorINSA_10device_ptrIsEEEEPS6_SG_NS0_5tupleIJSF_NSA_16discard_iteratorINSA_11use_defaultEEEEEENSH_IJSG_SG_EEES6_PlJ7is_evenIsEEEE10hipError_tPvRmT3_T4_T5_T6_T7_T9_mT8_P12ihipStream_tbDpT10_ENKUlT_T0_E_clISt17integral_constantIbLb0EES19_EEDaS14_S15_EUlS14_E_NS1_11comp_targetILNS1_3genE0ELNS1_11target_archE4294967295ELNS1_3gpuE0ELNS1_3repE0EEENS1_30default_config_static_selectorELNS0_4arch9wavefront6targetE1EEEvT1_.kd
    .uniform_work_group_size: 1
    .uses_dynamic_stack: false
    .vgpr_count:     0
    .vgpr_spill_count: 0
    .wavefront_size: 64
  - .agpr_count:     0
    .args:
      - .offset:         0
        .size:           128
        .value_kind:     by_value
    .group_segment_fixed_size: 0
    .kernarg_segment_align: 8
    .kernarg_segment_size: 128
    .language:       OpenCL C
    .language_version:
      - 2
      - 0
    .max_flat_workgroup_size: 512
    .name:           _ZN7rocprim17ROCPRIM_400000_NS6detail17trampoline_kernelINS0_14default_configENS1_25partition_config_selectorILNS1_17partition_subalgoE0EsNS0_10empty_typeEbEEZZNS1_14partition_implILS5_0ELb0ES3_jN6thrust23THRUST_200600_302600_NS6detail15normal_iteratorINSA_10device_ptrIsEEEEPS6_SG_NS0_5tupleIJSF_NSA_16discard_iteratorINSA_11use_defaultEEEEEENSH_IJSG_SG_EEES6_PlJ7is_evenIsEEEE10hipError_tPvRmT3_T4_T5_T6_T7_T9_mT8_P12ihipStream_tbDpT10_ENKUlT_T0_E_clISt17integral_constantIbLb0EES19_EEDaS14_S15_EUlS14_E_NS1_11comp_targetILNS1_3genE5ELNS1_11target_archE942ELNS1_3gpuE9ELNS1_3repE0EEENS1_30default_config_static_selectorELNS0_4arch9wavefront6targetE1EEEvT1_
    .private_segment_fixed_size: 0
    .sgpr_count:     4
    .sgpr_spill_count: 0
    .symbol:         _ZN7rocprim17ROCPRIM_400000_NS6detail17trampoline_kernelINS0_14default_configENS1_25partition_config_selectorILNS1_17partition_subalgoE0EsNS0_10empty_typeEbEEZZNS1_14partition_implILS5_0ELb0ES3_jN6thrust23THRUST_200600_302600_NS6detail15normal_iteratorINSA_10device_ptrIsEEEEPS6_SG_NS0_5tupleIJSF_NSA_16discard_iteratorINSA_11use_defaultEEEEEENSH_IJSG_SG_EEES6_PlJ7is_evenIsEEEE10hipError_tPvRmT3_T4_T5_T6_T7_T9_mT8_P12ihipStream_tbDpT10_ENKUlT_T0_E_clISt17integral_constantIbLb0EES19_EEDaS14_S15_EUlS14_E_NS1_11comp_targetILNS1_3genE5ELNS1_11target_archE942ELNS1_3gpuE9ELNS1_3repE0EEENS1_30default_config_static_selectorELNS0_4arch9wavefront6targetE1EEEvT1_.kd
    .uniform_work_group_size: 1
    .uses_dynamic_stack: false
    .vgpr_count:     0
    .vgpr_spill_count: 0
    .wavefront_size: 64
  - .agpr_count:     0
    .args:
      - .offset:         0
        .size:           128
        .value_kind:     by_value
    .group_segment_fixed_size: 14344
    .kernarg_segment_align: 8
    .kernarg_segment_size: 128
    .language:       OpenCL C
    .language_version:
      - 2
      - 0
    .max_flat_workgroup_size: 256
    .name:           _ZN7rocprim17ROCPRIM_400000_NS6detail17trampoline_kernelINS0_14default_configENS1_25partition_config_selectorILNS1_17partition_subalgoE0EsNS0_10empty_typeEbEEZZNS1_14partition_implILS5_0ELb0ES3_jN6thrust23THRUST_200600_302600_NS6detail15normal_iteratorINSA_10device_ptrIsEEEEPS6_SG_NS0_5tupleIJSF_NSA_16discard_iteratorINSA_11use_defaultEEEEEENSH_IJSG_SG_EEES6_PlJ7is_evenIsEEEE10hipError_tPvRmT3_T4_T5_T6_T7_T9_mT8_P12ihipStream_tbDpT10_ENKUlT_T0_E_clISt17integral_constantIbLb0EES19_EEDaS14_S15_EUlS14_E_NS1_11comp_targetILNS1_3genE4ELNS1_11target_archE910ELNS1_3gpuE8ELNS1_3repE0EEENS1_30default_config_static_selectorELNS0_4arch9wavefront6targetE1EEEvT1_
    .private_segment_fixed_size: 0
    .sgpr_count:     44
    .sgpr_spill_count: 0
    .symbol:         _ZN7rocprim17ROCPRIM_400000_NS6detail17trampoline_kernelINS0_14default_configENS1_25partition_config_selectorILNS1_17partition_subalgoE0EsNS0_10empty_typeEbEEZZNS1_14partition_implILS5_0ELb0ES3_jN6thrust23THRUST_200600_302600_NS6detail15normal_iteratorINSA_10device_ptrIsEEEEPS6_SG_NS0_5tupleIJSF_NSA_16discard_iteratorINSA_11use_defaultEEEEEENSH_IJSG_SG_EEES6_PlJ7is_evenIsEEEE10hipError_tPvRmT3_T4_T5_T6_T7_T9_mT8_P12ihipStream_tbDpT10_ENKUlT_T0_E_clISt17integral_constantIbLb0EES19_EEDaS14_S15_EUlS14_E_NS1_11comp_targetILNS1_3genE4ELNS1_11target_archE910ELNS1_3gpuE8ELNS1_3repE0EEENS1_30default_config_static_selectorELNS0_4arch9wavefront6targetE1EEEvT1_.kd
    .uniform_work_group_size: 1
    .uses_dynamic_stack: false
    .vgpr_count:     114
    .vgpr_spill_count: 0
    .wavefront_size: 64
  - .agpr_count:     0
    .args:
      - .offset:         0
        .size:           128
        .value_kind:     by_value
    .group_segment_fixed_size: 0
    .kernarg_segment_align: 8
    .kernarg_segment_size: 128
    .language:       OpenCL C
    .language_version:
      - 2
      - 0
    .max_flat_workgroup_size: 256
    .name:           _ZN7rocprim17ROCPRIM_400000_NS6detail17trampoline_kernelINS0_14default_configENS1_25partition_config_selectorILNS1_17partition_subalgoE0EsNS0_10empty_typeEbEEZZNS1_14partition_implILS5_0ELb0ES3_jN6thrust23THRUST_200600_302600_NS6detail15normal_iteratorINSA_10device_ptrIsEEEEPS6_SG_NS0_5tupleIJSF_NSA_16discard_iteratorINSA_11use_defaultEEEEEENSH_IJSG_SG_EEES6_PlJ7is_evenIsEEEE10hipError_tPvRmT3_T4_T5_T6_T7_T9_mT8_P12ihipStream_tbDpT10_ENKUlT_T0_E_clISt17integral_constantIbLb0EES19_EEDaS14_S15_EUlS14_E_NS1_11comp_targetILNS1_3genE3ELNS1_11target_archE908ELNS1_3gpuE7ELNS1_3repE0EEENS1_30default_config_static_selectorELNS0_4arch9wavefront6targetE1EEEvT1_
    .private_segment_fixed_size: 0
    .sgpr_count:     4
    .sgpr_spill_count: 0
    .symbol:         _ZN7rocprim17ROCPRIM_400000_NS6detail17trampoline_kernelINS0_14default_configENS1_25partition_config_selectorILNS1_17partition_subalgoE0EsNS0_10empty_typeEbEEZZNS1_14partition_implILS5_0ELb0ES3_jN6thrust23THRUST_200600_302600_NS6detail15normal_iteratorINSA_10device_ptrIsEEEEPS6_SG_NS0_5tupleIJSF_NSA_16discard_iteratorINSA_11use_defaultEEEEEENSH_IJSG_SG_EEES6_PlJ7is_evenIsEEEE10hipError_tPvRmT3_T4_T5_T6_T7_T9_mT8_P12ihipStream_tbDpT10_ENKUlT_T0_E_clISt17integral_constantIbLb0EES19_EEDaS14_S15_EUlS14_E_NS1_11comp_targetILNS1_3genE3ELNS1_11target_archE908ELNS1_3gpuE7ELNS1_3repE0EEENS1_30default_config_static_selectorELNS0_4arch9wavefront6targetE1EEEvT1_.kd
    .uniform_work_group_size: 1
    .uses_dynamic_stack: false
    .vgpr_count:     0
    .vgpr_spill_count: 0
    .wavefront_size: 64
  - .agpr_count:     0
    .args:
      - .offset:         0
        .size:           128
        .value_kind:     by_value
    .group_segment_fixed_size: 0
    .kernarg_segment_align: 8
    .kernarg_segment_size: 128
    .language:       OpenCL C
    .language_version:
      - 2
      - 0
    .max_flat_workgroup_size: 256
    .name:           _ZN7rocprim17ROCPRIM_400000_NS6detail17trampoline_kernelINS0_14default_configENS1_25partition_config_selectorILNS1_17partition_subalgoE0EsNS0_10empty_typeEbEEZZNS1_14partition_implILS5_0ELb0ES3_jN6thrust23THRUST_200600_302600_NS6detail15normal_iteratorINSA_10device_ptrIsEEEEPS6_SG_NS0_5tupleIJSF_NSA_16discard_iteratorINSA_11use_defaultEEEEEENSH_IJSG_SG_EEES6_PlJ7is_evenIsEEEE10hipError_tPvRmT3_T4_T5_T6_T7_T9_mT8_P12ihipStream_tbDpT10_ENKUlT_T0_E_clISt17integral_constantIbLb0EES19_EEDaS14_S15_EUlS14_E_NS1_11comp_targetILNS1_3genE2ELNS1_11target_archE906ELNS1_3gpuE6ELNS1_3repE0EEENS1_30default_config_static_selectorELNS0_4arch9wavefront6targetE1EEEvT1_
    .private_segment_fixed_size: 0
    .sgpr_count:     4
    .sgpr_spill_count: 0
    .symbol:         _ZN7rocprim17ROCPRIM_400000_NS6detail17trampoline_kernelINS0_14default_configENS1_25partition_config_selectorILNS1_17partition_subalgoE0EsNS0_10empty_typeEbEEZZNS1_14partition_implILS5_0ELb0ES3_jN6thrust23THRUST_200600_302600_NS6detail15normal_iteratorINSA_10device_ptrIsEEEEPS6_SG_NS0_5tupleIJSF_NSA_16discard_iteratorINSA_11use_defaultEEEEEENSH_IJSG_SG_EEES6_PlJ7is_evenIsEEEE10hipError_tPvRmT3_T4_T5_T6_T7_T9_mT8_P12ihipStream_tbDpT10_ENKUlT_T0_E_clISt17integral_constantIbLb0EES19_EEDaS14_S15_EUlS14_E_NS1_11comp_targetILNS1_3genE2ELNS1_11target_archE906ELNS1_3gpuE6ELNS1_3repE0EEENS1_30default_config_static_selectorELNS0_4arch9wavefront6targetE1EEEvT1_.kd
    .uniform_work_group_size: 1
    .uses_dynamic_stack: false
    .vgpr_count:     0
    .vgpr_spill_count: 0
    .wavefront_size: 64
  - .agpr_count:     0
    .args:
      - .offset:         0
        .size:           128
        .value_kind:     by_value
    .group_segment_fixed_size: 0
    .kernarg_segment_align: 8
    .kernarg_segment_size: 128
    .language:       OpenCL C
    .language_version:
      - 2
      - 0
    .max_flat_workgroup_size: 384
    .name:           _ZN7rocprim17ROCPRIM_400000_NS6detail17trampoline_kernelINS0_14default_configENS1_25partition_config_selectorILNS1_17partition_subalgoE0EsNS0_10empty_typeEbEEZZNS1_14partition_implILS5_0ELb0ES3_jN6thrust23THRUST_200600_302600_NS6detail15normal_iteratorINSA_10device_ptrIsEEEEPS6_SG_NS0_5tupleIJSF_NSA_16discard_iteratorINSA_11use_defaultEEEEEENSH_IJSG_SG_EEES6_PlJ7is_evenIsEEEE10hipError_tPvRmT3_T4_T5_T6_T7_T9_mT8_P12ihipStream_tbDpT10_ENKUlT_T0_E_clISt17integral_constantIbLb0EES19_EEDaS14_S15_EUlS14_E_NS1_11comp_targetILNS1_3genE10ELNS1_11target_archE1200ELNS1_3gpuE4ELNS1_3repE0EEENS1_30default_config_static_selectorELNS0_4arch9wavefront6targetE1EEEvT1_
    .private_segment_fixed_size: 0
    .sgpr_count:     4
    .sgpr_spill_count: 0
    .symbol:         _ZN7rocprim17ROCPRIM_400000_NS6detail17trampoline_kernelINS0_14default_configENS1_25partition_config_selectorILNS1_17partition_subalgoE0EsNS0_10empty_typeEbEEZZNS1_14partition_implILS5_0ELb0ES3_jN6thrust23THRUST_200600_302600_NS6detail15normal_iteratorINSA_10device_ptrIsEEEEPS6_SG_NS0_5tupleIJSF_NSA_16discard_iteratorINSA_11use_defaultEEEEEENSH_IJSG_SG_EEES6_PlJ7is_evenIsEEEE10hipError_tPvRmT3_T4_T5_T6_T7_T9_mT8_P12ihipStream_tbDpT10_ENKUlT_T0_E_clISt17integral_constantIbLb0EES19_EEDaS14_S15_EUlS14_E_NS1_11comp_targetILNS1_3genE10ELNS1_11target_archE1200ELNS1_3gpuE4ELNS1_3repE0EEENS1_30default_config_static_selectorELNS0_4arch9wavefront6targetE1EEEvT1_.kd
    .uniform_work_group_size: 1
    .uses_dynamic_stack: false
    .vgpr_count:     0
    .vgpr_spill_count: 0
    .wavefront_size: 64
  - .agpr_count:     0
    .args:
      - .offset:         0
        .size:           128
        .value_kind:     by_value
    .group_segment_fixed_size: 0
    .kernarg_segment_align: 8
    .kernarg_segment_size: 128
    .language:       OpenCL C
    .language_version:
      - 2
      - 0
    .max_flat_workgroup_size: 128
    .name:           _ZN7rocprim17ROCPRIM_400000_NS6detail17trampoline_kernelINS0_14default_configENS1_25partition_config_selectorILNS1_17partition_subalgoE0EsNS0_10empty_typeEbEEZZNS1_14partition_implILS5_0ELb0ES3_jN6thrust23THRUST_200600_302600_NS6detail15normal_iteratorINSA_10device_ptrIsEEEEPS6_SG_NS0_5tupleIJSF_NSA_16discard_iteratorINSA_11use_defaultEEEEEENSH_IJSG_SG_EEES6_PlJ7is_evenIsEEEE10hipError_tPvRmT3_T4_T5_T6_T7_T9_mT8_P12ihipStream_tbDpT10_ENKUlT_T0_E_clISt17integral_constantIbLb0EES19_EEDaS14_S15_EUlS14_E_NS1_11comp_targetILNS1_3genE9ELNS1_11target_archE1100ELNS1_3gpuE3ELNS1_3repE0EEENS1_30default_config_static_selectorELNS0_4arch9wavefront6targetE1EEEvT1_
    .private_segment_fixed_size: 0
    .sgpr_count:     4
    .sgpr_spill_count: 0
    .symbol:         _ZN7rocprim17ROCPRIM_400000_NS6detail17trampoline_kernelINS0_14default_configENS1_25partition_config_selectorILNS1_17partition_subalgoE0EsNS0_10empty_typeEbEEZZNS1_14partition_implILS5_0ELb0ES3_jN6thrust23THRUST_200600_302600_NS6detail15normal_iteratorINSA_10device_ptrIsEEEEPS6_SG_NS0_5tupleIJSF_NSA_16discard_iteratorINSA_11use_defaultEEEEEENSH_IJSG_SG_EEES6_PlJ7is_evenIsEEEE10hipError_tPvRmT3_T4_T5_T6_T7_T9_mT8_P12ihipStream_tbDpT10_ENKUlT_T0_E_clISt17integral_constantIbLb0EES19_EEDaS14_S15_EUlS14_E_NS1_11comp_targetILNS1_3genE9ELNS1_11target_archE1100ELNS1_3gpuE3ELNS1_3repE0EEENS1_30default_config_static_selectorELNS0_4arch9wavefront6targetE1EEEvT1_.kd
    .uniform_work_group_size: 1
    .uses_dynamic_stack: false
    .vgpr_count:     0
    .vgpr_spill_count: 0
    .wavefront_size: 64
  - .agpr_count:     0
    .args:
      - .offset:         0
        .size:           128
        .value_kind:     by_value
    .group_segment_fixed_size: 0
    .kernarg_segment_align: 8
    .kernarg_segment_size: 128
    .language:       OpenCL C
    .language_version:
      - 2
      - 0
    .max_flat_workgroup_size: 128
    .name:           _ZN7rocprim17ROCPRIM_400000_NS6detail17trampoline_kernelINS0_14default_configENS1_25partition_config_selectorILNS1_17partition_subalgoE0EsNS0_10empty_typeEbEEZZNS1_14partition_implILS5_0ELb0ES3_jN6thrust23THRUST_200600_302600_NS6detail15normal_iteratorINSA_10device_ptrIsEEEEPS6_SG_NS0_5tupleIJSF_NSA_16discard_iteratorINSA_11use_defaultEEEEEENSH_IJSG_SG_EEES6_PlJ7is_evenIsEEEE10hipError_tPvRmT3_T4_T5_T6_T7_T9_mT8_P12ihipStream_tbDpT10_ENKUlT_T0_E_clISt17integral_constantIbLb0EES19_EEDaS14_S15_EUlS14_E_NS1_11comp_targetILNS1_3genE8ELNS1_11target_archE1030ELNS1_3gpuE2ELNS1_3repE0EEENS1_30default_config_static_selectorELNS0_4arch9wavefront6targetE1EEEvT1_
    .private_segment_fixed_size: 0
    .sgpr_count:     4
    .sgpr_spill_count: 0
    .symbol:         _ZN7rocprim17ROCPRIM_400000_NS6detail17trampoline_kernelINS0_14default_configENS1_25partition_config_selectorILNS1_17partition_subalgoE0EsNS0_10empty_typeEbEEZZNS1_14partition_implILS5_0ELb0ES3_jN6thrust23THRUST_200600_302600_NS6detail15normal_iteratorINSA_10device_ptrIsEEEEPS6_SG_NS0_5tupleIJSF_NSA_16discard_iteratorINSA_11use_defaultEEEEEENSH_IJSG_SG_EEES6_PlJ7is_evenIsEEEE10hipError_tPvRmT3_T4_T5_T6_T7_T9_mT8_P12ihipStream_tbDpT10_ENKUlT_T0_E_clISt17integral_constantIbLb0EES19_EEDaS14_S15_EUlS14_E_NS1_11comp_targetILNS1_3genE8ELNS1_11target_archE1030ELNS1_3gpuE2ELNS1_3repE0EEENS1_30default_config_static_selectorELNS0_4arch9wavefront6targetE1EEEvT1_.kd
    .uniform_work_group_size: 1
    .uses_dynamic_stack: false
    .vgpr_count:     0
    .vgpr_spill_count: 0
    .wavefront_size: 64
  - .agpr_count:     0
    .args:
      - .offset:         0
        .size:           144
        .value_kind:     by_value
    .group_segment_fixed_size: 0
    .kernarg_segment_align: 8
    .kernarg_segment_size: 144
    .language:       OpenCL C
    .language_version:
      - 2
      - 0
    .max_flat_workgroup_size: 256
    .name:           _ZN7rocprim17ROCPRIM_400000_NS6detail17trampoline_kernelINS0_14default_configENS1_25partition_config_selectorILNS1_17partition_subalgoE0EsNS0_10empty_typeEbEEZZNS1_14partition_implILS5_0ELb0ES3_jN6thrust23THRUST_200600_302600_NS6detail15normal_iteratorINSA_10device_ptrIsEEEEPS6_SG_NS0_5tupleIJSF_NSA_16discard_iteratorINSA_11use_defaultEEEEEENSH_IJSG_SG_EEES6_PlJ7is_evenIsEEEE10hipError_tPvRmT3_T4_T5_T6_T7_T9_mT8_P12ihipStream_tbDpT10_ENKUlT_T0_E_clISt17integral_constantIbLb1EES19_EEDaS14_S15_EUlS14_E_NS1_11comp_targetILNS1_3genE0ELNS1_11target_archE4294967295ELNS1_3gpuE0ELNS1_3repE0EEENS1_30default_config_static_selectorELNS0_4arch9wavefront6targetE1EEEvT1_
    .private_segment_fixed_size: 0
    .sgpr_count:     4
    .sgpr_spill_count: 0
    .symbol:         _ZN7rocprim17ROCPRIM_400000_NS6detail17trampoline_kernelINS0_14default_configENS1_25partition_config_selectorILNS1_17partition_subalgoE0EsNS0_10empty_typeEbEEZZNS1_14partition_implILS5_0ELb0ES3_jN6thrust23THRUST_200600_302600_NS6detail15normal_iteratorINSA_10device_ptrIsEEEEPS6_SG_NS0_5tupleIJSF_NSA_16discard_iteratorINSA_11use_defaultEEEEEENSH_IJSG_SG_EEES6_PlJ7is_evenIsEEEE10hipError_tPvRmT3_T4_T5_T6_T7_T9_mT8_P12ihipStream_tbDpT10_ENKUlT_T0_E_clISt17integral_constantIbLb1EES19_EEDaS14_S15_EUlS14_E_NS1_11comp_targetILNS1_3genE0ELNS1_11target_archE4294967295ELNS1_3gpuE0ELNS1_3repE0EEENS1_30default_config_static_selectorELNS0_4arch9wavefront6targetE1EEEvT1_.kd
    .uniform_work_group_size: 1
    .uses_dynamic_stack: false
    .vgpr_count:     0
    .vgpr_spill_count: 0
    .wavefront_size: 64
  - .agpr_count:     0
    .args:
      - .offset:         0
        .size:           144
        .value_kind:     by_value
    .group_segment_fixed_size: 0
    .kernarg_segment_align: 8
    .kernarg_segment_size: 144
    .language:       OpenCL C
    .language_version:
      - 2
      - 0
    .max_flat_workgroup_size: 512
    .name:           _ZN7rocprim17ROCPRIM_400000_NS6detail17trampoline_kernelINS0_14default_configENS1_25partition_config_selectorILNS1_17partition_subalgoE0EsNS0_10empty_typeEbEEZZNS1_14partition_implILS5_0ELb0ES3_jN6thrust23THRUST_200600_302600_NS6detail15normal_iteratorINSA_10device_ptrIsEEEEPS6_SG_NS0_5tupleIJSF_NSA_16discard_iteratorINSA_11use_defaultEEEEEENSH_IJSG_SG_EEES6_PlJ7is_evenIsEEEE10hipError_tPvRmT3_T4_T5_T6_T7_T9_mT8_P12ihipStream_tbDpT10_ENKUlT_T0_E_clISt17integral_constantIbLb1EES19_EEDaS14_S15_EUlS14_E_NS1_11comp_targetILNS1_3genE5ELNS1_11target_archE942ELNS1_3gpuE9ELNS1_3repE0EEENS1_30default_config_static_selectorELNS0_4arch9wavefront6targetE1EEEvT1_
    .private_segment_fixed_size: 0
    .sgpr_count:     4
    .sgpr_spill_count: 0
    .symbol:         _ZN7rocprim17ROCPRIM_400000_NS6detail17trampoline_kernelINS0_14default_configENS1_25partition_config_selectorILNS1_17partition_subalgoE0EsNS0_10empty_typeEbEEZZNS1_14partition_implILS5_0ELb0ES3_jN6thrust23THRUST_200600_302600_NS6detail15normal_iteratorINSA_10device_ptrIsEEEEPS6_SG_NS0_5tupleIJSF_NSA_16discard_iteratorINSA_11use_defaultEEEEEENSH_IJSG_SG_EEES6_PlJ7is_evenIsEEEE10hipError_tPvRmT3_T4_T5_T6_T7_T9_mT8_P12ihipStream_tbDpT10_ENKUlT_T0_E_clISt17integral_constantIbLb1EES19_EEDaS14_S15_EUlS14_E_NS1_11comp_targetILNS1_3genE5ELNS1_11target_archE942ELNS1_3gpuE9ELNS1_3repE0EEENS1_30default_config_static_selectorELNS0_4arch9wavefront6targetE1EEEvT1_.kd
    .uniform_work_group_size: 1
    .uses_dynamic_stack: false
    .vgpr_count:     0
    .vgpr_spill_count: 0
    .wavefront_size: 64
  - .agpr_count:     0
    .args:
      - .offset:         0
        .size:           144
        .value_kind:     by_value
    .group_segment_fixed_size: 14344
    .kernarg_segment_align: 8
    .kernarg_segment_size: 144
    .language:       OpenCL C
    .language_version:
      - 2
      - 0
    .max_flat_workgroup_size: 256
    .name:           _ZN7rocprim17ROCPRIM_400000_NS6detail17trampoline_kernelINS0_14default_configENS1_25partition_config_selectorILNS1_17partition_subalgoE0EsNS0_10empty_typeEbEEZZNS1_14partition_implILS5_0ELb0ES3_jN6thrust23THRUST_200600_302600_NS6detail15normal_iteratorINSA_10device_ptrIsEEEEPS6_SG_NS0_5tupleIJSF_NSA_16discard_iteratorINSA_11use_defaultEEEEEENSH_IJSG_SG_EEES6_PlJ7is_evenIsEEEE10hipError_tPvRmT3_T4_T5_T6_T7_T9_mT8_P12ihipStream_tbDpT10_ENKUlT_T0_E_clISt17integral_constantIbLb1EES19_EEDaS14_S15_EUlS14_E_NS1_11comp_targetILNS1_3genE4ELNS1_11target_archE910ELNS1_3gpuE8ELNS1_3repE0EEENS1_30default_config_static_selectorELNS0_4arch9wavefront6targetE1EEEvT1_
    .private_segment_fixed_size: 0
    .sgpr_count:     44
    .sgpr_spill_count: 0
    .symbol:         _ZN7rocprim17ROCPRIM_400000_NS6detail17trampoline_kernelINS0_14default_configENS1_25partition_config_selectorILNS1_17partition_subalgoE0EsNS0_10empty_typeEbEEZZNS1_14partition_implILS5_0ELb0ES3_jN6thrust23THRUST_200600_302600_NS6detail15normal_iteratorINSA_10device_ptrIsEEEEPS6_SG_NS0_5tupleIJSF_NSA_16discard_iteratorINSA_11use_defaultEEEEEENSH_IJSG_SG_EEES6_PlJ7is_evenIsEEEE10hipError_tPvRmT3_T4_T5_T6_T7_T9_mT8_P12ihipStream_tbDpT10_ENKUlT_T0_E_clISt17integral_constantIbLb1EES19_EEDaS14_S15_EUlS14_E_NS1_11comp_targetILNS1_3genE4ELNS1_11target_archE910ELNS1_3gpuE8ELNS1_3repE0EEENS1_30default_config_static_selectorELNS0_4arch9wavefront6targetE1EEEvT1_.kd
    .uniform_work_group_size: 1
    .uses_dynamic_stack: false
    .vgpr_count:     116
    .vgpr_spill_count: 0
    .wavefront_size: 64
  - .agpr_count:     0
    .args:
      - .offset:         0
        .size:           144
        .value_kind:     by_value
    .group_segment_fixed_size: 0
    .kernarg_segment_align: 8
    .kernarg_segment_size: 144
    .language:       OpenCL C
    .language_version:
      - 2
      - 0
    .max_flat_workgroup_size: 256
    .name:           _ZN7rocprim17ROCPRIM_400000_NS6detail17trampoline_kernelINS0_14default_configENS1_25partition_config_selectorILNS1_17partition_subalgoE0EsNS0_10empty_typeEbEEZZNS1_14partition_implILS5_0ELb0ES3_jN6thrust23THRUST_200600_302600_NS6detail15normal_iteratorINSA_10device_ptrIsEEEEPS6_SG_NS0_5tupleIJSF_NSA_16discard_iteratorINSA_11use_defaultEEEEEENSH_IJSG_SG_EEES6_PlJ7is_evenIsEEEE10hipError_tPvRmT3_T4_T5_T6_T7_T9_mT8_P12ihipStream_tbDpT10_ENKUlT_T0_E_clISt17integral_constantIbLb1EES19_EEDaS14_S15_EUlS14_E_NS1_11comp_targetILNS1_3genE3ELNS1_11target_archE908ELNS1_3gpuE7ELNS1_3repE0EEENS1_30default_config_static_selectorELNS0_4arch9wavefront6targetE1EEEvT1_
    .private_segment_fixed_size: 0
    .sgpr_count:     4
    .sgpr_spill_count: 0
    .symbol:         _ZN7rocprim17ROCPRIM_400000_NS6detail17trampoline_kernelINS0_14default_configENS1_25partition_config_selectorILNS1_17partition_subalgoE0EsNS0_10empty_typeEbEEZZNS1_14partition_implILS5_0ELb0ES3_jN6thrust23THRUST_200600_302600_NS6detail15normal_iteratorINSA_10device_ptrIsEEEEPS6_SG_NS0_5tupleIJSF_NSA_16discard_iteratorINSA_11use_defaultEEEEEENSH_IJSG_SG_EEES6_PlJ7is_evenIsEEEE10hipError_tPvRmT3_T4_T5_T6_T7_T9_mT8_P12ihipStream_tbDpT10_ENKUlT_T0_E_clISt17integral_constantIbLb1EES19_EEDaS14_S15_EUlS14_E_NS1_11comp_targetILNS1_3genE3ELNS1_11target_archE908ELNS1_3gpuE7ELNS1_3repE0EEENS1_30default_config_static_selectorELNS0_4arch9wavefront6targetE1EEEvT1_.kd
    .uniform_work_group_size: 1
    .uses_dynamic_stack: false
    .vgpr_count:     0
    .vgpr_spill_count: 0
    .wavefront_size: 64
  - .agpr_count:     0
    .args:
      - .offset:         0
        .size:           144
        .value_kind:     by_value
    .group_segment_fixed_size: 0
    .kernarg_segment_align: 8
    .kernarg_segment_size: 144
    .language:       OpenCL C
    .language_version:
      - 2
      - 0
    .max_flat_workgroup_size: 256
    .name:           _ZN7rocprim17ROCPRIM_400000_NS6detail17trampoline_kernelINS0_14default_configENS1_25partition_config_selectorILNS1_17partition_subalgoE0EsNS0_10empty_typeEbEEZZNS1_14partition_implILS5_0ELb0ES3_jN6thrust23THRUST_200600_302600_NS6detail15normal_iteratorINSA_10device_ptrIsEEEEPS6_SG_NS0_5tupleIJSF_NSA_16discard_iteratorINSA_11use_defaultEEEEEENSH_IJSG_SG_EEES6_PlJ7is_evenIsEEEE10hipError_tPvRmT3_T4_T5_T6_T7_T9_mT8_P12ihipStream_tbDpT10_ENKUlT_T0_E_clISt17integral_constantIbLb1EES19_EEDaS14_S15_EUlS14_E_NS1_11comp_targetILNS1_3genE2ELNS1_11target_archE906ELNS1_3gpuE6ELNS1_3repE0EEENS1_30default_config_static_selectorELNS0_4arch9wavefront6targetE1EEEvT1_
    .private_segment_fixed_size: 0
    .sgpr_count:     4
    .sgpr_spill_count: 0
    .symbol:         _ZN7rocprim17ROCPRIM_400000_NS6detail17trampoline_kernelINS0_14default_configENS1_25partition_config_selectorILNS1_17partition_subalgoE0EsNS0_10empty_typeEbEEZZNS1_14partition_implILS5_0ELb0ES3_jN6thrust23THRUST_200600_302600_NS6detail15normal_iteratorINSA_10device_ptrIsEEEEPS6_SG_NS0_5tupleIJSF_NSA_16discard_iteratorINSA_11use_defaultEEEEEENSH_IJSG_SG_EEES6_PlJ7is_evenIsEEEE10hipError_tPvRmT3_T4_T5_T6_T7_T9_mT8_P12ihipStream_tbDpT10_ENKUlT_T0_E_clISt17integral_constantIbLb1EES19_EEDaS14_S15_EUlS14_E_NS1_11comp_targetILNS1_3genE2ELNS1_11target_archE906ELNS1_3gpuE6ELNS1_3repE0EEENS1_30default_config_static_selectorELNS0_4arch9wavefront6targetE1EEEvT1_.kd
    .uniform_work_group_size: 1
    .uses_dynamic_stack: false
    .vgpr_count:     0
    .vgpr_spill_count: 0
    .wavefront_size: 64
  - .agpr_count:     0
    .args:
      - .offset:         0
        .size:           144
        .value_kind:     by_value
    .group_segment_fixed_size: 0
    .kernarg_segment_align: 8
    .kernarg_segment_size: 144
    .language:       OpenCL C
    .language_version:
      - 2
      - 0
    .max_flat_workgroup_size: 384
    .name:           _ZN7rocprim17ROCPRIM_400000_NS6detail17trampoline_kernelINS0_14default_configENS1_25partition_config_selectorILNS1_17partition_subalgoE0EsNS0_10empty_typeEbEEZZNS1_14partition_implILS5_0ELb0ES3_jN6thrust23THRUST_200600_302600_NS6detail15normal_iteratorINSA_10device_ptrIsEEEEPS6_SG_NS0_5tupleIJSF_NSA_16discard_iteratorINSA_11use_defaultEEEEEENSH_IJSG_SG_EEES6_PlJ7is_evenIsEEEE10hipError_tPvRmT3_T4_T5_T6_T7_T9_mT8_P12ihipStream_tbDpT10_ENKUlT_T0_E_clISt17integral_constantIbLb1EES19_EEDaS14_S15_EUlS14_E_NS1_11comp_targetILNS1_3genE10ELNS1_11target_archE1200ELNS1_3gpuE4ELNS1_3repE0EEENS1_30default_config_static_selectorELNS0_4arch9wavefront6targetE1EEEvT1_
    .private_segment_fixed_size: 0
    .sgpr_count:     4
    .sgpr_spill_count: 0
    .symbol:         _ZN7rocprim17ROCPRIM_400000_NS6detail17trampoline_kernelINS0_14default_configENS1_25partition_config_selectorILNS1_17partition_subalgoE0EsNS0_10empty_typeEbEEZZNS1_14partition_implILS5_0ELb0ES3_jN6thrust23THRUST_200600_302600_NS6detail15normal_iteratorINSA_10device_ptrIsEEEEPS6_SG_NS0_5tupleIJSF_NSA_16discard_iteratorINSA_11use_defaultEEEEEENSH_IJSG_SG_EEES6_PlJ7is_evenIsEEEE10hipError_tPvRmT3_T4_T5_T6_T7_T9_mT8_P12ihipStream_tbDpT10_ENKUlT_T0_E_clISt17integral_constantIbLb1EES19_EEDaS14_S15_EUlS14_E_NS1_11comp_targetILNS1_3genE10ELNS1_11target_archE1200ELNS1_3gpuE4ELNS1_3repE0EEENS1_30default_config_static_selectorELNS0_4arch9wavefront6targetE1EEEvT1_.kd
    .uniform_work_group_size: 1
    .uses_dynamic_stack: false
    .vgpr_count:     0
    .vgpr_spill_count: 0
    .wavefront_size: 64
  - .agpr_count:     0
    .args:
      - .offset:         0
        .size:           144
        .value_kind:     by_value
    .group_segment_fixed_size: 0
    .kernarg_segment_align: 8
    .kernarg_segment_size: 144
    .language:       OpenCL C
    .language_version:
      - 2
      - 0
    .max_flat_workgroup_size: 128
    .name:           _ZN7rocprim17ROCPRIM_400000_NS6detail17trampoline_kernelINS0_14default_configENS1_25partition_config_selectorILNS1_17partition_subalgoE0EsNS0_10empty_typeEbEEZZNS1_14partition_implILS5_0ELb0ES3_jN6thrust23THRUST_200600_302600_NS6detail15normal_iteratorINSA_10device_ptrIsEEEEPS6_SG_NS0_5tupleIJSF_NSA_16discard_iteratorINSA_11use_defaultEEEEEENSH_IJSG_SG_EEES6_PlJ7is_evenIsEEEE10hipError_tPvRmT3_T4_T5_T6_T7_T9_mT8_P12ihipStream_tbDpT10_ENKUlT_T0_E_clISt17integral_constantIbLb1EES19_EEDaS14_S15_EUlS14_E_NS1_11comp_targetILNS1_3genE9ELNS1_11target_archE1100ELNS1_3gpuE3ELNS1_3repE0EEENS1_30default_config_static_selectorELNS0_4arch9wavefront6targetE1EEEvT1_
    .private_segment_fixed_size: 0
    .sgpr_count:     4
    .sgpr_spill_count: 0
    .symbol:         _ZN7rocprim17ROCPRIM_400000_NS6detail17trampoline_kernelINS0_14default_configENS1_25partition_config_selectorILNS1_17partition_subalgoE0EsNS0_10empty_typeEbEEZZNS1_14partition_implILS5_0ELb0ES3_jN6thrust23THRUST_200600_302600_NS6detail15normal_iteratorINSA_10device_ptrIsEEEEPS6_SG_NS0_5tupleIJSF_NSA_16discard_iteratorINSA_11use_defaultEEEEEENSH_IJSG_SG_EEES6_PlJ7is_evenIsEEEE10hipError_tPvRmT3_T4_T5_T6_T7_T9_mT8_P12ihipStream_tbDpT10_ENKUlT_T0_E_clISt17integral_constantIbLb1EES19_EEDaS14_S15_EUlS14_E_NS1_11comp_targetILNS1_3genE9ELNS1_11target_archE1100ELNS1_3gpuE3ELNS1_3repE0EEENS1_30default_config_static_selectorELNS0_4arch9wavefront6targetE1EEEvT1_.kd
    .uniform_work_group_size: 1
    .uses_dynamic_stack: false
    .vgpr_count:     0
    .vgpr_spill_count: 0
    .wavefront_size: 64
  - .agpr_count:     0
    .args:
      - .offset:         0
        .size:           144
        .value_kind:     by_value
    .group_segment_fixed_size: 0
    .kernarg_segment_align: 8
    .kernarg_segment_size: 144
    .language:       OpenCL C
    .language_version:
      - 2
      - 0
    .max_flat_workgroup_size: 128
    .name:           _ZN7rocprim17ROCPRIM_400000_NS6detail17trampoline_kernelINS0_14default_configENS1_25partition_config_selectorILNS1_17partition_subalgoE0EsNS0_10empty_typeEbEEZZNS1_14partition_implILS5_0ELb0ES3_jN6thrust23THRUST_200600_302600_NS6detail15normal_iteratorINSA_10device_ptrIsEEEEPS6_SG_NS0_5tupleIJSF_NSA_16discard_iteratorINSA_11use_defaultEEEEEENSH_IJSG_SG_EEES6_PlJ7is_evenIsEEEE10hipError_tPvRmT3_T4_T5_T6_T7_T9_mT8_P12ihipStream_tbDpT10_ENKUlT_T0_E_clISt17integral_constantIbLb1EES19_EEDaS14_S15_EUlS14_E_NS1_11comp_targetILNS1_3genE8ELNS1_11target_archE1030ELNS1_3gpuE2ELNS1_3repE0EEENS1_30default_config_static_selectorELNS0_4arch9wavefront6targetE1EEEvT1_
    .private_segment_fixed_size: 0
    .sgpr_count:     4
    .sgpr_spill_count: 0
    .symbol:         _ZN7rocprim17ROCPRIM_400000_NS6detail17trampoline_kernelINS0_14default_configENS1_25partition_config_selectorILNS1_17partition_subalgoE0EsNS0_10empty_typeEbEEZZNS1_14partition_implILS5_0ELb0ES3_jN6thrust23THRUST_200600_302600_NS6detail15normal_iteratorINSA_10device_ptrIsEEEEPS6_SG_NS0_5tupleIJSF_NSA_16discard_iteratorINSA_11use_defaultEEEEEENSH_IJSG_SG_EEES6_PlJ7is_evenIsEEEE10hipError_tPvRmT3_T4_T5_T6_T7_T9_mT8_P12ihipStream_tbDpT10_ENKUlT_T0_E_clISt17integral_constantIbLb1EES19_EEDaS14_S15_EUlS14_E_NS1_11comp_targetILNS1_3genE8ELNS1_11target_archE1030ELNS1_3gpuE2ELNS1_3repE0EEENS1_30default_config_static_selectorELNS0_4arch9wavefront6targetE1EEEvT1_.kd
    .uniform_work_group_size: 1
    .uses_dynamic_stack: false
    .vgpr_count:     0
    .vgpr_spill_count: 0
    .wavefront_size: 64
  - .agpr_count:     0
    .args:
      - .offset:         0
        .size:           128
        .value_kind:     by_value
    .group_segment_fixed_size: 0
    .kernarg_segment_align: 8
    .kernarg_segment_size: 128
    .language:       OpenCL C
    .language_version:
      - 2
      - 0
    .max_flat_workgroup_size: 256
    .name:           _ZN7rocprim17ROCPRIM_400000_NS6detail17trampoline_kernelINS0_14default_configENS1_25partition_config_selectorILNS1_17partition_subalgoE0EsNS0_10empty_typeEbEEZZNS1_14partition_implILS5_0ELb0ES3_jN6thrust23THRUST_200600_302600_NS6detail15normal_iteratorINSA_10device_ptrIsEEEEPS6_SG_NS0_5tupleIJSF_NSA_16discard_iteratorINSA_11use_defaultEEEEEENSH_IJSG_SG_EEES6_PlJ7is_evenIsEEEE10hipError_tPvRmT3_T4_T5_T6_T7_T9_mT8_P12ihipStream_tbDpT10_ENKUlT_T0_E_clISt17integral_constantIbLb1EES18_IbLb0EEEEDaS14_S15_EUlS14_E_NS1_11comp_targetILNS1_3genE0ELNS1_11target_archE4294967295ELNS1_3gpuE0ELNS1_3repE0EEENS1_30default_config_static_selectorELNS0_4arch9wavefront6targetE1EEEvT1_
    .private_segment_fixed_size: 0
    .sgpr_count:     4
    .sgpr_spill_count: 0
    .symbol:         _ZN7rocprim17ROCPRIM_400000_NS6detail17trampoline_kernelINS0_14default_configENS1_25partition_config_selectorILNS1_17partition_subalgoE0EsNS0_10empty_typeEbEEZZNS1_14partition_implILS5_0ELb0ES3_jN6thrust23THRUST_200600_302600_NS6detail15normal_iteratorINSA_10device_ptrIsEEEEPS6_SG_NS0_5tupleIJSF_NSA_16discard_iteratorINSA_11use_defaultEEEEEENSH_IJSG_SG_EEES6_PlJ7is_evenIsEEEE10hipError_tPvRmT3_T4_T5_T6_T7_T9_mT8_P12ihipStream_tbDpT10_ENKUlT_T0_E_clISt17integral_constantIbLb1EES18_IbLb0EEEEDaS14_S15_EUlS14_E_NS1_11comp_targetILNS1_3genE0ELNS1_11target_archE4294967295ELNS1_3gpuE0ELNS1_3repE0EEENS1_30default_config_static_selectorELNS0_4arch9wavefront6targetE1EEEvT1_.kd
    .uniform_work_group_size: 1
    .uses_dynamic_stack: false
    .vgpr_count:     0
    .vgpr_spill_count: 0
    .wavefront_size: 64
  - .agpr_count:     0
    .args:
      - .offset:         0
        .size:           128
        .value_kind:     by_value
    .group_segment_fixed_size: 0
    .kernarg_segment_align: 8
    .kernarg_segment_size: 128
    .language:       OpenCL C
    .language_version:
      - 2
      - 0
    .max_flat_workgroup_size: 512
    .name:           _ZN7rocprim17ROCPRIM_400000_NS6detail17trampoline_kernelINS0_14default_configENS1_25partition_config_selectorILNS1_17partition_subalgoE0EsNS0_10empty_typeEbEEZZNS1_14partition_implILS5_0ELb0ES3_jN6thrust23THRUST_200600_302600_NS6detail15normal_iteratorINSA_10device_ptrIsEEEEPS6_SG_NS0_5tupleIJSF_NSA_16discard_iteratorINSA_11use_defaultEEEEEENSH_IJSG_SG_EEES6_PlJ7is_evenIsEEEE10hipError_tPvRmT3_T4_T5_T6_T7_T9_mT8_P12ihipStream_tbDpT10_ENKUlT_T0_E_clISt17integral_constantIbLb1EES18_IbLb0EEEEDaS14_S15_EUlS14_E_NS1_11comp_targetILNS1_3genE5ELNS1_11target_archE942ELNS1_3gpuE9ELNS1_3repE0EEENS1_30default_config_static_selectorELNS0_4arch9wavefront6targetE1EEEvT1_
    .private_segment_fixed_size: 0
    .sgpr_count:     4
    .sgpr_spill_count: 0
    .symbol:         _ZN7rocprim17ROCPRIM_400000_NS6detail17trampoline_kernelINS0_14default_configENS1_25partition_config_selectorILNS1_17partition_subalgoE0EsNS0_10empty_typeEbEEZZNS1_14partition_implILS5_0ELb0ES3_jN6thrust23THRUST_200600_302600_NS6detail15normal_iteratorINSA_10device_ptrIsEEEEPS6_SG_NS0_5tupleIJSF_NSA_16discard_iteratorINSA_11use_defaultEEEEEENSH_IJSG_SG_EEES6_PlJ7is_evenIsEEEE10hipError_tPvRmT3_T4_T5_T6_T7_T9_mT8_P12ihipStream_tbDpT10_ENKUlT_T0_E_clISt17integral_constantIbLb1EES18_IbLb0EEEEDaS14_S15_EUlS14_E_NS1_11comp_targetILNS1_3genE5ELNS1_11target_archE942ELNS1_3gpuE9ELNS1_3repE0EEENS1_30default_config_static_selectorELNS0_4arch9wavefront6targetE1EEEvT1_.kd
    .uniform_work_group_size: 1
    .uses_dynamic_stack: false
    .vgpr_count:     0
    .vgpr_spill_count: 0
    .wavefront_size: 64
  - .agpr_count:     0
    .args:
      - .offset:         0
        .size:           128
        .value_kind:     by_value
    .group_segment_fixed_size: 14344
    .kernarg_segment_align: 8
    .kernarg_segment_size: 128
    .language:       OpenCL C
    .language_version:
      - 2
      - 0
    .max_flat_workgroup_size: 256
    .name:           _ZN7rocprim17ROCPRIM_400000_NS6detail17trampoline_kernelINS0_14default_configENS1_25partition_config_selectorILNS1_17partition_subalgoE0EsNS0_10empty_typeEbEEZZNS1_14partition_implILS5_0ELb0ES3_jN6thrust23THRUST_200600_302600_NS6detail15normal_iteratorINSA_10device_ptrIsEEEEPS6_SG_NS0_5tupleIJSF_NSA_16discard_iteratorINSA_11use_defaultEEEEEENSH_IJSG_SG_EEES6_PlJ7is_evenIsEEEE10hipError_tPvRmT3_T4_T5_T6_T7_T9_mT8_P12ihipStream_tbDpT10_ENKUlT_T0_E_clISt17integral_constantIbLb1EES18_IbLb0EEEEDaS14_S15_EUlS14_E_NS1_11comp_targetILNS1_3genE4ELNS1_11target_archE910ELNS1_3gpuE8ELNS1_3repE0EEENS1_30default_config_static_selectorELNS0_4arch9wavefront6targetE1EEEvT1_
    .private_segment_fixed_size: 0
    .sgpr_count:     44
    .sgpr_spill_count: 0
    .symbol:         _ZN7rocprim17ROCPRIM_400000_NS6detail17trampoline_kernelINS0_14default_configENS1_25partition_config_selectorILNS1_17partition_subalgoE0EsNS0_10empty_typeEbEEZZNS1_14partition_implILS5_0ELb0ES3_jN6thrust23THRUST_200600_302600_NS6detail15normal_iteratorINSA_10device_ptrIsEEEEPS6_SG_NS0_5tupleIJSF_NSA_16discard_iteratorINSA_11use_defaultEEEEEENSH_IJSG_SG_EEES6_PlJ7is_evenIsEEEE10hipError_tPvRmT3_T4_T5_T6_T7_T9_mT8_P12ihipStream_tbDpT10_ENKUlT_T0_E_clISt17integral_constantIbLb1EES18_IbLb0EEEEDaS14_S15_EUlS14_E_NS1_11comp_targetILNS1_3genE4ELNS1_11target_archE910ELNS1_3gpuE8ELNS1_3repE0EEENS1_30default_config_static_selectorELNS0_4arch9wavefront6targetE1EEEvT1_.kd
    .uniform_work_group_size: 1
    .uses_dynamic_stack: false
    .vgpr_count:     114
    .vgpr_spill_count: 0
    .wavefront_size: 64
  - .agpr_count:     0
    .args:
      - .offset:         0
        .size:           128
        .value_kind:     by_value
    .group_segment_fixed_size: 0
    .kernarg_segment_align: 8
    .kernarg_segment_size: 128
    .language:       OpenCL C
    .language_version:
      - 2
      - 0
    .max_flat_workgroup_size: 256
    .name:           _ZN7rocprim17ROCPRIM_400000_NS6detail17trampoline_kernelINS0_14default_configENS1_25partition_config_selectorILNS1_17partition_subalgoE0EsNS0_10empty_typeEbEEZZNS1_14partition_implILS5_0ELb0ES3_jN6thrust23THRUST_200600_302600_NS6detail15normal_iteratorINSA_10device_ptrIsEEEEPS6_SG_NS0_5tupleIJSF_NSA_16discard_iteratorINSA_11use_defaultEEEEEENSH_IJSG_SG_EEES6_PlJ7is_evenIsEEEE10hipError_tPvRmT3_T4_T5_T6_T7_T9_mT8_P12ihipStream_tbDpT10_ENKUlT_T0_E_clISt17integral_constantIbLb1EES18_IbLb0EEEEDaS14_S15_EUlS14_E_NS1_11comp_targetILNS1_3genE3ELNS1_11target_archE908ELNS1_3gpuE7ELNS1_3repE0EEENS1_30default_config_static_selectorELNS0_4arch9wavefront6targetE1EEEvT1_
    .private_segment_fixed_size: 0
    .sgpr_count:     4
    .sgpr_spill_count: 0
    .symbol:         _ZN7rocprim17ROCPRIM_400000_NS6detail17trampoline_kernelINS0_14default_configENS1_25partition_config_selectorILNS1_17partition_subalgoE0EsNS0_10empty_typeEbEEZZNS1_14partition_implILS5_0ELb0ES3_jN6thrust23THRUST_200600_302600_NS6detail15normal_iteratorINSA_10device_ptrIsEEEEPS6_SG_NS0_5tupleIJSF_NSA_16discard_iteratorINSA_11use_defaultEEEEEENSH_IJSG_SG_EEES6_PlJ7is_evenIsEEEE10hipError_tPvRmT3_T4_T5_T6_T7_T9_mT8_P12ihipStream_tbDpT10_ENKUlT_T0_E_clISt17integral_constantIbLb1EES18_IbLb0EEEEDaS14_S15_EUlS14_E_NS1_11comp_targetILNS1_3genE3ELNS1_11target_archE908ELNS1_3gpuE7ELNS1_3repE0EEENS1_30default_config_static_selectorELNS0_4arch9wavefront6targetE1EEEvT1_.kd
    .uniform_work_group_size: 1
    .uses_dynamic_stack: false
    .vgpr_count:     0
    .vgpr_spill_count: 0
    .wavefront_size: 64
  - .agpr_count:     0
    .args:
      - .offset:         0
        .size:           128
        .value_kind:     by_value
    .group_segment_fixed_size: 0
    .kernarg_segment_align: 8
    .kernarg_segment_size: 128
    .language:       OpenCL C
    .language_version:
      - 2
      - 0
    .max_flat_workgroup_size: 256
    .name:           _ZN7rocprim17ROCPRIM_400000_NS6detail17trampoline_kernelINS0_14default_configENS1_25partition_config_selectorILNS1_17partition_subalgoE0EsNS0_10empty_typeEbEEZZNS1_14partition_implILS5_0ELb0ES3_jN6thrust23THRUST_200600_302600_NS6detail15normal_iteratorINSA_10device_ptrIsEEEEPS6_SG_NS0_5tupleIJSF_NSA_16discard_iteratorINSA_11use_defaultEEEEEENSH_IJSG_SG_EEES6_PlJ7is_evenIsEEEE10hipError_tPvRmT3_T4_T5_T6_T7_T9_mT8_P12ihipStream_tbDpT10_ENKUlT_T0_E_clISt17integral_constantIbLb1EES18_IbLb0EEEEDaS14_S15_EUlS14_E_NS1_11comp_targetILNS1_3genE2ELNS1_11target_archE906ELNS1_3gpuE6ELNS1_3repE0EEENS1_30default_config_static_selectorELNS0_4arch9wavefront6targetE1EEEvT1_
    .private_segment_fixed_size: 0
    .sgpr_count:     4
    .sgpr_spill_count: 0
    .symbol:         _ZN7rocprim17ROCPRIM_400000_NS6detail17trampoline_kernelINS0_14default_configENS1_25partition_config_selectorILNS1_17partition_subalgoE0EsNS0_10empty_typeEbEEZZNS1_14partition_implILS5_0ELb0ES3_jN6thrust23THRUST_200600_302600_NS6detail15normal_iteratorINSA_10device_ptrIsEEEEPS6_SG_NS0_5tupleIJSF_NSA_16discard_iteratorINSA_11use_defaultEEEEEENSH_IJSG_SG_EEES6_PlJ7is_evenIsEEEE10hipError_tPvRmT3_T4_T5_T6_T7_T9_mT8_P12ihipStream_tbDpT10_ENKUlT_T0_E_clISt17integral_constantIbLb1EES18_IbLb0EEEEDaS14_S15_EUlS14_E_NS1_11comp_targetILNS1_3genE2ELNS1_11target_archE906ELNS1_3gpuE6ELNS1_3repE0EEENS1_30default_config_static_selectorELNS0_4arch9wavefront6targetE1EEEvT1_.kd
    .uniform_work_group_size: 1
    .uses_dynamic_stack: false
    .vgpr_count:     0
    .vgpr_spill_count: 0
    .wavefront_size: 64
  - .agpr_count:     0
    .args:
      - .offset:         0
        .size:           128
        .value_kind:     by_value
    .group_segment_fixed_size: 0
    .kernarg_segment_align: 8
    .kernarg_segment_size: 128
    .language:       OpenCL C
    .language_version:
      - 2
      - 0
    .max_flat_workgroup_size: 384
    .name:           _ZN7rocprim17ROCPRIM_400000_NS6detail17trampoline_kernelINS0_14default_configENS1_25partition_config_selectorILNS1_17partition_subalgoE0EsNS0_10empty_typeEbEEZZNS1_14partition_implILS5_0ELb0ES3_jN6thrust23THRUST_200600_302600_NS6detail15normal_iteratorINSA_10device_ptrIsEEEEPS6_SG_NS0_5tupleIJSF_NSA_16discard_iteratorINSA_11use_defaultEEEEEENSH_IJSG_SG_EEES6_PlJ7is_evenIsEEEE10hipError_tPvRmT3_T4_T5_T6_T7_T9_mT8_P12ihipStream_tbDpT10_ENKUlT_T0_E_clISt17integral_constantIbLb1EES18_IbLb0EEEEDaS14_S15_EUlS14_E_NS1_11comp_targetILNS1_3genE10ELNS1_11target_archE1200ELNS1_3gpuE4ELNS1_3repE0EEENS1_30default_config_static_selectorELNS0_4arch9wavefront6targetE1EEEvT1_
    .private_segment_fixed_size: 0
    .sgpr_count:     4
    .sgpr_spill_count: 0
    .symbol:         _ZN7rocprim17ROCPRIM_400000_NS6detail17trampoline_kernelINS0_14default_configENS1_25partition_config_selectorILNS1_17partition_subalgoE0EsNS0_10empty_typeEbEEZZNS1_14partition_implILS5_0ELb0ES3_jN6thrust23THRUST_200600_302600_NS6detail15normal_iteratorINSA_10device_ptrIsEEEEPS6_SG_NS0_5tupleIJSF_NSA_16discard_iteratorINSA_11use_defaultEEEEEENSH_IJSG_SG_EEES6_PlJ7is_evenIsEEEE10hipError_tPvRmT3_T4_T5_T6_T7_T9_mT8_P12ihipStream_tbDpT10_ENKUlT_T0_E_clISt17integral_constantIbLb1EES18_IbLb0EEEEDaS14_S15_EUlS14_E_NS1_11comp_targetILNS1_3genE10ELNS1_11target_archE1200ELNS1_3gpuE4ELNS1_3repE0EEENS1_30default_config_static_selectorELNS0_4arch9wavefront6targetE1EEEvT1_.kd
    .uniform_work_group_size: 1
    .uses_dynamic_stack: false
    .vgpr_count:     0
    .vgpr_spill_count: 0
    .wavefront_size: 64
  - .agpr_count:     0
    .args:
      - .offset:         0
        .size:           128
        .value_kind:     by_value
    .group_segment_fixed_size: 0
    .kernarg_segment_align: 8
    .kernarg_segment_size: 128
    .language:       OpenCL C
    .language_version:
      - 2
      - 0
    .max_flat_workgroup_size: 128
    .name:           _ZN7rocprim17ROCPRIM_400000_NS6detail17trampoline_kernelINS0_14default_configENS1_25partition_config_selectorILNS1_17partition_subalgoE0EsNS0_10empty_typeEbEEZZNS1_14partition_implILS5_0ELb0ES3_jN6thrust23THRUST_200600_302600_NS6detail15normal_iteratorINSA_10device_ptrIsEEEEPS6_SG_NS0_5tupleIJSF_NSA_16discard_iteratorINSA_11use_defaultEEEEEENSH_IJSG_SG_EEES6_PlJ7is_evenIsEEEE10hipError_tPvRmT3_T4_T5_T6_T7_T9_mT8_P12ihipStream_tbDpT10_ENKUlT_T0_E_clISt17integral_constantIbLb1EES18_IbLb0EEEEDaS14_S15_EUlS14_E_NS1_11comp_targetILNS1_3genE9ELNS1_11target_archE1100ELNS1_3gpuE3ELNS1_3repE0EEENS1_30default_config_static_selectorELNS0_4arch9wavefront6targetE1EEEvT1_
    .private_segment_fixed_size: 0
    .sgpr_count:     4
    .sgpr_spill_count: 0
    .symbol:         _ZN7rocprim17ROCPRIM_400000_NS6detail17trampoline_kernelINS0_14default_configENS1_25partition_config_selectorILNS1_17partition_subalgoE0EsNS0_10empty_typeEbEEZZNS1_14partition_implILS5_0ELb0ES3_jN6thrust23THRUST_200600_302600_NS6detail15normal_iteratorINSA_10device_ptrIsEEEEPS6_SG_NS0_5tupleIJSF_NSA_16discard_iteratorINSA_11use_defaultEEEEEENSH_IJSG_SG_EEES6_PlJ7is_evenIsEEEE10hipError_tPvRmT3_T4_T5_T6_T7_T9_mT8_P12ihipStream_tbDpT10_ENKUlT_T0_E_clISt17integral_constantIbLb1EES18_IbLb0EEEEDaS14_S15_EUlS14_E_NS1_11comp_targetILNS1_3genE9ELNS1_11target_archE1100ELNS1_3gpuE3ELNS1_3repE0EEENS1_30default_config_static_selectorELNS0_4arch9wavefront6targetE1EEEvT1_.kd
    .uniform_work_group_size: 1
    .uses_dynamic_stack: false
    .vgpr_count:     0
    .vgpr_spill_count: 0
    .wavefront_size: 64
  - .agpr_count:     0
    .args:
      - .offset:         0
        .size:           128
        .value_kind:     by_value
    .group_segment_fixed_size: 0
    .kernarg_segment_align: 8
    .kernarg_segment_size: 128
    .language:       OpenCL C
    .language_version:
      - 2
      - 0
    .max_flat_workgroup_size: 128
    .name:           _ZN7rocprim17ROCPRIM_400000_NS6detail17trampoline_kernelINS0_14default_configENS1_25partition_config_selectorILNS1_17partition_subalgoE0EsNS0_10empty_typeEbEEZZNS1_14partition_implILS5_0ELb0ES3_jN6thrust23THRUST_200600_302600_NS6detail15normal_iteratorINSA_10device_ptrIsEEEEPS6_SG_NS0_5tupleIJSF_NSA_16discard_iteratorINSA_11use_defaultEEEEEENSH_IJSG_SG_EEES6_PlJ7is_evenIsEEEE10hipError_tPvRmT3_T4_T5_T6_T7_T9_mT8_P12ihipStream_tbDpT10_ENKUlT_T0_E_clISt17integral_constantIbLb1EES18_IbLb0EEEEDaS14_S15_EUlS14_E_NS1_11comp_targetILNS1_3genE8ELNS1_11target_archE1030ELNS1_3gpuE2ELNS1_3repE0EEENS1_30default_config_static_selectorELNS0_4arch9wavefront6targetE1EEEvT1_
    .private_segment_fixed_size: 0
    .sgpr_count:     4
    .sgpr_spill_count: 0
    .symbol:         _ZN7rocprim17ROCPRIM_400000_NS6detail17trampoline_kernelINS0_14default_configENS1_25partition_config_selectorILNS1_17partition_subalgoE0EsNS0_10empty_typeEbEEZZNS1_14partition_implILS5_0ELb0ES3_jN6thrust23THRUST_200600_302600_NS6detail15normal_iteratorINSA_10device_ptrIsEEEEPS6_SG_NS0_5tupleIJSF_NSA_16discard_iteratorINSA_11use_defaultEEEEEENSH_IJSG_SG_EEES6_PlJ7is_evenIsEEEE10hipError_tPvRmT3_T4_T5_T6_T7_T9_mT8_P12ihipStream_tbDpT10_ENKUlT_T0_E_clISt17integral_constantIbLb1EES18_IbLb0EEEEDaS14_S15_EUlS14_E_NS1_11comp_targetILNS1_3genE8ELNS1_11target_archE1030ELNS1_3gpuE2ELNS1_3repE0EEENS1_30default_config_static_selectorELNS0_4arch9wavefront6targetE1EEEvT1_.kd
    .uniform_work_group_size: 1
    .uses_dynamic_stack: false
    .vgpr_count:     0
    .vgpr_spill_count: 0
    .wavefront_size: 64
  - .agpr_count:     0
    .args:
      - .offset:         0
        .size:           144
        .value_kind:     by_value
    .group_segment_fixed_size: 0
    .kernarg_segment_align: 8
    .kernarg_segment_size: 144
    .language:       OpenCL C
    .language_version:
      - 2
      - 0
    .max_flat_workgroup_size: 256
    .name:           _ZN7rocprim17ROCPRIM_400000_NS6detail17trampoline_kernelINS0_14default_configENS1_25partition_config_selectorILNS1_17partition_subalgoE0EsNS0_10empty_typeEbEEZZNS1_14partition_implILS5_0ELb0ES3_jN6thrust23THRUST_200600_302600_NS6detail15normal_iteratorINSA_10device_ptrIsEEEEPS6_SG_NS0_5tupleIJSF_NSA_16discard_iteratorINSA_11use_defaultEEEEEENSH_IJSG_SG_EEES6_PlJ7is_evenIsEEEE10hipError_tPvRmT3_T4_T5_T6_T7_T9_mT8_P12ihipStream_tbDpT10_ENKUlT_T0_E_clISt17integral_constantIbLb0EES18_IbLb1EEEEDaS14_S15_EUlS14_E_NS1_11comp_targetILNS1_3genE0ELNS1_11target_archE4294967295ELNS1_3gpuE0ELNS1_3repE0EEENS1_30default_config_static_selectorELNS0_4arch9wavefront6targetE1EEEvT1_
    .private_segment_fixed_size: 0
    .sgpr_count:     4
    .sgpr_spill_count: 0
    .symbol:         _ZN7rocprim17ROCPRIM_400000_NS6detail17trampoline_kernelINS0_14default_configENS1_25partition_config_selectorILNS1_17partition_subalgoE0EsNS0_10empty_typeEbEEZZNS1_14partition_implILS5_0ELb0ES3_jN6thrust23THRUST_200600_302600_NS6detail15normal_iteratorINSA_10device_ptrIsEEEEPS6_SG_NS0_5tupleIJSF_NSA_16discard_iteratorINSA_11use_defaultEEEEEENSH_IJSG_SG_EEES6_PlJ7is_evenIsEEEE10hipError_tPvRmT3_T4_T5_T6_T7_T9_mT8_P12ihipStream_tbDpT10_ENKUlT_T0_E_clISt17integral_constantIbLb0EES18_IbLb1EEEEDaS14_S15_EUlS14_E_NS1_11comp_targetILNS1_3genE0ELNS1_11target_archE4294967295ELNS1_3gpuE0ELNS1_3repE0EEENS1_30default_config_static_selectorELNS0_4arch9wavefront6targetE1EEEvT1_.kd
    .uniform_work_group_size: 1
    .uses_dynamic_stack: false
    .vgpr_count:     0
    .vgpr_spill_count: 0
    .wavefront_size: 64
  - .agpr_count:     0
    .args:
      - .offset:         0
        .size:           144
        .value_kind:     by_value
    .group_segment_fixed_size: 0
    .kernarg_segment_align: 8
    .kernarg_segment_size: 144
    .language:       OpenCL C
    .language_version:
      - 2
      - 0
    .max_flat_workgroup_size: 512
    .name:           _ZN7rocprim17ROCPRIM_400000_NS6detail17trampoline_kernelINS0_14default_configENS1_25partition_config_selectorILNS1_17partition_subalgoE0EsNS0_10empty_typeEbEEZZNS1_14partition_implILS5_0ELb0ES3_jN6thrust23THRUST_200600_302600_NS6detail15normal_iteratorINSA_10device_ptrIsEEEEPS6_SG_NS0_5tupleIJSF_NSA_16discard_iteratorINSA_11use_defaultEEEEEENSH_IJSG_SG_EEES6_PlJ7is_evenIsEEEE10hipError_tPvRmT3_T4_T5_T6_T7_T9_mT8_P12ihipStream_tbDpT10_ENKUlT_T0_E_clISt17integral_constantIbLb0EES18_IbLb1EEEEDaS14_S15_EUlS14_E_NS1_11comp_targetILNS1_3genE5ELNS1_11target_archE942ELNS1_3gpuE9ELNS1_3repE0EEENS1_30default_config_static_selectorELNS0_4arch9wavefront6targetE1EEEvT1_
    .private_segment_fixed_size: 0
    .sgpr_count:     4
    .sgpr_spill_count: 0
    .symbol:         _ZN7rocprim17ROCPRIM_400000_NS6detail17trampoline_kernelINS0_14default_configENS1_25partition_config_selectorILNS1_17partition_subalgoE0EsNS0_10empty_typeEbEEZZNS1_14partition_implILS5_0ELb0ES3_jN6thrust23THRUST_200600_302600_NS6detail15normal_iteratorINSA_10device_ptrIsEEEEPS6_SG_NS0_5tupleIJSF_NSA_16discard_iteratorINSA_11use_defaultEEEEEENSH_IJSG_SG_EEES6_PlJ7is_evenIsEEEE10hipError_tPvRmT3_T4_T5_T6_T7_T9_mT8_P12ihipStream_tbDpT10_ENKUlT_T0_E_clISt17integral_constantIbLb0EES18_IbLb1EEEEDaS14_S15_EUlS14_E_NS1_11comp_targetILNS1_3genE5ELNS1_11target_archE942ELNS1_3gpuE9ELNS1_3repE0EEENS1_30default_config_static_selectorELNS0_4arch9wavefront6targetE1EEEvT1_.kd
    .uniform_work_group_size: 1
    .uses_dynamic_stack: false
    .vgpr_count:     0
    .vgpr_spill_count: 0
    .wavefront_size: 64
  - .agpr_count:     0
    .args:
      - .offset:         0
        .size:           144
        .value_kind:     by_value
    .group_segment_fixed_size: 14344
    .kernarg_segment_align: 8
    .kernarg_segment_size: 144
    .language:       OpenCL C
    .language_version:
      - 2
      - 0
    .max_flat_workgroup_size: 256
    .name:           _ZN7rocprim17ROCPRIM_400000_NS6detail17trampoline_kernelINS0_14default_configENS1_25partition_config_selectorILNS1_17partition_subalgoE0EsNS0_10empty_typeEbEEZZNS1_14partition_implILS5_0ELb0ES3_jN6thrust23THRUST_200600_302600_NS6detail15normal_iteratorINSA_10device_ptrIsEEEEPS6_SG_NS0_5tupleIJSF_NSA_16discard_iteratorINSA_11use_defaultEEEEEENSH_IJSG_SG_EEES6_PlJ7is_evenIsEEEE10hipError_tPvRmT3_T4_T5_T6_T7_T9_mT8_P12ihipStream_tbDpT10_ENKUlT_T0_E_clISt17integral_constantIbLb0EES18_IbLb1EEEEDaS14_S15_EUlS14_E_NS1_11comp_targetILNS1_3genE4ELNS1_11target_archE910ELNS1_3gpuE8ELNS1_3repE0EEENS1_30default_config_static_selectorELNS0_4arch9wavefront6targetE1EEEvT1_
    .private_segment_fixed_size: 0
    .sgpr_count:     44
    .sgpr_spill_count: 0
    .symbol:         _ZN7rocprim17ROCPRIM_400000_NS6detail17trampoline_kernelINS0_14default_configENS1_25partition_config_selectorILNS1_17partition_subalgoE0EsNS0_10empty_typeEbEEZZNS1_14partition_implILS5_0ELb0ES3_jN6thrust23THRUST_200600_302600_NS6detail15normal_iteratorINSA_10device_ptrIsEEEEPS6_SG_NS0_5tupleIJSF_NSA_16discard_iteratorINSA_11use_defaultEEEEEENSH_IJSG_SG_EEES6_PlJ7is_evenIsEEEE10hipError_tPvRmT3_T4_T5_T6_T7_T9_mT8_P12ihipStream_tbDpT10_ENKUlT_T0_E_clISt17integral_constantIbLb0EES18_IbLb1EEEEDaS14_S15_EUlS14_E_NS1_11comp_targetILNS1_3genE4ELNS1_11target_archE910ELNS1_3gpuE8ELNS1_3repE0EEENS1_30default_config_static_selectorELNS0_4arch9wavefront6targetE1EEEvT1_.kd
    .uniform_work_group_size: 1
    .uses_dynamic_stack: false
    .vgpr_count:     116
    .vgpr_spill_count: 0
    .wavefront_size: 64
  - .agpr_count:     0
    .args:
      - .offset:         0
        .size:           144
        .value_kind:     by_value
    .group_segment_fixed_size: 0
    .kernarg_segment_align: 8
    .kernarg_segment_size: 144
    .language:       OpenCL C
    .language_version:
      - 2
      - 0
    .max_flat_workgroup_size: 256
    .name:           _ZN7rocprim17ROCPRIM_400000_NS6detail17trampoline_kernelINS0_14default_configENS1_25partition_config_selectorILNS1_17partition_subalgoE0EsNS0_10empty_typeEbEEZZNS1_14partition_implILS5_0ELb0ES3_jN6thrust23THRUST_200600_302600_NS6detail15normal_iteratorINSA_10device_ptrIsEEEEPS6_SG_NS0_5tupleIJSF_NSA_16discard_iteratorINSA_11use_defaultEEEEEENSH_IJSG_SG_EEES6_PlJ7is_evenIsEEEE10hipError_tPvRmT3_T4_T5_T6_T7_T9_mT8_P12ihipStream_tbDpT10_ENKUlT_T0_E_clISt17integral_constantIbLb0EES18_IbLb1EEEEDaS14_S15_EUlS14_E_NS1_11comp_targetILNS1_3genE3ELNS1_11target_archE908ELNS1_3gpuE7ELNS1_3repE0EEENS1_30default_config_static_selectorELNS0_4arch9wavefront6targetE1EEEvT1_
    .private_segment_fixed_size: 0
    .sgpr_count:     4
    .sgpr_spill_count: 0
    .symbol:         _ZN7rocprim17ROCPRIM_400000_NS6detail17trampoline_kernelINS0_14default_configENS1_25partition_config_selectorILNS1_17partition_subalgoE0EsNS0_10empty_typeEbEEZZNS1_14partition_implILS5_0ELb0ES3_jN6thrust23THRUST_200600_302600_NS6detail15normal_iteratorINSA_10device_ptrIsEEEEPS6_SG_NS0_5tupleIJSF_NSA_16discard_iteratorINSA_11use_defaultEEEEEENSH_IJSG_SG_EEES6_PlJ7is_evenIsEEEE10hipError_tPvRmT3_T4_T5_T6_T7_T9_mT8_P12ihipStream_tbDpT10_ENKUlT_T0_E_clISt17integral_constantIbLb0EES18_IbLb1EEEEDaS14_S15_EUlS14_E_NS1_11comp_targetILNS1_3genE3ELNS1_11target_archE908ELNS1_3gpuE7ELNS1_3repE0EEENS1_30default_config_static_selectorELNS0_4arch9wavefront6targetE1EEEvT1_.kd
    .uniform_work_group_size: 1
    .uses_dynamic_stack: false
    .vgpr_count:     0
    .vgpr_spill_count: 0
    .wavefront_size: 64
  - .agpr_count:     0
    .args:
      - .offset:         0
        .size:           144
        .value_kind:     by_value
    .group_segment_fixed_size: 0
    .kernarg_segment_align: 8
    .kernarg_segment_size: 144
    .language:       OpenCL C
    .language_version:
      - 2
      - 0
    .max_flat_workgroup_size: 256
    .name:           _ZN7rocprim17ROCPRIM_400000_NS6detail17trampoline_kernelINS0_14default_configENS1_25partition_config_selectorILNS1_17partition_subalgoE0EsNS0_10empty_typeEbEEZZNS1_14partition_implILS5_0ELb0ES3_jN6thrust23THRUST_200600_302600_NS6detail15normal_iteratorINSA_10device_ptrIsEEEEPS6_SG_NS0_5tupleIJSF_NSA_16discard_iteratorINSA_11use_defaultEEEEEENSH_IJSG_SG_EEES6_PlJ7is_evenIsEEEE10hipError_tPvRmT3_T4_T5_T6_T7_T9_mT8_P12ihipStream_tbDpT10_ENKUlT_T0_E_clISt17integral_constantIbLb0EES18_IbLb1EEEEDaS14_S15_EUlS14_E_NS1_11comp_targetILNS1_3genE2ELNS1_11target_archE906ELNS1_3gpuE6ELNS1_3repE0EEENS1_30default_config_static_selectorELNS0_4arch9wavefront6targetE1EEEvT1_
    .private_segment_fixed_size: 0
    .sgpr_count:     4
    .sgpr_spill_count: 0
    .symbol:         _ZN7rocprim17ROCPRIM_400000_NS6detail17trampoline_kernelINS0_14default_configENS1_25partition_config_selectorILNS1_17partition_subalgoE0EsNS0_10empty_typeEbEEZZNS1_14partition_implILS5_0ELb0ES3_jN6thrust23THRUST_200600_302600_NS6detail15normal_iteratorINSA_10device_ptrIsEEEEPS6_SG_NS0_5tupleIJSF_NSA_16discard_iteratorINSA_11use_defaultEEEEEENSH_IJSG_SG_EEES6_PlJ7is_evenIsEEEE10hipError_tPvRmT3_T4_T5_T6_T7_T9_mT8_P12ihipStream_tbDpT10_ENKUlT_T0_E_clISt17integral_constantIbLb0EES18_IbLb1EEEEDaS14_S15_EUlS14_E_NS1_11comp_targetILNS1_3genE2ELNS1_11target_archE906ELNS1_3gpuE6ELNS1_3repE0EEENS1_30default_config_static_selectorELNS0_4arch9wavefront6targetE1EEEvT1_.kd
    .uniform_work_group_size: 1
    .uses_dynamic_stack: false
    .vgpr_count:     0
    .vgpr_spill_count: 0
    .wavefront_size: 64
  - .agpr_count:     0
    .args:
      - .offset:         0
        .size:           144
        .value_kind:     by_value
    .group_segment_fixed_size: 0
    .kernarg_segment_align: 8
    .kernarg_segment_size: 144
    .language:       OpenCL C
    .language_version:
      - 2
      - 0
    .max_flat_workgroup_size: 384
    .name:           _ZN7rocprim17ROCPRIM_400000_NS6detail17trampoline_kernelINS0_14default_configENS1_25partition_config_selectorILNS1_17partition_subalgoE0EsNS0_10empty_typeEbEEZZNS1_14partition_implILS5_0ELb0ES3_jN6thrust23THRUST_200600_302600_NS6detail15normal_iteratorINSA_10device_ptrIsEEEEPS6_SG_NS0_5tupleIJSF_NSA_16discard_iteratorINSA_11use_defaultEEEEEENSH_IJSG_SG_EEES6_PlJ7is_evenIsEEEE10hipError_tPvRmT3_T4_T5_T6_T7_T9_mT8_P12ihipStream_tbDpT10_ENKUlT_T0_E_clISt17integral_constantIbLb0EES18_IbLb1EEEEDaS14_S15_EUlS14_E_NS1_11comp_targetILNS1_3genE10ELNS1_11target_archE1200ELNS1_3gpuE4ELNS1_3repE0EEENS1_30default_config_static_selectorELNS0_4arch9wavefront6targetE1EEEvT1_
    .private_segment_fixed_size: 0
    .sgpr_count:     4
    .sgpr_spill_count: 0
    .symbol:         _ZN7rocprim17ROCPRIM_400000_NS6detail17trampoline_kernelINS0_14default_configENS1_25partition_config_selectorILNS1_17partition_subalgoE0EsNS0_10empty_typeEbEEZZNS1_14partition_implILS5_0ELb0ES3_jN6thrust23THRUST_200600_302600_NS6detail15normal_iteratorINSA_10device_ptrIsEEEEPS6_SG_NS0_5tupleIJSF_NSA_16discard_iteratorINSA_11use_defaultEEEEEENSH_IJSG_SG_EEES6_PlJ7is_evenIsEEEE10hipError_tPvRmT3_T4_T5_T6_T7_T9_mT8_P12ihipStream_tbDpT10_ENKUlT_T0_E_clISt17integral_constantIbLb0EES18_IbLb1EEEEDaS14_S15_EUlS14_E_NS1_11comp_targetILNS1_3genE10ELNS1_11target_archE1200ELNS1_3gpuE4ELNS1_3repE0EEENS1_30default_config_static_selectorELNS0_4arch9wavefront6targetE1EEEvT1_.kd
    .uniform_work_group_size: 1
    .uses_dynamic_stack: false
    .vgpr_count:     0
    .vgpr_spill_count: 0
    .wavefront_size: 64
  - .agpr_count:     0
    .args:
      - .offset:         0
        .size:           144
        .value_kind:     by_value
    .group_segment_fixed_size: 0
    .kernarg_segment_align: 8
    .kernarg_segment_size: 144
    .language:       OpenCL C
    .language_version:
      - 2
      - 0
    .max_flat_workgroup_size: 128
    .name:           _ZN7rocprim17ROCPRIM_400000_NS6detail17trampoline_kernelINS0_14default_configENS1_25partition_config_selectorILNS1_17partition_subalgoE0EsNS0_10empty_typeEbEEZZNS1_14partition_implILS5_0ELb0ES3_jN6thrust23THRUST_200600_302600_NS6detail15normal_iteratorINSA_10device_ptrIsEEEEPS6_SG_NS0_5tupleIJSF_NSA_16discard_iteratorINSA_11use_defaultEEEEEENSH_IJSG_SG_EEES6_PlJ7is_evenIsEEEE10hipError_tPvRmT3_T4_T5_T6_T7_T9_mT8_P12ihipStream_tbDpT10_ENKUlT_T0_E_clISt17integral_constantIbLb0EES18_IbLb1EEEEDaS14_S15_EUlS14_E_NS1_11comp_targetILNS1_3genE9ELNS1_11target_archE1100ELNS1_3gpuE3ELNS1_3repE0EEENS1_30default_config_static_selectorELNS0_4arch9wavefront6targetE1EEEvT1_
    .private_segment_fixed_size: 0
    .sgpr_count:     4
    .sgpr_spill_count: 0
    .symbol:         _ZN7rocprim17ROCPRIM_400000_NS6detail17trampoline_kernelINS0_14default_configENS1_25partition_config_selectorILNS1_17partition_subalgoE0EsNS0_10empty_typeEbEEZZNS1_14partition_implILS5_0ELb0ES3_jN6thrust23THRUST_200600_302600_NS6detail15normal_iteratorINSA_10device_ptrIsEEEEPS6_SG_NS0_5tupleIJSF_NSA_16discard_iteratorINSA_11use_defaultEEEEEENSH_IJSG_SG_EEES6_PlJ7is_evenIsEEEE10hipError_tPvRmT3_T4_T5_T6_T7_T9_mT8_P12ihipStream_tbDpT10_ENKUlT_T0_E_clISt17integral_constantIbLb0EES18_IbLb1EEEEDaS14_S15_EUlS14_E_NS1_11comp_targetILNS1_3genE9ELNS1_11target_archE1100ELNS1_3gpuE3ELNS1_3repE0EEENS1_30default_config_static_selectorELNS0_4arch9wavefront6targetE1EEEvT1_.kd
    .uniform_work_group_size: 1
    .uses_dynamic_stack: false
    .vgpr_count:     0
    .vgpr_spill_count: 0
    .wavefront_size: 64
  - .agpr_count:     0
    .args:
      - .offset:         0
        .size:           144
        .value_kind:     by_value
    .group_segment_fixed_size: 0
    .kernarg_segment_align: 8
    .kernarg_segment_size: 144
    .language:       OpenCL C
    .language_version:
      - 2
      - 0
    .max_flat_workgroup_size: 128
    .name:           _ZN7rocprim17ROCPRIM_400000_NS6detail17trampoline_kernelINS0_14default_configENS1_25partition_config_selectorILNS1_17partition_subalgoE0EsNS0_10empty_typeEbEEZZNS1_14partition_implILS5_0ELb0ES3_jN6thrust23THRUST_200600_302600_NS6detail15normal_iteratorINSA_10device_ptrIsEEEEPS6_SG_NS0_5tupleIJSF_NSA_16discard_iteratorINSA_11use_defaultEEEEEENSH_IJSG_SG_EEES6_PlJ7is_evenIsEEEE10hipError_tPvRmT3_T4_T5_T6_T7_T9_mT8_P12ihipStream_tbDpT10_ENKUlT_T0_E_clISt17integral_constantIbLb0EES18_IbLb1EEEEDaS14_S15_EUlS14_E_NS1_11comp_targetILNS1_3genE8ELNS1_11target_archE1030ELNS1_3gpuE2ELNS1_3repE0EEENS1_30default_config_static_selectorELNS0_4arch9wavefront6targetE1EEEvT1_
    .private_segment_fixed_size: 0
    .sgpr_count:     4
    .sgpr_spill_count: 0
    .symbol:         _ZN7rocprim17ROCPRIM_400000_NS6detail17trampoline_kernelINS0_14default_configENS1_25partition_config_selectorILNS1_17partition_subalgoE0EsNS0_10empty_typeEbEEZZNS1_14partition_implILS5_0ELb0ES3_jN6thrust23THRUST_200600_302600_NS6detail15normal_iteratorINSA_10device_ptrIsEEEEPS6_SG_NS0_5tupleIJSF_NSA_16discard_iteratorINSA_11use_defaultEEEEEENSH_IJSG_SG_EEES6_PlJ7is_evenIsEEEE10hipError_tPvRmT3_T4_T5_T6_T7_T9_mT8_P12ihipStream_tbDpT10_ENKUlT_T0_E_clISt17integral_constantIbLb0EES18_IbLb1EEEEDaS14_S15_EUlS14_E_NS1_11comp_targetILNS1_3genE8ELNS1_11target_archE1030ELNS1_3gpuE2ELNS1_3repE0EEENS1_30default_config_static_selectorELNS0_4arch9wavefront6targetE1EEEvT1_.kd
    .uniform_work_group_size: 1
    .uses_dynamic_stack: false
    .vgpr_count:     0
    .vgpr_spill_count: 0
    .wavefront_size: 64
  - .agpr_count:     0
    .args:
      - .offset:         0
        .size:           128
        .value_kind:     by_value
    .group_segment_fixed_size: 0
    .kernarg_segment_align: 8
    .kernarg_segment_size: 128
    .language:       OpenCL C
    .language_version:
      - 2
      - 0
    .max_flat_workgroup_size: 256
    .name:           _ZN7rocprim17ROCPRIM_400000_NS6detail17trampoline_kernelINS0_14default_configENS1_25partition_config_selectorILNS1_17partition_subalgoE0EsNS0_10empty_typeEbEEZZNS1_14partition_implILS5_0ELb0ES3_jN6thrust23THRUST_200600_302600_NS6detail15normal_iteratorINSA_10device_ptrIsEEEEPS6_SG_NS0_5tupleIJNSA_16discard_iteratorINSA_11use_defaultEEESF_EEENSH_IJSG_SG_EEES6_PlJ7is_evenIsEEEE10hipError_tPvRmT3_T4_T5_T6_T7_T9_mT8_P12ihipStream_tbDpT10_ENKUlT_T0_E_clISt17integral_constantIbLb0EES19_EEDaS14_S15_EUlS14_E_NS1_11comp_targetILNS1_3genE0ELNS1_11target_archE4294967295ELNS1_3gpuE0ELNS1_3repE0EEENS1_30default_config_static_selectorELNS0_4arch9wavefront6targetE1EEEvT1_
    .private_segment_fixed_size: 0
    .sgpr_count:     4
    .sgpr_spill_count: 0
    .symbol:         _ZN7rocprim17ROCPRIM_400000_NS6detail17trampoline_kernelINS0_14default_configENS1_25partition_config_selectorILNS1_17partition_subalgoE0EsNS0_10empty_typeEbEEZZNS1_14partition_implILS5_0ELb0ES3_jN6thrust23THRUST_200600_302600_NS6detail15normal_iteratorINSA_10device_ptrIsEEEEPS6_SG_NS0_5tupleIJNSA_16discard_iteratorINSA_11use_defaultEEESF_EEENSH_IJSG_SG_EEES6_PlJ7is_evenIsEEEE10hipError_tPvRmT3_T4_T5_T6_T7_T9_mT8_P12ihipStream_tbDpT10_ENKUlT_T0_E_clISt17integral_constantIbLb0EES19_EEDaS14_S15_EUlS14_E_NS1_11comp_targetILNS1_3genE0ELNS1_11target_archE4294967295ELNS1_3gpuE0ELNS1_3repE0EEENS1_30default_config_static_selectorELNS0_4arch9wavefront6targetE1EEEvT1_.kd
    .uniform_work_group_size: 1
    .uses_dynamic_stack: false
    .vgpr_count:     0
    .vgpr_spill_count: 0
    .wavefront_size: 64
  - .agpr_count:     0
    .args:
      - .offset:         0
        .size:           128
        .value_kind:     by_value
    .group_segment_fixed_size: 0
    .kernarg_segment_align: 8
    .kernarg_segment_size: 128
    .language:       OpenCL C
    .language_version:
      - 2
      - 0
    .max_flat_workgroup_size: 512
    .name:           _ZN7rocprim17ROCPRIM_400000_NS6detail17trampoline_kernelINS0_14default_configENS1_25partition_config_selectorILNS1_17partition_subalgoE0EsNS0_10empty_typeEbEEZZNS1_14partition_implILS5_0ELb0ES3_jN6thrust23THRUST_200600_302600_NS6detail15normal_iteratorINSA_10device_ptrIsEEEEPS6_SG_NS0_5tupleIJNSA_16discard_iteratorINSA_11use_defaultEEESF_EEENSH_IJSG_SG_EEES6_PlJ7is_evenIsEEEE10hipError_tPvRmT3_T4_T5_T6_T7_T9_mT8_P12ihipStream_tbDpT10_ENKUlT_T0_E_clISt17integral_constantIbLb0EES19_EEDaS14_S15_EUlS14_E_NS1_11comp_targetILNS1_3genE5ELNS1_11target_archE942ELNS1_3gpuE9ELNS1_3repE0EEENS1_30default_config_static_selectorELNS0_4arch9wavefront6targetE1EEEvT1_
    .private_segment_fixed_size: 0
    .sgpr_count:     4
    .sgpr_spill_count: 0
    .symbol:         _ZN7rocprim17ROCPRIM_400000_NS6detail17trampoline_kernelINS0_14default_configENS1_25partition_config_selectorILNS1_17partition_subalgoE0EsNS0_10empty_typeEbEEZZNS1_14partition_implILS5_0ELb0ES3_jN6thrust23THRUST_200600_302600_NS6detail15normal_iteratorINSA_10device_ptrIsEEEEPS6_SG_NS0_5tupleIJNSA_16discard_iteratorINSA_11use_defaultEEESF_EEENSH_IJSG_SG_EEES6_PlJ7is_evenIsEEEE10hipError_tPvRmT3_T4_T5_T6_T7_T9_mT8_P12ihipStream_tbDpT10_ENKUlT_T0_E_clISt17integral_constantIbLb0EES19_EEDaS14_S15_EUlS14_E_NS1_11comp_targetILNS1_3genE5ELNS1_11target_archE942ELNS1_3gpuE9ELNS1_3repE0EEENS1_30default_config_static_selectorELNS0_4arch9wavefront6targetE1EEEvT1_.kd
    .uniform_work_group_size: 1
    .uses_dynamic_stack: false
    .vgpr_count:     0
    .vgpr_spill_count: 0
    .wavefront_size: 64
  - .agpr_count:     0
    .args:
      - .offset:         0
        .size:           128
        .value_kind:     by_value
    .group_segment_fixed_size: 14344
    .kernarg_segment_align: 8
    .kernarg_segment_size: 128
    .language:       OpenCL C
    .language_version:
      - 2
      - 0
    .max_flat_workgroup_size: 256
    .name:           _ZN7rocprim17ROCPRIM_400000_NS6detail17trampoline_kernelINS0_14default_configENS1_25partition_config_selectorILNS1_17partition_subalgoE0EsNS0_10empty_typeEbEEZZNS1_14partition_implILS5_0ELb0ES3_jN6thrust23THRUST_200600_302600_NS6detail15normal_iteratorINSA_10device_ptrIsEEEEPS6_SG_NS0_5tupleIJNSA_16discard_iteratorINSA_11use_defaultEEESF_EEENSH_IJSG_SG_EEES6_PlJ7is_evenIsEEEE10hipError_tPvRmT3_T4_T5_T6_T7_T9_mT8_P12ihipStream_tbDpT10_ENKUlT_T0_E_clISt17integral_constantIbLb0EES19_EEDaS14_S15_EUlS14_E_NS1_11comp_targetILNS1_3genE4ELNS1_11target_archE910ELNS1_3gpuE8ELNS1_3repE0EEENS1_30default_config_static_selectorELNS0_4arch9wavefront6targetE1EEEvT1_
    .private_segment_fixed_size: 0
    .sgpr_count:     48
    .sgpr_spill_count: 0
    .symbol:         _ZN7rocprim17ROCPRIM_400000_NS6detail17trampoline_kernelINS0_14default_configENS1_25partition_config_selectorILNS1_17partition_subalgoE0EsNS0_10empty_typeEbEEZZNS1_14partition_implILS5_0ELb0ES3_jN6thrust23THRUST_200600_302600_NS6detail15normal_iteratorINSA_10device_ptrIsEEEEPS6_SG_NS0_5tupleIJNSA_16discard_iteratorINSA_11use_defaultEEESF_EEENSH_IJSG_SG_EEES6_PlJ7is_evenIsEEEE10hipError_tPvRmT3_T4_T5_T6_T7_T9_mT8_P12ihipStream_tbDpT10_ENKUlT_T0_E_clISt17integral_constantIbLb0EES19_EEDaS14_S15_EUlS14_E_NS1_11comp_targetILNS1_3genE4ELNS1_11target_archE910ELNS1_3gpuE8ELNS1_3repE0EEENS1_30default_config_static_selectorELNS0_4arch9wavefront6targetE1EEEvT1_.kd
    .uniform_work_group_size: 1
    .uses_dynamic_stack: false
    .vgpr_count:     114
    .vgpr_spill_count: 0
    .wavefront_size: 64
  - .agpr_count:     0
    .args:
      - .offset:         0
        .size:           128
        .value_kind:     by_value
    .group_segment_fixed_size: 0
    .kernarg_segment_align: 8
    .kernarg_segment_size: 128
    .language:       OpenCL C
    .language_version:
      - 2
      - 0
    .max_flat_workgroup_size: 256
    .name:           _ZN7rocprim17ROCPRIM_400000_NS6detail17trampoline_kernelINS0_14default_configENS1_25partition_config_selectorILNS1_17partition_subalgoE0EsNS0_10empty_typeEbEEZZNS1_14partition_implILS5_0ELb0ES3_jN6thrust23THRUST_200600_302600_NS6detail15normal_iteratorINSA_10device_ptrIsEEEEPS6_SG_NS0_5tupleIJNSA_16discard_iteratorINSA_11use_defaultEEESF_EEENSH_IJSG_SG_EEES6_PlJ7is_evenIsEEEE10hipError_tPvRmT3_T4_T5_T6_T7_T9_mT8_P12ihipStream_tbDpT10_ENKUlT_T0_E_clISt17integral_constantIbLb0EES19_EEDaS14_S15_EUlS14_E_NS1_11comp_targetILNS1_3genE3ELNS1_11target_archE908ELNS1_3gpuE7ELNS1_3repE0EEENS1_30default_config_static_selectorELNS0_4arch9wavefront6targetE1EEEvT1_
    .private_segment_fixed_size: 0
    .sgpr_count:     4
    .sgpr_spill_count: 0
    .symbol:         _ZN7rocprim17ROCPRIM_400000_NS6detail17trampoline_kernelINS0_14default_configENS1_25partition_config_selectorILNS1_17partition_subalgoE0EsNS0_10empty_typeEbEEZZNS1_14partition_implILS5_0ELb0ES3_jN6thrust23THRUST_200600_302600_NS6detail15normal_iteratorINSA_10device_ptrIsEEEEPS6_SG_NS0_5tupleIJNSA_16discard_iteratorINSA_11use_defaultEEESF_EEENSH_IJSG_SG_EEES6_PlJ7is_evenIsEEEE10hipError_tPvRmT3_T4_T5_T6_T7_T9_mT8_P12ihipStream_tbDpT10_ENKUlT_T0_E_clISt17integral_constantIbLb0EES19_EEDaS14_S15_EUlS14_E_NS1_11comp_targetILNS1_3genE3ELNS1_11target_archE908ELNS1_3gpuE7ELNS1_3repE0EEENS1_30default_config_static_selectorELNS0_4arch9wavefront6targetE1EEEvT1_.kd
    .uniform_work_group_size: 1
    .uses_dynamic_stack: false
    .vgpr_count:     0
    .vgpr_spill_count: 0
    .wavefront_size: 64
  - .agpr_count:     0
    .args:
      - .offset:         0
        .size:           128
        .value_kind:     by_value
    .group_segment_fixed_size: 0
    .kernarg_segment_align: 8
    .kernarg_segment_size: 128
    .language:       OpenCL C
    .language_version:
      - 2
      - 0
    .max_flat_workgroup_size: 256
    .name:           _ZN7rocprim17ROCPRIM_400000_NS6detail17trampoline_kernelINS0_14default_configENS1_25partition_config_selectorILNS1_17partition_subalgoE0EsNS0_10empty_typeEbEEZZNS1_14partition_implILS5_0ELb0ES3_jN6thrust23THRUST_200600_302600_NS6detail15normal_iteratorINSA_10device_ptrIsEEEEPS6_SG_NS0_5tupleIJNSA_16discard_iteratorINSA_11use_defaultEEESF_EEENSH_IJSG_SG_EEES6_PlJ7is_evenIsEEEE10hipError_tPvRmT3_T4_T5_T6_T7_T9_mT8_P12ihipStream_tbDpT10_ENKUlT_T0_E_clISt17integral_constantIbLb0EES19_EEDaS14_S15_EUlS14_E_NS1_11comp_targetILNS1_3genE2ELNS1_11target_archE906ELNS1_3gpuE6ELNS1_3repE0EEENS1_30default_config_static_selectorELNS0_4arch9wavefront6targetE1EEEvT1_
    .private_segment_fixed_size: 0
    .sgpr_count:     4
    .sgpr_spill_count: 0
    .symbol:         _ZN7rocprim17ROCPRIM_400000_NS6detail17trampoline_kernelINS0_14default_configENS1_25partition_config_selectorILNS1_17partition_subalgoE0EsNS0_10empty_typeEbEEZZNS1_14partition_implILS5_0ELb0ES3_jN6thrust23THRUST_200600_302600_NS6detail15normal_iteratorINSA_10device_ptrIsEEEEPS6_SG_NS0_5tupleIJNSA_16discard_iteratorINSA_11use_defaultEEESF_EEENSH_IJSG_SG_EEES6_PlJ7is_evenIsEEEE10hipError_tPvRmT3_T4_T5_T6_T7_T9_mT8_P12ihipStream_tbDpT10_ENKUlT_T0_E_clISt17integral_constantIbLb0EES19_EEDaS14_S15_EUlS14_E_NS1_11comp_targetILNS1_3genE2ELNS1_11target_archE906ELNS1_3gpuE6ELNS1_3repE0EEENS1_30default_config_static_selectorELNS0_4arch9wavefront6targetE1EEEvT1_.kd
    .uniform_work_group_size: 1
    .uses_dynamic_stack: false
    .vgpr_count:     0
    .vgpr_spill_count: 0
    .wavefront_size: 64
  - .agpr_count:     0
    .args:
      - .offset:         0
        .size:           128
        .value_kind:     by_value
    .group_segment_fixed_size: 0
    .kernarg_segment_align: 8
    .kernarg_segment_size: 128
    .language:       OpenCL C
    .language_version:
      - 2
      - 0
    .max_flat_workgroup_size: 384
    .name:           _ZN7rocprim17ROCPRIM_400000_NS6detail17trampoline_kernelINS0_14default_configENS1_25partition_config_selectorILNS1_17partition_subalgoE0EsNS0_10empty_typeEbEEZZNS1_14partition_implILS5_0ELb0ES3_jN6thrust23THRUST_200600_302600_NS6detail15normal_iteratorINSA_10device_ptrIsEEEEPS6_SG_NS0_5tupleIJNSA_16discard_iteratorINSA_11use_defaultEEESF_EEENSH_IJSG_SG_EEES6_PlJ7is_evenIsEEEE10hipError_tPvRmT3_T4_T5_T6_T7_T9_mT8_P12ihipStream_tbDpT10_ENKUlT_T0_E_clISt17integral_constantIbLb0EES19_EEDaS14_S15_EUlS14_E_NS1_11comp_targetILNS1_3genE10ELNS1_11target_archE1200ELNS1_3gpuE4ELNS1_3repE0EEENS1_30default_config_static_selectorELNS0_4arch9wavefront6targetE1EEEvT1_
    .private_segment_fixed_size: 0
    .sgpr_count:     4
    .sgpr_spill_count: 0
    .symbol:         _ZN7rocprim17ROCPRIM_400000_NS6detail17trampoline_kernelINS0_14default_configENS1_25partition_config_selectorILNS1_17partition_subalgoE0EsNS0_10empty_typeEbEEZZNS1_14partition_implILS5_0ELb0ES3_jN6thrust23THRUST_200600_302600_NS6detail15normal_iteratorINSA_10device_ptrIsEEEEPS6_SG_NS0_5tupleIJNSA_16discard_iteratorINSA_11use_defaultEEESF_EEENSH_IJSG_SG_EEES6_PlJ7is_evenIsEEEE10hipError_tPvRmT3_T4_T5_T6_T7_T9_mT8_P12ihipStream_tbDpT10_ENKUlT_T0_E_clISt17integral_constantIbLb0EES19_EEDaS14_S15_EUlS14_E_NS1_11comp_targetILNS1_3genE10ELNS1_11target_archE1200ELNS1_3gpuE4ELNS1_3repE0EEENS1_30default_config_static_selectorELNS0_4arch9wavefront6targetE1EEEvT1_.kd
    .uniform_work_group_size: 1
    .uses_dynamic_stack: false
    .vgpr_count:     0
    .vgpr_spill_count: 0
    .wavefront_size: 64
  - .agpr_count:     0
    .args:
      - .offset:         0
        .size:           128
        .value_kind:     by_value
    .group_segment_fixed_size: 0
    .kernarg_segment_align: 8
    .kernarg_segment_size: 128
    .language:       OpenCL C
    .language_version:
      - 2
      - 0
    .max_flat_workgroup_size: 128
    .name:           _ZN7rocprim17ROCPRIM_400000_NS6detail17trampoline_kernelINS0_14default_configENS1_25partition_config_selectorILNS1_17partition_subalgoE0EsNS0_10empty_typeEbEEZZNS1_14partition_implILS5_0ELb0ES3_jN6thrust23THRUST_200600_302600_NS6detail15normal_iteratorINSA_10device_ptrIsEEEEPS6_SG_NS0_5tupleIJNSA_16discard_iteratorINSA_11use_defaultEEESF_EEENSH_IJSG_SG_EEES6_PlJ7is_evenIsEEEE10hipError_tPvRmT3_T4_T5_T6_T7_T9_mT8_P12ihipStream_tbDpT10_ENKUlT_T0_E_clISt17integral_constantIbLb0EES19_EEDaS14_S15_EUlS14_E_NS1_11comp_targetILNS1_3genE9ELNS1_11target_archE1100ELNS1_3gpuE3ELNS1_3repE0EEENS1_30default_config_static_selectorELNS0_4arch9wavefront6targetE1EEEvT1_
    .private_segment_fixed_size: 0
    .sgpr_count:     4
    .sgpr_spill_count: 0
    .symbol:         _ZN7rocprim17ROCPRIM_400000_NS6detail17trampoline_kernelINS0_14default_configENS1_25partition_config_selectorILNS1_17partition_subalgoE0EsNS0_10empty_typeEbEEZZNS1_14partition_implILS5_0ELb0ES3_jN6thrust23THRUST_200600_302600_NS6detail15normal_iteratorINSA_10device_ptrIsEEEEPS6_SG_NS0_5tupleIJNSA_16discard_iteratorINSA_11use_defaultEEESF_EEENSH_IJSG_SG_EEES6_PlJ7is_evenIsEEEE10hipError_tPvRmT3_T4_T5_T6_T7_T9_mT8_P12ihipStream_tbDpT10_ENKUlT_T0_E_clISt17integral_constantIbLb0EES19_EEDaS14_S15_EUlS14_E_NS1_11comp_targetILNS1_3genE9ELNS1_11target_archE1100ELNS1_3gpuE3ELNS1_3repE0EEENS1_30default_config_static_selectorELNS0_4arch9wavefront6targetE1EEEvT1_.kd
    .uniform_work_group_size: 1
    .uses_dynamic_stack: false
    .vgpr_count:     0
    .vgpr_spill_count: 0
    .wavefront_size: 64
  - .agpr_count:     0
    .args:
      - .offset:         0
        .size:           128
        .value_kind:     by_value
    .group_segment_fixed_size: 0
    .kernarg_segment_align: 8
    .kernarg_segment_size: 128
    .language:       OpenCL C
    .language_version:
      - 2
      - 0
    .max_flat_workgroup_size: 128
    .name:           _ZN7rocprim17ROCPRIM_400000_NS6detail17trampoline_kernelINS0_14default_configENS1_25partition_config_selectorILNS1_17partition_subalgoE0EsNS0_10empty_typeEbEEZZNS1_14partition_implILS5_0ELb0ES3_jN6thrust23THRUST_200600_302600_NS6detail15normal_iteratorINSA_10device_ptrIsEEEEPS6_SG_NS0_5tupleIJNSA_16discard_iteratorINSA_11use_defaultEEESF_EEENSH_IJSG_SG_EEES6_PlJ7is_evenIsEEEE10hipError_tPvRmT3_T4_T5_T6_T7_T9_mT8_P12ihipStream_tbDpT10_ENKUlT_T0_E_clISt17integral_constantIbLb0EES19_EEDaS14_S15_EUlS14_E_NS1_11comp_targetILNS1_3genE8ELNS1_11target_archE1030ELNS1_3gpuE2ELNS1_3repE0EEENS1_30default_config_static_selectorELNS0_4arch9wavefront6targetE1EEEvT1_
    .private_segment_fixed_size: 0
    .sgpr_count:     4
    .sgpr_spill_count: 0
    .symbol:         _ZN7rocprim17ROCPRIM_400000_NS6detail17trampoline_kernelINS0_14default_configENS1_25partition_config_selectorILNS1_17partition_subalgoE0EsNS0_10empty_typeEbEEZZNS1_14partition_implILS5_0ELb0ES3_jN6thrust23THRUST_200600_302600_NS6detail15normal_iteratorINSA_10device_ptrIsEEEEPS6_SG_NS0_5tupleIJNSA_16discard_iteratorINSA_11use_defaultEEESF_EEENSH_IJSG_SG_EEES6_PlJ7is_evenIsEEEE10hipError_tPvRmT3_T4_T5_T6_T7_T9_mT8_P12ihipStream_tbDpT10_ENKUlT_T0_E_clISt17integral_constantIbLb0EES19_EEDaS14_S15_EUlS14_E_NS1_11comp_targetILNS1_3genE8ELNS1_11target_archE1030ELNS1_3gpuE2ELNS1_3repE0EEENS1_30default_config_static_selectorELNS0_4arch9wavefront6targetE1EEEvT1_.kd
    .uniform_work_group_size: 1
    .uses_dynamic_stack: false
    .vgpr_count:     0
    .vgpr_spill_count: 0
    .wavefront_size: 64
  - .agpr_count:     0
    .args:
      - .offset:         0
        .size:           144
        .value_kind:     by_value
    .group_segment_fixed_size: 0
    .kernarg_segment_align: 8
    .kernarg_segment_size: 144
    .language:       OpenCL C
    .language_version:
      - 2
      - 0
    .max_flat_workgroup_size: 256
    .name:           _ZN7rocprim17ROCPRIM_400000_NS6detail17trampoline_kernelINS0_14default_configENS1_25partition_config_selectorILNS1_17partition_subalgoE0EsNS0_10empty_typeEbEEZZNS1_14partition_implILS5_0ELb0ES3_jN6thrust23THRUST_200600_302600_NS6detail15normal_iteratorINSA_10device_ptrIsEEEEPS6_SG_NS0_5tupleIJNSA_16discard_iteratorINSA_11use_defaultEEESF_EEENSH_IJSG_SG_EEES6_PlJ7is_evenIsEEEE10hipError_tPvRmT3_T4_T5_T6_T7_T9_mT8_P12ihipStream_tbDpT10_ENKUlT_T0_E_clISt17integral_constantIbLb1EES19_EEDaS14_S15_EUlS14_E_NS1_11comp_targetILNS1_3genE0ELNS1_11target_archE4294967295ELNS1_3gpuE0ELNS1_3repE0EEENS1_30default_config_static_selectorELNS0_4arch9wavefront6targetE1EEEvT1_
    .private_segment_fixed_size: 0
    .sgpr_count:     4
    .sgpr_spill_count: 0
    .symbol:         _ZN7rocprim17ROCPRIM_400000_NS6detail17trampoline_kernelINS0_14default_configENS1_25partition_config_selectorILNS1_17partition_subalgoE0EsNS0_10empty_typeEbEEZZNS1_14partition_implILS5_0ELb0ES3_jN6thrust23THRUST_200600_302600_NS6detail15normal_iteratorINSA_10device_ptrIsEEEEPS6_SG_NS0_5tupleIJNSA_16discard_iteratorINSA_11use_defaultEEESF_EEENSH_IJSG_SG_EEES6_PlJ7is_evenIsEEEE10hipError_tPvRmT3_T4_T5_T6_T7_T9_mT8_P12ihipStream_tbDpT10_ENKUlT_T0_E_clISt17integral_constantIbLb1EES19_EEDaS14_S15_EUlS14_E_NS1_11comp_targetILNS1_3genE0ELNS1_11target_archE4294967295ELNS1_3gpuE0ELNS1_3repE0EEENS1_30default_config_static_selectorELNS0_4arch9wavefront6targetE1EEEvT1_.kd
    .uniform_work_group_size: 1
    .uses_dynamic_stack: false
    .vgpr_count:     0
    .vgpr_spill_count: 0
    .wavefront_size: 64
  - .agpr_count:     0
    .args:
      - .offset:         0
        .size:           144
        .value_kind:     by_value
    .group_segment_fixed_size: 0
    .kernarg_segment_align: 8
    .kernarg_segment_size: 144
    .language:       OpenCL C
    .language_version:
      - 2
      - 0
    .max_flat_workgroup_size: 512
    .name:           _ZN7rocprim17ROCPRIM_400000_NS6detail17trampoline_kernelINS0_14default_configENS1_25partition_config_selectorILNS1_17partition_subalgoE0EsNS0_10empty_typeEbEEZZNS1_14partition_implILS5_0ELb0ES3_jN6thrust23THRUST_200600_302600_NS6detail15normal_iteratorINSA_10device_ptrIsEEEEPS6_SG_NS0_5tupleIJNSA_16discard_iteratorINSA_11use_defaultEEESF_EEENSH_IJSG_SG_EEES6_PlJ7is_evenIsEEEE10hipError_tPvRmT3_T4_T5_T6_T7_T9_mT8_P12ihipStream_tbDpT10_ENKUlT_T0_E_clISt17integral_constantIbLb1EES19_EEDaS14_S15_EUlS14_E_NS1_11comp_targetILNS1_3genE5ELNS1_11target_archE942ELNS1_3gpuE9ELNS1_3repE0EEENS1_30default_config_static_selectorELNS0_4arch9wavefront6targetE1EEEvT1_
    .private_segment_fixed_size: 0
    .sgpr_count:     4
    .sgpr_spill_count: 0
    .symbol:         _ZN7rocprim17ROCPRIM_400000_NS6detail17trampoline_kernelINS0_14default_configENS1_25partition_config_selectorILNS1_17partition_subalgoE0EsNS0_10empty_typeEbEEZZNS1_14partition_implILS5_0ELb0ES3_jN6thrust23THRUST_200600_302600_NS6detail15normal_iteratorINSA_10device_ptrIsEEEEPS6_SG_NS0_5tupleIJNSA_16discard_iteratorINSA_11use_defaultEEESF_EEENSH_IJSG_SG_EEES6_PlJ7is_evenIsEEEE10hipError_tPvRmT3_T4_T5_T6_T7_T9_mT8_P12ihipStream_tbDpT10_ENKUlT_T0_E_clISt17integral_constantIbLb1EES19_EEDaS14_S15_EUlS14_E_NS1_11comp_targetILNS1_3genE5ELNS1_11target_archE942ELNS1_3gpuE9ELNS1_3repE0EEENS1_30default_config_static_selectorELNS0_4arch9wavefront6targetE1EEEvT1_.kd
    .uniform_work_group_size: 1
    .uses_dynamic_stack: false
    .vgpr_count:     0
    .vgpr_spill_count: 0
    .wavefront_size: 64
  - .agpr_count:     0
    .args:
      - .offset:         0
        .size:           144
        .value_kind:     by_value
    .group_segment_fixed_size: 14344
    .kernarg_segment_align: 8
    .kernarg_segment_size: 144
    .language:       OpenCL C
    .language_version:
      - 2
      - 0
    .max_flat_workgroup_size: 256
    .name:           _ZN7rocprim17ROCPRIM_400000_NS6detail17trampoline_kernelINS0_14default_configENS1_25partition_config_selectorILNS1_17partition_subalgoE0EsNS0_10empty_typeEbEEZZNS1_14partition_implILS5_0ELb0ES3_jN6thrust23THRUST_200600_302600_NS6detail15normal_iteratorINSA_10device_ptrIsEEEEPS6_SG_NS0_5tupleIJNSA_16discard_iteratorINSA_11use_defaultEEESF_EEENSH_IJSG_SG_EEES6_PlJ7is_evenIsEEEE10hipError_tPvRmT3_T4_T5_T6_T7_T9_mT8_P12ihipStream_tbDpT10_ENKUlT_T0_E_clISt17integral_constantIbLb1EES19_EEDaS14_S15_EUlS14_E_NS1_11comp_targetILNS1_3genE4ELNS1_11target_archE910ELNS1_3gpuE8ELNS1_3repE0EEENS1_30default_config_static_selectorELNS0_4arch9wavefront6targetE1EEEvT1_
    .private_segment_fixed_size: 0
    .sgpr_count:     46
    .sgpr_spill_count: 0
    .symbol:         _ZN7rocprim17ROCPRIM_400000_NS6detail17trampoline_kernelINS0_14default_configENS1_25partition_config_selectorILNS1_17partition_subalgoE0EsNS0_10empty_typeEbEEZZNS1_14partition_implILS5_0ELb0ES3_jN6thrust23THRUST_200600_302600_NS6detail15normal_iteratorINSA_10device_ptrIsEEEEPS6_SG_NS0_5tupleIJNSA_16discard_iteratorINSA_11use_defaultEEESF_EEENSH_IJSG_SG_EEES6_PlJ7is_evenIsEEEE10hipError_tPvRmT3_T4_T5_T6_T7_T9_mT8_P12ihipStream_tbDpT10_ENKUlT_T0_E_clISt17integral_constantIbLb1EES19_EEDaS14_S15_EUlS14_E_NS1_11comp_targetILNS1_3genE4ELNS1_11target_archE910ELNS1_3gpuE8ELNS1_3repE0EEENS1_30default_config_static_selectorELNS0_4arch9wavefront6targetE1EEEvT1_.kd
    .uniform_work_group_size: 1
    .uses_dynamic_stack: false
    .vgpr_count:     118
    .vgpr_spill_count: 0
    .wavefront_size: 64
  - .agpr_count:     0
    .args:
      - .offset:         0
        .size:           144
        .value_kind:     by_value
    .group_segment_fixed_size: 0
    .kernarg_segment_align: 8
    .kernarg_segment_size: 144
    .language:       OpenCL C
    .language_version:
      - 2
      - 0
    .max_flat_workgroup_size: 256
    .name:           _ZN7rocprim17ROCPRIM_400000_NS6detail17trampoline_kernelINS0_14default_configENS1_25partition_config_selectorILNS1_17partition_subalgoE0EsNS0_10empty_typeEbEEZZNS1_14partition_implILS5_0ELb0ES3_jN6thrust23THRUST_200600_302600_NS6detail15normal_iteratorINSA_10device_ptrIsEEEEPS6_SG_NS0_5tupleIJNSA_16discard_iteratorINSA_11use_defaultEEESF_EEENSH_IJSG_SG_EEES6_PlJ7is_evenIsEEEE10hipError_tPvRmT3_T4_T5_T6_T7_T9_mT8_P12ihipStream_tbDpT10_ENKUlT_T0_E_clISt17integral_constantIbLb1EES19_EEDaS14_S15_EUlS14_E_NS1_11comp_targetILNS1_3genE3ELNS1_11target_archE908ELNS1_3gpuE7ELNS1_3repE0EEENS1_30default_config_static_selectorELNS0_4arch9wavefront6targetE1EEEvT1_
    .private_segment_fixed_size: 0
    .sgpr_count:     4
    .sgpr_spill_count: 0
    .symbol:         _ZN7rocprim17ROCPRIM_400000_NS6detail17trampoline_kernelINS0_14default_configENS1_25partition_config_selectorILNS1_17partition_subalgoE0EsNS0_10empty_typeEbEEZZNS1_14partition_implILS5_0ELb0ES3_jN6thrust23THRUST_200600_302600_NS6detail15normal_iteratorINSA_10device_ptrIsEEEEPS6_SG_NS0_5tupleIJNSA_16discard_iteratorINSA_11use_defaultEEESF_EEENSH_IJSG_SG_EEES6_PlJ7is_evenIsEEEE10hipError_tPvRmT3_T4_T5_T6_T7_T9_mT8_P12ihipStream_tbDpT10_ENKUlT_T0_E_clISt17integral_constantIbLb1EES19_EEDaS14_S15_EUlS14_E_NS1_11comp_targetILNS1_3genE3ELNS1_11target_archE908ELNS1_3gpuE7ELNS1_3repE0EEENS1_30default_config_static_selectorELNS0_4arch9wavefront6targetE1EEEvT1_.kd
    .uniform_work_group_size: 1
    .uses_dynamic_stack: false
    .vgpr_count:     0
    .vgpr_spill_count: 0
    .wavefront_size: 64
  - .agpr_count:     0
    .args:
      - .offset:         0
        .size:           144
        .value_kind:     by_value
    .group_segment_fixed_size: 0
    .kernarg_segment_align: 8
    .kernarg_segment_size: 144
    .language:       OpenCL C
    .language_version:
      - 2
      - 0
    .max_flat_workgroup_size: 256
    .name:           _ZN7rocprim17ROCPRIM_400000_NS6detail17trampoline_kernelINS0_14default_configENS1_25partition_config_selectorILNS1_17partition_subalgoE0EsNS0_10empty_typeEbEEZZNS1_14partition_implILS5_0ELb0ES3_jN6thrust23THRUST_200600_302600_NS6detail15normal_iteratorINSA_10device_ptrIsEEEEPS6_SG_NS0_5tupleIJNSA_16discard_iteratorINSA_11use_defaultEEESF_EEENSH_IJSG_SG_EEES6_PlJ7is_evenIsEEEE10hipError_tPvRmT3_T4_T5_T6_T7_T9_mT8_P12ihipStream_tbDpT10_ENKUlT_T0_E_clISt17integral_constantIbLb1EES19_EEDaS14_S15_EUlS14_E_NS1_11comp_targetILNS1_3genE2ELNS1_11target_archE906ELNS1_3gpuE6ELNS1_3repE0EEENS1_30default_config_static_selectorELNS0_4arch9wavefront6targetE1EEEvT1_
    .private_segment_fixed_size: 0
    .sgpr_count:     4
    .sgpr_spill_count: 0
    .symbol:         _ZN7rocprim17ROCPRIM_400000_NS6detail17trampoline_kernelINS0_14default_configENS1_25partition_config_selectorILNS1_17partition_subalgoE0EsNS0_10empty_typeEbEEZZNS1_14partition_implILS5_0ELb0ES3_jN6thrust23THRUST_200600_302600_NS6detail15normal_iteratorINSA_10device_ptrIsEEEEPS6_SG_NS0_5tupleIJNSA_16discard_iteratorINSA_11use_defaultEEESF_EEENSH_IJSG_SG_EEES6_PlJ7is_evenIsEEEE10hipError_tPvRmT3_T4_T5_T6_T7_T9_mT8_P12ihipStream_tbDpT10_ENKUlT_T0_E_clISt17integral_constantIbLb1EES19_EEDaS14_S15_EUlS14_E_NS1_11comp_targetILNS1_3genE2ELNS1_11target_archE906ELNS1_3gpuE6ELNS1_3repE0EEENS1_30default_config_static_selectorELNS0_4arch9wavefront6targetE1EEEvT1_.kd
    .uniform_work_group_size: 1
    .uses_dynamic_stack: false
    .vgpr_count:     0
    .vgpr_spill_count: 0
    .wavefront_size: 64
  - .agpr_count:     0
    .args:
      - .offset:         0
        .size:           144
        .value_kind:     by_value
    .group_segment_fixed_size: 0
    .kernarg_segment_align: 8
    .kernarg_segment_size: 144
    .language:       OpenCL C
    .language_version:
      - 2
      - 0
    .max_flat_workgroup_size: 384
    .name:           _ZN7rocprim17ROCPRIM_400000_NS6detail17trampoline_kernelINS0_14default_configENS1_25partition_config_selectorILNS1_17partition_subalgoE0EsNS0_10empty_typeEbEEZZNS1_14partition_implILS5_0ELb0ES3_jN6thrust23THRUST_200600_302600_NS6detail15normal_iteratorINSA_10device_ptrIsEEEEPS6_SG_NS0_5tupleIJNSA_16discard_iteratorINSA_11use_defaultEEESF_EEENSH_IJSG_SG_EEES6_PlJ7is_evenIsEEEE10hipError_tPvRmT3_T4_T5_T6_T7_T9_mT8_P12ihipStream_tbDpT10_ENKUlT_T0_E_clISt17integral_constantIbLb1EES19_EEDaS14_S15_EUlS14_E_NS1_11comp_targetILNS1_3genE10ELNS1_11target_archE1200ELNS1_3gpuE4ELNS1_3repE0EEENS1_30default_config_static_selectorELNS0_4arch9wavefront6targetE1EEEvT1_
    .private_segment_fixed_size: 0
    .sgpr_count:     4
    .sgpr_spill_count: 0
    .symbol:         _ZN7rocprim17ROCPRIM_400000_NS6detail17trampoline_kernelINS0_14default_configENS1_25partition_config_selectorILNS1_17partition_subalgoE0EsNS0_10empty_typeEbEEZZNS1_14partition_implILS5_0ELb0ES3_jN6thrust23THRUST_200600_302600_NS6detail15normal_iteratorINSA_10device_ptrIsEEEEPS6_SG_NS0_5tupleIJNSA_16discard_iteratorINSA_11use_defaultEEESF_EEENSH_IJSG_SG_EEES6_PlJ7is_evenIsEEEE10hipError_tPvRmT3_T4_T5_T6_T7_T9_mT8_P12ihipStream_tbDpT10_ENKUlT_T0_E_clISt17integral_constantIbLb1EES19_EEDaS14_S15_EUlS14_E_NS1_11comp_targetILNS1_3genE10ELNS1_11target_archE1200ELNS1_3gpuE4ELNS1_3repE0EEENS1_30default_config_static_selectorELNS0_4arch9wavefront6targetE1EEEvT1_.kd
    .uniform_work_group_size: 1
    .uses_dynamic_stack: false
    .vgpr_count:     0
    .vgpr_spill_count: 0
    .wavefront_size: 64
  - .agpr_count:     0
    .args:
      - .offset:         0
        .size:           144
        .value_kind:     by_value
    .group_segment_fixed_size: 0
    .kernarg_segment_align: 8
    .kernarg_segment_size: 144
    .language:       OpenCL C
    .language_version:
      - 2
      - 0
    .max_flat_workgroup_size: 128
    .name:           _ZN7rocprim17ROCPRIM_400000_NS6detail17trampoline_kernelINS0_14default_configENS1_25partition_config_selectorILNS1_17partition_subalgoE0EsNS0_10empty_typeEbEEZZNS1_14partition_implILS5_0ELb0ES3_jN6thrust23THRUST_200600_302600_NS6detail15normal_iteratorINSA_10device_ptrIsEEEEPS6_SG_NS0_5tupleIJNSA_16discard_iteratorINSA_11use_defaultEEESF_EEENSH_IJSG_SG_EEES6_PlJ7is_evenIsEEEE10hipError_tPvRmT3_T4_T5_T6_T7_T9_mT8_P12ihipStream_tbDpT10_ENKUlT_T0_E_clISt17integral_constantIbLb1EES19_EEDaS14_S15_EUlS14_E_NS1_11comp_targetILNS1_3genE9ELNS1_11target_archE1100ELNS1_3gpuE3ELNS1_3repE0EEENS1_30default_config_static_selectorELNS0_4arch9wavefront6targetE1EEEvT1_
    .private_segment_fixed_size: 0
    .sgpr_count:     4
    .sgpr_spill_count: 0
    .symbol:         _ZN7rocprim17ROCPRIM_400000_NS6detail17trampoline_kernelINS0_14default_configENS1_25partition_config_selectorILNS1_17partition_subalgoE0EsNS0_10empty_typeEbEEZZNS1_14partition_implILS5_0ELb0ES3_jN6thrust23THRUST_200600_302600_NS6detail15normal_iteratorINSA_10device_ptrIsEEEEPS6_SG_NS0_5tupleIJNSA_16discard_iteratorINSA_11use_defaultEEESF_EEENSH_IJSG_SG_EEES6_PlJ7is_evenIsEEEE10hipError_tPvRmT3_T4_T5_T6_T7_T9_mT8_P12ihipStream_tbDpT10_ENKUlT_T0_E_clISt17integral_constantIbLb1EES19_EEDaS14_S15_EUlS14_E_NS1_11comp_targetILNS1_3genE9ELNS1_11target_archE1100ELNS1_3gpuE3ELNS1_3repE0EEENS1_30default_config_static_selectorELNS0_4arch9wavefront6targetE1EEEvT1_.kd
    .uniform_work_group_size: 1
    .uses_dynamic_stack: false
    .vgpr_count:     0
    .vgpr_spill_count: 0
    .wavefront_size: 64
  - .agpr_count:     0
    .args:
      - .offset:         0
        .size:           144
        .value_kind:     by_value
    .group_segment_fixed_size: 0
    .kernarg_segment_align: 8
    .kernarg_segment_size: 144
    .language:       OpenCL C
    .language_version:
      - 2
      - 0
    .max_flat_workgroup_size: 128
    .name:           _ZN7rocprim17ROCPRIM_400000_NS6detail17trampoline_kernelINS0_14default_configENS1_25partition_config_selectorILNS1_17partition_subalgoE0EsNS0_10empty_typeEbEEZZNS1_14partition_implILS5_0ELb0ES3_jN6thrust23THRUST_200600_302600_NS6detail15normal_iteratorINSA_10device_ptrIsEEEEPS6_SG_NS0_5tupleIJNSA_16discard_iteratorINSA_11use_defaultEEESF_EEENSH_IJSG_SG_EEES6_PlJ7is_evenIsEEEE10hipError_tPvRmT3_T4_T5_T6_T7_T9_mT8_P12ihipStream_tbDpT10_ENKUlT_T0_E_clISt17integral_constantIbLb1EES19_EEDaS14_S15_EUlS14_E_NS1_11comp_targetILNS1_3genE8ELNS1_11target_archE1030ELNS1_3gpuE2ELNS1_3repE0EEENS1_30default_config_static_selectorELNS0_4arch9wavefront6targetE1EEEvT1_
    .private_segment_fixed_size: 0
    .sgpr_count:     4
    .sgpr_spill_count: 0
    .symbol:         _ZN7rocprim17ROCPRIM_400000_NS6detail17trampoline_kernelINS0_14default_configENS1_25partition_config_selectorILNS1_17partition_subalgoE0EsNS0_10empty_typeEbEEZZNS1_14partition_implILS5_0ELb0ES3_jN6thrust23THRUST_200600_302600_NS6detail15normal_iteratorINSA_10device_ptrIsEEEEPS6_SG_NS0_5tupleIJNSA_16discard_iteratorINSA_11use_defaultEEESF_EEENSH_IJSG_SG_EEES6_PlJ7is_evenIsEEEE10hipError_tPvRmT3_T4_T5_T6_T7_T9_mT8_P12ihipStream_tbDpT10_ENKUlT_T0_E_clISt17integral_constantIbLb1EES19_EEDaS14_S15_EUlS14_E_NS1_11comp_targetILNS1_3genE8ELNS1_11target_archE1030ELNS1_3gpuE2ELNS1_3repE0EEENS1_30default_config_static_selectorELNS0_4arch9wavefront6targetE1EEEvT1_.kd
    .uniform_work_group_size: 1
    .uses_dynamic_stack: false
    .vgpr_count:     0
    .vgpr_spill_count: 0
    .wavefront_size: 64
  - .agpr_count:     0
    .args:
      - .offset:         0
        .size:           128
        .value_kind:     by_value
    .group_segment_fixed_size: 0
    .kernarg_segment_align: 8
    .kernarg_segment_size: 128
    .language:       OpenCL C
    .language_version:
      - 2
      - 0
    .max_flat_workgroup_size: 256
    .name:           _ZN7rocprim17ROCPRIM_400000_NS6detail17trampoline_kernelINS0_14default_configENS1_25partition_config_selectorILNS1_17partition_subalgoE0EsNS0_10empty_typeEbEEZZNS1_14partition_implILS5_0ELb0ES3_jN6thrust23THRUST_200600_302600_NS6detail15normal_iteratorINSA_10device_ptrIsEEEEPS6_SG_NS0_5tupleIJNSA_16discard_iteratorINSA_11use_defaultEEESF_EEENSH_IJSG_SG_EEES6_PlJ7is_evenIsEEEE10hipError_tPvRmT3_T4_T5_T6_T7_T9_mT8_P12ihipStream_tbDpT10_ENKUlT_T0_E_clISt17integral_constantIbLb1EES18_IbLb0EEEEDaS14_S15_EUlS14_E_NS1_11comp_targetILNS1_3genE0ELNS1_11target_archE4294967295ELNS1_3gpuE0ELNS1_3repE0EEENS1_30default_config_static_selectorELNS0_4arch9wavefront6targetE1EEEvT1_
    .private_segment_fixed_size: 0
    .sgpr_count:     4
    .sgpr_spill_count: 0
    .symbol:         _ZN7rocprim17ROCPRIM_400000_NS6detail17trampoline_kernelINS0_14default_configENS1_25partition_config_selectorILNS1_17partition_subalgoE0EsNS0_10empty_typeEbEEZZNS1_14partition_implILS5_0ELb0ES3_jN6thrust23THRUST_200600_302600_NS6detail15normal_iteratorINSA_10device_ptrIsEEEEPS6_SG_NS0_5tupleIJNSA_16discard_iteratorINSA_11use_defaultEEESF_EEENSH_IJSG_SG_EEES6_PlJ7is_evenIsEEEE10hipError_tPvRmT3_T4_T5_T6_T7_T9_mT8_P12ihipStream_tbDpT10_ENKUlT_T0_E_clISt17integral_constantIbLb1EES18_IbLb0EEEEDaS14_S15_EUlS14_E_NS1_11comp_targetILNS1_3genE0ELNS1_11target_archE4294967295ELNS1_3gpuE0ELNS1_3repE0EEENS1_30default_config_static_selectorELNS0_4arch9wavefront6targetE1EEEvT1_.kd
    .uniform_work_group_size: 1
    .uses_dynamic_stack: false
    .vgpr_count:     0
    .vgpr_spill_count: 0
    .wavefront_size: 64
  - .agpr_count:     0
    .args:
      - .offset:         0
        .size:           128
        .value_kind:     by_value
    .group_segment_fixed_size: 0
    .kernarg_segment_align: 8
    .kernarg_segment_size: 128
    .language:       OpenCL C
    .language_version:
      - 2
      - 0
    .max_flat_workgroup_size: 512
    .name:           _ZN7rocprim17ROCPRIM_400000_NS6detail17trampoline_kernelINS0_14default_configENS1_25partition_config_selectorILNS1_17partition_subalgoE0EsNS0_10empty_typeEbEEZZNS1_14partition_implILS5_0ELb0ES3_jN6thrust23THRUST_200600_302600_NS6detail15normal_iteratorINSA_10device_ptrIsEEEEPS6_SG_NS0_5tupleIJNSA_16discard_iteratorINSA_11use_defaultEEESF_EEENSH_IJSG_SG_EEES6_PlJ7is_evenIsEEEE10hipError_tPvRmT3_T4_T5_T6_T7_T9_mT8_P12ihipStream_tbDpT10_ENKUlT_T0_E_clISt17integral_constantIbLb1EES18_IbLb0EEEEDaS14_S15_EUlS14_E_NS1_11comp_targetILNS1_3genE5ELNS1_11target_archE942ELNS1_3gpuE9ELNS1_3repE0EEENS1_30default_config_static_selectorELNS0_4arch9wavefront6targetE1EEEvT1_
    .private_segment_fixed_size: 0
    .sgpr_count:     4
    .sgpr_spill_count: 0
    .symbol:         _ZN7rocprim17ROCPRIM_400000_NS6detail17trampoline_kernelINS0_14default_configENS1_25partition_config_selectorILNS1_17partition_subalgoE0EsNS0_10empty_typeEbEEZZNS1_14partition_implILS5_0ELb0ES3_jN6thrust23THRUST_200600_302600_NS6detail15normal_iteratorINSA_10device_ptrIsEEEEPS6_SG_NS0_5tupleIJNSA_16discard_iteratorINSA_11use_defaultEEESF_EEENSH_IJSG_SG_EEES6_PlJ7is_evenIsEEEE10hipError_tPvRmT3_T4_T5_T6_T7_T9_mT8_P12ihipStream_tbDpT10_ENKUlT_T0_E_clISt17integral_constantIbLb1EES18_IbLb0EEEEDaS14_S15_EUlS14_E_NS1_11comp_targetILNS1_3genE5ELNS1_11target_archE942ELNS1_3gpuE9ELNS1_3repE0EEENS1_30default_config_static_selectorELNS0_4arch9wavefront6targetE1EEEvT1_.kd
    .uniform_work_group_size: 1
    .uses_dynamic_stack: false
    .vgpr_count:     0
    .vgpr_spill_count: 0
    .wavefront_size: 64
  - .agpr_count:     0
    .args:
      - .offset:         0
        .size:           128
        .value_kind:     by_value
    .group_segment_fixed_size: 14344
    .kernarg_segment_align: 8
    .kernarg_segment_size: 128
    .language:       OpenCL C
    .language_version:
      - 2
      - 0
    .max_flat_workgroup_size: 256
    .name:           _ZN7rocprim17ROCPRIM_400000_NS6detail17trampoline_kernelINS0_14default_configENS1_25partition_config_selectorILNS1_17partition_subalgoE0EsNS0_10empty_typeEbEEZZNS1_14partition_implILS5_0ELb0ES3_jN6thrust23THRUST_200600_302600_NS6detail15normal_iteratorINSA_10device_ptrIsEEEEPS6_SG_NS0_5tupleIJNSA_16discard_iteratorINSA_11use_defaultEEESF_EEENSH_IJSG_SG_EEES6_PlJ7is_evenIsEEEE10hipError_tPvRmT3_T4_T5_T6_T7_T9_mT8_P12ihipStream_tbDpT10_ENKUlT_T0_E_clISt17integral_constantIbLb1EES18_IbLb0EEEEDaS14_S15_EUlS14_E_NS1_11comp_targetILNS1_3genE4ELNS1_11target_archE910ELNS1_3gpuE8ELNS1_3repE0EEENS1_30default_config_static_selectorELNS0_4arch9wavefront6targetE1EEEvT1_
    .private_segment_fixed_size: 0
    .sgpr_count:     48
    .sgpr_spill_count: 0
    .symbol:         _ZN7rocprim17ROCPRIM_400000_NS6detail17trampoline_kernelINS0_14default_configENS1_25partition_config_selectorILNS1_17partition_subalgoE0EsNS0_10empty_typeEbEEZZNS1_14partition_implILS5_0ELb0ES3_jN6thrust23THRUST_200600_302600_NS6detail15normal_iteratorINSA_10device_ptrIsEEEEPS6_SG_NS0_5tupleIJNSA_16discard_iteratorINSA_11use_defaultEEESF_EEENSH_IJSG_SG_EEES6_PlJ7is_evenIsEEEE10hipError_tPvRmT3_T4_T5_T6_T7_T9_mT8_P12ihipStream_tbDpT10_ENKUlT_T0_E_clISt17integral_constantIbLb1EES18_IbLb0EEEEDaS14_S15_EUlS14_E_NS1_11comp_targetILNS1_3genE4ELNS1_11target_archE910ELNS1_3gpuE8ELNS1_3repE0EEENS1_30default_config_static_selectorELNS0_4arch9wavefront6targetE1EEEvT1_.kd
    .uniform_work_group_size: 1
    .uses_dynamic_stack: false
    .vgpr_count:     114
    .vgpr_spill_count: 0
    .wavefront_size: 64
  - .agpr_count:     0
    .args:
      - .offset:         0
        .size:           128
        .value_kind:     by_value
    .group_segment_fixed_size: 0
    .kernarg_segment_align: 8
    .kernarg_segment_size: 128
    .language:       OpenCL C
    .language_version:
      - 2
      - 0
    .max_flat_workgroup_size: 256
    .name:           _ZN7rocprim17ROCPRIM_400000_NS6detail17trampoline_kernelINS0_14default_configENS1_25partition_config_selectorILNS1_17partition_subalgoE0EsNS0_10empty_typeEbEEZZNS1_14partition_implILS5_0ELb0ES3_jN6thrust23THRUST_200600_302600_NS6detail15normal_iteratorINSA_10device_ptrIsEEEEPS6_SG_NS0_5tupleIJNSA_16discard_iteratorINSA_11use_defaultEEESF_EEENSH_IJSG_SG_EEES6_PlJ7is_evenIsEEEE10hipError_tPvRmT3_T4_T5_T6_T7_T9_mT8_P12ihipStream_tbDpT10_ENKUlT_T0_E_clISt17integral_constantIbLb1EES18_IbLb0EEEEDaS14_S15_EUlS14_E_NS1_11comp_targetILNS1_3genE3ELNS1_11target_archE908ELNS1_3gpuE7ELNS1_3repE0EEENS1_30default_config_static_selectorELNS0_4arch9wavefront6targetE1EEEvT1_
    .private_segment_fixed_size: 0
    .sgpr_count:     4
    .sgpr_spill_count: 0
    .symbol:         _ZN7rocprim17ROCPRIM_400000_NS6detail17trampoline_kernelINS0_14default_configENS1_25partition_config_selectorILNS1_17partition_subalgoE0EsNS0_10empty_typeEbEEZZNS1_14partition_implILS5_0ELb0ES3_jN6thrust23THRUST_200600_302600_NS6detail15normal_iteratorINSA_10device_ptrIsEEEEPS6_SG_NS0_5tupleIJNSA_16discard_iteratorINSA_11use_defaultEEESF_EEENSH_IJSG_SG_EEES6_PlJ7is_evenIsEEEE10hipError_tPvRmT3_T4_T5_T6_T7_T9_mT8_P12ihipStream_tbDpT10_ENKUlT_T0_E_clISt17integral_constantIbLb1EES18_IbLb0EEEEDaS14_S15_EUlS14_E_NS1_11comp_targetILNS1_3genE3ELNS1_11target_archE908ELNS1_3gpuE7ELNS1_3repE0EEENS1_30default_config_static_selectorELNS0_4arch9wavefront6targetE1EEEvT1_.kd
    .uniform_work_group_size: 1
    .uses_dynamic_stack: false
    .vgpr_count:     0
    .vgpr_spill_count: 0
    .wavefront_size: 64
  - .agpr_count:     0
    .args:
      - .offset:         0
        .size:           128
        .value_kind:     by_value
    .group_segment_fixed_size: 0
    .kernarg_segment_align: 8
    .kernarg_segment_size: 128
    .language:       OpenCL C
    .language_version:
      - 2
      - 0
    .max_flat_workgroup_size: 256
    .name:           _ZN7rocprim17ROCPRIM_400000_NS6detail17trampoline_kernelINS0_14default_configENS1_25partition_config_selectorILNS1_17partition_subalgoE0EsNS0_10empty_typeEbEEZZNS1_14partition_implILS5_0ELb0ES3_jN6thrust23THRUST_200600_302600_NS6detail15normal_iteratorINSA_10device_ptrIsEEEEPS6_SG_NS0_5tupleIJNSA_16discard_iteratorINSA_11use_defaultEEESF_EEENSH_IJSG_SG_EEES6_PlJ7is_evenIsEEEE10hipError_tPvRmT3_T4_T5_T6_T7_T9_mT8_P12ihipStream_tbDpT10_ENKUlT_T0_E_clISt17integral_constantIbLb1EES18_IbLb0EEEEDaS14_S15_EUlS14_E_NS1_11comp_targetILNS1_3genE2ELNS1_11target_archE906ELNS1_3gpuE6ELNS1_3repE0EEENS1_30default_config_static_selectorELNS0_4arch9wavefront6targetE1EEEvT1_
    .private_segment_fixed_size: 0
    .sgpr_count:     4
    .sgpr_spill_count: 0
    .symbol:         _ZN7rocprim17ROCPRIM_400000_NS6detail17trampoline_kernelINS0_14default_configENS1_25partition_config_selectorILNS1_17partition_subalgoE0EsNS0_10empty_typeEbEEZZNS1_14partition_implILS5_0ELb0ES3_jN6thrust23THRUST_200600_302600_NS6detail15normal_iteratorINSA_10device_ptrIsEEEEPS6_SG_NS0_5tupleIJNSA_16discard_iteratorINSA_11use_defaultEEESF_EEENSH_IJSG_SG_EEES6_PlJ7is_evenIsEEEE10hipError_tPvRmT3_T4_T5_T6_T7_T9_mT8_P12ihipStream_tbDpT10_ENKUlT_T0_E_clISt17integral_constantIbLb1EES18_IbLb0EEEEDaS14_S15_EUlS14_E_NS1_11comp_targetILNS1_3genE2ELNS1_11target_archE906ELNS1_3gpuE6ELNS1_3repE0EEENS1_30default_config_static_selectorELNS0_4arch9wavefront6targetE1EEEvT1_.kd
    .uniform_work_group_size: 1
    .uses_dynamic_stack: false
    .vgpr_count:     0
    .vgpr_spill_count: 0
    .wavefront_size: 64
  - .agpr_count:     0
    .args:
      - .offset:         0
        .size:           128
        .value_kind:     by_value
    .group_segment_fixed_size: 0
    .kernarg_segment_align: 8
    .kernarg_segment_size: 128
    .language:       OpenCL C
    .language_version:
      - 2
      - 0
    .max_flat_workgroup_size: 384
    .name:           _ZN7rocprim17ROCPRIM_400000_NS6detail17trampoline_kernelINS0_14default_configENS1_25partition_config_selectorILNS1_17partition_subalgoE0EsNS0_10empty_typeEbEEZZNS1_14partition_implILS5_0ELb0ES3_jN6thrust23THRUST_200600_302600_NS6detail15normal_iteratorINSA_10device_ptrIsEEEEPS6_SG_NS0_5tupleIJNSA_16discard_iteratorINSA_11use_defaultEEESF_EEENSH_IJSG_SG_EEES6_PlJ7is_evenIsEEEE10hipError_tPvRmT3_T4_T5_T6_T7_T9_mT8_P12ihipStream_tbDpT10_ENKUlT_T0_E_clISt17integral_constantIbLb1EES18_IbLb0EEEEDaS14_S15_EUlS14_E_NS1_11comp_targetILNS1_3genE10ELNS1_11target_archE1200ELNS1_3gpuE4ELNS1_3repE0EEENS1_30default_config_static_selectorELNS0_4arch9wavefront6targetE1EEEvT1_
    .private_segment_fixed_size: 0
    .sgpr_count:     4
    .sgpr_spill_count: 0
    .symbol:         _ZN7rocprim17ROCPRIM_400000_NS6detail17trampoline_kernelINS0_14default_configENS1_25partition_config_selectorILNS1_17partition_subalgoE0EsNS0_10empty_typeEbEEZZNS1_14partition_implILS5_0ELb0ES3_jN6thrust23THRUST_200600_302600_NS6detail15normal_iteratorINSA_10device_ptrIsEEEEPS6_SG_NS0_5tupleIJNSA_16discard_iteratorINSA_11use_defaultEEESF_EEENSH_IJSG_SG_EEES6_PlJ7is_evenIsEEEE10hipError_tPvRmT3_T4_T5_T6_T7_T9_mT8_P12ihipStream_tbDpT10_ENKUlT_T0_E_clISt17integral_constantIbLb1EES18_IbLb0EEEEDaS14_S15_EUlS14_E_NS1_11comp_targetILNS1_3genE10ELNS1_11target_archE1200ELNS1_3gpuE4ELNS1_3repE0EEENS1_30default_config_static_selectorELNS0_4arch9wavefront6targetE1EEEvT1_.kd
    .uniform_work_group_size: 1
    .uses_dynamic_stack: false
    .vgpr_count:     0
    .vgpr_spill_count: 0
    .wavefront_size: 64
  - .agpr_count:     0
    .args:
      - .offset:         0
        .size:           128
        .value_kind:     by_value
    .group_segment_fixed_size: 0
    .kernarg_segment_align: 8
    .kernarg_segment_size: 128
    .language:       OpenCL C
    .language_version:
      - 2
      - 0
    .max_flat_workgroup_size: 128
    .name:           _ZN7rocprim17ROCPRIM_400000_NS6detail17trampoline_kernelINS0_14default_configENS1_25partition_config_selectorILNS1_17partition_subalgoE0EsNS0_10empty_typeEbEEZZNS1_14partition_implILS5_0ELb0ES3_jN6thrust23THRUST_200600_302600_NS6detail15normal_iteratorINSA_10device_ptrIsEEEEPS6_SG_NS0_5tupleIJNSA_16discard_iteratorINSA_11use_defaultEEESF_EEENSH_IJSG_SG_EEES6_PlJ7is_evenIsEEEE10hipError_tPvRmT3_T4_T5_T6_T7_T9_mT8_P12ihipStream_tbDpT10_ENKUlT_T0_E_clISt17integral_constantIbLb1EES18_IbLb0EEEEDaS14_S15_EUlS14_E_NS1_11comp_targetILNS1_3genE9ELNS1_11target_archE1100ELNS1_3gpuE3ELNS1_3repE0EEENS1_30default_config_static_selectorELNS0_4arch9wavefront6targetE1EEEvT1_
    .private_segment_fixed_size: 0
    .sgpr_count:     4
    .sgpr_spill_count: 0
    .symbol:         _ZN7rocprim17ROCPRIM_400000_NS6detail17trampoline_kernelINS0_14default_configENS1_25partition_config_selectorILNS1_17partition_subalgoE0EsNS0_10empty_typeEbEEZZNS1_14partition_implILS5_0ELb0ES3_jN6thrust23THRUST_200600_302600_NS6detail15normal_iteratorINSA_10device_ptrIsEEEEPS6_SG_NS0_5tupleIJNSA_16discard_iteratorINSA_11use_defaultEEESF_EEENSH_IJSG_SG_EEES6_PlJ7is_evenIsEEEE10hipError_tPvRmT3_T4_T5_T6_T7_T9_mT8_P12ihipStream_tbDpT10_ENKUlT_T0_E_clISt17integral_constantIbLb1EES18_IbLb0EEEEDaS14_S15_EUlS14_E_NS1_11comp_targetILNS1_3genE9ELNS1_11target_archE1100ELNS1_3gpuE3ELNS1_3repE0EEENS1_30default_config_static_selectorELNS0_4arch9wavefront6targetE1EEEvT1_.kd
    .uniform_work_group_size: 1
    .uses_dynamic_stack: false
    .vgpr_count:     0
    .vgpr_spill_count: 0
    .wavefront_size: 64
  - .agpr_count:     0
    .args:
      - .offset:         0
        .size:           128
        .value_kind:     by_value
    .group_segment_fixed_size: 0
    .kernarg_segment_align: 8
    .kernarg_segment_size: 128
    .language:       OpenCL C
    .language_version:
      - 2
      - 0
    .max_flat_workgroup_size: 128
    .name:           _ZN7rocprim17ROCPRIM_400000_NS6detail17trampoline_kernelINS0_14default_configENS1_25partition_config_selectorILNS1_17partition_subalgoE0EsNS0_10empty_typeEbEEZZNS1_14partition_implILS5_0ELb0ES3_jN6thrust23THRUST_200600_302600_NS6detail15normal_iteratorINSA_10device_ptrIsEEEEPS6_SG_NS0_5tupleIJNSA_16discard_iteratorINSA_11use_defaultEEESF_EEENSH_IJSG_SG_EEES6_PlJ7is_evenIsEEEE10hipError_tPvRmT3_T4_T5_T6_T7_T9_mT8_P12ihipStream_tbDpT10_ENKUlT_T0_E_clISt17integral_constantIbLb1EES18_IbLb0EEEEDaS14_S15_EUlS14_E_NS1_11comp_targetILNS1_3genE8ELNS1_11target_archE1030ELNS1_3gpuE2ELNS1_3repE0EEENS1_30default_config_static_selectorELNS0_4arch9wavefront6targetE1EEEvT1_
    .private_segment_fixed_size: 0
    .sgpr_count:     4
    .sgpr_spill_count: 0
    .symbol:         _ZN7rocprim17ROCPRIM_400000_NS6detail17trampoline_kernelINS0_14default_configENS1_25partition_config_selectorILNS1_17partition_subalgoE0EsNS0_10empty_typeEbEEZZNS1_14partition_implILS5_0ELb0ES3_jN6thrust23THRUST_200600_302600_NS6detail15normal_iteratorINSA_10device_ptrIsEEEEPS6_SG_NS0_5tupleIJNSA_16discard_iteratorINSA_11use_defaultEEESF_EEENSH_IJSG_SG_EEES6_PlJ7is_evenIsEEEE10hipError_tPvRmT3_T4_T5_T6_T7_T9_mT8_P12ihipStream_tbDpT10_ENKUlT_T0_E_clISt17integral_constantIbLb1EES18_IbLb0EEEEDaS14_S15_EUlS14_E_NS1_11comp_targetILNS1_3genE8ELNS1_11target_archE1030ELNS1_3gpuE2ELNS1_3repE0EEENS1_30default_config_static_selectorELNS0_4arch9wavefront6targetE1EEEvT1_.kd
    .uniform_work_group_size: 1
    .uses_dynamic_stack: false
    .vgpr_count:     0
    .vgpr_spill_count: 0
    .wavefront_size: 64
  - .agpr_count:     0
    .args:
      - .offset:         0
        .size:           144
        .value_kind:     by_value
    .group_segment_fixed_size: 0
    .kernarg_segment_align: 8
    .kernarg_segment_size: 144
    .language:       OpenCL C
    .language_version:
      - 2
      - 0
    .max_flat_workgroup_size: 256
    .name:           _ZN7rocprim17ROCPRIM_400000_NS6detail17trampoline_kernelINS0_14default_configENS1_25partition_config_selectorILNS1_17partition_subalgoE0EsNS0_10empty_typeEbEEZZNS1_14partition_implILS5_0ELb0ES3_jN6thrust23THRUST_200600_302600_NS6detail15normal_iteratorINSA_10device_ptrIsEEEEPS6_SG_NS0_5tupleIJNSA_16discard_iteratorINSA_11use_defaultEEESF_EEENSH_IJSG_SG_EEES6_PlJ7is_evenIsEEEE10hipError_tPvRmT3_T4_T5_T6_T7_T9_mT8_P12ihipStream_tbDpT10_ENKUlT_T0_E_clISt17integral_constantIbLb0EES18_IbLb1EEEEDaS14_S15_EUlS14_E_NS1_11comp_targetILNS1_3genE0ELNS1_11target_archE4294967295ELNS1_3gpuE0ELNS1_3repE0EEENS1_30default_config_static_selectorELNS0_4arch9wavefront6targetE1EEEvT1_
    .private_segment_fixed_size: 0
    .sgpr_count:     4
    .sgpr_spill_count: 0
    .symbol:         _ZN7rocprim17ROCPRIM_400000_NS6detail17trampoline_kernelINS0_14default_configENS1_25partition_config_selectorILNS1_17partition_subalgoE0EsNS0_10empty_typeEbEEZZNS1_14partition_implILS5_0ELb0ES3_jN6thrust23THRUST_200600_302600_NS6detail15normal_iteratorINSA_10device_ptrIsEEEEPS6_SG_NS0_5tupleIJNSA_16discard_iteratorINSA_11use_defaultEEESF_EEENSH_IJSG_SG_EEES6_PlJ7is_evenIsEEEE10hipError_tPvRmT3_T4_T5_T6_T7_T9_mT8_P12ihipStream_tbDpT10_ENKUlT_T0_E_clISt17integral_constantIbLb0EES18_IbLb1EEEEDaS14_S15_EUlS14_E_NS1_11comp_targetILNS1_3genE0ELNS1_11target_archE4294967295ELNS1_3gpuE0ELNS1_3repE0EEENS1_30default_config_static_selectorELNS0_4arch9wavefront6targetE1EEEvT1_.kd
    .uniform_work_group_size: 1
    .uses_dynamic_stack: false
    .vgpr_count:     0
    .vgpr_spill_count: 0
    .wavefront_size: 64
  - .agpr_count:     0
    .args:
      - .offset:         0
        .size:           144
        .value_kind:     by_value
    .group_segment_fixed_size: 0
    .kernarg_segment_align: 8
    .kernarg_segment_size: 144
    .language:       OpenCL C
    .language_version:
      - 2
      - 0
    .max_flat_workgroup_size: 512
    .name:           _ZN7rocprim17ROCPRIM_400000_NS6detail17trampoline_kernelINS0_14default_configENS1_25partition_config_selectorILNS1_17partition_subalgoE0EsNS0_10empty_typeEbEEZZNS1_14partition_implILS5_0ELb0ES3_jN6thrust23THRUST_200600_302600_NS6detail15normal_iteratorINSA_10device_ptrIsEEEEPS6_SG_NS0_5tupleIJNSA_16discard_iteratorINSA_11use_defaultEEESF_EEENSH_IJSG_SG_EEES6_PlJ7is_evenIsEEEE10hipError_tPvRmT3_T4_T5_T6_T7_T9_mT8_P12ihipStream_tbDpT10_ENKUlT_T0_E_clISt17integral_constantIbLb0EES18_IbLb1EEEEDaS14_S15_EUlS14_E_NS1_11comp_targetILNS1_3genE5ELNS1_11target_archE942ELNS1_3gpuE9ELNS1_3repE0EEENS1_30default_config_static_selectorELNS0_4arch9wavefront6targetE1EEEvT1_
    .private_segment_fixed_size: 0
    .sgpr_count:     4
    .sgpr_spill_count: 0
    .symbol:         _ZN7rocprim17ROCPRIM_400000_NS6detail17trampoline_kernelINS0_14default_configENS1_25partition_config_selectorILNS1_17partition_subalgoE0EsNS0_10empty_typeEbEEZZNS1_14partition_implILS5_0ELb0ES3_jN6thrust23THRUST_200600_302600_NS6detail15normal_iteratorINSA_10device_ptrIsEEEEPS6_SG_NS0_5tupleIJNSA_16discard_iteratorINSA_11use_defaultEEESF_EEENSH_IJSG_SG_EEES6_PlJ7is_evenIsEEEE10hipError_tPvRmT3_T4_T5_T6_T7_T9_mT8_P12ihipStream_tbDpT10_ENKUlT_T0_E_clISt17integral_constantIbLb0EES18_IbLb1EEEEDaS14_S15_EUlS14_E_NS1_11comp_targetILNS1_3genE5ELNS1_11target_archE942ELNS1_3gpuE9ELNS1_3repE0EEENS1_30default_config_static_selectorELNS0_4arch9wavefront6targetE1EEEvT1_.kd
    .uniform_work_group_size: 1
    .uses_dynamic_stack: false
    .vgpr_count:     0
    .vgpr_spill_count: 0
    .wavefront_size: 64
  - .agpr_count:     0
    .args:
      - .offset:         0
        .size:           144
        .value_kind:     by_value
    .group_segment_fixed_size: 14344
    .kernarg_segment_align: 8
    .kernarg_segment_size: 144
    .language:       OpenCL C
    .language_version:
      - 2
      - 0
    .max_flat_workgroup_size: 256
    .name:           _ZN7rocprim17ROCPRIM_400000_NS6detail17trampoline_kernelINS0_14default_configENS1_25partition_config_selectorILNS1_17partition_subalgoE0EsNS0_10empty_typeEbEEZZNS1_14partition_implILS5_0ELb0ES3_jN6thrust23THRUST_200600_302600_NS6detail15normal_iteratorINSA_10device_ptrIsEEEEPS6_SG_NS0_5tupleIJNSA_16discard_iteratorINSA_11use_defaultEEESF_EEENSH_IJSG_SG_EEES6_PlJ7is_evenIsEEEE10hipError_tPvRmT3_T4_T5_T6_T7_T9_mT8_P12ihipStream_tbDpT10_ENKUlT_T0_E_clISt17integral_constantIbLb0EES18_IbLb1EEEEDaS14_S15_EUlS14_E_NS1_11comp_targetILNS1_3genE4ELNS1_11target_archE910ELNS1_3gpuE8ELNS1_3repE0EEENS1_30default_config_static_selectorELNS0_4arch9wavefront6targetE1EEEvT1_
    .private_segment_fixed_size: 0
    .sgpr_count:     46
    .sgpr_spill_count: 0
    .symbol:         _ZN7rocprim17ROCPRIM_400000_NS6detail17trampoline_kernelINS0_14default_configENS1_25partition_config_selectorILNS1_17partition_subalgoE0EsNS0_10empty_typeEbEEZZNS1_14partition_implILS5_0ELb0ES3_jN6thrust23THRUST_200600_302600_NS6detail15normal_iteratorINSA_10device_ptrIsEEEEPS6_SG_NS0_5tupleIJNSA_16discard_iteratorINSA_11use_defaultEEESF_EEENSH_IJSG_SG_EEES6_PlJ7is_evenIsEEEE10hipError_tPvRmT3_T4_T5_T6_T7_T9_mT8_P12ihipStream_tbDpT10_ENKUlT_T0_E_clISt17integral_constantIbLb0EES18_IbLb1EEEEDaS14_S15_EUlS14_E_NS1_11comp_targetILNS1_3genE4ELNS1_11target_archE910ELNS1_3gpuE8ELNS1_3repE0EEENS1_30default_config_static_selectorELNS0_4arch9wavefront6targetE1EEEvT1_.kd
    .uniform_work_group_size: 1
    .uses_dynamic_stack: false
    .vgpr_count:     118
    .vgpr_spill_count: 0
    .wavefront_size: 64
  - .agpr_count:     0
    .args:
      - .offset:         0
        .size:           144
        .value_kind:     by_value
    .group_segment_fixed_size: 0
    .kernarg_segment_align: 8
    .kernarg_segment_size: 144
    .language:       OpenCL C
    .language_version:
      - 2
      - 0
    .max_flat_workgroup_size: 256
    .name:           _ZN7rocprim17ROCPRIM_400000_NS6detail17trampoline_kernelINS0_14default_configENS1_25partition_config_selectorILNS1_17partition_subalgoE0EsNS0_10empty_typeEbEEZZNS1_14partition_implILS5_0ELb0ES3_jN6thrust23THRUST_200600_302600_NS6detail15normal_iteratorINSA_10device_ptrIsEEEEPS6_SG_NS0_5tupleIJNSA_16discard_iteratorINSA_11use_defaultEEESF_EEENSH_IJSG_SG_EEES6_PlJ7is_evenIsEEEE10hipError_tPvRmT3_T4_T5_T6_T7_T9_mT8_P12ihipStream_tbDpT10_ENKUlT_T0_E_clISt17integral_constantIbLb0EES18_IbLb1EEEEDaS14_S15_EUlS14_E_NS1_11comp_targetILNS1_3genE3ELNS1_11target_archE908ELNS1_3gpuE7ELNS1_3repE0EEENS1_30default_config_static_selectorELNS0_4arch9wavefront6targetE1EEEvT1_
    .private_segment_fixed_size: 0
    .sgpr_count:     4
    .sgpr_spill_count: 0
    .symbol:         _ZN7rocprim17ROCPRIM_400000_NS6detail17trampoline_kernelINS0_14default_configENS1_25partition_config_selectorILNS1_17partition_subalgoE0EsNS0_10empty_typeEbEEZZNS1_14partition_implILS5_0ELb0ES3_jN6thrust23THRUST_200600_302600_NS6detail15normal_iteratorINSA_10device_ptrIsEEEEPS6_SG_NS0_5tupleIJNSA_16discard_iteratorINSA_11use_defaultEEESF_EEENSH_IJSG_SG_EEES6_PlJ7is_evenIsEEEE10hipError_tPvRmT3_T4_T5_T6_T7_T9_mT8_P12ihipStream_tbDpT10_ENKUlT_T0_E_clISt17integral_constantIbLb0EES18_IbLb1EEEEDaS14_S15_EUlS14_E_NS1_11comp_targetILNS1_3genE3ELNS1_11target_archE908ELNS1_3gpuE7ELNS1_3repE0EEENS1_30default_config_static_selectorELNS0_4arch9wavefront6targetE1EEEvT1_.kd
    .uniform_work_group_size: 1
    .uses_dynamic_stack: false
    .vgpr_count:     0
    .vgpr_spill_count: 0
    .wavefront_size: 64
  - .agpr_count:     0
    .args:
      - .offset:         0
        .size:           144
        .value_kind:     by_value
    .group_segment_fixed_size: 0
    .kernarg_segment_align: 8
    .kernarg_segment_size: 144
    .language:       OpenCL C
    .language_version:
      - 2
      - 0
    .max_flat_workgroup_size: 256
    .name:           _ZN7rocprim17ROCPRIM_400000_NS6detail17trampoline_kernelINS0_14default_configENS1_25partition_config_selectorILNS1_17partition_subalgoE0EsNS0_10empty_typeEbEEZZNS1_14partition_implILS5_0ELb0ES3_jN6thrust23THRUST_200600_302600_NS6detail15normal_iteratorINSA_10device_ptrIsEEEEPS6_SG_NS0_5tupleIJNSA_16discard_iteratorINSA_11use_defaultEEESF_EEENSH_IJSG_SG_EEES6_PlJ7is_evenIsEEEE10hipError_tPvRmT3_T4_T5_T6_T7_T9_mT8_P12ihipStream_tbDpT10_ENKUlT_T0_E_clISt17integral_constantIbLb0EES18_IbLb1EEEEDaS14_S15_EUlS14_E_NS1_11comp_targetILNS1_3genE2ELNS1_11target_archE906ELNS1_3gpuE6ELNS1_3repE0EEENS1_30default_config_static_selectorELNS0_4arch9wavefront6targetE1EEEvT1_
    .private_segment_fixed_size: 0
    .sgpr_count:     4
    .sgpr_spill_count: 0
    .symbol:         _ZN7rocprim17ROCPRIM_400000_NS6detail17trampoline_kernelINS0_14default_configENS1_25partition_config_selectorILNS1_17partition_subalgoE0EsNS0_10empty_typeEbEEZZNS1_14partition_implILS5_0ELb0ES3_jN6thrust23THRUST_200600_302600_NS6detail15normal_iteratorINSA_10device_ptrIsEEEEPS6_SG_NS0_5tupleIJNSA_16discard_iteratorINSA_11use_defaultEEESF_EEENSH_IJSG_SG_EEES6_PlJ7is_evenIsEEEE10hipError_tPvRmT3_T4_T5_T6_T7_T9_mT8_P12ihipStream_tbDpT10_ENKUlT_T0_E_clISt17integral_constantIbLb0EES18_IbLb1EEEEDaS14_S15_EUlS14_E_NS1_11comp_targetILNS1_3genE2ELNS1_11target_archE906ELNS1_3gpuE6ELNS1_3repE0EEENS1_30default_config_static_selectorELNS0_4arch9wavefront6targetE1EEEvT1_.kd
    .uniform_work_group_size: 1
    .uses_dynamic_stack: false
    .vgpr_count:     0
    .vgpr_spill_count: 0
    .wavefront_size: 64
  - .agpr_count:     0
    .args:
      - .offset:         0
        .size:           144
        .value_kind:     by_value
    .group_segment_fixed_size: 0
    .kernarg_segment_align: 8
    .kernarg_segment_size: 144
    .language:       OpenCL C
    .language_version:
      - 2
      - 0
    .max_flat_workgroup_size: 384
    .name:           _ZN7rocprim17ROCPRIM_400000_NS6detail17trampoline_kernelINS0_14default_configENS1_25partition_config_selectorILNS1_17partition_subalgoE0EsNS0_10empty_typeEbEEZZNS1_14partition_implILS5_0ELb0ES3_jN6thrust23THRUST_200600_302600_NS6detail15normal_iteratorINSA_10device_ptrIsEEEEPS6_SG_NS0_5tupleIJNSA_16discard_iteratorINSA_11use_defaultEEESF_EEENSH_IJSG_SG_EEES6_PlJ7is_evenIsEEEE10hipError_tPvRmT3_T4_T5_T6_T7_T9_mT8_P12ihipStream_tbDpT10_ENKUlT_T0_E_clISt17integral_constantIbLb0EES18_IbLb1EEEEDaS14_S15_EUlS14_E_NS1_11comp_targetILNS1_3genE10ELNS1_11target_archE1200ELNS1_3gpuE4ELNS1_3repE0EEENS1_30default_config_static_selectorELNS0_4arch9wavefront6targetE1EEEvT1_
    .private_segment_fixed_size: 0
    .sgpr_count:     4
    .sgpr_spill_count: 0
    .symbol:         _ZN7rocprim17ROCPRIM_400000_NS6detail17trampoline_kernelINS0_14default_configENS1_25partition_config_selectorILNS1_17partition_subalgoE0EsNS0_10empty_typeEbEEZZNS1_14partition_implILS5_0ELb0ES3_jN6thrust23THRUST_200600_302600_NS6detail15normal_iteratorINSA_10device_ptrIsEEEEPS6_SG_NS0_5tupleIJNSA_16discard_iteratorINSA_11use_defaultEEESF_EEENSH_IJSG_SG_EEES6_PlJ7is_evenIsEEEE10hipError_tPvRmT3_T4_T5_T6_T7_T9_mT8_P12ihipStream_tbDpT10_ENKUlT_T0_E_clISt17integral_constantIbLb0EES18_IbLb1EEEEDaS14_S15_EUlS14_E_NS1_11comp_targetILNS1_3genE10ELNS1_11target_archE1200ELNS1_3gpuE4ELNS1_3repE0EEENS1_30default_config_static_selectorELNS0_4arch9wavefront6targetE1EEEvT1_.kd
    .uniform_work_group_size: 1
    .uses_dynamic_stack: false
    .vgpr_count:     0
    .vgpr_spill_count: 0
    .wavefront_size: 64
  - .agpr_count:     0
    .args:
      - .offset:         0
        .size:           144
        .value_kind:     by_value
    .group_segment_fixed_size: 0
    .kernarg_segment_align: 8
    .kernarg_segment_size: 144
    .language:       OpenCL C
    .language_version:
      - 2
      - 0
    .max_flat_workgroup_size: 128
    .name:           _ZN7rocprim17ROCPRIM_400000_NS6detail17trampoline_kernelINS0_14default_configENS1_25partition_config_selectorILNS1_17partition_subalgoE0EsNS0_10empty_typeEbEEZZNS1_14partition_implILS5_0ELb0ES3_jN6thrust23THRUST_200600_302600_NS6detail15normal_iteratorINSA_10device_ptrIsEEEEPS6_SG_NS0_5tupleIJNSA_16discard_iteratorINSA_11use_defaultEEESF_EEENSH_IJSG_SG_EEES6_PlJ7is_evenIsEEEE10hipError_tPvRmT3_T4_T5_T6_T7_T9_mT8_P12ihipStream_tbDpT10_ENKUlT_T0_E_clISt17integral_constantIbLb0EES18_IbLb1EEEEDaS14_S15_EUlS14_E_NS1_11comp_targetILNS1_3genE9ELNS1_11target_archE1100ELNS1_3gpuE3ELNS1_3repE0EEENS1_30default_config_static_selectorELNS0_4arch9wavefront6targetE1EEEvT1_
    .private_segment_fixed_size: 0
    .sgpr_count:     4
    .sgpr_spill_count: 0
    .symbol:         _ZN7rocprim17ROCPRIM_400000_NS6detail17trampoline_kernelINS0_14default_configENS1_25partition_config_selectorILNS1_17partition_subalgoE0EsNS0_10empty_typeEbEEZZNS1_14partition_implILS5_0ELb0ES3_jN6thrust23THRUST_200600_302600_NS6detail15normal_iteratorINSA_10device_ptrIsEEEEPS6_SG_NS0_5tupleIJNSA_16discard_iteratorINSA_11use_defaultEEESF_EEENSH_IJSG_SG_EEES6_PlJ7is_evenIsEEEE10hipError_tPvRmT3_T4_T5_T6_T7_T9_mT8_P12ihipStream_tbDpT10_ENKUlT_T0_E_clISt17integral_constantIbLb0EES18_IbLb1EEEEDaS14_S15_EUlS14_E_NS1_11comp_targetILNS1_3genE9ELNS1_11target_archE1100ELNS1_3gpuE3ELNS1_3repE0EEENS1_30default_config_static_selectorELNS0_4arch9wavefront6targetE1EEEvT1_.kd
    .uniform_work_group_size: 1
    .uses_dynamic_stack: false
    .vgpr_count:     0
    .vgpr_spill_count: 0
    .wavefront_size: 64
  - .agpr_count:     0
    .args:
      - .offset:         0
        .size:           144
        .value_kind:     by_value
    .group_segment_fixed_size: 0
    .kernarg_segment_align: 8
    .kernarg_segment_size: 144
    .language:       OpenCL C
    .language_version:
      - 2
      - 0
    .max_flat_workgroup_size: 128
    .name:           _ZN7rocprim17ROCPRIM_400000_NS6detail17trampoline_kernelINS0_14default_configENS1_25partition_config_selectorILNS1_17partition_subalgoE0EsNS0_10empty_typeEbEEZZNS1_14partition_implILS5_0ELb0ES3_jN6thrust23THRUST_200600_302600_NS6detail15normal_iteratorINSA_10device_ptrIsEEEEPS6_SG_NS0_5tupleIJNSA_16discard_iteratorINSA_11use_defaultEEESF_EEENSH_IJSG_SG_EEES6_PlJ7is_evenIsEEEE10hipError_tPvRmT3_T4_T5_T6_T7_T9_mT8_P12ihipStream_tbDpT10_ENKUlT_T0_E_clISt17integral_constantIbLb0EES18_IbLb1EEEEDaS14_S15_EUlS14_E_NS1_11comp_targetILNS1_3genE8ELNS1_11target_archE1030ELNS1_3gpuE2ELNS1_3repE0EEENS1_30default_config_static_selectorELNS0_4arch9wavefront6targetE1EEEvT1_
    .private_segment_fixed_size: 0
    .sgpr_count:     4
    .sgpr_spill_count: 0
    .symbol:         _ZN7rocprim17ROCPRIM_400000_NS6detail17trampoline_kernelINS0_14default_configENS1_25partition_config_selectorILNS1_17partition_subalgoE0EsNS0_10empty_typeEbEEZZNS1_14partition_implILS5_0ELb0ES3_jN6thrust23THRUST_200600_302600_NS6detail15normal_iteratorINSA_10device_ptrIsEEEEPS6_SG_NS0_5tupleIJNSA_16discard_iteratorINSA_11use_defaultEEESF_EEENSH_IJSG_SG_EEES6_PlJ7is_evenIsEEEE10hipError_tPvRmT3_T4_T5_T6_T7_T9_mT8_P12ihipStream_tbDpT10_ENKUlT_T0_E_clISt17integral_constantIbLb0EES18_IbLb1EEEEDaS14_S15_EUlS14_E_NS1_11comp_targetILNS1_3genE8ELNS1_11target_archE1030ELNS1_3gpuE2ELNS1_3repE0EEENS1_30default_config_static_selectorELNS0_4arch9wavefront6targetE1EEEvT1_.kd
    .uniform_work_group_size: 1
    .uses_dynamic_stack: false
    .vgpr_count:     0
    .vgpr_spill_count: 0
    .wavefront_size: 64
  - .agpr_count:     0
    .args:
      - .offset:         0
        .size:           144
        .value_kind:     by_value
    .group_segment_fixed_size: 0
    .kernarg_segment_align: 8
    .kernarg_segment_size: 144
    .language:       OpenCL C
    .language_version:
      - 2
      - 0
    .max_flat_workgroup_size: 128
    .name:           _ZN7rocprim17ROCPRIM_400000_NS6detail17trampoline_kernelINS0_14default_configENS1_25partition_config_selectorILNS1_17partition_subalgoE1EyNS0_10empty_typeEbEEZZNS1_14partition_implILS5_1ELb0ES3_jN6thrust23THRUST_200600_302600_NS6detail15normal_iteratorINSA_10device_ptrIyEEEEPS6_NSA_18transform_iteratorI7is_evenIyESF_NSA_11use_defaultESK_EENS0_5tupleIJNSA_16discard_iteratorISK_EESO_EEENSM_IJSG_SG_EEES6_PlJS6_EEE10hipError_tPvRmT3_T4_T5_T6_T7_T9_mT8_P12ihipStream_tbDpT10_ENKUlT_T0_E_clISt17integral_constantIbLb0EES1B_EEDaS16_S17_EUlS16_E_NS1_11comp_targetILNS1_3genE0ELNS1_11target_archE4294967295ELNS1_3gpuE0ELNS1_3repE0EEENS1_30default_config_static_selectorELNS0_4arch9wavefront6targetE1EEEvT1_
    .private_segment_fixed_size: 0
    .sgpr_count:     4
    .sgpr_spill_count: 0
    .symbol:         _ZN7rocprim17ROCPRIM_400000_NS6detail17trampoline_kernelINS0_14default_configENS1_25partition_config_selectorILNS1_17partition_subalgoE1EyNS0_10empty_typeEbEEZZNS1_14partition_implILS5_1ELb0ES3_jN6thrust23THRUST_200600_302600_NS6detail15normal_iteratorINSA_10device_ptrIyEEEEPS6_NSA_18transform_iteratorI7is_evenIyESF_NSA_11use_defaultESK_EENS0_5tupleIJNSA_16discard_iteratorISK_EESO_EEENSM_IJSG_SG_EEES6_PlJS6_EEE10hipError_tPvRmT3_T4_T5_T6_T7_T9_mT8_P12ihipStream_tbDpT10_ENKUlT_T0_E_clISt17integral_constantIbLb0EES1B_EEDaS16_S17_EUlS16_E_NS1_11comp_targetILNS1_3genE0ELNS1_11target_archE4294967295ELNS1_3gpuE0ELNS1_3repE0EEENS1_30default_config_static_selectorELNS0_4arch9wavefront6targetE1EEEvT1_.kd
    .uniform_work_group_size: 1
    .uses_dynamic_stack: false
    .vgpr_count:     0
    .vgpr_spill_count: 0
    .wavefront_size: 64
  - .agpr_count:     0
    .args:
      - .offset:         0
        .size:           144
        .value_kind:     by_value
    .group_segment_fixed_size: 0
    .kernarg_segment_align: 8
    .kernarg_segment_size: 144
    .language:       OpenCL C
    .language_version:
      - 2
      - 0
    .max_flat_workgroup_size: 512
    .name:           _ZN7rocprim17ROCPRIM_400000_NS6detail17trampoline_kernelINS0_14default_configENS1_25partition_config_selectorILNS1_17partition_subalgoE1EyNS0_10empty_typeEbEEZZNS1_14partition_implILS5_1ELb0ES3_jN6thrust23THRUST_200600_302600_NS6detail15normal_iteratorINSA_10device_ptrIyEEEEPS6_NSA_18transform_iteratorI7is_evenIyESF_NSA_11use_defaultESK_EENS0_5tupleIJNSA_16discard_iteratorISK_EESO_EEENSM_IJSG_SG_EEES6_PlJS6_EEE10hipError_tPvRmT3_T4_T5_T6_T7_T9_mT8_P12ihipStream_tbDpT10_ENKUlT_T0_E_clISt17integral_constantIbLb0EES1B_EEDaS16_S17_EUlS16_E_NS1_11comp_targetILNS1_3genE5ELNS1_11target_archE942ELNS1_3gpuE9ELNS1_3repE0EEENS1_30default_config_static_selectorELNS0_4arch9wavefront6targetE1EEEvT1_
    .private_segment_fixed_size: 0
    .sgpr_count:     4
    .sgpr_spill_count: 0
    .symbol:         _ZN7rocprim17ROCPRIM_400000_NS6detail17trampoline_kernelINS0_14default_configENS1_25partition_config_selectorILNS1_17partition_subalgoE1EyNS0_10empty_typeEbEEZZNS1_14partition_implILS5_1ELb0ES3_jN6thrust23THRUST_200600_302600_NS6detail15normal_iteratorINSA_10device_ptrIyEEEEPS6_NSA_18transform_iteratorI7is_evenIyESF_NSA_11use_defaultESK_EENS0_5tupleIJNSA_16discard_iteratorISK_EESO_EEENSM_IJSG_SG_EEES6_PlJS6_EEE10hipError_tPvRmT3_T4_T5_T6_T7_T9_mT8_P12ihipStream_tbDpT10_ENKUlT_T0_E_clISt17integral_constantIbLb0EES1B_EEDaS16_S17_EUlS16_E_NS1_11comp_targetILNS1_3genE5ELNS1_11target_archE942ELNS1_3gpuE9ELNS1_3repE0EEENS1_30default_config_static_selectorELNS0_4arch9wavefront6targetE1EEEvT1_.kd
    .uniform_work_group_size: 1
    .uses_dynamic_stack: false
    .vgpr_count:     0
    .vgpr_spill_count: 0
    .wavefront_size: 64
  - .agpr_count:     0
    .args:
      - .offset:         0
        .size:           144
        .value_kind:     by_value
    .group_segment_fixed_size: 6344
    .kernarg_segment_align: 8
    .kernarg_segment_size: 144
    .language:       OpenCL C
    .language_version:
      - 2
      - 0
    .max_flat_workgroup_size: 192
    .name:           _ZN7rocprim17ROCPRIM_400000_NS6detail17trampoline_kernelINS0_14default_configENS1_25partition_config_selectorILNS1_17partition_subalgoE1EyNS0_10empty_typeEbEEZZNS1_14partition_implILS5_1ELb0ES3_jN6thrust23THRUST_200600_302600_NS6detail15normal_iteratorINSA_10device_ptrIyEEEEPS6_NSA_18transform_iteratorI7is_evenIyESF_NSA_11use_defaultESK_EENS0_5tupleIJNSA_16discard_iteratorISK_EESO_EEENSM_IJSG_SG_EEES6_PlJS6_EEE10hipError_tPvRmT3_T4_T5_T6_T7_T9_mT8_P12ihipStream_tbDpT10_ENKUlT_T0_E_clISt17integral_constantIbLb0EES1B_EEDaS16_S17_EUlS16_E_NS1_11comp_targetILNS1_3genE4ELNS1_11target_archE910ELNS1_3gpuE8ELNS1_3repE0EEENS1_30default_config_static_selectorELNS0_4arch9wavefront6targetE1EEEvT1_
    .private_segment_fixed_size: 0
    .sgpr_count:     40
    .sgpr_spill_count: 0
    .symbol:         _ZN7rocprim17ROCPRIM_400000_NS6detail17trampoline_kernelINS0_14default_configENS1_25partition_config_selectorILNS1_17partition_subalgoE1EyNS0_10empty_typeEbEEZZNS1_14partition_implILS5_1ELb0ES3_jN6thrust23THRUST_200600_302600_NS6detail15normal_iteratorINSA_10device_ptrIyEEEEPS6_NSA_18transform_iteratorI7is_evenIyESF_NSA_11use_defaultESK_EENS0_5tupleIJNSA_16discard_iteratorISK_EESO_EEENSM_IJSG_SG_EEES6_PlJS6_EEE10hipError_tPvRmT3_T4_T5_T6_T7_T9_mT8_P12ihipStream_tbDpT10_ENKUlT_T0_E_clISt17integral_constantIbLb0EES1B_EEDaS16_S17_EUlS16_E_NS1_11comp_targetILNS1_3genE4ELNS1_11target_archE910ELNS1_3gpuE8ELNS1_3repE0EEENS1_30default_config_static_selectorELNS0_4arch9wavefront6targetE1EEEvT1_.kd
    .uniform_work_group_size: 1
    .uses_dynamic_stack: false
    .vgpr_count:     42
    .vgpr_spill_count: 0
    .wavefront_size: 64
  - .agpr_count:     0
    .args:
      - .offset:         0
        .size:           144
        .value_kind:     by_value
    .group_segment_fixed_size: 0
    .kernarg_segment_align: 8
    .kernarg_segment_size: 144
    .language:       OpenCL C
    .language_version:
      - 2
      - 0
    .max_flat_workgroup_size: 128
    .name:           _ZN7rocprim17ROCPRIM_400000_NS6detail17trampoline_kernelINS0_14default_configENS1_25partition_config_selectorILNS1_17partition_subalgoE1EyNS0_10empty_typeEbEEZZNS1_14partition_implILS5_1ELb0ES3_jN6thrust23THRUST_200600_302600_NS6detail15normal_iteratorINSA_10device_ptrIyEEEEPS6_NSA_18transform_iteratorI7is_evenIyESF_NSA_11use_defaultESK_EENS0_5tupleIJNSA_16discard_iteratorISK_EESO_EEENSM_IJSG_SG_EEES6_PlJS6_EEE10hipError_tPvRmT3_T4_T5_T6_T7_T9_mT8_P12ihipStream_tbDpT10_ENKUlT_T0_E_clISt17integral_constantIbLb0EES1B_EEDaS16_S17_EUlS16_E_NS1_11comp_targetILNS1_3genE3ELNS1_11target_archE908ELNS1_3gpuE7ELNS1_3repE0EEENS1_30default_config_static_selectorELNS0_4arch9wavefront6targetE1EEEvT1_
    .private_segment_fixed_size: 0
    .sgpr_count:     4
    .sgpr_spill_count: 0
    .symbol:         _ZN7rocprim17ROCPRIM_400000_NS6detail17trampoline_kernelINS0_14default_configENS1_25partition_config_selectorILNS1_17partition_subalgoE1EyNS0_10empty_typeEbEEZZNS1_14partition_implILS5_1ELb0ES3_jN6thrust23THRUST_200600_302600_NS6detail15normal_iteratorINSA_10device_ptrIyEEEEPS6_NSA_18transform_iteratorI7is_evenIyESF_NSA_11use_defaultESK_EENS0_5tupleIJNSA_16discard_iteratorISK_EESO_EEENSM_IJSG_SG_EEES6_PlJS6_EEE10hipError_tPvRmT3_T4_T5_T6_T7_T9_mT8_P12ihipStream_tbDpT10_ENKUlT_T0_E_clISt17integral_constantIbLb0EES1B_EEDaS16_S17_EUlS16_E_NS1_11comp_targetILNS1_3genE3ELNS1_11target_archE908ELNS1_3gpuE7ELNS1_3repE0EEENS1_30default_config_static_selectorELNS0_4arch9wavefront6targetE1EEEvT1_.kd
    .uniform_work_group_size: 1
    .uses_dynamic_stack: false
    .vgpr_count:     0
    .vgpr_spill_count: 0
    .wavefront_size: 64
  - .agpr_count:     0
    .args:
      - .offset:         0
        .size:           144
        .value_kind:     by_value
    .group_segment_fixed_size: 0
    .kernarg_segment_align: 8
    .kernarg_segment_size: 144
    .language:       OpenCL C
    .language_version:
      - 2
      - 0
    .max_flat_workgroup_size: 256
    .name:           _ZN7rocprim17ROCPRIM_400000_NS6detail17trampoline_kernelINS0_14default_configENS1_25partition_config_selectorILNS1_17partition_subalgoE1EyNS0_10empty_typeEbEEZZNS1_14partition_implILS5_1ELb0ES3_jN6thrust23THRUST_200600_302600_NS6detail15normal_iteratorINSA_10device_ptrIyEEEEPS6_NSA_18transform_iteratorI7is_evenIyESF_NSA_11use_defaultESK_EENS0_5tupleIJNSA_16discard_iteratorISK_EESO_EEENSM_IJSG_SG_EEES6_PlJS6_EEE10hipError_tPvRmT3_T4_T5_T6_T7_T9_mT8_P12ihipStream_tbDpT10_ENKUlT_T0_E_clISt17integral_constantIbLb0EES1B_EEDaS16_S17_EUlS16_E_NS1_11comp_targetILNS1_3genE2ELNS1_11target_archE906ELNS1_3gpuE6ELNS1_3repE0EEENS1_30default_config_static_selectorELNS0_4arch9wavefront6targetE1EEEvT1_
    .private_segment_fixed_size: 0
    .sgpr_count:     4
    .sgpr_spill_count: 0
    .symbol:         _ZN7rocprim17ROCPRIM_400000_NS6detail17trampoline_kernelINS0_14default_configENS1_25partition_config_selectorILNS1_17partition_subalgoE1EyNS0_10empty_typeEbEEZZNS1_14partition_implILS5_1ELb0ES3_jN6thrust23THRUST_200600_302600_NS6detail15normal_iteratorINSA_10device_ptrIyEEEEPS6_NSA_18transform_iteratorI7is_evenIyESF_NSA_11use_defaultESK_EENS0_5tupleIJNSA_16discard_iteratorISK_EESO_EEENSM_IJSG_SG_EEES6_PlJS6_EEE10hipError_tPvRmT3_T4_T5_T6_T7_T9_mT8_P12ihipStream_tbDpT10_ENKUlT_T0_E_clISt17integral_constantIbLb0EES1B_EEDaS16_S17_EUlS16_E_NS1_11comp_targetILNS1_3genE2ELNS1_11target_archE906ELNS1_3gpuE6ELNS1_3repE0EEENS1_30default_config_static_selectorELNS0_4arch9wavefront6targetE1EEEvT1_.kd
    .uniform_work_group_size: 1
    .uses_dynamic_stack: false
    .vgpr_count:     0
    .vgpr_spill_count: 0
    .wavefront_size: 64
  - .agpr_count:     0
    .args:
      - .offset:         0
        .size:           144
        .value_kind:     by_value
    .group_segment_fixed_size: 0
    .kernarg_segment_align: 8
    .kernarg_segment_size: 144
    .language:       OpenCL C
    .language_version:
      - 2
      - 0
    .max_flat_workgroup_size: 256
    .name:           _ZN7rocprim17ROCPRIM_400000_NS6detail17trampoline_kernelINS0_14default_configENS1_25partition_config_selectorILNS1_17partition_subalgoE1EyNS0_10empty_typeEbEEZZNS1_14partition_implILS5_1ELb0ES3_jN6thrust23THRUST_200600_302600_NS6detail15normal_iteratorINSA_10device_ptrIyEEEEPS6_NSA_18transform_iteratorI7is_evenIyESF_NSA_11use_defaultESK_EENS0_5tupleIJNSA_16discard_iteratorISK_EESO_EEENSM_IJSG_SG_EEES6_PlJS6_EEE10hipError_tPvRmT3_T4_T5_T6_T7_T9_mT8_P12ihipStream_tbDpT10_ENKUlT_T0_E_clISt17integral_constantIbLb0EES1B_EEDaS16_S17_EUlS16_E_NS1_11comp_targetILNS1_3genE10ELNS1_11target_archE1200ELNS1_3gpuE4ELNS1_3repE0EEENS1_30default_config_static_selectorELNS0_4arch9wavefront6targetE1EEEvT1_
    .private_segment_fixed_size: 0
    .sgpr_count:     4
    .sgpr_spill_count: 0
    .symbol:         _ZN7rocprim17ROCPRIM_400000_NS6detail17trampoline_kernelINS0_14default_configENS1_25partition_config_selectorILNS1_17partition_subalgoE1EyNS0_10empty_typeEbEEZZNS1_14partition_implILS5_1ELb0ES3_jN6thrust23THRUST_200600_302600_NS6detail15normal_iteratorINSA_10device_ptrIyEEEEPS6_NSA_18transform_iteratorI7is_evenIyESF_NSA_11use_defaultESK_EENS0_5tupleIJNSA_16discard_iteratorISK_EESO_EEENSM_IJSG_SG_EEES6_PlJS6_EEE10hipError_tPvRmT3_T4_T5_T6_T7_T9_mT8_P12ihipStream_tbDpT10_ENKUlT_T0_E_clISt17integral_constantIbLb0EES1B_EEDaS16_S17_EUlS16_E_NS1_11comp_targetILNS1_3genE10ELNS1_11target_archE1200ELNS1_3gpuE4ELNS1_3repE0EEENS1_30default_config_static_selectorELNS0_4arch9wavefront6targetE1EEEvT1_.kd
    .uniform_work_group_size: 1
    .uses_dynamic_stack: false
    .vgpr_count:     0
    .vgpr_spill_count: 0
    .wavefront_size: 64
  - .agpr_count:     0
    .args:
      - .offset:         0
        .size:           144
        .value_kind:     by_value
    .group_segment_fixed_size: 0
    .kernarg_segment_align: 8
    .kernarg_segment_size: 144
    .language:       OpenCL C
    .language_version:
      - 2
      - 0
    .max_flat_workgroup_size: 128
    .name:           _ZN7rocprim17ROCPRIM_400000_NS6detail17trampoline_kernelINS0_14default_configENS1_25partition_config_selectorILNS1_17partition_subalgoE1EyNS0_10empty_typeEbEEZZNS1_14partition_implILS5_1ELb0ES3_jN6thrust23THRUST_200600_302600_NS6detail15normal_iteratorINSA_10device_ptrIyEEEEPS6_NSA_18transform_iteratorI7is_evenIyESF_NSA_11use_defaultESK_EENS0_5tupleIJNSA_16discard_iteratorISK_EESO_EEENSM_IJSG_SG_EEES6_PlJS6_EEE10hipError_tPvRmT3_T4_T5_T6_T7_T9_mT8_P12ihipStream_tbDpT10_ENKUlT_T0_E_clISt17integral_constantIbLb0EES1B_EEDaS16_S17_EUlS16_E_NS1_11comp_targetILNS1_3genE9ELNS1_11target_archE1100ELNS1_3gpuE3ELNS1_3repE0EEENS1_30default_config_static_selectorELNS0_4arch9wavefront6targetE1EEEvT1_
    .private_segment_fixed_size: 0
    .sgpr_count:     4
    .sgpr_spill_count: 0
    .symbol:         _ZN7rocprim17ROCPRIM_400000_NS6detail17trampoline_kernelINS0_14default_configENS1_25partition_config_selectorILNS1_17partition_subalgoE1EyNS0_10empty_typeEbEEZZNS1_14partition_implILS5_1ELb0ES3_jN6thrust23THRUST_200600_302600_NS6detail15normal_iteratorINSA_10device_ptrIyEEEEPS6_NSA_18transform_iteratorI7is_evenIyESF_NSA_11use_defaultESK_EENS0_5tupleIJNSA_16discard_iteratorISK_EESO_EEENSM_IJSG_SG_EEES6_PlJS6_EEE10hipError_tPvRmT3_T4_T5_T6_T7_T9_mT8_P12ihipStream_tbDpT10_ENKUlT_T0_E_clISt17integral_constantIbLb0EES1B_EEDaS16_S17_EUlS16_E_NS1_11comp_targetILNS1_3genE9ELNS1_11target_archE1100ELNS1_3gpuE3ELNS1_3repE0EEENS1_30default_config_static_selectorELNS0_4arch9wavefront6targetE1EEEvT1_.kd
    .uniform_work_group_size: 1
    .uses_dynamic_stack: false
    .vgpr_count:     0
    .vgpr_spill_count: 0
    .wavefront_size: 64
  - .agpr_count:     0
    .args:
      - .offset:         0
        .size:           144
        .value_kind:     by_value
    .group_segment_fixed_size: 0
    .kernarg_segment_align: 8
    .kernarg_segment_size: 144
    .language:       OpenCL C
    .language_version:
      - 2
      - 0
    .max_flat_workgroup_size: 512
    .name:           _ZN7rocprim17ROCPRIM_400000_NS6detail17trampoline_kernelINS0_14default_configENS1_25partition_config_selectorILNS1_17partition_subalgoE1EyNS0_10empty_typeEbEEZZNS1_14partition_implILS5_1ELb0ES3_jN6thrust23THRUST_200600_302600_NS6detail15normal_iteratorINSA_10device_ptrIyEEEEPS6_NSA_18transform_iteratorI7is_evenIyESF_NSA_11use_defaultESK_EENS0_5tupleIJNSA_16discard_iteratorISK_EESO_EEENSM_IJSG_SG_EEES6_PlJS6_EEE10hipError_tPvRmT3_T4_T5_T6_T7_T9_mT8_P12ihipStream_tbDpT10_ENKUlT_T0_E_clISt17integral_constantIbLb0EES1B_EEDaS16_S17_EUlS16_E_NS1_11comp_targetILNS1_3genE8ELNS1_11target_archE1030ELNS1_3gpuE2ELNS1_3repE0EEENS1_30default_config_static_selectorELNS0_4arch9wavefront6targetE1EEEvT1_
    .private_segment_fixed_size: 0
    .sgpr_count:     4
    .sgpr_spill_count: 0
    .symbol:         _ZN7rocprim17ROCPRIM_400000_NS6detail17trampoline_kernelINS0_14default_configENS1_25partition_config_selectorILNS1_17partition_subalgoE1EyNS0_10empty_typeEbEEZZNS1_14partition_implILS5_1ELb0ES3_jN6thrust23THRUST_200600_302600_NS6detail15normal_iteratorINSA_10device_ptrIyEEEEPS6_NSA_18transform_iteratorI7is_evenIyESF_NSA_11use_defaultESK_EENS0_5tupleIJNSA_16discard_iteratorISK_EESO_EEENSM_IJSG_SG_EEES6_PlJS6_EEE10hipError_tPvRmT3_T4_T5_T6_T7_T9_mT8_P12ihipStream_tbDpT10_ENKUlT_T0_E_clISt17integral_constantIbLb0EES1B_EEDaS16_S17_EUlS16_E_NS1_11comp_targetILNS1_3genE8ELNS1_11target_archE1030ELNS1_3gpuE2ELNS1_3repE0EEENS1_30default_config_static_selectorELNS0_4arch9wavefront6targetE1EEEvT1_.kd
    .uniform_work_group_size: 1
    .uses_dynamic_stack: false
    .vgpr_count:     0
    .vgpr_spill_count: 0
    .wavefront_size: 64
  - .agpr_count:     0
    .args:
      - .offset:         0
        .size:           160
        .value_kind:     by_value
    .group_segment_fixed_size: 0
    .kernarg_segment_align: 8
    .kernarg_segment_size: 160
    .language:       OpenCL C
    .language_version:
      - 2
      - 0
    .max_flat_workgroup_size: 128
    .name:           _ZN7rocprim17ROCPRIM_400000_NS6detail17trampoline_kernelINS0_14default_configENS1_25partition_config_selectorILNS1_17partition_subalgoE1EyNS0_10empty_typeEbEEZZNS1_14partition_implILS5_1ELb0ES3_jN6thrust23THRUST_200600_302600_NS6detail15normal_iteratorINSA_10device_ptrIyEEEEPS6_NSA_18transform_iteratorI7is_evenIyESF_NSA_11use_defaultESK_EENS0_5tupleIJNSA_16discard_iteratorISK_EESO_EEENSM_IJSG_SG_EEES6_PlJS6_EEE10hipError_tPvRmT3_T4_T5_T6_T7_T9_mT8_P12ihipStream_tbDpT10_ENKUlT_T0_E_clISt17integral_constantIbLb1EES1B_EEDaS16_S17_EUlS16_E_NS1_11comp_targetILNS1_3genE0ELNS1_11target_archE4294967295ELNS1_3gpuE0ELNS1_3repE0EEENS1_30default_config_static_selectorELNS0_4arch9wavefront6targetE1EEEvT1_
    .private_segment_fixed_size: 0
    .sgpr_count:     4
    .sgpr_spill_count: 0
    .symbol:         _ZN7rocprim17ROCPRIM_400000_NS6detail17trampoline_kernelINS0_14default_configENS1_25partition_config_selectorILNS1_17partition_subalgoE1EyNS0_10empty_typeEbEEZZNS1_14partition_implILS5_1ELb0ES3_jN6thrust23THRUST_200600_302600_NS6detail15normal_iteratorINSA_10device_ptrIyEEEEPS6_NSA_18transform_iteratorI7is_evenIyESF_NSA_11use_defaultESK_EENS0_5tupleIJNSA_16discard_iteratorISK_EESO_EEENSM_IJSG_SG_EEES6_PlJS6_EEE10hipError_tPvRmT3_T4_T5_T6_T7_T9_mT8_P12ihipStream_tbDpT10_ENKUlT_T0_E_clISt17integral_constantIbLb1EES1B_EEDaS16_S17_EUlS16_E_NS1_11comp_targetILNS1_3genE0ELNS1_11target_archE4294967295ELNS1_3gpuE0ELNS1_3repE0EEENS1_30default_config_static_selectorELNS0_4arch9wavefront6targetE1EEEvT1_.kd
    .uniform_work_group_size: 1
    .uses_dynamic_stack: false
    .vgpr_count:     0
    .vgpr_spill_count: 0
    .wavefront_size: 64
  - .agpr_count:     0
    .args:
      - .offset:         0
        .size:           160
        .value_kind:     by_value
    .group_segment_fixed_size: 0
    .kernarg_segment_align: 8
    .kernarg_segment_size: 160
    .language:       OpenCL C
    .language_version:
      - 2
      - 0
    .max_flat_workgroup_size: 512
    .name:           _ZN7rocprim17ROCPRIM_400000_NS6detail17trampoline_kernelINS0_14default_configENS1_25partition_config_selectorILNS1_17partition_subalgoE1EyNS0_10empty_typeEbEEZZNS1_14partition_implILS5_1ELb0ES3_jN6thrust23THRUST_200600_302600_NS6detail15normal_iteratorINSA_10device_ptrIyEEEEPS6_NSA_18transform_iteratorI7is_evenIyESF_NSA_11use_defaultESK_EENS0_5tupleIJNSA_16discard_iteratorISK_EESO_EEENSM_IJSG_SG_EEES6_PlJS6_EEE10hipError_tPvRmT3_T4_T5_T6_T7_T9_mT8_P12ihipStream_tbDpT10_ENKUlT_T0_E_clISt17integral_constantIbLb1EES1B_EEDaS16_S17_EUlS16_E_NS1_11comp_targetILNS1_3genE5ELNS1_11target_archE942ELNS1_3gpuE9ELNS1_3repE0EEENS1_30default_config_static_selectorELNS0_4arch9wavefront6targetE1EEEvT1_
    .private_segment_fixed_size: 0
    .sgpr_count:     4
    .sgpr_spill_count: 0
    .symbol:         _ZN7rocprim17ROCPRIM_400000_NS6detail17trampoline_kernelINS0_14default_configENS1_25partition_config_selectorILNS1_17partition_subalgoE1EyNS0_10empty_typeEbEEZZNS1_14partition_implILS5_1ELb0ES3_jN6thrust23THRUST_200600_302600_NS6detail15normal_iteratorINSA_10device_ptrIyEEEEPS6_NSA_18transform_iteratorI7is_evenIyESF_NSA_11use_defaultESK_EENS0_5tupleIJNSA_16discard_iteratorISK_EESO_EEENSM_IJSG_SG_EEES6_PlJS6_EEE10hipError_tPvRmT3_T4_T5_T6_T7_T9_mT8_P12ihipStream_tbDpT10_ENKUlT_T0_E_clISt17integral_constantIbLb1EES1B_EEDaS16_S17_EUlS16_E_NS1_11comp_targetILNS1_3genE5ELNS1_11target_archE942ELNS1_3gpuE9ELNS1_3repE0EEENS1_30default_config_static_selectorELNS0_4arch9wavefront6targetE1EEEvT1_.kd
    .uniform_work_group_size: 1
    .uses_dynamic_stack: false
    .vgpr_count:     0
    .vgpr_spill_count: 0
    .wavefront_size: 64
  - .agpr_count:     0
    .args:
      - .offset:         0
        .size:           160
        .value_kind:     by_value
    .group_segment_fixed_size: 6344
    .kernarg_segment_align: 8
    .kernarg_segment_size: 160
    .language:       OpenCL C
    .language_version:
      - 2
      - 0
    .max_flat_workgroup_size: 192
    .name:           _ZN7rocprim17ROCPRIM_400000_NS6detail17trampoline_kernelINS0_14default_configENS1_25partition_config_selectorILNS1_17partition_subalgoE1EyNS0_10empty_typeEbEEZZNS1_14partition_implILS5_1ELb0ES3_jN6thrust23THRUST_200600_302600_NS6detail15normal_iteratorINSA_10device_ptrIyEEEEPS6_NSA_18transform_iteratorI7is_evenIyESF_NSA_11use_defaultESK_EENS0_5tupleIJNSA_16discard_iteratorISK_EESO_EEENSM_IJSG_SG_EEES6_PlJS6_EEE10hipError_tPvRmT3_T4_T5_T6_T7_T9_mT8_P12ihipStream_tbDpT10_ENKUlT_T0_E_clISt17integral_constantIbLb1EES1B_EEDaS16_S17_EUlS16_E_NS1_11comp_targetILNS1_3genE4ELNS1_11target_archE910ELNS1_3gpuE8ELNS1_3repE0EEENS1_30default_config_static_selectorELNS0_4arch9wavefront6targetE1EEEvT1_
    .private_segment_fixed_size: 0
    .sgpr_count:     40
    .sgpr_spill_count: 0
    .symbol:         _ZN7rocprim17ROCPRIM_400000_NS6detail17trampoline_kernelINS0_14default_configENS1_25partition_config_selectorILNS1_17partition_subalgoE1EyNS0_10empty_typeEbEEZZNS1_14partition_implILS5_1ELb0ES3_jN6thrust23THRUST_200600_302600_NS6detail15normal_iteratorINSA_10device_ptrIyEEEEPS6_NSA_18transform_iteratorI7is_evenIyESF_NSA_11use_defaultESK_EENS0_5tupleIJNSA_16discard_iteratorISK_EESO_EEENSM_IJSG_SG_EEES6_PlJS6_EEE10hipError_tPvRmT3_T4_T5_T6_T7_T9_mT8_P12ihipStream_tbDpT10_ENKUlT_T0_E_clISt17integral_constantIbLb1EES1B_EEDaS16_S17_EUlS16_E_NS1_11comp_targetILNS1_3genE4ELNS1_11target_archE910ELNS1_3gpuE8ELNS1_3repE0EEENS1_30default_config_static_selectorELNS0_4arch9wavefront6targetE1EEEvT1_.kd
    .uniform_work_group_size: 1
    .uses_dynamic_stack: false
    .vgpr_count:     44
    .vgpr_spill_count: 0
    .wavefront_size: 64
  - .agpr_count:     0
    .args:
      - .offset:         0
        .size:           160
        .value_kind:     by_value
    .group_segment_fixed_size: 0
    .kernarg_segment_align: 8
    .kernarg_segment_size: 160
    .language:       OpenCL C
    .language_version:
      - 2
      - 0
    .max_flat_workgroup_size: 128
    .name:           _ZN7rocprim17ROCPRIM_400000_NS6detail17trampoline_kernelINS0_14default_configENS1_25partition_config_selectorILNS1_17partition_subalgoE1EyNS0_10empty_typeEbEEZZNS1_14partition_implILS5_1ELb0ES3_jN6thrust23THRUST_200600_302600_NS6detail15normal_iteratorINSA_10device_ptrIyEEEEPS6_NSA_18transform_iteratorI7is_evenIyESF_NSA_11use_defaultESK_EENS0_5tupleIJNSA_16discard_iteratorISK_EESO_EEENSM_IJSG_SG_EEES6_PlJS6_EEE10hipError_tPvRmT3_T4_T5_T6_T7_T9_mT8_P12ihipStream_tbDpT10_ENKUlT_T0_E_clISt17integral_constantIbLb1EES1B_EEDaS16_S17_EUlS16_E_NS1_11comp_targetILNS1_3genE3ELNS1_11target_archE908ELNS1_3gpuE7ELNS1_3repE0EEENS1_30default_config_static_selectorELNS0_4arch9wavefront6targetE1EEEvT1_
    .private_segment_fixed_size: 0
    .sgpr_count:     4
    .sgpr_spill_count: 0
    .symbol:         _ZN7rocprim17ROCPRIM_400000_NS6detail17trampoline_kernelINS0_14default_configENS1_25partition_config_selectorILNS1_17partition_subalgoE1EyNS0_10empty_typeEbEEZZNS1_14partition_implILS5_1ELb0ES3_jN6thrust23THRUST_200600_302600_NS6detail15normal_iteratorINSA_10device_ptrIyEEEEPS6_NSA_18transform_iteratorI7is_evenIyESF_NSA_11use_defaultESK_EENS0_5tupleIJNSA_16discard_iteratorISK_EESO_EEENSM_IJSG_SG_EEES6_PlJS6_EEE10hipError_tPvRmT3_T4_T5_T6_T7_T9_mT8_P12ihipStream_tbDpT10_ENKUlT_T0_E_clISt17integral_constantIbLb1EES1B_EEDaS16_S17_EUlS16_E_NS1_11comp_targetILNS1_3genE3ELNS1_11target_archE908ELNS1_3gpuE7ELNS1_3repE0EEENS1_30default_config_static_selectorELNS0_4arch9wavefront6targetE1EEEvT1_.kd
    .uniform_work_group_size: 1
    .uses_dynamic_stack: false
    .vgpr_count:     0
    .vgpr_spill_count: 0
    .wavefront_size: 64
  - .agpr_count:     0
    .args:
      - .offset:         0
        .size:           160
        .value_kind:     by_value
    .group_segment_fixed_size: 0
    .kernarg_segment_align: 8
    .kernarg_segment_size: 160
    .language:       OpenCL C
    .language_version:
      - 2
      - 0
    .max_flat_workgroup_size: 256
    .name:           _ZN7rocprim17ROCPRIM_400000_NS6detail17trampoline_kernelINS0_14default_configENS1_25partition_config_selectorILNS1_17partition_subalgoE1EyNS0_10empty_typeEbEEZZNS1_14partition_implILS5_1ELb0ES3_jN6thrust23THRUST_200600_302600_NS6detail15normal_iteratorINSA_10device_ptrIyEEEEPS6_NSA_18transform_iteratorI7is_evenIyESF_NSA_11use_defaultESK_EENS0_5tupleIJNSA_16discard_iteratorISK_EESO_EEENSM_IJSG_SG_EEES6_PlJS6_EEE10hipError_tPvRmT3_T4_T5_T6_T7_T9_mT8_P12ihipStream_tbDpT10_ENKUlT_T0_E_clISt17integral_constantIbLb1EES1B_EEDaS16_S17_EUlS16_E_NS1_11comp_targetILNS1_3genE2ELNS1_11target_archE906ELNS1_3gpuE6ELNS1_3repE0EEENS1_30default_config_static_selectorELNS0_4arch9wavefront6targetE1EEEvT1_
    .private_segment_fixed_size: 0
    .sgpr_count:     4
    .sgpr_spill_count: 0
    .symbol:         _ZN7rocprim17ROCPRIM_400000_NS6detail17trampoline_kernelINS0_14default_configENS1_25partition_config_selectorILNS1_17partition_subalgoE1EyNS0_10empty_typeEbEEZZNS1_14partition_implILS5_1ELb0ES3_jN6thrust23THRUST_200600_302600_NS6detail15normal_iteratorINSA_10device_ptrIyEEEEPS6_NSA_18transform_iteratorI7is_evenIyESF_NSA_11use_defaultESK_EENS0_5tupleIJNSA_16discard_iteratorISK_EESO_EEENSM_IJSG_SG_EEES6_PlJS6_EEE10hipError_tPvRmT3_T4_T5_T6_T7_T9_mT8_P12ihipStream_tbDpT10_ENKUlT_T0_E_clISt17integral_constantIbLb1EES1B_EEDaS16_S17_EUlS16_E_NS1_11comp_targetILNS1_3genE2ELNS1_11target_archE906ELNS1_3gpuE6ELNS1_3repE0EEENS1_30default_config_static_selectorELNS0_4arch9wavefront6targetE1EEEvT1_.kd
    .uniform_work_group_size: 1
    .uses_dynamic_stack: false
    .vgpr_count:     0
    .vgpr_spill_count: 0
    .wavefront_size: 64
  - .agpr_count:     0
    .args:
      - .offset:         0
        .size:           160
        .value_kind:     by_value
    .group_segment_fixed_size: 0
    .kernarg_segment_align: 8
    .kernarg_segment_size: 160
    .language:       OpenCL C
    .language_version:
      - 2
      - 0
    .max_flat_workgroup_size: 256
    .name:           _ZN7rocprim17ROCPRIM_400000_NS6detail17trampoline_kernelINS0_14default_configENS1_25partition_config_selectorILNS1_17partition_subalgoE1EyNS0_10empty_typeEbEEZZNS1_14partition_implILS5_1ELb0ES3_jN6thrust23THRUST_200600_302600_NS6detail15normal_iteratorINSA_10device_ptrIyEEEEPS6_NSA_18transform_iteratorI7is_evenIyESF_NSA_11use_defaultESK_EENS0_5tupleIJNSA_16discard_iteratorISK_EESO_EEENSM_IJSG_SG_EEES6_PlJS6_EEE10hipError_tPvRmT3_T4_T5_T6_T7_T9_mT8_P12ihipStream_tbDpT10_ENKUlT_T0_E_clISt17integral_constantIbLb1EES1B_EEDaS16_S17_EUlS16_E_NS1_11comp_targetILNS1_3genE10ELNS1_11target_archE1200ELNS1_3gpuE4ELNS1_3repE0EEENS1_30default_config_static_selectorELNS0_4arch9wavefront6targetE1EEEvT1_
    .private_segment_fixed_size: 0
    .sgpr_count:     4
    .sgpr_spill_count: 0
    .symbol:         _ZN7rocprim17ROCPRIM_400000_NS6detail17trampoline_kernelINS0_14default_configENS1_25partition_config_selectorILNS1_17partition_subalgoE1EyNS0_10empty_typeEbEEZZNS1_14partition_implILS5_1ELb0ES3_jN6thrust23THRUST_200600_302600_NS6detail15normal_iteratorINSA_10device_ptrIyEEEEPS6_NSA_18transform_iteratorI7is_evenIyESF_NSA_11use_defaultESK_EENS0_5tupleIJNSA_16discard_iteratorISK_EESO_EEENSM_IJSG_SG_EEES6_PlJS6_EEE10hipError_tPvRmT3_T4_T5_T6_T7_T9_mT8_P12ihipStream_tbDpT10_ENKUlT_T0_E_clISt17integral_constantIbLb1EES1B_EEDaS16_S17_EUlS16_E_NS1_11comp_targetILNS1_3genE10ELNS1_11target_archE1200ELNS1_3gpuE4ELNS1_3repE0EEENS1_30default_config_static_selectorELNS0_4arch9wavefront6targetE1EEEvT1_.kd
    .uniform_work_group_size: 1
    .uses_dynamic_stack: false
    .vgpr_count:     0
    .vgpr_spill_count: 0
    .wavefront_size: 64
  - .agpr_count:     0
    .args:
      - .offset:         0
        .size:           160
        .value_kind:     by_value
    .group_segment_fixed_size: 0
    .kernarg_segment_align: 8
    .kernarg_segment_size: 160
    .language:       OpenCL C
    .language_version:
      - 2
      - 0
    .max_flat_workgroup_size: 128
    .name:           _ZN7rocprim17ROCPRIM_400000_NS6detail17trampoline_kernelINS0_14default_configENS1_25partition_config_selectorILNS1_17partition_subalgoE1EyNS0_10empty_typeEbEEZZNS1_14partition_implILS5_1ELb0ES3_jN6thrust23THRUST_200600_302600_NS6detail15normal_iteratorINSA_10device_ptrIyEEEEPS6_NSA_18transform_iteratorI7is_evenIyESF_NSA_11use_defaultESK_EENS0_5tupleIJNSA_16discard_iteratorISK_EESO_EEENSM_IJSG_SG_EEES6_PlJS6_EEE10hipError_tPvRmT3_T4_T5_T6_T7_T9_mT8_P12ihipStream_tbDpT10_ENKUlT_T0_E_clISt17integral_constantIbLb1EES1B_EEDaS16_S17_EUlS16_E_NS1_11comp_targetILNS1_3genE9ELNS1_11target_archE1100ELNS1_3gpuE3ELNS1_3repE0EEENS1_30default_config_static_selectorELNS0_4arch9wavefront6targetE1EEEvT1_
    .private_segment_fixed_size: 0
    .sgpr_count:     4
    .sgpr_spill_count: 0
    .symbol:         _ZN7rocprim17ROCPRIM_400000_NS6detail17trampoline_kernelINS0_14default_configENS1_25partition_config_selectorILNS1_17partition_subalgoE1EyNS0_10empty_typeEbEEZZNS1_14partition_implILS5_1ELb0ES3_jN6thrust23THRUST_200600_302600_NS6detail15normal_iteratorINSA_10device_ptrIyEEEEPS6_NSA_18transform_iteratorI7is_evenIyESF_NSA_11use_defaultESK_EENS0_5tupleIJNSA_16discard_iteratorISK_EESO_EEENSM_IJSG_SG_EEES6_PlJS6_EEE10hipError_tPvRmT3_T4_T5_T6_T7_T9_mT8_P12ihipStream_tbDpT10_ENKUlT_T0_E_clISt17integral_constantIbLb1EES1B_EEDaS16_S17_EUlS16_E_NS1_11comp_targetILNS1_3genE9ELNS1_11target_archE1100ELNS1_3gpuE3ELNS1_3repE0EEENS1_30default_config_static_selectorELNS0_4arch9wavefront6targetE1EEEvT1_.kd
    .uniform_work_group_size: 1
    .uses_dynamic_stack: false
    .vgpr_count:     0
    .vgpr_spill_count: 0
    .wavefront_size: 64
  - .agpr_count:     0
    .args:
      - .offset:         0
        .size:           160
        .value_kind:     by_value
    .group_segment_fixed_size: 0
    .kernarg_segment_align: 8
    .kernarg_segment_size: 160
    .language:       OpenCL C
    .language_version:
      - 2
      - 0
    .max_flat_workgroup_size: 512
    .name:           _ZN7rocprim17ROCPRIM_400000_NS6detail17trampoline_kernelINS0_14default_configENS1_25partition_config_selectorILNS1_17partition_subalgoE1EyNS0_10empty_typeEbEEZZNS1_14partition_implILS5_1ELb0ES3_jN6thrust23THRUST_200600_302600_NS6detail15normal_iteratorINSA_10device_ptrIyEEEEPS6_NSA_18transform_iteratorI7is_evenIyESF_NSA_11use_defaultESK_EENS0_5tupleIJNSA_16discard_iteratorISK_EESO_EEENSM_IJSG_SG_EEES6_PlJS6_EEE10hipError_tPvRmT3_T4_T5_T6_T7_T9_mT8_P12ihipStream_tbDpT10_ENKUlT_T0_E_clISt17integral_constantIbLb1EES1B_EEDaS16_S17_EUlS16_E_NS1_11comp_targetILNS1_3genE8ELNS1_11target_archE1030ELNS1_3gpuE2ELNS1_3repE0EEENS1_30default_config_static_selectorELNS0_4arch9wavefront6targetE1EEEvT1_
    .private_segment_fixed_size: 0
    .sgpr_count:     4
    .sgpr_spill_count: 0
    .symbol:         _ZN7rocprim17ROCPRIM_400000_NS6detail17trampoline_kernelINS0_14default_configENS1_25partition_config_selectorILNS1_17partition_subalgoE1EyNS0_10empty_typeEbEEZZNS1_14partition_implILS5_1ELb0ES3_jN6thrust23THRUST_200600_302600_NS6detail15normal_iteratorINSA_10device_ptrIyEEEEPS6_NSA_18transform_iteratorI7is_evenIyESF_NSA_11use_defaultESK_EENS0_5tupleIJNSA_16discard_iteratorISK_EESO_EEENSM_IJSG_SG_EEES6_PlJS6_EEE10hipError_tPvRmT3_T4_T5_T6_T7_T9_mT8_P12ihipStream_tbDpT10_ENKUlT_T0_E_clISt17integral_constantIbLb1EES1B_EEDaS16_S17_EUlS16_E_NS1_11comp_targetILNS1_3genE8ELNS1_11target_archE1030ELNS1_3gpuE2ELNS1_3repE0EEENS1_30default_config_static_selectorELNS0_4arch9wavefront6targetE1EEEvT1_.kd
    .uniform_work_group_size: 1
    .uses_dynamic_stack: false
    .vgpr_count:     0
    .vgpr_spill_count: 0
    .wavefront_size: 64
  - .agpr_count:     0
    .args:
      - .offset:         0
        .size:           144
        .value_kind:     by_value
    .group_segment_fixed_size: 0
    .kernarg_segment_align: 8
    .kernarg_segment_size: 144
    .language:       OpenCL C
    .language_version:
      - 2
      - 0
    .max_flat_workgroup_size: 128
    .name:           _ZN7rocprim17ROCPRIM_400000_NS6detail17trampoline_kernelINS0_14default_configENS1_25partition_config_selectorILNS1_17partition_subalgoE1EyNS0_10empty_typeEbEEZZNS1_14partition_implILS5_1ELb0ES3_jN6thrust23THRUST_200600_302600_NS6detail15normal_iteratorINSA_10device_ptrIyEEEEPS6_NSA_18transform_iteratorI7is_evenIyESF_NSA_11use_defaultESK_EENS0_5tupleIJNSA_16discard_iteratorISK_EESO_EEENSM_IJSG_SG_EEES6_PlJS6_EEE10hipError_tPvRmT3_T4_T5_T6_T7_T9_mT8_P12ihipStream_tbDpT10_ENKUlT_T0_E_clISt17integral_constantIbLb1EES1A_IbLb0EEEEDaS16_S17_EUlS16_E_NS1_11comp_targetILNS1_3genE0ELNS1_11target_archE4294967295ELNS1_3gpuE0ELNS1_3repE0EEENS1_30default_config_static_selectorELNS0_4arch9wavefront6targetE1EEEvT1_
    .private_segment_fixed_size: 0
    .sgpr_count:     4
    .sgpr_spill_count: 0
    .symbol:         _ZN7rocprim17ROCPRIM_400000_NS6detail17trampoline_kernelINS0_14default_configENS1_25partition_config_selectorILNS1_17partition_subalgoE1EyNS0_10empty_typeEbEEZZNS1_14partition_implILS5_1ELb0ES3_jN6thrust23THRUST_200600_302600_NS6detail15normal_iteratorINSA_10device_ptrIyEEEEPS6_NSA_18transform_iteratorI7is_evenIyESF_NSA_11use_defaultESK_EENS0_5tupleIJNSA_16discard_iteratorISK_EESO_EEENSM_IJSG_SG_EEES6_PlJS6_EEE10hipError_tPvRmT3_T4_T5_T6_T7_T9_mT8_P12ihipStream_tbDpT10_ENKUlT_T0_E_clISt17integral_constantIbLb1EES1A_IbLb0EEEEDaS16_S17_EUlS16_E_NS1_11comp_targetILNS1_3genE0ELNS1_11target_archE4294967295ELNS1_3gpuE0ELNS1_3repE0EEENS1_30default_config_static_selectorELNS0_4arch9wavefront6targetE1EEEvT1_.kd
    .uniform_work_group_size: 1
    .uses_dynamic_stack: false
    .vgpr_count:     0
    .vgpr_spill_count: 0
    .wavefront_size: 64
  - .agpr_count:     0
    .args:
      - .offset:         0
        .size:           144
        .value_kind:     by_value
    .group_segment_fixed_size: 0
    .kernarg_segment_align: 8
    .kernarg_segment_size: 144
    .language:       OpenCL C
    .language_version:
      - 2
      - 0
    .max_flat_workgroup_size: 512
    .name:           _ZN7rocprim17ROCPRIM_400000_NS6detail17trampoline_kernelINS0_14default_configENS1_25partition_config_selectorILNS1_17partition_subalgoE1EyNS0_10empty_typeEbEEZZNS1_14partition_implILS5_1ELb0ES3_jN6thrust23THRUST_200600_302600_NS6detail15normal_iteratorINSA_10device_ptrIyEEEEPS6_NSA_18transform_iteratorI7is_evenIyESF_NSA_11use_defaultESK_EENS0_5tupleIJNSA_16discard_iteratorISK_EESO_EEENSM_IJSG_SG_EEES6_PlJS6_EEE10hipError_tPvRmT3_T4_T5_T6_T7_T9_mT8_P12ihipStream_tbDpT10_ENKUlT_T0_E_clISt17integral_constantIbLb1EES1A_IbLb0EEEEDaS16_S17_EUlS16_E_NS1_11comp_targetILNS1_3genE5ELNS1_11target_archE942ELNS1_3gpuE9ELNS1_3repE0EEENS1_30default_config_static_selectorELNS0_4arch9wavefront6targetE1EEEvT1_
    .private_segment_fixed_size: 0
    .sgpr_count:     4
    .sgpr_spill_count: 0
    .symbol:         _ZN7rocprim17ROCPRIM_400000_NS6detail17trampoline_kernelINS0_14default_configENS1_25partition_config_selectorILNS1_17partition_subalgoE1EyNS0_10empty_typeEbEEZZNS1_14partition_implILS5_1ELb0ES3_jN6thrust23THRUST_200600_302600_NS6detail15normal_iteratorINSA_10device_ptrIyEEEEPS6_NSA_18transform_iteratorI7is_evenIyESF_NSA_11use_defaultESK_EENS0_5tupleIJNSA_16discard_iteratorISK_EESO_EEENSM_IJSG_SG_EEES6_PlJS6_EEE10hipError_tPvRmT3_T4_T5_T6_T7_T9_mT8_P12ihipStream_tbDpT10_ENKUlT_T0_E_clISt17integral_constantIbLb1EES1A_IbLb0EEEEDaS16_S17_EUlS16_E_NS1_11comp_targetILNS1_3genE5ELNS1_11target_archE942ELNS1_3gpuE9ELNS1_3repE0EEENS1_30default_config_static_selectorELNS0_4arch9wavefront6targetE1EEEvT1_.kd
    .uniform_work_group_size: 1
    .uses_dynamic_stack: false
    .vgpr_count:     0
    .vgpr_spill_count: 0
    .wavefront_size: 64
  - .agpr_count:     0
    .args:
      - .offset:         0
        .size:           144
        .value_kind:     by_value
    .group_segment_fixed_size: 6344
    .kernarg_segment_align: 8
    .kernarg_segment_size: 144
    .language:       OpenCL C
    .language_version:
      - 2
      - 0
    .max_flat_workgroup_size: 192
    .name:           _ZN7rocprim17ROCPRIM_400000_NS6detail17trampoline_kernelINS0_14default_configENS1_25partition_config_selectorILNS1_17partition_subalgoE1EyNS0_10empty_typeEbEEZZNS1_14partition_implILS5_1ELb0ES3_jN6thrust23THRUST_200600_302600_NS6detail15normal_iteratorINSA_10device_ptrIyEEEEPS6_NSA_18transform_iteratorI7is_evenIyESF_NSA_11use_defaultESK_EENS0_5tupleIJNSA_16discard_iteratorISK_EESO_EEENSM_IJSG_SG_EEES6_PlJS6_EEE10hipError_tPvRmT3_T4_T5_T6_T7_T9_mT8_P12ihipStream_tbDpT10_ENKUlT_T0_E_clISt17integral_constantIbLb1EES1A_IbLb0EEEEDaS16_S17_EUlS16_E_NS1_11comp_targetILNS1_3genE4ELNS1_11target_archE910ELNS1_3gpuE8ELNS1_3repE0EEENS1_30default_config_static_selectorELNS0_4arch9wavefront6targetE1EEEvT1_
    .private_segment_fixed_size: 0
    .sgpr_count:     40
    .sgpr_spill_count: 0
    .symbol:         _ZN7rocprim17ROCPRIM_400000_NS6detail17trampoline_kernelINS0_14default_configENS1_25partition_config_selectorILNS1_17partition_subalgoE1EyNS0_10empty_typeEbEEZZNS1_14partition_implILS5_1ELb0ES3_jN6thrust23THRUST_200600_302600_NS6detail15normal_iteratorINSA_10device_ptrIyEEEEPS6_NSA_18transform_iteratorI7is_evenIyESF_NSA_11use_defaultESK_EENS0_5tupleIJNSA_16discard_iteratorISK_EESO_EEENSM_IJSG_SG_EEES6_PlJS6_EEE10hipError_tPvRmT3_T4_T5_T6_T7_T9_mT8_P12ihipStream_tbDpT10_ENKUlT_T0_E_clISt17integral_constantIbLb1EES1A_IbLb0EEEEDaS16_S17_EUlS16_E_NS1_11comp_targetILNS1_3genE4ELNS1_11target_archE910ELNS1_3gpuE8ELNS1_3repE0EEENS1_30default_config_static_selectorELNS0_4arch9wavefront6targetE1EEEvT1_.kd
    .uniform_work_group_size: 1
    .uses_dynamic_stack: false
    .vgpr_count:     42
    .vgpr_spill_count: 0
    .wavefront_size: 64
  - .agpr_count:     0
    .args:
      - .offset:         0
        .size:           144
        .value_kind:     by_value
    .group_segment_fixed_size: 0
    .kernarg_segment_align: 8
    .kernarg_segment_size: 144
    .language:       OpenCL C
    .language_version:
      - 2
      - 0
    .max_flat_workgroup_size: 128
    .name:           _ZN7rocprim17ROCPRIM_400000_NS6detail17trampoline_kernelINS0_14default_configENS1_25partition_config_selectorILNS1_17partition_subalgoE1EyNS0_10empty_typeEbEEZZNS1_14partition_implILS5_1ELb0ES3_jN6thrust23THRUST_200600_302600_NS6detail15normal_iteratorINSA_10device_ptrIyEEEEPS6_NSA_18transform_iteratorI7is_evenIyESF_NSA_11use_defaultESK_EENS0_5tupleIJNSA_16discard_iteratorISK_EESO_EEENSM_IJSG_SG_EEES6_PlJS6_EEE10hipError_tPvRmT3_T4_T5_T6_T7_T9_mT8_P12ihipStream_tbDpT10_ENKUlT_T0_E_clISt17integral_constantIbLb1EES1A_IbLb0EEEEDaS16_S17_EUlS16_E_NS1_11comp_targetILNS1_3genE3ELNS1_11target_archE908ELNS1_3gpuE7ELNS1_3repE0EEENS1_30default_config_static_selectorELNS0_4arch9wavefront6targetE1EEEvT1_
    .private_segment_fixed_size: 0
    .sgpr_count:     4
    .sgpr_spill_count: 0
    .symbol:         _ZN7rocprim17ROCPRIM_400000_NS6detail17trampoline_kernelINS0_14default_configENS1_25partition_config_selectorILNS1_17partition_subalgoE1EyNS0_10empty_typeEbEEZZNS1_14partition_implILS5_1ELb0ES3_jN6thrust23THRUST_200600_302600_NS6detail15normal_iteratorINSA_10device_ptrIyEEEEPS6_NSA_18transform_iteratorI7is_evenIyESF_NSA_11use_defaultESK_EENS0_5tupleIJNSA_16discard_iteratorISK_EESO_EEENSM_IJSG_SG_EEES6_PlJS6_EEE10hipError_tPvRmT3_T4_T5_T6_T7_T9_mT8_P12ihipStream_tbDpT10_ENKUlT_T0_E_clISt17integral_constantIbLb1EES1A_IbLb0EEEEDaS16_S17_EUlS16_E_NS1_11comp_targetILNS1_3genE3ELNS1_11target_archE908ELNS1_3gpuE7ELNS1_3repE0EEENS1_30default_config_static_selectorELNS0_4arch9wavefront6targetE1EEEvT1_.kd
    .uniform_work_group_size: 1
    .uses_dynamic_stack: false
    .vgpr_count:     0
    .vgpr_spill_count: 0
    .wavefront_size: 64
  - .agpr_count:     0
    .args:
      - .offset:         0
        .size:           144
        .value_kind:     by_value
    .group_segment_fixed_size: 0
    .kernarg_segment_align: 8
    .kernarg_segment_size: 144
    .language:       OpenCL C
    .language_version:
      - 2
      - 0
    .max_flat_workgroup_size: 256
    .name:           _ZN7rocprim17ROCPRIM_400000_NS6detail17trampoline_kernelINS0_14default_configENS1_25partition_config_selectorILNS1_17partition_subalgoE1EyNS0_10empty_typeEbEEZZNS1_14partition_implILS5_1ELb0ES3_jN6thrust23THRUST_200600_302600_NS6detail15normal_iteratorINSA_10device_ptrIyEEEEPS6_NSA_18transform_iteratorI7is_evenIyESF_NSA_11use_defaultESK_EENS0_5tupleIJNSA_16discard_iteratorISK_EESO_EEENSM_IJSG_SG_EEES6_PlJS6_EEE10hipError_tPvRmT3_T4_T5_T6_T7_T9_mT8_P12ihipStream_tbDpT10_ENKUlT_T0_E_clISt17integral_constantIbLb1EES1A_IbLb0EEEEDaS16_S17_EUlS16_E_NS1_11comp_targetILNS1_3genE2ELNS1_11target_archE906ELNS1_3gpuE6ELNS1_3repE0EEENS1_30default_config_static_selectorELNS0_4arch9wavefront6targetE1EEEvT1_
    .private_segment_fixed_size: 0
    .sgpr_count:     4
    .sgpr_spill_count: 0
    .symbol:         _ZN7rocprim17ROCPRIM_400000_NS6detail17trampoline_kernelINS0_14default_configENS1_25partition_config_selectorILNS1_17partition_subalgoE1EyNS0_10empty_typeEbEEZZNS1_14partition_implILS5_1ELb0ES3_jN6thrust23THRUST_200600_302600_NS6detail15normal_iteratorINSA_10device_ptrIyEEEEPS6_NSA_18transform_iteratorI7is_evenIyESF_NSA_11use_defaultESK_EENS0_5tupleIJNSA_16discard_iteratorISK_EESO_EEENSM_IJSG_SG_EEES6_PlJS6_EEE10hipError_tPvRmT3_T4_T5_T6_T7_T9_mT8_P12ihipStream_tbDpT10_ENKUlT_T0_E_clISt17integral_constantIbLb1EES1A_IbLb0EEEEDaS16_S17_EUlS16_E_NS1_11comp_targetILNS1_3genE2ELNS1_11target_archE906ELNS1_3gpuE6ELNS1_3repE0EEENS1_30default_config_static_selectorELNS0_4arch9wavefront6targetE1EEEvT1_.kd
    .uniform_work_group_size: 1
    .uses_dynamic_stack: false
    .vgpr_count:     0
    .vgpr_spill_count: 0
    .wavefront_size: 64
  - .agpr_count:     0
    .args:
      - .offset:         0
        .size:           144
        .value_kind:     by_value
    .group_segment_fixed_size: 0
    .kernarg_segment_align: 8
    .kernarg_segment_size: 144
    .language:       OpenCL C
    .language_version:
      - 2
      - 0
    .max_flat_workgroup_size: 256
    .name:           _ZN7rocprim17ROCPRIM_400000_NS6detail17trampoline_kernelINS0_14default_configENS1_25partition_config_selectorILNS1_17partition_subalgoE1EyNS0_10empty_typeEbEEZZNS1_14partition_implILS5_1ELb0ES3_jN6thrust23THRUST_200600_302600_NS6detail15normal_iteratorINSA_10device_ptrIyEEEEPS6_NSA_18transform_iteratorI7is_evenIyESF_NSA_11use_defaultESK_EENS0_5tupleIJNSA_16discard_iteratorISK_EESO_EEENSM_IJSG_SG_EEES6_PlJS6_EEE10hipError_tPvRmT3_T4_T5_T6_T7_T9_mT8_P12ihipStream_tbDpT10_ENKUlT_T0_E_clISt17integral_constantIbLb1EES1A_IbLb0EEEEDaS16_S17_EUlS16_E_NS1_11comp_targetILNS1_3genE10ELNS1_11target_archE1200ELNS1_3gpuE4ELNS1_3repE0EEENS1_30default_config_static_selectorELNS0_4arch9wavefront6targetE1EEEvT1_
    .private_segment_fixed_size: 0
    .sgpr_count:     4
    .sgpr_spill_count: 0
    .symbol:         _ZN7rocprim17ROCPRIM_400000_NS6detail17trampoline_kernelINS0_14default_configENS1_25partition_config_selectorILNS1_17partition_subalgoE1EyNS0_10empty_typeEbEEZZNS1_14partition_implILS5_1ELb0ES3_jN6thrust23THRUST_200600_302600_NS6detail15normal_iteratorINSA_10device_ptrIyEEEEPS6_NSA_18transform_iteratorI7is_evenIyESF_NSA_11use_defaultESK_EENS0_5tupleIJNSA_16discard_iteratorISK_EESO_EEENSM_IJSG_SG_EEES6_PlJS6_EEE10hipError_tPvRmT3_T4_T5_T6_T7_T9_mT8_P12ihipStream_tbDpT10_ENKUlT_T0_E_clISt17integral_constantIbLb1EES1A_IbLb0EEEEDaS16_S17_EUlS16_E_NS1_11comp_targetILNS1_3genE10ELNS1_11target_archE1200ELNS1_3gpuE4ELNS1_3repE0EEENS1_30default_config_static_selectorELNS0_4arch9wavefront6targetE1EEEvT1_.kd
    .uniform_work_group_size: 1
    .uses_dynamic_stack: false
    .vgpr_count:     0
    .vgpr_spill_count: 0
    .wavefront_size: 64
  - .agpr_count:     0
    .args:
      - .offset:         0
        .size:           144
        .value_kind:     by_value
    .group_segment_fixed_size: 0
    .kernarg_segment_align: 8
    .kernarg_segment_size: 144
    .language:       OpenCL C
    .language_version:
      - 2
      - 0
    .max_flat_workgroup_size: 128
    .name:           _ZN7rocprim17ROCPRIM_400000_NS6detail17trampoline_kernelINS0_14default_configENS1_25partition_config_selectorILNS1_17partition_subalgoE1EyNS0_10empty_typeEbEEZZNS1_14partition_implILS5_1ELb0ES3_jN6thrust23THRUST_200600_302600_NS6detail15normal_iteratorINSA_10device_ptrIyEEEEPS6_NSA_18transform_iteratorI7is_evenIyESF_NSA_11use_defaultESK_EENS0_5tupleIJNSA_16discard_iteratorISK_EESO_EEENSM_IJSG_SG_EEES6_PlJS6_EEE10hipError_tPvRmT3_T4_T5_T6_T7_T9_mT8_P12ihipStream_tbDpT10_ENKUlT_T0_E_clISt17integral_constantIbLb1EES1A_IbLb0EEEEDaS16_S17_EUlS16_E_NS1_11comp_targetILNS1_3genE9ELNS1_11target_archE1100ELNS1_3gpuE3ELNS1_3repE0EEENS1_30default_config_static_selectorELNS0_4arch9wavefront6targetE1EEEvT1_
    .private_segment_fixed_size: 0
    .sgpr_count:     4
    .sgpr_spill_count: 0
    .symbol:         _ZN7rocprim17ROCPRIM_400000_NS6detail17trampoline_kernelINS0_14default_configENS1_25partition_config_selectorILNS1_17partition_subalgoE1EyNS0_10empty_typeEbEEZZNS1_14partition_implILS5_1ELb0ES3_jN6thrust23THRUST_200600_302600_NS6detail15normal_iteratorINSA_10device_ptrIyEEEEPS6_NSA_18transform_iteratorI7is_evenIyESF_NSA_11use_defaultESK_EENS0_5tupleIJNSA_16discard_iteratorISK_EESO_EEENSM_IJSG_SG_EEES6_PlJS6_EEE10hipError_tPvRmT3_T4_T5_T6_T7_T9_mT8_P12ihipStream_tbDpT10_ENKUlT_T0_E_clISt17integral_constantIbLb1EES1A_IbLb0EEEEDaS16_S17_EUlS16_E_NS1_11comp_targetILNS1_3genE9ELNS1_11target_archE1100ELNS1_3gpuE3ELNS1_3repE0EEENS1_30default_config_static_selectorELNS0_4arch9wavefront6targetE1EEEvT1_.kd
    .uniform_work_group_size: 1
    .uses_dynamic_stack: false
    .vgpr_count:     0
    .vgpr_spill_count: 0
    .wavefront_size: 64
  - .agpr_count:     0
    .args:
      - .offset:         0
        .size:           144
        .value_kind:     by_value
    .group_segment_fixed_size: 0
    .kernarg_segment_align: 8
    .kernarg_segment_size: 144
    .language:       OpenCL C
    .language_version:
      - 2
      - 0
    .max_flat_workgroup_size: 512
    .name:           _ZN7rocprim17ROCPRIM_400000_NS6detail17trampoline_kernelINS0_14default_configENS1_25partition_config_selectorILNS1_17partition_subalgoE1EyNS0_10empty_typeEbEEZZNS1_14partition_implILS5_1ELb0ES3_jN6thrust23THRUST_200600_302600_NS6detail15normal_iteratorINSA_10device_ptrIyEEEEPS6_NSA_18transform_iteratorI7is_evenIyESF_NSA_11use_defaultESK_EENS0_5tupleIJNSA_16discard_iteratorISK_EESO_EEENSM_IJSG_SG_EEES6_PlJS6_EEE10hipError_tPvRmT3_T4_T5_T6_T7_T9_mT8_P12ihipStream_tbDpT10_ENKUlT_T0_E_clISt17integral_constantIbLb1EES1A_IbLb0EEEEDaS16_S17_EUlS16_E_NS1_11comp_targetILNS1_3genE8ELNS1_11target_archE1030ELNS1_3gpuE2ELNS1_3repE0EEENS1_30default_config_static_selectorELNS0_4arch9wavefront6targetE1EEEvT1_
    .private_segment_fixed_size: 0
    .sgpr_count:     4
    .sgpr_spill_count: 0
    .symbol:         _ZN7rocprim17ROCPRIM_400000_NS6detail17trampoline_kernelINS0_14default_configENS1_25partition_config_selectorILNS1_17partition_subalgoE1EyNS0_10empty_typeEbEEZZNS1_14partition_implILS5_1ELb0ES3_jN6thrust23THRUST_200600_302600_NS6detail15normal_iteratorINSA_10device_ptrIyEEEEPS6_NSA_18transform_iteratorI7is_evenIyESF_NSA_11use_defaultESK_EENS0_5tupleIJNSA_16discard_iteratorISK_EESO_EEENSM_IJSG_SG_EEES6_PlJS6_EEE10hipError_tPvRmT3_T4_T5_T6_T7_T9_mT8_P12ihipStream_tbDpT10_ENKUlT_T0_E_clISt17integral_constantIbLb1EES1A_IbLb0EEEEDaS16_S17_EUlS16_E_NS1_11comp_targetILNS1_3genE8ELNS1_11target_archE1030ELNS1_3gpuE2ELNS1_3repE0EEENS1_30default_config_static_selectorELNS0_4arch9wavefront6targetE1EEEvT1_.kd
    .uniform_work_group_size: 1
    .uses_dynamic_stack: false
    .vgpr_count:     0
    .vgpr_spill_count: 0
    .wavefront_size: 64
  - .agpr_count:     0
    .args:
      - .offset:         0
        .size:           160
        .value_kind:     by_value
    .group_segment_fixed_size: 0
    .kernarg_segment_align: 8
    .kernarg_segment_size: 160
    .language:       OpenCL C
    .language_version:
      - 2
      - 0
    .max_flat_workgroup_size: 128
    .name:           _ZN7rocprim17ROCPRIM_400000_NS6detail17trampoline_kernelINS0_14default_configENS1_25partition_config_selectorILNS1_17partition_subalgoE1EyNS0_10empty_typeEbEEZZNS1_14partition_implILS5_1ELb0ES3_jN6thrust23THRUST_200600_302600_NS6detail15normal_iteratorINSA_10device_ptrIyEEEEPS6_NSA_18transform_iteratorI7is_evenIyESF_NSA_11use_defaultESK_EENS0_5tupleIJNSA_16discard_iteratorISK_EESO_EEENSM_IJSG_SG_EEES6_PlJS6_EEE10hipError_tPvRmT3_T4_T5_T6_T7_T9_mT8_P12ihipStream_tbDpT10_ENKUlT_T0_E_clISt17integral_constantIbLb0EES1A_IbLb1EEEEDaS16_S17_EUlS16_E_NS1_11comp_targetILNS1_3genE0ELNS1_11target_archE4294967295ELNS1_3gpuE0ELNS1_3repE0EEENS1_30default_config_static_selectorELNS0_4arch9wavefront6targetE1EEEvT1_
    .private_segment_fixed_size: 0
    .sgpr_count:     4
    .sgpr_spill_count: 0
    .symbol:         _ZN7rocprim17ROCPRIM_400000_NS6detail17trampoline_kernelINS0_14default_configENS1_25partition_config_selectorILNS1_17partition_subalgoE1EyNS0_10empty_typeEbEEZZNS1_14partition_implILS5_1ELb0ES3_jN6thrust23THRUST_200600_302600_NS6detail15normal_iteratorINSA_10device_ptrIyEEEEPS6_NSA_18transform_iteratorI7is_evenIyESF_NSA_11use_defaultESK_EENS0_5tupleIJNSA_16discard_iteratorISK_EESO_EEENSM_IJSG_SG_EEES6_PlJS6_EEE10hipError_tPvRmT3_T4_T5_T6_T7_T9_mT8_P12ihipStream_tbDpT10_ENKUlT_T0_E_clISt17integral_constantIbLb0EES1A_IbLb1EEEEDaS16_S17_EUlS16_E_NS1_11comp_targetILNS1_3genE0ELNS1_11target_archE4294967295ELNS1_3gpuE0ELNS1_3repE0EEENS1_30default_config_static_selectorELNS0_4arch9wavefront6targetE1EEEvT1_.kd
    .uniform_work_group_size: 1
    .uses_dynamic_stack: false
    .vgpr_count:     0
    .vgpr_spill_count: 0
    .wavefront_size: 64
  - .agpr_count:     0
    .args:
      - .offset:         0
        .size:           160
        .value_kind:     by_value
    .group_segment_fixed_size: 0
    .kernarg_segment_align: 8
    .kernarg_segment_size: 160
    .language:       OpenCL C
    .language_version:
      - 2
      - 0
    .max_flat_workgroup_size: 512
    .name:           _ZN7rocprim17ROCPRIM_400000_NS6detail17trampoline_kernelINS0_14default_configENS1_25partition_config_selectorILNS1_17partition_subalgoE1EyNS0_10empty_typeEbEEZZNS1_14partition_implILS5_1ELb0ES3_jN6thrust23THRUST_200600_302600_NS6detail15normal_iteratorINSA_10device_ptrIyEEEEPS6_NSA_18transform_iteratorI7is_evenIyESF_NSA_11use_defaultESK_EENS0_5tupleIJNSA_16discard_iteratorISK_EESO_EEENSM_IJSG_SG_EEES6_PlJS6_EEE10hipError_tPvRmT3_T4_T5_T6_T7_T9_mT8_P12ihipStream_tbDpT10_ENKUlT_T0_E_clISt17integral_constantIbLb0EES1A_IbLb1EEEEDaS16_S17_EUlS16_E_NS1_11comp_targetILNS1_3genE5ELNS1_11target_archE942ELNS1_3gpuE9ELNS1_3repE0EEENS1_30default_config_static_selectorELNS0_4arch9wavefront6targetE1EEEvT1_
    .private_segment_fixed_size: 0
    .sgpr_count:     4
    .sgpr_spill_count: 0
    .symbol:         _ZN7rocprim17ROCPRIM_400000_NS6detail17trampoline_kernelINS0_14default_configENS1_25partition_config_selectorILNS1_17partition_subalgoE1EyNS0_10empty_typeEbEEZZNS1_14partition_implILS5_1ELb0ES3_jN6thrust23THRUST_200600_302600_NS6detail15normal_iteratorINSA_10device_ptrIyEEEEPS6_NSA_18transform_iteratorI7is_evenIyESF_NSA_11use_defaultESK_EENS0_5tupleIJNSA_16discard_iteratorISK_EESO_EEENSM_IJSG_SG_EEES6_PlJS6_EEE10hipError_tPvRmT3_T4_T5_T6_T7_T9_mT8_P12ihipStream_tbDpT10_ENKUlT_T0_E_clISt17integral_constantIbLb0EES1A_IbLb1EEEEDaS16_S17_EUlS16_E_NS1_11comp_targetILNS1_3genE5ELNS1_11target_archE942ELNS1_3gpuE9ELNS1_3repE0EEENS1_30default_config_static_selectorELNS0_4arch9wavefront6targetE1EEEvT1_.kd
    .uniform_work_group_size: 1
    .uses_dynamic_stack: false
    .vgpr_count:     0
    .vgpr_spill_count: 0
    .wavefront_size: 64
  - .agpr_count:     0
    .args:
      - .offset:         0
        .size:           160
        .value_kind:     by_value
    .group_segment_fixed_size: 6344
    .kernarg_segment_align: 8
    .kernarg_segment_size: 160
    .language:       OpenCL C
    .language_version:
      - 2
      - 0
    .max_flat_workgroup_size: 192
    .name:           _ZN7rocprim17ROCPRIM_400000_NS6detail17trampoline_kernelINS0_14default_configENS1_25partition_config_selectorILNS1_17partition_subalgoE1EyNS0_10empty_typeEbEEZZNS1_14partition_implILS5_1ELb0ES3_jN6thrust23THRUST_200600_302600_NS6detail15normal_iteratorINSA_10device_ptrIyEEEEPS6_NSA_18transform_iteratorI7is_evenIyESF_NSA_11use_defaultESK_EENS0_5tupleIJNSA_16discard_iteratorISK_EESO_EEENSM_IJSG_SG_EEES6_PlJS6_EEE10hipError_tPvRmT3_T4_T5_T6_T7_T9_mT8_P12ihipStream_tbDpT10_ENKUlT_T0_E_clISt17integral_constantIbLb0EES1A_IbLb1EEEEDaS16_S17_EUlS16_E_NS1_11comp_targetILNS1_3genE4ELNS1_11target_archE910ELNS1_3gpuE8ELNS1_3repE0EEENS1_30default_config_static_selectorELNS0_4arch9wavefront6targetE1EEEvT1_
    .private_segment_fixed_size: 0
    .sgpr_count:     40
    .sgpr_spill_count: 0
    .symbol:         _ZN7rocprim17ROCPRIM_400000_NS6detail17trampoline_kernelINS0_14default_configENS1_25partition_config_selectorILNS1_17partition_subalgoE1EyNS0_10empty_typeEbEEZZNS1_14partition_implILS5_1ELb0ES3_jN6thrust23THRUST_200600_302600_NS6detail15normal_iteratorINSA_10device_ptrIyEEEEPS6_NSA_18transform_iteratorI7is_evenIyESF_NSA_11use_defaultESK_EENS0_5tupleIJNSA_16discard_iteratorISK_EESO_EEENSM_IJSG_SG_EEES6_PlJS6_EEE10hipError_tPvRmT3_T4_T5_T6_T7_T9_mT8_P12ihipStream_tbDpT10_ENKUlT_T0_E_clISt17integral_constantIbLb0EES1A_IbLb1EEEEDaS16_S17_EUlS16_E_NS1_11comp_targetILNS1_3genE4ELNS1_11target_archE910ELNS1_3gpuE8ELNS1_3repE0EEENS1_30default_config_static_selectorELNS0_4arch9wavefront6targetE1EEEvT1_.kd
    .uniform_work_group_size: 1
    .uses_dynamic_stack: false
    .vgpr_count:     44
    .vgpr_spill_count: 0
    .wavefront_size: 64
  - .agpr_count:     0
    .args:
      - .offset:         0
        .size:           160
        .value_kind:     by_value
    .group_segment_fixed_size: 0
    .kernarg_segment_align: 8
    .kernarg_segment_size: 160
    .language:       OpenCL C
    .language_version:
      - 2
      - 0
    .max_flat_workgroup_size: 128
    .name:           _ZN7rocprim17ROCPRIM_400000_NS6detail17trampoline_kernelINS0_14default_configENS1_25partition_config_selectorILNS1_17partition_subalgoE1EyNS0_10empty_typeEbEEZZNS1_14partition_implILS5_1ELb0ES3_jN6thrust23THRUST_200600_302600_NS6detail15normal_iteratorINSA_10device_ptrIyEEEEPS6_NSA_18transform_iteratorI7is_evenIyESF_NSA_11use_defaultESK_EENS0_5tupleIJNSA_16discard_iteratorISK_EESO_EEENSM_IJSG_SG_EEES6_PlJS6_EEE10hipError_tPvRmT3_T4_T5_T6_T7_T9_mT8_P12ihipStream_tbDpT10_ENKUlT_T0_E_clISt17integral_constantIbLb0EES1A_IbLb1EEEEDaS16_S17_EUlS16_E_NS1_11comp_targetILNS1_3genE3ELNS1_11target_archE908ELNS1_3gpuE7ELNS1_3repE0EEENS1_30default_config_static_selectorELNS0_4arch9wavefront6targetE1EEEvT1_
    .private_segment_fixed_size: 0
    .sgpr_count:     4
    .sgpr_spill_count: 0
    .symbol:         _ZN7rocprim17ROCPRIM_400000_NS6detail17trampoline_kernelINS0_14default_configENS1_25partition_config_selectorILNS1_17partition_subalgoE1EyNS0_10empty_typeEbEEZZNS1_14partition_implILS5_1ELb0ES3_jN6thrust23THRUST_200600_302600_NS6detail15normal_iteratorINSA_10device_ptrIyEEEEPS6_NSA_18transform_iteratorI7is_evenIyESF_NSA_11use_defaultESK_EENS0_5tupleIJNSA_16discard_iteratorISK_EESO_EEENSM_IJSG_SG_EEES6_PlJS6_EEE10hipError_tPvRmT3_T4_T5_T6_T7_T9_mT8_P12ihipStream_tbDpT10_ENKUlT_T0_E_clISt17integral_constantIbLb0EES1A_IbLb1EEEEDaS16_S17_EUlS16_E_NS1_11comp_targetILNS1_3genE3ELNS1_11target_archE908ELNS1_3gpuE7ELNS1_3repE0EEENS1_30default_config_static_selectorELNS0_4arch9wavefront6targetE1EEEvT1_.kd
    .uniform_work_group_size: 1
    .uses_dynamic_stack: false
    .vgpr_count:     0
    .vgpr_spill_count: 0
    .wavefront_size: 64
  - .agpr_count:     0
    .args:
      - .offset:         0
        .size:           160
        .value_kind:     by_value
    .group_segment_fixed_size: 0
    .kernarg_segment_align: 8
    .kernarg_segment_size: 160
    .language:       OpenCL C
    .language_version:
      - 2
      - 0
    .max_flat_workgroup_size: 256
    .name:           _ZN7rocprim17ROCPRIM_400000_NS6detail17trampoline_kernelINS0_14default_configENS1_25partition_config_selectorILNS1_17partition_subalgoE1EyNS0_10empty_typeEbEEZZNS1_14partition_implILS5_1ELb0ES3_jN6thrust23THRUST_200600_302600_NS6detail15normal_iteratorINSA_10device_ptrIyEEEEPS6_NSA_18transform_iteratorI7is_evenIyESF_NSA_11use_defaultESK_EENS0_5tupleIJNSA_16discard_iteratorISK_EESO_EEENSM_IJSG_SG_EEES6_PlJS6_EEE10hipError_tPvRmT3_T4_T5_T6_T7_T9_mT8_P12ihipStream_tbDpT10_ENKUlT_T0_E_clISt17integral_constantIbLb0EES1A_IbLb1EEEEDaS16_S17_EUlS16_E_NS1_11comp_targetILNS1_3genE2ELNS1_11target_archE906ELNS1_3gpuE6ELNS1_3repE0EEENS1_30default_config_static_selectorELNS0_4arch9wavefront6targetE1EEEvT1_
    .private_segment_fixed_size: 0
    .sgpr_count:     4
    .sgpr_spill_count: 0
    .symbol:         _ZN7rocprim17ROCPRIM_400000_NS6detail17trampoline_kernelINS0_14default_configENS1_25partition_config_selectorILNS1_17partition_subalgoE1EyNS0_10empty_typeEbEEZZNS1_14partition_implILS5_1ELb0ES3_jN6thrust23THRUST_200600_302600_NS6detail15normal_iteratorINSA_10device_ptrIyEEEEPS6_NSA_18transform_iteratorI7is_evenIyESF_NSA_11use_defaultESK_EENS0_5tupleIJNSA_16discard_iteratorISK_EESO_EEENSM_IJSG_SG_EEES6_PlJS6_EEE10hipError_tPvRmT3_T4_T5_T6_T7_T9_mT8_P12ihipStream_tbDpT10_ENKUlT_T0_E_clISt17integral_constantIbLb0EES1A_IbLb1EEEEDaS16_S17_EUlS16_E_NS1_11comp_targetILNS1_3genE2ELNS1_11target_archE906ELNS1_3gpuE6ELNS1_3repE0EEENS1_30default_config_static_selectorELNS0_4arch9wavefront6targetE1EEEvT1_.kd
    .uniform_work_group_size: 1
    .uses_dynamic_stack: false
    .vgpr_count:     0
    .vgpr_spill_count: 0
    .wavefront_size: 64
  - .agpr_count:     0
    .args:
      - .offset:         0
        .size:           160
        .value_kind:     by_value
    .group_segment_fixed_size: 0
    .kernarg_segment_align: 8
    .kernarg_segment_size: 160
    .language:       OpenCL C
    .language_version:
      - 2
      - 0
    .max_flat_workgroup_size: 256
    .name:           _ZN7rocprim17ROCPRIM_400000_NS6detail17trampoline_kernelINS0_14default_configENS1_25partition_config_selectorILNS1_17partition_subalgoE1EyNS0_10empty_typeEbEEZZNS1_14partition_implILS5_1ELb0ES3_jN6thrust23THRUST_200600_302600_NS6detail15normal_iteratorINSA_10device_ptrIyEEEEPS6_NSA_18transform_iteratorI7is_evenIyESF_NSA_11use_defaultESK_EENS0_5tupleIJNSA_16discard_iteratorISK_EESO_EEENSM_IJSG_SG_EEES6_PlJS6_EEE10hipError_tPvRmT3_T4_T5_T6_T7_T9_mT8_P12ihipStream_tbDpT10_ENKUlT_T0_E_clISt17integral_constantIbLb0EES1A_IbLb1EEEEDaS16_S17_EUlS16_E_NS1_11comp_targetILNS1_3genE10ELNS1_11target_archE1200ELNS1_3gpuE4ELNS1_3repE0EEENS1_30default_config_static_selectorELNS0_4arch9wavefront6targetE1EEEvT1_
    .private_segment_fixed_size: 0
    .sgpr_count:     4
    .sgpr_spill_count: 0
    .symbol:         _ZN7rocprim17ROCPRIM_400000_NS6detail17trampoline_kernelINS0_14default_configENS1_25partition_config_selectorILNS1_17partition_subalgoE1EyNS0_10empty_typeEbEEZZNS1_14partition_implILS5_1ELb0ES3_jN6thrust23THRUST_200600_302600_NS6detail15normal_iteratorINSA_10device_ptrIyEEEEPS6_NSA_18transform_iteratorI7is_evenIyESF_NSA_11use_defaultESK_EENS0_5tupleIJNSA_16discard_iteratorISK_EESO_EEENSM_IJSG_SG_EEES6_PlJS6_EEE10hipError_tPvRmT3_T4_T5_T6_T7_T9_mT8_P12ihipStream_tbDpT10_ENKUlT_T0_E_clISt17integral_constantIbLb0EES1A_IbLb1EEEEDaS16_S17_EUlS16_E_NS1_11comp_targetILNS1_3genE10ELNS1_11target_archE1200ELNS1_3gpuE4ELNS1_3repE0EEENS1_30default_config_static_selectorELNS0_4arch9wavefront6targetE1EEEvT1_.kd
    .uniform_work_group_size: 1
    .uses_dynamic_stack: false
    .vgpr_count:     0
    .vgpr_spill_count: 0
    .wavefront_size: 64
  - .agpr_count:     0
    .args:
      - .offset:         0
        .size:           160
        .value_kind:     by_value
    .group_segment_fixed_size: 0
    .kernarg_segment_align: 8
    .kernarg_segment_size: 160
    .language:       OpenCL C
    .language_version:
      - 2
      - 0
    .max_flat_workgroup_size: 128
    .name:           _ZN7rocprim17ROCPRIM_400000_NS6detail17trampoline_kernelINS0_14default_configENS1_25partition_config_selectorILNS1_17partition_subalgoE1EyNS0_10empty_typeEbEEZZNS1_14partition_implILS5_1ELb0ES3_jN6thrust23THRUST_200600_302600_NS6detail15normal_iteratorINSA_10device_ptrIyEEEEPS6_NSA_18transform_iteratorI7is_evenIyESF_NSA_11use_defaultESK_EENS0_5tupleIJNSA_16discard_iteratorISK_EESO_EEENSM_IJSG_SG_EEES6_PlJS6_EEE10hipError_tPvRmT3_T4_T5_T6_T7_T9_mT8_P12ihipStream_tbDpT10_ENKUlT_T0_E_clISt17integral_constantIbLb0EES1A_IbLb1EEEEDaS16_S17_EUlS16_E_NS1_11comp_targetILNS1_3genE9ELNS1_11target_archE1100ELNS1_3gpuE3ELNS1_3repE0EEENS1_30default_config_static_selectorELNS0_4arch9wavefront6targetE1EEEvT1_
    .private_segment_fixed_size: 0
    .sgpr_count:     4
    .sgpr_spill_count: 0
    .symbol:         _ZN7rocprim17ROCPRIM_400000_NS6detail17trampoline_kernelINS0_14default_configENS1_25partition_config_selectorILNS1_17partition_subalgoE1EyNS0_10empty_typeEbEEZZNS1_14partition_implILS5_1ELb0ES3_jN6thrust23THRUST_200600_302600_NS6detail15normal_iteratorINSA_10device_ptrIyEEEEPS6_NSA_18transform_iteratorI7is_evenIyESF_NSA_11use_defaultESK_EENS0_5tupleIJNSA_16discard_iteratorISK_EESO_EEENSM_IJSG_SG_EEES6_PlJS6_EEE10hipError_tPvRmT3_T4_T5_T6_T7_T9_mT8_P12ihipStream_tbDpT10_ENKUlT_T0_E_clISt17integral_constantIbLb0EES1A_IbLb1EEEEDaS16_S17_EUlS16_E_NS1_11comp_targetILNS1_3genE9ELNS1_11target_archE1100ELNS1_3gpuE3ELNS1_3repE0EEENS1_30default_config_static_selectorELNS0_4arch9wavefront6targetE1EEEvT1_.kd
    .uniform_work_group_size: 1
    .uses_dynamic_stack: false
    .vgpr_count:     0
    .vgpr_spill_count: 0
    .wavefront_size: 64
  - .agpr_count:     0
    .args:
      - .offset:         0
        .size:           160
        .value_kind:     by_value
    .group_segment_fixed_size: 0
    .kernarg_segment_align: 8
    .kernarg_segment_size: 160
    .language:       OpenCL C
    .language_version:
      - 2
      - 0
    .max_flat_workgroup_size: 512
    .name:           _ZN7rocprim17ROCPRIM_400000_NS6detail17trampoline_kernelINS0_14default_configENS1_25partition_config_selectorILNS1_17partition_subalgoE1EyNS0_10empty_typeEbEEZZNS1_14partition_implILS5_1ELb0ES3_jN6thrust23THRUST_200600_302600_NS6detail15normal_iteratorINSA_10device_ptrIyEEEEPS6_NSA_18transform_iteratorI7is_evenIyESF_NSA_11use_defaultESK_EENS0_5tupleIJNSA_16discard_iteratorISK_EESO_EEENSM_IJSG_SG_EEES6_PlJS6_EEE10hipError_tPvRmT3_T4_T5_T6_T7_T9_mT8_P12ihipStream_tbDpT10_ENKUlT_T0_E_clISt17integral_constantIbLb0EES1A_IbLb1EEEEDaS16_S17_EUlS16_E_NS1_11comp_targetILNS1_3genE8ELNS1_11target_archE1030ELNS1_3gpuE2ELNS1_3repE0EEENS1_30default_config_static_selectorELNS0_4arch9wavefront6targetE1EEEvT1_
    .private_segment_fixed_size: 0
    .sgpr_count:     4
    .sgpr_spill_count: 0
    .symbol:         _ZN7rocprim17ROCPRIM_400000_NS6detail17trampoline_kernelINS0_14default_configENS1_25partition_config_selectorILNS1_17partition_subalgoE1EyNS0_10empty_typeEbEEZZNS1_14partition_implILS5_1ELb0ES3_jN6thrust23THRUST_200600_302600_NS6detail15normal_iteratorINSA_10device_ptrIyEEEEPS6_NSA_18transform_iteratorI7is_evenIyESF_NSA_11use_defaultESK_EENS0_5tupleIJNSA_16discard_iteratorISK_EESO_EEENSM_IJSG_SG_EEES6_PlJS6_EEE10hipError_tPvRmT3_T4_T5_T6_T7_T9_mT8_P12ihipStream_tbDpT10_ENKUlT_T0_E_clISt17integral_constantIbLb0EES1A_IbLb1EEEEDaS16_S17_EUlS16_E_NS1_11comp_targetILNS1_3genE8ELNS1_11target_archE1030ELNS1_3gpuE2ELNS1_3repE0EEENS1_30default_config_static_selectorELNS0_4arch9wavefront6targetE1EEEvT1_.kd
    .uniform_work_group_size: 1
    .uses_dynamic_stack: false
    .vgpr_count:     0
    .vgpr_spill_count: 0
    .wavefront_size: 64
  - .agpr_count:     0
    .args:
      - .offset:         0
        .size:           136
        .value_kind:     by_value
    .group_segment_fixed_size: 0
    .kernarg_segment_align: 8
    .kernarg_segment_size: 136
    .language:       OpenCL C
    .language_version:
      - 2
      - 0
    .max_flat_workgroup_size: 128
    .name:           _ZN7rocprim17ROCPRIM_400000_NS6detail17trampoline_kernelINS0_14default_configENS1_25partition_config_selectorILNS1_17partition_subalgoE1EyNS0_10empty_typeEbEEZZNS1_14partition_implILS5_1ELb0ES3_jN6thrust23THRUST_200600_302600_NS6detail15normal_iteratorINSA_10device_ptrIyEEEEPS6_NSA_18transform_iteratorI7is_evenIyESF_NSA_11use_defaultESK_EENS0_5tupleIJSF_NSA_16discard_iteratorISK_EEEEENSM_IJSG_SG_EEES6_PlJS6_EEE10hipError_tPvRmT3_T4_T5_T6_T7_T9_mT8_P12ihipStream_tbDpT10_ENKUlT_T0_E_clISt17integral_constantIbLb0EES1B_EEDaS16_S17_EUlS16_E_NS1_11comp_targetILNS1_3genE0ELNS1_11target_archE4294967295ELNS1_3gpuE0ELNS1_3repE0EEENS1_30default_config_static_selectorELNS0_4arch9wavefront6targetE1EEEvT1_
    .private_segment_fixed_size: 0
    .sgpr_count:     4
    .sgpr_spill_count: 0
    .symbol:         _ZN7rocprim17ROCPRIM_400000_NS6detail17trampoline_kernelINS0_14default_configENS1_25partition_config_selectorILNS1_17partition_subalgoE1EyNS0_10empty_typeEbEEZZNS1_14partition_implILS5_1ELb0ES3_jN6thrust23THRUST_200600_302600_NS6detail15normal_iteratorINSA_10device_ptrIyEEEEPS6_NSA_18transform_iteratorI7is_evenIyESF_NSA_11use_defaultESK_EENS0_5tupleIJSF_NSA_16discard_iteratorISK_EEEEENSM_IJSG_SG_EEES6_PlJS6_EEE10hipError_tPvRmT3_T4_T5_T6_T7_T9_mT8_P12ihipStream_tbDpT10_ENKUlT_T0_E_clISt17integral_constantIbLb0EES1B_EEDaS16_S17_EUlS16_E_NS1_11comp_targetILNS1_3genE0ELNS1_11target_archE4294967295ELNS1_3gpuE0ELNS1_3repE0EEENS1_30default_config_static_selectorELNS0_4arch9wavefront6targetE1EEEvT1_.kd
    .uniform_work_group_size: 1
    .uses_dynamic_stack: false
    .vgpr_count:     0
    .vgpr_spill_count: 0
    .wavefront_size: 64
  - .agpr_count:     0
    .args:
      - .offset:         0
        .size:           136
        .value_kind:     by_value
    .group_segment_fixed_size: 0
    .kernarg_segment_align: 8
    .kernarg_segment_size: 136
    .language:       OpenCL C
    .language_version:
      - 2
      - 0
    .max_flat_workgroup_size: 512
    .name:           _ZN7rocprim17ROCPRIM_400000_NS6detail17trampoline_kernelINS0_14default_configENS1_25partition_config_selectorILNS1_17partition_subalgoE1EyNS0_10empty_typeEbEEZZNS1_14partition_implILS5_1ELb0ES3_jN6thrust23THRUST_200600_302600_NS6detail15normal_iteratorINSA_10device_ptrIyEEEEPS6_NSA_18transform_iteratorI7is_evenIyESF_NSA_11use_defaultESK_EENS0_5tupleIJSF_NSA_16discard_iteratorISK_EEEEENSM_IJSG_SG_EEES6_PlJS6_EEE10hipError_tPvRmT3_T4_T5_T6_T7_T9_mT8_P12ihipStream_tbDpT10_ENKUlT_T0_E_clISt17integral_constantIbLb0EES1B_EEDaS16_S17_EUlS16_E_NS1_11comp_targetILNS1_3genE5ELNS1_11target_archE942ELNS1_3gpuE9ELNS1_3repE0EEENS1_30default_config_static_selectorELNS0_4arch9wavefront6targetE1EEEvT1_
    .private_segment_fixed_size: 0
    .sgpr_count:     4
    .sgpr_spill_count: 0
    .symbol:         _ZN7rocprim17ROCPRIM_400000_NS6detail17trampoline_kernelINS0_14default_configENS1_25partition_config_selectorILNS1_17partition_subalgoE1EyNS0_10empty_typeEbEEZZNS1_14partition_implILS5_1ELb0ES3_jN6thrust23THRUST_200600_302600_NS6detail15normal_iteratorINSA_10device_ptrIyEEEEPS6_NSA_18transform_iteratorI7is_evenIyESF_NSA_11use_defaultESK_EENS0_5tupleIJSF_NSA_16discard_iteratorISK_EEEEENSM_IJSG_SG_EEES6_PlJS6_EEE10hipError_tPvRmT3_T4_T5_T6_T7_T9_mT8_P12ihipStream_tbDpT10_ENKUlT_T0_E_clISt17integral_constantIbLb0EES1B_EEDaS16_S17_EUlS16_E_NS1_11comp_targetILNS1_3genE5ELNS1_11target_archE942ELNS1_3gpuE9ELNS1_3repE0EEENS1_30default_config_static_selectorELNS0_4arch9wavefront6targetE1EEEvT1_.kd
    .uniform_work_group_size: 1
    .uses_dynamic_stack: false
    .vgpr_count:     0
    .vgpr_spill_count: 0
    .wavefront_size: 64
  - .agpr_count:     0
    .args:
      - .offset:         0
        .size:           136
        .value_kind:     by_value
    .group_segment_fixed_size: 6344
    .kernarg_segment_align: 8
    .kernarg_segment_size: 136
    .language:       OpenCL C
    .language_version:
      - 2
      - 0
    .max_flat_workgroup_size: 192
    .name:           _ZN7rocprim17ROCPRIM_400000_NS6detail17trampoline_kernelINS0_14default_configENS1_25partition_config_selectorILNS1_17partition_subalgoE1EyNS0_10empty_typeEbEEZZNS1_14partition_implILS5_1ELb0ES3_jN6thrust23THRUST_200600_302600_NS6detail15normal_iteratorINSA_10device_ptrIyEEEEPS6_NSA_18transform_iteratorI7is_evenIyESF_NSA_11use_defaultESK_EENS0_5tupleIJSF_NSA_16discard_iteratorISK_EEEEENSM_IJSG_SG_EEES6_PlJS6_EEE10hipError_tPvRmT3_T4_T5_T6_T7_T9_mT8_P12ihipStream_tbDpT10_ENKUlT_T0_E_clISt17integral_constantIbLb0EES1B_EEDaS16_S17_EUlS16_E_NS1_11comp_targetILNS1_3genE4ELNS1_11target_archE910ELNS1_3gpuE8ELNS1_3repE0EEENS1_30default_config_static_selectorELNS0_4arch9wavefront6targetE1EEEvT1_
    .private_segment_fixed_size: 0
    .sgpr_count:     44
    .sgpr_spill_count: 0
    .symbol:         _ZN7rocprim17ROCPRIM_400000_NS6detail17trampoline_kernelINS0_14default_configENS1_25partition_config_selectorILNS1_17partition_subalgoE1EyNS0_10empty_typeEbEEZZNS1_14partition_implILS5_1ELb0ES3_jN6thrust23THRUST_200600_302600_NS6detail15normal_iteratorINSA_10device_ptrIyEEEEPS6_NSA_18transform_iteratorI7is_evenIyESF_NSA_11use_defaultESK_EENS0_5tupleIJSF_NSA_16discard_iteratorISK_EEEEENSM_IJSG_SG_EEES6_PlJS6_EEE10hipError_tPvRmT3_T4_T5_T6_T7_T9_mT8_P12ihipStream_tbDpT10_ENKUlT_T0_E_clISt17integral_constantIbLb0EES1B_EEDaS16_S17_EUlS16_E_NS1_11comp_targetILNS1_3genE4ELNS1_11target_archE910ELNS1_3gpuE8ELNS1_3repE0EEENS1_30default_config_static_selectorELNS0_4arch9wavefront6targetE1EEEvT1_.kd
    .uniform_work_group_size: 1
    .uses_dynamic_stack: false
    .vgpr_count:     43
    .vgpr_spill_count: 0
    .wavefront_size: 64
  - .agpr_count:     0
    .args:
      - .offset:         0
        .size:           136
        .value_kind:     by_value
    .group_segment_fixed_size: 0
    .kernarg_segment_align: 8
    .kernarg_segment_size: 136
    .language:       OpenCL C
    .language_version:
      - 2
      - 0
    .max_flat_workgroup_size: 128
    .name:           _ZN7rocprim17ROCPRIM_400000_NS6detail17trampoline_kernelINS0_14default_configENS1_25partition_config_selectorILNS1_17partition_subalgoE1EyNS0_10empty_typeEbEEZZNS1_14partition_implILS5_1ELb0ES3_jN6thrust23THRUST_200600_302600_NS6detail15normal_iteratorINSA_10device_ptrIyEEEEPS6_NSA_18transform_iteratorI7is_evenIyESF_NSA_11use_defaultESK_EENS0_5tupleIJSF_NSA_16discard_iteratorISK_EEEEENSM_IJSG_SG_EEES6_PlJS6_EEE10hipError_tPvRmT3_T4_T5_T6_T7_T9_mT8_P12ihipStream_tbDpT10_ENKUlT_T0_E_clISt17integral_constantIbLb0EES1B_EEDaS16_S17_EUlS16_E_NS1_11comp_targetILNS1_3genE3ELNS1_11target_archE908ELNS1_3gpuE7ELNS1_3repE0EEENS1_30default_config_static_selectorELNS0_4arch9wavefront6targetE1EEEvT1_
    .private_segment_fixed_size: 0
    .sgpr_count:     4
    .sgpr_spill_count: 0
    .symbol:         _ZN7rocprim17ROCPRIM_400000_NS6detail17trampoline_kernelINS0_14default_configENS1_25partition_config_selectorILNS1_17partition_subalgoE1EyNS0_10empty_typeEbEEZZNS1_14partition_implILS5_1ELb0ES3_jN6thrust23THRUST_200600_302600_NS6detail15normal_iteratorINSA_10device_ptrIyEEEEPS6_NSA_18transform_iteratorI7is_evenIyESF_NSA_11use_defaultESK_EENS0_5tupleIJSF_NSA_16discard_iteratorISK_EEEEENSM_IJSG_SG_EEES6_PlJS6_EEE10hipError_tPvRmT3_T4_T5_T6_T7_T9_mT8_P12ihipStream_tbDpT10_ENKUlT_T0_E_clISt17integral_constantIbLb0EES1B_EEDaS16_S17_EUlS16_E_NS1_11comp_targetILNS1_3genE3ELNS1_11target_archE908ELNS1_3gpuE7ELNS1_3repE0EEENS1_30default_config_static_selectorELNS0_4arch9wavefront6targetE1EEEvT1_.kd
    .uniform_work_group_size: 1
    .uses_dynamic_stack: false
    .vgpr_count:     0
    .vgpr_spill_count: 0
    .wavefront_size: 64
  - .agpr_count:     0
    .args:
      - .offset:         0
        .size:           136
        .value_kind:     by_value
    .group_segment_fixed_size: 0
    .kernarg_segment_align: 8
    .kernarg_segment_size: 136
    .language:       OpenCL C
    .language_version:
      - 2
      - 0
    .max_flat_workgroup_size: 256
    .name:           _ZN7rocprim17ROCPRIM_400000_NS6detail17trampoline_kernelINS0_14default_configENS1_25partition_config_selectorILNS1_17partition_subalgoE1EyNS0_10empty_typeEbEEZZNS1_14partition_implILS5_1ELb0ES3_jN6thrust23THRUST_200600_302600_NS6detail15normal_iteratorINSA_10device_ptrIyEEEEPS6_NSA_18transform_iteratorI7is_evenIyESF_NSA_11use_defaultESK_EENS0_5tupleIJSF_NSA_16discard_iteratorISK_EEEEENSM_IJSG_SG_EEES6_PlJS6_EEE10hipError_tPvRmT3_T4_T5_T6_T7_T9_mT8_P12ihipStream_tbDpT10_ENKUlT_T0_E_clISt17integral_constantIbLb0EES1B_EEDaS16_S17_EUlS16_E_NS1_11comp_targetILNS1_3genE2ELNS1_11target_archE906ELNS1_3gpuE6ELNS1_3repE0EEENS1_30default_config_static_selectorELNS0_4arch9wavefront6targetE1EEEvT1_
    .private_segment_fixed_size: 0
    .sgpr_count:     4
    .sgpr_spill_count: 0
    .symbol:         _ZN7rocprim17ROCPRIM_400000_NS6detail17trampoline_kernelINS0_14default_configENS1_25partition_config_selectorILNS1_17partition_subalgoE1EyNS0_10empty_typeEbEEZZNS1_14partition_implILS5_1ELb0ES3_jN6thrust23THRUST_200600_302600_NS6detail15normal_iteratorINSA_10device_ptrIyEEEEPS6_NSA_18transform_iteratorI7is_evenIyESF_NSA_11use_defaultESK_EENS0_5tupleIJSF_NSA_16discard_iteratorISK_EEEEENSM_IJSG_SG_EEES6_PlJS6_EEE10hipError_tPvRmT3_T4_T5_T6_T7_T9_mT8_P12ihipStream_tbDpT10_ENKUlT_T0_E_clISt17integral_constantIbLb0EES1B_EEDaS16_S17_EUlS16_E_NS1_11comp_targetILNS1_3genE2ELNS1_11target_archE906ELNS1_3gpuE6ELNS1_3repE0EEENS1_30default_config_static_selectorELNS0_4arch9wavefront6targetE1EEEvT1_.kd
    .uniform_work_group_size: 1
    .uses_dynamic_stack: false
    .vgpr_count:     0
    .vgpr_spill_count: 0
    .wavefront_size: 64
  - .agpr_count:     0
    .args:
      - .offset:         0
        .size:           136
        .value_kind:     by_value
    .group_segment_fixed_size: 0
    .kernarg_segment_align: 8
    .kernarg_segment_size: 136
    .language:       OpenCL C
    .language_version:
      - 2
      - 0
    .max_flat_workgroup_size: 256
    .name:           _ZN7rocprim17ROCPRIM_400000_NS6detail17trampoline_kernelINS0_14default_configENS1_25partition_config_selectorILNS1_17partition_subalgoE1EyNS0_10empty_typeEbEEZZNS1_14partition_implILS5_1ELb0ES3_jN6thrust23THRUST_200600_302600_NS6detail15normal_iteratorINSA_10device_ptrIyEEEEPS6_NSA_18transform_iteratorI7is_evenIyESF_NSA_11use_defaultESK_EENS0_5tupleIJSF_NSA_16discard_iteratorISK_EEEEENSM_IJSG_SG_EEES6_PlJS6_EEE10hipError_tPvRmT3_T4_T5_T6_T7_T9_mT8_P12ihipStream_tbDpT10_ENKUlT_T0_E_clISt17integral_constantIbLb0EES1B_EEDaS16_S17_EUlS16_E_NS1_11comp_targetILNS1_3genE10ELNS1_11target_archE1200ELNS1_3gpuE4ELNS1_3repE0EEENS1_30default_config_static_selectorELNS0_4arch9wavefront6targetE1EEEvT1_
    .private_segment_fixed_size: 0
    .sgpr_count:     4
    .sgpr_spill_count: 0
    .symbol:         _ZN7rocprim17ROCPRIM_400000_NS6detail17trampoline_kernelINS0_14default_configENS1_25partition_config_selectorILNS1_17partition_subalgoE1EyNS0_10empty_typeEbEEZZNS1_14partition_implILS5_1ELb0ES3_jN6thrust23THRUST_200600_302600_NS6detail15normal_iteratorINSA_10device_ptrIyEEEEPS6_NSA_18transform_iteratorI7is_evenIyESF_NSA_11use_defaultESK_EENS0_5tupleIJSF_NSA_16discard_iteratorISK_EEEEENSM_IJSG_SG_EEES6_PlJS6_EEE10hipError_tPvRmT3_T4_T5_T6_T7_T9_mT8_P12ihipStream_tbDpT10_ENKUlT_T0_E_clISt17integral_constantIbLb0EES1B_EEDaS16_S17_EUlS16_E_NS1_11comp_targetILNS1_3genE10ELNS1_11target_archE1200ELNS1_3gpuE4ELNS1_3repE0EEENS1_30default_config_static_selectorELNS0_4arch9wavefront6targetE1EEEvT1_.kd
    .uniform_work_group_size: 1
    .uses_dynamic_stack: false
    .vgpr_count:     0
    .vgpr_spill_count: 0
    .wavefront_size: 64
  - .agpr_count:     0
    .args:
      - .offset:         0
        .size:           136
        .value_kind:     by_value
    .group_segment_fixed_size: 0
    .kernarg_segment_align: 8
    .kernarg_segment_size: 136
    .language:       OpenCL C
    .language_version:
      - 2
      - 0
    .max_flat_workgroup_size: 128
    .name:           _ZN7rocprim17ROCPRIM_400000_NS6detail17trampoline_kernelINS0_14default_configENS1_25partition_config_selectorILNS1_17partition_subalgoE1EyNS0_10empty_typeEbEEZZNS1_14partition_implILS5_1ELb0ES3_jN6thrust23THRUST_200600_302600_NS6detail15normal_iteratorINSA_10device_ptrIyEEEEPS6_NSA_18transform_iteratorI7is_evenIyESF_NSA_11use_defaultESK_EENS0_5tupleIJSF_NSA_16discard_iteratorISK_EEEEENSM_IJSG_SG_EEES6_PlJS6_EEE10hipError_tPvRmT3_T4_T5_T6_T7_T9_mT8_P12ihipStream_tbDpT10_ENKUlT_T0_E_clISt17integral_constantIbLb0EES1B_EEDaS16_S17_EUlS16_E_NS1_11comp_targetILNS1_3genE9ELNS1_11target_archE1100ELNS1_3gpuE3ELNS1_3repE0EEENS1_30default_config_static_selectorELNS0_4arch9wavefront6targetE1EEEvT1_
    .private_segment_fixed_size: 0
    .sgpr_count:     4
    .sgpr_spill_count: 0
    .symbol:         _ZN7rocprim17ROCPRIM_400000_NS6detail17trampoline_kernelINS0_14default_configENS1_25partition_config_selectorILNS1_17partition_subalgoE1EyNS0_10empty_typeEbEEZZNS1_14partition_implILS5_1ELb0ES3_jN6thrust23THRUST_200600_302600_NS6detail15normal_iteratorINSA_10device_ptrIyEEEEPS6_NSA_18transform_iteratorI7is_evenIyESF_NSA_11use_defaultESK_EENS0_5tupleIJSF_NSA_16discard_iteratorISK_EEEEENSM_IJSG_SG_EEES6_PlJS6_EEE10hipError_tPvRmT3_T4_T5_T6_T7_T9_mT8_P12ihipStream_tbDpT10_ENKUlT_T0_E_clISt17integral_constantIbLb0EES1B_EEDaS16_S17_EUlS16_E_NS1_11comp_targetILNS1_3genE9ELNS1_11target_archE1100ELNS1_3gpuE3ELNS1_3repE0EEENS1_30default_config_static_selectorELNS0_4arch9wavefront6targetE1EEEvT1_.kd
    .uniform_work_group_size: 1
    .uses_dynamic_stack: false
    .vgpr_count:     0
    .vgpr_spill_count: 0
    .wavefront_size: 64
  - .agpr_count:     0
    .args:
      - .offset:         0
        .size:           136
        .value_kind:     by_value
    .group_segment_fixed_size: 0
    .kernarg_segment_align: 8
    .kernarg_segment_size: 136
    .language:       OpenCL C
    .language_version:
      - 2
      - 0
    .max_flat_workgroup_size: 512
    .name:           _ZN7rocprim17ROCPRIM_400000_NS6detail17trampoline_kernelINS0_14default_configENS1_25partition_config_selectorILNS1_17partition_subalgoE1EyNS0_10empty_typeEbEEZZNS1_14partition_implILS5_1ELb0ES3_jN6thrust23THRUST_200600_302600_NS6detail15normal_iteratorINSA_10device_ptrIyEEEEPS6_NSA_18transform_iteratorI7is_evenIyESF_NSA_11use_defaultESK_EENS0_5tupleIJSF_NSA_16discard_iteratorISK_EEEEENSM_IJSG_SG_EEES6_PlJS6_EEE10hipError_tPvRmT3_T4_T5_T6_T7_T9_mT8_P12ihipStream_tbDpT10_ENKUlT_T0_E_clISt17integral_constantIbLb0EES1B_EEDaS16_S17_EUlS16_E_NS1_11comp_targetILNS1_3genE8ELNS1_11target_archE1030ELNS1_3gpuE2ELNS1_3repE0EEENS1_30default_config_static_selectorELNS0_4arch9wavefront6targetE1EEEvT1_
    .private_segment_fixed_size: 0
    .sgpr_count:     4
    .sgpr_spill_count: 0
    .symbol:         _ZN7rocprim17ROCPRIM_400000_NS6detail17trampoline_kernelINS0_14default_configENS1_25partition_config_selectorILNS1_17partition_subalgoE1EyNS0_10empty_typeEbEEZZNS1_14partition_implILS5_1ELb0ES3_jN6thrust23THRUST_200600_302600_NS6detail15normal_iteratorINSA_10device_ptrIyEEEEPS6_NSA_18transform_iteratorI7is_evenIyESF_NSA_11use_defaultESK_EENS0_5tupleIJSF_NSA_16discard_iteratorISK_EEEEENSM_IJSG_SG_EEES6_PlJS6_EEE10hipError_tPvRmT3_T4_T5_T6_T7_T9_mT8_P12ihipStream_tbDpT10_ENKUlT_T0_E_clISt17integral_constantIbLb0EES1B_EEDaS16_S17_EUlS16_E_NS1_11comp_targetILNS1_3genE8ELNS1_11target_archE1030ELNS1_3gpuE2ELNS1_3repE0EEENS1_30default_config_static_selectorELNS0_4arch9wavefront6targetE1EEEvT1_.kd
    .uniform_work_group_size: 1
    .uses_dynamic_stack: false
    .vgpr_count:     0
    .vgpr_spill_count: 0
    .wavefront_size: 64
  - .agpr_count:     0
    .args:
      - .offset:         0
        .size:           152
        .value_kind:     by_value
    .group_segment_fixed_size: 0
    .kernarg_segment_align: 8
    .kernarg_segment_size: 152
    .language:       OpenCL C
    .language_version:
      - 2
      - 0
    .max_flat_workgroup_size: 128
    .name:           _ZN7rocprim17ROCPRIM_400000_NS6detail17trampoline_kernelINS0_14default_configENS1_25partition_config_selectorILNS1_17partition_subalgoE1EyNS0_10empty_typeEbEEZZNS1_14partition_implILS5_1ELb0ES3_jN6thrust23THRUST_200600_302600_NS6detail15normal_iteratorINSA_10device_ptrIyEEEEPS6_NSA_18transform_iteratorI7is_evenIyESF_NSA_11use_defaultESK_EENS0_5tupleIJSF_NSA_16discard_iteratorISK_EEEEENSM_IJSG_SG_EEES6_PlJS6_EEE10hipError_tPvRmT3_T4_T5_T6_T7_T9_mT8_P12ihipStream_tbDpT10_ENKUlT_T0_E_clISt17integral_constantIbLb1EES1B_EEDaS16_S17_EUlS16_E_NS1_11comp_targetILNS1_3genE0ELNS1_11target_archE4294967295ELNS1_3gpuE0ELNS1_3repE0EEENS1_30default_config_static_selectorELNS0_4arch9wavefront6targetE1EEEvT1_
    .private_segment_fixed_size: 0
    .sgpr_count:     4
    .sgpr_spill_count: 0
    .symbol:         _ZN7rocprim17ROCPRIM_400000_NS6detail17trampoline_kernelINS0_14default_configENS1_25partition_config_selectorILNS1_17partition_subalgoE1EyNS0_10empty_typeEbEEZZNS1_14partition_implILS5_1ELb0ES3_jN6thrust23THRUST_200600_302600_NS6detail15normal_iteratorINSA_10device_ptrIyEEEEPS6_NSA_18transform_iteratorI7is_evenIyESF_NSA_11use_defaultESK_EENS0_5tupleIJSF_NSA_16discard_iteratorISK_EEEEENSM_IJSG_SG_EEES6_PlJS6_EEE10hipError_tPvRmT3_T4_T5_T6_T7_T9_mT8_P12ihipStream_tbDpT10_ENKUlT_T0_E_clISt17integral_constantIbLb1EES1B_EEDaS16_S17_EUlS16_E_NS1_11comp_targetILNS1_3genE0ELNS1_11target_archE4294967295ELNS1_3gpuE0ELNS1_3repE0EEENS1_30default_config_static_selectorELNS0_4arch9wavefront6targetE1EEEvT1_.kd
    .uniform_work_group_size: 1
    .uses_dynamic_stack: false
    .vgpr_count:     0
    .vgpr_spill_count: 0
    .wavefront_size: 64
  - .agpr_count:     0
    .args:
      - .offset:         0
        .size:           152
        .value_kind:     by_value
    .group_segment_fixed_size: 0
    .kernarg_segment_align: 8
    .kernarg_segment_size: 152
    .language:       OpenCL C
    .language_version:
      - 2
      - 0
    .max_flat_workgroup_size: 512
    .name:           _ZN7rocprim17ROCPRIM_400000_NS6detail17trampoline_kernelINS0_14default_configENS1_25partition_config_selectorILNS1_17partition_subalgoE1EyNS0_10empty_typeEbEEZZNS1_14partition_implILS5_1ELb0ES3_jN6thrust23THRUST_200600_302600_NS6detail15normal_iteratorINSA_10device_ptrIyEEEEPS6_NSA_18transform_iteratorI7is_evenIyESF_NSA_11use_defaultESK_EENS0_5tupleIJSF_NSA_16discard_iteratorISK_EEEEENSM_IJSG_SG_EEES6_PlJS6_EEE10hipError_tPvRmT3_T4_T5_T6_T7_T9_mT8_P12ihipStream_tbDpT10_ENKUlT_T0_E_clISt17integral_constantIbLb1EES1B_EEDaS16_S17_EUlS16_E_NS1_11comp_targetILNS1_3genE5ELNS1_11target_archE942ELNS1_3gpuE9ELNS1_3repE0EEENS1_30default_config_static_selectorELNS0_4arch9wavefront6targetE1EEEvT1_
    .private_segment_fixed_size: 0
    .sgpr_count:     4
    .sgpr_spill_count: 0
    .symbol:         _ZN7rocprim17ROCPRIM_400000_NS6detail17trampoline_kernelINS0_14default_configENS1_25partition_config_selectorILNS1_17partition_subalgoE1EyNS0_10empty_typeEbEEZZNS1_14partition_implILS5_1ELb0ES3_jN6thrust23THRUST_200600_302600_NS6detail15normal_iteratorINSA_10device_ptrIyEEEEPS6_NSA_18transform_iteratorI7is_evenIyESF_NSA_11use_defaultESK_EENS0_5tupleIJSF_NSA_16discard_iteratorISK_EEEEENSM_IJSG_SG_EEES6_PlJS6_EEE10hipError_tPvRmT3_T4_T5_T6_T7_T9_mT8_P12ihipStream_tbDpT10_ENKUlT_T0_E_clISt17integral_constantIbLb1EES1B_EEDaS16_S17_EUlS16_E_NS1_11comp_targetILNS1_3genE5ELNS1_11target_archE942ELNS1_3gpuE9ELNS1_3repE0EEENS1_30default_config_static_selectorELNS0_4arch9wavefront6targetE1EEEvT1_.kd
    .uniform_work_group_size: 1
    .uses_dynamic_stack: false
    .vgpr_count:     0
    .vgpr_spill_count: 0
    .wavefront_size: 64
  - .agpr_count:     0
    .args:
      - .offset:         0
        .size:           152
        .value_kind:     by_value
    .group_segment_fixed_size: 6344
    .kernarg_segment_align: 8
    .kernarg_segment_size: 152
    .language:       OpenCL C
    .language_version:
      - 2
      - 0
    .max_flat_workgroup_size: 192
    .name:           _ZN7rocprim17ROCPRIM_400000_NS6detail17trampoline_kernelINS0_14default_configENS1_25partition_config_selectorILNS1_17partition_subalgoE1EyNS0_10empty_typeEbEEZZNS1_14partition_implILS5_1ELb0ES3_jN6thrust23THRUST_200600_302600_NS6detail15normal_iteratorINSA_10device_ptrIyEEEEPS6_NSA_18transform_iteratorI7is_evenIyESF_NSA_11use_defaultESK_EENS0_5tupleIJSF_NSA_16discard_iteratorISK_EEEEENSM_IJSG_SG_EEES6_PlJS6_EEE10hipError_tPvRmT3_T4_T5_T6_T7_T9_mT8_P12ihipStream_tbDpT10_ENKUlT_T0_E_clISt17integral_constantIbLb1EES1B_EEDaS16_S17_EUlS16_E_NS1_11comp_targetILNS1_3genE4ELNS1_11target_archE910ELNS1_3gpuE8ELNS1_3repE0EEENS1_30default_config_static_selectorELNS0_4arch9wavefront6targetE1EEEvT1_
    .private_segment_fixed_size: 0
    .sgpr_count:     44
    .sgpr_spill_count: 0
    .symbol:         _ZN7rocprim17ROCPRIM_400000_NS6detail17trampoline_kernelINS0_14default_configENS1_25partition_config_selectorILNS1_17partition_subalgoE1EyNS0_10empty_typeEbEEZZNS1_14partition_implILS5_1ELb0ES3_jN6thrust23THRUST_200600_302600_NS6detail15normal_iteratorINSA_10device_ptrIyEEEEPS6_NSA_18transform_iteratorI7is_evenIyESF_NSA_11use_defaultESK_EENS0_5tupleIJSF_NSA_16discard_iteratorISK_EEEEENSM_IJSG_SG_EEES6_PlJS6_EEE10hipError_tPvRmT3_T4_T5_T6_T7_T9_mT8_P12ihipStream_tbDpT10_ENKUlT_T0_E_clISt17integral_constantIbLb1EES1B_EEDaS16_S17_EUlS16_E_NS1_11comp_targetILNS1_3genE4ELNS1_11target_archE910ELNS1_3gpuE8ELNS1_3repE0EEENS1_30default_config_static_selectorELNS0_4arch9wavefront6targetE1EEEvT1_.kd
    .uniform_work_group_size: 1
    .uses_dynamic_stack: false
    .vgpr_count:     45
    .vgpr_spill_count: 0
    .wavefront_size: 64
  - .agpr_count:     0
    .args:
      - .offset:         0
        .size:           152
        .value_kind:     by_value
    .group_segment_fixed_size: 0
    .kernarg_segment_align: 8
    .kernarg_segment_size: 152
    .language:       OpenCL C
    .language_version:
      - 2
      - 0
    .max_flat_workgroup_size: 128
    .name:           _ZN7rocprim17ROCPRIM_400000_NS6detail17trampoline_kernelINS0_14default_configENS1_25partition_config_selectorILNS1_17partition_subalgoE1EyNS0_10empty_typeEbEEZZNS1_14partition_implILS5_1ELb0ES3_jN6thrust23THRUST_200600_302600_NS6detail15normal_iteratorINSA_10device_ptrIyEEEEPS6_NSA_18transform_iteratorI7is_evenIyESF_NSA_11use_defaultESK_EENS0_5tupleIJSF_NSA_16discard_iteratorISK_EEEEENSM_IJSG_SG_EEES6_PlJS6_EEE10hipError_tPvRmT3_T4_T5_T6_T7_T9_mT8_P12ihipStream_tbDpT10_ENKUlT_T0_E_clISt17integral_constantIbLb1EES1B_EEDaS16_S17_EUlS16_E_NS1_11comp_targetILNS1_3genE3ELNS1_11target_archE908ELNS1_3gpuE7ELNS1_3repE0EEENS1_30default_config_static_selectorELNS0_4arch9wavefront6targetE1EEEvT1_
    .private_segment_fixed_size: 0
    .sgpr_count:     4
    .sgpr_spill_count: 0
    .symbol:         _ZN7rocprim17ROCPRIM_400000_NS6detail17trampoline_kernelINS0_14default_configENS1_25partition_config_selectorILNS1_17partition_subalgoE1EyNS0_10empty_typeEbEEZZNS1_14partition_implILS5_1ELb0ES3_jN6thrust23THRUST_200600_302600_NS6detail15normal_iteratorINSA_10device_ptrIyEEEEPS6_NSA_18transform_iteratorI7is_evenIyESF_NSA_11use_defaultESK_EENS0_5tupleIJSF_NSA_16discard_iteratorISK_EEEEENSM_IJSG_SG_EEES6_PlJS6_EEE10hipError_tPvRmT3_T4_T5_T6_T7_T9_mT8_P12ihipStream_tbDpT10_ENKUlT_T0_E_clISt17integral_constantIbLb1EES1B_EEDaS16_S17_EUlS16_E_NS1_11comp_targetILNS1_3genE3ELNS1_11target_archE908ELNS1_3gpuE7ELNS1_3repE0EEENS1_30default_config_static_selectorELNS0_4arch9wavefront6targetE1EEEvT1_.kd
    .uniform_work_group_size: 1
    .uses_dynamic_stack: false
    .vgpr_count:     0
    .vgpr_spill_count: 0
    .wavefront_size: 64
  - .agpr_count:     0
    .args:
      - .offset:         0
        .size:           152
        .value_kind:     by_value
    .group_segment_fixed_size: 0
    .kernarg_segment_align: 8
    .kernarg_segment_size: 152
    .language:       OpenCL C
    .language_version:
      - 2
      - 0
    .max_flat_workgroup_size: 256
    .name:           _ZN7rocprim17ROCPRIM_400000_NS6detail17trampoline_kernelINS0_14default_configENS1_25partition_config_selectorILNS1_17partition_subalgoE1EyNS0_10empty_typeEbEEZZNS1_14partition_implILS5_1ELb0ES3_jN6thrust23THRUST_200600_302600_NS6detail15normal_iteratorINSA_10device_ptrIyEEEEPS6_NSA_18transform_iteratorI7is_evenIyESF_NSA_11use_defaultESK_EENS0_5tupleIJSF_NSA_16discard_iteratorISK_EEEEENSM_IJSG_SG_EEES6_PlJS6_EEE10hipError_tPvRmT3_T4_T5_T6_T7_T9_mT8_P12ihipStream_tbDpT10_ENKUlT_T0_E_clISt17integral_constantIbLb1EES1B_EEDaS16_S17_EUlS16_E_NS1_11comp_targetILNS1_3genE2ELNS1_11target_archE906ELNS1_3gpuE6ELNS1_3repE0EEENS1_30default_config_static_selectorELNS0_4arch9wavefront6targetE1EEEvT1_
    .private_segment_fixed_size: 0
    .sgpr_count:     4
    .sgpr_spill_count: 0
    .symbol:         _ZN7rocprim17ROCPRIM_400000_NS6detail17trampoline_kernelINS0_14default_configENS1_25partition_config_selectorILNS1_17partition_subalgoE1EyNS0_10empty_typeEbEEZZNS1_14partition_implILS5_1ELb0ES3_jN6thrust23THRUST_200600_302600_NS6detail15normal_iteratorINSA_10device_ptrIyEEEEPS6_NSA_18transform_iteratorI7is_evenIyESF_NSA_11use_defaultESK_EENS0_5tupleIJSF_NSA_16discard_iteratorISK_EEEEENSM_IJSG_SG_EEES6_PlJS6_EEE10hipError_tPvRmT3_T4_T5_T6_T7_T9_mT8_P12ihipStream_tbDpT10_ENKUlT_T0_E_clISt17integral_constantIbLb1EES1B_EEDaS16_S17_EUlS16_E_NS1_11comp_targetILNS1_3genE2ELNS1_11target_archE906ELNS1_3gpuE6ELNS1_3repE0EEENS1_30default_config_static_selectorELNS0_4arch9wavefront6targetE1EEEvT1_.kd
    .uniform_work_group_size: 1
    .uses_dynamic_stack: false
    .vgpr_count:     0
    .vgpr_spill_count: 0
    .wavefront_size: 64
  - .agpr_count:     0
    .args:
      - .offset:         0
        .size:           152
        .value_kind:     by_value
    .group_segment_fixed_size: 0
    .kernarg_segment_align: 8
    .kernarg_segment_size: 152
    .language:       OpenCL C
    .language_version:
      - 2
      - 0
    .max_flat_workgroup_size: 256
    .name:           _ZN7rocprim17ROCPRIM_400000_NS6detail17trampoline_kernelINS0_14default_configENS1_25partition_config_selectorILNS1_17partition_subalgoE1EyNS0_10empty_typeEbEEZZNS1_14partition_implILS5_1ELb0ES3_jN6thrust23THRUST_200600_302600_NS6detail15normal_iteratorINSA_10device_ptrIyEEEEPS6_NSA_18transform_iteratorI7is_evenIyESF_NSA_11use_defaultESK_EENS0_5tupleIJSF_NSA_16discard_iteratorISK_EEEEENSM_IJSG_SG_EEES6_PlJS6_EEE10hipError_tPvRmT3_T4_T5_T6_T7_T9_mT8_P12ihipStream_tbDpT10_ENKUlT_T0_E_clISt17integral_constantIbLb1EES1B_EEDaS16_S17_EUlS16_E_NS1_11comp_targetILNS1_3genE10ELNS1_11target_archE1200ELNS1_3gpuE4ELNS1_3repE0EEENS1_30default_config_static_selectorELNS0_4arch9wavefront6targetE1EEEvT1_
    .private_segment_fixed_size: 0
    .sgpr_count:     4
    .sgpr_spill_count: 0
    .symbol:         _ZN7rocprim17ROCPRIM_400000_NS6detail17trampoline_kernelINS0_14default_configENS1_25partition_config_selectorILNS1_17partition_subalgoE1EyNS0_10empty_typeEbEEZZNS1_14partition_implILS5_1ELb0ES3_jN6thrust23THRUST_200600_302600_NS6detail15normal_iteratorINSA_10device_ptrIyEEEEPS6_NSA_18transform_iteratorI7is_evenIyESF_NSA_11use_defaultESK_EENS0_5tupleIJSF_NSA_16discard_iteratorISK_EEEEENSM_IJSG_SG_EEES6_PlJS6_EEE10hipError_tPvRmT3_T4_T5_T6_T7_T9_mT8_P12ihipStream_tbDpT10_ENKUlT_T0_E_clISt17integral_constantIbLb1EES1B_EEDaS16_S17_EUlS16_E_NS1_11comp_targetILNS1_3genE10ELNS1_11target_archE1200ELNS1_3gpuE4ELNS1_3repE0EEENS1_30default_config_static_selectorELNS0_4arch9wavefront6targetE1EEEvT1_.kd
    .uniform_work_group_size: 1
    .uses_dynamic_stack: false
    .vgpr_count:     0
    .vgpr_spill_count: 0
    .wavefront_size: 64
  - .agpr_count:     0
    .args:
      - .offset:         0
        .size:           152
        .value_kind:     by_value
    .group_segment_fixed_size: 0
    .kernarg_segment_align: 8
    .kernarg_segment_size: 152
    .language:       OpenCL C
    .language_version:
      - 2
      - 0
    .max_flat_workgroup_size: 128
    .name:           _ZN7rocprim17ROCPRIM_400000_NS6detail17trampoline_kernelINS0_14default_configENS1_25partition_config_selectorILNS1_17partition_subalgoE1EyNS0_10empty_typeEbEEZZNS1_14partition_implILS5_1ELb0ES3_jN6thrust23THRUST_200600_302600_NS6detail15normal_iteratorINSA_10device_ptrIyEEEEPS6_NSA_18transform_iteratorI7is_evenIyESF_NSA_11use_defaultESK_EENS0_5tupleIJSF_NSA_16discard_iteratorISK_EEEEENSM_IJSG_SG_EEES6_PlJS6_EEE10hipError_tPvRmT3_T4_T5_T6_T7_T9_mT8_P12ihipStream_tbDpT10_ENKUlT_T0_E_clISt17integral_constantIbLb1EES1B_EEDaS16_S17_EUlS16_E_NS1_11comp_targetILNS1_3genE9ELNS1_11target_archE1100ELNS1_3gpuE3ELNS1_3repE0EEENS1_30default_config_static_selectorELNS0_4arch9wavefront6targetE1EEEvT1_
    .private_segment_fixed_size: 0
    .sgpr_count:     4
    .sgpr_spill_count: 0
    .symbol:         _ZN7rocprim17ROCPRIM_400000_NS6detail17trampoline_kernelINS0_14default_configENS1_25partition_config_selectorILNS1_17partition_subalgoE1EyNS0_10empty_typeEbEEZZNS1_14partition_implILS5_1ELb0ES3_jN6thrust23THRUST_200600_302600_NS6detail15normal_iteratorINSA_10device_ptrIyEEEEPS6_NSA_18transform_iteratorI7is_evenIyESF_NSA_11use_defaultESK_EENS0_5tupleIJSF_NSA_16discard_iteratorISK_EEEEENSM_IJSG_SG_EEES6_PlJS6_EEE10hipError_tPvRmT3_T4_T5_T6_T7_T9_mT8_P12ihipStream_tbDpT10_ENKUlT_T0_E_clISt17integral_constantIbLb1EES1B_EEDaS16_S17_EUlS16_E_NS1_11comp_targetILNS1_3genE9ELNS1_11target_archE1100ELNS1_3gpuE3ELNS1_3repE0EEENS1_30default_config_static_selectorELNS0_4arch9wavefront6targetE1EEEvT1_.kd
    .uniform_work_group_size: 1
    .uses_dynamic_stack: false
    .vgpr_count:     0
    .vgpr_spill_count: 0
    .wavefront_size: 64
  - .agpr_count:     0
    .args:
      - .offset:         0
        .size:           152
        .value_kind:     by_value
    .group_segment_fixed_size: 0
    .kernarg_segment_align: 8
    .kernarg_segment_size: 152
    .language:       OpenCL C
    .language_version:
      - 2
      - 0
    .max_flat_workgroup_size: 512
    .name:           _ZN7rocprim17ROCPRIM_400000_NS6detail17trampoline_kernelINS0_14default_configENS1_25partition_config_selectorILNS1_17partition_subalgoE1EyNS0_10empty_typeEbEEZZNS1_14partition_implILS5_1ELb0ES3_jN6thrust23THRUST_200600_302600_NS6detail15normal_iteratorINSA_10device_ptrIyEEEEPS6_NSA_18transform_iteratorI7is_evenIyESF_NSA_11use_defaultESK_EENS0_5tupleIJSF_NSA_16discard_iteratorISK_EEEEENSM_IJSG_SG_EEES6_PlJS6_EEE10hipError_tPvRmT3_T4_T5_T6_T7_T9_mT8_P12ihipStream_tbDpT10_ENKUlT_T0_E_clISt17integral_constantIbLb1EES1B_EEDaS16_S17_EUlS16_E_NS1_11comp_targetILNS1_3genE8ELNS1_11target_archE1030ELNS1_3gpuE2ELNS1_3repE0EEENS1_30default_config_static_selectorELNS0_4arch9wavefront6targetE1EEEvT1_
    .private_segment_fixed_size: 0
    .sgpr_count:     4
    .sgpr_spill_count: 0
    .symbol:         _ZN7rocprim17ROCPRIM_400000_NS6detail17trampoline_kernelINS0_14default_configENS1_25partition_config_selectorILNS1_17partition_subalgoE1EyNS0_10empty_typeEbEEZZNS1_14partition_implILS5_1ELb0ES3_jN6thrust23THRUST_200600_302600_NS6detail15normal_iteratorINSA_10device_ptrIyEEEEPS6_NSA_18transform_iteratorI7is_evenIyESF_NSA_11use_defaultESK_EENS0_5tupleIJSF_NSA_16discard_iteratorISK_EEEEENSM_IJSG_SG_EEES6_PlJS6_EEE10hipError_tPvRmT3_T4_T5_T6_T7_T9_mT8_P12ihipStream_tbDpT10_ENKUlT_T0_E_clISt17integral_constantIbLb1EES1B_EEDaS16_S17_EUlS16_E_NS1_11comp_targetILNS1_3genE8ELNS1_11target_archE1030ELNS1_3gpuE2ELNS1_3repE0EEENS1_30default_config_static_selectorELNS0_4arch9wavefront6targetE1EEEvT1_.kd
    .uniform_work_group_size: 1
    .uses_dynamic_stack: false
    .vgpr_count:     0
    .vgpr_spill_count: 0
    .wavefront_size: 64
  - .agpr_count:     0
    .args:
      - .offset:         0
        .size:           136
        .value_kind:     by_value
    .group_segment_fixed_size: 0
    .kernarg_segment_align: 8
    .kernarg_segment_size: 136
    .language:       OpenCL C
    .language_version:
      - 2
      - 0
    .max_flat_workgroup_size: 128
    .name:           _ZN7rocprim17ROCPRIM_400000_NS6detail17trampoline_kernelINS0_14default_configENS1_25partition_config_selectorILNS1_17partition_subalgoE1EyNS0_10empty_typeEbEEZZNS1_14partition_implILS5_1ELb0ES3_jN6thrust23THRUST_200600_302600_NS6detail15normal_iteratorINSA_10device_ptrIyEEEEPS6_NSA_18transform_iteratorI7is_evenIyESF_NSA_11use_defaultESK_EENS0_5tupleIJSF_NSA_16discard_iteratorISK_EEEEENSM_IJSG_SG_EEES6_PlJS6_EEE10hipError_tPvRmT3_T4_T5_T6_T7_T9_mT8_P12ihipStream_tbDpT10_ENKUlT_T0_E_clISt17integral_constantIbLb1EES1A_IbLb0EEEEDaS16_S17_EUlS16_E_NS1_11comp_targetILNS1_3genE0ELNS1_11target_archE4294967295ELNS1_3gpuE0ELNS1_3repE0EEENS1_30default_config_static_selectorELNS0_4arch9wavefront6targetE1EEEvT1_
    .private_segment_fixed_size: 0
    .sgpr_count:     4
    .sgpr_spill_count: 0
    .symbol:         _ZN7rocprim17ROCPRIM_400000_NS6detail17trampoline_kernelINS0_14default_configENS1_25partition_config_selectorILNS1_17partition_subalgoE1EyNS0_10empty_typeEbEEZZNS1_14partition_implILS5_1ELb0ES3_jN6thrust23THRUST_200600_302600_NS6detail15normal_iteratorINSA_10device_ptrIyEEEEPS6_NSA_18transform_iteratorI7is_evenIyESF_NSA_11use_defaultESK_EENS0_5tupleIJSF_NSA_16discard_iteratorISK_EEEEENSM_IJSG_SG_EEES6_PlJS6_EEE10hipError_tPvRmT3_T4_T5_T6_T7_T9_mT8_P12ihipStream_tbDpT10_ENKUlT_T0_E_clISt17integral_constantIbLb1EES1A_IbLb0EEEEDaS16_S17_EUlS16_E_NS1_11comp_targetILNS1_3genE0ELNS1_11target_archE4294967295ELNS1_3gpuE0ELNS1_3repE0EEENS1_30default_config_static_selectorELNS0_4arch9wavefront6targetE1EEEvT1_.kd
    .uniform_work_group_size: 1
    .uses_dynamic_stack: false
    .vgpr_count:     0
    .vgpr_spill_count: 0
    .wavefront_size: 64
  - .agpr_count:     0
    .args:
      - .offset:         0
        .size:           136
        .value_kind:     by_value
    .group_segment_fixed_size: 0
    .kernarg_segment_align: 8
    .kernarg_segment_size: 136
    .language:       OpenCL C
    .language_version:
      - 2
      - 0
    .max_flat_workgroup_size: 512
    .name:           _ZN7rocprim17ROCPRIM_400000_NS6detail17trampoline_kernelINS0_14default_configENS1_25partition_config_selectorILNS1_17partition_subalgoE1EyNS0_10empty_typeEbEEZZNS1_14partition_implILS5_1ELb0ES3_jN6thrust23THRUST_200600_302600_NS6detail15normal_iteratorINSA_10device_ptrIyEEEEPS6_NSA_18transform_iteratorI7is_evenIyESF_NSA_11use_defaultESK_EENS0_5tupleIJSF_NSA_16discard_iteratorISK_EEEEENSM_IJSG_SG_EEES6_PlJS6_EEE10hipError_tPvRmT3_T4_T5_T6_T7_T9_mT8_P12ihipStream_tbDpT10_ENKUlT_T0_E_clISt17integral_constantIbLb1EES1A_IbLb0EEEEDaS16_S17_EUlS16_E_NS1_11comp_targetILNS1_3genE5ELNS1_11target_archE942ELNS1_3gpuE9ELNS1_3repE0EEENS1_30default_config_static_selectorELNS0_4arch9wavefront6targetE1EEEvT1_
    .private_segment_fixed_size: 0
    .sgpr_count:     4
    .sgpr_spill_count: 0
    .symbol:         _ZN7rocprim17ROCPRIM_400000_NS6detail17trampoline_kernelINS0_14default_configENS1_25partition_config_selectorILNS1_17partition_subalgoE1EyNS0_10empty_typeEbEEZZNS1_14partition_implILS5_1ELb0ES3_jN6thrust23THRUST_200600_302600_NS6detail15normal_iteratorINSA_10device_ptrIyEEEEPS6_NSA_18transform_iteratorI7is_evenIyESF_NSA_11use_defaultESK_EENS0_5tupleIJSF_NSA_16discard_iteratorISK_EEEEENSM_IJSG_SG_EEES6_PlJS6_EEE10hipError_tPvRmT3_T4_T5_T6_T7_T9_mT8_P12ihipStream_tbDpT10_ENKUlT_T0_E_clISt17integral_constantIbLb1EES1A_IbLb0EEEEDaS16_S17_EUlS16_E_NS1_11comp_targetILNS1_3genE5ELNS1_11target_archE942ELNS1_3gpuE9ELNS1_3repE0EEENS1_30default_config_static_selectorELNS0_4arch9wavefront6targetE1EEEvT1_.kd
    .uniform_work_group_size: 1
    .uses_dynamic_stack: false
    .vgpr_count:     0
    .vgpr_spill_count: 0
    .wavefront_size: 64
  - .agpr_count:     0
    .args:
      - .offset:         0
        .size:           136
        .value_kind:     by_value
    .group_segment_fixed_size: 6344
    .kernarg_segment_align: 8
    .kernarg_segment_size: 136
    .language:       OpenCL C
    .language_version:
      - 2
      - 0
    .max_flat_workgroup_size: 192
    .name:           _ZN7rocprim17ROCPRIM_400000_NS6detail17trampoline_kernelINS0_14default_configENS1_25partition_config_selectorILNS1_17partition_subalgoE1EyNS0_10empty_typeEbEEZZNS1_14partition_implILS5_1ELb0ES3_jN6thrust23THRUST_200600_302600_NS6detail15normal_iteratorINSA_10device_ptrIyEEEEPS6_NSA_18transform_iteratorI7is_evenIyESF_NSA_11use_defaultESK_EENS0_5tupleIJSF_NSA_16discard_iteratorISK_EEEEENSM_IJSG_SG_EEES6_PlJS6_EEE10hipError_tPvRmT3_T4_T5_T6_T7_T9_mT8_P12ihipStream_tbDpT10_ENKUlT_T0_E_clISt17integral_constantIbLb1EES1A_IbLb0EEEEDaS16_S17_EUlS16_E_NS1_11comp_targetILNS1_3genE4ELNS1_11target_archE910ELNS1_3gpuE8ELNS1_3repE0EEENS1_30default_config_static_selectorELNS0_4arch9wavefront6targetE1EEEvT1_
    .private_segment_fixed_size: 0
    .sgpr_count:     44
    .sgpr_spill_count: 0
    .symbol:         _ZN7rocprim17ROCPRIM_400000_NS6detail17trampoline_kernelINS0_14default_configENS1_25partition_config_selectorILNS1_17partition_subalgoE1EyNS0_10empty_typeEbEEZZNS1_14partition_implILS5_1ELb0ES3_jN6thrust23THRUST_200600_302600_NS6detail15normal_iteratorINSA_10device_ptrIyEEEEPS6_NSA_18transform_iteratorI7is_evenIyESF_NSA_11use_defaultESK_EENS0_5tupleIJSF_NSA_16discard_iteratorISK_EEEEENSM_IJSG_SG_EEES6_PlJS6_EEE10hipError_tPvRmT3_T4_T5_T6_T7_T9_mT8_P12ihipStream_tbDpT10_ENKUlT_T0_E_clISt17integral_constantIbLb1EES1A_IbLb0EEEEDaS16_S17_EUlS16_E_NS1_11comp_targetILNS1_3genE4ELNS1_11target_archE910ELNS1_3gpuE8ELNS1_3repE0EEENS1_30default_config_static_selectorELNS0_4arch9wavefront6targetE1EEEvT1_.kd
    .uniform_work_group_size: 1
    .uses_dynamic_stack: false
    .vgpr_count:     43
    .vgpr_spill_count: 0
    .wavefront_size: 64
  - .agpr_count:     0
    .args:
      - .offset:         0
        .size:           136
        .value_kind:     by_value
    .group_segment_fixed_size: 0
    .kernarg_segment_align: 8
    .kernarg_segment_size: 136
    .language:       OpenCL C
    .language_version:
      - 2
      - 0
    .max_flat_workgroup_size: 128
    .name:           _ZN7rocprim17ROCPRIM_400000_NS6detail17trampoline_kernelINS0_14default_configENS1_25partition_config_selectorILNS1_17partition_subalgoE1EyNS0_10empty_typeEbEEZZNS1_14partition_implILS5_1ELb0ES3_jN6thrust23THRUST_200600_302600_NS6detail15normal_iteratorINSA_10device_ptrIyEEEEPS6_NSA_18transform_iteratorI7is_evenIyESF_NSA_11use_defaultESK_EENS0_5tupleIJSF_NSA_16discard_iteratorISK_EEEEENSM_IJSG_SG_EEES6_PlJS6_EEE10hipError_tPvRmT3_T4_T5_T6_T7_T9_mT8_P12ihipStream_tbDpT10_ENKUlT_T0_E_clISt17integral_constantIbLb1EES1A_IbLb0EEEEDaS16_S17_EUlS16_E_NS1_11comp_targetILNS1_3genE3ELNS1_11target_archE908ELNS1_3gpuE7ELNS1_3repE0EEENS1_30default_config_static_selectorELNS0_4arch9wavefront6targetE1EEEvT1_
    .private_segment_fixed_size: 0
    .sgpr_count:     4
    .sgpr_spill_count: 0
    .symbol:         _ZN7rocprim17ROCPRIM_400000_NS6detail17trampoline_kernelINS0_14default_configENS1_25partition_config_selectorILNS1_17partition_subalgoE1EyNS0_10empty_typeEbEEZZNS1_14partition_implILS5_1ELb0ES3_jN6thrust23THRUST_200600_302600_NS6detail15normal_iteratorINSA_10device_ptrIyEEEEPS6_NSA_18transform_iteratorI7is_evenIyESF_NSA_11use_defaultESK_EENS0_5tupleIJSF_NSA_16discard_iteratorISK_EEEEENSM_IJSG_SG_EEES6_PlJS6_EEE10hipError_tPvRmT3_T4_T5_T6_T7_T9_mT8_P12ihipStream_tbDpT10_ENKUlT_T0_E_clISt17integral_constantIbLb1EES1A_IbLb0EEEEDaS16_S17_EUlS16_E_NS1_11comp_targetILNS1_3genE3ELNS1_11target_archE908ELNS1_3gpuE7ELNS1_3repE0EEENS1_30default_config_static_selectorELNS0_4arch9wavefront6targetE1EEEvT1_.kd
    .uniform_work_group_size: 1
    .uses_dynamic_stack: false
    .vgpr_count:     0
    .vgpr_spill_count: 0
    .wavefront_size: 64
  - .agpr_count:     0
    .args:
      - .offset:         0
        .size:           136
        .value_kind:     by_value
    .group_segment_fixed_size: 0
    .kernarg_segment_align: 8
    .kernarg_segment_size: 136
    .language:       OpenCL C
    .language_version:
      - 2
      - 0
    .max_flat_workgroup_size: 256
    .name:           _ZN7rocprim17ROCPRIM_400000_NS6detail17trampoline_kernelINS0_14default_configENS1_25partition_config_selectorILNS1_17partition_subalgoE1EyNS0_10empty_typeEbEEZZNS1_14partition_implILS5_1ELb0ES3_jN6thrust23THRUST_200600_302600_NS6detail15normal_iteratorINSA_10device_ptrIyEEEEPS6_NSA_18transform_iteratorI7is_evenIyESF_NSA_11use_defaultESK_EENS0_5tupleIJSF_NSA_16discard_iteratorISK_EEEEENSM_IJSG_SG_EEES6_PlJS6_EEE10hipError_tPvRmT3_T4_T5_T6_T7_T9_mT8_P12ihipStream_tbDpT10_ENKUlT_T0_E_clISt17integral_constantIbLb1EES1A_IbLb0EEEEDaS16_S17_EUlS16_E_NS1_11comp_targetILNS1_3genE2ELNS1_11target_archE906ELNS1_3gpuE6ELNS1_3repE0EEENS1_30default_config_static_selectorELNS0_4arch9wavefront6targetE1EEEvT1_
    .private_segment_fixed_size: 0
    .sgpr_count:     4
    .sgpr_spill_count: 0
    .symbol:         _ZN7rocprim17ROCPRIM_400000_NS6detail17trampoline_kernelINS0_14default_configENS1_25partition_config_selectorILNS1_17partition_subalgoE1EyNS0_10empty_typeEbEEZZNS1_14partition_implILS5_1ELb0ES3_jN6thrust23THRUST_200600_302600_NS6detail15normal_iteratorINSA_10device_ptrIyEEEEPS6_NSA_18transform_iteratorI7is_evenIyESF_NSA_11use_defaultESK_EENS0_5tupleIJSF_NSA_16discard_iteratorISK_EEEEENSM_IJSG_SG_EEES6_PlJS6_EEE10hipError_tPvRmT3_T4_T5_T6_T7_T9_mT8_P12ihipStream_tbDpT10_ENKUlT_T0_E_clISt17integral_constantIbLb1EES1A_IbLb0EEEEDaS16_S17_EUlS16_E_NS1_11comp_targetILNS1_3genE2ELNS1_11target_archE906ELNS1_3gpuE6ELNS1_3repE0EEENS1_30default_config_static_selectorELNS0_4arch9wavefront6targetE1EEEvT1_.kd
    .uniform_work_group_size: 1
    .uses_dynamic_stack: false
    .vgpr_count:     0
    .vgpr_spill_count: 0
    .wavefront_size: 64
  - .agpr_count:     0
    .args:
      - .offset:         0
        .size:           136
        .value_kind:     by_value
    .group_segment_fixed_size: 0
    .kernarg_segment_align: 8
    .kernarg_segment_size: 136
    .language:       OpenCL C
    .language_version:
      - 2
      - 0
    .max_flat_workgroup_size: 256
    .name:           _ZN7rocprim17ROCPRIM_400000_NS6detail17trampoline_kernelINS0_14default_configENS1_25partition_config_selectorILNS1_17partition_subalgoE1EyNS0_10empty_typeEbEEZZNS1_14partition_implILS5_1ELb0ES3_jN6thrust23THRUST_200600_302600_NS6detail15normal_iteratorINSA_10device_ptrIyEEEEPS6_NSA_18transform_iteratorI7is_evenIyESF_NSA_11use_defaultESK_EENS0_5tupleIJSF_NSA_16discard_iteratorISK_EEEEENSM_IJSG_SG_EEES6_PlJS6_EEE10hipError_tPvRmT3_T4_T5_T6_T7_T9_mT8_P12ihipStream_tbDpT10_ENKUlT_T0_E_clISt17integral_constantIbLb1EES1A_IbLb0EEEEDaS16_S17_EUlS16_E_NS1_11comp_targetILNS1_3genE10ELNS1_11target_archE1200ELNS1_3gpuE4ELNS1_3repE0EEENS1_30default_config_static_selectorELNS0_4arch9wavefront6targetE1EEEvT1_
    .private_segment_fixed_size: 0
    .sgpr_count:     4
    .sgpr_spill_count: 0
    .symbol:         _ZN7rocprim17ROCPRIM_400000_NS6detail17trampoline_kernelINS0_14default_configENS1_25partition_config_selectorILNS1_17partition_subalgoE1EyNS0_10empty_typeEbEEZZNS1_14partition_implILS5_1ELb0ES3_jN6thrust23THRUST_200600_302600_NS6detail15normal_iteratorINSA_10device_ptrIyEEEEPS6_NSA_18transform_iteratorI7is_evenIyESF_NSA_11use_defaultESK_EENS0_5tupleIJSF_NSA_16discard_iteratorISK_EEEEENSM_IJSG_SG_EEES6_PlJS6_EEE10hipError_tPvRmT3_T4_T5_T6_T7_T9_mT8_P12ihipStream_tbDpT10_ENKUlT_T0_E_clISt17integral_constantIbLb1EES1A_IbLb0EEEEDaS16_S17_EUlS16_E_NS1_11comp_targetILNS1_3genE10ELNS1_11target_archE1200ELNS1_3gpuE4ELNS1_3repE0EEENS1_30default_config_static_selectorELNS0_4arch9wavefront6targetE1EEEvT1_.kd
    .uniform_work_group_size: 1
    .uses_dynamic_stack: false
    .vgpr_count:     0
    .vgpr_spill_count: 0
    .wavefront_size: 64
  - .agpr_count:     0
    .args:
      - .offset:         0
        .size:           136
        .value_kind:     by_value
    .group_segment_fixed_size: 0
    .kernarg_segment_align: 8
    .kernarg_segment_size: 136
    .language:       OpenCL C
    .language_version:
      - 2
      - 0
    .max_flat_workgroup_size: 128
    .name:           _ZN7rocprim17ROCPRIM_400000_NS6detail17trampoline_kernelINS0_14default_configENS1_25partition_config_selectorILNS1_17partition_subalgoE1EyNS0_10empty_typeEbEEZZNS1_14partition_implILS5_1ELb0ES3_jN6thrust23THRUST_200600_302600_NS6detail15normal_iteratorINSA_10device_ptrIyEEEEPS6_NSA_18transform_iteratorI7is_evenIyESF_NSA_11use_defaultESK_EENS0_5tupleIJSF_NSA_16discard_iteratorISK_EEEEENSM_IJSG_SG_EEES6_PlJS6_EEE10hipError_tPvRmT3_T4_T5_T6_T7_T9_mT8_P12ihipStream_tbDpT10_ENKUlT_T0_E_clISt17integral_constantIbLb1EES1A_IbLb0EEEEDaS16_S17_EUlS16_E_NS1_11comp_targetILNS1_3genE9ELNS1_11target_archE1100ELNS1_3gpuE3ELNS1_3repE0EEENS1_30default_config_static_selectorELNS0_4arch9wavefront6targetE1EEEvT1_
    .private_segment_fixed_size: 0
    .sgpr_count:     4
    .sgpr_spill_count: 0
    .symbol:         _ZN7rocprim17ROCPRIM_400000_NS6detail17trampoline_kernelINS0_14default_configENS1_25partition_config_selectorILNS1_17partition_subalgoE1EyNS0_10empty_typeEbEEZZNS1_14partition_implILS5_1ELb0ES3_jN6thrust23THRUST_200600_302600_NS6detail15normal_iteratorINSA_10device_ptrIyEEEEPS6_NSA_18transform_iteratorI7is_evenIyESF_NSA_11use_defaultESK_EENS0_5tupleIJSF_NSA_16discard_iteratorISK_EEEEENSM_IJSG_SG_EEES6_PlJS6_EEE10hipError_tPvRmT3_T4_T5_T6_T7_T9_mT8_P12ihipStream_tbDpT10_ENKUlT_T0_E_clISt17integral_constantIbLb1EES1A_IbLb0EEEEDaS16_S17_EUlS16_E_NS1_11comp_targetILNS1_3genE9ELNS1_11target_archE1100ELNS1_3gpuE3ELNS1_3repE0EEENS1_30default_config_static_selectorELNS0_4arch9wavefront6targetE1EEEvT1_.kd
    .uniform_work_group_size: 1
    .uses_dynamic_stack: false
    .vgpr_count:     0
    .vgpr_spill_count: 0
    .wavefront_size: 64
  - .agpr_count:     0
    .args:
      - .offset:         0
        .size:           136
        .value_kind:     by_value
    .group_segment_fixed_size: 0
    .kernarg_segment_align: 8
    .kernarg_segment_size: 136
    .language:       OpenCL C
    .language_version:
      - 2
      - 0
    .max_flat_workgroup_size: 512
    .name:           _ZN7rocprim17ROCPRIM_400000_NS6detail17trampoline_kernelINS0_14default_configENS1_25partition_config_selectorILNS1_17partition_subalgoE1EyNS0_10empty_typeEbEEZZNS1_14partition_implILS5_1ELb0ES3_jN6thrust23THRUST_200600_302600_NS6detail15normal_iteratorINSA_10device_ptrIyEEEEPS6_NSA_18transform_iteratorI7is_evenIyESF_NSA_11use_defaultESK_EENS0_5tupleIJSF_NSA_16discard_iteratorISK_EEEEENSM_IJSG_SG_EEES6_PlJS6_EEE10hipError_tPvRmT3_T4_T5_T6_T7_T9_mT8_P12ihipStream_tbDpT10_ENKUlT_T0_E_clISt17integral_constantIbLb1EES1A_IbLb0EEEEDaS16_S17_EUlS16_E_NS1_11comp_targetILNS1_3genE8ELNS1_11target_archE1030ELNS1_3gpuE2ELNS1_3repE0EEENS1_30default_config_static_selectorELNS0_4arch9wavefront6targetE1EEEvT1_
    .private_segment_fixed_size: 0
    .sgpr_count:     4
    .sgpr_spill_count: 0
    .symbol:         _ZN7rocprim17ROCPRIM_400000_NS6detail17trampoline_kernelINS0_14default_configENS1_25partition_config_selectorILNS1_17partition_subalgoE1EyNS0_10empty_typeEbEEZZNS1_14partition_implILS5_1ELb0ES3_jN6thrust23THRUST_200600_302600_NS6detail15normal_iteratorINSA_10device_ptrIyEEEEPS6_NSA_18transform_iteratorI7is_evenIyESF_NSA_11use_defaultESK_EENS0_5tupleIJSF_NSA_16discard_iteratorISK_EEEEENSM_IJSG_SG_EEES6_PlJS6_EEE10hipError_tPvRmT3_T4_T5_T6_T7_T9_mT8_P12ihipStream_tbDpT10_ENKUlT_T0_E_clISt17integral_constantIbLb1EES1A_IbLb0EEEEDaS16_S17_EUlS16_E_NS1_11comp_targetILNS1_3genE8ELNS1_11target_archE1030ELNS1_3gpuE2ELNS1_3repE0EEENS1_30default_config_static_selectorELNS0_4arch9wavefront6targetE1EEEvT1_.kd
    .uniform_work_group_size: 1
    .uses_dynamic_stack: false
    .vgpr_count:     0
    .vgpr_spill_count: 0
    .wavefront_size: 64
  - .agpr_count:     0
    .args:
      - .offset:         0
        .size:           152
        .value_kind:     by_value
    .group_segment_fixed_size: 0
    .kernarg_segment_align: 8
    .kernarg_segment_size: 152
    .language:       OpenCL C
    .language_version:
      - 2
      - 0
    .max_flat_workgroup_size: 128
    .name:           _ZN7rocprim17ROCPRIM_400000_NS6detail17trampoline_kernelINS0_14default_configENS1_25partition_config_selectorILNS1_17partition_subalgoE1EyNS0_10empty_typeEbEEZZNS1_14partition_implILS5_1ELb0ES3_jN6thrust23THRUST_200600_302600_NS6detail15normal_iteratorINSA_10device_ptrIyEEEEPS6_NSA_18transform_iteratorI7is_evenIyESF_NSA_11use_defaultESK_EENS0_5tupleIJSF_NSA_16discard_iteratorISK_EEEEENSM_IJSG_SG_EEES6_PlJS6_EEE10hipError_tPvRmT3_T4_T5_T6_T7_T9_mT8_P12ihipStream_tbDpT10_ENKUlT_T0_E_clISt17integral_constantIbLb0EES1A_IbLb1EEEEDaS16_S17_EUlS16_E_NS1_11comp_targetILNS1_3genE0ELNS1_11target_archE4294967295ELNS1_3gpuE0ELNS1_3repE0EEENS1_30default_config_static_selectorELNS0_4arch9wavefront6targetE1EEEvT1_
    .private_segment_fixed_size: 0
    .sgpr_count:     4
    .sgpr_spill_count: 0
    .symbol:         _ZN7rocprim17ROCPRIM_400000_NS6detail17trampoline_kernelINS0_14default_configENS1_25partition_config_selectorILNS1_17partition_subalgoE1EyNS0_10empty_typeEbEEZZNS1_14partition_implILS5_1ELb0ES3_jN6thrust23THRUST_200600_302600_NS6detail15normal_iteratorINSA_10device_ptrIyEEEEPS6_NSA_18transform_iteratorI7is_evenIyESF_NSA_11use_defaultESK_EENS0_5tupleIJSF_NSA_16discard_iteratorISK_EEEEENSM_IJSG_SG_EEES6_PlJS6_EEE10hipError_tPvRmT3_T4_T5_T6_T7_T9_mT8_P12ihipStream_tbDpT10_ENKUlT_T0_E_clISt17integral_constantIbLb0EES1A_IbLb1EEEEDaS16_S17_EUlS16_E_NS1_11comp_targetILNS1_3genE0ELNS1_11target_archE4294967295ELNS1_3gpuE0ELNS1_3repE0EEENS1_30default_config_static_selectorELNS0_4arch9wavefront6targetE1EEEvT1_.kd
    .uniform_work_group_size: 1
    .uses_dynamic_stack: false
    .vgpr_count:     0
    .vgpr_spill_count: 0
    .wavefront_size: 64
  - .agpr_count:     0
    .args:
      - .offset:         0
        .size:           152
        .value_kind:     by_value
    .group_segment_fixed_size: 0
    .kernarg_segment_align: 8
    .kernarg_segment_size: 152
    .language:       OpenCL C
    .language_version:
      - 2
      - 0
    .max_flat_workgroup_size: 512
    .name:           _ZN7rocprim17ROCPRIM_400000_NS6detail17trampoline_kernelINS0_14default_configENS1_25partition_config_selectorILNS1_17partition_subalgoE1EyNS0_10empty_typeEbEEZZNS1_14partition_implILS5_1ELb0ES3_jN6thrust23THRUST_200600_302600_NS6detail15normal_iteratorINSA_10device_ptrIyEEEEPS6_NSA_18transform_iteratorI7is_evenIyESF_NSA_11use_defaultESK_EENS0_5tupleIJSF_NSA_16discard_iteratorISK_EEEEENSM_IJSG_SG_EEES6_PlJS6_EEE10hipError_tPvRmT3_T4_T5_T6_T7_T9_mT8_P12ihipStream_tbDpT10_ENKUlT_T0_E_clISt17integral_constantIbLb0EES1A_IbLb1EEEEDaS16_S17_EUlS16_E_NS1_11comp_targetILNS1_3genE5ELNS1_11target_archE942ELNS1_3gpuE9ELNS1_3repE0EEENS1_30default_config_static_selectorELNS0_4arch9wavefront6targetE1EEEvT1_
    .private_segment_fixed_size: 0
    .sgpr_count:     4
    .sgpr_spill_count: 0
    .symbol:         _ZN7rocprim17ROCPRIM_400000_NS6detail17trampoline_kernelINS0_14default_configENS1_25partition_config_selectorILNS1_17partition_subalgoE1EyNS0_10empty_typeEbEEZZNS1_14partition_implILS5_1ELb0ES3_jN6thrust23THRUST_200600_302600_NS6detail15normal_iteratorINSA_10device_ptrIyEEEEPS6_NSA_18transform_iteratorI7is_evenIyESF_NSA_11use_defaultESK_EENS0_5tupleIJSF_NSA_16discard_iteratorISK_EEEEENSM_IJSG_SG_EEES6_PlJS6_EEE10hipError_tPvRmT3_T4_T5_T6_T7_T9_mT8_P12ihipStream_tbDpT10_ENKUlT_T0_E_clISt17integral_constantIbLb0EES1A_IbLb1EEEEDaS16_S17_EUlS16_E_NS1_11comp_targetILNS1_3genE5ELNS1_11target_archE942ELNS1_3gpuE9ELNS1_3repE0EEENS1_30default_config_static_selectorELNS0_4arch9wavefront6targetE1EEEvT1_.kd
    .uniform_work_group_size: 1
    .uses_dynamic_stack: false
    .vgpr_count:     0
    .vgpr_spill_count: 0
    .wavefront_size: 64
  - .agpr_count:     0
    .args:
      - .offset:         0
        .size:           152
        .value_kind:     by_value
    .group_segment_fixed_size: 6344
    .kernarg_segment_align: 8
    .kernarg_segment_size: 152
    .language:       OpenCL C
    .language_version:
      - 2
      - 0
    .max_flat_workgroup_size: 192
    .name:           _ZN7rocprim17ROCPRIM_400000_NS6detail17trampoline_kernelINS0_14default_configENS1_25partition_config_selectorILNS1_17partition_subalgoE1EyNS0_10empty_typeEbEEZZNS1_14partition_implILS5_1ELb0ES3_jN6thrust23THRUST_200600_302600_NS6detail15normal_iteratorINSA_10device_ptrIyEEEEPS6_NSA_18transform_iteratorI7is_evenIyESF_NSA_11use_defaultESK_EENS0_5tupleIJSF_NSA_16discard_iteratorISK_EEEEENSM_IJSG_SG_EEES6_PlJS6_EEE10hipError_tPvRmT3_T4_T5_T6_T7_T9_mT8_P12ihipStream_tbDpT10_ENKUlT_T0_E_clISt17integral_constantIbLb0EES1A_IbLb1EEEEDaS16_S17_EUlS16_E_NS1_11comp_targetILNS1_3genE4ELNS1_11target_archE910ELNS1_3gpuE8ELNS1_3repE0EEENS1_30default_config_static_selectorELNS0_4arch9wavefront6targetE1EEEvT1_
    .private_segment_fixed_size: 0
    .sgpr_count:     44
    .sgpr_spill_count: 0
    .symbol:         _ZN7rocprim17ROCPRIM_400000_NS6detail17trampoline_kernelINS0_14default_configENS1_25partition_config_selectorILNS1_17partition_subalgoE1EyNS0_10empty_typeEbEEZZNS1_14partition_implILS5_1ELb0ES3_jN6thrust23THRUST_200600_302600_NS6detail15normal_iteratorINSA_10device_ptrIyEEEEPS6_NSA_18transform_iteratorI7is_evenIyESF_NSA_11use_defaultESK_EENS0_5tupleIJSF_NSA_16discard_iteratorISK_EEEEENSM_IJSG_SG_EEES6_PlJS6_EEE10hipError_tPvRmT3_T4_T5_T6_T7_T9_mT8_P12ihipStream_tbDpT10_ENKUlT_T0_E_clISt17integral_constantIbLb0EES1A_IbLb1EEEEDaS16_S17_EUlS16_E_NS1_11comp_targetILNS1_3genE4ELNS1_11target_archE910ELNS1_3gpuE8ELNS1_3repE0EEENS1_30default_config_static_selectorELNS0_4arch9wavefront6targetE1EEEvT1_.kd
    .uniform_work_group_size: 1
    .uses_dynamic_stack: false
    .vgpr_count:     45
    .vgpr_spill_count: 0
    .wavefront_size: 64
  - .agpr_count:     0
    .args:
      - .offset:         0
        .size:           152
        .value_kind:     by_value
    .group_segment_fixed_size: 0
    .kernarg_segment_align: 8
    .kernarg_segment_size: 152
    .language:       OpenCL C
    .language_version:
      - 2
      - 0
    .max_flat_workgroup_size: 128
    .name:           _ZN7rocprim17ROCPRIM_400000_NS6detail17trampoline_kernelINS0_14default_configENS1_25partition_config_selectorILNS1_17partition_subalgoE1EyNS0_10empty_typeEbEEZZNS1_14partition_implILS5_1ELb0ES3_jN6thrust23THRUST_200600_302600_NS6detail15normal_iteratorINSA_10device_ptrIyEEEEPS6_NSA_18transform_iteratorI7is_evenIyESF_NSA_11use_defaultESK_EENS0_5tupleIJSF_NSA_16discard_iteratorISK_EEEEENSM_IJSG_SG_EEES6_PlJS6_EEE10hipError_tPvRmT3_T4_T5_T6_T7_T9_mT8_P12ihipStream_tbDpT10_ENKUlT_T0_E_clISt17integral_constantIbLb0EES1A_IbLb1EEEEDaS16_S17_EUlS16_E_NS1_11comp_targetILNS1_3genE3ELNS1_11target_archE908ELNS1_3gpuE7ELNS1_3repE0EEENS1_30default_config_static_selectorELNS0_4arch9wavefront6targetE1EEEvT1_
    .private_segment_fixed_size: 0
    .sgpr_count:     4
    .sgpr_spill_count: 0
    .symbol:         _ZN7rocprim17ROCPRIM_400000_NS6detail17trampoline_kernelINS0_14default_configENS1_25partition_config_selectorILNS1_17partition_subalgoE1EyNS0_10empty_typeEbEEZZNS1_14partition_implILS5_1ELb0ES3_jN6thrust23THRUST_200600_302600_NS6detail15normal_iteratorINSA_10device_ptrIyEEEEPS6_NSA_18transform_iteratorI7is_evenIyESF_NSA_11use_defaultESK_EENS0_5tupleIJSF_NSA_16discard_iteratorISK_EEEEENSM_IJSG_SG_EEES6_PlJS6_EEE10hipError_tPvRmT3_T4_T5_T6_T7_T9_mT8_P12ihipStream_tbDpT10_ENKUlT_T0_E_clISt17integral_constantIbLb0EES1A_IbLb1EEEEDaS16_S17_EUlS16_E_NS1_11comp_targetILNS1_3genE3ELNS1_11target_archE908ELNS1_3gpuE7ELNS1_3repE0EEENS1_30default_config_static_selectorELNS0_4arch9wavefront6targetE1EEEvT1_.kd
    .uniform_work_group_size: 1
    .uses_dynamic_stack: false
    .vgpr_count:     0
    .vgpr_spill_count: 0
    .wavefront_size: 64
  - .agpr_count:     0
    .args:
      - .offset:         0
        .size:           152
        .value_kind:     by_value
    .group_segment_fixed_size: 0
    .kernarg_segment_align: 8
    .kernarg_segment_size: 152
    .language:       OpenCL C
    .language_version:
      - 2
      - 0
    .max_flat_workgroup_size: 256
    .name:           _ZN7rocprim17ROCPRIM_400000_NS6detail17trampoline_kernelINS0_14default_configENS1_25partition_config_selectorILNS1_17partition_subalgoE1EyNS0_10empty_typeEbEEZZNS1_14partition_implILS5_1ELb0ES3_jN6thrust23THRUST_200600_302600_NS6detail15normal_iteratorINSA_10device_ptrIyEEEEPS6_NSA_18transform_iteratorI7is_evenIyESF_NSA_11use_defaultESK_EENS0_5tupleIJSF_NSA_16discard_iteratorISK_EEEEENSM_IJSG_SG_EEES6_PlJS6_EEE10hipError_tPvRmT3_T4_T5_T6_T7_T9_mT8_P12ihipStream_tbDpT10_ENKUlT_T0_E_clISt17integral_constantIbLb0EES1A_IbLb1EEEEDaS16_S17_EUlS16_E_NS1_11comp_targetILNS1_3genE2ELNS1_11target_archE906ELNS1_3gpuE6ELNS1_3repE0EEENS1_30default_config_static_selectorELNS0_4arch9wavefront6targetE1EEEvT1_
    .private_segment_fixed_size: 0
    .sgpr_count:     4
    .sgpr_spill_count: 0
    .symbol:         _ZN7rocprim17ROCPRIM_400000_NS6detail17trampoline_kernelINS0_14default_configENS1_25partition_config_selectorILNS1_17partition_subalgoE1EyNS0_10empty_typeEbEEZZNS1_14partition_implILS5_1ELb0ES3_jN6thrust23THRUST_200600_302600_NS6detail15normal_iteratorINSA_10device_ptrIyEEEEPS6_NSA_18transform_iteratorI7is_evenIyESF_NSA_11use_defaultESK_EENS0_5tupleIJSF_NSA_16discard_iteratorISK_EEEEENSM_IJSG_SG_EEES6_PlJS6_EEE10hipError_tPvRmT3_T4_T5_T6_T7_T9_mT8_P12ihipStream_tbDpT10_ENKUlT_T0_E_clISt17integral_constantIbLb0EES1A_IbLb1EEEEDaS16_S17_EUlS16_E_NS1_11comp_targetILNS1_3genE2ELNS1_11target_archE906ELNS1_3gpuE6ELNS1_3repE0EEENS1_30default_config_static_selectorELNS0_4arch9wavefront6targetE1EEEvT1_.kd
    .uniform_work_group_size: 1
    .uses_dynamic_stack: false
    .vgpr_count:     0
    .vgpr_spill_count: 0
    .wavefront_size: 64
  - .agpr_count:     0
    .args:
      - .offset:         0
        .size:           152
        .value_kind:     by_value
    .group_segment_fixed_size: 0
    .kernarg_segment_align: 8
    .kernarg_segment_size: 152
    .language:       OpenCL C
    .language_version:
      - 2
      - 0
    .max_flat_workgroup_size: 256
    .name:           _ZN7rocprim17ROCPRIM_400000_NS6detail17trampoline_kernelINS0_14default_configENS1_25partition_config_selectorILNS1_17partition_subalgoE1EyNS0_10empty_typeEbEEZZNS1_14partition_implILS5_1ELb0ES3_jN6thrust23THRUST_200600_302600_NS6detail15normal_iteratorINSA_10device_ptrIyEEEEPS6_NSA_18transform_iteratorI7is_evenIyESF_NSA_11use_defaultESK_EENS0_5tupleIJSF_NSA_16discard_iteratorISK_EEEEENSM_IJSG_SG_EEES6_PlJS6_EEE10hipError_tPvRmT3_T4_T5_T6_T7_T9_mT8_P12ihipStream_tbDpT10_ENKUlT_T0_E_clISt17integral_constantIbLb0EES1A_IbLb1EEEEDaS16_S17_EUlS16_E_NS1_11comp_targetILNS1_3genE10ELNS1_11target_archE1200ELNS1_3gpuE4ELNS1_3repE0EEENS1_30default_config_static_selectorELNS0_4arch9wavefront6targetE1EEEvT1_
    .private_segment_fixed_size: 0
    .sgpr_count:     4
    .sgpr_spill_count: 0
    .symbol:         _ZN7rocprim17ROCPRIM_400000_NS6detail17trampoline_kernelINS0_14default_configENS1_25partition_config_selectorILNS1_17partition_subalgoE1EyNS0_10empty_typeEbEEZZNS1_14partition_implILS5_1ELb0ES3_jN6thrust23THRUST_200600_302600_NS6detail15normal_iteratorINSA_10device_ptrIyEEEEPS6_NSA_18transform_iteratorI7is_evenIyESF_NSA_11use_defaultESK_EENS0_5tupleIJSF_NSA_16discard_iteratorISK_EEEEENSM_IJSG_SG_EEES6_PlJS6_EEE10hipError_tPvRmT3_T4_T5_T6_T7_T9_mT8_P12ihipStream_tbDpT10_ENKUlT_T0_E_clISt17integral_constantIbLb0EES1A_IbLb1EEEEDaS16_S17_EUlS16_E_NS1_11comp_targetILNS1_3genE10ELNS1_11target_archE1200ELNS1_3gpuE4ELNS1_3repE0EEENS1_30default_config_static_selectorELNS0_4arch9wavefront6targetE1EEEvT1_.kd
    .uniform_work_group_size: 1
    .uses_dynamic_stack: false
    .vgpr_count:     0
    .vgpr_spill_count: 0
    .wavefront_size: 64
  - .agpr_count:     0
    .args:
      - .offset:         0
        .size:           152
        .value_kind:     by_value
    .group_segment_fixed_size: 0
    .kernarg_segment_align: 8
    .kernarg_segment_size: 152
    .language:       OpenCL C
    .language_version:
      - 2
      - 0
    .max_flat_workgroup_size: 128
    .name:           _ZN7rocprim17ROCPRIM_400000_NS6detail17trampoline_kernelINS0_14default_configENS1_25partition_config_selectorILNS1_17partition_subalgoE1EyNS0_10empty_typeEbEEZZNS1_14partition_implILS5_1ELb0ES3_jN6thrust23THRUST_200600_302600_NS6detail15normal_iteratorINSA_10device_ptrIyEEEEPS6_NSA_18transform_iteratorI7is_evenIyESF_NSA_11use_defaultESK_EENS0_5tupleIJSF_NSA_16discard_iteratorISK_EEEEENSM_IJSG_SG_EEES6_PlJS6_EEE10hipError_tPvRmT3_T4_T5_T6_T7_T9_mT8_P12ihipStream_tbDpT10_ENKUlT_T0_E_clISt17integral_constantIbLb0EES1A_IbLb1EEEEDaS16_S17_EUlS16_E_NS1_11comp_targetILNS1_3genE9ELNS1_11target_archE1100ELNS1_3gpuE3ELNS1_3repE0EEENS1_30default_config_static_selectorELNS0_4arch9wavefront6targetE1EEEvT1_
    .private_segment_fixed_size: 0
    .sgpr_count:     4
    .sgpr_spill_count: 0
    .symbol:         _ZN7rocprim17ROCPRIM_400000_NS6detail17trampoline_kernelINS0_14default_configENS1_25partition_config_selectorILNS1_17partition_subalgoE1EyNS0_10empty_typeEbEEZZNS1_14partition_implILS5_1ELb0ES3_jN6thrust23THRUST_200600_302600_NS6detail15normal_iteratorINSA_10device_ptrIyEEEEPS6_NSA_18transform_iteratorI7is_evenIyESF_NSA_11use_defaultESK_EENS0_5tupleIJSF_NSA_16discard_iteratorISK_EEEEENSM_IJSG_SG_EEES6_PlJS6_EEE10hipError_tPvRmT3_T4_T5_T6_T7_T9_mT8_P12ihipStream_tbDpT10_ENKUlT_T0_E_clISt17integral_constantIbLb0EES1A_IbLb1EEEEDaS16_S17_EUlS16_E_NS1_11comp_targetILNS1_3genE9ELNS1_11target_archE1100ELNS1_3gpuE3ELNS1_3repE0EEENS1_30default_config_static_selectorELNS0_4arch9wavefront6targetE1EEEvT1_.kd
    .uniform_work_group_size: 1
    .uses_dynamic_stack: false
    .vgpr_count:     0
    .vgpr_spill_count: 0
    .wavefront_size: 64
  - .agpr_count:     0
    .args:
      - .offset:         0
        .size:           152
        .value_kind:     by_value
    .group_segment_fixed_size: 0
    .kernarg_segment_align: 8
    .kernarg_segment_size: 152
    .language:       OpenCL C
    .language_version:
      - 2
      - 0
    .max_flat_workgroup_size: 512
    .name:           _ZN7rocprim17ROCPRIM_400000_NS6detail17trampoline_kernelINS0_14default_configENS1_25partition_config_selectorILNS1_17partition_subalgoE1EyNS0_10empty_typeEbEEZZNS1_14partition_implILS5_1ELb0ES3_jN6thrust23THRUST_200600_302600_NS6detail15normal_iteratorINSA_10device_ptrIyEEEEPS6_NSA_18transform_iteratorI7is_evenIyESF_NSA_11use_defaultESK_EENS0_5tupleIJSF_NSA_16discard_iteratorISK_EEEEENSM_IJSG_SG_EEES6_PlJS6_EEE10hipError_tPvRmT3_T4_T5_T6_T7_T9_mT8_P12ihipStream_tbDpT10_ENKUlT_T0_E_clISt17integral_constantIbLb0EES1A_IbLb1EEEEDaS16_S17_EUlS16_E_NS1_11comp_targetILNS1_3genE8ELNS1_11target_archE1030ELNS1_3gpuE2ELNS1_3repE0EEENS1_30default_config_static_selectorELNS0_4arch9wavefront6targetE1EEEvT1_
    .private_segment_fixed_size: 0
    .sgpr_count:     4
    .sgpr_spill_count: 0
    .symbol:         _ZN7rocprim17ROCPRIM_400000_NS6detail17trampoline_kernelINS0_14default_configENS1_25partition_config_selectorILNS1_17partition_subalgoE1EyNS0_10empty_typeEbEEZZNS1_14partition_implILS5_1ELb0ES3_jN6thrust23THRUST_200600_302600_NS6detail15normal_iteratorINSA_10device_ptrIyEEEEPS6_NSA_18transform_iteratorI7is_evenIyESF_NSA_11use_defaultESK_EENS0_5tupleIJSF_NSA_16discard_iteratorISK_EEEEENSM_IJSG_SG_EEES6_PlJS6_EEE10hipError_tPvRmT3_T4_T5_T6_T7_T9_mT8_P12ihipStream_tbDpT10_ENKUlT_T0_E_clISt17integral_constantIbLb0EES1A_IbLb1EEEEDaS16_S17_EUlS16_E_NS1_11comp_targetILNS1_3genE8ELNS1_11target_archE1030ELNS1_3gpuE2ELNS1_3repE0EEENS1_30default_config_static_selectorELNS0_4arch9wavefront6targetE1EEEvT1_.kd
    .uniform_work_group_size: 1
    .uses_dynamic_stack: false
    .vgpr_count:     0
    .vgpr_spill_count: 0
    .wavefront_size: 64
  - .agpr_count:     0
    .args:
      - .offset:         0
        .size:           136
        .value_kind:     by_value
    .group_segment_fixed_size: 0
    .kernarg_segment_align: 8
    .kernarg_segment_size: 136
    .language:       OpenCL C
    .language_version:
      - 2
      - 0
    .max_flat_workgroup_size: 128
    .name:           _ZN7rocprim17ROCPRIM_400000_NS6detail17trampoline_kernelINS0_14default_configENS1_25partition_config_selectorILNS1_17partition_subalgoE1EyNS0_10empty_typeEbEEZZNS1_14partition_implILS5_1ELb0ES3_jN6thrust23THRUST_200600_302600_NS6detail15normal_iteratorINSA_10device_ptrIyEEEEPS6_NSA_18transform_iteratorI7is_evenIyESF_NSA_11use_defaultESK_EENS0_5tupleIJNSA_16discard_iteratorISK_EESF_EEENSM_IJSG_SG_EEES6_PlJS6_EEE10hipError_tPvRmT3_T4_T5_T6_T7_T9_mT8_P12ihipStream_tbDpT10_ENKUlT_T0_E_clISt17integral_constantIbLb0EES1B_EEDaS16_S17_EUlS16_E_NS1_11comp_targetILNS1_3genE0ELNS1_11target_archE4294967295ELNS1_3gpuE0ELNS1_3repE0EEENS1_30default_config_static_selectorELNS0_4arch9wavefront6targetE1EEEvT1_
    .private_segment_fixed_size: 0
    .sgpr_count:     4
    .sgpr_spill_count: 0
    .symbol:         _ZN7rocprim17ROCPRIM_400000_NS6detail17trampoline_kernelINS0_14default_configENS1_25partition_config_selectorILNS1_17partition_subalgoE1EyNS0_10empty_typeEbEEZZNS1_14partition_implILS5_1ELb0ES3_jN6thrust23THRUST_200600_302600_NS6detail15normal_iteratorINSA_10device_ptrIyEEEEPS6_NSA_18transform_iteratorI7is_evenIyESF_NSA_11use_defaultESK_EENS0_5tupleIJNSA_16discard_iteratorISK_EESF_EEENSM_IJSG_SG_EEES6_PlJS6_EEE10hipError_tPvRmT3_T4_T5_T6_T7_T9_mT8_P12ihipStream_tbDpT10_ENKUlT_T0_E_clISt17integral_constantIbLb0EES1B_EEDaS16_S17_EUlS16_E_NS1_11comp_targetILNS1_3genE0ELNS1_11target_archE4294967295ELNS1_3gpuE0ELNS1_3repE0EEENS1_30default_config_static_selectorELNS0_4arch9wavefront6targetE1EEEvT1_.kd
    .uniform_work_group_size: 1
    .uses_dynamic_stack: false
    .vgpr_count:     0
    .vgpr_spill_count: 0
    .wavefront_size: 64
  - .agpr_count:     0
    .args:
      - .offset:         0
        .size:           136
        .value_kind:     by_value
    .group_segment_fixed_size: 0
    .kernarg_segment_align: 8
    .kernarg_segment_size: 136
    .language:       OpenCL C
    .language_version:
      - 2
      - 0
    .max_flat_workgroup_size: 512
    .name:           _ZN7rocprim17ROCPRIM_400000_NS6detail17trampoline_kernelINS0_14default_configENS1_25partition_config_selectorILNS1_17partition_subalgoE1EyNS0_10empty_typeEbEEZZNS1_14partition_implILS5_1ELb0ES3_jN6thrust23THRUST_200600_302600_NS6detail15normal_iteratorINSA_10device_ptrIyEEEEPS6_NSA_18transform_iteratorI7is_evenIyESF_NSA_11use_defaultESK_EENS0_5tupleIJNSA_16discard_iteratorISK_EESF_EEENSM_IJSG_SG_EEES6_PlJS6_EEE10hipError_tPvRmT3_T4_T5_T6_T7_T9_mT8_P12ihipStream_tbDpT10_ENKUlT_T0_E_clISt17integral_constantIbLb0EES1B_EEDaS16_S17_EUlS16_E_NS1_11comp_targetILNS1_3genE5ELNS1_11target_archE942ELNS1_3gpuE9ELNS1_3repE0EEENS1_30default_config_static_selectorELNS0_4arch9wavefront6targetE1EEEvT1_
    .private_segment_fixed_size: 0
    .sgpr_count:     4
    .sgpr_spill_count: 0
    .symbol:         _ZN7rocprim17ROCPRIM_400000_NS6detail17trampoline_kernelINS0_14default_configENS1_25partition_config_selectorILNS1_17partition_subalgoE1EyNS0_10empty_typeEbEEZZNS1_14partition_implILS5_1ELb0ES3_jN6thrust23THRUST_200600_302600_NS6detail15normal_iteratorINSA_10device_ptrIyEEEEPS6_NSA_18transform_iteratorI7is_evenIyESF_NSA_11use_defaultESK_EENS0_5tupleIJNSA_16discard_iteratorISK_EESF_EEENSM_IJSG_SG_EEES6_PlJS6_EEE10hipError_tPvRmT3_T4_T5_T6_T7_T9_mT8_P12ihipStream_tbDpT10_ENKUlT_T0_E_clISt17integral_constantIbLb0EES1B_EEDaS16_S17_EUlS16_E_NS1_11comp_targetILNS1_3genE5ELNS1_11target_archE942ELNS1_3gpuE9ELNS1_3repE0EEENS1_30default_config_static_selectorELNS0_4arch9wavefront6targetE1EEEvT1_.kd
    .uniform_work_group_size: 1
    .uses_dynamic_stack: false
    .vgpr_count:     0
    .vgpr_spill_count: 0
    .wavefront_size: 64
  - .agpr_count:     0
    .args:
      - .offset:         0
        .size:           136
        .value_kind:     by_value
    .group_segment_fixed_size: 6344
    .kernarg_segment_align: 8
    .kernarg_segment_size: 136
    .language:       OpenCL C
    .language_version:
      - 2
      - 0
    .max_flat_workgroup_size: 192
    .name:           _ZN7rocprim17ROCPRIM_400000_NS6detail17trampoline_kernelINS0_14default_configENS1_25partition_config_selectorILNS1_17partition_subalgoE1EyNS0_10empty_typeEbEEZZNS1_14partition_implILS5_1ELb0ES3_jN6thrust23THRUST_200600_302600_NS6detail15normal_iteratorINSA_10device_ptrIyEEEEPS6_NSA_18transform_iteratorI7is_evenIyESF_NSA_11use_defaultESK_EENS0_5tupleIJNSA_16discard_iteratorISK_EESF_EEENSM_IJSG_SG_EEES6_PlJS6_EEE10hipError_tPvRmT3_T4_T5_T6_T7_T9_mT8_P12ihipStream_tbDpT10_ENKUlT_T0_E_clISt17integral_constantIbLb0EES1B_EEDaS16_S17_EUlS16_E_NS1_11comp_targetILNS1_3genE4ELNS1_11target_archE910ELNS1_3gpuE8ELNS1_3repE0EEENS1_30default_config_static_selectorELNS0_4arch9wavefront6targetE1EEEvT1_
    .private_segment_fixed_size: 0
    .sgpr_count:     48
    .sgpr_spill_count: 0
    .symbol:         _ZN7rocprim17ROCPRIM_400000_NS6detail17trampoline_kernelINS0_14default_configENS1_25partition_config_selectorILNS1_17partition_subalgoE1EyNS0_10empty_typeEbEEZZNS1_14partition_implILS5_1ELb0ES3_jN6thrust23THRUST_200600_302600_NS6detail15normal_iteratorINSA_10device_ptrIyEEEEPS6_NSA_18transform_iteratorI7is_evenIyESF_NSA_11use_defaultESK_EENS0_5tupleIJNSA_16discard_iteratorISK_EESF_EEENSM_IJSG_SG_EEES6_PlJS6_EEE10hipError_tPvRmT3_T4_T5_T6_T7_T9_mT8_P12ihipStream_tbDpT10_ENKUlT_T0_E_clISt17integral_constantIbLb0EES1B_EEDaS16_S17_EUlS16_E_NS1_11comp_targetILNS1_3genE4ELNS1_11target_archE910ELNS1_3gpuE8ELNS1_3repE0EEENS1_30default_config_static_selectorELNS0_4arch9wavefront6targetE1EEEvT1_.kd
    .uniform_work_group_size: 1
    .uses_dynamic_stack: false
    .vgpr_count:     43
    .vgpr_spill_count: 0
    .wavefront_size: 64
  - .agpr_count:     0
    .args:
      - .offset:         0
        .size:           136
        .value_kind:     by_value
    .group_segment_fixed_size: 0
    .kernarg_segment_align: 8
    .kernarg_segment_size: 136
    .language:       OpenCL C
    .language_version:
      - 2
      - 0
    .max_flat_workgroup_size: 128
    .name:           _ZN7rocprim17ROCPRIM_400000_NS6detail17trampoline_kernelINS0_14default_configENS1_25partition_config_selectorILNS1_17partition_subalgoE1EyNS0_10empty_typeEbEEZZNS1_14partition_implILS5_1ELb0ES3_jN6thrust23THRUST_200600_302600_NS6detail15normal_iteratorINSA_10device_ptrIyEEEEPS6_NSA_18transform_iteratorI7is_evenIyESF_NSA_11use_defaultESK_EENS0_5tupleIJNSA_16discard_iteratorISK_EESF_EEENSM_IJSG_SG_EEES6_PlJS6_EEE10hipError_tPvRmT3_T4_T5_T6_T7_T9_mT8_P12ihipStream_tbDpT10_ENKUlT_T0_E_clISt17integral_constantIbLb0EES1B_EEDaS16_S17_EUlS16_E_NS1_11comp_targetILNS1_3genE3ELNS1_11target_archE908ELNS1_3gpuE7ELNS1_3repE0EEENS1_30default_config_static_selectorELNS0_4arch9wavefront6targetE1EEEvT1_
    .private_segment_fixed_size: 0
    .sgpr_count:     4
    .sgpr_spill_count: 0
    .symbol:         _ZN7rocprim17ROCPRIM_400000_NS6detail17trampoline_kernelINS0_14default_configENS1_25partition_config_selectorILNS1_17partition_subalgoE1EyNS0_10empty_typeEbEEZZNS1_14partition_implILS5_1ELb0ES3_jN6thrust23THRUST_200600_302600_NS6detail15normal_iteratorINSA_10device_ptrIyEEEEPS6_NSA_18transform_iteratorI7is_evenIyESF_NSA_11use_defaultESK_EENS0_5tupleIJNSA_16discard_iteratorISK_EESF_EEENSM_IJSG_SG_EEES6_PlJS6_EEE10hipError_tPvRmT3_T4_T5_T6_T7_T9_mT8_P12ihipStream_tbDpT10_ENKUlT_T0_E_clISt17integral_constantIbLb0EES1B_EEDaS16_S17_EUlS16_E_NS1_11comp_targetILNS1_3genE3ELNS1_11target_archE908ELNS1_3gpuE7ELNS1_3repE0EEENS1_30default_config_static_selectorELNS0_4arch9wavefront6targetE1EEEvT1_.kd
    .uniform_work_group_size: 1
    .uses_dynamic_stack: false
    .vgpr_count:     0
    .vgpr_spill_count: 0
    .wavefront_size: 64
  - .agpr_count:     0
    .args:
      - .offset:         0
        .size:           136
        .value_kind:     by_value
    .group_segment_fixed_size: 0
    .kernarg_segment_align: 8
    .kernarg_segment_size: 136
    .language:       OpenCL C
    .language_version:
      - 2
      - 0
    .max_flat_workgroup_size: 256
    .name:           _ZN7rocprim17ROCPRIM_400000_NS6detail17trampoline_kernelINS0_14default_configENS1_25partition_config_selectorILNS1_17partition_subalgoE1EyNS0_10empty_typeEbEEZZNS1_14partition_implILS5_1ELb0ES3_jN6thrust23THRUST_200600_302600_NS6detail15normal_iteratorINSA_10device_ptrIyEEEEPS6_NSA_18transform_iteratorI7is_evenIyESF_NSA_11use_defaultESK_EENS0_5tupleIJNSA_16discard_iteratorISK_EESF_EEENSM_IJSG_SG_EEES6_PlJS6_EEE10hipError_tPvRmT3_T4_T5_T6_T7_T9_mT8_P12ihipStream_tbDpT10_ENKUlT_T0_E_clISt17integral_constantIbLb0EES1B_EEDaS16_S17_EUlS16_E_NS1_11comp_targetILNS1_3genE2ELNS1_11target_archE906ELNS1_3gpuE6ELNS1_3repE0EEENS1_30default_config_static_selectorELNS0_4arch9wavefront6targetE1EEEvT1_
    .private_segment_fixed_size: 0
    .sgpr_count:     4
    .sgpr_spill_count: 0
    .symbol:         _ZN7rocprim17ROCPRIM_400000_NS6detail17trampoline_kernelINS0_14default_configENS1_25partition_config_selectorILNS1_17partition_subalgoE1EyNS0_10empty_typeEbEEZZNS1_14partition_implILS5_1ELb0ES3_jN6thrust23THRUST_200600_302600_NS6detail15normal_iteratorINSA_10device_ptrIyEEEEPS6_NSA_18transform_iteratorI7is_evenIyESF_NSA_11use_defaultESK_EENS0_5tupleIJNSA_16discard_iteratorISK_EESF_EEENSM_IJSG_SG_EEES6_PlJS6_EEE10hipError_tPvRmT3_T4_T5_T6_T7_T9_mT8_P12ihipStream_tbDpT10_ENKUlT_T0_E_clISt17integral_constantIbLb0EES1B_EEDaS16_S17_EUlS16_E_NS1_11comp_targetILNS1_3genE2ELNS1_11target_archE906ELNS1_3gpuE6ELNS1_3repE0EEENS1_30default_config_static_selectorELNS0_4arch9wavefront6targetE1EEEvT1_.kd
    .uniform_work_group_size: 1
    .uses_dynamic_stack: false
    .vgpr_count:     0
    .vgpr_spill_count: 0
    .wavefront_size: 64
  - .agpr_count:     0
    .args:
      - .offset:         0
        .size:           136
        .value_kind:     by_value
    .group_segment_fixed_size: 0
    .kernarg_segment_align: 8
    .kernarg_segment_size: 136
    .language:       OpenCL C
    .language_version:
      - 2
      - 0
    .max_flat_workgroup_size: 256
    .name:           _ZN7rocprim17ROCPRIM_400000_NS6detail17trampoline_kernelINS0_14default_configENS1_25partition_config_selectorILNS1_17partition_subalgoE1EyNS0_10empty_typeEbEEZZNS1_14partition_implILS5_1ELb0ES3_jN6thrust23THRUST_200600_302600_NS6detail15normal_iteratorINSA_10device_ptrIyEEEEPS6_NSA_18transform_iteratorI7is_evenIyESF_NSA_11use_defaultESK_EENS0_5tupleIJNSA_16discard_iteratorISK_EESF_EEENSM_IJSG_SG_EEES6_PlJS6_EEE10hipError_tPvRmT3_T4_T5_T6_T7_T9_mT8_P12ihipStream_tbDpT10_ENKUlT_T0_E_clISt17integral_constantIbLb0EES1B_EEDaS16_S17_EUlS16_E_NS1_11comp_targetILNS1_3genE10ELNS1_11target_archE1200ELNS1_3gpuE4ELNS1_3repE0EEENS1_30default_config_static_selectorELNS0_4arch9wavefront6targetE1EEEvT1_
    .private_segment_fixed_size: 0
    .sgpr_count:     4
    .sgpr_spill_count: 0
    .symbol:         _ZN7rocprim17ROCPRIM_400000_NS6detail17trampoline_kernelINS0_14default_configENS1_25partition_config_selectorILNS1_17partition_subalgoE1EyNS0_10empty_typeEbEEZZNS1_14partition_implILS5_1ELb0ES3_jN6thrust23THRUST_200600_302600_NS6detail15normal_iteratorINSA_10device_ptrIyEEEEPS6_NSA_18transform_iteratorI7is_evenIyESF_NSA_11use_defaultESK_EENS0_5tupleIJNSA_16discard_iteratorISK_EESF_EEENSM_IJSG_SG_EEES6_PlJS6_EEE10hipError_tPvRmT3_T4_T5_T6_T7_T9_mT8_P12ihipStream_tbDpT10_ENKUlT_T0_E_clISt17integral_constantIbLb0EES1B_EEDaS16_S17_EUlS16_E_NS1_11comp_targetILNS1_3genE10ELNS1_11target_archE1200ELNS1_3gpuE4ELNS1_3repE0EEENS1_30default_config_static_selectorELNS0_4arch9wavefront6targetE1EEEvT1_.kd
    .uniform_work_group_size: 1
    .uses_dynamic_stack: false
    .vgpr_count:     0
    .vgpr_spill_count: 0
    .wavefront_size: 64
  - .agpr_count:     0
    .args:
      - .offset:         0
        .size:           136
        .value_kind:     by_value
    .group_segment_fixed_size: 0
    .kernarg_segment_align: 8
    .kernarg_segment_size: 136
    .language:       OpenCL C
    .language_version:
      - 2
      - 0
    .max_flat_workgroup_size: 128
    .name:           _ZN7rocprim17ROCPRIM_400000_NS6detail17trampoline_kernelINS0_14default_configENS1_25partition_config_selectorILNS1_17partition_subalgoE1EyNS0_10empty_typeEbEEZZNS1_14partition_implILS5_1ELb0ES3_jN6thrust23THRUST_200600_302600_NS6detail15normal_iteratorINSA_10device_ptrIyEEEEPS6_NSA_18transform_iteratorI7is_evenIyESF_NSA_11use_defaultESK_EENS0_5tupleIJNSA_16discard_iteratorISK_EESF_EEENSM_IJSG_SG_EEES6_PlJS6_EEE10hipError_tPvRmT3_T4_T5_T6_T7_T9_mT8_P12ihipStream_tbDpT10_ENKUlT_T0_E_clISt17integral_constantIbLb0EES1B_EEDaS16_S17_EUlS16_E_NS1_11comp_targetILNS1_3genE9ELNS1_11target_archE1100ELNS1_3gpuE3ELNS1_3repE0EEENS1_30default_config_static_selectorELNS0_4arch9wavefront6targetE1EEEvT1_
    .private_segment_fixed_size: 0
    .sgpr_count:     4
    .sgpr_spill_count: 0
    .symbol:         _ZN7rocprim17ROCPRIM_400000_NS6detail17trampoline_kernelINS0_14default_configENS1_25partition_config_selectorILNS1_17partition_subalgoE1EyNS0_10empty_typeEbEEZZNS1_14partition_implILS5_1ELb0ES3_jN6thrust23THRUST_200600_302600_NS6detail15normal_iteratorINSA_10device_ptrIyEEEEPS6_NSA_18transform_iteratorI7is_evenIyESF_NSA_11use_defaultESK_EENS0_5tupleIJNSA_16discard_iteratorISK_EESF_EEENSM_IJSG_SG_EEES6_PlJS6_EEE10hipError_tPvRmT3_T4_T5_T6_T7_T9_mT8_P12ihipStream_tbDpT10_ENKUlT_T0_E_clISt17integral_constantIbLb0EES1B_EEDaS16_S17_EUlS16_E_NS1_11comp_targetILNS1_3genE9ELNS1_11target_archE1100ELNS1_3gpuE3ELNS1_3repE0EEENS1_30default_config_static_selectorELNS0_4arch9wavefront6targetE1EEEvT1_.kd
    .uniform_work_group_size: 1
    .uses_dynamic_stack: false
    .vgpr_count:     0
    .vgpr_spill_count: 0
    .wavefront_size: 64
  - .agpr_count:     0
    .args:
      - .offset:         0
        .size:           136
        .value_kind:     by_value
    .group_segment_fixed_size: 0
    .kernarg_segment_align: 8
    .kernarg_segment_size: 136
    .language:       OpenCL C
    .language_version:
      - 2
      - 0
    .max_flat_workgroup_size: 512
    .name:           _ZN7rocprim17ROCPRIM_400000_NS6detail17trampoline_kernelINS0_14default_configENS1_25partition_config_selectorILNS1_17partition_subalgoE1EyNS0_10empty_typeEbEEZZNS1_14partition_implILS5_1ELb0ES3_jN6thrust23THRUST_200600_302600_NS6detail15normal_iteratorINSA_10device_ptrIyEEEEPS6_NSA_18transform_iteratorI7is_evenIyESF_NSA_11use_defaultESK_EENS0_5tupleIJNSA_16discard_iteratorISK_EESF_EEENSM_IJSG_SG_EEES6_PlJS6_EEE10hipError_tPvRmT3_T4_T5_T6_T7_T9_mT8_P12ihipStream_tbDpT10_ENKUlT_T0_E_clISt17integral_constantIbLb0EES1B_EEDaS16_S17_EUlS16_E_NS1_11comp_targetILNS1_3genE8ELNS1_11target_archE1030ELNS1_3gpuE2ELNS1_3repE0EEENS1_30default_config_static_selectorELNS0_4arch9wavefront6targetE1EEEvT1_
    .private_segment_fixed_size: 0
    .sgpr_count:     4
    .sgpr_spill_count: 0
    .symbol:         _ZN7rocprim17ROCPRIM_400000_NS6detail17trampoline_kernelINS0_14default_configENS1_25partition_config_selectorILNS1_17partition_subalgoE1EyNS0_10empty_typeEbEEZZNS1_14partition_implILS5_1ELb0ES3_jN6thrust23THRUST_200600_302600_NS6detail15normal_iteratorINSA_10device_ptrIyEEEEPS6_NSA_18transform_iteratorI7is_evenIyESF_NSA_11use_defaultESK_EENS0_5tupleIJNSA_16discard_iteratorISK_EESF_EEENSM_IJSG_SG_EEES6_PlJS6_EEE10hipError_tPvRmT3_T4_T5_T6_T7_T9_mT8_P12ihipStream_tbDpT10_ENKUlT_T0_E_clISt17integral_constantIbLb0EES1B_EEDaS16_S17_EUlS16_E_NS1_11comp_targetILNS1_3genE8ELNS1_11target_archE1030ELNS1_3gpuE2ELNS1_3repE0EEENS1_30default_config_static_selectorELNS0_4arch9wavefront6targetE1EEEvT1_.kd
    .uniform_work_group_size: 1
    .uses_dynamic_stack: false
    .vgpr_count:     0
    .vgpr_spill_count: 0
    .wavefront_size: 64
  - .agpr_count:     0
    .args:
      - .offset:         0
        .size:           152
        .value_kind:     by_value
    .group_segment_fixed_size: 0
    .kernarg_segment_align: 8
    .kernarg_segment_size: 152
    .language:       OpenCL C
    .language_version:
      - 2
      - 0
    .max_flat_workgroup_size: 128
    .name:           _ZN7rocprim17ROCPRIM_400000_NS6detail17trampoline_kernelINS0_14default_configENS1_25partition_config_selectorILNS1_17partition_subalgoE1EyNS0_10empty_typeEbEEZZNS1_14partition_implILS5_1ELb0ES3_jN6thrust23THRUST_200600_302600_NS6detail15normal_iteratorINSA_10device_ptrIyEEEEPS6_NSA_18transform_iteratorI7is_evenIyESF_NSA_11use_defaultESK_EENS0_5tupleIJNSA_16discard_iteratorISK_EESF_EEENSM_IJSG_SG_EEES6_PlJS6_EEE10hipError_tPvRmT3_T4_T5_T6_T7_T9_mT8_P12ihipStream_tbDpT10_ENKUlT_T0_E_clISt17integral_constantIbLb1EES1B_EEDaS16_S17_EUlS16_E_NS1_11comp_targetILNS1_3genE0ELNS1_11target_archE4294967295ELNS1_3gpuE0ELNS1_3repE0EEENS1_30default_config_static_selectorELNS0_4arch9wavefront6targetE1EEEvT1_
    .private_segment_fixed_size: 0
    .sgpr_count:     4
    .sgpr_spill_count: 0
    .symbol:         _ZN7rocprim17ROCPRIM_400000_NS6detail17trampoline_kernelINS0_14default_configENS1_25partition_config_selectorILNS1_17partition_subalgoE1EyNS0_10empty_typeEbEEZZNS1_14partition_implILS5_1ELb0ES3_jN6thrust23THRUST_200600_302600_NS6detail15normal_iteratorINSA_10device_ptrIyEEEEPS6_NSA_18transform_iteratorI7is_evenIyESF_NSA_11use_defaultESK_EENS0_5tupleIJNSA_16discard_iteratorISK_EESF_EEENSM_IJSG_SG_EEES6_PlJS6_EEE10hipError_tPvRmT3_T4_T5_T6_T7_T9_mT8_P12ihipStream_tbDpT10_ENKUlT_T0_E_clISt17integral_constantIbLb1EES1B_EEDaS16_S17_EUlS16_E_NS1_11comp_targetILNS1_3genE0ELNS1_11target_archE4294967295ELNS1_3gpuE0ELNS1_3repE0EEENS1_30default_config_static_selectorELNS0_4arch9wavefront6targetE1EEEvT1_.kd
    .uniform_work_group_size: 1
    .uses_dynamic_stack: false
    .vgpr_count:     0
    .vgpr_spill_count: 0
    .wavefront_size: 64
  - .agpr_count:     0
    .args:
      - .offset:         0
        .size:           152
        .value_kind:     by_value
    .group_segment_fixed_size: 0
    .kernarg_segment_align: 8
    .kernarg_segment_size: 152
    .language:       OpenCL C
    .language_version:
      - 2
      - 0
    .max_flat_workgroup_size: 512
    .name:           _ZN7rocprim17ROCPRIM_400000_NS6detail17trampoline_kernelINS0_14default_configENS1_25partition_config_selectorILNS1_17partition_subalgoE1EyNS0_10empty_typeEbEEZZNS1_14partition_implILS5_1ELb0ES3_jN6thrust23THRUST_200600_302600_NS6detail15normal_iteratorINSA_10device_ptrIyEEEEPS6_NSA_18transform_iteratorI7is_evenIyESF_NSA_11use_defaultESK_EENS0_5tupleIJNSA_16discard_iteratorISK_EESF_EEENSM_IJSG_SG_EEES6_PlJS6_EEE10hipError_tPvRmT3_T4_T5_T6_T7_T9_mT8_P12ihipStream_tbDpT10_ENKUlT_T0_E_clISt17integral_constantIbLb1EES1B_EEDaS16_S17_EUlS16_E_NS1_11comp_targetILNS1_3genE5ELNS1_11target_archE942ELNS1_3gpuE9ELNS1_3repE0EEENS1_30default_config_static_selectorELNS0_4arch9wavefront6targetE1EEEvT1_
    .private_segment_fixed_size: 0
    .sgpr_count:     4
    .sgpr_spill_count: 0
    .symbol:         _ZN7rocprim17ROCPRIM_400000_NS6detail17trampoline_kernelINS0_14default_configENS1_25partition_config_selectorILNS1_17partition_subalgoE1EyNS0_10empty_typeEbEEZZNS1_14partition_implILS5_1ELb0ES3_jN6thrust23THRUST_200600_302600_NS6detail15normal_iteratorINSA_10device_ptrIyEEEEPS6_NSA_18transform_iteratorI7is_evenIyESF_NSA_11use_defaultESK_EENS0_5tupleIJNSA_16discard_iteratorISK_EESF_EEENSM_IJSG_SG_EEES6_PlJS6_EEE10hipError_tPvRmT3_T4_T5_T6_T7_T9_mT8_P12ihipStream_tbDpT10_ENKUlT_T0_E_clISt17integral_constantIbLb1EES1B_EEDaS16_S17_EUlS16_E_NS1_11comp_targetILNS1_3genE5ELNS1_11target_archE942ELNS1_3gpuE9ELNS1_3repE0EEENS1_30default_config_static_selectorELNS0_4arch9wavefront6targetE1EEEvT1_.kd
    .uniform_work_group_size: 1
    .uses_dynamic_stack: false
    .vgpr_count:     0
    .vgpr_spill_count: 0
    .wavefront_size: 64
  - .agpr_count:     0
    .args:
      - .offset:         0
        .size:           152
        .value_kind:     by_value
    .group_segment_fixed_size: 6344
    .kernarg_segment_align: 8
    .kernarg_segment_size: 152
    .language:       OpenCL C
    .language_version:
      - 2
      - 0
    .max_flat_workgroup_size: 192
    .name:           _ZN7rocprim17ROCPRIM_400000_NS6detail17trampoline_kernelINS0_14default_configENS1_25partition_config_selectorILNS1_17partition_subalgoE1EyNS0_10empty_typeEbEEZZNS1_14partition_implILS5_1ELb0ES3_jN6thrust23THRUST_200600_302600_NS6detail15normal_iteratorINSA_10device_ptrIyEEEEPS6_NSA_18transform_iteratorI7is_evenIyESF_NSA_11use_defaultESK_EENS0_5tupleIJNSA_16discard_iteratorISK_EESF_EEENSM_IJSG_SG_EEES6_PlJS6_EEE10hipError_tPvRmT3_T4_T5_T6_T7_T9_mT8_P12ihipStream_tbDpT10_ENKUlT_T0_E_clISt17integral_constantIbLb1EES1B_EEDaS16_S17_EUlS16_E_NS1_11comp_targetILNS1_3genE4ELNS1_11target_archE910ELNS1_3gpuE8ELNS1_3repE0EEENS1_30default_config_static_selectorELNS0_4arch9wavefront6targetE1EEEvT1_
    .private_segment_fixed_size: 0
    .sgpr_count:     46
    .sgpr_spill_count: 0
    .symbol:         _ZN7rocprim17ROCPRIM_400000_NS6detail17trampoline_kernelINS0_14default_configENS1_25partition_config_selectorILNS1_17partition_subalgoE1EyNS0_10empty_typeEbEEZZNS1_14partition_implILS5_1ELb0ES3_jN6thrust23THRUST_200600_302600_NS6detail15normal_iteratorINSA_10device_ptrIyEEEEPS6_NSA_18transform_iteratorI7is_evenIyESF_NSA_11use_defaultESK_EENS0_5tupleIJNSA_16discard_iteratorISK_EESF_EEENSM_IJSG_SG_EEES6_PlJS6_EEE10hipError_tPvRmT3_T4_T5_T6_T7_T9_mT8_P12ihipStream_tbDpT10_ENKUlT_T0_E_clISt17integral_constantIbLb1EES1B_EEDaS16_S17_EUlS16_E_NS1_11comp_targetILNS1_3genE4ELNS1_11target_archE910ELNS1_3gpuE8ELNS1_3repE0EEENS1_30default_config_static_selectorELNS0_4arch9wavefront6targetE1EEEvT1_.kd
    .uniform_work_group_size: 1
    .uses_dynamic_stack: false
    .vgpr_count:     47
    .vgpr_spill_count: 0
    .wavefront_size: 64
  - .agpr_count:     0
    .args:
      - .offset:         0
        .size:           152
        .value_kind:     by_value
    .group_segment_fixed_size: 0
    .kernarg_segment_align: 8
    .kernarg_segment_size: 152
    .language:       OpenCL C
    .language_version:
      - 2
      - 0
    .max_flat_workgroup_size: 128
    .name:           _ZN7rocprim17ROCPRIM_400000_NS6detail17trampoline_kernelINS0_14default_configENS1_25partition_config_selectorILNS1_17partition_subalgoE1EyNS0_10empty_typeEbEEZZNS1_14partition_implILS5_1ELb0ES3_jN6thrust23THRUST_200600_302600_NS6detail15normal_iteratorINSA_10device_ptrIyEEEEPS6_NSA_18transform_iteratorI7is_evenIyESF_NSA_11use_defaultESK_EENS0_5tupleIJNSA_16discard_iteratorISK_EESF_EEENSM_IJSG_SG_EEES6_PlJS6_EEE10hipError_tPvRmT3_T4_T5_T6_T7_T9_mT8_P12ihipStream_tbDpT10_ENKUlT_T0_E_clISt17integral_constantIbLb1EES1B_EEDaS16_S17_EUlS16_E_NS1_11comp_targetILNS1_3genE3ELNS1_11target_archE908ELNS1_3gpuE7ELNS1_3repE0EEENS1_30default_config_static_selectorELNS0_4arch9wavefront6targetE1EEEvT1_
    .private_segment_fixed_size: 0
    .sgpr_count:     4
    .sgpr_spill_count: 0
    .symbol:         _ZN7rocprim17ROCPRIM_400000_NS6detail17trampoline_kernelINS0_14default_configENS1_25partition_config_selectorILNS1_17partition_subalgoE1EyNS0_10empty_typeEbEEZZNS1_14partition_implILS5_1ELb0ES3_jN6thrust23THRUST_200600_302600_NS6detail15normal_iteratorINSA_10device_ptrIyEEEEPS6_NSA_18transform_iteratorI7is_evenIyESF_NSA_11use_defaultESK_EENS0_5tupleIJNSA_16discard_iteratorISK_EESF_EEENSM_IJSG_SG_EEES6_PlJS6_EEE10hipError_tPvRmT3_T4_T5_T6_T7_T9_mT8_P12ihipStream_tbDpT10_ENKUlT_T0_E_clISt17integral_constantIbLb1EES1B_EEDaS16_S17_EUlS16_E_NS1_11comp_targetILNS1_3genE3ELNS1_11target_archE908ELNS1_3gpuE7ELNS1_3repE0EEENS1_30default_config_static_selectorELNS0_4arch9wavefront6targetE1EEEvT1_.kd
    .uniform_work_group_size: 1
    .uses_dynamic_stack: false
    .vgpr_count:     0
    .vgpr_spill_count: 0
    .wavefront_size: 64
  - .agpr_count:     0
    .args:
      - .offset:         0
        .size:           152
        .value_kind:     by_value
    .group_segment_fixed_size: 0
    .kernarg_segment_align: 8
    .kernarg_segment_size: 152
    .language:       OpenCL C
    .language_version:
      - 2
      - 0
    .max_flat_workgroup_size: 256
    .name:           _ZN7rocprim17ROCPRIM_400000_NS6detail17trampoline_kernelINS0_14default_configENS1_25partition_config_selectorILNS1_17partition_subalgoE1EyNS0_10empty_typeEbEEZZNS1_14partition_implILS5_1ELb0ES3_jN6thrust23THRUST_200600_302600_NS6detail15normal_iteratorINSA_10device_ptrIyEEEEPS6_NSA_18transform_iteratorI7is_evenIyESF_NSA_11use_defaultESK_EENS0_5tupleIJNSA_16discard_iteratorISK_EESF_EEENSM_IJSG_SG_EEES6_PlJS6_EEE10hipError_tPvRmT3_T4_T5_T6_T7_T9_mT8_P12ihipStream_tbDpT10_ENKUlT_T0_E_clISt17integral_constantIbLb1EES1B_EEDaS16_S17_EUlS16_E_NS1_11comp_targetILNS1_3genE2ELNS1_11target_archE906ELNS1_3gpuE6ELNS1_3repE0EEENS1_30default_config_static_selectorELNS0_4arch9wavefront6targetE1EEEvT1_
    .private_segment_fixed_size: 0
    .sgpr_count:     4
    .sgpr_spill_count: 0
    .symbol:         _ZN7rocprim17ROCPRIM_400000_NS6detail17trampoline_kernelINS0_14default_configENS1_25partition_config_selectorILNS1_17partition_subalgoE1EyNS0_10empty_typeEbEEZZNS1_14partition_implILS5_1ELb0ES3_jN6thrust23THRUST_200600_302600_NS6detail15normal_iteratorINSA_10device_ptrIyEEEEPS6_NSA_18transform_iteratorI7is_evenIyESF_NSA_11use_defaultESK_EENS0_5tupleIJNSA_16discard_iteratorISK_EESF_EEENSM_IJSG_SG_EEES6_PlJS6_EEE10hipError_tPvRmT3_T4_T5_T6_T7_T9_mT8_P12ihipStream_tbDpT10_ENKUlT_T0_E_clISt17integral_constantIbLb1EES1B_EEDaS16_S17_EUlS16_E_NS1_11comp_targetILNS1_3genE2ELNS1_11target_archE906ELNS1_3gpuE6ELNS1_3repE0EEENS1_30default_config_static_selectorELNS0_4arch9wavefront6targetE1EEEvT1_.kd
    .uniform_work_group_size: 1
    .uses_dynamic_stack: false
    .vgpr_count:     0
    .vgpr_spill_count: 0
    .wavefront_size: 64
  - .agpr_count:     0
    .args:
      - .offset:         0
        .size:           152
        .value_kind:     by_value
    .group_segment_fixed_size: 0
    .kernarg_segment_align: 8
    .kernarg_segment_size: 152
    .language:       OpenCL C
    .language_version:
      - 2
      - 0
    .max_flat_workgroup_size: 256
    .name:           _ZN7rocprim17ROCPRIM_400000_NS6detail17trampoline_kernelINS0_14default_configENS1_25partition_config_selectorILNS1_17partition_subalgoE1EyNS0_10empty_typeEbEEZZNS1_14partition_implILS5_1ELb0ES3_jN6thrust23THRUST_200600_302600_NS6detail15normal_iteratorINSA_10device_ptrIyEEEEPS6_NSA_18transform_iteratorI7is_evenIyESF_NSA_11use_defaultESK_EENS0_5tupleIJNSA_16discard_iteratorISK_EESF_EEENSM_IJSG_SG_EEES6_PlJS6_EEE10hipError_tPvRmT3_T4_T5_T6_T7_T9_mT8_P12ihipStream_tbDpT10_ENKUlT_T0_E_clISt17integral_constantIbLb1EES1B_EEDaS16_S17_EUlS16_E_NS1_11comp_targetILNS1_3genE10ELNS1_11target_archE1200ELNS1_3gpuE4ELNS1_3repE0EEENS1_30default_config_static_selectorELNS0_4arch9wavefront6targetE1EEEvT1_
    .private_segment_fixed_size: 0
    .sgpr_count:     4
    .sgpr_spill_count: 0
    .symbol:         _ZN7rocprim17ROCPRIM_400000_NS6detail17trampoline_kernelINS0_14default_configENS1_25partition_config_selectorILNS1_17partition_subalgoE1EyNS0_10empty_typeEbEEZZNS1_14partition_implILS5_1ELb0ES3_jN6thrust23THRUST_200600_302600_NS6detail15normal_iteratorINSA_10device_ptrIyEEEEPS6_NSA_18transform_iteratorI7is_evenIyESF_NSA_11use_defaultESK_EENS0_5tupleIJNSA_16discard_iteratorISK_EESF_EEENSM_IJSG_SG_EEES6_PlJS6_EEE10hipError_tPvRmT3_T4_T5_T6_T7_T9_mT8_P12ihipStream_tbDpT10_ENKUlT_T0_E_clISt17integral_constantIbLb1EES1B_EEDaS16_S17_EUlS16_E_NS1_11comp_targetILNS1_3genE10ELNS1_11target_archE1200ELNS1_3gpuE4ELNS1_3repE0EEENS1_30default_config_static_selectorELNS0_4arch9wavefront6targetE1EEEvT1_.kd
    .uniform_work_group_size: 1
    .uses_dynamic_stack: false
    .vgpr_count:     0
    .vgpr_spill_count: 0
    .wavefront_size: 64
  - .agpr_count:     0
    .args:
      - .offset:         0
        .size:           152
        .value_kind:     by_value
    .group_segment_fixed_size: 0
    .kernarg_segment_align: 8
    .kernarg_segment_size: 152
    .language:       OpenCL C
    .language_version:
      - 2
      - 0
    .max_flat_workgroup_size: 128
    .name:           _ZN7rocprim17ROCPRIM_400000_NS6detail17trampoline_kernelINS0_14default_configENS1_25partition_config_selectorILNS1_17partition_subalgoE1EyNS0_10empty_typeEbEEZZNS1_14partition_implILS5_1ELb0ES3_jN6thrust23THRUST_200600_302600_NS6detail15normal_iteratorINSA_10device_ptrIyEEEEPS6_NSA_18transform_iteratorI7is_evenIyESF_NSA_11use_defaultESK_EENS0_5tupleIJNSA_16discard_iteratorISK_EESF_EEENSM_IJSG_SG_EEES6_PlJS6_EEE10hipError_tPvRmT3_T4_T5_T6_T7_T9_mT8_P12ihipStream_tbDpT10_ENKUlT_T0_E_clISt17integral_constantIbLb1EES1B_EEDaS16_S17_EUlS16_E_NS1_11comp_targetILNS1_3genE9ELNS1_11target_archE1100ELNS1_3gpuE3ELNS1_3repE0EEENS1_30default_config_static_selectorELNS0_4arch9wavefront6targetE1EEEvT1_
    .private_segment_fixed_size: 0
    .sgpr_count:     4
    .sgpr_spill_count: 0
    .symbol:         _ZN7rocprim17ROCPRIM_400000_NS6detail17trampoline_kernelINS0_14default_configENS1_25partition_config_selectorILNS1_17partition_subalgoE1EyNS0_10empty_typeEbEEZZNS1_14partition_implILS5_1ELb0ES3_jN6thrust23THRUST_200600_302600_NS6detail15normal_iteratorINSA_10device_ptrIyEEEEPS6_NSA_18transform_iteratorI7is_evenIyESF_NSA_11use_defaultESK_EENS0_5tupleIJNSA_16discard_iteratorISK_EESF_EEENSM_IJSG_SG_EEES6_PlJS6_EEE10hipError_tPvRmT3_T4_T5_T6_T7_T9_mT8_P12ihipStream_tbDpT10_ENKUlT_T0_E_clISt17integral_constantIbLb1EES1B_EEDaS16_S17_EUlS16_E_NS1_11comp_targetILNS1_3genE9ELNS1_11target_archE1100ELNS1_3gpuE3ELNS1_3repE0EEENS1_30default_config_static_selectorELNS0_4arch9wavefront6targetE1EEEvT1_.kd
    .uniform_work_group_size: 1
    .uses_dynamic_stack: false
    .vgpr_count:     0
    .vgpr_spill_count: 0
    .wavefront_size: 64
  - .agpr_count:     0
    .args:
      - .offset:         0
        .size:           152
        .value_kind:     by_value
    .group_segment_fixed_size: 0
    .kernarg_segment_align: 8
    .kernarg_segment_size: 152
    .language:       OpenCL C
    .language_version:
      - 2
      - 0
    .max_flat_workgroup_size: 512
    .name:           _ZN7rocprim17ROCPRIM_400000_NS6detail17trampoline_kernelINS0_14default_configENS1_25partition_config_selectorILNS1_17partition_subalgoE1EyNS0_10empty_typeEbEEZZNS1_14partition_implILS5_1ELb0ES3_jN6thrust23THRUST_200600_302600_NS6detail15normal_iteratorINSA_10device_ptrIyEEEEPS6_NSA_18transform_iteratorI7is_evenIyESF_NSA_11use_defaultESK_EENS0_5tupleIJNSA_16discard_iteratorISK_EESF_EEENSM_IJSG_SG_EEES6_PlJS6_EEE10hipError_tPvRmT3_T4_T5_T6_T7_T9_mT8_P12ihipStream_tbDpT10_ENKUlT_T0_E_clISt17integral_constantIbLb1EES1B_EEDaS16_S17_EUlS16_E_NS1_11comp_targetILNS1_3genE8ELNS1_11target_archE1030ELNS1_3gpuE2ELNS1_3repE0EEENS1_30default_config_static_selectorELNS0_4arch9wavefront6targetE1EEEvT1_
    .private_segment_fixed_size: 0
    .sgpr_count:     4
    .sgpr_spill_count: 0
    .symbol:         _ZN7rocprim17ROCPRIM_400000_NS6detail17trampoline_kernelINS0_14default_configENS1_25partition_config_selectorILNS1_17partition_subalgoE1EyNS0_10empty_typeEbEEZZNS1_14partition_implILS5_1ELb0ES3_jN6thrust23THRUST_200600_302600_NS6detail15normal_iteratorINSA_10device_ptrIyEEEEPS6_NSA_18transform_iteratorI7is_evenIyESF_NSA_11use_defaultESK_EENS0_5tupleIJNSA_16discard_iteratorISK_EESF_EEENSM_IJSG_SG_EEES6_PlJS6_EEE10hipError_tPvRmT3_T4_T5_T6_T7_T9_mT8_P12ihipStream_tbDpT10_ENKUlT_T0_E_clISt17integral_constantIbLb1EES1B_EEDaS16_S17_EUlS16_E_NS1_11comp_targetILNS1_3genE8ELNS1_11target_archE1030ELNS1_3gpuE2ELNS1_3repE0EEENS1_30default_config_static_selectorELNS0_4arch9wavefront6targetE1EEEvT1_.kd
    .uniform_work_group_size: 1
    .uses_dynamic_stack: false
    .vgpr_count:     0
    .vgpr_spill_count: 0
    .wavefront_size: 64
  - .agpr_count:     0
    .args:
      - .offset:         0
        .size:           136
        .value_kind:     by_value
    .group_segment_fixed_size: 0
    .kernarg_segment_align: 8
    .kernarg_segment_size: 136
    .language:       OpenCL C
    .language_version:
      - 2
      - 0
    .max_flat_workgroup_size: 128
    .name:           _ZN7rocprim17ROCPRIM_400000_NS6detail17trampoline_kernelINS0_14default_configENS1_25partition_config_selectorILNS1_17partition_subalgoE1EyNS0_10empty_typeEbEEZZNS1_14partition_implILS5_1ELb0ES3_jN6thrust23THRUST_200600_302600_NS6detail15normal_iteratorINSA_10device_ptrIyEEEEPS6_NSA_18transform_iteratorI7is_evenIyESF_NSA_11use_defaultESK_EENS0_5tupleIJNSA_16discard_iteratorISK_EESF_EEENSM_IJSG_SG_EEES6_PlJS6_EEE10hipError_tPvRmT3_T4_T5_T6_T7_T9_mT8_P12ihipStream_tbDpT10_ENKUlT_T0_E_clISt17integral_constantIbLb1EES1A_IbLb0EEEEDaS16_S17_EUlS16_E_NS1_11comp_targetILNS1_3genE0ELNS1_11target_archE4294967295ELNS1_3gpuE0ELNS1_3repE0EEENS1_30default_config_static_selectorELNS0_4arch9wavefront6targetE1EEEvT1_
    .private_segment_fixed_size: 0
    .sgpr_count:     4
    .sgpr_spill_count: 0
    .symbol:         _ZN7rocprim17ROCPRIM_400000_NS6detail17trampoline_kernelINS0_14default_configENS1_25partition_config_selectorILNS1_17partition_subalgoE1EyNS0_10empty_typeEbEEZZNS1_14partition_implILS5_1ELb0ES3_jN6thrust23THRUST_200600_302600_NS6detail15normal_iteratorINSA_10device_ptrIyEEEEPS6_NSA_18transform_iteratorI7is_evenIyESF_NSA_11use_defaultESK_EENS0_5tupleIJNSA_16discard_iteratorISK_EESF_EEENSM_IJSG_SG_EEES6_PlJS6_EEE10hipError_tPvRmT3_T4_T5_T6_T7_T9_mT8_P12ihipStream_tbDpT10_ENKUlT_T0_E_clISt17integral_constantIbLb1EES1A_IbLb0EEEEDaS16_S17_EUlS16_E_NS1_11comp_targetILNS1_3genE0ELNS1_11target_archE4294967295ELNS1_3gpuE0ELNS1_3repE0EEENS1_30default_config_static_selectorELNS0_4arch9wavefront6targetE1EEEvT1_.kd
    .uniform_work_group_size: 1
    .uses_dynamic_stack: false
    .vgpr_count:     0
    .vgpr_spill_count: 0
    .wavefront_size: 64
  - .agpr_count:     0
    .args:
      - .offset:         0
        .size:           136
        .value_kind:     by_value
    .group_segment_fixed_size: 0
    .kernarg_segment_align: 8
    .kernarg_segment_size: 136
    .language:       OpenCL C
    .language_version:
      - 2
      - 0
    .max_flat_workgroup_size: 512
    .name:           _ZN7rocprim17ROCPRIM_400000_NS6detail17trampoline_kernelINS0_14default_configENS1_25partition_config_selectorILNS1_17partition_subalgoE1EyNS0_10empty_typeEbEEZZNS1_14partition_implILS5_1ELb0ES3_jN6thrust23THRUST_200600_302600_NS6detail15normal_iteratorINSA_10device_ptrIyEEEEPS6_NSA_18transform_iteratorI7is_evenIyESF_NSA_11use_defaultESK_EENS0_5tupleIJNSA_16discard_iteratorISK_EESF_EEENSM_IJSG_SG_EEES6_PlJS6_EEE10hipError_tPvRmT3_T4_T5_T6_T7_T9_mT8_P12ihipStream_tbDpT10_ENKUlT_T0_E_clISt17integral_constantIbLb1EES1A_IbLb0EEEEDaS16_S17_EUlS16_E_NS1_11comp_targetILNS1_3genE5ELNS1_11target_archE942ELNS1_3gpuE9ELNS1_3repE0EEENS1_30default_config_static_selectorELNS0_4arch9wavefront6targetE1EEEvT1_
    .private_segment_fixed_size: 0
    .sgpr_count:     4
    .sgpr_spill_count: 0
    .symbol:         _ZN7rocprim17ROCPRIM_400000_NS6detail17trampoline_kernelINS0_14default_configENS1_25partition_config_selectorILNS1_17partition_subalgoE1EyNS0_10empty_typeEbEEZZNS1_14partition_implILS5_1ELb0ES3_jN6thrust23THRUST_200600_302600_NS6detail15normal_iteratorINSA_10device_ptrIyEEEEPS6_NSA_18transform_iteratorI7is_evenIyESF_NSA_11use_defaultESK_EENS0_5tupleIJNSA_16discard_iteratorISK_EESF_EEENSM_IJSG_SG_EEES6_PlJS6_EEE10hipError_tPvRmT3_T4_T5_T6_T7_T9_mT8_P12ihipStream_tbDpT10_ENKUlT_T0_E_clISt17integral_constantIbLb1EES1A_IbLb0EEEEDaS16_S17_EUlS16_E_NS1_11comp_targetILNS1_3genE5ELNS1_11target_archE942ELNS1_3gpuE9ELNS1_3repE0EEENS1_30default_config_static_selectorELNS0_4arch9wavefront6targetE1EEEvT1_.kd
    .uniform_work_group_size: 1
    .uses_dynamic_stack: false
    .vgpr_count:     0
    .vgpr_spill_count: 0
    .wavefront_size: 64
  - .agpr_count:     0
    .args:
      - .offset:         0
        .size:           136
        .value_kind:     by_value
    .group_segment_fixed_size: 6344
    .kernarg_segment_align: 8
    .kernarg_segment_size: 136
    .language:       OpenCL C
    .language_version:
      - 2
      - 0
    .max_flat_workgroup_size: 192
    .name:           _ZN7rocprim17ROCPRIM_400000_NS6detail17trampoline_kernelINS0_14default_configENS1_25partition_config_selectorILNS1_17partition_subalgoE1EyNS0_10empty_typeEbEEZZNS1_14partition_implILS5_1ELb0ES3_jN6thrust23THRUST_200600_302600_NS6detail15normal_iteratorINSA_10device_ptrIyEEEEPS6_NSA_18transform_iteratorI7is_evenIyESF_NSA_11use_defaultESK_EENS0_5tupleIJNSA_16discard_iteratorISK_EESF_EEENSM_IJSG_SG_EEES6_PlJS6_EEE10hipError_tPvRmT3_T4_T5_T6_T7_T9_mT8_P12ihipStream_tbDpT10_ENKUlT_T0_E_clISt17integral_constantIbLb1EES1A_IbLb0EEEEDaS16_S17_EUlS16_E_NS1_11comp_targetILNS1_3genE4ELNS1_11target_archE910ELNS1_3gpuE8ELNS1_3repE0EEENS1_30default_config_static_selectorELNS0_4arch9wavefront6targetE1EEEvT1_
    .private_segment_fixed_size: 0
    .sgpr_count:     48
    .sgpr_spill_count: 0
    .symbol:         _ZN7rocprim17ROCPRIM_400000_NS6detail17trampoline_kernelINS0_14default_configENS1_25partition_config_selectorILNS1_17partition_subalgoE1EyNS0_10empty_typeEbEEZZNS1_14partition_implILS5_1ELb0ES3_jN6thrust23THRUST_200600_302600_NS6detail15normal_iteratorINSA_10device_ptrIyEEEEPS6_NSA_18transform_iteratorI7is_evenIyESF_NSA_11use_defaultESK_EENS0_5tupleIJNSA_16discard_iteratorISK_EESF_EEENSM_IJSG_SG_EEES6_PlJS6_EEE10hipError_tPvRmT3_T4_T5_T6_T7_T9_mT8_P12ihipStream_tbDpT10_ENKUlT_T0_E_clISt17integral_constantIbLb1EES1A_IbLb0EEEEDaS16_S17_EUlS16_E_NS1_11comp_targetILNS1_3genE4ELNS1_11target_archE910ELNS1_3gpuE8ELNS1_3repE0EEENS1_30default_config_static_selectorELNS0_4arch9wavefront6targetE1EEEvT1_.kd
    .uniform_work_group_size: 1
    .uses_dynamic_stack: false
    .vgpr_count:     43
    .vgpr_spill_count: 0
    .wavefront_size: 64
  - .agpr_count:     0
    .args:
      - .offset:         0
        .size:           136
        .value_kind:     by_value
    .group_segment_fixed_size: 0
    .kernarg_segment_align: 8
    .kernarg_segment_size: 136
    .language:       OpenCL C
    .language_version:
      - 2
      - 0
    .max_flat_workgroup_size: 128
    .name:           _ZN7rocprim17ROCPRIM_400000_NS6detail17trampoline_kernelINS0_14default_configENS1_25partition_config_selectorILNS1_17partition_subalgoE1EyNS0_10empty_typeEbEEZZNS1_14partition_implILS5_1ELb0ES3_jN6thrust23THRUST_200600_302600_NS6detail15normal_iteratorINSA_10device_ptrIyEEEEPS6_NSA_18transform_iteratorI7is_evenIyESF_NSA_11use_defaultESK_EENS0_5tupleIJNSA_16discard_iteratorISK_EESF_EEENSM_IJSG_SG_EEES6_PlJS6_EEE10hipError_tPvRmT3_T4_T5_T6_T7_T9_mT8_P12ihipStream_tbDpT10_ENKUlT_T0_E_clISt17integral_constantIbLb1EES1A_IbLb0EEEEDaS16_S17_EUlS16_E_NS1_11comp_targetILNS1_3genE3ELNS1_11target_archE908ELNS1_3gpuE7ELNS1_3repE0EEENS1_30default_config_static_selectorELNS0_4arch9wavefront6targetE1EEEvT1_
    .private_segment_fixed_size: 0
    .sgpr_count:     4
    .sgpr_spill_count: 0
    .symbol:         _ZN7rocprim17ROCPRIM_400000_NS6detail17trampoline_kernelINS0_14default_configENS1_25partition_config_selectorILNS1_17partition_subalgoE1EyNS0_10empty_typeEbEEZZNS1_14partition_implILS5_1ELb0ES3_jN6thrust23THRUST_200600_302600_NS6detail15normal_iteratorINSA_10device_ptrIyEEEEPS6_NSA_18transform_iteratorI7is_evenIyESF_NSA_11use_defaultESK_EENS0_5tupleIJNSA_16discard_iteratorISK_EESF_EEENSM_IJSG_SG_EEES6_PlJS6_EEE10hipError_tPvRmT3_T4_T5_T6_T7_T9_mT8_P12ihipStream_tbDpT10_ENKUlT_T0_E_clISt17integral_constantIbLb1EES1A_IbLb0EEEEDaS16_S17_EUlS16_E_NS1_11comp_targetILNS1_3genE3ELNS1_11target_archE908ELNS1_3gpuE7ELNS1_3repE0EEENS1_30default_config_static_selectorELNS0_4arch9wavefront6targetE1EEEvT1_.kd
    .uniform_work_group_size: 1
    .uses_dynamic_stack: false
    .vgpr_count:     0
    .vgpr_spill_count: 0
    .wavefront_size: 64
  - .agpr_count:     0
    .args:
      - .offset:         0
        .size:           136
        .value_kind:     by_value
    .group_segment_fixed_size: 0
    .kernarg_segment_align: 8
    .kernarg_segment_size: 136
    .language:       OpenCL C
    .language_version:
      - 2
      - 0
    .max_flat_workgroup_size: 256
    .name:           _ZN7rocprim17ROCPRIM_400000_NS6detail17trampoline_kernelINS0_14default_configENS1_25partition_config_selectorILNS1_17partition_subalgoE1EyNS0_10empty_typeEbEEZZNS1_14partition_implILS5_1ELb0ES3_jN6thrust23THRUST_200600_302600_NS6detail15normal_iteratorINSA_10device_ptrIyEEEEPS6_NSA_18transform_iteratorI7is_evenIyESF_NSA_11use_defaultESK_EENS0_5tupleIJNSA_16discard_iteratorISK_EESF_EEENSM_IJSG_SG_EEES6_PlJS6_EEE10hipError_tPvRmT3_T4_T5_T6_T7_T9_mT8_P12ihipStream_tbDpT10_ENKUlT_T0_E_clISt17integral_constantIbLb1EES1A_IbLb0EEEEDaS16_S17_EUlS16_E_NS1_11comp_targetILNS1_3genE2ELNS1_11target_archE906ELNS1_3gpuE6ELNS1_3repE0EEENS1_30default_config_static_selectorELNS0_4arch9wavefront6targetE1EEEvT1_
    .private_segment_fixed_size: 0
    .sgpr_count:     4
    .sgpr_spill_count: 0
    .symbol:         _ZN7rocprim17ROCPRIM_400000_NS6detail17trampoline_kernelINS0_14default_configENS1_25partition_config_selectorILNS1_17partition_subalgoE1EyNS0_10empty_typeEbEEZZNS1_14partition_implILS5_1ELb0ES3_jN6thrust23THRUST_200600_302600_NS6detail15normal_iteratorINSA_10device_ptrIyEEEEPS6_NSA_18transform_iteratorI7is_evenIyESF_NSA_11use_defaultESK_EENS0_5tupleIJNSA_16discard_iteratorISK_EESF_EEENSM_IJSG_SG_EEES6_PlJS6_EEE10hipError_tPvRmT3_T4_T5_T6_T7_T9_mT8_P12ihipStream_tbDpT10_ENKUlT_T0_E_clISt17integral_constantIbLb1EES1A_IbLb0EEEEDaS16_S17_EUlS16_E_NS1_11comp_targetILNS1_3genE2ELNS1_11target_archE906ELNS1_3gpuE6ELNS1_3repE0EEENS1_30default_config_static_selectorELNS0_4arch9wavefront6targetE1EEEvT1_.kd
    .uniform_work_group_size: 1
    .uses_dynamic_stack: false
    .vgpr_count:     0
    .vgpr_spill_count: 0
    .wavefront_size: 64
  - .agpr_count:     0
    .args:
      - .offset:         0
        .size:           136
        .value_kind:     by_value
    .group_segment_fixed_size: 0
    .kernarg_segment_align: 8
    .kernarg_segment_size: 136
    .language:       OpenCL C
    .language_version:
      - 2
      - 0
    .max_flat_workgroup_size: 256
    .name:           _ZN7rocprim17ROCPRIM_400000_NS6detail17trampoline_kernelINS0_14default_configENS1_25partition_config_selectorILNS1_17partition_subalgoE1EyNS0_10empty_typeEbEEZZNS1_14partition_implILS5_1ELb0ES3_jN6thrust23THRUST_200600_302600_NS6detail15normal_iteratorINSA_10device_ptrIyEEEEPS6_NSA_18transform_iteratorI7is_evenIyESF_NSA_11use_defaultESK_EENS0_5tupleIJNSA_16discard_iteratorISK_EESF_EEENSM_IJSG_SG_EEES6_PlJS6_EEE10hipError_tPvRmT3_T4_T5_T6_T7_T9_mT8_P12ihipStream_tbDpT10_ENKUlT_T0_E_clISt17integral_constantIbLb1EES1A_IbLb0EEEEDaS16_S17_EUlS16_E_NS1_11comp_targetILNS1_3genE10ELNS1_11target_archE1200ELNS1_3gpuE4ELNS1_3repE0EEENS1_30default_config_static_selectorELNS0_4arch9wavefront6targetE1EEEvT1_
    .private_segment_fixed_size: 0
    .sgpr_count:     4
    .sgpr_spill_count: 0
    .symbol:         _ZN7rocprim17ROCPRIM_400000_NS6detail17trampoline_kernelINS0_14default_configENS1_25partition_config_selectorILNS1_17partition_subalgoE1EyNS0_10empty_typeEbEEZZNS1_14partition_implILS5_1ELb0ES3_jN6thrust23THRUST_200600_302600_NS6detail15normal_iteratorINSA_10device_ptrIyEEEEPS6_NSA_18transform_iteratorI7is_evenIyESF_NSA_11use_defaultESK_EENS0_5tupleIJNSA_16discard_iteratorISK_EESF_EEENSM_IJSG_SG_EEES6_PlJS6_EEE10hipError_tPvRmT3_T4_T5_T6_T7_T9_mT8_P12ihipStream_tbDpT10_ENKUlT_T0_E_clISt17integral_constantIbLb1EES1A_IbLb0EEEEDaS16_S17_EUlS16_E_NS1_11comp_targetILNS1_3genE10ELNS1_11target_archE1200ELNS1_3gpuE4ELNS1_3repE0EEENS1_30default_config_static_selectorELNS0_4arch9wavefront6targetE1EEEvT1_.kd
    .uniform_work_group_size: 1
    .uses_dynamic_stack: false
    .vgpr_count:     0
    .vgpr_spill_count: 0
    .wavefront_size: 64
  - .agpr_count:     0
    .args:
      - .offset:         0
        .size:           136
        .value_kind:     by_value
    .group_segment_fixed_size: 0
    .kernarg_segment_align: 8
    .kernarg_segment_size: 136
    .language:       OpenCL C
    .language_version:
      - 2
      - 0
    .max_flat_workgroup_size: 128
    .name:           _ZN7rocprim17ROCPRIM_400000_NS6detail17trampoline_kernelINS0_14default_configENS1_25partition_config_selectorILNS1_17partition_subalgoE1EyNS0_10empty_typeEbEEZZNS1_14partition_implILS5_1ELb0ES3_jN6thrust23THRUST_200600_302600_NS6detail15normal_iteratorINSA_10device_ptrIyEEEEPS6_NSA_18transform_iteratorI7is_evenIyESF_NSA_11use_defaultESK_EENS0_5tupleIJNSA_16discard_iteratorISK_EESF_EEENSM_IJSG_SG_EEES6_PlJS6_EEE10hipError_tPvRmT3_T4_T5_T6_T7_T9_mT8_P12ihipStream_tbDpT10_ENKUlT_T0_E_clISt17integral_constantIbLb1EES1A_IbLb0EEEEDaS16_S17_EUlS16_E_NS1_11comp_targetILNS1_3genE9ELNS1_11target_archE1100ELNS1_3gpuE3ELNS1_3repE0EEENS1_30default_config_static_selectorELNS0_4arch9wavefront6targetE1EEEvT1_
    .private_segment_fixed_size: 0
    .sgpr_count:     4
    .sgpr_spill_count: 0
    .symbol:         _ZN7rocprim17ROCPRIM_400000_NS6detail17trampoline_kernelINS0_14default_configENS1_25partition_config_selectorILNS1_17partition_subalgoE1EyNS0_10empty_typeEbEEZZNS1_14partition_implILS5_1ELb0ES3_jN6thrust23THRUST_200600_302600_NS6detail15normal_iteratorINSA_10device_ptrIyEEEEPS6_NSA_18transform_iteratorI7is_evenIyESF_NSA_11use_defaultESK_EENS0_5tupleIJNSA_16discard_iteratorISK_EESF_EEENSM_IJSG_SG_EEES6_PlJS6_EEE10hipError_tPvRmT3_T4_T5_T6_T7_T9_mT8_P12ihipStream_tbDpT10_ENKUlT_T0_E_clISt17integral_constantIbLb1EES1A_IbLb0EEEEDaS16_S17_EUlS16_E_NS1_11comp_targetILNS1_3genE9ELNS1_11target_archE1100ELNS1_3gpuE3ELNS1_3repE0EEENS1_30default_config_static_selectorELNS0_4arch9wavefront6targetE1EEEvT1_.kd
    .uniform_work_group_size: 1
    .uses_dynamic_stack: false
    .vgpr_count:     0
    .vgpr_spill_count: 0
    .wavefront_size: 64
  - .agpr_count:     0
    .args:
      - .offset:         0
        .size:           136
        .value_kind:     by_value
    .group_segment_fixed_size: 0
    .kernarg_segment_align: 8
    .kernarg_segment_size: 136
    .language:       OpenCL C
    .language_version:
      - 2
      - 0
    .max_flat_workgroup_size: 512
    .name:           _ZN7rocprim17ROCPRIM_400000_NS6detail17trampoline_kernelINS0_14default_configENS1_25partition_config_selectorILNS1_17partition_subalgoE1EyNS0_10empty_typeEbEEZZNS1_14partition_implILS5_1ELb0ES3_jN6thrust23THRUST_200600_302600_NS6detail15normal_iteratorINSA_10device_ptrIyEEEEPS6_NSA_18transform_iteratorI7is_evenIyESF_NSA_11use_defaultESK_EENS0_5tupleIJNSA_16discard_iteratorISK_EESF_EEENSM_IJSG_SG_EEES6_PlJS6_EEE10hipError_tPvRmT3_T4_T5_T6_T7_T9_mT8_P12ihipStream_tbDpT10_ENKUlT_T0_E_clISt17integral_constantIbLb1EES1A_IbLb0EEEEDaS16_S17_EUlS16_E_NS1_11comp_targetILNS1_3genE8ELNS1_11target_archE1030ELNS1_3gpuE2ELNS1_3repE0EEENS1_30default_config_static_selectorELNS0_4arch9wavefront6targetE1EEEvT1_
    .private_segment_fixed_size: 0
    .sgpr_count:     4
    .sgpr_spill_count: 0
    .symbol:         _ZN7rocprim17ROCPRIM_400000_NS6detail17trampoline_kernelINS0_14default_configENS1_25partition_config_selectorILNS1_17partition_subalgoE1EyNS0_10empty_typeEbEEZZNS1_14partition_implILS5_1ELb0ES3_jN6thrust23THRUST_200600_302600_NS6detail15normal_iteratorINSA_10device_ptrIyEEEEPS6_NSA_18transform_iteratorI7is_evenIyESF_NSA_11use_defaultESK_EENS0_5tupleIJNSA_16discard_iteratorISK_EESF_EEENSM_IJSG_SG_EEES6_PlJS6_EEE10hipError_tPvRmT3_T4_T5_T6_T7_T9_mT8_P12ihipStream_tbDpT10_ENKUlT_T0_E_clISt17integral_constantIbLb1EES1A_IbLb0EEEEDaS16_S17_EUlS16_E_NS1_11comp_targetILNS1_3genE8ELNS1_11target_archE1030ELNS1_3gpuE2ELNS1_3repE0EEENS1_30default_config_static_selectorELNS0_4arch9wavefront6targetE1EEEvT1_.kd
    .uniform_work_group_size: 1
    .uses_dynamic_stack: false
    .vgpr_count:     0
    .vgpr_spill_count: 0
    .wavefront_size: 64
  - .agpr_count:     0
    .args:
      - .offset:         0
        .size:           152
        .value_kind:     by_value
    .group_segment_fixed_size: 0
    .kernarg_segment_align: 8
    .kernarg_segment_size: 152
    .language:       OpenCL C
    .language_version:
      - 2
      - 0
    .max_flat_workgroup_size: 128
    .name:           _ZN7rocprim17ROCPRIM_400000_NS6detail17trampoline_kernelINS0_14default_configENS1_25partition_config_selectorILNS1_17partition_subalgoE1EyNS0_10empty_typeEbEEZZNS1_14partition_implILS5_1ELb0ES3_jN6thrust23THRUST_200600_302600_NS6detail15normal_iteratorINSA_10device_ptrIyEEEEPS6_NSA_18transform_iteratorI7is_evenIyESF_NSA_11use_defaultESK_EENS0_5tupleIJNSA_16discard_iteratorISK_EESF_EEENSM_IJSG_SG_EEES6_PlJS6_EEE10hipError_tPvRmT3_T4_T5_T6_T7_T9_mT8_P12ihipStream_tbDpT10_ENKUlT_T0_E_clISt17integral_constantIbLb0EES1A_IbLb1EEEEDaS16_S17_EUlS16_E_NS1_11comp_targetILNS1_3genE0ELNS1_11target_archE4294967295ELNS1_3gpuE0ELNS1_3repE0EEENS1_30default_config_static_selectorELNS0_4arch9wavefront6targetE1EEEvT1_
    .private_segment_fixed_size: 0
    .sgpr_count:     4
    .sgpr_spill_count: 0
    .symbol:         _ZN7rocprim17ROCPRIM_400000_NS6detail17trampoline_kernelINS0_14default_configENS1_25partition_config_selectorILNS1_17partition_subalgoE1EyNS0_10empty_typeEbEEZZNS1_14partition_implILS5_1ELb0ES3_jN6thrust23THRUST_200600_302600_NS6detail15normal_iteratorINSA_10device_ptrIyEEEEPS6_NSA_18transform_iteratorI7is_evenIyESF_NSA_11use_defaultESK_EENS0_5tupleIJNSA_16discard_iteratorISK_EESF_EEENSM_IJSG_SG_EEES6_PlJS6_EEE10hipError_tPvRmT3_T4_T5_T6_T7_T9_mT8_P12ihipStream_tbDpT10_ENKUlT_T0_E_clISt17integral_constantIbLb0EES1A_IbLb1EEEEDaS16_S17_EUlS16_E_NS1_11comp_targetILNS1_3genE0ELNS1_11target_archE4294967295ELNS1_3gpuE0ELNS1_3repE0EEENS1_30default_config_static_selectorELNS0_4arch9wavefront6targetE1EEEvT1_.kd
    .uniform_work_group_size: 1
    .uses_dynamic_stack: false
    .vgpr_count:     0
    .vgpr_spill_count: 0
    .wavefront_size: 64
  - .agpr_count:     0
    .args:
      - .offset:         0
        .size:           152
        .value_kind:     by_value
    .group_segment_fixed_size: 0
    .kernarg_segment_align: 8
    .kernarg_segment_size: 152
    .language:       OpenCL C
    .language_version:
      - 2
      - 0
    .max_flat_workgroup_size: 512
    .name:           _ZN7rocprim17ROCPRIM_400000_NS6detail17trampoline_kernelINS0_14default_configENS1_25partition_config_selectorILNS1_17partition_subalgoE1EyNS0_10empty_typeEbEEZZNS1_14partition_implILS5_1ELb0ES3_jN6thrust23THRUST_200600_302600_NS6detail15normal_iteratorINSA_10device_ptrIyEEEEPS6_NSA_18transform_iteratorI7is_evenIyESF_NSA_11use_defaultESK_EENS0_5tupleIJNSA_16discard_iteratorISK_EESF_EEENSM_IJSG_SG_EEES6_PlJS6_EEE10hipError_tPvRmT3_T4_T5_T6_T7_T9_mT8_P12ihipStream_tbDpT10_ENKUlT_T0_E_clISt17integral_constantIbLb0EES1A_IbLb1EEEEDaS16_S17_EUlS16_E_NS1_11comp_targetILNS1_3genE5ELNS1_11target_archE942ELNS1_3gpuE9ELNS1_3repE0EEENS1_30default_config_static_selectorELNS0_4arch9wavefront6targetE1EEEvT1_
    .private_segment_fixed_size: 0
    .sgpr_count:     4
    .sgpr_spill_count: 0
    .symbol:         _ZN7rocprim17ROCPRIM_400000_NS6detail17trampoline_kernelINS0_14default_configENS1_25partition_config_selectorILNS1_17partition_subalgoE1EyNS0_10empty_typeEbEEZZNS1_14partition_implILS5_1ELb0ES3_jN6thrust23THRUST_200600_302600_NS6detail15normal_iteratorINSA_10device_ptrIyEEEEPS6_NSA_18transform_iteratorI7is_evenIyESF_NSA_11use_defaultESK_EENS0_5tupleIJNSA_16discard_iteratorISK_EESF_EEENSM_IJSG_SG_EEES6_PlJS6_EEE10hipError_tPvRmT3_T4_T5_T6_T7_T9_mT8_P12ihipStream_tbDpT10_ENKUlT_T0_E_clISt17integral_constantIbLb0EES1A_IbLb1EEEEDaS16_S17_EUlS16_E_NS1_11comp_targetILNS1_3genE5ELNS1_11target_archE942ELNS1_3gpuE9ELNS1_3repE0EEENS1_30default_config_static_selectorELNS0_4arch9wavefront6targetE1EEEvT1_.kd
    .uniform_work_group_size: 1
    .uses_dynamic_stack: false
    .vgpr_count:     0
    .vgpr_spill_count: 0
    .wavefront_size: 64
  - .agpr_count:     0
    .args:
      - .offset:         0
        .size:           152
        .value_kind:     by_value
    .group_segment_fixed_size: 6344
    .kernarg_segment_align: 8
    .kernarg_segment_size: 152
    .language:       OpenCL C
    .language_version:
      - 2
      - 0
    .max_flat_workgroup_size: 192
    .name:           _ZN7rocprim17ROCPRIM_400000_NS6detail17trampoline_kernelINS0_14default_configENS1_25partition_config_selectorILNS1_17partition_subalgoE1EyNS0_10empty_typeEbEEZZNS1_14partition_implILS5_1ELb0ES3_jN6thrust23THRUST_200600_302600_NS6detail15normal_iteratorINSA_10device_ptrIyEEEEPS6_NSA_18transform_iteratorI7is_evenIyESF_NSA_11use_defaultESK_EENS0_5tupleIJNSA_16discard_iteratorISK_EESF_EEENSM_IJSG_SG_EEES6_PlJS6_EEE10hipError_tPvRmT3_T4_T5_T6_T7_T9_mT8_P12ihipStream_tbDpT10_ENKUlT_T0_E_clISt17integral_constantIbLb0EES1A_IbLb1EEEEDaS16_S17_EUlS16_E_NS1_11comp_targetILNS1_3genE4ELNS1_11target_archE910ELNS1_3gpuE8ELNS1_3repE0EEENS1_30default_config_static_selectorELNS0_4arch9wavefront6targetE1EEEvT1_
    .private_segment_fixed_size: 0
    .sgpr_count:     46
    .sgpr_spill_count: 0
    .symbol:         _ZN7rocprim17ROCPRIM_400000_NS6detail17trampoline_kernelINS0_14default_configENS1_25partition_config_selectorILNS1_17partition_subalgoE1EyNS0_10empty_typeEbEEZZNS1_14partition_implILS5_1ELb0ES3_jN6thrust23THRUST_200600_302600_NS6detail15normal_iteratorINSA_10device_ptrIyEEEEPS6_NSA_18transform_iteratorI7is_evenIyESF_NSA_11use_defaultESK_EENS0_5tupleIJNSA_16discard_iteratorISK_EESF_EEENSM_IJSG_SG_EEES6_PlJS6_EEE10hipError_tPvRmT3_T4_T5_T6_T7_T9_mT8_P12ihipStream_tbDpT10_ENKUlT_T0_E_clISt17integral_constantIbLb0EES1A_IbLb1EEEEDaS16_S17_EUlS16_E_NS1_11comp_targetILNS1_3genE4ELNS1_11target_archE910ELNS1_3gpuE8ELNS1_3repE0EEENS1_30default_config_static_selectorELNS0_4arch9wavefront6targetE1EEEvT1_.kd
    .uniform_work_group_size: 1
    .uses_dynamic_stack: false
    .vgpr_count:     47
    .vgpr_spill_count: 0
    .wavefront_size: 64
  - .agpr_count:     0
    .args:
      - .offset:         0
        .size:           152
        .value_kind:     by_value
    .group_segment_fixed_size: 0
    .kernarg_segment_align: 8
    .kernarg_segment_size: 152
    .language:       OpenCL C
    .language_version:
      - 2
      - 0
    .max_flat_workgroup_size: 128
    .name:           _ZN7rocprim17ROCPRIM_400000_NS6detail17trampoline_kernelINS0_14default_configENS1_25partition_config_selectorILNS1_17partition_subalgoE1EyNS0_10empty_typeEbEEZZNS1_14partition_implILS5_1ELb0ES3_jN6thrust23THRUST_200600_302600_NS6detail15normal_iteratorINSA_10device_ptrIyEEEEPS6_NSA_18transform_iteratorI7is_evenIyESF_NSA_11use_defaultESK_EENS0_5tupleIJNSA_16discard_iteratorISK_EESF_EEENSM_IJSG_SG_EEES6_PlJS6_EEE10hipError_tPvRmT3_T4_T5_T6_T7_T9_mT8_P12ihipStream_tbDpT10_ENKUlT_T0_E_clISt17integral_constantIbLb0EES1A_IbLb1EEEEDaS16_S17_EUlS16_E_NS1_11comp_targetILNS1_3genE3ELNS1_11target_archE908ELNS1_3gpuE7ELNS1_3repE0EEENS1_30default_config_static_selectorELNS0_4arch9wavefront6targetE1EEEvT1_
    .private_segment_fixed_size: 0
    .sgpr_count:     4
    .sgpr_spill_count: 0
    .symbol:         _ZN7rocprim17ROCPRIM_400000_NS6detail17trampoline_kernelINS0_14default_configENS1_25partition_config_selectorILNS1_17partition_subalgoE1EyNS0_10empty_typeEbEEZZNS1_14partition_implILS5_1ELb0ES3_jN6thrust23THRUST_200600_302600_NS6detail15normal_iteratorINSA_10device_ptrIyEEEEPS6_NSA_18transform_iteratorI7is_evenIyESF_NSA_11use_defaultESK_EENS0_5tupleIJNSA_16discard_iteratorISK_EESF_EEENSM_IJSG_SG_EEES6_PlJS6_EEE10hipError_tPvRmT3_T4_T5_T6_T7_T9_mT8_P12ihipStream_tbDpT10_ENKUlT_T0_E_clISt17integral_constantIbLb0EES1A_IbLb1EEEEDaS16_S17_EUlS16_E_NS1_11comp_targetILNS1_3genE3ELNS1_11target_archE908ELNS1_3gpuE7ELNS1_3repE0EEENS1_30default_config_static_selectorELNS0_4arch9wavefront6targetE1EEEvT1_.kd
    .uniform_work_group_size: 1
    .uses_dynamic_stack: false
    .vgpr_count:     0
    .vgpr_spill_count: 0
    .wavefront_size: 64
  - .agpr_count:     0
    .args:
      - .offset:         0
        .size:           152
        .value_kind:     by_value
    .group_segment_fixed_size: 0
    .kernarg_segment_align: 8
    .kernarg_segment_size: 152
    .language:       OpenCL C
    .language_version:
      - 2
      - 0
    .max_flat_workgroup_size: 256
    .name:           _ZN7rocprim17ROCPRIM_400000_NS6detail17trampoline_kernelINS0_14default_configENS1_25partition_config_selectorILNS1_17partition_subalgoE1EyNS0_10empty_typeEbEEZZNS1_14partition_implILS5_1ELb0ES3_jN6thrust23THRUST_200600_302600_NS6detail15normal_iteratorINSA_10device_ptrIyEEEEPS6_NSA_18transform_iteratorI7is_evenIyESF_NSA_11use_defaultESK_EENS0_5tupleIJNSA_16discard_iteratorISK_EESF_EEENSM_IJSG_SG_EEES6_PlJS6_EEE10hipError_tPvRmT3_T4_T5_T6_T7_T9_mT8_P12ihipStream_tbDpT10_ENKUlT_T0_E_clISt17integral_constantIbLb0EES1A_IbLb1EEEEDaS16_S17_EUlS16_E_NS1_11comp_targetILNS1_3genE2ELNS1_11target_archE906ELNS1_3gpuE6ELNS1_3repE0EEENS1_30default_config_static_selectorELNS0_4arch9wavefront6targetE1EEEvT1_
    .private_segment_fixed_size: 0
    .sgpr_count:     4
    .sgpr_spill_count: 0
    .symbol:         _ZN7rocprim17ROCPRIM_400000_NS6detail17trampoline_kernelINS0_14default_configENS1_25partition_config_selectorILNS1_17partition_subalgoE1EyNS0_10empty_typeEbEEZZNS1_14partition_implILS5_1ELb0ES3_jN6thrust23THRUST_200600_302600_NS6detail15normal_iteratorINSA_10device_ptrIyEEEEPS6_NSA_18transform_iteratorI7is_evenIyESF_NSA_11use_defaultESK_EENS0_5tupleIJNSA_16discard_iteratorISK_EESF_EEENSM_IJSG_SG_EEES6_PlJS6_EEE10hipError_tPvRmT3_T4_T5_T6_T7_T9_mT8_P12ihipStream_tbDpT10_ENKUlT_T0_E_clISt17integral_constantIbLb0EES1A_IbLb1EEEEDaS16_S17_EUlS16_E_NS1_11comp_targetILNS1_3genE2ELNS1_11target_archE906ELNS1_3gpuE6ELNS1_3repE0EEENS1_30default_config_static_selectorELNS0_4arch9wavefront6targetE1EEEvT1_.kd
    .uniform_work_group_size: 1
    .uses_dynamic_stack: false
    .vgpr_count:     0
    .vgpr_spill_count: 0
    .wavefront_size: 64
  - .agpr_count:     0
    .args:
      - .offset:         0
        .size:           152
        .value_kind:     by_value
    .group_segment_fixed_size: 0
    .kernarg_segment_align: 8
    .kernarg_segment_size: 152
    .language:       OpenCL C
    .language_version:
      - 2
      - 0
    .max_flat_workgroup_size: 256
    .name:           _ZN7rocprim17ROCPRIM_400000_NS6detail17trampoline_kernelINS0_14default_configENS1_25partition_config_selectorILNS1_17partition_subalgoE1EyNS0_10empty_typeEbEEZZNS1_14partition_implILS5_1ELb0ES3_jN6thrust23THRUST_200600_302600_NS6detail15normal_iteratorINSA_10device_ptrIyEEEEPS6_NSA_18transform_iteratorI7is_evenIyESF_NSA_11use_defaultESK_EENS0_5tupleIJNSA_16discard_iteratorISK_EESF_EEENSM_IJSG_SG_EEES6_PlJS6_EEE10hipError_tPvRmT3_T4_T5_T6_T7_T9_mT8_P12ihipStream_tbDpT10_ENKUlT_T0_E_clISt17integral_constantIbLb0EES1A_IbLb1EEEEDaS16_S17_EUlS16_E_NS1_11comp_targetILNS1_3genE10ELNS1_11target_archE1200ELNS1_3gpuE4ELNS1_3repE0EEENS1_30default_config_static_selectorELNS0_4arch9wavefront6targetE1EEEvT1_
    .private_segment_fixed_size: 0
    .sgpr_count:     4
    .sgpr_spill_count: 0
    .symbol:         _ZN7rocprim17ROCPRIM_400000_NS6detail17trampoline_kernelINS0_14default_configENS1_25partition_config_selectorILNS1_17partition_subalgoE1EyNS0_10empty_typeEbEEZZNS1_14partition_implILS5_1ELb0ES3_jN6thrust23THRUST_200600_302600_NS6detail15normal_iteratorINSA_10device_ptrIyEEEEPS6_NSA_18transform_iteratorI7is_evenIyESF_NSA_11use_defaultESK_EENS0_5tupleIJNSA_16discard_iteratorISK_EESF_EEENSM_IJSG_SG_EEES6_PlJS6_EEE10hipError_tPvRmT3_T4_T5_T6_T7_T9_mT8_P12ihipStream_tbDpT10_ENKUlT_T0_E_clISt17integral_constantIbLb0EES1A_IbLb1EEEEDaS16_S17_EUlS16_E_NS1_11comp_targetILNS1_3genE10ELNS1_11target_archE1200ELNS1_3gpuE4ELNS1_3repE0EEENS1_30default_config_static_selectorELNS0_4arch9wavefront6targetE1EEEvT1_.kd
    .uniform_work_group_size: 1
    .uses_dynamic_stack: false
    .vgpr_count:     0
    .vgpr_spill_count: 0
    .wavefront_size: 64
  - .agpr_count:     0
    .args:
      - .offset:         0
        .size:           152
        .value_kind:     by_value
    .group_segment_fixed_size: 0
    .kernarg_segment_align: 8
    .kernarg_segment_size: 152
    .language:       OpenCL C
    .language_version:
      - 2
      - 0
    .max_flat_workgroup_size: 128
    .name:           _ZN7rocprim17ROCPRIM_400000_NS6detail17trampoline_kernelINS0_14default_configENS1_25partition_config_selectorILNS1_17partition_subalgoE1EyNS0_10empty_typeEbEEZZNS1_14partition_implILS5_1ELb0ES3_jN6thrust23THRUST_200600_302600_NS6detail15normal_iteratorINSA_10device_ptrIyEEEEPS6_NSA_18transform_iteratorI7is_evenIyESF_NSA_11use_defaultESK_EENS0_5tupleIJNSA_16discard_iteratorISK_EESF_EEENSM_IJSG_SG_EEES6_PlJS6_EEE10hipError_tPvRmT3_T4_T5_T6_T7_T9_mT8_P12ihipStream_tbDpT10_ENKUlT_T0_E_clISt17integral_constantIbLb0EES1A_IbLb1EEEEDaS16_S17_EUlS16_E_NS1_11comp_targetILNS1_3genE9ELNS1_11target_archE1100ELNS1_3gpuE3ELNS1_3repE0EEENS1_30default_config_static_selectorELNS0_4arch9wavefront6targetE1EEEvT1_
    .private_segment_fixed_size: 0
    .sgpr_count:     4
    .sgpr_spill_count: 0
    .symbol:         _ZN7rocprim17ROCPRIM_400000_NS6detail17trampoline_kernelINS0_14default_configENS1_25partition_config_selectorILNS1_17partition_subalgoE1EyNS0_10empty_typeEbEEZZNS1_14partition_implILS5_1ELb0ES3_jN6thrust23THRUST_200600_302600_NS6detail15normal_iteratorINSA_10device_ptrIyEEEEPS6_NSA_18transform_iteratorI7is_evenIyESF_NSA_11use_defaultESK_EENS0_5tupleIJNSA_16discard_iteratorISK_EESF_EEENSM_IJSG_SG_EEES6_PlJS6_EEE10hipError_tPvRmT3_T4_T5_T6_T7_T9_mT8_P12ihipStream_tbDpT10_ENKUlT_T0_E_clISt17integral_constantIbLb0EES1A_IbLb1EEEEDaS16_S17_EUlS16_E_NS1_11comp_targetILNS1_3genE9ELNS1_11target_archE1100ELNS1_3gpuE3ELNS1_3repE0EEENS1_30default_config_static_selectorELNS0_4arch9wavefront6targetE1EEEvT1_.kd
    .uniform_work_group_size: 1
    .uses_dynamic_stack: false
    .vgpr_count:     0
    .vgpr_spill_count: 0
    .wavefront_size: 64
  - .agpr_count:     0
    .args:
      - .offset:         0
        .size:           152
        .value_kind:     by_value
    .group_segment_fixed_size: 0
    .kernarg_segment_align: 8
    .kernarg_segment_size: 152
    .language:       OpenCL C
    .language_version:
      - 2
      - 0
    .max_flat_workgroup_size: 512
    .name:           _ZN7rocprim17ROCPRIM_400000_NS6detail17trampoline_kernelINS0_14default_configENS1_25partition_config_selectorILNS1_17partition_subalgoE1EyNS0_10empty_typeEbEEZZNS1_14partition_implILS5_1ELb0ES3_jN6thrust23THRUST_200600_302600_NS6detail15normal_iteratorINSA_10device_ptrIyEEEEPS6_NSA_18transform_iteratorI7is_evenIyESF_NSA_11use_defaultESK_EENS0_5tupleIJNSA_16discard_iteratorISK_EESF_EEENSM_IJSG_SG_EEES6_PlJS6_EEE10hipError_tPvRmT3_T4_T5_T6_T7_T9_mT8_P12ihipStream_tbDpT10_ENKUlT_T0_E_clISt17integral_constantIbLb0EES1A_IbLb1EEEEDaS16_S17_EUlS16_E_NS1_11comp_targetILNS1_3genE8ELNS1_11target_archE1030ELNS1_3gpuE2ELNS1_3repE0EEENS1_30default_config_static_selectorELNS0_4arch9wavefront6targetE1EEEvT1_
    .private_segment_fixed_size: 0
    .sgpr_count:     4
    .sgpr_spill_count: 0
    .symbol:         _ZN7rocprim17ROCPRIM_400000_NS6detail17trampoline_kernelINS0_14default_configENS1_25partition_config_selectorILNS1_17partition_subalgoE1EyNS0_10empty_typeEbEEZZNS1_14partition_implILS5_1ELb0ES3_jN6thrust23THRUST_200600_302600_NS6detail15normal_iteratorINSA_10device_ptrIyEEEEPS6_NSA_18transform_iteratorI7is_evenIyESF_NSA_11use_defaultESK_EENS0_5tupleIJNSA_16discard_iteratorISK_EESF_EEENSM_IJSG_SG_EEES6_PlJS6_EEE10hipError_tPvRmT3_T4_T5_T6_T7_T9_mT8_P12ihipStream_tbDpT10_ENKUlT_T0_E_clISt17integral_constantIbLb0EES1A_IbLb1EEEEDaS16_S17_EUlS16_E_NS1_11comp_targetILNS1_3genE8ELNS1_11target_archE1030ELNS1_3gpuE2ELNS1_3repE0EEENS1_30default_config_static_selectorELNS0_4arch9wavefront6targetE1EEEvT1_.kd
    .uniform_work_group_size: 1
    .uses_dynamic_stack: false
    .vgpr_count:     0
    .vgpr_spill_count: 0
    .wavefront_size: 64
  - .agpr_count:     0
    .args:
      - .offset:         0
        .size:           144
        .value_kind:     by_value
    .group_segment_fixed_size: 0
    .kernarg_segment_align: 8
    .kernarg_segment_size: 144
    .language:       OpenCL C
    .language_version:
      - 2
      - 0
    .max_flat_workgroup_size: 256
    .name:           _ZN7rocprim17ROCPRIM_400000_NS6detail17trampoline_kernelINS0_14default_configENS1_25partition_config_selectorILNS1_17partition_subalgoE1EjNS0_10empty_typeEbEEZZNS1_14partition_implILS5_1ELb0ES3_jN6thrust23THRUST_200600_302600_NS6detail15normal_iteratorINSA_10device_ptrIjEEEEPS6_NSA_18transform_iteratorI7is_evenIjESF_NSA_11use_defaultESK_EENS0_5tupleIJNSA_16discard_iteratorISK_EESO_EEENSM_IJSG_SG_EEES6_PlJS6_EEE10hipError_tPvRmT3_T4_T5_T6_T7_T9_mT8_P12ihipStream_tbDpT10_ENKUlT_T0_E_clISt17integral_constantIbLb0EES1B_EEDaS16_S17_EUlS16_E_NS1_11comp_targetILNS1_3genE0ELNS1_11target_archE4294967295ELNS1_3gpuE0ELNS1_3repE0EEENS1_30default_config_static_selectorELNS0_4arch9wavefront6targetE1EEEvT1_
    .private_segment_fixed_size: 0
    .sgpr_count:     4
    .sgpr_spill_count: 0
    .symbol:         _ZN7rocprim17ROCPRIM_400000_NS6detail17trampoline_kernelINS0_14default_configENS1_25partition_config_selectorILNS1_17partition_subalgoE1EjNS0_10empty_typeEbEEZZNS1_14partition_implILS5_1ELb0ES3_jN6thrust23THRUST_200600_302600_NS6detail15normal_iteratorINSA_10device_ptrIjEEEEPS6_NSA_18transform_iteratorI7is_evenIjESF_NSA_11use_defaultESK_EENS0_5tupleIJNSA_16discard_iteratorISK_EESO_EEENSM_IJSG_SG_EEES6_PlJS6_EEE10hipError_tPvRmT3_T4_T5_T6_T7_T9_mT8_P12ihipStream_tbDpT10_ENKUlT_T0_E_clISt17integral_constantIbLb0EES1B_EEDaS16_S17_EUlS16_E_NS1_11comp_targetILNS1_3genE0ELNS1_11target_archE4294967295ELNS1_3gpuE0ELNS1_3repE0EEENS1_30default_config_static_selectorELNS0_4arch9wavefront6targetE1EEEvT1_.kd
    .uniform_work_group_size: 1
    .uses_dynamic_stack: false
    .vgpr_count:     0
    .vgpr_spill_count: 0
    .wavefront_size: 64
  - .agpr_count:     0
    .args:
      - .offset:         0
        .size:           144
        .value_kind:     by_value
    .group_segment_fixed_size: 0
    .kernarg_segment_align: 8
    .kernarg_segment_size: 144
    .language:       OpenCL C
    .language_version:
      - 2
      - 0
    .max_flat_workgroup_size: 512
    .name:           _ZN7rocprim17ROCPRIM_400000_NS6detail17trampoline_kernelINS0_14default_configENS1_25partition_config_selectorILNS1_17partition_subalgoE1EjNS0_10empty_typeEbEEZZNS1_14partition_implILS5_1ELb0ES3_jN6thrust23THRUST_200600_302600_NS6detail15normal_iteratorINSA_10device_ptrIjEEEEPS6_NSA_18transform_iteratorI7is_evenIjESF_NSA_11use_defaultESK_EENS0_5tupleIJNSA_16discard_iteratorISK_EESO_EEENSM_IJSG_SG_EEES6_PlJS6_EEE10hipError_tPvRmT3_T4_T5_T6_T7_T9_mT8_P12ihipStream_tbDpT10_ENKUlT_T0_E_clISt17integral_constantIbLb0EES1B_EEDaS16_S17_EUlS16_E_NS1_11comp_targetILNS1_3genE5ELNS1_11target_archE942ELNS1_3gpuE9ELNS1_3repE0EEENS1_30default_config_static_selectorELNS0_4arch9wavefront6targetE1EEEvT1_
    .private_segment_fixed_size: 0
    .sgpr_count:     4
    .sgpr_spill_count: 0
    .symbol:         _ZN7rocprim17ROCPRIM_400000_NS6detail17trampoline_kernelINS0_14default_configENS1_25partition_config_selectorILNS1_17partition_subalgoE1EjNS0_10empty_typeEbEEZZNS1_14partition_implILS5_1ELb0ES3_jN6thrust23THRUST_200600_302600_NS6detail15normal_iteratorINSA_10device_ptrIjEEEEPS6_NSA_18transform_iteratorI7is_evenIjESF_NSA_11use_defaultESK_EENS0_5tupleIJNSA_16discard_iteratorISK_EESO_EEENSM_IJSG_SG_EEES6_PlJS6_EEE10hipError_tPvRmT3_T4_T5_T6_T7_T9_mT8_P12ihipStream_tbDpT10_ENKUlT_T0_E_clISt17integral_constantIbLb0EES1B_EEDaS16_S17_EUlS16_E_NS1_11comp_targetILNS1_3genE5ELNS1_11target_archE942ELNS1_3gpuE9ELNS1_3repE0EEENS1_30default_config_static_selectorELNS0_4arch9wavefront6targetE1EEEvT1_.kd
    .uniform_work_group_size: 1
    .uses_dynamic_stack: false
    .vgpr_count:     0
    .vgpr_spill_count: 0
    .wavefront_size: 64
  - .agpr_count:     0
    .args:
      - .offset:         0
        .size:           144
        .value_kind:     by_value
    .group_segment_fixed_size: 7176
    .kernarg_segment_align: 8
    .kernarg_segment_size: 144
    .language:       OpenCL C
    .language_version:
      - 2
      - 0
    .max_flat_workgroup_size: 256
    .name:           _ZN7rocprim17ROCPRIM_400000_NS6detail17trampoline_kernelINS0_14default_configENS1_25partition_config_selectorILNS1_17partition_subalgoE1EjNS0_10empty_typeEbEEZZNS1_14partition_implILS5_1ELb0ES3_jN6thrust23THRUST_200600_302600_NS6detail15normal_iteratorINSA_10device_ptrIjEEEEPS6_NSA_18transform_iteratorI7is_evenIjESF_NSA_11use_defaultESK_EENS0_5tupleIJNSA_16discard_iteratorISK_EESO_EEENSM_IJSG_SG_EEES6_PlJS6_EEE10hipError_tPvRmT3_T4_T5_T6_T7_T9_mT8_P12ihipStream_tbDpT10_ENKUlT_T0_E_clISt17integral_constantIbLb0EES1B_EEDaS16_S17_EUlS16_E_NS1_11comp_targetILNS1_3genE4ELNS1_11target_archE910ELNS1_3gpuE8ELNS1_3repE0EEENS1_30default_config_static_selectorELNS0_4arch9wavefront6targetE1EEEvT1_
    .private_segment_fixed_size: 0
    .sgpr_count:     40
    .sgpr_spill_count: 0
    .symbol:         _ZN7rocprim17ROCPRIM_400000_NS6detail17trampoline_kernelINS0_14default_configENS1_25partition_config_selectorILNS1_17partition_subalgoE1EjNS0_10empty_typeEbEEZZNS1_14partition_implILS5_1ELb0ES3_jN6thrust23THRUST_200600_302600_NS6detail15normal_iteratorINSA_10device_ptrIjEEEEPS6_NSA_18transform_iteratorI7is_evenIjESF_NSA_11use_defaultESK_EENS0_5tupleIJNSA_16discard_iteratorISK_EESO_EEENSM_IJSG_SG_EEES6_PlJS6_EEE10hipError_tPvRmT3_T4_T5_T6_T7_T9_mT8_P12ihipStream_tbDpT10_ENKUlT_T0_E_clISt17integral_constantIbLb0EES1B_EEDaS16_S17_EUlS16_E_NS1_11comp_targetILNS1_3genE4ELNS1_11target_archE910ELNS1_3gpuE8ELNS1_3repE0EEENS1_30default_config_static_selectorELNS0_4arch9wavefront6targetE1EEEvT1_.kd
    .uniform_work_group_size: 1
    .uses_dynamic_stack: false
    .vgpr_count:     46
    .vgpr_spill_count: 0
    .wavefront_size: 64
  - .agpr_count:     0
    .args:
      - .offset:         0
        .size:           144
        .value_kind:     by_value
    .group_segment_fixed_size: 0
    .kernarg_segment_align: 8
    .kernarg_segment_size: 144
    .language:       OpenCL C
    .language_version:
      - 2
      - 0
    .max_flat_workgroup_size: 256
    .name:           _ZN7rocprim17ROCPRIM_400000_NS6detail17trampoline_kernelINS0_14default_configENS1_25partition_config_selectorILNS1_17partition_subalgoE1EjNS0_10empty_typeEbEEZZNS1_14partition_implILS5_1ELb0ES3_jN6thrust23THRUST_200600_302600_NS6detail15normal_iteratorINSA_10device_ptrIjEEEEPS6_NSA_18transform_iteratorI7is_evenIjESF_NSA_11use_defaultESK_EENS0_5tupleIJNSA_16discard_iteratorISK_EESO_EEENSM_IJSG_SG_EEES6_PlJS6_EEE10hipError_tPvRmT3_T4_T5_T6_T7_T9_mT8_P12ihipStream_tbDpT10_ENKUlT_T0_E_clISt17integral_constantIbLb0EES1B_EEDaS16_S17_EUlS16_E_NS1_11comp_targetILNS1_3genE3ELNS1_11target_archE908ELNS1_3gpuE7ELNS1_3repE0EEENS1_30default_config_static_selectorELNS0_4arch9wavefront6targetE1EEEvT1_
    .private_segment_fixed_size: 0
    .sgpr_count:     4
    .sgpr_spill_count: 0
    .symbol:         _ZN7rocprim17ROCPRIM_400000_NS6detail17trampoline_kernelINS0_14default_configENS1_25partition_config_selectorILNS1_17partition_subalgoE1EjNS0_10empty_typeEbEEZZNS1_14partition_implILS5_1ELb0ES3_jN6thrust23THRUST_200600_302600_NS6detail15normal_iteratorINSA_10device_ptrIjEEEEPS6_NSA_18transform_iteratorI7is_evenIjESF_NSA_11use_defaultESK_EENS0_5tupleIJNSA_16discard_iteratorISK_EESO_EEENSM_IJSG_SG_EEES6_PlJS6_EEE10hipError_tPvRmT3_T4_T5_T6_T7_T9_mT8_P12ihipStream_tbDpT10_ENKUlT_T0_E_clISt17integral_constantIbLb0EES1B_EEDaS16_S17_EUlS16_E_NS1_11comp_targetILNS1_3genE3ELNS1_11target_archE908ELNS1_3gpuE7ELNS1_3repE0EEENS1_30default_config_static_selectorELNS0_4arch9wavefront6targetE1EEEvT1_.kd
    .uniform_work_group_size: 1
    .uses_dynamic_stack: false
    .vgpr_count:     0
    .vgpr_spill_count: 0
    .wavefront_size: 64
  - .agpr_count:     0
    .args:
      - .offset:         0
        .size:           144
        .value_kind:     by_value
    .group_segment_fixed_size: 0
    .kernarg_segment_align: 8
    .kernarg_segment_size: 144
    .language:       OpenCL C
    .language_version:
      - 2
      - 0
    .max_flat_workgroup_size: 256
    .name:           _ZN7rocprim17ROCPRIM_400000_NS6detail17trampoline_kernelINS0_14default_configENS1_25partition_config_selectorILNS1_17partition_subalgoE1EjNS0_10empty_typeEbEEZZNS1_14partition_implILS5_1ELb0ES3_jN6thrust23THRUST_200600_302600_NS6detail15normal_iteratorINSA_10device_ptrIjEEEEPS6_NSA_18transform_iteratorI7is_evenIjESF_NSA_11use_defaultESK_EENS0_5tupleIJNSA_16discard_iteratorISK_EESO_EEENSM_IJSG_SG_EEES6_PlJS6_EEE10hipError_tPvRmT3_T4_T5_T6_T7_T9_mT8_P12ihipStream_tbDpT10_ENKUlT_T0_E_clISt17integral_constantIbLb0EES1B_EEDaS16_S17_EUlS16_E_NS1_11comp_targetILNS1_3genE2ELNS1_11target_archE906ELNS1_3gpuE6ELNS1_3repE0EEENS1_30default_config_static_selectorELNS0_4arch9wavefront6targetE1EEEvT1_
    .private_segment_fixed_size: 0
    .sgpr_count:     4
    .sgpr_spill_count: 0
    .symbol:         _ZN7rocprim17ROCPRIM_400000_NS6detail17trampoline_kernelINS0_14default_configENS1_25partition_config_selectorILNS1_17partition_subalgoE1EjNS0_10empty_typeEbEEZZNS1_14partition_implILS5_1ELb0ES3_jN6thrust23THRUST_200600_302600_NS6detail15normal_iteratorINSA_10device_ptrIjEEEEPS6_NSA_18transform_iteratorI7is_evenIjESF_NSA_11use_defaultESK_EENS0_5tupleIJNSA_16discard_iteratorISK_EESO_EEENSM_IJSG_SG_EEES6_PlJS6_EEE10hipError_tPvRmT3_T4_T5_T6_T7_T9_mT8_P12ihipStream_tbDpT10_ENKUlT_T0_E_clISt17integral_constantIbLb0EES1B_EEDaS16_S17_EUlS16_E_NS1_11comp_targetILNS1_3genE2ELNS1_11target_archE906ELNS1_3gpuE6ELNS1_3repE0EEENS1_30default_config_static_selectorELNS0_4arch9wavefront6targetE1EEEvT1_.kd
    .uniform_work_group_size: 1
    .uses_dynamic_stack: false
    .vgpr_count:     0
    .vgpr_spill_count: 0
    .wavefront_size: 64
  - .agpr_count:     0
    .args:
      - .offset:         0
        .size:           144
        .value_kind:     by_value
    .group_segment_fixed_size: 0
    .kernarg_segment_align: 8
    .kernarg_segment_size: 144
    .language:       OpenCL C
    .language_version:
      - 2
      - 0
    .max_flat_workgroup_size: 256
    .name:           _ZN7rocprim17ROCPRIM_400000_NS6detail17trampoline_kernelINS0_14default_configENS1_25partition_config_selectorILNS1_17partition_subalgoE1EjNS0_10empty_typeEbEEZZNS1_14partition_implILS5_1ELb0ES3_jN6thrust23THRUST_200600_302600_NS6detail15normal_iteratorINSA_10device_ptrIjEEEEPS6_NSA_18transform_iteratorI7is_evenIjESF_NSA_11use_defaultESK_EENS0_5tupleIJNSA_16discard_iteratorISK_EESO_EEENSM_IJSG_SG_EEES6_PlJS6_EEE10hipError_tPvRmT3_T4_T5_T6_T7_T9_mT8_P12ihipStream_tbDpT10_ENKUlT_T0_E_clISt17integral_constantIbLb0EES1B_EEDaS16_S17_EUlS16_E_NS1_11comp_targetILNS1_3genE10ELNS1_11target_archE1200ELNS1_3gpuE4ELNS1_3repE0EEENS1_30default_config_static_selectorELNS0_4arch9wavefront6targetE1EEEvT1_
    .private_segment_fixed_size: 0
    .sgpr_count:     4
    .sgpr_spill_count: 0
    .symbol:         _ZN7rocprim17ROCPRIM_400000_NS6detail17trampoline_kernelINS0_14default_configENS1_25partition_config_selectorILNS1_17partition_subalgoE1EjNS0_10empty_typeEbEEZZNS1_14partition_implILS5_1ELb0ES3_jN6thrust23THRUST_200600_302600_NS6detail15normal_iteratorINSA_10device_ptrIjEEEEPS6_NSA_18transform_iteratorI7is_evenIjESF_NSA_11use_defaultESK_EENS0_5tupleIJNSA_16discard_iteratorISK_EESO_EEENSM_IJSG_SG_EEES6_PlJS6_EEE10hipError_tPvRmT3_T4_T5_T6_T7_T9_mT8_P12ihipStream_tbDpT10_ENKUlT_T0_E_clISt17integral_constantIbLb0EES1B_EEDaS16_S17_EUlS16_E_NS1_11comp_targetILNS1_3genE10ELNS1_11target_archE1200ELNS1_3gpuE4ELNS1_3repE0EEENS1_30default_config_static_selectorELNS0_4arch9wavefront6targetE1EEEvT1_.kd
    .uniform_work_group_size: 1
    .uses_dynamic_stack: false
    .vgpr_count:     0
    .vgpr_spill_count: 0
    .wavefront_size: 64
  - .agpr_count:     0
    .args:
      - .offset:         0
        .size:           144
        .value_kind:     by_value
    .group_segment_fixed_size: 0
    .kernarg_segment_align: 8
    .kernarg_segment_size: 144
    .language:       OpenCL C
    .language_version:
      - 2
      - 0
    .max_flat_workgroup_size: 128
    .name:           _ZN7rocprim17ROCPRIM_400000_NS6detail17trampoline_kernelINS0_14default_configENS1_25partition_config_selectorILNS1_17partition_subalgoE1EjNS0_10empty_typeEbEEZZNS1_14partition_implILS5_1ELb0ES3_jN6thrust23THRUST_200600_302600_NS6detail15normal_iteratorINSA_10device_ptrIjEEEEPS6_NSA_18transform_iteratorI7is_evenIjESF_NSA_11use_defaultESK_EENS0_5tupleIJNSA_16discard_iteratorISK_EESO_EEENSM_IJSG_SG_EEES6_PlJS6_EEE10hipError_tPvRmT3_T4_T5_T6_T7_T9_mT8_P12ihipStream_tbDpT10_ENKUlT_T0_E_clISt17integral_constantIbLb0EES1B_EEDaS16_S17_EUlS16_E_NS1_11comp_targetILNS1_3genE9ELNS1_11target_archE1100ELNS1_3gpuE3ELNS1_3repE0EEENS1_30default_config_static_selectorELNS0_4arch9wavefront6targetE1EEEvT1_
    .private_segment_fixed_size: 0
    .sgpr_count:     4
    .sgpr_spill_count: 0
    .symbol:         _ZN7rocprim17ROCPRIM_400000_NS6detail17trampoline_kernelINS0_14default_configENS1_25partition_config_selectorILNS1_17partition_subalgoE1EjNS0_10empty_typeEbEEZZNS1_14partition_implILS5_1ELb0ES3_jN6thrust23THRUST_200600_302600_NS6detail15normal_iteratorINSA_10device_ptrIjEEEEPS6_NSA_18transform_iteratorI7is_evenIjESF_NSA_11use_defaultESK_EENS0_5tupleIJNSA_16discard_iteratorISK_EESO_EEENSM_IJSG_SG_EEES6_PlJS6_EEE10hipError_tPvRmT3_T4_T5_T6_T7_T9_mT8_P12ihipStream_tbDpT10_ENKUlT_T0_E_clISt17integral_constantIbLb0EES1B_EEDaS16_S17_EUlS16_E_NS1_11comp_targetILNS1_3genE9ELNS1_11target_archE1100ELNS1_3gpuE3ELNS1_3repE0EEENS1_30default_config_static_selectorELNS0_4arch9wavefront6targetE1EEEvT1_.kd
    .uniform_work_group_size: 1
    .uses_dynamic_stack: false
    .vgpr_count:     0
    .vgpr_spill_count: 0
    .wavefront_size: 64
  - .agpr_count:     0
    .args:
      - .offset:         0
        .size:           144
        .value_kind:     by_value
    .group_segment_fixed_size: 0
    .kernarg_segment_align: 8
    .kernarg_segment_size: 144
    .language:       OpenCL C
    .language_version:
      - 2
      - 0
    .max_flat_workgroup_size: 512
    .name:           _ZN7rocprim17ROCPRIM_400000_NS6detail17trampoline_kernelINS0_14default_configENS1_25partition_config_selectorILNS1_17partition_subalgoE1EjNS0_10empty_typeEbEEZZNS1_14partition_implILS5_1ELb0ES3_jN6thrust23THRUST_200600_302600_NS6detail15normal_iteratorINSA_10device_ptrIjEEEEPS6_NSA_18transform_iteratorI7is_evenIjESF_NSA_11use_defaultESK_EENS0_5tupleIJNSA_16discard_iteratorISK_EESO_EEENSM_IJSG_SG_EEES6_PlJS6_EEE10hipError_tPvRmT3_T4_T5_T6_T7_T9_mT8_P12ihipStream_tbDpT10_ENKUlT_T0_E_clISt17integral_constantIbLb0EES1B_EEDaS16_S17_EUlS16_E_NS1_11comp_targetILNS1_3genE8ELNS1_11target_archE1030ELNS1_3gpuE2ELNS1_3repE0EEENS1_30default_config_static_selectorELNS0_4arch9wavefront6targetE1EEEvT1_
    .private_segment_fixed_size: 0
    .sgpr_count:     4
    .sgpr_spill_count: 0
    .symbol:         _ZN7rocprim17ROCPRIM_400000_NS6detail17trampoline_kernelINS0_14default_configENS1_25partition_config_selectorILNS1_17partition_subalgoE1EjNS0_10empty_typeEbEEZZNS1_14partition_implILS5_1ELb0ES3_jN6thrust23THRUST_200600_302600_NS6detail15normal_iteratorINSA_10device_ptrIjEEEEPS6_NSA_18transform_iteratorI7is_evenIjESF_NSA_11use_defaultESK_EENS0_5tupleIJNSA_16discard_iteratorISK_EESO_EEENSM_IJSG_SG_EEES6_PlJS6_EEE10hipError_tPvRmT3_T4_T5_T6_T7_T9_mT8_P12ihipStream_tbDpT10_ENKUlT_T0_E_clISt17integral_constantIbLb0EES1B_EEDaS16_S17_EUlS16_E_NS1_11comp_targetILNS1_3genE8ELNS1_11target_archE1030ELNS1_3gpuE2ELNS1_3repE0EEENS1_30default_config_static_selectorELNS0_4arch9wavefront6targetE1EEEvT1_.kd
    .uniform_work_group_size: 1
    .uses_dynamic_stack: false
    .vgpr_count:     0
    .vgpr_spill_count: 0
    .wavefront_size: 64
  - .agpr_count:     0
    .args:
      - .offset:         0
        .size:           160
        .value_kind:     by_value
    .group_segment_fixed_size: 0
    .kernarg_segment_align: 8
    .kernarg_segment_size: 160
    .language:       OpenCL C
    .language_version:
      - 2
      - 0
    .max_flat_workgroup_size: 256
    .name:           _ZN7rocprim17ROCPRIM_400000_NS6detail17trampoline_kernelINS0_14default_configENS1_25partition_config_selectorILNS1_17partition_subalgoE1EjNS0_10empty_typeEbEEZZNS1_14partition_implILS5_1ELb0ES3_jN6thrust23THRUST_200600_302600_NS6detail15normal_iteratorINSA_10device_ptrIjEEEEPS6_NSA_18transform_iteratorI7is_evenIjESF_NSA_11use_defaultESK_EENS0_5tupleIJNSA_16discard_iteratorISK_EESO_EEENSM_IJSG_SG_EEES6_PlJS6_EEE10hipError_tPvRmT3_T4_T5_T6_T7_T9_mT8_P12ihipStream_tbDpT10_ENKUlT_T0_E_clISt17integral_constantIbLb1EES1B_EEDaS16_S17_EUlS16_E_NS1_11comp_targetILNS1_3genE0ELNS1_11target_archE4294967295ELNS1_3gpuE0ELNS1_3repE0EEENS1_30default_config_static_selectorELNS0_4arch9wavefront6targetE1EEEvT1_
    .private_segment_fixed_size: 0
    .sgpr_count:     4
    .sgpr_spill_count: 0
    .symbol:         _ZN7rocprim17ROCPRIM_400000_NS6detail17trampoline_kernelINS0_14default_configENS1_25partition_config_selectorILNS1_17partition_subalgoE1EjNS0_10empty_typeEbEEZZNS1_14partition_implILS5_1ELb0ES3_jN6thrust23THRUST_200600_302600_NS6detail15normal_iteratorINSA_10device_ptrIjEEEEPS6_NSA_18transform_iteratorI7is_evenIjESF_NSA_11use_defaultESK_EENS0_5tupleIJNSA_16discard_iteratorISK_EESO_EEENSM_IJSG_SG_EEES6_PlJS6_EEE10hipError_tPvRmT3_T4_T5_T6_T7_T9_mT8_P12ihipStream_tbDpT10_ENKUlT_T0_E_clISt17integral_constantIbLb1EES1B_EEDaS16_S17_EUlS16_E_NS1_11comp_targetILNS1_3genE0ELNS1_11target_archE4294967295ELNS1_3gpuE0ELNS1_3repE0EEENS1_30default_config_static_selectorELNS0_4arch9wavefront6targetE1EEEvT1_.kd
    .uniform_work_group_size: 1
    .uses_dynamic_stack: false
    .vgpr_count:     0
    .vgpr_spill_count: 0
    .wavefront_size: 64
  - .agpr_count:     0
    .args:
      - .offset:         0
        .size:           160
        .value_kind:     by_value
    .group_segment_fixed_size: 0
    .kernarg_segment_align: 8
    .kernarg_segment_size: 160
    .language:       OpenCL C
    .language_version:
      - 2
      - 0
    .max_flat_workgroup_size: 512
    .name:           _ZN7rocprim17ROCPRIM_400000_NS6detail17trampoline_kernelINS0_14default_configENS1_25partition_config_selectorILNS1_17partition_subalgoE1EjNS0_10empty_typeEbEEZZNS1_14partition_implILS5_1ELb0ES3_jN6thrust23THRUST_200600_302600_NS6detail15normal_iteratorINSA_10device_ptrIjEEEEPS6_NSA_18transform_iteratorI7is_evenIjESF_NSA_11use_defaultESK_EENS0_5tupleIJNSA_16discard_iteratorISK_EESO_EEENSM_IJSG_SG_EEES6_PlJS6_EEE10hipError_tPvRmT3_T4_T5_T6_T7_T9_mT8_P12ihipStream_tbDpT10_ENKUlT_T0_E_clISt17integral_constantIbLb1EES1B_EEDaS16_S17_EUlS16_E_NS1_11comp_targetILNS1_3genE5ELNS1_11target_archE942ELNS1_3gpuE9ELNS1_3repE0EEENS1_30default_config_static_selectorELNS0_4arch9wavefront6targetE1EEEvT1_
    .private_segment_fixed_size: 0
    .sgpr_count:     4
    .sgpr_spill_count: 0
    .symbol:         _ZN7rocprim17ROCPRIM_400000_NS6detail17trampoline_kernelINS0_14default_configENS1_25partition_config_selectorILNS1_17partition_subalgoE1EjNS0_10empty_typeEbEEZZNS1_14partition_implILS5_1ELb0ES3_jN6thrust23THRUST_200600_302600_NS6detail15normal_iteratorINSA_10device_ptrIjEEEEPS6_NSA_18transform_iteratorI7is_evenIjESF_NSA_11use_defaultESK_EENS0_5tupleIJNSA_16discard_iteratorISK_EESO_EEENSM_IJSG_SG_EEES6_PlJS6_EEE10hipError_tPvRmT3_T4_T5_T6_T7_T9_mT8_P12ihipStream_tbDpT10_ENKUlT_T0_E_clISt17integral_constantIbLb1EES1B_EEDaS16_S17_EUlS16_E_NS1_11comp_targetILNS1_3genE5ELNS1_11target_archE942ELNS1_3gpuE9ELNS1_3repE0EEENS1_30default_config_static_selectorELNS0_4arch9wavefront6targetE1EEEvT1_.kd
    .uniform_work_group_size: 1
    .uses_dynamic_stack: false
    .vgpr_count:     0
    .vgpr_spill_count: 0
    .wavefront_size: 64
  - .agpr_count:     0
    .args:
      - .offset:         0
        .size:           160
        .value_kind:     by_value
    .group_segment_fixed_size: 7176
    .kernarg_segment_align: 8
    .kernarg_segment_size: 160
    .language:       OpenCL C
    .language_version:
      - 2
      - 0
    .max_flat_workgroup_size: 256
    .name:           _ZN7rocprim17ROCPRIM_400000_NS6detail17trampoline_kernelINS0_14default_configENS1_25partition_config_selectorILNS1_17partition_subalgoE1EjNS0_10empty_typeEbEEZZNS1_14partition_implILS5_1ELb0ES3_jN6thrust23THRUST_200600_302600_NS6detail15normal_iteratorINSA_10device_ptrIjEEEEPS6_NSA_18transform_iteratorI7is_evenIjESF_NSA_11use_defaultESK_EENS0_5tupleIJNSA_16discard_iteratorISK_EESO_EEENSM_IJSG_SG_EEES6_PlJS6_EEE10hipError_tPvRmT3_T4_T5_T6_T7_T9_mT8_P12ihipStream_tbDpT10_ENKUlT_T0_E_clISt17integral_constantIbLb1EES1B_EEDaS16_S17_EUlS16_E_NS1_11comp_targetILNS1_3genE4ELNS1_11target_archE910ELNS1_3gpuE8ELNS1_3repE0EEENS1_30default_config_static_selectorELNS0_4arch9wavefront6targetE1EEEvT1_
    .private_segment_fixed_size: 0
    .sgpr_count:     40
    .sgpr_spill_count: 0
    .symbol:         _ZN7rocprim17ROCPRIM_400000_NS6detail17trampoline_kernelINS0_14default_configENS1_25partition_config_selectorILNS1_17partition_subalgoE1EjNS0_10empty_typeEbEEZZNS1_14partition_implILS5_1ELb0ES3_jN6thrust23THRUST_200600_302600_NS6detail15normal_iteratorINSA_10device_ptrIjEEEEPS6_NSA_18transform_iteratorI7is_evenIjESF_NSA_11use_defaultESK_EENS0_5tupleIJNSA_16discard_iteratorISK_EESO_EEENSM_IJSG_SG_EEES6_PlJS6_EEE10hipError_tPvRmT3_T4_T5_T6_T7_T9_mT8_P12ihipStream_tbDpT10_ENKUlT_T0_E_clISt17integral_constantIbLb1EES1B_EEDaS16_S17_EUlS16_E_NS1_11comp_targetILNS1_3genE4ELNS1_11target_archE910ELNS1_3gpuE8ELNS1_3repE0EEENS1_30default_config_static_selectorELNS0_4arch9wavefront6targetE1EEEvT1_.kd
    .uniform_work_group_size: 1
    .uses_dynamic_stack: false
    .vgpr_count:     48
    .vgpr_spill_count: 0
    .wavefront_size: 64
  - .agpr_count:     0
    .args:
      - .offset:         0
        .size:           160
        .value_kind:     by_value
    .group_segment_fixed_size: 0
    .kernarg_segment_align: 8
    .kernarg_segment_size: 160
    .language:       OpenCL C
    .language_version:
      - 2
      - 0
    .max_flat_workgroup_size: 256
    .name:           _ZN7rocprim17ROCPRIM_400000_NS6detail17trampoline_kernelINS0_14default_configENS1_25partition_config_selectorILNS1_17partition_subalgoE1EjNS0_10empty_typeEbEEZZNS1_14partition_implILS5_1ELb0ES3_jN6thrust23THRUST_200600_302600_NS6detail15normal_iteratorINSA_10device_ptrIjEEEEPS6_NSA_18transform_iteratorI7is_evenIjESF_NSA_11use_defaultESK_EENS0_5tupleIJNSA_16discard_iteratorISK_EESO_EEENSM_IJSG_SG_EEES6_PlJS6_EEE10hipError_tPvRmT3_T4_T5_T6_T7_T9_mT8_P12ihipStream_tbDpT10_ENKUlT_T0_E_clISt17integral_constantIbLb1EES1B_EEDaS16_S17_EUlS16_E_NS1_11comp_targetILNS1_3genE3ELNS1_11target_archE908ELNS1_3gpuE7ELNS1_3repE0EEENS1_30default_config_static_selectorELNS0_4arch9wavefront6targetE1EEEvT1_
    .private_segment_fixed_size: 0
    .sgpr_count:     4
    .sgpr_spill_count: 0
    .symbol:         _ZN7rocprim17ROCPRIM_400000_NS6detail17trampoline_kernelINS0_14default_configENS1_25partition_config_selectorILNS1_17partition_subalgoE1EjNS0_10empty_typeEbEEZZNS1_14partition_implILS5_1ELb0ES3_jN6thrust23THRUST_200600_302600_NS6detail15normal_iteratorINSA_10device_ptrIjEEEEPS6_NSA_18transform_iteratorI7is_evenIjESF_NSA_11use_defaultESK_EENS0_5tupleIJNSA_16discard_iteratorISK_EESO_EEENSM_IJSG_SG_EEES6_PlJS6_EEE10hipError_tPvRmT3_T4_T5_T6_T7_T9_mT8_P12ihipStream_tbDpT10_ENKUlT_T0_E_clISt17integral_constantIbLb1EES1B_EEDaS16_S17_EUlS16_E_NS1_11comp_targetILNS1_3genE3ELNS1_11target_archE908ELNS1_3gpuE7ELNS1_3repE0EEENS1_30default_config_static_selectorELNS0_4arch9wavefront6targetE1EEEvT1_.kd
    .uniform_work_group_size: 1
    .uses_dynamic_stack: false
    .vgpr_count:     0
    .vgpr_spill_count: 0
    .wavefront_size: 64
  - .agpr_count:     0
    .args:
      - .offset:         0
        .size:           160
        .value_kind:     by_value
    .group_segment_fixed_size: 0
    .kernarg_segment_align: 8
    .kernarg_segment_size: 160
    .language:       OpenCL C
    .language_version:
      - 2
      - 0
    .max_flat_workgroup_size: 256
    .name:           _ZN7rocprim17ROCPRIM_400000_NS6detail17trampoline_kernelINS0_14default_configENS1_25partition_config_selectorILNS1_17partition_subalgoE1EjNS0_10empty_typeEbEEZZNS1_14partition_implILS5_1ELb0ES3_jN6thrust23THRUST_200600_302600_NS6detail15normal_iteratorINSA_10device_ptrIjEEEEPS6_NSA_18transform_iteratorI7is_evenIjESF_NSA_11use_defaultESK_EENS0_5tupleIJNSA_16discard_iteratorISK_EESO_EEENSM_IJSG_SG_EEES6_PlJS6_EEE10hipError_tPvRmT3_T4_T5_T6_T7_T9_mT8_P12ihipStream_tbDpT10_ENKUlT_T0_E_clISt17integral_constantIbLb1EES1B_EEDaS16_S17_EUlS16_E_NS1_11comp_targetILNS1_3genE2ELNS1_11target_archE906ELNS1_3gpuE6ELNS1_3repE0EEENS1_30default_config_static_selectorELNS0_4arch9wavefront6targetE1EEEvT1_
    .private_segment_fixed_size: 0
    .sgpr_count:     4
    .sgpr_spill_count: 0
    .symbol:         _ZN7rocprim17ROCPRIM_400000_NS6detail17trampoline_kernelINS0_14default_configENS1_25partition_config_selectorILNS1_17partition_subalgoE1EjNS0_10empty_typeEbEEZZNS1_14partition_implILS5_1ELb0ES3_jN6thrust23THRUST_200600_302600_NS6detail15normal_iteratorINSA_10device_ptrIjEEEEPS6_NSA_18transform_iteratorI7is_evenIjESF_NSA_11use_defaultESK_EENS0_5tupleIJNSA_16discard_iteratorISK_EESO_EEENSM_IJSG_SG_EEES6_PlJS6_EEE10hipError_tPvRmT3_T4_T5_T6_T7_T9_mT8_P12ihipStream_tbDpT10_ENKUlT_T0_E_clISt17integral_constantIbLb1EES1B_EEDaS16_S17_EUlS16_E_NS1_11comp_targetILNS1_3genE2ELNS1_11target_archE906ELNS1_3gpuE6ELNS1_3repE0EEENS1_30default_config_static_selectorELNS0_4arch9wavefront6targetE1EEEvT1_.kd
    .uniform_work_group_size: 1
    .uses_dynamic_stack: false
    .vgpr_count:     0
    .vgpr_spill_count: 0
    .wavefront_size: 64
  - .agpr_count:     0
    .args:
      - .offset:         0
        .size:           160
        .value_kind:     by_value
    .group_segment_fixed_size: 0
    .kernarg_segment_align: 8
    .kernarg_segment_size: 160
    .language:       OpenCL C
    .language_version:
      - 2
      - 0
    .max_flat_workgroup_size: 256
    .name:           _ZN7rocprim17ROCPRIM_400000_NS6detail17trampoline_kernelINS0_14default_configENS1_25partition_config_selectorILNS1_17partition_subalgoE1EjNS0_10empty_typeEbEEZZNS1_14partition_implILS5_1ELb0ES3_jN6thrust23THRUST_200600_302600_NS6detail15normal_iteratorINSA_10device_ptrIjEEEEPS6_NSA_18transform_iteratorI7is_evenIjESF_NSA_11use_defaultESK_EENS0_5tupleIJNSA_16discard_iteratorISK_EESO_EEENSM_IJSG_SG_EEES6_PlJS6_EEE10hipError_tPvRmT3_T4_T5_T6_T7_T9_mT8_P12ihipStream_tbDpT10_ENKUlT_T0_E_clISt17integral_constantIbLb1EES1B_EEDaS16_S17_EUlS16_E_NS1_11comp_targetILNS1_3genE10ELNS1_11target_archE1200ELNS1_3gpuE4ELNS1_3repE0EEENS1_30default_config_static_selectorELNS0_4arch9wavefront6targetE1EEEvT1_
    .private_segment_fixed_size: 0
    .sgpr_count:     4
    .sgpr_spill_count: 0
    .symbol:         _ZN7rocprim17ROCPRIM_400000_NS6detail17trampoline_kernelINS0_14default_configENS1_25partition_config_selectorILNS1_17partition_subalgoE1EjNS0_10empty_typeEbEEZZNS1_14partition_implILS5_1ELb0ES3_jN6thrust23THRUST_200600_302600_NS6detail15normal_iteratorINSA_10device_ptrIjEEEEPS6_NSA_18transform_iteratorI7is_evenIjESF_NSA_11use_defaultESK_EENS0_5tupleIJNSA_16discard_iteratorISK_EESO_EEENSM_IJSG_SG_EEES6_PlJS6_EEE10hipError_tPvRmT3_T4_T5_T6_T7_T9_mT8_P12ihipStream_tbDpT10_ENKUlT_T0_E_clISt17integral_constantIbLb1EES1B_EEDaS16_S17_EUlS16_E_NS1_11comp_targetILNS1_3genE10ELNS1_11target_archE1200ELNS1_3gpuE4ELNS1_3repE0EEENS1_30default_config_static_selectorELNS0_4arch9wavefront6targetE1EEEvT1_.kd
    .uniform_work_group_size: 1
    .uses_dynamic_stack: false
    .vgpr_count:     0
    .vgpr_spill_count: 0
    .wavefront_size: 64
  - .agpr_count:     0
    .args:
      - .offset:         0
        .size:           160
        .value_kind:     by_value
    .group_segment_fixed_size: 0
    .kernarg_segment_align: 8
    .kernarg_segment_size: 160
    .language:       OpenCL C
    .language_version:
      - 2
      - 0
    .max_flat_workgroup_size: 128
    .name:           _ZN7rocprim17ROCPRIM_400000_NS6detail17trampoline_kernelINS0_14default_configENS1_25partition_config_selectorILNS1_17partition_subalgoE1EjNS0_10empty_typeEbEEZZNS1_14partition_implILS5_1ELb0ES3_jN6thrust23THRUST_200600_302600_NS6detail15normal_iteratorINSA_10device_ptrIjEEEEPS6_NSA_18transform_iteratorI7is_evenIjESF_NSA_11use_defaultESK_EENS0_5tupleIJNSA_16discard_iteratorISK_EESO_EEENSM_IJSG_SG_EEES6_PlJS6_EEE10hipError_tPvRmT3_T4_T5_T6_T7_T9_mT8_P12ihipStream_tbDpT10_ENKUlT_T0_E_clISt17integral_constantIbLb1EES1B_EEDaS16_S17_EUlS16_E_NS1_11comp_targetILNS1_3genE9ELNS1_11target_archE1100ELNS1_3gpuE3ELNS1_3repE0EEENS1_30default_config_static_selectorELNS0_4arch9wavefront6targetE1EEEvT1_
    .private_segment_fixed_size: 0
    .sgpr_count:     4
    .sgpr_spill_count: 0
    .symbol:         _ZN7rocprim17ROCPRIM_400000_NS6detail17trampoline_kernelINS0_14default_configENS1_25partition_config_selectorILNS1_17partition_subalgoE1EjNS0_10empty_typeEbEEZZNS1_14partition_implILS5_1ELb0ES3_jN6thrust23THRUST_200600_302600_NS6detail15normal_iteratorINSA_10device_ptrIjEEEEPS6_NSA_18transform_iteratorI7is_evenIjESF_NSA_11use_defaultESK_EENS0_5tupleIJNSA_16discard_iteratorISK_EESO_EEENSM_IJSG_SG_EEES6_PlJS6_EEE10hipError_tPvRmT3_T4_T5_T6_T7_T9_mT8_P12ihipStream_tbDpT10_ENKUlT_T0_E_clISt17integral_constantIbLb1EES1B_EEDaS16_S17_EUlS16_E_NS1_11comp_targetILNS1_3genE9ELNS1_11target_archE1100ELNS1_3gpuE3ELNS1_3repE0EEENS1_30default_config_static_selectorELNS0_4arch9wavefront6targetE1EEEvT1_.kd
    .uniform_work_group_size: 1
    .uses_dynamic_stack: false
    .vgpr_count:     0
    .vgpr_spill_count: 0
    .wavefront_size: 64
  - .agpr_count:     0
    .args:
      - .offset:         0
        .size:           160
        .value_kind:     by_value
    .group_segment_fixed_size: 0
    .kernarg_segment_align: 8
    .kernarg_segment_size: 160
    .language:       OpenCL C
    .language_version:
      - 2
      - 0
    .max_flat_workgroup_size: 512
    .name:           _ZN7rocprim17ROCPRIM_400000_NS6detail17trampoline_kernelINS0_14default_configENS1_25partition_config_selectorILNS1_17partition_subalgoE1EjNS0_10empty_typeEbEEZZNS1_14partition_implILS5_1ELb0ES3_jN6thrust23THRUST_200600_302600_NS6detail15normal_iteratorINSA_10device_ptrIjEEEEPS6_NSA_18transform_iteratorI7is_evenIjESF_NSA_11use_defaultESK_EENS0_5tupleIJNSA_16discard_iteratorISK_EESO_EEENSM_IJSG_SG_EEES6_PlJS6_EEE10hipError_tPvRmT3_T4_T5_T6_T7_T9_mT8_P12ihipStream_tbDpT10_ENKUlT_T0_E_clISt17integral_constantIbLb1EES1B_EEDaS16_S17_EUlS16_E_NS1_11comp_targetILNS1_3genE8ELNS1_11target_archE1030ELNS1_3gpuE2ELNS1_3repE0EEENS1_30default_config_static_selectorELNS0_4arch9wavefront6targetE1EEEvT1_
    .private_segment_fixed_size: 0
    .sgpr_count:     4
    .sgpr_spill_count: 0
    .symbol:         _ZN7rocprim17ROCPRIM_400000_NS6detail17trampoline_kernelINS0_14default_configENS1_25partition_config_selectorILNS1_17partition_subalgoE1EjNS0_10empty_typeEbEEZZNS1_14partition_implILS5_1ELb0ES3_jN6thrust23THRUST_200600_302600_NS6detail15normal_iteratorINSA_10device_ptrIjEEEEPS6_NSA_18transform_iteratorI7is_evenIjESF_NSA_11use_defaultESK_EENS0_5tupleIJNSA_16discard_iteratorISK_EESO_EEENSM_IJSG_SG_EEES6_PlJS6_EEE10hipError_tPvRmT3_T4_T5_T6_T7_T9_mT8_P12ihipStream_tbDpT10_ENKUlT_T0_E_clISt17integral_constantIbLb1EES1B_EEDaS16_S17_EUlS16_E_NS1_11comp_targetILNS1_3genE8ELNS1_11target_archE1030ELNS1_3gpuE2ELNS1_3repE0EEENS1_30default_config_static_selectorELNS0_4arch9wavefront6targetE1EEEvT1_.kd
    .uniform_work_group_size: 1
    .uses_dynamic_stack: false
    .vgpr_count:     0
    .vgpr_spill_count: 0
    .wavefront_size: 64
  - .agpr_count:     0
    .args:
      - .offset:         0
        .size:           144
        .value_kind:     by_value
    .group_segment_fixed_size: 0
    .kernarg_segment_align: 8
    .kernarg_segment_size: 144
    .language:       OpenCL C
    .language_version:
      - 2
      - 0
    .max_flat_workgroup_size: 256
    .name:           _ZN7rocprim17ROCPRIM_400000_NS6detail17trampoline_kernelINS0_14default_configENS1_25partition_config_selectorILNS1_17partition_subalgoE1EjNS0_10empty_typeEbEEZZNS1_14partition_implILS5_1ELb0ES3_jN6thrust23THRUST_200600_302600_NS6detail15normal_iteratorINSA_10device_ptrIjEEEEPS6_NSA_18transform_iteratorI7is_evenIjESF_NSA_11use_defaultESK_EENS0_5tupleIJNSA_16discard_iteratorISK_EESO_EEENSM_IJSG_SG_EEES6_PlJS6_EEE10hipError_tPvRmT3_T4_T5_T6_T7_T9_mT8_P12ihipStream_tbDpT10_ENKUlT_T0_E_clISt17integral_constantIbLb1EES1A_IbLb0EEEEDaS16_S17_EUlS16_E_NS1_11comp_targetILNS1_3genE0ELNS1_11target_archE4294967295ELNS1_3gpuE0ELNS1_3repE0EEENS1_30default_config_static_selectorELNS0_4arch9wavefront6targetE1EEEvT1_
    .private_segment_fixed_size: 0
    .sgpr_count:     4
    .sgpr_spill_count: 0
    .symbol:         _ZN7rocprim17ROCPRIM_400000_NS6detail17trampoline_kernelINS0_14default_configENS1_25partition_config_selectorILNS1_17partition_subalgoE1EjNS0_10empty_typeEbEEZZNS1_14partition_implILS5_1ELb0ES3_jN6thrust23THRUST_200600_302600_NS6detail15normal_iteratorINSA_10device_ptrIjEEEEPS6_NSA_18transform_iteratorI7is_evenIjESF_NSA_11use_defaultESK_EENS0_5tupleIJNSA_16discard_iteratorISK_EESO_EEENSM_IJSG_SG_EEES6_PlJS6_EEE10hipError_tPvRmT3_T4_T5_T6_T7_T9_mT8_P12ihipStream_tbDpT10_ENKUlT_T0_E_clISt17integral_constantIbLb1EES1A_IbLb0EEEEDaS16_S17_EUlS16_E_NS1_11comp_targetILNS1_3genE0ELNS1_11target_archE4294967295ELNS1_3gpuE0ELNS1_3repE0EEENS1_30default_config_static_selectorELNS0_4arch9wavefront6targetE1EEEvT1_.kd
    .uniform_work_group_size: 1
    .uses_dynamic_stack: false
    .vgpr_count:     0
    .vgpr_spill_count: 0
    .wavefront_size: 64
  - .agpr_count:     0
    .args:
      - .offset:         0
        .size:           144
        .value_kind:     by_value
    .group_segment_fixed_size: 0
    .kernarg_segment_align: 8
    .kernarg_segment_size: 144
    .language:       OpenCL C
    .language_version:
      - 2
      - 0
    .max_flat_workgroup_size: 512
    .name:           _ZN7rocprim17ROCPRIM_400000_NS6detail17trampoline_kernelINS0_14default_configENS1_25partition_config_selectorILNS1_17partition_subalgoE1EjNS0_10empty_typeEbEEZZNS1_14partition_implILS5_1ELb0ES3_jN6thrust23THRUST_200600_302600_NS6detail15normal_iteratorINSA_10device_ptrIjEEEEPS6_NSA_18transform_iteratorI7is_evenIjESF_NSA_11use_defaultESK_EENS0_5tupleIJNSA_16discard_iteratorISK_EESO_EEENSM_IJSG_SG_EEES6_PlJS6_EEE10hipError_tPvRmT3_T4_T5_T6_T7_T9_mT8_P12ihipStream_tbDpT10_ENKUlT_T0_E_clISt17integral_constantIbLb1EES1A_IbLb0EEEEDaS16_S17_EUlS16_E_NS1_11comp_targetILNS1_3genE5ELNS1_11target_archE942ELNS1_3gpuE9ELNS1_3repE0EEENS1_30default_config_static_selectorELNS0_4arch9wavefront6targetE1EEEvT1_
    .private_segment_fixed_size: 0
    .sgpr_count:     4
    .sgpr_spill_count: 0
    .symbol:         _ZN7rocprim17ROCPRIM_400000_NS6detail17trampoline_kernelINS0_14default_configENS1_25partition_config_selectorILNS1_17partition_subalgoE1EjNS0_10empty_typeEbEEZZNS1_14partition_implILS5_1ELb0ES3_jN6thrust23THRUST_200600_302600_NS6detail15normal_iteratorINSA_10device_ptrIjEEEEPS6_NSA_18transform_iteratorI7is_evenIjESF_NSA_11use_defaultESK_EENS0_5tupleIJNSA_16discard_iteratorISK_EESO_EEENSM_IJSG_SG_EEES6_PlJS6_EEE10hipError_tPvRmT3_T4_T5_T6_T7_T9_mT8_P12ihipStream_tbDpT10_ENKUlT_T0_E_clISt17integral_constantIbLb1EES1A_IbLb0EEEEDaS16_S17_EUlS16_E_NS1_11comp_targetILNS1_3genE5ELNS1_11target_archE942ELNS1_3gpuE9ELNS1_3repE0EEENS1_30default_config_static_selectorELNS0_4arch9wavefront6targetE1EEEvT1_.kd
    .uniform_work_group_size: 1
    .uses_dynamic_stack: false
    .vgpr_count:     0
    .vgpr_spill_count: 0
    .wavefront_size: 64
  - .agpr_count:     0
    .args:
      - .offset:         0
        .size:           144
        .value_kind:     by_value
    .group_segment_fixed_size: 7176
    .kernarg_segment_align: 8
    .kernarg_segment_size: 144
    .language:       OpenCL C
    .language_version:
      - 2
      - 0
    .max_flat_workgroup_size: 256
    .name:           _ZN7rocprim17ROCPRIM_400000_NS6detail17trampoline_kernelINS0_14default_configENS1_25partition_config_selectorILNS1_17partition_subalgoE1EjNS0_10empty_typeEbEEZZNS1_14partition_implILS5_1ELb0ES3_jN6thrust23THRUST_200600_302600_NS6detail15normal_iteratorINSA_10device_ptrIjEEEEPS6_NSA_18transform_iteratorI7is_evenIjESF_NSA_11use_defaultESK_EENS0_5tupleIJNSA_16discard_iteratorISK_EESO_EEENSM_IJSG_SG_EEES6_PlJS6_EEE10hipError_tPvRmT3_T4_T5_T6_T7_T9_mT8_P12ihipStream_tbDpT10_ENKUlT_T0_E_clISt17integral_constantIbLb1EES1A_IbLb0EEEEDaS16_S17_EUlS16_E_NS1_11comp_targetILNS1_3genE4ELNS1_11target_archE910ELNS1_3gpuE8ELNS1_3repE0EEENS1_30default_config_static_selectorELNS0_4arch9wavefront6targetE1EEEvT1_
    .private_segment_fixed_size: 0
    .sgpr_count:     40
    .sgpr_spill_count: 0
    .symbol:         _ZN7rocprim17ROCPRIM_400000_NS6detail17trampoline_kernelINS0_14default_configENS1_25partition_config_selectorILNS1_17partition_subalgoE1EjNS0_10empty_typeEbEEZZNS1_14partition_implILS5_1ELb0ES3_jN6thrust23THRUST_200600_302600_NS6detail15normal_iteratorINSA_10device_ptrIjEEEEPS6_NSA_18transform_iteratorI7is_evenIjESF_NSA_11use_defaultESK_EENS0_5tupleIJNSA_16discard_iteratorISK_EESO_EEENSM_IJSG_SG_EEES6_PlJS6_EEE10hipError_tPvRmT3_T4_T5_T6_T7_T9_mT8_P12ihipStream_tbDpT10_ENKUlT_T0_E_clISt17integral_constantIbLb1EES1A_IbLb0EEEEDaS16_S17_EUlS16_E_NS1_11comp_targetILNS1_3genE4ELNS1_11target_archE910ELNS1_3gpuE8ELNS1_3repE0EEENS1_30default_config_static_selectorELNS0_4arch9wavefront6targetE1EEEvT1_.kd
    .uniform_work_group_size: 1
    .uses_dynamic_stack: false
    .vgpr_count:     46
    .vgpr_spill_count: 0
    .wavefront_size: 64
  - .agpr_count:     0
    .args:
      - .offset:         0
        .size:           144
        .value_kind:     by_value
    .group_segment_fixed_size: 0
    .kernarg_segment_align: 8
    .kernarg_segment_size: 144
    .language:       OpenCL C
    .language_version:
      - 2
      - 0
    .max_flat_workgroup_size: 256
    .name:           _ZN7rocprim17ROCPRIM_400000_NS6detail17trampoline_kernelINS0_14default_configENS1_25partition_config_selectorILNS1_17partition_subalgoE1EjNS0_10empty_typeEbEEZZNS1_14partition_implILS5_1ELb0ES3_jN6thrust23THRUST_200600_302600_NS6detail15normal_iteratorINSA_10device_ptrIjEEEEPS6_NSA_18transform_iteratorI7is_evenIjESF_NSA_11use_defaultESK_EENS0_5tupleIJNSA_16discard_iteratorISK_EESO_EEENSM_IJSG_SG_EEES6_PlJS6_EEE10hipError_tPvRmT3_T4_T5_T6_T7_T9_mT8_P12ihipStream_tbDpT10_ENKUlT_T0_E_clISt17integral_constantIbLb1EES1A_IbLb0EEEEDaS16_S17_EUlS16_E_NS1_11comp_targetILNS1_3genE3ELNS1_11target_archE908ELNS1_3gpuE7ELNS1_3repE0EEENS1_30default_config_static_selectorELNS0_4arch9wavefront6targetE1EEEvT1_
    .private_segment_fixed_size: 0
    .sgpr_count:     4
    .sgpr_spill_count: 0
    .symbol:         _ZN7rocprim17ROCPRIM_400000_NS6detail17trampoline_kernelINS0_14default_configENS1_25partition_config_selectorILNS1_17partition_subalgoE1EjNS0_10empty_typeEbEEZZNS1_14partition_implILS5_1ELb0ES3_jN6thrust23THRUST_200600_302600_NS6detail15normal_iteratorINSA_10device_ptrIjEEEEPS6_NSA_18transform_iteratorI7is_evenIjESF_NSA_11use_defaultESK_EENS0_5tupleIJNSA_16discard_iteratorISK_EESO_EEENSM_IJSG_SG_EEES6_PlJS6_EEE10hipError_tPvRmT3_T4_T5_T6_T7_T9_mT8_P12ihipStream_tbDpT10_ENKUlT_T0_E_clISt17integral_constantIbLb1EES1A_IbLb0EEEEDaS16_S17_EUlS16_E_NS1_11comp_targetILNS1_3genE3ELNS1_11target_archE908ELNS1_3gpuE7ELNS1_3repE0EEENS1_30default_config_static_selectorELNS0_4arch9wavefront6targetE1EEEvT1_.kd
    .uniform_work_group_size: 1
    .uses_dynamic_stack: false
    .vgpr_count:     0
    .vgpr_spill_count: 0
    .wavefront_size: 64
  - .agpr_count:     0
    .args:
      - .offset:         0
        .size:           144
        .value_kind:     by_value
    .group_segment_fixed_size: 0
    .kernarg_segment_align: 8
    .kernarg_segment_size: 144
    .language:       OpenCL C
    .language_version:
      - 2
      - 0
    .max_flat_workgroup_size: 256
    .name:           _ZN7rocprim17ROCPRIM_400000_NS6detail17trampoline_kernelINS0_14default_configENS1_25partition_config_selectorILNS1_17partition_subalgoE1EjNS0_10empty_typeEbEEZZNS1_14partition_implILS5_1ELb0ES3_jN6thrust23THRUST_200600_302600_NS6detail15normal_iteratorINSA_10device_ptrIjEEEEPS6_NSA_18transform_iteratorI7is_evenIjESF_NSA_11use_defaultESK_EENS0_5tupleIJNSA_16discard_iteratorISK_EESO_EEENSM_IJSG_SG_EEES6_PlJS6_EEE10hipError_tPvRmT3_T4_T5_T6_T7_T9_mT8_P12ihipStream_tbDpT10_ENKUlT_T0_E_clISt17integral_constantIbLb1EES1A_IbLb0EEEEDaS16_S17_EUlS16_E_NS1_11comp_targetILNS1_3genE2ELNS1_11target_archE906ELNS1_3gpuE6ELNS1_3repE0EEENS1_30default_config_static_selectorELNS0_4arch9wavefront6targetE1EEEvT1_
    .private_segment_fixed_size: 0
    .sgpr_count:     4
    .sgpr_spill_count: 0
    .symbol:         _ZN7rocprim17ROCPRIM_400000_NS6detail17trampoline_kernelINS0_14default_configENS1_25partition_config_selectorILNS1_17partition_subalgoE1EjNS0_10empty_typeEbEEZZNS1_14partition_implILS5_1ELb0ES3_jN6thrust23THRUST_200600_302600_NS6detail15normal_iteratorINSA_10device_ptrIjEEEEPS6_NSA_18transform_iteratorI7is_evenIjESF_NSA_11use_defaultESK_EENS0_5tupleIJNSA_16discard_iteratorISK_EESO_EEENSM_IJSG_SG_EEES6_PlJS6_EEE10hipError_tPvRmT3_T4_T5_T6_T7_T9_mT8_P12ihipStream_tbDpT10_ENKUlT_T0_E_clISt17integral_constantIbLb1EES1A_IbLb0EEEEDaS16_S17_EUlS16_E_NS1_11comp_targetILNS1_3genE2ELNS1_11target_archE906ELNS1_3gpuE6ELNS1_3repE0EEENS1_30default_config_static_selectorELNS0_4arch9wavefront6targetE1EEEvT1_.kd
    .uniform_work_group_size: 1
    .uses_dynamic_stack: false
    .vgpr_count:     0
    .vgpr_spill_count: 0
    .wavefront_size: 64
  - .agpr_count:     0
    .args:
      - .offset:         0
        .size:           144
        .value_kind:     by_value
    .group_segment_fixed_size: 0
    .kernarg_segment_align: 8
    .kernarg_segment_size: 144
    .language:       OpenCL C
    .language_version:
      - 2
      - 0
    .max_flat_workgroup_size: 256
    .name:           _ZN7rocprim17ROCPRIM_400000_NS6detail17trampoline_kernelINS0_14default_configENS1_25partition_config_selectorILNS1_17partition_subalgoE1EjNS0_10empty_typeEbEEZZNS1_14partition_implILS5_1ELb0ES3_jN6thrust23THRUST_200600_302600_NS6detail15normal_iteratorINSA_10device_ptrIjEEEEPS6_NSA_18transform_iteratorI7is_evenIjESF_NSA_11use_defaultESK_EENS0_5tupleIJNSA_16discard_iteratorISK_EESO_EEENSM_IJSG_SG_EEES6_PlJS6_EEE10hipError_tPvRmT3_T4_T5_T6_T7_T9_mT8_P12ihipStream_tbDpT10_ENKUlT_T0_E_clISt17integral_constantIbLb1EES1A_IbLb0EEEEDaS16_S17_EUlS16_E_NS1_11comp_targetILNS1_3genE10ELNS1_11target_archE1200ELNS1_3gpuE4ELNS1_3repE0EEENS1_30default_config_static_selectorELNS0_4arch9wavefront6targetE1EEEvT1_
    .private_segment_fixed_size: 0
    .sgpr_count:     4
    .sgpr_spill_count: 0
    .symbol:         _ZN7rocprim17ROCPRIM_400000_NS6detail17trampoline_kernelINS0_14default_configENS1_25partition_config_selectorILNS1_17partition_subalgoE1EjNS0_10empty_typeEbEEZZNS1_14partition_implILS5_1ELb0ES3_jN6thrust23THRUST_200600_302600_NS6detail15normal_iteratorINSA_10device_ptrIjEEEEPS6_NSA_18transform_iteratorI7is_evenIjESF_NSA_11use_defaultESK_EENS0_5tupleIJNSA_16discard_iteratorISK_EESO_EEENSM_IJSG_SG_EEES6_PlJS6_EEE10hipError_tPvRmT3_T4_T5_T6_T7_T9_mT8_P12ihipStream_tbDpT10_ENKUlT_T0_E_clISt17integral_constantIbLb1EES1A_IbLb0EEEEDaS16_S17_EUlS16_E_NS1_11comp_targetILNS1_3genE10ELNS1_11target_archE1200ELNS1_3gpuE4ELNS1_3repE0EEENS1_30default_config_static_selectorELNS0_4arch9wavefront6targetE1EEEvT1_.kd
    .uniform_work_group_size: 1
    .uses_dynamic_stack: false
    .vgpr_count:     0
    .vgpr_spill_count: 0
    .wavefront_size: 64
  - .agpr_count:     0
    .args:
      - .offset:         0
        .size:           144
        .value_kind:     by_value
    .group_segment_fixed_size: 0
    .kernarg_segment_align: 8
    .kernarg_segment_size: 144
    .language:       OpenCL C
    .language_version:
      - 2
      - 0
    .max_flat_workgroup_size: 128
    .name:           _ZN7rocprim17ROCPRIM_400000_NS6detail17trampoline_kernelINS0_14default_configENS1_25partition_config_selectorILNS1_17partition_subalgoE1EjNS0_10empty_typeEbEEZZNS1_14partition_implILS5_1ELb0ES3_jN6thrust23THRUST_200600_302600_NS6detail15normal_iteratorINSA_10device_ptrIjEEEEPS6_NSA_18transform_iteratorI7is_evenIjESF_NSA_11use_defaultESK_EENS0_5tupleIJNSA_16discard_iteratorISK_EESO_EEENSM_IJSG_SG_EEES6_PlJS6_EEE10hipError_tPvRmT3_T4_T5_T6_T7_T9_mT8_P12ihipStream_tbDpT10_ENKUlT_T0_E_clISt17integral_constantIbLb1EES1A_IbLb0EEEEDaS16_S17_EUlS16_E_NS1_11comp_targetILNS1_3genE9ELNS1_11target_archE1100ELNS1_3gpuE3ELNS1_3repE0EEENS1_30default_config_static_selectorELNS0_4arch9wavefront6targetE1EEEvT1_
    .private_segment_fixed_size: 0
    .sgpr_count:     4
    .sgpr_spill_count: 0
    .symbol:         _ZN7rocprim17ROCPRIM_400000_NS6detail17trampoline_kernelINS0_14default_configENS1_25partition_config_selectorILNS1_17partition_subalgoE1EjNS0_10empty_typeEbEEZZNS1_14partition_implILS5_1ELb0ES3_jN6thrust23THRUST_200600_302600_NS6detail15normal_iteratorINSA_10device_ptrIjEEEEPS6_NSA_18transform_iteratorI7is_evenIjESF_NSA_11use_defaultESK_EENS0_5tupleIJNSA_16discard_iteratorISK_EESO_EEENSM_IJSG_SG_EEES6_PlJS6_EEE10hipError_tPvRmT3_T4_T5_T6_T7_T9_mT8_P12ihipStream_tbDpT10_ENKUlT_T0_E_clISt17integral_constantIbLb1EES1A_IbLb0EEEEDaS16_S17_EUlS16_E_NS1_11comp_targetILNS1_3genE9ELNS1_11target_archE1100ELNS1_3gpuE3ELNS1_3repE0EEENS1_30default_config_static_selectorELNS0_4arch9wavefront6targetE1EEEvT1_.kd
    .uniform_work_group_size: 1
    .uses_dynamic_stack: false
    .vgpr_count:     0
    .vgpr_spill_count: 0
    .wavefront_size: 64
  - .agpr_count:     0
    .args:
      - .offset:         0
        .size:           144
        .value_kind:     by_value
    .group_segment_fixed_size: 0
    .kernarg_segment_align: 8
    .kernarg_segment_size: 144
    .language:       OpenCL C
    .language_version:
      - 2
      - 0
    .max_flat_workgroup_size: 512
    .name:           _ZN7rocprim17ROCPRIM_400000_NS6detail17trampoline_kernelINS0_14default_configENS1_25partition_config_selectorILNS1_17partition_subalgoE1EjNS0_10empty_typeEbEEZZNS1_14partition_implILS5_1ELb0ES3_jN6thrust23THRUST_200600_302600_NS6detail15normal_iteratorINSA_10device_ptrIjEEEEPS6_NSA_18transform_iteratorI7is_evenIjESF_NSA_11use_defaultESK_EENS0_5tupleIJNSA_16discard_iteratorISK_EESO_EEENSM_IJSG_SG_EEES6_PlJS6_EEE10hipError_tPvRmT3_T4_T5_T6_T7_T9_mT8_P12ihipStream_tbDpT10_ENKUlT_T0_E_clISt17integral_constantIbLb1EES1A_IbLb0EEEEDaS16_S17_EUlS16_E_NS1_11comp_targetILNS1_3genE8ELNS1_11target_archE1030ELNS1_3gpuE2ELNS1_3repE0EEENS1_30default_config_static_selectorELNS0_4arch9wavefront6targetE1EEEvT1_
    .private_segment_fixed_size: 0
    .sgpr_count:     4
    .sgpr_spill_count: 0
    .symbol:         _ZN7rocprim17ROCPRIM_400000_NS6detail17trampoline_kernelINS0_14default_configENS1_25partition_config_selectorILNS1_17partition_subalgoE1EjNS0_10empty_typeEbEEZZNS1_14partition_implILS5_1ELb0ES3_jN6thrust23THRUST_200600_302600_NS6detail15normal_iteratorINSA_10device_ptrIjEEEEPS6_NSA_18transform_iteratorI7is_evenIjESF_NSA_11use_defaultESK_EENS0_5tupleIJNSA_16discard_iteratorISK_EESO_EEENSM_IJSG_SG_EEES6_PlJS6_EEE10hipError_tPvRmT3_T4_T5_T6_T7_T9_mT8_P12ihipStream_tbDpT10_ENKUlT_T0_E_clISt17integral_constantIbLb1EES1A_IbLb0EEEEDaS16_S17_EUlS16_E_NS1_11comp_targetILNS1_3genE8ELNS1_11target_archE1030ELNS1_3gpuE2ELNS1_3repE0EEENS1_30default_config_static_selectorELNS0_4arch9wavefront6targetE1EEEvT1_.kd
    .uniform_work_group_size: 1
    .uses_dynamic_stack: false
    .vgpr_count:     0
    .vgpr_spill_count: 0
    .wavefront_size: 64
  - .agpr_count:     0
    .args:
      - .offset:         0
        .size:           160
        .value_kind:     by_value
    .group_segment_fixed_size: 0
    .kernarg_segment_align: 8
    .kernarg_segment_size: 160
    .language:       OpenCL C
    .language_version:
      - 2
      - 0
    .max_flat_workgroup_size: 256
    .name:           _ZN7rocprim17ROCPRIM_400000_NS6detail17trampoline_kernelINS0_14default_configENS1_25partition_config_selectorILNS1_17partition_subalgoE1EjNS0_10empty_typeEbEEZZNS1_14partition_implILS5_1ELb0ES3_jN6thrust23THRUST_200600_302600_NS6detail15normal_iteratorINSA_10device_ptrIjEEEEPS6_NSA_18transform_iteratorI7is_evenIjESF_NSA_11use_defaultESK_EENS0_5tupleIJNSA_16discard_iteratorISK_EESO_EEENSM_IJSG_SG_EEES6_PlJS6_EEE10hipError_tPvRmT3_T4_T5_T6_T7_T9_mT8_P12ihipStream_tbDpT10_ENKUlT_T0_E_clISt17integral_constantIbLb0EES1A_IbLb1EEEEDaS16_S17_EUlS16_E_NS1_11comp_targetILNS1_3genE0ELNS1_11target_archE4294967295ELNS1_3gpuE0ELNS1_3repE0EEENS1_30default_config_static_selectorELNS0_4arch9wavefront6targetE1EEEvT1_
    .private_segment_fixed_size: 0
    .sgpr_count:     4
    .sgpr_spill_count: 0
    .symbol:         _ZN7rocprim17ROCPRIM_400000_NS6detail17trampoline_kernelINS0_14default_configENS1_25partition_config_selectorILNS1_17partition_subalgoE1EjNS0_10empty_typeEbEEZZNS1_14partition_implILS5_1ELb0ES3_jN6thrust23THRUST_200600_302600_NS6detail15normal_iteratorINSA_10device_ptrIjEEEEPS6_NSA_18transform_iteratorI7is_evenIjESF_NSA_11use_defaultESK_EENS0_5tupleIJNSA_16discard_iteratorISK_EESO_EEENSM_IJSG_SG_EEES6_PlJS6_EEE10hipError_tPvRmT3_T4_T5_T6_T7_T9_mT8_P12ihipStream_tbDpT10_ENKUlT_T0_E_clISt17integral_constantIbLb0EES1A_IbLb1EEEEDaS16_S17_EUlS16_E_NS1_11comp_targetILNS1_3genE0ELNS1_11target_archE4294967295ELNS1_3gpuE0ELNS1_3repE0EEENS1_30default_config_static_selectorELNS0_4arch9wavefront6targetE1EEEvT1_.kd
    .uniform_work_group_size: 1
    .uses_dynamic_stack: false
    .vgpr_count:     0
    .vgpr_spill_count: 0
    .wavefront_size: 64
  - .agpr_count:     0
    .args:
      - .offset:         0
        .size:           160
        .value_kind:     by_value
    .group_segment_fixed_size: 0
    .kernarg_segment_align: 8
    .kernarg_segment_size: 160
    .language:       OpenCL C
    .language_version:
      - 2
      - 0
    .max_flat_workgroup_size: 512
    .name:           _ZN7rocprim17ROCPRIM_400000_NS6detail17trampoline_kernelINS0_14default_configENS1_25partition_config_selectorILNS1_17partition_subalgoE1EjNS0_10empty_typeEbEEZZNS1_14partition_implILS5_1ELb0ES3_jN6thrust23THRUST_200600_302600_NS6detail15normal_iteratorINSA_10device_ptrIjEEEEPS6_NSA_18transform_iteratorI7is_evenIjESF_NSA_11use_defaultESK_EENS0_5tupleIJNSA_16discard_iteratorISK_EESO_EEENSM_IJSG_SG_EEES6_PlJS6_EEE10hipError_tPvRmT3_T4_T5_T6_T7_T9_mT8_P12ihipStream_tbDpT10_ENKUlT_T0_E_clISt17integral_constantIbLb0EES1A_IbLb1EEEEDaS16_S17_EUlS16_E_NS1_11comp_targetILNS1_3genE5ELNS1_11target_archE942ELNS1_3gpuE9ELNS1_3repE0EEENS1_30default_config_static_selectorELNS0_4arch9wavefront6targetE1EEEvT1_
    .private_segment_fixed_size: 0
    .sgpr_count:     4
    .sgpr_spill_count: 0
    .symbol:         _ZN7rocprim17ROCPRIM_400000_NS6detail17trampoline_kernelINS0_14default_configENS1_25partition_config_selectorILNS1_17partition_subalgoE1EjNS0_10empty_typeEbEEZZNS1_14partition_implILS5_1ELb0ES3_jN6thrust23THRUST_200600_302600_NS6detail15normal_iteratorINSA_10device_ptrIjEEEEPS6_NSA_18transform_iteratorI7is_evenIjESF_NSA_11use_defaultESK_EENS0_5tupleIJNSA_16discard_iteratorISK_EESO_EEENSM_IJSG_SG_EEES6_PlJS6_EEE10hipError_tPvRmT3_T4_T5_T6_T7_T9_mT8_P12ihipStream_tbDpT10_ENKUlT_T0_E_clISt17integral_constantIbLb0EES1A_IbLb1EEEEDaS16_S17_EUlS16_E_NS1_11comp_targetILNS1_3genE5ELNS1_11target_archE942ELNS1_3gpuE9ELNS1_3repE0EEENS1_30default_config_static_selectorELNS0_4arch9wavefront6targetE1EEEvT1_.kd
    .uniform_work_group_size: 1
    .uses_dynamic_stack: false
    .vgpr_count:     0
    .vgpr_spill_count: 0
    .wavefront_size: 64
  - .agpr_count:     0
    .args:
      - .offset:         0
        .size:           160
        .value_kind:     by_value
    .group_segment_fixed_size: 7176
    .kernarg_segment_align: 8
    .kernarg_segment_size: 160
    .language:       OpenCL C
    .language_version:
      - 2
      - 0
    .max_flat_workgroup_size: 256
    .name:           _ZN7rocprim17ROCPRIM_400000_NS6detail17trampoline_kernelINS0_14default_configENS1_25partition_config_selectorILNS1_17partition_subalgoE1EjNS0_10empty_typeEbEEZZNS1_14partition_implILS5_1ELb0ES3_jN6thrust23THRUST_200600_302600_NS6detail15normal_iteratorINSA_10device_ptrIjEEEEPS6_NSA_18transform_iteratorI7is_evenIjESF_NSA_11use_defaultESK_EENS0_5tupleIJNSA_16discard_iteratorISK_EESO_EEENSM_IJSG_SG_EEES6_PlJS6_EEE10hipError_tPvRmT3_T4_T5_T6_T7_T9_mT8_P12ihipStream_tbDpT10_ENKUlT_T0_E_clISt17integral_constantIbLb0EES1A_IbLb1EEEEDaS16_S17_EUlS16_E_NS1_11comp_targetILNS1_3genE4ELNS1_11target_archE910ELNS1_3gpuE8ELNS1_3repE0EEENS1_30default_config_static_selectorELNS0_4arch9wavefront6targetE1EEEvT1_
    .private_segment_fixed_size: 0
    .sgpr_count:     40
    .sgpr_spill_count: 0
    .symbol:         _ZN7rocprim17ROCPRIM_400000_NS6detail17trampoline_kernelINS0_14default_configENS1_25partition_config_selectorILNS1_17partition_subalgoE1EjNS0_10empty_typeEbEEZZNS1_14partition_implILS5_1ELb0ES3_jN6thrust23THRUST_200600_302600_NS6detail15normal_iteratorINSA_10device_ptrIjEEEEPS6_NSA_18transform_iteratorI7is_evenIjESF_NSA_11use_defaultESK_EENS0_5tupleIJNSA_16discard_iteratorISK_EESO_EEENSM_IJSG_SG_EEES6_PlJS6_EEE10hipError_tPvRmT3_T4_T5_T6_T7_T9_mT8_P12ihipStream_tbDpT10_ENKUlT_T0_E_clISt17integral_constantIbLb0EES1A_IbLb1EEEEDaS16_S17_EUlS16_E_NS1_11comp_targetILNS1_3genE4ELNS1_11target_archE910ELNS1_3gpuE8ELNS1_3repE0EEENS1_30default_config_static_selectorELNS0_4arch9wavefront6targetE1EEEvT1_.kd
    .uniform_work_group_size: 1
    .uses_dynamic_stack: false
    .vgpr_count:     48
    .vgpr_spill_count: 0
    .wavefront_size: 64
  - .agpr_count:     0
    .args:
      - .offset:         0
        .size:           160
        .value_kind:     by_value
    .group_segment_fixed_size: 0
    .kernarg_segment_align: 8
    .kernarg_segment_size: 160
    .language:       OpenCL C
    .language_version:
      - 2
      - 0
    .max_flat_workgroup_size: 256
    .name:           _ZN7rocprim17ROCPRIM_400000_NS6detail17trampoline_kernelINS0_14default_configENS1_25partition_config_selectorILNS1_17partition_subalgoE1EjNS0_10empty_typeEbEEZZNS1_14partition_implILS5_1ELb0ES3_jN6thrust23THRUST_200600_302600_NS6detail15normal_iteratorINSA_10device_ptrIjEEEEPS6_NSA_18transform_iteratorI7is_evenIjESF_NSA_11use_defaultESK_EENS0_5tupleIJNSA_16discard_iteratorISK_EESO_EEENSM_IJSG_SG_EEES6_PlJS6_EEE10hipError_tPvRmT3_T4_T5_T6_T7_T9_mT8_P12ihipStream_tbDpT10_ENKUlT_T0_E_clISt17integral_constantIbLb0EES1A_IbLb1EEEEDaS16_S17_EUlS16_E_NS1_11comp_targetILNS1_3genE3ELNS1_11target_archE908ELNS1_3gpuE7ELNS1_3repE0EEENS1_30default_config_static_selectorELNS0_4arch9wavefront6targetE1EEEvT1_
    .private_segment_fixed_size: 0
    .sgpr_count:     4
    .sgpr_spill_count: 0
    .symbol:         _ZN7rocprim17ROCPRIM_400000_NS6detail17trampoline_kernelINS0_14default_configENS1_25partition_config_selectorILNS1_17partition_subalgoE1EjNS0_10empty_typeEbEEZZNS1_14partition_implILS5_1ELb0ES3_jN6thrust23THRUST_200600_302600_NS6detail15normal_iteratorINSA_10device_ptrIjEEEEPS6_NSA_18transform_iteratorI7is_evenIjESF_NSA_11use_defaultESK_EENS0_5tupleIJNSA_16discard_iteratorISK_EESO_EEENSM_IJSG_SG_EEES6_PlJS6_EEE10hipError_tPvRmT3_T4_T5_T6_T7_T9_mT8_P12ihipStream_tbDpT10_ENKUlT_T0_E_clISt17integral_constantIbLb0EES1A_IbLb1EEEEDaS16_S17_EUlS16_E_NS1_11comp_targetILNS1_3genE3ELNS1_11target_archE908ELNS1_3gpuE7ELNS1_3repE0EEENS1_30default_config_static_selectorELNS0_4arch9wavefront6targetE1EEEvT1_.kd
    .uniform_work_group_size: 1
    .uses_dynamic_stack: false
    .vgpr_count:     0
    .vgpr_spill_count: 0
    .wavefront_size: 64
  - .agpr_count:     0
    .args:
      - .offset:         0
        .size:           160
        .value_kind:     by_value
    .group_segment_fixed_size: 0
    .kernarg_segment_align: 8
    .kernarg_segment_size: 160
    .language:       OpenCL C
    .language_version:
      - 2
      - 0
    .max_flat_workgroup_size: 256
    .name:           _ZN7rocprim17ROCPRIM_400000_NS6detail17trampoline_kernelINS0_14default_configENS1_25partition_config_selectorILNS1_17partition_subalgoE1EjNS0_10empty_typeEbEEZZNS1_14partition_implILS5_1ELb0ES3_jN6thrust23THRUST_200600_302600_NS6detail15normal_iteratorINSA_10device_ptrIjEEEEPS6_NSA_18transform_iteratorI7is_evenIjESF_NSA_11use_defaultESK_EENS0_5tupleIJNSA_16discard_iteratorISK_EESO_EEENSM_IJSG_SG_EEES6_PlJS6_EEE10hipError_tPvRmT3_T4_T5_T6_T7_T9_mT8_P12ihipStream_tbDpT10_ENKUlT_T0_E_clISt17integral_constantIbLb0EES1A_IbLb1EEEEDaS16_S17_EUlS16_E_NS1_11comp_targetILNS1_3genE2ELNS1_11target_archE906ELNS1_3gpuE6ELNS1_3repE0EEENS1_30default_config_static_selectorELNS0_4arch9wavefront6targetE1EEEvT1_
    .private_segment_fixed_size: 0
    .sgpr_count:     4
    .sgpr_spill_count: 0
    .symbol:         _ZN7rocprim17ROCPRIM_400000_NS6detail17trampoline_kernelINS0_14default_configENS1_25partition_config_selectorILNS1_17partition_subalgoE1EjNS0_10empty_typeEbEEZZNS1_14partition_implILS5_1ELb0ES3_jN6thrust23THRUST_200600_302600_NS6detail15normal_iteratorINSA_10device_ptrIjEEEEPS6_NSA_18transform_iteratorI7is_evenIjESF_NSA_11use_defaultESK_EENS0_5tupleIJNSA_16discard_iteratorISK_EESO_EEENSM_IJSG_SG_EEES6_PlJS6_EEE10hipError_tPvRmT3_T4_T5_T6_T7_T9_mT8_P12ihipStream_tbDpT10_ENKUlT_T0_E_clISt17integral_constantIbLb0EES1A_IbLb1EEEEDaS16_S17_EUlS16_E_NS1_11comp_targetILNS1_3genE2ELNS1_11target_archE906ELNS1_3gpuE6ELNS1_3repE0EEENS1_30default_config_static_selectorELNS0_4arch9wavefront6targetE1EEEvT1_.kd
    .uniform_work_group_size: 1
    .uses_dynamic_stack: false
    .vgpr_count:     0
    .vgpr_spill_count: 0
    .wavefront_size: 64
  - .agpr_count:     0
    .args:
      - .offset:         0
        .size:           160
        .value_kind:     by_value
    .group_segment_fixed_size: 0
    .kernarg_segment_align: 8
    .kernarg_segment_size: 160
    .language:       OpenCL C
    .language_version:
      - 2
      - 0
    .max_flat_workgroup_size: 256
    .name:           _ZN7rocprim17ROCPRIM_400000_NS6detail17trampoline_kernelINS0_14default_configENS1_25partition_config_selectorILNS1_17partition_subalgoE1EjNS0_10empty_typeEbEEZZNS1_14partition_implILS5_1ELb0ES3_jN6thrust23THRUST_200600_302600_NS6detail15normal_iteratorINSA_10device_ptrIjEEEEPS6_NSA_18transform_iteratorI7is_evenIjESF_NSA_11use_defaultESK_EENS0_5tupleIJNSA_16discard_iteratorISK_EESO_EEENSM_IJSG_SG_EEES6_PlJS6_EEE10hipError_tPvRmT3_T4_T5_T6_T7_T9_mT8_P12ihipStream_tbDpT10_ENKUlT_T0_E_clISt17integral_constantIbLb0EES1A_IbLb1EEEEDaS16_S17_EUlS16_E_NS1_11comp_targetILNS1_3genE10ELNS1_11target_archE1200ELNS1_3gpuE4ELNS1_3repE0EEENS1_30default_config_static_selectorELNS0_4arch9wavefront6targetE1EEEvT1_
    .private_segment_fixed_size: 0
    .sgpr_count:     4
    .sgpr_spill_count: 0
    .symbol:         _ZN7rocprim17ROCPRIM_400000_NS6detail17trampoline_kernelINS0_14default_configENS1_25partition_config_selectorILNS1_17partition_subalgoE1EjNS0_10empty_typeEbEEZZNS1_14partition_implILS5_1ELb0ES3_jN6thrust23THRUST_200600_302600_NS6detail15normal_iteratorINSA_10device_ptrIjEEEEPS6_NSA_18transform_iteratorI7is_evenIjESF_NSA_11use_defaultESK_EENS0_5tupleIJNSA_16discard_iteratorISK_EESO_EEENSM_IJSG_SG_EEES6_PlJS6_EEE10hipError_tPvRmT3_T4_T5_T6_T7_T9_mT8_P12ihipStream_tbDpT10_ENKUlT_T0_E_clISt17integral_constantIbLb0EES1A_IbLb1EEEEDaS16_S17_EUlS16_E_NS1_11comp_targetILNS1_3genE10ELNS1_11target_archE1200ELNS1_3gpuE4ELNS1_3repE0EEENS1_30default_config_static_selectorELNS0_4arch9wavefront6targetE1EEEvT1_.kd
    .uniform_work_group_size: 1
    .uses_dynamic_stack: false
    .vgpr_count:     0
    .vgpr_spill_count: 0
    .wavefront_size: 64
  - .agpr_count:     0
    .args:
      - .offset:         0
        .size:           160
        .value_kind:     by_value
    .group_segment_fixed_size: 0
    .kernarg_segment_align: 8
    .kernarg_segment_size: 160
    .language:       OpenCL C
    .language_version:
      - 2
      - 0
    .max_flat_workgroup_size: 128
    .name:           _ZN7rocprim17ROCPRIM_400000_NS6detail17trampoline_kernelINS0_14default_configENS1_25partition_config_selectorILNS1_17partition_subalgoE1EjNS0_10empty_typeEbEEZZNS1_14partition_implILS5_1ELb0ES3_jN6thrust23THRUST_200600_302600_NS6detail15normal_iteratorINSA_10device_ptrIjEEEEPS6_NSA_18transform_iteratorI7is_evenIjESF_NSA_11use_defaultESK_EENS0_5tupleIJNSA_16discard_iteratorISK_EESO_EEENSM_IJSG_SG_EEES6_PlJS6_EEE10hipError_tPvRmT3_T4_T5_T6_T7_T9_mT8_P12ihipStream_tbDpT10_ENKUlT_T0_E_clISt17integral_constantIbLb0EES1A_IbLb1EEEEDaS16_S17_EUlS16_E_NS1_11comp_targetILNS1_3genE9ELNS1_11target_archE1100ELNS1_3gpuE3ELNS1_3repE0EEENS1_30default_config_static_selectorELNS0_4arch9wavefront6targetE1EEEvT1_
    .private_segment_fixed_size: 0
    .sgpr_count:     4
    .sgpr_spill_count: 0
    .symbol:         _ZN7rocprim17ROCPRIM_400000_NS6detail17trampoline_kernelINS0_14default_configENS1_25partition_config_selectorILNS1_17partition_subalgoE1EjNS0_10empty_typeEbEEZZNS1_14partition_implILS5_1ELb0ES3_jN6thrust23THRUST_200600_302600_NS6detail15normal_iteratorINSA_10device_ptrIjEEEEPS6_NSA_18transform_iteratorI7is_evenIjESF_NSA_11use_defaultESK_EENS0_5tupleIJNSA_16discard_iteratorISK_EESO_EEENSM_IJSG_SG_EEES6_PlJS6_EEE10hipError_tPvRmT3_T4_T5_T6_T7_T9_mT8_P12ihipStream_tbDpT10_ENKUlT_T0_E_clISt17integral_constantIbLb0EES1A_IbLb1EEEEDaS16_S17_EUlS16_E_NS1_11comp_targetILNS1_3genE9ELNS1_11target_archE1100ELNS1_3gpuE3ELNS1_3repE0EEENS1_30default_config_static_selectorELNS0_4arch9wavefront6targetE1EEEvT1_.kd
    .uniform_work_group_size: 1
    .uses_dynamic_stack: false
    .vgpr_count:     0
    .vgpr_spill_count: 0
    .wavefront_size: 64
  - .agpr_count:     0
    .args:
      - .offset:         0
        .size:           160
        .value_kind:     by_value
    .group_segment_fixed_size: 0
    .kernarg_segment_align: 8
    .kernarg_segment_size: 160
    .language:       OpenCL C
    .language_version:
      - 2
      - 0
    .max_flat_workgroup_size: 512
    .name:           _ZN7rocprim17ROCPRIM_400000_NS6detail17trampoline_kernelINS0_14default_configENS1_25partition_config_selectorILNS1_17partition_subalgoE1EjNS0_10empty_typeEbEEZZNS1_14partition_implILS5_1ELb0ES3_jN6thrust23THRUST_200600_302600_NS6detail15normal_iteratorINSA_10device_ptrIjEEEEPS6_NSA_18transform_iteratorI7is_evenIjESF_NSA_11use_defaultESK_EENS0_5tupleIJNSA_16discard_iteratorISK_EESO_EEENSM_IJSG_SG_EEES6_PlJS6_EEE10hipError_tPvRmT3_T4_T5_T6_T7_T9_mT8_P12ihipStream_tbDpT10_ENKUlT_T0_E_clISt17integral_constantIbLb0EES1A_IbLb1EEEEDaS16_S17_EUlS16_E_NS1_11comp_targetILNS1_3genE8ELNS1_11target_archE1030ELNS1_3gpuE2ELNS1_3repE0EEENS1_30default_config_static_selectorELNS0_4arch9wavefront6targetE1EEEvT1_
    .private_segment_fixed_size: 0
    .sgpr_count:     4
    .sgpr_spill_count: 0
    .symbol:         _ZN7rocprim17ROCPRIM_400000_NS6detail17trampoline_kernelINS0_14default_configENS1_25partition_config_selectorILNS1_17partition_subalgoE1EjNS0_10empty_typeEbEEZZNS1_14partition_implILS5_1ELb0ES3_jN6thrust23THRUST_200600_302600_NS6detail15normal_iteratorINSA_10device_ptrIjEEEEPS6_NSA_18transform_iteratorI7is_evenIjESF_NSA_11use_defaultESK_EENS0_5tupleIJNSA_16discard_iteratorISK_EESO_EEENSM_IJSG_SG_EEES6_PlJS6_EEE10hipError_tPvRmT3_T4_T5_T6_T7_T9_mT8_P12ihipStream_tbDpT10_ENKUlT_T0_E_clISt17integral_constantIbLb0EES1A_IbLb1EEEEDaS16_S17_EUlS16_E_NS1_11comp_targetILNS1_3genE8ELNS1_11target_archE1030ELNS1_3gpuE2ELNS1_3repE0EEENS1_30default_config_static_selectorELNS0_4arch9wavefront6targetE1EEEvT1_.kd
    .uniform_work_group_size: 1
    .uses_dynamic_stack: false
    .vgpr_count:     0
    .vgpr_spill_count: 0
    .wavefront_size: 64
  - .agpr_count:     0
    .args:
      - .offset:         0
        .size:           136
        .value_kind:     by_value
    .group_segment_fixed_size: 0
    .kernarg_segment_align: 8
    .kernarg_segment_size: 136
    .language:       OpenCL C
    .language_version:
      - 2
      - 0
    .max_flat_workgroup_size: 256
    .name:           _ZN7rocprim17ROCPRIM_400000_NS6detail17trampoline_kernelINS0_14default_configENS1_25partition_config_selectorILNS1_17partition_subalgoE1EjNS0_10empty_typeEbEEZZNS1_14partition_implILS5_1ELb0ES3_jN6thrust23THRUST_200600_302600_NS6detail15normal_iteratorINSA_10device_ptrIjEEEEPS6_NSA_18transform_iteratorI7is_evenIjESF_NSA_11use_defaultESK_EENS0_5tupleIJSF_NSA_16discard_iteratorISK_EEEEENSM_IJSG_SG_EEES6_PlJS6_EEE10hipError_tPvRmT3_T4_T5_T6_T7_T9_mT8_P12ihipStream_tbDpT10_ENKUlT_T0_E_clISt17integral_constantIbLb0EES1B_EEDaS16_S17_EUlS16_E_NS1_11comp_targetILNS1_3genE0ELNS1_11target_archE4294967295ELNS1_3gpuE0ELNS1_3repE0EEENS1_30default_config_static_selectorELNS0_4arch9wavefront6targetE1EEEvT1_
    .private_segment_fixed_size: 0
    .sgpr_count:     4
    .sgpr_spill_count: 0
    .symbol:         _ZN7rocprim17ROCPRIM_400000_NS6detail17trampoline_kernelINS0_14default_configENS1_25partition_config_selectorILNS1_17partition_subalgoE1EjNS0_10empty_typeEbEEZZNS1_14partition_implILS5_1ELb0ES3_jN6thrust23THRUST_200600_302600_NS6detail15normal_iteratorINSA_10device_ptrIjEEEEPS6_NSA_18transform_iteratorI7is_evenIjESF_NSA_11use_defaultESK_EENS0_5tupleIJSF_NSA_16discard_iteratorISK_EEEEENSM_IJSG_SG_EEES6_PlJS6_EEE10hipError_tPvRmT3_T4_T5_T6_T7_T9_mT8_P12ihipStream_tbDpT10_ENKUlT_T0_E_clISt17integral_constantIbLb0EES1B_EEDaS16_S17_EUlS16_E_NS1_11comp_targetILNS1_3genE0ELNS1_11target_archE4294967295ELNS1_3gpuE0ELNS1_3repE0EEENS1_30default_config_static_selectorELNS0_4arch9wavefront6targetE1EEEvT1_.kd
    .uniform_work_group_size: 1
    .uses_dynamic_stack: false
    .vgpr_count:     0
    .vgpr_spill_count: 0
    .wavefront_size: 64
  - .agpr_count:     0
    .args:
      - .offset:         0
        .size:           136
        .value_kind:     by_value
    .group_segment_fixed_size: 0
    .kernarg_segment_align: 8
    .kernarg_segment_size: 136
    .language:       OpenCL C
    .language_version:
      - 2
      - 0
    .max_flat_workgroup_size: 512
    .name:           _ZN7rocprim17ROCPRIM_400000_NS6detail17trampoline_kernelINS0_14default_configENS1_25partition_config_selectorILNS1_17partition_subalgoE1EjNS0_10empty_typeEbEEZZNS1_14partition_implILS5_1ELb0ES3_jN6thrust23THRUST_200600_302600_NS6detail15normal_iteratorINSA_10device_ptrIjEEEEPS6_NSA_18transform_iteratorI7is_evenIjESF_NSA_11use_defaultESK_EENS0_5tupleIJSF_NSA_16discard_iteratorISK_EEEEENSM_IJSG_SG_EEES6_PlJS6_EEE10hipError_tPvRmT3_T4_T5_T6_T7_T9_mT8_P12ihipStream_tbDpT10_ENKUlT_T0_E_clISt17integral_constantIbLb0EES1B_EEDaS16_S17_EUlS16_E_NS1_11comp_targetILNS1_3genE5ELNS1_11target_archE942ELNS1_3gpuE9ELNS1_3repE0EEENS1_30default_config_static_selectorELNS0_4arch9wavefront6targetE1EEEvT1_
    .private_segment_fixed_size: 0
    .sgpr_count:     4
    .sgpr_spill_count: 0
    .symbol:         _ZN7rocprim17ROCPRIM_400000_NS6detail17trampoline_kernelINS0_14default_configENS1_25partition_config_selectorILNS1_17partition_subalgoE1EjNS0_10empty_typeEbEEZZNS1_14partition_implILS5_1ELb0ES3_jN6thrust23THRUST_200600_302600_NS6detail15normal_iteratorINSA_10device_ptrIjEEEEPS6_NSA_18transform_iteratorI7is_evenIjESF_NSA_11use_defaultESK_EENS0_5tupleIJSF_NSA_16discard_iteratorISK_EEEEENSM_IJSG_SG_EEES6_PlJS6_EEE10hipError_tPvRmT3_T4_T5_T6_T7_T9_mT8_P12ihipStream_tbDpT10_ENKUlT_T0_E_clISt17integral_constantIbLb0EES1B_EEDaS16_S17_EUlS16_E_NS1_11comp_targetILNS1_3genE5ELNS1_11target_archE942ELNS1_3gpuE9ELNS1_3repE0EEENS1_30default_config_static_selectorELNS0_4arch9wavefront6targetE1EEEvT1_.kd
    .uniform_work_group_size: 1
    .uses_dynamic_stack: false
    .vgpr_count:     0
    .vgpr_spill_count: 0
    .wavefront_size: 64
  - .agpr_count:     0
    .args:
      - .offset:         0
        .size:           136
        .value_kind:     by_value
    .group_segment_fixed_size: 7176
    .kernarg_segment_align: 8
    .kernarg_segment_size: 136
    .language:       OpenCL C
    .language_version:
      - 2
      - 0
    .max_flat_workgroup_size: 256
    .name:           _ZN7rocprim17ROCPRIM_400000_NS6detail17trampoline_kernelINS0_14default_configENS1_25partition_config_selectorILNS1_17partition_subalgoE1EjNS0_10empty_typeEbEEZZNS1_14partition_implILS5_1ELb0ES3_jN6thrust23THRUST_200600_302600_NS6detail15normal_iteratorINSA_10device_ptrIjEEEEPS6_NSA_18transform_iteratorI7is_evenIjESF_NSA_11use_defaultESK_EENS0_5tupleIJSF_NSA_16discard_iteratorISK_EEEEENSM_IJSG_SG_EEES6_PlJS6_EEE10hipError_tPvRmT3_T4_T5_T6_T7_T9_mT8_P12ihipStream_tbDpT10_ENKUlT_T0_E_clISt17integral_constantIbLb0EES1B_EEDaS16_S17_EUlS16_E_NS1_11comp_targetILNS1_3genE4ELNS1_11target_archE910ELNS1_3gpuE8ELNS1_3repE0EEENS1_30default_config_static_selectorELNS0_4arch9wavefront6targetE1EEEvT1_
    .private_segment_fixed_size: 0
    .sgpr_count:     44
    .sgpr_spill_count: 0
    .symbol:         _ZN7rocprim17ROCPRIM_400000_NS6detail17trampoline_kernelINS0_14default_configENS1_25partition_config_selectorILNS1_17partition_subalgoE1EjNS0_10empty_typeEbEEZZNS1_14partition_implILS5_1ELb0ES3_jN6thrust23THRUST_200600_302600_NS6detail15normal_iteratorINSA_10device_ptrIjEEEEPS6_NSA_18transform_iteratorI7is_evenIjESF_NSA_11use_defaultESK_EENS0_5tupleIJSF_NSA_16discard_iteratorISK_EEEEENSM_IJSG_SG_EEES6_PlJS6_EEE10hipError_tPvRmT3_T4_T5_T6_T7_T9_mT8_P12ihipStream_tbDpT10_ENKUlT_T0_E_clISt17integral_constantIbLb0EES1B_EEDaS16_S17_EUlS16_E_NS1_11comp_targetILNS1_3genE4ELNS1_11target_archE910ELNS1_3gpuE8ELNS1_3repE0EEENS1_30default_config_static_selectorELNS0_4arch9wavefront6targetE1EEEvT1_.kd
    .uniform_work_group_size: 1
    .uses_dynamic_stack: false
    .vgpr_count:     47
    .vgpr_spill_count: 0
    .wavefront_size: 64
  - .agpr_count:     0
    .args:
      - .offset:         0
        .size:           136
        .value_kind:     by_value
    .group_segment_fixed_size: 0
    .kernarg_segment_align: 8
    .kernarg_segment_size: 136
    .language:       OpenCL C
    .language_version:
      - 2
      - 0
    .max_flat_workgroup_size: 256
    .name:           _ZN7rocprim17ROCPRIM_400000_NS6detail17trampoline_kernelINS0_14default_configENS1_25partition_config_selectorILNS1_17partition_subalgoE1EjNS0_10empty_typeEbEEZZNS1_14partition_implILS5_1ELb0ES3_jN6thrust23THRUST_200600_302600_NS6detail15normal_iteratorINSA_10device_ptrIjEEEEPS6_NSA_18transform_iteratorI7is_evenIjESF_NSA_11use_defaultESK_EENS0_5tupleIJSF_NSA_16discard_iteratorISK_EEEEENSM_IJSG_SG_EEES6_PlJS6_EEE10hipError_tPvRmT3_T4_T5_T6_T7_T9_mT8_P12ihipStream_tbDpT10_ENKUlT_T0_E_clISt17integral_constantIbLb0EES1B_EEDaS16_S17_EUlS16_E_NS1_11comp_targetILNS1_3genE3ELNS1_11target_archE908ELNS1_3gpuE7ELNS1_3repE0EEENS1_30default_config_static_selectorELNS0_4arch9wavefront6targetE1EEEvT1_
    .private_segment_fixed_size: 0
    .sgpr_count:     4
    .sgpr_spill_count: 0
    .symbol:         _ZN7rocprim17ROCPRIM_400000_NS6detail17trampoline_kernelINS0_14default_configENS1_25partition_config_selectorILNS1_17partition_subalgoE1EjNS0_10empty_typeEbEEZZNS1_14partition_implILS5_1ELb0ES3_jN6thrust23THRUST_200600_302600_NS6detail15normal_iteratorINSA_10device_ptrIjEEEEPS6_NSA_18transform_iteratorI7is_evenIjESF_NSA_11use_defaultESK_EENS0_5tupleIJSF_NSA_16discard_iteratorISK_EEEEENSM_IJSG_SG_EEES6_PlJS6_EEE10hipError_tPvRmT3_T4_T5_T6_T7_T9_mT8_P12ihipStream_tbDpT10_ENKUlT_T0_E_clISt17integral_constantIbLb0EES1B_EEDaS16_S17_EUlS16_E_NS1_11comp_targetILNS1_3genE3ELNS1_11target_archE908ELNS1_3gpuE7ELNS1_3repE0EEENS1_30default_config_static_selectorELNS0_4arch9wavefront6targetE1EEEvT1_.kd
    .uniform_work_group_size: 1
    .uses_dynamic_stack: false
    .vgpr_count:     0
    .vgpr_spill_count: 0
    .wavefront_size: 64
  - .agpr_count:     0
    .args:
      - .offset:         0
        .size:           136
        .value_kind:     by_value
    .group_segment_fixed_size: 0
    .kernarg_segment_align: 8
    .kernarg_segment_size: 136
    .language:       OpenCL C
    .language_version:
      - 2
      - 0
    .max_flat_workgroup_size: 256
    .name:           _ZN7rocprim17ROCPRIM_400000_NS6detail17trampoline_kernelINS0_14default_configENS1_25partition_config_selectorILNS1_17partition_subalgoE1EjNS0_10empty_typeEbEEZZNS1_14partition_implILS5_1ELb0ES3_jN6thrust23THRUST_200600_302600_NS6detail15normal_iteratorINSA_10device_ptrIjEEEEPS6_NSA_18transform_iteratorI7is_evenIjESF_NSA_11use_defaultESK_EENS0_5tupleIJSF_NSA_16discard_iteratorISK_EEEEENSM_IJSG_SG_EEES6_PlJS6_EEE10hipError_tPvRmT3_T4_T5_T6_T7_T9_mT8_P12ihipStream_tbDpT10_ENKUlT_T0_E_clISt17integral_constantIbLb0EES1B_EEDaS16_S17_EUlS16_E_NS1_11comp_targetILNS1_3genE2ELNS1_11target_archE906ELNS1_3gpuE6ELNS1_3repE0EEENS1_30default_config_static_selectorELNS0_4arch9wavefront6targetE1EEEvT1_
    .private_segment_fixed_size: 0
    .sgpr_count:     4
    .sgpr_spill_count: 0
    .symbol:         _ZN7rocprim17ROCPRIM_400000_NS6detail17trampoline_kernelINS0_14default_configENS1_25partition_config_selectorILNS1_17partition_subalgoE1EjNS0_10empty_typeEbEEZZNS1_14partition_implILS5_1ELb0ES3_jN6thrust23THRUST_200600_302600_NS6detail15normal_iteratorINSA_10device_ptrIjEEEEPS6_NSA_18transform_iteratorI7is_evenIjESF_NSA_11use_defaultESK_EENS0_5tupleIJSF_NSA_16discard_iteratorISK_EEEEENSM_IJSG_SG_EEES6_PlJS6_EEE10hipError_tPvRmT3_T4_T5_T6_T7_T9_mT8_P12ihipStream_tbDpT10_ENKUlT_T0_E_clISt17integral_constantIbLb0EES1B_EEDaS16_S17_EUlS16_E_NS1_11comp_targetILNS1_3genE2ELNS1_11target_archE906ELNS1_3gpuE6ELNS1_3repE0EEENS1_30default_config_static_selectorELNS0_4arch9wavefront6targetE1EEEvT1_.kd
    .uniform_work_group_size: 1
    .uses_dynamic_stack: false
    .vgpr_count:     0
    .vgpr_spill_count: 0
    .wavefront_size: 64
  - .agpr_count:     0
    .args:
      - .offset:         0
        .size:           136
        .value_kind:     by_value
    .group_segment_fixed_size: 0
    .kernarg_segment_align: 8
    .kernarg_segment_size: 136
    .language:       OpenCL C
    .language_version:
      - 2
      - 0
    .max_flat_workgroup_size: 256
    .name:           _ZN7rocprim17ROCPRIM_400000_NS6detail17trampoline_kernelINS0_14default_configENS1_25partition_config_selectorILNS1_17partition_subalgoE1EjNS0_10empty_typeEbEEZZNS1_14partition_implILS5_1ELb0ES3_jN6thrust23THRUST_200600_302600_NS6detail15normal_iteratorINSA_10device_ptrIjEEEEPS6_NSA_18transform_iteratorI7is_evenIjESF_NSA_11use_defaultESK_EENS0_5tupleIJSF_NSA_16discard_iteratorISK_EEEEENSM_IJSG_SG_EEES6_PlJS6_EEE10hipError_tPvRmT3_T4_T5_T6_T7_T9_mT8_P12ihipStream_tbDpT10_ENKUlT_T0_E_clISt17integral_constantIbLb0EES1B_EEDaS16_S17_EUlS16_E_NS1_11comp_targetILNS1_3genE10ELNS1_11target_archE1200ELNS1_3gpuE4ELNS1_3repE0EEENS1_30default_config_static_selectorELNS0_4arch9wavefront6targetE1EEEvT1_
    .private_segment_fixed_size: 0
    .sgpr_count:     4
    .sgpr_spill_count: 0
    .symbol:         _ZN7rocprim17ROCPRIM_400000_NS6detail17trampoline_kernelINS0_14default_configENS1_25partition_config_selectorILNS1_17partition_subalgoE1EjNS0_10empty_typeEbEEZZNS1_14partition_implILS5_1ELb0ES3_jN6thrust23THRUST_200600_302600_NS6detail15normal_iteratorINSA_10device_ptrIjEEEEPS6_NSA_18transform_iteratorI7is_evenIjESF_NSA_11use_defaultESK_EENS0_5tupleIJSF_NSA_16discard_iteratorISK_EEEEENSM_IJSG_SG_EEES6_PlJS6_EEE10hipError_tPvRmT3_T4_T5_T6_T7_T9_mT8_P12ihipStream_tbDpT10_ENKUlT_T0_E_clISt17integral_constantIbLb0EES1B_EEDaS16_S17_EUlS16_E_NS1_11comp_targetILNS1_3genE10ELNS1_11target_archE1200ELNS1_3gpuE4ELNS1_3repE0EEENS1_30default_config_static_selectorELNS0_4arch9wavefront6targetE1EEEvT1_.kd
    .uniform_work_group_size: 1
    .uses_dynamic_stack: false
    .vgpr_count:     0
    .vgpr_spill_count: 0
    .wavefront_size: 64
  - .agpr_count:     0
    .args:
      - .offset:         0
        .size:           136
        .value_kind:     by_value
    .group_segment_fixed_size: 0
    .kernarg_segment_align: 8
    .kernarg_segment_size: 136
    .language:       OpenCL C
    .language_version:
      - 2
      - 0
    .max_flat_workgroup_size: 128
    .name:           _ZN7rocprim17ROCPRIM_400000_NS6detail17trampoline_kernelINS0_14default_configENS1_25partition_config_selectorILNS1_17partition_subalgoE1EjNS0_10empty_typeEbEEZZNS1_14partition_implILS5_1ELb0ES3_jN6thrust23THRUST_200600_302600_NS6detail15normal_iteratorINSA_10device_ptrIjEEEEPS6_NSA_18transform_iteratorI7is_evenIjESF_NSA_11use_defaultESK_EENS0_5tupleIJSF_NSA_16discard_iteratorISK_EEEEENSM_IJSG_SG_EEES6_PlJS6_EEE10hipError_tPvRmT3_T4_T5_T6_T7_T9_mT8_P12ihipStream_tbDpT10_ENKUlT_T0_E_clISt17integral_constantIbLb0EES1B_EEDaS16_S17_EUlS16_E_NS1_11comp_targetILNS1_3genE9ELNS1_11target_archE1100ELNS1_3gpuE3ELNS1_3repE0EEENS1_30default_config_static_selectorELNS0_4arch9wavefront6targetE1EEEvT1_
    .private_segment_fixed_size: 0
    .sgpr_count:     4
    .sgpr_spill_count: 0
    .symbol:         _ZN7rocprim17ROCPRIM_400000_NS6detail17trampoline_kernelINS0_14default_configENS1_25partition_config_selectorILNS1_17partition_subalgoE1EjNS0_10empty_typeEbEEZZNS1_14partition_implILS5_1ELb0ES3_jN6thrust23THRUST_200600_302600_NS6detail15normal_iteratorINSA_10device_ptrIjEEEEPS6_NSA_18transform_iteratorI7is_evenIjESF_NSA_11use_defaultESK_EENS0_5tupleIJSF_NSA_16discard_iteratorISK_EEEEENSM_IJSG_SG_EEES6_PlJS6_EEE10hipError_tPvRmT3_T4_T5_T6_T7_T9_mT8_P12ihipStream_tbDpT10_ENKUlT_T0_E_clISt17integral_constantIbLb0EES1B_EEDaS16_S17_EUlS16_E_NS1_11comp_targetILNS1_3genE9ELNS1_11target_archE1100ELNS1_3gpuE3ELNS1_3repE0EEENS1_30default_config_static_selectorELNS0_4arch9wavefront6targetE1EEEvT1_.kd
    .uniform_work_group_size: 1
    .uses_dynamic_stack: false
    .vgpr_count:     0
    .vgpr_spill_count: 0
    .wavefront_size: 64
  - .agpr_count:     0
    .args:
      - .offset:         0
        .size:           136
        .value_kind:     by_value
    .group_segment_fixed_size: 0
    .kernarg_segment_align: 8
    .kernarg_segment_size: 136
    .language:       OpenCL C
    .language_version:
      - 2
      - 0
    .max_flat_workgroup_size: 512
    .name:           _ZN7rocprim17ROCPRIM_400000_NS6detail17trampoline_kernelINS0_14default_configENS1_25partition_config_selectorILNS1_17partition_subalgoE1EjNS0_10empty_typeEbEEZZNS1_14partition_implILS5_1ELb0ES3_jN6thrust23THRUST_200600_302600_NS6detail15normal_iteratorINSA_10device_ptrIjEEEEPS6_NSA_18transform_iteratorI7is_evenIjESF_NSA_11use_defaultESK_EENS0_5tupleIJSF_NSA_16discard_iteratorISK_EEEEENSM_IJSG_SG_EEES6_PlJS6_EEE10hipError_tPvRmT3_T4_T5_T6_T7_T9_mT8_P12ihipStream_tbDpT10_ENKUlT_T0_E_clISt17integral_constantIbLb0EES1B_EEDaS16_S17_EUlS16_E_NS1_11comp_targetILNS1_3genE8ELNS1_11target_archE1030ELNS1_3gpuE2ELNS1_3repE0EEENS1_30default_config_static_selectorELNS0_4arch9wavefront6targetE1EEEvT1_
    .private_segment_fixed_size: 0
    .sgpr_count:     4
    .sgpr_spill_count: 0
    .symbol:         _ZN7rocprim17ROCPRIM_400000_NS6detail17trampoline_kernelINS0_14default_configENS1_25partition_config_selectorILNS1_17partition_subalgoE1EjNS0_10empty_typeEbEEZZNS1_14partition_implILS5_1ELb0ES3_jN6thrust23THRUST_200600_302600_NS6detail15normal_iteratorINSA_10device_ptrIjEEEEPS6_NSA_18transform_iteratorI7is_evenIjESF_NSA_11use_defaultESK_EENS0_5tupleIJSF_NSA_16discard_iteratorISK_EEEEENSM_IJSG_SG_EEES6_PlJS6_EEE10hipError_tPvRmT3_T4_T5_T6_T7_T9_mT8_P12ihipStream_tbDpT10_ENKUlT_T0_E_clISt17integral_constantIbLb0EES1B_EEDaS16_S17_EUlS16_E_NS1_11comp_targetILNS1_3genE8ELNS1_11target_archE1030ELNS1_3gpuE2ELNS1_3repE0EEENS1_30default_config_static_selectorELNS0_4arch9wavefront6targetE1EEEvT1_.kd
    .uniform_work_group_size: 1
    .uses_dynamic_stack: false
    .vgpr_count:     0
    .vgpr_spill_count: 0
    .wavefront_size: 64
  - .agpr_count:     0
    .args:
      - .offset:         0
        .size:           152
        .value_kind:     by_value
    .group_segment_fixed_size: 0
    .kernarg_segment_align: 8
    .kernarg_segment_size: 152
    .language:       OpenCL C
    .language_version:
      - 2
      - 0
    .max_flat_workgroup_size: 256
    .name:           _ZN7rocprim17ROCPRIM_400000_NS6detail17trampoline_kernelINS0_14default_configENS1_25partition_config_selectorILNS1_17partition_subalgoE1EjNS0_10empty_typeEbEEZZNS1_14partition_implILS5_1ELb0ES3_jN6thrust23THRUST_200600_302600_NS6detail15normal_iteratorINSA_10device_ptrIjEEEEPS6_NSA_18transform_iteratorI7is_evenIjESF_NSA_11use_defaultESK_EENS0_5tupleIJSF_NSA_16discard_iteratorISK_EEEEENSM_IJSG_SG_EEES6_PlJS6_EEE10hipError_tPvRmT3_T4_T5_T6_T7_T9_mT8_P12ihipStream_tbDpT10_ENKUlT_T0_E_clISt17integral_constantIbLb1EES1B_EEDaS16_S17_EUlS16_E_NS1_11comp_targetILNS1_3genE0ELNS1_11target_archE4294967295ELNS1_3gpuE0ELNS1_3repE0EEENS1_30default_config_static_selectorELNS0_4arch9wavefront6targetE1EEEvT1_
    .private_segment_fixed_size: 0
    .sgpr_count:     4
    .sgpr_spill_count: 0
    .symbol:         _ZN7rocprim17ROCPRIM_400000_NS6detail17trampoline_kernelINS0_14default_configENS1_25partition_config_selectorILNS1_17partition_subalgoE1EjNS0_10empty_typeEbEEZZNS1_14partition_implILS5_1ELb0ES3_jN6thrust23THRUST_200600_302600_NS6detail15normal_iteratorINSA_10device_ptrIjEEEEPS6_NSA_18transform_iteratorI7is_evenIjESF_NSA_11use_defaultESK_EENS0_5tupleIJSF_NSA_16discard_iteratorISK_EEEEENSM_IJSG_SG_EEES6_PlJS6_EEE10hipError_tPvRmT3_T4_T5_T6_T7_T9_mT8_P12ihipStream_tbDpT10_ENKUlT_T0_E_clISt17integral_constantIbLb1EES1B_EEDaS16_S17_EUlS16_E_NS1_11comp_targetILNS1_3genE0ELNS1_11target_archE4294967295ELNS1_3gpuE0ELNS1_3repE0EEENS1_30default_config_static_selectorELNS0_4arch9wavefront6targetE1EEEvT1_.kd
    .uniform_work_group_size: 1
    .uses_dynamic_stack: false
    .vgpr_count:     0
    .vgpr_spill_count: 0
    .wavefront_size: 64
  - .agpr_count:     0
    .args:
      - .offset:         0
        .size:           152
        .value_kind:     by_value
    .group_segment_fixed_size: 0
    .kernarg_segment_align: 8
    .kernarg_segment_size: 152
    .language:       OpenCL C
    .language_version:
      - 2
      - 0
    .max_flat_workgroup_size: 512
    .name:           _ZN7rocprim17ROCPRIM_400000_NS6detail17trampoline_kernelINS0_14default_configENS1_25partition_config_selectorILNS1_17partition_subalgoE1EjNS0_10empty_typeEbEEZZNS1_14partition_implILS5_1ELb0ES3_jN6thrust23THRUST_200600_302600_NS6detail15normal_iteratorINSA_10device_ptrIjEEEEPS6_NSA_18transform_iteratorI7is_evenIjESF_NSA_11use_defaultESK_EENS0_5tupleIJSF_NSA_16discard_iteratorISK_EEEEENSM_IJSG_SG_EEES6_PlJS6_EEE10hipError_tPvRmT3_T4_T5_T6_T7_T9_mT8_P12ihipStream_tbDpT10_ENKUlT_T0_E_clISt17integral_constantIbLb1EES1B_EEDaS16_S17_EUlS16_E_NS1_11comp_targetILNS1_3genE5ELNS1_11target_archE942ELNS1_3gpuE9ELNS1_3repE0EEENS1_30default_config_static_selectorELNS0_4arch9wavefront6targetE1EEEvT1_
    .private_segment_fixed_size: 0
    .sgpr_count:     4
    .sgpr_spill_count: 0
    .symbol:         _ZN7rocprim17ROCPRIM_400000_NS6detail17trampoline_kernelINS0_14default_configENS1_25partition_config_selectorILNS1_17partition_subalgoE1EjNS0_10empty_typeEbEEZZNS1_14partition_implILS5_1ELb0ES3_jN6thrust23THRUST_200600_302600_NS6detail15normal_iteratorINSA_10device_ptrIjEEEEPS6_NSA_18transform_iteratorI7is_evenIjESF_NSA_11use_defaultESK_EENS0_5tupleIJSF_NSA_16discard_iteratorISK_EEEEENSM_IJSG_SG_EEES6_PlJS6_EEE10hipError_tPvRmT3_T4_T5_T6_T7_T9_mT8_P12ihipStream_tbDpT10_ENKUlT_T0_E_clISt17integral_constantIbLb1EES1B_EEDaS16_S17_EUlS16_E_NS1_11comp_targetILNS1_3genE5ELNS1_11target_archE942ELNS1_3gpuE9ELNS1_3repE0EEENS1_30default_config_static_selectorELNS0_4arch9wavefront6targetE1EEEvT1_.kd
    .uniform_work_group_size: 1
    .uses_dynamic_stack: false
    .vgpr_count:     0
    .vgpr_spill_count: 0
    .wavefront_size: 64
  - .agpr_count:     0
    .args:
      - .offset:         0
        .size:           152
        .value_kind:     by_value
    .group_segment_fixed_size: 7176
    .kernarg_segment_align: 8
    .kernarg_segment_size: 152
    .language:       OpenCL C
    .language_version:
      - 2
      - 0
    .max_flat_workgroup_size: 256
    .name:           _ZN7rocprim17ROCPRIM_400000_NS6detail17trampoline_kernelINS0_14default_configENS1_25partition_config_selectorILNS1_17partition_subalgoE1EjNS0_10empty_typeEbEEZZNS1_14partition_implILS5_1ELb0ES3_jN6thrust23THRUST_200600_302600_NS6detail15normal_iteratorINSA_10device_ptrIjEEEEPS6_NSA_18transform_iteratorI7is_evenIjESF_NSA_11use_defaultESK_EENS0_5tupleIJSF_NSA_16discard_iteratorISK_EEEEENSM_IJSG_SG_EEES6_PlJS6_EEE10hipError_tPvRmT3_T4_T5_T6_T7_T9_mT8_P12ihipStream_tbDpT10_ENKUlT_T0_E_clISt17integral_constantIbLb1EES1B_EEDaS16_S17_EUlS16_E_NS1_11comp_targetILNS1_3genE4ELNS1_11target_archE910ELNS1_3gpuE8ELNS1_3repE0EEENS1_30default_config_static_selectorELNS0_4arch9wavefront6targetE1EEEvT1_
    .private_segment_fixed_size: 0
    .sgpr_count:     44
    .sgpr_spill_count: 0
    .symbol:         _ZN7rocprim17ROCPRIM_400000_NS6detail17trampoline_kernelINS0_14default_configENS1_25partition_config_selectorILNS1_17partition_subalgoE1EjNS0_10empty_typeEbEEZZNS1_14partition_implILS5_1ELb0ES3_jN6thrust23THRUST_200600_302600_NS6detail15normal_iteratorINSA_10device_ptrIjEEEEPS6_NSA_18transform_iteratorI7is_evenIjESF_NSA_11use_defaultESK_EENS0_5tupleIJSF_NSA_16discard_iteratorISK_EEEEENSM_IJSG_SG_EEES6_PlJS6_EEE10hipError_tPvRmT3_T4_T5_T6_T7_T9_mT8_P12ihipStream_tbDpT10_ENKUlT_T0_E_clISt17integral_constantIbLb1EES1B_EEDaS16_S17_EUlS16_E_NS1_11comp_targetILNS1_3genE4ELNS1_11target_archE910ELNS1_3gpuE8ELNS1_3repE0EEENS1_30default_config_static_selectorELNS0_4arch9wavefront6targetE1EEEvT1_.kd
    .uniform_work_group_size: 1
    .uses_dynamic_stack: false
    .vgpr_count:     49
    .vgpr_spill_count: 0
    .wavefront_size: 64
  - .agpr_count:     0
    .args:
      - .offset:         0
        .size:           152
        .value_kind:     by_value
    .group_segment_fixed_size: 0
    .kernarg_segment_align: 8
    .kernarg_segment_size: 152
    .language:       OpenCL C
    .language_version:
      - 2
      - 0
    .max_flat_workgroup_size: 256
    .name:           _ZN7rocprim17ROCPRIM_400000_NS6detail17trampoline_kernelINS0_14default_configENS1_25partition_config_selectorILNS1_17partition_subalgoE1EjNS0_10empty_typeEbEEZZNS1_14partition_implILS5_1ELb0ES3_jN6thrust23THRUST_200600_302600_NS6detail15normal_iteratorINSA_10device_ptrIjEEEEPS6_NSA_18transform_iteratorI7is_evenIjESF_NSA_11use_defaultESK_EENS0_5tupleIJSF_NSA_16discard_iteratorISK_EEEEENSM_IJSG_SG_EEES6_PlJS6_EEE10hipError_tPvRmT3_T4_T5_T6_T7_T9_mT8_P12ihipStream_tbDpT10_ENKUlT_T0_E_clISt17integral_constantIbLb1EES1B_EEDaS16_S17_EUlS16_E_NS1_11comp_targetILNS1_3genE3ELNS1_11target_archE908ELNS1_3gpuE7ELNS1_3repE0EEENS1_30default_config_static_selectorELNS0_4arch9wavefront6targetE1EEEvT1_
    .private_segment_fixed_size: 0
    .sgpr_count:     4
    .sgpr_spill_count: 0
    .symbol:         _ZN7rocprim17ROCPRIM_400000_NS6detail17trampoline_kernelINS0_14default_configENS1_25partition_config_selectorILNS1_17partition_subalgoE1EjNS0_10empty_typeEbEEZZNS1_14partition_implILS5_1ELb0ES3_jN6thrust23THRUST_200600_302600_NS6detail15normal_iteratorINSA_10device_ptrIjEEEEPS6_NSA_18transform_iteratorI7is_evenIjESF_NSA_11use_defaultESK_EENS0_5tupleIJSF_NSA_16discard_iteratorISK_EEEEENSM_IJSG_SG_EEES6_PlJS6_EEE10hipError_tPvRmT3_T4_T5_T6_T7_T9_mT8_P12ihipStream_tbDpT10_ENKUlT_T0_E_clISt17integral_constantIbLb1EES1B_EEDaS16_S17_EUlS16_E_NS1_11comp_targetILNS1_3genE3ELNS1_11target_archE908ELNS1_3gpuE7ELNS1_3repE0EEENS1_30default_config_static_selectorELNS0_4arch9wavefront6targetE1EEEvT1_.kd
    .uniform_work_group_size: 1
    .uses_dynamic_stack: false
    .vgpr_count:     0
    .vgpr_spill_count: 0
    .wavefront_size: 64
  - .agpr_count:     0
    .args:
      - .offset:         0
        .size:           152
        .value_kind:     by_value
    .group_segment_fixed_size: 0
    .kernarg_segment_align: 8
    .kernarg_segment_size: 152
    .language:       OpenCL C
    .language_version:
      - 2
      - 0
    .max_flat_workgroup_size: 256
    .name:           _ZN7rocprim17ROCPRIM_400000_NS6detail17trampoline_kernelINS0_14default_configENS1_25partition_config_selectorILNS1_17partition_subalgoE1EjNS0_10empty_typeEbEEZZNS1_14partition_implILS5_1ELb0ES3_jN6thrust23THRUST_200600_302600_NS6detail15normal_iteratorINSA_10device_ptrIjEEEEPS6_NSA_18transform_iteratorI7is_evenIjESF_NSA_11use_defaultESK_EENS0_5tupleIJSF_NSA_16discard_iteratorISK_EEEEENSM_IJSG_SG_EEES6_PlJS6_EEE10hipError_tPvRmT3_T4_T5_T6_T7_T9_mT8_P12ihipStream_tbDpT10_ENKUlT_T0_E_clISt17integral_constantIbLb1EES1B_EEDaS16_S17_EUlS16_E_NS1_11comp_targetILNS1_3genE2ELNS1_11target_archE906ELNS1_3gpuE6ELNS1_3repE0EEENS1_30default_config_static_selectorELNS0_4arch9wavefront6targetE1EEEvT1_
    .private_segment_fixed_size: 0
    .sgpr_count:     4
    .sgpr_spill_count: 0
    .symbol:         _ZN7rocprim17ROCPRIM_400000_NS6detail17trampoline_kernelINS0_14default_configENS1_25partition_config_selectorILNS1_17partition_subalgoE1EjNS0_10empty_typeEbEEZZNS1_14partition_implILS5_1ELb0ES3_jN6thrust23THRUST_200600_302600_NS6detail15normal_iteratorINSA_10device_ptrIjEEEEPS6_NSA_18transform_iteratorI7is_evenIjESF_NSA_11use_defaultESK_EENS0_5tupleIJSF_NSA_16discard_iteratorISK_EEEEENSM_IJSG_SG_EEES6_PlJS6_EEE10hipError_tPvRmT3_T4_T5_T6_T7_T9_mT8_P12ihipStream_tbDpT10_ENKUlT_T0_E_clISt17integral_constantIbLb1EES1B_EEDaS16_S17_EUlS16_E_NS1_11comp_targetILNS1_3genE2ELNS1_11target_archE906ELNS1_3gpuE6ELNS1_3repE0EEENS1_30default_config_static_selectorELNS0_4arch9wavefront6targetE1EEEvT1_.kd
    .uniform_work_group_size: 1
    .uses_dynamic_stack: false
    .vgpr_count:     0
    .vgpr_spill_count: 0
    .wavefront_size: 64
  - .agpr_count:     0
    .args:
      - .offset:         0
        .size:           152
        .value_kind:     by_value
    .group_segment_fixed_size: 0
    .kernarg_segment_align: 8
    .kernarg_segment_size: 152
    .language:       OpenCL C
    .language_version:
      - 2
      - 0
    .max_flat_workgroup_size: 256
    .name:           _ZN7rocprim17ROCPRIM_400000_NS6detail17trampoline_kernelINS0_14default_configENS1_25partition_config_selectorILNS1_17partition_subalgoE1EjNS0_10empty_typeEbEEZZNS1_14partition_implILS5_1ELb0ES3_jN6thrust23THRUST_200600_302600_NS6detail15normal_iteratorINSA_10device_ptrIjEEEEPS6_NSA_18transform_iteratorI7is_evenIjESF_NSA_11use_defaultESK_EENS0_5tupleIJSF_NSA_16discard_iteratorISK_EEEEENSM_IJSG_SG_EEES6_PlJS6_EEE10hipError_tPvRmT3_T4_T5_T6_T7_T9_mT8_P12ihipStream_tbDpT10_ENKUlT_T0_E_clISt17integral_constantIbLb1EES1B_EEDaS16_S17_EUlS16_E_NS1_11comp_targetILNS1_3genE10ELNS1_11target_archE1200ELNS1_3gpuE4ELNS1_3repE0EEENS1_30default_config_static_selectorELNS0_4arch9wavefront6targetE1EEEvT1_
    .private_segment_fixed_size: 0
    .sgpr_count:     4
    .sgpr_spill_count: 0
    .symbol:         _ZN7rocprim17ROCPRIM_400000_NS6detail17trampoline_kernelINS0_14default_configENS1_25partition_config_selectorILNS1_17partition_subalgoE1EjNS0_10empty_typeEbEEZZNS1_14partition_implILS5_1ELb0ES3_jN6thrust23THRUST_200600_302600_NS6detail15normal_iteratorINSA_10device_ptrIjEEEEPS6_NSA_18transform_iteratorI7is_evenIjESF_NSA_11use_defaultESK_EENS0_5tupleIJSF_NSA_16discard_iteratorISK_EEEEENSM_IJSG_SG_EEES6_PlJS6_EEE10hipError_tPvRmT3_T4_T5_T6_T7_T9_mT8_P12ihipStream_tbDpT10_ENKUlT_T0_E_clISt17integral_constantIbLb1EES1B_EEDaS16_S17_EUlS16_E_NS1_11comp_targetILNS1_3genE10ELNS1_11target_archE1200ELNS1_3gpuE4ELNS1_3repE0EEENS1_30default_config_static_selectorELNS0_4arch9wavefront6targetE1EEEvT1_.kd
    .uniform_work_group_size: 1
    .uses_dynamic_stack: false
    .vgpr_count:     0
    .vgpr_spill_count: 0
    .wavefront_size: 64
  - .agpr_count:     0
    .args:
      - .offset:         0
        .size:           152
        .value_kind:     by_value
    .group_segment_fixed_size: 0
    .kernarg_segment_align: 8
    .kernarg_segment_size: 152
    .language:       OpenCL C
    .language_version:
      - 2
      - 0
    .max_flat_workgroup_size: 128
    .name:           _ZN7rocprim17ROCPRIM_400000_NS6detail17trampoline_kernelINS0_14default_configENS1_25partition_config_selectorILNS1_17partition_subalgoE1EjNS0_10empty_typeEbEEZZNS1_14partition_implILS5_1ELb0ES3_jN6thrust23THRUST_200600_302600_NS6detail15normal_iteratorINSA_10device_ptrIjEEEEPS6_NSA_18transform_iteratorI7is_evenIjESF_NSA_11use_defaultESK_EENS0_5tupleIJSF_NSA_16discard_iteratorISK_EEEEENSM_IJSG_SG_EEES6_PlJS6_EEE10hipError_tPvRmT3_T4_T5_T6_T7_T9_mT8_P12ihipStream_tbDpT10_ENKUlT_T0_E_clISt17integral_constantIbLb1EES1B_EEDaS16_S17_EUlS16_E_NS1_11comp_targetILNS1_3genE9ELNS1_11target_archE1100ELNS1_3gpuE3ELNS1_3repE0EEENS1_30default_config_static_selectorELNS0_4arch9wavefront6targetE1EEEvT1_
    .private_segment_fixed_size: 0
    .sgpr_count:     4
    .sgpr_spill_count: 0
    .symbol:         _ZN7rocprim17ROCPRIM_400000_NS6detail17trampoline_kernelINS0_14default_configENS1_25partition_config_selectorILNS1_17partition_subalgoE1EjNS0_10empty_typeEbEEZZNS1_14partition_implILS5_1ELb0ES3_jN6thrust23THRUST_200600_302600_NS6detail15normal_iteratorINSA_10device_ptrIjEEEEPS6_NSA_18transform_iteratorI7is_evenIjESF_NSA_11use_defaultESK_EENS0_5tupleIJSF_NSA_16discard_iteratorISK_EEEEENSM_IJSG_SG_EEES6_PlJS6_EEE10hipError_tPvRmT3_T4_T5_T6_T7_T9_mT8_P12ihipStream_tbDpT10_ENKUlT_T0_E_clISt17integral_constantIbLb1EES1B_EEDaS16_S17_EUlS16_E_NS1_11comp_targetILNS1_3genE9ELNS1_11target_archE1100ELNS1_3gpuE3ELNS1_3repE0EEENS1_30default_config_static_selectorELNS0_4arch9wavefront6targetE1EEEvT1_.kd
    .uniform_work_group_size: 1
    .uses_dynamic_stack: false
    .vgpr_count:     0
    .vgpr_spill_count: 0
    .wavefront_size: 64
  - .agpr_count:     0
    .args:
      - .offset:         0
        .size:           152
        .value_kind:     by_value
    .group_segment_fixed_size: 0
    .kernarg_segment_align: 8
    .kernarg_segment_size: 152
    .language:       OpenCL C
    .language_version:
      - 2
      - 0
    .max_flat_workgroup_size: 512
    .name:           _ZN7rocprim17ROCPRIM_400000_NS6detail17trampoline_kernelINS0_14default_configENS1_25partition_config_selectorILNS1_17partition_subalgoE1EjNS0_10empty_typeEbEEZZNS1_14partition_implILS5_1ELb0ES3_jN6thrust23THRUST_200600_302600_NS6detail15normal_iteratorINSA_10device_ptrIjEEEEPS6_NSA_18transform_iteratorI7is_evenIjESF_NSA_11use_defaultESK_EENS0_5tupleIJSF_NSA_16discard_iteratorISK_EEEEENSM_IJSG_SG_EEES6_PlJS6_EEE10hipError_tPvRmT3_T4_T5_T6_T7_T9_mT8_P12ihipStream_tbDpT10_ENKUlT_T0_E_clISt17integral_constantIbLb1EES1B_EEDaS16_S17_EUlS16_E_NS1_11comp_targetILNS1_3genE8ELNS1_11target_archE1030ELNS1_3gpuE2ELNS1_3repE0EEENS1_30default_config_static_selectorELNS0_4arch9wavefront6targetE1EEEvT1_
    .private_segment_fixed_size: 0
    .sgpr_count:     4
    .sgpr_spill_count: 0
    .symbol:         _ZN7rocprim17ROCPRIM_400000_NS6detail17trampoline_kernelINS0_14default_configENS1_25partition_config_selectorILNS1_17partition_subalgoE1EjNS0_10empty_typeEbEEZZNS1_14partition_implILS5_1ELb0ES3_jN6thrust23THRUST_200600_302600_NS6detail15normal_iteratorINSA_10device_ptrIjEEEEPS6_NSA_18transform_iteratorI7is_evenIjESF_NSA_11use_defaultESK_EENS0_5tupleIJSF_NSA_16discard_iteratorISK_EEEEENSM_IJSG_SG_EEES6_PlJS6_EEE10hipError_tPvRmT3_T4_T5_T6_T7_T9_mT8_P12ihipStream_tbDpT10_ENKUlT_T0_E_clISt17integral_constantIbLb1EES1B_EEDaS16_S17_EUlS16_E_NS1_11comp_targetILNS1_3genE8ELNS1_11target_archE1030ELNS1_3gpuE2ELNS1_3repE0EEENS1_30default_config_static_selectorELNS0_4arch9wavefront6targetE1EEEvT1_.kd
    .uniform_work_group_size: 1
    .uses_dynamic_stack: false
    .vgpr_count:     0
    .vgpr_spill_count: 0
    .wavefront_size: 64
  - .agpr_count:     0
    .args:
      - .offset:         0
        .size:           136
        .value_kind:     by_value
    .group_segment_fixed_size: 0
    .kernarg_segment_align: 8
    .kernarg_segment_size: 136
    .language:       OpenCL C
    .language_version:
      - 2
      - 0
    .max_flat_workgroup_size: 256
    .name:           _ZN7rocprim17ROCPRIM_400000_NS6detail17trampoline_kernelINS0_14default_configENS1_25partition_config_selectorILNS1_17partition_subalgoE1EjNS0_10empty_typeEbEEZZNS1_14partition_implILS5_1ELb0ES3_jN6thrust23THRUST_200600_302600_NS6detail15normal_iteratorINSA_10device_ptrIjEEEEPS6_NSA_18transform_iteratorI7is_evenIjESF_NSA_11use_defaultESK_EENS0_5tupleIJSF_NSA_16discard_iteratorISK_EEEEENSM_IJSG_SG_EEES6_PlJS6_EEE10hipError_tPvRmT3_T4_T5_T6_T7_T9_mT8_P12ihipStream_tbDpT10_ENKUlT_T0_E_clISt17integral_constantIbLb1EES1A_IbLb0EEEEDaS16_S17_EUlS16_E_NS1_11comp_targetILNS1_3genE0ELNS1_11target_archE4294967295ELNS1_3gpuE0ELNS1_3repE0EEENS1_30default_config_static_selectorELNS0_4arch9wavefront6targetE1EEEvT1_
    .private_segment_fixed_size: 0
    .sgpr_count:     4
    .sgpr_spill_count: 0
    .symbol:         _ZN7rocprim17ROCPRIM_400000_NS6detail17trampoline_kernelINS0_14default_configENS1_25partition_config_selectorILNS1_17partition_subalgoE1EjNS0_10empty_typeEbEEZZNS1_14partition_implILS5_1ELb0ES3_jN6thrust23THRUST_200600_302600_NS6detail15normal_iteratorINSA_10device_ptrIjEEEEPS6_NSA_18transform_iteratorI7is_evenIjESF_NSA_11use_defaultESK_EENS0_5tupleIJSF_NSA_16discard_iteratorISK_EEEEENSM_IJSG_SG_EEES6_PlJS6_EEE10hipError_tPvRmT3_T4_T5_T6_T7_T9_mT8_P12ihipStream_tbDpT10_ENKUlT_T0_E_clISt17integral_constantIbLb1EES1A_IbLb0EEEEDaS16_S17_EUlS16_E_NS1_11comp_targetILNS1_3genE0ELNS1_11target_archE4294967295ELNS1_3gpuE0ELNS1_3repE0EEENS1_30default_config_static_selectorELNS0_4arch9wavefront6targetE1EEEvT1_.kd
    .uniform_work_group_size: 1
    .uses_dynamic_stack: false
    .vgpr_count:     0
    .vgpr_spill_count: 0
    .wavefront_size: 64
  - .agpr_count:     0
    .args:
      - .offset:         0
        .size:           136
        .value_kind:     by_value
    .group_segment_fixed_size: 0
    .kernarg_segment_align: 8
    .kernarg_segment_size: 136
    .language:       OpenCL C
    .language_version:
      - 2
      - 0
    .max_flat_workgroup_size: 512
    .name:           _ZN7rocprim17ROCPRIM_400000_NS6detail17trampoline_kernelINS0_14default_configENS1_25partition_config_selectorILNS1_17partition_subalgoE1EjNS0_10empty_typeEbEEZZNS1_14partition_implILS5_1ELb0ES3_jN6thrust23THRUST_200600_302600_NS6detail15normal_iteratorINSA_10device_ptrIjEEEEPS6_NSA_18transform_iteratorI7is_evenIjESF_NSA_11use_defaultESK_EENS0_5tupleIJSF_NSA_16discard_iteratorISK_EEEEENSM_IJSG_SG_EEES6_PlJS6_EEE10hipError_tPvRmT3_T4_T5_T6_T7_T9_mT8_P12ihipStream_tbDpT10_ENKUlT_T0_E_clISt17integral_constantIbLb1EES1A_IbLb0EEEEDaS16_S17_EUlS16_E_NS1_11comp_targetILNS1_3genE5ELNS1_11target_archE942ELNS1_3gpuE9ELNS1_3repE0EEENS1_30default_config_static_selectorELNS0_4arch9wavefront6targetE1EEEvT1_
    .private_segment_fixed_size: 0
    .sgpr_count:     4
    .sgpr_spill_count: 0
    .symbol:         _ZN7rocprim17ROCPRIM_400000_NS6detail17trampoline_kernelINS0_14default_configENS1_25partition_config_selectorILNS1_17partition_subalgoE1EjNS0_10empty_typeEbEEZZNS1_14partition_implILS5_1ELb0ES3_jN6thrust23THRUST_200600_302600_NS6detail15normal_iteratorINSA_10device_ptrIjEEEEPS6_NSA_18transform_iteratorI7is_evenIjESF_NSA_11use_defaultESK_EENS0_5tupleIJSF_NSA_16discard_iteratorISK_EEEEENSM_IJSG_SG_EEES6_PlJS6_EEE10hipError_tPvRmT3_T4_T5_T6_T7_T9_mT8_P12ihipStream_tbDpT10_ENKUlT_T0_E_clISt17integral_constantIbLb1EES1A_IbLb0EEEEDaS16_S17_EUlS16_E_NS1_11comp_targetILNS1_3genE5ELNS1_11target_archE942ELNS1_3gpuE9ELNS1_3repE0EEENS1_30default_config_static_selectorELNS0_4arch9wavefront6targetE1EEEvT1_.kd
    .uniform_work_group_size: 1
    .uses_dynamic_stack: false
    .vgpr_count:     0
    .vgpr_spill_count: 0
    .wavefront_size: 64
  - .agpr_count:     0
    .args:
      - .offset:         0
        .size:           136
        .value_kind:     by_value
    .group_segment_fixed_size: 7176
    .kernarg_segment_align: 8
    .kernarg_segment_size: 136
    .language:       OpenCL C
    .language_version:
      - 2
      - 0
    .max_flat_workgroup_size: 256
    .name:           _ZN7rocprim17ROCPRIM_400000_NS6detail17trampoline_kernelINS0_14default_configENS1_25partition_config_selectorILNS1_17partition_subalgoE1EjNS0_10empty_typeEbEEZZNS1_14partition_implILS5_1ELb0ES3_jN6thrust23THRUST_200600_302600_NS6detail15normal_iteratorINSA_10device_ptrIjEEEEPS6_NSA_18transform_iteratorI7is_evenIjESF_NSA_11use_defaultESK_EENS0_5tupleIJSF_NSA_16discard_iteratorISK_EEEEENSM_IJSG_SG_EEES6_PlJS6_EEE10hipError_tPvRmT3_T4_T5_T6_T7_T9_mT8_P12ihipStream_tbDpT10_ENKUlT_T0_E_clISt17integral_constantIbLb1EES1A_IbLb0EEEEDaS16_S17_EUlS16_E_NS1_11comp_targetILNS1_3genE4ELNS1_11target_archE910ELNS1_3gpuE8ELNS1_3repE0EEENS1_30default_config_static_selectorELNS0_4arch9wavefront6targetE1EEEvT1_
    .private_segment_fixed_size: 0
    .sgpr_count:     44
    .sgpr_spill_count: 0
    .symbol:         _ZN7rocprim17ROCPRIM_400000_NS6detail17trampoline_kernelINS0_14default_configENS1_25partition_config_selectorILNS1_17partition_subalgoE1EjNS0_10empty_typeEbEEZZNS1_14partition_implILS5_1ELb0ES3_jN6thrust23THRUST_200600_302600_NS6detail15normal_iteratorINSA_10device_ptrIjEEEEPS6_NSA_18transform_iteratorI7is_evenIjESF_NSA_11use_defaultESK_EENS0_5tupleIJSF_NSA_16discard_iteratorISK_EEEEENSM_IJSG_SG_EEES6_PlJS6_EEE10hipError_tPvRmT3_T4_T5_T6_T7_T9_mT8_P12ihipStream_tbDpT10_ENKUlT_T0_E_clISt17integral_constantIbLb1EES1A_IbLb0EEEEDaS16_S17_EUlS16_E_NS1_11comp_targetILNS1_3genE4ELNS1_11target_archE910ELNS1_3gpuE8ELNS1_3repE0EEENS1_30default_config_static_selectorELNS0_4arch9wavefront6targetE1EEEvT1_.kd
    .uniform_work_group_size: 1
    .uses_dynamic_stack: false
    .vgpr_count:     47
    .vgpr_spill_count: 0
    .wavefront_size: 64
  - .agpr_count:     0
    .args:
      - .offset:         0
        .size:           136
        .value_kind:     by_value
    .group_segment_fixed_size: 0
    .kernarg_segment_align: 8
    .kernarg_segment_size: 136
    .language:       OpenCL C
    .language_version:
      - 2
      - 0
    .max_flat_workgroup_size: 256
    .name:           _ZN7rocprim17ROCPRIM_400000_NS6detail17trampoline_kernelINS0_14default_configENS1_25partition_config_selectorILNS1_17partition_subalgoE1EjNS0_10empty_typeEbEEZZNS1_14partition_implILS5_1ELb0ES3_jN6thrust23THRUST_200600_302600_NS6detail15normal_iteratorINSA_10device_ptrIjEEEEPS6_NSA_18transform_iteratorI7is_evenIjESF_NSA_11use_defaultESK_EENS0_5tupleIJSF_NSA_16discard_iteratorISK_EEEEENSM_IJSG_SG_EEES6_PlJS6_EEE10hipError_tPvRmT3_T4_T5_T6_T7_T9_mT8_P12ihipStream_tbDpT10_ENKUlT_T0_E_clISt17integral_constantIbLb1EES1A_IbLb0EEEEDaS16_S17_EUlS16_E_NS1_11comp_targetILNS1_3genE3ELNS1_11target_archE908ELNS1_3gpuE7ELNS1_3repE0EEENS1_30default_config_static_selectorELNS0_4arch9wavefront6targetE1EEEvT1_
    .private_segment_fixed_size: 0
    .sgpr_count:     4
    .sgpr_spill_count: 0
    .symbol:         _ZN7rocprim17ROCPRIM_400000_NS6detail17trampoline_kernelINS0_14default_configENS1_25partition_config_selectorILNS1_17partition_subalgoE1EjNS0_10empty_typeEbEEZZNS1_14partition_implILS5_1ELb0ES3_jN6thrust23THRUST_200600_302600_NS6detail15normal_iteratorINSA_10device_ptrIjEEEEPS6_NSA_18transform_iteratorI7is_evenIjESF_NSA_11use_defaultESK_EENS0_5tupleIJSF_NSA_16discard_iteratorISK_EEEEENSM_IJSG_SG_EEES6_PlJS6_EEE10hipError_tPvRmT3_T4_T5_T6_T7_T9_mT8_P12ihipStream_tbDpT10_ENKUlT_T0_E_clISt17integral_constantIbLb1EES1A_IbLb0EEEEDaS16_S17_EUlS16_E_NS1_11comp_targetILNS1_3genE3ELNS1_11target_archE908ELNS1_3gpuE7ELNS1_3repE0EEENS1_30default_config_static_selectorELNS0_4arch9wavefront6targetE1EEEvT1_.kd
    .uniform_work_group_size: 1
    .uses_dynamic_stack: false
    .vgpr_count:     0
    .vgpr_spill_count: 0
    .wavefront_size: 64
  - .agpr_count:     0
    .args:
      - .offset:         0
        .size:           136
        .value_kind:     by_value
    .group_segment_fixed_size: 0
    .kernarg_segment_align: 8
    .kernarg_segment_size: 136
    .language:       OpenCL C
    .language_version:
      - 2
      - 0
    .max_flat_workgroup_size: 256
    .name:           _ZN7rocprim17ROCPRIM_400000_NS6detail17trampoline_kernelINS0_14default_configENS1_25partition_config_selectorILNS1_17partition_subalgoE1EjNS0_10empty_typeEbEEZZNS1_14partition_implILS5_1ELb0ES3_jN6thrust23THRUST_200600_302600_NS6detail15normal_iteratorINSA_10device_ptrIjEEEEPS6_NSA_18transform_iteratorI7is_evenIjESF_NSA_11use_defaultESK_EENS0_5tupleIJSF_NSA_16discard_iteratorISK_EEEEENSM_IJSG_SG_EEES6_PlJS6_EEE10hipError_tPvRmT3_T4_T5_T6_T7_T9_mT8_P12ihipStream_tbDpT10_ENKUlT_T0_E_clISt17integral_constantIbLb1EES1A_IbLb0EEEEDaS16_S17_EUlS16_E_NS1_11comp_targetILNS1_3genE2ELNS1_11target_archE906ELNS1_3gpuE6ELNS1_3repE0EEENS1_30default_config_static_selectorELNS0_4arch9wavefront6targetE1EEEvT1_
    .private_segment_fixed_size: 0
    .sgpr_count:     4
    .sgpr_spill_count: 0
    .symbol:         _ZN7rocprim17ROCPRIM_400000_NS6detail17trampoline_kernelINS0_14default_configENS1_25partition_config_selectorILNS1_17partition_subalgoE1EjNS0_10empty_typeEbEEZZNS1_14partition_implILS5_1ELb0ES3_jN6thrust23THRUST_200600_302600_NS6detail15normal_iteratorINSA_10device_ptrIjEEEEPS6_NSA_18transform_iteratorI7is_evenIjESF_NSA_11use_defaultESK_EENS0_5tupleIJSF_NSA_16discard_iteratorISK_EEEEENSM_IJSG_SG_EEES6_PlJS6_EEE10hipError_tPvRmT3_T4_T5_T6_T7_T9_mT8_P12ihipStream_tbDpT10_ENKUlT_T0_E_clISt17integral_constantIbLb1EES1A_IbLb0EEEEDaS16_S17_EUlS16_E_NS1_11comp_targetILNS1_3genE2ELNS1_11target_archE906ELNS1_3gpuE6ELNS1_3repE0EEENS1_30default_config_static_selectorELNS0_4arch9wavefront6targetE1EEEvT1_.kd
    .uniform_work_group_size: 1
    .uses_dynamic_stack: false
    .vgpr_count:     0
    .vgpr_spill_count: 0
    .wavefront_size: 64
  - .agpr_count:     0
    .args:
      - .offset:         0
        .size:           136
        .value_kind:     by_value
    .group_segment_fixed_size: 0
    .kernarg_segment_align: 8
    .kernarg_segment_size: 136
    .language:       OpenCL C
    .language_version:
      - 2
      - 0
    .max_flat_workgroup_size: 256
    .name:           _ZN7rocprim17ROCPRIM_400000_NS6detail17trampoline_kernelINS0_14default_configENS1_25partition_config_selectorILNS1_17partition_subalgoE1EjNS0_10empty_typeEbEEZZNS1_14partition_implILS5_1ELb0ES3_jN6thrust23THRUST_200600_302600_NS6detail15normal_iteratorINSA_10device_ptrIjEEEEPS6_NSA_18transform_iteratorI7is_evenIjESF_NSA_11use_defaultESK_EENS0_5tupleIJSF_NSA_16discard_iteratorISK_EEEEENSM_IJSG_SG_EEES6_PlJS6_EEE10hipError_tPvRmT3_T4_T5_T6_T7_T9_mT8_P12ihipStream_tbDpT10_ENKUlT_T0_E_clISt17integral_constantIbLb1EES1A_IbLb0EEEEDaS16_S17_EUlS16_E_NS1_11comp_targetILNS1_3genE10ELNS1_11target_archE1200ELNS1_3gpuE4ELNS1_3repE0EEENS1_30default_config_static_selectorELNS0_4arch9wavefront6targetE1EEEvT1_
    .private_segment_fixed_size: 0
    .sgpr_count:     4
    .sgpr_spill_count: 0
    .symbol:         _ZN7rocprim17ROCPRIM_400000_NS6detail17trampoline_kernelINS0_14default_configENS1_25partition_config_selectorILNS1_17partition_subalgoE1EjNS0_10empty_typeEbEEZZNS1_14partition_implILS5_1ELb0ES3_jN6thrust23THRUST_200600_302600_NS6detail15normal_iteratorINSA_10device_ptrIjEEEEPS6_NSA_18transform_iteratorI7is_evenIjESF_NSA_11use_defaultESK_EENS0_5tupleIJSF_NSA_16discard_iteratorISK_EEEEENSM_IJSG_SG_EEES6_PlJS6_EEE10hipError_tPvRmT3_T4_T5_T6_T7_T9_mT8_P12ihipStream_tbDpT10_ENKUlT_T0_E_clISt17integral_constantIbLb1EES1A_IbLb0EEEEDaS16_S17_EUlS16_E_NS1_11comp_targetILNS1_3genE10ELNS1_11target_archE1200ELNS1_3gpuE4ELNS1_3repE0EEENS1_30default_config_static_selectorELNS0_4arch9wavefront6targetE1EEEvT1_.kd
    .uniform_work_group_size: 1
    .uses_dynamic_stack: false
    .vgpr_count:     0
    .vgpr_spill_count: 0
    .wavefront_size: 64
  - .agpr_count:     0
    .args:
      - .offset:         0
        .size:           136
        .value_kind:     by_value
    .group_segment_fixed_size: 0
    .kernarg_segment_align: 8
    .kernarg_segment_size: 136
    .language:       OpenCL C
    .language_version:
      - 2
      - 0
    .max_flat_workgroup_size: 128
    .name:           _ZN7rocprim17ROCPRIM_400000_NS6detail17trampoline_kernelINS0_14default_configENS1_25partition_config_selectorILNS1_17partition_subalgoE1EjNS0_10empty_typeEbEEZZNS1_14partition_implILS5_1ELb0ES3_jN6thrust23THRUST_200600_302600_NS6detail15normal_iteratorINSA_10device_ptrIjEEEEPS6_NSA_18transform_iteratorI7is_evenIjESF_NSA_11use_defaultESK_EENS0_5tupleIJSF_NSA_16discard_iteratorISK_EEEEENSM_IJSG_SG_EEES6_PlJS6_EEE10hipError_tPvRmT3_T4_T5_T6_T7_T9_mT8_P12ihipStream_tbDpT10_ENKUlT_T0_E_clISt17integral_constantIbLb1EES1A_IbLb0EEEEDaS16_S17_EUlS16_E_NS1_11comp_targetILNS1_3genE9ELNS1_11target_archE1100ELNS1_3gpuE3ELNS1_3repE0EEENS1_30default_config_static_selectorELNS0_4arch9wavefront6targetE1EEEvT1_
    .private_segment_fixed_size: 0
    .sgpr_count:     4
    .sgpr_spill_count: 0
    .symbol:         _ZN7rocprim17ROCPRIM_400000_NS6detail17trampoline_kernelINS0_14default_configENS1_25partition_config_selectorILNS1_17partition_subalgoE1EjNS0_10empty_typeEbEEZZNS1_14partition_implILS5_1ELb0ES3_jN6thrust23THRUST_200600_302600_NS6detail15normal_iteratorINSA_10device_ptrIjEEEEPS6_NSA_18transform_iteratorI7is_evenIjESF_NSA_11use_defaultESK_EENS0_5tupleIJSF_NSA_16discard_iteratorISK_EEEEENSM_IJSG_SG_EEES6_PlJS6_EEE10hipError_tPvRmT3_T4_T5_T6_T7_T9_mT8_P12ihipStream_tbDpT10_ENKUlT_T0_E_clISt17integral_constantIbLb1EES1A_IbLb0EEEEDaS16_S17_EUlS16_E_NS1_11comp_targetILNS1_3genE9ELNS1_11target_archE1100ELNS1_3gpuE3ELNS1_3repE0EEENS1_30default_config_static_selectorELNS0_4arch9wavefront6targetE1EEEvT1_.kd
    .uniform_work_group_size: 1
    .uses_dynamic_stack: false
    .vgpr_count:     0
    .vgpr_spill_count: 0
    .wavefront_size: 64
  - .agpr_count:     0
    .args:
      - .offset:         0
        .size:           136
        .value_kind:     by_value
    .group_segment_fixed_size: 0
    .kernarg_segment_align: 8
    .kernarg_segment_size: 136
    .language:       OpenCL C
    .language_version:
      - 2
      - 0
    .max_flat_workgroup_size: 512
    .name:           _ZN7rocprim17ROCPRIM_400000_NS6detail17trampoline_kernelINS0_14default_configENS1_25partition_config_selectorILNS1_17partition_subalgoE1EjNS0_10empty_typeEbEEZZNS1_14partition_implILS5_1ELb0ES3_jN6thrust23THRUST_200600_302600_NS6detail15normal_iteratorINSA_10device_ptrIjEEEEPS6_NSA_18transform_iteratorI7is_evenIjESF_NSA_11use_defaultESK_EENS0_5tupleIJSF_NSA_16discard_iteratorISK_EEEEENSM_IJSG_SG_EEES6_PlJS6_EEE10hipError_tPvRmT3_T4_T5_T6_T7_T9_mT8_P12ihipStream_tbDpT10_ENKUlT_T0_E_clISt17integral_constantIbLb1EES1A_IbLb0EEEEDaS16_S17_EUlS16_E_NS1_11comp_targetILNS1_3genE8ELNS1_11target_archE1030ELNS1_3gpuE2ELNS1_3repE0EEENS1_30default_config_static_selectorELNS0_4arch9wavefront6targetE1EEEvT1_
    .private_segment_fixed_size: 0
    .sgpr_count:     4
    .sgpr_spill_count: 0
    .symbol:         _ZN7rocprim17ROCPRIM_400000_NS6detail17trampoline_kernelINS0_14default_configENS1_25partition_config_selectorILNS1_17partition_subalgoE1EjNS0_10empty_typeEbEEZZNS1_14partition_implILS5_1ELb0ES3_jN6thrust23THRUST_200600_302600_NS6detail15normal_iteratorINSA_10device_ptrIjEEEEPS6_NSA_18transform_iteratorI7is_evenIjESF_NSA_11use_defaultESK_EENS0_5tupleIJSF_NSA_16discard_iteratorISK_EEEEENSM_IJSG_SG_EEES6_PlJS6_EEE10hipError_tPvRmT3_T4_T5_T6_T7_T9_mT8_P12ihipStream_tbDpT10_ENKUlT_T0_E_clISt17integral_constantIbLb1EES1A_IbLb0EEEEDaS16_S17_EUlS16_E_NS1_11comp_targetILNS1_3genE8ELNS1_11target_archE1030ELNS1_3gpuE2ELNS1_3repE0EEENS1_30default_config_static_selectorELNS0_4arch9wavefront6targetE1EEEvT1_.kd
    .uniform_work_group_size: 1
    .uses_dynamic_stack: false
    .vgpr_count:     0
    .vgpr_spill_count: 0
    .wavefront_size: 64
  - .agpr_count:     0
    .args:
      - .offset:         0
        .size:           152
        .value_kind:     by_value
    .group_segment_fixed_size: 0
    .kernarg_segment_align: 8
    .kernarg_segment_size: 152
    .language:       OpenCL C
    .language_version:
      - 2
      - 0
    .max_flat_workgroup_size: 256
    .name:           _ZN7rocprim17ROCPRIM_400000_NS6detail17trampoline_kernelINS0_14default_configENS1_25partition_config_selectorILNS1_17partition_subalgoE1EjNS0_10empty_typeEbEEZZNS1_14partition_implILS5_1ELb0ES3_jN6thrust23THRUST_200600_302600_NS6detail15normal_iteratorINSA_10device_ptrIjEEEEPS6_NSA_18transform_iteratorI7is_evenIjESF_NSA_11use_defaultESK_EENS0_5tupleIJSF_NSA_16discard_iteratorISK_EEEEENSM_IJSG_SG_EEES6_PlJS6_EEE10hipError_tPvRmT3_T4_T5_T6_T7_T9_mT8_P12ihipStream_tbDpT10_ENKUlT_T0_E_clISt17integral_constantIbLb0EES1A_IbLb1EEEEDaS16_S17_EUlS16_E_NS1_11comp_targetILNS1_3genE0ELNS1_11target_archE4294967295ELNS1_3gpuE0ELNS1_3repE0EEENS1_30default_config_static_selectorELNS0_4arch9wavefront6targetE1EEEvT1_
    .private_segment_fixed_size: 0
    .sgpr_count:     4
    .sgpr_spill_count: 0
    .symbol:         _ZN7rocprim17ROCPRIM_400000_NS6detail17trampoline_kernelINS0_14default_configENS1_25partition_config_selectorILNS1_17partition_subalgoE1EjNS0_10empty_typeEbEEZZNS1_14partition_implILS5_1ELb0ES3_jN6thrust23THRUST_200600_302600_NS6detail15normal_iteratorINSA_10device_ptrIjEEEEPS6_NSA_18transform_iteratorI7is_evenIjESF_NSA_11use_defaultESK_EENS0_5tupleIJSF_NSA_16discard_iteratorISK_EEEEENSM_IJSG_SG_EEES6_PlJS6_EEE10hipError_tPvRmT3_T4_T5_T6_T7_T9_mT8_P12ihipStream_tbDpT10_ENKUlT_T0_E_clISt17integral_constantIbLb0EES1A_IbLb1EEEEDaS16_S17_EUlS16_E_NS1_11comp_targetILNS1_3genE0ELNS1_11target_archE4294967295ELNS1_3gpuE0ELNS1_3repE0EEENS1_30default_config_static_selectorELNS0_4arch9wavefront6targetE1EEEvT1_.kd
    .uniform_work_group_size: 1
    .uses_dynamic_stack: false
    .vgpr_count:     0
    .vgpr_spill_count: 0
    .wavefront_size: 64
  - .agpr_count:     0
    .args:
      - .offset:         0
        .size:           152
        .value_kind:     by_value
    .group_segment_fixed_size: 0
    .kernarg_segment_align: 8
    .kernarg_segment_size: 152
    .language:       OpenCL C
    .language_version:
      - 2
      - 0
    .max_flat_workgroup_size: 512
    .name:           _ZN7rocprim17ROCPRIM_400000_NS6detail17trampoline_kernelINS0_14default_configENS1_25partition_config_selectorILNS1_17partition_subalgoE1EjNS0_10empty_typeEbEEZZNS1_14partition_implILS5_1ELb0ES3_jN6thrust23THRUST_200600_302600_NS6detail15normal_iteratorINSA_10device_ptrIjEEEEPS6_NSA_18transform_iteratorI7is_evenIjESF_NSA_11use_defaultESK_EENS0_5tupleIJSF_NSA_16discard_iteratorISK_EEEEENSM_IJSG_SG_EEES6_PlJS6_EEE10hipError_tPvRmT3_T4_T5_T6_T7_T9_mT8_P12ihipStream_tbDpT10_ENKUlT_T0_E_clISt17integral_constantIbLb0EES1A_IbLb1EEEEDaS16_S17_EUlS16_E_NS1_11comp_targetILNS1_3genE5ELNS1_11target_archE942ELNS1_3gpuE9ELNS1_3repE0EEENS1_30default_config_static_selectorELNS0_4arch9wavefront6targetE1EEEvT1_
    .private_segment_fixed_size: 0
    .sgpr_count:     4
    .sgpr_spill_count: 0
    .symbol:         _ZN7rocprim17ROCPRIM_400000_NS6detail17trampoline_kernelINS0_14default_configENS1_25partition_config_selectorILNS1_17partition_subalgoE1EjNS0_10empty_typeEbEEZZNS1_14partition_implILS5_1ELb0ES3_jN6thrust23THRUST_200600_302600_NS6detail15normal_iteratorINSA_10device_ptrIjEEEEPS6_NSA_18transform_iteratorI7is_evenIjESF_NSA_11use_defaultESK_EENS0_5tupleIJSF_NSA_16discard_iteratorISK_EEEEENSM_IJSG_SG_EEES6_PlJS6_EEE10hipError_tPvRmT3_T4_T5_T6_T7_T9_mT8_P12ihipStream_tbDpT10_ENKUlT_T0_E_clISt17integral_constantIbLb0EES1A_IbLb1EEEEDaS16_S17_EUlS16_E_NS1_11comp_targetILNS1_3genE5ELNS1_11target_archE942ELNS1_3gpuE9ELNS1_3repE0EEENS1_30default_config_static_selectorELNS0_4arch9wavefront6targetE1EEEvT1_.kd
    .uniform_work_group_size: 1
    .uses_dynamic_stack: false
    .vgpr_count:     0
    .vgpr_spill_count: 0
    .wavefront_size: 64
  - .agpr_count:     0
    .args:
      - .offset:         0
        .size:           152
        .value_kind:     by_value
    .group_segment_fixed_size: 7176
    .kernarg_segment_align: 8
    .kernarg_segment_size: 152
    .language:       OpenCL C
    .language_version:
      - 2
      - 0
    .max_flat_workgroup_size: 256
    .name:           _ZN7rocprim17ROCPRIM_400000_NS6detail17trampoline_kernelINS0_14default_configENS1_25partition_config_selectorILNS1_17partition_subalgoE1EjNS0_10empty_typeEbEEZZNS1_14partition_implILS5_1ELb0ES3_jN6thrust23THRUST_200600_302600_NS6detail15normal_iteratorINSA_10device_ptrIjEEEEPS6_NSA_18transform_iteratorI7is_evenIjESF_NSA_11use_defaultESK_EENS0_5tupleIJSF_NSA_16discard_iteratorISK_EEEEENSM_IJSG_SG_EEES6_PlJS6_EEE10hipError_tPvRmT3_T4_T5_T6_T7_T9_mT8_P12ihipStream_tbDpT10_ENKUlT_T0_E_clISt17integral_constantIbLb0EES1A_IbLb1EEEEDaS16_S17_EUlS16_E_NS1_11comp_targetILNS1_3genE4ELNS1_11target_archE910ELNS1_3gpuE8ELNS1_3repE0EEENS1_30default_config_static_selectorELNS0_4arch9wavefront6targetE1EEEvT1_
    .private_segment_fixed_size: 0
    .sgpr_count:     44
    .sgpr_spill_count: 0
    .symbol:         _ZN7rocprim17ROCPRIM_400000_NS6detail17trampoline_kernelINS0_14default_configENS1_25partition_config_selectorILNS1_17partition_subalgoE1EjNS0_10empty_typeEbEEZZNS1_14partition_implILS5_1ELb0ES3_jN6thrust23THRUST_200600_302600_NS6detail15normal_iteratorINSA_10device_ptrIjEEEEPS6_NSA_18transform_iteratorI7is_evenIjESF_NSA_11use_defaultESK_EENS0_5tupleIJSF_NSA_16discard_iteratorISK_EEEEENSM_IJSG_SG_EEES6_PlJS6_EEE10hipError_tPvRmT3_T4_T5_T6_T7_T9_mT8_P12ihipStream_tbDpT10_ENKUlT_T0_E_clISt17integral_constantIbLb0EES1A_IbLb1EEEEDaS16_S17_EUlS16_E_NS1_11comp_targetILNS1_3genE4ELNS1_11target_archE910ELNS1_3gpuE8ELNS1_3repE0EEENS1_30default_config_static_selectorELNS0_4arch9wavefront6targetE1EEEvT1_.kd
    .uniform_work_group_size: 1
    .uses_dynamic_stack: false
    .vgpr_count:     49
    .vgpr_spill_count: 0
    .wavefront_size: 64
  - .agpr_count:     0
    .args:
      - .offset:         0
        .size:           152
        .value_kind:     by_value
    .group_segment_fixed_size: 0
    .kernarg_segment_align: 8
    .kernarg_segment_size: 152
    .language:       OpenCL C
    .language_version:
      - 2
      - 0
    .max_flat_workgroup_size: 256
    .name:           _ZN7rocprim17ROCPRIM_400000_NS6detail17trampoline_kernelINS0_14default_configENS1_25partition_config_selectorILNS1_17partition_subalgoE1EjNS0_10empty_typeEbEEZZNS1_14partition_implILS5_1ELb0ES3_jN6thrust23THRUST_200600_302600_NS6detail15normal_iteratorINSA_10device_ptrIjEEEEPS6_NSA_18transform_iteratorI7is_evenIjESF_NSA_11use_defaultESK_EENS0_5tupleIJSF_NSA_16discard_iteratorISK_EEEEENSM_IJSG_SG_EEES6_PlJS6_EEE10hipError_tPvRmT3_T4_T5_T6_T7_T9_mT8_P12ihipStream_tbDpT10_ENKUlT_T0_E_clISt17integral_constantIbLb0EES1A_IbLb1EEEEDaS16_S17_EUlS16_E_NS1_11comp_targetILNS1_3genE3ELNS1_11target_archE908ELNS1_3gpuE7ELNS1_3repE0EEENS1_30default_config_static_selectorELNS0_4arch9wavefront6targetE1EEEvT1_
    .private_segment_fixed_size: 0
    .sgpr_count:     4
    .sgpr_spill_count: 0
    .symbol:         _ZN7rocprim17ROCPRIM_400000_NS6detail17trampoline_kernelINS0_14default_configENS1_25partition_config_selectorILNS1_17partition_subalgoE1EjNS0_10empty_typeEbEEZZNS1_14partition_implILS5_1ELb0ES3_jN6thrust23THRUST_200600_302600_NS6detail15normal_iteratorINSA_10device_ptrIjEEEEPS6_NSA_18transform_iteratorI7is_evenIjESF_NSA_11use_defaultESK_EENS0_5tupleIJSF_NSA_16discard_iteratorISK_EEEEENSM_IJSG_SG_EEES6_PlJS6_EEE10hipError_tPvRmT3_T4_T5_T6_T7_T9_mT8_P12ihipStream_tbDpT10_ENKUlT_T0_E_clISt17integral_constantIbLb0EES1A_IbLb1EEEEDaS16_S17_EUlS16_E_NS1_11comp_targetILNS1_3genE3ELNS1_11target_archE908ELNS1_3gpuE7ELNS1_3repE0EEENS1_30default_config_static_selectorELNS0_4arch9wavefront6targetE1EEEvT1_.kd
    .uniform_work_group_size: 1
    .uses_dynamic_stack: false
    .vgpr_count:     0
    .vgpr_spill_count: 0
    .wavefront_size: 64
  - .agpr_count:     0
    .args:
      - .offset:         0
        .size:           152
        .value_kind:     by_value
    .group_segment_fixed_size: 0
    .kernarg_segment_align: 8
    .kernarg_segment_size: 152
    .language:       OpenCL C
    .language_version:
      - 2
      - 0
    .max_flat_workgroup_size: 256
    .name:           _ZN7rocprim17ROCPRIM_400000_NS6detail17trampoline_kernelINS0_14default_configENS1_25partition_config_selectorILNS1_17partition_subalgoE1EjNS0_10empty_typeEbEEZZNS1_14partition_implILS5_1ELb0ES3_jN6thrust23THRUST_200600_302600_NS6detail15normal_iteratorINSA_10device_ptrIjEEEEPS6_NSA_18transform_iteratorI7is_evenIjESF_NSA_11use_defaultESK_EENS0_5tupleIJSF_NSA_16discard_iteratorISK_EEEEENSM_IJSG_SG_EEES6_PlJS6_EEE10hipError_tPvRmT3_T4_T5_T6_T7_T9_mT8_P12ihipStream_tbDpT10_ENKUlT_T0_E_clISt17integral_constantIbLb0EES1A_IbLb1EEEEDaS16_S17_EUlS16_E_NS1_11comp_targetILNS1_3genE2ELNS1_11target_archE906ELNS1_3gpuE6ELNS1_3repE0EEENS1_30default_config_static_selectorELNS0_4arch9wavefront6targetE1EEEvT1_
    .private_segment_fixed_size: 0
    .sgpr_count:     4
    .sgpr_spill_count: 0
    .symbol:         _ZN7rocprim17ROCPRIM_400000_NS6detail17trampoline_kernelINS0_14default_configENS1_25partition_config_selectorILNS1_17partition_subalgoE1EjNS0_10empty_typeEbEEZZNS1_14partition_implILS5_1ELb0ES3_jN6thrust23THRUST_200600_302600_NS6detail15normal_iteratorINSA_10device_ptrIjEEEEPS6_NSA_18transform_iteratorI7is_evenIjESF_NSA_11use_defaultESK_EENS0_5tupleIJSF_NSA_16discard_iteratorISK_EEEEENSM_IJSG_SG_EEES6_PlJS6_EEE10hipError_tPvRmT3_T4_T5_T6_T7_T9_mT8_P12ihipStream_tbDpT10_ENKUlT_T0_E_clISt17integral_constantIbLb0EES1A_IbLb1EEEEDaS16_S17_EUlS16_E_NS1_11comp_targetILNS1_3genE2ELNS1_11target_archE906ELNS1_3gpuE6ELNS1_3repE0EEENS1_30default_config_static_selectorELNS0_4arch9wavefront6targetE1EEEvT1_.kd
    .uniform_work_group_size: 1
    .uses_dynamic_stack: false
    .vgpr_count:     0
    .vgpr_spill_count: 0
    .wavefront_size: 64
  - .agpr_count:     0
    .args:
      - .offset:         0
        .size:           152
        .value_kind:     by_value
    .group_segment_fixed_size: 0
    .kernarg_segment_align: 8
    .kernarg_segment_size: 152
    .language:       OpenCL C
    .language_version:
      - 2
      - 0
    .max_flat_workgroup_size: 256
    .name:           _ZN7rocprim17ROCPRIM_400000_NS6detail17trampoline_kernelINS0_14default_configENS1_25partition_config_selectorILNS1_17partition_subalgoE1EjNS0_10empty_typeEbEEZZNS1_14partition_implILS5_1ELb0ES3_jN6thrust23THRUST_200600_302600_NS6detail15normal_iteratorINSA_10device_ptrIjEEEEPS6_NSA_18transform_iteratorI7is_evenIjESF_NSA_11use_defaultESK_EENS0_5tupleIJSF_NSA_16discard_iteratorISK_EEEEENSM_IJSG_SG_EEES6_PlJS6_EEE10hipError_tPvRmT3_T4_T5_T6_T7_T9_mT8_P12ihipStream_tbDpT10_ENKUlT_T0_E_clISt17integral_constantIbLb0EES1A_IbLb1EEEEDaS16_S17_EUlS16_E_NS1_11comp_targetILNS1_3genE10ELNS1_11target_archE1200ELNS1_3gpuE4ELNS1_3repE0EEENS1_30default_config_static_selectorELNS0_4arch9wavefront6targetE1EEEvT1_
    .private_segment_fixed_size: 0
    .sgpr_count:     4
    .sgpr_spill_count: 0
    .symbol:         _ZN7rocprim17ROCPRIM_400000_NS6detail17trampoline_kernelINS0_14default_configENS1_25partition_config_selectorILNS1_17partition_subalgoE1EjNS0_10empty_typeEbEEZZNS1_14partition_implILS5_1ELb0ES3_jN6thrust23THRUST_200600_302600_NS6detail15normal_iteratorINSA_10device_ptrIjEEEEPS6_NSA_18transform_iteratorI7is_evenIjESF_NSA_11use_defaultESK_EENS0_5tupleIJSF_NSA_16discard_iteratorISK_EEEEENSM_IJSG_SG_EEES6_PlJS6_EEE10hipError_tPvRmT3_T4_T5_T6_T7_T9_mT8_P12ihipStream_tbDpT10_ENKUlT_T0_E_clISt17integral_constantIbLb0EES1A_IbLb1EEEEDaS16_S17_EUlS16_E_NS1_11comp_targetILNS1_3genE10ELNS1_11target_archE1200ELNS1_3gpuE4ELNS1_3repE0EEENS1_30default_config_static_selectorELNS0_4arch9wavefront6targetE1EEEvT1_.kd
    .uniform_work_group_size: 1
    .uses_dynamic_stack: false
    .vgpr_count:     0
    .vgpr_spill_count: 0
    .wavefront_size: 64
  - .agpr_count:     0
    .args:
      - .offset:         0
        .size:           152
        .value_kind:     by_value
    .group_segment_fixed_size: 0
    .kernarg_segment_align: 8
    .kernarg_segment_size: 152
    .language:       OpenCL C
    .language_version:
      - 2
      - 0
    .max_flat_workgroup_size: 128
    .name:           _ZN7rocprim17ROCPRIM_400000_NS6detail17trampoline_kernelINS0_14default_configENS1_25partition_config_selectorILNS1_17partition_subalgoE1EjNS0_10empty_typeEbEEZZNS1_14partition_implILS5_1ELb0ES3_jN6thrust23THRUST_200600_302600_NS6detail15normal_iteratorINSA_10device_ptrIjEEEEPS6_NSA_18transform_iteratorI7is_evenIjESF_NSA_11use_defaultESK_EENS0_5tupleIJSF_NSA_16discard_iteratorISK_EEEEENSM_IJSG_SG_EEES6_PlJS6_EEE10hipError_tPvRmT3_T4_T5_T6_T7_T9_mT8_P12ihipStream_tbDpT10_ENKUlT_T0_E_clISt17integral_constantIbLb0EES1A_IbLb1EEEEDaS16_S17_EUlS16_E_NS1_11comp_targetILNS1_3genE9ELNS1_11target_archE1100ELNS1_3gpuE3ELNS1_3repE0EEENS1_30default_config_static_selectorELNS0_4arch9wavefront6targetE1EEEvT1_
    .private_segment_fixed_size: 0
    .sgpr_count:     4
    .sgpr_spill_count: 0
    .symbol:         _ZN7rocprim17ROCPRIM_400000_NS6detail17trampoline_kernelINS0_14default_configENS1_25partition_config_selectorILNS1_17partition_subalgoE1EjNS0_10empty_typeEbEEZZNS1_14partition_implILS5_1ELb0ES3_jN6thrust23THRUST_200600_302600_NS6detail15normal_iteratorINSA_10device_ptrIjEEEEPS6_NSA_18transform_iteratorI7is_evenIjESF_NSA_11use_defaultESK_EENS0_5tupleIJSF_NSA_16discard_iteratorISK_EEEEENSM_IJSG_SG_EEES6_PlJS6_EEE10hipError_tPvRmT3_T4_T5_T6_T7_T9_mT8_P12ihipStream_tbDpT10_ENKUlT_T0_E_clISt17integral_constantIbLb0EES1A_IbLb1EEEEDaS16_S17_EUlS16_E_NS1_11comp_targetILNS1_3genE9ELNS1_11target_archE1100ELNS1_3gpuE3ELNS1_3repE0EEENS1_30default_config_static_selectorELNS0_4arch9wavefront6targetE1EEEvT1_.kd
    .uniform_work_group_size: 1
    .uses_dynamic_stack: false
    .vgpr_count:     0
    .vgpr_spill_count: 0
    .wavefront_size: 64
  - .agpr_count:     0
    .args:
      - .offset:         0
        .size:           152
        .value_kind:     by_value
    .group_segment_fixed_size: 0
    .kernarg_segment_align: 8
    .kernarg_segment_size: 152
    .language:       OpenCL C
    .language_version:
      - 2
      - 0
    .max_flat_workgroup_size: 512
    .name:           _ZN7rocprim17ROCPRIM_400000_NS6detail17trampoline_kernelINS0_14default_configENS1_25partition_config_selectorILNS1_17partition_subalgoE1EjNS0_10empty_typeEbEEZZNS1_14partition_implILS5_1ELb0ES3_jN6thrust23THRUST_200600_302600_NS6detail15normal_iteratorINSA_10device_ptrIjEEEEPS6_NSA_18transform_iteratorI7is_evenIjESF_NSA_11use_defaultESK_EENS0_5tupleIJSF_NSA_16discard_iteratorISK_EEEEENSM_IJSG_SG_EEES6_PlJS6_EEE10hipError_tPvRmT3_T4_T5_T6_T7_T9_mT8_P12ihipStream_tbDpT10_ENKUlT_T0_E_clISt17integral_constantIbLb0EES1A_IbLb1EEEEDaS16_S17_EUlS16_E_NS1_11comp_targetILNS1_3genE8ELNS1_11target_archE1030ELNS1_3gpuE2ELNS1_3repE0EEENS1_30default_config_static_selectorELNS0_4arch9wavefront6targetE1EEEvT1_
    .private_segment_fixed_size: 0
    .sgpr_count:     4
    .sgpr_spill_count: 0
    .symbol:         _ZN7rocprim17ROCPRIM_400000_NS6detail17trampoline_kernelINS0_14default_configENS1_25partition_config_selectorILNS1_17partition_subalgoE1EjNS0_10empty_typeEbEEZZNS1_14partition_implILS5_1ELb0ES3_jN6thrust23THRUST_200600_302600_NS6detail15normal_iteratorINSA_10device_ptrIjEEEEPS6_NSA_18transform_iteratorI7is_evenIjESF_NSA_11use_defaultESK_EENS0_5tupleIJSF_NSA_16discard_iteratorISK_EEEEENSM_IJSG_SG_EEES6_PlJS6_EEE10hipError_tPvRmT3_T4_T5_T6_T7_T9_mT8_P12ihipStream_tbDpT10_ENKUlT_T0_E_clISt17integral_constantIbLb0EES1A_IbLb1EEEEDaS16_S17_EUlS16_E_NS1_11comp_targetILNS1_3genE8ELNS1_11target_archE1030ELNS1_3gpuE2ELNS1_3repE0EEENS1_30default_config_static_selectorELNS0_4arch9wavefront6targetE1EEEvT1_.kd
    .uniform_work_group_size: 1
    .uses_dynamic_stack: false
    .vgpr_count:     0
    .vgpr_spill_count: 0
    .wavefront_size: 64
  - .agpr_count:     0
    .args:
      - .offset:         0
        .size:           136
        .value_kind:     by_value
    .group_segment_fixed_size: 0
    .kernarg_segment_align: 8
    .kernarg_segment_size: 136
    .language:       OpenCL C
    .language_version:
      - 2
      - 0
    .max_flat_workgroup_size: 256
    .name:           _ZN7rocprim17ROCPRIM_400000_NS6detail17trampoline_kernelINS0_14default_configENS1_25partition_config_selectorILNS1_17partition_subalgoE1EjNS0_10empty_typeEbEEZZNS1_14partition_implILS5_1ELb0ES3_jN6thrust23THRUST_200600_302600_NS6detail15normal_iteratorINSA_10device_ptrIjEEEEPS6_NSA_18transform_iteratorI7is_evenIjESF_NSA_11use_defaultESK_EENS0_5tupleIJNSA_16discard_iteratorISK_EESF_EEENSM_IJSG_SG_EEES6_PlJS6_EEE10hipError_tPvRmT3_T4_T5_T6_T7_T9_mT8_P12ihipStream_tbDpT10_ENKUlT_T0_E_clISt17integral_constantIbLb0EES1B_EEDaS16_S17_EUlS16_E_NS1_11comp_targetILNS1_3genE0ELNS1_11target_archE4294967295ELNS1_3gpuE0ELNS1_3repE0EEENS1_30default_config_static_selectorELNS0_4arch9wavefront6targetE1EEEvT1_
    .private_segment_fixed_size: 0
    .sgpr_count:     4
    .sgpr_spill_count: 0
    .symbol:         _ZN7rocprim17ROCPRIM_400000_NS6detail17trampoline_kernelINS0_14default_configENS1_25partition_config_selectorILNS1_17partition_subalgoE1EjNS0_10empty_typeEbEEZZNS1_14partition_implILS5_1ELb0ES3_jN6thrust23THRUST_200600_302600_NS6detail15normal_iteratorINSA_10device_ptrIjEEEEPS6_NSA_18transform_iteratorI7is_evenIjESF_NSA_11use_defaultESK_EENS0_5tupleIJNSA_16discard_iteratorISK_EESF_EEENSM_IJSG_SG_EEES6_PlJS6_EEE10hipError_tPvRmT3_T4_T5_T6_T7_T9_mT8_P12ihipStream_tbDpT10_ENKUlT_T0_E_clISt17integral_constantIbLb0EES1B_EEDaS16_S17_EUlS16_E_NS1_11comp_targetILNS1_3genE0ELNS1_11target_archE4294967295ELNS1_3gpuE0ELNS1_3repE0EEENS1_30default_config_static_selectorELNS0_4arch9wavefront6targetE1EEEvT1_.kd
    .uniform_work_group_size: 1
    .uses_dynamic_stack: false
    .vgpr_count:     0
    .vgpr_spill_count: 0
    .wavefront_size: 64
  - .agpr_count:     0
    .args:
      - .offset:         0
        .size:           136
        .value_kind:     by_value
    .group_segment_fixed_size: 0
    .kernarg_segment_align: 8
    .kernarg_segment_size: 136
    .language:       OpenCL C
    .language_version:
      - 2
      - 0
    .max_flat_workgroup_size: 512
    .name:           _ZN7rocprim17ROCPRIM_400000_NS6detail17trampoline_kernelINS0_14default_configENS1_25partition_config_selectorILNS1_17partition_subalgoE1EjNS0_10empty_typeEbEEZZNS1_14partition_implILS5_1ELb0ES3_jN6thrust23THRUST_200600_302600_NS6detail15normal_iteratorINSA_10device_ptrIjEEEEPS6_NSA_18transform_iteratorI7is_evenIjESF_NSA_11use_defaultESK_EENS0_5tupleIJNSA_16discard_iteratorISK_EESF_EEENSM_IJSG_SG_EEES6_PlJS6_EEE10hipError_tPvRmT3_T4_T5_T6_T7_T9_mT8_P12ihipStream_tbDpT10_ENKUlT_T0_E_clISt17integral_constantIbLb0EES1B_EEDaS16_S17_EUlS16_E_NS1_11comp_targetILNS1_3genE5ELNS1_11target_archE942ELNS1_3gpuE9ELNS1_3repE0EEENS1_30default_config_static_selectorELNS0_4arch9wavefront6targetE1EEEvT1_
    .private_segment_fixed_size: 0
    .sgpr_count:     4
    .sgpr_spill_count: 0
    .symbol:         _ZN7rocprim17ROCPRIM_400000_NS6detail17trampoline_kernelINS0_14default_configENS1_25partition_config_selectorILNS1_17partition_subalgoE1EjNS0_10empty_typeEbEEZZNS1_14partition_implILS5_1ELb0ES3_jN6thrust23THRUST_200600_302600_NS6detail15normal_iteratorINSA_10device_ptrIjEEEEPS6_NSA_18transform_iteratorI7is_evenIjESF_NSA_11use_defaultESK_EENS0_5tupleIJNSA_16discard_iteratorISK_EESF_EEENSM_IJSG_SG_EEES6_PlJS6_EEE10hipError_tPvRmT3_T4_T5_T6_T7_T9_mT8_P12ihipStream_tbDpT10_ENKUlT_T0_E_clISt17integral_constantIbLb0EES1B_EEDaS16_S17_EUlS16_E_NS1_11comp_targetILNS1_3genE5ELNS1_11target_archE942ELNS1_3gpuE9ELNS1_3repE0EEENS1_30default_config_static_selectorELNS0_4arch9wavefront6targetE1EEEvT1_.kd
    .uniform_work_group_size: 1
    .uses_dynamic_stack: false
    .vgpr_count:     0
    .vgpr_spill_count: 0
    .wavefront_size: 64
  - .agpr_count:     0
    .args:
      - .offset:         0
        .size:           136
        .value_kind:     by_value
    .group_segment_fixed_size: 7176
    .kernarg_segment_align: 8
    .kernarg_segment_size: 136
    .language:       OpenCL C
    .language_version:
      - 2
      - 0
    .max_flat_workgroup_size: 256
    .name:           _ZN7rocprim17ROCPRIM_400000_NS6detail17trampoline_kernelINS0_14default_configENS1_25partition_config_selectorILNS1_17partition_subalgoE1EjNS0_10empty_typeEbEEZZNS1_14partition_implILS5_1ELb0ES3_jN6thrust23THRUST_200600_302600_NS6detail15normal_iteratorINSA_10device_ptrIjEEEEPS6_NSA_18transform_iteratorI7is_evenIjESF_NSA_11use_defaultESK_EENS0_5tupleIJNSA_16discard_iteratorISK_EESF_EEENSM_IJSG_SG_EEES6_PlJS6_EEE10hipError_tPvRmT3_T4_T5_T6_T7_T9_mT8_P12ihipStream_tbDpT10_ENKUlT_T0_E_clISt17integral_constantIbLb0EES1B_EEDaS16_S17_EUlS16_E_NS1_11comp_targetILNS1_3genE4ELNS1_11target_archE910ELNS1_3gpuE8ELNS1_3repE0EEENS1_30default_config_static_selectorELNS0_4arch9wavefront6targetE1EEEvT1_
    .private_segment_fixed_size: 0
    .sgpr_count:     48
    .sgpr_spill_count: 0
    .symbol:         _ZN7rocprim17ROCPRIM_400000_NS6detail17trampoline_kernelINS0_14default_configENS1_25partition_config_selectorILNS1_17partition_subalgoE1EjNS0_10empty_typeEbEEZZNS1_14partition_implILS5_1ELb0ES3_jN6thrust23THRUST_200600_302600_NS6detail15normal_iteratorINSA_10device_ptrIjEEEEPS6_NSA_18transform_iteratorI7is_evenIjESF_NSA_11use_defaultESK_EENS0_5tupleIJNSA_16discard_iteratorISK_EESF_EEENSM_IJSG_SG_EEES6_PlJS6_EEE10hipError_tPvRmT3_T4_T5_T6_T7_T9_mT8_P12ihipStream_tbDpT10_ENKUlT_T0_E_clISt17integral_constantIbLb0EES1B_EEDaS16_S17_EUlS16_E_NS1_11comp_targetILNS1_3genE4ELNS1_11target_archE910ELNS1_3gpuE8ELNS1_3repE0EEENS1_30default_config_static_selectorELNS0_4arch9wavefront6targetE1EEEvT1_.kd
    .uniform_work_group_size: 1
    .uses_dynamic_stack: false
    .vgpr_count:     47
    .vgpr_spill_count: 0
    .wavefront_size: 64
  - .agpr_count:     0
    .args:
      - .offset:         0
        .size:           136
        .value_kind:     by_value
    .group_segment_fixed_size: 0
    .kernarg_segment_align: 8
    .kernarg_segment_size: 136
    .language:       OpenCL C
    .language_version:
      - 2
      - 0
    .max_flat_workgroup_size: 256
    .name:           _ZN7rocprim17ROCPRIM_400000_NS6detail17trampoline_kernelINS0_14default_configENS1_25partition_config_selectorILNS1_17partition_subalgoE1EjNS0_10empty_typeEbEEZZNS1_14partition_implILS5_1ELb0ES3_jN6thrust23THRUST_200600_302600_NS6detail15normal_iteratorINSA_10device_ptrIjEEEEPS6_NSA_18transform_iteratorI7is_evenIjESF_NSA_11use_defaultESK_EENS0_5tupleIJNSA_16discard_iteratorISK_EESF_EEENSM_IJSG_SG_EEES6_PlJS6_EEE10hipError_tPvRmT3_T4_T5_T6_T7_T9_mT8_P12ihipStream_tbDpT10_ENKUlT_T0_E_clISt17integral_constantIbLb0EES1B_EEDaS16_S17_EUlS16_E_NS1_11comp_targetILNS1_3genE3ELNS1_11target_archE908ELNS1_3gpuE7ELNS1_3repE0EEENS1_30default_config_static_selectorELNS0_4arch9wavefront6targetE1EEEvT1_
    .private_segment_fixed_size: 0
    .sgpr_count:     4
    .sgpr_spill_count: 0
    .symbol:         _ZN7rocprim17ROCPRIM_400000_NS6detail17trampoline_kernelINS0_14default_configENS1_25partition_config_selectorILNS1_17partition_subalgoE1EjNS0_10empty_typeEbEEZZNS1_14partition_implILS5_1ELb0ES3_jN6thrust23THRUST_200600_302600_NS6detail15normal_iteratorINSA_10device_ptrIjEEEEPS6_NSA_18transform_iteratorI7is_evenIjESF_NSA_11use_defaultESK_EENS0_5tupleIJNSA_16discard_iteratorISK_EESF_EEENSM_IJSG_SG_EEES6_PlJS6_EEE10hipError_tPvRmT3_T4_T5_T6_T7_T9_mT8_P12ihipStream_tbDpT10_ENKUlT_T0_E_clISt17integral_constantIbLb0EES1B_EEDaS16_S17_EUlS16_E_NS1_11comp_targetILNS1_3genE3ELNS1_11target_archE908ELNS1_3gpuE7ELNS1_3repE0EEENS1_30default_config_static_selectorELNS0_4arch9wavefront6targetE1EEEvT1_.kd
    .uniform_work_group_size: 1
    .uses_dynamic_stack: false
    .vgpr_count:     0
    .vgpr_spill_count: 0
    .wavefront_size: 64
  - .agpr_count:     0
    .args:
      - .offset:         0
        .size:           136
        .value_kind:     by_value
    .group_segment_fixed_size: 0
    .kernarg_segment_align: 8
    .kernarg_segment_size: 136
    .language:       OpenCL C
    .language_version:
      - 2
      - 0
    .max_flat_workgroup_size: 256
    .name:           _ZN7rocprim17ROCPRIM_400000_NS6detail17trampoline_kernelINS0_14default_configENS1_25partition_config_selectorILNS1_17partition_subalgoE1EjNS0_10empty_typeEbEEZZNS1_14partition_implILS5_1ELb0ES3_jN6thrust23THRUST_200600_302600_NS6detail15normal_iteratorINSA_10device_ptrIjEEEEPS6_NSA_18transform_iteratorI7is_evenIjESF_NSA_11use_defaultESK_EENS0_5tupleIJNSA_16discard_iteratorISK_EESF_EEENSM_IJSG_SG_EEES6_PlJS6_EEE10hipError_tPvRmT3_T4_T5_T6_T7_T9_mT8_P12ihipStream_tbDpT10_ENKUlT_T0_E_clISt17integral_constantIbLb0EES1B_EEDaS16_S17_EUlS16_E_NS1_11comp_targetILNS1_3genE2ELNS1_11target_archE906ELNS1_3gpuE6ELNS1_3repE0EEENS1_30default_config_static_selectorELNS0_4arch9wavefront6targetE1EEEvT1_
    .private_segment_fixed_size: 0
    .sgpr_count:     4
    .sgpr_spill_count: 0
    .symbol:         _ZN7rocprim17ROCPRIM_400000_NS6detail17trampoline_kernelINS0_14default_configENS1_25partition_config_selectorILNS1_17partition_subalgoE1EjNS0_10empty_typeEbEEZZNS1_14partition_implILS5_1ELb0ES3_jN6thrust23THRUST_200600_302600_NS6detail15normal_iteratorINSA_10device_ptrIjEEEEPS6_NSA_18transform_iteratorI7is_evenIjESF_NSA_11use_defaultESK_EENS0_5tupleIJNSA_16discard_iteratorISK_EESF_EEENSM_IJSG_SG_EEES6_PlJS6_EEE10hipError_tPvRmT3_T4_T5_T6_T7_T9_mT8_P12ihipStream_tbDpT10_ENKUlT_T0_E_clISt17integral_constantIbLb0EES1B_EEDaS16_S17_EUlS16_E_NS1_11comp_targetILNS1_3genE2ELNS1_11target_archE906ELNS1_3gpuE6ELNS1_3repE0EEENS1_30default_config_static_selectorELNS0_4arch9wavefront6targetE1EEEvT1_.kd
    .uniform_work_group_size: 1
    .uses_dynamic_stack: false
    .vgpr_count:     0
    .vgpr_spill_count: 0
    .wavefront_size: 64
  - .agpr_count:     0
    .args:
      - .offset:         0
        .size:           136
        .value_kind:     by_value
    .group_segment_fixed_size: 0
    .kernarg_segment_align: 8
    .kernarg_segment_size: 136
    .language:       OpenCL C
    .language_version:
      - 2
      - 0
    .max_flat_workgroup_size: 256
    .name:           _ZN7rocprim17ROCPRIM_400000_NS6detail17trampoline_kernelINS0_14default_configENS1_25partition_config_selectorILNS1_17partition_subalgoE1EjNS0_10empty_typeEbEEZZNS1_14partition_implILS5_1ELb0ES3_jN6thrust23THRUST_200600_302600_NS6detail15normal_iteratorINSA_10device_ptrIjEEEEPS6_NSA_18transform_iteratorI7is_evenIjESF_NSA_11use_defaultESK_EENS0_5tupleIJNSA_16discard_iteratorISK_EESF_EEENSM_IJSG_SG_EEES6_PlJS6_EEE10hipError_tPvRmT3_T4_T5_T6_T7_T9_mT8_P12ihipStream_tbDpT10_ENKUlT_T0_E_clISt17integral_constantIbLb0EES1B_EEDaS16_S17_EUlS16_E_NS1_11comp_targetILNS1_3genE10ELNS1_11target_archE1200ELNS1_3gpuE4ELNS1_3repE0EEENS1_30default_config_static_selectorELNS0_4arch9wavefront6targetE1EEEvT1_
    .private_segment_fixed_size: 0
    .sgpr_count:     4
    .sgpr_spill_count: 0
    .symbol:         _ZN7rocprim17ROCPRIM_400000_NS6detail17trampoline_kernelINS0_14default_configENS1_25partition_config_selectorILNS1_17partition_subalgoE1EjNS0_10empty_typeEbEEZZNS1_14partition_implILS5_1ELb0ES3_jN6thrust23THRUST_200600_302600_NS6detail15normal_iteratorINSA_10device_ptrIjEEEEPS6_NSA_18transform_iteratorI7is_evenIjESF_NSA_11use_defaultESK_EENS0_5tupleIJNSA_16discard_iteratorISK_EESF_EEENSM_IJSG_SG_EEES6_PlJS6_EEE10hipError_tPvRmT3_T4_T5_T6_T7_T9_mT8_P12ihipStream_tbDpT10_ENKUlT_T0_E_clISt17integral_constantIbLb0EES1B_EEDaS16_S17_EUlS16_E_NS1_11comp_targetILNS1_3genE10ELNS1_11target_archE1200ELNS1_3gpuE4ELNS1_3repE0EEENS1_30default_config_static_selectorELNS0_4arch9wavefront6targetE1EEEvT1_.kd
    .uniform_work_group_size: 1
    .uses_dynamic_stack: false
    .vgpr_count:     0
    .vgpr_spill_count: 0
    .wavefront_size: 64
  - .agpr_count:     0
    .args:
      - .offset:         0
        .size:           136
        .value_kind:     by_value
    .group_segment_fixed_size: 0
    .kernarg_segment_align: 8
    .kernarg_segment_size: 136
    .language:       OpenCL C
    .language_version:
      - 2
      - 0
    .max_flat_workgroup_size: 128
    .name:           _ZN7rocprim17ROCPRIM_400000_NS6detail17trampoline_kernelINS0_14default_configENS1_25partition_config_selectorILNS1_17partition_subalgoE1EjNS0_10empty_typeEbEEZZNS1_14partition_implILS5_1ELb0ES3_jN6thrust23THRUST_200600_302600_NS6detail15normal_iteratorINSA_10device_ptrIjEEEEPS6_NSA_18transform_iteratorI7is_evenIjESF_NSA_11use_defaultESK_EENS0_5tupleIJNSA_16discard_iteratorISK_EESF_EEENSM_IJSG_SG_EEES6_PlJS6_EEE10hipError_tPvRmT3_T4_T5_T6_T7_T9_mT8_P12ihipStream_tbDpT10_ENKUlT_T0_E_clISt17integral_constantIbLb0EES1B_EEDaS16_S17_EUlS16_E_NS1_11comp_targetILNS1_3genE9ELNS1_11target_archE1100ELNS1_3gpuE3ELNS1_3repE0EEENS1_30default_config_static_selectorELNS0_4arch9wavefront6targetE1EEEvT1_
    .private_segment_fixed_size: 0
    .sgpr_count:     4
    .sgpr_spill_count: 0
    .symbol:         _ZN7rocprim17ROCPRIM_400000_NS6detail17trampoline_kernelINS0_14default_configENS1_25partition_config_selectorILNS1_17partition_subalgoE1EjNS0_10empty_typeEbEEZZNS1_14partition_implILS5_1ELb0ES3_jN6thrust23THRUST_200600_302600_NS6detail15normal_iteratorINSA_10device_ptrIjEEEEPS6_NSA_18transform_iteratorI7is_evenIjESF_NSA_11use_defaultESK_EENS0_5tupleIJNSA_16discard_iteratorISK_EESF_EEENSM_IJSG_SG_EEES6_PlJS6_EEE10hipError_tPvRmT3_T4_T5_T6_T7_T9_mT8_P12ihipStream_tbDpT10_ENKUlT_T0_E_clISt17integral_constantIbLb0EES1B_EEDaS16_S17_EUlS16_E_NS1_11comp_targetILNS1_3genE9ELNS1_11target_archE1100ELNS1_3gpuE3ELNS1_3repE0EEENS1_30default_config_static_selectorELNS0_4arch9wavefront6targetE1EEEvT1_.kd
    .uniform_work_group_size: 1
    .uses_dynamic_stack: false
    .vgpr_count:     0
    .vgpr_spill_count: 0
    .wavefront_size: 64
  - .agpr_count:     0
    .args:
      - .offset:         0
        .size:           136
        .value_kind:     by_value
    .group_segment_fixed_size: 0
    .kernarg_segment_align: 8
    .kernarg_segment_size: 136
    .language:       OpenCL C
    .language_version:
      - 2
      - 0
    .max_flat_workgroup_size: 512
    .name:           _ZN7rocprim17ROCPRIM_400000_NS6detail17trampoline_kernelINS0_14default_configENS1_25partition_config_selectorILNS1_17partition_subalgoE1EjNS0_10empty_typeEbEEZZNS1_14partition_implILS5_1ELb0ES3_jN6thrust23THRUST_200600_302600_NS6detail15normal_iteratorINSA_10device_ptrIjEEEEPS6_NSA_18transform_iteratorI7is_evenIjESF_NSA_11use_defaultESK_EENS0_5tupleIJNSA_16discard_iteratorISK_EESF_EEENSM_IJSG_SG_EEES6_PlJS6_EEE10hipError_tPvRmT3_T4_T5_T6_T7_T9_mT8_P12ihipStream_tbDpT10_ENKUlT_T0_E_clISt17integral_constantIbLb0EES1B_EEDaS16_S17_EUlS16_E_NS1_11comp_targetILNS1_3genE8ELNS1_11target_archE1030ELNS1_3gpuE2ELNS1_3repE0EEENS1_30default_config_static_selectorELNS0_4arch9wavefront6targetE1EEEvT1_
    .private_segment_fixed_size: 0
    .sgpr_count:     4
    .sgpr_spill_count: 0
    .symbol:         _ZN7rocprim17ROCPRIM_400000_NS6detail17trampoline_kernelINS0_14default_configENS1_25partition_config_selectorILNS1_17partition_subalgoE1EjNS0_10empty_typeEbEEZZNS1_14partition_implILS5_1ELb0ES3_jN6thrust23THRUST_200600_302600_NS6detail15normal_iteratorINSA_10device_ptrIjEEEEPS6_NSA_18transform_iteratorI7is_evenIjESF_NSA_11use_defaultESK_EENS0_5tupleIJNSA_16discard_iteratorISK_EESF_EEENSM_IJSG_SG_EEES6_PlJS6_EEE10hipError_tPvRmT3_T4_T5_T6_T7_T9_mT8_P12ihipStream_tbDpT10_ENKUlT_T0_E_clISt17integral_constantIbLb0EES1B_EEDaS16_S17_EUlS16_E_NS1_11comp_targetILNS1_3genE8ELNS1_11target_archE1030ELNS1_3gpuE2ELNS1_3repE0EEENS1_30default_config_static_selectorELNS0_4arch9wavefront6targetE1EEEvT1_.kd
    .uniform_work_group_size: 1
    .uses_dynamic_stack: false
    .vgpr_count:     0
    .vgpr_spill_count: 0
    .wavefront_size: 64
  - .agpr_count:     0
    .args:
      - .offset:         0
        .size:           152
        .value_kind:     by_value
    .group_segment_fixed_size: 0
    .kernarg_segment_align: 8
    .kernarg_segment_size: 152
    .language:       OpenCL C
    .language_version:
      - 2
      - 0
    .max_flat_workgroup_size: 256
    .name:           _ZN7rocprim17ROCPRIM_400000_NS6detail17trampoline_kernelINS0_14default_configENS1_25partition_config_selectorILNS1_17partition_subalgoE1EjNS0_10empty_typeEbEEZZNS1_14partition_implILS5_1ELb0ES3_jN6thrust23THRUST_200600_302600_NS6detail15normal_iteratorINSA_10device_ptrIjEEEEPS6_NSA_18transform_iteratorI7is_evenIjESF_NSA_11use_defaultESK_EENS0_5tupleIJNSA_16discard_iteratorISK_EESF_EEENSM_IJSG_SG_EEES6_PlJS6_EEE10hipError_tPvRmT3_T4_T5_T6_T7_T9_mT8_P12ihipStream_tbDpT10_ENKUlT_T0_E_clISt17integral_constantIbLb1EES1B_EEDaS16_S17_EUlS16_E_NS1_11comp_targetILNS1_3genE0ELNS1_11target_archE4294967295ELNS1_3gpuE0ELNS1_3repE0EEENS1_30default_config_static_selectorELNS0_4arch9wavefront6targetE1EEEvT1_
    .private_segment_fixed_size: 0
    .sgpr_count:     4
    .sgpr_spill_count: 0
    .symbol:         _ZN7rocprim17ROCPRIM_400000_NS6detail17trampoline_kernelINS0_14default_configENS1_25partition_config_selectorILNS1_17partition_subalgoE1EjNS0_10empty_typeEbEEZZNS1_14partition_implILS5_1ELb0ES3_jN6thrust23THRUST_200600_302600_NS6detail15normal_iteratorINSA_10device_ptrIjEEEEPS6_NSA_18transform_iteratorI7is_evenIjESF_NSA_11use_defaultESK_EENS0_5tupleIJNSA_16discard_iteratorISK_EESF_EEENSM_IJSG_SG_EEES6_PlJS6_EEE10hipError_tPvRmT3_T4_T5_T6_T7_T9_mT8_P12ihipStream_tbDpT10_ENKUlT_T0_E_clISt17integral_constantIbLb1EES1B_EEDaS16_S17_EUlS16_E_NS1_11comp_targetILNS1_3genE0ELNS1_11target_archE4294967295ELNS1_3gpuE0ELNS1_3repE0EEENS1_30default_config_static_selectorELNS0_4arch9wavefront6targetE1EEEvT1_.kd
    .uniform_work_group_size: 1
    .uses_dynamic_stack: false
    .vgpr_count:     0
    .vgpr_spill_count: 0
    .wavefront_size: 64
  - .agpr_count:     0
    .args:
      - .offset:         0
        .size:           152
        .value_kind:     by_value
    .group_segment_fixed_size: 0
    .kernarg_segment_align: 8
    .kernarg_segment_size: 152
    .language:       OpenCL C
    .language_version:
      - 2
      - 0
    .max_flat_workgroup_size: 512
    .name:           _ZN7rocprim17ROCPRIM_400000_NS6detail17trampoline_kernelINS0_14default_configENS1_25partition_config_selectorILNS1_17partition_subalgoE1EjNS0_10empty_typeEbEEZZNS1_14partition_implILS5_1ELb0ES3_jN6thrust23THRUST_200600_302600_NS6detail15normal_iteratorINSA_10device_ptrIjEEEEPS6_NSA_18transform_iteratorI7is_evenIjESF_NSA_11use_defaultESK_EENS0_5tupleIJNSA_16discard_iteratorISK_EESF_EEENSM_IJSG_SG_EEES6_PlJS6_EEE10hipError_tPvRmT3_T4_T5_T6_T7_T9_mT8_P12ihipStream_tbDpT10_ENKUlT_T0_E_clISt17integral_constantIbLb1EES1B_EEDaS16_S17_EUlS16_E_NS1_11comp_targetILNS1_3genE5ELNS1_11target_archE942ELNS1_3gpuE9ELNS1_3repE0EEENS1_30default_config_static_selectorELNS0_4arch9wavefront6targetE1EEEvT1_
    .private_segment_fixed_size: 0
    .sgpr_count:     4
    .sgpr_spill_count: 0
    .symbol:         _ZN7rocprim17ROCPRIM_400000_NS6detail17trampoline_kernelINS0_14default_configENS1_25partition_config_selectorILNS1_17partition_subalgoE1EjNS0_10empty_typeEbEEZZNS1_14partition_implILS5_1ELb0ES3_jN6thrust23THRUST_200600_302600_NS6detail15normal_iteratorINSA_10device_ptrIjEEEEPS6_NSA_18transform_iteratorI7is_evenIjESF_NSA_11use_defaultESK_EENS0_5tupleIJNSA_16discard_iteratorISK_EESF_EEENSM_IJSG_SG_EEES6_PlJS6_EEE10hipError_tPvRmT3_T4_T5_T6_T7_T9_mT8_P12ihipStream_tbDpT10_ENKUlT_T0_E_clISt17integral_constantIbLb1EES1B_EEDaS16_S17_EUlS16_E_NS1_11comp_targetILNS1_3genE5ELNS1_11target_archE942ELNS1_3gpuE9ELNS1_3repE0EEENS1_30default_config_static_selectorELNS0_4arch9wavefront6targetE1EEEvT1_.kd
    .uniform_work_group_size: 1
    .uses_dynamic_stack: false
    .vgpr_count:     0
    .vgpr_spill_count: 0
    .wavefront_size: 64
  - .agpr_count:     0
    .args:
      - .offset:         0
        .size:           152
        .value_kind:     by_value
    .group_segment_fixed_size: 7176
    .kernarg_segment_align: 8
    .kernarg_segment_size: 152
    .language:       OpenCL C
    .language_version:
      - 2
      - 0
    .max_flat_workgroup_size: 256
    .name:           _ZN7rocprim17ROCPRIM_400000_NS6detail17trampoline_kernelINS0_14default_configENS1_25partition_config_selectorILNS1_17partition_subalgoE1EjNS0_10empty_typeEbEEZZNS1_14partition_implILS5_1ELb0ES3_jN6thrust23THRUST_200600_302600_NS6detail15normal_iteratorINSA_10device_ptrIjEEEEPS6_NSA_18transform_iteratorI7is_evenIjESF_NSA_11use_defaultESK_EENS0_5tupleIJNSA_16discard_iteratorISK_EESF_EEENSM_IJSG_SG_EEES6_PlJS6_EEE10hipError_tPvRmT3_T4_T5_T6_T7_T9_mT8_P12ihipStream_tbDpT10_ENKUlT_T0_E_clISt17integral_constantIbLb1EES1B_EEDaS16_S17_EUlS16_E_NS1_11comp_targetILNS1_3genE4ELNS1_11target_archE910ELNS1_3gpuE8ELNS1_3repE0EEENS1_30default_config_static_selectorELNS0_4arch9wavefront6targetE1EEEvT1_
    .private_segment_fixed_size: 0
    .sgpr_count:     46
    .sgpr_spill_count: 0
    .symbol:         _ZN7rocprim17ROCPRIM_400000_NS6detail17trampoline_kernelINS0_14default_configENS1_25partition_config_selectorILNS1_17partition_subalgoE1EjNS0_10empty_typeEbEEZZNS1_14partition_implILS5_1ELb0ES3_jN6thrust23THRUST_200600_302600_NS6detail15normal_iteratorINSA_10device_ptrIjEEEEPS6_NSA_18transform_iteratorI7is_evenIjESF_NSA_11use_defaultESK_EENS0_5tupleIJNSA_16discard_iteratorISK_EESF_EEENSM_IJSG_SG_EEES6_PlJS6_EEE10hipError_tPvRmT3_T4_T5_T6_T7_T9_mT8_P12ihipStream_tbDpT10_ENKUlT_T0_E_clISt17integral_constantIbLb1EES1B_EEDaS16_S17_EUlS16_E_NS1_11comp_targetILNS1_3genE4ELNS1_11target_archE910ELNS1_3gpuE8ELNS1_3repE0EEENS1_30default_config_static_selectorELNS0_4arch9wavefront6targetE1EEEvT1_.kd
    .uniform_work_group_size: 1
    .uses_dynamic_stack: false
    .vgpr_count:     51
    .vgpr_spill_count: 0
    .wavefront_size: 64
  - .agpr_count:     0
    .args:
      - .offset:         0
        .size:           152
        .value_kind:     by_value
    .group_segment_fixed_size: 0
    .kernarg_segment_align: 8
    .kernarg_segment_size: 152
    .language:       OpenCL C
    .language_version:
      - 2
      - 0
    .max_flat_workgroup_size: 256
    .name:           _ZN7rocprim17ROCPRIM_400000_NS6detail17trampoline_kernelINS0_14default_configENS1_25partition_config_selectorILNS1_17partition_subalgoE1EjNS0_10empty_typeEbEEZZNS1_14partition_implILS5_1ELb0ES3_jN6thrust23THRUST_200600_302600_NS6detail15normal_iteratorINSA_10device_ptrIjEEEEPS6_NSA_18transform_iteratorI7is_evenIjESF_NSA_11use_defaultESK_EENS0_5tupleIJNSA_16discard_iteratorISK_EESF_EEENSM_IJSG_SG_EEES6_PlJS6_EEE10hipError_tPvRmT3_T4_T5_T6_T7_T9_mT8_P12ihipStream_tbDpT10_ENKUlT_T0_E_clISt17integral_constantIbLb1EES1B_EEDaS16_S17_EUlS16_E_NS1_11comp_targetILNS1_3genE3ELNS1_11target_archE908ELNS1_3gpuE7ELNS1_3repE0EEENS1_30default_config_static_selectorELNS0_4arch9wavefront6targetE1EEEvT1_
    .private_segment_fixed_size: 0
    .sgpr_count:     4
    .sgpr_spill_count: 0
    .symbol:         _ZN7rocprim17ROCPRIM_400000_NS6detail17trampoline_kernelINS0_14default_configENS1_25partition_config_selectorILNS1_17partition_subalgoE1EjNS0_10empty_typeEbEEZZNS1_14partition_implILS5_1ELb0ES3_jN6thrust23THRUST_200600_302600_NS6detail15normal_iteratorINSA_10device_ptrIjEEEEPS6_NSA_18transform_iteratorI7is_evenIjESF_NSA_11use_defaultESK_EENS0_5tupleIJNSA_16discard_iteratorISK_EESF_EEENSM_IJSG_SG_EEES6_PlJS6_EEE10hipError_tPvRmT3_T4_T5_T6_T7_T9_mT8_P12ihipStream_tbDpT10_ENKUlT_T0_E_clISt17integral_constantIbLb1EES1B_EEDaS16_S17_EUlS16_E_NS1_11comp_targetILNS1_3genE3ELNS1_11target_archE908ELNS1_3gpuE7ELNS1_3repE0EEENS1_30default_config_static_selectorELNS0_4arch9wavefront6targetE1EEEvT1_.kd
    .uniform_work_group_size: 1
    .uses_dynamic_stack: false
    .vgpr_count:     0
    .vgpr_spill_count: 0
    .wavefront_size: 64
  - .agpr_count:     0
    .args:
      - .offset:         0
        .size:           152
        .value_kind:     by_value
    .group_segment_fixed_size: 0
    .kernarg_segment_align: 8
    .kernarg_segment_size: 152
    .language:       OpenCL C
    .language_version:
      - 2
      - 0
    .max_flat_workgroup_size: 256
    .name:           _ZN7rocprim17ROCPRIM_400000_NS6detail17trampoline_kernelINS0_14default_configENS1_25partition_config_selectorILNS1_17partition_subalgoE1EjNS0_10empty_typeEbEEZZNS1_14partition_implILS5_1ELb0ES3_jN6thrust23THRUST_200600_302600_NS6detail15normal_iteratorINSA_10device_ptrIjEEEEPS6_NSA_18transform_iteratorI7is_evenIjESF_NSA_11use_defaultESK_EENS0_5tupleIJNSA_16discard_iteratorISK_EESF_EEENSM_IJSG_SG_EEES6_PlJS6_EEE10hipError_tPvRmT3_T4_T5_T6_T7_T9_mT8_P12ihipStream_tbDpT10_ENKUlT_T0_E_clISt17integral_constantIbLb1EES1B_EEDaS16_S17_EUlS16_E_NS1_11comp_targetILNS1_3genE2ELNS1_11target_archE906ELNS1_3gpuE6ELNS1_3repE0EEENS1_30default_config_static_selectorELNS0_4arch9wavefront6targetE1EEEvT1_
    .private_segment_fixed_size: 0
    .sgpr_count:     4
    .sgpr_spill_count: 0
    .symbol:         _ZN7rocprim17ROCPRIM_400000_NS6detail17trampoline_kernelINS0_14default_configENS1_25partition_config_selectorILNS1_17partition_subalgoE1EjNS0_10empty_typeEbEEZZNS1_14partition_implILS5_1ELb0ES3_jN6thrust23THRUST_200600_302600_NS6detail15normal_iteratorINSA_10device_ptrIjEEEEPS6_NSA_18transform_iteratorI7is_evenIjESF_NSA_11use_defaultESK_EENS0_5tupleIJNSA_16discard_iteratorISK_EESF_EEENSM_IJSG_SG_EEES6_PlJS6_EEE10hipError_tPvRmT3_T4_T5_T6_T7_T9_mT8_P12ihipStream_tbDpT10_ENKUlT_T0_E_clISt17integral_constantIbLb1EES1B_EEDaS16_S17_EUlS16_E_NS1_11comp_targetILNS1_3genE2ELNS1_11target_archE906ELNS1_3gpuE6ELNS1_3repE0EEENS1_30default_config_static_selectorELNS0_4arch9wavefront6targetE1EEEvT1_.kd
    .uniform_work_group_size: 1
    .uses_dynamic_stack: false
    .vgpr_count:     0
    .vgpr_spill_count: 0
    .wavefront_size: 64
  - .agpr_count:     0
    .args:
      - .offset:         0
        .size:           152
        .value_kind:     by_value
    .group_segment_fixed_size: 0
    .kernarg_segment_align: 8
    .kernarg_segment_size: 152
    .language:       OpenCL C
    .language_version:
      - 2
      - 0
    .max_flat_workgroup_size: 256
    .name:           _ZN7rocprim17ROCPRIM_400000_NS6detail17trampoline_kernelINS0_14default_configENS1_25partition_config_selectorILNS1_17partition_subalgoE1EjNS0_10empty_typeEbEEZZNS1_14partition_implILS5_1ELb0ES3_jN6thrust23THRUST_200600_302600_NS6detail15normal_iteratorINSA_10device_ptrIjEEEEPS6_NSA_18transform_iteratorI7is_evenIjESF_NSA_11use_defaultESK_EENS0_5tupleIJNSA_16discard_iteratorISK_EESF_EEENSM_IJSG_SG_EEES6_PlJS6_EEE10hipError_tPvRmT3_T4_T5_T6_T7_T9_mT8_P12ihipStream_tbDpT10_ENKUlT_T0_E_clISt17integral_constantIbLb1EES1B_EEDaS16_S17_EUlS16_E_NS1_11comp_targetILNS1_3genE10ELNS1_11target_archE1200ELNS1_3gpuE4ELNS1_3repE0EEENS1_30default_config_static_selectorELNS0_4arch9wavefront6targetE1EEEvT1_
    .private_segment_fixed_size: 0
    .sgpr_count:     4
    .sgpr_spill_count: 0
    .symbol:         _ZN7rocprim17ROCPRIM_400000_NS6detail17trampoline_kernelINS0_14default_configENS1_25partition_config_selectorILNS1_17partition_subalgoE1EjNS0_10empty_typeEbEEZZNS1_14partition_implILS5_1ELb0ES3_jN6thrust23THRUST_200600_302600_NS6detail15normal_iteratorINSA_10device_ptrIjEEEEPS6_NSA_18transform_iteratorI7is_evenIjESF_NSA_11use_defaultESK_EENS0_5tupleIJNSA_16discard_iteratorISK_EESF_EEENSM_IJSG_SG_EEES6_PlJS6_EEE10hipError_tPvRmT3_T4_T5_T6_T7_T9_mT8_P12ihipStream_tbDpT10_ENKUlT_T0_E_clISt17integral_constantIbLb1EES1B_EEDaS16_S17_EUlS16_E_NS1_11comp_targetILNS1_3genE10ELNS1_11target_archE1200ELNS1_3gpuE4ELNS1_3repE0EEENS1_30default_config_static_selectorELNS0_4arch9wavefront6targetE1EEEvT1_.kd
    .uniform_work_group_size: 1
    .uses_dynamic_stack: false
    .vgpr_count:     0
    .vgpr_spill_count: 0
    .wavefront_size: 64
  - .agpr_count:     0
    .args:
      - .offset:         0
        .size:           152
        .value_kind:     by_value
    .group_segment_fixed_size: 0
    .kernarg_segment_align: 8
    .kernarg_segment_size: 152
    .language:       OpenCL C
    .language_version:
      - 2
      - 0
    .max_flat_workgroup_size: 128
    .name:           _ZN7rocprim17ROCPRIM_400000_NS6detail17trampoline_kernelINS0_14default_configENS1_25partition_config_selectorILNS1_17partition_subalgoE1EjNS0_10empty_typeEbEEZZNS1_14partition_implILS5_1ELb0ES3_jN6thrust23THRUST_200600_302600_NS6detail15normal_iteratorINSA_10device_ptrIjEEEEPS6_NSA_18transform_iteratorI7is_evenIjESF_NSA_11use_defaultESK_EENS0_5tupleIJNSA_16discard_iteratorISK_EESF_EEENSM_IJSG_SG_EEES6_PlJS6_EEE10hipError_tPvRmT3_T4_T5_T6_T7_T9_mT8_P12ihipStream_tbDpT10_ENKUlT_T0_E_clISt17integral_constantIbLb1EES1B_EEDaS16_S17_EUlS16_E_NS1_11comp_targetILNS1_3genE9ELNS1_11target_archE1100ELNS1_3gpuE3ELNS1_3repE0EEENS1_30default_config_static_selectorELNS0_4arch9wavefront6targetE1EEEvT1_
    .private_segment_fixed_size: 0
    .sgpr_count:     4
    .sgpr_spill_count: 0
    .symbol:         _ZN7rocprim17ROCPRIM_400000_NS6detail17trampoline_kernelINS0_14default_configENS1_25partition_config_selectorILNS1_17partition_subalgoE1EjNS0_10empty_typeEbEEZZNS1_14partition_implILS5_1ELb0ES3_jN6thrust23THRUST_200600_302600_NS6detail15normal_iteratorINSA_10device_ptrIjEEEEPS6_NSA_18transform_iteratorI7is_evenIjESF_NSA_11use_defaultESK_EENS0_5tupleIJNSA_16discard_iteratorISK_EESF_EEENSM_IJSG_SG_EEES6_PlJS6_EEE10hipError_tPvRmT3_T4_T5_T6_T7_T9_mT8_P12ihipStream_tbDpT10_ENKUlT_T0_E_clISt17integral_constantIbLb1EES1B_EEDaS16_S17_EUlS16_E_NS1_11comp_targetILNS1_3genE9ELNS1_11target_archE1100ELNS1_3gpuE3ELNS1_3repE0EEENS1_30default_config_static_selectorELNS0_4arch9wavefront6targetE1EEEvT1_.kd
    .uniform_work_group_size: 1
    .uses_dynamic_stack: false
    .vgpr_count:     0
    .vgpr_spill_count: 0
    .wavefront_size: 64
  - .agpr_count:     0
    .args:
      - .offset:         0
        .size:           152
        .value_kind:     by_value
    .group_segment_fixed_size: 0
    .kernarg_segment_align: 8
    .kernarg_segment_size: 152
    .language:       OpenCL C
    .language_version:
      - 2
      - 0
    .max_flat_workgroup_size: 512
    .name:           _ZN7rocprim17ROCPRIM_400000_NS6detail17trampoline_kernelINS0_14default_configENS1_25partition_config_selectorILNS1_17partition_subalgoE1EjNS0_10empty_typeEbEEZZNS1_14partition_implILS5_1ELb0ES3_jN6thrust23THRUST_200600_302600_NS6detail15normal_iteratorINSA_10device_ptrIjEEEEPS6_NSA_18transform_iteratorI7is_evenIjESF_NSA_11use_defaultESK_EENS0_5tupleIJNSA_16discard_iteratorISK_EESF_EEENSM_IJSG_SG_EEES6_PlJS6_EEE10hipError_tPvRmT3_T4_T5_T6_T7_T9_mT8_P12ihipStream_tbDpT10_ENKUlT_T0_E_clISt17integral_constantIbLb1EES1B_EEDaS16_S17_EUlS16_E_NS1_11comp_targetILNS1_3genE8ELNS1_11target_archE1030ELNS1_3gpuE2ELNS1_3repE0EEENS1_30default_config_static_selectorELNS0_4arch9wavefront6targetE1EEEvT1_
    .private_segment_fixed_size: 0
    .sgpr_count:     4
    .sgpr_spill_count: 0
    .symbol:         _ZN7rocprim17ROCPRIM_400000_NS6detail17trampoline_kernelINS0_14default_configENS1_25partition_config_selectorILNS1_17partition_subalgoE1EjNS0_10empty_typeEbEEZZNS1_14partition_implILS5_1ELb0ES3_jN6thrust23THRUST_200600_302600_NS6detail15normal_iteratorINSA_10device_ptrIjEEEEPS6_NSA_18transform_iteratorI7is_evenIjESF_NSA_11use_defaultESK_EENS0_5tupleIJNSA_16discard_iteratorISK_EESF_EEENSM_IJSG_SG_EEES6_PlJS6_EEE10hipError_tPvRmT3_T4_T5_T6_T7_T9_mT8_P12ihipStream_tbDpT10_ENKUlT_T0_E_clISt17integral_constantIbLb1EES1B_EEDaS16_S17_EUlS16_E_NS1_11comp_targetILNS1_3genE8ELNS1_11target_archE1030ELNS1_3gpuE2ELNS1_3repE0EEENS1_30default_config_static_selectorELNS0_4arch9wavefront6targetE1EEEvT1_.kd
    .uniform_work_group_size: 1
    .uses_dynamic_stack: false
    .vgpr_count:     0
    .vgpr_spill_count: 0
    .wavefront_size: 64
  - .agpr_count:     0
    .args:
      - .offset:         0
        .size:           136
        .value_kind:     by_value
    .group_segment_fixed_size: 0
    .kernarg_segment_align: 8
    .kernarg_segment_size: 136
    .language:       OpenCL C
    .language_version:
      - 2
      - 0
    .max_flat_workgroup_size: 256
    .name:           _ZN7rocprim17ROCPRIM_400000_NS6detail17trampoline_kernelINS0_14default_configENS1_25partition_config_selectorILNS1_17partition_subalgoE1EjNS0_10empty_typeEbEEZZNS1_14partition_implILS5_1ELb0ES3_jN6thrust23THRUST_200600_302600_NS6detail15normal_iteratorINSA_10device_ptrIjEEEEPS6_NSA_18transform_iteratorI7is_evenIjESF_NSA_11use_defaultESK_EENS0_5tupleIJNSA_16discard_iteratorISK_EESF_EEENSM_IJSG_SG_EEES6_PlJS6_EEE10hipError_tPvRmT3_T4_T5_T6_T7_T9_mT8_P12ihipStream_tbDpT10_ENKUlT_T0_E_clISt17integral_constantIbLb1EES1A_IbLb0EEEEDaS16_S17_EUlS16_E_NS1_11comp_targetILNS1_3genE0ELNS1_11target_archE4294967295ELNS1_3gpuE0ELNS1_3repE0EEENS1_30default_config_static_selectorELNS0_4arch9wavefront6targetE1EEEvT1_
    .private_segment_fixed_size: 0
    .sgpr_count:     4
    .sgpr_spill_count: 0
    .symbol:         _ZN7rocprim17ROCPRIM_400000_NS6detail17trampoline_kernelINS0_14default_configENS1_25partition_config_selectorILNS1_17partition_subalgoE1EjNS0_10empty_typeEbEEZZNS1_14partition_implILS5_1ELb0ES3_jN6thrust23THRUST_200600_302600_NS6detail15normal_iteratorINSA_10device_ptrIjEEEEPS6_NSA_18transform_iteratorI7is_evenIjESF_NSA_11use_defaultESK_EENS0_5tupleIJNSA_16discard_iteratorISK_EESF_EEENSM_IJSG_SG_EEES6_PlJS6_EEE10hipError_tPvRmT3_T4_T5_T6_T7_T9_mT8_P12ihipStream_tbDpT10_ENKUlT_T0_E_clISt17integral_constantIbLb1EES1A_IbLb0EEEEDaS16_S17_EUlS16_E_NS1_11comp_targetILNS1_3genE0ELNS1_11target_archE4294967295ELNS1_3gpuE0ELNS1_3repE0EEENS1_30default_config_static_selectorELNS0_4arch9wavefront6targetE1EEEvT1_.kd
    .uniform_work_group_size: 1
    .uses_dynamic_stack: false
    .vgpr_count:     0
    .vgpr_spill_count: 0
    .wavefront_size: 64
  - .agpr_count:     0
    .args:
      - .offset:         0
        .size:           136
        .value_kind:     by_value
    .group_segment_fixed_size: 0
    .kernarg_segment_align: 8
    .kernarg_segment_size: 136
    .language:       OpenCL C
    .language_version:
      - 2
      - 0
    .max_flat_workgroup_size: 512
    .name:           _ZN7rocprim17ROCPRIM_400000_NS6detail17trampoline_kernelINS0_14default_configENS1_25partition_config_selectorILNS1_17partition_subalgoE1EjNS0_10empty_typeEbEEZZNS1_14partition_implILS5_1ELb0ES3_jN6thrust23THRUST_200600_302600_NS6detail15normal_iteratorINSA_10device_ptrIjEEEEPS6_NSA_18transform_iteratorI7is_evenIjESF_NSA_11use_defaultESK_EENS0_5tupleIJNSA_16discard_iteratorISK_EESF_EEENSM_IJSG_SG_EEES6_PlJS6_EEE10hipError_tPvRmT3_T4_T5_T6_T7_T9_mT8_P12ihipStream_tbDpT10_ENKUlT_T0_E_clISt17integral_constantIbLb1EES1A_IbLb0EEEEDaS16_S17_EUlS16_E_NS1_11comp_targetILNS1_3genE5ELNS1_11target_archE942ELNS1_3gpuE9ELNS1_3repE0EEENS1_30default_config_static_selectorELNS0_4arch9wavefront6targetE1EEEvT1_
    .private_segment_fixed_size: 0
    .sgpr_count:     4
    .sgpr_spill_count: 0
    .symbol:         _ZN7rocprim17ROCPRIM_400000_NS6detail17trampoline_kernelINS0_14default_configENS1_25partition_config_selectorILNS1_17partition_subalgoE1EjNS0_10empty_typeEbEEZZNS1_14partition_implILS5_1ELb0ES3_jN6thrust23THRUST_200600_302600_NS6detail15normal_iteratorINSA_10device_ptrIjEEEEPS6_NSA_18transform_iteratorI7is_evenIjESF_NSA_11use_defaultESK_EENS0_5tupleIJNSA_16discard_iteratorISK_EESF_EEENSM_IJSG_SG_EEES6_PlJS6_EEE10hipError_tPvRmT3_T4_T5_T6_T7_T9_mT8_P12ihipStream_tbDpT10_ENKUlT_T0_E_clISt17integral_constantIbLb1EES1A_IbLb0EEEEDaS16_S17_EUlS16_E_NS1_11comp_targetILNS1_3genE5ELNS1_11target_archE942ELNS1_3gpuE9ELNS1_3repE0EEENS1_30default_config_static_selectorELNS0_4arch9wavefront6targetE1EEEvT1_.kd
    .uniform_work_group_size: 1
    .uses_dynamic_stack: false
    .vgpr_count:     0
    .vgpr_spill_count: 0
    .wavefront_size: 64
  - .agpr_count:     0
    .args:
      - .offset:         0
        .size:           136
        .value_kind:     by_value
    .group_segment_fixed_size: 7176
    .kernarg_segment_align: 8
    .kernarg_segment_size: 136
    .language:       OpenCL C
    .language_version:
      - 2
      - 0
    .max_flat_workgroup_size: 256
    .name:           _ZN7rocprim17ROCPRIM_400000_NS6detail17trampoline_kernelINS0_14default_configENS1_25partition_config_selectorILNS1_17partition_subalgoE1EjNS0_10empty_typeEbEEZZNS1_14partition_implILS5_1ELb0ES3_jN6thrust23THRUST_200600_302600_NS6detail15normal_iteratorINSA_10device_ptrIjEEEEPS6_NSA_18transform_iteratorI7is_evenIjESF_NSA_11use_defaultESK_EENS0_5tupleIJNSA_16discard_iteratorISK_EESF_EEENSM_IJSG_SG_EEES6_PlJS6_EEE10hipError_tPvRmT3_T4_T5_T6_T7_T9_mT8_P12ihipStream_tbDpT10_ENKUlT_T0_E_clISt17integral_constantIbLb1EES1A_IbLb0EEEEDaS16_S17_EUlS16_E_NS1_11comp_targetILNS1_3genE4ELNS1_11target_archE910ELNS1_3gpuE8ELNS1_3repE0EEENS1_30default_config_static_selectorELNS0_4arch9wavefront6targetE1EEEvT1_
    .private_segment_fixed_size: 0
    .sgpr_count:     48
    .sgpr_spill_count: 0
    .symbol:         _ZN7rocprim17ROCPRIM_400000_NS6detail17trampoline_kernelINS0_14default_configENS1_25partition_config_selectorILNS1_17partition_subalgoE1EjNS0_10empty_typeEbEEZZNS1_14partition_implILS5_1ELb0ES3_jN6thrust23THRUST_200600_302600_NS6detail15normal_iteratorINSA_10device_ptrIjEEEEPS6_NSA_18transform_iteratorI7is_evenIjESF_NSA_11use_defaultESK_EENS0_5tupleIJNSA_16discard_iteratorISK_EESF_EEENSM_IJSG_SG_EEES6_PlJS6_EEE10hipError_tPvRmT3_T4_T5_T6_T7_T9_mT8_P12ihipStream_tbDpT10_ENKUlT_T0_E_clISt17integral_constantIbLb1EES1A_IbLb0EEEEDaS16_S17_EUlS16_E_NS1_11comp_targetILNS1_3genE4ELNS1_11target_archE910ELNS1_3gpuE8ELNS1_3repE0EEENS1_30default_config_static_selectorELNS0_4arch9wavefront6targetE1EEEvT1_.kd
    .uniform_work_group_size: 1
    .uses_dynamic_stack: false
    .vgpr_count:     47
    .vgpr_spill_count: 0
    .wavefront_size: 64
  - .agpr_count:     0
    .args:
      - .offset:         0
        .size:           136
        .value_kind:     by_value
    .group_segment_fixed_size: 0
    .kernarg_segment_align: 8
    .kernarg_segment_size: 136
    .language:       OpenCL C
    .language_version:
      - 2
      - 0
    .max_flat_workgroup_size: 256
    .name:           _ZN7rocprim17ROCPRIM_400000_NS6detail17trampoline_kernelINS0_14default_configENS1_25partition_config_selectorILNS1_17partition_subalgoE1EjNS0_10empty_typeEbEEZZNS1_14partition_implILS5_1ELb0ES3_jN6thrust23THRUST_200600_302600_NS6detail15normal_iteratorINSA_10device_ptrIjEEEEPS6_NSA_18transform_iteratorI7is_evenIjESF_NSA_11use_defaultESK_EENS0_5tupleIJNSA_16discard_iteratorISK_EESF_EEENSM_IJSG_SG_EEES6_PlJS6_EEE10hipError_tPvRmT3_T4_T5_T6_T7_T9_mT8_P12ihipStream_tbDpT10_ENKUlT_T0_E_clISt17integral_constantIbLb1EES1A_IbLb0EEEEDaS16_S17_EUlS16_E_NS1_11comp_targetILNS1_3genE3ELNS1_11target_archE908ELNS1_3gpuE7ELNS1_3repE0EEENS1_30default_config_static_selectorELNS0_4arch9wavefront6targetE1EEEvT1_
    .private_segment_fixed_size: 0
    .sgpr_count:     4
    .sgpr_spill_count: 0
    .symbol:         _ZN7rocprim17ROCPRIM_400000_NS6detail17trampoline_kernelINS0_14default_configENS1_25partition_config_selectorILNS1_17partition_subalgoE1EjNS0_10empty_typeEbEEZZNS1_14partition_implILS5_1ELb0ES3_jN6thrust23THRUST_200600_302600_NS6detail15normal_iteratorINSA_10device_ptrIjEEEEPS6_NSA_18transform_iteratorI7is_evenIjESF_NSA_11use_defaultESK_EENS0_5tupleIJNSA_16discard_iteratorISK_EESF_EEENSM_IJSG_SG_EEES6_PlJS6_EEE10hipError_tPvRmT3_T4_T5_T6_T7_T9_mT8_P12ihipStream_tbDpT10_ENKUlT_T0_E_clISt17integral_constantIbLb1EES1A_IbLb0EEEEDaS16_S17_EUlS16_E_NS1_11comp_targetILNS1_3genE3ELNS1_11target_archE908ELNS1_3gpuE7ELNS1_3repE0EEENS1_30default_config_static_selectorELNS0_4arch9wavefront6targetE1EEEvT1_.kd
    .uniform_work_group_size: 1
    .uses_dynamic_stack: false
    .vgpr_count:     0
    .vgpr_spill_count: 0
    .wavefront_size: 64
  - .agpr_count:     0
    .args:
      - .offset:         0
        .size:           136
        .value_kind:     by_value
    .group_segment_fixed_size: 0
    .kernarg_segment_align: 8
    .kernarg_segment_size: 136
    .language:       OpenCL C
    .language_version:
      - 2
      - 0
    .max_flat_workgroup_size: 256
    .name:           _ZN7rocprim17ROCPRIM_400000_NS6detail17trampoline_kernelINS0_14default_configENS1_25partition_config_selectorILNS1_17partition_subalgoE1EjNS0_10empty_typeEbEEZZNS1_14partition_implILS5_1ELb0ES3_jN6thrust23THRUST_200600_302600_NS6detail15normal_iteratorINSA_10device_ptrIjEEEEPS6_NSA_18transform_iteratorI7is_evenIjESF_NSA_11use_defaultESK_EENS0_5tupleIJNSA_16discard_iteratorISK_EESF_EEENSM_IJSG_SG_EEES6_PlJS6_EEE10hipError_tPvRmT3_T4_T5_T6_T7_T9_mT8_P12ihipStream_tbDpT10_ENKUlT_T0_E_clISt17integral_constantIbLb1EES1A_IbLb0EEEEDaS16_S17_EUlS16_E_NS1_11comp_targetILNS1_3genE2ELNS1_11target_archE906ELNS1_3gpuE6ELNS1_3repE0EEENS1_30default_config_static_selectorELNS0_4arch9wavefront6targetE1EEEvT1_
    .private_segment_fixed_size: 0
    .sgpr_count:     4
    .sgpr_spill_count: 0
    .symbol:         _ZN7rocprim17ROCPRIM_400000_NS6detail17trampoline_kernelINS0_14default_configENS1_25partition_config_selectorILNS1_17partition_subalgoE1EjNS0_10empty_typeEbEEZZNS1_14partition_implILS5_1ELb0ES3_jN6thrust23THRUST_200600_302600_NS6detail15normal_iteratorINSA_10device_ptrIjEEEEPS6_NSA_18transform_iteratorI7is_evenIjESF_NSA_11use_defaultESK_EENS0_5tupleIJNSA_16discard_iteratorISK_EESF_EEENSM_IJSG_SG_EEES6_PlJS6_EEE10hipError_tPvRmT3_T4_T5_T6_T7_T9_mT8_P12ihipStream_tbDpT10_ENKUlT_T0_E_clISt17integral_constantIbLb1EES1A_IbLb0EEEEDaS16_S17_EUlS16_E_NS1_11comp_targetILNS1_3genE2ELNS1_11target_archE906ELNS1_3gpuE6ELNS1_3repE0EEENS1_30default_config_static_selectorELNS0_4arch9wavefront6targetE1EEEvT1_.kd
    .uniform_work_group_size: 1
    .uses_dynamic_stack: false
    .vgpr_count:     0
    .vgpr_spill_count: 0
    .wavefront_size: 64
  - .agpr_count:     0
    .args:
      - .offset:         0
        .size:           136
        .value_kind:     by_value
    .group_segment_fixed_size: 0
    .kernarg_segment_align: 8
    .kernarg_segment_size: 136
    .language:       OpenCL C
    .language_version:
      - 2
      - 0
    .max_flat_workgroup_size: 256
    .name:           _ZN7rocprim17ROCPRIM_400000_NS6detail17trampoline_kernelINS0_14default_configENS1_25partition_config_selectorILNS1_17partition_subalgoE1EjNS0_10empty_typeEbEEZZNS1_14partition_implILS5_1ELb0ES3_jN6thrust23THRUST_200600_302600_NS6detail15normal_iteratorINSA_10device_ptrIjEEEEPS6_NSA_18transform_iteratorI7is_evenIjESF_NSA_11use_defaultESK_EENS0_5tupleIJNSA_16discard_iteratorISK_EESF_EEENSM_IJSG_SG_EEES6_PlJS6_EEE10hipError_tPvRmT3_T4_T5_T6_T7_T9_mT8_P12ihipStream_tbDpT10_ENKUlT_T0_E_clISt17integral_constantIbLb1EES1A_IbLb0EEEEDaS16_S17_EUlS16_E_NS1_11comp_targetILNS1_3genE10ELNS1_11target_archE1200ELNS1_3gpuE4ELNS1_3repE0EEENS1_30default_config_static_selectorELNS0_4arch9wavefront6targetE1EEEvT1_
    .private_segment_fixed_size: 0
    .sgpr_count:     4
    .sgpr_spill_count: 0
    .symbol:         _ZN7rocprim17ROCPRIM_400000_NS6detail17trampoline_kernelINS0_14default_configENS1_25partition_config_selectorILNS1_17partition_subalgoE1EjNS0_10empty_typeEbEEZZNS1_14partition_implILS5_1ELb0ES3_jN6thrust23THRUST_200600_302600_NS6detail15normal_iteratorINSA_10device_ptrIjEEEEPS6_NSA_18transform_iteratorI7is_evenIjESF_NSA_11use_defaultESK_EENS0_5tupleIJNSA_16discard_iteratorISK_EESF_EEENSM_IJSG_SG_EEES6_PlJS6_EEE10hipError_tPvRmT3_T4_T5_T6_T7_T9_mT8_P12ihipStream_tbDpT10_ENKUlT_T0_E_clISt17integral_constantIbLb1EES1A_IbLb0EEEEDaS16_S17_EUlS16_E_NS1_11comp_targetILNS1_3genE10ELNS1_11target_archE1200ELNS1_3gpuE4ELNS1_3repE0EEENS1_30default_config_static_selectorELNS0_4arch9wavefront6targetE1EEEvT1_.kd
    .uniform_work_group_size: 1
    .uses_dynamic_stack: false
    .vgpr_count:     0
    .vgpr_spill_count: 0
    .wavefront_size: 64
  - .agpr_count:     0
    .args:
      - .offset:         0
        .size:           136
        .value_kind:     by_value
    .group_segment_fixed_size: 0
    .kernarg_segment_align: 8
    .kernarg_segment_size: 136
    .language:       OpenCL C
    .language_version:
      - 2
      - 0
    .max_flat_workgroup_size: 128
    .name:           _ZN7rocprim17ROCPRIM_400000_NS6detail17trampoline_kernelINS0_14default_configENS1_25partition_config_selectorILNS1_17partition_subalgoE1EjNS0_10empty_typeEbEEZZNS1_14partition_implILS5_1ELb0ES3_jN6thrust23THRUST_200600_302600_NS6detail15normal_iteratorINSA_10device_ptrIjEEEEPS6_NSA_18transform_iteratorI7is_evenIjESF_NSA_11use_defaultESK_EENS0_5tupleIJNSA_16discard_iteratorISK_EESF_EEENSM_IJSG_SG_EEES6_PlJS6_EEE10hipError_tPvRmT3_T4_T5_T6_T7_T9_mT8_P12ihipStream_tbDpT10_ENKUlT_T0_E_clISt17integral_constantIbLb1EES1A_IbLb0EEEEDaS16_S17_EUlS16_E_NS1_11comp_targetILNS1_3genE9ELNS1_11target_archE1100ELNS1_3gpuE3ELNS1_3repE0EEENS1_30default_config_static_selectorELNS0_4arch9wavefront6targetE1EEEvT1_
    .private_segment_fixed_size: 0
    .sgpr_count:     4
    .sgpr_spill_count: 0
    .symbol:         _ZN7rocprim17ROCPRIM_400000_NS6detail17trampoline_kernelINS0_14default_configENS1_25partition_config_selectorILNS1_17partition_subalgoE1EjNS0_10empty_typeEbEEZZNS1_14partition_implILS5_1ELb0ES3_jN6thrust23THRUST_200600_302600_NS6detail15normal_iteratorINSA_10device_ptrIjEEEEPS6_NSA_18transform_iteratorI7is_evenIjESF_NSA_11use_defaultESK_EENS0_5tupleIJNSA_16discard_iteratorISK_EESF_EEENSM_IJSG_SG_EEES6_PlJS6_EEE10hipError_tPvRmT3_T4_T5_T6_T7_T9_mT8_P12ihipStream_tbDpT10_ENKUlT_T0_E_clISt17integral_constantIbLb1EES1A_IbLb0EEEEDaS16_S17_EUlS16_E_NS1_11comp_targetILNS1_3genE9ELNS1_11target_archE1100ELNS1_3gpuE3ELNS1_3repE0EEENS1_30default_config_static_selectorELNS0_4arch9wavefront6targetE1EEEvT1_.kd
    .uniform_work_group_size: 1
    .uses_dynamic_stack: false
    .vgpr_count:     0
    .vgpr_spill_count: 0
    .wavefront_size: 64
  - .agpr_count:     0
    .args:
      - .offset:         0
        .size:           136
        .value_kind:     by_value
    .group_segment_fixed_size: 0
    .kernarg_segment_align: 8
    .kernarg_segment_size: 136
    .language:       OpenCL C
    .language_version:
      - 2
      - 0
    .max_flat_workgroup_size: 512
    .name:           _ZN7rocprim17ROCPRIM_400000_NS6detail17trampoline_kernelINS0_14default_configENS1_25partition_config_selectorILNS1_17partition_subalgoE1EjNS0_10empty_typeEbEEZZNS1_14partition_implILS5_1ELb0ES3_jN6thrust23THRUST_200600_302600_NS6detail15normal_iteratorINSA_10device_ptrIjEEEEPS6_NSA_18transform_iteratorI7is_evenIjESF_NSA_11use_defaultESK_EENS0_5tupleIJNSA_16discard_iteratorISK_EESF_EEENSM_IJSG_SG_EEES6_PlJS6_EEE10hipError_tPvRmT3_T4_T5_T6_T7_T9_mT8_P12ihipStream_tbDpT10_ENKUlT_T0_E_clISt17integral_constantIbLb1EES1A_IbLb0EEEEDaS16_S17_EUlS16_E_NS1_11comp_targetILNS1_3genE8ELNS1_11target_archE1030ELNS1_3gpuE2ELNS1_3repE0EEENS1_30default_config_static_selectorELNS0_4arch9wavefront6targetE1EEEvT1_
    .private_segment_fixed_size: 0
    .sgpr_count:     4
    .sgpr_spill_count: 0
    .symbol:         _ZN7rocprim17ROCPRIM_400000_NS6detail17trampoline_kernelINS0_14default_configENS1_25partition_config_selectorILNS1_17partition_subalgoE1EjNS0_10empty_typeEbEEZZNS1_14partition_implILS5_1ELb0ES3_jN6thrust23THRUST_200600_302600_NS6detail15normal_iteratorINSA_10device_ptrIjEEEEPS6_NSA_18transform_iteratorI7is_evenIjESF_NSA_11use_defaultESK_EENS0_5tupleIJNSA_16discard_iteratorISK_EESF_EEENSM_IJSG_SG_EEES6_PlJS6_EEE10hipError_tPvRmT3_T4_T5_T6_T7_T9_mT8_P12ihipStream_tbDpT10_ENKUlT_T0_E_clISt17integral_constantIbLb1EES1A_IbLb0EEEEDaS16_S17_EUlS16_E_NS1_11comp_targetILNS1_3genE8ELNS1_11target_archE1030ELNS1_3gpuE2ELNS1_3repE0EEENS1_30default_config_static_selectorELNS0_4arch9wavefront6targetE1EEEvT1_.kd
    .uniform_work_group_size: 1
    .uses_dynamic_stack: false
    .vgpr_count:     0
    .vgpr_spill_count: 0
    .wavefront_size: 64
  - .agpr_count:     0
    .args:
      - .offset:         0
        .size:           152
        .value_kind:     by_value
    .group_segment_fixed_size: 0
    .kernarg_segment_align: 8
    .kernarg_segment_size: 152
    .language:       OpenCL C
    .language_version:
      - 2
      - 0
    .max_flat_workgroup_size: 256
    .name:           _ZN7rocprim17ROCPRIM_400000_NS6detail17trampoline_kernelINS0_14default_configENS1_25partition_config_selectorILNS1_17partition_subalgoE1EjNS0_10empty_typeEbEEZZNS1_14partition_implILS5_1ELb0ES3_jN6thrust23THRUST_200600_302600_NS6detail15normal_iteratorINSA_10device_ptrIjEEEEPS6_NSA_18transform_iteratorI7is_evenIjESF_NSA_11use_defaultESK_EENS0_5tupleIJNSA_16discard_iteratorISK_EESF_EEENSM_IJSG_SG_EEES6_PlJS6_EEE10hipError_tPvRmT3_T4_T5_T6_T7_T9_mT8_P12ihipStream_tbDpT10_ENKUlT_T0_E_clISt17integral_constantIbLb0EES1A_IbLb1EEEEDaS16_S17_EUlS16_E_NS1_11comp_targetILNS1_3genE0ELNS1_11target_archE4294967295ELNS1_3gpuE0ELNS1_3repE0EEENS1_30default_config_static_selectorELNS0_4arch9wavefront6targetE1EEEvT1_
    .private_segment_fixed_size: 0
    .sgpr_count:     4
    .sgpr_spill_count: 0
    .symbol:         _ZN7rocprim17ROCPRIM_400000_NS6detail17trampoline_kernelINS0_14default_configENS1_25partition_config_selectorILNS1_17partition_subalgoE1EjNS0_10empty_typeEbEEZZNS1_14partition_implILS5_1ELb0ES3_jN6thrust23THRUST_200600_302600_NS6detail15normal_iteratorINSA_10device_ptrIjEEEEPS6_NSA_18transform_iteratorI7is_evenIjESF_NSA_11use_defaultESK_EENS0_5tupleIJNSA_16discard_iteratorISK_EESF_EEENSM_IJSG_SG_EEES6_PlJS6_EEE10hipError_tPvRmT3_T4_T5_T6_T7_T9_mT8_P12ihipStream_tbDpT10_ENKUlT_T0_E_clISt17integral_constantIbLb0EES1A_IbLb1EEEEDaS16_S17_EUlS16_E_NS1_11comp_targetILNS1_3genE0ELNS1_11target_archE4294967295ELNS1_3gpuE0ELNS1_3repE0EEENS1_30default_config_static_selectorELNS0_4arch9wavefront6targetE1EEEvT1_.kd
    .uniform_work_group_size: 1
    .uses_dynamic_stack: false
    .vgpr_count:     0
    .vgpr_spill_count: 0
    .wavefront_size: 64
  - .agpr_count:     0
    .args:
      - .offset:         0
        .size:           152
        .value_kind:     by_value
    .group_segment_fixed_size: 0
    .kernarg_segment_align: 8
    .kernarg_segment_size: 152
    .language:       OpenCL C
    .language_version:
      - 2
      - 0
    .max_flat_workgroup_size: 512
    .name:           _ZN7rocprim17ROCPRIM_400000_NS6detail17trampoline_kernelINS0_14default_configENS1_25partition_config_selectorILNS1_17partition_subalgoE1EjNS0_10empty_typeEbEEZZNS1_14partition_implILS5_1ELb0ES3_jN6thrust23THRUST_200600_302600_NS6detail15normal_iteratorINSA_10device_ptrIjEEEEPS6_NSA_18transform_iteratorI7is_evenIjESF_NSA_11use_defaultESK_EENS0_5tupleIJNSA_16discard_iteratorISK_EESF_EEENSM_IJSG_SG_EEES6_PlJS6_EEE10hipError_tPvRmT3_T4_T5_T6_T7_T9_mT8_P12ihipStream_tbDpT10_ENKUlT_T0_E_clISt17integral_constantIbLb0EES1A_IbLb1EEEEDaS16_S17_EUlS16_E_NS1_11comp_targetILNS1_3genE5ELNS1_11target_archE942ELNS1_3gpuE9ELNS1_3repE0EEENS1_30default_config_static_selectorELNS0_4arch9wavefront6targetE1EEEvT1_
    .private_segment_fixed_size: 0
    .sgpr_count:     4
    .sgpr_spill_count: 0
    .symbol:         _ZN7rocprim17ROCPRIM_400000_NS6detail17trampoline_kernelINS0_14default_configENS1_25partition_config_selectorILNS1_17partition_subalgoE1EjNS0_10empty_typeEbEEZZNS1_14partition_implILS5_1ELb0ES3_jN6thrust23THRUST_200600_302600_NS6detail15normal_iteratorINSA_10device_ptrIjEEEEPS6_NSA_18transform_iteratorI7is_evenIjESF_NSA_11use_defaultESK_EENS0_5tupleIJNSA_16discard_iteratorISK_EESF_EEENSM_IJSG_SG_EEES6_PlJS6_EEE10hipError_tPvRmT3_T4_T5_T6_T7_T9_mT8_P12ihipStream_tbDpT10_ENKUlT_T0_E_clISt17integral_constantIbLb0EES1A_IbLb1EEEEDaS16_S17_EUlS16_E_NS1_11comp_targetILNS1_3genE5ELNS1_11target_archE942ELNS1_3gpuE9ELNS1_3repE0EEENS1_30default_config_static_selectorELNS0_4arch9wavefront6targetE1EEEvT1_.kd
    .uniform_work_group_size: 1
    .uses_dynamic_stack: false
    .vgpr_count:     0
    .vgpr_spill_count: 0
    .wavefront_size: 64
  - .agpr_count:     0
    .args:
      - .offset:         0
        .size:           152
        .value_kind:     by_value
    .group_segment_fixed_size: 7176
    .kernarg_segment_align: 8
    .kernarg_segment_size: 152
    .language:       OpenCL C
    .language_version:
      - 2
      - 0
    .max_flat_workgroup_size: 256
    .name:           _ZN7rocprim17ROCPRIM_400000_NS6detail17trampoline_kernelINS0_14default_configENS1_25partition_config_selectorILNS1_17partition_subalgoE1EjNS0_10empty_typeEbEEZZNS1_14partition_implILS5_1ELb0ES3_jN6thrust23THRUST_200600_302600_NS6detail15normal_iteratorINSA_10device_ptrIjEEEEPS6_NSA_18transform_iteratorI7is_evenIjESF_NSA_11use_defaultESK_EENS0_5tupleIJNSA_16discard_iteratorISK_EESF_EEENSM_IJSG_SG_EEES6_PlJS6_EEE10hipError_tPvRmT3_T4_T5_T6_T7_T9_mT8_P12ihipStream_tbDpT10_ENKUlT_T0_E_clISt17integral_constantIbLb0EES1A_IbLb1EEEEDaS16_S17_EUlS16_E_NS1_11comp_targetILNS1_3genE4ELNS1_11target_archE910ELNS1_3gpuE8ELNS1_3repE0EEENS1_30default_config_static_selectorELNS0_4arch9wavefront6targetE1EEEvT1_
    .private_segment_fixed_size: 0
    .sgpr_count:     46
    .sgpr_spill_count: 0
    .symbol:         _ZN7rocprim17ROCPRIM_400000_NS6detail17trampoline_kernelINS0_14default_configENS1_25partition_config_selectorILNS1_17partition_subalgoE1EjNS0_10empty_typeEbEEZZNS1_14partition_implILS5_1ELb0ES3_jN6thrust23THRUST_200600_302600_NS6detail15normal_iteratorINSA_10device_ptrIjEEEEPS6_NSA_18transform_iteratorI7is_evenIjESF_NSA_11use_defaultESK_EENS0_5tupleIJNSA_16discard_iteratorISK_EESF_EEENSM_IJSG_SG_EEES6_PlJS6_EEE10hipError_tPvRmT3_T4_T5_T6_T7_T9_mT8_P12ihipStream_tbDpT10_ENKUlT_T0_E_clISt17integral_constantIbLb0EES1A_IbLb1EEEEDaS16_S17_EUlS16_E_NS1_11comp_targetILNS1_3genE4ELNS1_11target_archE910ELNS1_3gpuE8ELNS1_3repE0EEENS1_30default_config_static_selectorELNS0_4arch9wavefront6targetE1EEEvT1_.kd
    .uniform_work_group_size: 1
    .uses_dynamic_stack: false
    .vgpr_count:     51
    .vgpr_spill_count: 0
    .wavefront_size: 64
  - .agpr_count:     0
    .args:
      - .offset:         0
        .size:           152
        .value_kind:     by_value
    .group_segment_fixed_size: 0
    .kernarg_segment_align: 8
    .kernarg_segment_size: 152
    .language:       OpenCL C
    .language_version:
      - 2
      - 0
    .max_flat_workgroup_size: 256
    .name:           _ZN7rocprim17ROCPRIM_400000_NS6detail17trampoline_kernelINS0_14default_configENS1_25partition_config_selectorILNS1_17partition_subalgoE1EjNS0_10empty_typeEbEEZZNS1_14partition_implILS5_1ELb0ES3_jN6thrust23THRUST_200600_302600_NS6detail15normal_iteratorINSA_10device_ptrIjEEEEPS6_NSA_18transform_iteratorI7is_evenIjESF_NSA_11use_defaultESK_EENS0_5tupleIJNSA_16discard_iteratorISK_EESF_EEENSM_IJSG_SG_EEES6_PlJS6_EEE10hipError_tPvRmT3_T4_T5_T6_T7_T9_mT8_P12ihipStream_tbDpT10_ENKUlT_T0_E_clISt17integral_constantIbLb0EES1A_IbLb1EEEEDaS16_S17_EUlS16_E_NS1_11comp_targetILNS1_3genE3ELNS1_11target_archE908ELNS1_3gpuE7ELNS1_3repE0EEENS1_30default_config_static_selectorELNS0_4arch9wavefront6targetE1EEEvT1_
    .private_segment_fixed_size: 0
    .sgpr_count:     4
    .sgpr_spill_count: 0
    .symbol:         _ZN7rocprim17ROCPRIM_400000_NS6detail17trampoline_kernelINS0_14default_configENS1_25partition_config_selectorILNS1_17partition_subalgoE1EjNS0_10empty_typeEbEEZZNS1_14partition_implILS5_1ELb0ES3_jN6thrust23THRUST_200600_302600_NS6detail15normal_iteratorINSA_10device_ptrIjEEEEPS6_NSA_18transform_iteratorI7is_evenIjESF_NSA_11use_defaultESK_EENS0_5tupleIJNSA_16discard_iteratorISK_EESF_EEENSM_IJSG_SG_EEES6_PlJS6_EEE10hipError_tPvRmT3_T4_T5_T6_T7_T9_mT8_P12ihipStream_tbDpT10_ENKUlT_T0_E_clISt17integral_constantIbLb0EES1A_IbLb1EEEEDaS16_S17_EUlS16_E_NS1_11comp_targetILNS1_3genE3ELNS1_11target_archE908ELNS1_3gpuE7ELNS1_3repE0EEENS1_30default_config_static_selectorELNS0_4arch9wavefront6targetE1EEEvT1_.kd
    .uniform_work_group_size: 1
    .uses_dynamic_stack: false
    .vgpr_count:     0
    .vgpr_spill_count: 0
    .wavefront_size: 64
  - .agpr_count:     0
    .args:
      - .offset:         0
        .size:           152
        .value_kind:     by_value
    .group_segment_fixed_size: 0
    .kernarg_segment_align: 8
    .kernarg_segment_size: 152
    .language:       OpenCL C
    .language_version:
      - 2
      - 0
    .max_flat_workgroup_size: 256
    .name:           _ZN7rocprim17ROCPRIM_400000_NS6detail17trampoline_kernelINS0_14default_configENS1_25partition_config_selectorILNS1_17partition_subalgoE1EjNS0_10empty_typeEbEEZZNS1_14partition_implILS5_1ELb0ES3_jN6thrust23THRUST_200600_302600_NS6detail15normal_iteratorINSA_10device_ptrIjEEEEPS6_NSA_18transform_iteratorI7is_evenIjESF_NSA_11use_defaultESK_EENS0_5tupleIJNSA_16discard_iteratorISK_EESF_EEENSM_IJSG_SG_EEES6_PlJS6_EEE10hipError_tPvRmT3_T4_T5_T6_T7_T9_mT8_P12ihipStream_tbDpT10_ENKUlT_T0_E_clISt17integral_constantIbLb0EES1A_IbLb1EEEEDaS16_S17_EUlS16_E_NS1_11comp_targetILNS1_3genE2ELNS1_11target_archE906ELNS1_3gpuE6ELNS1_3repE0EEENS1_30default_config_static_selectorELNS0_4arch9wavefront6targetE1EEEvT1_
    .private_segment_fixed_size: 0
    .sgpr_count:     4
    .sgpr_spill_count: 0
    .symbol:         _ZN7rocprim17ROCPRIM_400000_NS6detail17trampoline_kernelINS0_14default_configENS1_25partition_config_selectorILNS1_17partition_subalgoE1EjNS0_10empty_typeEbEEZZNS1_14partition_implILS5_1ELb0ES3_jN6thrust23THRUST_200600_302600_NS6detail15normal_iteratorINSA_10device_ptrIjEEEEPS6_NSA_18transform_iteratorI7is_evenIjESF_NSA_11use_defaultESK_EENS0_5tupleIJNSA_16discard_iteratorISK_EESF_EEENSM_IJSG_SG_EEES6_PlJS6_EEE10hipError_tPvRmT3_T4_T5_T6_T7_T9_mT8_P12ihipStream_tbDpT10_ENKUlT_T0_E_clISt17integral_constantIbLb0EES1A_IbLb1EEEEDaS16_S17_EUlS16_E_NS1_11comp_targetILNS1_3genE2ELNS1_11target_archE906ELNS1_3gpuE6ELNS1_3repE0EEENS1_30default_config_static_selectorELNS0_4arch9wavefront6targetE1EEEvT1_.kd
    .uniform_work_group_size: 1
    .uses_dynamic_stack: false
    .vgpr_count:     0
    .vgpr_spill_count: 0
    .wavefront_size: 64
  - .agpr_count:     0
    .args:
      - .offset:         0
        .size:           152
        .value_kind:     by_value
    .group_segment_fixed_size: 0
    .kernarg_segment_align: 8
    .kernarg_segment_size: 152
    .language:       OpenCL C
    .language_version:
      - 2
      - 0
    .max_flat_workgroup_size: 256
    .name:           _ZN7rocprim17ROCPRIM_400000_NS6detail17trampoline_kernelINS0_14default_configENS1_25partition_config_selectorILNS1_17partition_subalgoE1EjNS0_10empty_typeEbEEZZNS1_14partition_implILS5_1ELb0ES3_jN6thrust23THRUST_200600_302600_NS6detail15normal_iteratorINSA_10device_ptrIjEEEEPS6_NSA_18transform_iteratorI7is_evenIjESF_NSA_11use_defaultESK_EENS0_5tupleIJNSA_16discard_iteratorISK_EESF_EEENSM_IJSG_SG_EEES6_PlJS6_EEE10hipError_tPvRmT3_T4_T5_T6_T7_T9_mT8_P12ihipStream_tbDpT10_ENKUlT_T0_E_clISt17integral_constantIbLb0EES1A_IbLb1EEEEDaS16_S17_EUlS16_E_NS1_11comp_targetILNS1_3genE10ELNS1_11target_archE1200ELNS1_3gpuE4ELNS1_3repE0EEENS1_30default_config_static_selectorELNS0_4arch9wavefront6targetE1EEEvT1_
    .private_segment_fixed_size: 0
    .sgpr_count:     4
    .sgpr_spill_count: 0
    .symbol:         _ZN7rocprim17ROCPRIM_400000_NS6detail17trampoline_kernelINS0_14default_configENS1_25partition_config_selectorILNS1_17partition_subalgoE1EjNS0_10empty_typeEbEEZZNS1_14partition_implILS5_1ELb0ES3_jN6thrust23THRUST_200600_302600_NS6detail15normal_iteratorINSA_10device_ptrIjEEEEPS6_NSA_18transform_iteratorI7is_evenIjESF_NSA_11use_defaultESK_EENS0_5tupleIJNSA_16discard_iteratorISK_EESF_EEENSM_IJSG_SG_EEES6_PlJS6_EEE10hipError_tPvRmT3_T4_T5_T6_T7_T9_mT8_P12ihipStream_tbDpT10_ENKUlT_T0_E_clISt17integral_constantIbLb0EES1A_IbLb1EEEEDaS16_S17_EUlS16_E_NS1_11comp_targetILNS1_3genE10ELNS1_11target_archE1200ELNS1_3gpuE4ELNS1_3repE0EEENS1_30default_config_static_selectorELNS0_4arch9wavefront6targetE1EEEvT1_.kd
    .uniform_work_group_size: 1
    .uses_dynamic_stack: false
    .vgpr_count:     0
    .vgpr_spill_count: 0
    .wavefront_size: 64
  - .agpr_count:     0
    .args:
      - .offset:         0
        .size:           152
        .value_kind:     by_value
    .group_segment_fixed_size: 0
    .kernarg_segment_align: 8
    .kernarg_segment_size: 152
    .language:       OpenCL C
    .language_version:
      - 2
      - 0
    .max_flat_workgroup_size: 128
    .name:           _ZN7rocprim17ROCPRIM_400000_NS6detail17trampoline_kernelINS0_14default_configENS1_25partition_config_selectorILNS1_17partition_subalgoE1EjNS0_10empty_typeEbEEZZNS1_14partition_implILS5_1ELb0ES3_jN6thrust23THRUST_200600_302600_NS6detail15normal_iteratorINSA_10device_ptrIjEEEEPS6_NSA_18transform_iteratorI7is_evenIjESF_NSA_11use_defaultESK_EENS0_5tupleIJNSA_16discard_iteratorISK_EESF_EEENSM_IJSG_SG_EEES6_PlJS6_EEE10hipError_tPvRmT3_T4_T5_T6_T7_T9_mT8_P12ihipStream_tbDpT10_ENKUlT_T0_E_clISt17integral_constantIbLb0EES1A_IbLb1EEEEDaS16_S17_EUlS16_E_NS1_11comp_targetILNS1_3genE9ELNS1_11target_archE1100ELNS1_3gpuE3ELNS1_3repE0EEENS1_30default_config_static_selectorELNS0_4arch9wavefront6targetE1EEEvT1_
    .private_segment_fixed_size: 0
    .sgpr_count:     4
    .sgpr_spill_count: 0
    .symbol:         _ZN7rocprim17ROCPRIM_400000_NS6detail17trampoline_kernelINS0_14default_configENS1_25partition_config_selectorILNS1_17partition_subalgoE1EjNS0_10empty_typeEbEEZZNS1_14partition_implILS5_1ELb0ES3_jN6thrust23THRUST_200600_302600_NS6detail15normal_iteratorINSA_10device_ptrIjEEEEPS6_NSA_18transform_iteratorI7is_evenIjESF_NSA_11use_defaultESK_EENS0_5tupleIJNSA_16discard_iteratorISK_EESF_EEENSM_IJSG_SG_EEES6_PlJS6_EEE10hipError_tPvRmT3_T4_T5_T6_T7_T9_mT8_P12ihipStream_tbDpT10_ENKUlT_T0_E_clISt17integral_constantIbLb0EES1A_IbLb1EEEEDaS16_S17_EUlS16_E_NS1_11comp_targetILNS1_3genE9ELNS1_11target_archE1100ELNS1_3gpuE3ELNS1_3repE0EEENS1_30default_config_static_selectorELNS0_4arch9wavefront6targetE1EEEvT1_.kd
    .uniform_work_group_size: 1
    .uses_dynamic_stack: false
    .vgpr_count:     0
    .vgpr_spill_count: 0
    .wavefront_size: 64
  - .agpr_count:     0
    .args:
      - .offset:         0
        .size:           152
        .value_kind:     by_value
    .group_segment_fixed_size: 0
    .kernarg_segment_align: 8
    .kernarg_segment_size: 152
    .language:       OpenCL C
    .language_version:
      - 2
      - 0
    .max_flat_workgroup_size: 512
    .name:           _ZN7rocprim17ROCPRIM_400000_NS6detail17trampoline_kernelINS0_14default_configENS1_25partition_config_selectorILNS1_17partition_subalgoE1EjNS0_10empty_typeEbEEZZNS1_14partition_implILS5_1ELb0ES3_jN6thrust23THRUST_200600_302600_NS6detail15normal_iteratorINSA_10device_ptrIjEEEEPS6_NSA_18transform_iteratorI7is_evenIjESF_NSA_11use_defaultESK_EENS0_5tupleIJNSA_16discard_iteratorISK_EESF_EEENSM_IJSG_SG_EEES6_PlJS6_EEE10hipError_tPvRmT3_T4_T5_T6_T7_T9_mT8_P12ihipStream_tbDpT10_ENKUlT_T0_E_clISt17integral_constantIbLb0EES1A_IbLb1EEEEDaS16_S17_EUlS16_E_NS1_11comp_targetILNS1_3genE8ELNS1_11target_archE1030ELNS1_3gpuE2ELNS1_3repE0EEENS1_30default_config_static_selectorELNS0_4arch9wavefront6targetE1EEEvT1_
    .private_segment_fixed_size: 0
    .sgpr_count:     4
    .sgpr_spill_count: 0
    .symbol:         _ZN7rocprim17ROCPRIM_400000_NS6detail17trampoline_kernelINS0_14default_configENS1_25partition_config_selectorILNS1_17partition_subalgoE1EjNS0_10empty_typeEbEEZZNS1_14partition_implILS5_1ELb0ES3_jN6thrust23THRUST_200600_302600_NS6detail15normal_iteratorINSA_10device_ptrIjEEEEPS6_NSA_18transform_iteratorI7is_evenIjESF_NSA_11use_defaultESK_EENS0_5tupleIJNSA_16discard_iteratorISK_EESF_EEENSM_IJSG_SG_EEES6_PlJS6_EEE10hipError_tPvRmT3_T4_T5_T6_T7_T9_mT8_P12ihipStream_tbDpT10_ENKUlT_T0_E_clISt17integral_constantIbLb0EES1A_IbLb1EEEEDaS16_S17_EUlS16_E_NS1_11comp_targetILNS1_3genE8ELNS1_11target_archE1030ELNS1_3gpuE2ELNS1_3repE0EEENS1_30default_config_static_selectorELNS0_4arch9wavefront6targetE1EEEvT1_.kd
    .uniform_work_group_size: 1
    .uses_dynamic_stack: false
    .vgpr_count:     0
    .vgpr_spill_count: 0
    .wavefront_size: 64
  - .agpr_count:     0
    .args:
      - .offset:         0
        .size:           144
        .value_kind:     by_value
    .group_segment_fixed_size: 0
    .kernarg_segment_align: 8
    .kernarg_segment_size: 144
    .language:       OpenCL C
    .language_version:
      - 2
      - 0
    .max_flat_workgroup_size: 256
    .name:           _ZN7rocprim17ROCPRIM_400000_NS6detail17trampoline_kernelINS0_14default_configENS1_25partition_config_selectorILNS1_17partition_subalgoE1EtNS0_10empty_typeEbEEZZNS1_14partition_implILS5_1ELb0ES3_jN6thrust23THRUST_200600_302600_NS6detail15normal_iteratorINSA_10device_ptrItEEEEPS6_NSA_18transform_iteratorI7is_evenItESF_NSA_11use_defaultESK_EENS0_5tupleIJNSA_16discard_iteratorISK_EESO_EEENSM_IJSG_SG_EEES6_PlJS6_EEE10hipError_tPvRmT3_T4_T5_T6_T7_T9_mT8_P12ihipStream_tbDpT10_ENKUlT_T0_E_clISt17integral_constantIbLb0EES1B_EEDaS16_S17_EUlS16_E_NS1_11comp_targetILNS1_3genE0ELNS1_11target_archE4294967295ELNS1_3gpuE0ELNS1_3repE0EEENS1_30default_config_static_selectorELNS0_4arch9wavefront6targetE1EEEvT1_
    .private_segment_fixed_size: 0
    .sgpr_count:     4
    .sgpr_spill_count: 0
    .symbol:         _ZN7rocprim17ROCPRIM_400000_NS6detail17trampoline_kernelINS0_14default_configENS1_25partition_config_selectorILNS1_17partition_subalgoE1EtNS0_10empty_typeEbEEZZNS1_14partition_implILS5_1ELb0ES3_jN6thrust23THRUST_200600_302600_NS6detail15normal_iteratorINSA_10device_ptrItEEEEPS6_NSA_18transform_iteratorI7is_evenItESF_NSA_11use_defaultESK_EENS0_5tupleIJNSA_16discard_iteratorISK_EESO_EEENSM_IJSG_SG_EEES6_PlJS6_EEE10hipError_tPvRmT3_T4_T5_T6_T7_T9_mT8_P12ihipStream_tbDpT10_ENKUlT_T0_E_clISt17integral_constantIbLb0EES1B_EEDaS16_S17_EUlS16_E_NS1_11comp_targetILNS1_3genE0ELNS1_11target_archE4294967295ELNS1_3gpuE0ELNS1_3repE0EEENS1_30default_config_static_selectorELNS0_4arch9wavefront6targetE1EEEvT1_.kd
    .uniform_work_group_size: 1
    .uses_dynamic_stack: false
    .vgpr_count:     0
    .vgpr_spill_count: 0
    .wavefront_size: 64
  - .agpr_count:     0
    .args:
      - .offset:         0
        .size:           144
        .value_kind:     by_value
    .group_segment_fixed_size: 0
    .kernarg_segment_align: 8
    .kernarg_segment_size: 144
    .language:       OpenCL C
    .language_version:
      - 2
      - 0
    .max_flat_workgroup_size: 512
    .name:           _ZN7rocprim17ROCPRIM_400000_NS6detail17trampoline_kernelINS0_14default_configENS1_25partition_config_selectorILNS1_17partition_subalgoE1EtNS0_10empty_typeEbEEZZNS1_14partition_implILS5_1ELb0ES3_jN6thrust23THRUST_200600_302600_NS6detail15normal_iteratorINSA_10device_ptrItEEEEPS6_NSA_18transform_iteratorI7is_evenItESF_NSA_11use_defaultESK_EENS0_5tupleIJNSA_16discard_iteratorISK_EESO_EEENSM_IJSG_SG_EEES6_PlJS6_EEE10hipError_tPvRmT3_T4_T5_T6_T7_T9_mT8_P12ihipStream_tbDpT10_ENKUlT_T0_E_clISt17integral_constantIbLb0EES1B_EEDaS16_S17_EUlS16_E_NS1_11comp_targetILNS1_3genE5ELNS1_11target_archE942ELNS1_3gpuE9ELNS1_3repE0EEENS1_30default_config_static_selectorELNS0_4arch9wavefront6targetE1EEEvT1_
    .private_segment_fixed_size: 0
    .sgpr_count:     4
    .sgpr_spill_count: 0
    .symbol:         _ZN7rocprim17ROCPRIM_400000_NS6detail17trampoline_kernelINS0_14default_configENS1_25partition_config_selectorILNS1_17partition_subalgoE1EtNS0_10empty_typeEbEEZZNS1_14partition_implILS5_1ELb0ES3_jN6thrust23THRUST_200600_302600_NS6detail15normal_iteratorINSA_10device_ptrItEEEEPS6_NSA_18transform_iteratorI7is_evenItESF_NSA_11use_defaultESK_EENS0_5tupleIJNSA_16discard_iteratorISK_EESO_EEENSM_IJSG_SG_EEES6_PlJS6_EEE10hipError_tPvRmT3_T4_T5_T6_T7_T9_mT8_P12ihipStream_tbDpT10_ENKUlT_T0_E_clISt17integral_constantIbLb0EES1B_EEDaS16_S17_EUlS16_E_NS1_11comp_targetILNS1_3genE5ELNS1_11target_archE942ELNS1_3gpuE9ELNS1_3repE0EEENS1_30default_config_static_selectorELNS0_4arch9wavefront6targetE1EEEvT1_.kd
    .uniform_work_group_size: 1
    .uses_dynamic_stack: false
    .vgpr_count:     0
    .vgpr_spill_count: 0
    .wavefront_size: 64
  - .agpr_count:     0
    .args:
      - .offset:         0
        .size:           144
        .value_kind:     by_value
    .group_segment_fixed_size: 10248
    .kernarg_segment_align: 8
    .kernarg_segment_size: 144
    .language:       OpenCL C
    .language_version:
      - 2
      - 0
    .max_flat_workgroup_size: 256
    .name:           _ZN7rocprim17ROCPRIM_400000_NS6detail17trampoline_kernelINS0_14default_configENS1_25partition_config_selectorILNS1_17partition_subalgoE1EtNS0_10empty_typeEbEEZZNS1_14partition_implILS5_1ELb0ES3_jN6thrust23THRUST_200600_302600_NS6detail15normal_iteratorINSA_10device_ptrItEEEEPS6_NSA_18transform_iteratorI7is_evenItESF_NSA_11use_defaultESK_EENS0_5tupleIJNSA_16discard_iteratorISK_EESO_EEENSM_IJSG_SG_EEES6_PlJS6_EEE10hipError_tPvRmT3_T4_T5_T6_T7_T9_mT8_P12ihipStream_tbDpT10_ENKUlT_T0_E_clISt17integral_constantIbLb0EES1B_EEDaS16_S17_EUlS16_E_NS1_11comp_targetILNS1_3genE4ELNS1_11target_archE910ELNS1_3gpuE8ELNS1_3repE0EEENS1_30default_config_static_selectorELNS0_4arch9wavefront6targetE1EEEvT1_
    .private_segment_fixed_size: 0
    .sgpr_count:     40
    .sgpr_spill_count: 0
    .symbol:         _ZN7rocprim17ROCPRIM_400000_NS6detail17trampoline_kernelINS0_14default_configENS1_25partition_config_selectorILNS1_17partition_subalgoE1EtNS0_10empty_typeEbEEZZNS1_14partition_implILS5_1ELb0ES3_jN6thrust23THRUST_200600_302600_NS6detail15normal_iteratorINSA_10device_ptrItEEEEPS6_NSA_18transform_iteratorI7is_evenItESF_NSA_11use_defaultESK_EENS0_5tupleIJNSA_16discard_iteratorISK_EESO_EEENSM_IJSG_SG_EEES6_PlJS6_EEE10hipError_tPvRmT3_T4_T5_T6_T7_T9_mT8_P12ihipStream_tbDpT10_ENKUlT_T0_E_clISt17integral_constantIbLb0EES1B_EEDaS16_S17_EUlS16_E_NS1_11comp_targetILNS1_3genE4ELNS1_11target_archE910ELNS1_3gpuE8ELNS1_3repE0EEENS1_30default_config_static_selectorELNS0_4arch9wavefront6targetE1EEEvT1_.kd
    .uniform_work_group_size: 1
    .uses_dynamic_stack: false
    .vgpr_count:     64
    .vgpr_spill_count: 0
    .wavefront_size: 64
  - .agpr_count:     0
    .args:
      - .offset:         0
        .size:           144
        .value_kind:     by_value
    .group_segment_fixed_size: 0
    .kernarg_segment_align: 8
    .kernarg_segment_size: 144
    .language:       OpenCL C
    .language_version:
      - 2
      - 0
    .max_flat_workgroup_size: 256
    .name:           _ZN7rocprim17ROCPRIM_400000_NS6detail17trampoline_kernelINS0_14default_configENS1_25partition_config_selectorILNS1_17partition_subalgoE1EtNS0_10empty_typeEbEEZZNS1_14partition_implILS5_1ELb0ES3_jN6thrust23THRUST_200600_302600_NS6detail15normal_iteratorINSA_10device_ptrItEEEEPS6_NSA_18transform_iteratorI7is_evenItESF_NSA_11use_defaultESK_EENS0_5tupleIJNSA_16discard_iteratorISK_EESO_EEENSM_IJSG_SG_EEES6_PlJS6_EEE10hipError_tPvRmT3_T4_T5_T6_T7_T9_mT8_P12ihipStream_tbDpT10_ENKUlT_T0_E_clISt17integral_constantIbLb0EES1B_EEDaS16_S17_EUlS16_E_NS1_11comp_targetILNS1_3genE3ELNS1_11target_archE908ELNS1_3gpuE7ELNS1_3repE0EEENS1_30default_config_static_selectorELNS0_4arch9wavefront6targetE1EEEvT1_
    .private_segment_fixed_size: 0
    .sgpr_count:     4
    .sgpr_spill_count: 0
    .symbol:         _ZN7rocprim17ROCPRIM_400000_NS6detail17trampoline_kernelINS0_14default_configENS1_25partition_config_selectorILNS1_17partition_subalgoE1EtNS0_10empty_typeEbEEZZNS1_14partition_implILS5_1ELb0ES3_jN6thrust23THRUST_200600_302600_NS6detail15normal_iteratorINSA_10device_ptrItEEEEPS6_NSA_18transform_iteratorI7is_evenItESF_NSA_11use_defaultESK_EENS0_5tupleIJNSA_16discard_iteratorISK_EESO_EEENSM_IJSG_SG_EEES6_PlJS6_EEE10hipError_tPvRmT3_T4_T5_T6_T7_T9_mT8_P12ihipStream_tbDpT10_ENKUlT_T0_E_clISt17integral_constantIbLb0EES1B_EEDaS16_S17_EUlS16_E_NS1_11comp_targetILNS1_3genE3ELNS1_11target_archE908ELNS1_3gpuE7ELNS1_3repE0EEENS1_30default_config_static_selectorELNS0_4arch9wavefront6targetE1EEEvT1_.kd
    .uniform_work_group_size: 1
    .uses_dynamic_stack: false
    .vgpr_count:     0
    .vgpr_spill_count: 0
    .wavefront_size: 64
  - .agpr_count:     0
    .args:
      - .offset:         0
        .size:           144
        .value_kind:     by_value
    .group_segment_fixed_size: 0
    .kernarg_segment_align: 8
    .kernarg_segment_size: 144
    .language:       OpenCL C
    .language_version:
      - 2
      - 0
    .max_flat_workgroup_size: 256
    .name:           _ZN7rocprim17ROCPRIM_400000_NS6detail17trampoline_kernelINS0_14default_configENS1_25partition_config_selectorILNS1_17partition_subalgoE1EtNS0_10empty_typeEbEEZZNS1_14partition_implILS5_1ELb0ES3_jN6thrust23THRUST_200600_302600_NS6detail15normal_iteratorINSA_10device_ptrItEEEEPS6_NSA_18transform_iteratorI7is_evenItESF_NSA_11use_defaultESK_EENS0_5tupleIJNSA_16discard_iteratorISK_EESO_EEENSM_IJSG_SG_EEES6_PlJS6_EEE10hipError_tPvRmT3_T4_T5_T6_T7_T9_mT8_P12ihipStream_tbDpT10_ENKUlT_T0_E_clISt17integral_constantIbLb0EES1B_EEDaS16_S17_EUlS16_E_NS1_11comp_targetILNS1_3genE2ELNS1_11target_archE906ELNS1_3gpuE6ELNS1_3repE0EEENS1_30default_config_static_selectorELNS0_4arch9wavefront6targetE1EEEvT1_
    .private_segment_fixed_size: 0
    .sgpr_count:     4
    .sgpr_spill_count: 0
    .symbol:         _ZN7rocprim17ROCPRIM_400000_NS6detail17trampoline_kernelINS0_14default_configENS1_25partition_config_selectorILNS1_17partition_subalgoE1EtNS0_10empty_typeEbEEZZNS1_14partition_implILS5_1ELb0ES3_jN6thrust23THRUST_200600_302600_NS6detail15normal_iteratorINSA_10device_ptrItEEEEPS6_NSA_18transform_iteratorI7is_evenItESF_NSA_11use_defaultESK_EENS0_5tupleIJNSA_16discard_iteratorISK_EESO_EEENSM_IJSG_SG_EEES6_PlJS6_EEE10hipError_tPvRmT3_T4_T5_T6_T7_T9_mT8_P12ihipStream_tbDpT10_ENKUlT_T0_E_clISt17integral_constantIbLb0EES1B_EEDaS16_S17_EUlS16_E_NS1_11comp_targetILNS1_3genE2ELNS1_11target_archE906ELNS1_3gpuE6ELNS1_3repE0EEENS1_30default_config_static_selectorELNS0_4arch9wavefront6targetE1EEEvT1_.kd
    .uniform_work_group_size: 1
    .uses_dynamic_stack: false
    .vgpr_count:     0
    .vgpr_spill_count: 0
    .wavefront_size: 64
  - .agpr_count:     0
    .args:
      - .offset:         0
        .size:           144
        .value_kind:     by_value
    .group_segment_fixed_size: 0
    .kernarg_segment_align: 8
    .kernarg_segment_size: 144
    .language:       OpenCL C
    .language_version:
      - 2
      - 0
    .max_flat_workgroup_size: 384
    .name:           _ZN7rocprim17ROCPRIM_400000_NS6detail17trampoline_kernelINS0_14default_configENS1_25partition_config_selectorILNS1_17partition_subalgoE1EtNS0_10empty_typeEbEEZZNS1_14partition_implILS5_1ELb0ES3_jN6thrust23THRUST_200600_302600_NS6detail15normal_iteratorINSA_10device_ptrItEEEEPS6_NSA_18transform_iteratorI7is_evenItESF_NSA_11use_defaultESK_EENS0_5tupleIJNSA_16discard_iteratorISK_EESO_EEENSM_IJSG_SG_EEES6_PlJS6_EEE10hipError_tPvRmT3_T4_T5_T6_T7_T9_mT8_P12ihipStream_tbDpT10_ENKUlT_T0_E_clISt17integral_constantIbLb0EES1B_EEDaS16_S17_EUlS16_E_NS1_11comp_targetILNS1_3genE10ELNS1_11target_archE1200ELNS1_3gpuE4ELNS1_3repE0EEENS1_30default_config_static_selectorELNS0_4arch9wavefront6targetE1EEEvT1_
    .private_segment_fixed_size: 0
    .sgpr_count:     4
    .sgpr_spill_count: 0
    .symbol:         _ZN7rocprim17ROCPRIM_400000_NS6detail17trampoline_kernelINS0_14default_configENS1_25partition_config_selectorILNS1_17partition_subalgoE1EtNS0_10empty_typeEbEEZZNS1_14partition_implILS5_1ELb0ES3_jN6thrust23THRUST_200600_302600_NS6detail15normal_iteratorINSA_10device_ptrItEEEEPS6_NSA_18transform_iteratorI7is_evenItESF_NSA_11use_defaultESK_EENS0_5tupleIJNSA_16discard_iteratorISK_EESO_EEENSM_IJSG_SG_EEES6_PlJS6_EEE10hipError_tPvRmT3_T4_T5_T6_T7_T9_mT8_P12ihipStream_tbDpT10_ENKUlT_T0_E_clISt17integral_constantIbLb0EES1B_EEDaS16_S17_EUlS16_E_NS1_11comp_targetILNS1_3genE10ELNS1_11target_archE1200ELNS1_3gpuE4ELNS1_3repE0EEENS1_30default_config_static_selectorELNS0_4arch9wavefront6targetE1EEEvT1_.kd
    .uniform_work_group_size: 1
    .uses_dynamic_stack: false
    .vgpr_count:     0
    .vgpr_spill_count: 0
    .wavefront_size: 64
  - .agpr_count:     0
    .args:
      - .offset:         0
        .size:           144
        .value_kind:     by_value
    .group_segment_fixed_size: 0
    .kernarg_segment_align: 8
    .kernarg_segment_size: 144
    .language:       OpenCL C
    .language_version:
      - 2
      - 0
    .max_flat_workgroup_size: 128
    .name:           _ZN7rocprim17ROCPRIM_400000_NS6detail17trampoline_kernelINS0_14default_configENS1_25partition_config_selectorILNS1_17partition_subalgoE1EtNS0_10empty_typeEbEEZZNS1_14partition_implILS5_1ELb0ES3_jN6thrust23THRUST_200600_302600_NS6detail15normal_iteratorINSA_10device_ptrItEEEEPS6_NSA_18transform_iteratorI7is_evenItESF_NSA_11use_defaultESK_EENS0_5tupleIJNSA_16discard_iteratorISK_EESO_EEENSM_IJSG_SG_EEES6_PlJS6_EEE10hipError_tPvRmT3_T4_T5_T6_T7_T9_mT8_P12ihipStream_tbDpT10_ENKUlT_T0_E_clISt17integral_constantIbLb0EES1B_EEDaS16_S17_EUlS16_E_NS1_11comp_targetILNS1_3genE9ELNS1_11target_archE1100ELNS1_3gpuE3ELNS1_3repE0EEENS1_30default_config_static_selectorELNS0_4arch9wavefront6targetE1EEEvT1_
    .private_segment_fixed_size: 0
    .sgpr_count:     4
    .sgpr_spill_count: 0
    .symbol:         _ZN7rocprim17ROCPRIM_400000_NS6detail17trampoline_kernelINS0_14default_configENS1_25partition_config_selectorILNS1_17partition_subalgoE1EtNS0_10empty_typeEbEEZZNS1_14partition_implILS5_1ELb0ES3_jN6thrust23THRUST_200600_302600_NS6detail15normal_iteratorINSA_10device_ptrItEEEEPS6_NSA_18transform_iteratorI7is_evenItESF_NSA_11use_defaultESK_EENS0_5tupleIJNSA_16discard_iteratorISK_EESO_EEENSM_IJSG_SG_EEES6_PlJS6_EEE10hipError_tPvRmT3_T4_T5_T6_T7_T9_mT8_P12ihipStream_tbDpT10_ENKUlT_T0_E_clISt17integral_constantIbLb0EES1B_EEDaS16_S17_EUlS16_E_NS1_11comp_targetILNS1_3genE9ELNS1_11target_archE1100ELNS1_3gpuE3ELNS1_3repE0EEENS1_30default_config_static_selectorELNS0_4arch9wavefront6targetE1EEEvT1_.kd
    .uniform_work_group_size: 1
    .uses_dynamic_stack: false
    .vgpr_count:     0
    .vgpr_spill_count: 0
    .wavefront_size: 64
  - .agpr_count:     0
    .args:
      - .offset:         0
        .size:           144
        .value_kind:     by_value
    .group_segment_fixed_size: 0
    .kernarg_segment_align: 8
    .kernarg_segment_size: 144
    .language:       OpenCL C
    .language_version:
      - 2
      - 0
    .max_flat_workgroup_size: 512
    .name:           _ZN7rocprim17ROCPRIM_400000_NS6detail17trampoline_kernelINS0_14default_configENS1_25partition_config_selectorILNS1_17partition_subalgoE1EtNS0_10empty_typeEbEEZZNS1_14partition_implILS5_1ELb0ES3_jN6thrust23THRUST_200600_302600_NS6detail15normal_iteratorINSA_10device_ptrItEEEEPS6_NSA_18transform_iteratorI7is_evenItESF_NSA_11use_defaultESK_EENS0_5tupleIJNSA_16discard_iteratorISK_EESO_EEENSM_IJSG_SG_EEES6_PlJS6_EEE10hipError_tPvRmT3_T4_T5_T6_T7_T9_mT8_P12ihipStream_tbDpT10_ENKUlT_T0_E_clISt17integral_constantIbLb0EES1B_EEDaS16_S17_EUlS16_E_NS1_11comp_targetILNS1_3genE8ELNS1_11target_archE1030ELNS1_3gpuE2ELNS1_3repE0EEENS1_30default_config_static_selectorELNS0_4arch9wavefront6targetE1EEEvT1_
    .private_segment_fixed_size: 0
    .sgpr_count:     4
    .sgpr_spill_count: 0
    .symbol:         _ZN7rocprim17ROCPRIM_400000_NS6detail17trampoline_kernelINS0_14default_configENS1_25partition_config_selectorILNS1_17partition_subalgoE1EtNS0_10empty_typeEbEEZZNS1_14partition_implILS5_1ELb0ES3_jN6thrust23THRUST_200600_302600_NS6detail15normal_iteratorINSA_10device_ptrItEEEEPS6_NSA_18transform_iteratorI7is_evenItESF_NSA_11use_defaultESK_EENS0_5tupleIJNSA_16discard_iteratorISK_EESO_EEENSM_IJSG_SG_EEES6_PlJS6_EEE10hipError_tPvRmT3_T4_T5_T6_T7_T9_mT8_P12ihipStream_tbDpT10_ENKUlT_T0_E_clISt17integral_constantIbLb0EES1B_EEDaS16_S17_EUlS16_E_NS1_11comp_targetILNS1_3genE8ELNS1_11target_archE1030ELNS1_3gpuE2ELNS1_3repE0EEENS1_30default_config_static_selectorELNS0_4arch9wavefront6targetE1EEEvT1_.kd
    .uniform_work_group_size: 1
    .uses_dynamic_stack: false
    .vgpr_count:     0
    .vgpr_spill_count: 0
    .wavefront_size: 64
  - .agpr_count:     0
    .args:
      - .offset:         0
        .size:           160
        .value_kind:     by_value
    .group_segment_fixed_size: 0
    .kernarg_segment_align: 8
    .kernarg_segment_size: 160
    .language:       OpenCL C
    .language_version:
      - 2
      - 0
    .max_flat_workgroup_size: 256
    .name:           _ZN7rocprim17ROCPRIM_400000_NS6detail17trampoline_kernelINS0_14default_configENS1_25partition_config_selectorILNS1_17partition_subalgoE1EtNS0_10empty_typeEbEEZZNS1_14partition_implILS5_1ELb0ES3_jN6thrust23THRUST_200600_302600_NS6detail15normal_iteratorINSA_10device_ptrItEEEEPS6_NSA_18transform_iteratorI7is_evenItESF_NSA_11use_defaultESK_EENS0_5tupleIJNSA_16discard_iteratorISK_EESO_EEENSM_IJSG_SG_EEES6_PlJS6_EEE10hipError_tPvRmT3_T4_T5_T6_T7_T9_mT8_P12ihipStream_tbDpT10_ENKUlT_T0_E_clISt17integral_constantIbLb1EES1B_EEDaS16_S17_EUlS16_E_NS1_11comp_targetILNS1_3genE0ELNS1_11target_archE4294967295ELNS1_3gpuE0ELNS1_3repE0EEENS1_30default_config_static_selectorELNS0_4arch9wavefront6targetE1EEEvT1_
    .private_segment_fixed_size: 0
    .sgpr_count:     4
    .sgpr_spill_count: 0
    .symbol:         _ZN7rocprim17ROCPRIM_400000_NS6detail17trampoline_kernelINS0_14default_configENS1_25partition_config_selectorILNS1_17partition_subalgoE1EtNS0_10empty_typeEbEEZZNS1_14partition_implILS5_1ELb0ES3_jN6thrust23THRUST_200600_302600_NS6detail15normal_iteratorINSA_10device_ptrItEEEEPS6_NSA_18transform_iteratorI7is_evenItESF_NSA_11use_defaultESK_EENS0_5tupleIJNSA_16discard_iteratorISK_EESO_EEENSM_IJSG_SG_EEES6_PlJS6_EEE10hipError_tPvRmT3_T4_T5_T6_T7_T9_mT8_P12ihipStream_tbDpT10_ENKUlT_T0_E_clISt17integral_constantIbLb1EES1B_EEDaS16_S17_EUlS16_E_NS1_11comp_targetILNS1_3genE0ELNS1_11target_archE4294967295ELNS1_3gpuE0ELNS1_3repE0EEENS1_30default_config_static_selectorELNS0_4arch9wavefront6targetE1EEEvT1_.kd
    .uniform_work_group_size: 1
    .uses_dynamic_stack: false
    .vgpr_count:     0
    .vgpr_spill_count: 0
    .wavefront_size: 64
  - .agpr_count:     0
    .args:
      - .offset:         0
        .size:           160
        .value_kind:     by_value
    .group_segment_fixed_size: 0
    .kernarg_segment_align: 8
    .kernarg_segment_size: 160
    .language:       OpenCL C
    .language_version:
      - 2
      - 0
    .max_flat_workgroup_size: 512
    .name:           _ZN7rocprim17ROCPRIM_400000_NS6detail17trampoline_kernelINS0_14default_configENS1_25partition_config_selectorILNS1_17partition_subalgoE1EtNS0_10empty_typeEbEEZZNS1_14partition_implILS5_1ELb0ES3_jN6thrust23THRUST_200600_302600_NS6detail15normal_iteratorINSA_10device_ptrItEEEEPS6_NSA_18transform_iteratorI7is_evenItESF_NSA_11use_defaultESK_EENS0_5tupleIJNSA_16discard_iteratorISK_EESO_EEENSM_IJSG_SG_EEES6_PlJS6_EEE10hipError_tPvRmT3_T4_T5_T6_T7_T9_mT8_P12ihipStream_tbDpT10_ENKUlT_T0_E_clISt17integral_constantIbLb1EES1B_EEDaS16_S17_EUlS16_E_NS1_11comp_targetILNS1_3genE5ELNS1_11target_archE942ELNS1_3gpuE9ELNS1_3repE0EEENS1_30default_config_static_selectorELNS0_4arch9wavefront6targetE1EEEvT1_
    .private_segment_fixed_size: 0
    .sgpr_count:     4
    .sgpr_spill_count: 0
    .symbol:         _ZN7rocprim17ROCPRIM_400000_NS6detail17trampoline_kernelINS0_14default_configENS1_25partition_config_selectorILNS1_17partition_subalgoE1EtNS0_10empty_typeEbEEZZNS1_14partition_implILS5_1ELb0ES3_jN6thrust23THRUST_200600_302600_NS6detail15normal_iteratorINSA_10device_ptrItEEEEPS6_NSA_18transform_iteratorI7is_evenItESF_NSA_11use_defaultESK_EENS0_5tupleIJNSA_16discard_iteratorISK_EESO_EEENSM_IJSG_SG_EEES6_PlJS6_EEE10hipError_tPvRmT3_T4_T5_T6_T7_T9_mT8_P12ihipStream_tbDpT10_ENKUlT_T0_E_clISt17integral_constantIbLb1EES1B_EEDaS16_S17_EUlS16_E_NS1_11comp_targetILNS1_3genE5ELNS1_11target_archE942ELNS1_3gpuE9ELNS1_3repE0EEENS1_30default_config_static_selectorELNS0_4arch9wavefront6targetE1EEEvT1_.kd
    .uniform_work_group_size: 1
    .uses_dynamic_stack: false
    .vgpr_count:     0
    .vgpr_spill_count: 0
    .wavefront_size: 64
  - .agpr_count:     0
    .args:
      - .offset:         0
        .size:           160
        .value_kind:     by_value
    .group_segment_fixed_size: 10248
    .kernarg_segment_align: 8
    .kernarg_segment_size: 160
    .language:       OpenCL C
    .language_version:
      - 2
      - 0
    .max_flat_workgroup_size: 256
    .name:           _ZN7rocprim17ROCPRIM_400000_NS6detail17trampoline_kernelINS0_14default_configENS1_25partition_config_selectorILNS1_17partition_subalgoE1EtNS0_10empty_typeEbEEZZNS1_14partition_implILS5_1ELb0ES3_jN6thrust23THRUST_200600_302600_NS6detail15normal_iteratorINSA_10device_ptrItEEEEPS6_NSA_18transform_iteratorI7is_evenItESF_NSA_11use_defaultESK_EENS0_5tupleIJNSA_16discard_iteratorISK_EESO_EEENSM_IJSG_SG_EEES6_PlJS6_EEE10hipError_tPvRmT3_T4_T5_T6_T7_T9_mT8_P12ihipStream_tbDpT10_ENKUlT_T0_E_clISt17integral_constantIbLb1EES1B_EEDaS16_S17_EUlS16_E_NS1_11comp_targetILNS1_3genE4ELNS1_11target_archE910ELNS1_3gpuE8ELNS1_3repE0EEENS1_30default_config_static_selectorELNS0_4arch9wavefront6targetE1EEEvT1_
    .private_segment_fixed_size: 0
    .sgpr_count:     40
    .sgpr_spill_count: 0
    .symbol:         _ZN7rocprim17ROCPRIM_400000_NS6detail17trampoline_kernelINS0_14default_configENS1_25partition_config_selectorILNS1_17partition_subalgoE1EtNS0_10empty_typeEbEEZZNS1_14partition_implILS5_1ELb0ES3_jN6thrust23THRUST_200600_302600_NS6detail15normal_iteratorINSA_10device_ptrItEEEEPS6_NSA_18transform_iteratorI7is_evenItESF_NSA_11use_defaultESK_EENS0_5tupleIJNSA_16discard_iteratorISK_EESO_EEENSM_IJSG_SG_EEES6_PlJS6_EEE10hipError_tPvRmT3_T4_T5_T6_T7_T9_mT8_P12ihipStream_tbDpT10_ENKUlT_T0_E_clISt17integral_constantIbLb1EES1B_EEDaS16_S17_EUlS16_E_NS1_11comp_targetILNS1_3genE4ELNS1_11target_archE910ELNS1_3gpuE8ELNS1_3repE0EEENS1_30default_config_static_selectorELNS0_4arch9wavefront6targetE1EEEvT1_.kd
    .uniform_work_group_size: 1
    .uses_dynamic_stack: false
    .vgpr_count:     66
    .vgpr_spill_count: 0
    .wavefront_size: 64
  - .agpr_count:     0
    .args:
      - .offset:         0
        .size:           160
        .value_kind:     by_value
    .group_segment_fixed_size: 0
    .kernarg_segment_align: 8
    .kernarg_segment_size: 160
    .language:       OpenCL C
    .language_version:
      - 2
      - 0
    .max_flat_workgroup_size: 256
    .name:           _ZN7rocprim17ROCPRIM_400000_NS6detail17trampoline_kernelINS0_14default_configENS1_25partition_config_selectorILNS1_17partition_subalgoE1EtNS0_10empty_typeEbEEZZNS1_14partition_implILS5_1ELb0ES3_jN6thrust23THRUST_200600_302600_NS6detail15normal_iteratorINSA_10device_ptrItEEEEPS6_NSA_18transform_iteratorI7is_evenItESF_NSA_11use_defaultESK_EENS0_5tupleIJNSA_16discard_iteratorISK_EESO_EEENSM_IJSG_SG_EEES6_PlJS6_EEE10hipError_tPvRmT3_T4_T5_T6_T7_T9_mT8_P12ihipStream_tbDpT10_ENKUlT_T0_E_clISt17integral_constantIbLb1EES1B_EEDaS16_S17_EUlS16_E_NS1_11comp_targetILNS1_3genE3ELNS1_11target_archE908ELNS1_3gpuE7ELNS1_3repE0EEENS1_30default_config_static_selectorELNS0_4arch9wavefront6targetE1EEEvT1_
    .private_segment_fixed_size: 0
    .sgpr_count:     4
    .sgpr_spill_count: 0
    .symbol:         _ZN7rocprim17ROCPRIM_400000_NS6detail17trampoline_kernelINS0_14default_configENS1_25partition_config_selectorILNS1_17partition_subalgoE1EtNS0_10empty_typeEbEEZZNS1_14partition_implILS5_1ELb0ES3_jN6thrust23THRUST_200600_302600_NS6detail15normal_iteratorINSA_10device_ptrItEEEEPS6_NSA_18transform_iteratorI7is_evenItESF_NSA_11use_defaultESK_EENS0_5tupleIJNSA_16discard_iteratorISK_EESO_EEENSM_IJSG_SG_EEES6_PlJS6_EEE10hipError_tPvRmT3_T4_T5_T6_T7_T9_mT8_P12ihipStream_tbDpT10_ENKUlT_T0_E_clISt17integral_constantIbLb1EES1B_EEDaS16_S17_EUlS16_E_NS1_11comp_targetILNS1_3genE3ELNS1_11target_archE908ELNS1_3gpuE7ELNS1_3repE0EEENS1_30default_config_static_selectorELNS0_4arch9wavefront6targetE1EEEvT1_.kd
    .uniform_work_group_size: 1
    .uses_dynamic_stack: false
    .vgpr_count:     0
    .vgpr_spill_count: 0
    .wavefront_size: 64
  - .agpr_count:     0
    .args:
      - .offset:         0
        .size:           160
        .value_kind:     by_value
    .group_segment_fixed_size: 0
    .kernarg_segment_align: 8
    .kernarg_segment_size: 160
    .language:       OpenCL C
    .language_version:
      - 2
      - 0
    .max_flat_workgroup_size: 256
    .name:           _ZN7rocprim17ROCPRIM_400000_NS6detail17trampoline_kernelINS0_14default_configENS1_25partition_config_selectorILNS1_17partition_subalgoE1EtNS0_10empty_typeEbEEZZNS1_14partition_implILS5_1ELb0ES3_jN6thrust23THRUST_200600_302600_NS6detail15normal_iteratorINSA_10device_ptrItEEEEPS6_NSA_18transform_iteratorI7is_evenItESF_NSA_11use_defaultESK_EENS0_5tupleIJNSA_16discard_iteratorISK_EESO_EEENSM_IJSG_SG_EEES6_PlJS6_EEE10hipError_tPvRmT3_T4_T5_T6_T7_T9_mT8_P12ihipStream_tbDpT10_ENKUlT_T0_E_clISt17integral_constantIbLb1EES1B_EEDaS16_S17_EUlS16_E_NS1_11comp_targetILNS1_3genE2ELNS1_11target_archE906ELNS1_3gpuE6ELNS1_3repE0EEENS1_30default_config_static_selectorELNS0_4arch9wavefront6targetE1EEEvT1_
    .private_segment_fixed_size: 0
    .sgpr_count:     4
    .sgpr_spill_count: 0
    .symbol:         _ZN7rocprim17ROCPRIM_400000_NS6detail17trampoline_kernelINS0_14default_configENS1_25partition_config_selectorILNS1_17partition_subalgoE1EtNS0_10empty_typeEbEEZZNS1_14partition_implILS5_1ELb0ES3_jN6thrust23THRUST_200600_302600_NS6detail15normal_iteratorINSA_10device_ptrItEEEEPS6_NSA_18transform_iteratorI7is_evenItESF_NSA_11use_defaultESK_EENS0_5tupleIJNSA_16discard_iteratorISK_EESO_EEENSM_IJSG_SG_EEES6_PlJS6_EEE10hipError_tPvRmT3_T4_T5_T6_T7_T9_mT8_P12ihipStream_tbDpT10_ENKUlT_T0_E_clISt17integral_constantIbLb1EES1B_EEDaS16_S17_EUlS16_E_NS1_11comp_targetILNS1_3genE2ELNS1_11target_archE906ELNS1_3gpuE6ELNS1_3repE0EEENS1_30default_config_static_selectorELNS0_4arch9wavefront6targetE1EEEvT1_.kd
    .uniform_work_group_size: 1
    .uses_dynamic_stack: false
    .vgpr_count:     0
    .vgpr_spill_count: 0
    .wavefront_size: 64
  - .agpr_count:     0
    .args:
      - .offset:         0
        .size:           160
        .value_kind:     by_value
    .group_segment_fixed_size: 0
    .kernarg_segment_align: 8
    .kernarg_segment_size: 160
    .language:       OpenCL C
    .language_version:
      - 2
      - 0
    .max_flat_workgroup_size: 384
    .name:           _ZN7rocprim17ROCPRIM_400000_NS6detail17trampoline_kernelINS0_14default_configENS1_25partition_config_selectorILNS1_17partition_subalgoE1EtNS0_10empty_typeEbEEZZNS1_14partition_implILS5_1ELb0ES3_jN6thrust23THRUST_200600_302600_NS6detail15normal_iteratorINSA_10device_ptrItEEEEPS6_NSA_18transform_iteratorI7is_evenItESF_NSA_11use_defaultESK_EENS0_5tupleIJNSA_16discard_iteratorISK_EESO_EEENSM_IJSG_SG_EEES6_PlJS6_EEE10hipError_tPvRmT3_T4_T5_T6_T7_T9_mT8_P12ihipStream_tbDpT10_ENKUlT_T0_E_clISt17integral_constantIbLb1EES1B_EEDaS16_S17_EUlS16_E_NS1_11comp_targetILNS1_3genE10ELNS1_11target_archE1200ELNS1_3gpuE4ELNS1_3repE0EEENS1_30default_config_static_selectorELNS0_4arch9wavefront6targetE1EEEvT1_
    .private_segment_fixed_size: 0
    .sgpr_count:     4
    .sgpr_spill_count: 0
    .symbol:         _ZN7rocprim17ROCPRIM_400000_NS6detail17trampoline_kernelINS0_14default_configENS1_25partition_config_selectorILNS1_17partition_subalgoE1EtNS0_10empty_typeEbEEZZNS1_14partition_implILS5_1ELb0ES3_jN6thrust23THRUST_200600_302600_NS6detail15normal_iteratorINSA_10device_ptrItEEEEPS6_NSA_18transform_iteratorI7is_evenItESF_NSA_11use_defaultESK_EENS0_5tupleIJNSA_16discard_iteratorISK_EESO_EEENSM_IJSG_SG_EEES6_PlJS6_EEE10hipError_tPvRmT3_T4_T5_T6_T7_T9_mT8_P12ihipStream_tbDpT10_ENKUlT_T0_E_clISt17integral_constantIbLb1EES1B_EEDaS16_S17_EUlS16_E_NS1_11comp_targetILNS1_3genE10ELNS1_11target_archE1200ELNS1_3gpuE4ELNS1_3repE0EEENS1_30default_config_static_selectorELNS0_4arch9wavefront6targetE1EEEvT1_.kd
    .uniform_work_group_size: 1
    .uses_dynamic_stack: false
    .vgpr_count:     0
    .vgpr_spill_count: 0
    .wavefront_size: 64
  - .agpr_count:     0
    .args:
      - .offset:         0
        .size:           160
        .value_kind:     by_value
    .group_segment_fixed_size: 0
    .kernarg_segment_align: 8
    .kernarg_segment_size: 160
    .language:       OpenCL C
    .language_version:
      - 2
      - 0
    .max_flat_workgroup_size: 128
    .name:           _ZN7rocprim17ROCPRIM_400000_NS6detail17trampoline_kernelINS0_14default_configENS1_25partition_config_selectorILNS1_17partition_subalgoE1EtNS0_10empty_typeEbEEZZNS1_14partition_implILS5_1ELb0ES3_jN6thrust23THRUST_200600_302600_NS6detail15normal_iteratorINSA_10device_ptrItEEEEPS6_NSA_18transform_iteratorI7is_evenItESF_NSA_11use_defaultESK_EENS0_5tupleIJNSA_16discard_iteratorISK_EESO_EEENSM_IJSG_SG_EEES6_PlJS6_EEE10hipError_tPvRmT3_T4_T5_T6_T7_T9_mT8_P12ihipStream_tbDpT10_ENKUlT_T0_E_clISt17integral_constantIbLb1EES1B_EEDaS16_S17_EUlS16_E_NS1_11comp_targetILNS1_3genE9ELNS1_11target_archE1100ELNS1_3gpuE3ELNS1_3repE0EEENS1_30default_config_static_selectorELNS0_4arch9wavefront6targetE1EEEvT1_
    .private_segment_fixed_size: 0
    .sgpr_count:     4
    .sgpr_spill_count: 0
    .symbol:         _ZN7rocprim17ROCPRIM_400000_NS6detail17trampoline_kernelINS0_14default_configENS1_25partition_config_selectorILNS1_17partition_subalgoE1EtNS0_10empty_typeEbEEZZNS1_14partition_implILS5_1ELb0ES3_jN6thrust23THRUST_200600_302600_NS6detail15normal_iteratorINSA_10device_ptrItEEEEPS6_NSA_18transform_iteratorI7is_evenItESF_NSA_11use_defaultESK_EENS0_5tupleIJNSA_16discard_iteratorISK_EESO_EEENSM_IJSG_SG_EEES6_PlJS6_EEE10hipError_tPvRmT3_T4_T5_T6_T7_T9_mT8_P12ihipStream_tbDpT10_ENKUlT_T0_E_clISt17integral_constantIbLb1EES1B_EEDaS16_S17_EUlS16_E_NS1_11comp_targetILNS1_3genE9ELNS1_11target_archE1100ELNS1_3gpuE3ELNS1_3repE0EEENS1_30default_config_static_selectorELNS0_4arch9wavefront6targetE1EEEvT1_.kd
    .uniform_work_group_size: 1
    .uses_dynamic_stack: false
    .vgpr_count:     0
    .vgpr_spill_count: 0
    .wavefront_size: 64
  - .agpr_count:     0
    .args:
      - .offset:         0
        .size:           160
        .value_kind:     by_value
    .group_segment_fixed_size: 0
    .kernarg_segment_align: 8
    .kernarg_segment_size: 160
    .language:       OpenCL C
    .language_version:
      - 2
      - 0
    .max_flat_workgroup_size: 512
    .name:           _ZN7rocprim17ROCPRIM_400000_NS6detail17trampoline_kernelINS0_14default_configENS1_25partition_config_selectorILNS1_17partition_subalgoE1EtNS0_10empty_typeEbEEZZNS1_14partition_implILS5_1ELb0ES3_jN6thrust23THRUST_200600_302600_NS6detail15normal_iteratorINSA_10device_ptrItEEEEPS6_NSA_18transform_iteratorI7is_evenItESF_NSA_11use_defaultESK_EENS0_5tupleIJNSA_16discard_iteratorISK_EESO_EEENSM_IJSG_SG_EEES6_PlJS6_EEE10hipError_tPvRmT3_T4_T5_T6_T7_T9_mT8_P12ihipStream_tbDpT10_ENKUlT_T0_E_clISt17integral_constantIbLb1EES1B_EEDaS16_S17_EUlS16_E_NS1_11comp_targetILNS1_3genE8ELNS1_11target_archE1030ELNS1_3gpuE2ELNS1_3repE0EEENS1_30default_config_static_selectorELNS0_4arch9wavefront6targetE1EEEvT1_
    .private_segment_fixed_size: 0
    .sgpr_count:     4
    .sgpr_spill_count: 0
    .symbol:         _ZN7rocprim17ROCPRIM_400000_NS6detail17trampoline_kernelINS0_14default_configENS1_25partition_config_selectorILNS1_17partition_subalgoE1EtNS0_10empty_typeEbEEZZNS1_14partition_implILS5_1ELb0ES3_jN6thrust23THRUST_200600_302600_NS6detail15normal_iteratorINSA_10device_ptrItEEEEPS6_NSA_18transform_iteratorI7is_evenItESF_NSA_11use_defaultESK_EENS0_5tupleIJNSA_16discard_iteratorISK_EESO_EEENSM_IJSG_SG_EEES6_PlJS6_EEE10hipError_tPvRmT3_T4_T5_T6_T7_T9_mT8_P12ihipStream_tbDpT10_ENKUlT_T0_E_clISt17integral_constantIbLb1EES1B_EEDaS16_S17_EUlS16_E_NS1_11comp_targetILNS1_3genE8ELNS1_11target_archE1030ELNS1_3gpuE2ELNS1_3repE0EEENS1_30default_config_static_selectorELNS0_4arch9wavefront6targetE1EEEvT1_.kd
    .uniform_work_group_size: 1
    .uses_dynamic_stack: false
    .vgpr_count:     0
    .vgpr_spill_count: 0
    .wavefront_size: 64
  - .agpr_count:     0
    .args:
      - .offset:         0
        .size:           144
        .value_kind:     by_value
    .group_segment_fixed_size: 0
    .kernarg_segment_align: 8
    .kernarg_segment_size: 144
    .language:       OpenCL C
    .language_version:
      - 2
      - 0
    .max_flat_workgroup_size: 256
    .name:           _ZN7rocprim17ROCPRIM_400000_NS6detail17trampoline_kernelINS0_14default_configENS1_25partition_config_selectorILNS1_17partition_subalgoE1EtNS0_10empty_typeEbEEZZNS1_14partition_implILS5_1ELb0ES3_jN6thrust23THRUST_200600_302600_NS6detail15normal_iteratorINSA_10device_ptrItEEEEPS6_NSA_18transform_iteratorI7is_evenItESF_NSA_11use_defaultESK_EENS0_5tupleIJNSA_16discard_iteratorISK_EESO_EEENSM_IJSG_SG_EEES6_PlJS6_EEE10hipError_tPvRmT3_T4_T5_T6_T7_T9_mT8_P12ihipStream_tbDpT10_ENKUlT_T0_E_clISt17integral_constantIbLb1EES1A_IbLb0EEEEDaS16_S17_EUlS16_E_NS1_11comp_targetILNS1_3genE0ELNS1_11target_archE4294967295ELNS1_3gpuE0ELNS1_3repE0EEENS1_30default_config_static_selectorELNS0_4arch9wavefront6targetE1EEEvT1_
    .private_segment_fixed_size: 0
    .sgpr_count:     4
    .sgpr_spill_count: 0
    .symbol:         _ZN7rocprim17ROCPRIM_400000_NS6detail17trampoline_kernelINS0_14default_configENS1_25partition_config_selectorILNS1_17partition_subalgoE1EtNS0_10empty_typeEbEEZZNS1_14partition_implILS5_1ELb0ES3_jN6thrust23THRUST_200600_302600_NS6detail15normal_iteratorINSA_10device_ptrItEEEEPS6_NSA_18transform_iteratorI7is_evenItESF_NSA_11use_defaultESK_EENS0_5tupleIJNSA_16discard_iteratorISK_EESO_EEENSM_IJSG_SG_EEES6_PlJS6_EEE10hipError_tPvRmT3_T4_T5_T6_T7_T9_mT8_P12ihipStream_tbDpT10_ENKUlT_T0_E_clISt17integral_constantIbLb1EES1A_IbLb0EEEEDaS16_S17_EUlS16_E_NS1_11comp_targetILNS1_3genE0ELNS1_11target_archE4294967295ELNS1_3gpuE0ELNS1_3repE0EEENS1_30default_config_static_selectorELNS0_4arch9wavefront6targetE1EEEvT1_.kd
    .uniform_work_group_size: 1
    .uses_dynamic_stack: false
    .vgpr_count:     0
    .vgpr_spill_count: 0
    .wavefront_size: 64
  - .agpr_count:     0
    .args:
      - .offset:         0
        .size:           144
        .value_kind:     by_value
    .group_segment_fixed_size: 0
    .kernarg_segment_align: 8
    .kernarg_segment_size: 144
    .language:       OpenCL C
    .language_version:
      - 2
      - 0
    .max_flat_workgroup_size: 512
    .name:           _ZN7rocprim17ROCPRIM_400000_NS6detail17trampoline_kernelINS0_14default_configENS1_25partition_config_selectorILNS1_17partition_subalgoE1EtNS0_10empty_typeEbEEZZNS1_14partition_implILS5_1ELb0ES3_jN6thrust23THRUST_200600_302600_NS6detail15normal_iteratorINSA_10device_ptrItEEEEPS6_NSA_18transform_iteratorI7is_evenItESF_NSA_11use_defaultESK_EENS0_5tupleIJNSA_16discard_iteratorISK_EESO_EEENSM_IJSG_SG_EEES6_PlJS6_EEE10hipError_tPvRmT3_T4_T5_T6_T7_T9_mT8_P12ihipStream_tbDpT10_ENKUlT_T0_E_clISt17integral_constantIbLb1EES1A_IbLb0EEEEDaS16_S17_EUlS16_E_NS1_11comp_targetILNS1_3genE5ELNS1_11target_archE942ELNS1_3gpuE9ELNS1_3repE0EEENS1_30default_config_static_selectorELNS0_4arch9wavefront6targetE1EEEvT1_
    .private_segment_fixed_size: 0
    .sgpr_count:     4
    .sgpr_spill_count: 0
    .symbol:         _ZN7rocprim17ROCPRIM_400000_NS6detail17trampoline_kernelINS0_14default_configENS1_25partition_config_selectorILNS1_17partition_subalgoE1EtNS0_10empty_typeEbEEZZNS1_14partition_implILS5_1ELb0ES3_jN6thrust23THRUST_200600_302600_NS6detail15normal_iteratorINSA_10device_ptrItEEEEPS6_NSA_18transform_iteratorI7is_evenItESF_NSA_11use_defaultESK_EENS0_5tupleIJNSA_16discard_iteratorISK_EESO_EEENSM_IJSG_SG_EEES6_PlJS6_EEE10hipError_tPvRmT3_T4_T5_T6_T7_T9_mT8_P12ihipStream_tbDpT10_ENKUlT_T0_E_clISt17integral_constantIbLb1EES1A_IbLb0EEEEDaS16_S17_EUlS16_E_NS1_11comp_targetILNS1_3genE5ELNS1_11target_archE942ELNS1_3gpuE9ELNS1_3repE0EEENS1_30default_config_static_selectorELNS0_4arch9wavefront6targetE1EEEvT1_.kd
    .uniform_work_group_size: 1
    .uses_dynamic_stack: false
    .vgpr_count:     0
    .vgpr_spill_count: 0
    .wavefront_size: 64
  - .agpr_count:     0
    .args:
      - .offset:         0
        .size:           144
        .value_kind:     by_value
    .group_segment_fixed_size: 10248
    .kernarg_segment_align: 8
    .kernarg_segment_size: 144
    .language:       OpenCL C
    .language_version:
      - 2
      - 0
    .max_flat_workgroup_size: 256
    .name:           _ZN7rocprim17ROCPRIM_400000_NS6detail17trampoline_kernelINS0_14default_configENS1_25partition_config_selectorILNS1_17partition_subalgoE1EtNS0_10empty_typeEbEEZZNS1_14partition_implILS5_1ELb0ES3_jN6thrust23THRUST_200600_302600_NS6detail15normal_iteratorINSA_10device_ptrItEEEEPS6_NSA_18transform_iteratorI7is_evenItESF_NSA_11use_defaultESK_EENS0_5tupleIJNSA_16discard_iteratorISK_EESO_EEENSM_IJSG_SG_EEES6_PlJS6_EEE10hipError_tPvRmT3_T4_T5_T6_T7_T9_mT8_P12ihipStream_tbDpT10_ENKUlT_T0_E_clISt17integral_constantIbLb1EES1A_IbLb0EEEEDaS16_S17_EUlS16_E_NS1_11comp_targetILNS1_3genE4ELNS1_11target_archE910ELNS1_3gpuE8ELNS1_3repE0EEENS1_30default_config_static_selectorELNS0_4arch9wavefront6targetE1EEEvT1_
    .private_segment_fixed_size: 0
    .sgpr_count:     40
    .sgpr_spill_count: 0
    .symbol:         _ZN7rocprim17ROCPRIM_400000_NS6detail17trampoline_kernelINS0_14default_configENS1_25partition_config_selectorILNS1_17partition_subalgoE1EtNS0_10empty_typeEbEEZZNS1_14partition_implILS5_1ELb0ES3_jN6thrust23THRUST_200600_302600_NS6detail15normal_iteratorINSA_10device_ptrItEEEEPS6_NSA_18transform_iteratorI7is_evenItESF_NSA_11use_defaultESK_EENS0_5tupleIJNSA_16discard_iteratorISK_EESO_EEENSM_IJSG_SG_EEES6_PlJS6_EEE10hipError_tPvRmT3_T4_T5_T6_T7_T9_mT8_P12ihipStream_tbDpT10_ENKUlT_T0_E_clISt17integral_constantIbLb1EES1A_IbLb0EEEEDaS16_S17_EUlS16_E_NS1_11comp_targetILNS1_3genE4ELNS1_11target_archE910ELNS1_3gpuE8ELNS1_3repE0EEENS1_30default_config_static_selectorELNS0_4arch9wavefront6targetE1EEEvT1_.kd
    .uniform_work_group_size: 1
    .uses_dynamic_stack: false
    .vgpr_count:     64
    .vgpr_spill_count: 0
    .wavefront_size: 64
  - .agpr_count:     0
    .args:
      - .offset:         0
        .size:           144
        .value_kind:     by_value
    .group_segment_fixed_size: 0
    .kernarg_segment_align: 8
    .kernarg_segment_size: 144
    .language:       OpenCL C
    .language_version:
      - 2
      - 0
    .max_flat_workgroup_size: 256
    .name:           _ZN7rocprim17ROCPRIM_400000_NS6detail17trampoline_kernelINS0_14default_configENS1_25partition_config_selectorILNS1_17partition_subalgoE1EtNS0_10empty_typeEbEEZZNS1_14partition_implILS5_1ELb0ES3_jN6thrust23THRUST_200600_302600_NS6detail15normal_iteratorINSA_10device_ptrItEEEEPS6_NSA_18transform_iteratorI7is_evenItESF_NSA_11use_defaultESK_EENS0_5tupleIJNSA_16discard_iteratorISK_EESO_EEENSM_IJSG_SG_EEES6_PlJS6_EEE10hipError_tPvRmT3_T4_T5_T6_T7_T9_mT8_P12ihipStream_tbDpT10_ENKUlT_T0_E_clISt17integral_constantIbLb1EES1A_IbLb0EEEEDaS16_S17_EUlS16_E_NS1_11comp_targetILNS1_3genE3ELNS1_11target_archE908ELNS1_3gpuE7ELNS1_3repE0EEENS1_30default_config_static_selectorELNS0_4arch9wavefront6targetE1EEEvT1_
    .private_segment_fixed_size: 0
    .sgpr_count:     4
    .sgpr_spill_count: 0
    .symbol:         _ZN7rocprim17ROCPRIM_400000_NS6detail17trampoline_kernelINS0_14default_configENS1_25partition_config_selectorILNS1_17partition_subalgoE1EtNS0_10empty_typeEbEEZZNS1_14partition_implILS5_1ELb0ES3_jN6thrust23THRUST_200600_302600_NS6detail15normal_iteratorINSA_10device_ptrItEEEEPS6_NSA_18transform_iteratorI7is_evenItESF_NSA_11use_defaultESK_EENS0_5tupleIJNSA_16discard_iteratorISK_EESO_EEENSM_IJSG_SG_EEES6_PlJS6_EEE10hipError_tPvRmT3_T4_T5_T6_T7_T9_mT8_P12ihipStream_tbDpT10_ENKUlT_T0_E_clISt17integral_constantIbLb1EES1A_IbLb0EEEEDaS16_S17_EUlS16_E_NS1_11comp_targetILNS1_3genE3ELNS1_11target_archE908ELNS1_3gpuE7ELNS1_3repE0EEENS1_30default_config_static_selectorELNS0_4arch9wavefront6targetE1EEEvT1_.kd
    .uniform_work_group_size: 1
    .uses_dynamic_stack: false
    .vgpr_count:     0
    .vgpr_spill_count: 0
    .wavefront_size: 64
  - .agpr_count:     0
    .args:
      - .offset:         0
        .size:           144
        .value_kind:     by_value
    .group_segment_fixed_size: 0
    .kernarg_segment_align: 8
    .kernarg_segment_size: 144
    .language:       OpenCL C
    .language_version:
      - 2
      - 0
    .max_flat_workgroup_size: 256
    .name:           _ZN7rocprim17ROCPRIM_400000_NS6detail17trampoline_kernelINS0_14default_configENS1_25partition_config_selectorILNS1_17partition_subalgoE1EtNS0_10empty_typeEbEEZZNS1_14partition_implILS5_1ELb0ES3_jN6thrust23THRUST_200600_302600_NS6detail15normal_iteratorINSA_10device_ptrItEEEEPS6_NSA_18transform_iteratorI7is_evenItESF_NSA_11use_defaultESK_EENS0_5tupleIJNSA_16discard_iteratorISK_EESO_EEENSM_IJSG_SG_EEES6_PlJS6_EEE10hipError_tPvRmT3_T4_T5_T6_T7_T9_mT8_P12ihipStream_tbDpT10_ENKUlT_T0_E_clISt17integral_constantIbLb1EES1A_IbLb0EEEEDaS16_S17_EUlS16_E_NS1_11comp_targetILNS1_3genE2ELNS1_11target_archE906ELNS1_3gpuE6ELNS1_3repE0EEENS1_30default_config_static_selectorELNS0_4arch9wavefront6targetE1EEEvT1_
    .private_segment_fixed_size: 0
    .sgpr_count:     4
    .sgpr_spill_count: 0
    .symbol:         _ZN7rocprim17ROCPRIM_400000_NS6detail17trampoline_kernelINS0_14default_configENS1_25partition_config_selectorILNS1_17partition_subalgoE1EtNS0_10empty_typeEbEEZZNS1_14partition_implILS5_1ELb0ES3_jN6thrust23THRUST_200600_302600_NS6detail15normal_iteratorINSA_10device_ptrItEEEEPS6_NSA_18transform_iteratorI7is_evenItESF_NSA_11use_defaultESK_EENS0_5tupleIJNSA_16discard_iteratorISK_EESO_EEENSM_IJSG_SG_EEES6_PlJS6_EEE10hipError_tPvRmT3_T4_T5_T6_T7_T9_mT8_P12ihipStream_tbDpT10_ENKUlT_T0_E_clISt17integral_constantIbLb1EES1A_IbLb0EEEEDaS16_S17_EUlS16_E_NS1_11comp_targetILNS1_3genE2ELNS1_11target_archE906ELNS1_3gpuE6ELNS1_3repE0EEENS1_30default_config_static_selectorELNS0_4arch9wavefront6targetE1EEEvT1_.kd
    .uniform_work_group_size: 1
    .uses_dynamic_stack: false
    .vgpr_count:     0
    .vgpr_spill_count: 0
    .wavefront_size: 64
  - .agpr_count:     0
    .args:
      - .offset:         0
        .size:           144
        .value_kind:     by_value
    .group_segment_fixed_size: 0
    .kernarg_segment_align: 8
    .kernarg_segment_size: 144
    .language:       OpenCL C
    .language_version:
      - 2
      - 0
    .max_flat_workgroup_size: 384
    .name:           _ZN7rocprim17ROCPRIM_400000_NS6detail17trampoline_kernelINS0_14default_configENS1_25partition_config_selectorILNS1_17partition_subalgoE1EtNS0_10empty_typeEbEEZZNS1_14partition_implILS5_1ELb0ES3_jN6thrust23THRUST_200600_302600_NS6detail15normal_iteratorINSA_10device_ptrItEEEEPS6_NSA_18transform_iteratorI7is_evenItESF_NSA_11use_defaultESK_EENS0_5tupleIJNSA_16discard_iteratorISK_EESO_EEENSM_IJSG_SG_EEES6_PlJS6_EEE10hipError_tPvRmT3_T4_T5_T6_T7_T9_mT8_P12ihipStream_tbDpT10_ENKUlT_T0_E_clISt17integral_constantIbLb1EES1A_IbLb0EEEEDaS16_S17_EUlS16_E_NS1_11comp_targetILNS1_3genE10ELNS1_11target_archE1200ELNS1_3gpuE4ELNS1_3repE0EEENS1_30default_config_static_selectorELNS0_4arch9wavefront6targetE1EEEvT1_
    .private_segment_fixed_size: 0
    .sgpr_count:     4
    .sgpr_spill_count: 0
    .symbol:         _ZN7rocprim17ROCPRIM_400000_NS6detail17trampoline_kernelINS0_14default_configENS1_25partition_config_selectorILNS1_17partition_subalgoE1EtNS0_10empty_typeEbEEZZNS1_14partition_implILS5_1ELb0ES3_jN6thrust23THRUST_200600_302600_NS6detail15normal_iteratorINSA_10device_ptrItEEEEPS6_NSA_18transform_iteratorI7is_evenItESF_NSA_11use_defaultESK_EENS0_5tupleIJNSA_16discard_iteratorISK_EESO_EEENSM_IJSG_SG_EEES6_PlJS6_EEE10hipError_tPvRmT3_T4_T5_T6_T7_T9_mT8_P12ihipStream_tbDpT10_ENKUlT_T0_E_clISt17integral_constantIbLb1EES1A_IbLb0EEEEDaS16_S17_EUlS16_E_NS1_11comp_targetILNS1_3genE10ELNS1_11target_archE1200ELNS1_3gpuE4ELNS1_3repE0EEENS1_30default_config_static_selectorELNS0_4arch9wavefront6targetE1EEEvT1_.kd
    .uniform_work_group_size: 1
    .uses_dynamic_stack: false
    .vgpr_count:     0
    .vgpr_spill_count: 0
    .wavefront_size: 64
  - .agpr_count:     0
    .args:
      - .offset:         0
        .size:           144
        .value_kind:     by_value
    .group_segment_fixed_size: 0
    .kernarg_segment_align: 8
    .kernarg_segment_size: 144
    .language:       OpenCL C
    .language_version:
      - 2
      - 0
    .max_flat_workgroup_size: 128
    .name:           _ZN7rocprim17ROCPRIM_400000_NS6detail17trampoline_kernelINS0_14default_configENS1_25partition_config_selectorILNS1_17partition_subalgoE1EtNS0_10empty_typeEbEEZZNS1_14partition_implILS5_1ELb0ES3_jN6thrust23THRUST_200600_302600_NS6detail15normal_iteratorINSA_10device_ptrItEEEEPS6_NSA_18transform_iteratorI7is_evenItESF_NSA_11use_defaultESK_EENS0_5tupleIJNSA_16discard_iteratorISK_EESO_EEENSM_IJSG_SG_EEES6_PlJS6_EEE10hipError_tPvRmT3_T4_T5_T6_T7_T9_mT8_P12ihipStream_tbDpT10_ENKUlT_T0_E_clISt17integral_constantIbLb1EES1A_IbLb0EEEEDaS16_S17_EUlS16_E_NS1_11comp_targetILNS1_3genE9ELNS1_11target_archE1100ELNS1_3gpuE3ELNS1_3repE0EEENS1_30default_config_static_selectorELNS0_4arch9wavefront6targetE1EEEvT1_
    .private_segment_fixed_size: 0
    .sgpr_count:     4
    .sgpr_spill_count: 0
    .symbol:         _ZN7rocprim17ROCPRIM_400000_NS6detail17trampoline_kernelINS0_14default_configENS1_25partition_config_selectorILNS1_17partition_subalgoE1EtNS0_10empty_typeEbEEZZNS1_14partition_implILS5_1ELb0ES3_jN6thrust23THRUST_200600_302600_NS6detail15normal_iteratorINSA_10device_ptrItEEEEPS6_NSA_18transform_iteratorI7is_evenItESF_NSA_11use_defaultESK_EENS0_5tupleIJNSA_16discard_iteratorISK_EESO_EEENSM_IJSG_SG_EEES6_PlJS6_EEE10hipError_tPvRmT3_T4_T5_T6_T7_T9_mT8_P12ihipStream_tbDpT10_ENKUlT_T0_E_clISt17integral_constantIbLb1EES1A_IbLb0EEEEDaS16_S17_EUlS16_E_NS1_11comp_targetILNS1_3genE9ELNS1_11target_archE1100ELNS1_3gpuE3ELNS1_3repE0EEENS1_30default_config_static_selectorELNS0_4arch9wavefront6targetE1EEEvT1_.kd
    .uniform_work_group_size: 1
    .uses_dynamic_stack: false
    .vgpr_count:     0
    .vgpr_spill_count: 0
    .wavefront_size: 64
  - .agpr_count:     0
    .args:
      - .offset:         0
        .size:           144
        .value_kind:     by_value
    .group_segment_fixed_size: 0
    .kernarg_segment_align: 8
    .kernarg_segment_size: 144
    .language:       OpenCL C
    .language_version:
      - 2
      - 0
    .max_flat_workgroup_size: 512
    .name:           _ZN7rocprim17ROCPRIM_400000_NS6detail17trampoline_kernelINS0_14default_configENS1_25partition_config_selectorILNS1_17partition_subalgoE1EtNS0_10empty_typeEbEEZZNS1_14partition_implILS5_1ELb0ES3_jN6thrust23THRUST_200600_302600_NS6detail15normal_iteratorINSA_10device_ptrItEEEEPS6_NSA_18transform_iteratorI7is_evenItESF_NSA_11use_defaultESK_EENS0_5tupleIJNSA_16discard_iteratorISK_EESO_EEENSM_IJSG_SG_EEES6_PlJS6_EEE10hipError_tPvRmT3_T4_T5_T6_T7_T9_mT8_P12ihipStream_tbDpT10_ENKUlT_T0_E_clISt17integral_constantIbLb1EES1A_IbLb0EEEEDaS16_S17_EUlS16_E_NS1_11comp_targetILNS1_3genE8ELNS1_11target_archE1030ELNS1_3gpuE2ELNS1_3repE0EEENS1_30default_config_static_selectorELNS0_4arch9wavefront6targetE1EEEvT1_
    .private_segment_fixed_size: 0
    .sgpr_count:     4
    .sgpr_spill_count: 0
    .symbol:         _ZN7rocprim17ROCPRIM_400000_NS6detail17trampoline_kernelINS0_14default_configENS1_25partition_config_selectorILNS1_17partition_subalgoE1EtNS0_10empty_typeEbEEZZNS1_14partition_implILS5_1ELb0ES3_jN6thrust23THRUST_200600_302600_NS6detail15normal_iteratorINSA_10device_ptrItEEEEPS6_NSA_18transform_iteratorI7is_evenItESF_NSA_11use_defaultESK_EENS0_5tupleIJNSA_16discard_iteratorISK_EESO_EEENSM_IJSG_SG_EEES6_PlJS6_EEE10hipError_tPvRmT3_T4_T5_T6_T7_T9_mT8_P12ihipStream_tbDpT10_ENKUlT_T0_E_clISt17integral_constantIbLb1EES1A_IbLb0EEEEDaS16_S17_EUlS16_E_NS1_11comp_targetILNS1_3genE8ELNS1_11target_archE1030ELNS1_3gpuE2ELNS1_3repE0EEENS1_30default_config_static_selectorELNS0_4arch9wavefront6targetE1EEEvT1_.kd
    .uniform_work_group_size: 1
    .uses_dynamic_stack: false
    .vgpr_count:     0
    .vgpr_spill_count: 0
    .wavefront_size: 64
  - .agpr_count:     0
    .args:
      - .offset:         0
        .size:           160
        .value_kind:     by_value
    .group_segment_fixed_size: 0
    .kernarg_segment_align: 8
    .kernarg_segment_size: 160
    .language:       OpenCL C
    .language_version:
      - 2
      - 0
    .max_flat_workgroup_size: 256
    .name:           _ZN7rocprim17ROCPRIM_400000_NS6detail17trampoline_kernelINS0_14default_configENS1_25partition_config_selectorILNS1_17partition_subalgoE1EtNS0_10empty_typeEbEEZZNS1_14partition_implILS5_1ELb0ES3_jN6thrust23THRUST_200600_302600_NS6detail15normal_iteratorINSA_10device_ptrItEEEEPS6_NSA_18transform_iteratorI7is_evenItESF_NSA_11use_defaultESK_EENS0_5tupleIJNSA_16discard_iteratorISK_EESO_EEENSM_IJSG_SG_EEES6_PlJS6_EEE10hipError_tPvRmT3_T4_T5_T6_T7_T9_mT8_P12ihipStream_tbDpT10_ENKUlT_T0_E_clISt17integral_constantIbLb0EES1A_IbLb1EEEEDaS16_S17_EUlS16_E_NS1_11comp_targetILNS1_3genE0ELNS1_11target_archE4294967295ELNS1_3gpuE0ELNS1_3repE0EEENS1_30default_config_static_selectorELNS0_4arch9wavefront6targetE1EEEvT1_
    .private_segment_fixed_size: 0
    .sgpr_count:     4
    .sgpr_spill_count: 0
    .symbol:         _ZN7rocprim17ROCPRIM_400000_NS6detail17trampoline_kernelINS0_14default_configENS1_25partition_config_selectorILNS1_17partition_subalgoE1EtNS0_10empty_typeEbEEZZNS1_14partition_implILS5_1ELb0ES3_jN6thrust23THRUST_200600_302600_NS6detail15normal_iteratorINSA_10device_ptrItEEEEPS6_NSA_18transform_iteratorI7is_evenItESF_NSA_11use_defaultESK_EENS0_5tupleIJNSA_16discard_iteratorISK_EESO_EEENSM_IJSG_SG_EEES6_PlJS6_EEE10hipError_tPvRmT3_T4_T5_T6_T7_T9_mT8_P12ihipStream_tbDpT10_ENKUlT_T0_E_clISt17integral_constantIbLb0EES1A_IbLb1EEEEDaS16_S17_EUlS16_E_NS1_11comp_targetILNS1_3genE0ELNS1_11target_archE4294967295ELNS1_3gpuE0ELNS1_3repE0EEENS1_30default_config_static_selectorELNS0_4arch9wavefront6targetE1EEEvT1_.kd
    .uniform_work_group_size: 1
    .uses_dynamic_stack: false
    .vgpr_count:     0
    .vgpr_spill_count: 0
    .wavefront_size: 64
  - .agpr_count:     0
    .args:
      - .offset:         0
        .size:           160
        .value_kind:     by_value
    .group_segment_fixed_size: 0
    .kernarg_segment_align: 8
    .kernarg_segment_size: 160
    .language:       OpenCL C
    .language_version:
      - 2
      - 0
    .max_flat_workgroup_size: 512
    .name:           _ZN7rocprim17ROCPRIM_400000_NS6detail17trampoline_kernelINS0_14default_configENS1_25partition_config_selectorILNS1_17partition_subalgoE1EtNS0_10empty_typeEbEEZZNS1_14partition_implILS5_1ELb0ES3_jN6thrust23THRUST_200600_302600_NS6detail15normal_iteratorINSA_10device_ptrItEEEEPS6_NSA_18transform_iteratorI7is_evenItESF_NSA_11use_defaultESK_EENS0_5tupleIJNSA_16discard_iteratorISK_EESO_EEENSM_IJSG_SG_EEES6_PlJS6_EEE10hipError_tPvRmT3_T4_T5_T6_T7_T9_mT8_P12ihipStream_tbDpT10_ENKUlT_T0_E_clISt17integral_constantIbLb0EES1A_IbLb1EEEEDaS16_S17_EUlS16_E_NS1_11comp_targetILNS1_3genE5ELNS1_11target_archE942ELNS1_3gpuE9ELNS1_3repE0EEENS1_30default_config_static_selectorELNS0_4arch9wavefront6targetE1EEEvT1_
    .private_segment_fixed_size: 0
    .sgpr_count:     4
    .sgpr_spill_count: 0
    .symbol:         _ZN7rocprim17ROCPRIM_400000_NS6detail17trampoline_kernelINS0_14default_configENS1_25partition_config_selectorILNS1_17partition_subalgoE1EtNS0_10empty_typeEbEEZZNS1_14partition_implILS5_1ELb0ES3_jN6thrust23THRUST_200600_302600_NS6detail15normal_iteratorINSA_10device_ptrItEEEEPS6_NSA_18transform_iteratorI7is_evenItESF_NSA_11use_defaultESK_EENS0_5tupleIJNSA_16discard_iteratorISK_EESO_EEENSM_IJSG_SG_EEES6_PlJS6_EEE10hipError_tPvRmT3_T4_T5_T6_T7_T9_mT8_P12ihipStream_tbDpT10_ENKUlT_T0_E_clISt17integral_constantIbLb0EES1A_IbLb1EEEEDaS16_S17_EUlS16_E_NS1_11comp_targetILNS1_3genE5ELNS1_11target_archE942ELNS1_3gpuE9ELNS1_3repE0EEENS1_30default_config_static_selectorELNS0_4arch9wavefront6targetE1EEEvT1_.kd
    .uniform_work_group_size: 1
    .uses_dynamic_stack: false
    .vgpr_count:     0
    .vgpr_spill_count: 0
    .wavefront_size: 64
  - .agpr_count:     0
    .args:
      - .offset:         0
        .size:           160
        .value_kind:     by_value
    .group_segment_fixed_size: 10248
    .kernarg_segment_align: 8
    .kernarg_segment_size: 160
    .language:       OpenCL C
    .language_version:
      - 2
      - 0
    .max_flat_workgroup_size: 256
    .name:           _ZN7rocprim17ROCPRIM_400000_NS6detail17trampoline_kernelINS0_14default_configENS1_25partition_config_selectorILNS1_17partition_subalgoE1EtNS0_10empty_typeEbEEZZNS1_14partition_implILS5_1ELb0ES3_jN6thrust23THRUST_200600_302600_NS6detail15normal_iteratorINSA_10device_ptrItEEEEPS6_NSA_18transform_iteratorI7is_evenItESF_NSA_11use_defaultESK_EENS0_5tupleIJNSA_16discard_iteratorISK_EESO_EEENSM_IJSG_SG_EEES6_PlJS6_EEE10hipError_tPvRmT3_T4_T5_T6_T7_T9_mT8_P12ihipStream_tbDpT10_ENKUlT_T0_E_clISt17integral_constantIbLb0EES1A_IbLb1EEEEDaS16_S17_EUlS16_E_NS1_11comp_targetILNS1_3genE4ELNS1_11target_archE910ELNS1_3gpuE8ELNS1_3repE0EEENS1_30default_config_static_selectorELNS0_4arch9wavefront6targetE1EEEvT1_
    .private_segment_fixed_size: 0
    .sgpr_count:     40
    .sgpr_spill_count: 0
    .symbol:         _ZN7rocprim17ROCPRIM_400000_NS6detail17trampoline_kernelINS0_14default_configENS1_25partition_config_selectorILNS1_17partition_subalgoE1EtNS0_10empty_typeEbEEZZNS1_14partition_implILS5_1ELb0ES3_jN6thrust23THRUST_200600_302600_NS6detail15normal_iteratorINSA_10device_ptrItEEEEPS6_NSA_18transform_iteratorI7is_evenItESF_NSA_11use_defaultESK_EENS0_5tupleIJNSA_16discard_iteratorISK_EESO_EEENSM_IJSG_SG_EEES6_PlJS6_EEE10hipError_tPvRmT3_T4_T5_T6_T7_T9_mT8_P12ihipStream_tbDpT10_ENKUlT_T0_E_clISt17integral_constantIbLb0EES1A_IbLb1EEEEDaS16_S17_EUlS16_E_NS1_11comp_targetILNS1_3genE4ELNS1_11target_archE910ELNS1_3gpuE8ELNS1_3repE0EEENS1_30default_config_static_selectorELNS0_4arch9wavefront6targetE1EEEvT1_.kd
    .uniform_work_group_size: 1
    .uses_dynamic_stack: false
    .vgpr_count:     66
    .vgpr_spill_count: 0
    .wavefront_size: 64
  - .agpr_count:     0
    .args:
      - .offset:         0
        .size:           160
        .value_kind:     by_value
    .group_segment_fixed_size: 0
    .kernarg_segment_align: 8
    .kernarg_segment_size: 160
    .language:       OpenCL C
    .language_version:
      - 2
      - 0
    .max_flat_workgroup_size: 256
    .name:           _ZN7rocprim17ROCPRIM_400000_NS6detail17trampoline_kernelINS0_14default_configENS1_25partition_config_selectorILNS1_17partition_subalgoE1EtNS0_10empty_typeEbEEZZNS1_14partition_implILS5_1ELb0ES3_jN6thrust23THRUST_200600_302600_NS6detail15normal_iteratorINSA_10device_ptrItEEEEPS6_NSA_18transform_iteratorI7is_evenItESF_NSA_11use_defaultESK_EENS0_5tupleIJNSA_16discard_iteratorISK_EESO_EEENSM_IJSG_SG_EEES6_PlJS6_EEE10hipError_tPvRmT3_T4_T5_T6_T7_T9_mT8_P12ihipStream_tbDpT10_ENKUlT_T0_E_clISt17integral_constantIbLb0EES1A_IbLb1EEEEDaS16_S17_EUlS16_E_NS1_11comp_targetILNS1_3genE3ELNS1_11target_archE908ELNS1_3gpuE7ELNS1_3repE0EEENS1_30default_config_static_selectorELNS0_4arch9wavefront6targetE1EEEvT1_
    .private_segment_fixed_size: 0
    .sgpr_count:     4
    .sgpr_spill_count: 0
    .symbol:         _ZN7rocprim17ROCPRIM_400000_NS6detail17trampoline_kernelINS0_14default_configENS1_25partition_config_selectorILNS1_17partition_subalgoE1EtNS0_10empty_typeEbEEZZNS1_14partition_implILS5_1ELb0ES3_jN6thrust23THRUST_200600_302600_NS6detail15normal_iteratorINSA_10device_ptrItEEEEPS6_NSA_18transform_iteratorI7is_evenItESF_NSA_11use_defaultESK_EENS0_5tupleIJNSA_16discard_iteratorISK_EESO_EEENSM_IJSG_SG_EEES6_PlJS6_EEE10hipError_tPvRmT3_T4_T5_T6_T7_T9_mT8_P12ihipStream_tbDpT10_ENKUlT_T0_E_clISt17integral_constantIbLb0EES1A_IbLb1EEEEDaS16_S17_EUlS16_E_NS1_11comp_targetILNS1_3genE3ELNS1_11target_archE908ELNS1_3gpuE7ELNS1_3repE0EEENS1_30default_config_static_selectorELNS0_4arch9wavefront6targetE1EEEvT1_.kd
    .uniform_work_group_size: 1
    .uses_dynamic_stack: false
    .vgpr_count:     0
    .vgpr_spill_count: 0
    .wavefront_size: 64
  - .agpr_count:     0
    .args:
      - .offset:         0
        .size:           160
        .value_kind:     by_value
    .group_segment_fixed_size: 0
    .kernarg_segment_align: 8
    .kernarg_segment_size: 160
    .language:       OpenCL C
    .language_version:
      - 2
      - 0
    .max_flat_workgroup_size: 256
    .name:           _ZN7rocprim17ROCPRIM_400000_NS6detail17trampoline_kernelINS0_14default_configENS1_25partition_config_selectorILNS1_17partition_subalgoE1EtNS0_10empty_typeEbEEZZNS1_14partition_implILS5_1ELb0ES3_jN6thrust23THRUST_200600_302600_NS6detail15normal_iteratorINSA_10device_ptrItEEEEPS6_NSA_18transform_iteratorI7is_evenItESF_NSA_11use_defaultESK_EENS0_5tupleIJNSA_16discard_iteratorISK_EESO_EEENSM_IJSG_SG_EEES6_PlJS6_EEE10hipError_tPvRmT3_T4_T5_T6_T7_T9_mT8_P12ihipStream_tbDpT10_ENKUlT_T0_E_clISt17integral_constantIbLb0EES1A_IbLb1EEEEDaS16_S17_EUlS16_E_NS1_11comp_targetILNS1_3genE2ELNS1_11target_archE906ELNS1_3gpuE6ELNS1_3repE0EEENS1_30default_config_static_selectorELNS0_4arch9wavefront6targetE1EEEvT1_
    .private_segment_fixed_size: 0
    .sgpr_count:     4
    .sgpr_spill_count: 0
    .symbol:         _ZN7rocprim17ROCPRIM_400000_NS6detail17trampoline_kernelINS0_14default_configENS1_25partition_config_selectorILNS1_17partition_subalgoE1EtNS0_10empty_typeEbEEZZNS1_14partition_implILS5_1ELb0ES3_jN6thrust23THRUST_200600_302600_NS6detail15normal_iteratorINSA_10device_ptrItEEEEPS6_NSA_18transform_iteratorI7is_evenItESF_NSA_11use_defaultESK_EENS0_5tupleIJNSA_16discard_iteratorISK_EESO_EEENSM_IJSG_SG_EEES6_PlJS6_EEE10hipError_tPvRmT3_T4_T5_T6_T7_T9_mT8_P12ihipStream_tbDpT10_ENKUlT_T0_E_clISt17integral_constantIbLb0EES1A_IbLb1EEEEDaS16_S17_EUlS16_E_NS1_11comp_targetILNS1_3genE2ELNS1_11target_archE906ELNS1_3gpuE6ELNS1_3repE0EEENS1_30default_config_static_selectorELNS0_4arch9wavefront6targetE1EEEvT1_.kd
    .uniform_work_group_size: 1
    .uses_dynamic_stack: false
    .vgpr_count:     0
    .vgpr_spill_count: 0
    .wavefront_size: 64
  - .agpr_count:     0
    .args:
      - .offset:         0
        .size:           160
        .value_kind:     by_value
    .group_segment_fixed_size: 0
    .kernarg_segment_align: 8
    .kernarg_segment_size: 160
    .language:       OpenCL C
    .language_version:
      - 2
      - 0
    .max_flat_workgroup_size: 384
    .name:           _ZN7rocprim17ROCPRIM_400000_NS6detail17trampoline_kernelINS0_14default_configENS1_25partition_config_selectorILNS1_17partition_subalgoE1EtNS0_10empty_typeEbEEZZNS1_14partition_implILS5_1ELb0ES3_jN6thrust23THRUST_200600_302600_NS6detail15normal_iteratorINSA_10device_ptrItEEEEPS6_NSA_18transform_iteratorI7is_evenItESF_NSA_11use_defaultESK_EENS0_5tupleIJNSA_16discard_iteratorISK_EESO_EEENSM_IJSG_SG_EEES6_PlJS6_EEE10hipError_tPvRmT3_T4_T5_T6_T7_T9_mT8_P12ihipStream_tbDpT10_ENKUlT_T0_E_clISt17integral_constantIbLb0EES1A_IbLb1EEEEDaS16_S17_EUlS16_E_NS1_11comp_targetILNS1_3genE10ELNS1_11target_archE1200ELNS1_3gpuE4ELNS1_3repE0EEENS1_30default_config_static_selectorELNS0_4arch9wavefront6targetE1EEEvT1_
    .private_segment_fixed_size: 0
    .sgpr_count:     4
    .sgpr_spill_count: 0
    .symbol:         _ZN7rocprim17ROCPRIM_400000_NS6detail17trampoline_kernelINS0_14default_configENS1_25partition_config_selectorILNS1_17partition_subalgoE1EtNS0_10empty_typeEbEEZZNS1_14partition_implILS5_1ELb0ES3_jN6thrust23THRUST_200600_302600_NS6detail15normal_iteratorINSA_10device_ptrItEEEEPS6_NSA_18transform_iteratorI7is_evenItESF_NSA_11use_defaultESK_EENS0_5tupleIJNSA_16discard_iteratorISK_EESO_EEENSM_IJSG_SG_EEES6_PlJS6_EEE10hipError_tPvRmT3_T4_T5_T6_T7_T9_mT8_P12ihipStream_tbDpT10_ENKUlT_T0_E_clISt17integral_constantIbLb0EES1A_IbLb1EEEEDaS16_S17_EUlS16_E_NS1_11comp_targetILNS1_3genE10ELNS1_11target_archE1200ELNS1_3gpuE4ELNS1_3repE0EEENS1_30default_config_static_selectorELNS0_4arch9wavefront6targetE1EEEvT1_.kd
    .uniform_work_group_size: 1
    .uses_dynamic_stack: false
    .vgpr_count:     0
    .vgpr_spill_count: 0
    .wavefront_size: 64
  - .agpr_count:     0
    .args:
      - .offset:         0
        .size:           160
        .value_kind:     by_value
    .group_segment_fixed_size: 0
    .kernarg_segment_align: 8
    .kernarg_segment_size: 160
    .language:       OpenCL C
    .language_version:
      - 2
      - 0
    .max_flat_workgroup_size: 128
    .name:           _ZN7rocprim17ROCPRIM_400000_NS6detail17trampoline_kernelINS0_14default_configENS1_25partition_config_selectorILNS1_17partition_subalgoE1EtNS0_10empty_typeEbEEZZNS1_14partition_implILS5_1ELb0ES3_jN6thrust23THRUST_200600_302600_NS6detail15normal_iteratorINSA_10device_ptrItEEEEPS6_NSA_18transform_iteratorI7is_evenItESF_NSA_11use_defaultESK_EENS0_5tupleIJNSA_16discard_iteratorISK_EESO_EEENSM_IJSG_SG_EEES6_PlJS6_EEE10hipError_tPvRmT3_T4_T5_T6_T7_T9_mT8_P12ihipStream_tbDpT10_ENKUlT_T0_E_clISt17integral_constantIbLb0EES1A_IbLb1EEEEDaS16_S17_EUlS16_E_NS1_11comp_targetILNS1_3genE9ELNS1_11target_archE1100ELNS1_3gpuE3ELNS1_3repE0EEENS1_30default_config_static_selectorELNS0_4arch9wavefront6targetE1EEEvT1_
    .private_segment_fixed_size: 0
    .sgpr_count:     4
    .sgpr_spill_count: 0
    .symbol:         _ZN7rocprim17ROCPRIM_400000_NS6detail17trampoline_kernelINS0_14default_configENS1_25partition_config_selectorILNS1_17partition_subalgoE1EtNS0_10empty_typeEbEEZZNS1_14partition_implILS5_1ELb0ES3_jN6thrust23THRUST_200600_302600_NS6detail15normal_iteratorINSA_10device_ptrItEEEEPS6_NSA_18transform_iteratorI7is_evenItESF_NSA_11use_defaultESK_EENS0_5tupleIJNSA_16discard_iteratorISK_EESO_EEENSM_IJSG_SG_EEES6_PlJS6_EEE10hipError_tPvRmT3_T4_T5_T6_T7_T9_mT8_P12ihipStream_tbDpT10_ENKUlT_T0_E_clISt17integral_constantIbLb0EES1A_IbLb1EEEEDaS16_S17_EUlS16_E_NS1_11comp_targetILNS1_3genE9ELNS1_11target_archE1100ELNS1_3gpuE3ELNS1_3repE0EEENS1_30default_config_static_selectorELNS0_4arch9wavefront6targetE1EEEvT1_.kd
    .uniform_work_group_size: 1
    .uses_dynamic_stack: false
    .vgpr_count:     0
    .vgpr_spill_count: 0
    .wavefront_size: 64
  - .agpr_count:     0
    .args:
      - .offset:         0
        .size:           160
        .value_kind:     by_value
    .group_segment_fixed_size: 0
    .kernarg_segment_align: 8
    .kernarg_segment_size: 160
    .language:       OpenCL C
    .language_version:
      - 2
      - 0
    .max_flat_workgroup_size: 512
    .name:           _ZN7rocprim17ROCPRIM_400000_NS6detail17trampoline_kernelINS0_14default_configENS1_25partition_config_selectorILNS1_17partition_subalgoE1EtNS0_10empty_typeEbEEZZNS1_14partition_implILS5_1ELb0ES3_jN6thrust23THRUST_200600_302600_NS6detail15normal_iteratorINSA_10device_ptrItEEEEPS6_NSA_18transform_iteratorI7is_evenItESF_NSA_11use_defaultESK_EENS0_5tupleIJNSA_16discard_iteratorISK_EESO_EEENSM_IJSG_SG_EEES6_PlJS6_EEE10hipError_tPvRmT3_T4_T5_T6_T7_T9_mT8_P12ihipStream_tbDpT10_ENKUlT_T0_E_clISt17integral_constantIbLb0EES1A_IbLb1EEEEDaS16_S17_EUlS16_E_NS1_11comp_targetILNS1_3genE8ELNS1_11target_archE1030ELNS1_3gpuE2ELNS1_3repE0EEENS1_30default_config_static_selectorELNS0_4arch9wavefront6targetE1EEEvT1_
    .private_segment_fixed_size: 0
    .sgpr_count:     4
    .sgpr_spill_count: 0
    .symbol:         _ZN7rocprim17ROCPRIM_400000_NS6detail17trampoline_kernelINS0_14default_configENS1_25partition_config_selectorILNS1_17partition_subalgoE1EtNS0_10empty_typeEbEEZZNS1_14partition_implILS5_1ELb0ES3_jN6thrust23THRUST_200600_302600_NS6detail15normal_iteratorINSA_10device_ptrItEEEEPS6_NSA_18transform_iteratorI7is_evenItESF_NSA_11use_defaultESK_EENS0_5tupleIJNSA_16discard_iteratorISK_EESO_EEENSM_IJSG_SG_EEES6_PlJS6_EEE10hipError_tPvRmT3_T4_T5_T6_T7_T9_mT8_P12ihipStream_tbDpT10_ENKUlT_T0_E_clISt17integral_constantIbLb0EES1A_IbLb1EEEEDaS16_S17_EUlS16_E_NS1_11comp_targetILNS1_3genE8ELNS1_11target_archE1030ELNS1_3gpuE2ELNS1_3repE0EEENS1_30default_config_static_selectorELNS0_4arch9wavefront6targetE1EEEvT1_.kd
    .uniform_work_group_size: 1
    .uses_dynamic_stack: false
    .vgpr_count:     0
    .vgpr_spill_count: 0
    .wavefront_size: 64
  - .agpr_count:     0
    .args:
      - .offset:         0
        .size:           136
        .value_kind:     by_value
    .group_segment_fixed_size: 0
    .kernarg_segment_align: 8
    .kernarg_segment_size: 136
    .language:       OpenCL C
    .language_version:
      - 2
      - 0
    .max_flat_workgroup_size: 256
    .name:           _ZN7rocprim17ROCPRIM_400000_NS6detail17trampoline_kernelINS0_14default_configENS1_25partition_config_selectorILNS1_17partition_subalgoE1EtNS0_10empty_typeEbEEZZNS1_14partition_implILS5_1ELb0ES3_jN6thrust23THRUST_200600_302600_NS6detail15normal_iteratorINSA_10device_ptrItEEEEPS6_NSA_18transform_iteratorI7is_evenItESF_NSA_11use_defaultESK_EENS0_5tupleIJSF_NSA_16discard_iteratorISK_EEEEENSM_IJSG_SG_EEES6_PlJS6_EEE10hipError_tPvRmT3_T4_T5_T6_T7_T9_mT8_P12ihipStream_tbDpT10_ENKUlT_T0_E_clISt17integral_constantIbLb0EES1B_EEDaS16_S17_EUlS16_E_NS1_11comp_targetILNS1_3genE0ELNS1_11target_archE4294967295ELNS1_3gpuE0ELNS1_3repE0EEENS1_30default_config_static_selectorELNS0_4arch9wavefront6targetE1EEEvT1_
    .private_segment_fixed_size: 0
    .sgpr_count:     4
    .sgpr_spill_count: 0
    .symbol:         _ZN7rocprim17ROCPRIM_400000_NS6detail17trampoline_kernelINS0_14default_configENS1_25partition_config_selectorILNS1_17partition_subalgoE1EtNS0_10empty_typeEbEEZZNS1_14partition_implILS5_1ELb0ES3_jN6thrust23THRUST_200600_302600_NS6detail15normal_iteratorINSA_10device_ptrItEEEEPS6_NSA_18transform_iteratorI7is_evenItESF_NSA_11use_defaultESK_EENS0_5tupleIJSF_NSA_16discard_iteratorISK_EEEEENSM_IJSG_SG_EEES6_PlJS6_EEE10hipError_tPvRmT3_T4_T5_T6_T7_T9_mT8_P12ihipStream_tbDpT10_ENKUlT_T0_E_clISt17integral_constantIbLb0EES1B_EEDaS16_S17_EUlS16_E_NS1_11comp_targetILNS1_3genE0ELNS1_11target_archE4294967295ELNS1_3gpuE0ELNS1_3repE0EEENS1_30default_config_static_selectorELNS0_4arch9wavefront6targetE1EEEvT1_.kd
    .uniform_work_group_size: 1
    .uses_dynamic_stack: false
    .vgpr_count:     0
    .vgpr_spill_count: 0
    .wavefront_size: 64
  - .agpr_count:     0
    .args:
      - .offset:         0
        .size:           136
        .value_kind:     by_value
    .group_segment_fixed_size: 0
    .kernarg_segment_align: 8
    .kernarg_segment_size: 136
    .language:       OpenCL C
    .language_version:
      - 2
      - 0
    .max_flat_workgroup_size: 512
    .name:           _ZN7rocprim17ROCPRIM_400000_NS6detail17trampoline_kernelINS0_14default_configENS1_25partition_config_selectorILNS1_17partition_subalgoE1EtNS0_10empty_typeEbEEZZNS1_14partition_implILS5_1ELb0ES3_jN6thrust23THRUST_200600_302600_NS6detail15normal_iteratorINSA_10device_ptrItEEEEPS6_NSA_18transform_iteratorI7is_evenItESF_NSA_11use_defaultESK_EENS0_5tupleIJSF_NSA_16discard_iteratorISK_EEEEENSM_IJSG_SG_EEES6_PlJS6_EEE10hipError_tPvRmT3_T4_T5_T6_T7_T9_mT8_P12ihipStream_tbDpT10_ENKUlT_T0_E_clISt17integral_constantIbLb0EES1B_EEDaS16_S17_EUlS16_E_NS1_11comp_targetILNS1_3genE5ELNS1_11target_archE942ELNS1_3gpuE9ELNS1_3repE0EEENS1_30default_config_static_selectorELNS0_4arch9wavefront6targetE1EEEvT1_
    .private_segment_fixed_size: 0
    .sgpr_count:     4
    .sgpr_spill_count: 0
    .symbol:         _ZN7rocprim17ROCPRIM_400000_NS6detail17trampoline_kernelINS0_14default_configENS1_25partition_config_selectorILNS1_17partition_subalgoE1EtNS0_10empty_typeEbEEZZNS1_14partition_implILS5_1ELb0ES3_jN6thrust23THRUST_200600_302600_NS6detail15normal_iteratorINSA_10device_ptrItEEEEPS6_NSA_18transform_iteratorI7is_evenItESF_NSA_11use_defaultESK_EENS0_5tupleIJSF_NSA_16discard_iteratorISK_EEEEENSM_IJSG_SG_EEES6_PlJS6_EEE10hipError_tPvRmT3_T4_T5_T6_T7_T9_mT8_P12ihipStream_tbDpT10_ENKUlT_T0_E_clISt17integral_constantIbLb0EES1B_EEDaS16_S17_EUlS16_E_NS1_11comp_targetILNS1_3genE5ELNS1_11target_archE942ELNS1_3gpuE9ELNS1_3repE0EEENS1_30default_config_static_selectorELNS0_4arch9wavefront6targetE1EEEvT1_.kd
    .uniform_work_group_size: 1
    .uses_dynamic_stack: false
    .vgpr_count:     0
    .vgpr_spill_count: 0
    .wavefront_size: 64
  - .agpr_count:     0
    .args:
      - .offset:         0
        .size:           136
        .value_kind:     by_value
    .group_segment_fixed_size: 10248
    .kernarg_segment_align: 8
    .kernarg_segment_size: 136
    .language:       OpenCL C
    .language_version:
      - 2
      - 0
    .max_flat_workgroup_size: 256
    .name:           _ZN7rocprim17ROCPRIM_400000_NS6detail17trampoline_kernelINS0_14default_configENS1_25partition_config_selectorILNS1_17partition_subalgoE1EtNS0_10empty_typeEbEEZZNS1_14partition_implILS5_1ELb0ES3_jN6thrust23THRUST_200600_302600_NS6detail15normal_iteratorINSA_10device_ptrItEEEEPS6_NSA_18transform_iteratorI7is_evenItESF_NSA_11use_defaultESK_EENS0_5tupleIJSF_NSA_16discard_iteratorISK_EEEEENSM_IJSG_SG_EEES6_PlJS6_EEE10hipError_tPvRmT3_T4_T5_T6_T7_T9_mT8_P12ihipStream_tbDpT10_ENKUlT_T0_E_clISt17integral_constantIbLb0EES1B_EEDaS16_S17_EUlS16_E_NS1_11comp_targetILNS1_3genE4ELNS1_11target_archE910ELNS1_3gpuE8ELNS1_3repE0EEENS1_30default_config_static_selectorELNS0_4arch9wavefront6targetE1EEEvT1_
    .private_segment_fixed_size: 0
    .sgpr_count:     44
    .sgpr_spill_count: 0
    .symbol:         _ZN7rocprim17ROCPRIM_400000_NS6detail17trampoline_kernelINS0_14default_configENS1_25partition_config_selectorILNS1_17partition_subalgoE1EtNS0_10empty_typeEbEEZZNS1_14partition_implILS5_1ELb0ES3_jN6thrust23THRUST_200600_302600_NS6detail15normal_iteratorINSA_10device_ptrItEEEEPS6_NSA_18transform_iteratorI7is_evenItESF_NSA_11use_defaultESK_EENS0_5tupleIJSF_NSA_16discard_iteratorISK_EEEEENSM_IJSG_SG_EEES6_PlJS6_EEE10hipError_tPvRmT3_T4_T5_T6_T7_T9_mT8_P12ihipStream_tbDpT10_ENKUlT_T0_E_clISt17integral_constantIbLb0EES1B_EEDaS16_S17_EUlS16_E_NS1_11comp_targetILNS1_3genE4ELNS1_11target_archE910ELNS1_3gpuE8ELNS1_3repE0EEENS1_30default_config_static_selectorELNS0_4arch9wavefront6targetE1EEEvT1_.kd
    .uniform_work_group_size: 1
    .uses_dynamic_stack: false
    .vgpr_count:     65
    .vgpr_spill_count: 0
    .wavefront_size: 64
  - .agpr_count:     0
    .args:
      - .offset:         0
        .size:           136
        .value_kind:     by_value
    .group_segment_fixed_size: 0
    .kernarg_segment_align: 8
    .kernarg_segment_size: 136
    .language:       OpenCL C
    .language_version:
      - 2
      - 0
    .max_flat_workgroup_size: 256
    .name:           _ZN7rocprim17ROCPRIM_400000_NS6detail17trampoline_kernelINS0_14default_configENS1_25partition_config_selectorILNS1_17partition_subalgoE1EtNS0_10empty_typeEbEEZZNS1_14partition_implILS5_1ELb0ES3_jN6thrust23THRUST_200600_302600_NS6detail15normal_iteratorINSA_10device_ptrItEEEEPS6_NSA_18transform_iteratorI7is_evenItESF_NSA_11use_defaultESK_EENS0_5tupleIJSF_NSA_16discard_iteratorISK_EEEEENSM_IJSG_SG_EEES6_PlJS6_EEE10hipError_tPvRmT3_T4_T5_T6_T7_T9_mT8_P12ihipStream_tbDpT10_ENKUlT_T0_E_clISt17integral_constantIbLb0EES1B_EEDaS16_S17_EUlS16_E_NS1_11comp_targetILNS1_3genE3ELNS1_11target_archE908ELNS1_3gpuE7ELNS1_3repE0EEENS1_30default_config_static_selectorELNS0_4arch9wavefront6targetE1EEEvT1_
    .private_segment_fixed_size: 0
    .sgpr_count:     4
    .sgpr_spill_count: 0
    .symbol:         _ZN7rocprim17ROCPRIM_400000_NS6detail17trampoline_kernelINS0_14default_configENS1_25partition_config_selectorILNS1_17partition_subalgoE1EtNS0_10empty_typeEbEEZZNS1_14partition_implILS5_1ELb0ES3_jN6thrust23THRUST_200600_302600_NS6detail15normal_iteratorINSA_10device_ptrItEEEEPS6_NSA_18transform_iteratorI7is_evenItESF_NSA_11use_defaultESK_EENS0_5tupleIJSF_NSA_16discard_iteratorISK_EEEEENSM_IJSG_SG_EEES6_PlJS6_EEE10hipError_tPvRmT3_T4_T5_T6_T7_T9_mT8_P12ihipStream_tbDpT10_ENKUlT_T0_E_clISt17integral_constantIbLb0EES1B_EEDaS16_S17_EUlS16_E_NS1_11comp_targetILNS1_3genE3ELNS1_11target_archE908ELNS1_3gpuE7ELNS1_3repE0EEENS1_30default_config_static_selectorELNS0_4arch9wavefront6targetE1EEEvT1_.kd
    .uniform_work_group_size: 1
    .uses_dynamic_stack: false
    .vgpr_count:     0
    .vgpr_spill_count: 0
    .wavefront_size: 64
  - .agpr_count:     0
    .args:
      - .offset:         0
        .size:           136
        .value_kind:     by_value
    .group_segment_fixed_size: 0
    .kernarg_segment_align: 8
    .kernarg_segment_size: 136
    .language:       OpenCL C
    .language_version:
      - 2
      - 0
    .max_flat_workgroup_size: 256
    .name:           _ZN7rocprim17ROCPRIM_400000_NS6detail17trampoline_kernelINS0_14default_configENS1_25partition_config_selectorILNS1_17partition_subalgoE1EtNS0_10empty_typeEbEEZZNS1_14partition_implILS5_1ELb0ES3_jN6thrust23THRUST_200600_302600_NS6detail15normal_iteratorINSA_10device_ptrItEEEEPS6_NSA_18transform_iteratorI7is_evenItESF_NSA_11use_defaultESK_EENS0_5tupleIJSF_NSA_16discard_iteratorISK_EEEEENSM_IJSG_SG_EEES6_PlJS6_EEE10hipError_tPvRmT3_T4_T5_T6_T7_T9_mT8_P12ihipStream_tbDpT10_ENKUlT_T0_E_clISt17integral_constantIbLb0EES1B_EEDaS16_S17_EUlS16_E_NS1_11comp_targetILNS1_3genE2ELNS1_11target_archE906ELNS1_3gpuE6ELNS1_3repE0EEENS1_30default_config_static_selectorELNS0_4arch9wavefront6targetE1EEEvT1_
    .private_segment_fixed_size: 0
    .sgpr_count:     4
    .sgpr_spill_count: 0
    .symbol:         _ZN7rocprim17ROCPRIM_400000_NS6detail17trampoline_kernelINS0_14default_configENS1_25partition_config_selectorILNS1_17partition_subalgoE1EtNS0_10empty_typeEbEEZZNS1_14partition_implILS5_1ELb0ES3_jN6thrust23THRUST_200600_302600_NS6detail15normal_iteratorINSA_10device_ptrItEEEEPS6_NSA_18transform_iteratorI7is_evenItESF_NSA_11use_defaultESK_EENS0_5tupleIJSF_NSA_16discard_iteratorISK_EEEEENSM_IJSG_SG_EEES6_PlJS6_EEE10hipError_tPvRmT3_T4_T5_T6_T7_T9_mT8_P12ihipStream_tbDpT10_ENKUlT_T0_E_clISt17integral_constantIbLb0EES1B_EEDaS16_S17_EUlS16_E_NS1_11comp_targetILNS1_3genE2ELNS1_11target_archE906ELNS1_3gpuE6ELNS1_3repE0EEENS1_30default_config_static_selectorELNS0_4arch9wavefront6targetE1EEEvT1_.kd
    .uniform_work_group_size: 1
    .uses_dynamic_stack: false
    .vgpr_count:     0
    .vgpr_spill_count: 0
    .wavefront_size: 64
  - .agpr_count:     0
    .args:
      - .offset:         0
        .size:           136
        .value_kind:     by_value
    .group_segment_fixed_size: 0
    .kernarg_segment_align: 8
    .kernarg_segment_size: 136
    .language:       OpenCL C
    .language_version:
      - 2
      - 0
    .max_flat_workgroup_size: 384
    .name:           _ZN7rocprim17ROCPRIM_400000_NS6detail17trampoline_kernelINS0_14default_configENS1_25partition_config_selectorILNS1_17partition_subalgoE1EtNS0_10empty_typeEbEEZZNS1_14partition_implILS5_1ELb0ES3_jN6thrust23THRUST_200600_302600_NS6detail15normal_iteratorINSA_10device_ptrItEEEEPS6_NSA_18transform_iteratorI7is_evenItESF_NSA_11use_defaultESK_EENS0_5tupleIJSF_NSA_16discard_iteratorISK_EEEEENSM_IJSG_SG_EEES6_PlJS6_EEE10hipError_tPvRmT3_T4_T5_T6_T7_T9_mT8_P12ihipStream_tbDpT10_ENKUlT_T0_E_clISt17integral_constantIbLb0EES1B_EEDaS16_S17_EUlS16_E_NS1_11comp_targetILNS1_3genE10ELNS1_11target_archE1200ELNS1_3gpuE4ELNS1_3repE0EEENS1_30default_config_static_selectorELNS0_4arch9wavefront6targetE1EEEvT1_
    .private_segment_fixed_size: 0
    .sgpr_count:     4
    .sgpr_spill_count: 0
    .symbol:         _ZN7rocprim17ROCPRIM_400000_NS6detail17trampoline_kernelINS0_14default_configENS1_25partition_config_selectorILNS1_17partition_subalgoE1EtNS0_10empty_typeEbEEZZNS1_14partition_implILS5_1ELb0ES3_jN6thrust23THRUST_200600_302600_NS6detail15normal_iteratorINSA_10device_ptrItEEEEPS6_NSA_18transform_iteratorI7is_evenItESF_NSA_11use_defaultESK_EENS0_5tupleIJSF_NSA_16discard_iteratorISK_EEEEENSM_IJSG_SG_EEES6_PlJS6_EEE10hipError_tPvRmT3_T4_T5_T6_T7_T9_mT8_P12ihipStream_tbDpT10_ENKUlT_T0_E_clISt17integral_constantIbLb0EES1B_EEDaS16_S17_EUlS16_E_NS1_11comp_targetILNS1_3genE10ELNS1_11target_archE1200ELNS1_3gpuE4ELNS1_3repE0EEENS1_30default_config_static_selectorELNS0_4arch9wavefront6targetE1EEEvT1_.kd
    .uniform_work_group_size: 1
    .uses_dynamic_stack: false
    .vgpr_count:     0
    .vgpr_spill_count: 0
    .wavefront_size: 64
  - .agpr_count:     0
    .args:
      - .offset:         0
        .size:           136
        .value_kind:     by_value
    .group_segment_fixed_size: 0
    .kernarg_segment_align: 8
    .kernarg_segment_size: 136
    .language:       OpenCL C
    .language_version:
      - 2
      - 0
    .max_flat_workgroup_size: 128
    .name:           _ZN7rocprim17ROCPRIM_400000_NS6detail17trampoline_kernelINS0_14default_configENS1_25partition_config_selectorILNS1_17partition_subalgoE1EtNS0_10empty_typeEbEEZZNS1_14partition_implILS5_1ELb0ES3_jN6thrust23THRUST_200600_302600_NS6detail15normal_iteratorINSA_10device_ptrItEEEEPS6_NSA_18transform_iteratorI7is_evenItESF_NSA_11use_defaultESK_EENS0_5tupleIJSF_NSA_16discard_iteratorISK_EEEEENSM_IJSG_SG_EEES6_PlJS6_EEE10hipError_tPvRmT3_T4_T5_T6_T7_T9_mT8_P12ihipStream_tbDpT10_ENKUlT_T0_E_clISt17integral_constantIbLb0EES1B_EEDaS16_S17_EUlS16_E_NS1_11comp_targetILNS1_3genE9ELNS1_11target_archE1100ELNS1_3gpuE3ELNS1_3repE0EEENS1_30default_config_static_selectorELNS0_4arch9wavefront6targetE1EEEvT1_
    .private_segment_fixed_size: 0
    .sgpr_count:     4
    .sgpr_spill_count: 0
    .symbol:         _ZN7rocprim17ROCPRIM_400000_NS6detail17trampoline_kernelINS0_14default_configENS1_25partition_config_selectorILNS1_17partition_subalgoE1EtNS0_10empty_typeEbEEZZNS1_14partition_implILS5_1ELb0ES3_jN6thrust23THRUST_200600_302600_NS6detail15normal_iteratorINSA_10device_ptrItEEEEPS6_NSA_18transform_iteratorI7is_evenItESF_NSA_11use_defaultESK_EENS0_5tupleIJSF_NSA_16discard_iteratorISK_EEEEENSM_IJSG_SG_EEES6_PlJS6_EEE10hipError_tPvRmT3_T4_T5_T6_T7_T9_mT8_P12ihipStream_tbDpT10_ENKUlT_T0_E_clISt17integral_constantIbLb0EES1B_EEDaS16_S17_EUlS16_E_NS1_11comp_targetILNS1_3genE9ELNS1_11target_archE1100ELNS1_3gpuE3ELNS1_3repE0EEENS1_30default_config_static_selectorELNS0_4arch9wavefront6targetE1EEEvT1_.kd
    .uniform_work_group_size: 1
    .uses_dynamic_stack: false
    .vgpr_count:     0
    .vgpr_spill_count: 0
    .wavefront_size: 64
  - .agpr_count:     0
    .args:
      - .offset:         0
        .size:           136
        .value_kind:     by_value
    .group_segment_fixed_size: 0
    .kernarg_segment_align: 8
    .kernarg_segment_size: 136
    .language:       OpenCL C
    .language_version:
      - 2
      - 0
    .max_flat_workgroup_size: 512
    .name:           _ZN7rocprim17ROCPRIM_400000_NS6detail17trampoline_kernelINS0_14default_configENS1_25partition_config_selectorILNS1_17partition_subalgoE1EtNS0_10empty_typeEbEEZZNS1_14partition_implILS5_1ELb0ES3_jN6thrust23THRUST_200600_302600_NS6detail15normal_iteratorINSA_10device_ptrItEEEEPS6_NSA_18transform_iteratorI7is_evenItESF_NSA_11use_defaultESK_EENS0_5tupleIJSF_NSA_16discard_iteratorISK_EEEEENSM_IJSG_SG_EEES6_PlJS6_EEE10hipError_tPvRmT3_T4_T5_T6_T7_T9_mT8_P12ihipStream_tbDpT10_ENKUlT_T0_E_clISt17integral_constantIbLb0EES1B_EEDaS16_S17_EUlS16_E_NS1_11comp_targetILNS1_3genE8ELNS1_11target_archE1030ELNS1_3gpuE2ELNS1_3repE0EEENS1_30default_config_static_selectorELNS0_4arch9wavefront6targetE1EEEvT1_
    .private_segment_fixed_size: 0
    .sgpr_count:     4
    .sgpr_spill_count: 0
    .symbol:         _ZN7rocprim17ROCPRIM_400000_NS6detail17trampoline_kernelINS0_14default_configENS1_25partition_config_selectorILNS1_17partition_subalgoE1EtNS0_10empty_typeEbEEZZNS1_14partition_implILS5_1ELb0ES3_jN6thrust23THRUST_200600_302600_NS6detail15normal_iteratorINSA_10device_ptrItEEEEPS6_NSA_18transform_iteratorI7is_evenItESF_NSA_11use_defaultESK_EENS0_5tupleIJSF_NSA_16discard_iteratorISK_EEEEENSM_IJSG_SG_EEES6_PlJS6_EEE10hipError_tPvRmT3_T4_T5_T6_T7_T9_mT8_P12ihipStream_tbDpT10_ENKUlT_T0_E_clISt17integral_constantIbLb0EES1B_EEDaS16_S17_EUlS16_E_NS1_11comp_targetILNS1_3genE8ELNS1_11target_archE1030ELNS1_3gpuE2ELNS1_3repE0EEENS1_30default_config_static_selectorELNS0_4arch9wavefront6targetE1EEEvT1_.kd
    .uniform_work_group_size: 1
    .uses_dynamic_stack: false
    .vgpr_count:     0
    .vgpr_spill_count: 0
    .wavefront_size: 64
  - .agpr_count:     0
    .args:
      - .offset:         0
        .size:           152
        .value_kind:     by_value
    .group_segment_fixed_size: 0
    .kernarg_segment_align: 8
    .kernarg_segment_size: 152
    .language:       OpenCL C
    .language_version:
      - 2
      - 0
    .max_flat_workgroup_size: 256
    .name:           _ZN7rocprim17ROCPRIM_400000_NS6detail17trampoline_kernelINS0_14default_configENS1_25partition_config_selectorILNS1_17partition_subalgoE1EtNS0_10empty_typeEbEEZZNS1_14partition_implILS5_1ELb0ES3_jN6thrust23THRUST_200600_302600_NS6detail15normal_iteratorINSA_10device_ptrItEEEEPS6_NSA_18transform_iteratorI7is_evenItESF_NSA_11use_defaultESK_EENS0_5tupleIJSF_NSA_16discard_iteratorISK_EEEEENSM_IJSG_SG_EEES6_PlJS6_EEE10hipError_tPvRmT3_T4_T5_T6_T7_T9_mT8_P12ihipStream_tbDpT10_ENKUlT_T0_E_clISt17integral_constantIbLb1EES1B_EEDaS16_S17_EUlS16_E_NS1_11comp_targetILNS1_3genE0ELNS1_11target_archE4294967295ELNS1_3gpuE0ELNS1_3repE0EEENS1_30default_config_static_selectorELNS0_4arch9wavefront6targetE1EEEvT1_
    .private_segment_fixed_size: 0
    .sgpr_count:     4
    .sgpr_spill_count: 0
    .symbol:         _ZN7rocprim17ROCPRIM_400000_NS6detail17trampoline_kernelINS0_14default_configENS1_25partition_config_selectorILNS1_17partition_subalgoE1EtNS0_10empty_typeEbEEZZNS1_14partition_implILS5_1ELb0ES3_jN6thrust23THRUST_200600_302600_NS6detail15normal_iteratorINSA_10device_ptrItEEEEPS6_NSA_18transform_iteratorI7is_evenItESF_NSA_11use_defaultESK_EENS0_5tupleIJSF_NSA_16discard_iteratorISK_EEEEENSM_IJSG_SG_EEES6_PlJS6_EEE10hipError_tPvRmT3_T4_T5_T6_T7_T9_mT8_P12ihipStream_tbDpT10_ENKUlT_T0_E_clISt17integral_constantIbLb1EES1B_EEDaS16_S17_EUlS16_E_NS1_11comp_targetILNS1_3genE0ELNS1_11target_archE4294967295ELNS1_3gpuE0ELNS1_3repE0EEENS1_30default_config_static_selectorELNS0_4arch9wavefront6targetE1EEEvT1_.kd
    .uniform_work_group_size: 1
    .uses_dynamic_stack: false
    .vgpr_count:     0
    .vgpr_spill_count: 0
    .wavefront_size: 64
  - .agpr_count:     0
    .args:
      - .offset:         0
        .size:           152
        .value_kind:     by_value
    .group_segment_fixed_size: 0
    .kernarg_segment_align: 8
    .kernarg_segment_size: 152
    .language:       OpenCL C
    .language_version:
      - 2
      - 0
    .max_flat_workgroup_size: 512
    .name:           _ZN7rocprim17ROCPRIM_400000_NS6detail17trampoline_kernelINS0_14default_configENS1_25partition_config_selectorILNS1_17partition_subalgoE1EtNS0_10empty_typeEbEEZZNS1_14partition_implILS5_1ELb0ES3_jN6thrust23THRUST_200600_302600_NS6detail15normal_iteratorINSA_10device_ptrItEEEEPS6_NSA_18transform_iteratorI7is_evenItESF_NSA_11use_defaultESK_EENS0_5tupleIJSF_NSA_16discard_iteratorISK_EEEEENSM_IJSG_SG_EEES6_PlJS6_EEE10hipError_tPvRmT3_T4_T5_T6_T7_T9_mT8_P12ihipStream_tbDpT10_ENKUlT_T0_E_clISt17integral_constantIbLb1EES1B_EEDaS16_S17_EUlS16_E_NS1_11comp_targetILNS1_3genE5ELNS1_11target_archE942ELNS1_3gpuE9ELNS1_3repE0EEENS1_30default_config_static_selectorELNS0_4arch9wavefront6targetE1EEEvT1_
    .private_segment_fixed_size: 0
    .sgpr_count:     4
    .sgpr_spill_count: 0
    .symbol:         _ZN7rocprim17ROCPRIM_400000_NS6detail17trampoline_kernelINS0_14default_configENS1_25partition_config_selectorILNS1_17partition_subalgoE1EtNS0_10empty_typeEbEEZZNS1_14partition_implILS5_1ELb0ES3_jN6thrust23THRUST_200600_302600_NS6detail15normal_iteratorINSA_10device_ptrItEEEEPS6_NSA_18transform_iteratorI7is_evenItESF_NSA_11use_defaultESK_EENS0_5tupleIJSF_NSA_16discard_iteratorISK_EEEEENSM_IJSG_SG_EEES6_PlJS6_EEE10hipError_tPvRmT3_T4_T5_T6_T7_T9_mT8_P12ihipStream_tbDpT10_ENKUlT_T0_E_clISt17integral_constantIbLb1EES1B_EEDaS16_S17_EUlS16_E_NS1_11comp_targetILNS1_3genE5ELNS1_11target_archE942ELNS1_3gpuE9ELNS1_3repE0EEENS1_30default_config_static_selectorELNS0_4arch9wavefront6targetE1EEEvT1_.kd
    .uniform_work_group_size: 1
    .uses_dynamic_stack: false
    .vgpr_count:     0
    .vgpr_spill_count: 0
    .wavefront_size: 64
  - .agpr_count:     0
    .args:
      - .offset:         0
        .size:           152
        .value_kind:     by_value
    .group_segment_fixed_size: 10248
    .kernarg_segment_align: 8
    .kernarg_segment_size: 152
    .language:       OpenCL C
    .language_version:
      - 2
      - 0
    .max_flat_workgroup_size: 256
    .name:           _ZN7rocprim17ROCPRIM_400000_NS6detail17trampoline_kernelINS0_14default_configENS1_25partition_config_selectorILNS1_17partition_subalgoE1EtNS0_10empty_typeEbEEZZNS1_14partition_implILS5_1ELb0ES3_jN6thrust23THRUST_200600_302600_NS6detail15normal_iteratorINSA_10device_ptrItEEEEPS6_NSA_18transform_iteratorI7is_evenItESF_NSA_11use_defaultESK_EENS0_5tupleIJSF_NSA_16discard_iteratorISK_EEEEENSM_IJSG_SG_EEES6_PlJS6_EEE10hipError_tPvRmT3_T4_T5_T6_T7_T9_mT8_P12ihipStream_tbDpT10_ENKUlT_T0_E_clISt17integral_constantIbLb1EES1B_EEDaS16_S17_EUlS16_E_NS1_11comp_targetILNS1_3genE4ELNS1_11target_archE910ELNS1_3gpuE8ELNS1_3repE0EEENS1_30default_config_static_selectorELNS0_4arch9wavefront6targetE1EEEvT1_
    .private_segment_fixed_size: 0
    .sgpr_count:     44
    .sgpr_spill_count: 0
    .symbol:         _ZN7rocprim17ROCPRIM_400000_NS6detail17trampoline_kernelINS0_14default_configENS1_25partition_config_selectorILNS1_17partition_subalgoE1EtNS0_10empty_typeEbEEZZNS1_14partition_implILS5_1ELb0ES3_jN6thrust23THRUST_200600_302600_NS6detail15normal_iteratorINSA_10device_ptrItEEEEPS6_NSA_18transform_iteratorI7is_evenItESF_NSA_11use_defaultESK_EENS0_5tupleIJSF_NSA_16discard_iteratorISK_EEEEENSM_IJSG_SG_EEES6_PlJS6_EEE10hipError_tPvRmT3_T4_T5_T6_T7_T9_mT8_P12ihipStream_tbDpT10_ENKUlT_T0_E_clISt17integral_constantIbLb1EES1B_EEDaS16_S17_EUlS16_E_NS1_11comp_targetILNS1_3genE4ELNS1_11target_archE910ELNS1_3gpuE8ELNS1_3repE0EEENS1_30default_config_static_selectorELNS0_4arch9wavefront6targetE1EEEvT1_.kd
    .uniform_work_group_size: 1
    .uses_dynamic_stack: false
    .vgpr_count:     67
    .vgpr_spill_count: 0
    .wavefront_size: 64
  - .agpr_count:     0
    .args:
      - .offset:         0
        .size:           152
        .value_kind:     by_value
    .group_segment_fixed_size: 0
    .kernarg_segment_align: 8
    .kernarg_segment_size: 152
    .language:       OpenCL C
    .language_version:
      - 2
      - 0
    .max_flat_workgroup_size: 256
    .name:           _ZN7rocprim17ROCPRIM_400000_NS6detail17trampoline_kernelINS0_14default_configENS1_25partition_config_selectorILNS1_17partition_subalgoE1EtNS0_10empty_typeEbEEZZNS1_14partition_implILS5_1ELb0ES3_jN6thrust23THRUST_200600_302600_NS6detail15normal_iteratorINSA_10device_ptrItEEEEPS6_NSA_18transform_iteratorI7is_evenItESF_NSA_11use_defaultESK_EENS0_5tupleIJSF_NSA_16discard_iteratorISK_EEEEENSM_IJSG_SG_EEES6_PlJS6_EEE10hipError_tPvRmT3_T4_T5_T6_T7_T9_mT8_P12ihipStream_tbDpT10_ENKUlT_T0_E_clISt17integral_constantIbLb1EES1B_EEDaS16_S17_EUlS16_E_NS1_11comp_targetILNS1_3genE3ELNS1_11target_archE908ELNS1_3gpuE7ELNS1_3repE0EEENS1_30default_config_static_selectorELNS0_4arch9wavefront6targetE1EEEvT1_
    .private_segment_fixed_size: 0
    .sgpr_count:     4
    .sgpr_spill_count: 0
    .symbol:         _ZN7rocprim17ROCPRIM_400000_NS6detail17trampoline_kernelINS0_14default_configENS1_25partition_config_selectorILNS1_17partition_subalgoE1EtNS0_10empty_typeEbEEZZNS1_14partition_implILS5_1ELb0ES3_jN6thrust23THRUST_200600_302600_NS6detail15normal_iteratorINSA_10device_ptrItEEEEPS6_NSA_18transform_iteratorI7is_evenItESF_NSA_11use_defaultESK_EENS0_5tupleIJSF_NSA_16discard_iteratorISK_EEEEENSM_IJSG_SG_EEES6_PlJS6_EEE10hipError_tPvRmT3_T4_T5_T6_T7_T9_mT8_P12ihipStream_tbDpT10_ENKUlT_T0_E_clISt17integral_constantIbLb1EES1B_EEDaS16_S17_EUlS16_E_NS1_11comp_targetILNS1_3genE3ELNS1_11target_archE908ELNS1_3gpuE7ELNS1_3repE0EEENS1_30default_config_static_selectorELNS0_4arch9wavefront6targetE1EEEvT1_.kd
    .uniform_work_group_size: 1
    .uses_dynamic_stack: false
    .vgpr_count:     0
    .vgpr_spill_count: 0
    .wavefront_size: 64
  - .agpr_count:     0
    .args:
      - .offset:         0
        .size:           152
        .value_kind:     by_value
    .group_segment_fixed_size: 0
    .kernarg_segment_align: 8
    .kernarg_segment_size: 152
    .language:       OpenCL C
    .language_version:
      - 2
      - 0
    .max_flat_workgroup_size: 256
    .name:           _ZN7rocprim17ROCPRIM_400000_NS6detail17trampoline_kernelINS0_14default_configENS1_25partition_config_selectorILNS1_17partition_subalgoE1EtNS0_10empty_typeEbEEZZNS1_14partition_implILS5_1ELb0ES3_jN6thrust23THRUST_200600_302600_NS6detail15normal_iteratorINSA_10device_ptrItEEEEPS6_NSA_18transform_iteratorI7is_evenItESF_NSA_11use_defaultESK_EENS0_5tupleIJSF_NSA_16discard_iteratorISK_EEEEENSM_IJSG_SG_EEES6_PlJS6_EEE10hipError_tPvRmT3_T4_T5_T6_T7_T9_mT8_P12ihipStream_tbDpT10_ENKUlT_T0_E_clISt17integral_constantIbLb1EES1B_EEDaS16_S17_EUlS16_E_NS1_11comp_targetILNS1_3genE2ELNS1_11target_archE906ELNS1_3gpuE6ELNS1_3repE0EEENS1_30default_config_static_selectorELNS0_4arch9wavefront6targetE1EEEvT1_
    .private_segment_fixed_size: 0
    .sgpr_count:     4
    .sgpr_spill_count: 0
    .symbol:         _ZN7rocprim17ROCPRIM_400000_NS6detail17trampoline_kernelINS0_14default_configENS1_25partition_config_selectorILNS1_17partition_subalgoE1EtNS0_10empty_typeEbEEZZNS1_14partition_implILS5_1ELb0ES3_jN6thrust23THRUST_200600_302600_NS6detail15normal_iteratorINSA_10device_ptrItEEEEPS6_NSA_18transform_iteratorI7is_evenItESF_NSA_11use_defaultESK_EENS0_5tupleIJSF_NSA_16discard_iteratorISK_EEEEENSM_IJSG_SG_EEES6_PlJS6_EEE10hipError_tPvRmT3_T4_T5_T6_T7_T9_mT8_P12ihipStream_tbDpT10_ENKUlT_T0_E_clISt17integral_constantIbLb1EES1B_EEDaS16_S17_EUlS16_E_NS1_11comp_targetILNS1_3genE2ELNS1_11target_archE906ELNS1_3gpuE6ELNS1_3repE0EEENS1_30default_config_static_selectorELNS0_4arch9wavefront6targetE1EEEvT1_.kd
    .uniform_work_group_size: 1
    .uses_dynamic_stack: false
    .vgpr_count:     0
    .vgpr_spill_count: 0
    .wavefront_size: 64
  - .agpr_count:     0
    .args:
      - .offset:         0
        .size:           152
        .value_kind:     by_value
    .group_segment_fixed_size: 0
    .kernarg_segment_align: 8
    .kernarg_segment_size: 152
    .language:       OpenCL C
    .language_version:
      - 2
      - 0
    .max_flat_workgroup_size: 384
    .name:           _ZN7rocprim17ROCPRIM_400000_NS6detail17trampoline_kernelINS0_14default_configENS1_25partition_config_selectorILNS1_17partition_subalgoE1EtNS0_10empty_typeEbEEZZNS1_14partition_implILS5_1ELb0ES3_jN6thrust23THRUST_200600_302600_NS6detail15normal_iteratorINSA_10device_ptrItEEEEPS6_NSA_18transform_iteratorI7is_evenItESF_NSA_11use_defaultESK_EENS0_5tupleIJSF_NSA_16discard_iteratorISK_EEEEENSM_IJSG_SG_EEES6_PlJS6_EEE10hipError_tPvRmT3_T4_T5_T6_T7_T9_mT8_P12ihipStream_tbDpT10_ENKUlT_T0_E_clISt17integral_constantIbLb1EES1B_EEDaS16_S17_EUlS16_E_NS1_11comp_targetILNS1_3genE10ELNS1_11target_archE1200ELNS1_3gpuE4ELNS1_3repE0EEENS1_30default_config_static_selectorELNS0_4arch9wavefront6targetE1EEEvT1_
    .private_segment_fixed_size: 0
    .sgpr_count:     4
    .sgpr_spill_count: 0
    .symbol:         _ZN7rocprim17ROCPRIM_400000_NS6detail17trampoline_kernelINS0_14default_configENS1_25partition_config_selectorILNS1_17partition_subalgoE1EtNS0_10empty_typeEbEEZZNS1_14partition_implILS5_1ELb0ES3_jN6thrust23THRUST_200600_302600_NS6detail15normal_iteratorINSA_10device_ptrItEEEEPS6_NSA_18transform_iteratorI7is_evenItESF_NSA_11use_defaultESK_EENS0_5tupleIJSF_NSA_16discard_iteratorISK_EEEEENSM_IJSG_SG_EEES6_PlJS6_EEE10hipError_tPvRmT3_T4_T5_T6_T7_T9_mT8_P12ihipStream_tbDpT10_ENKUlT_T0_E_clISt17integral_constantIbLb1EES1B_EEDaS16_S17_EUlS16_E_NS1_11comp_targetILNS1_3genE10ELNS1_11target_archE1200ELNS1_3gpuE4ELNS1_3repE0EEENS1_30default_config_static_selectorELNS0_4arch9wavefront6targetE1EEEvT1_.kd
    .uniform_work_group_size: 1
    .uses_dynamic_stack: false
    .vgpr_count:     0
    .vgpr_spill_count: 0
    .wavefront_size: 64
  - .agpr_count:     0
    .args:
      - .offset:         0
        .size:           152
        .value_kind:     by_value
    .group_segment_fixed_size: 0
    .kernarg_segment_align: 8
    .kernarg_segment_size: 152
    .language:       OpenCL C
    .language_version:
      - 2
      - 0
    .max_flat_workgroup_size: 128
    .name:           _ZN7rocprim17ROCPRIM_400000_NS6detail17trampoline_kernelINS0_14default_configENS1_25partition_config_selectorILNS1_17partition_subalgoE1EtNS0_10empty_typeEbEEZZNS1_14partition_implILS5_1ELb0ES3_jN6thrust23THRUST_200600_302600_NS6detail15normal_iteratorINSA_10device_ptrItEEEEPS6_NSA_18transform_iteratorI7is_evenItESF_NSA_11use_defaultESK_EENS0_5tupleIJSF_NSA_16discard_iteratorISK_EEEEENSM_IJSG_SG_EEES6_PlJS6_EEE10hipError_tPvRmT3_T4_T5_T6_T7_T9_mT8_P12ihipStream_tbDpT10_ENKUlT_T0_E_clISt17integral_constantIbLb1EES1B_EEDaS16_S17_EUlS16_E_NS1_11comp_targetILNS1_3genE9ELNS1_11target_archE1100ELNS1_3gpuE3ELNS1_3repE0EEENS1_30default_config_static_selectorELNS0_4arch9wavefront6targetE1EEEvT1_
    .private_segment_fixed_size: 0
    .sgpr_count:     4
    .sgpr_spill_count: 0
    .symbol:         _ZN7rocprim17ROCPRIM_400000_NS6detail17trampoline_kernelINS0_14default_configENS1_25partition_config_selectorILNS1_17partition_subalgoE1EtNS0_10empty_typeEbEEZZNS1_14partition_implILS5_1ELb0ES3_jN6thrust23THRUST_200600_302600_NS6detail15normal_iteratorINSA_10device_ptrItEEEEPS6_NSA_18transform_iteratorI7is_evenItESF_NSA_11use_defaultESK_EENS0_5tupleIJSF_NSA_16discard_iteratorISK_EEEEENSM_IJSG_SG_EEES6_PlJS6_EEE10hipError_tPvRmT3_T4_T5_T6_T7_T9_mT8_P12ihipStream_tbDpT10_ENKUlT_T0_E_clISt17integral_constantIbLb1EES1B_EEDaS16_S17_EUlS16_E_NS1_11comp_targetILNS1_3genE9ELNS1_11target_archE1100ELNS1_3gpuE3ELNS1_3repE0EEENS1_30default_config_static_selectorELNS0_4arch9wavefront6targetE1EEEvT1_.kd
    .uniform_work_group_size: 1
    .uses_dynamic_stack: false
    .vgpr_count:     0
    .vgpr_spill_count: 0
    .wavefront_size: 64
  - .agpr_count:     0
    .args:
      - .offset:         0
        .size:           152
        .value_kind:     by_value
    .group_segment_fixed_size: 0
    .kernarg_segment_align: 8
    .kernarg_segment_size: 152
    .language:       OpenCL C
    .language_version:
      - 2
      - 0
    .max_flat_workgroup_size: 512
    .name:           _ZN7rocprim17ROCPRIM_400000_NS6detail17trampoline_kernelINS0_14default_configENS1_25partition_config_selectorILNS1_17partition_subalgoE1EtNS0_10empty_typeEbEEZZNS1_14partition_implILS5_1ELb0ES3_jN6thrust23THRUST_200600_302600_NS6detail15normal_iteratorINSA_10device_ptrItEEEEPS6_NSA_18transform_iteratorI7is_evenItESF_NSA_11use_defaultESK_EENS0_5tupleIJSF_NSA_16discard_iteratorISK_EEEEENSM_IJSG_SG_EEES6_PlJS6_EEE10hipError_tPvRmT3_T4_T5_T6_T7_T9_mT8_P12ihipStream_tbDpT10_ENKUlT_T0_E_clISt17integral_constantIbLb1EES1B_EEDaS16_S17_EUlS16_E_NS1_11comp_targetILNS1_3genE8ELNS1_11target_archE1030ELNS1_3gpuE2ELNS1_3repE0EEENS1_30default_config_static_selectorELNS0_4arch9wavefront6targetE1EEEvT1_
    .private_segment_fixed_size: 0
    .sgpr_count:     4
    .sgpr_spill_count: 0
    .symbol:         _ZN7rocprim17ROCPRIM_400000_NS6detail17trampoline_kernelINS0_14default_configENS1_25partition_config_selectorILNS1_17partition_subalgoE1EtNS0_10empty_typeEbEEZZNS1_14partition_implILS5_1ELb0ES3_jN6thrust23THRUST_200600_302600_NS6detail15normal_iteratorINSA_10device_ptrItEEEEPS6_NSA_18transform_iteratorI7is_evenItESF_NSA_11use_defaultESK_EENS0_5tupleIJSF_NSA_16discard_iteratorISK_EEEEENSM_IJSG_SG_EEES6_PlJS6_EEE10hipError_tPvRmT3_T4_T5_T6_T7_T9_mT8_P12ihipStream_tbDpT10_ENKUlT_T0_E_clISt17integral_constantIbLb1EES1B_EEDaS16_S17_EUlS16_E_NS1_11comp_targetILNS1_3genE8ELNS1_11target_archE1030ELNS1_3gpuE2ELNS1_3repE0EEENS1_30default_config_static_selectorELNS0_4arch9wavefront6targetE1EEEvT1_.kd
    .uniform_work_group_size: 1
    .uses_dynamic_stack: false
    .vgpr_count:     0
    .vgpr_spill_count: 0
    .wavefront_size: 64
  - .agpr_count:     0
    .args:
      - .offset:         0
        .size:           136
        .value_kind:     by_value
    .group_segment_fixed_size: 0
    .kernarg_segment_align: 8
    .kernarg_segment_size: 136
    .language:       OpenCL C
    .language_version:
      - 2
      - 0
    .max_flat_workgroup_size: 256
    .name:           _ZN7rocprim17ROCPRIM_400000_NS6detail17trampoline_kernelINS0_14default_configENS1_25partition_config_selectorILNS1_17partition_subalgoE1EtNS0_10empty_typeEbEEZZNS1_14partition_implILS5_1ELb0ES3_jN6thrust23THRUST_200600_302600_NS6detail15normal_iteratorINSA_10device_ptrItEEEEPS6_NSA_18transform_iteratorI7is_evenItESF_NSA_11use_defaultESK_EENS0_5tupleIJSF_NSA_16discard_iteratorISK_EEEEENSM_IJSG_SG_EEES6_PlJS6_EEE10hipError_tPvRmT3_T4_T5_T6_T7_T9_mT8_P12ihipStream_tbDpT10_ENKUlT_T0_E_clISt17integral_constantIbLb1EES1A_IbLb0EEEEDaS16_S17_EUlS16_E_NS1_11comp_targetILNS1_3genE0ELNS1_11target_archE4294967295ELNS1_3gpuE0ELNS1_3repE0EEENS1_30default_config_static_selectorELNS0_4arch9wavefront6targetE1EEEvT1_
    .private_segment_fixed_size: 0
    .sgpr_count:     4
    .sgpr_spill_count: 0
    .symbol:         _ZN7rocprim17ROCPRIM_400000_NS6detail17trampoline_kernelINS0_14default_configENS1_25partition_config_selectorILNS1_17partition_subalgoE1EtNS0_10empty_typeEbEEZZNS1_14partition_implILS5_1ELb0ES3_jN6thrust23THRUST_200600_302600_NS6detail15normal_iteratorINSA_10device_ptrItEEEEPS6_NSA_18transform_iteratorI7is_evenItESF_NSA_11use_defaultESK_EENS0_5tupleIJSF_NSA_16discard_iteratorISK_EEEEENSM_IJSG_SG_EEES6_PlJS6_EEE10hipError_tPvRmT3_T4_T5_T6_T7_T9_mT8_P12ihipStream_tbDpT10_ENKUlT_T0_E_clISt17integral_constantIbLb1EES1A_IbLb0EEEEDaS16_S17_EUlS16_E_NS1_11comp_targetILNS1_3genE0ELNS1_11target_archE4294967295ELNS1_3gpuE0ELNS1_3repE0EEENS1_30default_config_static_selectorELNS0_4arch9wavefront6targetE1EEEvT1_.kd
    .uniform_work_group_size: 1
    .uses_dynamic_stack: false
    .vgpr_count:     0
    .vgpr_spill_count: 0
    .wavefront_size: 64
  - .agpr_count:     0
    .args:
      - .offset:         0
        .size:           136
        .value_kind:     by_value
    .group_segment_fixed_size: 0
    .kernarg_segment_align: 8
    .kernarg_segment_size: 136
    .language:       OpenCL C
    .language_version:
      - 2
      - 0
    .max_flat_workgroup_size: 512
    .name:           _ZN7rocprim17ROCPRIM_400000_NS6detail17trampoline_kernelINS0_14default_configENS1_25partition_config_selectorILNS1_17partition_subalgoE1EtNS0_10empty_typeEbEEZZNS1_14partition_implILS5_1ELb0ES3_jN6thrust23THRUST_200600_302600_NS6detail15normal_iteratorINSA_10device_ptrItEEEEPS6_NSA_18transform_iteratorI7is_evenItESF_NSA_11use_defaultESK_EENS0_5tupleIJSF_NSA_16discard_iteratorISK_EEEEENSM_IJSG_SG_EEES6_PlJS6_EEE10hipError_tPvRmT3_T4_T5_T6_T7_T9_mT8_P12ihipStream_tbDpT10_ENKUlT_T0_E_clISt17integral_constantIbLb1EES1A_IbLb0EEEEDaS16_S17_EUlS16_E_NS1_11comp_targetILNS1_3genE5ELNS1_11target_archE942ELNS1_3gpuE9ELNS1_3repE0EEENS1_30default_config_static_selectorELNS0_4arch9wavefront6targetE1EEEvT1_
    .private_segment_fixed_size: 0
    .sgpr_count:     4
    .sgpr_spill_count: 0
    .symbol:         _ZN7rocprim17ROCPRIM_400000_NS6detail17trampoline_kernelINS0_14default_configENS1_25partition_config_selectorILNS1_17partition_subalgoE1EtNS0_10empty_typeEbEEZZNS1_14partition_implILS5_1ELb0ES3_jN6thrust23THRUST_200600_302600_NS6detail15normal_iteratorINSA_10device_ptrItEEEEPS6_NSA_18transform_iteratorI7is_evenItESF_NSA_11use_defaultESK_EENS0_5tupleIJSF_NSA_16discard_iteratorISK_EEEEENSM_IJSG_SG_EEES6_PlJS6_EEE10hipError_tPvRmT3_T4_T5_T6_T7_T9_mT8_P12ihipStream_tbDpT10_ENKUlT_T0_E_clISt17integral_constantIbLb1EES1A_IbLb0EEEEDaS16_S17_EUlS16_E_NS1_11comp_targetILNS1_3genE5ELNS1_11target_archE942ELNS1_3gpuE9ELNS1_3repE0EEENS1_30default_config_static_selectorELNS0_4arch9wavefront6targetE1EEEvT1_.kd
    .uniform_work_group_size: 1
    .uses_dynamic_stack: false
    .vgpr_count:     0
    .vgpr_spill_count: 0
    .wavefront_size: 64
  - .agpr_count:     0
    .args:
      - .offset:         0
        .size:           136
        .value_kind:     by_value
    .group_segment_fixed_size: 10248
    .kernarg_segment_align: 8
    .kernarg_segment_size: 136
    .language:       OpenCL C
    .language_version:
      - 2
      - 0
    .max_flat_workgroup_size: 256
    .name:           _ZN7rocprim17ROCPRIM_400000_NS6detail17trampoline_kernelINS0_14default_configENS1_25partition_config_selectorILNS1_17partition_subalgoE1EtNS0_10empty_typeEbEEZZNS1_14partition_implILS5_1ELb0ES3_jN6thrust23THRUST_200600_302600_NS6detail15normal_iteratorINSA_10device_ptrItEEEEPS6_NSA_18transform_iteratorI7is_evenItESF_NSA_11use_defaultESK_EENS0_5tupleIJSF_NSA_16discard_iteratorISK_EEEEENSM_IJSG_SG_EEES6_PlJS6_EEE10hipError_tPvRmT3_T4_T5_T6_T7_T9_mT8_P12ihipStream_tbDpT10_ENKUlT_T0_E_clISt17integral_constantIbLb1EES1A_IbLb0EEEEDaS16_S17_EUlS16_E_NS1_11comp_targetILNS1_3genE4ELNS1_11target_archE910ELNS1_3gpuE8ELNS1_3repE0EEENS1_30default_config_static_selectorELNS0_4arch9wavefront6targetE1EEEvT1_
    .private_segment_fixed_size: 0
    .sgpr_count:     44
    .sgpr_spill_count: 0
    .symbol:         _ZN7rocprim17ROCPRIM_400000_NS6detail17trampoline_kernelINS0_14default_configENS1_25partition_config_selectorILNS1_17partition_subalgoE1EtNS0_10empty_typeEbEEZZNS1_14partition_implILS5_1ELb0ES3_jN6thrust23THRUST_200600_302600_NS6detail15normal_iteratorINSA_10device_ptrItEEEEPS6_NSA_18transform_iteratorI7is_evenItESF_NSA_11use_defaultESK_EENS0_5tupleIJSF_NSA_16discard_iteratorISK_EEEEENSM_IJSG_SG_EEES6_PlJS6_EEE10hipError_tPvRmT3_T4_T5_T6_T7_T9_mT8_P12ihipStream_tbDpT10_ENKUlT_T0_E_clISt17integral_constantIbLb1EES1A_IbLb0EEEEDaS16_S17_EUlS16_E_NS1_11comp_targetILNS1_3genE4ELNS1_11target_archE910ELNS1_3gpuE8ELNS1_3repE0EEENS1_30default_config_static_selectorELNS0_4arch9wavefront6targetE1EEEvT1_.kd
    .uniform_work_group_size: 1
    .uses_dynamic_stack: false
    .vgpr_count:     65
    .vgpr_spill_count: 0
    .wavefront_size: 64
  - .agpr_count:     0
    .args:
      - .offset:         0
        .size:           136
        .value_kind:     by_value
    .group_segment_fixed_size: 0
    .kernarg_segment_align: 8
    .kernarg_segment_size: 136
    .language:       OpenCL C
    .language_version:
      - 2
      - 0
    .max_flat_workgroup_size: 256
    .name:           _ZN7rocprim17ROCPRIM_400000_NS6detail17trampoline_kernelINS0_14default_configENS1_25partition_config_selectorILNS1_17partition_subalgoE1EtNS0_10empty_typeEbEEZZNS1_14partition_implILS5_1ELb0ES3_jN6thrust23THRUST_200600_302600_NS6detail15normal_iteratorINSA_10device_ptrItEEEEPS6_NSA_18transform_iteratorI7is_evenItESF_NSA_11use_defaultESK_EENS0_5tupleIJSF_NSA_16discard_iteratorISK_EEEEENSM_IJSG_SG_EEES6_PlJS6_EEE10hipError_tPvRmT3_T4_T5_T6_T7_T9_mT8_P12ihipStream_tbDpT10_ENKUlT_T0_E_clISt17integral_constantIbLb1EES1A_IbLb0EEEEDaS16_S17_EUlS16_E_NS1_11comp_targetILNS1_3genE3ELNS1_11target_archE908ELNS1_3gpuE7ELNS1_3repE0EEENS1_30default_config_static_selectorELNS0_4arch9wavefront6targetE1EEEvT1_
    .private_segment_fixed_size: 0
    .sgpr_count:     4
    .sgpr_spill_count: 0
    .symbol:         _ZN7rocprim17ROCPRIM_400000_NS6detail17trampoline_kernelINS0_14default_configENS1_25partition_config_selectorILNS1_17partition_subalgoE1EtNS0_10empty_typeEbEEZZNS1_14partition_implILS5_1ELb0ES3_jN6thrust23THRUST_200600_302600_NS6detail15normal_iteratorINSA_10device_ptrItEEEEPS6_NSA_18transform_iteratorI7is_evenItESF_NSA_11use_defaultESK_EENS0_5tupleIJSF_NSA_16discard_iteratorISK_EEEEENSM_IJSG_SG_EEES6_PlJS6_EEE10hipError_tPvRmT3_T4_T5_T6_T7_T9_mT8_P12ihipStream_tbDpT10_ENKUlT_T0_E_clISt17integral_constantIbLb1EES1A_IbLb0EEEEDaS16_S17_EUlS16_E_NS1_11comp_targetILNS1_3genE3ELNS1_11target_archE908ELNS1_3gpuE7ELNS1_3repE0EEENS1_30default_config_static_selectorELNS0_4arch9wavefront6targetE1EEEvT1_.kd
    .uniform_work_group_size: 1
    .uses_dynamic_stack: false
    .vgpr_count:     0
    .vgpr_spill_count: 0
    .wavefront_size: 64
  - .agpr_count:     0
    .args:
      - .offset:         0
        .size:           136
        .value_kind:     by_value
    .group_segment_fixed_size: 0
    .kernarg_segment_align: 8
    .kernarg_segment_size: 136
    .language:       OpenCL C
    .language_version:
      - 2
      - 0
    .max_flat_workgroup_size: 256
    .name:           _ZN7rocprim17ROCPRIM_400000_NS6detail17trampoline_kernelINS0_14default_configENS1_25partition_config_selectorILNS1_17partition_subalgoE1EtNS0_10empty_typeEbEEZZNS1_14partition_implILS5_1ELb0ES3_jN6thrust23THRUST_200600_302600_NS6detail15normal_iteratorINSA_10device_ptrItEEEEPS6_NSA_18transform_iteratorI7is_evenItESF_NSA_11use_defaultESK_EENS0_5tupleIJSF_NSA_16discard_iteratorISK_EEEEENSM_IJSG_SG_EEES6_PlJS6_EEE10hipError_tPvRmT3_T4_T5_T6_T7_T9_mT8_P12ihipStream_tbDpT10_ENKUlT_T0_E_clISt17integral_constantIbLb1EES1A_IbLb0EEEEDaS16_S17_EUlS16_E_NS1_11comp_targetILNS1_3genE2ELNS1_11target_archE906ELNS1_3gpuE6ELNS1_3repE0EEENS1_30default_config_static_selectorELNS0_4arch9wavefront6targetE1EEEvT1_
    .private_segment_fixed_size: 0
    .sgpr_count:     4
    .sgpr_spill_count: 0
    .symbol:         _ZN7rocprim17ROCPRIM_400000_NS6detail17trampoline_kernelINS0_14default_configENS1_25partition_config_selectorILNS1_17partition_subalgoE1EtNS0_10empty_typeEbEEZZNS1_14partition_implILS5_1ELb0ES3_jN6thrust23THRUST_200600_302600_NS6detail15normal_iteratorINSA_10device_ptrItEEEEPS6_NSA_18transform_iteratorI7is_evenItESF_NSA_11use_defaultESK_EENS0_5tupleIJSF_NSA_16discard_iteratorISK_EEEEENSM_IJSG_SG_EEES6_PlJS6_EEE10hipError_tPvRmT3_T4_T5_T6_T7_T9_mT8_P12ihipStream_tbDpT10_ENKUlT_T0_E_clISt17integral_constantIbLb1EES1A_IbLb0EEEEDaS16_S17_EUlS16_E_NS1_11comp_targetILNS1_3genE2ELNS1_11target_archE906ELNS1_3gpuE6ELNS1_3repE0EEENS1_30default_config_static_selectorELNS0_4arch9wavefront6targetE1EEEvT1_.kd
    .uniform_work_group_size: 1
    .uses_dynamic_stack: false
    .vgpr_count:     0
    .vgpr_spill_count: 0
    .wavefront_size: 64
  - .agpr_count:     0
    .args:
      - .offset:         0
        .size:           136
        .value_kind:     by_value
    .group_segment_fixed_size: 0
    .kernarg_segment_align: 8
    .kernarg_segment_size: 136
    .language:       OpenCL C
    .language_version:
      - 2
      - 0
    .max_flat_workgroup_size: 384
    .name:           _ZN7rocprim17ROCPRIM_400000_NS6detail17trampoline_kernelINS0_14default_configENS1_25partition_config_selectorILNS1_17partition_subalgoE1EtNS0_10empty_typeEbEEZZNS1_14partition_implILS5_1ELb0ES3_jN6thrust23THRUST_200600_302600_NS6detail15normal_iteratorINSA_10device_ptrItEEEEPS6_NSA_18transform_iteratorI7is_evenItESF_NSA_11use_defaultESK_EENS0_5tupleIJSF_NSA_16discard_iteratorISK_EEEEENSM_IJSG_SG_EEES6_PlJS6_EEE10hipError_tPvRmT3_T4_T5_T6_T7_T9_mT8_P12ihipStream_tbDpT10_ENKUlT_T0_E_clISt17integral_constantIbLb1EES1A_IbLb0EEEEDaS16_S17_EUlS16_E_NS1_11comp_targetILNS1_3genE10ELNS1_11target_archE1200ELNS1_3gpuE4ELNS1_3repE0EEENS1_30default_config_static_selectorELNS0_4arch9wavefront6targetE1EEEvT1_
    .private_segment_fixed_size: 0
    .sgpr_count:     4
    .sgpr_spill_count: 0
    .symbol:         _ZN7rocprim17ROCPRIM_400000_NS6detail17trampoline_kernelINS0_14default_configENS1_25partition_config_selectorILNS1_17partition_subalgoE1EtNS0_10empty_typeEbEEZZNS1_14partition_implILS5_1ELb0ES3_jN6thrust23THRUST_200600_302600_NS6detail15normal_iteratorINSA_10device_ptrItEEEEPS6_NSA_18transform_iteratorI7is_evenItESF_NSA_11use_defaultESK_EENS0_5tupleIJSF_NSA_16discard_iteratorISK_EEEEENSM_IJSG_SG_EEES6_PlJS6_EEE10hipError_tPvRmT3_T4_T5_T6_T7_T9_mT8_P12ihipStream_tbDpT10_ENKUlT_T0_E_clISt17integral_constantIbLb1EES1A_IbLb0EEEEDaS16_S17_EUlS16_E_NS1_11comp_targetILNS1_3genE10ELNS1_11target_archE1200ELNS1_3gpuE4ELNS1_3repE0EEENS1_30default_config_static_selectorELNS0_4arch9wavefront6targetE1EEEvT1_.kd
    .uniform_work_group_size: 1
    .uses_dynamic_stack: false
    .vgpr_count:     0
    .vgpr_spill_count: 0
    .wavefront_size: 64
  - .agpr_count:     0
    .args:
      - .offset:         0
        .size:           136
        .value_kind:     by_value
    .group_segment_fixed_size: 0
    .kernarg_segment_align: 8
    .kernarg_segment_size: 136
    .language:       OpenCL C
    .language_version:
      - 2
      - 0
    .max_flat_workgroup_size: 128
    .name:           _ZN7rocprim17ROCPRIM_400000_NS6detail17trampoline_kernelINS0_14default_configENS1_25partition_config_selectorILNS1_17partition_subalgoE1EtNS0_10empty_typeEbEEZZNS1_14partition_implILS5_1ELb0ES3_jN6thrust23THRUST_200600_302600_NS6detail15normal_iteratorINSA_10device_ptrItEEEEPS6_NSA_18transform_iteratorI7is_evenItESF_NSA_11use_defaultESK_EENS0_5tupleIJSF_NSA_16discard_iteratorISK_EEEEENSM_IJSG_SG_EEES6_PlJS6_EEE10hipError_tPvRmT3_T4_T5_T6_T7_T9_mT8_P12ihipStream_tbDpT10_ENKUlT_T0_E_clISt17integral_constantIbLb1EES1A_IbLb0EEEEDaS16_S17_EUlS16_E_NS1_11comp_targetILNS1_3genE9ELNS1_11target_archE1100ELNS1_3gpuE3ELNS1_3repE0EEENS1_30default_config_static_selectorELNS0_4arch9wavefront6targetE1EEEvT1_
    .private_segment_fixed_size: 0
    .sgpr_count:     4
    .sgpr_spill_count: 0
    .symbol:         _ZN7rocprim17ROCPRIM_400000_NS6detail17trampoline_kernelINS0_14default_configENS1_25partition_config_selectorILNS1_17partition_subalgoE1EtNS0_10empty_typeEbEEZZNS1_14partition_implILS5_1ELb0ES3_jN6thrust23THRUST_200600_302600_NS6detail15normal_iteratorINSA_10device_ptrItEEEEPS6_NSA_18transform_iteratorI7is_evenItESF_NSA_11use_defaultESK_EENS0_5tupleIJSF_NSA_16discard_iteratorISK_EEEEENSM_IJSG_SG_EEES6_PlJS6_EEE10hipError_tPvRmT3_T4_T5_T6_T7_T9_mT8_P12ihipStream_tbDpT10_ENKUlT_T0_E_clISt17integral_constantIbLb1EES1A_IbLb0EEEEDaS16_S17_EUlS16_E_NS1_11comp_targetILNS1_3genE9ELNS1_11target_archE1100ELNS1_3gpuE3ELNS1_3repE0EEENS1_30default_config_static_selectorELNS0_4arch9wavefront6targetE1EEEvT1_.kd
    .uniform_work_group_size: 1
    .uses_dynamic_stack: false
    .vgpr_count:     0
    .vgpr_spill_count: 0
    .wavefront_size: 64
  - .agpr_count:     0
    .args:
      - .offset:         0
        .size:           136
        .value_kind:     by_value
    .group_segment_fixed_size: 0
    .kernarg_segment_align: 8
    .kernarg_segment_size: 136
    .language:       OpenCL C
    .language_version:
      - 2
      - 0
    .max_flat_workgroup_size: 512
    .name:           _ZN7rocprim17ROCPRIM_400000_NS6detail17trampoline_kernelINS0_14default_configENS1_25partition_config_selectorILNS1_17partition_subalgoE1EtNS0_10empty_typeEbEEZZNS1_14partition_implILS5_1ELb0ES3_jN6thrust23THRUST_200600_302600_NS6detail15normal_iteratorINSA_10device_ptrItEEEEPS6_NSA_18transform_iteratorI7is_evenItESF_NSA_11use_defaultESK_EENS0_5tupleIJSF_NSA_16discard_iteratorISK_EEEEENSM_IJSG_SG_EEES6_PlJS6_EEE10hipError_tPvRmT3_T4_T5_T6_T7_T9_mT8_P12ihipStream_tbDpT10_ENKUlT_T0_E_clISt17integral_constantIbLb1EES1A_IbLb0EEEEDaS16_S17_EUlS16_E_NS1_11comp_targetILNS1_3genE8ELNS1_11target_archE1030ELNS1_3gpuE2ELNS1_3repE0EEENS1_30default_config_static_selectorELNS0_4arch9wavefront6targetE1EEEvT1_
    .private_segment_fixed_size: 0
    .sgpr_count:     4
    .sgpr_spill_count: 0
    .symbol:         _ZN7rocprim17ROCPRIM_400000_NS6detail17trampoline_kernelINS0_14default_configENS1_25partition_config_selectorILNS1_17partition_subalgoE1EtNS0_10empty_typeEbEEZZNS1_14partition_implILS5_1ELb0ES3_jN6thrust23THRUST_200600_302600_NS6detail15normal_iteratorINSA_10device_ptrItEEEEPS6_NSA_18transform_iteratorI7is_evenItESF_NSA_11use_defaultESK_EENS0_5tupleIJSF_NSA_16discard_iteratorISK_EEEEENSM_IJSG_SG_EEES6_PlJS6_EEE10hipError_tPvRmT3_T4_T5_T6_T7_T9_mT8_P12ihipStream_tbDpT10_ENKUlT_T0_E_clISt17integral_constantIbLb1EES1A_IbLb0EEEEDaS16_S17_EUlS16_E_NS1_11comp_targetILNS1_3genE8ELNS1_11target_archE1030ELNS1_3gpuE2ELNS1_3repE0EEENS1_30default_config_static_selectorELNS0_4arch9wavefront6targetE1EEEvT1_.kd
    .uniform_work_group_size: 1
    .uses_dynamic_stack: false
    .vgpr_count:     0
    .vgpr_spill_count: 0
    .wavefront_size: 64
  - .agpr_count:     0
    .args:
      - .offset:         0
        .size:           152
        .value_kind:     by_value
    .group_segment_fixed_size: 0
    .kernarg_segment_align: 8
    .kernarg_segment_size: 152
    .language:       OpenCL C
    .language_version:
      - 2
      - 0
    .max_flat_workgroup_size: 256
    .name:           _ZN7rocprim17ROCPRIM_400000_NS6detail17trampoline_kernelINS0_14default_configENS1_25partition_config_selectorILNS1_17partition_subalgoE1EtNS0_10empty_typeEbEEZZNS1_14partition_implILS5_1ELb0ES3_jN6thrust23THRUST_200600_302600_NS6detail15normal_iteratorINSA_10device_ptrItEEEEPS6_NSA_18transform_iteratorI7is_evenItESF_NSA_11use_defaultESK_EENS0_5tupleIJSF_NSA_16discard_iteratorISK_EEEEENSM_IJSG_SG_EEES6_PlJS6_EEE10hipError_tPvRmT3_T4_T5_T6_T7_T9_mT8_P12ihipStream_tbDpT10_ENKUlT_T0_E_clISt17integral_constantIbLb0EES1A_IbLb1EEEEDaS16_S17_EUlS16_E_NS1_11comp_targetILNS1_3genE0ELNS1_11target_archE4294967295ELNS1_3gpuE0ELNS1_3repE0EEENS1_30default_config_static_selectorELNS0_4arch9wavefront6targetE1EEEvT1_
    .private_segment_fixed_size: 0
    .sgpr_count:     4
    .sgpr_spill_count: 0
    .symbol:         _ZN7rocprim17ROCPRIM_400000_NS6detail17trampoline_kernelINS0_14default_configENS1_25partition_config_selectorILNS1_17partition_subalgoE1EtNS0_10empty_typeEbEEZZNS1_14partition_implILS5_1ELb0ES3_jN6thrust23THRUST_200600_302600_NS6detail15normal_iteratorINSA_10device_ptrItEEEEPS6_NSA_18transform_iteratorI7is_evenItESF_NSA_11use_defaultESK_EENS0_5tupleIJSF_NSA_16discard_iteratorISK_EEEEENSM_IJSG_SG_EEES6_PlJS6_EEE10hipError_tPvRmT3_T4_T5_T6_T7_T9_mT8_P12ihipStream_tbDpT10_ENKUlT_T0_E_clISt17integral_constantIbLb0EES1A_IbLb1EEEEDaS16_S17_EUlS16_E_NS1_11comp_targetILNS1_3genE0ELNS1_11target_archE4294967295ELNS1_3gpuE0ELNS1_3repE0EEENS1_30default_config_static_selectorELNS0_4arch9wavefront6targetE1EEEvT1_.kd
    .uniform_work_group_size: 1
    .uses_dynamic_stack: false
    .vgpr_count:     0
    .vgpr_spill_count: 0
    .wavefront_size: 64
  - .agpr_count:     0
    .args:
      - .offset:         0
        .size:           152
        .value_kind:     by_value
    .group_segment_fixed_size: 0
    .kernarg_segment_align: 8
    .kernarg_segment_size: 152
    .language:       OpenCL C
    .language_version:
      - 2
      - 0
    .max_flat_workgroup_size: 512
    .name:           _ZN7rocprim17ROCPRIM_400000_NS6detail17trampoline_kernelINS0_14default_configENS1_25partition_config_selectorILNS1_17partition_subalgoE1EtNS0_10empty_typeEbEEZZNS1_14partition_implILS5_1ELb0ES3_jN6thrust23THRUST_200600_302600_NS6detail15normal_iteratorINSA_10device_ptrItEEEEPS6_NSA_18transform_iteratorI7is_evenItESF_NSA_11use_defaultESK_EENS0_5tupleIJSF_NSA_16discard_iteratorISK_EEEEENSM_IJSG_SG_EEES6_PlJS6_EEE10hipError_tPvRmT3_T4_T5_T6_T7_T9_mT8_P12ihipStream_tbDpT10_ENKUlT_T0_E_clISt17integral_constantIbLb0EES1A_IbLb1EEEEDaS16_S17_EUlS16_E_NS1_11comp_targetILNS1_3genE5ELNS1_11target_archE942ELNS1_3gpuE9ELNS1_3repE0EEENS1_30default_config_static_selectorELNS0_4arch9wavefront6targetE1EEEvT1_
    .private_segment_fixed_size: 0
    .sgpr_count:     4
    .sgpr_spill_count: 0
    .symbol:         _ZN7rocprim17ROCPRIM_400000_NS6detail17trampoline_kernelINS0_14default_configENS1_25partition_config_selectorILNS1_17partition_subalgoE1EtNS0_10empty_typeEbEEZZNS1_14partition_implILS5_1ELb0ES3_jN6thrust23THRUST_200600_302600_NS6detail15normal_iteratorINSA_10device_ptrItEEEEPS6_NSA_18transform_iteratorI7is_evenItESF_NSA_11use_defaultESK_EENS0_5tupleIJSF_NSA_16discard_iteratorISK_EEEEENSM_IJSG_SG_EEES6_PlJS6_EEE10hipError_tPvRmT3_T4_T5_T6_T7_T9_mT8_P12ihipStream_tbDpT10_ENKUlT_T0_E_clISt17integral_constantIbLb0EES1A_IbLb1EEEEDaS16_S17_EUlS16_E_NS1_11comp_targetILNS1_3genE5ELNS1_11target_archE942ELNS1_3gpuE9ELNS1_3repE0EEENS1_30default_config_static_selectorELNS0_4arch9wavefront6targetE1EEEvT1_.kd
    .uniform_work_group_size: 1
    .uses_dynamic_stack: false
    .vgpr_count:     0
    .vgpr_spill_count: 0
    .wavefront_size: 64
  - .agpr_count:     0
    .args:
      - .offset:         0
        .size:           152
        .value_kind:     by_value
    .group_segment_fixed_size: 10248
    .kernarg_segment_align: 8
    .kernarg_segment_size: 152
    .language:       OpenCL C
    .language_version:
      - 2
      - 0
    .max_flat_workgroup_size: 256
    .name:           _ZN7rocprim17ROCPRIM_400000_NS6detail17trampoline_kernelINS0_14default_configENS1_25partition_config_selectorILNS1_17partition_subalgoE1EtNS0_10empty_typeEbEEZZNS1_14partition_implILS5_1ELb0ES3_jN6thrust23THRUST_200600_302600_NS6detail15normal_iteratorINSA_10device_ptrItEEEEPS6_NSA_18transform_iteratorI7is_evenItESF_NSA_11use_defaultESK_EENS0_5tupleIJSF_NSA_16discard_iteratorISK_EEEEENSM_IJSG_SG_EEES6_PlJS6_EEE10hipError_tPvRmT3_T4_T5_T6_T7_T9_mT8_P12ihipStream_tbDpT10_ENKUlT_T0_E_clISt17integral_constantIbLb0EES1A_IbLb1EEEEDaS16_S17_EUlS16_E_NS1_11comp_targetILNS1_3genE4ELNS1_11target_archE910ELNS1_3gpuE8ELNS1_3repE0EEENS1_30default_config_static_selectorELNS0_4arch9wavefront6targetE1EEEvT1_
    .private_segment_fixed_size: 0
    .sgpr_count:     44
    .sgpr_spill_count: 0
    .symbol:         _ZN7rocprim17ROCPRIM_400000_NS6detail17trampoline_kernelINS0_14default_configENS1_25partition_config_selectorILNS1_17partition_subalgoE1EtNS0_10empty_typeEbEEZZNS1_14partition_implILS5_1ELb0ES3_jN6thrust23THRUST_200600_302600_NS6detail15normal_iteratorINSA_10device_ptrItEEEEPS6_NSA_18transform_iteratorI7is_evenItESF_NSA_11use_defaultESK_EENS0_5tupleIJSF_NSA_16discard_iteratorISK_EEEEENSM_IJSG_SG_EEES6_PlJS6_EEE10hipError_tPvRmT3_T4_T5_T6_T7_T9_mT8_P12ihipStream_tbDpT10_ENKUlT_T0_E_clISt17integral_constantIbLb0EES1A_IbLb1EEEEDaS16_S17_EUlS16_E_NS1_11comp_targetILNS1_3genE4ELNS1_11target_archE910ELNS1_3gpuE8ELNS1_3repE0EEENS1_30default_config_static_selectorELNS0_4arch9wavefront6targetE1EEEvT1_.kd
    .uniform_work_group_size: 1
    .uses_dynamic_stack: false
    .vgpr_count:     67
    .vgpr_spill_count: 0
    .wavefront_size: 64
  - .agpr_count:     0
    .args:
      - .offset:         0
        .size:           152
        .value_kind:     by_value
    .group_segment_fixed_size: 0
    .kernarg_segment_align: 8
    .kernarg_segment_size: 152
    .language:       OpenCL C
    .language_version:
      - 2
      - 0
    .max_flat_workgroup_size: 256
    .name:           _ZN7rocprim17ROCPRIM_400000_NS6detail17trampoline_kernelINS0_14default_configENS1_25partition_config_selectorILNS1_17partition_subalgoE1EtNS0_10empty_typeEbEEZZNS1_14partition_implILS5_1ELb0ES3_jN6thrust23THRUST_200600_302600_NS6detail15normal_iteratorINSA_10device_ptrItEEEEPS6_NSA_18transform_iteratorI7is_evenItESF_NSA_11use_defaultESK_EENS0_5tupleIJSF_NSA_16discard_iteratorISK_EEEEENSM_IJSG_SG_EEES6_PlJS6_EEE10hipError_tPvRmT3_T4_T5_T6_T7_T9_mT8_P12ihipStream_tbDpT10_ENKUlT_T0_E_clISt17integral_constantIbLb0EES1A_IbLb1EEEEDaS16_S17_EUlS16_E_NS1_11comp_targetILNS1_3genE3ELNS1_11target_archE908ELNS1_3gpuE7ELNS1_3repE0EEENS1_30default_config_static_selectorELNS0_4arch9wavefront6targetE1EEEvT1_
    .private_segment_fixed_size: 0
    .sgpr_count:     4
    .sgpr_spill_count: 0
    .symbol:         _ZN7rocprim17ROCPRIM_400000_NS6detail17trampoline_kernelINS0_14default_configENS1_25partition_config_selectorILNS1_17partition_subalgoE1EtNS0_10empty_typeEbEEZZNS1_14partition_implILS5_1ELb0ES3_jN6thrust23THRUST_200600_302600_NS6detail15normal_iteratorINSA_10device_ptrItEEEEPS6_NSA_18transform_iteratorI7is_evenItESF_NSA_11use_defaultESK_EENS0_5tupleIJSF_NSA_16discard_iteratorISK_EEEEENSM_IJSG_SG_EEES6_PlJS6_EEE10hipError_tPvRmT3_T4_T5_T6_T7_T9_mT8_P12ihipStream_tbDpT10_ENKUlT_T0_E_clISt17integral_constantIbLb0EES1A_IbLb1EEEEDaS16_S17_EUlS16_E_NS1_11comp_targetILNS1_3genE3ELNS1_11target_archE908ELNS1_3gpuE7ELNS1_3repE0EEENS1_30default_config_static_selectorELNS0_4arch9wavefront6targetE1EEEvT1_.kd
    .uniform_work_group_size: 1
    .uses_dynamic_stack: false
    .vgpr_count:     0
    .vgpr_spill_count: 0
    .wavefront_size: 64
  - .agpr_count:     0
    .args:
      - .offset:         0
        .size:           152
        .value_kind:     by_value
    .group_segment_fixed_size: 0
    .kernarg_segment_align: 8
    .kernarg_segment_size: 152
    .language:       OpenCL C
    .language_version:
      - 2
      - 0
    .max_flat_workgroup_size: 256
    .name:           _ZN7rocprim17ROCPRIM_400000_NS6detail17trampoline_kernelINS0_14default_configENS1_25partition_config_selectorILNS1_17partition_subalgoE1EtNS0_10empty_typeEbEEZZNS1_14partition_implILS5_1ELb0ES3_jN6thrust23THRUST_200600_302600_NS6detail15normal_iteratorINSA_10device_ptrItEEEEPS6_NSA_18transform_iteratorI7is_evenItESF_NSA_11use_defaultESK_EENS0_5tupleIJSF_NSA_16discard_iteratorISK_EEEEENSM_IJSG_SG_EEES6_PlJS6_EEE10hipError_tPvRmT3_T4_T5_T6_T7_T9_mT8_P12ihipStream_tbDpT10_ENKUlT_T0_E_clISt17integral_constantIbLb0EES1A_IbLb1EEEEDaS16_S17_EUlS16_E_NS1_11comp_targetILNS1_3genE2ELNS1_11target_archE906ELNS1_3gpuE6ELNS1_3repE0EEENS1_30default_config_static_selectorELNS0_4arch9wavefront6targetE1EEEvT1_
    .private_segment_fixed_size: 0
    .sgpr_count:     4
    .sgpr_spill_count: 0
    .symbol:         _ZN7rocprim17ROCPRIM_400000_NS6detail17trampoline_kernelINS0_14default_configENS1_25partition_config_selectorILNS1_17partition_subalgoE1EtNS0_10empty_typeEbEEZZNS1_14partition_implILS5_1ELb0ES3_jN6thrust23THRUST_200600_302600_NS6detail15normal_iteratorINSA_10device_ptrItEEEEPS6_NSA_18transform_iteratorI7is_evenItESF_NSA_11use_defaultESK_EENS0_5tupleIJSF_NSA_16discard_iteratorISK_EEEEENSM_IJSG_SG_EEES6_PlJS6_EEE10hipError_tPvRmT3_T4_T5_T6_T7_T9_mT8_P12ihipStream_tbDpT10_ENKUlT_T0_E_clISt17integral_constantIbLb0EES1A_IbLb1EEEEDaS16_S17_EUlS16_E_NS1_11comp_targetILNS1_3genE2ELNS1_11target_archE906ELNS1_3gpuE6ELNS1_3repE0EEENS1_30default_config_static_selectorELNS0_4arch9wavefront6targetE1EEEvT1_.kd
    .uniform_work_group_size: 1
    .uses_dynamic_stack: false
    .vgpr_count:     0
    .vgpr_spill_count: 0
    .wavefront_size: 64
  - .agpr_count:     0
    .args:
      - .offset:         0
        .size:           152
        .value_kind:     by_value
    .group_segment_fixed_size: 0
    .kernarg_segment_align: 8
    .kernarg_segment_size: 152
    .language:       OpenCL C
    .language_version:
      - 2
      - 0
    .max_flat_workgroup_size: 384
    .name:           _ZN7rocprim17ROCPRIM_400000_NS6detail17trampoline_kernelINS0_14default_configENS1_25partition_config_selectorILNS1_17partition_subalgoE1EtNS0_10empty_typeEbEEZZNS1_14partition_implILS5_1ELb0ES3_jN6thrust23THRUST_200600_302600_NS6detail15normal_iteratorINSA_10device_ptrItEEEEPS6_NSA_18transform_iteratorI7is_evenItESF_NSA_11use_defaultESK_EENS0_5tupleIJSF_NSA_16discard_iteratorISK_EEEEENSM_IJSG_SG_EEES6_PlJS6_EEE10hipError_tPvRmT3_T4_T5_T6_T7_T9_mT8_P12ihipStream_tbDpT10_ENKUlT_T0_E_clISt17integral_constantIbLb0EES1A_IbLb1EEEEDaS16_S17_EUlS16_E_NS1_11comp_targetILNS1_3genE10ELNS1_11target_archE1200ELNS1_3gpuE4ELNS1_3repE0EEENS1_30default_config_static_selectorELNS0_4arch9wavefront6targetE1EEEvT1_
    .private_segment_fixed_size: 0
    .sgpr_count:     4
    .sgpr_spill_count: 0
    .symbol:         _ZN7rocprim17ROCPRIM_400000_NS6detail17trampoline_kernelINS0_14default_configENS1_25partition_config_selectorILNS1_17partition_subalgoE1EtNS0_10empty_typeEbEEZZNS1_14partition_implILS5_1ELb0ES3_jN6thrust23THRUST_200600_302600_NS6detail15normal_iteratorINSA_10device_ptrItEEEEPS6_NSA_18transform_iteratorI7is_evenItESF_NSA_11use_defaultESK_EENS0_5tupleIJSF_NSA_16discard_iteratorISK_EEEEENSM_IJSG_SG_EEES6_PlJS6_EEE10hipError_tPvRmT3_T4_T5_T6_T7_T9_mT8_P12ihipStream_tbDpT10_ENKUlT_T0_E_clISt17integral_constantIbLb0EES1A_IbLb1EEEEDaS16_S17_EUlS16_E_NS1_11comp_targetILNS1_3genE10ELNS1_11target_archE1200ELNS1_3gpuE4ELNS1_3repE0EEENS1_30default_config_static_selectorELNS0_4arch9wavefront6targetE1EEEvT1_.kd
    .uniform_work_group_size: 1
    .uses_dynamic_stack: false
    .vgpr_count:     0
    .vgpr_spill_count: 0
    .wavefront_size: 64
  - .agpr_count:     0
    .args:
      - .offset:         0
        .size:           152
        .value_kind:     by_value
    .group_segment_fixed_size: 0
    .kernarg_segment_align: 8
    .kernarg_segment_size: 152
    .language:       OpenCL C
    .language_version:
      - 2
      - 0
    .max_flat_workgroup_size: 128
    .name:           _ZN7rocprim17ROCPRIM_400000_NS6detail17trampoline_kernelINS0_14default_configENS1_25partition_config_selectorILNS1_17partition_subalgoE1EtNS0_10empty_typeEbEEZZNS1_14partition_implILS5_1ELb0ES3_jN6thrust23THRUST_200600_302600_NS6detail15normal_iteratorINSA_10device_ptrItEEEEPS6_NSA_18transform_iteratorI7is_evenItESF_NSA_11use_defaultESK_EENS0_5tupleIJSF_NSA_16discard_iteratorISK_EEEEENSM_IJSG_SG_EEES6_PlJS6_EEE10hipError_tPvRmT3_T4_T5_T6_T7_T9_mT8_P12ihipStream_tbDpT10_ENKUlT_T0_E_clISt17integral_constantIbLb0EES1A_IbLb1EEEEDaS16_S17_EUlS16_E_NS1_11comp_targetILNS1_3genE9ELNS1_11target_archE1100ELNS1_3gpuE3ELNS1_3repE0EEENS1_30default_config_static_selectorELNS0_4arch9wavefront6targetE1EEEvT1_
    .private_segment_fixed_size: 0
    .sgpr_count:     4
    .sgpr_spill_count: 0
    .symbol:         _ZN7rocprim17ROCPRIM_400000_NS6detail17trampoline_kernelINS0_14default_configENS1_25partition_config_selectorILNS1_17partition_subalgoE1EtNS0_10empty_typeEbEEZZNS1_14partition_implILS5_1ELb0ES3_jN6thrust23THRUST_200600_302600_NS6detail15normal_iteratorINSA_10device_ptrItEEEEPS6_NSA_18transform_iteratorI7is_evenItESF_NSA_11use_defaultESK_EENS0_5tupleIJSF_NSA_16discard_iteratorISK_EEEEENSM_IJSG_SG_EEES6_PlJS6_EEE10hipError_tPvRmT3_T4_T5_T6_T7_T9_mT8_P12ihipStream_tbDpT10_ENKUlT_T0_E_clISt17integral_constantIbLb0EES1A_IbLb1EEEEDaS16_S17_EUlS16_E_NS1_11comp_targetILNS1_3genE9ELNS1_11target_archE1100ELNS1_3gpuE3ELNS1_3repE0EEENS1_30default_config_static_selectorELNS0_4arch9wavefront6targetE1EEEvT1_.kd
    .uniform_work_group_size: 1
    .uses_dynamic_stack: false
    .vgpr_count:     0
    .vgpr_spill_count: 0
    .wavefront_size: 64
  - .agpr_count:     0
    .args:
      - .offset:         0
        .size:           152
        .value_kind:     by_value
    .group_segment_fixed_size: 0
    .kernarg_segment_align: 8
    .kernarg_segment_size: 152
    .language:       OpenCL C
    .language_version:
      - 2
      - 0
    .max_flat_workgroup_size: 512
    .name:           _ZN7rocprim17ROCPRIM_400000_NS6detail17trampoline_kernelINS0_14default_configENS1_25partition_config_selectorILNS1_17partition_subalgoE1EtNS0_10empty_typeEbEEZZNS1_14partition_implILS5_1ELb0ES3_jN6thrust23THRUST_200600_302600_NS6detail15normal_iteratorINSA_10device_ptrItEEEEPS6_NSA_18transform_iteratorI7is_evenItESF_NSA_11use_defaultESK_EENS0_5tupleIJSF_NSA_16discard_iteratorISK_EEEEENSM_IJSG_SG_EEES6_PlJS6_EEE10hipError_tPvRmT3_T4_T5_T6_T7_T9_mT8_P12ihipStream_tbDpT10_ENKUlT_T0_E_clISt17integral_constantIbLb0EES1A_IbLb1EEEEDaS16_S17_EUlS16_E_NS1_11comp_targetILNS1_3genE8ELNS1_11target_archE1030ELNS1_3gpuE2ELNS1_3repE0EEENS1_30default_config_static_selectorELNS0_4arch9wavefront6targetE1EEEvT1_
    .private_segment_fixed_size: 0
    .sgpr_count:     4
    .sgpr_spill_count: 0
    .symbol:         _ZN7rocprim17ROCPRIM_400000_NS6detail17trampoline_kernelINS0_14default_configENS1_25partition_config_selectorILNS1_17partition_subalgoE1EtNS0_10empty_typeEbEEZZNS1_14partition_implILS5_1ELb0ES3_jN6thrust23THRUST_200600_302600_NS6detail15normal_iteratorINSA_10device_ptrItEEEEPS6_NSA_18transform_iteratorI7is_evenItESF_NSA_11use_defaultESK_EENS0_5tupleIJSF_NSA_16discard_iteratorISK_EEEEENSM_IJSG_SG_EEES6_PlJS6_EEE10hipError_tPvRmT3_T4_T5_T6_T7_T9_mT8_P12ihipStream_tbDpT10_ENKUlT_T0_E_clISt17integral_constantIbLb0EES1A_IbLb1EEEEDaS16_S17_EUlS16_E_NS1_11comp_targetILNS1_3genE8ELNS1_11target_archE1030ELNS1_3gpuE2ELNS1_3repE0EEENS1_30default_config_static_selectorELNS0_4arch9wavefront6targetE1EEEvT1_.kd
    .uniform_work_group_size: 1
    .uses_dynamic_stack: false
    .vgpr_count:     0
    .vgpr_spill_count: 0
    .wavefront_size: 64
  - .agpr_count:     0
    .args:
      - .offset:         0
        .size:           136
        .value_kind:     by_value
    .group_segment_fixed_size: 0
    .kernarg_segment_align: 8
    .kernarg_segment_size: 136
    .language:       OpenCL C
    .language_version:
      - 2
      - 0
    .max_flat_workgroup_size: 256
    .name:           _ZN7rocprim17ROCPRIM_400000_NS6detail17trampoline_kernelINS0_14default_configENS1_25partition_config_selectorILNS1_17partition_subalgoE1EtNS0_10empty_typeEbEEZZNS1_14partition_implILS5_1ELb0ES3_jN6thrust23THRUST_200600_302600_NS6detail15normal_iteratorINSA_10device_ptrItEEEEPS6_NSA_18transform_iteratorI7is_evenItESF_NSA_11use_defaultESK_EENS0_5tupleIJNSA_16discard_iteratorISK_EESF_EEENSM_IJSG_SG_EEES6_PlJS6_EEE10hipError_tPvRmT3_T4_T5_T6_T7_T9_mT8_P12ihipStream_tbDpT10_ENKUlT_T0_E_clISt17integral_constantIbLb0EES1B_EEDaS16_S17_EUlS16_E_NS1_11comp_targetILNS1_3genE0ELNS1_11target_archE4294967295ELNS1_3gpuE0ELNS1_3repE0EEENS1_30default_config_static_selectorELNS0_4arch9wavefront6targetE1EEEvT1_
    .private_segment_fixed_size: 0
    .sgpr_count:     4
    .sgpr_spill_count: 0
    .symbol:         _ZN7rocprim17ROCPRIM_400000_NS6detail17trampoline_kernelINS0_14default_configENS1_25partition_config_selectorILNS1_17partition_subalgoE1EtNS0_10empty_typeEbEEZZNS1_14partition_implILS5_1ELb0ES3_jN6thrust23THRUST_200600_302600_NS6detail15normal_iteratorINSA_10device_ptrItEEEEPS6_NSA_18transform_iteratorI7is_evenItESF_NSA_11use_defaultESK_EENS0_5tupleIJNSA_16discard_iteratorISK_EESF_EEENSM_IJSG_SG_EEES6_PlJS6_EEE10hipError_tPvRmT3_T4_T5_T6_T7_T9_mT8_P12ihipStream_tbDpT10_ENKUlT_T0_E_clISt17integral_constantIbLb0EES1B_EEDaS16_S17_EUlS16_E_NS1_11comp_targetILNS1_3genE0ELNS1_11target_archE4294967295ELNS1_3gpuE0ELNS1_3repE0EEENS1_30default_config_static_selectorELNS0_4arch9wavefront6targetE1EEEvT1_.kd
    .uniform_work_group_size: 1
    .uses_dynamic_stack: false
    .vgpr_count:     0
    .vgpr_spill_count: 0
    .wavefront_size: 64
  - .agpr_count:     0
    .args:
      - .offset:         0
        .size:           136
        .value_kind:     by_value
    .group_segment_fixed_size: 0
    .kernarg_segment_align: 8
    .kernarg_segment_size: 136
    .language:       OpenCL C
    .language_version:
      - 2
      - 0
    .max_flat_workgroup_size: 512
    .name:           _ZN7rocprim17ROCPRIM_400000_NS6detail17trampoline_kernelINS0_14default_configENS1_25partition_config_selectorILNS1_17partition_subalgoE1EtNS0_10empty_typeEbEEZZNS1_14partition_implILS5_1ELb0ES3_jN6thrust23THRUST_200600_302600_NS6detail15normal_iteratorINSA_10device_ptrItEEEEPS6_NSA_18transform_iteratorI7is_evenItESF_NSA_11use_defaultESK_EENS0_5tupleIJNSA_16discard_iteratorISK_EESF_EEENSM_IJSG_SG_EEES6_PlJS6_EEE10hipError_tPvRmT3_T4_T5_T6_T7_T9_mT8_P12ihipStream_tbDpT10_ENKUlT_T0_E_clISt17integral_constantIbLb0EES1B_EEDaS16_S17_EUlS16_E_NS1_11comp_targetILNS1_3genE5ELNS1_11target_archE942ELNS1_3gpuE9ELNS1_3repE0EEENS1_30default_config_static_selectorELNS0_4arch9wavefront6targetE1EEEvT1_
    .private_segment_fixed_size: 0
    .sgpr_count:     4
    .sgpr_spill_count: 0
    .symbol:         _ZN7rocprim17ROCPRIM_400000_NS6detail17trampoline_kernelINS0_14default_configENS1_25partition_config_selectorILNS1_17partition_subalgoE1EtNS0_10empty_typeEbEEZZNS1_14partition_implILS5_1ELb0ES3_jN6thrust23THRUST_200600_302600_NS6detail15normal_iteratorINSA_10device_ptrItEEEEPS6_NSA_18transform_iteratorI7is_evenItESF_NSA_11use_defaultESK_EENS0_5tupleIJNSA_16discard_iteratorISK_EESF_EEENSM_IJSG_SG_EEES6_PlJS6_EEE10hipError_tPvRmT3_T4_T5_T6_T7_T9_mT8_P12ihipStream_tbDpT10_ENKUlT_T0_E_clISt17integral_constantIbLb0EES1B_EEDaS16_S17_EUlS16_E_NS1_11comp_targetILNS1_3genE5ELNS1_11target_archE942ELNS1_3gpuE9ELNS1_3repE0EEENS1_30default_config_static_selectorELNS0_4arch9wavefront6targetE1EEEvT1_.kd
    .uniform_work_group_size: 1
    .uses_dynamic_stack: false
    .vgpr_count:     0
    .vgpr_spill_count: 0
    .wavefront_size: 64
  - .agpr_count:     0
    .args:
      - .offset:         0
        .size:           136
        .value_kind:     by_value
    .group_segment_fixed_size: 10248
    .kernarg_segment_align: 8
    .kernarg_segment_size: 136
    .language:       OpenCL C
    .language_version:
      - 2
      - 0
    .max_flat_workgroup_size: 256
    .name:           _ZN7rocprim17ROCPRIM_400000_NS6detail17trampoline_kernelINS0_14default_configENS1_25partition_config_selectorILNS1_17partition_subalgoE1EtNS0_10empty_typeEbEEZZNS1_14partition_implILS5_1ELb0ES3_jN6thrust23THRUST_200600_302600_NS6detail15normal_iteratorINSA_10device_ptrItEEEEPS6_NSA_18transform_iteratorI7is_evenItESF_NSA_11use_defaultESK_EENS0_5tupleIJNSA_16discard_iteratorISK_EESF_EEENSM_IJSG_SG_EEES6_PlJS6_EEE10hipError_tPvRmT3_T4_T5_T6_T7_T9_mT8_P12ihipStream_tbDpT10_ENKUlT_T0_E_clISt17integral_constantIbLb0EES1B_EEDaS16_S17_EUlS16_E_NS1_11comp_targetILNS1_3genE4ELNS1_11target_archE910ELNS1_3gpuE8ELNS1_3repE0EEENS1_30default_config_static_selectorELNS0_4arch9wavefront6targetE1EEEvT1_
    .private_segment_fixed_size: 0
    .sgpr_count:     48
    .sgpr_spill_count: 0
    .symbol:         _ZN7rocprim17ROCPRIM_400000_NS6detail17trampoline_kernelINS0_14default_configENS1_25partition_config_selectorILNS1_17partition_subalgoE1EtNS0_10empty_typeEbEEZZNS1_14partition_implILS5_1ELb0ES3_jN6thrust23THRUST_200600_302600_NS6detail15normal_iteratorINSA_10device_ptrItEEEEPS6_NSA_18transform_iteratorI7is_evenItESF_NSA_11use_defaultESK_EENS0_5tupleIJNSA_16discard_iteratorISK_EESF_EEENSM_IJSG_SG_EEES6_PlJS6_EEE10hipError_tPvRmT3_T4_T5_T6_T7_T9_mT8_P12ihipStream_tbDpT10_ENKUlT_T0_E_clISt17integral_constantIbLb0EES1B_EEDaS16_S17_EUlS16_E_NS1_11comp_targetILNS1_3genE4ELNS1_11target_archE910ELNS1_3gpuE8ELNS1_3repE0EEENS1_30default_config_static_selectorELNS0_4arch9wavefront6targetE1EEEvT1_.kd
    .uniform_work_group_size: 1
    .uses_dynamic_stack: false
    .vgpr_count:     65
    .vgpr_spill_count: 0
    .wavefront_size: 64
  - .agpr_count:     0
    .args:
      - .offset:         0
        .size:           136
        .value_kind:     by_value
    .group_segment_fixed_size: 0
    .kernarg_segment_align: 8
    .kernarg_segment_size: 136
    .language:       OpenCL C
    .language_version:
      - 2
      - 0
    .max_flat_workgroup_size: 256
    .name:           _ZN7rocprim17ROCPRIM_400000_NS6detail17trampoline_kernelINS0_14default_configENS1_25partition_config_selectorILNS1_17partition_subalgoE1EtNS0_10empty_typeEbEEZZNS1_14partition_implILS5_1ELb0ES3_jN6thrust23THRUST_200600_302600_NS6detail15normal_iteratorINSA_10device_ptrItEEEEPS6_NSA_18transform_iteratorI7is_evenItESF_NSA_11use_defaultESK_EENS0_5tupleIJNSA_16discard_iteratorISK_EESF_EEENSM_IJSG_SG_EEES6_PlJS6_EEE10hipError_tPvRmT3_T4_T5_T6_T7_T9_mT8_P12ihipStream_tbDpT10_ENKUlT_T0_E_clISt17integral_constantIbLb0EES1B_EEDaS16_S17_EUlS16_E_NS1_11comp_targetILNS1_3genE3ELNS1_11target_archE908ELNS1_3gpuE7ELNS1_3repE0EEENS1_30default_config_static_selectorELNS0_4arch9wavefront6targetE1EEEvT1_
    .private_segment_fixed_size: 0
    .sgpr_count:     4
    .sgpr_spill_count: 0
    .symbol:         _ZN7rocprim17ROCPRIM_400000_NS6detail17trampoline_kernelINS0_14default_configENS1_25partition_config_selectorILNS1_17partition_subalgoE1EtNS0_10empty_typeEbEEZZNS1_14partition_implILS5_1ELb0ES3_jN6thrust23THRUST_200600_302600_NS6detail15normal_iteratorINSA_10device_ptrItEEEEPS6_NSA_18transform_iteratorI7is_evenItESF_NSA_11use_defaultESK_EENS0_5tupleIJNSA_16discard_iteratorISK_EESF_EEENSM_IJSG_SG_EEES6_PlJS6_EEE10hipError_tPvRmT3_T4_T5_T6_T7_T9_mT8_P12ihipStream_tbDpT10_ENKUlT_T0_E_clISt17integral_constantIbLb0EES1B_EEDaS16_S17_EUlS16_E_NS1_11comp_targetILNS1_3genE3ELNS1_11target_archE908ELNS1_3gpuE7ELNS1_3repE0EEENS1_30default_config_static_selectorELNS0_4arch9wavefront6targetE1EEEvT1_.kd
    .uniform_work_group_size: 1
    .uses_dynamic_stack: false
    .vgpr_count:     0
    .vgpr_spill_count: 0
    .wavefront_size: 64
  - .agpr_count:     0
    .args:
      - .offset:         0
        .size:           136
        .value_kind:     by_value
    .group_segment_fixed_size: 0
    .kernarg_segment_align: 8
    .kernarg_segment_size: 136
    .language:       OpenCL C
    .language_version:
      - 2
      - 0
    .max_flat_workgroup_size: 256
    .name:           _ZN7rocprim17ROCPRIM_400000_NS6detail17trampoline_kernelINS0_14default_configENS1_25partition_config_selectorILNS1_17partition_subalgoE1EtNS0_10empty_typeEbEEZZNS1_14partition_implILS5_1ELb0ES3_jN6thrust23THRUST_200600_302600_NS6detail15normal_iteratorINSA_10device_ptrItEEEEPS6_NSA_18transform_iteratorI7is_evenItESF_NSA_11use_defaultESK_EENS0_5tupleIJNSA_16discard_iteratorISK_EESF_EEENSM_IJSG_SG_EEES6_PlJS6_EEE10hipError_tPvRmT3_T4_T5_T6_T7_T9_mT8_P12ihipStream_tbDpT10_ENKUlT_T0_E_clISt17integral_constantIbLb0EES1B_EEDaS16_S17_EUlS16_E_NS1_11comp_targetILNS1_3genE2ELNS1_11target_archE906ELNS1_3gpuE6ELNS1_3repE0EEENS1_30default_config_static_selectorELNS0_4arch9wavefront6targetE1EEEvT1_
    .private_segment_fixed_size: 0
    .sgpr_count:     4
    .sgpr_spill_count: 0
    .symbol:         _ZN7rocprim17ROCPRIM_400000_NS6detail17trampoline_kernelINS0_14default_configENS1_25partition_config_selectorILNS1_17partition_subalgoE1EtNS0_10empty_typeEbEEZZNS1_14partition_implILS5_1ELb0ES3_jN6thrust23THRUST_200600_302600_NS6detail15normal_iteratorINSA_10device_ptrItEEEEPS6_NSA_18transform_iteratorI7is_evenItESF_NSA_11use_defaultESK_EENS0_5tupleIJNSA_16discard_iteratorISK_EESF_EEENSM_IJSG_SG_EEES6_PlJS6_EEE10hipError_tPvRmT3_T4_T5_T6_T7_T9_mT8_P12ihipStream_tbDpT10_ENKUlT_T0_E_clISt17integral_constantIbLb0EES1B_EEDaS16_S17_EUlS16_E_NS1_11comp_targetILNS1_3genE2ELNS1_11target_archE906ELNS1_3gpuE6ELNS1_3repE0EEENS1_30default_config_static_selectorELNS0_4arch9wavefront6targetE1EEEvT1_.kd
    .uniform_work_group_size: 1
    .uses_dynamic_stack: false
    .vgpr_count:     0
    .vgpr_spill_count: 0
    .wavefront_size: 64
  - .agpr_count:     0
    .args:
      - .offset:         0
        .size:           136
        .value_kind:     by_value
    .group_segment_fixed_size: 0
    .kernarg_segment_align: 8
    .kernarg_segment_size: 136
    .language:       OpenCL C
    .language_version:
      - 2
      - 0
    .max_flat_workgroup_size: 384
    .name:           _ZN7rocprim17ROCPRIM_400000_NS6detail17trampoline_kernelINS0_14default_configENS1_25partition_config_selectorILNS1_17partition_subalgoE1EtNS0_10empty_typeEbEEZZNS1_14partition_implILS5_1ELb0ES3_jN6thrust23THRUST_200600_302600_NS6detail15normal_iteratorINSA_10device_ptrItEEEEPS6_NSA_18transform_iteratorI7is_evenItESF_NSA_11use_defaultESK_EENS0_5tupleIJNSA_16discard_iteratorISK_EESF_EEENSM_IJSG_SG_EEES6_PlJS6_EEE10hipError_tPvRmT3_T4_T5_T6_T7_T9_mT8_P12ihipStream_tbDpT10_ENKUlT_T0_E_clISt17integral_constantIbLb0EES1B_EEDaS16_S17_EUlS16_E_NS1_11comp_targetILNS1_3genE10ELNS1_11target_archE1200ELNS1_3gpuE4ELNS1_3repE0EEENS1_30default_config_static_selectorELNS0_4arch9wavefront6targetE1EEEvT1_
    .private_segment_fixed_size: 0
    .sgpr_count:     4
    .sgpr_spill_count: 0
    .symbol:         _ZN7rocprim17ROCPRIM_400000_NS6detail17trampoline_kernelINS0_14default_configENS1_25partition_config_selectorILNS1_17partition_subalgoE1EtNS0_10empty_typeEbEEZZNS1_14partition_implILS5_1ELb0ES3_jN6thrust23THRUST_200600_302600_NS6detail15normal_iteratorINSA_10device_ptrItEEEEPS6_NSA_18transform_iteratorI7is_evenItESF_NSA_11use_defaultESK_EENS0_5tupleIJNSA_16discard_iteratorISK_EESF_EEENSM_IJSG_SG_EEES6_PlJS6_EEE10hipError_tPvRmT3_T4_T5_T6_T7_T9_mT8_P12ihipStream_tbDpT10_ENKUlT_T0_E_clISt17integral_constantIbLb0EES1B_EEDaS16_S17_EUlS16_E_NS1_11comp_targetILNS1_3genE10ELNS1_11target_archE1200ELNS1_3gpuE4ELNS1_3repE0EEENS1_30default_config_static_selectorELNS0_4arch9wavefront6targetE1EEEvT1_.kd
    .uniform_work_group_size: 1
    .uses_dynamic_stack: false
    .vgpr_count:     0
    .vgpr_spill_count: 0
    .wavefront_size: 64
  - .agpr_count:     0
    .args:
      - .offset:         0
        .size:           136
        .value_kind:     by_value
    .group_segment_fixed_size: 0
    .kernarg_segment_align: 8
    .kernarg_segment_size: 136
    .language:       OpenCL C
    .language_version:
      - 2
      - 0
    .max_flat_workgroup_size: 128
    .name:           _ZN7rocprim17ROCPRIM_400000_NS6detail17trampoline_kernelINS0_14default_configENS1_25partition_config_selectorILNS1_17partition_subalgoE1EtNS0_10empty_typeEbEEZZNS1_14partition_implILS5_1ELb0ES3_jN6thrust23THRUST_200600_302600_NS6detail15normal_iteratorINSA_10device_ptrItEEEEPS6_NSA_18transform_iteratorI7is_evenItESF_NSA_11use_defaultESK_EENS0_5tupleIJNSA_16discard_iteratorISK_EESF_EEENSM_IJSG_SG_EEES6_PlJS6_EEE10hipError_tPvRmT3_T4_T5_T6_T7_T9_mT8_P12ihipStream_tbDpT10_ENKUlT_T0_E_clISt17integral_constantIbLb0EES1B_EEDaS16_S17_EUlS16_E_NS1_11comp_targetILNS1_3genE9ELNS1_11target_archE1100ELNS1_3gpuE3ELNS1_3repE0EEENS1_30default_config_static_selectorELNS0_4arch9wavefront6targetE1EEEvT1_
    .private_segment_fixed_size: 0
    .sgpr_count:     4
    .sgpr_spill_count: 0
    .symbol:         _ZN7rocprim17ROCPRIM_400000_NS6detail17trampoline_kernelINS0_14default_configENS1_25partition_config_selectorILNS1_17partition_subalgoE1EtNS0_10empty_typeEbEEZZNS1_14partition_implILS5_1ELb0ES3_jN6thrust23THRUST_200600_302600_NS6detail15normal_iteratorINSA_10device_ptrItEEEEPS6_NSA_18transform_iteratorI7is_evenItESF_NSA_11use_defaultESK_EENS0_5tupleIJNSA_16discard_iteratorISK_EESF_EEENSM_IJSG_SG_EEES6_PlJS6_EEE10hipError_tPvRmT3_T4_T5_T6_T7_T9_mT8_P12ihipStream_tbDpT10_ENKUlT_T0_E_clISt17integral_constantIbLb0EES1B_EEDaS16_S17_EUlS16_E_NS1_11comp_targetILNS1_3genE9ELNS1_11target_archE1100ELNS1_3gpuE3ELNS1_3repE0EEENS1_30default_config_static_selectorELNS0_4arch9wavefront6targetE1EEEvT1_.kd
    .uniform_work_group_size: 1
    .uses_dynamic_stack: false
    .vgpr_count:     0
    .vgpr_spill_count: 0
    .wavefront_size: 64
  - .agpr_count:     0
    .args:
      - .offset:         0
        .size:           136
        .value_kind:     by_value
    .group_segment_fixed_size: 0
    .kernarg_segment_align: 8
    .kernarg_segment_size: 136
    .language:       OpenCL C
    .language_version:
      - 2
      - 0
    .max_flat_workgroup_size: 512
    .name:           _ZN7rocprim17ROCPRIM_400000_NS6detail17trampoline_kernelINS0_14default_configENS1_25partition_config_selectorILNS1_17partition_subalgoE1EtNS0_10empty_typeEbEEZZNS1_14partition_implILS5_1ELb0ES3_jN6thrust23THRUST_200600_302600_NS6detail15normal_iteratorINSA_10device_ptrItEEEEPS6_NSA_18transform_iteratorI7is_evenItESF_NSA_11use_defaultESK_EENS0_5tupleIJNSA_16discard_iteratorISK_EESF_EEENSM_IJSG_SG_EEES6_PlJS6_EEE10hipError_tPvRmT3_T4_T5_T6_T7_T9_mT8_P12ihipStream_tbDpT10_ENKUlT_T0_E_clISt17integral_constantIbLb0EES1B_EEDaS16_S17_EUlS16_E_NS1_11comp_targetILNS1_3genE8ELNS1_11target_archE1030ELNS1_3gpuE2ELNS1_3repE0EEENS1_30default_config_static_selectorELNS0_4arch9wavefront6targetE1EEEvT1_
    .private_segment_fixed_size: 0
    .sgpr_count:     4
    .sgpr_spill_count: 0
    .symbol:         _ZN7rocprim17ROCPRIM_400000_NS6detail17trampoline_kernelINS0_14default_configENS1_25partition_config_selectorILNS1_17partition_subalgoE1EtNS0_10empty_typeEbEEZZNS1_14partition_implILS5_1ELb0ES3_jN6thrust23THRUST_200600_302600_NS6detail15normal_iteratorINSA_10device_ptrItEEEEPS6_NSA_18transform_iteratorI7is_evenItESF_NSA_11use_defaultESK_EENS0_5tupleIJNSA_16discard_iteratorISK_EESF_EEENSM_IJSG_SG_EEES6_PlJS6_EEE10hipError_tPvRmT3_T4_T5_T6_T7_T9_mT8_P12ihipStream_tbDpT10_ENKUlT_T0_E_clISt17integral_constantIbLb0EES1B_EEDaS16_S17_EUlS16_E_NS1_11comp_targetILNS1_3genE8ELNS1_11target_archE1030ELNS1_3gpuE2ELNS1_3repE0EEENS1_30default_config_static_selectorELNS0_4arch9wavefront6targetE1EEEvT1_.kd
    .uniform_work_group_size: 1
    .uses_dynamic_stack: false
    .vgpr_count:     0
    .vgpr_spill_count: 0
    .wavefront_size: 64
  - .agpr_count:     0
    .args:
      - .offset:         0
        .size:           152
        .value_kind:     by_value
    .group_segment_fixed_size: 0
    .kernarg_segment_align: 8
    .kernarg_segment_size: 152
    .language:       OpenCL C
    .language_version:
      - 2
      - 0
    .max_flat_workgroup_size: 256
    .name:           _ZN7rocprim17ROCPRIM_400000_NS6detail17trampoline_kernelINS0_14default_configENS1_25partition_config_selectorILNS1_17partition_subalgoE1EtNS0_10empty_typeEbEEZZNS1_14partition_implILS5_1ELb0ES3_jN6thrust23THRUST_200600_302600_NS6detail15normal_iteratorINSA_10device_ptrItEEEEPS6_NSA_18transform_iteratorI7is_evenItESF_NSA_11use_defaultESK_EENS0_5tupleIJNSA_16discard_iteratorISK_EESF_EEENSM_IJSG_SG_EEES6_PlJS6_EEE10hipError_tPvRmT3_T4_T5_T6_T7_T9_mT8_P12ihipStream_tbDpT10_ENKUlT_T0_E_clISt17integral_constantIbLb1EES1B_EEDaS16_S17_EUlS16_E_NS1_11comp_targetILNS1_3genE0ELNS1_11target_archE4294967295ELNS1_3gpuE0ELNS1_3repE0EEENS1_30default_config_static_selectorELNS0_4arch9wavefront6targetE1EEEvT1_
    .private_segment_fixed_size: 0
    .sgpr_count:     4
    .sgpr_spill_count: 0
    .symbol:         _ZN7rocprim17ROCPRIM_400000_NS6detail17trampoline_kernelINS0_14default_configENS1_25partition_config_selectorILNS1_17partition_subalgoE1EtNS0_10empty_typeEbEEZZNS1_14partition_implILS5_1ELb0ES3_jN6thrust23THRUST_200600_302600_NS6detail15normal_iteratorINSA_10device_ptrItEEEEPS6_NSA_18transform_iteratorI7is_evenItESF_NSA_11use_defaultESK_EENS0_5tupleIJNSA_16discard_iteratorISK_EESF_EEENSM_IJSG_SG_EEES6_PlJS6_EEE10hipError_tPvRmT3_T4_T5_T6_T7_T9_mT8_P12ihipStream_tbDpT10_ENKUlT_T0_E_clISt17integral_constantIbLb1EES1B_EEDaS16_S17_EUlS16_E_NS1_11comp_targetILNS1_3genE0ELNS1_11target_archE4294967295ELNS1_3gpuE0ELNS1_3repE0EEENS1_30default_config_static_selectorELNS0_4arch9wavefront6targetE1EEEvT1_.kd
    .uniform_work_group_size: 1
    .uses_dynamic_stack: false
    .vgpr_count:     0
    .vgpr_spill_count: 0
    .wavefront_size: 64
  - .agpr_count:     0
    .args:
      - .offset:         0
        .size:           152
        .value_kind:     by_value
    .group_segment_fixed_size: 0
    .kernarg_segment_align: 8
    .kernarg_segment_size: 152
    .language:       OpenCL C
    .language_version:
      - 2
      - 0
    .max_flat_workgroup_size: 512
    .name:           _ZN7rocprim17ROCPRIM_400000_NS6detail17trampoline_kernelINS0_14default_configENS1_25partition_config_selectorILNS1_17partition_subalgoE1EtNS0_10empty_typeEbEEZZNS1_14partition_implILS5_1ELb0ES3_jN6thrust23THRUST_200600_302600_NS6detail15normal_iteratorINSA_10device_ptrItEEEEPS6_NSA_18transform_iteratorI7is_evenItESF_NSA_11use_defaultESK_EENS0_5tupleIJNSA_16discard_iteratorISK_EESF_EEENSM_IJSG_SG_EEES6_PlJS6_EEE10hipError_tPvRmT3_T4_T5_T6_T7_T9_mT8_P12ihipStream_tbDpT10_ENKUlT_T0_E_clISt17integral_constantIbLb1EES1B_EEDaS16_S17_EUlS16_E_NS1_11comp_targetILNS1_3genE5ELNS1_11target_archE942ELNS1_3gpuE9ELNS1_3repE0EEENS1_30default_config_static_selectorELNS0_4arch9wavefront6targetE1EEEvT1_
    .private_segment_fixed_size: 0
    .sgpr_count:     4
    .sgpr_spill_count: 0
    .symbol:         _ZN7rocprim17ROCPRIM_400000_NS6detail17trampoline_kernelINS0_14default_configENS1_25partition_config_selectorILNS1_17partition_subalgoE1EtNS0_10empty_typeEbEEZZNS1_14partition_implILS5_1ELb0ES3_jN6thrust23THRUST_200600_302600_NS6detail15normal_iteratorINSA_10device_ptrItEEEEPS6_NSA_18transform_iteratorI7is_evenItESF_NSA_11use_defaultESK_EENS0_5tupleIJNSA_16discard_iteratorISK_EESF_EEENSM_IJSG_SG_EEES6_PlJS6_EEE10hipError_tPvRmT3_T4_T5_T6_T7_T9_mT8_P12ihipStream_tbDpT10_ENKUlT_T0_E_clISt17integral_constantIbLb1EES1B_EEDaS16_S17_EUlS16_E_NS1_11comp_targetILNS1_3genE5ELNS1_11target_archE942ELNS1_3gpuE9ELNS1_3repE0EEENS1_30default_config_static_selectorELNS0_4arch9wavefront6targetE1EEEvT1_.kd
    .uniform_work_group_size: 1
    .uses_dynamic_stack: false
    .vgpr_count:     0
    .vgpr_spill_count: 0
    .wavefront_size: 64
  - .agpr_count:     0
    .args:
      - .offset:         0
        .size:           152
        .value_kind:     by_value
    .group_segment_fixed_size: 10248
    .kernarg_segment_align: 8
    .kernarg_segment_size: 152
    .language:       OpenCL C
    .language_version:
      - 2
      - 0
    .max_flat_workgroup_size: 256
    .name:           _ZN7rocprim17ROCPRIM_400000_NS6detail17trampoline_kernelINS0_14default_configENS1_25partition_config_selectorILNS1_17partition_subalgoE1EtNS0_10empty_typeEbEEZZNS1_14partition_implILS5_1ELb0ES3_jN6thrust23THRUST_200600_302600_NS6detail15normal_iteratorINSA_10device_ptrItEEEEPS6_NSA_18transform_iteratorI7is_evenItESF_NSA_11use_defaultESK_EENS0_5tupleIJNSA_16discard_iteratorISK_EESF_EEENSM_IJSG_SG_EEES6_PlJS6_EEE10hipError_tPvRmT3_T4_T5_T6_T7_T9_mT8_P12ihipStream_tbDpT10_ENKUlT_T0_E_clISt17integral_constantIbLb1EES1B_EEDaS16_S17_EUlS16_E_NS1_11comp_targetILNS1_3genE4ELNS1_11target_archE910ELNS1_3gpuE8ELNS1_3repE0EEENS1_30default_config_static_selectorELNS0_4arch9wavefront6targetE1EEEvT1_
    .private_segment_fixed_size: 0
    .sgpr_count:     46
    .sgpr_spill_count: 0
    .symbol:         _ZN7rocprim17ROCPRIM_400000_NS6detail17trampoline_kernelINS0_14default_configENS1_25partition_config_selectorILNS1_17partition_subalgoE1EtNS0_10empty_typeEbEEZZNS1_14partition_implILS5_1ELb0ES3_jN6thrust23THRUST_200600_302600_NS6detail15normal_iteratorINSA_10device_ptrItEEEEPS6_NSA_18transform_iteratorI7is_evenItESF_NSA_11use_defaultESK_EENS0_5tupleIJNSA_16discard_iteratorISK_EESF_EEENSM_IJSG_SG_EEES6_PlJS6_EEE10hipError_tPvRmT3_T4_T5_T6_T7_T9_mT8_P12ihipStream_tbDpT10_ENKUlT_T0_E_clISt17integral_constantIbLb1EES1B_EEDaS16_S17_EUlS16_E_NS1_11comp_targetILNS1_3genE4ELNS1_11target_archE910ELNS1_3gpuE8ELNS1_3repE0EEENS1_30default_config_static_selectorELNS0_4arch9wavefront6targetE1EEEvT1_.kd
    .uniform_work_group_size: 1
    .uses_dynamic_stack: false
    .vgpr_count:     69
    .vgpr_spill_count: 0
    .wavefront_size: 64
  - .agpr_count:     0
    .args:
      - .offset:         0
        .size:           152
        .value_kind:     by_value
    .group_segment_fixed_size: 0
    .kernarg_segment_align: 8
    .kernarg_segment_size: 152
    .language:       OpenCL C
    .language_version:
      - 2
      - 0
    .max_flat_workgroup_size: 256
    .name:           _ZN7rocprim17ROCPRIM_400000_NS6detail17trampoline_kernelINS0_14default_configENS1_25partition_config_selectorILNS1_17partition_subalgoE1EtNS0_10empty_typeEbEEZZNS1_14partition_implILS5_1ELb0ES3_jN6thrust23THRUST_200600_302600_NS6detail15normal_iteratorINSA_10device_ptrItEEEEPS6_NSA_18transform_iteratorI7is_evenItESF_NSA_11use_defaultESK_EENS0_5tupleIJNSA_16discard_iteratorISK_EESF_EEENSM_IJSG_SG_EEES6_PlJS6_EEE10hipError_tPvRmT3_T4_T5_T6_T7_T9_mT8_P12ihipStream_tbDpT10_ENKUlT_T0_E_clISt17integral_constantIbLb1EES1B_EEDaS16_S17_EUlS16_E_NS1_11comp_targetILNS1_3genE3ELNS1_11target_archE908ELNS1_3gpuE7ELNS1_3repE0EEENS1_30default_config_static_selectorELNS0_4arch9wavefront6targetE1EEEvT1_
    .private_segment_fixed_size: 0
    .sgpr_count:     4
    .sgpr_spill_count: 0
    .symbol:         _ZN7rocprim17ROCPRIM_400000_NS6detail17trampoline_kernelINS0_14default_configENS1_25partition_config_selectorILNS1_17partition_subalgoE1EtNS0_10empty_typeEbEEZZNS1_14partition_implILS5_1ELb0ES3_jN6thrust23THRUST_200600_302600_NS6detail15normal_iteratorINSA_10device_ptrItEEEEPS6_NSA_18transform_iteratorI7is_evenItESF_NSA_11use_defaultESK_EENS0_5tupleIJNSA_16discard_iteratorISK_EESF_EEENSM_IJSG_SG_EEES6_PlJS6_EEE10hipError_tPvRmT3_T4_T5_T6_T7_T9_mT8_P12ihipStream_tbDpT10_ENKUlT_T0_E_clISt17integral_constantIbLb1EES1B_EEDaS16_S17_EUlS16_E_NS1_11comp_targetILNS1_3genE3ELNS1_11target_archE908ELNS1_3gpuE7ELNS1_3repE0EEENS1_30default_config_static_selectorELNS0_4arch9wavefront6targetE1EEEvT1_.kd
    .uniform_work_group_size: 1
    .uses_dynamic_stack: false
    .vgpr_count:     0
    .vgpr_spill_count: 0
    .wavefront_size: 64
  - .agpr_count:     0
    .args:
      - .offset:         0
        .size:           152
        .value_kind:     by_value
    .group_segment_fixed_size: 0
    .kernarg_segment_align: 8
    .kernarg_segment_size: 152
    .language:       OpenCL C
    .language_version:
      - 2
      - 0
    .max_flat_workgroup_size: 256
    .name:           _ZN7rocprim17ROCPRIM_400000_NS6detail17trampoline_kernelINS0_14default_configENS1_25partition_config_selectorILNS1_17partition_subalgoE1EtNS0_10empty_typeEbEEZZNS1_14partition_implILS5_1ELb0ES3_jN6thrust23THRUST_200600_302600_NS6detail15normal_iteratorINSA_10device_ptrItEEEEPS6_NSA_18transform_iteratorI7is_evenItESF_NSA_11use_defaultESK_EENS0_5tupleIJNSA_16discard_iteratorISK_EESF_EEENSM_IJSG_SG_EEES6_PlJS6_EEE10hipError_tPvRmT3_T4_T5_T6_T7_T9_mT8_P12ihipStream_tbDpT10_ENKUlT_T0_E_clISt17integral_constantIbLb1EES1B_EEDaS16_S17_EUlS16_E_NS1_11comp_targetILNS1_3genE2ELNS1_11target_archE906ELNS1_3gpuE6ELNS1_3repE0EEENS1_30default_config_static_selectorELNS0_4arch9wavefront6targetE1EEEvT1_
    .private_segment_fixed_size: 0
    .sgpr_count:     4
    .sgpr_spill_count: 0
    .symbol:         _ZN7rocprim17ROCPRIM_400000_NS6detail17trampoline_kernelINS0_14default_configENS1_25partition_config_selectorILNS1_17partition_subalgoE1EtNS0_10empty_typeEbEEZZNS1_14partition_implILS5_1ELb0ES3_jN6thrust23THRUST_200600_302600_NS6detail15normal_iteratorINSA_10device_ptrItEEEEPS6_NSA_18transform_iteratorI7is_evenItESF_NSA_11use_defaultESK_EENS0_5tupleIJNSA_16discard_iteratorISK_EESF_EEENSM_IJSG_SG_EEES6_PlJS6_EEE10hipError_tPvRmT3_T4_T5_T6_T7_T9_mT8_P12ihipStream_tbDpT10_ENKUlT_T0_E_clISt17integral_constantIbLb1EES1B_EEDaS16_S17_EUlS16_E_NS1_11comp_targetILNS1_3genE2ELNS1_11target_archE906ELNS1_3gpuE6ELNS1_3repE0EEENS1_30default_config_static_selectorELNS0_4arch9wavefront6targetE1EEEvT1_.kd
    .uniform_work_group_size: 1
    .uses_dynamic_stack: false
    .vgpr_count:     0
    .vgpr_spill_count: 0
    .wavefront_size: 64
  - .agpr_count:     0
    .args:
      - .offset:         0
        .size:           152
        .value_kind:     by_value
    .group_segment_fixed_size: 0
    .kernarg_segment_align: 8
    .kernarg_segment_size: 152
    .language:       OpenCL C
    .language_version:
      - 2
      - 0
    .max_flat_workgroup_size: 384
    .name:           _ZN7rocprim17ROCPRIM_400000_NS6detail17trampoline_kernelINS0_14default_configENS1_25partition_config_selectorILNS1_17partition_subalgoE1EtNS0_10empty_typeEbEEZZNS1_14partition_implILS5_1ELb0ES3_jN6thrust23THRUST_200600_302600_NS6detail15normal_iteratorINSA_10device_ptrItEEEEPS6_NSA_18transform_iteratorI7is_evenItESF_NSA_11use_defaultESK_EENS0_5tupleIJNSA_16discard_iteratorISK_EESF_EEENSM_IJSG_SG_EEES6_PlJS6_EEE10hipError_tPvRmT3_T4_T5_T6_T7_T9_mT8_P12ihipStream_tbDpT10_ENKUlT_T0_E_clISt17integral_constantIbLb1EES1B_EEDaS16_S17_EUlS16_E_NS1_11comp_targetILNS1_3genE10ELNS1_11target_archE1200ELNS1_3gpuE4ELNS1_3repE0EEENS1_30default_config_static_selectorELNS0_4arch9wavefront6targetE1EEEvT1_
    .private_segment_fixed_size: 0
    .sgpr_count:     4
    .sgpr_spill_count: 0
    .symbol:         _ZN7rocprim17ROCPRIM_400000_NS6detail17trampoline_kernelINS0_14default_configENS1_25partition_config_selectorILNS1_17partition_subalgoE1EtNS0_10empty_typeEbEEZZNS1_14partition_implILS5_1ELb0ES3_jN6thrust23THRUST_200600_302600_NS6detail15normal_iteratorINSA_10device_ptrItEEEEPS6_NSA_18transform_iteratorI7is_evenItESF_NSA_11use_defaultESK_EENS0_5tupleIJNSA_16discard_iteratorISK_EESF_EEENSM_IJSG_SG_EEES6_PlJS6_EEE10hipError_tPvRmT3_T4_T5_T6_T7_T9_mT8_P12ihipStream_tbDpT10_ENKUlT_T0_E_clISt17integral_constantIbLb1EES1B_EEDaS16_S17_EUlS16_E_NS1_11comp_targetILNS1_3genE10ELNS1_11target_archE1200ELNS1_3gpuE4ELNS1_3repE0EEENS1_30default_config_static_selectorELNS0_4arch9wavefront6targetE1EEEvT1_.kd
    .uniform_work_group_size: 1
    .uses_dynamic_stack: false
    .vgpr_count:     0
    .vgpr_spill_count: 0
    .wavefront_size: 64
  - .agpr_count:     0
    .args:
      - .offset:         0
        .size:           152
        .value_kind:     by_value
    .group_segment_fixed_size: 0
    .kernarg_segment_align: 8
    .kernarg_segment_size: 152
    .language:       OpenCL C
    .language_version:
      - 2
      - 0
    .max_flat_workgroup_size: 128
    .name:           _ZN7rocprim17ROCPRIM_400000_NS6detail17trampoline_kernelINS0_14default_configENS1_25partition_config_selectorILNS1_17partition_subalgoE1EtNS0_10empty_typeEbEEZZNS1_14partition_implILS5_1ELb0ES3_jN6thrust23THRUST_200600_302600_NS6detail15normal_iteratorINSA_10device_ptrItEEEEPS6_NSA_18transform_iteratorI7is_evenItESF_NSA_11use_defaultESK_EENS0_5tupleIJNSA_16discard_iteratorISK_EESF_EEENSM_IJSG_SG_EEES6_PlJS6_EEE10hipError_tPvRmT3_T4_T5_T6_T7_T9_mT8_P12ihipStream_tbDpT10_ENKUlT_T0_E_clISt17integral_constantIbLb1EES1B_EEDaS16_S17_EUlS16_E_NS1_11comp_targetILNS1_3genE9ELNS1_11target_archE1100ELNS1_3gpuE3ELNS1_3repE0EEENS1_30default_config_static_selectorELNS0_4arch9wavefront6targetE1EEEvT1_
    .private_segment_fixed_size: 0
    .sgpr_count:     4
    .sgpr_spill_count: 0
    .symbol:         _ZN7rocprim17ROCPRIM_400000_NS6detail17trampoline_kernelINS0_14default_configENS1_25partition_config_selectorILNS1_17partition_subalgoE1EtNS0_10empty_typeEbEEZZNS1_14partition_implILS5_1ELb0ES3_jN6thrust23THRUST_200600_302600_NS6detail15normal_iteratorINSA_10device_ptrItEEEEPS6_NSA_18transform_iteratorI7is_evenItESF_NSA_11use_defaultESK_EENS0_5tupleIJNSA_16discard_iteratorISK_EESF_EEENSM_IJSG_SG_EEES6_PlJS6_EEE10hipError_tPvRmT3_T4_T5_T6_T7_T9_mT8_P12ihipStream_tbDpT10_ENKUlT_T0_E_clISt17integral_constantIbLb1EES1B_EEDaS16_S17_EUlS16_E_NS1_11comp_targetILNS1_3genE9ELNS1_11target_archE1100ELNS1_3gpuE3ELNS1_3repE0EEENS1_30default_config_static_selectorELNS0_4arch9wavefront6targetE1EEEvT1_.kd
    .uniform_work_group_size: 1
    .uses_dynamic_stack: false
    .vgpr_count:     0
    .vgpr_spill_count: 0
    .wavefront_size: 64
  - .agpr_count:     0
    .args:
      - .offset:         0
        .size:           152
        .value_kind:     by_value
    .group_segment_fixed_size: 0
    .kernarg_segment_align: 8
    .kernarg_segment_size: 152
    .language:       OpenCL C
    .language_version:
      - 2
      - 0
    .max_flat_workgroup_size: 512
    .name:           _ZN7rocprim17ROCPRIM_400000_NS6detail17trampoline_kernelINS0_14default_configENS1_25partition_config_selectorILNS1_17partition_subalgoE1EtNS0_10empty_typeEbEEZZNS1_14partition_implILS5_1ELb0ES3_jN6thrust23THRUST_200600_302600_NS6detail15normal_iteratorINSA_10device_ptrItEEEEPS6_NSA_18transform_iteratorI7is_evenItESF_NSA_11use_defaultESK_EENS0_5tupleIJNSA_16discard_iteratorISK_EESF_EEENSM_IJSG_SG_EEES6_PlJS6_EEE10hipError_tPvRmT3_T4_T5_T6_T7_T9_mT8_P12ihipStream_tbDpT10_ENKUlT_T0_E_clISt17integral_constantIbLb1EES1B_EEDaS16_S17_EUlS16_E_NS1_11comp_targetILNS1_3genE8ELNS1_11target_archE1030ELNS1_3gpuE2ELNS1_3repE0EEENS1_30default_config_static_selectorELNS0_4arch9wavefront6targetE1EEEvT1_
    .private_segment_fixed_size: 0
    .sgpr_count:     4
    .sgpr_spill_count: 0
    .symbol:         _ZN7rocprim17ROCPRIM_400000_NS6detail17trampoline_kernelINS0_14default_configENS1_25partition_config_selectorILNS1_17partition_subalgoE1EtNS0_10empty_typeEbEEZZNS1_14partition_implILS5_1ELb0ES3_jN6thrust23THRUST_200600_302600_NS6detail15normal_iteratorINSA_10device_ptrItEEEEPS6_NSA_18transform_iteratorI7is_evenItESF_NSA_11use_defaultESK_EENS0_5tupleIJNSA_16discard_iteratorISK_EESF_EEENSM_IJSG_SG_EEES6_PlJS6_EEE10hipError_tPvRmT3_T4_T5_T6_T7_T9_mT8_P12ihipStream_tbDpT10_ENKUlT_T0_E_clISt17integral_constantIbLb1EES1B_EEDaS16_S17_EUlS16_E_NS1_11comp_targetILNS1_3genE8ELNS1_11target_archE1030ELNS1_3gpuE2ELNS1_3repE0EEENS1_30default_config_static_selectorELNS0_4arch9wavefront6targetE1EEEvT1_.kd
    .uniform_work_group_size: 1
    .uses_dynamic_stack: false
    .vgpr_count:     0
    .vgpr_spill_count: 0
    .wavefront_size: 64
  - .agpr_count:     0
    .args:
      - .offset:         0
        .size:           136
        .value_kind:     by_value
    .group_segment_fixed_size: 0
    .kernarg_segment_align: 8
    .kernarg_segment_size: 136
    .language:       OpenCL C
    .language_version:
      - 2
      - 0
    .max_flat_workgroup_size: 256
    .name:           _ZN7rocprim17ROCPRIM_400000_NS6detail17trampoline_kernelINS0_14default_configENS1_25partition_config_selectorILNS1_17partition_subalgoE1EtNS0_10empty_typeEbEEZZNS1_14partition_implILS5_1ELb0ES3_jN6thrust23THRUST_200600_302600_NS6detail15normal_iteratorINSA_10device_ptrItEEEEPS6_NSA_18transform_iteratorI7is_evenItESF_NSA_11use_defaultESK_EENS0_5tupleIJNSA_16discard_iteratorISK_EESF_EEENSM_IJSG_SG_EEES6_PlJS6_EEE10hipError_tPvRmT3_T4_T5_T6_T7_T9_mT8_P12ihipStream_tbDpT10_ENKUlT_T0_E_clISt17integral_constantIbLb1EES1A_IbLb0EEEEDaS16_S17_EUlS16_E_NS1_11comp_targetILNS1_3genE0ELNS1_11target_archE4294967295ELNS1_3gpuE0ELNS1_3repE0EEENS1_30default_config_static_selectorELNS0_4arch9wavefront6targetE1EEEvT1_
    .private_segment_fixed_size: 0
    .sgpr_count:     4
    .sgpr_spill_count: 0
    .symbol:         _ZN7rocprim17ROCPRIM_400000_NS6detail17trampoline_kernelINS0_14default_configENS1_25partition_config_selectorILNS1_17partition_subalgoE1EtNS0_10empty_typeEbEEZZNS1_14partition_implILS5_1ELb0ES3_jN6thrust23THRUST_200600_302600_NS6detail15normal_iteratorINSA_10device_ptrItEEEEPS6_NSA_18transform_iteratorI7is_evenItESF_NSA_11use_defaultESK_EENS0_5tupleIJNSA_16discard_iteratorISK_EESF_EEENSM_IJSG_SG_EEES6_PlJS6_EEE10hipError_tPvRmT3_T4_T5_T6_T7_T9_mT8_P12ihipStream_tbDpT10_ENKUlT_T0_E_clISt17integral_constantIbLb1EES1A_IbLb0EEEEDaS16_S17_EUlS16_E_NS1_11comp_targetILNS1_3genE0ELNS1_11target_archE4294967295ELNS1_3gpuE0ELNS1_3repE0EEENS1_30default_config_static_selectorELNS0_4arch9wavefront6targetE1EEEvT1_.kd
    .uniform_work_group_size: 1
    .uses_dynamic_stack: false
    .vgpr_count:     0
    .vgpr_spill_count: 0
    .wavefront_size: 64
  - .agpr_count:     0
    .args:
      - .offset:         0
        .size:           136
        .value_kind:     by_value
    .group_segment_fixed_size: 0
    .kernarg_segment_align: 8
    .kernarg_segment_size: 136
    .language:       OpenCL C
    .language_version:
      - 2
      - 0
    .max_flat_workgroup_size: 512
    .name:           _ZN7rocprim17ROCPRIM_400000_NS6detail17trampoline_kernelINS0_14default_configENS1_25partition_config_selectorILNS1_17partition_subalgoE1EtNS0_10empty_typeEbEEZZNS1_14partition_implILS5_1ELb0ES3_jN6thrust23THRUST_200600_302600_NS6detail15normal_iteratorINSA_10device_ptrItEEEEPS6_NSA_18transform_iteratorI7is_evenItESF_NSA_11use_defaultESK_EENS0_5tupleIJNSA_16discard_iteratorISK_EESF_EEENSM_IJSG_SG_EEES6_PlJS6_EEE10hipError_tPvRmT3_T4_T5_T6_T7_T9_mT8_P12ihipStream_tbDpT10_ENKUlT_T0_E_clISt17integral_constantIbLb1EES1A_IbLb0EEEEDaS16_S17_EUlS16_E_NS1_11comp_targetILNS1_3genE5ELNS1_11target_archE942ELNS1_3gpuE9ELNS1_3repE0EEENS1_30default_config_static_selectorELNS0_4arch9wavefront6targetE1EEEvT1_
    .private_segment_fixed_size: 0
    .sgpr_count:     4
    .sgpr_spill_count: 0
    .symbol:         _ZN7rocprim17ROCPRIM_400000_NS6detail17trampoline_kernelINS0_14default_configENS1_25partition_config_selectorILNS1_17partition_subalgoE1EtNS0_10empty_typeEbEEZZNS1_14partition_implILS5_1ELb0ES3_jN6thrust23THRUST_200600_302600_NS6detail15normal_iteratorINSA_10device_ptrItEEEEPS6_NSA_18transform_iteratorI7is_evenItESF_NSA_11use_defaultESK_EENS0_5tupleIJNSA_16discard_iteratorISK_EESF_EEENSM_IJSG_SG_EEES6_PlJS6_EEE10hipError_tPvRmT3_T4_T5_T6_T7_T9_mT8_P12ihipStream_tbDpT10_ENKUlT_T0_E_clISt17integral_constantIbLb1EES1A_IbLb0EEEEDaS16_S17_EUlS16_E_NS1_11comp_targetILNS1_3genE5ELNS1_11target_archE942ELNS1_3gpuE9ELNS1_3repE0EEENS1_30default_config_static_selectorELNS0_4arch9wavefront6targetE1EEEvT1_.kd
    .uniform_work_group_size: 1
    .uses_dynamic_stack: false
    .vgpr_count:     0
    .vgpr_spill_count: 0
    .wavefront_size: 64
  - .agpr_count:     0
    .args:
      - .offset:         0
        .size:           136
        .value_kind:     by_value
    .group_segment_fixed_size: 10248
    .kernarg_segment_align: 8
    .kernarg_segment_size: 136
    .language:       OpenCL C
    .language_version:
      - 2
      - 0
    .max_flat_workgroup_size: 256
    .name:           _ZN7rocprim17ROCPRIM_400000_NS6detail17trampoline_kernelINS0_14default_configENS1_25partition_config_selectorILNS1_17partition_subalgoE1EtNS0_10empty_typeEbEEZZNS1_14partition_implILS5_1ELb0ES3_jN6thrust23THRUST_200600_302600_NS6detail15normal_iteratorINSA_10device_ptrItEEEEPS6_NSA_18transform_iteratorI7is_evenItESF_NSA_11use_defaultESK_EENS0_5tupleIJNSA_16discard_iteratorISK_EESF_EEENSM_IJSG_SG_EEES6_PlJS6_EEE10hipError_tPvRmT3_T4_T5_T6_T7_T9_mT8_P12ihipStream_tbDpT10_ENKUlT_T0_E_clISt17integral_constantIbLb1EES1A_IbLb0EEEEDaS16_S17_EUlS16_E_NS1_11comp_targetILNS1_3genE4ELNS1_11target_archE910ELNS1_3gpuE8ELNS1_3repE0EEENS1_30default_config_static_selectorELNS0_4arch9wavefront6targetE1EEEvT1_
    .private_segment_fixed_size: 0
    .sgpr_count:     48
    .sgpr_spill_count: 0
    .symbol:         _ZN7rocprim17ROCPRIM_400000_NS6detail17trampoline_kernelINS0_14default_configENS1_25partition_config_selectorILNS1_17partition_subalgoE1EtNS0_10empty_typeEbEEZZNS1_14partition_implILS5_1ELb0ES3_jN6thrust23THRUST_200600_302600_NS6detail15normal_iteratorINSA_10device_ptrItEEEEPS6_NSA_18transform_iteratorI7is_evenItESF_NSA_11use_defaultESK_EENS0_5tupleIJNSA_16discard_iteratorISK_EESF_EEENSM_IJSG_SG_EEES6_PlJS6_EEE10hipError_tPvRmT3_T4_T5_T6_T7_T9_mT8_P12ihipStream_tbDpT10_ENKUlT_T0_E_clISt17integral_constantIbLb1EES1A_IbLb0EEEEDaS16_S17_EUlS16_E_NS1_11comp_targetILNS1_3genE4ELNS1_11target_archE910ELNS1_3gpuE8ELNS1_3repE0EEENS1_30default_config_static_selectorELNS0_4arch9wavefront6targetE1EEEvT1_.kd
    .uniform_work_group_size: 1
    .uses_dynamic_stack: false
    .vgpr_count:     65
    .vgpr_spill_count: 0
    .wavefront_size: 64
  - .agpr_count:     0
    .args:
      - .offset:         0
        .size:           136
        .value_kind:     by_value
    .group_segment_fixed_size: 0
    .kernarg_segment_align: 8
    .kernarg_segment_size: 136
    .language:       OpenCL C
    .language_version:
      - 2
      - 0
    .max_flat_workgroup_size: 256
    .name:           _ZN7rocprim17ROCPRIM_400000_NS6detail17trampoline_kernelINS0_14default_configENS1_25partition_config_selectorILNS1_17partition_subalgoE1EtNS0_10empty_typeEbEEZZNS1_14partition_implILS5_1ELb0ES3_jN6thrust23THRUST_200600_302600_NS6detail15normal_iteratorINSA_10device_ptrItEEEEPS6_NSA_18transform_iteratorI7is_evenItESF_NSA_11use_defaultESK_EENS0_5tupleIJNSA_16discard_iteratorISK_EESF_EEENSM_IJSG_SG_EEES6_PlJS6_EEE10hipError_tPvRmT3_T4_T5_T6_T7_T9_mT8_P12ihipStream_tbDpT10_ENKUlT_T0_E_clISt17integral_constantIbLb1EES1A_IbLb0EEEEDaS16_S17_EUlS16_E_NS1_11comp_targetILNS1_3genE3ELNS1_11target_archE908ELNS1_3gpuE7ELNS1_3repE0EEENS1_30default_config_static_selectorELNS0_4arch9wavefront6targetE1EEEvT1_
    .private_segment_fixed_size: 0
    .sgpr_count:     4
    .sgpr_spill_count: 0
    .symbol:         _ZN7rocprim17ROCPRIM_400000_NS6detail17trampoline_kernelINS0_14default_configENS1_25partition_config_selectorILNS1_17partition_subalgoE1EtNS0_10empty_typeEbEEZZNS1_14partition_implILS5_1ELb0ES3_jN6thrust23THRUST_200600_302600_NS6detail15normal_iteratorINSA_10device_ptrItEEEEPS6_NSA_18transform_iteratorI7is_evenItESF_NSA_11use_defaultESK_EENS0_5tupleIJNSA_16discard_iteratorISK_EESF_EEENSM_IJSG_SG_EEES6_PlJS6_EEE10hipError_tPvRmT3_T4_T5_T6_T7_T9_mT8_P12ihipStream_tbDpT10_ENKUlT_T0_E_clISt17integral_constantIbLb1EES1A_IbLb0EEEEDaS16_S17_EUlS16_E_NS1_11comp_targetILNS1_3genE3ELNS1_11target_archE908ELNS1_3gpuE7ELNS1_3repE0EEENS1_30default_config_static_selectorELNS0_4arch9wavefront6targetE1EEEvT1_.kd
    .uniform_work_group_size: 1
    .uses_dynamic_stack: false
    .vgpr_count:     0
    .vgpr_spill_count: 0
    .wavefront_size: 64
  - .agpr_count:     0
    .args:
      - .offset:         0
        .size:           136
        .value_kind:     by_value
    .group_segment_fixed_size: 0
    .kernarg_segment_align: 8
    .kernarg_segment_size: 136
    .language:       OpenCL C
    .language_version:
      - 2
      - 0
    .max_flat_workgroup_size: 256
    .name:           _ZN7rocprim17ROCPRIM_400000_NS6detail17trampoline_kernelINS0_14default_configENS1_25partition_config_selectorILNS1_17partition_subalgoE1EtNS0_10empty_typeEbEEZZNS1_14partition_implILS5_1ELb0ES3_jN6thrust23THRUST_200600_302600_NS6detail15normal_iteratorINSA_10device_ptrItEEEEPS6_NSA_18transform_iteratorI7is_evenItESF_NSA_11use_defaultESK_EENS0_5tupleIJNSA_16discard_iteratorISK_EESF_EEENSM_IJSG_SG_EEES6_PlJS6_EEE10hipError_tPvRmT3_T4_T5_T6_T7_T9_mT8_P12ihipStream_tbDpT10_ENKUlT_T0_E_clISt17integral_constantIbLb1EES1A_IbLb0EEEEDaS16_S17_EUlS16_E_NS1_11comp_targetILNS1_3genE2ELNS1_11target_archE906ELNS1_3gpuE6ELNS1_3repE0EEENS1_30default_config_static_selectorELNS0_4arch9wavefront6targetE1EEEvT1_
    .private_segment_fixed_size: 0
    .sgpr_count:     4
    .sgpr_spill_count: 0
    .symbol:         _ZN7rocprim17ROCPRIM_400000_NS6detail17trampoline_kernelINS0_14default_configENS1_25partition_config_selectorILNS1_17partition_subalgoE1EtNS0_10empty_typeEbEEZZNS1_14partition_implILS5_1ELb0ES3_jN6thrust23THRUST_200600_302600_NS6detail15normal_iteratorINSA_10device_ptrItEEEEPS6_NSA_18transform_iteratorI7is_evenItESF_NSA_11use_defaultESK_EENS0_5tupleIJNSA_16discard_iteratorISK_EESF_EEENSM_IJSG_SG_EEES6_PlJS6_EEE10hipError_tPvRmT3_T4_T5_T6_T7_T9_mT8_P12ihipStream_tbDpT10_ENKUlT_T0_E_clISt17integral_constantIbLb1EES1A_IbLb0EEEEDaS16_S17_EUlS16_E_NS1_11comp_targetILNS1_3genE2ELNS1_11target_archE906ELNS1_3gpuE6ELNS1_3repE0EEENS1_30default_config_static_selectorELNS0_4arch9wavefront6targetE1EEEvT1_.kd
    .uniform_work_group_size: 1
    .uses_dynamic_stack: false
    .vgpr_count:     0
    .vgpr_spill_count: 0
    .wavefront_size: 64
  - .agpr_count:     0
    .args:
      - .offset:         0
        .size:           136
        .value_kind:     by_value
    .group_segment_fixed_size: 0
    .kernarg_segment_align: 8
    .kernarg_segment_size: 136
    .language:       OpenCL C
    .language_version:
      - 2
      - 0
    .max_flat_workgroup_size: 384
    .name:           _ZN7rocprim17ROCPRIM_400000_NS6detail17trampoline_kernelINS0_14default_configENS1_25partition_config_selectorILNS1_17partition_subalgoE1EtNS0_10empty_typeEbEEZZNS1_14partition_implILS5_1ELb0ES3_jN6thrust23THRUST_200600_302600_NS6detail15normal_iteratorINSA_10device_ptrItEEEEPS6_NSA_18transform_iteratorI7is_evenItESF_NSA_11use_defaultESK_EENS0_5tupleIJNSA_16discard_iteratorISK_EESF_EEENSM_IJSG_SG_EEES6_PlJS6_EEE10hipError_tPvRmT3_T4_T5_T6_T7_T9_mT8_P12ihipStream_tbDpT10_ENKUlT_T0_E_clISt17integral_constantIbLb1EES1A_IbLb0EEEEDaS16_S17_EUlS16_E_NS1_11comp_targetILNS1_3genE10ELNS1_11target_archE1200ELNS1_3gpuE4ELNS1_3repE0EEENS1_30default_config_static_selectorELNS0_4arch9wavefront6targetE1EEEvT1_
    .private_segment_fixed_size: 0
    .sgpr_count:     4
    .sgpr_spill_count: 0
    .symbol:         _ZN7rocprim17ROCPRIM_400000_NS6detail17trampoline_kernelINS0_14default_configENS1_25partition_config_selectorILNS1_17partition_subalgoE1EtNS0_10empty_typeEbEEZZNS1_14partition_implILS5_1ELb0ES3_jN6thrust23THRUST_200600_302600_NS6detail15normal_iteratorINSA_10device_ptrItEEEEPS6_NSA_18transform_iteratorI7is_evenItESF_NSA_11use_defaultESK_EENS0_5tupleIJNSA_16discard_iteratorISK_EESF_EEENSM_IJSG_SG_EEES6_PlJS6_EEE10hipError_tPvRmT3_T4_T5_T6_T7_T9_mT8_P12ihipStream_tbDpT10_ENKUlT_T0_E_clISt17integral_constantIbLb1EES1A_IbLb0EEEEDaS16_S17_EUlS16_E_NS1_11comp_targetILNS1_3genE10ELNS1_11target_archE1200ELNS1_3gpuE4ELNS1_3repE0EEENS1_30default_config_static_selectorELNS0_4arch9wavefront6targetE1EEEvT1_.kd
    .uniform_work_group_size: 1
    .uses_dynamic_stack: false
    .vgpr_count:     0
    .vgpr_spill_count: 0
    .wavefront_size: 64
  - .agpr_count:     0
    .args:
      - .offset:         0
        .size:           136
        .value_kind:     by_value
    .group_segment_fixed_size: 0
    .kernarg_segment_align: 8
    .kernarg_segment_size: 136
    .language:       OpenCL C
    .language_version:
      - 2
      - 0
    .max_flat_workgroup_size: 128
    .name:           _ZN7rocprim17ROCPRIM_400000_NS6detail17trampoline_kernelINS0_14default_configENS1_25partition_config_selectorILNS1_17partition_subalgoE1EtNS0_10empty_typeEbEEZZNS1_14partition_implILS5_1ELb0ES3_jN6thrust23THRUST_200600_302600_NS6detail15normal_iteratorINSA_10device_ptrItEEEEPS6_NSA_18transform_iteratorI7is_evenItESF_NSA_11use_defaultESK_EENS0_5tupleIJNSA_16discard_iteratorISK_EESF_EEENSM_IJSG_SG_EEES6_PlJS6_EEE10hipError_tPvRmT3_T4_T5_T6_T7_T9_mT8_P12ihipStream_tbDpT10_ENKUlT_T0_E_clISt17integral_constantIbLb1EES1A_IbLb0EEEEDaS16_S17_EUlS16_E_NS1_11comp_targetILNS1_3genE9ELNS1_11target_archE1100ELNS1_3gpuE3ELNS1_3repE0EEENS1_30default_config_static_selectorELNS0_4arch9wavefront6targetE1EEEvT1_
    .private_segment_fixed_size: 0
    .sgpr_count:     4
    .sgpr_spill_count: 0
    .symbol:         _ZN7rocprim17ROCPRIM_400000_NS6detail17trampoline_kernelINS0_14default_configENS1_25partition_config_selectorILNS1_17partition_subalgoE1EtNS0_10empty_typeEbEEZZNS1_14partition_implILS5_1ELb0ES3_jN6thrust23THRUST_200600_302600_NS6detail15normal_iteratorINSA_10device_ptrItEEEEPS6_NSA_18transform_iteratorI7is_evenItESF_NSA_11use_defaultESK_EENS0_5tupleIJNSA_16discard_iteratorISK_EESF_EEENSM_IJSG_SG_EEES6_PlJS6_EEE10hipError_tPvRmT3_T4_T5_T6_T7_T9_mT8_P12ihipStream_tbDpT10_ENKUlT_T0_E_clISt17integral_constantIbLb1EES1A_IbLb0EEEEDaS16_S17_EUlS16_E_NS1_11comp_targetILNS1_3genE9ELNS1_11target_archE1100ELNS1_3gpuE3ELNS1_3repE0EEENS1_30default_config_static_selectorELNS0_4arch9wavefront6targetE1EEEvT1_.kd
    .uniform_work_group_size: 1
    .uses_dynamic_stack: false
    .vgpr_count:     0
    .vgpr_spill_count: 0
    .wavefront_size: 64
  - .agpr_count:     0
    .args:
      - .offset:         0
        .size:           136
        .value_kind:     by_value
    .group_segment_fixed_size: 0
    .kernarg_segment_align: 8
    .kernarg_segment_size: 136
    .language:       OpenCL C
    .language_version:
      - 2
      - 0
    .max_flat_workgroup_size: 512
    .name:           _ZN7rocprim17ROCPRIM_400000_NS6detail17trampoline_kernelINS0_14default_configENS1_25partition_config_selectorILNS1_17partition_subalgoE1EtNS0_10empty_typeEbEEZZNS1_14partition_implILS5_1ELb0ES3_jN6thrust23THRUST_200600_302600_NS6detail15normal_iteratorINSA_10device_ptrItEEEEPS6_NSA_18transform_iteratorI7is_evenItESF_NSA_11use_defaultESK_EENS0_5tupleIJNSA_16discard_iteratorISK_EESF_EEENSM_IJSG_SG_EEES6_PlJS6_EEE10hipError_tPvRmT3_T4_T5_T6_T7_T9_mT8_P12ihipStream_tbDpT10_ENKUlT_T0_E_clISt17integral_constantIbLb1EES1A_IbLb0EEEEDaS16_S17_EUlS16_E_NS1_11comp_targetILNS1_3genE8ELNS1_11target_archE1030ELNS1_3gpuE2ELNS1_3repE0EEENS1_30default_config_static_selectorELNS0_4arch9wavefront6targetE1EEEvT1_
    .private_segment_fixed_size: 0
    .sgpr_count:     4
    .sgpr_spill_count: 0
    .symbol:         _ZN7rocprim17ROCPRIM_400000_NS6detail17trampoline_kernelINS0_14default_configENS1_25partition_config_selectorILNS1_17partition_subalgoE1EtNS0_10empty_typeEbEEZZNS1_14partition_implILS5_1ELb0ES3_jN6thrust23THRUST_200600_302600_NS6detail15normal_iteratorINSA_10device_ptrItEEEEPS6_NSA_18transform_iteratorI7is_evenItESF_NSA_11use_defaultESK_EENS0_5tupleIJNSA_16discard_iteratorISK_EESF_EEENSM_IJSG_SG_EEES6_PlJS6_EEE10hipError_tPvRmT3_T4_T5_T6_T7_T9_mT8_P12ihipStream_tbDpT10_ENKUlT_T0_E_clISt17integral_constantIbLb1EES1A_IbLb0EEEEDaS16_S17_EUlS16_E_NS1_11comp_targetILNS1_3genE8ELNS1_11target_archE1030ELNS1_3gpuE2ELNS1_3repE0EEENS1_30default_config_static_selectorELNS0_4arch9wavefront6targetE1EEEvT1_.kd
    .uniform_work_group_size: 1
    .uses_dynamic_stack: false
    .vgpr_count:     0
    .vgpr_spill_count: 0
    .wavefront_size: 64
  - .agpr_count:     0
    .args:
      - .offset:         0
        .size:           152
        .value_kind:     by_value
    .group_segment_fixed_size: 0
    .kernarg_segment_align: 8
    .kernarg_segment_size: 152
    .language:       OpenCL C
    .language_version:
      - 2
      - 0
    .max_flat_workgroup_size: 256
    .name:           _ZN7rocprim17ROCPRIM_400000_NS6detail17trampoline_kernelINS0_14default_configENS1_25partition_config_selectorILNS1_17partition_subalgoE1EtNS0_10empty_typeEbEEZZNS1_14partition_implILS5_1ELb0ES3_jN6thrust23THRUST_200600_302600_NS6detail15normal_iteratorINSA_10device_ptrItEEEEPS6_NSA_18transform_iteratorI7is_evenItESF_NSA_11use_defaultESK_EENS0_5tupleIJNSA_16discard_iteratorISK_EESF_EEENSM_IJSG_SG_EEES6_PlJS6_EEE10hipError_tPvRmT3_T4_T5_T6_T7_T9_mT8_P12ihipStream_tbDpT10_ENKUlT_T0_E_clISt17integral_constantIbLb0EES1A_IbLb1EEEEDaS16_S17_EUlS16_E_NS1_11comp_targetILNS1_3genE0ELNS1_11target_archE4294967295ELNS1_3gpuE0ELNS1_3repE0EEENS1_30default_config_static_selectorELNS0_4arch9wavefront6targetE1EEEvT1_
    .private_segment_fixed_size: 0
    .sgpr_count:     4
    .sgpr_spill_count: 0
    .symbol:         _ZN7rocprim17ROCPRIM_400000_NS6detail17trampoline_kernelINS0_14default_configENS1_25partition_config_selectorILNS1_17partition_subalgoE1EtNS0_10empty_typeEbEEZZNS1_14partition_implILS5_1ELb0ES3_jN6thrust23THRUST_200600_302600_NS6detail15normal_iteratorINSA_10device_ptrItEEEEPS6_NSA_18transform_iteratorI7is_evenItESF_NSA_11use_defaultESK_EENS0_5tupleIJNSA_16discard_iteratorISK_EESF_EEENSM_IJSG_SG_EEES6_PlJS6_EEE10hipError_tPvRmT3_T4_T5_T6_T7_T9_mT8_P12ihipStream_tbDpT10_ENKUlT_T0_E_clISt17integral_constantIbLb0EES1A_IbLb1EEEEDaS16_S17_EUlS16_E_NS1_11comp_targetILNS1_3genE0ELNS1_11target_archE4294967295ELNS1_3gpuE0ELNS1_3repE0EEENS1_30default_config_static_selectorELNS0_4arch9wavefront6targetE1EEEvT1_.kd
    .uniform_work_group_size: 1
    .uses_dynamic_stack: false
    .vgpr_count:     0
    .vgpr_spill_count: 0
    .wavefront_size: 64
  - .agpr_count:     0
    .args:
      - .offset:         0
        .size:           152
        .value_kind:     by_value
    .group_segment_fixed_size: 0
    .kernarg_segment_align: 8
    .kernarg_segment_size: 152
    .language:       OpenCL C
    .language_version:
      - 2
      - 0
    .max_flat_workgroup_size: 512
    .name:           _ZN7rocprim17ROCPRIM_400000_NS6detail17trampoline_kernelINS0_14default_configENS1_25partition_config_selectorILNS1_17partition_subalgoE1EtNS0_10empty_typeEbEEZZNS1_14partition_implILS5_1ELb0ES3_jN6thrust23THRUST_200600_302600_NS6detail15normal_iteratorINSA_10device_ptrItEEEEPS6_NSA_18transform_iteratorI7is_evenItESF_NSA_11use_defaultESK_EENS0_5tupleIJNSA_16discard_iteratorISK_EESF_EEENSM_IJSG_SG_EEES6_PlJS6_EEE10hipError_tPvRmT3_T4_T5_T6_T7_T9_mT8_P12ihipStream_tbDpT10_ENKUlT_T0_E_clISt17integral_constantIbLb0EES1A_IbLb1EEEEDaS16_S17_EUlS16_E_NS1_11comp_targetILNS1_3genE5ELNS1_11target_archE942ELNS1_3gpuE9ELNS1_3repE0EEENS1_30default_config_static_selectorELNS0_4arch9wavefront6targetE1EEEvT1_
    .private_segment_fixed_size: 0
    .sgpr_count:     4
    .sgpr_spill_count: 0
    .symbol:         _ZN7rocprim17ROCPRIM_400000_NS6detail17trampoline_kernelINS0_14default_configENS1_25partition_config_selectorILNS1_17partition_subalgoE1EtNS0_10empty_typeEbEEZZNS1_14partition_implILS5_1ELb0ES3_jN6thrust23THRUST_200600_302600_NS6detail15normal_iteratorINSA_10device_ptrItEEEEPS6_NSA_18transform_iteratorI7is_evenItESF_NSA_11use_defaultESK_EENS0_5tupleIJNSA_16discard_iteratorISK_EESF_EEENSM_IJSG_SG_EEES6_PlJS6_EEE10hipError_tPvRmT3_T4_T5_T6_T7_T9_mT8_P12ihipStream_tbDpT10_ENKUlT_T0_E_clISt17integral_constantIbLb0EES1A_IbLb1EEEEDaS16_S17_EUlS16_E_NS1_11comp_targetILNS1_3genE5ELNS1_11target_archE942ELNS1_3gpuE9ELNS1_3repE0EEENS1_30default_config_static_selectorELNS0_4arch9wavefront6targetE1EEEvT1_.kd
    .uniform_work_group_size: 1
    .uses_dynamic_stack: false
    .vgpr_count:     0
    .vgpr_spill_count: 0
    .wavefront_size: 64
  - .agpr_count:     0
    .args:
      - .offset:         0
        .size:           152
        .value_kind:     by_value
    .group_segment_fixed_size: 10248
    .kernarg_segment_align: 8
    .kernarg_segment_size: 152
    .language:       OpenCL C
    .language_version:
      - 2
      - 0
    .max_flat_workgroup_size: 256
    .name:           _ZN7rocprim17ROCPRIM_400000_NS6detail17trampoline_kernelINS0_14default_configENS1_25partition_config_selectorILNS1_17partition_subalgoE1EtNS0_10empty_typeEbEEZZNS1_14partition_implILS5_1ELb0ES3_jN6thrust23THRUST_200600_302600_NS6detail15normal_iteratorINSA_10device_ptrItEEEEPS6_NSA_18transform_iteratorI7is_evenItESF_NSA_11use_defaultESK_EENS0_5tupleIJNSA_16discard_iteratorISK_EESF_EEENSM_IJSG_SG_EEES6_PlJS6_EEE10hipError_tPvRmT3_T4_T5_T6_T7_T9_mT8_P12ihipStream_tbDpT10_ENKUlT_T0_E_clISt17integral_constantIbLb0EES1A_IbLb1EEEEDaS16_S17_EUlS16_E_NS1_11comp_targetILNS1_3genE4ELNS1_11target_archE910ELNS1_3gpuE8ELNS1_3repE0EEENS1_30default_config_static_selectorELNS0_4arch9wavefront6targetE1EEEvT1_
    .private_segment_fixed_size: 0
    .sgpr_count:     46
    .sgpr_spill_count: 0
    .symbol:         _ZN7rocprim17ROCPRIM_400000_NS6detail17trampoline_kernelINS0_14default_configENS1_25partition_config_selectorILNS1_17partition_subalgoE1EtNS0_10empty_typeEbEEZZNS1_14partition_implILS5_1ELb0ES3_jN6thrust23THRUST_200600_302600_NS6detail15normal_iteratorINSA_10device_ptrItEEEEPS6_NSA_18transform_iteratorI7is_evenItESF_NSA_11use_defaultESK_EENS0_5tupleIJNSA_16discard_iteratorISK_EESF_EEENSM_IJSG_SG_EEES6_PlJS6_EEE10hipError_tPvRmT3_T4_T5_T6_T7_T9_mT8_P12ihipStream_tbDpT10_ENKUlT_T0_E_clISt17integral_constantIbLb0EES1A_IbLb1EEEEDaS16_S17_EUlS16_E_NS1_11comp_targetILNS1_3genE4ELNS1_11target_archE910ELNS1_3gpuE8ELNS1_3repE0EEENS1_30default_config_static_selectorELNS0_4arch9wavefront6targetE1EEEvT1_.kd
    .uniform_work_group_size: 1
    .uses_dynamic_stack: false
    .vgpr_count:     69
    .vgpr_spill_count: 0
    .wavefront_size: 64
  - .agpr_count:     0
    .args:
      - .offset:         0
        .size:           152
        .value_kind:     by_value
    .group_segment_fixed_size: 0
    .kernarg_segment_align: 8
    .kernarg_segment_size: 152
    .language:       OpenCL C
    .language_version:
      - 2
      - 0
    .max_flat_workgroup_size: 256
    .name:           _ZN7rocprim17ROCPRIM_400000_NS6detail17trampoline_kernelINS0_14default_configENS1_25partition_config_selectorILNS1_17partition_subalgoE1EtNS0_10empty_typeEbEEZZNS1_14partition_implILS5_1ELb0ES3_jN6thrust23THRUST_200600_302600_NS6detail15normal_iteratorINSA_10device_ptrItEEEEPS6_NSA_18transform_iteratorI7is_evenItESF_NSA_11use_defaultESK_EENS0_5tupleIJNSA_16discard_iteratorISK_EESF_EEENSM_IJSG_SG_EEES6_PlJS6_EEE10hipError_tPvRmT3_T4_T5_T6_T7_T9_mT8_P12ihipStream_tbDpT10_ENKUlT_T0_E_clISt17integral_constantIbLb0EES1A_IbLb1EEEEDaS16_S17_EUlS16_E_NS1_11comp_targetILNS1_3genE3ELNS1_11target_archE908ELNS1_3gpuE7ELNS1_3repE0EEENS1_30default_config_static_selectorELNS0_4arch9wavefront6targetE1EEEvT1_
    .private_segment_fixed_size: 0
    .sgpr_count:     4
    .sgpr_spill_count: 0
    .symbol:         _ZN7rocprim17ROCPRIM_400000_NS6detail17trampoline_kernelINS0_14default_configENS1_25partition_config_selectorILNS1_17partition_subalgoE1EtNS0_10empty_typeEbEEZZNS1_14partition_implILS5_1ELb0ES3_jN6thrust23THRUST_200600_302600_NS6detail15normal_iteratorINSA_10device_ptrItEEEEPS6_NSA_18transform_iteratorI7is_evenItESF_NSA_11use_defaultESK_EENS0_5tupleIJNSA_16discard_iteratorISK_EESF_EEENSM_IJSG_SG_EEES6_PlJS6_EEE10hipError_tPvRmT3_T4_T5_T6_T7_T9_mT8_P12ihipStream_tbDpT10_ENKUlT_T0_E_clISt17integral_constantIbLb0EES1A_IbLb1EEEEDaS16_S17_EUlS16_E_NS1_11comp_targetILNS1_3genE3ELNS1_11target_archE908ELNS1_3gpuE7ELNS1_3repE0EEENS1_30default_config_static_selectorELNS0_4arch9wavefront6targetE1EEEvT1_.kd
    .uniform_work_group_size: 1
    .uses_dynamic_stack: false
    .vgpr_count:     0
    .vgpr_spill_count: 0
    .wavefront_size: 64
  - .agpr_count:     0
    .args:
      - .offset:         0
        .size:           152
        .value_kind:     by_value
    .group_segment_fixed_size: 0
    .kernarg_segment_align: 8
    .kernarg_segment_size: 152
    .language:       OpenCL C
    .language_version:
      - 2
      - 0
    .max_flat_workgroup_size: 256
    .name:           _ZN7rocprim17ROCPRIM_400000_NS6detail17trampoline_kernelINS0_14default_configENS1_25partition_config_selectorILNS1_17partition_subalgoE1EtNS0_10empty_typeEbEEZZNS1_14partition_implILS5_1ELb0ES3_jN6thrust23THRUST_200600_302600_NS6detail15normal_iteratorINSA_10device_ptrItEEEEPS6_NSA_18transform_iteratorI7is_evenItESF_NSA_11use_defaultESK_EENS0_5tupleIJNSA_16discard_iteratorISK_EESF_EEENSM_IJSG_SG_EEES6_PlJS6_EEE10hipError_tPvRmT3_T4_T5_T6_T7_T9_mT8_P12ihipStream_tbDpT10_ENKUlT_T0_E_clISt17integral_constantIbLb0EES1A_IbLb1EEEEDaS16_S17_EUlS16_E_NS1_11comp_targetILNS1_3genE2ELNS1_11target_archE906ELNS1_3gpuE6ELNS1_3repE0EEENS1_30default_config_static_selectorELNS0_4arch9wavefront6targetE1EEEvT1_
    .private_segment_fixed_size: 0
    .sgpr_count:     4
    .sgpr_spill_count: 0
    .symbol:         _ZN7rocprim17ROCPRIM_400000_NS6detail17trampoline_kernelINS0_14default_configENS1_25partition_config_selectorILNS1_17partition_subalgoE1EtNS0_10empty_typeEbEEZZNS1_14partition_implILS5_1ELb0ES3_jN6thrust23THRUST_200600_302600_NS6detail15normal_iteratorINSA_10device_ptrItEEEEPS6_NSA_18transform_iteratorI7is_evenItESF_NSA_11use_defaultESK_EENS0_5tupleIJNSA_16discard_iteratorISK_EESF_EEENSM_IJSG_SG_EEES6_PlJS6_EEE10hipError_tPvRmT3_T4_T5_T6_T7_T9_mT8_P12ihipStream_tbDpT10_ENKUlT_T0_E_clISt17integral_constantIbLb0EES1A_IbLb1EEEEDaS16_S17_EUlS16_E_NS1_11comp_targetILNS1_3genE2ELNS1_11target_archE906ELNS1_3gpuE6ELNS1_3repE0EEENS1_30default_config_static_selectorELNS0_4arch9wavefront6targetE1EEEvT1_.kd
    .uniform_work_group_size: 1
    .uses_dynamic_stack: false
    .vgpr_count:     0
    .vgpr_spill_count: 0
    .wavefront_size: 64
  - .agpr_count:     0
    .args:
      - .offset:         0
        .size:           152
        .value_kind:     by_value
    .group_segment_fixed_size: 0
    .kernarg_segment_align: 8
    .kernarg_segment_size: 152
    .language:       OpenCL C
    .language_version:
      - 2
      - 0
    .max_flat_workgroup_size: 384
    .name:           _ZN7rocprim17ROCPRIM_400000_NS6detail17trampoline_kernelINS0_14default_configENS1_25partition_config_selectorILNS1_17partition_subalgoE1EtNS0_10empty_typeEbEEZZNS1_14partition_implILS5_1ELb0ES3_jN6thrust23THRUST_200600_302600_NS6detail15normal_iteratorINSA_10device_ptrItEEEEPS6_NSA_18transform_iteratorI7is_evenItESF_NSA_11use_defaultESK_EENS0_5tupleIJNSA_16discard_iteratorISK_EESF_EEENSM_IJSG_SG_EEES6_PlJS6_EEE10hipError_tPvRmT3_T4_T5_T6_T7_T9_mT8_P12ihipStream_tbDpT10_ENKUlT_T0_E_clISt17integral_constantIbLb0EES1A_IbLb1EEEEDaS16_S17_EUlS16_E_NS1_11comp_targetILNS1_3genE10ELNS1_11target_archE1200ELNS1_3gpuE4ELNS1_3repE0EEENS1_30default_config_static_selectorELNS0_4arch9wavefront6targetE1EEEvT1_
    .private_segment_fixed_size: 0
    .sgpr_count:     4
    .sgpr_spill_count: 0
    .symbol:         _ZN7rocprim17ROCPRIM_400000_NS6detail17trampoline_kernelINS0_14default_configENS1_25partition_config_selectorILNS1_17partition_subalgoE1EtNS0_10empty_typeEbEEZZNS1_14partition_implILS5_1ELb0ES3_jN6thrust23THRUST_200600_302600_NS6detail15normal_iteratorINSA_10device_ptrItEEEEPS6_NSA_18transform_iteratorI7is_evenItESF_NSA_11use_defaultESK_EENS0_5tupleIJNSA_16discard_iteratorISK_EESF_EEENSM_IJSG_SG_EEES6_PlJS6_EEE10hipError_tPvRmT3_T4_T5_T6_T7_T9_mT8_P12ihipStream_tbDpT10_ENKUlT_T0_E_clISt17integral_constantIbLb0EES1A_IbLb1EEEEDaS16_S17_EUlS16_E_NS1_11comp_targetILNS1_3genE10ELNS1_11target_archE1200ELNS1_3gpuE4ELNS1_3repE0EEENS1_30default_config_static_selectorELNS0_4arch9wavefront6targetE1EEEvT1_.kd
    .uniform_work_group_size: 1
    .uses_dynamic_stack: false
    .vgpr_count:     0
    .vgpr_spill_count: 0
    .wavefront_size: 64
  - .agpr_count:     0
    .args:
      - .offset:         0
        .size:           152
        .value_kind:     by_value
    .group_segment_fixed_size: 0
    .kernarg_segment_align: 8
    .kernarg_segment_size: 152
    .language:       OpenCL C
    .language_version:
      - 2
      - 0
    .max_flat_workgroup_size: 128
    .name:           _ZN7rocprim17ROCPRIM_400000_NS6detail17trampoline_kernelINS0_14default_configENS1_25partition_config_selectorILNS1_17partition_subalgoE1EtNS0_10empty_typeEbEEZZNS1_14partition_implILS5_1ELb0ES3_jN6thrust23THRUST_200600_302600_NS6detail15normal_iteratorINSA_10device_ptrItEEEEPS6_NSA_18transform_iteratorI7is_evenItESF_NSA_11use_defaultESK_EENS0_5tupleIJNSA_16discard_iteratorISK_EESF_EEENSM_IJSG_SG_EEES6_PlJS6_EEE10hipError_tPvRmT3_T4_T5_T6_T7_T9_mT8_P12ihipStream_tbDpT10_ENKUlT_T0_E_clISt17integral_constantIbLb0EES1A_IbLb1EEEEDaS16_S17_EUlS16_E_NS1_11comp_targetILNS1_3genE9ELNS1_11target_archE1100ELNS1_3gpuE3ELNS1_3repE0EEENS1_30default_config_static_selectorELNS0_4arch9wavefront6targetE1EEEvT1_
    .private_segment_fixed_size: 0
    .sgpr_count:     4
    .sgpr_spill_count: 0
    .symbol:         _ZN7rocprim17ROCPRIM_400000_NS6detail17trampoline_kernelINS0_14default_configENS1_25partition_config_selectorILNS1_17partition_subalgoE1EtNS0_10empty_typeEbEEZZNS1_14partition_implILS5_1ELb0ES3_jN6thrust23THRUST_200600_302600_NS6detail15normal_iteratorINSA_10device_ptrItEEEEPS6_NSA_18transform_iteratorI7is_evenItESF_NSA_11use_defaultESK_EENS0_5tupleIJNSA_16discard_iteratorISK_EESF_EEENSM_IJSG_SG_EEES6_PlJS6_EEE10hipError_tPvRmT3_T4_T5_T6_T7_T9_mT8_P12ihipStream_tbDpT10_ENKUlT_T0_E_clISt17integral_constantIbLb0EES1A_IbLb1EEEEDaS16_S17_EUlS16_E_NS1_11comp_targetILNS1_3genE9ELNS1_11target_archE1100ELNS1_3gpuE3ELNS1_3repE0EEENS1_30default_config_static_selectorELNS0_4arch9wavefront6targetE1EEEvT1_.kd
    .uniform_work_group_size: 1
    .uses_dynamic_stack: false
    .vgpr_count:     0
    .vgpr_spill_count: 0
    .wavefront_size: 64
  - .agpr_count:     0
    .args:
      - .offset:         0
        .size:           152
        .value_kind:     by_value
    .group_segment_fixed_size: 0
    .kernarg_segment_align: 8
    .kernarg_segment_size: 152
    .language:       OpenCL C
    .language_version:
      - 2
      - 0
    .max_flat_workgroup_size: 512
    .name:           _ZN7rocprim17ROCPRIM_400000_NS6detail17trampoline_kernelINS0_14default_configENS1_25partition_config_selectorILNS1_17partition_subalgoE1EtNS0_10empty_typeEbEEZZNS1_14partition_implILS5_1ELb0ES3_jN6thrust23THRUST_200600_302600_NS6detail15normal_iteratorINSA_10device_ptrItEEEEPS6_NSA_18transform_iteratorI7is_evenItESF_NSA_11use_defaultESK_EENS0_5tupleIJNSA_16discard_iteratorISK_EESF_EEENSM_IJSG_SG_EEES6_PlJS6_EEE10hipError_tPvRmT3_T4_T5_T6_T7_T9_mT8_P12ihipStream_tbDpT10_ENKUlT_T0_E_clISt17integral_constantIbLb0EES1A_IbLb1EEEEDaS16_S17_EUlS16_E_NS1_11comp_targetILNS1_3genE8ELNS1_11target_archE1030ELNS1_3gpuE2ELNS1_3repE0EEENS1_30default_config_static_selectorELNS0_4arch9wavefront6targetE1EEEvT1_
    .private_segment_fixed_size: 0
    .sgpr_count:     4
    .sgpr_spill_count: 0
    .symbol:         _ZN7rocprim17ROCPRIM_400000_NS6detail17trampoline_kernelINS0_14default_configENS1_25partition_config_selectorILNS1_17partition_subalgoE1EtNS0_10empty_typeEbEEZZNS1_14partition_implILS5_1ELb0ES3_jN6thrust23THRUST_200600_302600_NS6detail15normal_iteratorINSA_10device_ptrItEEEEPS6_NSA_18transform_iteratorI7is_evenItESF_NSA_11use_defaultESK_EENS0_5tupleIJNSA_16discard_iteratorISK_EESF_EEENSM_IJSG_SG_EEES6_PlJS6_EEE10hipError_tPvRmT3_T4_T5_T6_T7_T9_mT8_P12ihipStream_tbDpT10_ENKUlT_T0_E_clISt17integral_constantIbLb0EES1A_IbLb1EEEEDaS16_S17_EUlS16_E_NS1_11comp_targetILNS1_3genE8ELNS1_11target_archE1030ELNS1_3gpuE2ELNS1_3repE0EEENS1_30default_config_static_selectorELNS0_4arch9wavefront6targetE1EEEvT1_.kd
    .uniform_work_group_size: 1
    .uses_dynamic_stack: false
    .vgpr_count:     0
    .vgpr_spill_count: 0
    .wavefront_size: 64
  - .agpr_count:     0
    .args:
      - .offset:         0
        .size:           144
        .value_kind:     by_value
    .group_segment_fixed_size: 0
    .kernarg_segment_align: 8
    .kernarg_segment_size: 144
    .language:       OpenCL C
    .language_version:
      - 2
      - 0
    .max_flat_workgroup_size: 128
    .name:           _ZN7rocprim17ROCPRIM_400000_NS6detail17trampoline_kernelINS0_14default_configENS1_25partition_config_selectorILNS1_17partition_subalgoE1ExNS0_10empty_typeEbEEZZNS1_14partition_implILS5_1ELb0ES3_jN6thrust23THRUST_200600_302600_NS6detail15normal_iteratorINSA_10device_ptrIxEEEEPS6_NSA_18transform_iteratorI7is_evenIxESF_NSA_11use_defaultESK_EENS0_5tupleIJNSA_16discard_iteratorISK_EESO_EEENSM_IJSG_SG_EEES6_PlJS6_EEE10hipError_tPvRmT3_T4_T5_T6_T7_T9_mT8_P12ihipStream_tbDpT10_ENKUlT_T0_E_clISt17integral_constantIbLb0EES1B_EEDaS16_S17_EUlS16_E_NS1_11comp_targetILNS1_3genE0ELNS1_11target_archE4294967295ELNS1_3gpuE0ELNS1_3repE0EEENS1_30default_config_static_selectorELNS0_4arch9wavefront6targetE1EEEvT1_
    .private_segment_fixed_size: 0
    .sgpr_count:     4
    .sgpr_spill_count: 0
    .symbol:         _ZN7rocprim17ROCPRIM_400000_NS6detail17trampoline_kernelINS0_14default_configENS1_25partition_config_selectorILNS1_17partition_subalgoE1ExNS0_10empty_typeEbEEZZNS1_14partition_implILS5_1ELb0ES3_jN6thrust23THRUST_200600_302600_NS6detail15normal_iteratorINSA_10device_ptrIxEEEEPS6_NSA_18transform_iteratorI7is_evenIxESF_NSA_11use_defaultESK_EENS0_5tupleIJNSA_16discard_iteratorISK_EESO_EEENSM_IJSG_SG_EEES6_PlJS6_EEE10hipError_tPvRmT3_T4_T5_T6_T7_T9_mT8_P12ihipStream_tbDpT10_ENKUlT_T0_E_clISt17integral_constantIbLb0EES1B_EEDaS16_S17_EUlS16_E_NS1_11comp_targetILNS1_3genE0ELNS1_11target_archE4294967295ELNS1_3gpuE0ELNS1_3repE0EEENS1_30default_config_static_selectorELNS0_4arch9wavefront6targetE1EEEvT1_.kd
    .uniform_work_group_size: 1
    .uses_dynamic_stack: false
    .vgpr_count:     0
    .vgpr_spill_count: 0
    .wavefront_size: 64
  - .agpr_count:     0
    .args:
      - .offset:         0
        .size:           144
        .value_kind:     by_value
    .group_segment_fixed_size: 0
    .kernarg_segment_align: 8
    .kernarg_segment_size: 144
    .language:       OpenCL C
    .language_version:
      - 2
      - 0
    .max_flat_workgroup_size: 512
    .name:           _ZN7rocprim17ROCPRIM_400000_NS6detail17trampoline_kernelINS0_14default_configENS1_25partition_config_selectorILNS1_17partition_subalgoE1ExNS0_10empty_typeEbEEZZNS1_14partition_implILS5_1ELb0ES3_jN6thrust23THRUST_200600_302600_NS6detail15normal_iteratorINSA_10device_ptrIxEEEEPS6_NSA_18transform_iteratorI7is_evenIxESF_NSA_11use_defaultESK_EENS0_5tupleIJNSA_16discard_iteratorISK_EESO_EEENSM_IJSG_SG_EEES6_PlJS6_EEE10hipError_tPvRmT3_T4_T5_T6_T7_T9_mT8_P12ihipStream_tbDpT10_ENKUlT_T0_E_clISt17integral_constantIbLb0EES1B_EEDaS16_S17_EUlS16_E_NS1_11comp_targetILNS1_3genE5ELNS1_11target_archE942ELNS1_3gpuE9ELNS1_3repE0EEENS1_30default_config_static_selectorELNS0_4arch9wavefront6targetE1EEEvT1_
    .private_segment_fixed_size: 0
    .sgpr_count:     4
    .sgpr_spill_count: 0
    .symbol:         _ZN7rocprim17ROCPRIM_400000_NS6detail17trampoline_kernelINS0_14default_configENS1_25partition_config_selectorILNS1_17partition_subalgoE1ExNS0_10empty_typeEbEEZZNS1_14partition_implILS5_1ELb0ES3_jN6thrust23THRUST_200600_302600_NS6detail15normal_iteratorINSA_10device_ptrIxEEEEPS6_NSA_18transform_iteratorI7is_evenIxESF_NSA_11use_defaultESK_EENS0_5tupleIJNSA_16discard_iteratorISK_EESO_EEENSM_IJSG_SG_EEES6_PlJS6_EEE10hipError_tPvRmT3_T4_T5_T6_T7_T9_mT8_P12ihipStream_tbDpT10_ENKUlT_T0_E_clISt17integral_constantIbLb0EES1B_EEDaS16_S17_EUlS16_E_NS1_11comp_targetILNS1_3genE5ELNS1_11target_archE942ELNS1_3gpuE9ELNS1_3repE0EEENS1_30default_config_static_selectorELNS0_4arch9wavefront6targetE1EEEvT1_.kd
    .uniform_work_group_size: 1
    .uses_dynamic_stack: false
    .vgpr_count:     0
    .vgpr_spill_count: 0
    .wavefront_size: 64
  - .agpr_count:     0
    .args:
      - .offset:         0
        .size:           144
        .value_kind:     by_value
    .group_segment_fixed_size: 6344
    .kernarg_segment_align: 8
    .kernarg_segment_size: 144
    .language:       OpenCL C
    .language_version:
      - 2
      - 0
    .max_flat_workgroup_size: 192
    .name:           _ZN7rocprim17ROCPRIM_400000_NS6detail17trampoline_kernelINS0_14default_configENS1_25partition_config_selectorILNS1_17partition_subalgoE1ExNS0_10empty_typeEbEEZZNS1_14partition_implILS5_1ELb0ES3_jN6thrust23THRUST_200600_302600_NS6detail15normal_iteratorINSA_10device_ptrIxEEEEPS6_NSA_18transform_iteratorI7is_evenIxESF_NSA_11use_defaultESK_EENS0_5tupleIJNSA_16discard_iteratorISK_EESO_EEENSM_IJSG_SG_EEES6_PlJS6_EEE10hipError_tPvRmT3_T4_T5_T6_T7_T9_mT8_P12ihipStream_tbDpT10_ENKUlT_T0_E_clISt17integral_constantIbLb0EES1B_EEDaS16_S17_EUlS16_E_NS1_11comp_targetILNS1_3genE4ELNS1_11target_archE910ELNS1_3gpuE8ELNS1_3repE0EEENS1_30default_config_static_selectorELNS0_4arch9wavefront6targetE1EEEvT1_
    .private_segment_fixed_size: 0
    .sgpr_count:     40
    .sgpr_spill_count: 0
    .symbol:         _ZN7rocprim17ROCPRIM_400000_NS6detail17trampoline_kernelINS0_14default_configENS1_25partition_config_selectorILNS1_17partition_subalgoE1ExNS0_10empty_typeEbEEZZNS1_14partition_implILS5_1ELb0ES3_jN6thrust23THRUST_200600_302600_NS6detail15normal_iteratorINSA_10device_ptrIxEEEEPS6_NSA_18transform_iteratorI7is_evenIxESF_NSA_11use_defaultESK_EENS0_5tupleIJNSA_16discard_iteratorISK_EESO_EEENSM_IJSG_SG_EEES6_PlJS6_EEE10hipError_tPvRmT3_T4_T5_T6_T7_T9_mT8_P12ihipStream_tbDpT10_ENKUlT_T0_E_clISt17integral_constantIbLb0EES1B_EEDaS16_S17_EUlS16_E_NS1_11comp_targetILNS1_3genE4ELNS1_11target_archE910ELNS1_3gpuE8ELNS1_3repE0EEENS1_30default_config_static_selectorELNS0_4arch9wavefront6targetE1EEEvT1_.kd
    .uniform_work_group_size: 1
    .uses_dynamic_stack: false
    .vgpr_count:     42
    .vgpr_spill_count: 0
    .wavefront_size: 64
  - .agpr_count:     0
    .args:
      - .offset:         0
        .size:           144
        .value_kind:     by_value
    .group_segment_fixed_size: 0
    .kernarg_segment_align: 8
    .kernarg_segment_size: 144
    .language:       OpenCL C
    .language_version:
      - 2
      - 0
    .max_flat_workgroup_size: 128
    .name:           _ZN7rocprim17ROCPRIM_400000_NS6detail17trampoline_kernelINS0_14default_configENS1_25partition_config_selectorILNS1_17partition_subalgoE1ExNS0_10empty_typeEbEEZZNS1_14partition_implILS5_1ELb0ES3_jN6thrust23THRUST_200600_302600_NS6detail15normal_iteratorINSA_10device_ptrIxEEEEPS6_NSA_18transform_iteratorI7is_evenIxESF_NSA_11use_defaultESK_EENS0_5tupleIJNSA_16discard_iteratorISK_EESO_EEENSM_IJSG_SG_EEES6_PlJS6_EEE10hipError_tPvRmT3_T4_T5_T6_T7_T9_mT8_P12ihipStream_tbDpT10_ENKUlT_T0_E_clISt17integral_constantIbLb0EES1B_EEDaS16_S17_EUlS16_E_NS1_11comp_targetILNS1_3genE3ELNS1_11target_archE908ELNS1_3gpuE7ELNS1_3repE0EEENS1_30default_config_static_selectorELNS0_4arch9wavefront6targetE1EEEvT1_
    .private_segment_fixed_size: 0
    .sgpr_count:     4
    .sgpr_spill_count: 0
    .symbol:         _ZN7rocprim17ROCPRIM_400000_NS6detail17trampoline_kernelINS0_14default_configENS1_25partition_config_selectorILNS1_17partition_subalgoE1ExNS0_10empty_typeEbEEZZNS1_14partition_implILS5_1ELb0ES3_jN6thrust23THRUST_200600_302600_NS6detail15normal_iteratorINSA_10device_ptrIxEEEEPS6_NSA_18transform_iteratorI7is_evenIxESF_NSA_11use_defaultESK_EENS0_5tupleIJNSA_16discard_iteratorISK_EESO_EEENSM_IJSG_SG_EEES6_PlJS6_EEE10hipError_tPvRmT3_T4_T5_T6_T7_T9_mT8_P12ihipStream_tbDpT10_ENKUlT_T0_E_clISt17integral_constantIbLb0EES1B_EEDaS16_S17_EUlS16_E_NS1_11comp_targetILNS1_3genE3ELNS1_11target_archE908ELNS1_3gpuE7ELNS1_3repE0EEENS1_30default_config_static_selectorELNS0_4arch9wavefront6targetE1EEEvT1_.kd
    .uniform_work_group_size: 1
    .uses_dynamic_stack: false
    .vgpr_count:     0
    .vgpr_spill_count: 0
    .wavefront_size: 64
  - .agpr_count:     0
    .args:
      - .offset:         0
        .size:           144
        .value_kind:     by_value
    .group_segment_fixed_size: 0
    .kernarg_segment_align: 8
    .kernarg_segment_size: 144
    .language:       OpenCL C
    .language_version:
      - 2
      - 0
    .max_flat_workgroup_size: 256
    .name:           _ZN7rocprim17ROCPRIM_400000_NS6detail17trampoline_kernelINS0_14default_configENS1_25partition_config_selectorILNS1_17partition_subalgoE1ExNS0_10empty_typeEbEEZZNS1_14partition_implILS5_1ELb0ES3_jN6thrust23THRUST_200600_302600_NS6detail15normal_iteratorINSA_10device_ptrIxEEEEPS6_NSA_18transform_iteratorI7is_evenIxESF_NSA_11use_defaultESK_EENS0_5tupleIJNSA_16discard_iteratorISK_EESO_EEENSM_IJSG_SG_EEES6_PlJS6_EEE10hipError_tPvRmT3_T4_T5_T6_T7_T9_mT8_P12ihipStream_tbDpT10_ENKUlT_T0_E_clISt17integral_constantIbLb0EES1B_EEDaS16_S17_EUlS16_E_NS1_11comp_targetILNS1_3genE2ELNS1_11target_archE906ELNS1_3gpuE6ELNS1_3repE0EEENS1_30default_config_static_selectorELNS0_4arch9wavefront6targetE1EEEvT1_
    .private_segment_fixed_size: 0
    .sgpr_count:     4
    .sgpr_spill_count: 0
    .symbol:         _ZN7rocprim17ROCPRIM_400000_NS6detail17trampoline_kernelINS0_14default_configENS1_25partition_config_selectorILNS1_17partition_subalgoE1ExNS0_10empty_typeEbEEZZNS1_14partition_implILS5_1ELb0ES3_jN6thrust23THRUST_200600_302600_NS6detail15normal_iteratorINSA_10device_ptrIxEEEEPS6_NSA_18transform_iteratorI7is_evenIxESF_NSA_11use_defaultESK_EENS0_5tupleIJNSA_16discard_iteratorISK_EESO_EEENSM_IJSG_SG_EEES6_PlJS6_EEE10hipError_tPvRmT3_T4_T5_T6_T7_T9_mT8_P12ihipStream_tbDpT10_ENKUlT_T0_E_clISt17integral_constantIbLb0EES1B_EEDaS16_S17_EUlS16_E_NS1_11comp_targetILNS1_3genE2ELNS1_11target_archE906ELNS1_3gpuE6ELNS1_3repE0EEENS1_30default_config_static_selectorELNS0_4arch9wavefront6targetE1EEEvT1_.kd
    .uniform_work_group_size: 1
    .uses_dynamic_stack: false
    .vgpr_count:     0
    .vgpr_spill_count: 0
    .wavefront_size: 64
  - .agpr_count:     0
    .args:
      - .offset:         0
        .size:           144
        .value_kind:     by_value
    .group_segment_fixed_size: 0
    .kernarg_segment_align: 8
    .kernarg_segment_size: 144
    .language:       OpenCL C
    .language_version:
      - 2
      - 0
    .max_flat_workgroup_size: 256
    .name:           _ZN7rocprim17ROCPRIM_400000_NS6detail17trampoline_kernelINS0_14default_configENS1_25partition_config_selectorILNS1_17partition_subalgoE1ExNS0_10empty_typeEbEEZZNS1_14partition_implILS5_1ELb0ES3_jN6thrust23THRUST_200600_302600_NS6detail15normal_iteratorINSA_10device_ptrIxEEEEPS6_NSA_18transform_iteratorI7is_evenIxESF_NSA_11use_defaultESK_EENS0_5tupleIJNSA_16discard_iteratorISK_EESO_EEENSM_IJSG_SG_EEES6_PlJS6_EEE10hipError_tPvRmT3_T4_T5_T6_T7_T9_mT8_P12ihipStream_tbDpT10_ENKUlT_T0_E_clISt17integral_constantIbLb0EES1B_EEDaS16_S17_EUlS16_E_NS1_11comp_targetILNS1_3genE10ELNS1_11target_archE1200ELNS1_3gpuE4ELNS1_3repE0EEENS1_30default_config_static_selectorELNS0_4arch9wavefront6targetE1EEEvT1_
    .private_segment_fixed_size: 0
    .sgpr_count:     4
    .sgpr_spill_count: 0
    .symbol:         _ZN7rocprim17ROCPRIM_400000_NS6detail17trampoline_kernelINS0_14default_configENS1_25partition_config_selectorILNS1_17partition_subalgoE1ExNS0_10empty_typeEbEEZZNS1_14partition_implILS5_1ELb0ES3_jN6thrust23THRUST_200600_302600_NS6detail15normal_iteratorINSA_10device_ptrIxEEEEPS6_NSA_18transform_iteratorI7is_evenIxESF_NSA_11use_defaultESK_EENS0_5tupleIJNSA_16discard_iteratorISK_EESO_EEENSM_IJSG_SG_EEES6_PlJS6_EEE10hipError_tPvRmT3_T4_T5_T6_T7_T9_mT8_P12ihipStream_tbDpT10_ENKUlT_T0_E_clISt17integral_constantIbLb0EES1B_EEDaS16_S17_EUlS16_E_NS1_11comp_targetILNS1_3genE10ELNS1_11target_archE1200ELNS1_3gpuE4ELNS1_3repE0EEENS1_30default_config_static_selectorELNS0_4arch9wavefront6targetE1EEEvT1_.kd
    .uniform_work_group_size: 1
    .uses_dynamic_stack: false
    .vgpr_count:     0
    .vgpr_spill_count: 0
    .wavefront_size: 64
  - .agpr_count:     0
    .args:
      - .offset:         0
        .size:           144
        .value_kind:     by_value
    .group_segment_fixed_size: 0
    .kernarg_segment_align: 8
    .kernarg_segment_size: 144
    .language:       OpenCL C
    .language_version:
      - 2
      - 0
    .max_flat_workgroup_size: 128
    .name:           _ZN7rocprim17ROCPRIM_400000_NS6detail17trampoline_kernelINS0_14default_configENS1_25partition_config_selectorILNS1_17partition_subalgoE1ExNS0_10empty_typeEbEEZZNS1_14partition_implILS5_1ELb0ES3_jN6thrust23THRUST_200600_302600_NS6detail15normal_iteratorINSA_10device_ptrIxEEEEPS6_NSA_18transform_iteratorI7is_evenIxESF_NSA_11use_defaultESK_EENS0_5tupleIJNSA_16discard_iteratorISK_EESO_EEENSM_IJSG_SG_EEES6_PlJS6_EEE10hipError_tPvRmT3_T4_T5_T6_T7_T9_mT8_P12ihipStream_tbDpT10_ENKUlT_T0_E_clISt17integral_constantIbLb0EES1B_EEDaS16_S17_EUlS16_E_NS1_11comp_targetILNS1_3genE9ELNS1_11target_archE1100ELNS1_3gpuE3ELNS1_3repE0EEENS1_30default_config_static_selectorELNS0_4arch9wavefront6targetE1EEEvT1_
    .private_segment_fixed_size: 0
    .sgpr_count:     4
    .sgpr_spill_count: 0
    .symbol:         _ZN7rocprim17ROCPRIM_400000_NS6detail17trampoline_kernelINS0_14default_configENS1_25partition_config_selectorILNS1_17partition_subalgoE1ExNS0_10empty_typeEbEEZZNS1_14partition_implILS5_1ELb0ES3_jN6thrust23THRUST_200600_302600_NS6detail15normal_iteratorINSA_10device_ptrIxEEEEPS6_NSA_18transform_iteratorI7is_evenIxESF_NSA_11use_defaultESK_EENS0_5tupleIJNSA_16discard_iteratorISK_EESO_EEENSM_IJSG_SG_EEES6_PlJS6_EEE10hipError_tPvRmT3_T4_T5_T6_T7_T9_mT8_P12ihipStream_tbDpT10_ENKUlT_T0_E_clISt17integral_constantIbLb0EES1B_EEDaS16_S17_EUlS16_E_NS1_11comp_targetILNS1_3genE9ELNS1_11target_archE1100ELNS1_3gpuE3ELNS1_3repE0EEENS1_30default_config_static_selectorELNS0_4arch9wavefront6targetE1EEEvT1_.kd
    .uniform_work_group_size: 1
    .uses_dynamic_stack: false
    .vgpr_count:     0
    .vgpr_spill_count: 0
    .wavefront_size: 64
  - .agpr_count:     0
    .args:
      - .offset:         0
        .size:           144
        .value_kind:     by_value
    .group_segment_fixed_size: 0
    .kernarg_segment_align: 8
    .kernarg_segment_size: 144
    .language:       OpenCL C
    .language_version:
      - 2
      - 0
    .max_flat_workgroup_size: 512
    .name:           _ZN7rocprim17ROCPRIM_400000_NS6detail17trampoline_kernelINS0_14default_configENS1_25partition_config_selectorILNS1_17partition_subalgoE1ExNS0_10empty_typeEbEEZZNS1_14partition_implILS5_1ELb0ES3_jN6thrust23THRUST_200600_302600_NS6detail15normal_iteratorINSA_10device_ptrIxEEEEPS6_NSA_18transform_iteratorI7is_evenIxESF_NSA_11use_defaultESK_EENS0_5tupleIJNSA_16discard_iteratorISK_EESO_EEENSM_IJSG_SG_EEES6_PlJS6_EEE10hipError_tPvRmT3_T4_T5_T6_T7_T9_mT8_P12ihipStream_tbDpT10_ENKUlT_T0_E_clISt17integral_constantIbLb0EES1B_EEDaS16_S17_EUlS16_E_NS1_11comp_targetILNS1_3genE8ELNS1_11target_archE1030ELNS1_3gpuE2ELNS1_3repE0EEENS1_30default_config_static_selectorELNS0_4arch9wavefront6targetE1EEEvT1_
    .private_segment_fixed_size: 0
    .sgpr_count:     4
    .sgpr_spill_count: 0
    .symbol:         _ZN7rocprim17ROCPRIM_400000_NS6detail17trampoline_kernelINS0_14default_configENS1_25partition_config_selectorILNS1_17partition_subalgoE1ExNS0_10empty_typeEbEEZZNS1_14partition_implILS5_1ELb0ES3_jN6thrust23THRUST_200600_302600_NS6detail15normal_iteratorINSA_10device_ptrIxEEEEPS6_NSA_18transform_iteratorI7is_evenIxESF_NSA_11use_defaultESK_EENS0_5tupleIJNSA_16discard_iteratorISK_EESO_EEENSM_IJSG_SG_EEES6_PlJS6_EEE10hipError_tPvRmT3_T4_T5_T6_T7_T9_mT8_P12ihipStream_tbDpT10_ENKUlT_T0_E_clISt17integral_constantIbLb0EES1B_EEDaS16_S17_EUlS16_E_NS1_11comp_targetILNS1_3genE8ELNS1_11target_archE1030ELNS1_3gpuE2ELNS1_3repE0EEENS1_30default_config_static_selectorELNS0_4arch9wavefront6targetE1EEEvT1_.kd
    .uniform_work_group_size: 1
    .uses_dynamic_stack: false
    .vgpr_count:     0
    .vgpr_spill_count: 0
    .wavefront_size: 64
  - .agpr_count:     0
    .args:
      - .offset:         0
        .size:           160
        .value_kind:     by_value
    .group_segment_fixed_size: 0
    .kernarg_segment_align: 8
    .kernarg_segment_size: 160
    .language:       OpenCL C
    .language_version:
      - 2
      - 0
    .max_flat_workgroup_size: 128
    .name:           _ZN7rocprim17ROCPRIM_400000_NS6detail17trampoline_kernelINS0_14default_configENS1_25partition_config_selectorILNS1_17partition_subalgoE1ExNS0_10empty_typeEbEEZZNS1_14partition_implILS5_1ELb0ES3_jN6thrust23THRUST_200600_302600_NS6detail15normal_iteratorINSA_10device_ptrIxEEEEPS6_NSA_18transform_iteratorI7is_evenIxESF_NSA_11use_defaultESK_EENS0_5tupleIJNSA_16discard_iteratorISK_EESO_EEENSM_IJSG_SG_EEES6_PlJS6_EEE10hipError_tPvRmT3_T4_T5_T6_T7_T9_mT8_P12ihipStream_tbDpT10_ENKUlT_T0_E_clISt17integral_constantIbLb1EES1B_EEDaS16_S17_EUlS16_E_NS1_11comp_targetILNS1_3genE0ELNS1_11target_archE4294967295ELNS1_3gpuE0ELNS1_3repE0EEENS1_30default_config_static_selectorELNS0_4arch9wavefront6targetE1EEEvT1_
    .private_segment_fixed_size: 0
    .sgpr_count:     4
    .sgpr_spill_count: 0
    .symbol:         _ZN7rocprim17ROCPRIM_400000_NS6detail17trampoline_kernelINS0_14default_configENS1_25partition_config_selectorILNS1_17partition_subalgoE1ExNS0_10empty_typeEbEEZZNS1_14partition_implILS5_1ELb0ES3_jN6thrust23THRUST_200600_302600_NS6detail15normal_iteratorINSA_10device_ptrIxEEEEPS6_NSA_18transform_iteratorI7is_evenIxESF_NSA_11use_defaultESK_EENS0_5tupleIJNSA_16discard_iteratorISK_EESO_EEENSM_IJSG_SG_EEES6_PlJS6_EEE10hipError_tPvRmT3_T4_T5_T6_T7_T9_mT8_P12ihipStream_tbDpT10_ENKUlT_T0_E_clISt17integral_constantIbLb1EES1B_EEDaS16_S17_EUlS16_E_NS1_11comp_targetILNS1_3genE0ELNS1_11target_archE4294967295ELNS1_3gpuE0ELNS1_3repE0EEENS1_30default_config_static_selectorELNS0_4arch9wavefront6targetE1EEEvT1_.kd
    .uniform_work_group_size: 1
    .uses_dynamic_stack: false
    .vgpr_count:     0
    .vgpr_spill_count: 0
    .wavefront_size: 64
  - .agpr_count:     0
    .args:
      - .offset:         0
        .size:           160
        .value_kind:     by_value
    .group_segment_fixed_size: 0
    .kernarg_segment_align: 8
    .kernarg_segment_size: 160
    .language:       OpenCL C
    .language_version:
      - 2
      - 0
    .max_flat_workgroup_size: 512
    .name:           _ZN7rocprim17ROCPRIM_400000_NS6detail17trampoline_kernelINS0_14default_configENS1_25partition_config_selectorILNS1_17partition_subalgoE1ExNS0_10empty_typeEbEEZZNS1_14partition_implILS5_1ELb0ES3_jN6thrust23THRUST_200600_302600_NS6detail15normal_iteratorINSA_10device_ptrIxEEEEPS6_NSA_18transform_iteratorI7is_evenIxESF_NSA_11use_defaultESK_EENS0_5tupleIJNSA_16discard_iteratorISK_EESO_EEENSM_IJSG_SG_EEES6_PlJS6_EEE10hipError_tPvRmT3_T4_T5_T6_T7_T9_mT8_P12ihipStream_tbDpT10_ENKUlT_T0_E_clISt17integral_constantIbLb1EES1B_EEDaS16_S17_EUlS16_E_NS1_11comp_targetILNS1_3genE5ELNS1_11target_archE942ELNS1_3gpuE9ELNS1_3repE0EEENS1_30default_config_static_selectorELNS0_4arch9wavefront6targetE1EEEvT1_
    .private_segment_fixed_size: 0
    .sgpr_count:     4
    .sgpr_spill_count: 0
    .symbol:         _ZN7rocprim17ROCPRIM_400000_NS6detail17trampoline_kernelINS0_14default_configENS1_25partition_config_selectorILNS1_17partition_subalgoE1ExNS0_10empty_typeEbEEZZNS1_14partition_implILS5_1ELb0ES3_jN6thrust23THRUST_200600_302600_NS6detail15normal_iteratorINSA_10device_ptrIxEEEEPS6_NSA_18transform_iteratorI7is_evenIxESF_NSA_11use_defaultESK_EENS0_5tupleIJNSA_16discard_iteratorISK_EESO_EEENSM_IJSG_SG_EEES6_PlJS6_EEE10hipError_tPvRmT3_T4_T5_T6_T7_T9_mT8_P12ihipStream_tbDpT10_ENKUlT_T0_E_clISt17integral_constantIbLb1EES1B_EEDaS16_S17_EUlS16_E_NS1_11comp_targetILNS1_3genE5ELNS1_11target_archE942ELNS1_3gpuE9ELNS1_3repE0EEENS1_30default_config_static_selectorELNS0_4arch9wavefront6targetE1EEEvT1_.kd
    .uniform_work_group_size: 1
    .uses_dynamic_stack: false
    .vgpr_count:     0
    .vgpr_spill_count: 0
    .wavefront_size: 64
  - .agpr_count:     0
    .args:
      - .offset:         0
        .size:           160
        .value_kind:     by_value
    .group_segment_fixed_size: 6344
    .kernarg_segment_align: 8
    .kernarg_segment_size: 160
    .language:       OpenCL C
    .language_version:
      - 2
      - 0
    .max_flat_workgroup_size: 192
    .name:           _ZN7rocprim17ROCPRIM_400000_NS6detail17trampoline_kernelINS0_14default_configENS1_25partition_config_selectorILNS1_17partition_subalgoE1ExNS0_10empty_typeEbEEZZNS1_14partition_implILS5_1ELb0ES3_jN6thrust23THRUST_200600_302600_NS6detail15normal_iteratorINSA_10device_ptrIxEEEEPS6_NSA_18transform_iteratorI7is_evenIxESF_NSA_11use_defaultESK_EENS0_5tupleIJNSA_16discard_iteratorISK_EESO_EEENSM_IJSG_SG_EEES6_PlJS6_EEE10hipError_tPvRmT3_T4_T5_T6_T7_T9_mT8_P12ihipStream_tbDpT10_ENKUlT_T0_E_clISt17integral_constantIbLb1EES1B_EEDaS16_S17_EUlS16_E_NS1_11comp_targetILNS1_3genE4ELNS1_11target_archE910ELNS1_3gpuE8ELNS1_3repE0EEENS1_30default_config_static_selectorELNS0_4arch9wavefront6targetE1EEEvT1_
    .private_segment_fixed_size: 0
    .sgpr_count:     40
    .sgpr_spill_count: 0
    .symbol:         _ZN7rocprim17ROCPRIM_400000_NS6detail17trampoline_kernelINS0_14default_configENS1_25partition_config_selectorILNS1_17partition_subalgoE1ExNS0_10empty_typeEbEEZZNS1_14partition_implILS5_1ELb0ES3_jN6thrust23THRUST_200600_302600_NS6detail15normal_iteratorINSA_10device_ptrIxEEEEPS6_NSA_18transform_iteratorI7is_evenIxESF_NSA_11use_defaultESK_EENS0_5tupleIJNSA_16discard_iteratorISK_EESO_EEENSM_IJSG_SG_EEES6_PlJS6_EEE10hipError_tPvRmT3_T4_T5_T6_T7_T9_mT8_P12ihipStream_tbDpT10_ENKUlT_T0_E_clISt17integral_constantIbLb1EES1B_EEDaS16_S17_EUlS16_E_NS1_11comp_targetILNS1_3genE4ELNS1_11target_archE910ELNS1_3gpuE8ELNS1_3repE0EEENS1_30default_config_static_selectorELNS0_4arch9wavefront6targetE1EEEvT1_.kd
    .uniform_work_group_size: 1
    .uses_dynamic_stack: false
    .vgpr_count:     44
    .vgpr_spill_count: 0
    .wavefront_size: 64
  - .agpr_count:     0
    .args:
      - .offset:         0
        .size:           160
        .value_kind:     by_value
    .group_segment_fixed_size: 0
    .kernarg_segment_align: 8
    .kernarg_segment_size: 160
    .language:       OpenCL C
    .language_version:
      - 2
      - 0
    .max_flat_workgroup_size: 128
    .name:           _ZN7rocprim17ROCPRIM_400000_NS6detail17trampoline_kernelINS0_14default_configENS1_25partition_config_selectorILNS1_17partition_subalgoE1ExNS0_10empty_typeEbEEZZNS1_14partition_implILS5_1ELb0ES3_jN6thrust23THRUST_200600_302600_NS6detail15normal_iteratorINSA_10device_ptrIxEEEEPS6_NSA_18transform_iteratorI7is_evenIxESF_NSA_11use_defaultESK_EENS0_5tupleIJNSA_16discard_iteratorISK_EESO_EEENSM_IJSG_SG_EEES6_PlJS6_EEE10hipError_tPvRmT3_T4_T5_T6_T7_T9_mT8_P12ihipStream_tbDpT10_ENKUlT_T0_E_clISt17integral_constantIbLb1EES1B_EEDaS16_S17_EUlS16_E_NS1_11comp_targetILNS1_3genE3ELNS1_11target_archE908ELNS1_3gpuE7ELNS1_3repE0EEENS1_30default_config_static_selectorELNS0_4arch9wavefront6targetE1EEEvT1_
    .private_segment_fixed_size: 0
    .sgpr_count:     4
    .sgpr_spill_count: 0
    .symbol:         _ZN7rocprim17ROCPRIM_400000_NS6detail17trampoline_kernelINS0_14default_configENS1_25partition_config_selectorILNS1_17partition_subalgoE1ExNS0_10empty_typeEbEEZZNS1_14partition_implILS5_1ELb0ES3_jN6thrust23THRUST_200600_302600_NS6detail15normal_iteratorINSA_10device_ptrIxEEEEPS6_NSA_18transform_iteratorI7is_evenIxESF_NSA_11use_defaultESK_EENS0_5tupleIJNSA_16discard_iteratorISK_EESO_EEENSM_IJSG_SG_EEES6_PlJS6_EEE10hipError_tPvRmT3_T4_T5_T6_T7_T9_mT8_P12ihipStream_tbDpT10_ENKUlT_T0_E_clISt17integral_constantIbLb1EES1B_EEDaS16_S17_EUlS16_E_NS1_11comp_targetILNS1_3genE3ELNS1_11target_archE908ELNS1_3gpuE7ELNS1_3repE0EEENS1_30default_config_static_selectorELNS0_4arch9wavefront6targetE1EEEvT1_.kd
    .uniform_work_group_size: 1
    .uses_dynamic_stack: false
    .vgpr_count:     0
    .vgpr_spill_count: 0
    .wavefront_size: 64
  - .agpr_count:     0
    .args:
      - .offset:         0
        .size:           160
        .value_kind:     by_value
    .group_segment_fixed_size: 0
    .kernarg_segment_align: 8
    .kernarg_segment_size: 160
    .language:       OpenCL C
    .language_version:
      - 2
      - 0
    .max_flat_workgroup_size: 256
    .name:           _ZN7rocprim17ROCPRIM_400000_NS6detail17trampoline_kernelINS0_14default_configENS1_25partition_config_selectorILNS1_17partition_subalgoE1ExNS0_10empty_typeEbEEZZNS1_14partition_implILS5_1ELb0ES3_jN6thrust23THRUST_200600_302600_NS6detail15normal_iteratorINSA_10device_ptrIxEEEEPS6_NSA_18transform_iteratorI7is_evenIxESF_NSA_11use_defaultESK_EENS0_5tupleIJNSA_16discard_iteratorISK_EESO_EEENSM_IJSG_SG_EEES6_PlJS6_EEE10hipError_tPvRmT3_T4_T5_T6_T7_T9_mT8_P12ihipStream_tbDpT10_ENKUlT_T0_E_clISt17integral_constantIbLb1EES1B_EEDaS16_S17_EUlS16_E_NS1_11comp_targetILNS1_3genE2ELNS1_11target_archE906ELNS1_3gpuE6ELNS1_3repE0EEENS1_30default_config_static_selectorELNS0_4arch9wavefront6targetE1EEEvT1_
    .private_segment_fixed_size: 0
    .sgpr_count:     4
    .sgpr_spill_count: 0
    .symbol:         _ZN7rocprim17ROCPRIM_400000_NS6detail17trampoline_kernelINS0_14default_configENS1_25partition_config_selectorILNS1_17partition_subalgoE1ExNS0_10empty_typeEbEEZZNS1_14partition_implILS5_1ELb0ES3_jN6thrust23THRUST_200600_302600_NS6detail15normal_iteratorINSA_10device_ptrIxEEEEPS6_NSA_18transform_iteratorI7is_evenIxESF_NSA_11use_defaultESK_EENS0_5tupleIJNSA_16discard_iteratorISK_EESO_EEENSM_IJSG_SG_EEES6_PlJS6_EEE10hipError_tPvRmT3_T4_T5_T6_T7_T9_mT8_P12ihipStream_tbDpT10_ENKUlT_T0_E_clISt17integral_constantIbLb1EES1B_EEDaS16_S17_EUlS16_E_NS1_11comp_targetILNS1_3genE2ELNS1_11target_archE906ELNS1_3gpuE6ELNS1_3repE0EEENS1_30default_config_static_selectorELNS0_4arch9wavefront6targetE1EEEvT1_.kd
    .uniform_work_group_size: 1
    .uses_dynamic_stack: false
    .vgpr_count:     0
    .vgpr_spill_count: 0
    .wavefront_size: 64
  - .agpr_count:     0
    .args:
      - .offset:         0
        .size:           160
        .value_kind:     by_value
    .group_segment_fixed_size: 0
    .kernarg_segment_align: 8
    .kernarg_segment_size: 160
    .language:       OpenCL C
    .language_version:
      - 2
      - 0
    .max_flat_workgroup_size: 256
    .name:           _ZN7rocprim17ROCPRIM_400000_NS6detail17trampoline_kernelINS0_14default_configENS1_25partition_config_selectorILNS1_17partition_subalgoE1ExNS0_10empty_typeEbEEZZNS1_14partition_implILS5_1ELb0ES3_jN6thrust23THRUST_200600_302600_NS6detail15normal_iteratorINSA_10device_ptrIxEEEEPS6_NSA_18transform_iteratorI7is_evenIxESF_NSA_11use_defaultESK_EENS0_5tupleIJNSA_16discard_iteratorISK_EESO_EEENSM_IJSG_SG_EEES6_PlJS6_EEE10hipError_tPvRmT3_T4_T5_T6_T7_T9_mT8_P12ihipStream_tbDpT10_ENKUlT_T0_E_clISt17integral_constantIbLb1EES1B_EEDaS16_S17_EUlS16_E_NS1_11comp_targetILNS1_3genE10ELNS1_11target_archE1200ELNS1_3gpuE4ELNS1_3repE0EEENS1_30default_config_static_selectorELNS0_4arch9wavefront6targetE1EEEvT1_
    .private_segment_fixed_size: 0
    .sgpr_count:     4
    .sgpr_spill_count: 0
    .symbol:         _ZN7rocprim17ROCPRIM_400000_NS6detail17trampoline_kernelINS0_14default_configENS1_25partition_config_selectorILNS1_17partition_subalgoE1ExNS0_10empty_typeEbEEZZNS1_14partition_implILS5_1ELb0ES3_jN6thrust23THRUST_200600_302600_NS6detail15normal_iteratorINSA_10device_ptrIxEEEEPS6_NSA_18transform_iteratorI7is_evenIxESF_NSA_11use_defaultESK_EENS0_5tupleIJNSA_16discard_iteratorISK_EESO_EEENSM_IJSG_SG_EEES6_PlJS6_EEE10hipError_tPvRmT3_T4_T5_T6_T7_T9_mT8_P12ihipStream_tbDpT10_ENKUlT_T0_E_clISt17integral_constantIbLb1EES1B_EEDaS16_S17_EUlS16_E_NS1_11comp_targetILNS1_3genE10ELNS1_11target_archE1200ELNS1_3gpuE4ELNS1_3repE0EEENS1_30default_config_static_selectorELNS0_4arch9wavefront6targetE1EEEvT1_.kd
    .uniform_work_group_size: 1
    .uses_dynamic_stack: false
    .vgpr_count:     0
    .vgpr_spill_count: 0
    .wavefront_size: 64
  - .agpr_count:     0
    .args:
      - .offset:         0
        .size:           160
        .value_kind:     by_value
    .group_segment_fixed_size: 0
    .kernarg_segment_align: 8
    .kernarg_segment_size: 160
    .language:       OpenCL C
    .language_version:
      - 2
      - 0
    .max_flat_workgroup_size: 128
    .name:           _ZN7rocprim17ROCPRIM_400000_NS6detail17trampoline_kernelINS0_14default_configENS1_25partition_config_selectorILNS1_17partition_subalgoE1ExNS0_10empty_typeEbEEZZNS1_14partition_implILS5_1ELb0ES3_jN6thrust23THRUST_200600_302600_NS6detail15normal_iteratorINSA_10device_ptrIxEEEEPS6_NSA_18transform_iteratorI7is_evenIxESF_NSA_11use_defaultESK_EENS0_5tupleIJNSA_16discard_iteratorISK_EESO_EEENSM_IJSG_SG_EEES6_PlJS6_EEE10hipError_tPvRmT3_T4_T5_T6_T7_T9_mT8_P12ihipStream_tbDpT10_ENKUlT_T0_E_clISt17integral_constantIbLb1EES1B_EEDaS16_S17_EUlS16_E_NS1_11comp_targetILNS1_3genE9ELNS1_11target_archE1100ELNS1_3gpuE3ELNS1_3repE0EEENS1_30default_config_static_selectorELNS0_4arch9wavefront6targetE1EEEvT1_
    .private_segment_fixed_size: 0
    .sgpr_count:     4
    .sgpr_spill_count: 0
    .symbol:         _ZN7rocprim17ROCPRIM_400000_NS6detail17trampoline_kernelINS0_14default_configENS1_25partition_config_selectorILNS1_17partition_subalgoE1ExNS0_10empty_typeEbEEZZNS1_14partition_implILS5_1ELb0ES3_jN6thrust23THRUST_200600_302600_NS6detail15normal_iteratorINSA_10device_ptrIxEEEEPS6_NSA_18transform_iteratorI7is_evenIxESF_NSA_11use_defaultESK_EENS0_5tupleIJNSA_16discard_iteratorISK_EESO_EEENSM_IJSG_SG_EEES6_PlJS6_EEE10hipError_tPvRmT3_T4_T5_T6_T7_T9_mT8_P12ihipStream_tbDpT10_ENKUlT_T0_E_clISt17integral_constantIbLb1EES1B_EEDaS16_S17_EUlS16_E_NS1_11comp_targetILNS1_3genE9ELNS1_11target_archE1100ELNS1_3gpuE3ELNS1_3repE0EEENS1_30default_config_static_selectorELNS0_4arch9wavefront6targetE1EEEvT1_.kd
    .uniform_work_group_size: 1
    .uses_dynamic_stack: false
    .vgpr_count:     0
    .vgpr_spill_count: 0
    .wavefront_size: 64
  - .agpr_count:     0
    .args:
      - .offset:         0
        .size:           160
        .value_kind:     by_value
    .group_segment_fixed_size: 0
    .kernarg_segment_align: 8
    .kernarg_segment_size: 160
    .language:       OpenCL C
    .language_version:
      - 2
      - 0
    .max_flat_workgroup_size: 512
    .name:           _ZN7rocprim17ROCPRIM_400000_NS6detail17trampoline_kernelINS0_14default_configENS1_25partition_config_selectorILNS1_17partition_subalgoE1ExNS0_10empty_typeEbEEZZNS1_14partition_implILS5_1ELb0ES3_jN6thrust23THRUST_200600_302600_NS6detail15normal_iteratorINSA_10device_ptrIxEEEEPS6_NSA_18transform_iteratorI7is_evenIxESF_NSA_11use_defaultESK_EENS0_5tupleIJNSA_16discard_iteratorISK_EESO_EEENSM_IJSG_SG_EEES6_PlJS6_EEE10hipError_tPvRmT3_T4_T5_T6_T7_T9_mT8_P12ihipStream_tbDpT10_ENKUlT_T0_E_clISt17integral_constantIbLb1EES1B_EEDaS16_S17_EUlS16_E_NS1_11comp_targetILNS1_3genE8ELNS1_11target_archE1030ELNS1_3gpuE2ELNS1_3repE0EEENS1_30default_config_static_selectorELNS0_4arch9wavefront6targetE1EEEvT1_
    .private_segment_fixed_size: 0
    .sgpr_count:     4
    .sgpr_spill_count: 0
    .symbol:         _ZN7rocprim17ROCPRIM_400000_NS6detail17trampoline_kernelINS0_14default_configENS1_25partition_config_selectorILNS1_17partition_subalgoE1ExNS0_10empty_typeEbEEZZNS1_14partition_implILS5_1ELb0ES3_jN6thrust23THRUST_200600_302600_NS6detail15normal_iteratorINSA_10device_ptrIxEEEEPS6_NSA_18transform_iteratorI7is_evenIxESF_NSA_11use_defaultESK_EENS0_5tupleIJNSA_16discard_iteratorISK_EESO_EEENSM_IJSG_SG_EEES6_PlJS6_EEE10hipError_tPvRmT3_T4_T5_T6_T7_T9_mT8_P12ihipStream_tbDpT10_ENKUlT_T0_E_clISt17integral_constantIbLb1EES1B_EEDaS16_S17_EUlS16_E_NS1_11comp_targetILNS1_3genE8ELNS1_11target_archE1030ELNS1_3gpuE2ELNS1_3repE0EEENS1_30default_config_static_selectorELNS0_4arch9wavefront6targetE1EEEvT1_.kd
    .uniform_work_group_size: 1
    .uses_dynamic_stack: false
    .vgpr_count:     0
    .vgpr_spill_count: 0
    .wavefront_size: 64
  - .agpr_count:     0
    .args:
      - .offset:         0
        .size:           144
        .value_kind:     by_value
    .group_segment_fixed_size: 0
    .kernarg_segment_align: 8
    .kernarg_segment_size: 144
    .language:       OpenCL C
    .language_version:
      - 2
      - 0
    .max_flat_workgroup_size: 128
    .name:           _ZN7rocprim17ROCPRIM_400000_NS6detail17trampoline_kernelINS0_14default_configENS1_25partition_config_selectorILNS1_17partition_subalgoE1ExNS0_10empty_typeEbEEZZNS1_14partition_implILS5_1ELb0ES3_jN6thrust23THRUST_200600_302600_NS6detail15normal_iteratorINSA_10device_ptrIxEEEEPS6_NSA_18transform_iteratorI7is_evenIxESF_NSA_11use_defaultESK_EENS0_5tupleIJNSA_16discard_iteratorISK_EESO_EEENSM_IJSG_SG_EEES6_PlJS6_EEE10hipError_tPvRmT3_T4_T5_T6_T7_T9_mT8_P12ihipStream_tbDpT10_ENKUlT_T0_E_clISt17integral_constantIbLb1EES1A_IbLb0EEEEDaS16_S17_EUlS16_E_NS1_11comp_targetILNS1_3genE0ELNS1_11target_archE4294967295ELNS1_3gpuE0ELNS1_3repE0EEENS1_30default_config_static_selectorELNS0_4arch9wavefront6targetE1EEEvT1_
    .private_segment_fixed_size: 0
    .sgpr_count:     4
    .sgpr_spill_count: 0
    .symbol:         _ZN7rocprim17ROCPRIM_400000_NS6detail17trampoline_kernelINS0_14default_configENS1_25partition_config_selectorILNS1_17partition_subalgoE1ExNS0_10empty_typeEbEEZZNS1_14partition_implILS5_1ELb0ES3_jN6thrust23THRUST_200600_302600_NS6detail15normal_iteratorINSA_10device_ptrIxEEEEPS6_NSA_18transform_iteratorI7is_evenIxESF_NSA_11use_defaultESK_EENS0_5tupleIJNSA_16discard_iteratorISK_EESO_EEENSM_IJSG_SG_EEES6_PlJS6_EEE10hipError_tPvRmT3_T4_T5_T6_T7_T9_mT8_P12ihipStream_tbDpT10_ENKUlT_T0_E_clISt17integral_constantIbLb1EES1A_IbLb0EEEEDaS16_S17_EUlS16_E_NS1_11comp_targetILNS1_3genE0ELNS1_11target_archE4294967295ELNS1_3gpuE0ELNS1_3repE0EEENS1_30default_config_static_selectorELNS0_4arch9wavefront6targetE1EEEvT1_.kd
    .uniform_work_group_size: 1
    .uses_dynamic_stack: false
    .vgpr_count:     0
    .vgpr_spill_count: 0
    .wavefront_size: 64
  - .agpr_count:     0
    .args:
      - .offset:         0
        .size:           144
        .value_kind:     by_value
    .group_segment_fixed_size: 0
    .kernarg_segment_align: 8
    .kernarg_segment_size: 144
    .language:       OpenCL C
    .language_version:
      - 2
      - 0
    .max_flat_workgroup_size: 512
    .name:           _ZN7rocprim17ROCPRIM_400000_NS6detail17trampoline_kernelINS0_14default_configENS1_25partition_config_selectorILNS1_17partition_subalgoE1ExNS0_10empty_typeEbEEZZNS1_14partition_implILS5_1ELb0ES3_jN6thrust23THRUST_200600_302600_NS6detail15normal_iteratorINSA_10device_ptrIxEEEEPS6_NSA_18transform_iteratorI7is_evenIxESF_NSA_11use_defaultESK_EENS0_5tupleIJNSA_16discard_iteratorISK_EESO_EEENSM_IJSG_SG_EEES6_PlJS6_EEE10hipError_tPvRmT3_T4_T5_T6_T7_T9_mT8_P12ihipStream_tbDpT10_ENKUlT_T0_E_clISt17integral_constantIbLb1EES1A_IbLb0EEEEDaS16_S17_EUlS16_E_NS1_11comp_targetILNS1_3genE5ELNS1_11target_archE942ELNS1_3gpuE9ELNS1_3repE0EEENS1_30default_config_static_selectorELNS0_4arch9wavefront6targetE1EEEvT1_
    .private_segment_fixed_size: 0
    .sgpr_count:     4
    .sgpr_spill_count: 0
    .symbol:         _ZN7rocprim17ROCPRIM_400000_NS6detail17trampoline_kernelINS0_14default_configENS1_25partition_config_selectorILNS1_17partition_subalgoE1ExNS0_10empty_typeEbEEZZNS1_14partition_implILS5_1ELb0ES3_jN6thrust23THRUST_200600_302600_NS6detail15normal_iteratorINSA_10device_ptrIxEEEEPS6_NSA_18transform_iteratorI7is_evenIxESF_NSA_11use_defaultESK_EENS0_5tupleIJNSA_16discard_iteratorISK_EESO_EEENSM_IJSG_SG_EEES6_PlJS6_EEE10hipError_tPvRmT3_T4_T5_T6_T7_T9_mT8_P12ihipStream_tbDpT10_ENKUlT_T0_E_clISt17integral_constantIbLb1EES1A_IbLb0EEEEDaS16_S17_EUlS16_E_NS1_11comp_targetILNS1_3genE5ELNS1_11target_archE942ELNS1_3gpuE9ELNS1_3repE0EEENS1_30default_config_static_selectorELNS0_4arch9wavefront6targetE1EEEvT1_.kd
    .uniform_work_group_size: 1
    .uses_dynamic_stack: false
    .vgpr_count:     0
    .vgpr_spill_count: 0
    .wavefront_size: 64
  - .agpr_count:     0
    .args:
      - .offset:         0
        .size:           144
        .value_kind:     by_value
    .group_segment_fixed_size: 6344
    .kernarg_segment_align: 8
    .kernarg_segment_size: 144
    .language:       OpenCL C
    .language_version:
      - 2
      - 0
    .max_flat_workgroup_size: 192
    .name:           _ZN7rocprim17ROCPRIM_400000_NS6detail17trampoline_kernelINS0_14default_configENS1_25partition_config_selectorILNS1_17partition_subalgoE1ExNS0_10empty_typeEbEEZZNS1_14partition_implILS5_1ELb0ES3_jN6thrust23THRUST_200600_302600_NS6detail15normal_iteratorINSA_10device_ptrIxEEEEPS6_NSA_18transform_iteratorI7is_evenIxESF_NSA_11use_defaultESK_EENS0_5tupleIJNSA_16discard_iteratorISK_EESO_EEENSM_IJSG_SG_EEES6_PlJS6_EEE10hipError_tPvRmT3_T4_T5_T6_T7_T9_mT8_P12ihipStream_tbDpT10_ENKUlT_T0_E_clISt17integral_constantIbLb1EES1A_IbLb0EEEEDaS16_S17_EUlS16_E_NS1_11comp_targetILNS1_3genE4ELNS1_11target_archE910ELNS1_3gpuE8ELNS1_3repE0EEENS1_30default_config_static_selectorELNS0_4arch9wavefront6targetE1EEEvT1_
    .private_segment_fixed_size: 0
    .sgpr_count:     40
    .sgpr_spill_count: 0
    .symbol:         _ZN7rocprim17ROCPRIM_400000_NS6detail17trampoline_kernelINS0_14default_configENS1_25partition_config_selectorILNS1_17partition_subalgoE1ExNS0_10empty_typeEbEEZZNS1_14partition_implILS5_1ELb0ES3_jN6thrust23THRUST_200600_302600_NS6detail15normal_iteratorINSA_10device_ptrIxEEEEPS6_NSA_18transform_iteratorI7is_evenIxESF_NSA_11use_defaultESK_EENS0_5tupleIJNSA_16discard_iteratorISK_EESO_EEENSM_IJSG_SG_EEES6_PlJS6_EEE10hipError_tPvRmT3_T4_T5_T6_T7_T9_mT8_P12ihipStream_tbDpT10_ENKUlT_T0_E_clISt17integral_constantIbLb1EES1A_IbLb0EEEEDaS16_S17_EUlS16_E_NS1_11comp_targetILNS1_3genE4ELNS1_11target_archE910ELNS1_3gpuE8ELNS1_3repE0EEENS1_30default_config_static_selectorELNS0_4arch9wavefront6targetE1EEEvT1_.kd
    .uniform_work_group_size: 1
    .uses_dynamic_stack: false
    .vgpr_count:     42
    .vgpr_spill_count: 0
    .wavefront_size: 64
  - .agpr_count:     0
    .args:
      - .offset:         0
        .size:           144
        .value_kind:     by_value
    .group_segment_fixed_size: 0
    .kernarg_segment_align: 8
    .kernarg_segment_size: 144
    .language:       OpenCL C
    .language_version:
      - 2
      - 0
    .max_flat_workgroup_size: 128
    .name:           _ZN7rocprim17ROCPRIM_400000_NS6detail17trampoline_kernelINS0_14default_configENS1_25partition_config_selectorILNS1_17partition_subalgoE1ExNS0_10empty_typeEbEEZZNS1_14partition_implILS5_1ELb0ES3_jN6thrust23THRUST_200600_302600_NS6detail15normal_iteratorINSA_10device_ptrIxEEEEPS6_NSA_18transform_iteratorI7is_evenIxESF_NSA_11use_defaultESK_EENS0_5tupleIJNSA_16discard_iteratorISK_EESO_EEENSM_IJSG_SG_EEES6_PlJS6_EEE10hipError_tPvRmT3_T4_T5_T6_T7_T9_mT8_P12ihipStream_tbDpT10_ENKUlT_T0_E_clISt17integral_constantIbLb1EES1A_IbLb0EEEEDaS16_S17_EUlS16_E_NS1_11comp_targetILNS1_3genE3ELNS1_11target_archE908ELNS1_3gpuE7ELNS1_3repE0EEENS1_30default_config_static_selectorELNS0_4arch9wavefront6targetE1EEEvT1_
    .private_segment_fixed_size: 0
    .sgpr_count:     4
    .sgpr_spill_count: 0
    .symbol:         _ZN7rocprim17ROCPRIM_400000_NS6detail17trampoline_kernelINS0_14default_configENS1_25partition_config_selectorILNS1_17partition_subalgoE1ExNS0_10empty_typeEbEEZZNS1_14partition_implILS5_1ELb0ES3_jN6thrust23THRUST_200600_302600_NS6detail15normal_iteratorINSA_10device_ptrIxEEEEPS6_NSA_18transform_iteratorI7is_evenIxESF_NSA_11use_defaultESK_EENS0_5tupleIJNSA_16discard_iteratorISK_EESO_EEENSM_IJSG_SG_EEES6_PlJS6_EEE10hipError_tPvRmT3_T4_T5_T6_T7_T9_mT8_P12ihipStream_tbDpT10_ENKUlT_T0_E_clISt17integral_constantIbLb1EES1A_IbLb0EEEEDaS16_S17_EUlS16_E_NS1_11comp_targetILNS1_3genE3ELNS1_11target_archE908ELNS1_3gpuE7ELNS1_3repE0EEENS1_30default_config_static_selectorELNS0_4arch9wavefront6targetE1EEEvT1_.kd
    .uniform_work_group_size: 1
    .uses_dynamic_stack: false
    .vgpr_count:     0
    .vgpr_spill_count: 0
    .wavefront_size: 64
  - .agpr_count:     0
    .args:
      - .offset:         0
        .size:           144
        .value_kind:     by_value
    .group_segment_fixed_size: 0
    .kernarg_segment_align: 8
    .kernarg_segment_size: 144
    .language:       OpenCL C
    .language_version:
      - 2
      - 0
    .max_flat_workgroup_size: 256
    .name:           _ZN7rocprim17ROCPRIM_400000_NS6detail17trampoline_kernelINS0_14default_configENS1_25partition_config_selectorILNS1_17partition_subalgoE1ExNS0_10empty_typeEbEEZZNS1_14partition_implILS5_1ELb0ES3_jN6thrust23THRUST_200600_302600_NS6detail15normal_iteratorINSA_10device_ptrIxEEEEPS6_NSA_18transform_iteratorI7is_evenIxESF_NSA_11use_defaultESK_EENS0_5tupleIJNSA_16discard_iteratorISK_EESO_EEENSM_IJSG_SG_EEES6_PlJS6_EEE10hipError_tPvRmT3_T4_T5_T6_T7_T9_mT8_P12ihipStream_tbDpT10_ENKUlT_T0_E_clISt17integral_constantIbLb1EES1A_IbLb0EEEEDaS16_S17_EUlS16_E_NS1_11comp_targetILNS1_3genE2ELNS1_11target_archE906ELNS1_3gpuE6ELNS1_3repE0EEENS1_30default_config_static_selectorELNS0_4arch9wavefront6targetE1EEEvT1_
    .private_segment_fixed_size: 0
    .sgpr_count:     4
    .sgpr_spill_count: 0
    .symbol:         _ZN7rocprim17ROCPRIM_400000_NS6detail17trampoline_kernelINS0_14default_configENS1_25partition_config_selectorILNS1_17partition_subalgoE1ExNS0_10empty_typeEbEEZZNS1_14partition_implILS5_1ELb0ES3_jN6thrust23THRUST_200600_302600_NS6detail15normal_iteratorINSA_10device_ptrIxEEEEPS6_NSA_18transform_iteratorI7is_evenIxESF_NSA_11use_defaultESK_EENS0_5tupleIJNSA_16discard_iteratorISK_EESO_EEENSM_IJSG_SG_EEES6_PlJS6_EEE10hipError_tPvRmT3_T4_T5_T6_T7_T9_mT8_P12ihipStream_tbDpT10_ENKUlT_T0_E_clISt17integral_constantIbLb1EES1A_IbLb0EEEEDaS16_S17_EUlS16_E_NS1_11comp_targetILNS1_3genE2ELNS1_11target_archE906ELNS1_3gpuE6ELNS1_3repE0EEENS1_30default_config_static_selectorELNS0_4arch9wavefront6targetE1EEEvT1_.kd
    .uniform_work_group_size: 1
    .uses_dynamic_stack: false
    .vgpr_count:     0
    .vgpr_spill_count: 0
    .wavefront_size: 64
  - .agpr_count:     0
    .args:
      - .offset:         0
        .size:           144
        .value_kind:     by_value
    .group_segment_fixed_size: 0
    .kernarg_segment_align: 8
    .kernarg_segment_size: 144
    .language:       OpenCL C
    .language_version:
      - 2
      - 0
    .max_flat_workgroup_size: 256
    .name:           _ZN7rocprim17ROCPRIM_400000_NS6detail17trampoline_kernelINS0_14default_configENS1_25partition_config_selectorILNS1_17partition_subalgoE1ExNS0_10empty_typeEbEEZZNS1_14partition_implILS5_1ELb0ES3_jN6thrust23THRUST_200600_302600_NS6detail15normal_iteratorINSA_10device_ptrIxEEEEPS6_NSA_18transform_iteratorI7is_evenIxESF_NSA_11use_defaultESK_EENS0_5tupleIJNSA_16discard_iteratorISK_EESO_EEENSM_IJSG_SG_EEES6_PlJS6_EEE10hipError_tPvRmT3_T4_T5_T6_T7_T9_mT8_P12ihipStream_tbDpT10_ENKUlT_T0_E_clISt17integral_constantIbLb1EES1A_IbLb0EEEEDaS16_S17_EUlS16_E_NS1_11comp_targetILNS1_3genE10ELNS1_11target_archE1200ELNS1_3gpuE4ELNS1_3repE0EEENS1_30default_config_static_selectorELNS0_4arch9wavefront6targetE1EEEvT1_
    .private_segment_fixed_size: 0
    .sgpr_count:     4
    .sgpr_spill_count: 0
    .symbol:         _ZN7rocprim17ROCPRIM_400000_NS6detail17trampoline_kernelINS0_14default_configENS1_25partition_config_selectorILNS1_17partition_subalgoE1ExNS0_10empty_typeEbEEZZNS1_14partition_implILS5_1ELb0ES3_jN6thrust23THRUST_200600_302600_NS6detail15normal_iteratorINSA_10device_ptrIxEEEEPS6_NSA_18transform_iteratorI7is_evenIxESF_NSA_11use_defaultESK_EENS0_5tupleIJNSA_16discard_iteratorISK_EESO_EEENSM_IJSG_SG_EEES6_PlJS6_EEE10hipError_tPvRmT3_T4_T5_T6_T7_T9_mT8_P12ihipStream_tbDpT10_ENKUlT_T0_E_clISt17integral_constantIbLb1EES1A_IbLb0EEEEDaS16_S17_EUlS16_E_NS1_11comp_targetILNS1_3genE10ELNS1_11target_archE1200ELNS1_3gpuE4ELNS1_3repE0EEENS1_30default_config_static_selectorELNS0_4arch9wavefront6targetE1EEEvT1_.kd
    .uniform_work_group_size: 1
    .uses_dynamic_stack: false
    .vgpr_count:     0
    .vgpr_spill_count: 0
    .wavefront_size: 64
  - .agpr_count:     0
    .args:
      - .offset:         0
        .size:           144
        .value_kind:     by_value
    .group_segment_fixed_size: 0
    .kernarg_segment_align: 8
    .kernarg_segment_size: 144
    .language:       OpenCL C
    .language_version:
      - 2
      - 0
    .max_flat_workgroup_size: 128
    .name:           _ZN7rocprim17ROCPRIM_400000_NS6detail17trampoline_kernelINS0_14default_configENS1_25partition_config_selectorILNS1_17partition_subalgoE1ExNS0_10empty_typeEbEEZZNS1_14partition_implILS5_1ELb0ES3_jN6thrust23THRUST_200600_302600_NS6detail15normal_iteratorINSA_10device_ptrIxEEEEPS6_NSA_18transform_iteratorI7is_evenIxESF_NSA_11use_defaultESK_EENS0_5tupleIJNSA_16discard_iteratorISK_EESO_EEENSM_IJSG_SG_EEES6_PlJS6_EEE10hipError_tPvRmT3_T4_T5_T6_T7_T9_mT8_P12ihipStream_tbDpT10_ENKUlT_T0_E_clISt17integral_constantIbLb1EES1A_IbLb0EEEEDaS16_S17_EUlS16_E_NS1_11comp_targetILNS1_3genE9ELNS1_11target_archE1100ELNS1_3gpuE3ELNS1_3repE0EEENS1_30default_config_static_selectorELNS0_4arch9wavefront6targetE1EEEvT1_
    .private_segment_fixed_size: 0
    .sgpr_count:     4
    .sgpr_spill_count: 0
    .symbol:         _ZN7rocprim17ROCPRIM_400000_NS6detail17trampoline_kernelINS0_14default_configENS1_25partition_config_selectorILNS1_17partition_subalgoE1ExNS0_10empty_typeEbEEZZNS1_14partition_implILS5_1ELb0ES3_jN6thrust23THRUST_200600_302600_NS6detail15normal_iteratorINSA_10device_ptrIxEEEEPS6_NSA_18transform_iteratorI7is_evenIxESF_NSA_11use_defaultESK_EENS0_5tupleIJNSA_16discard_iteratorISK_EESO_EEENSM_IJSG_SG_EEES6_PlJS6_EEE10hipError_tPvRmT3_T4_T5_T6_T7_T9_mT8_P12ihipStream_tbDpT10_ENKUlT_T0_E_clISt17integral_constantIbLb1EES1A_IbLb0EEEEDaS16_S17_EUlS16_E_NS1_11comp_targetILNS1_3genE9ELNS1_11target_archE1100ELNS1_3gpuE3ELNS1_3repE0EEENS1_30default_config_static_selectorELNS0_4arch9wavefront6targetE1EEEvT1_.kd
    .uniform_work_group_size: 1
    .uses_dynamic_stack: false
    .vgpr_count:     0
    .vgpr_spill_count: 0
    .wavefront_size: 64
  - .agpr_count:     0
    .args:
      - .offset:         0
        .size:           144
        .value_kind:     by_value
    .group_segment_fixed_size: 0
    .kernarg_segment_align: 8
    .kernarg_segment_size: 144
    .language:       OpenCL C
    .language_version:
      - 2
      - 0
    .max_flat_workgroup_size: 512
    .name:           _ZN7rocprim17ROCPRIM_400000_NS6detail17trampoline_kernelINS0_14default_configENS1_25partition_config_selectorILNS1_17partition_subalgoE1ExNS0_10empty_typeEbEEZZNS1_14partition_implILS5_1ELb0ES3_jN6thrust23THRUST_200600_302600_NS6detail15normal_iteratorINSA_10device_ptrIxEEEEPS6_NSA_18transform_iteratorI7is_evenIxESF_NSA_11use_defaultESK_EENS0_5tupleIJNSA_16discard_iteratorISK_EESO_EEENSM_IJSG_SG_EEES6_PlJS6_EEE10hipError_tPvRmT3_T4_T5_T6_T7_T9_mT8_P12ihipStream_tbDpT10_ENKUlT_T0_E_clISt17integral_constantIbLb1EES1A_IbLb0EEEEDaS16_S17_EUlS16_E_NS1_11comp_targetILNS1_3genE8ELNS1_11target_archE1030ELNS1_3gpuE2ELNS1_3repE0EEENS1_30default_config_static_selectorELNS0_4arch9wavefront6targetE1EEEvT1_
    .private_segment_fixed_size: 0
    .sgpr_count:     4
    .sgpr_spill_count: 0
    .symbol:         _ZN7rocprim17ROCPRIM_400000_NS6detail17trampoline_kernelINS0_14default_configENS1_25partition_config_selectorILNS1_17partition_subalgoE1ExNS0_10empty_typeEbEEZZNS1_14partition_implILS5_1ELb0ES3_jN6thrust23THRUST_200600_302600_NS6detail15normal_iteratorINSA_10device_ptrIxEEEEPS6_NSA_18transform_iteratorI7is_evenIxESF_NSA_11use_defaultESK_EENS0_5tupleIJNSA_16discard_iteratorISK_EESO_EEENSM_IJSG_SG_EEES6_PlJS6_EEE10hipError_tPvRmT3_T4_T5_T6_T7_T9_mT8_P12ihipStream_tbDpT10_ENKUlT_T0_E_clISt17integral_constantIbLb1EES1A_IbLb0EEEEDaS16_S17_EUlS16_E_NS1_11comp_targetILNS1_3genE8ELNS1_11target_archE1030ELNS1_3gpuE2ELNS1_3repE0EEENS1_30default_config_static_selectorELNS0_4arch9wavefront6targetE1EEEvT1_.kd
    .uniform_work_group_size: 1
    .uses_dynamic_stack: false
    .vgpr_count:     0
    .vgpr_spill_count: 0
    .wavefront_size: 64
  - .agpr_count:     0
    .args:
      - .offset:         0
        .size:           160
        .value_kind:     by_value
    .group_segment_fixed_size: 0
    .kernarg_segment_align: 8
    .kernarg_segment_size: 160
    .language:       OpenCL C
    .language_version:
      - 2
      - 0
    .max_flat_workgroup_size: 128
    .name:           _ZN7rocprim17ROCPRIM_400000_NS6detail17trampoline_kernelINS0_14default_configENS1_25partition_config_selectorILNS1_17partition_subalgoE1ExNS0_10empty_typeEbEEZZNS1_14partition_implILS5_1ELb0ES3_jN6thrust23THRUST_200600_302600_NS6detail15normal_iteratorINSA_10device_ptrIxEEEEPS6_NSA_18transform_iteratorI7is_evenIxESF_NSA_11use_defaultESK_EENS0_5tupleIJNSA_16discard_iteratorISK_EESO_EEENSM_IJSG_SG_EEES6_PlJS6_EEE10hipError_tPvRmT3_T4_T5_T6_T7_T9_mT8_P12ihipStream_tbDpT10_ENKUlT_T0_E_clISt17integral_constantIbLb0EES1A_IbLb1EEEEDaS16_S17_EUlS16_E_NS1_11comp_targetILNS1_3genE0ELNS1_11target_archE4294967295ELNS1_3gpuE0ELNS1_3repE0EEENS1_30default_config_static_selectorELNS0_4arch9wavefront6targetE1EEEvT1_
    .private_segment_fixed_size: 0
    .sgpr_count:     4
    .sgpr_spill_count: 0
    .symbol:         _ZN7rocprim17ROCPRIM_400000_NS6detail17trampoline_kernelINS0_14default_configENS1_25partition_config_selectorILNS1_17partition_subalgoE1ExNS0_10empty_typeEbEEZZNS1_14partition_implILS5_1ELb0ES3_jN6thrust23THRUST_200600_302600_NS6detail15normal_iteratorINSA_10device_ptrIxEEEEPS6_NSA_18transform_iteratorI7is_evenIxESF_NSA_11use_defaultESK_EENS0_5tupleIJNSA_16discard_iteratorISK_EESO_EEENSM_IJSG_SG_EEES6_PlJS6_EEE10hipError_tPvRmT3_T4_T5_T6_T7_T9_mT8_P12ihipStream_tbDpT10_ENKUlT_T0_E_clISt17integral_constantIbLb0EES1A_IbLb1EEEEDaS16_S17_EUlS16_E_NS1_11comp_targetILNS1_3genE0ELNS1_11target_archE4294967295ELNS1_3gpuE0ELNS1_3repE0EEENS1_30default_config_static_selectorELNS0_4arch9wavefront6targetE1EEEvT1_.kd
    .uniform_work_group_size: 1
    .uses_dynamic_stack: false
    .vgpr_count:     0
    .vgpr_spill_count: 0
    .wavefront_size: 64
  - .agpr_count:     0
    .args:
      - .offset:         0
        .size:           160
        .value_kind:     by_value
    .group_segment_fixed_size: 0
    .kernarg_segment_align: 8
    .kernarg_segment_size: 160
    .language:       OpenCL C
    .language_version:
      - 2
      - 0
    .max_flat_workgroup_size: 512
    .name:           _ZN7rocprim17ROCPRIM_400000_NS6detail17trampoline_kernelINS0_14default_configENS1_25partition_config_selectorILNS1_17partition_subalgoE1ExNS0_10empty_typeEbEEZZNS1_14partition_implILS5_1ELb0ES3_jN6thrust23THRUST_200600_302600_NS6detail15normal_iteratorINSA_10device_ptrIxEEEEPS6_NSA_18transform_iteratorI7is_evenIxESF_NSA_11use_defaultESK_EENS0_5tupleIJNSA_16discard_iteratorISK_EESO_EEENSM_IJSG_SG_EEES6_PlJS6_EEE10hipError_tPvRmT3_T4_T5_T6_T7_T9_mT8_P12ihipStream_tbDpT10_ENKUlT_T0_E_clISt17integral_constantIbLb0EES1A_IbLb1EEEEDaS16_S17_EUlS16_E_NS1_11comp_targetILNS1_3genE5ELNS1_11target_archE942ELNS1_3gpuE9ELNS1_3repE0EEENS1_30default_config_static_selectorELNS0_4arch9wavefront6targetE1EEEvT1_
    .private_segment_fixed_size: 0
    .sgpr_count:     4
    .sgpr_spill_count: 0
    .symbol:         _ZN7rocprim17ROCPRIM_400000_NS6detail17trampoline_kernelINS0_14default_configENS1_25partition_config_selectorILNS1_17partition_subalgoE1ExNS0_10empty_typeEbEEZZNS1_14partition_implILS5_1ELb0ES3_jN6thrust23THRUST_200600_302600_NS6detail15normal_iteratorINSA_10device_ptrIxEEEEPS6_NSA_18transform_iteratorI7is_evenIxESF_NSA_11use_defaultESK_EENS0_5tupleIJNSA_16discard_iteratorISK_EESO_EEENSM_IJSG_SG_EEES6_PlJS6_EEE10hipError_tPvRmT3_T4_T5_T6_T7_T9_mT8_P12ihipStream_tbDpT10_ENKUlT_T0_E_clISt17integral_constantIbLb0EES1A_IbLb1EEEEDaS16_S17_EUlS16_E_NS1_11comp_targetILNS1_3genE5ELNS1_11target_archE942ELNS1_3gpuE9ELNS1_3repE0EEENS1_30default_config_static_selectorELNS0_4arch9wavefront6targetE1EEEvT1_.kd
    .uniform_work_group_size: 1
    .uses_dynamic_stack: false
    .vgpr_count:     0
    .vgpr_spill_count: 0
    .wavefront_size: 64
  - .agpr_count:     0
    .args:
      - .offset:         0
        .size:           160
        .value_kind:     by_value
    .group_segment_fixed_size: 6344
    .kernarg_segment_align: 8
    .kernarg_segment_size: 160
    .language:       OpenCL C
    .language_version:
      - 2
      - 0
    .max_flat_workgroup_size: 192
    .name:           _ZN7rocprim17ROCPRIM_400000_NS6detail17trampoline_kernelINS0_14default_configENS1_25partition_config_selectorILNS1_17partition_subalgoE1ExNS0_10empty_typeEbEEZZNS1_14partition_implILS5_1ELb0ES3_jN6thrust23THRUST_200600_302600_NS6detail15normal_iteratorINSA_10device_ptrIxEEEEPS6_NSA_18transform_iteratorI7is_evenIxESF_NSA_11use_defaultESK_EENS0_5tupleIJNSA_16discard_iteratorISK_EESO_EEENSM_IJSG_SG_EEES6_PlJS6_EEE10hipError_tPvRmT3_T4_T5_T6_T7_T9_mT8_P12ihipStream_tbDpT10_ENKUlT_T0_E_clISt17integral_constantIbLb0EES1A_IbLb1EEEEDaS16_S17_EUlS16_E_NS1_11comp_targetILNS1_3genE4ELNS1_11target_archE910ELNS1_3gpuE8ELNS1_3repE0EEENS1_30default_config_static_selectorELNS0_4arch9wavefront6targetE1EEEvT1_
    .private_segment_fixed_size: 0
    .sgpr_count:     40
    .sgpr_spill_count: 0
    .symbol:         _ZN7rocprim17ROCPRIM_400000_NS6detail17trampoline_kernelINS0_14default_configENS1_25partition_config_selectorILNS1_17partition_subalgoE1ExNS0_10empty_typeEbEEZZNS1_14partition_implILS5_1ELb0ES3_jN6thrust23THRUST_200600_302600_NS6detail15normal_iteratorINSA_10device_ptrIxEEEEPS6_NSA_18transform_iteratorI7is_evenIxESF_NSA_11use_defaultESK_EENS0_5tupleIJNSA_16discard_iteratorISK_EESO_EEENSM_IJSG_SG_EEES6_PlJS6_EEE10hipError_tPvRmT3_T4_T5_T6_T7_T9_mT8_P12ihipStream_tbDpT10_ENKUlT_T0_E_clISt17integral_constantIbLb0EES1A_IbLb1EEEEDaS16_S17_EUlS16_E_NS1_11comp_targetILNS1_3genE4ELNS1_11target_archE910ELNS1_3gpuE8ELNS1_3repE0EEENS1_30default_config_static_selectorELNS0_4arch9wavefront6targetE1EEEvT1_.kd
    .uniform_work_group_size: 1
    .uses_dynamic_stack: false
    .vgpr_count:     44
    .vgpr_spill_count: 0
    .wavefront_size: 64
  - .agpr_count:     0
    .args:
      - .offset:         0
        .size:           160
        .value_kind:     by_value
    .group_segment_fixed_size: 0
    .kernarg_segment_align: 8
    .kernarg_segment_size: 160
    .language:       OpenCL C
    .language_version:
      - 2
      - 0
    .max_flat_workgroup_size: 128
    .name:           _ZN7rocprim17ROCPRIM_400000_NS6detail17trampoline_kernelINS0_14default_configENS1_25partition_config_selectorILNS1_17partition_subalgoE1ExNS0_10empty_typeEbEEZZNS1_14partition_implILS5_1ELb0ES3_jN6thrust23THRUST_200600_302600_NS6detail15normal_iteratorINSA_10device_ptrIxEEEEPS6_NSA_18transform_iteratorI7is_evenIxESF_NSA_11use_defaultESK_EENS0_5tupleIJNSA_16discard_iteratorISK_EESO_EEENSM_IJSG_SG_EEES6_PlJS6_EEE10hipError_tPvRmT3_T4_T5_T6_T7_T9_mT8_P12ihipStream_tbDpT10_ENKUlT_T0_E_clISt17integral_constantIbLb0EES1A_IbLb1EEEEDaS16_S17_EUlS16_E_NS1_11comp_targetILNS1_3genE3ELNS1_11target_archE908ELNS1_3gpuE7ELNS1_3repE0EEENS1_30default_config_static_selectorELNS0_4arch9wavefront6targetE1EEEvT1_
    .private_segment_fixed_size: 0
    .sgpr_count:     4
    .sgpr_spill_count: 0
    .symbol:         _ZN7rocprim17ROCPRIM_400000_NS6detail17trampoline_kernelINS0_14default_configENS1_25partition_config_selectorILNS1_17partition_subalgoE1ExNS0_10empty_typeEbEEZZNS1_14partition_implILS5_1ELb0ES3_jN6thrust23THRUST_200600_302600_NS6detail15normal_iteratorINSA_10device_ptrIxEEEEPS6_NSA_18transform_iteratorI7is_evenIxESF_NSA_11use_defaultESK_EENS0_5tupleIJNSA_16discard_iteratorISK_EESO_EEENSM_IJSG_SG_EEES6_PlJS6_EEE10hipError_tPvRmT3_T4_T5_T6_T7_T9_mT8_P12ihipStream_tbDpT10_ENKUlT_T0_E_clISt17integral_constantIbLb0EES1A_IbLb1EEEEDaS16_S17_EUlS16_E_NS1_11comp_targetILNS1_3genE3ELNS1_11target_archE908ELNS1_3gpuE7ELNS1_3repE0EEENS1_30default_config_static_selectorELNS0_4arch9wavefront6targetE1EEEvT1_.kd
    .uniform_work_group_size: 1
    .uses_dynamic_stack: false
    .vgpr_count:     0
    .vgpr_spill_count: 0
    .wavefront_size: 64
  - .agpr_count:     0
    .args:
      - .offset:         0
        .size:           160
        .value_kind:     by_value
    .group_segment_fixed_size: 0
    .kernarg_segment_align: 8
    .kernarg_segment_size: 160
    .language:       OpenCL C
    .language_version:
      - 2
      - 0
    .max_flat_workgroup_size: 256
    .name:           _ZN7rocprim17ROCPRIM_400000_NS6detail17trampoline_kernelINS0_14default_configENS1_25partition_config_selectorILNS1_17partition_subalgoE1ExNS0_10empty_typeEbEEZZNS1_14partition_implILS5_1ELb0ES3_jN6thrust23THRUST_200600_302600_NS6detail15normal_iteratorINSA_10device_ptrIxEEEEPS6_NSA_18transform_iteratorI7is_evenIxESF_NSA_11use_defaultESK_EENS0_5tupleIJNSA_16discard_iteratorISK_EESO_EEENSM_IJSG_SG_EEES6_PlJS6_EEE10hipError_tPvRmT3_T4_T5_T6_T7_T9_mT8_P12ihipStream_tbDpT10_ENKUlT_T0_E_clISt17integral_constantIbLb0EES1A_IbLb1EEEEDaS16_S17_EUlS16_E_NS1_11comp_targetILNS1_3genE2ELNS1_11target_archE906ELNS1_3gpuE6ELNS1_3repE0EEENS1_30default_config_static_selectorELNS0_4arch9wavefront6targetE1EEEvT1_
    .private_segment_fixed_size: 0
    .sgpr_count:     4
    .sgpr_spill_count: 0
    .symbol:         _ZN7rocprim17ROCPRIM_400000_NS6detail17trampoline_kernelINS0_14default_configENS1_25partition_config_selectorILNS1_17partition_subalgoE1ExNS0_10empty_typeEbEEZZNS1_14partition_implILS5_1ELb0ES3_jN6thrust23THRUST_200600_302600_NS6detail15normal_iteratorINSA_10device_ptrIxEEEEPS6_NSA_18transform_iteratorI7is_evenIxESF_NSA_11use_defaultESK_EENS0_5tupleIJNSA_16discard_iteratorISK_EESO_EEENSM_IJSG_SG_EEES6_PlJS6_EEE10hipError_tPvRmT3_T4_T5_T6_T7_T9_mT8_P12ihipStream_tbDpT10_ENKUlT_T0_E_clISt17integral_constantIbLb0EES1A_IbLb1EEEEDaS16_S17_EUlS16_E_NS1_11comp_targetILNS1_3genE2ELNS1_11target_archE906ELNS1_3gpuE6ELNS1_3repE0EEENS1_30default_config_static_selectorELNS0_4arch9wavefront6targetE1EEEvT1_.kd
    .uniform_work_group_size: 1
    .uses_dynamic_stack: false
    .vgpr_count:     0
    .vgpr_spill_count: 0
    .wavefront_size: 64
  - .agpr_count:     0
    .args:
      - .offset:         0
        .size:           160
        .value_kind:     by_value
    .group_segment_fixed_size: 0
    .kernarg_segment_align: 8
    .kernarg_segment_size: 160
    .language:       OpenCL C
    .language_version:
      - 2
      - 0
    .max_flat_workgroup_size: 256
    .name:           _ZN7rocprim17ROCPRIM_400000_NS6detail17trampoline_kernelINS0_14default_configENS1_25partition_config_selectorILNS1_17partition_subalgoE1ExNS0_10empty_typeEbEEZZNS1_14partition_implILS5_1ELb0ES3_jN6thrust23THRUST_200600_302600_NS6detail15normal_iteratorINSA_10device_ptrIxEEEEPS6_NSA_18transform_iteratorI7is_evenIxESF_NSA_11use_defaultESK_EENS0_5tupleIJNSA_16discard_iteratorISK_EESO_EEENSM_IJSG_SG_EEES6_PlJS6_EEE10hipError_tPvRmT3_T4_T5_T6_T7_T9_mT8_P12ihipStream_tbDpT10_ENKUlT_T0_E_clISt17integral_constantIbLb0EES1A_IbLb1EEEEDaS16_S17_EUlS16_E_NS1_11comp_targetILNS1_3genE10ELNS1_11target_archE1200ELNS1_3gpuE4ELNS1_3repE0EEENS1_30default_config_static_selectorELNS0_4arch9wavefront6targetE1EEEvT1_
    .private_segment_fixed_size: 0
    .sgpr_count:     4
    .sgpr_spill_count: 0
    .symbol:         _ZN7rocprim17ROCPRIM_400000_NS6detail17trampoline_kernelINS0_14default_configENS1_25partition_config_selectorILNS1_17partition_subalgoE1ExNS0_10empty_typeEbEEZZNS1_14partition_implILS5_1ELb0ES3_jN6thrust23THRUST_200600_302600_NS6detail15normal_iteratorINSA_10device_ptrIxEEEEPS6_NSA_18transform_iteratorI7is_evenIxESF_NSA_11use_defaultESK_EENS0_5tupleIJNSA_16discard_iteratorISK_EESO_EEENSM_IJSG_SG_EEES6_PlJS6_EEE10hipError_tPvRmT3_T4_T5_T6_T7_T9_mT8_P12ihipStream_tbDpT10_ENKUlT_T0_E_clISt17integral_constantIbLb0EES1A_IbLb1EEEEDaS16_S17_EUlS16_E_NS1_11comp_targetILNS1_3genE10ELNS1_11target_archE1200ELNS1_3gpuE4ELNS1_3repE0EEENS1_30default_config_static_selectorELNS0_4arch9wavefront6targetE1EEEvT1_.kd
    .uniform_work_group_size: 1
    .uses_dynamic_stack: false
    .vgpr_count:     0
    .vgpr_spill_count: 0
    .wavefront_size: 64
  - .agpr_count:     0
    .args:
      - .offset:         0
        .size:           160
        .value_kind:     by_value
    .group_segment_fixed_size: 0
    .kernarg_segment_align: 8
    .kernarg_segment_size: 160
    .language:       OpenCL C
    .language_version:
      - 2
      - 0
    .max_flat_workgroup_size: 128
    .name:           _ZN7rocprim17ROCPRIM_400000_NS6detail17trampoline_kernelINS0_14default_configENS1_25partition_config_selectorILNS1_17partition_subalgoE1ExNS0_10empty_typeEbEEZZNS1_14partition_implILS5_1ELb0ES3_jN6thrust23THRUST_200600_302600_NS6detail15normal_iteratorINSA_10device_ptrIxEEEEPS6_NSA_18transform_iteratorI7is_evenIxESF_NSA_11use_defaultESK_EENS0_5tupleIJNSA_16discard_iteratorISK_EESO_EEENSM_IJSG_SG_EEES6_PlJS6_EEE10hipError_tPvRmT3_T4_T5_T6_T7_T9_mT8_P12ihipStream_tbDpT10_ENKUlT_T0_E_clISt17integral_constantIbLb0EES1A_IbLb1EEEEDaS16_S17_EUlS16_E_NS1_11comp_targetILNS1_3genE9ELNS1_11target_archE1100ELNS1_3gpuE3ELNS1_3repE0EEENS1_30default_config_static_selectorELNS0_4arch9wavefront6targetE1EEEvT1_
    .private_segment_fixed_size: 0
    .sgpr_count:     4
    .sgpr_spill_count: 0
    .symbol:         _ZN7rocprim17ROCPRIM_400000_NS6detail17trampoline_kernelINS0_14default_configENS1_25partition_config_selectorILNS1_17partition_subalgoE1ExNS0_10empty_typeEbEEZZNS1_14partition_implILS5_1ELb0ES3_jN6thrust23THRUST_200600_302600_NS6detail15normal_iteratorINSA_10device_ptrIxEEEEPS6_NSA_18transform_iteratorI7is_evenIxESF_NSA_11use_defaultESK_EENS0_5tupleIJNSA_16discard_iteratorISK_EESO_EEENSM_IJSG_SG_EEES6_PlJS6_EEE10hipError_tPvRmT3_T4_T5_T6_T7_T9_mT8_P12ihipStream_tbDpT10_ENKUlT_T0_E_clISt17integral_constantIbLb0EES1A_IbLb1EEEEDaS16_S17_EUlS16_E_NS1_11comp_targetILNS1_3genE9ELNS1_11target_archE1100ELNS1_3gpuE3ELNS1_3repE0EEENS1_30default_config_static_selectorELNS0_4arch9wavefront6targetE1EEEvT1_.kd
    .uniform_work_group_size: 1
    .uses_dynamic_stack: false
    .vgpr_count:     0
    .vgpr_spill_count: 0
    .wavefront_size: 64
  - .agpr_count:     0
    .args:
      - .offset:         0
        .size:           160
        .value_kind:     by_value
    .group_segment_fixed_size: 0
    .kernarg_segment_align: 8
    .kernarg_segment_size: 160
    .language:       OpenCL C
    .language_version:
      - 2
      - 0
    .max_flat_workgroup_size: 512
    .name:           _ZN7rocprim17ROCPRIM_400000_NS6detail17trampoline_kernelINS0_14default_configENS1_25partition_config_selectorILNS1_17partition_subalgoE1ExNS0_10empty_typeEbEEZZNS1_14partition_implILS5_1ELb0ES3_jN6thrust23THRUST_200600_302600_NS6detail15normal_iteratorINSA_10device_ptrIxEEEEPS6_NSA_18transform_iteratorI7is_evenIxESF_NSA_11use_defaultESK_EENS0_5tupleIJNSA_16discard_iteratorISK_EESO_EEENSM_IJSG_SG_EEES6_PlJS6_EEE10hipError_tPvRmT3_T4_T5_T6_T7_T9_mT8_P12ihipStream_tbDpT10_ENKUlT_T0_E_clISt17integral_constantIbLb0EES1A_IbLb1EEEEDaS16_S17_EUlS16_E_NS1_11comp_targetILNS1_3genE8ELNS1_11target_archE1030ELNS1_3gpuE2ELNS1_3repE0EEENS1_30default_config_static_selectorELNS0_4arch9wavefront6targetE1EEEvT1_
    .private_segment_fixed_size: 0
    .sgpr_count:     4
    .sgpr_spill_count: 0
    .symbol:         _ZN7rocprim17ROCPRIM_400000_NS6detail17trampoline_kernelINS0_14default_configENS1_25partition_config_selectorILNS1_17partition_subalgoE1ExNS0_10empty_typeEbEEZZNS1_14partition_implILS5_1ELb0ES3_jN6thrust23THRUST_200600_302600_NS6detail15normal_iteratorINSA_10device_ptrIxEEEEPS6_NSA_18transform_iteratorI7is_evenIxESF_NSA_11use_defaultESK_EENS0_5tupleIJNSA_16discard_iteratorISK_EESO_EEENSM_IJSG_SG_EEES6_PlJS6_EEE10hipError_tPvRmT3_T4_T5_T6_T7_T9_mT8_P12ihipStream_tbDpT10_ENKUlT_T0_E_clISt17integral_constantIbLb0EES1A_IbLb1EEEEDaS16_S17_EUlS16_E_NS1_11comp_targetILNS1_3genE8ELNS1_11target_archE1030ELNS1_3gpuE2ELNS1_3repE0EEENS1_30default_config_static_selectorELNS0_4arch9wavefront6targetE1EEEvT1_.kd
    .uniform_work_group_size: 1
    .uses_dynamic_stack: false
    .vgpr_count:     0
    .vgpr_spill_count: 0
    .wavefront_size: 64
  - .agpr_count:     0
    .args:
      - .offset:         0
        .size:           136
        .value_kind:     by_value
    .group_segment_fixed_size: 0
    .kernarg_segment_align: 8
    .kernarg_segment_size: 136
    .language:       OpenCL C
    .language_version:
      - 2
      - 0
    .max_flat_workgroup_size: 128
    .name:           _ZN7rocprim17ROCPRIM_400000_NS6detail17trampoline_kernelINS0_14default_configENS1_25partition_config_selectorILNS1_17partition_subalgoE1ExNS0_10empty_typeEbEEZZNS1_14partition_implILS5_1ELb0ES3_jN6thrust23THRUST_200600_302600_NS6detail15normal_iteratorINSA_10device_ptrIxEEEEPS6_NSA_18transform_iteratorI7is_evenIxESF_NSA_11use_defaultESK_EENS0_5tupleIJSF_NSA_16discard_iteratorISK_EEEEENSM_IJSG_SG_EEES6_PlJS6_EEE10hipError_tPvRmT3_T4_T5_T6_T7_T9_mT8_P12ihipStream_tbDpT10_ENKUlT_T0_E_clISt17integral_constantIbLb0EES1B_EEDaS16_S17_EUlS16_E_NS1_11comp_targetILNS1_3genE0ELNS1_11target_archE4294967295ELNS1_3gpuE0ELNS1_3repE0EEENS1_30default_config_static_selectorELNS0_4arch9wavefront6targetE1EEEvT1_
    .private_segment_fixed_size: 0
    .sgpr_count:     4
    .sgpr_spill_count: 0
    .symbol:         _ZN7rocprim17ROCPRIM_400000_NS6detail17trampoline_kernelINS0_14default_configENS1_25partition_config_selectorILNS1_17partition_subalgoE1ExNS0_10empty_typeEbEEZZNS1_14partition_implILS5_1ELb0ES3_jN6thrust23THRUST_200600_302600_NS6detail15normal_iteratorINSA_10device_ptrIxEEEEPS6_NSA_18transform_iteratorI7is_evenIxESF_NSA_11use_defaultESK_EENS0_5tupleIJSF_NSA_16discard_iteratorISK_EEEEENSM_IJSG_SG_EEES6_PlJS6_EEE10hipError_tPvRmT3_T4_T5_T6_T7_T9_mT8_P12ihipStream_tbDpT10_ENKUlT_T0_E_clISt17integral_constantIbLb0EES1B_EEDaS16_S17_EUlS16_E_NS1_11comp_targetILNS1_3genE0ELNS1_11target_archE4294967295ELNS1_3gpuE0ELNS1_3repE0EEENS1_30default_config_static_selectorELNS0_4arch9wavefront6targetE1EEEvT1_.kd
    .uniform_work_group_size: 1
    .uses_dynamic_stack: false
    .vgpr_count:     0
    .vgpr_spill_count: 0
    .wavefront_size: 64
  - .agpr_count:     0
    .args:
      - .offset:         0
        .size:           136
        .value_kind:     by_value
    .group_segment_fixed_size: 0
    .kernarg_segment_align: 8
    .kernarg_segment_size: 136
    .language:       OpenCL C
    .language_version:
      - 2
      - 0
    .max_flat_workgroup_size: 512
    .name:           _ZN7rocprim17ROCPRIM_400000_NS6detail17trampoline_kernelINS0_14default_configENS1_25partition_config_selectorILNS1_17partition_subalgoE1ExNS0_10empty_typeEbEEZZNS1_14partition_implILS5_1ELb0ES3_jN6thrust23THRUST_200600_302600_NS6detail15normal_iteratorINSA_10device_ptrIxEEEEPS6_NSA_18transform_iteratorI7is_evenIxESF_NSA_11use_defaultESK_EENS0_5tupleIJSF_NSA_16discard_iteratorISK_EEEEENSM_IJSG_SG_EEES6_PlJS6_EEE10hipError_tPvRmT3_T4_T5_T6_T7_T9_mT8_P12ihipStream_tbDpT10_ENKUlT_T0_E_clISt17integral_constantIbLb0EES1B_EEDaS16_S17_EUlS16_E_NS1_11comp_targetILNS1_3genE5ELNS1_11target_archE942ELNS1_3gpuE9ELNS1_3repE0EEENS1_30default_config_static_selectorELNS0_4arch9wavefront6targetE1EEEvT1_
    .private_segment_fixed_size: 0
    .sgpr_count:     4
    .sgpr_spill_count: 0
    .symbol:         _ZN7rocprim17ROCPRIM_400000_NS6detail17trampoline_kernelINS0_14default_configENS1_25partition_config_selectorILNS1_17partition_subalgoE1ExNS0_10empty_typeEbEEZZNS1_14partition_implILS5_1ELb0ES3_jN6thrust23THRUST_200600_302600_NS6detail15normal_iteratorINSA_10device_ptrIxEEEEPS6_NSA_18transform_iteratorI7is_evenIxESF_NSA_11use_defaultESK_EENS0_5tupleIJSF_NSA_16discard_iteratorISK_EEEEENSM_IJSG_SG_EEES6_PlJS6_EEE10hipError_tPvRmT3_T4_T5_T6_T7_T9_mT8_P12ihipStream_tbDpT10_ENKUlT_T0_E_clISt17integral_constantIbLb0EES1B_EEDaS16_S17_EUlS16_E_NS1_11comp_targetILNS1_3genE5ELNS1_11target_archE942ELNS1_3gpuE9ELNS1_3repE0EEENS1_30default_config_static_selectorELNS0_4arch9wavefront6targetE1EEEvT1_.kd
    .uniform_work_group_size: 1
    .uses_dynamic_stack: false
    .vgpr_count:     0
    .vgpr_spill_count: 0
    .wavefront_size: 64
  - .agpr_count:     0
    .args:
      - .offset:         0
        .size:           136
        .value_kind:     by_value
    .group_segment_fixed_size: 6344
    .kernarg_segment_align: 8
    .kernarg_segment_size: 136
    .language:       OpenCL C
    .language_version:
      - 2
      - 0
    .max_flat_workgroup_size: 192
    .name:           _ZN7rocprim17ROCPRIM_400000_NS6detail17trampoline_kernelINS0_14default_configENS1_25partition_config_selectorILNS1_17partition_subalgoE1ExNS0_10empty_typeEbEEZZNS1_14partition_implILS5_1ELb0ES3_jN6thrust23THRUST_200600_302600_NS6detail15normal_iteratorINSA_10device_ptrIxEEEEPS6_NSA_18transform_iteratorI7is_evenIxESF_NSA_11use_defaultESK_EENS0_5tupleIJSF_NSA_16discard_iteratorISK_EEEEENSM_IJSG_SG_EEES6_PlJS6_EEE10hipError_tPvRmT3_T4_T5_T6_T7_T9_mT8_P12ihipStream_tbDpT10_ENKUlT_T0_E_clISt17integral_constantIbLb0EES1B_EEDaS16_S17_EUlS16_E_NS1_11comp_targetILNS1_3genE4ELNS1_11target_archE910ELNS1_3gpuE8ELNS1_3repE0EEENS1_30default_config_static_selectorELNS0_4arch9wavefront6targetE1EEEvT1_
    .private_segment_fixed_size: 0
    .sgpr_count:     44
    .sgpr_spill_count: 0
    .symbol:         _ZN7rocprim17ROCPRIM_400000_NS6detail17trampoline_kernelINS0_14default_configENS1_25partition_config_selectorILNS1_17partition_subalgoE1ExNS0_10empty_typeEbEEZZNS1_14partition_implILS5_1ELb0ES3_jN6thrust23THRUST_200600_302600_NS6detail15normal_iteratorINSA_10device_ptrIxEEEEPS6_NSA_18transform_iteratorI7is_evenIxESF_NSA_11use_defaultESK_EENS0_5tupleIJSF_NSA_16discard_iteratorISK_EEEEENSM_IJSG_SG_EEES6_PlJS6_EEE10hipError_tPvRmT3_T4_T5_T6_T7_T9_mT8_P12ihipStream_tbDpT10_ENKUlT_T0_E_clISt17integral_constantIbLb0EES1B_EEDaS16_S17_EUlS16_E_NS1_11comp_targetILNS1_3genE4ELNS1_11target_archE910ELNS1_3gpuE8ELNS1_3repE0EEENS1_30default_config_static_selectorELNS0_4arch9wavefront6targetE1EEEvT1_.kd
    .uniform_work_group_size: 1
    .uses_dynamic_stack: false
    .vgpr_count:     43
    .vgpr_spill_count: 0
    .wavefront_size: 64
  - .agpr_count:     0
    .args:
      - .offset:         0
        .size:           136
        .value_kind:     by_value
    .group_segment_fixed_size: 0
    .kernarg_segment_align: 8
    .kernarg_segment_size: 136
    .language:       OpenCL C
    .language_version:
      - 2
      - 0
    .max_flat_workgroup_size: 128
    .name:           _ZN7rocprim17ROCPRIM_400000_NS6detail17trampoline_kernelINS0_14default_configENS1_25partition_config_selectorILNS1_17partition_subalgoE1ExNS0_10empty_typeEbEEZZNS1_14partition_implILS5_1ELb0ES3_jN6thrust23THRUST_200600_302600_NS6detail15normal_iteratorINSA_10device_ptrIxEEEEPS6_NSA_18transform_iteratorI7is_evenIxESF_NSA_11use_defaultESK_EENS0_5tupleIJSF_NSA_16discard_iteratorISK_EEEEENSM_IJSG_SG_EEES6_PlJS6_EEE10hipError_tPvRmT3_T4_T5_T6_T7_T9_mT8_P12ihipStream_tbDpT10_ENKUlT_T0_E_clISt17integral_constantIbLb0EES1B_EEDaS16_S17_EUlS16_E_NS1_11comp_targetILNS1_3genE3ELNS1_11target_archE908ELNS1_3gpuE7ELNS1_3repE0EEENS1_30default_config_static_selectorELNS0_4arch9wavefront6targetE1EEEvT1_
    .private_segment_fixed_size: 0
    .sgpr_count:     4
    .sgpr_spill_count: 0
    .symbol:         _ZN7rocprim17ROCPRIM_400000_NS6detail17trampoline_kernelINS0_14default_configENS1_25partition_config_selectorILNS1_17partition_subalgoE1ExNS0_10empty_typeEbEEZZNS1_14partition_implILS5_1ELb0ES3_jN6thrust23THRUST_200600_302600_NS6detail15normal_iteratorINSA_10device_ptrIxEEEEPS6_NSA_18transform_iteratorI7is_evenIxESF_NSA_11use_defaultESK_EENS0_5tupleIJSF_NSA_16discard_iteratorISK_EEEEENSM_IJSG_SG_EEES6_PlJS6_EEE10hipError_tPvRmT3_T4_T5_T6_T7_T9_mT8_P12ihipStream_tbDpT10_ENKUlT_T0_E_clISt17integral_constantIbLb0EES1B_EEDaS16_S17_EUlS16_E_NS1_11comp_targetILNS1_3genE3ELNS1_11target_archE908ELNS1_3gpuE7ELNS1_3repE0EEENS1_30default_config_static_selectorELNS0_4arch9wavefront6targetE1EEEvT1_.kd
    .uniform_work_group_size: 1
    .uses_dynamic_stack: false
    .vgpr_count:     0
    .vgpr_spill_count: 0
    .wavefront_size: 64
  - .agpr_count:     0
    .args:
      - .offset:         0
        .size:           136
        .value_kind:     by_value
    .group_segment_fixed_size: 0
    .kernarg_segment_align: 8
    .kernarg_segment_size: 136
    .language:       OpenCL C
    .language_version:
      - 2
      - 0
    .max_flat_workgroup_size: 256
    .name:           _ZN7rocprim17ROCPRIM_400000_NS6detail17trampoline_kernelINS0_14default_configENS1_25partition_config_selectorILNS1_17partition_subalgoE1ExNS0_10empty_typeEbEEZZNS1_14partition_implILS5_1ELb0ES3_jN6thrust23THRUST_200600_302600_NS6detail15normal_iteratorINSA_10device_ptrIxEEEEPS6_NSA_18transform_iteratorI7is_evenIxESF_NSA_11use_defaultESK_EENS0_5tupleIJSF_NSA_16discard_iteratorISK_EEEEENSM_IJSG_SG_EEES6_PlJS6_EEE10hipError_tPvRmT3_T4_T5_T6_T7_T9_mT8_P12ihipStream_tbDpT10_ENKUlT_T0_E_clISt17integral_constantIbLb0EES1B_EEDaS16_S17_EUlS16_E_NS1_11comp_targetILNS1_3genE2ELNS1_11target_archE906ELNS1_3gpuE6ELNS1_3repE0EEENS1_30default_config_static_selectorELNS0_4arch9wavefront6targetE1EEEvT1_
    .private_segment_fixed_size: 0
    .sgpr_count:     4
    .sgpr_spill_count: 0
    .symbol:         _ZN7rocprim17ROCPRIM_400000_NS6detail17trampoline_kernelINS0_14default_configENS1_25partition_config_selectorILNS1_17partition_subalgoE1ExNS0_10empty_typeEbEEZZNS1_14partition_implILS5_1ELb0ES3_jN6thrust23THRUST_200600_302600_NS6detail15normal_iteratorINSA_10device_ptrIxEEEEPS6_NSA_18transform_iteratorI7is_evenIxESF_NSA_11use_defaultESK_EENS0_5tupleIJSF_NSA_16discard_iteratorISK_EEEEENSM_IJSG_SG_EEES6_PlJS6_EEE10hipError_tPvRmT3_T4_T5_T6_T7_T9_mT8_P12ihipStream_tbDpT10_ENKUlT_T0_E_clISt17integral_constantIbLb0EES1B_EEDaS16_S17_EUlS16_E_NS1_11comp_targetILNS1_3genE2ELNS1_11target_archE906ELNS1_3gpuE6ELNS1_3repE0EEENS1_30default_config_static_selectorELNS0_4arch9wavefront6targetE1EEEvT1_.kd
    .uniform_work_group_size: 1
    .uses_dynamic_stack: false
    .vgpr_count:     0
    .vgpr_spill_count: 0
    .wavefront_size: 64
  - .agpr_count:     0
    .args:
      - .offset:         0
        .size:           136
        .value_kind:     by_value
    .group_segment_fixed_size: 0
    .kernarg_segment_align: 8
    .kernarg_segment_size: 136
    .language:       OpenCL C
    .language_version:
      - 2
      - 0
    .max_flat_workgroup_size: 256
    .name:           _ZN7rocprim17ROCPRIM_400000_NS6detail17trampoline_kernelINS0_14default_configENS1_25partition_config_selectorILNS1_17partition_subalgoE1ExNS0_10empty_typeEbEEZZNS1_14partition_implILS5_1ELb0ES3_jN6thrust23THRUST_200600_302600_NS6detail15normal_iteratorINSA_10device_ptrIxEEEEPS6_NSA_18transform_iteratorI7is_evenIxESF_NSA_11use_defaultESK_EENS0_5tupleIJSF_NSA_16discard_iteratorISK_EEEEENSM_IJSG_SG_EEES6_PlJS6_EEE10hipError_tPvRmT3_T4_T5_T6_T7_T9_mT8_P12ihipStream_tbDpT10_ENKUlT_T0_E_clISt17integral_constantIbLb0EES1B_EEDaS16_S17_EUlS16_E_NS1_11comp_targetILNS1_3genE10ELNS1_11target_archE1200ELNS1_3gpuE4ELNS1_3repE0EEENS1_30default_config_static_selectorELNS0_4arch9wavefront6targetE1EEEvT1_
    .private_segment_fixed_size: 0
    .sgpr_count:     4
    .sgpr_spill_count: 0
    .symbol:         _ZN7rocprim17ROCPRIM_400000_NS6detail17trampoline_kernelINS0_14default_configENS1_25partition_config_selectorILNS1_17partition_subalgoE1ExNS0_10empty_typeEbEEZZNS1_14partition_implILS5_1ELb0ES3_jN6thrust23THRUST_200600_302600_NS6detail15normal_iteratorINSA_10device_ptrIxEEEEPS6_NSA_18transform_iteratorI7is_evenIxESF_NSA_11use_defaultESK_EENS0_5tupleIJSF_NSA_16discard_iteratorISK_EEEEENSM_IJSG_SG_EEES6_PlJS6_EEE10hipError_tPvRmT3_T4_T5_T6_T7_T9_mT8_P12ihipStream_tbDpT10_ENKUlT_T0_E_clISt17integral_constantIbLb0EES1B_EEDaS16_S17_EUlS16_E_NS1_11comp_targetILNS1_3genE10ELNS1_11target_archE1200ELNS1_3gpuE4ELNS1_3repE0EEENS1_30default_config_static_selectorELNS0_4arch9wavefront6targetE1EEEvT1_.kd
    .uniform_work_group_size: 1
    .uses_dynamic_stack: false
    .vgpr_count:     0
    .vgpr_spill_count: 0
    .wavefront_size: 64
  - .agpr_count:     0
    .args:
      - .offset:         0
        .size:           136
        .value_kind:     by_value
    .group_segment_fixed_size: 0
    .kernarg_segment_align: 8
    .kernarg_segment_size: 136
    .language:       OpenCL C
    .language_version:
      - 2
      - 0
    .max_flat_workgroup_size: 128
    .name:           _ZN7rocprim17ROCPRIM_400000_NS6detail17trampoline_kernelINS0_14default_configENS1_25partition_config_selectorILNS1_17partition_subalgoE1ExNS0_10empty_typeEbEEZZNS1_14partition_implILS5_1ELb0ES3_jN6thrust23THRUST_200600_302600_NS6detail15normal_iteratorINSA_10device_ptrIxEEEEPS6_NSA_18transform_iteratorI7is_evenIxESF_NSA_11use_defaultESK_EENS0_5tupleIJSF_NSA_16discard_iteratorISK_EEEEENSM_IJSG_SG_EEES6_PlJS6_EEE10hipError_tPvRmT3_T4_T5_T6_T7_T9_mT8_P12ihipStream_tbDpT10_ENKUlT_T0_E_clISt17integral_constantIbLb0EES1B_EEDaS16_S17_EUlS16_E_NS1_11comp_targetILNS1_3genE9ELNS1_11target_archE1100ELNS1_3gpuE3ELNS1_3repE0EEENS1_30default_config_static_selectorELNS0_4arch9wavefront6targetE1EEEvT1_
    .private_segment_fixed_size: 0
    .sgpr_count:     4
    .sgpr_spill_count: 0
    .symbol:         _ZN7rocprim17ROCPRIM_400000_NS6detail17trampoline_kernelINS0_14default_configENS1_25partition_config_selectorILNS1_17partition_subalgoE1ExNS0_10empty_typeEbEEZZNS1_14partition_implILS5_1ELb0ES3_jN6thrust23THRUST_200600_302600_NS6detail15normal_iteratorINSA_10device_ptrIxEEEEPS6_NSA_18transform_iteratorI7is_evenIxESF_NSA_11use_defaultESK_EENS0_5tupleIJSF_NSA_16discard_iteratorISK_EEEEENSM_IJSG_SG_EEES6_PlJS6_EEE10hipError_tPvRmT3_T4_T5_T6_T7_T9_mT8_P12ihipStream_tbDpT10_ENKUlT_T0_E_clISt17integral_constantIbLb0EES1B_EEDaS16_S17_EUlS16_E_NS1_11comp_targetILNS1_3genE9ELNS1_11target_archE1100ELNS1_3gpuE3ELNS1_3repE0EEENS1_30default_config_static_selectorELNS0_4arch9wavefront6targetE1EEEvT1_.kd
    .uniform_work_group_size: 1
    .uses_dynamic_stack: false
    .vgpr_count:     0
    .vgpr_spill_count: 0
    .wavefront_size: 64
  - .agpr_count:     0
    .args:
      - .offset:         0
        .size:           136
        .value_kind:     by_value
    .group_segment_fixed_size: 0
    .kernarg_segment_align: 8
    .kernarg_segment_size: 136
    .language:       OpenCL C
    .language_version:
      - 2
      - 0
    .max_flat_workgroup_size: 512
    .name:           _ZN7rocprim17ROCPRIM_400000_NS6detail17trampoline_kernelINS0_14default_configENS1_25partition_config_selectorILNS1_17partition_subalgoE1ExNS0_10empty_typeEbEEZZNS1_14partition_implILS5_1ELb0ES3_jN6thrust23THRUST_200600_302600_NS6detail15normal_iteratorINSA_10device_ptrIxEEEEPS6_NSA_18transform_iteratorI7is_evenIxESF_NSA_11use_defaultESK_EENS0_5tupleIJSF_NSA_16discard_iteratorISK_EEEEENSM_IJSG_SG_EEES6_PlJS6_EEE10hipError_tPvRmT3_T4_T5_T6_T7_T9_mT8_P12ihipStream_tbDpT10_ENKUlT_T0_E_clISt17integral_constantIbLb0EES1B_EEDaS16_S17_EUlS16_E_NS1_11comp_targetILNS1_3genE8ELNS1_11target_archE1030ELNS1_3gpuE2ELNS1_3repE0EEENS1_30default_config_static_selectorELNS0_4arch9wavefront6targetE1EEEvT1_
    .private_segment_fixed_size: 0
    .sgpr_count:     4
    .sgpr_spill_count: 0
    .symbol:         _ZN7rocprim17ROCPRIM_400000_NS6detail17trampoline_kernelINS0_14default_configENS1_25partition_config_selectorILNS1_17partition_subalgoE1ExNS0_10empty_typeEbEEZZNS1_14partition_implILS5_1ELb0ES3_jN6thrust23THRUST_200600_302600_NS6detail15normal_iteratorINSA_10device_ptrIxEEEEPS6_NSA_18transform_iteratorI7is_evenIxESF_NSA_11use_defaultESK_EENS0_5tupleIJSF_NSA_16discard_iteratorISK_EEEEENSM_IJSG_SG_EEES6_PlJS6_EEE10hipError_tPvRmT3_T4_T5_T6_T7_T9_mT8_P12ihipStream_tbDpT10_ENKUlT_T0_E_clISt17integral_constantIbLb0EES1B_EEDaS16_S17_EUlS16_E_NS1_11comp_targetILNS1_3genE8ELNS1_11target_archE1030ELNS1_3gpuE2ELNS1_3repE0EEENS1_30default_config_static_selectorELNS0_4arch9wavefront6targetE1EEEvT1_.kd
    .uniform_work_group_size: 1
    .uses_dynamic_stack: false
    .vgpr_count:     0
    .vgpr_spill_count: 0
    .wavefront_size: 64
  - .agpr_count:     0
    .args:
      - .offset:         0
        .size:           152
        .value_kind:     by_value
    .group_segment_fixed_size: 0
    .kernarg_segment_align: 8
    .kernarg_segment_size: 152
    .language:       OpenCL C
    .language_version:
      - 2
      - 0
    .max_flat_workgroup_size: 128
    .name:           _ZN7rocprim17ROCPRIM_400000_NS6detail17trampoline_kernelINS0_14default_configENS1_25partition_config_selectorILNS1_17partition_subalgoE1ExNS0_10empty_typeEbEEZZNS1_14partition_implILS5_1ELb0ES3_jN6thrust23THRUST_200600_302600_NS6detail15normal_iteratorINSA_10device_ptrIxEEEEPS6_NSA_18transform_iteratorI7is_evenIxESF_NSA_11use_defaultESK_EENS0_5tupleIJSF_NSA_16discard_iteratorISK_EEEEENSM_IJSG_SG_EEES6_PlJS6_EEE10hipError_tPvRmT3_T4_T5_T6_T7_T9_mT8_P12ihipStream_tbDpT10_ENKUlT_T0_E_clISt17integral_constantIbLb1EES1B_EEDaS16_S17_EUlS16_E_NS1_11comp_targetILNS1_3genE0ELNS1_11target_archE4294967295ELNS1_3gpuE0ELNS1_3repE0EEENS1_30default_config_static_selectorELNS0_4arch9wavefront6targetE1EEEvT1_
    .private_segment_fixed_size: 0
    .sgpr_count:     4
    .sgpr_spill_count: 0
    .symbol:         _ZN7rocprim17ROCPRIM_400000_NS6detail17trampoline_kernelINS0_14default_configENS1_25partition_config_selectorILNS1_17partition_subalgoE1ExNS0_10empty_typeEbEEZZNS1_14partition_implILS5_1ELb0ES3_jN6thrust23THRUST_200600_302600_NS6detail15normal_iteratorINSA_10device_ptrIxEEEEPS6_NSA_18transform_iteratorI7is_evenIxESF_NSA_11use_defaultESK_EENS0_5tupleIJSF_NSA_16discard_iteratorISK_EEEEENSM_IJSG_SG_EEES6_PlJS6_EEE10hipError_tPvRmT3_T4_T5_T6_T7_T9_mT8_P12ihipStream_tbDpT10_ENKUlT_T0_E_clISt17integral_constantIbLb1EES1B_EEDaS16_S17_EUlS16_E_NS1_11comp_targetILNS1_3genE0ELNS1_11target_archE4294967295ELNS1_3gpuE0ELNS1_3repE0EEENS1_30default_config_static_selectorELNS0_4arch9wavefront6targetE1EEEvT1_.kd
    .uniform_work_group_size: 1
    .uses_dynamic_stack: false
    .vgpr_count:     0
    .vgpr_spill_count: 0
    .wavefront_size: 64
  - .agpr_count:     0
    .args:
      - .offset:         0
        .size:           152
        .value_kind:     by_value
    .group_segment_fixed_size: 0
    .kernarg_segment_align: 8
    .kernarg_segment_size: 152
    .language:       OpenCL C
    .language_version:
      - 2
      - 0
    .max_flat_workgroup_size: 512
    .name:           _ZN7rocprim17ROCPRIM_400000_NS6detail17trampoline_kernelINS0_14default_configENS1_25partition_config_selectorILNS1_17partition_subalgoE1ExNS0_10empty_typeEbEEZZNS1_14partition_implILS5_1ELb0ES3_jN6thrust23THRUST_200600_302600_NS6detail15normal_iteratorINSA_10device_ptrIxEEEEPS6_NSA_18transform_iteratorI7is_evenIxESF_NSA_11use_defaultESK_EENS0_5tupleIJSF_NSA_16discard_iteratorISK_EEEEENSM_IJSG_SG_EEES6_PlJS6_EEE10hipError_tPvRmT3_T4_T5_T6_T7_T9_mT8_P12ihipStream_tbDpT10_ENKUlT_T0_E_clISt17integral_constantIbLb1EES1B_EEDaS16_S17_EUlS16_E_NS1_11comp_targetILNS1_3genE5ELNS1_11target_archE942ELNS1_3gpuE9ELNS1_3repE0EEENS1_30default_config_static_selectorELNS0_4arch9wavefront6targetE1EEEvT1_
    .private_segment_fixed_size: 0
    .sgpr_count:     4
    .sgpr_spill_count: 0
    .symbol:         _ZN7rocprim17ROCPRIM_400000_NS6detail17trampoline_kernelINS0_14default_configENS1_25partition_config_selectorILNS1_17partition_subalgoE1ExNS0_10empty_typeEbEEZZNS1_14partition_implILS5_1ELb0ES3_jN6thrust23THRUST_200600_302600_NS6detail15normal_iteratorINSA_10device_ptrIxEEEEPS6_NSA_18transform_iteratorI7is_evenIxESF_NSA_11use_defaultESK_EENS0_5tupleIJSF_NSA_16discard_iteratorISK_EEEEENSM_IJSG_SG_EEES6_PlJS6_EEE10hipError_tPvRmT3_T4_T5_T6_T7_T9_mT8_P12ihipStream_tbDpT10_ENKUlT_T0_E_clISt17integral_constantIbLb1EES1B_EEDaS16_S17_EUlS16_E_NS1_11comp_targetILNS1_3genE5ELNS1_11target_archE942ELNS1_3gpuE9ELNS1_3repE0EEENS1_30default_config_static_selectorELNS0_4arch9wavefront6targetE1EEEvT1_.kd
    .uniform_work_group_size: 1
    .uses_dynamic_stack: false
    .vgpr_count:     0
    .vgpr_spill_count: 0
    .wavefront_size: 64
  - .agpr_count:     0
    .args:
      - .offset:         0
        .size:           152
        .value_kind:     by_value
    .group_segment_fixed_size: 6344
    .kernarg_segment_align: 8
    .kernarg_segment_size: 152
    .language:       OpenCL C
    .language_version:
      - 2
      - 0
    .max_flat_workgroup_size: 192
    .name:           _ZN7rocprim17ROCPRIM_400000_NS6detail17trampoline_kernelINS0_14default_configENS1_25partition_config_selectorILNS1_17partition_subalgoE1ExNS0_10empty_typeEbEEZZNS1_14partition_implILS5_1ELb0ES3_jN6thrust23THRUST_200600_302600_NS6detail15normal_iteratorINSA_10device_ptrIxEEEEPS6_NSA_18transform_iteratorI7is_evenIxESF_NSA_11use_defaultESK_EENS0_5tupleIJSF_NSA_16discard_iteratorISK_EEEEENSM_IJSG_SG_EEES6_PlJS6_EEE10hipError_tPvRmT3_T4_T5_T6_T7_T9_mT8_P12ihipStream_tbDpT10_ENKUlT_T0_E_clISt17integral_constantIbLb1EES1B_EEDaS16_S17_EUlS16_E_NS1_11comp_targetILNS1_3genE4ELNS1_11target_archE910ELNS1_3gpuE8ELNS1_3repE0EEENS1_30default_config_static_selectorELNS0_4arch9wavefront6targetE1EEEvT1_
    .private_segment_fixed_size: 0
    .sgpr_count:     44
    .sgpr_spill_count: 0
    .symbol:         _ZN7rocprim17ROCPRIM_400000_NS6detail17trampoline_kernelINS0_14default_configENS1_25partition_config_selectorILNS1_17partition_subalgoE1ExNS0_10empty_typeEbEEZZNS1_14partition_implILS5_1ELb0ES3_jN6thrust23THRUST_200600_302600_NS6detail15normal_iteratorINSA_10device_ptrIxEEEEPS6_NSA_18transform_iteratorI7is_evenIxESF_NSA_11use_defaultESK_EENS0_5tupleIJSF_NSA_16discard_iteratorISK_EEEEENSM_IJSG_SG_EEES6_PlJS6_EEE10hipError_tPvRmT3_T4_T5_T6_T7_T9_mT8_P12ihipStream_tbDpT10_ENKUlT_T0_E_clISt17integral_constantIbLb1EES1B_EEDaS16_S17_EUlS16_E_NS1_11comp_targetILNS1_3genE4ELNS1_11target_archE910ELNS1_3gpuE8ELNS1_3repE0EEENS1_30default_config_static_selectorELNS0_4arch9wavefront6targetE1EEEvT1_.kd
    .uniform_work_group_size: 1
    .uses_dynamic_stack: false
    .vgpr_count:     45
    .vgpr_spill_count: 0
    .wavefront_size: 64
  - .agpr_count:     0
    .args:
      - .offset:         0
        .size:           152
        .value_kind:     by_value
    .group_segment_fixed_size: 0
    .kernarg_segment_align: 8
    .kernarg_segment_size: 152
    .language:       OpenCL C
    .language_version:
      - 2
      - 0
    .max_flat_workgroup_size: 128
    .name:           _ZN7rocprim17ROCPRIM_400000_NS6detail17trampoline_kernelINS0_14default_configENS1_25partition_config_selectorILNS1_17partition_subalgoE1ExNS0_10empty_typeEbEEZZNS1_14partition_implILS5_1ELb0ES3_jN6thrust23THRUST_200600_302600_NS6detail15normal_iteratorINSA_10device_ptrIxEEEEPS6_NSA_18transform_iteratorI7is_evenIxESF_NSA_11use_defaultESK_EENS0_5tupleIJSF_NSA_16discard_iteratorISK_EEEEENSM_IJSG_SG_EEES6_PlJS6_EEE10hipError_tPvRmT3_T4_T5_T6_T7_T9_mT8_P12ihipStream_tbDpT10_ENKUlT_T0_E_clISt17integral_constantIbLb1EES1B_EEDaS16_S17_EUlS16_E_NS1_11comp_targetILNS1_3genE3ELNS1_11target_archE908ELNS1_3gpuE7ELNS1_3repE0EEENS1_30default_config_static_selectorELNS0_4arch9wavefront6targetE1EEEvT1_
    .private_segment_fixed_size: 0
    .sgpr_count:     4
    .sgpr_spill_count: 0
    .symbol:         _ZN7rocprim17ROCPRIM_400000_NS6detail17trampoline_kernelINS0_14default_configENS1_25partition_config_selectorILNS1_17partition_subalgoE1ExNS0_10empty_typeEbEEZZNS1_14partition_implILS5_1ELb0ES3_jN6thrust23THRUST_200600_302600_NS6detail15normal_iteratorINSA_10device_ptrIxEEEEPS6_NSA_18transform_iteratorI7is_evenIxESF_NSA_11use_defaultESK_EENS0_5tupleIJSF_NSA_16discard_iteratorISK_EEEEENSM_IJSG_SG_EEES6_PlJS6_EEE10hipError_tPvRmT3_T4_T5_T6_T7_T9_mT8_P12ihipStream_tbDpT10_ENKUlT_T0_E_clISt17integral_constantIbLb1EES1B_EEDaS16_S17_EUlS16_E_NS1_11comp_targetILNS1_3genE3ELNS1_11target_archE908ELNS1_3gpuE7ELNS1_3repE0EEENS1_30default_config_static_selectorELNS0_4arch9wavefront6targetE1EEEvT1_.kd
    .uniform_work_group_size: 1
    .uses_dynamic_stack: false
    .vgpr_count:     0
    .vgpr_spill_count: 0
    .wavefront_size: 64
  - .agpr_count:     0
    .args:
      - .offset:         0
        .size:           152
        .value_kind:     by_value
    .group_segment_fixed_size: 0
    .kernarg_segment_align: 8
    .kernarg_segment_size: 152
    .language:       OpenCL C
    .language_version:
      - 2
      - 0
    .max_flat_workgroup_size: 256
    .name:           _ZN7rocprim17ROCPRIM_400000_NS6detail17trampoline_kernelINS0_14default_configENS1_25partition_config_selectorILNS1_17partition_subalgoE1ExNS0_10empty_typeEbEEZZNS1_14partition_implILS5_1ELb0ES3_jN6thrust23THRUST_200600_302600_NS6detail15normal_iteratorINSA_10device_ptrIxEEEEPS6_NSA_18transform_iteratorI7is_evenIxESF_NSA_11use_defaultESK_EENS0_5tupleIJSF_NSA_16discard_iteratorISK_EEEEENSM_IJSG_SG_EEES6_PlJS6_EEE10hipError_tPvRmT3_T4_T5_T6_T7_T9_mT8_P12ihipStream_tbDpT10_ENKUlT_T0_E_clISt17integral_constantIbLb1EES1B_EEDaS16_S17_EUlS16_E_NS1_11comp_targetILNS1_3genE2ELNS1_11target_archE906ELNS1_3gpuE6ELNS1_3repE0EEENS1_30default_config_static_selectorELNS0_4arch9wavefront6targetE1EEEvT1_
    .private_segment_fixed_size: 0
    .sgpr_count:     4
    .sgpr_spill_count: 0
    .symbol:         _ZN7rocprim17ROCPRIM_400000_NS6detail17trampoline_kernelINS0_14default_configENS1_25partition_config_selectorILNS1_17partition_subalgoE1ExNS0_10empty_typeEbEEZZNS1_14partition_implILS5_1ELb0ES3_jN6thrust23THRUST_200600_302600_NS6detail15normal_iteratorINSA_10device_ptrIxEEEEPS6_NSA_18transform_iteratorI7is_evenIxESF_NSA_11use_defaultESK_EENS0_5tupleIJSF_NSA_16discard_iteratorISK_EEEEENSM_IJSG_SG_EEES6_PlJS6_EEE10hipError_tPvRmT3_T4_T5_T6_T7_T9_mT8_P12ihipStream_tbDpT10_ENKUlT_T0_E_clISt17integral_constantIbLb1EES1B_EEDaS16_S17_EUlS16_E_NS1_11comp_targetILNS1_3genE2ELNS1_11target_archE906ELNS1_3gpuE6ELNS1_3repE0EEENS1_30default_config_static_selectorELNS0_4arch9wavefront6targetE1EEEvT1_.kd
    .uniform_work_group_size: 1
    .uses_dynamic_stack: false
    .vgpr_count:     0
    .vgpr_spill_count: 0
    .wavefront_size: 64
  - .agpr_count:     0
    .args:
      - .offset:         0
        .size:           152
        .value_kind:     by_value
    .group_segment_fixed_size: 0
    .kernarg_segment_align: 8
    .kernarg_segment_size: 152
    .language:       OpenCL C
    .language_version:
      - 2
      - 0
    .max_flat_workgroup_size: 256
    .name:           _ZN7rocprim17ROCPRIM_400000_NS6detail17trampoline_kernelINS0_14default_configENS1_25partition_config_selectorILNS1_17partition_subalgoE1ExNS0_10empty_typeEbEEZZNS1_14partition_implILS5_1ELb0ES3_jN6thrust23THRUST_200600_302600_NS6detail15normal_iteratorINSA_10device_ptrIxEEEEPS6_NSA_18transform_iteratorI7is_evenIxESF_NSA_11use_defaultESK_EENS0_5tupleIJSF_NSA_16discard_iteratorISK_EEEEENSM_IJSG_SG_EEES6_PlJS6_EEE10hipError_tPvRmT3_T4_T5_T6_T7_T9_mT8_P12ihipStream_tbDpT10_ENKUlT_T0_E_clISt17integral_constantIbLb1EES1B_EEDaS16_S17_EUlS16_E_NS1_11comp_targetILNS1_3genE10ELNS1_11target_archE1200ELNS1_3gpuE4ELNS1_3repE0EEENS1_30default_config_static_selectorELNS0_4arch9wavefront6targetE1EEEvT1_
    .private_segment_fixed_size: 0
    .sgpr_count:     4
    .sgpr_spill_count: 0
    .symbol:         _ZN7rocprim17ROCPRIM_400000_NS6detail17trampoline_kernelINS0_14default_configENS1_25partition_config_selectorILNS1_17partition_subalgoE1ExNS0_10empty_typeEbEEZZNS1_14partition_implILS5_1ELb0ES3_jN6thrust23THRUST_200600_302600_NS6detail15normal_iteratorINSA_10device_ptrIxEEEEPS6_NSA_18transform_iteratorI7is_evenIxESF_NSA_11use_defaultESK_EENS0_5tupleIJSF_NSA_16discard_iteratorISK_EEEEENSM_IJSG_SG_EEES6_PlJS6_EEE10hipError_tPvRmT3_T4_T5_T6_T7_T9_mT8_P12ihipStream_tbDpT10_ENKUlT_T0_E_clISt17integral_constantIbLb1EES1B_EEDaS16_S17_EUlS16_E_NS1_11comp_targetILNS1_3genE10ELNS1_11target_archE1200ELNS1_3gpuE4ELNS1_3repE0EEENS1_30default_config_static_selectorELNS0_4arch9wavefront6targetE1EEEvT1_.kd
    .uniform_work_group_size: 1
    .uses_dynamic_stack: false
    .vgpr_count:     0
    .vgpr_spill_count: 0
    .wavefront_size: 64
  - .agpr_count:     0
    .args:
      - .offset:         0
        .size:           152
        .value_kind:     by_value
    .group_segment_fixed_size: 0
    .kernarg_segment_align: 8
    .kernarg_segment_size: 152
    .language:       OpenCL C
    .language_version:
      - 2
      - 0
    .max_flat_workgroup_size: 128
    .name:           _ZN7rocprim17ROCPRIM_400000_NS6detail17trampoline_kernelINS0_14default_configENS1_25partition_config_selectorILNS1_17partition_subalgoE1ExNS0_10empty_typeEbEEZZNS1_14partition_implILS5_1ELb0ES3_jN6thrust23THRUST_200600_302600_NS6detail15normal_iteratorINSA_10device_ptrIxEEEEPS6_NSA_18transform_iteratorI7is_evenIxESF_NSA_11use_defaultESK_EENS0_5tupleIJSF_NSA_16discard_iteratorISK_EEEEENSM_IJSG_SG_EEES6_PlJS6_EEE10hipError_tPvRmT3_T4_T5_T6_T7_T9_mT8_P12ihipStream_tbDpT10_ENKUlT_T0_E_clISt17integral_constantIbLb1EES1B_EEDaS16_S17_EUlS16_E_NS1_11comp_targetILNS1_3genE9ELNS1_11target_archE1100ELNS1_3gpuE3ELNS1_3repE0EEENS1_30default_config_static_selectorELNS0_4arch9wavefront6targetE1EEEvT1_
    .private_segment_fixed_size: 0
    .sgpr_count:     4
    .sgpr_spill_count: 0
    .symbol:         _ZN7rocprim17ROCPRIM_400000_NS6detail17trampoline_kernelINS0_14default_configENS1_25partition_config_selectorILNS1_17partition_subalgoE1ExNS0_10empty_typeEbEEZZNS1_14partition_implILS5_1ELb0ES3_jN6thrust23THRUST_200600_302600_NS6detail15normal_iteratorINSA_10device_ptrIxEEEEPS6_NSA_18transform_iteratorI7is_evenIxESF_NSA_11use_defaultESK_EENS0_5tupleIJSF_NSA_16discard_iteratorISK_EEEEENSM_IJSG_SG_EEES6_PlJS6_EEE10hipError_tPvRmT3_T4_T5_T6_T7_T9_mT8_P12ihipStream_tbDpT10_ENKUlT_T0_E_clISt17integral_constantIbLb1EES1B_EEDaS16_S17_EUlS16_E_NS1_11comp_targetILNS1_3genE9ELNS1_11target_archE1100ELNS1_3gpuE3ELNS1_3repE0EEENS1_30default_config_static_selectorELNS0_4arch9wavefront6targetE1EEEvT1_.kd
    .uniform_work_group_size: 1
    .uses_dynamic_stack: false
    .vgpr_count:     0
    .vgpr_spill_count: 0
    .wavefront_size: 64
  - .agpr_count:     0
    .args:
      - .offset:         0
        .size:           152
        .value_kind:     by_value
    .group_segment_fixed_size: 0
    .kernarg_segment_align: 8
    .kernarg_segment_size: 152
    .language:       OpenCL C
    .language_version:
      - 2
      - 0
    .max_flat_workgroup_size: 512
    .name:           _ZN7rocprim17ROCPRIM_400000_NS6detail17trampoline_kernelINS0_14default_configENS1_25partition_config_selectorILNS1_17partition_subalgoE1ExNS0_10empty_typeEbEEZZNS1_14partition_implILS5_1ELb0ES3_jN6thrust23THRUST_200600_302600_NS6detail15normal_iteratorINSA_10device_ptrIxEEEEPS6_NSA_18transform_iteratorI7is_evenIxESF_NSA_11use_defaultESK_EENS0_5tupleIJSF_NSA_16discard_iteratorISK_EEEEENSM_IJSG_SG_EEES6_PlJS6_EEE10hipError_tPvRmT3_T4_T5_T6_T7_T9_mT8_P12ihipStream_tbDpT10_ENKUlT_T0_E_clISt17integral_constantIbLb1EES1B_EEDaS16_S17_EUlS16_E_NS1_11comp_targetILNS1_3genE8ELNS1_11target_archE1030ELNS1_3gpuE2ELNS1_3repE0EEENS1_30default_config_static_selectorELNS0_4arch9wavefront6targetE1EEEvT1_
    .private_segment_fixed_size: 0
    .sgpr_count:     4
    .sgpr_spill_count: 0
    .symbol:         _ZN7rocprim17ROCPRIM_400000_NS6detail17trampoline_kernelINS0_14default_configENS1_25partition_config_selectorILNS1_17partition_subalgoE1ExNS0_10empty_typeEbEEZZNS1_14partition_implILS5_1ELb0ES3_jN6thrust23THRUST_200600_302600_NS6detail15normal_iteratorINSA_10device_ptrIxEEEEPS6_NSA_18transform_iteratorI7is_evenIxESF_NSA_11use_defaultESK_EENS0_5tupleIJSF_NSA_16discard_iteratorISK_EEEEENSM_IJSG_SG_EEES6_PlJS6_EEE10hipError_tPvRmT3_T4_T5_T6_T7_T9_mT8_P12ihipStream_tbDpT10_ENKUlT_T0_E_clISt17integral_constantIbLb1EES1B_EEDaS16_S17_EUlS16_E_NS1_11comp_targetILNS1_3genE8ELNS1_11target_archE1030ELNS1_3gpuE2ELNS1_3repE0EEENS1_30default_config_static_selectorELNS0_4arch9wavefront6targetE1EEEvT1_.kd
    .uniform_work_group_size: 1
    .uses_dynamic_stack: false
    .vgpr_count:     0
    .vgpr_spill_count: 0
    .wavefront_size: 64
  - .agpr_count:     0
    .args:
      - .offset:         0
        .size:           136
        .value_kind:     by_value
    .group_segment_fixed_size: 0
    .kernarg_segment_align: 8
    .kernarg_segment_size: 136
    .language:       OpenCL C
    .language_version:
      - 2
      - 0
    .max_flat_workgroup_size: 128
    .name:           _ZN7rocprim17ROCPRIM_400000_NS6detail17trampoline_kernelINS0_14default_configENS1_25partition_config_selectorILNS1_17partition_subalgoE1ExNS0_10empty_typeEbEEZZNS1_14partition_implILS5_1ELb0ES3_jN6thrust23THRUST_200600_302600_NS6detail15normal_iteratorINSA_10device_ptrIxEEEEPS6_NSA_18transform_iteratorI7is_evenIxESF_NSA_11use_defaultESK_EENS0_5tupleIJSF_NSA_16discard_iteratorISK_EEEEENSM_IJSG_SG_EEES6_PlJS6_EEE10hipError_tPvRmT3_T4_T5_T6_T7_T9_mT8_P12ihipStream_tbDpT10_ENKUlT_T0_E_clISt17integral_constantIbLb1EES1A_IbLb0EEEEDaS16_S17_EUlS16_E_NS1_11comp_targetILNS1_3genE0ELNS1_11target_archE4294967295ELNS1_3gpuE0ELNS1_3repE0EEENS1_30default_config_static_selectorELNS0_4arch9wavefront6targetE1EEEvT1_
    .private_segment_fixed_size: 0
    .sgpr_count:     4
    .sgpr_spill_count: 0
    .symbol:         _ZN7rocprim17ROCPRIM_400000_NS6detail17trampoline_kernelINS0_14default_configENS1_25partition_config_selectorILNS1_17partition_subalgoE1ExNS0_10empty_typeEbEEZZNS1_14partition_implILS5_1ELb0ES3_jN6thrust23THRUST_200600_302600_NS6detail15normal_iteratorINSA_10device_ptrIxEEEEPS6_NSA_18transform_iteratorI7is_evenIxESF_NSA_11use_defaultESK_EENS0_5tupleIJSF_NSA_16discard_iteratorISK_EEEEENSM_IJSG_SG_EEES6_PlJS6_EEE10hipError_tPvRmT3_T4_T5_T6_T7_T9_mT8_P12ihipStream_tbDpT10_ENKUlT_T0_E_clISt17integral_constantIbLb1EES1A_IbLb0EEEEDaS16_S17_EUlS16_E_NS1_11comp_targetILNS1_3genE0ELNS1_11target_archE4294967295ELNS1_3gpuE0ELNS1_3repE0EEENS1_30default_config_static_selectorELNS0_4arch9wavefront6targetE1EEEvT1_.kd
    .uniform_work_group_size: 1
    .uses_dynamic_stack: false
    .vgpr_count:     0
    .vgpr_spill_count: 0
    .wavefront_size: 64
  - .agpr_count:     0
    .args:
      - .offset:         0
        .size:           136
        .value_kind:     by_value
    .group_segment_fixed_size: 0
    .kernarg_segment_align: 8
    .kernarg_segment_size: 136
    .language:       OpenCL C
    .language_version:
      - 2
      - 0
    .max_flat_workgroup_size: 512
    .name:           _ZN7rocprim17ROCPRIM_400000_NS6detail17trampoline_kernelINS0_14default_configENS1_25partition_config_selectorILNS1_17partition_subalgoE1ExNS0_10empty_typeEbEEZZNS1_14partition_implILS5_1ELb0ES3_jN6thrust23THRUST_200600_302600_NS6detail15normal_iteratorINSA_10device_ptrIxEEEEPS6_NSA_18transform_iteratorI7is_evenIxESF_NSA_11use_defaultESK_EENS0_5tupleIJSF_NSA_16discard_iteratorISK_EEEEENSM_IJSG_SG_EEES6_PlJS6_EEE10hipError_tPvRmT3_T4_T5_T6_T7_T9_mT8_P12ihipStream_tbDpT10_ENKUlT_T0_E_clISt17integral_constantIbLb1EES1A_IbLb0EEEEDaS16_S17_EUlS16_E_NS1_11comp_targetILNS1_3genE5ELNS1_11target_archE942ELNS1_3gpuE9ELNS1_3repE0EEENS1_30default_config_static_selectorELNS0_4arch9wavefront6targetE1EEEvT1_
    .private_segment_fixed_size: 0
    .sgpr_count:     4
    .sgpr_spill_count: 0
    .symbol:         _ZN7rocprim17ROCPRIM_400000_NS6detail17trampoline_kernelINS0_14default_configENS1_25partition_config_selectorILNS1_17partition_subalgoE1ExNS0_10empty_typeEbEEZZNS1_14partition_implILS5_1ELb0ES3_jN6thrust23THRUST_200600_302600_NS6detail15normal_iteratorINSA_10device_ptrIxEEEEPS6_NSA_18transform_iteratorI7is_evenIxESF_NSA_11use_defaultESK_EENS0_5tupleIJSF_NSA_16discard_iteratorISK_EEEEENSM_IJSG_SG_EEES6_PlJS6_EEE10hipError_tPvRmT3_T4_T5_T6_T7_T9_mT8_P12ihipStream_tbDpT10_ENKUlT_T0_E_clISt17integral_constantIbLb1EES1A_IbLb0EEEEDaS16_S17_EUlS16_E_NS1_11comp_targetILNS1_3genE5ELNS1_11target_archE942ELNS1_3gpuE9ELNS1_3repE0EEENS1_30default_config_static_selectorELNS0_4arch9wavefront6targetE1EEEvT1_.kd
    .uniform_work_group_size: 1
    .uses_dynamic_stack: false
    .vgpr_count:     0
    .vgpr_spill_count: 0
    .wavefront_size: 64
  - .agpr_count:     0
    .args:
      - .offset:         0
        .size:           136
        .value_kind:     by_value
    .group_segment_fixed_size: 6344
    .kernarg_segment_align: 8
    .kernarg_segment_size: 136
    .language:       OpenCL C
    .language_version:
      - 2
      - 0
    .max_flat_workgroup_size: 192
    .name:           _ZN7rocprim17ROCPRIM_400000_NS6detail17trampoline_kernelINS0_14default_configENS1_25partition_config_selectorILNS1_17partition_subalgoE1ExNS0_10empty_typeEbEEZZNS1_14partition_implILS5_1ELb0ES3_jN6thrust23THRUST_200600_302600_NS6detail15normal_iteratorINSA_10device_ptrIxEEEEPS6_NSA_18transform_iteratorI7is_evenIxESF_NSA_11use_defaultESK_EENS0_5tupleIJSF_NSA_16discard_iteratorISK_EEEEENSM_IJSG_SG_EEES6_PlJS6_EEE10hipError_tPvRmT3_T4_T5_T6_T7_T9_mT8_P12ihipStream_tbDpT10_ENKUlT_T0_E_clISt17integral_constantIbLb1EES1A_IbLb0EEEEDaS16_S17_EUlS16_E_NS1_11comp_targetILNS1_3genE4ELNS1_11target_archE910ELNS1_3gpuE8ELNS1_3repE0EEENS1_30default_config_static_selectorELNS0_4arch9wavefront6targetE1EEEvT1_
    .private_segment_fixed_size: 0
    .sgpr_count:     44
    .sgpr_spill_count: 0
    .symbol:         _ZN7rocprim17ROCPRIM_400000_NS6detail17trampoline_kernelINS0_14default_configENS1_25partition_config_selectorILNS1_17partition_subalgoE1ExNS0_10empty_typeEbEEZZNS1_14partition_implILS5_1ELb0ES3_jN6thrust23THRUST_200600_302600_NS6detail15normal_iteratorINSA_10device_ptrIxEEEEPS6_NSA_18transform_iteratorI7is_evenIxESF_NSA_11use_defaultESK_EENS0_5tupleIJSF_NSA_16discard_iteratorISK_EEEEENSM_IJSG_SG_EEES6_PlJS6_EEE10hipError_tPvRmT3_T4_T5_T6_T7_T9_mT8_P12ihipStream_tbDpT10_ENKUlT_T0_E_clISt17integral_constantIbLb1EES1A_IbLb0EEEEDaS16_S17_EUlS16_E_NS1_11comp_targetILNS1_3genE4ELNS1_11target_archE910ELNS1_3gpuE8ELNS1_3repE0EEENS1_30default_config_static_selectorELNS0_4arch9wavefront6targetE1EEEvT1_.kd
    .uniform_work_group_size: 1
    .uses_dynamic_stack: false
    .vgpr_count:     43
    .vgpr_spill_count: 0
    .wavefront_size: 64
  - .agpr_count:     0
    .args:
      - .offset:         0
        .size:           136
        .value_kind:     by_value
    .group_segment_fixed_size: 0
    .kernarg_segment_align: 8
    .kernarg_segment_size: 136
    .language:       OpenCL C
    .language_version:
      - 2
      - 0
    .max_flat_workgroup_size: 128
    .name:           _ZN7rocprim17ROCPRIM_400000_NS6detail17trampoline_kernelINS0_14default_configENS1_25partition_config_selectorILNS1_17partition_subalgoE1ExNS0_10empty_typeEbEEZZNS1_14partition_implILS5_1ELb0ES3_jN6thrust23THRUST_200600_302600_NS6detail15normal_iteratorINSA_10device_ptrIxEEEEPS6_NSA_18transform_iteratorI7is_evenIxESF_NSA_11use_defaultESK_EENS0_5tupleIJSF_NSA_16discard_iteratorISK_EEEEENSM_IJSG_SG_EEES6_PlJS6_EEE10hipError_tPvRmT3_T4_T5_T6_T7_T9_mT8_P12ihipStream_tbDpT10_ENKUlT_T0_E_clISt17integral_constantIbLb1EES1A_IbLb0EEEEDaS16_S17_EUlS16_E_NS1_11comp_targetILNS1_3genE3ELNS1_11target_archE908ELNS1_3gpuE7ELNS1_3repE0EEENS1_30default_config_static_selectorELNS0_4arch9wavefront6targetE1EEEvT1_
    .private_segment_fixed_size: 0
    .sgpr_count:     4
    .sgpr_spill_count: 0
    .symbol:         _ZN7rocprim17ROCPRIM_400000_NS6detail17trampoline_kernelINS0_14default_configENS1_25partition_config_selectorILNS1_17partition_subalgoE1ExNS0_10empty_typeEbEEZZNS1_14partition_implILS5_1ELb0ES3_jN6thrust23THRUST_200600_302600_NS6detail15normal_iteratorINSA_10device_ptrIxEEEEPS6_NSA_18transform_iteratorI7is_evenIxESF_NSA_11use_defaultESK_EENS0_5tupleIJSF_NSA_16discard_iteratorISK_EEEEENSM_IJSG_SG_EEES6_PlJS6_EEE10hipError_tPvRmT3_T4_T5_T6_T7_T9_mT8_P12ihipStream_tbDpT10_ENKUlT_T0_E_clISt17integral_constantIbLb1EES1A_IbLb0EEEEDaS16_S17_EUlS16_E_NS1_11comp_targetILNS1_3genE3ELNS1_11target_archE908ELNS1_3gpuE7ELNS1_3repE0EEENS1_30default_config_static_selectorELNS0_4arch9wavefront6targetE1EEEvT1_.kd
    .uniform_work_group_size: 1
    .uses_dynamic_stack: false
    .vgpr_count:     0
    .vgpr_spill_count: 0
    .wavefront_size: 64
  - .agpr_count:     0
    .args:
      - .offset:         0
        .size:           136
        .value_kind:     by_value
    .group_segment_fixed_size: 0
    .kernarg_segment_align: 8
    .kernarg_segment_size: 136
    .language:       OpenCL C
    .language_version:
      - 2
      - 0
    .max_flat_workgroup_size: 256
    .name:           _ZN7rocprim17ROCPRIM_400000_NS6detail17trampoline_kernelINS0_14default_configENS1_25partition_config_selectorILNS1_17partition_subalgoE1ExNS0_10empty_typeEbEEZZNS1_14partition_implILS5_1ELb0ES3_jN6thrust23THRUST_200600_302600_NS6detail15normal_iteratorINSA_10device_ptrIxEEEEPS6_NSA_18transform_iteratorI7is_evenIxESF_NSA_11use_defaultESK_EENS0_5tupleIJSF_NSA_16discard_iteratorISK_EEEEENSM_IJSG_SG_EEES6_PlJS6_EEE10hipError_tPvRmT3_T4_T5_T6_T7_T9_mT8_P12ihipStream_tbDpT10_ENKUlT_T0_E_clISt17integral_constantIbLb1EES1A_IbLb0EEEEDaS16_S17_EUlS16_E_NS1_11comp_targetILNS1_3genE2ELNS1_11target_archE906ELNS1_3gpuE6ELNS1_3repE0EEENS1_30default_config_static_selectorELNS0_4arch9wavefront6targetE1EEEvT1_
    .private_segment_fixed_size: 0
    .sgpr_count:     4
    .sgpr_spill_count: 0
    .symbol:         _ZN7rocprim17ROCPRIM_400000_NS6detail17trampoline_kernelINS0_14default_configENS1_25partition_config_selectorILNS1_17partition_subalgoE1ExNS0_10empty_typeEbEEZZNS1_14partition_implILS5_1ELb0ES3_jN6thrust23THRUST_200600_302600_NS6detail15normal_iteratorINSA_10device_ptrIxEEEEPS6_NSA_18transform_iteratorI7is_evenIxESF_NSA_11use_defaultESK_EENS0_5tupleIJSF_NSA_16discard_iteratorISK_EEEEENSM_IJSG_SG_EEES6_PlJS6_EEE10hipError_tPvRmT3_T4_T5_T6_T7_T9_mT8_P12ihipStream_tbDpT10_ENKUlT_T0_E_clISt17integral_constantIbLb1EES1A_IbLb0EEEEDaS16_S17_EUlS16_E_NS1_11comp_targetILNS1_3genE2ELNS1_11target_archE906ELNS1_3gpuE6ELNS1_3repE0EEENS1_30default_config_static_selectorELNS0_4arch9wavefront6targetE1EEEvT1_.kd
    .uniform_work_group_size: 1
    .uses_dynamic_stack: false
    .vgpr_count:     0
    .vgpr_spill_count: 0
    .wavefront_size: 64
  - .agpr_count:     0
    .args:
      - .offset:         0
        .size:           136
        .value_kind:     by_value
    .group_segment_fixed_size: 0
    .kernarg_segment_align: 8
    .kernarg_segment_size: 136
    .language:       OpenCL C
    .language_version:
      - 2
      - 0
    .max_flat_workgroup_size: 256
    .name:           _ZN7rocprim17ROCPRIM_400000_NS6detail17trampoline_kernelINS0_14default_configENS1_25partition_config_selectorILNS1_17partition_subalgoE1ExNS0_10empty_typeEbEEZZNS1_14partition_implILS5_1ELb0ES3_jN6thrust23THRUST_200600_302600_NS6detail15normal_iteratorINSA_10device_ptrIxEEEEPS6_NSA_18transform_iteratorI7is_evenIxESF_NSA_11use_defaultESK_EENS0_5tupleIJSF_NSA_16discard_iteratorISK_EEEEENSM_IJSG_SG_EEES6_PlJS6_EEE10hipError_tPvRmT3_T4_T5_T6_T7_T9_mT8_P12ihipStream_tbDpT10_ENKUlT_T0_E_clISt17integral_constantIbLb1EES1A_IbLb0EEEEDaS16_S17_EUlS16_E_NS1_11comp_targetILNS1_3genE10ELNS1_11target_archE1200ELNS1_3gpuE4ELNS1_3repE0EEENS1_30default_config_static_selectorELNS0_4arch9wavefront6targetE1EEEvT1_
    .private_segment_fixed_size: 0
    .sgpr_count:     4
    .sgpr_spill_count: 0
    .symbol:         _ZN7rocprim17ROCPRIM_400000_NS6detail17trampoline_kernelINS0_14default_configENS1_25partition_config_selectorILNS1_17partition_subalgoE1ExNS0_10empty_typeEbEEZZNS1_14partition_implILS5_1ELb0ES3_jN6thrust23THRUST_200600_302600_NS6detail15normal_iteratorINSA_10device_ptrIxEEEEPS6_NSA_18transform_iteratorI7is_evenIxESF_NSA_11use_defaultESK_EENS0_5tupleIJSF_NSA_16discard_iteratorISK_EEEEENSM_IJSG_SG_EEES6_PlJS6_EEE10hipError_tPvRmT3_T4_T5_T6_T7_T9_mT8_P12ihipStream_tbDpT10_ENKUlT_T0_E_clISt17integral_constantIbLb1EES1A_IbLb0EEEEDaS16_S17_EUlS16_E_NS1_11comp_targetILNS1_3genE10ELNS1_11target_archE1200ELNS1_3gpuE4ELNS1_3repE0EEENS1_30default_config_static_selectorELNS0_4arch9wavefront6targetE1EEEvT1_.kd
    .uniform_work_group_size: 1
    .uses_dynamic_stack: false
    .vgpr_count:     0
    .vgpr_spill_count: 0
    .wavefront_size: 64
  - .agpr_count:     0
    .args:
      - .offset:         0
        .size:           136
        .value_kind:     by_value
    .group_segment_fixed_size: 0
    .kernarg_segment_align: 8
    .kernarg_segment_size: 136
    .language:       OpenCL C
    .language_version:
      - 2
      - 0
    .max_flat_workgroup_size: 128
    .name:           _ZN7rocprim17ROCPRIM_400000_NS6detail17trampoline_kernelINS0_14default_configENS1_25partition_config_selectorILNS1_17partition_subalgoE1ExNS0_10empty_typeEbEEZZNS1_14partition_implILS5_1ELb0ES3_jN6thrust23THRUST_200600_302600_NS6detail15normal_iteratorINSA_10device_ptrIxEEEEPS6_NSA_18transform_iteratorI7is_evenIxESF_NSA_11use_defaultESK_EENS0_5tupleIJSF_NSA_16discard_iteratorISK_EEEEENSM_IJSG_SG_EEES6_PlJS6_EEE10hipError_tPvRmT3_T4_T5_T6_T7_T9_mT8_P12ihipStream_tbDpT10_ENKUlT_T0_E_clISt17integral_constantIbLb1EES1A_IbLb0EEEEDaS16_S17_EUlS16_E_NS1_11comp_targetILNS1_3genE9ELNS1_11target_archE1100ELNS1_3gpuE3ELNS1_3repE0EEENS1_30default_config_static_selectorELNS0_4arch9wavefront6targetE1EEEvT1_
    .private_segment_fixed_size: 0
    .sgpr_count:     4
    .sgpr_spill_count: 0
    .symbol:         _ZN7rocprim17ROCPRIM_400000_NS6detail17trampoline_kernelINS0_14default_configENS1_25partition_config_selectorILNS1_17partition_subalgoE1ExNS0_10empty_typeEbEEZZNS1_14partition_implILS5_1ELb0ES3_jN6thrust23THRUST_200600_302600_NS6detail15normal_iteratorINSA_10device_ptrIxEEEEPS6_NSA_18transform_iteratorI7is_evenIxESF_NSA_11use_defaultESK_EENS0_5tupleIJSF_NSA_16discard_iteratorISK_EEEEENSM_IJSG_SG_EEES6_PlJS6_EEE10hipError_tPvRmT3_T4_T5_T6_T7_T9_mT8_P12ihipStream_tbDpT10_ENKUlT_T0_E_clISt17integral_constantIbLb1EES1A_IbLb0EEEEDaS16_S17_EUlS16_E_NS1_11comp_targetILNS1_3genE9ELNS1_11target_archE1100ELNS1_3gpuE3ELNS1_3repE0EEENS1_30default_config_static_selectorELNS0_4arch9wavefront6targetE1EEEvT1_.kd
    .uniform_work_group_size: 1
    .uses_dynamic_stack: false
    .vgpr_count:     0
    .vgpr_spill_count: 0
    .wavefront_size: 64
  - .agpr_count:     0
    .args:
      - .offset:         0
        .size:           136
        .value_kind:     by_value
    .group_segment_fixed_size: 0
    .kernarg_segment_align: 8
    .kernarg_segment_size: 136
    .language:       OpenCL C
    .language_version:
      - 2
      - 0
    .max_flat_workgroup_size: 512
    .name:           _ZN7rocprim17ROCPRIM_400000_NS6detail17trampoline_kernelINS0_14default_configENS1_25partition_config_selectorILNS1_17partition_subalgoE1ExNS0_10empty_typeEbEEZZNS1_14partition_implILS5_1ELb0ES3_jN6thrust23THRUST_200600_302600_NS6detail15normal_iteratorINSA_10device_ptrIxEEEEPS6_NSA_18transform_iteratorI7is_evenIxESF_NSA_11use_defaultESK_EENS0_5tupleIJSF_NSA_16discard_iteratorISK_EEEEENSM_IJSG_SG_EEES6_PlJS6_EEE10hipError_tPvRmT3_T4_T5_T6_T7_T9_mT8_P12ihipStream_tbDpT10_ENKUlT_T0_E_clISt17integral_constantIbLb1EES1A_IbLb0EEEEDaS16_S17_EUlS16_E_NS1_11comp_targetILNS1_3genE8ELNS1_11target_archE1030ELNS1_3gpuE2ELNS1_3repE0EEENS1_30default_config_static_selectorELNS0_4arch9wavefront6targetE1EEEvT1_
    .private_segment_fixed_size: 0
    .sgpr_count:     4
    .sgpr_spill_count: 0
    .symbol:         _ZN7rocprim17ROCPRIM_400000_NS6detail17trampoline_kernelINS0_14default_configENS1_25partition_config_selectorILNS1_17partition_subalgoE1ExNS0_10empty_typeEbEEZZNS1_14partition_implILS5_1ELb0ES3_jN6thrust23THRUST_200600_302600_NS6detail15normal_iteratorINSA_10device_ptrIxEEEEPS6_NSA_18transform_iteratorI7is_evenIxESF_NSA_11use_defaultESK_EENS0_5tupleIJSF_NSA_16discard_iteratorISK_EEEEENSM_IJSG_SG_EEES6_PlJS6_EEE10hipError_tPvRmT3_T4_T5_T6_T7_T9_mT8_P12ihipStream_tbDpT10_ENKUlT_T0_E_clISt17integral_constantIbLb1EES1A_IbLb0EEEEDaS16_S17_EUlS16_E_NS1_11comp_targetILNS1_3genE8ELNS1_11target_archE1030ELNS1_3gpuE2ELNS1_3repE0EEENS1_30default_config_static_selectorELNS0_4arch9wavefront6targetE1EEEvT1_.kd
    .uniform_work_group_size: 1
    .uses_dynamic_stack: false
    .vgpr_count:     0
    .vgpr_spill_count: 0
    .wavefront_size: 64
  - .agpr_count:     0
    .args:
      - .offset:         0
        .size:           152
        .value_kind:     by_value
    .group_segment_fixed_size: 0
    .kernarg_segment_align: 8
    .kernarg_segment_size: 152
    .language:       OpenCL C
    .language_version:
      - 2
      - 0
    .max_flat_workgroup_size: 128
    .name:           _ZN7rocprim17ROCPRIM_400000_NS6detail17trampoline_kernelINS0_14default_configENS1_25partition_config_selectorILNS1_17partition_subalgoE1ExNS0_10empty_typeEbEEZZNS1_14partition_implILS5_1ELb0ES3_jN6thrust23THRUST_200600_302600_NS6detail15normal_iteratorINSA_10device_ptrIxEEEEPS6_NSA_18transform_iteratorI7is_evenIxESF_NSA_11use_defaultESK_EENS0_5tupleIJSF_NSA_16discard_iteratorISK_EEEEENSM_IJSG_SG_EEES6_PlJS6_EEE10hipError_tPvRmT3_T4_T5_T6_T7_T9_mT8_P12ihipStream_tbDpT10_ENKUlT_T0_E_clISt17integral_constantIbLb0EES1A_IbLb1EEEEDaS16_S17_EUlS16_E_NS1_11comp_targetILNS1_3genE0ELNS1_11target_archE4294967295ELNS1_3gpuE0ELNS1_3repE0EEENS1_30default_config_static_selectorELNS0_4arch9wavefront6targetE1EEEvT1_
    .private_segment_fixed_size: 0
    .sgpr_count:     4
    .sgpr_spill_count: 0
    .symbol:         _ZN7rocprim17ROCPRIM_400000_NS6detail17trampoline_kernelINS0_14default_configENS1_25partition_config_selectorILNS1_17partition_subalgoE1ExNS0_10empty_typeEbEEZZNS1_14partition_implILS5_1ELb0ES3_jN6thrust23THRUST_200600_302600_NS6detail15normal_iteratorINSA_10device_ptrIxEEEEPS6_NSA_18transform_iteratorI7is_evenIxESF_NSA_11use_defaultESK_EENS0_5tupleIJSF_NSA_16discard_iteratorISK_EEEEENSM_IJSG_SG_EEES6_PlJS6_EEE10hipError_tPvRmT3_T4_T5_T6_T7_T9_mT8_P12ihipStream_tbDpT10_ENKUlT_T0_E_clISt17integral_constantIbLb0EES1A_IbLb1EEEEDaS16_S17_EUlS16_E_NS1_11comp_targetILNS1_3genE0ELNS1_11target_archE4294967295ELNS1_3gpuE0ELNS1_3repE0EEENS1_30default_config_static_selectorELNS0_4arch9wavefront6targetE1EEEvT1_.kd
    .uniform_work_group_size: 1
    .uses_dynamic_stack: false
    .vgpr_count:     0
    .vgpr_spill_count: 0
    .wavefront_size: 64
  - .agpr_count:     0
    .args:
      - .offset:         0
        .size:           152
        .value_kind:     by_value
    .group_segment_fixed_size: 0
    .kernarg_segment_align: 8
    .kernarg_segment_size: 152
    .language:       OpenCL C
    .language_version:
      - 2
      - 0
    .max_flat_workgroup_size: 512
    .name:           _ZN7rocprim17ROCPRIM_400000_NS6detail17trampoline_kernelINS0_14default_configENS1_25partition_config_selectorILNS1_17partition_subalgoE1ExNS0_10empty_typeEbEEZZNS1_14partition_implILS5_1ELb0ES3_jN6thrust23THRUST_200600_302600_NS6detail15normal_iteratorINSA_10device_ptrIxEEEEPS6_NSA_18transform_iteratorI7is_evenIxESF_NSA_11use_defaultESK_EENS0_5tupleIJSF_NSA_16discard_iteratorISK_EEEEENSM_IJSG_SG_EEES6_PlJS6_EEE10hipError_tPvRmT3_T4_T5_T6_T7_T9_mT8_P12ihipStream_tbDpT10_ENKUlT_T0_E_clISt17integral_constantIbLb0EES1A_IbLb1EEEEDaS16_S17_EUlS16_E_NS1_11comp_targetILNS1_3genE5ELNS1_11target_archE942ELNS1_3gpuE9ELNS1_3repE0EEENS1_30default_config_static_selectorELNS0_4arch9wavefront6targetE1EEEvT1_
    .private_segment_fixed_size: 0
    .sgpr_count:     4
    .sgpr_spill_count: 0
    .symbol:         _ZN7rocprim17ROCPRIM_400000_NS6detail17trampoline_kernelINS0_14default_configENS1_25partition_config_selectorILNS1_17partition_subalgoE1ExNS0_10empty_typeEbEEZZNS1_14partition_implILS5_1ELb0ES3_jN6thrust23THRUST_200600_302600_NS6detail15normal_iteratorINSA_10device_ptrIxEEEEPS6_NSA_18transform_iteratorI7is_evenIxESF_NSA_11use_defaultESK_EENS0_5tupleIJSF_NSA_16discard_iteratorISK_EEEEENSM_IJSG_SG_EEES6_PlJS6_EEE10hipError_tPvRmT3_T4_T5_T6_T7_T9_mT8_P12ihipStream_tbDpT10_ENKUlT_T0_E_clISt17integral_constantIbLb0EES1A_IbLb1EEEEDaS16_S17_EUlS16_E_NS1_11comp_targetILNS1_3genE5ELNS1_11target_archE942ELNS1_3gpuE9ELNS1_3repE0EEENS1_30default_config_static_selectorELNS0_4arch9wavefront6targetE1EEEvT1_.kd
    .uniform_work_group_size: 1
    .uses_dynamic_stack: false
    .vgpr_count:     0
    .vgpr_spill_count: 0
    .wavefront_size: 64
  - .agpr_count:     0
    .args:
      - .offset:         0
        .size:           152
        .value_kind:     by_value
    .group_segment_fixed_size: 6344
    .kernarg_segment_align: 8
    .kernarg_segment_size: 152
    .language:       OpenCL C
    .language_version:
      - 2
      - 0
    .max_flat_workgroup_size: 192
    .name:           _ZN7rocprim17ROCPRIM_400000_NS6detail17trampoline_kernelINS0_14default_configENS1_25partition_config_selectorILNS1_17partition_subalgoE1ExNS0_10empty_typeEbEEZZNS1_14partition_implILS5_1ELb0ES3_jN6thrust23THRUST_200600_302600_NS6detail15normal_iteratorINSA_10device_ptrIxEEEEPS6_NSA_18transform_iteratorI7is_evenIxESF_NSA_11use_defaultESK_EENS0_5tupleIJSF_NSA_16discard_iteratorISK_EEEEENSM_IJSG_SG_EEES6_PlJS6_EEE10hipError_tPvRmT3_T4_T5_T6_T7_T9_mT8_P12ihipStream_tbDpT10_ENKUlT_T0_E_clISt17integral_constantIbLb0EES1A_IbLb1EEEEDaS16_S17_EUlS16_E_NS1_11comp_targetILNS1_3genE4ELNS1_11target_archE910ELNS1_3gpuE8ELNS1_3repE0EEENS1_30default_config_static_selectorELNS0_4arch9wavefront6targetE1EEEvT1_
    .private_segment_fixed_size: 0
    .sgpr_count:     44
    .sgpr_spill_count: 0
    .symbol:         _ZN7rocprim17ROCPRIM_400000_NS6detail17trampoline_kernelINS0_14default_configENS1_25partition_config_selectorILNS1_17partition_subalgoE1ExNS0_10empty_typeEbEEZZNS1_14partition_implILS5_1ELb0ES3_jN6thrust23THRUST_200600_302600_NS6detail15normal_iteratorINSA_10device_ptrIxEEEEPS6_NSA_18transform_iteratorI7is_evenIxESF_NSA_11use_defaultESK_EENS0_5tupleIJSF_NSA_16discard_iteratorISK_EEEEENSM_IJSG_SG_EEES6_PlJS6_EEE10hipError_tPvRmT3_T4_T5_T6_T7_T9_mT8_P12ihipStream_tbDpT10_ENKUlT_T0_E_clISt17integral_constantIbLb0EES1A_IbLb1EEEEDaS16_S17_EUlS16_E_NS1_11comp_targetILNS1_3genE4ELNS1_11target_archE910ELNS1_3gpuE8ELNS1_3repE0EEENS1_30default_config_static_selectorELNS0_4arch9wavefront6targetE1EEEvT1_.kd
    .uniform_work_group_size: 1
    .uses_dynamic_stack: false
    .vgpr_count:     45
    .vgpr_spill_count: 0
    .wavefront_size: 64
  - .agpr_count:     0
    .args:
      - .offset:         0
        .size:           152
        .value_kind:     by_value
    .group_segment_fixed_size: 0
    .kernarg_segment_align: 8
    .kernarg_segment_size: 152
    .language:       OpenCL C
    .language_version:
      - 2
      - 0
    .max_flat_workgroup_size: 128
    .name:           _ZN7rocprim17ROCPRIM_400000_NS6detail17trampoline_kernelINS0_14default_configENS1_25partition_config_selectorILNS1_17partition_subalgoE1ExNS0_10empty_typeEbEEZZNS1_14partition_implILS5_1ELb0ES3_jN6thrust23THRUST_200600_302600_NS6detail15normal_iteratorINSA_10device_ptrIxEEEEPS6_NSA_18transform_iteratorI7is_evenIxESF_NSA_11use_defaultESK_EENS0_5tupleIJSF_NSA_16discard_iteratorISK_EEEEENSM_IJSG_SG_EEES6_PlJS6_EEE10hipError_tPvRmT3_T4_T5_T6_T7_T9_mT8_P12ihipStream_tbDpT10_ENKUlT_T0_E_clISt17integral_constantIbLb0EES1A_IbLb1EEEEDaS16_S17_EUlS16_E_NS1_11comp_targetILNS1_3genE3ELNS1_11target_archE908ELNS1_3gpuE7ELNS1_3repE0EEENS1_30default_config_static_selectorELNS0_4arch9wavefront6targetE1EEEvT1_
    .private_segment_fixed_size: 0
    .sgpr_count:     4
    .sgpr_spill_count: 0
    .symbol:         _ZN7rocprim17ROCPRIM_400000_NS6detail17trampoline_kernelINS0_14default_configENS1_25partition_config_selectorILNS1_17partition_subalgoE1ExNS0_10empty_typeEbEEZZNS1_14partition_implILS5_1ELb0ES3_jN6thrust23THRUST_200600_302600_NS6detail15normal_iteratorINSA_10device_ptrIxEEEEPS6_NSA_18transform_iteratorI7is_evenIxESF_NSA_11use_defaultESK_EENS0_5tupleIJSF_NSA_16discard_iteratorISK_EEEEENSM_IJSG_SG_EEES6_PlJS6_EEE10hipError_tPvRmT3_T4_T5_T6_T7_T9_mT8_P12ihipStream_tbDpT10_ENKUlT_T0_E_clISt17integral_constantIbLb0EES1A_IbLb1EEEEDaS16_S17_EUlS16_E_NS1_11comp_targetILNS1_3genE3ELNS1_11target_archE908ELNS1_3gpuE7ELNS1_3repE0EEENS1_30default_config_static_selectorELNS0_4arch9wavefront6targetE1EEEvT1_.kd
    .uniform_work_group_size: 1
    .uses_dynamic_stack: false
    .vgpr_count:     0
    .vgpr_spill_count: 0
    .wavefront_size: 64
  - .agpr_count:     0
    .args:
      - .offset:         0
        .size:           152
        .value_kind:     by_value
    .group_segment_fixed_size: 0
    .kernarg_segment_align: 8
    .kernarg_segment_size: 152
    .language:       OpenCL C
    .language_version:
      - 2
      - 0
    .max_flat_workgroup_size: 256
    .name:           _ZN7rocprim17ROCPRIM_400000_NS6detail17trampoline_kernelINS0_14default_configENS1_25partition_config_selectorILNS1_17partition_subalgoE1ExNS0_10empty_typeEbEEZZNS1_14partition_implILS5_1ELb0ES3_jN6thrust23THRUST_200600_302600_NS6detail15normal_iteratorINSA_10device_ptrIxEEEEPS6_NSA_18transform_iteratorI7is_evenIxESF_NSA_11use_defaultESK_EENS0_5tupleIJSF_NSA_16discard_iteratorISK_EEEEENSM_IJSG_SG_EEES6_PlJS6_EEE10hipError_tPvRmT3_T4_T5_T6_T7_T9_mT8_P12ihipStream_tbDpT10_ENKUlT_T0_E_clISt17integral_constantIbLb0EES1A_IbLb1EEEEDaS16_S17_EUlS16_E_NS1_11comp_targetILNS1_3genE2ELNS1_11target_archE906ELNS1_3gpuE6ELNS1_3repE0EEENS1_30default_config_static_selectorELNS0_4arch9wavefront6targetE1EEEvT1_
    .private_segment_fixed_size: 0
    .sgpr_count:     4
    .sgpr_spill_count: 0
    .symbol:         _ZN7rocprim17ROCPRIM_400000_NS6detail17trampoline_kernelINS0_14default_configENS1_25partition_config_selectorILNS1_17partition_subalgoE1ExNS0_10empty_typeEbEEZZNS1_14partition_implILS5_1ELb0ES3_jN6thrust23THRUST_200600_302600_NS6detail15normal_iteratorINSA_10device_ptrIxEEEEPS6_NSA_18transform_iteratorI7is_evenIxESF_NSA_11use_defaultESK_EENS0_5tupleIJSF_NSA_16discard_iteratorISK_EEEEENSM_IJSG_SG_EEES6_PlJS6_EEE10hipError_tPvRmT3_T4_T5_T6_T7_T9_mT8_P12ihipStream_tbDpT10_ENKUlT_T0_E_clISt17integral_constantIbLb0EES1A_IbLb1EEEEDaS16_S17_EUlS16_E_NS1_11comp_targetILNS1_3genE2ELNS1_11target_archE906ELNS1_3gpuE6ELNS1_3repE0EEENS1_30default_config_static_selectorELNS0_4arch9wavefront6targetE1EEEvT1_.kd
    .uniform_work_group_size: 1
    .uses_dynamic_stack: false
    .vgpr_count:     0
    .vgpr_spill_count: 0
    .wavefront_size: 64
  - .agpr_count:     0
    .args:
      - .offset:         0
        .size:           152
        .value_kind:     by_value
    .group_segment_fixed_size: 0
    .kernarg_segment_align: 8
    .kernarg_segment_size: 152
    .language:       OpenCL C
    .language_version:
      - 2
      - 0
    .max_flat_workgroup_size: 256
    .name:           _ZN7rocprim17ROCPRIM_400000_NS6detail17trampoline_kernelINS0_14default_configENS1_25partition_config_selectorILNS1_17partition_subalgoE1ExNS0_10empty_typeEbEEZZNS1_14partition_implILS5_1ELb0ES3_jN6thrust23THRUST_200600_302600_NS6detail15normal_iteratorINSA_10device_ptrIxEEEEPS6_NSA_18transform_iteratorI7is_evenIxESF_NSA_11use_defaultESK_EENS0_5tupleIJSF_NSA_16discard_iteratorISK_EEEEENSM_IJSG_SG_EEES6_PlJS6_EEE10hipError_tPvRmT3_T4_T5_T6_T7_T9_mT8_P12ihipStream_tbDpT10_ENKUlT_T0_E_clISt17integral_constantIbLb0EES1A_IbLb1EEEEDaS16_S17_EUlS16_E_NS1_11comp_targetILNS1_3genE10ELNS1_11target_archE1200ELNS1_3gpuE4ELNS1_3repE0EEENS1_30default_config_static_selectorELNS0_4arch9wavefront6targetE1EEEvT1_
    .private_segment_fixed_size: 0
    .sgpr_count:     4
    .sgpr_spill_count: 0
    .symbol:         _ZN7rocprim17ROCPRIM_400000_NS6detail17trampoline_kernelINS0_14default_configENS1_25partition_config_selectorILNS1_17partition_subalgoE1ExNS0_10empty_typeEbEEZZNS1_14partition_implILS5_1ELb0ES3_jN6thrust23THRUST_200600_302600_NS6detail15normal_iteratorINSA_10device_ptrIxEEEEPS6_NSA_18transform_iteratorI7is_evenIxESF_NSA_11use_defaultESK_EENS0_5tupleIJSF_NSA_16discard_iteratorISK_EEEEENSM_IJSG_SG_EEES6_PlJS6_EEE10hipError_tPvRmT3_T4_T5_T6_T7_T9_mT8_P12ihipStream_tbDpT10_ENKUlT_T0_E_clISt17integral_constantIbLb0EES1A_IbLb1EEEEDaS16_S17_EUlS16_E_NS1_11comp_targetILNS1_3genE10ELNS1_11target_archE1200ELNS1_3gpuE4ELNS1_3repE0EEENS1_30default_config_static_selectorELNS0_4arch9wavefront6targetE1EEEvT1_.kd
    .uniform_work_group_size: 1
    .uses_dynamic_stack: false
    .vgpr_count:     0
    .vgpr_spill_count: 0
    .wavefront_size: 64
  - .agpr_count:     0
    .args:
      - .offset:         0
        .size:           152
        .value_kind:     by_value
    .group_segment_fixed_size: 0
    .kernarg_segment_align: 8
    .kernarg_segment_size: 152
    .language:       OpenCL C
    .language_version:
      - 2
      - 0
    .max_flat_workgroup_size: 128
    .name:           _ZN7rocprim17ROCPRIM_400000_NS6detail17trampoline_kernelINS0_14default_configENS1_25partition_config_selectorILNS1_17partition_subalgoE1ExNS0_10empty_typeEbEEZZNS1_14partition_implILS5_1ELb0ES3_jN6thrust23THRUST_200600_302600_NS6detail15normal_iteratorINSA_10device_ptrIxEEEEPS6_NSA_18transform_iteratorI7is_evenIxESF_NSA_11use_defaultESK_EENS0_5tupleIJSF_NSA_16discard_iteratorISK_EEEEENSM_IJSG_SG_EEES6_PlJS6_EEE10hipError_tPvRmT3_T4_T5_T6_T7_T9_mT8_P12ihipStream_tbDpT10_ENKUlT_T0_E_clISt17integral_constantIbLb0EES1A_IbLb1EEEEDaS16_S17_EUlS16_E_NS1_11comp_targetILNS1_3genE9ELNS1_11target_archE1100ELNS1_3gpuE3ELNS1_3repE0EEENS1_30default_config_static_selectorELNS0_4arch9wavefront6targetE1EEEvT1_
    .private_segment_fixed_size: 0
    .sgpr_count:     4
    .sgpr_spill_count: 0
    .symbol:         _ZN7rocprim17ROCPRIM_400000_NS6detail17trampoline_kernelINS0_14default_configENS1_25partition_config_selectorILNS1_17partition_subalgoE1ExNS0_10empty_typeEbEEZZNS1_14partition_implILS5_1ELb0ES3_jN6thrust23THRUST_200600_302600_NS6detail15normal_iteratorINSA_10device_ptrIxEEEEPS6_NSA_18transform_iteratorI7is_evenIxESF_NSA_11use_defaultESK_EENS0_5tupleIJSF_NSA_16discard_iteratorISK_EEEEENSM_IJSG_SG_EEES6_PlJS6_EEE10hipError_tPvRmT3_T4_T5_T6_T7_T9_mT8_P12ihipStream_tbDpT10_ENKUlT_T0_E_clISt17integral_constantIbLb0EES1A_IbLb1EEEEDaS16_S17_EUlS16_E_NS1_11comp_targetILNS1_3genE9ELNS1_11target_archE1100ELNS1_3gpuE3ELNS1_3repE0EEENS1_30default_config_static_selectorELNS0_4arch9wavefront6targetE1EEEvT1_.kd
    .uniform_work_group_size: 1
    .uses_dynamic_stack: false
    .vgpr_count:     0
    .vgpr_spill_count: 0
    .wavefront_size: 64
  - .agpr_count:     0
    .args:
      - .offset:         0
        .size:           152
        .value_kind:     by_value
    .group_segment_fixed_size: 0
    .kernarg_segment_align: 8
    .kernarg_segment_size: 152
    .language:       OpenCL C
    .language_version:
      - 2
      - 0
    .max_flat_workgroup_size: 512
    .name:           _ZN7rocprim17ROCPRIM_400000_NS6detail17trampoline_kernelINS0_14default_configENS1_25partition_config_selectorILNS1_17partition_subalgoE1ExNS0_10empty_typeEbEEZZNS1_14partition_implILS5_1ELb0ES3_jN6thrust23THRUST_200600_302600_NS6detail15normal_iteratorINSA_10device_ptrIxEEEEPS6_NSA_18transform_iteratorI7is_evenIxESF_NSA_11use_defaultESK_EENS0_5tupleIJSF_NSA_16discard_iteratorISK_EEEEENSM_IJSG_SG_EEES6_PlJS6_EEE10hipError_tPvRmT3_T4_T5_T6_T7_T9_mT8_P12ihipStream_tbDpT10_ENKUlT_T0_E_clISt17integral_constantIbLb0EES1A_IbLb1EEEEDaS16_S17_EUlS16_E_NS1_11comp_targetILNS1_3genE8ELNS1_11target_archE1030ELNS1_3gpuE2ELNS1_3repE0EEENS1_30default_config_static_selectorELNS0_4arch9wavefront6targetE1EEEvT1_
    .private_segment_fixed_size: 0
    .sgpr_count:     4
    .sgpr_spill_count: 0
    .symbol:         _ZN7rocprim17ROCPRIM_400000_NS6detail17trampoline_kernelINS0_14default_configENS1_25partition_config_selectorILNS1_17partition_subalgoE1ExNS0_10empty_typeEbEEZZNS1_14partition_implILS5_1ELb0ES3_jN6thrust23THRUST_200600_302600_NS6detail15normal_iteratorINSA_10device_ptrIxEEEEPS6_NSA_18transform_iteratorI7is_evenIxESF_NSA_11use_defaultESK_EENS0_5tupleIJSF_NSA_16discard_iteratorISK_EEEEENSM_IJSG_SG_EEES6_PlJS6_EEE10hipError_tPvRmT3_T4_T5_T6_T7_T9_mT8_P12ihipStream_tbDpT10_ENKUlT_T0_E_clISt17integral_constantIbLb0EES1A_IbLb1EEEEDaS16_S17_EUlS16_E_NS1_11comp_targetILNS1_3genE8ELNS1_11target_archE1030ELNS1_3gpuE2ELNS1_3repE0EEENS1_30default_config_static_selectorELNS0_4arch9wavefront6targetE1EEEvT1_.kd
    .uniform_work_group_size: 1
    .uses_dynamic_stack: false
    .vgpr_count:     0
    .vgpr_spill_count: 0
    .wavefront_size: 64
  - .agpr_count:     0
    .args:
      - .offset:         0
        .size:           136
        .value_kind:     by_value
    .group_segment_fixed_size: 0
    .kernarg_segment_align: 8
    .kernarg_segment_size: 136
    .language:       OpenCL C
    .language_version:
      - 2
      - 0
    .max_flat_workgroup_size: 128
    .name:           _ZN7rocprim17ROCPRIM_400000_NS6detail17trampoline_kernelINS0_14default_configENS1_25partition_config_selectorILNS1_17partition_subalgoE1ExNS0_10empty_typeEbEEZZNS1_14partition_implILS5_1ELb0ES3_jN6thrust23THRUST_200600_302600_NS6detail15normal_iteratorINSA_10device_ptrIxEEEEPS6_NSA_18transform_iteratorI7is_evenIxESF_NSA_11use_defaultESK_EENS0_5tupleIJNSA_16discard_iteratorISK_EESF_EEENSM_IJSG_SG_EEES6_PlJS6_EEE10hipError_tPvRmT3_T4_T5_T6_T7_T9_mT8_P12ihipStream_tbDpT10_ENKUlT_T0_E_clISt17integral_constantIbLb0EES1B_EEDaS16_S17_EUlS16_E_NS1_11comp_targetILNS1_3genE0ELNS1_11target_archE4294967295ELNS1_3gpuE0ELNS1_3repE0EEENS1_30default_config_static_selectorELNS0_4arch9wavefront6targetE1EEEvT1_
    .private_segment_fixed_size: 0
    .sgpr_count:     4
    .sgpr_spill_count: 0
    .symbol:         _ZN7rocprim17ROCPRIM_400000_NS6detail17trampoline_kernelINS0_14default_configENS1_25partition_config_selectorILNS1_17partition_subalgoE1ExNS0_10empty_typeEbEEZZNS1_14partition_implILS5_1ELb0ES3_jN6thrust23THRUST_200600_302600_NS6detail15normal_iteratorINSA_10device_ptrIxEEEEPS6_NSA_18transform_iteratorI7is_evenIxESF_NSA_11use_defaultESK_EENS0_5tupleIJNSA_16discard_iteratorISK_EESF_EEENSM_IJSG_SG_EEES6_PlJS6_EEE10hipError_tPvRmT3_T4_T5_T6_T7_T9_mT8_P12ihipStream_tbDpT10_ENKUlT_T0_E_clISt17integral_constantIbLb0EES1B_EEDaS16_S17_EUlS16_E_NS1_11comp_targetILNS1_3genE0ELNS1_11target_archE4294967295ELNS1_3gpuE0ELNS1_3repE0EEENS1_30default_config_static_selectorELNS0_4arch9wavefront6targetE1EEEvT1_.kd
    .uniform_work_group_size: 1
    .uses_dynamic_stack: false
    .vgpr_count:     0
    .vgpr_spill_count: 0
    .wavefront_size: 64
  - .agpr_count:     0
    .args:
      - .offset:         0
        .size:           136
        .value_kind:     by_value
    .group_segment_fixed_size: 0
    .kernarg_segment_align: 8
    .kernarg_segment_size: 136
    .language:       OpenCL C
    .language_version:
      - 2
      - 0
    .max_flat_workgroup_size: 512
    .name:           _ZN7rocprim17ROCPRIM_400000_NS6detail17trampoline_kernelINS0_14default_configENS1_25partition_config_selectorILNS1_17partition_subalgoE1ExNS0_10empty_typeEbEEZZNS1_14partition_implILS5_1ELb0ES3_jN6thrust23THRUST_200600_302600_NS6detail15normal_iteratorINSA_10device_ptrIxEEEEPS6_NSA_18transform_iteratorI7is_evenIxESF_NSA_11use_defaultESK_EENS0_5tupleIJNSA_16discard_iteratorISK_EESF_EEENSM_IJSG_SG_EEES6_PlJS6_EEE10hipError_tPvRmT3_T4_T5_T6_T7_T9_mT8_P12ihipStream_tbDpT10_ENKUlT_T0_E_clISt17integral_constantIbLb0EES1B_EEDaS16_S17_EUlS16_E_NS1_11comp_targetILNS1_3genE5ELNS1_11target_archE942ELNS1_3gpuE9ELNS1_3repE0EEENS1_30default_config_static_selectorELNS0_4arch9wavefront6targetE1EEEvT1_
    .private_segment_fixed_size: 0
    .sgpr_count:     4
    .sgpr_spill_count: 0
    .symbol:         _ZN7rocprim17ROCPRIM_400000_NS6detail17trampoline_kernelINS0_14default_configENS1_25partition_config_selectorILNS1_17partition_subalgoE1ExNS0_10empty_typeEbEEZZNS1_14partition_implILS5_1ELb0ES3_jN6thrust23THRUST_200600_302600_NS6detail15normal_iteratorINSA_10device_ptrIxEEEEPS6_NSA_18transform_iteratorI7is_evenIxESF_NSA_11use_defaultESK_EENS0_5tupleIJNSA_16discard_iteratorISK_EESF_EEENSM_IJSG_SG_EEES6_PlJS6_EEE10hipError_tPvRmT3_T4_T5_T6_T7_T9_mT8_P12ihipStream_tbDpT10_ENKUlT_T0_E_clISt17integral_constantIbLb0EES1B_EEDaS16_S17_EUlS16_E_NS1_11comp_targetILNS1_3genE5ELNS1_11target_archE942ELNS1_3gpuE9ELNS1_3repE0EEENS1_30default_config_static_selectorELNS0_4arch9wavefront6targetE1EEEvT1_.kd
    .uniform_work_group_size: 1
    .uses_dynamic_stack: false
    .vgpr_count:     0
    .vgpr_spill_count: 0
    .wavefront_size: 64
  - .agpr_count:     0
    .args:
      - .offset:         0
        .size:           136
        .value_kind:     by_value
    .group_segment_fixed_size: 6344
    .kernarg_segment_align: 8
    .kernarg_segment_size: 136
    .language:       OpenCL C
    .language_version:
      - 2
      - 0
    .max_flat_workgroup_size: 192
    .name:           _ZN7rocprim17ROCPRIM_400000_NS6detail17trampoline_kernelINS0_14default_configENS1_25partition_config_selectorILNS1_17partition_subalgoE1ExNS0_10empty_typeEbEEZZNS1_14partition_implILS5_1ELb0ES3_jN6thrust23THRUST_200600_302600_NS6detail15normal_iteratorINSA_10device_ptrIxEEEEPS6_NSA_18transform_iteratorI7is_evenIxESF_NSA_11use_defaultESK_EENS0_5tupleIJNSA_16discard_iteratorISK_EESF_EEENSM_IJSG_SG_EEES6_PlJS6_EEE10hipError_tPvRmT3_T4_T5_T6_T7_T9_mT8_P12ihipStream_tbDpT10_ENKUlT_T0_E_clISt17integral_constantIbLb0EES1B_EEDaS16_S17_EUlS16_E_NS1_11comp_targetILNS1_3genE4ELNS1_11target_archE910ELNS1_3gpuE8ELNS1_3repE0EEENS1_30default_config_static_selectorELNS0_4arch9wavefront6targetE1EEEvT1_
    .private_segment_fixed_size: 0
    .sgpr_count:     48
    .sgpr_spill_count: 0
    .symbol:         _ZN7rocprim17ROCPRIM_400000_NS6detail17trampoline_kernelINS0_14default_configENS1_25partition_config_selectorILNS1_17partition_subalgoE1ExNS0_10empty_typeEbEEZZNS1_14partition_implILS5_1ELb0ES3_jN6thrust23THRUST_200600_302600_NS6detail15normal_iteratorINSA_10device_ptrIxEEEEPS6_NSA_18transform_iteratorI7is_evenIxESF_NSA_11use_defaultESK_EENS0_5tupleIJNSA_16discard_iteratorISK_EESF_EEENSM_IJSG_SG_EEES6_PlJS6_EEE10hipError_tPvRmT3_T4_T5_T6_T7_T9_mT8_P12ihipStream_tbDpT10_ENKUlT_T0_E_clISt17integral_constantIbLb0EES1B_EEDaS16_S17_EUlS16_E_NS1_11comp_targetILNS1_3genE4ELNS1_11target_archE910ELNS1_3gpuE8ELNS1_3repE0EEENS1_30default_config_static_selectorELNS0_4arch9wavefront6targetE1EEEvT1_.kd
    .uniform_work_group_size: 1
    .uses_dynamic_stack: false
    .vgpr_count:     43
    .vgpr_spill_count: 0
    .wavefront_size: 64
  - .agpr_count:     0
    .args:
      - .offset:         0
        .size:           136
        .value_kind:     by_value
    .group_segment_fixed_size: 0
    .kernarg_segment_align: 8
    .kernarg_segment_size: 136
    .language:       OpenCL C
    .language_version:
      - 2
      - 0
    .max_flat_workgroup_size: 128
    .name:           _ZN7rocprim17ROCPRIM_400000_NS6detail17trampoline_kernelINS0_14default_configENS1_25partition_config_selectorILNS1_17partition_subalgoE1ExNS0_10empty_typeEbEEZZNS1_14partition_implILS5_1ELb0ES3_jN6thrust23THRUST_200600_302600_NS6detail15normal_iteratorINSA_10device_ptrIxEEEEPS6_NSA_18transform_iteratorI7is_evenIxESF_NSA_11use_defaultESK_EENS0_5tupleIJNSA_16discard_iteratorISK_EESF_EEENSM_IJSG_SG_EEES6_PlJS6_EEE10hipError_tPvRmT3_T4_T5_T6_T7_T9_mT8_P12ihipStream_tbDpT10_ENKUlT_T0_E_clISt17integral_constantIbLb0EES1B_EEDaS16_S17_EUlS16_E_NS1_11comp_targetILNS1_3genE3ELNS1_11target_archE908ELNS1_3gpuE7ELNS1_3repE0EEENS1_30default_config_static_selectorELNS0_4arch9wavefront6targetE1EEEvT1_
    .private_segment_fixed_size: 0
    .sgpr_count:     4
    .sgpr_spill_count: 0
    .symbol:         _ZN7rocprim17ROCPRIM_400000_NS6detail17trampoline_kernelINS0_14default_configENS1_25partition_config_selectorILNS1_17partition_subalgoE1ExNS0_10empty_typeEbEEZZNS1_14partition_implILS5_1ELb0ES3_jN6thrust23THRUST_200600_302600_NS6detail15normal_iteratorINSA_10device_ptrIxEEEEPS6_NSA_18transform_iteratorI7is_evenIxESF_NSA_11use_defaultESK_EENS0_5tupleIJNSA_16discard_iteratorISK_EESF_EEENSM_IJSG_SG_EEES6_PlJS6_EEE10hipError_tPvRmT3_T4_T5_T6_T7_T9_mT8_P12ihipStream_tbDpT10_ENKUlT_T0_E_clISt17integral_constantIbLb0EES1B_EEDaS16_S17_EUlS16_E_NS1_11comp_targetILNS1_3genE3ELNS1_11target_archE908ELNS1_3gpuE7ELNS1_3repE0EEENS1_30default_config_static_selectorELNS0_4arch9wavefront6targetE1EEEvT1_.kd
    .uniform_work_group_size: 1
    .uses_dynamic_stack: false
    .vgpr_count:     0
    .vgpr_spill_count: 0
    .wavefront_size: 64
  - .agpr_count:     0
    .args:
      - .offset:         0
        .size:           136
        .value_kind:     by_value
    .group_segment_fixed_size: 0
    .kernarg_segment_align: 8
    .kernarg_segment_size: 136
    .language:       OpenCL C
    .language_version:
      - 2
      - 0
    .max_flat_workgroup_size: 256
    .name:           _ZN7rocprim17ROCPRIM_400000_NS6detail17trampoline_kernelINS0_14default_configENS1_25partition_config_selectorILNS1_17partition_subalgoE1ExNS0_10empty_typeEbEEZZNS1_14partition_implILS5_1ELb0ES3_jN6thrust23THRUST_200600_302600_NS6detail15normal_iteratorINSA_10device_ptrIxEEEEPS6_NSA_18transform_iteratorI7is_evenIxESF_NSA_11use_defaultESK_EENS0_5tupleIJNSA_16discard_iteratorISK_EESF_EEENSM_IJSG_SG_EEES6_PlJS6_EEE10hipError_tPvRmT3_T4_T5_T6_T7_T9_mT8_P12ihipStream_tbDpT10_ENKUlT_T0_E_clISt17integral_constantIbLb0EES1B_EEDaS16_S17_EUlS16_E_NS1_11comp_targetILNS1_3genE2ELNS1_11target_archE906ELNS1_3gpuE6ELNS1_3repE0EEENS1_30default_config_static_selectorELNS0_4arch9wavefront6targetE1EEEvT1_
    .private_segment_fixed_size: 0
    .sgpr_count:     4
    .sgpr_spill_count: 0
    .symbol:         _ZN7rocprim17ROCPRIM_400000_NS6detail17trampoline_kernelINS0_14default_configENS1_25partition_config_selectorILNS1_17partition_subalgoE1ExNS0_10empty_typeEbEEZZNS1_14partition_implILS5_1ELb0ES3_jN6thrust23THRUST_200600_302600_NS6detail15normal_iteratorINSA_10device_ptrIxEEEEPS6_NSA_18transform_iteratorI7is_evenIxESF_NSA_11use_defaultESK_EENS0_5tupleIJNSA_16discard_iteratorISK_EESF_EEENSM_IJSG_SG_EEES6_PlJS6_EEE10hipError_tPvRmT3_T4_T5_T6_T7_T9_mT8_P12ihipStream_tbDpT10_ENKUlT_T0_E_clISt17integral_constantIbLb0EES1B_EEDaS16_S17_EUlS16_E_NS1_11comp_targetILNS1_3genE2ELNS1_11target_archE906ELNS1_3gpuE6ELNS1_3repE0EEENS1_30default_config_static_selectorELNS0_4arch9wavefront6targetE1EEEvT1_.kd
    .uniform_work_group_size: 1
    .uses_dynamic_stack: false
    .vgpr_count:     0
    .vgpr_spill_count: 0
    .wavefront_size: 64
  - .agpr_count:     0
    .args:
      - .offset:         0
        .size:           136
        .value_kind:     by_value
    .group_segment_fixed_size: 0
    .kernarg_segment_align: 8
    .kernarg_segment_size: 136
    .language:       OpenCL C
    .language_version:
      - 2
      - 0
    .max_flat_workgroup_size: 256
    .name:           _ZN7rocprim17ROCPRIM_400000_NS6detail17trampoline_kernelINS0_14default_configENS1_25partition_config_selectorILNS1_17partition_subalgoE1ExNS0_10empty_typeEbEEZZNS1_14partition_implILS5_1ELb0ES3_jN6thrust23THRUST_200600_302600_NS6detail15normal_iteratorINSA_10device_ptrIxEEEEPS6_NSA_18transform_iteratorI7is_evenIxESF_NSA_11use_defaultESK_EENS0_5tupleIJNSA_16discard_iteratorISK_EESF_EEENSM_IJSG_SG_EEES6_PlJS6_EEE10hipError_tPvRmT3_T4_T5_T6_T7_T9_mT8_P12ihipStream_tbDpT10_ENKUlT_T0_E_clISt17integral_constantIbLb0EES1B_EEDaS16_S17_EUlS16_E_NS1_11comp_targetILNS1_3genE10ELNS1_11target_archE1200ELNS1_3gpuE4ELNS1_3repE0EEENS1_30default_config_static_selectorELNS0_4arch9wavefront6targetE1EEEvT1_
    .private_segment_fixed_size: 0
    .sgpr_count:     4
    .sgpr_spill_count: 0
    .symbol:         _ZN7rocprim17ROCPRIM_400000_NS6detail17trampoline_kernelINS0_14default_configENS1_25partition_config_selectorILNS1_17partition_subalgoE1ExNS0_10empty_typeEbEEZZNS1_14partition_implILS5_1ELb0ES3_jN6thrust23THRUST_200600_302600_NS6detail15normal_iteratorINSA_10device_ptrIxEEEEPS6_NSA_18transform_iteratorI7is_evenIxESF_NSA_11use_defaultESK_EENS0_5tupleIJNSA_16discard_iteratorISK_EESF_EEENSM_IJSG_SG_EEES6_PlJS6_EEE10hipError_tPvRmT3_T4_T5_T6_T7_T9_mT8_P12ihipStream_tbDpT10_ENKUlT_T0_E_clISt17integral_constantIbLb0EES1B_EEDaS16_S17_EUlS16_E_NS1_11comp_targetILNS1_3genE10ELNS1_11target_archE1200ELNS1_3gpuE4ELNS1_3repE0EEENS1_30default_config_static_selectorELNS0_4arch9wavefront6targetE1EEEvT1_.kd
    .uniform_work_group_size: 1
    .uses_dynamic_stack: false
    .vgpr_count:     0
    .vgpr_spill_count: 0
    .wavefront_size: 64
  - .agpr_count:     0
    .args:
      - .offset:         0
        .size:           136
        .value_kind:     by_value
    .group_segment_fixed_size: 0
    .kernarg_segment_align: 8
    .kernarg_segment_size: 136
    .language:       OpenCL C
    .language_version:
      - 2
      - 0
    .max_flat_workgroup_size: 128
    .name:           _ZN7rocprim17ROCPRIM_400000_NS6detail17trampoline_kernelINS0_14default_configENS1_25partition_config_selectorILNS1_17partition_subalgoE1ExNS0_10empty_typeEbEEZZNS1_14partition_implILS5_1ELb0ES3_jN6thrust23THRUST_200600_302600_NS6detail15normal_iteratorINSA_10device_ptrIxEEEEPS6_NSA_18transform_iteratorI7is_evenIxESF_NSA_11use_defaultESK_EENS0_5tupleIJNSA_16discard_iteratorISK_EESF_EEENSM_IJSG_SG_EEES6_PlJS6_EEE10hipError_tPvRmT3_T4_T5_T6_T7_T9_mT8_P12ihipStream_tbDpT10_ENKUlT_T0_E_clISt17integral_constantIbLb0EES1B_EEDaS16_S17_EUlS16_E_NS1_11comp_targetILNS1_3genE9ELNS1_11target_archE1100ELNS1_3gpuE3ELNS1_3repE0EEENS1_30default_config_static_selectorELNS0_4arch9wavefront6targetE1EEEvT1_
    .private_segment_fixed_size: 0
    .sgpr_count:     4
    .sgpr_spill_count: 0
    .symbol:         _ZN7rocprim17ROCPRIM_400000_NS6detail17trampoline_kernelINS0_14default_configENS1_25partition_config_selectorILNS1_17partition_subalgoE1ExNS0_10empty_typeEbEEZZNS1_14partition_implILS5_1ELb0ES3_jN6thrust23THRUST_200600_302600_NS6detail15normal_iteratorINSA_10device_ptrIxEEEEPS6_NSA_18transform_iteratorI7is_evenIxESF_NSA_11use_defaultESK_EENS0_5tupleIJNSA_16discard_iteratorISK_EESF_EEENSM_IJSG_SG_EEES6_PlJS6_EEE10hipError_tPvRmT3_T4_T5_T6_T7_T9_mT8_P12ihipStream_tbDpT10_ENKUlT_T0_E_clISt17integral_constantIbLb0EES1B_EEDaS16_S17_EUlS16_E_NS1_11comp_targetILNS1_3genE9ELNS1_11target_archE1100ELNS1_3gpuE3ELNS1_3repE0EEENS1_30default_config_static_selectorELNS0_4arch9wavefront6targetE1EEEvT1_.kd
    .uniform_work_group_size: 1
    .uses_dynamic_stack: false
    .vgpr_count:     0
    .vgpr_spill_count: 0
    .wavefront_size: 64
  - .agpr_count:     0
    .args:
      - .offset:         0
        .size:           136
        .value_kind:     by_value
    .group_segment_fixed_size: 0
    .kernarg_segment_align: 8
    .kernarg_segment_size: 136
    .language:       OpenCL C
    .language_version:
      - 2
      - 0
    .max_flat_workgroup_size: 512
    .name:           _ZN7rocprim17ROCPRIM_400000_NS6detail17trampoline_kernelINS0_14default_configENS1_25partition_config_selectorILNS1_17partition_subalgoE1ExNS0_10empty_typeEbEEZZNS1_14partition_implILS5_1ELb0ES3_jN6thrust23THRUST_200600_302600_NS6detail15normal_iteratorINSA_10device_ptrIxEEEEPS6_NSA_18transform_iteratorI7is_evenIxESF_NSA_11use_defaultESK_EENS0_5tupleIJNSA_16discard_iteratorISK_EESF_EEENSM_IJSG_SG_EEES6_PlJS6_EEE10hipError_tPvRmT3_T4_T5_T6_T7_T9_mT8_P12ihipStream_tbDpT10_ENKUlT_T0_E_clISt17integral_constantIbLb0EES1B_EEDaS16_S17_EUlS16_E_NS1_11comp_targetILNS1_3genE8ELNS1_11target_archE1030ELNS1_3gpuE2ELNS1_3repE0EEENS1_30default_config_static_selectorELNS0_4arch9wavefront6targetE1EEEvT1_
    .private_segment_fixed_size: 0
    .sgpr_count:     4
    .sgpr_spill_count: 0
    .symbol:         _ZN7rocprim17ROCPRIM_400000_NS6detail17trampoline_kernelINS0_14default_configENS1_25partition_config_selectorILNS1_17partition_subalgoE1ExNS0_10empty_typeEbEEZZNS1_14partition_implILS5_1ELb0ES3_jN6thrust23THRUST_200600_302600_NS6detail15normal_iteratorINSA_10device_ptrIxEEEEPS6_NSA_18transform_iteratorI7is_evenIxESF_NSA_11use_defaultESK_EENS0_5tupleIJNSA_16discard_iteratorISK_EESF_EEENSM_IJSG_SG_EEES6_PlJS6_EEE10hipError_tPvRmT3_T4_T5_T6_T7_T9_mT8_P12ihipStream_tbDpT10_ENKUlT_T0_E_clISt17integral_constantIbLb0EES1B_EEDaS16_S17_EUlS16_E_NS1_11comp_targetILNS1_3genE8ELNS1_11target_archE1030ELNS1_3gpuE2ELNS1_3repE0EEENS1_30default_config_static_selectorELNS0_4arch9wavefront6targetE1EEEvT1_.kd
    .uniform_work_group_size: 1
    .uses_dynamic_stack: false
    .vgpr_count:     0
    .vgpr_spill_count: 0
    .wavefront_size: 64
  - .agpr_count:     0
    .args:
      - .offset:         0
        .size:           152
        .value_kind:     by_value
    .group_segment_fixed_size: 0
    .kernarg_segment_align: 8
    .kernarg_segment_size: 152
    .language:       OpenCL C
    .language_version:
      - 2
      - 0
    .max_flat_workgroup_size: 128
    .name:           _ZN7rocprim17ROCPRIM_400000_NS6detail17trampoline_kernelINS0_14default_configENS1_25partition_config_selectorILNS1_17partition_subalgoE1ExNS0_10empty_typeEbEEZZNS1_14partition_implILS5_1ELb0ES3_jN6thrust23THRUST_200600_302600_NS6detail15normal_iteratorINSA_10device_ptrIxEEEEPS6_NSA_18transform_iteratorI7is_evenIxESF_NSA_11use_defaultESK_EENS0_5tupleIJNSA_16discard_iteratorISK_EESF_EEENSM_IJSG_SG_EEES6_PlJS6_EEE10hipError_tPvRmT3_T4_T5_T6_T7_T9_mT8_P12ihipStream_tbDpT10_ENKUlT_T0_E_clISt17integral_constantIbLb1EES1B_EEDaS16_S17_EUlS16_E_NS1_11comp_targetILNS1_3genE0ELNS1_11target_archE4294967295ELNS1_3gpuE0ELNS1_3repE0EEENS1_30default_config_static_selectorELNS0_4arch9wavefront6targetE1EEEvT1_
    .private_segment_fixed_size: 0
    .sgpr_count:     4
    .sgpr_spill_count: 0
    .symbol:         _ZN7rocprim17ROCPRIM_400000_NS6detail17trampoline_kernelINS0_14default_configENS1_25partition_config_selectorILNS1_17partition_subalgoE1ExNS0_10empty_typeEbEEZZNS1_14partition_implILS5_1ELb0ES3_jN6thrust23THRUST_200600_302600_NS6detail15normal_iteratorINSA_10device_ptrIxEEEEPS6_NSA_18transform_iteratorI7is_evenIxESF_NSA_11use_defaultESK_EENS0_5tupleIJNSA_16discard_iteratorISK_EESF_EEENSM_IJSG_SG_EEES6_PlJS6_EEE10hipError_tPvRmT3_T4_T5_T6_T7_T9_mT8_P12ihipStream_tbDpT10_ENKUlT_T0_E_clISt17integral_constantIbLb1EES1B_EEDaS16_S17_EUlS16_E_NS1_11comp_targetILNS1_3genE0ELNS1_11target_archE4294967295ELNS1_3gpuE0ELNS1_3repE0EEENS1_30default_config_static_selectorELNS0_4arch9wavefront6targetE1EEEvT1_.kd
    .uniform_work_group_size: 1
    .uses_dynamic_stack: false
    .vgpr_count:     0
    .vgpr_spill_count: 0
    .wavefront_size: 64
  - .agpr_count:     0
    .args:
      - .offset:         0
        .size:           152
        .value_kind:     by_value
    .group_segment_fixed_size: 0
    .kernarg_segment_align: 8
    .kernarg_segment_size: 152
    .language:       OpenCL C
    .language_version:
      - 2
      - 0
    .max_flat_workgroup_size: 512
    .name:           _ZN7rocprim17ROCPRIM_400000_NS6detail17trampoline_kernelINS0_14default_configENS1_25partition_config_selectorILNS1_17partition_subalgoE1ExNS0_10empty_typeEbEEZZNS1_14partition_implILS5_1ELb0ES3_jN6thrust23THRUST_200600_302600_NS6detail15normal_iteratorINSA_10device_ptrIxEEEEPS6_NSA_18transform_iteratorI7is_evenIxESF_NSA_11use_defaultESK_EENS0_5tupleIJNSA_16discard_iteratorISK_EESF_EEENSM_IJSG_SG_EEES6_PlJS6_EEE10hipError_tPvRmT3_T4_T5_T6_T7_T9_mT8_P12ihipStream_tbDpT10_ENKUlT_T0_E_clISt17integral_constantIbLb1EES1B_EEDaS16_S17_EUlS16_E_NS1_11comp_targetILNS1_3genE5ELNS1_11target_archE942ELNS1_3gpuE9ELNS1_3repE0EEENS1_30default_config_static_selectorELNS0_4arch9wavefront6targetE1EEEvT1_
    .private_segment_fixed_size: 0
    .sgpr_count:     4
    .sgpr_spill_count: 0
    .symbol:         _ZN7rocprim17ROCPRIM_400000_NS6detail17trampoline_kernelINS0_14default_configENS1_25partition_config_selectorILNS1_17partition_subalgoE1ExNS0_10empty_typeEbEEZZNS1_14partition_implILS5_1ELb0ES3_jN6thrust23THRUST_200600_302600_NS6detail15normal_iteratorINSA_10device_ptrIxEEEEPS6_NSA_18transform_iteratorI7is_evenIxESF_NSA_11use_defaultESK_EENS0_5tupleIJNSA_16discard_iteratorISK_EESF_EEENSM_IJSG_SG_EEES6_PlJS6_EEE10hipError_tPvRmT3_T4_T5_T6_T7_T9_mT8_P12ihipStream_tbDpT10_ENKUlT_T0_E_clISt17integral_constantIbLb1EES1B_EEDaS16_S17_EUlS16_E_NS1_11comp_targetILNS1_3genE5ELNS1_11target_archE942ELNS1_3gpuE9ELNS1_3repE0EEENS1_30default_config_static_selectorELNS0_4arch9wavefront6targetE1EEEvT1_.kd
    .uniform_work_group_size: 1
    .uses_dynamic_stack: false
    .vgpr_count:     0
    .vgpr_spill_count: 0
    .wavefront_size: 64
  - .agpr_count:     0
    .args:
      - .offset:         0
        .size:           152
        .value_kind:     by_value
    .group_segment_fixed_size: 6344
    .kernarg_segment_align: 8
    .kernarg_segment_size: 152
    .language:       OpenCL C
    .language_version:
      - 2
      - 0
    .max_flat_workgroup_size: 192
    .name:           _ZN7rocprim17ROCPRIM_400000_NS6detail17trampoline_kernelINS0_14default_configENS1_25partition_config_selectorILNS1_17partition_subalgoE1ExNS0_10empty_typeEbEEZZNS1_14partition_implILS5_1ELb0ES3_jN6thrust23THRUST_200600_302600_NS6detail15normal_iteratorINSA_10device_ptrIxEEEEPS6_NSA_18transform_iteratorI7is_evenIxESF_NSA_11use_defaultESK_EENS0_5tupleIJNSA_16discard_iteratorISK_EESF_EEENSM_IJSG_SG_EEES6_PlJS6_EEE10hipError_tPvRmT3_T4_T5_T6_T7_T9_mT8_P12ihipStream_tbDpT10_ENKUlT_T0_E_clISt17integral_constantIbLb1EES1B_EEDaS16_S17_EUlS16_E_NS1_11comp_targetILNS1_3genE4ELNS1_11target_archE910ELNS1_3gpuE8ELNS1_3repE0EEENS1_30default_config_static_selectorELNS0_4arch9wavefront6targetE1EEEvT1_
    .private_segment_fixed_size: 0
    .sgpr_count:     46
    .sgpr_spill_count: 0
    .symbol:         _ZN7rocprim17ROCPRIM_400000_NS6detail17trampoline_kernelINS0_14default_configENS1_25partition_config_selectorILNS1_17partition_subalgoE1ExNS0_10empty_typeEbEEZZNS1_14partition_implILS5_1ELb0ES3_jN6thrust23THRUST_200600_302600_NS6detail15normal_iteratorINSA_10device_ptrIxEEEEPS6_NSA_18transform_iteratorI7is_evenIxESF_NSA_11use_defaultESK_EENS0_5tupleIJNSA_16discard_iteratorISK_EESF_EEENSM_IJSG_SG_EEES6_PlJS6_EEE10hipError_tPvRmT3_T4_T5_T6_T7_T9_mT8_P12ihipStream_tbDpT10_ENKUlT_T0_E_clISt17integral_constantIbLb1EES1B_EEDaS16_S17_EUlS16_E_NS1_11comp_targetILNS1_3genE4ELNS1_11target_archE910ELNS1_3gpuE8ELNS1_3repE0EEENS1_30default_config_static_selectorELNS0_4arch9wavefront6targetE1EEEvT1_.kd
    .uniform_work_group_size: 1
    .uses_dynamic_stack: false
    .vgpr_count:     47
    .vgpr_spill_count: 0
    .wavefront_size: 64
  - .agpr_count:     0
    .args:
      - .offset:         0
        .size:           152
        .value_kind:     by_value
    .group_segment_fixed_size: 0
    .kernarg_segment_align: 8
    .kernarg_segment_size: 152
    .language:       OpenCL C
    .language_version:
      - 2
      - 0
    .max_flat_workgroup_size: 128
    .name:           _ZN7rocprim17ROCPRIM_400000_NS6detail17trampoline_kernelINS0_14default_configENS1_25partition_config_selectorILNS1_17partition_subalgoE1ExNS0_10empty_typeEbEEZZNS1_14partition_implILS5_1ELb0ES3_jN6thrust23THRUST_200600_302600_NS6detail15normal_iteratorINSA_10device_ptrIxEEEEPS6_NSA_18transform_iteratorI7is_evenIxESF_NSA_11use_defaultESK_EENS0_5tupleIJNSA_16discard_iteratorISK_EESF_EEENSM_IJSG_SG_EEES6_PlJS6_EEE10hipError_tPvRmT3_T4_T5_T6_T7_T9_mT8_P12ihipStream_tbDpT10_ENKUlT_T0_E_clISt17integral_constantIbLb1EES1B_EEDaS16_S17_EUlS16_E_NS1_11comp_targetILNS1_3genE3ELNS1_11target_archE908ELNS1_3gpuE7ELNS1_3repE0EEENS1_30default_config_static_selectorELNS0_4arch9wavefront6targetE1EEEvT1_
    .private_segment_fixed_size: 0
    .sgpr_count:     4
    .sgpr_spill_count: 0
    .symbol:         _ZN7rocprim17ROCPRIM_400000_NS6detail17trampoline_kernelINS0_14default_configENS1_25partition_config_selectorILNS1_17partition_subalgoE1ExNS0_10empty_typeEbEEZZNS1_14partition_implILS5_1ELb0ES3_jN6thrust23THRUST_200600_302600_NS6detail15normal_iteratorINSA_10device_ptrIxEEEEPS6_NSA_18transform_iteratorI7is_evenIxESF_NSA_11use_defaultESK_EENS0_5tupleIJNSA_16discard_iteratorISK_EESF_EEENSM_IJSG_SG_EEES6_PlJS6_EEE10hipError_tPvRmT3_T4_T5_T6_T7_T9_mT8_P12ihipStream_tbDpT10_ENKUlT_T0_E_clISt17integral_constantIbLb1EES1B_EEDaS16_S17_EUlS16_E_NS1_11comp_targetILNS1_3genE3ELNS1_11target_archE908ELNS1_3gpuE7ELNS1_3repE0EEENS1_30default_config_static_selectorELNS0_4arch9wavefront6targetE1EEEvT1_.kd
    .uniform_work_group_size: 1
    .uses_dynamic_stack: false
    .vgpr_count:     0
    .vgpr_spill_count: 0
    .wavefront_size: 64
  - .agpr_count:     0
    .args:
      - .offset:         0
        .size:           152
        .value_kind:     by_value
    .group_segment_fixed_size: 0
    .kernarg_segment_align: 8
    .kernarg_segment_size: 152
    .language:       OpenCL C
    .language_version:
      - 2
      - 0
    .max_flat_workgroup_size: 256
    .name:           _ZN7rocprim17ROCPRIM_400000_NS6detail17trampoline_kernelINS0_14default_configENS1_25partition_config_selectorILNS1_17partition_subalgoE1ExNS0_10empty_typeEbEEZZNS1_14partition_implILS5_1ELb0ES3_jN6thrust23THRUST_200600_302600_NS6detail15normal_iteratorINSA_10device_ptrIxEEEEPS6_NSA_18transform_iteratorI7is_evenIxESF_NSA_11use_defaultESK_EENS0_5tupleIJNSA_16discard_iteratorISK_EESF_EEENSM_IJSG_SG_EEES6_PlJS6_EEE10hipError_tPvRmT3_T4_T5_T6_T7_T9_mT8_P12ihipStream_tbDpT10_ENKUlT_T0_E_clISt17integral_constantIbLb1EES1B_EEDaS16_S17_EUlS16_E_NS1_11comp_targetILNS1_3genE2ELNS1_11target_archE906ELNS1_3gpuE6ELNS1_3repE0EEENS1_30default_config_static_selectorELNS0_4arch9wavefront6targetE1EEEvT1_
    .private_segment_fixed_size: 0
    .sgpr_count:     4
    .sgpr_spill_count: 0
    .symbol:         _ZN7rocprim17ROCPRIM_400000_NS6detail17trampoline_kernelINS0_14default_configENS1_25partition_config_selectorILNS1_17partition_subalgoE1ExNS0_10empty_typeEbEEZZNS1_14partition_implILS5_1ELb0ES3_jN6thrust23THRUST_200600_302600_NS6detail15normal_iteratorINSA_10device_ptrIxEEEEPS6_NSA_18transform_iteratorI7is_evenIxESF_NSA_11use_defaultESK_EENS0_5tupleIJNSA_16discard_iteratorISK_EESF_EEENSM_IJSG_SG_EEES6_PlJS6_EEE10hipError_tPvRmT3_T4_T5_T6_T7_T9_mT8_P12ihipStream_tbDpT10_ENKUlT_T0_E_clISt17integral_constantIbLb1EES1B_EEDaS16_S17_EUlS16_E_NS1_11comp_targetILNS1_3genE2ELNS1_11target_archE906ELNS1_3gpuE6ELNS1_3repE0EEENS1_30default_config_static_selectorELNS0_4arch9wavefront6targetE1EEEvT1_.kd
    .uniform_work_group_size: 1
    .uses_dynamic_stack: false
    .vgpr_count:     0
    .vgpr_spill_count: 0
    .wavefront_size: 64
  - .agpr_count:     0
    .args:
      - .offset:         0
        .size:           152
        .value_kind:     by_value
    .group_segment_fixed_size: 0
    .kernarg_segment_align: 8
    .kernarg_segment_size: 152
    .language:       OpenCL C
    .language_version:
      - 2
      - 0
    .max_flat_workgroup_size: 256
    .name:           _ZN7rocprim17ROCPRIM_400000_NS6detail17trampoline_kernelINS0_14default_configENS1_25partition_config_selectorILNS1_17partition_subalgoE1ExNS0_10empty_typeEbEEZZNS1_14partition_implILS5_1ELb0ES3_jN6thrust23THRUST_200600_302600_NS6detail15normal_iteratorINSA_10device_ptrIxEEEEPS6_NSA_18transform_iteratorI7is_evenIxESF_NSA_11use_defaultESK_EENS0_5tupleIJNSA_16discard_iteratorISK_EESF_EEENSM_IJSG_SG_EEES6_PlJS6_EEE10hipError_tPvRmT3_T4_T5_T6_T7_T9_mT8_P12ihipStream_tbDpT10_ENKUlT_T0_E_clISt17integral_constantIbLb1EES1B_EEDaS16_S17_EUlS16_E_NS1_11comp_targetILNS1_3genE10ELNS1_11target_archE1200ELNS1_3gpuE4ELNS1_3repE0EEENS1_30default_config_static_selectorELNS0_4arch9wavefront6targetE1EEEvT1_
    .private_segment_fixed_size: 0
    .sgpr_count:     4
    .sgpr_spill_count: 0
    .symbol:         _ZN7rocprim17ROCPRIM_400000_NS6detail17trampoline_kernelINS0_14default_configENS1_25partition_config_selectorILNS1_17partition_subalgoE1ExNS0_10empty_typeEbEEZZNS1_14partition_implILS5_1ELb0ES3_jN6thrust23THRUST_200600_302600_NS6detail15normal_iteratorINSA_10device_ptrIxEEEEPS6_NSA_18transform_iteratorI7is_evenIxESF_NSA_11use_defaultESK_EENS0_5tupleIJNSA_16discard_iteratorISK_EESF_EEENSM_IJSG_SG_EEES6_PlJS6_EEE10hipError_tPvRmT3_T4_T5_T6_T7_T9_mT8_P12ihipStream_tbDpT10_ENKUlT_T0_E_clISt17integral_constantIbLb1EES1B_EEDaS16_S17_EUlS16_E_NS1_11comp_targetILNS1_3genE10ELNS1_11target_archE1200ELNS1_3gpuE4ELNS1_3repE0EEENS1_30default_config_static_selectorELNS0_4arch9wavefront6targetE1EEEvT1_.kd
    .uniform_work_group_size: 1
    .uses_dynamic_stack: false
    .vgpr_count:     0
    .vgpr_spill_count: 0
    .wavefront_size: 64
  - .agpr_count:     0
    .args:
      - .offset:         0
        .size:           152
        .value_kind:     by_value
    .group_segment_fixed_size: 0
    .kernarg_segment_align: 8
    .kernarg_segment_size: 152
    .language:       OpenCL C
    .language_version:
      - 2
      - 0
    .max_flat_workgroup_size: 128
    .name:           _ZN7rocprim17ROCPRIM_400000_NS6detail17trampoline_kernelINS0_14default_configENS1_25partition_config_selectorILNS1_17partition_subalgoE1ExNS0_10empty_typeEbEEZZNS1_14partition_implILS5_1ELb0ES3_jN6thrust23THRUST_200600_302600_NS6detail15normal_iteratorINSA_10device_ptrIxEEEEPS6_NSA_18transform_iteratorI7is_evenIxESF_NSA_11use_defaultESK_EENS0_5tupleIJNSA_16discard_iteratorISK_EESF_EEENSM_IJSG_SG_EEES6_PlJS6_EEE10hipError_tPvRmT3_T4_T5_T6_T7_T9_mT8_P12ihipStream_tbDpT10_ENKUlT_T0_E_clISt17integral_constantIbLb1EES1B_EEDaS16_S17_EUlS16_E_NS1_11comp_targetILNS1_3genE9ELNS1_11target_archE1100ELNS1_3gpuE3ELNS1_3repE0EEENS1_30default_config_static_selectorELNS0_4arch9wavefront6targetE1EEEvT1_
    .private_segment_fixed_size: 0
    .sgpr_count:     4
    .sgpr_spill_count: 0
    .symbol:         _ZN7rocprim17ROCPRIM_400000_NS6detail17trampoline_kernelINS0_14default_configENS1_25partition_config_selectorILNS1_17partition_subalgoE1ExNS0_10empty_typeEbEEZZNS1_14partition_implILS5_1ELb0ES3_jN6thrust23THRUST_200600_302600_NS6detail15normal_iteratorINSA_10device_ptrIxEEEEPS6_NSA_18transform_iteratorI7is_evenIxESF_NSA_11use_defaultESK_EENS0_5tupleIJNSA_16discard_iteratorISK_EESF_EEENSM_IJSG_SG_EEES6_PlJS6_EEE10hipError_tPvRmT3_T4_T5_T6_T7_T9_mT8_P12ihipStream_tbDpT10_ENKUlT_T0_E_clISt17integral_constantIbLb1EES1B_EEDaS16_S17_EUlS16_E_NS1_11comp_targetILNS1_3genE9ELNS1_11target_archE1100ELNS1_3gpuE3ELNS1_3repE0EEENS1_30default_config_static_selectorELNS0_4arch9wavefront6targetE1EEEvT1_.kd
    .uniform_work_group_size: 1
    .uses_dynamic_stack: false
    .vgpr_count:     0
    .vgpr_spill_count: 0
    .wavefront_size: 64
  - .agpr_count:     0
    .args:
      - .offset:         0
        .size:           152
        .value_kind:     by_value
    .group_segment_fixed_size: 0
    .kernarg_segment_align: 8
    .kernarg_segment_size: 152
    .language:       OpenCL C
    .language_version:
      - 2
      - 0
    .max_flat_workgroup_size: 512
    .name:           _ZN7rocprim17ROCPRIM_400000_NS6detail17trampoline_kernelINS0_14default_configENS1_25partition_config_selectorILNS1_17partition_subalgoE1ExNS0_10empty_typeEbEEZZNS1_14partition_implILS5_1ELb0ES3_jN6thrust23THRUST_200600_302600_NS6detail15normal_iteratorINSA_10device_ptrIxEEEEPS6_NSA_18transform_iteratorI7is_evenIxESF_NSA_11use_defaultESK_EENS0_5tupleIJNSA_16discard_iteratorISK_EESF_EEENSM_IJSG_SG_EEES6_PlJS6_EEE10hipError_tPvRmT3_T4_T5_T6_T7_T9_mT8_P12ihipStream_tbDpT10_ENKUlT_T0_E_clISt17integral_constantIbLb1EES1B_EEDaS16_S17_EUlS16_E_NS1_11comp_targetILNS1_3genE8ELNS1_11target_archE1030ELNS1_3gpuE2ELNS1_3repE0EEENS1_30default_config_static_selectorELNS0_4arch9wavefront6targetE1EEEvT1_
    .private_segment_fixed_size: 0
    .sgpr_count:     4
    .sgpr_spill_count: 0
    .symbol:         _ZN7rocprim17ROCPRIM_400000_NS6detail17trampoline_kernelINS0_14default_configENS1_25partition_config_selectorILNS1_17partition_subalgoE1ExNS0_10empty_typeEbEEZZNS1_14partition_implILS5_1ELb0ES3_jN6thrust23THRUST_200600_302600_NS6detail15normal_iteratorINSA_10device_ptrIxEEEEPS6_NSA_18transform_iteratorI7is_evenIxESF_NSA_11use_defaultESK_EENS0_5tupleIJNSA_16discard_iteratorISK_EESF_EEENSM_IJSG_SG_EEES6_PlJS6_EEE10hipError_tPvRmT3_T4_T5_T6_T7_T9_mT8_P12ihipStream_tbDpT10_ENKUlT_T0_E_clISt17integral_constantIbLb1EES1B_EEDaS16_S17_EUlS16_E_NS1_11comp_targetILNS1_3genE8ELNS1_11target_archE1030ELNS1_3gpuE2ELNS1_3repE0EEENS1_30default_config_static_selectorELNS0_4arch9wavefront6targetE1EEEvT1_.kd
    .uniform_work_group_size: 1
    .uses_dynamic_stack: false
    .vgpr_count:     0
    .vgpr_spill_count: 0
    .wavefront_size: 64
  - .agpr_count:     0
    .args:
      - .offset:         0
        .size:           136
        .value_kind:     by_value
    .group_segment_fixed_size: 0
    .kernarg_segment_align: 8
    .kernarg_segment_size: 136
    .language:       OpenCL C
    .language_version:
      - 2
      - 0
    .max_flat_workgroup_size: 128
    .name:           _ZN7rocprim17ROCPRIM_400000_NS6detail17trampoline_kernelINS0_14default_configENS1_25partition_config_selectorILNS1_17partition_subalgoE1ExNS0_10empty_typeEbEEZZNS1_14partition_implILS5_1ELb0ES3_jN6thrust23THRUST_200600_302600_NS6detail15normal_iteratorINSA_10device_ptrIxEEEEPS6_NSA_18transform_iteratorI7is_evenIxESF_NSA_11use_defaultESK_EENS0_5tupleIJNSA_16discard_iteratorISK_EESF_EEENSM_IJSG_SG_EEES6_PlJS6_EEE10hipError_tPvRmT3_T4_T5_T6_T7_T9_mT8_P12ihipStream_tbDpT10_ENKUlT_T0_E_clISt17integral_constantIbLb1EES1A_IbLb0EEEEDaS16_S17_EUlS16_E_NS1_11comp_targetILNS1_3genE0ELNS1_11target_archE4294967295ELNS1_3gpuE0ELNS1_3repE0EEENS1_30default_config_static_selectorELNS0_4arch9wavefront6targetE1EEEvT1_
    .private_segment_fixed_size: 0
    .sgpr_count:     4
    .sgpr_spill_count: 0
    .symbol:         _ZN7rocprim17ROCPRIM_400000_NS6detail17trampoline_kernelINS0_14default_configENS1_25partition_config_selectorILNS1_17partition_subalgoE1ExNS0_10empty_typeEbEEZZNS1_14partition_implILS5_1ELb0ES3_jN6thrust23THRUST_200600_302600_NS6detail15normal_iteratorINSA_10device_ptrIxEEEEPS6_NSA_18transform_iteratorI7is_evenIxESF_NSA_11use_defaultESK_EENS0_5tupleIJNSA_16discard_iteratorISK_EESF_EEENSM_IJSG_SG_EEES6_PlJS6_EEE10hipError_tPvRmT3_T4_T5_T6_T7_T9_mT8_P12ihipStream_tbDpT10_ENKUlT_T0_E_clISt17integral_constantIbLb1EES1A_IbLb0EEEEDaS16_S17_EUlS16_E_NS1_11comp_targetILNS1_3genE0ELNS1_11target_archE4294967295ELNS1_3gpuE0ELNS1_3repE0EEENS1_30default_config_static_selectorELNS0_4arch9wavefront6targetE1EEEvT1_.kd
    .uniform_work_group_size: 1
    .uses_dynamic_stack: false
    .vgpr_count:     0
    .vgpr_spill_count: 0
    .wavefront_size: 64
  - .agpr_count:     0
    .args:
      - .offset:         0
        .size:           136
        .value_kind:     by_value
    .group_segment_fixed_size: 0
    .kernarg_segment_align: 8
    .kernarg_segment_size: 136
    .language:       OpenCL C
    .language_version:
      - 2
      - 0
    .max_flat_workgroup_size: 512
    .name:           _ZN7rocprim17ROCPRIM_400000_NS6detail17trampoline_kernelINS0_14default_configENS1_25partition_config_selectorILNS1_17partition_subalgoE1ExNS0_10empty_typeEbEEZZNS1_14partition_implILS5_1ELb0ES3_jN6thrust23THRUST_200600_302600_NS6detail15normal_iteratorINSA_10device_ptrIxEEEEPS6_NSA_18transform_iteratorI7is_evenIxESF_NSA_11use_defaultESK_EENS0_5tupleIJNSA_16discard_iteratorISK_EESF_EEENSM_IJSG_SG_EEES6_PlJS6_EEE10hipError_tPvRmT3_T4_T5_T6_T7_T9_mT8_P12ihipStream_tbDpT10_ENKUlT_T0_E_clISt17integral_constantIbLb1EES1A_IbLb0EEEEDaS16_S17_EUlS16_E_NS1_11comp_targetILNS1_3genE5ELNS1_11target_archE942ELNS1_3gpuE9ELNS1_3repE0EEENS1_30default_config_static_selectorELNS0_4arch9wavefront6targetE1EEEvT1_
    .private_segment_fixed_size: 0
    .sgpr_count:     4
    .sgpr_spill_count: 0
    .symbol:         _ZN7rocprim17ROCPRIM_400000_NS6detail17trampoline_kernelINS0_14default_configENS1_25partition_config_selectorILNS1_17partition_subalgoE1ExNS0_10empty_typeEbEEZZNS1_14partition_implILS5_1ELb0ES3_jN6thrust23THRUST_200600_302600_NS6detail15normal_iteratorINSA_10device_ptrIxEEEEPS6_NSA_18transform_iteratorI7is_evenIxESF_NSA_11use_defaultESK_EENS0_5tupleIJNSA_16discard_iteratorISK_EESF_EEENSM_IJSG_SG_EEES6_PlJS6_EEE10hipError_tPvRmT3_T4_T5_T6_T7_T9_mT8_P12ihipStream_tbDpT10_ENKUlT_T0_E_clISt17integral_constantIbLb1EES1A_IbLb0EEEEDaS16_S17_EUlS16_E_NS1_11comp_targetILNS1_3genE5ELNS1_11target_archE942ELNS1_3gpuE9ELNS1_3repE0EEENS1_30default_config_static_selectorELNS0_4arch9wavefront6targetE1EEEvT1_.kd
    .uniform_work_group_size: 1
    .uses_dynamic_stack: false
    .vgpr_count:     0
    .vgpr_spill_count: 0
    .wavefront_size: 64
  - .agpr_count:     0
    .args:
      - .offset:         0
        .size:           136
        .value_kind:     by_value
    .group_segment_fixed_size: 6344
    .kernarg_segment_align: 8
    .kernarg_segment_size: 136
    .language:       OpenCL C
    .language_version:
      - 2
      - 0
    .max_flat_workgroup_size: 192
    .name:           _ZN7rocprim17ROCPRIM_400000_NS6detail17trampoline_kernelINS0_14default_configENS1_25partition_config_selectorILNS1_17partition_subalgoE1ExNS0_10empty_typeEbEEZZNS1_14partition_implILS5_1ELb0ES3_jN6thrust23THRUST_200600_302600_NS6detail15normal_iteratorINSA_10device_ptrIxEEEEPS6_NSA_18transform_iteratorI7is_evenIxESF_NSA_11use_defaultESK_EENS0_5tupleIJNSA_16discard_iteratorISK_EESF_EEENSM_IJSG_SG_EEES6_PlJS6_EEE10hipError_tPvRmT3_T4_T5_T6_T7_T9_mT8_P12ihipStream_tbDpT10_ENKUlT_T0_E_clISt17integral_constantIbLb1EES1A_IbLb0EEEEDaS16_S17_EUlS16_E_NS1_11comp_targetILNS1_3genE4ELNS1_11target_archE910ELNS1_3gpuE8ELNS1_3repE0EEENS1_30default_config_static_selectorELNS0_4arch9wavefront6targetE1EEEvT1_
    .private_segment_fixed_size: 0
    .sgpr_count:     48
    .sgpr_spill_count: 0
    .symbol:         _ZN7rocprim17ROCPRIM_400000_NS6detail17trampoline_kernelINS0_14default_configENS1_25partition_config_selectorILNS1_17partition_subalgoE1ExNS0_10empty_typeEbEEZZNS1_14partition_implILS5_1ELb0ES3_jN6thrust23THRUST_200600_302600_NS6detail15normal_iteratorINSA_10device_ptrIxEEEEPS6_NSA_18transform_iteratorI7is_evenIxESF_NSA_11use_defaultESK_EENS0_5tupleIJNSA_16discard_iteratorISK_EESF_EEENSM_IJSG_SG_EEES6_PlJS6_EEE10hipError_tPvRmT3_T4_T5_T6_T7_T9_mT8_P12ihipStream_tbDpT10_ENKUlT_T0_E_clISt17integral_constantIbLb1EES1A_IbLb0EEEEDaS16_S17_EUlS16_E_NS1_11comp_targetILNS1_3genE4ELNS1_11target_archE910ELNS1_3gpuE8ELNS1_3repE0EEENS1_30default_config_static_selectorELNS0_4arch9wavefront6targetE1EEEvT1_.kd
    .uniform_work_group_size: 1
    .uses_dynamic_stack: false
    .vgpr_count:     43
    .vgpr_spill_count: 0
    .wavefront_size: 64
  - .agpr_count:     0
    .args:
      - .offset:         0
        .size:           136
        .value_kind:     by_value
    .group_segment_fixed_size: 0
    .kernarg_segment_align: 8
    .kernarg_segment_size: 136
    .language:       OpenCL C
    .language_version:
      - 2
      - 0
    .max_flat_workgroup_size: 128
    .name:           _ZN7rocprim17ROCPRIM_400000_NS6detail17trampoline_kernelINS0_14default_configENS1_25partition_config_selectorILNS1_17partition_subalgoE1ExNS0_10empty_typeEbEEZZNS1_14partition_implILS5_1ELb0ES3_jN6thrust23THRUST_200600_302600_NS6detail15normal_iteratorINSA_10device_ptrIxEEEEPS6_NSA_18transform_iteratorI7is_evenIxESF_NSA_11use_defaultESK_EENS0_5tupleIJNSA_16discard_iteratorISK_EESF_EEENSM_IJSG_SG_EEES6_PlJS6_EEE10hipError_tPvRmT3_T4_T5_T6_T7_T9_mT8_P12ihipStream_tbDpT10_ENKUlT_T0_E_clISt17integral_constantIbLb1EES1A_IbLb0EEEEDaS16_S17_EUlS16_E_NS1_11comp_targetILNS1_3genE3ELNS1_11target_archE908ELNS1_3gpuE7ELNS1_3repE0EEENS1_30default_config_static_selectorELNS0_4arch9wavefront6targetE1EEEvT1_
    .private_segment_fixed_size: 0
    .sgpr_count:     4
    .sgpr_spill_count: 0
    .symbol:         _ZN7rocprim17ROCPRIM_400000_NS6detail17trampoline_kernelINS0_14default_configENS1_25partition_config_selectorILNS1_17partition_subalgoE1ExNS0_10empty_typeEbEEZZNS1_14partition_implILS5_1ELb0ES3_jN6thrust23THRUST_200600_302600_NS6detail15normal_iteratorINSA_10device_ptrIxEEEEPS6_NSA_18transform_iteratorI7is_evenIxESF_NSA_11use_defaultESK_EENS0_5tupleIJNSA_16discard_iteratorISK_EESF_EEENSM_IJSG_SG_EEES6_PlJS6_EEE10hipError_tPvRmT3_T4_T5_T6_T7_T9_mT8_P12ihipStream_tbDpT10_ENKUlT_T0_E_clISt17integral_constantIbLb1EES1A_IbLb0EEEEDaS16_S17_EUlS16_E_NS1_11comp_targetILNS1_3genE3ELNS1_11target_archE908ELNS1_3gpuE7ELNS1_3repE0EEENS1_30default_config_static_selectorELNS0_4arch9wavefront6targetE1EEEvT1_.kd
    .uniform_work_group_size: 1
    .uses_dynamic_stack: false
    .vgpr_count:     0
    .vgpr_spill_count: 0
    .wavefront_size: 64
  - .agpr_count:     0
    .args:
      - .offset:         0
        .size:           136
        .value_kind:     by_value
    .group_segment_fixed_size: 0
    .kernarg_segment_align: 8
    .kernarg_segment_size: 136
    .language:       OpenCL C
    .language_version:
      - 2
      - 0
    .max_flat_workgroup_size: 256
    .name:           _ZN7rocprim17ROCPRIM_400000_NS6detail17trampoline_kernelINS0_14default_configENS1_25partition_config_selectorILNS1_17partition_subalgoE1ExNS0_10empty_typeEbEEZZNS1_14partition_implILS5_1ELb0ES3_jN6thrust23THRUST_200600_302600_NS6detail15normal_iteratorINSA_10device_ptrIxEEEEPS6_NSA_18transform_iteratorI7is_evenIxESF_NSA_11use_defaultESK_EENS0_5tupleIJNSA_16discard_iteratorISK_EESF_EEENSM_IJSG_SG_EEES6_PlJS6_EEE10hipError_tPvRmT3_T4_T5_T6_T7_T9_mT8_P12ihipStream_tbDpT10_ENKUlT_T0_E_clISt17integral_constantIbLb1EES1A_IbLb0EEEEDaS16_S17_EUlS16_E_NS1_11comp_targetILNS1_3genE2ELNS1_11target_archE906ELNS1_3gpuE6ELNS1_3repE0EEENS1_30default_config_static_selectorELNS0_4arch9wavefront6targetE1EEEvT1_
    .private_segment_fixed_size: 0
    .sgpr_count:     4
    .sgpr_spill_count: 0
    .symbol:         _ZN7rocprim17ROCPRIM_400000_NS6detail17trampoline_kernelINS0_14default_configENS1_25partition_config_selectorILNS1_17partition_subalgoE1ExNS0_10empty_typeEbEEZZNS1_14partition_implILS5_1ELb0ES3_jN6thrust23THRUST_200600_302600_NS6detail15normal_iteratorINSA_10device_ptrIxEEEEPS6_NSA_18transform_iteratorI7is_evenIxESF_NSA_11use_defaultESK_EENS0_5tupleIJNSA_16discard_iteratorISK_EESF_EEENSM_IJSG_SG_EEES6_PlJS6_EEE10hipError_tPvRmT3_T4_T5_T6_T7_T9_mT8_P12ihipStream_tbDpT10_ENKUlT_T0_E_clISt17integral_constantIbLb1EES1A_IbLb0EEEEDaS16_S17_EUlS16_E_NS1_11comp_targetILNS1_3genE2ELNS1_11target_archE906ELNS1_3gpuE6ELNS1_3repE0EEENS1_30default_config_static_selectorELNS0_4arch9wavefront6targetE1EEEvT1_.kd
    .uniform_work_group_size: 1
    .uses_dynamic_stack: false
    .vgpr_count:     0
    .vgpr_spill_count: 0
    .wavefront_size: 64
  - .agpr_count:     0
    .args:
      - .offset:         0
        .size:           136
        .value_kind:     by_value
    .group_segment_fixed_size: 0
    .kernarg_segment_align: 8
    .kernarg_segment_size: 136
    .language:       OpenCL C
    .language_version:
      - 2
      - 0
    .max_flat_workgroup_size: 256
    .name:           _ZN7rocprim17ROCPRIM_400000_NS6detail17trampoline_kernelINS0_14default_configENS1_25partition_config_selectorILNS1_17partition_subalgoE1ExNS0_10empty_typeEbEEZZNS1_14partition_implILS5_1ELb0ES3_jN6thrust23THRUST_200600_302600_NS6detail15normal_iteratorINSA_10device_ptrIxEEEEPS6_NSA_18transform_iteratorI7is_evenIxESF_NSA_11use_defaultESK_EENS0_5tupleIJNSA_16discard_iteratorISK_EESF_EEENSM_IJSG_SG_EEES6_PlJS6_EEE10hipError_tPvRmT3_T4_T5_T6_T7_T9_mT8_P12ihipStream_tbDpT10_ENKUlT_T0_E_clISt17integral_constantIbLb1EES1A_IbLb0EEEEDaS16_S17_EUlS16_E_NS1_11comp_targetILNS1_3genE10ELNS1_11target_archE1200ELNS1_3gpuE4ELNS1_3repE0EEENS1_30default_config_static_selectorELNS0_4arch9wavefront6targetE1EEEvT1_
    .private_segment_fixed_size: 0
    .sgpr_count:     4
    .sgpr_spill_count: 0
    .symbol:         _ZN7rocprim17ROCPRIM_400000_NS6detail17trampoline_kernelINS0_14default_configENS1_25partition_config_selectorILNS1_17partition_subalgoE1ExNS0_10empty_typeEbEEZZNS1_14partition_implILS5_1ELb0ES3_jN6thrust23THRUST_200600_302600_NS6detail15normal_iteratorINSA_10device_ptrIxEEEEPS6_NSA_18transform_iteratorI7is_evenIxESF_NSA_11use_defaultESK_EENS0_5tupleIJNSA_16discard_iteratorISK_EESF_EEENSM_IJSG_SG_EEES6_PlJS6_EEE10hipError_tPvRmT3_T4_T5_T6_T7_T9_mT8_P12ihipStream_tbDpT10_ENKUlT_T0_E_clISt17integral_constantIbLb1EES1A_IbLb0EEEEDaS16_S17_EUlS16_E_NS1_11comp_targetILNS1_3genE10ELNS1_11target_archE1200ELNS1_3gpuE4ELNS1_3repE0EEENS1_30default_config_static_selectorELNS0_4arch9wavefront6targetE1EEEvT1_.kd
    .uniform_work_group_size: 1
    .uses_dynamic_stack: false
    .vgpr_count:     0
    .vgpr_spill_count: 0
    .wavefront_size: 64
  - .agpr_count:     0
    .args:
      - .offset:         0
        .size:           136
        .value_kind:     by_value
    .group_segment_fixed_size: 0
    .kernarg_segment_align: 8
    .kernarg_segment_size: 136
    .language:       OpenCL C
    .language_version:
      - 2
      - 0
    .max_flat_workgroup_size: 128
    .name:           _ZN7rocprim17ROCPRIM_400000_NS6detail17trampoline_kernelINS0_14default_configENS1_25partition_config_selectorILNS1_17partition_subalgoE1ExNS0_10empty_typeEbEEZZNS1_14partition_implILS5_1ELb0ES3_jN6thrust23THRUST_200600_302600_NS6detail15normal_iteratorINSA_10device_ptrIxEEEEPS6_NSA_18transform_iteratorI7is_evenIxESF_NSA_11use_defaultESK_EENS0_5tupleIJNSA_16discard_iteratorISK_EESF_EEENSM_IJSG_SG_EEES6_PlJS6_EEE10hipError_tPvRmT3_T4_T5_T6_T7_T9_mT8_P12ihipStream_tbDpT10_ENKUlT_T0_E_clISt17integral_constantIbLb1EES1A_IbLb0EEEEDaS16_S17_EUlS16_E_NS1_11comp_targetILNS1_3genE9ELNS1_11target_archE1100ELNS1_3gpuE3ELNS1_3repE0EEENS1_30default_config_static_selectorELNS0_4arch9wavefront6targetE1EEEvT1_
    .private_segment_fixed_size: 0
    .sgpr_count:     4
    .sgpr_spill_count: 0
    .symbol:         _ZN7rocprim17ROCPRIM_400000_NS6detail17trampoline_kernelINS0_14default_configENS1_25partition_config_selectorILNS1_17partition_subalgoE1ExNS0_10empty_typeEbEEZZNS1_14partition_implILS5_1ELb0ES3_jN6thrust23THRUST_200600_302600_NS6detail15normal_iteratorINSA_10device_ptrIxEEEEPS6_NSA_18transform_iteratorI7is_evenIxESF_NSA_11use_defaultESK_EENS0_5tupleIJNSA_16discard_iteratorISK_EESF_EEENSM_IJSG_SG_EEES6_PlJS6_EEE10hipError_tPvRmT3_T4_T5_T6_T7_T9_mT8_P12ihipStream_tbDpT10_ENKUlT_T0_E_clISt17integral_constantIbLb1EES1A_IbLb0EEEEDaS16_S17_EUlS16_E_NS1_11comp_targetILNS1_3genE9ELNS1_11target_archE1100ELNS1_3gpuE3ELNS1_3repE0EEENS1_30default_config_static_selectorELNS0_4arch9wavefront6targetE1EEEvT1_.kd
    .uniform_work_group_size: 1
    .uses_dynamic_stack: false
    .vgpr_count:     0
    .vgpr_spill_count: 0
    .wavefront_size: 64
  - .agpr_count:     0
    .args:
      - .offset:         0
        .size:           136
        .value_kind:     by_value
    .group_segment_fixed_size: 0
    .kernarg_segment_align: 8
    .kernarg_segment_size: 136
    .language:       OpenCL C
    .language_version:
      - 2
      - 0
    .max_flat_workgroup_size: 512
    .name:           _ZN7rocprim17ROCPRIM_400000_NS6detail17trampoline_kernelINS0_14default_configENS1_25partition_config_selectorILNS1_17partition_subalgoE1ExNS0_10empty_typeEbEEZZNS1_14partition_implILS5_1ELb0ES3_jN6thrust23THRUST_200600_302600_NS6detail15normal_iteratorINSA_10device_ptrIxEEEEPS6_NSA_18transform_iteratorI7is_evenIxESF_NSA_11use_defaultESK_EENS0_5tupleIJNSA_16discard_iteratorISK_EESF_EEENSM_IJSG_SG_EEES6_PlJS6_EEE10hipError_tPvRmT3_T4_T5_T6_T7_T9_mT8_P12ihipStream_tbDpT10_ENKUlT_T0_E_clISt17integral_constantIbLb1EES1A_IbLb0EEEEDaS16_S17_EUlS16_E_NS1_11comp_targetILNS1_3genE8ELNS1_11target_archE1030ELNS1_3gpuE2ELNS1_3repE0EEENS1_30default_config_static_selectorELNS0_4arch9wavefront6targetE1EEEvT1_
    .private_segment_fixed_size: 0
    .sgpr_count:     4
    .sgpr_spill_count: 0
    .symbol:         _ZN7rocprim17ROCPRIM_400000_NS6detail17trampoline_kernelINS0_14default_configENS1_25partition_config_selectorILNS1_17partition_subalgoE1ExNS0_10empty_typeEbEEZZNS1_14partition_implILS5_1ELb0ES3_jN6thrust23THRUST_200600_302600_NS6detail15normal_iteratorINSA_10device_ptrIxEEEEPS6_NSA_18transform_iteratorI7is_evenIxESF_NSA_11use_defaultESK_EENS0_5tupleIJNSA_16discard_iteratorISK_EESF_EEENSM_IJSG_SG_EEES6_PlJS6_EEE10hipError_tPvRmT3_T4_T5_T6_T7_T9_mT8_P12ihipStream_tbDpT10_ENKUlT_T0_E_clISt17integral_constantIbLb1EES1A_IbLb0EEEEDaS16_S17_EUlS16_E_NS1_11comp_targetILNS1_3genE8ELNS1_11target_archE1030ELNS1_3gpuE2ELNS1_3repE0EEENS1_30default_config_static_selectorELNS0_4arch9wavefront6targetE1EEEvT1_.kd
    .uniform_work_group_size: 1
    .uses_dynamic_stack: false
    .vgpr_count:     0
    .vgpr_spill_count: 0
    .wavefront_size: 64
  - .agpr_count:     0
    .args:
      - .offset:         0
        .size:           152
        .value_kind:     by_value
    .group_segment_fixed_size: 0
    .kernarg_segment_align: 8
    .kernarg_segment_size: 152
    .language:       OpenCL C
    .language_version:
      - 2
      - 0
    .max_flat_workgroup_size: 128
    .name:           _ZN7rocprim17ROCPRIM_400000_NS6detail17trampoline_kernelINS0_14default_configENS1_25partition_config_selectorILNS1_17partition_subalgoE1ExNS0_10empty_typeEbEEZZNS1_14partition_implILS5_1ELb0ES3_jN6thrust23THRUST_200600_302600_NS6detail15normal_iteratorINSA_10device_ptrIxEEEEPS6_NSA_18transform_iteratorI7is_evenIxESF_NSA_11use_defaultESK_EENS0_5tupleIJNSA_16discard_iteratorISK_EESF_EEENSM_IJSG_SG_EEES6_PlJS6_EEE10hipError_tPvRmT3_T4_T5_T6_T7_T9_mT8_P12ihipStream_tbDpT10_ENKUlT_T0_E_clISt17integral_constantIbLb0EES1A_IbLb1EEEEDaS16_S17_EUlS16_E_NS1_11comp_targetILNS1_3genE0ELNS1_11target_archE4294967295ELNS1_3gpuE0ELNS1_3repE0EEENS1_30default_config_static_selectorELNS0_4arch9wavefront6targetE1EEEvT1_
    .private_segment_fixed_size: 0
    .sgpr_count:     4
    .sgpr_spill_count: 0
    .symbol:         _ZN7rocprim17ROCPRIM_400000_NS6detail17trampoline_kernelINS0_14default_configENS1_25partition_config_selectorILNS1_17partition_subalgoE1ExNS0_10empty_typeEbEEZZNS1_14partition_implILS5_1ELb0ES3_jN6thrust23THRUST_200600_302600_NS6detail15normal_iteratorINSA_10device_ptrIxEEEEPS6_NSA_18transform_iteratorI7is_evenIxESF_NSA_11use_defaultESK_EENS0_5tupleIJNSA_16discard_iteratorISK_EESF_EEENSM_IJSG_SG_EEES6_PlJS6_EEE10hipError_tPvRmT3_T4_T5_T6_T7_T9_mT8_P12ihipStream_tbDpT10_ENKUlT_T0_E_clISt17integral_constantIbLb0EES1A_IbLb1EEEEDaS16_S17_EUlS16_E_NS1_11comp_targetILNS1_3genE0ELNS1_11target_archE4294967295ELNS1_3gpuE0ELNS1_3repE0EEENS1_30default_config_static_selectorELNS0_4arch9wavefront6targetE1EEEvT1_.kd
    .uniform_work_group_size: 1
    .uses_dynamic_stack: false
    .vgpr_count:     0
    .vgpr_spill_count: 0
    .wavefront_size: 64
  - .agpr_count:     0
    .args:
      - .offset:         0
        .size:           152
        .value_kind:     by_value
    .group_segment_fixed_size: 0
    .kernarg_segment_align: 8
    .kernarg_segment_size: 152
    .language:       OpenCL C
    .language_version:
      - 2
      - 0
    .max_flat_workgroup_size: 512
    .name:           _ZN7rocprim17ROCPRIM_400000_NS6detail17trampoline_kernelINS0_14default_configENS1_25partition_config_selectorILNS1_17partition_subalgoE1ExNS0_10empty_typeEbEEZZNS1_14partition_implILS5_1ELb0ES3_jN6thrust23THRUST_200600_302600_NS6detail15normal_iteratorINSA_10device_ptrIxEEEEPS6_NSA_18transform_iteratorI7is_evenIxESF_NSA_11use_defaultESK_EENS0_5tupleIJNSA_16discard_iteratorISK_EESF_EEENSM_IJSG_SG_EEES6_PlJS6_EEE10hipError_tPvRmT3_T4_T5_T6_T7_T9_mT8_P12ihipStream_tbDpT10_ENKUlT_T0_E_clISt17integral_constantIbLb0EES1A_IbLb1EEEEDaS16_S17_EUlS16_E_NS1_11comp_targetILNS1_3genE5ELNS1_11target_archE942ELNS1_3gpuE9ELNS1_3repE0EEENS1_30default_config_static_selectorELNS0_4arch9wavefront6targetE1EEEvT1_
    .private_segment_fixed_size: 0
    .sgpr_count:     4
    .sgpr_spill_count: 0
    .symbol:         _ZN7rocprim17ROCPRIM_400000_NS6detail17trampoline_kernelINS0_14default_configENS1_25partition_config_selectorILNS1_17partition_subalgoE1ExNS0_10empty_typeEbEEZZNS1_14partition_implILS5_1ELb0ES3_jN6thrust23THRUST_200600_302600_NS6detail15normal_iteratorINSA_10device_ptrIxEEEEPS6_NSA_18transform_iteratorI7is_evenIxESF_NSA_11use_defaultESK_EENS0_5tupleIJNSA_16discard_iteratorISK_EESF_EEENSM_IJSG_SG_EEES6_PlJS6_EEE10hipError_tPvRmT3_T4_T5_T6_T7_T9_mT8_P12ihipStream_tbDpT10_ENKUlT_T0_E_clISt17integral_constantIbLb0EES1A_IbLb1EEEEDaS16_S17_EUlS16_E_NS1_11comp_targetILNS1_3genE5ELNS1_11target_archE942ELNS1_3gpuE9ELNS1_3repE0EEENS1_30default_config_static_selectorELNS0_4arch9wavefront6targetE1EEEvT1_.kd
    .uniform_work_group_size: 1
    .uses_dynamic_stack: false
    .vgpr_count:     0
    .vgpr_spill_count: 0
    .wavefront_size: 64
  - .agpr_count:     0
    .args:
      - .offset:         0
        .size:           152
        .value_kind:     by_value
    .group_segment_fixed_size: 6344
    .kernarg_segment_align: 8
    .kernarg_segment_size: 152
    .language:       OpenCL C
    .language_version:
      - 2
      - 0
    .max_flat_workgroup_size: 192
    .name:           _ZN7rocprim17ROCPRIM_400000_NS6detail17trampoline_kernelINS0_14default_configENS1_25partition_config_selectorILNS1_17partition_subalgoE1ExNS0_10empty_typeEbEEZZNS1_14partition_implILS5_1ELb0ES3_jN6thrust23THRUST_200600_302600_NS6detail15normal_iteratorINSA_10device_ptrIxEEEEPS6_NSA_18transform_iteratorI7is_evenIxESF_NSA_11use_defaultESK_EENS0_5tupleIJNSA_16discard_iteratorISK_EESF_EEENSM_IJSG_SG_EEES6_PlJS6_EEE10hipError_tPvRmT3_T4_T5_T6_T7_T9_mT8_P12ihipStream_tbDpT10_ENKUlT_T0_E_clISt17integral_constantIbLb0EES1A_IbLb1EEEEDaS16_S17_EUlS16_E_NS1_11comp_targetILNS1_3genE4ELNS1_11target_archE910ELNS1_3gpuE8ELNS1_3repE0EEENS1_30default_config_static_selectorELNS0_4arch9wavefront6targetE1EEEvT1_
    .private_segment_fixed_size: 0
    .sgpr_count:     46
    .sgpr_spill_count: 0
    .symbol:         _ZN7rocprim17ROCPRIM_400000_NS6detail17trampoline_kernelINS0_14default_configENS1_25partition_config_selectorILNS1_17partition_subalgoE1ExNS0_10empty_typeEbEEZZNS1_14partition_implILS5_1ELb0ES3_jN6thrust23THRUST_200600_302600_NS6detail15normal_iteratorINSA_10device_ptrIxEEEEPS6_NSA_18transform_iteratorI7is_evenIxESF_NSA_11use_defaultESK_EENS0_5tupleIJNSA_16discard_iteratorISK_EESF_EEENSM_IJSG_SG_EEES6_PlJS6_EEE10hipError_tPvRmT3_T4_T5_T6_T7_T9_mT8_P12ihipStream_tbDpT10_ENKUlT_T0_E_clISt17integral_constantIbLb0EES1A_IbLb1EEEEDaS16_S17_EUlS16_E_NS1_11comp_targetILNS1_3genE4ELNS1_11target_archE910ELNS1_3gpuE8ELNS1_3repE0EEENS1_30default_config_static_selectorELNS0_4arch9wavefront6targetE1EEEvT1_.kd
    .uniform_work_group_size: 1
    .uses_dynamic_stack: false
    .vgpr_count:     47
    .vgpr_spill_count: 0
    .wavefront_size: 64
  - .agpr_count:     0
    .args:
      - .offset:         0
        .size:           152
        .value_kind:     by_value
    .group_segment_fixed_size: 0
    .kernarg_segment_align: 8
    .kernarg_segment_size: 152
    .language:       OpenCL C
    .language_version:
      - 2
      - 0
    .max_flat_workgroup_size: 128
    .name:           _ZN7rocprim17ROCPRIM_400000_NS6detail17trampoline_kernelINS0_14default_configENS1_25partition_config_selectorILNS1_17partition_subalgoE1ExNS0_10empty_typeEbEEZZNS1_14partition_implILS5_1ELb0ES3_jN6thrust23THRUST_200600_302600_NS6detail15normal_iteratorINSA_10device_ptrIxEEEEPS6_NSA_18transform_iteratorI7is_evenIxESF_NSA_11use_defaultESK_EENS0_5tupleIJNSA_16discard_iteratorISK_EESF_EEENSM_IJSG_SG_EEES6_PlJS6_EEE10hipError_tPvRmT3_T4_T5_T6_T7_T9_mT8_P12ihipStream_tbDpT10_ENKUlT_T0_E_clISt17integral_constantIbLb0EES1A_IbLb1EEEEDaS16_S17_EUlS16_E_NS1_11comp_targetILNS1_3genE3ELNS1_11target_archE908ELNS1_3gpuE7ELNS1_3repE0EEENS1_30default_config_static_selectorELNS0_4arch9wavefront6targetE1EEEvT1_
    .private_segment_fixed_size: 0
    .sgpr_count:     4
    .sgpr_spill_count: 0
    .symbol:         _ZN7rocprim17ROCPRIM_400000_NS6detail17trampoline_kernelINS0_14default_configENS1_25partition_config_selectorILNS1_17partition_subalgoE1ExNS0_10empty_typeEbEEZZNS1_14partition_implILS5_1ELb0ES3_jN6thrust23THRUST_200600_302600_NS6detail15normal_iteratorINSA_10device_ptrIxEEEEPS6_NSA_18transform_iteratorI7is_evenIxESF_NSA_11use_defaultESK_EENS0_5tupleIJNSA_16discard_iteratorISK_EESF_EEENSM_IJSG_SG_EEES6_PlJS6_EEE10hipError_tPvRmT3_T4_T5_T6_T7_T9_mT8_P12ihipStream_tbDpT10_ENKUlT_T0_E_clISt17integral_constantIbLb0EES1A_IbLb1EEEEDaS16_S17_EUlS16_E_NS1_11comp_targetILNS1_3genE3ELNS1_11target_archE908ELNS1_3gpuE7ELNS1_3repE0EEENS1_30default_config_static_selectorELNS0_4arch9wavefront6targetE1EEEvT1_.kd
    .uniform_work_group_size: 1
    .uses_dynamic_stack: false
    .vgpr_count:     0
    .vgpr_spill_count: 0
    .wavefront_size: 64
  - .agpr_count:     0
    .args:
      - .offset:         0
        .size:           152
        .value_kind:     by_value
    .group_segment_fixed_size: 0
    .kernarg_segment_align: 8
    .kernarg_segment_size: 152
    .language:       OpenCL C
    .language_version:
      - 2
      - 0
    .max_flat_workgroup_size: 256
    .name:           _ZN7rocprim17ROCPRIM_400000_NS6detail17trampoline_kernelINS0_14default_configENS1_25partition_config_selectorILNS1_17partition_subalgoE1ExNS0_10empty_typeEbEEZZNS1_14partition_implILS5_1ELb0ES3_jN6thrust23THRUST_200600_302600_NS6detail15normal_iteratorINSA_10device_ptrIxEEEEPS6_NSA_18transform_iteratorI7is_evenIxESF_NSA_11use_defaultESK_EENS0_5tupleIJNSA_16discard_iteratorISK_EESF_EEENSM_IJSG_SG_EEES6_PlJS6_EEE10hipError_tPvRmT3_T4_T5_T6_T7_T9_mT8_P12ihipStream_tbDpT10_ENKUlT_T0_E_clISt17integral_constantIbLb0EES1A_IbLb1EEEEDaS16_S17_EUlS16_E_NS1_11comp_targetILNS1_3genE2ELNS1_11target_archE906ELNS1_3gpuE6ELNS1_3repE0EEENS1_30default_config_static_selectorELNS0_4arch9wavefront6targetE1EEEvT1_
    .private_segment_fixed_size: 0
    .sgpr_count:     4
    .sgpr_spill_count: 0
    .symbol:         _ZN7rocprim17ROCPRIM_400000_NS6detail17trampoline_kernelINS0_14default_configENS1_25partition_config_selectorILNS1_17partition_subalgoE1ExNS0_10empty_typeEbEEZZNS1_14partition_implILS5_1ELb0ES3_jN6thrust23THRUST_200600_302600_NS6detail15normal_iteratorINSA_10device_ptrIxEEEEPS6_NSA_18transform_iteratorI7is_evenIxESF_NSA_11use_defaultESK_EENS0_5tupleIJNSA_16discard_iteratorISK_EESF_EEENSM_IJSG_SG_EEES6_PlJS6_EEE10hipError_tPvRmT3_T4_T5_T6_T7_T9_mT8_P12ihipStream_tbDpT10_ENKUlT_T0_E_clISt17integral_constantIbLb0EES1A_IbLb1EEEEDaS16_S17_EUlS16_E_NS1_11comp_targetILNS1_3genE2ELNS1_11target_archE906ELNS1_3gpuE6ELNS1_3repE0EEENS1_30default_config_static_selectorELNS0_4arch9wavefront6targetE1EEEvT1_.kd
    .uniform_work_group_size: 1
    .uses_dynamic_stack: false
    .vgpr_count:     0
    .vgpr_spill_count: 0
    .wavefront_size: 64
  - .agpr_count:     0
    .args:
      - .offset:         0
        .size:           152
        .value_kind:     by_value
    .group_segment_fixed_size: 0
    .kernarg_segment_align: 8
    .kernarg_segment_size: 152
    .language:       OpenCL C
    .language_version:
      - 2
      - 0
    .max_flat_workgroup_size: 256
    .name:           _ZN7rocprim17ROCPRIM_400000_NS6detail17trampoline_kernelINS0_14default_configENS1_25partition_config_selectorILNS1_17partition_subalgoE1ExNS0_10empty_typeEbEEZZNS1_14partition_implILS5_1ELb0ES3_jN6thrust23THRUST_200600_302600_NS6detail15normal_iteratorINSA_10device_ptrIxEEEEPS6_NSA_18transform_iteratorI7is_evenIxESF_NSA_11use_defaultESK_EENS0_5tupleIJNSA_16discard_iteratorISK_EESF_EEENSM_IJSG_SG_EEES6_PlJS6_EEE10hipError_tPvRmT3_T4_T5_T6_T7_T9_mT8_P12ihipStream_tbDpT10_ENKUlT_T0_E_clISt17integral_constantIbLb0EES1A_IbLb1EEEEDaS16_S17_EUlS16_E_NS1_11comp_targetILNS1_3genE10ELNS1_11target_archE1200ELNS1_3gpuE4ELNS1_3repE0EEENS1_30default_config_static_selectorELNS0_4arch9wavefront6targetE1EEEvT1_
    .private_segment_fixed_size: 0
    .sgpr_count:     4
    .sgpr_spill_count: 0
    .symbol:         _ZN7rocprim17ROCPRIM_400000_NS6detail17trampoline_kernelINS0_14default_configENS1_25partition_config_selectorILNS1_17partition_subalgoE1ExNS0_10empty_typeEbEEZZNS1_14partition_implILS5_1ELb0ES3_jN6thrust23THRUST_200600_302600_NS6detail15normal_iteratorINSA_10device_ptrIxEEEEPS6_NSA_18transform_iteratorI7is_evenIxESF_NSA_11use_defaultESK_EENS0_5tupleIJNSA_16discard_iteratorISK_EESF_EEENSM_IJSG_SG_EEES6_PlJS6_EEE10hipError_tPvRmT3_T4_T5_T6_T7_T9_mT8_P12ihipStream_tbDpT10_ENKUlT_T0_E_clISt17integral_constantIbLb0EES1A_IbLb1EEEEDaS16_S17_EUlS16_E_NS1_11comp_targetILNS1_3genE10ELNS1_11target_archE1200ELNS1_3gpuE4ELNS1_3repE0EEENS1_30default_config_static_selectorELNS0_4arch9wavefront6targetE1EEEvT1_.kd
    .uniform_work_group_size: 1
    .uses_dynamic_stack: false
    .vgpr_count:     0
    .vgpr_spill_count: 0
    .wavefront_size: 64
  - .agpr_count:     0
    .args:
      - .offset:         0
        .size:           152
        .value_kind:     by_value
    .group_segment_fixed_size: 0
    .kernarg_segment_align: 8
    .kernarg_segment_size: 152
    .language:       OpenCL C
    .language_version:
      - 2
      - 0
    .max_flat_workgroup_size: 128
    .name:           _ZN7rocprim17ROCPRIM_400000_NS6detail17trampoline_kernelINS0_14default_configENS1_25partition_config_selectorILNS1_17partition_subalgoE1ExNS0_10empty_typeEbEEZZNS1_14partition_implILS5_1ELb0ES3_jN6thrust23THRUST_200600_302600_NS6detail15normal_iteratorINSA_10device_ptrIxEEEEPS6_NSA_18transform_iteratorI7is_evenIxESF_NSA_11use_defaultESK_EENS0_5tupleIJNSA_16discard_iteratorISK_EESF_EEENSM_IJSG_SG_EEES6_PlJS6_EEE10hipError_tPvRmT3_T4_T5_T6_T7_T9_mT8_P12ihipStream_tbDpT10_ENKUlT_T0_E_clISt17integral_constantIbLb0EES1A_IbLb1EEEEDaS16_S17_EUlS16_E_NS1_11comp_targetILNS1_3genE9ELNS1_11target_archE1100ELNS1_3gpuE3ELNS1_3repE0EEENS1_30default_config_static_selectorELNS0_4arch9wavefront6targetE1EEEvT1_
    .private_segment_fixed_size: 0
    .sgpr_count:     4
    .sgpr_spill_count: 0
    .symbol:         _ZN7rocprim17ROCPRIM_400000_NS6detail17trampoline_kernelINS0_14default_configENS1_25partition_config_selectorILNS1_17partition_subalgoE1ExNS0_10empty_typeEbEEZZNS1_14partition_implILS5_1ELb0ES3_jN6thrust23THRUST_200600_302600_NS6detail15normal_iteratorINSA_10device_ptrIxEEEEPS6_NSA_18transform_iteratorI7is_evenIxESF_NSA_11use_defaultESK_EENS0_5tupleIJNSA_16discard_iteratorISK_EESF_EEENSM_IJSG_SG_EEES6_PlJS6_EEE10hipError_tPvRmT3_T4_T5_T6_T7_T9_mT8_P12ihipStream_tbDpT10_ENKUlT_T0_E_clISt17integral_constantIbLb0EES1A_IbLb1EEEEDaS16_S17_EUlS16_E_NS1_11comp_targetILNS1_3genE9ELNS1_11target_archE1100ELNS1_3gpuE3ELNS1_3repE0EEENS1_30default_config_static_selectorELNS0_4arch9wavefront6targetE1EEEvT1_.kd
    .uniform_work_group_size: 1
    .uses_dynamic_stack: false
    .vgpr_count:     0
    .vgpr_spill_count: 0
    .wavefront_size: 64
  - .agpr_count:     0
    .args:
      - .offset:         0
        .size:           152
        .value_kind:     by_value
    .group_segment_fixed_size: 0
    .kernarg_segment_align: 8
    .kernarg_segment_size: 152
    .language:       OpenCL C
    .language_version:
      - 2
      - 0
    .max_flat_workgroup_size: 512
    .name:           _ZN7rocprim17ROCPRIM_400000_NS6detail17trampoline_kernelINS0_14default_configENS1_25partition_config_selectorILNS1_17partition_subalgoE1ExNS0_10empty_typeEbEEZZNS1_14partition_implILS5_1ELb0ES3_jN6thrust23THRUST_200600_302600_NS6detail15normal_iteratorINSA_10device_ptrIxEEEEPS6_NSA_18transform_iteratorI7is_evenIxESF_NSA_11use_defaultESK_EENS0_5tupleIJNSA_16discard_iteratorISK_EESF_EEENSM_IJSG_SG_EEES6_PlJS6_EEE10hipError_tPvRmT3_T4_T5_T6_T7_T9_mT8_P12ihipStream_tbDpT10_ENKUlT_T0_E_clISt17integral_constantIbLb0EES1A_IbLb1EEEEDaS16_S17_EUlS16_E_NS1_11comp_targetILNS1_3genE8ELNS1_11target_archE1030ELNS1_3gpuE2ELNS1_3repE0EEENS1_30default_config_static_selectorELNS0_4arch9wavefront6targetE1EEEvT1_
    .private_segment_fixed_size: 0
    .sgpr_count:     4
    .sgpr_spill_count: 0
    .symbol:         _ZN7rocprim17ROCPRIM_400000_NS6detail17trampoline_kernelINS0_14default_configENS1_25partition_config_selectorILNS1_17partition_subalgoE1ExNS0_10empty_typeEbEEZZNS1_14partition_implILS5_1ELb0ES3_jN6thrust23THRUST_200600_302600_NS6detail15normal_iteratorINSA_10device_ptrIxEEEEPS6_NSA_18transform_iteratorI7is_evenIxESF_NSA_11use_defaultESK_EENS0_5tupleIJNSA_16discard_iteratorISK_EESF_EEENSM_IJSG_SG_EEES6_PlJS6_EEE10hipError_tPvRmT3_T4_T5_T6_T7_T9_mT8_P12ihipStream_tbDpT10_ENKUlT_T0_E_clISt17integral_constantIbLb0EES1A_IbLb1EEEEDaS16_S17_EUlS16_E_NS1_11comp_targetILNS1_3genE8ELNS1_11target_archE1030ELNS1_3gpuE2ELNS1_3repE0EEENS1_30default_config_static_selectorELNS0_4arch9wavefront6targetE1EEEvT1_.kd
    .uniform_work_group_size: 1
    .uses_dynamic_stack: false
    .vgpr_count:     0
    .vgpr_spill_count: 0
    .wavefront_size: 64
  - .agpr_count:     0
    .args:
      - .offset:         0
        .size:           144
        .value_kind:     by_value
    .group_segment_fixed_size: 0
    .kernarg_segment_align: 8
    .kernarg_segment_size: 144
    .language:       OpenCL C
    .language_version:
      - 2
      - 0
    .max_flat_workgroup_size: 256
    .name:           _ZN7rocprim17ROCPRIM_400000_NS6detail17trampoline_kernelINS0_14default_configENS1_25partition_config_selectorILNS1_17partition_subalgoE1EiNS0_10empty_typeEbEEZZNS1_14partition_implILS5_1ELb0ES3_jN6thrust23THRUST_200600_302600_NS6detail15normal_iteratorINSA_10device_ptrIiEEEEPS6_NSA_18transform_iteratorI7is_evenIiESF_NSA_11use_defaultESK_EENS0_5tupleIJNSA_16discard_iteratorISK_EESO_EEENSM_IJSG_SG_EEES6_PlJS6_EEE10hipError_tPvRmT3_T4_T5_T6_T7_T9_mT8_P12ihipStream_tbDpT10_ENKUlT_T0_E_clISt17integral_constantIbLb0EES1B_EEDaS16_S17_EUlS16_E_NS1_11comp_targetILNS1_3genE0ELNS1_11target_archE4294967295ELNS1_3gpuE0ELNS1_3repE0EEENS1_30default_config_static_selectorELNS0_4arch9wavefront6targetE1EEEvT1_
    .private_segment_fixed_size: 0
    .sgpr_count:     4
    .sgpr_spill_count: 0
    .symbol:         _ZN7rocprim17ROCPRIM_400000_NS6detail17trampoline_kernelINS0_14default_configENS1_25partition_config_selectorILNS1_17partition_subalgoE1EiNS0_10empty_typeEbEEZZNS1_14partition_implILS5_1ELb0ES3_jN6thrust23THRUST_200600_302600_NS6detail15normal_iteratorINSA_10device_ptrIiEEEEPS6_NSA_18transform_iteratorI7is_evenIiESF_NSA_11use_defaultESK_EENS0_5tupleIJNSA_16discard_iteratorISK_EESO_EEENSM_IJSG_SG_EEES6_PlJS6_EEE10hipError_tPvRmT3_T4_T5_T6_T7_T9_mT8_P12ihipStream_tbDpT10_ENKUlT_T0_E_clISt17integral_constantIbLb0EES1B_EEDaS16_S17_EUlS16_E_NS1_11comp_targetILNS1_3genE0ELNS1_11target_archE4294967295ELNS1_3gpuE0ELNS1_3repE0EEENS1_30default_config_static_selectorELNS0_4arch9wavefront6targetE1EEEvT1_.kd
    .uniform_work_group_size: 1
    .uses_dynamic_stack: false
    .vgpr_count:     0
    .vgpr_spill_count: 0
    .wavefront_size: 64
  - .agpr_count:     0
    .args:
      - .offset:         0
        .size:           144
        .value_kind:     by_value
    .group_segment_fixed_size: 0
    .kernarg_segment_align: 8
    .kernarg_segment_size: 144
    .language:       OpenCL C
    .language_version:
      - 2
      - 0
    .max_flat_workgroup_size: 512
    .name:           _ZN7rocprim17ROCPRIM_400000_NS6detail17trampoline_kernelINS0_14default_configENS1_25partition_config_selectorILNS1_17partition_subalgoE1EiNS0_10empty_typeEbEEZZNS1_14partition_implILS5_1ELb0ES3_jN6thrust23THRUST_200600_302600_NS6detail15normal_iteratorINSA_10device_ptrIiEEEEPS6_NSA_18transform_iteratorI7is_evenIiESF_NSA_11use_defaultESK_EENS0_5tupleIJNSA_16discard_iteratorISK_EESO_EEENSM_IJSG_SG_EEES6_PlJS6_EEE10hipError_tPvRmT3_T4_T5_T6_T7_T9_mT8_P12ihipStream_tbDpT10_ENKUlT_T0_E_clISt17integral_constantIbLb0EES1B_EEDaS16_S17_EUlS16_E_NS1_11comp_targetILNS1_3genE5ELNS1_11target_archE942ELNS1_3gpuE9ELNS1_3repE0EEENS1_30default_config_static_selectorELNS0_4arch9wavefront6targetE1EEEvT1_
    .private_segment_fixed_size: 0
    .sgpr_count:     4
    .sgpr_spill_count: 0
    .symbol:         _ZN7rocprim17ROCPRIM_400000_NS6detail17trampoline_kernelINS0_14default_configENS1_25partition_config_selectorILNS1_17partition_subalgoE1EiNS0_10empty_typeEbEEZZNS1_14partition_implILS5_1ELb0ES3_jN6thrust23THRUST_200600_302600_NS6detail15normal_iteratorINSA_10device_ptrIiEEEEPS6_NSA_18transform_iteratorI7is_evenIiESF_NSA_11use_defaultESK_EENS0_5tupleIJNSA_16discard_iteratorISK_EESO_EEENSM_IJSG_SG_EEES6_PlJS6_EEE10hipError_tPvRmT3_T4_T5_T6_T7_T9_mT8_P12ihipStream_tbDpT10_ENKUlT_T0_E_clISt17integral_constantIbLb0EES1B_EEDaS16_S17_EUlS16_E_NS1_11comp_targetILNS1_3genE5ELNS1_11target_archE942ELNS1_3gpuE9ELNS1_3repE0EEENS1_30default_config_static_selectorELNS0_4arch9wavefront6targetE1EEEvT1_.kd
    .uniform_work_group_size: 1
    .uses_dynamic_stack: false
    .vgpr_count:     0
    .vgpr_spill_count: 0
    .wavefront_size: 64
  - .agpr_count:     0
    .args:
      - .offset:         0
        .size:           144
        .value_kind:     by_value
    .group_segment_fixed_size: 7176
    .kernarg_segment_align: 8
    .kernarg_segment_size: 144
    .language:       OpenCL C
    .language_version:
      - 2
      - 0
    .max_flat_workgroup_size: 256
    .name:           _ZN7rocprim17ROCPRIM_400000_NS6detail17trampoline_kernelINS0_14default_configENS1_25partition_config_selectorILNS1_17partition_subalgoE1EiNS0_10empty_typeEbEEZZNS1_14partition_implILS5_1ELb0ES3_jN6thrust23THRUST_200600_302600_NS6detail15normal_iteratorINSA_10device_ptrIiEEEEPS6_NSA_18transform_iteratorI7is_evenIiESF_NSA_11use_defaultESK_EENS0_5tupleIJNSA_16discard_iteratorISK_EESO_EEENSM_IJSG_SG_EEES6_PlJS6_EEE10hipError_tPvRmT3_T4_T5_T6_T7_T9_mT8_P12ihipStream_tbDpT10_ENKUlT_T0_E_clISt17integral_constantIbLb0EES1B_EEDaS16_S17_EUlS16_E_NS1_11comp_targetILNS1_3genE4ELNS1_11target_archE910ELNS1_3gpuE8ELNS1_3repE0EEENS1_30default_config_static_selectorELNS0_4arch9wavefront6targetE1EEEvT1_
    .private_segment_fixed_size: 0
    .sgpr_count:     40
    .sgpr_spill_count: 0
    .symbol:         _ZN7rocprim17ROCPRIM_400000_NS6detail17trampoline_kernelINS0_14default_configENS1_25partition_config_selectorILNS1_17partition_subalgoE1EiNS0_10empty_typeEbEEZZNS1_14partition_implILS5_1ELb0ES3_jN6thrust23THRUST_200600_302600_NS6detail15normal_iteratorINSA_10device_ptrIiEEEEPS6_NSA_18transform_iteratorI7is_evenIiESF_NSA_11use_defaultESK_EENS0_5tupleIJNSA_16discard_iteratorISK_EESO_EEENSM_IJSG_SG_EEES6_PlJS6_EEE10hipError_tPvRmT3_T4_T5_T6_T7_T9_mT8_P12ihipStream_tbDpT10_ENKUlT_T0_E_clISt17integral_constantIbLb0EES1B_EEDaS16_S17_EUlS16_E_NS1_11comp_targetILNS1_3genE4ELNS1_11target_archE910ELNS1_3gpuE8ELNS1_3repE0EEENS1_30default_config_static_selectorELNS0_4arch9wavefront6targetE1EEEvT1_.kd
    .uniform_work_group_size: 1
    .uses_dynamic_stack: false
    .vgpr_count:     46
    .vgpr_spill_count: 0
    .wavefront_size: 64
  - .agpr_count:     0
    .args:
      - .offset:         0
        .size:           144
        .value_kind:     by_value
    .group_segment_fixed_size: 0
    .kernarg_segment_align: 8
    .kernarg_segment_size: 144
    .language:       OpenCL C
    .language_version:
      - 2
      - 0
    .max_flat_workgroup_size: 256
    .name:           _ZN7rocprim17ROCPRIM_400000_NS6detail17trampoline_kernelINS0_14default_configENS1_25partition_config_selectorILNS1_17partition_subalgoE1EiNS0_10empty_typeEbEEZZNS1_14partition_implILS5_1ELb0ES3_jN6thrust23THRUST_200600_302600_NS6detail15normal_iteratorINSA_10device_ptrIiEEEEPS6_NSA_18transform_iteratorI7is_evenIiESF_NSA_11use_defaultESK_EENS0_5tupleIJNSA_16discard_iteratorISK_EESO_EEENSM_IJSG_SG_EEES6_PlJS6_EEE10hipError_tPvRmT3_T4_T5_T6_T7_T9_mT8_P12ihipStream_tbDpT10_ENKUlT_T0_E_clISt17integral_constantIbLb0EES1B_EEDaS16_S17_EUlS16_E_NS1_11comp_targetILNS1_3genE3ELNS1_11target_archE908ELNS1_3gpuE7ELNS1_3repE0EEENS1_30default_config_static_selectorELNS0_4arch9wavefront6targetE1EEEvT1_
    .private_segment_fixed_size: 0
    .sgpr_count:     4
    .sgpr_spill_count: 0
    .symbol:         _ZN7rocprim17ROCPRIM_400000_NS6detail17trampoline_kernelINS0_14default_configENS1_25partition_config_selectorILNS1_17partition_subalgoE1EiNS0_10empty_typeEbEEZZNS1_14partition_implILS5_1ELb0ES3_jN6thrust23THRUST_200600_302600_NS6detail15normal_iteratorINSA_10device_ptrIiEEEEPS6_NSA_18transform_iteratorI7is_evenIiESF_NSA_11use_defaultESK_EENS0_5tupleIJNSA_16discard_iteratorISK_EESO_EEENSM_IJSG_SG_EEES6_PlJS6_EEE10hipError_tPvRmT3_T4_T5_T6_T7_T9_mT8_P12ihipStream_tbDpT10_ENKUlT_T0_E_clISt17integral_constantIbLb0EES1B_EEDaS16_S17_EUlS16_E_NS1_11comp_targetILNS1_3genE3ELNS1_11target_archE908ELNS1_3gpuE7ELNS1_3repE0EEENS1_30default_config_static_selectorELNS0_4arch9wavefront6targetE1EEEvT1_.kd
    .uniform_work_group_size: 1
    .uses_dynamic_stack: false
    .vgpr_count:     0
    .vgpr_spill_count: 0
    .wavefront_size: 64
  - .agpr_count:     0
    .args:
      - .offset:         0
        .size:           144
        .value_kind:     by_value
    .group_segment_fixed_size: 0
    .kernarg_segment_align: 8
    .kernarg_segment_size: 144
    .language:       OpenCL C
    .language_version:
      - 2
      - 0
    .max_flat_workgroup_size: 256
    .name:           _ZN7rocprim17ROCPRIM_400000_NS6detail17trampoline_kernelINS0_14default_configENS1_25partition_config_selectorILNS1_17partition_subalgoE1EiNS0_10empty_typeEbEEZZNS1_14partition_implILS5_1ELb0ES3_jN6thrust23THRUST_200600_302600_NS6detail15normal_iteratorINSA_10device_ptrIiEEEEPS6_NSA_18transform_iteratorI7is_evenIiESF_NSA_11use_defaultESK_EENS0_5tupleIJNSA_16discard_iteratorISK_EESO_EEENSM_IJSG_SG_EEES6_PlJS6_EEE10hipError_tPvRmT3_T4_T5_T6_T7_T9_mT8_P12ihipStream_tbDpT10_ENKUlT_T0_E_clISt17integral_constantIbLb0EES1B_EEDaS16_S17_EUlS16_E_NS1_11comp_targetILNS1_3genE2ELNS1_11target_archE906ELNS1_3gpuE6ELNS1_3repE0EEENS1_30default_config_static_selectorELNS0_4arch9wavefront6targetE1EEEvT1_
    .private_segment_fixed_size: 0
    .sgpr_count:     4
    .sgpr_spill_count: 0
    .symbol:         _ZN7rocprim17ROCPRIM_400000_NS6detail17trampoline_kernelINS0_14default_configENS1_25partition_config_selectorILNS1_17partition_subalgoE1EiNS0_10empty_typeEbEEZZNS1_14partition_implILS5_1ELb0ES3_jN6thrust23THRUST_200600_302600_NS6detail15normal_iteratorINSA_10device_ptrIiEEEEPS6_NSA_18transform_iteratorI7is_evenIiESF_NSA_11use_defaultESK_EENS0_5tupleIJNSA_16discard_iteratorISK_EESO_EEENSM_IJSG_SG_EEES6_PlJS6_EEE10hipError_tPvRmT3_T4_T5_T6_T7_T9_mT8_P12ihipStream_tbDpT10_ENKUlT_T0_E_clISt17integral_constantIbLb0EES1B_EEDaS16_S17_EUlS16_E_NS1_11comp_targetILNS1_3genE2ELNS1_11target_archE906ELNS1_3gpuE6ELNS1_3repE0EEENS1_30default_config_static_selectorELNS0_4arch9wavefront6targetE1EEEvT1_.kd
    .uniform_work_group_size: 1
    .uses_dynamic_stack: false
    .vgpr_count:     0
    .vgpr_spill_count: 0
    .wavefront_size: 64
  - .agpr_count:     0
    .args:
      - .offset:         0
        .size:           144
        .value_kind:     by_value
    .group_segment_fixed_size: 0
    .kernarg_segment_align: 8
    .kernarg_segment_size: 144
    .language:       OpenCL C
    .language_version:
      - 2
      - 0
    .max_flat_workgroup_size: 256
    .name:           _ZN7rocprim17ROCPRIM_400000_NS6detail17trampoline_kernelINS0_14default_configENS1_25partition_config_selectorILNS1_17partition_subalgoE1EiNS0_10empty_typeEbEEZZNS1_14partition_implILS5_1ELb0ES3_jN6thrust23THRUST_200600_302600_NS6detail15normal_iteratorINSA_10device_ptrIiEEEEPS6_NSA_18transform_iteratorI7is_evenIiESF_NSA_11use_defaultESK_EENS0_5tupleIJNSA_16discard_iteratorISK_EESO_EEENSM_IJSG_SG_EEES6_PlJS6_EEE10hipError_tPvRmT3_T4_T5_T6_T7_T9_mT8_P12ihipStream_tbDpT10_ENKUlT_T0_E_clISt17integral_constantIbLb0EES1B_EEDaS16_S17_EUlS16_E_NS1_11comp_targetILNS1_3genE10ELNS1_11target_archE1200ELNS1_3gpuE4ELNS1_3repE0EEENS1_30default_config_static_selectorELNS0_4arch9wavefront6targetE1EEEvT1_
    .private_segment_fixed_size: 0
    .sgpr_count:     4
    .sgpr_spill_count: 0
    .symbol:         _ZN7rocprim17ROCPRIM_400000_NS6detail17trampoline_kernelINS0_14default_configENS1_25partition_config_selectorILNS1_17partition_subalgoE1EiNS0_10empty_typeEbEEZZNS1_14partition_implILS5_1ELb0ES3_jN6thrust23THRUST_200600_302600_NS6detail15normal_iteratorINSA_10device_ptrIiEEEEPS6_NSA_18transform_iteratorI7is_evenIiESF_NSA_11use_defaultESK_EENS0_5tupleIJNSA_16discard_iteratorISK_EESO_EEENSM_IJSG_SG_EEES6_PlJS6_EEE10hipError_tPvRmT3_T4_T5_T6_T7_T9_mT8_P12ihipStream_tbDpT10_ENKUlT_T0_E_clISt17integral_constantIbLb0EES1B_EEDaS16_S17_EUlS16_E_NS1_11comp_targetILNS1_3genE10ELNS1_11target_archE1200ELNS1_3gpuE4ELNS1_3repE0EEENS1_30default_config_static_selectorELNS0_4arch9wavefront6targetE1EEEvT1_.kd
    .uniform_work_group_size: 1
    .uses_dynamic_stack: false
    .vgpr_count:     0
    .vgpr_spill_count: 0
    .wavefront_size: 64
  - .agpr_count:     0
    .args:
      - .offset:         0
        .size:           144
        .value_kind:     by_value
    .group_segment_fixed_size: 0
    .kernarg_segment_align: 8
    .kernarg_segment_size: 144
    .language:       OpenCL C
    .language_version:
      - 2
      - 0
    .max_flat_workgroup_size: 128
    .name:           _ZN7rocprim17ROCPRIM_400000_NS6detail17trampoline_kernelINS0_14default_configENS1_25partition_config_selectorILNS1_17partition_subalgoE1EiNS0_10empty_typeEbEEZZNS1_14partition_implILS5_1ELb0ES3_jN6thrust23THRUST_200600_302600_NS6detail15normal_iteratorINSA_10device_ptrIiEEEEPS6_NSA_18transform_iteratorI7is_evenIiESF_NSA_11use_defaultESK_EENS0_5tupleIJNSA_16discard_iteratorISK_EESO_EEENSM_IJSG_SG_EEES6_PlJS6_EEE10hipError_tPvRmT3_T4_T5_T6_T7_T9_mT8_P12ihipStream_tbDpT10_ENKUlT_T0_E_clISt17integral_constantIbLb0EES1B_EEDaS16_S17_EUlS16_E_NS1_11comp_targetILNS1_3genE9ELNS1_11target_archE1100ELNS1_3gpuE3ELNS1_3repE0EEENS1_30default_config_static_selectorELNS0_4arch9wavefront6targetE1EEEvT1_
    .private_segment_fixed_size: 0
    .sgpr_count:     4
    .sgpr_spill_count: 0
    .symbol:         _ZN7rocprim17ROCPRIM_400000_NS6detail17trampoline_kernelINS0_14default_configENS1_25partition_config_selectorILNS1_17partition_subalgoE1EiNS0_10empty_typeEbEEZZNS1_14partition_implILS5_1ELb0ES3_jN6thrust23THRUST_200600_302600_NS6detail15normal_iteratorINSA_10device_ptrIiEEEEPS6_NSA_18transform_iteratorI7is_evenIiESF_NSA_11use_defaultESK_EENS0_5tupleIJNSA_16discard_iteratorISK_EESO_EEENSM_IJSG_SG_EEES6_PlJS6_EEE10hipError_tPvRmT3_T4_T5_T6_T7_T9_mT8_P12ihipStream_tbDpT10_ENKUlT_T0_E_clISt17integral_constantIbLb0EES1B_EEDaS16_S17_EUlS16_E_NS1_11comp_targetILNS1_3genE9ELNS1_11target_archE1100ELNS1_3gpuE3ELNS1_3repE0EEENS1_30default_config_static_selectorELNS0_4arch9wavefront6targetE1EEEvT1_.kd
    .uniform_work_group_size: 1
    .uses_dynamic_stack: false
    .vgpr_count:     0
    .vgpr_spill_count: 0
    .wavefront_size: 64
  - .agpr_count:     0
    .args:
      - .offset:         0
        .size:           144
        .value_kind:     by_value
    .group_segment_fixed_size: 0
    .kernarg_segment_align: 8
    .kernarg_segment_size: 144
    .language:       OpenCL C
    .language_version:
      - 2
      - 0
    .max_flat_workgroup_size: 512
    .name:           _ZN7rocprim17ROCPRIM_400000_NS6detail17trampoline_kernelINS0_14default_configENS1_25partition_config_selectorILNS1_17partition_subalgoE1EiNS0_10empty_typeEbEEZZNS1_14partition_implILS5_1ELb0ES3_jN6thrust23THRUST_200600_302600_NS6detail15normal_iteratorINSA_10device_ptrIiEEEEPS6_NSA_18transform_iteratorI7is_evenIiESF_NSA_11use_defaultESK_EENS0_5tupleIJNSA_16discard_iteratorISK_EESO_EEENSM_IJSG_SG_EEES6_PlJS6_EEE10hipError_tPvRmT3_T4_T5_T6_T7_T9_mT8_P12ihipStream_tbDpT10_ENKUlT_T0_E_clISt17integral_constantIbLb0EES1B_EEDaS16_S17_EUlS16_E_NS1_11comp_targetILNS1_3genE8ELNS1_11target_archE1030ELNS1_3gpuE2ELNS1_3repE0EEENS1_30default_config_static_selectorELNS0_4arch9wavefront6targetE1EEEvT1_
    .private_segment_fixed_size: 0
    .sgpr_count:     4
    .sgpr_spill_count: 0
    .symbol:         _ZN7rocprim17ROCPRIM_400000_NS6detail17trampoline_kernelINS0_14default_configENS1_25partition_config_selectorILNS1_17partition_subalgoE1EiNS0_10empty_typeEbEEZZNS1_14partition_implILS5_1ELb0ES3_jN6thrust23THRUST_200600_302600_NS6detail15normal_iteratorINSA_10device_ptrIiEEEEPS6_NSA_18transform_iteratorI7is_evenIiESF_NSA_11use_defaultESK_EENS0_5tupleIJNSA_16discard_iteratorISK_EESO_EEENSM_IJSG_SG_EEES6_PlJS6_EEE10hipError_tPvRmT3_T4_T5_T6_T7_T9_mT8_P12ihipStream_tbDpT10_ENKUlT_T0_E_clISt17integral_constantIbLb0EES1B_EEDaS16_S17_EUlS16_E_NS1_11comp_targetILNS1_3genE8ELNS1_11target_archE1030ELNS1_3gpuE2ELNS1_3repE0EEENS1_30default_config_static_selectorELNS0_4arch9wavefront6targetE1EEEvT1_.kd
    .uniform_work_group_size: 1
    .uses_dynamic_stack: false
    .vgpr_count:     0
    .vgpr_spill_count: 0
    .wavefront_size: 64
  - .agpr_count:     0
    .args:
      - .offset:         0
        .size:           160
        .value_kind:     by_value
    .group_segment_fixed_size: 0
    .kernarg_segment_align: 8
    .kernarg_segment_size: 160
    .language:       OpenCL C
    .language_version:
      - 2
      - 0
    .max_flat_workgroup_size: 256
    .name:           _ZN7rocprim17ROCPRIM_400000_NS6detail17trampoline_kernelINS0_14default_configENS1_25partition_config_selectorILNS1_17partition_subalgoE1EiNS0_10empty_typeEbEEZZNS1_14partition_implILS5_1ELb0ES3_jN6thrust23THRUST_200600_302600_NS6detail15normal_iteratorINSA_10device_ptrIiEEEEPS6_NSA_18transform_iteratorI7is_evenIiESF_NSA_11use_defaultESK_EENS0_5tupleIJNSA_16discard_iteratorISK_EESO_EEENSM_IJSG_SG_EEES6_PlJS6_EEE10hipError_tPvRmT3_T4_T5_T6_T7_T9_mT8_P12ihipStream_tbDpT10_ENKUlT_T0_E_clISt17integral_constantIbLb1EES1B_EEDaS16_S17_EUlS16_E_NS1_11comp_targetILNS1_3genE0ELNS1_11target_archE4294967295ELNS1_3gpuE0ELNS1_3repE0EEENS1_30default_config_static_selectorELNS0_4arch9wavefront6targetE1EEEvT1_
    .private_segment_fixed_size: 0
    .sgpr_count:     4
    .sgpr_spill_count: 0
    .symbol:         _ZN7rocprim17ROCPRIM_400000_NS6detail17trampoline_kernelINS0_14default_configENS1_25partition_config_selectorILNS1_17partition_subalgoE1EiNS0_10empty_typeEbEEZZNS1_14partition_implILS5_1ELb0ES3_jN6thrust23THRUST_200600_302600_NS6detail15normal_iteratorINSA_10device_ptrIiEEEEPS6_NSA_18transform_iteratorI7is_evenIiESF_NSA_11use_defaultESK_EENS0_5tupleIJNSA_16discard_iteratorISK_EESO_EEENSM_IJSG_SG_EEES6_PlJS6_EEE10hipError_tPvRmT3_T4_T5_T6_T7_T9_mT8_P12ihipStream_tbDpT10_ENKUlT_T0_E_clISt17integral_constantIbLb1EES1B_EEDaS16_S17_EUlS16_E_NS1_11comp_targetILNS1_3genE0ELNS1_11target_archE4294967295ELNS1_3gpuE0ELNS1_3repE0EEENS1_30default_config_static_selectorELNS0_4arch9wavefront6targetE1EEEvT1_.kd
    .uniform_work_group_size: 1
    .uses_dynamic_stack: false
    .vgpr_count:     0
    .vgpr_spill_count: 0
    .wavefront_size: 64
  - .agpr_count:     0
    .args:
      - .offset:         0
        .size:           160
        .value_kind:     by_value
    .group_segment_fixed_size: 0
    .kernarg_segment_align: 8
    .kernarg_segment_size: 160
    .language:       OpenCL C
    .language_version:
      - 2
      - 0
    .max_flat_workgroup_size: 512
    .name:           _ZN7rocprim17ROCPRIM_400000_NS6detail17trampoline_kernelINS0_14default_configENS1_25partition_config_selectorILNS1_17partition_subalgoE1EiNS0_10empty_typeEbEEZZNS1_14partition_implILS5_1ELb0ES3_jN6thrust23THRUST_200600_302600_NS6detail15normal_iteratorINSA_10device_ptrIiEEEEPS6_NSA_18transform_iteratorI7is_evenIiESF_NSA_11use_defaultESK_EENS0_5tupleIJNSA_16discard_iteratorISK_EESO_EEENSM_IJSG_SG_EEES6_PlJS6_EEE10hipError_tPvRmT3_T4_T5_T6_T7_T9_mT8_P12ihipStream_tbDpT10_ENKUlT_T0_E_clISt17integral_constantIbLb1EES1B_EEDaS16_S17_EUlS16_E_NS1_11comp_targetILNS1_3genE5ELNS1_11target_archE942ELNS1_3gpuE9ELNS1_3repE0EEENS1_30default_config_static_selectorELNS0_4arch9wavefront6targetE1EEEvT1_
    .private_segment_fixed_size: 0
    .sgpr_count:     4
    .sgpr_spill_count: 0
    .symbol:         _ZN7rocprim17ROCPRIM_400000_NS6detail17trampoline_kernelINS0_14default_configENS1_25partition_config_selectorILNS1_17partition_subalgoE1EiNS0_10empty_typeEbEEZZNS1_14partition_implILS5_1ELb0ES3_jN6thrust23THRUST_200600_302600_NS6detail15normal_iteratorINSA_10device_ptrIiEEEEPS6_NSA_18transform_iteratorI7is_evenIiESF_NSA_11use_defaultESK_EENS0_5tupleIJNSA_16discard_iteratorISK_EESO_EEENSM_IJSG_SG_EEES6_PlJS6_EEE10hipError_tPvRmT3_T4_T5_T6_T7_T9_mT8_P12ihipStream_tbDpT10_ENKUlT_T0_E_clISt17integral_constantIbLb1EES1B_EEDaS16_S17_EUlS16_E_NS1_11comp_targetILNS1_3genE5ELNS1_11target_archE942ELNS1_3gpuE9ELNS1_3repE0EEENS1_30default_config_static_selectorELNS0_4arch9wavefront6targetE1EEEvT1_.kd
    .uniform_work_group_size: 1
    .uses_dynamic_stack: false
    .vgpr_count:     0
    .vgpr_spill_count: 0
    .wavefront_size: 64
  - .agpr_count:     0
    .args:
      - .offset:         0
        .size:           160
        .value_kind:     by_value
    .group_segment_fixed_size: 7176
    .kernarg_segment_align: 8
    .kernarg_segment_size: 160
    .language:       OpenCL C
    .language_version:
      - 2
      - 0
    .max_flat_workgroup_size: 256
    .name:           _ZN7rocprim17ROCPRIM_400000_NS6detail17trampoline_kernelINS0_14default_configENS1_25partition_config_selectorILNS1_17partition_subalgoE1EiNS0_10empty_typeEbEEZZNS1_14partition_implILS5_1ELb0ES3_jN6thrust23THRUST_200600_302600_NS6detail15normal_iteratorINSA_10device_ptrIiEEEEPS6_NSA_18transform_iteratorI7is_evenIiESF_NSA_11use_defaultESK_EENS0_5tupleIJNSA_16discard_iteratorISK_EESO_EEENSM_IJSG_SG_EEES6_PlJS6_EEE10hipError_tPvRmT3_T4_T5_T6_T7_T9_mT8_P12ihipStream_tbDpT10_ENKUlT_T0_E_clISt17integral_constantIbLb1EES1B_EEDaS16_S17_EUlS16_E_NS1_11comp_targetILNS1_3genE4ELNS1_11target_archE910ELNS1_3gpuE8ELNS1_3repE0EEENS1_30default_config_static_selectorELNS0_4arch9wavefront6targetE1EEEvT1_
    .private_segment_fixed_size: 0
    .sgpr_count:     40
    .sgpr_spill_count: 0
    .symbol:         _ZN7rocprim17ROCPRIM_400000_NS6detail17trampoline_kernelINS0_14default_configENS1_25partition_config_selectorILNS1_17partition_subalgoE1EiNS0_10empty_typeEbEEZZNS1_14partition_implILS5_1ELb0ES3_jN6thrust23THRUST_200600_302600_NS6detail15normal_iteratorINSA_10device_ptrIiEEEEPS6_NSA_18transform_iteratorI7is_evenIiESF_NSA_11use_defaultESK_EENS0_5tupleIJNSA_16discard_iteratorISK_EESO_EEENSM_IJSG_SG_EEES6_PlJS6_EEE10hipError_tPvRmT3_T4_T5_T6_T7_T9_mT8_P12ihipStream_tbDpT10_ENKUlT_T0_E_clISt17integral_constantIbLb1EES1B_EEDaS16_S17_EUlS16_E_NS1_11comp_targetILNS1_3genE4ELNS1_11target_archE910ELNS1_3gpuE8ELNS1_3repE0EEENS1_30default_config_static_selectorELNS0_4arch9wavefront6targetE1EEEvT1_.kd
    .uniform_work_group_size: 1
    .uses_dynamic_stack: false
    .vgpr_count:     48
    .vgpr_spill_count: 0
    .wavefront_size: 64
  - .agpr_count:     0
    .args:
      - .offset:         0
        .size:           160
        .value_kind:     by_value
    .group_segment_fixed_size: 0
    .kernarg_segment_align: 8
    .kernarg_segment_size: 160
    .language:       OpenCL C
    .language_version:
      - 2
      - 0
    .max_flat_workgroup_size: 256
    .name:           _ZN7rocprim17ROCPRIM_400000_NS6detail17trampoline_kernelINS0_14default_configENS1_25partition_config_selectorILNS1_17partition_subalgoE1EiNS0_10empty_typeEbEEZZNS1_14partition_implILS5_1ELb0ES3_jN6thrust23THRUST_200600_302600_NS6detail15normal_iteratorINSA_10device_ptrIiEEEEPS6_NSA_18transform_iteratorI7is_evenIiESF_NSA_11use_defaultESK_EENS0_5tupleIJNSA_16discard_iteratorISK_EESO_EEENSM_IJSG_SG_EEES6_PlJS6_EEE10hipError_tPvRmT3_T4_T5_T6_T7_T9_mT8_P12ihipStream_tbDpT10_ENKUlT_T0_E_clISt17integral_constantIbLb1EES1B_EEDaS16_S17_EUlS16_E_NS1_11comp_targetILNS1_3genE3ELNS1_11target_archE908ELNS1_3gpuE7ELNS1_3repE0EEENS1_30default_config_static_selectorELNS0_4arch9wavefront6targetE1EEEvT1_
    .private_segment_fixed_size: 0
    .sgpr_count:     4
    .sgpr_spill_count: 0
    .symbol:         _ZN7rocprim17ROCPRIM_400000_NS6detail17trampoline_kernelINS0_14default_configENS1_25partition_config_selectorILNS1_17partition_subalgoE1EiNS0_10empty_typeEbEEZZNS1_14partition_implILS5_1ELb0ES3_jN6thrust23THRUST_200600_302600_NS6detail15normal_iteratorINSA_10device_ptrIiEEEEPS6_NSA_18transform_iteratorI7is_evenIiESF_NSA_11use_defaultESK_EENS0_5tupleIJNSA_16discard_iteratorISK_EESO_EEENSM_IJSG_SG_EEES6_PlJS6_EEE10hipError_tPvRmT3_T4_T5_T6_T7_T9_mT8_P12ihipStream_tbDpT10_ENKUlT_T0_E_clISt17integral_constantIbLb1EES1B_EEDaS16_S17_EUlS16_E_NS1_11comp_targetILNS1_3genE3ELNS1_11target_archE908ELNS1_3gpuE7ELNS1_3repE0EEENS1_30default_config_static_selectorELNS0_4arch9wavefront6targetE1EEEvT1_.kd
    .uniform_work_group_size: 1
    .uses_dynamic_stack: false
    .vgpr_count:     0
    .vgpr_spill_count: 0
    .wavefront_size: 64
  - .agpr_count:     0
    .args:
      - .offset:         0
        .size:           160
        .value_kind:     by_value
    .group_segment_fixed_size: 0
    .kernarg_segment_align: 8
    .kernarg_segment_size: 160
    .language:       OpenCL C
    .language_version:
      - 2
      - 0
    .max_flat_workgroup_size: 256
    .name:           _ZN7rocprim17ROCPRIM_400000_NS6detail17trampoline_kernelINS0_14default_configENS1_25partition_config_selectorILNS1_17partition_subalgoE1EiNS0_10empty_typeEbEEZZNS1_14partition_implILS5_1ELb0ES3_jN6thrust23THRUST_200600_302600_NS6detail15normal_iteratorINSA_10device_ptrIiEEEEPS6_NSA_18transform_iteratorI7is_evenIiESF_NSA_11use_defaultESK_EENS0_5tupleIJNSA_16discard_iteratorISK_EESO_EEENSM_IJSG_SG_EEES6_PlJS6_EEE10hipError_tPvRmT3_T4_T5_T6_T7_T9_mT8_P12ihipStream_tbDpT10_ENKUlT_T0_E_clISt17integral_constantIbLb1EES1B_EEDaS16_S17_EUlS16_E_NS1_11comp_targetILNS1_3genE2ELNS1_11target_archE906ELNS1_3gpuE6ELNS1_3repE0EEENS1_30default_config_static_selectorELNS0_4arch9wavefront6targetE1EEEvT1_
    .private_segment_fixed_size: 0
    .sgpr_count:     4
    .sgpr_spill_count: 0
    .symbol:         _ZN7rocprim17ROCPRIM_400000_NS6detail17trampoline_kernelINS0_14default_configENS1_25partition_config_selectorILNS1_17partition_subalgoE1EiNS0_10empty_typeEbEEZZNS1_14partition_implILS5_1ELb0ES3_jN6thrust23THRUST_200600_302600_NS6detail15normal_iteratorINSA_10device_ptrIiEEEEPS6_NSA_18transform_iteratorI7is_evenIiESF_NSA_11use_defaultESK_EENS0_5tupleIJNSA_16discard_iteratorISK_EESO_EEENSM_IJSG_SG_EEES6_PlJS6_EEE10hipError_tPvRmT3_T4_T5_T6_T7_T9_mT8_P12ihipStream_tbDpT10_ENKUlT_T0_E_clISt17integral_constantIbLb1EES1B_EEDaS16_S17_EUlS16_E_NS1_11comp_targetILNS1_3genE2ELNS1_11target_archE906ELNS1_3gpuE6ELNS1_3repE0EEENS1_30default_config_static_selectorELNS0_4arch9wavefront6targetE1EEEvT1_.kd
    .uniform_work_group_size: 1
    .uses_dynamic_stack: false
    .vgpr_count:     0
    .vgpr_spill_count: 0
    .wavefront_size: 64
  - .agpr_count:     0
    .args:
      - .offset:         0
        .size:           160
        .value_kind:     by_value
    .group_segment_fixed_size: 0
    .kernarg_segment_align: 8
    .kernarg_segment_size: 160
    .language:       OpenCL C
    .language_version:
      - 2
      - 0
    .max_flat_workgroup_size: 256
    .name:           _ZN7rocprim17ROCPRIM_400000_NS6detail17trampoline_kernelINS0_14default_configENS1_25partition_config_selectorILNS1_17partition_subalgoE1EiNS0_10empty_typeEbEEZZNS1_14partition_implILS5_1ELb0ES3_jN6thrust23THRUST_200600_302600_NS6detail15normal_iteratorINSA_10device_ptrIiEEEEPS6_NSA_18transform_iteratorI7is_evenIiESF_NSA_11use_defaultESK_EENS0_5tupleIJNSA_16discard_iteratorISK_EESO_EEENSM_IJSG_SG_EEES6_PlJS6_EEE10hipError_tPvRmT3_T4_T5_T6_T7_T9_mT8_P12ihipStream_tbDpT10_ENKUlT_T0_E_clISt17integral_constantIbLb1EES1B_EEDaS16_S17_EUlS16_E_NS1_11comp_targetILNS1_3genE10ELNS1_11target_archE1200ELNS1_3gpuE4ELNS1_3repE0EEENS1_30default_config_static_selectorELNS0_4arch9wavefront6targetE1EEEvT1_
    .private_segment_fixed_size: 0
    .sgpr_count:     4
    .sgpr_spill_count: 0
    .symbol:         _ZN7rocprim17ROCPRIM_400000_NS6detail17trampoline_kernelINS0_14default_configENS1_25partition_config_selectorILNS1_17partition_subalgoE1EiNS0_10empty_typeEbEEZZNS1_14partition_implILS5_1ELb0ES3_jN6thrust23THRUST_200600_302600_NS6detail15normal_iteratorINSA_10device_ptrIiEEEEPS6_NSA_18transform_iteratorI7is_evenIiESF_NSA_11use_defaultESK_EENS0_5tupleIJNSA_16discard_iteratorISK_EESO_EEENSM_IJSG_SG_EEES6_PlJS6_EEE10hipError_tPvRmT3_T4_T5_T6_T7_T9_mT8_P12ihipStream_tbDpT10_ENKUlT_T0_E_clISt17integral_constantIbLb1EES1B_EEDaS16_S17_EUlS16_E_NS1_11comp_targetILNS1_3genE10ELNS1_11target_archE1200ELNS1_3gpuE4ELNS1_3repE0EEENS1_30default_config_static_selectorELNS0_4arch9wavefront6targetE1EEEvT1_.kd
    .uniform_work_group_size: 1
    .uses_dynamic_stack: false
    .vgpr_count:     0
    .vgpr_spill_count: 0
    .wavefront_size: 64
  - .agpr_count:     0
    .args:
      - .offset:         0
        .size:           160
        .value_kind:     by_value
    .group_segment_fixed_size: 0
    .kernarg_segment_align: 8
    .kernarg_segment_size: 160
    .language:       OpenCL C
    .language_version:
      - 2
      - 0
    .max_flat_workgroup_size: 128
    .name:           _ZN7rocprim17ROCPRIM_400000_NS6detail17trampoline_kernelINS0_14default_configENS1_25partition_config_selectorILNS1_17partition_subalgoE1EiNS0_10empty_typeEbEEZZNS1_14partition_implILS5_1ELb0ES3_jN6thrust23THRUST_200600_302600_NS6detail15normal_iteratorINSA_10device_ptrIiEEEEPS6_NSA_18transform_iteratorI7is_evenIiESF_NSA_11use_defaultESK_EENS0_5tupleIJNSA_16discard_iteratorISK_EESO_EEENSM_IJSG_SG_EEES6_PlJS6_EEE10hipError_tPvRmT3_T4_T5_T6_T7_T9_mT8_P12ihipStream_tbDpT10_ENKUlT_T0_E_clISt17integral_constantIbLb1EES1B_EEDaS16_S17_EUlS16_E_NS1_11comp_targetILNS1_3genE9ELNS1_11target_archE1100ELNS1_3gpuE3ELNS1_3repE0EEENS1_30default_config_static_selectorELNS0_4arch9wavefront6targetE1EEEvT1_
    .private_segment_fixed_size: 0
    .sgpr_count:     4
    .sgpr_spill_count: 0
    .symbol:         _ZN7rocprim17ROCPRIM_400000_NS6detail17trampoline_kernelINS0_14default_configENS1_25partition_config_selectorILNS1_17partition_subalgoE1EiNS0_10empty_typeEbEEZZNS1_14partition_implILS5_1ELb0ES3_jN6thrust23THRUST_200600_302600_NS6detail15normal_iteratorINSA_10device_ptrIiEEEEPS6_NSA_18transform_iteratorI7is_evenIiESF_NSA_11use_defaultESK_EENS0_5tupleIJNSA_16discard_iteratorISK_EESO_EEENSM_IJSG_SG_EEES6_PlJS6_EEE10hipError_tPvRmT3_T4_T5_T6_T7_T9_mT8_P12ihipStream_tbDpT10_ENKUlT_T0_E_clISt17integral_constantIbLb1EES1B_EEDaS16_S17_EUlS16_E_NS1_11comp_targetILNS1_3genE9ELNS1_11target_archE1100ELNS1_3gpuE3ELNS1_3repE0EEENS1_30default_config_static_selectorELNS0_4arch9wavefront6targetE1EEEvT1_.kd
    .uniform_work_group_size: 1
    .uses_dynamic_stack: false
    .vgpr_count:     0
    .vgpr_spill_count: 0
    .wavefront_size: 64
  - .agpr_count:     0
    .args:
      - .offset:         0
        .size:           160
        .value_kind:     by_value
    .group_segment_fixed_size: 0
    .kernarg_segment_align: 8
    .kernarg_segment_size: 160
    .language:       OpenCL C
    .language_version:
      - 2
      - 0
    .max_flat_workgroup_size: 512
    .name:           _ZN7rocprim17ROCPRIM_400000_NS6detail17trampoline_kernelINS0_14default_configENS1_25partition_config_selectorILNS1_17partition_subalgoE1EiNS0_10empty_typeEbEEZZNS1_14partition_implILS5_1ELb0ES3_jN6thrust23THRUST_200600_302600_NS6detail15normal_iteratorINSA_10device_ptrIiEEEEPS6_NSA_18transform_iteratorI7is_evenIiESF_NSA_11use_defaultESK_EENS0_5tupleIJNSA_16discard_iteratorISK_EESO_EEENSM_IJSG_SG_EEES6_PlJS6_EEE10hipError_tPvRmT3_T4_T5_T6_T7_T9_mT8_P12ihipStream_tbDpT10_ENKUlT_T0_E_clISt17integral_constantIbLb1EES1B_EEDaS16_S17_EUlS16_E_NS1_11comp_targetILNS1_3genE8ELNS1_11target_archE1030ELNS1_3gpuE2ELNS1_3repE0EEENS1_30default_config_static_selectorELNS0_4arch9wavefront6targetE1EEEvT1_
    .private_segment_fixed_size: 0
    .sgpr_count:     4
    .sgpr_spill_count: 0
    .symbol:         _ZN7rocprim17ROCPRIM_400000_NS6detail17trampoline_kernelINS0_14default_configENS1_25partition_config_selectorILNS1_17partition_subalgoE1EiNS0_10empty_typeEbEEZZNS1_14partition_implILS5_1ELb0ES3_jN6thrust23THRUST_200600_302600_NS6detail15normal_iteratorINSA_10device_ptrIiEEEEPS6_NSA_18transform_iteratorI7is_evenIiESF_NSA_11use_defaultESK_EENS0_5tupleIJNSA_16discard_iteratorISK_EESO_EEENSM_IJSG_SG_EEES6_PlJS6_EEE10hipError_tPvRmT3_T4_T5_T6_T7_T9_mT8_P12ihipStream_tbDpT10_ENKUlT_T0_E_clISt17integral_constantIbLb1EES1B_EEDaS16_S17_EUlS16_E_NS1_11comp_targetILNS1_3genE8ELNS1_11target_archE1030ELNS1_3gpuE2ELNS1_3repE0EEENS1_30default_config_static_selectorELNS0_4arch9wavefront6targetE1EEEvT1_.kd
    .uniform_work_group_size: 1
    .uses_dynamic_stack: false
    .vgpr_count:     0
    .vgpr_spill_count: 0
    .wavefront_size: 64
  - .agpr_count:     0
    .args:
      - .offset:         0
        .size:           144
        .value_kind:     by_value
    .group_segment_fixed_size: 0
    .kernarg_segment_align: 8
    .kernarg_segment_size: 144
    .language:       OpenCL C
    .language_version:
      - 2
      - 0
    .max_flat_workgroup_size: 256
    .name:           _ZN7rocprim17ROCPRIM_400000_NS6detail17trampoline_kernelINS0_14default_configENS1_25partition_config_selectorILNS1_17partition_subalgoE1EiNS0_10empty_typeEbEEZZNS1_14partition_implILS5_1ELb0ES3_jN6thrust23THRUST_200600_302600_NS6detail15normal_iteratorINSA_10device_ptrIiEEEEPS6_NSA_18transform_iteratorI7is_evenIiESF_NSA_11use_defaultESK_EENS0_5tupleIJNSA_16discard_iteratorISK_EESO_EEENSM_IJSG_SG_EEES6_PlJS6_EEE10hipError_tPvRmT3_T4_T5_T6_T7_T9_mT8_P12ihipStream_tbDpT10_ENKUlT_T0_E_clISt17integral_constantIbLb1EES1A_IbLb0EEEEDaS16_S17_EUlS16_E_NS1_11comp_targetILNS1_3genE0ELNS1_11target_archE4294967295ELNS1_3gpuE0ELNS1_3repE0EEENS1_30default_config_static_selectorELNS0_4arch9wavefront6targetE1EEEvT1_
    .private_segment_fixed_size: 0
    .sgpr_count:     4
    .sgpr_spill_count: 0
    .symbol:         _ZN7rocprim17ROCPRIM_400000_NS6detail17trampoline_kernelINS0_14default_configENS1_25partition_config_selectorILNS1_17partition_subalgoE1EiNS0_10empty_typeEbEEZZNS1_14partition_implILS5_1ELb0ES3_jN6thrust23THRUST_200600_302600_NS6detail15normal_iteratorINSA_10device_ptrIiEEEEPS6_NSA_18transform_iteratorI7is_evenIiESF_NSA_11use_defaultESK_EENS0_5tupleIJNSA_16discard_iteratorISK_EESO_EEENSM_IJSG_SG_EEES6_PlJS6_EEE10hipError_tPvRmT3_T4_T5_T6_T7_T9_mT8_P12ihipStream_tbDpT10_ENKUlT_T0_E_clISt17integral_constantIbLb1EES1A_IbLb0EEEEDaS16_S17_EUlS16_E_NS1_11comp_targetILNS1_3genE0ELNS1_11target_archE4294967295ELNS1_3gpuE0ELNS1_3repE0EEENS1_30default_config_static_selectorELNS0_4arch9wavefront6targetE1EEEvT1_.kd
    .uniform_work_group_size: 1
    .uses_dynamic_stack: false
    .vgpr_count:     0
    .vgpr_spill_count: 0
    .wavefront_size: 64
  - .agpr_count:     0
    .args:
      - .offset:         0
        .size:           144
        .value_kind:     by_value
    .group_segment_fixed_size: 0
    .kernarg_segment_align: 8
    .kernarg_segment_size: 144
    .language:       OpenCL C
    .language_version:
      - 2
      - 0
    .max_flat_workgroup_size: 512
    .name:           _ZN7rocprim17ROCPRIM_400000_NS6detail17trampoline_kernelINS0_14default_configENS1_25partition_config_selectorILNS1_17partition_subalgoE1EiNS0_10empty_typeEbEEZZNS1_14partition_implILS5_1ELb0ES3_jN6thrust23THRUST_200600_302600_NS6detail15normal_iteratorINSA_10device_ptrIiEEEEPS6_NSA_18transform_iteratorI7is_evenIiESF_NSA_11use_defaultESK_EENS0_5tupleIJNSA_16discard_iteratorISK_EESO_EEENSM_IJSG_SG_EEES6_PlJS6_EEE10hipError_tPvRmT3_T4_T5_T6_T7_T9_mT8_P12ihipStream_tbDpT10_ENKUlT_T0_E_clISt17integral_constantIbLb1EES1A_IbLb0EEEEDaS16_S17_EUlS16_E_NS1_11comp_targetILNS1_3genE5ELNS1_11target_archE942ELNS1_3gpuE9ELNS1_3repE0EEENS1_30default_config_static_selectorELNS0_4arch9wavefront6targetE1EEEvT1_
    .private_segment_fixed_size: 0
    .sgpr_count:     4
    .sgpr_spill_count: 0
    .symbol:         _ZN7rocprim17ROCPRIM_400000_NS6detail17trampoline_kernelINS0_14default_configENS1_25partition_config_selectorILNS1_17partition_subalgoE1EiNS0_10empty_typeEbEEZZNS1_14partition_implILS5_1ELb0ES3_jN6thrust23THRUST_200600_302600_NS6detail15normal_iteratorINSA_10device_ptrIiEEEEPS6_NSA_18transform_iteratorI7is_evenIiESF_NSA_11use_defaultESK_EENS0_5tupleIJNSA_16discard_iteratorISK_EESO_EEENSM_IJSG_SG_EEES6_PlJS6_EEE10hipError_tPvRmT3_T4_T5_T6_T7_T9_mT8_P12ihipStream_tbDpT10_ENKUlT_T0_E_clISt17integral_constantIbLb1EES1A_IbLb0EEEEDaS16_S17_EUlS16_E_NS1_11comp_targetILNS1_3genE5ELNS1_11target_archE942ELNS1_3gpuE9ELNS1_3repE0EEENS1_30default_config_static_selectorELNS0_4arch9wavefront6targetE1EEEvT1_.kd
    .uniform_work_group_size: 1
    .uses_dynamic_stack: false
    .vgpr_count:     0
    .vgpr_spill_count: 0
    .wavefront_size: 64
  - .agpr_count:     0
    .args:
      - .offset:         0
        .size:           144
        .value_kind:     by_value
    .group_segment_fixed_size: 7176
    .kernarg_segment_align: 8
    .kernarg_segment_size: 144
    .language:       OpenCL C
    .language_version:
      - 2
      - 0
    .max_flat_workgroup_size: 256
    .name:           _ZN7rocprim17ROCPRIM_400000_NS6detail17trampoline_kernelINS0_14default_configENS1_25partition_config_selectorILNS1_17partition_subalgoE1EiNS0_10empty_typeEbEEZZNS1_14partition_implILS5_1ELb0ES3_jN6thrust23THRUST_200600_302600_NS6detail15normal_iteratorINSA_10device_ptrIiEEEEPS6_NSA_18transform_iteratorI7is_evenIiESF_NSA_11use_defaultESK_EENS0_5tupleIJNSA_16discard_iteratorISK_EESO_EEENSM_IJSG_SG_EEES6_PlJS6_EEE10hipError_tPvRmT3_T4_T5_T6_T7_T9_mT8_P12ihipStream_tbDpT10_ENKUlT_T0_E_clISt17integral_constantIbLb1EES1A_IbLb0EEEEDaS16_S17_EUlS16_E_NS1_11comp_targetILNS1_3genE4ELNS1_11target_archE910ELNS1_3gpuE8ELNS1_3repE0EEENS1_30default_config_static_selectorELNS0_4arch9wavefront6targetE1EEEvT1_
    .private_segment_fixed_size: 0
    .sgpr_count:     40
    .sgpr_spill_count: 0
    .symbol:         _ZN7rocprim17ROCPRIM_400000_NS6detail17trampoline_kernelINS0_14default_configENS1_25partition_config_selectorILNS1_17partition_subalgoE1EiNS0_10empty_typeEbEEZZNS1_14partition_implILS5_1ELb0ES3_jN6thrust23THRUST_200600_302600_NS6detail15normal_iteratorINSA_10device_ptrIiEEEEPS6_NSA_18transform_iteratorI7is_evenIiESF_NSA_11use_defaultESK_EENS0_5tupleIJNSA_16discard_iteratorISK_EESO_EEENSM_IJSG_SG_EEES6_PlJS6_EEE10hipError_tPvRmT3_T4_T5_T6_T7_T9_mT8_P12ihipStream_tbDpT10_ENKUlT_T0_E_clISt17integral_constantIbLb1EES1A_IbLb0EEEEDaS16_S17_EUlS16_E_NS1_11comp_targetILNS1_3genE4ELNS1_11target_archE910ELNS1_3gpuE8ELNS1_3repE0EEENS1_30default_config_static_selectorELNS0_4arch9wavefront6targetE1EEEvT1_.kd
    .uniform_work_group_size: 1
    .uses_dynamic_stack: false
    .vgpr_count:     46
    .vgpr_spill_count: 0
    .wavefront_size: 64
  - .agpr_count:     0
    .args:
      - .offset:         0
        .size:           144
        .value_kind:     by_value
    .group_segment_fixed_size: 0
    .kernarg_segment_align: 8
    .kernarg_segment_size: 144
    .language:       OpenCL C
    .language_version:
      - 2
      - 0
    .max_flat_workgroup_size: 256
    .name:           _ZN7rocprim17ROCPRIM_400000_NS6detail17trampoline_kernelINS0_14default_configENS1_25partition_config_selectorILNS1_17partition_subalgoE1EiNS0_10empty_typeEbEEZZNS1_14partition_implILS5_1ELb0ES3_jN6thrust23THRUST_200600_302600_NS6detail15normal_iteratorINSA_10device_ptrIiEEEEPS6_NSA_18transform_iteratorI7is_evenIiESF_NSA_11use_defaultESK_EENS0_5tupleIJNSA_16discard_iteratorISK_EESO_EEENSM_IJSG_SG_EEES6_PlJS6_EEE10hipError_tPvRmT3_T4_T5_T6_T7_T9_mT8_P12ihipStream_tbDpT10_ENKUlT_T0_E_clISt17integral_constantIbLb1EES1A_IbLb0EEEEDaS16_S17_EUlS16_E_NS1_11comp_targetILNS1_3genE3ELNS1_11target_archE908ELNS1_3gpuE7ELNS1_3repE0EEENS1_30default_config_static_selectorELNS0_4arch9wavefront6targetE1EEEvT1_
    .private_segment_fixed_size: 0
    .sgpr_count:     4
    .sgpr_spill_count: 0
    .symbol:         _ZN7rocprim17ROCPRIM_400000_NS6detail17trampoline_kernelINS0_14default_configENS1_25partition_config_selectorILNS1_17partition_subalgoE1EiNS0_10empty_typeEbEEZZNS1_14partition_implILS5_1ELb0ES3_jN6thrust23THRUST_200600_302600_NS6detail15normal_iteratorINSA_10device_ptrIiEEEEPS6_NSA_18transform_iteratorI7is_evenIiESF_NSA_11use_defaultESK_EENS0_5tupleIJNSA_16discard_iteratorISK_EESO_EEENSM_IJSG_SG_EEES6_PlJS6_EEE10hipError_tPvRmT3_T4_T5_T6_T7_T9_mT8_P12ihipStream_tbDpT10_ENKUlT_T0_E_clISt17integral_constantIbLb1EES1A_IbLb0EEEEDaS16_S17_EUlS16_E_NS1_11comp_targetILNS1_3genE3ELNS1_11target_archE908ELNS1_3gpuE7ELNS1_3repE0EEENS1_30default_config_static_selectorELNS0_4arch9wavefront6targetE1EEEvT1_.kd
    .uniform_work_group_size: 1
    .uses_dynamic_stack: false
    .vgpr_count:     0
    .vgpr_spill_count: 0
    .wavefront_size: 64
  - .agpr_count:     0
    .args:
      - .offset:         0
        .size:           144
        .value_kind:     by_value
    .group_segment_fixed_size: 0
    .kernarg_segment_align: 8
    .kernarg_segment_size: 144
    .language:       OpenCL C
    .language_version:
      - 2
      - 0
    .max_flat_workgroup_size: 256
    .name:           _ZN7rocprim17ROCPRIM_400000_NS6detail17trampoline_kernelINS0_14default_configENS1_25partition_config_selectorILNS1_17partition_subalgoE1EiNS0_10empty_typeEbEEZZNS1_14partition_implILS5_1ELb0ES3_jN6thrust23THRUST_200600_302600_NS6detail15normal_iteratorINSA_10device_ptrIiEEEEPS6_NSA_18transform_iteratorI7is_evenIiESF_NSA_11use_defaultESK_EENS0_5tupleIJNSA_16discard_iteratorISK_EESO_EEENSM_IJSG_SG_EEES6_PlJS6_EEE10hipError_tPvRmT3_T4_T5_T6_T7_T9_mT8_P12ihipStream_tbDpT10_ENKUlT_T0_E_clISt17integral_constantIbLb1EES1A_IbLb0EEEEDaS16_S17_EUlS16_E_NS1_11comp_targetILNS1_3genE2ELNS1_11target_archE906ELNS1_3gpuE6ELNS1_3repE0EEENS1_30default_config_static_selectorELNS0_4arch9wavefront6targetE1EEEvT1_
    .private_segment_fixed_size: 0
    .sgpr_count:     4
    .sgpr_spill_count: 0
    .symbol:         _ZN7rocprim17ROCPRIM_400000_NS6detail17trampoline_kernelINS0_14default_configENS1_25partition_config_selectorILNS1_17partition_subalgoE1EiNS0_10empty_typeEbEEZZNS1_14partition_implILS5_1ELb0ES3_jN6thrust23THRUST_200600_302600_NS6detail15normal_iteratorINSA_10device_ptrIiEEEEPS6_NSA_18transform_iteratorI7is_evenIiESF_NSA_11use_defaultESK_EENS0_5tupleIJNSA_16discard_iteratorISK_EESO_EEENSM_IJSG_SG_EEES6_PlJS6_EEE10hipError_tPvRmT3_T4_T5_T6_T7_T9_mT8_P12ihipStream_tbDpT10_ENKUlT_T0_E_clISt17integral_constantIbLb1EES1A_IbLb0EEEEDaS16_S17_EUlS16_E_NS1_11comp_targetILNS1_3genE2ELNS1_11target_archE906ELNS1_3gpuE6ELNS1_3repE0EEENS1_30default_config_static_selectorELNS0_4arch9wavefront6targetE1EEEvT1_.kd
    .uniform_work_group_size: 1
    .uses_dynamic_stack: false
    .vgpr_count:     0
    .vgpr_spill_count: 0
    .wavefront_size: 64
  - .agpr_count:     0
    .args:
      - .offset:         0
        .size:           144
        .value_kind:     by_value
    .group_segment_fixed_size: 0
    .kernarg_segment_align: 8
    .kernarg_segment_size: 144
    .language:       OpenCL C
    .language_version:
      - 2
      - 0
    .max_flat_workgroup_size: 256
    .name:           _ZN7rocprim17ROCPRIM_400000_NS6detail17trampoline_kernelINS0_14default_configENS1_25partition_config_selectorILNS1_17partition_subalgoE1EiNS0_10empty_typeEbEEZZNS1_14partition_implILS5_1ELb0ES3_jN6thrust23THRUST_200600_302600_NS6detail15normal_iteratorINSA_10device_ptrIiEEEEPS6_NSA_18transform_iteratorI7is_evenIiESF_NSA_11use_defaultESK_EENS0_5tupleIJNSA_16discard_iteratorISK_EESO_EEENSM_IJSG_SG_EEES6_PlJS6_EEE10hipError_tPvRmT3_T4_T5_T6_T7_T9_mT8_P12ihipStream_tbDpT10_ENKUlT_T0_E_clISt17integral_constantIbLb1EES1A_IbLb0EEEEDaS16_S17_EUlS16_E_NS1_11comp_targetILNS1_3genE10ELNS1_11target_archE1200ELNS1_3gpuE4ELNS1_3repE0EEENS1_30default_config_static_selectorELNS0_4arch9wavefront6targetE1EEEvT1_
    .private_segment_fixed_size: 0
    .sgpr_count:     4
    .sgpr_spill_count: 0
    .symbol:         _ZN7rocprim17ROCPRIM_400000_NS6detail17trampoline_kernelINS0_14default_configENS1_25partition_config_selectorILNS1_17partition_subalgoE1EiNS0_10empty_typeEbEEZZNS1_14partition_implILS5_1ELb0ES3_jN6thrust23THRUST_200600_302600_NS6detail15normal_iteratorINSA_10device_ptrIiEEEEPS6_NSA_18transform_iteratorI7is_evenIiESF_NSA_11use_defaultESK_EENS0_5tupleIJNSA_16discard_iteratorISK_EESO_EEENSM_IJSG_SG_EEES6_PlJS6_EEE10hipError_tPvRmT3_T4_T5_T6_T7_T9_mT8_P12ihipStream_tbDpT10_ENKUlT_T0_E_clISt17integral_constantIbLb1EES1A_IbLb0EEEEDaS16_S17_EUlS16_E_NS1_11comp_targetILNS1_3genE10ELNS1_11target_archE1200ELNS1_3gpuE4ELNS1_3repE0EEENS1_30default_config_static_selectorELNS0_4arch9wavefront6targetE1EEEvT1_.kd
    .uniform_work_group_size: 1
    .uses_dynamic_stack: false
    .vgpr_count:     0
    .vgpr_spill_count: 0
    .wavefront_size: 64
  - .agpr_count:     0
    .args:
      - .offset:         0
        .size:           144
        .value_kind:     by_value
    .group_segment_fixed_size: 0
    .kernarg_segment_align: 8
    .kernarg_segment_size: 144
    .language:       OpenCL C
    .language_version:
      - 2
      - 0
    .max_flat_workgroup_size: 128
    .name:           _ZN7rocprim17ROCPRIM_400000_NS6detail17trampoline_kernelINS0_14default_configENS1_25partition_config_selectorILNS1_17partition_subalgoE1EiNS0_10empty_typeEbEEZZNS1_14partition_implILS5_1ELb0ES3_jN6thrust23THRUST_200600_302600_NS6detail15normal_iteratorINSA_10device_ptrIiEEEEPS6_NSA_18transform_iteratorI7is_evenIiESF_NSA_11use_defaultESK_EENS0_5tupleIJNSA_16discard_iteratorISK_EESO_EEENSM_IJSG_SG_EEES6_PlJS6_EEE10hipError_tPvRmT3_T4_T5_T6_T7_T9_mT8_P12ihipStream_tbDpT10_ENKUlT_T0_E_clISt17integral_constantIbLb1EES1A_IbLb0EEEEDaS16_S17_EUlS16_E_NS1_11comp_targetILNS1_3genE9ELNS1_11target_archE1100ELNS1_3gpuE3ELNS1_3repE0EEENS1_30default_config_static_selectorELNS0_4arch9wavefront6targetE1EEEvT1_
    .private_segment_fixed_size: 0
    .sgpr_count:     4
    .sgpr_spill_count: 0
    .symbol:         _ZN7rocprim17ROCPRIM_400000_NS6detail17trampoline_kernelINS0_14default_configENS1_25partition_config_selectorILNS1_17partition_subalgoE1EiNS0_10empty_typeEbEEZZNS1_14partition_implILS5_1ELb0ES3_jN6thrust23THRUST_200600_302600_NS6detail15normal_iteratorINSA_10device_ptrIiEEEEPS6_NSA_18transform_iteratorI7is_evenIiESF_NSA_11use_defaultESK_EENS0_5tupleIJNSA_16discard_iteratorISK_EESO_EEENSM_IJSG_SG_EEES6_PlJS6_EEE10hipError_tPvRmT3_T4_T5_T6_T7_T9_mT8_P12ihipStream_tbDpT10_ENKUlT_T0_E_clISt17integral_constantIbLb1EES1A_IbLb0EEEEDaS16_S17_EUlS16_E_NS1_11comp_targetILNS1_3genE9ELNS1_11target_archE1100ELNS1_3gpuE3ELNS1_3repE0EEENS1_30default_config_static_selectorELNS0_4arch9wavefront6targetE1EEEvT1_.kd
    .uniform_work_group_size: 1
    .uses_dynamic_stack: false
    .vgpr_count:     0
    .vgpr_spill_count: 0
    .wavefront_size: 64
  - .agpr_count:     0
    .args:
      - .offset:         0
        .size:           144
        .value_kind:     by_value
    .group_segment_fixed_size: 0
    .kernarg_segment_align: 8
    .kernarg_segment_size: 144
    .language:       OpenCL C
    .language_version:
      - 2
      - 0
    .max_flat_workgroup_size: 512
    .name:           _ZN7rocprim17ROCPRIM_400000_NS6detail17trampoline_kernelINS0_14default_configENS1_25partition_config_selectorILNS1_17partition_subalgoE1EiNS0_10empty_typeEbEEZZNS1_14partition_implILS5_1ELb0ES3_jN6thrust23THRUST_200600_302600_NS6detail15normal_iteratorINSA_10device_ptrIiEEEEPS6_NSA_18transform_iteratorI7is_evenIiESF_NSA_11use_defaultESK_EENS0_5tupleIJNSA_16discard_iteratorISK_EESO_EEENSM_IJSG_SG_EEES6_PlJS6_EEE10hipError_tPvRmT3_T4_T5_T6_T7_T9_mT8_P12ihipStream_tbDpT10_ENKUlT_T0_E_clISt17integral_constantIbLb1EES1A_IbLb0EEEEDaS16_S17_EUlS16_E_NS1_11comp_targetILNS1_3genE8ELNS1_11target_archE1030ELNS1_3gpuE2ELNS1_3repE0EEENS1_30default_config_static_selectorELNS0_4arch9wavefront6targetE1EEEvT1_
    .private_segment_fixed_size: 0
    .sgpr_count:     4
    .sgpr_spill_count: 0
    .symbol:         _ZN7rocprim17ROCPRIM_400000_NS6detail17trampoline_kernelINS0_14default_configENS1_25partition_config_selectorILNS1_17partition_subalgoE1EiNS0_10empty_typeEbEEZZNS1_14partition_implILS5_1ELb0ES3_jN6thrust23THRUST_200600_302600_NS6detail15normal_iteratorINSA_10device_ptrIiEEEEPS6_NSA_18transform_iteratorI7is_evenIiESF_NSA_11use_defaultESK_EENS0_5tupleIJNSA_16discard_iteratorISK_EESO_EEENSM_IJSG_SG_EEES6_PlJS6_EEE10hipError_tPvRmT3_T4_T5_T6_T7_T9_mT8_P12ihipStream_tbDpT10_ENKUlT_T0_E_clISt17integral_constantIbLb1EES1A_IbLb0EEEEDaS16_S17_EUlS16_E_NS1_11comp_targetILNS1_3genE8ELNS1_11target_archE1030ELNS1_3gpuE2ELNS1_3repE0EEENS1_30default_config_static_selectorELNS0_4arch9wavefront6targetE1EEEvT1_.kd
    .uniform_work_group_size: 1
    .uses_dynamic_stack: false
    .vgpr_count:     0
    .vgpr_spill_count: 0
    .wavefront_size: 64
  - .agpr_count:     0
    .args:
      - .offset:         0
        .size:           160
        .value_kind:     by_value
    .group_segment_fixed_size: 0
    .kernarg_segment_align: 8
    .kernarg_segment_size: 160
    .language:       OpenCL C
    .language_version:
      - 2
      - 0
    .max_flat_workgroup_size: 256
    .name:           _ZN7rocprim17ROCPRIM_400000_NS6detail17trampoline_kernelINS0_14default_configENS1_25partition_config_selectorILNS1_17partition_subalgoE1EiNS0_10empty_typeEbEEZZNS1_14partition_implILS5_1ELb0ES3_jN6thrust23THRUST_200600_302600_NS6detail15normal_iteratorINSA_10device_ptrIiEEEEPS6_NSA_18transform_iteratorI7is_evenIiESF_NSA_11use_defaultESK_EENS0_5tupleIJNSA_16discard_iteratorISK_EESO_EEENSM_IJSG_SG_EEES6_PlJS6_EEE10hipError_tPvRmT3_T4_T5_T6_T7_T9_mT8_P12ihipStream_tbDpT10_ENKUlT_T0_E_clISt17integral_constantIbLb0EES1A_IbLb1EEEEDaS16_S17_EUlS16_E_NS1_11comp_targetILNS1_3genE0ELNS1_11target_archE4294967295ELNS1_3gpuE0ELNS1_3repE0EEENS1_30default_config_static_selectorELNS0_4arch9wavefront6targetE1EEEvT1_
    .private_segment_fixed_size: 0
    .sgpr_count:     4
    .sgpr_spill_count: 0
    .symbol:         _ZN7rocprim17ROCPRIM_400000_NS6detail17trampoline_kernelINS0_14default_configENS1_25partition_config_selectorILNS1_17partition_subalgoE1EiNS0_10empty_typeEbEEZZNS1_14partition_implILS5_1ELb0ES3_jN6thrust23THRUST_200600_302600_NS6detail15normal_iteratorINSA_10device_ptrIiEEEEPS6_NSA_18transform_iteratorI7is_evenIiESF_NSA_11use_defaultESK_EENS0_5tupleIJNSA_16discard_iteratorISK_EESO_EEENSM_IJSG_SG_EEES6_PlJS6_EEE10hipError_tPvRmT3_T4_T5_T6_T7_T9_mT8_P12ihipStream_tbDpT10_ENKUlT_T0_E_clISt17integral_constantIbLb0EES1A_IbLb1EEEEDaS16_S17_EUlS16_E_NS1_11comp_targetILNS1_3genE0ELNS1_11target_archE4294967295ELNS1_3gpuE0ELNS1_3repE0EEENS1_30default_config_static_selectorELNS0_4arch9wavefront6targetE1EEEvT1_.kd
    .uniform_work_group_size: 1
    .uses_dynamic_stack: false
    .vgpr_count:     0
    .vgpr_spill_count: 0
    .wavefront_size: 64
  - .agpr_count:     0
    .args:
      - .offset:         0
        .size:           160
        .value_kind:     by_value
    .group_segment_fixed_size: 0
    .kernarg_segment_align: 8
    .kernarg_segment_size: 160
    .language:       OpenCL C
    .language_version:
      - 2
      - 0
    .max_flat_workgroup_size: 512
    .name:           _ZN7rocprim17ROCPRIM_400000_NS6detail17trampoline_kernelINS0_14default_configENS1_25partition_config_selectorILNS1_17partition_subalgoE1EiNS0_10empty_typeEbEEZZNS1_14partition_implILS5_1ELb0ES3_jN6thrust23THRUST_200600_302600_NS6detail15normal_iteratorINSA_10device_ptrIiEEEEPS6_NSA_18transform_iteratorI7is_evenIiESF_NSA_11use_defaultESK_EENS0_5tupleIJNSA_16discard_iteratorISK_EESO_EEENSM_IJSG_SG_EEES6_PlJS6_EEE10hipError_tPvRmT3_T4_T5_T6_T7_T9_mT8_P12ihipStream_tbDpT10_ENKUlT_T0_E_clISt17integral_constantIbLb0EES1A_IbLb1EEEEDaS16_S17_EUlS16_E_NS1_11comp_targetILNS1_3genE5ELNS1_11target_archE942ELNS1_3gpuE9ELNS1_3repE0EEENS1_30default_config_static_selectorELNS0_4arch9wavefront6targetE1EEEvT1_
    .private_segment_fixed_size: 0
    .sgpr_count:     4
    .sgpr_spill_count: 0
    .symbol:         _ZN7rocprim17ROCPRIM_400000_NS6detail17trampoline_kernelINS0_14default_configENS1_25partition_config_selectorILNS1_17partition_subalgoE1EiNS0_10empty_typeEbEEZZNS1_14partition_implILS5_1ELb0ES3_jN6thrust23THRUST_200600_302600_NS6detail15normal_iteratorINSA_10device_ptrIiEEEEPS6_NSA_18transform_iteratorI7is_evenIiESF_NSA_11use_defaultESK_EENS0_5tupleIJNSA_16discard_iteratorISK_EESO_EEENSM_IJSG_SG_EEES6_PlJS6_EEE10hipError_tPvRmT3_T4_T5_T6_T7_T9_mT8_P12ihipStream_tbDpT10_ENKUlT_T0_E_clISt17integral_constantIbLb0EES1A_IbLb1EEEEDaS16_S17_EUlS16_E_NS1_11comp_targetILNS1_3genE5ELNS1_11target_archE942ELNS1_3gpuE9ELNS1_3repE0EEENS1_30default_config_static_selectorELNS0_4arch9wavefront6targetE1EEEvT1_.kd
    .uniform_work_group_size: 1
    .uses_dynamic_stack: false
    .vgpr_count:     0
    .vgpr_spill_count: 0
    .wavefront_size: 64
  - .agpr_count:     0
    .args:
      - .offset:         0
        .size:           160
        .value_kind:     by_value
    .group_segment_fixed_size: 7176
    .kernarg_segment_align: 8
    .kernarg_segment_size: 160
    .language:       OpenCL C
    .language_version:
      - 2
      - 0
    .max_flat_workgroup_size: 256
    .name:           _ZN7rocprim17ROCPRIM_400000_NS6detail17trampoline_kernelINS0_14default_configENS1_25partition_config_selectorILNS1_17partition_subalgoE1EiNS0_10empty_typeEbEEZZNS1_14partition_implILS5_1ELb0ES3_jN6thrust23THRUST_200600_302600_NS6detail15normal_iteratorINSA_10device_ptrIiEEEEPS6_NSA_18transform_iteratorI7is_evenIiESF_NSA_11use_defaultESK_EENS0_5tupleIJNSA_16discard_iteratorISK_EESO_EEENSM_IJSG_SG_EEES6_PlJS6_EEE10hipError_tPvRmT3_T4_T5_T6_T7_T9_mT8_P12ihipStream_tbDpT10_ENKUlT_T0_E_clISt17integral_constantIbLb0EES1A_IbLb1EEEEDaS16_S17_EUlS16_E_NS1_11comp_targetILNS1_3genE4ELNS1_11target_archE910ELNS1_3gpuE8ELNS1_3repE0EEENS1_30default_config_static_selectorELNS0_4arch9wavefront6targetE1EEEvT1_
    .private_segment_fixed_size: 0
    .sgpr_count:     40
    .sgpr_spill_count: 0
    .symbol:         _ZN7rocprim17ROCPRIM_400000_NS6detail17trampoline_kernelINS0_14default_configENS1_25partition_config_selectorILNS1_17partition_subalgoE1EiNS0_10empty_typeEbEEZZNS1_14partition_implILS5_1ELb0ES3_jN6thrust23THRUST_200600_302600_NS6detail15normal_iteratorINSA_10device_ptrIiEEEEPS6_NSA_18transform_iteratorI7is_evenIiESF_NSA_11use_defaultESK_EENS0_5tupleIJNSA_16discard_iteratorISK_EESO_EEENSM_IJSG_SG_EEES6_PlJS6_EEE10hipError_tPvRmT3_T4_T5_T6_T7_T9_mT8_P12ihipStream_tbDpT10_ENKUlT_T0_E_clISt17integral_constantIbLb0EES1A_IbLb1EEEEDaS16_S17_EUlS16_E_NS1_11comp_targetILNS1_3genE4ELNS1_11target_archE910ELNS1_3gpuE8ELNS1_3repE0EEENS1_30default_config_static_selectorELNS0_4arch9wavefront6targetE1EEEvT1_.kd
    .uniform_work_group_size: 1
    .uses_dynamic_stack: false
    .vgpr_count:     48
    .vgpr_spill_count: 0
    .wavefront_size: 64
  - .agpr_count:     0
    .args:
      - .offset:         0
        .size:           160
        .value_kind:     by_value
    .group_segment_fixed_size: 0
    .kernarg_segment_align: 8
    .kernarg_segment_size: 160
    .language:       OpenCL C
    .language_version:
      - 2
      - 0
    .max_flat_workgroup_size: 256
    .name:           _ZN7rocprim17ROCPRIM_400000_NS6detail17trampoline_kernelINS0_14default_configENS1_25partition_config_selectorILNS1_17partition_subalgoE1EiNS0_10empty_typeEbEEZZNS1_14partition_implILS5_1ELb0ES3_jN6thrust23THRUST_200600_302600_NS6detail15normal_iteratorINSA_10device_ptrIiEEEEPS6_NSA_18transform_iteratorI7is_evenIiESF_NSA_11use_defaultESK_EENS0_5tupleIJNSA_16discard_iteratorISK_EESO_EEENSM_IJSG_SG_EEES6_PlJS6_EEE10hipError_tPvRmT3_T4_T5_T6_T7_T9_mT8_P12ihipStream_tbDpT10_ENKUlT_T0_E_clISt17integral_constantIbLb0EES1A_IbLb1EEEEDaS16_S17_EUlS16_E_NS1_11comp_targetILNS1_3genE3ELNS1_11target_archE908ELNS1_3gpuE7ELNS1_3repE0EEENS1_30default_config_static_selectorELNS0_4arch9wavefront6targetE1EEEvT1_
    .private_segment_fixed_size: 0
    .sgpr_count:     4
    .sgpr_spill_count: 0
    .symbol:         _ZN7rocprim17ROCPRIM_400000_NS6detail17trampoline_kernelINS0_14default_configENS1_25partition_config_selectorILNS1_17partition_subalgoE1EiNS0_10empty_typeEbEEZZNS1_14partition_implILS5_1ELb0ES3_jN6thrust23THRUST_200600_302600_NS6detail15normal_iteratorINSA_10device_ptrIiEEEEPS6_NSA_18transform_iteratorI7is_evenIiESF_NSA_11use_defaultESK_EENS0_5tupleIJNSA_16discard_iteratorISK_EESO_EEENSM_IJSG_SG_EEES6_PlJS6_EEE10hipError_tPvRmT3_T4_T5_T6_T7_T9_mT8_P12ihipStream_tbDpT10_ENKUlT_T0_E_clISt17integral_constantIbLb0EES1A_IbLb1EEEEDaS16_S17_EUlS16_E_NS1_11comp_targetILNS1_3genE3ELNS1_11target_archE908ELNS1_3gpuE7ELNS1_3repE0EEENS1_30default_config_static_selectorELNS0_4arch9wavefront6targetE1EEEvT1_.kd
    .uniform_work_group_size: 1
    .uses_dynamic_stack: false
    .vgpr_count:     0
    .vgpr_spill_count: 0
    .wavefront_size: 64
  - .agpr_count:     0
    .args:
      - .offset:         0
        .size:           160
        .value_kind:     by_value
    .group_segment_fixed_size: 0
    .kernarg_segment_align: 8
    .kernarg_segment_size: 160
    .language:       OpenCL C
    .language_version:
      - 2
      - 0
    .max_flat_workgroup_size: 256
    .name:           _ZN7rocprim17ROCPRIM_400000_NS6detail17trampoline_kernelINS0_14default_configENS1_25partition_config_selectorILNS1_17partition_subalgoE1EiNS0_10empty_typeEbEEZZNS1_14partition_implILS5_1ELb0ES3_jN6thrust23THRUST_200600_302600_NS6detail15normal_iteratorINSA_10device_ptrIiEEEEPS6_NSA_18transform_iteratorI7is_evenIiESF_NSA_11use_defaultESK_EENS0_5tupleIJNSA_16discard_iteratorISK_EESO_EEENSM_IJSG_SG_EEES6_PlJS6_EEE10hipError_tPvRmT3_T4_T5_T6_T7_T9_mT8_P12ihipStream_tbDpT10_ENKUlT_T0_E_clISt17integral_constantIbLb0EES1A_IbLb1EEEEDaS16_S17_EUlS16_E_NS1_11comp_targetILNS1_3genE2ELNS1_11target_archE906ELNS1_3gpuE6ELNS1_3repE0EEENS1_30default_config_static_selectorELNS0_4arch9wavefront6targetE1EEEvT1_
    .private_segment_fixed_size: 0
    .sgpr_count:     4
    .sgpr_spill_count: 0
    .symbol:         _ZN7rocprim17ROCPRIM_400000_NS6detail17trampoline_kernelINS0_14default_configENS1_25partition_config_selectorILNS1_17partition_subalgoE1EiNS0_10empty_typeEbEEZZNS1_14partition_implILS5_1ELb0ES3_jN6thrust23THRUST_200600_302600_NS6detail15normal_iteratorINSA_10device_ptrIiEEEEPS6_NSA_18transform_iteratorI7is_evenIiESF_NSA_11use_defaultESK_EENS0_5tupleIJNSA_16discard_iteratorISK_EESO_EEENSM_IJSG_SG_EEES6_PlJS6_EEE10hipError_tPvRmT3_T4_T5_T6_T7_T9_mT8_P12ihipStream_tbDpT10_ENKUlT_T0_E_clISt17integral_constantIbLb0EES1A_IbLb1EEEEDaS16_S17_EUlS16_E_NS1_11comp_targetILNS1_3genE2ELNS1_11target_archE906ELNS1_3gpuE6ELNS1_3repE0EEENS1_30default_config_static_selectorELNS0_4arch9wavefront6targetE1EEEvT1_.kd
    .uniform_work_group_size: 1
    .uses_dynamic_stack: false
    .vgpr_count:     0
    .vgpr_spill_count: 0
    .wavefront_size: 64
  - .agpr_count:     0
    .args:
      - .offset:         0
        .size:           160
        .value_kind:     by_value
    .group_segment_fixed_size: 0
    .kernarg_segment_align: 8
    .kernarg_segment_size: 160
    .language:       OpenCL C
    .language_version:
      - 2
      - 0
    .max_flat_workgroup_size: 256
    .name:           _ZN7rocprim17ROCPRIM_400000_NS6detail17trampoline_kernelINS0_14default_configENS1_25partition_config_selectorILNS1_17partition_subalgoE1EiNS0_10empty_typeEbEEZZNS1_14partition_implILS5_1ELb0ES3_jN6thrust23THRUST_200600_302600_NS6detail15normal_iteratorINSA_10device_ptrIiEEEEPS6_NSA_18transform_iteratorI7is_evenIiESF_NSA_11use_defaultESK_EENS0_5tupleIJNSA_16discard_iteratorISK_EESO_EEENSM_IJSG_SG_EEES6_PlJS6_EEE10hipError_tPvRmT3_T4_T5_T6_T7_T9_mT8_P12ihipStream_tbDpT10_ENKUlT_T0_E_clISt17integral_constantIbLb0EES1A_IbLb1EEEEDaS16_S17_EUlS16_E_NS1_11comp_targetILNS1_3genE10ELNS1_11target_archE1200ELNS1_3gpuE4ELNS1_3repE0EEENS1_30default_config_static_selectorELNS0_4arch9wavefront6targetE1EEEvT1_
    .private_segment_fixed_size: 0
    .sgpr_count:     4
    .sgpr_spill_count: 0
    .symbol:         _ZN7rocprim17ROCPRIM_400000_NS6detail17trampoline_kernelINS0_14default_configENS1_25partition_config_selectorILNS1_17partition_subalgoE1EiNS0_10empty_typeEbEEZZNS1_14partition_implILS5_1ELb0ES3_jN6thrust23THRUST_200600_302600_NS6detail15normal_iteratorINSA_10device_ptrIiEEEEPS6_NSA_18transform_iteratorI7is_evenIiESF_NSA_11use_defaultESK_EENS0_5tupleIJNSA_16discard_iteratorISK_EESO_EEENSM_IJSG_SG_EEES6_PlJS6_EEE10hipError_tPvRmT3_T4_T5_T6_T7_T9_mT8_P12ihipStream_tbDpT10_ENKUlT_T0_E_clISt17integral_constantIbLb0EES1A_IbLb1EEEEDaS16_S17_EUlS16_E_NS1_11comp_targetILNS1_3genE10ELNS1_11target_archE1200ELNS1_3gpuE4ELNS1_3repE0EEENS1_30default_config_static_selectorELNS0_4arch9wavefront6targetE1EEEvT1_.kd
    .uniform_work_group_size: 1
    .uses_dynamic_stack: false
    .vgpr_count:     0
    .vgpr_spill_count: 0
    .wavefront_size: 64
  - .agpr_count:     0
    .args:
      - .offset:         0
        .size:           160
        .value_kind:     by_value
    .group_segment_fixed_size: 0
    .kernarg_segment_align: 8
    .kernarg_segment_size: 160
    .language:       OpenCL C
    .language_version:
      - 2
      - 0
    .max_flat_workgroup_size: 128
    .name:           _ZN7rocprim17ROCPRIM_400000_NS6detail17trampoline_kernelINS0_14default_configENS1_25partition_config_selectorILNS1_17partition_subalgoE1EiNS0_10empty_typeEbEEZZNS1_14partition_implILS5_1ELb0ES3_jN6thrust23THRUST_200600_302600_NS6detail15normal_iteratorINSA_10device_ptrIiEEEEPS6_NSA_18transform_iteratorI7is_evenIiESF_NSA_11use_defaultESK_EENS0_5tupleIJNSA_16discard_iteratorISK_EESO_EEENSM_IJSG_SG_EEES6_PlJS6_EEE10hipError_tPvRmT3_T4_T5_T6_T7_T9_mT8_P12ihipStream_tbDpT10_ENKUlT_T0_E_clISt17integral_constantIbLb0EES1A_IbLb1EEEEDaS16_S17_EUlS16_E_NS1_11comp_targetILNS1_3genE9ELNS1_11target_archE1100ELNS1_3gpuE3ELNS1_3repE0EEENS1_30default_config_static_selectorELNS0_4arch9wavefront6targetE1EEEvT1_
    .private_segment_fixed_size: 0
    .sgpr_count:     4
    .sgpr_spill_count: 0
    .symbol:         _ZN7rocprim17ROCPRIM_400000_NS6detail17trampoline_kernelINS0_14default_configENS1_25partition_config_selectorILNS1_17partition_subalgoE1EiNS0_10empty_typeEbEEZZNS1_14partition_implILS5_1ELb0ES3_jN6thrust23THRUST_200600_302600_NS6detail15normal_iteratorINSA_10device_ptrIiEEEEPS6_NSA_18transform_iteratorI7is_evenIiESF_NSA_11use_defaultESK_EENS0_5tupleIJNSA_16discard_iteratorISK_EESO_EEENSM_IJSG_SG_EEES6_PlJS6_EEE10hipError_tPvRmT3_T4_T5_T6_T7_T9_mT8_P12ihipStream_tbDpT10_ENKUlT_T0_E_clISt17integral_constantIbLb0EES1A_IbLb1EEEEDaS16_S17_EUlS16_E_NS1_11comp_targetILNS1_3genE9ELNS1_11target_archE1100ELNS1_3gpuE3ELNS1_3repE0EEENS1_30default_config_static_selectorELNS0_4arch9wavefront6targetE1EEEvT1_.kd
    .uniform_work_group_size: 1
    .uses_dynamic_stack: false
    .vgpr_count:     0
    .vgpr_spill_count: 0
    .wavefront_size: 64
  - .agpr_count:     0
    .args:
      - .offset:         0
        .size:           160
        .value_kind:     by_value
    .group_segment_fixed_size: 0
    .kernarg_segment_align: 8
    .kernarg_segment_size: 160
    .language:       OpenCL C
    .language_version:
      - 2
      - 0
    .max_flat_workgroup_size: 512
    .name:           _ZN7rocprim17ROCPRIM_400000_NS6detail17trampoline_kernelINS0_14default_configENS1_25partition_config_selectorILNS1_17partition_subalgoE1EiNS0_10empty_typeEbEEZZNS1_14partition_implILS5_1ELb0ES3_jN6thrust23THRUST_200600_302600_NS6detail15normal_iteratorINSA_10device_ptrIiEEEEPS6_NSA_18transform_iteratorI7is_evenIiESF_NSA_11use_defaultESK_EENS0_5tupleIJNSA_16discard_iteratorISK_EESO_EEENSM_IJSG_SG_EEES6_PlJS6_EEE10hipError_tPvRmT3_T4_T5_T6_T7_T9_mT8_P12ihipStream_tbDpT10_ENKUlT_T0_E_clISt17integral_constantIbLb0EES1A_IbLb1EEEEDaS16_S17_EUlS16_E_NS1_11comp_targetILNS1_3genE8ELNS1_11target_archE1030ELNS1_3gpuE2ELNS1_3repE0EEENS1_30default_config_static_selectorELNS0_4arch9wavefront6targetE1EEEvT1_
    .private_segment_fixed_size: 0
    .sgpr_count:     4
    .sgpr_spill_count: 0
    .symbol:         _ZN7rocprim17ROCPRIM_400000_NS6detail17trampoline_kernelINS0_14default_configENS1_25partition_config_selectorILNS1_17partition_subalgoE1EiNS0_10empty_typeEbEEZZNS1_14partition_implILS5_1ELb0ES3_jN6thrust23THRUST_200600_302600_NS6detail15normal_iteratorINSA_10device_ptrIiEEEEPS6_NSA_18transform_iteratorI7is_evenIiESF_NSA_11use_defaultESK_EENS0_5tupleIJNSA_16discard_iteratorISK_EESO_EEENSM_IJSG_SG_EEES6_PlJS6_EEE10hipError_tPvRmT3_T4_T5_T6_T7_T9_mT8_P12ihipStream_tbDpT10_ENKUlT_T0_E_clISt17integral_constantIbLb0EES1A_IbLb1EEEEDaS16_S17_EUlS16_E_NS1_11comp_targetILNS1_3genE8ELNS1_11target_archE1030ELNS1_3gpuE2ELNS1_3repE0EEENS1_30default_config_static_selectorELNS0_4arch9wavefront6targetE1EEEvT1_.kd
    .uniform_work_group_size: 1
    .uses_dynamic_stack: false
    .vgpr_count:     0
    .vgpr_spill_count: 0
    .wavefront_size: 64
  - .agpr_count:     0
    .args:
      - .offset:         0
        .size:           136
        .value_kind:     by_value
    .group_segment_fixed_size: 0
    .kernarg_segment_align: 8
    .kernarg_segment_size: 136
    .language:       OpenCL C
    .language_version:
      - 2
      - 0
    .max_flat_workgroup_size: 256
    .name:           _ZN7rocprim17ROCPRIM_400000_NS6detail17trampoline_kernelINS0_14default_configENS1_25partition_config_selectorILNS1_17partition_subalgoE1EiNS0_10empty_typeEbEEZZNS1_14partition_implILS5_1ELb0ES3_jN6thrust23THRUST_200600_302600_NS6detail15normal_iteratorINSA_10device_ptrIiEEEEPS6_NSA_18transform_iteratorI7is_evenIiESF_NSA_11use_defaultESK_EENS0_5tupleIJSF_NSA_16discard_iteratorISK_EEEEENSM_IJSG_SG_EEES6_PlJS6_EEE10hipError_tPvRmT3_T4_T5_T6_T7_T9_mT8_P12ihipStream_tbDpT10_ENKUlT_T0_E_clISt17integral_constantIbLb0EES1B_EEDaS16_S17_EUlS16_E_NS1_11comp_targetILNS1_3genE0ELNS1_11target_archE4294967295ELNS1_3gpuE0ELNS1_3repE0EEENS1_30default_config_static_selectorELNS0_4arch9wavefront6targetE1EEEvT1_
    .private_segment_fixed_size: 0
    .sgpr_count:     4
    .sgpr_spill_count: 0
    .symbol:         _ZN7rocprim17ROCPRIM_400000_NS6detail17trampoline_kernelINS0_14default_configENS1_25partition_config_selectorILNS1_17partition_subalgoE1EiNS0_10empty_typeEbEEZZNS1_14partition_implILS5_1ELb0ES3_jN6thrust23THRUST_200600_302600_NS6detail15normal_iteratorINSA_10device_ptrIiEEEEPS6_NSA_18transform_iteratorI7is_evenIiESF_NSA_11use_defaultESK_EENS0_5tupleIJSF_NSA_16discard_iteratorISK_EEEEENSM_IJSG_SG_EEES6_PlJS6_EEE10hipError_tPvRmT3_T4_T5_T6_T7_T9_mT8_P12ihipStream_tbDpT10_ENKUlT_T0_E_clISt17integral_constantIbLb0EES1B_EEDaS16_S17_EUlS16_E_NS1_11comp_targetILNS1_3genE0ELNS1_11target_archE4294967295ELNS1_3gpuE0ELNS1_3repE0EEENS1_30default_config_static_selectorELNS0_4arch9wavefront6targetE1EEEvT1_.kd
    .uniform_work_group_size: 1
    .uses_dynamic_stack: false
    .vgpr_count:     0
    .vgpr_spill_count: 0
    .wavefront_size: 64
  - .agpr_count:     0
    .args:
      - .offset:         0
        .size:           136
        .value_kind:     by_value
    .group_segment_fixed_size: 0
    .kernarg_segment_align: 8
    .kernarg_segment_size: 136
    .language:       OpenCL C
    .language_version:
      - 2
      - 0
    .max_flat_workgroup_size: 512
    .name:           _ZN7rocprim17ROCPRIM_400000_NS6detail17trampoline_kernelINS0_14default_configENS1_25partition_config_selectorILNS1_17partition_subalgoE1EiNS0_10empty_typeEbEEZZNS1_14partition_implILS5_1ELb0ES3_jN6thrust23THRUST_200600_302600_NS6detail15normal_iteratorINSA_10device_ptrIiEEEEPS6_NSA_18transform_iteratorI7is_evenIiESF_NSA_11use_defaultESK_EENS0_5tupleIJSF_NSA_16discard_iteratorISK_EEEEENSM_IJSG_SG_EEES6_PlJS6_EEE10hipError_tPvRmT3_T4_T5_T6_T7_T9_mT8_P12ihipStream_tbDpT10_ENKUlT_T0_E_clISt17integral_constantIbLb0EES1B_EEDaS16_S17_EUlS16_E_NS1_11comp_targetILNS1_3genE5ELNS1_11target_archE942ELNS1_3gpuE9ELNS1_3repE0EEENS1_30default_config_static_selectorELNS0_4arch9wavefront6targetE1EEEvT1_
    .private_segment_fixed_size: 0
    .sgpr_count:     4
    .sgpr_spill_count: 0
    .symbol:         _ZN7rocprim17ROCPRIM_400000_NS6detail17trampoline_kernelINS0_14default_configENS1_25partition_config_selectorILNS1_17partition_subalgoE1EiNS0_10empty_typeEbEEZZNS1_14partition_implILS5_1ELb0ES3_jN6thrust23THRUST_200600_302600_NS6detail15normal_iteratorINSA_10device_ptrIiEEEEPS6_NSA_18transform_iteratorI7is_evenIiESF_NSA_11use_defaultESK_EENS0_5tupleIJSF_NSA_16discard_iteratorISK_EEEEENSM_IJSG_SG_EEES6_PlJS6_EEE10hipError_tPvRmT3_T4_T5_T6_T7_T9_mT8_P12ihipStream_tbDpT10_ENKUlT_T0_E_clISt17integral_constantIbLb0EES1B_EEDaS16_S17_EUlS16_E_NS1_11comp_targetILNS1_3genE5ELNS1_11target_archE942ELNS1_3gpuE9ELNS1_3repE0EEENS1_30default_config_static_selectorELNS0_4arch9wavefront6targetE1EEEvT1_.kd
    .uniform_work_group_size: 1
    .uses_dynamic_stack: false
    .vgpr_count:     0
    .vgpr_spill_count: 0
    .wavefront_size: 64
  - .agpr_count:     0
    .args:
      - .offset:         0
        .size:           136
        .value_kind:     by_value
    .group_segment_fixed_size: 7176
    .kernarg_segment_align: 8
    .kernarg_segment_size: 136
    .language:       OpenCL C
    .language_version:
      - 2
      - 0
    .max_flat_workgroup_size: 256
    .name:           _ZN7rocprim17ROCPRIM_400000_NS6detail17trampoline_kernelINS0_14default_configENS1_25partition_config_selectorILNS1_17partition_subalgoE1EiNS0_10empty_typeEbEEZZNS1_14partition_implILS5_1ELb0ES3_jN6thrust23THRUST_200600_302600_NS6detail15normal_iteratorINSA_10device_ptrIiEEEEPS6_NSA_18transform_iteratorI7is_evenIiESF_NSA_11use_defaultESK_EENS0_5tupleIJSF_NSA_16discard_iteratorISK_EEEEENSM_IJSG_SG_EEES6_PlJS6_EEE10hipError_tPvRmT3_T4_T5_T6_T7_T9_mT8_P12ihipStream_tbDpT10_ENKUlT_T0_E_clISt17integral_constantIbLb0EES1B_EEDaS16_S17_EUlS16_E_NS1_11comp_targetILNS1_3genE4ELNS1_11target_archE910ELNS1_3gpuE8ELNS1_3repE0EEENS1_30default_config_static_selectorELNS0_4arch9wavefront6targetE1EEEvT1_
    .private_segment_fixed_size: 0
    .sgpr_count:     44
    .sgpr_spill_count: 0
    .symbol:         _ZN7rocprim17ROCPRIM_400000_NS6detail17trampoline_kernelINS0_14default_configENS1_25partition_config_selectorILNS1_17partition_subalgoE1EiNS0_10empty_typeEbEEZZNS1_14partition_implILS5_1ELb0ES3_jN6thrust23THRUST_200600_302600_NS6detail15normal_iteratorINSA_10device_ptrIiEEEEPS6_NSA_18transform_iteratorI7is_evenIiESF_NSA_11use_defaultESK_EENS0_5tupleIJSF_NSA_16discard_iteratorISK_EEEEENSM_IJSG_SG_EEES6_PlJS6_EEE10hipError_tPvRmT3_T4_T5_T6_T7_T9_mT8_P12ihipStream_tbDpT10_ENKUlT_T0_E_clISt17integral_constantIbLb0EES1B_EEDaS16_S17_EUlS16_E_NS1_11comp_targetILNS1_3genE4ELNS1_11target_archE910ELNS1_3gpuE8ELNS1_3repE0EEENS1_30default_config_static_selectorELNS0_4arch9wavefront6targetE1EEEvT1_.kd
    .uniform_work_group_size: 1
    .uses_dynamic_stack: false
    .vgpr_count:     47
    .vgpr_spill_count: 0
    .wavefront_size: 64
  - .agpr_count:     0
    .args:
      - .offset:         0
        .size:           136
        .value_kind:     by_value
    .group_segment_fixed_size: 0
    .kernarg_segment_align: 8
    .kernarg_segment_size: 136
    .language:       OpenCL C
    .language_version:
      - 2
      - 0
    .max_flat_workgroup_size: 256
    .name:           _ZN7rocprim17ROCPRIM_400000_NS6detail17trampoline_kernelINS0_14default_configENS1_25partition_config_selectorILNS1_17partition_subalgoE1EiNS0_10empty_typeEbEEZZNS1_14partition_implILS5_1ELb0ES3_jN6thrust23THRUST_200600_302600_NS6detail15normal_iteratorINSA_10device_ptrIiEEEEPS6_NSA_18transform_iteratorI7is_evenIiESF_NSA_11use_defaultESK_EENS0_5tupleIJSF_NSA_16discard_iteratorISK_EEEEENSM_IJSG_SG_EEES6_PlJS6_EEE10hipError_tPvRmT3_T4_T5_T6_T7_T9_mT8_P12ihipStream_tbDpT10_ENKUlT_T0_E_clISt17integral_constantIbLb0EES1B_EEDaS16_S17_EUlS16_E_NS1_11comp_targetILNS1_3genE3ELNS1_11target_archE908ELNS1_3gpuE7ELNS1_3repE0EEENS1_30default_config_static_selectorELNS0_4arch9wavefront6targetE1EEEvT1_
    .private_segment_fixed_size: 0
    .sgpr_count:     4
    .sgpr_spill_count: 0
    .symbol:         _ZN7rocprim17ROCPRIM_400000_NS6detail17trampoline_kernelINS0_14default_configENS1_25partition_config_selectorILNS1_17partition_subalgoE1EiNS0_10empty_typeEbEEZZNS1_14partition_implILS5_1ELb0ES3_jN6thrust23THRUST_200600_302600_NS6detail15normal_iteratorINSA_10device_ptrIiEEEEPS6_NSA_18transform_iteratorI7is_evenIiESF_NSA_11use_defaultESK_EENS0_5tupleIJSF_NSA_16discard_iteratorISK_EEEEENSM_IJSG_SG_EEES6_PlJS6_EEE10hipError_tPvRmT3_T4_T5_T6_T7_T9_mT8_P12ihipStream_tbDpT10_ENKUlT_T0_E_clISt17integral_constantIbLb0EES1B_EEDaS16_S17_EUlS16_E_NS1_11comp_targetILNS1_3genE3ELNS1_11target_archE908ELNS1_3gpuE7ELNS1_3repE0EEENS1_30default_config_static_selectorELNS0_4arch9wavefront6targetE1EEEvT1_.kd
    .uniform_work_group_size: 1
    .uses_dynamic_stack: false
    .vgpr_count:     0
    .vgpr_spill_count: 0
    .wavefront_size: 64
  - .agpr_count:     0
    .args:
      - .offset:         0
        .size:           136
        .value_kind:     by_value
    .group_segment_fixed_size: 0
    .kernarg_segment_align: 8
    .kernarg_segment_size: 136
    .language:       OpenCL C
    .language_version:
      - 2
      - 0
    .max_flat_workgroup_size: 256
    .name:           _ZN7rocprim17ROCPRIM_400000_NS6detail17trampoline_kernelINS0_14default_configENS1_25partition_config_selectorILNS1_17partition_subalgoE1EiNS0_10empty_typeEbEEZZNS1_14partition_implILS5_1ELb0ES3_jN6thrust23THRUST_200600_302600_NS6detail15normal_iteratorINSA_10device_ptrIiEEEEPS6_NSA_18transform_iteratorI7is_evenIiESF_NSA_11use_defaultESK_EENS0_5tupleIJSF_NSA_16discard_iteratorISK_EEEEENSM_IJSG_SG_EEES6_PlJS6_EEE10hipError_tPvRmT3_T4_T5_T6_T7_T9_mT8_P12ihipStream_tbDpT10_ENKUlT_T0_E_clISt17integral_constantIbLb0EES1B_EEDaS16_S17_EUlS16_E_NS1_11comp_targetILNS1_3genE2ELNS1_11target_archE906ELNS1_3gpuE6ELNS1_3repE0EEENS1_30default_config_static_selectorELNS0_4arch9wavefront6targetE1EEEvT1_
    .private_segment_fixed_size: 0
    .sgpr_count:     4
    .sgpr_spill_count: 0
    .symbol:         _ZN7rocprim17ROCPRIM_400000_NS6detail17trampoline_kernelINS0_14default_configENS1_25partition_config_selectorILNS1_17partition_subalgoE1EiNS0_10empty_typeEbEEZZNS1_14partition_implILS5_1ELb0ES3_jN6thrust23THRUST_200600_302600_NS6detail15normal_iteratorINSA_10device_ptrIiEEEEPS6_NSA_18transform_iteratorI7is_evenIiESF_NSA_11use_defaultESK_EENS0_5tupleIJSF_NSA_16discard_iteratorISK_EEEEENSM_IJSG_SG_EEES6_PlJS6_EEE10hipError_tPvRmT3_T4_T5_T6_T7_T9_mT8_P12ihipStream_tbDpT10_ENKUlT_T0_E_clISt17integral_constantIbLb0EES1B_EEDaS16_S17_EUlS16_E_NS1_11comp_targetILNS1_3genE2ELNS1_11target_archE906ELNS1_3gpuE6ELNS1_3repE0EEENS1_30default_config_static_selectorELNS0_4arch9wavefront6targetE1EEEvT1_.kd
    .uniform_work_group_size: 1
    .uses_dynamic_stack: false
    .vgpr_count:     0
    .vgpr_spill_count: 0
    .wavefront_size: 64
  - .agpr_count:     0
    .args:
      - .offset:         0
        .size:           136
        .value_kind:     by_value
    .group_segment_fixed_size: 0
    .kernarg_segment_align: 8
    .kernarg_segment_size: 136
    .language:       OpenCL C
    .language_version:
      - 2
      - 0
    .max_flat_workgroup_size: 256
    .name:           _ZN7rocprim17ROCPRIM_400000_NS6detail17trampoline_kernelINS0_14default_configENS1_25partition_config_selectorILNS1_17partition_subalgoE1EiNS0_10empty_typeEbEEZZNS1_14partition_implILS5_1ELb0ES3_jN6thrust23THRUST_200600_302600_NS6detail15normal_iteratorINSA_10device_ptrIiEEEEPS6_NSA_18transform_iteratorI7is_evenIiESF_NSA_11use_defaultESK_EENS0_5tupleIJSF_NSA_16discard_iteratorISK_EEEEENSM_IJSG_SG_EEES6_PlJS6_EEE10hipError_tPvRmT3_T4_T5_T6_T7_T9_mT8_P12ihipStream_tbDpT10_ENKUlT_T0_E_clISt17integral_constantIbLb0EES1B_EEDaS16_S17_EUlS16_E_NS1_11comp_targetILNS1_3genE10ELNS1_11target_archE1200ELNS1_3gpuE4ELNS1_3repE0EEENS1_30default_config_static_selectorELNS0_4arch9wavefront6targetE1EEEvT1_
    .private_segment_fixed_size: 0
    .sgpr_count:     4
    .sgpr_spill_count: 0
    .symbol:         _ZN7rocprim17ROCPRIM_400000_NS6detail17trampoline_kernelINS0_14default_configENS1_25partition_config_selectorILNS1_17partition_subalgoE1EiNS0_10empty_typeEbEEZZNS1_14partition_implILS5_1ELb0ES3_jN6thrust23THRUST_200600_302600_NS6detail15normal_iteratorINSA_10device_ptrIiEEEEPS6_NSA_18transform_iteratorI7is_evenIiESF_NSA_11use_defaultESK_EENS0_5tupleIJSF_NSA_16discard_iteratorISK_EEEEENSM_IJSG_SG_EEES6_PlJS6_EEE10hipError_tPvRmT3_T4_T5_T6_T7_T9_mT8_P12ihipStream_tbDpT10_ENKUlT_T0_E_clISt17integral_constantIbLb0EES1B_EEDaS16_S17_EUlS16_E_NS1_11comp_targetILNS1_3genE10ELNS1_11target_archE1200ELNS1_3gpuE4ELNS1_3repE0EEENS1_30default_config_static_selectorELNS0_4arch9wavefront6targetE1EEEvT1_.kd
    .uniform_work_group_size: 1
    .uses_dynamic_stack: false
    .vgpr_count:     0
    .vgpr_spill_count: 0
    .wavefront_size: 64
  - .agpr_count:     0
    .args:
      - .offset:         0
        .size:           136
        .value_kind:     by_value
    .group_segment_fixed_size: 0
    .kernarg_segment_align: 8
    .kernarg_segment_size: 136
    .language:       OpenCL C
    .language_version:
      - 2
      - 0
    .max_flat_workgroup_size: 128
    .name:           _ZN7rocprim17ROCPRIM_400000_NS6detail17trampoline_kernelINS0_14default_configENS1_25partition_config_selectorILNS1_17partition_subalgoE1EiNS0_10empty_typeEbEEZZNS1_14partition_implILS5_1ELb0ES3_jN6thrust23THRUST_200600_302600_NS6detail15normal_iteratorINSA_10device_ptrIiEEEEPS6_NSA_18transform_iteratorI7is_evenIiESF_NSA_11use_defaultESK_EENS0_5tupleIJSF_NSA_16discard_iteratorISK_EEEEENSM_IJSG_SG_EEES6_PlJS6_EEE10hipError_tPvRmT3_T4_T5_T6_T7_T9_mT8_P12ihipStream_tbDpT10_ENKUlT_T0_E_clISt17integral_constantIbLb0EES1B_EEDaS16_S17_EUlS16_E_NS1_11comp_targetILNS1_3genE9ELNS1_11target_archE1100ELNS1_3gpuE3ELNS1_3repE0EEENS1_30default_config_static_selectorELNS0_4arch9wavefront6targetE1EEEvT1_
    .private_segment_fixed_size: 0
    .sgpr_count:     4
    .sgpr_spill_count: 0
    .symbol:         _ZN7rocprim17ROCPRIM_400000_NS6detail17trampoline_kernelINS0_14default_configENS1_25partition_config_selectorILNS1_17partition_subalgoE1EiNS0_10empty_typeEbEEZZNS1_14partition_implILS5_1ELb0ES3_jN6thrust23THRUST_200600_302600_NS6detail15normal_iteratorINSA_10device_ptrIiEEEEPS6_NSA_18transform_iteratorI7is_evenIiESF_NSA_11use_defaultESK_EENS0_5tupleIJSF_NSA_16discard_iteratorISK_EEEEENSM_IJSG_SG_EEES6_PlJS6_EEE10hipError_tPvRmT3_T4_T5_T6_T7_T9_mT8_P12ihipStream_tbDpT10_ENKUlT_T0_E_clISt17integral_constantIbLb0EES1B_EEDaS16_S17_EUlS16_E_NS1_11comp_targetILNS1_3genE9ELNS1_11target_archE1100ELNS1_3gpuE3ELNS1_3repE0EEENS1_30default_config_static_selectorELNS0_4arch9wavefront6targetE1EEEvT1_.kd
    .uniform_work_group_size: 1
    .uses_dynamic_stack: false
    .vgpr_count:     0
    .vgpr_spill_count: 0
    .wavefront_size: 64
  - .agpr_count:     0
    .args:
      - .offset:         0
        .size:           136
        .value_kind:     by_value
    .group_segment_fixed_size: 0
    .kernarg_segment_align: 8
    .kernarg_segment_size: 136
    .language:       OpenCL C
    .language_version:
      - 2
      - 0
    .max_flat_workgroup_size: 512
    .name:           _ZN7rocprim17ROCPRIM_400000_NS6detail17trampoline_kernelINS0_14default_configENS1_25partition_config_selectorILNS1_17partition_subalgoE1EiNS0_10empty_typeEbEEZZNS1_14partition_implILS5_1ELb0ES3_jN6thrust23THRUST_200600_302600_NS6detail15normal_iteratorINSA_10device_ptrIiEEEEPS6_NSA_18transform_iteratorI7is_evenIiESF_NSA_11use_defaultESK_EENS0_5tupleIJSF_NSA_16discard_iteratorISK_EEEEENSM_IJSG_SG_EEES6_PlJS6_EEE10hipError_tPvRmT3_T4_T5_T6_T7_T9_mT8_P12ihipStream_tbDpT10_ENKUlT_T0_E_clISt17integral_constantIbLb0EES1B_EEDaS16_S17_EUlS16_E_NS1_11comp_targetILNS1_3genE8ELNS1_11target_archE1030ELNS1_3gpuE2ELNS1_3repE0EEENS1_30default_config_static_selectorELNS0_4arch9wavefront6targetE1EEEvT1_
    .private_segment_fixed_size: 0
    .sgpr_count:     4
    .sgpr_spill_count: 0
    .symbol:         _ZN7rocprim17ROCPRIM_400000_NS6detail17trampoline_kernelINS0_14default_configENS1_25partition_config_selectorILNS1_17partition_subalgoE1EiNS0_10empty_typeEbEEZZNS1_14partition_implILS5_1ELb0ES3_jN6thrust23THRUST_200600_302600_NS6detail15normal_iteratorINSA_10device_ptrIiEEEEPS6_NSA_18transform_iteratorI7is_evenIiESF_NSA_11use_defaultESK_EENS0_5tupleIJSF_NSA_16discard_iteratorISK_EEEEENSM_IJSG_SG_EEES6_PlJS6_EEE10hipError_tPvRmT3_T4_T5_T6_T7_T9_mT8_P12ihipStream_tbDpT10_ENKUlT_T0_E_clISt17integral_constantIbLb0EES1B_EEDaS16_S17_EUlS16_E_NS1_11comp_targetILNS1_3genE8ELNS1_11target_archE1030ELNS1_3gpuE2ELNS1_3repE0EEENS1_30default_config_static_selectorELNS0_4arch9wavefront6targetE1EEEvT1_.kd
    .uniform_work_group_size: 1
    .uses_dynamic_stack: false
    .vgpr_count:     0
    .vgpr_spill_count: 0
    .wavefront_size: 64
  - .agpr_count:     0
    .args:
      - .offset:         0
        .size:           152
        .value_kind:     by_value
    .group_segment_fixed_size: 0
    .kernarg_segment_align: 8
    .kernarg_segment_size: 152
    .language:       OpenCL C
    .language_version:
      - 2
      - 0
    .max_flat_workgroup_size: 256
    .name:           _ZN7rocprim17ROCPRIM_400000_NS6detail17trampoline_kernelINS0_14default_configENS1_25partition_config_selectorILNS1_17partition_subalgoE1EiNS0_10empty_typeEbEEZZNS1_14partition_implILS5_1ELb0ES3_jN6thrust23THRUST_200600_302600_NS6detail15normal_iteratorINSA_10device_ptrIiEEEEPS6_NSA_18transform_iteratorI7is_evenIiESF_NSA_11use_defaultESK_EENS0_5tupleIJSF_NSA_16discard_iteratorISK_EEEEENSM_IJSG_SG_EEES6_PlJS6_EEE10hipError_tPvRmT3_T4_T5_T6_T7_T9_mT8_P12ihipStream_tbDpT10_ENKUlT_T0_E_clISt17integral_constantIbLb1EES1B_EEDaS16_S17_EUlS16_E_NS1_11comp_targetILNS1_3genE0ELNS1_11target_archE4294967295ELNS1_3gpuE0ELNS1_3repE0EEENS1_30default_config_static_selectorELNS0_4arch9wavefront6targetE1EEEvT1_
    .private_segment_fixed_size: 0
    .sgpr_count:     4
    .sgpr_spill_count: 0
    .symbol:         _ZN7rocprim17ROCPRIM_400000_NS6detail17trampoline_kernelINS0_14default_configENS1_25partition_config_selectorILNS1_17partition_subalgoE1EiNS0_10empty_typeEbEEZZNS1_14partition_implILS5_1ELb0ES3_jN6thrust23THRUST_200600_302600_NS6detail15normal_iteratorINSA_10device_ptrIiEEEEPS6_NSA_18transform_iteratorI7is_evenIiESF_NSA_11use_defaultESK_EENS0_5tupleIJSF_NSA_16discard_iteratorISK_EEEEENSM_IJSG_SG_EEES6_PlJS6_EEE10hipError_tPvRmT3_T4_T5_T6_T7_T9_mT8_P12ihipStream_tbDpT10_ENKUlT_T0_E_clISt17integral_constantIbLb1EES1B_EEDaS16_S17_EUlS16_E_NS1_11comp_targetILNS1_3genE0ELNS1_11target_archE4294967295ELNS1_3gpuE0ELNS1_3repE0EEENS1_30default_config_static_selectorELNS0_4arch9wavefront6targetE1EEEvT1_.kd
    .uniform_work_group_size: 1
    .uses_dynamic_stack: false
    .vgpr_count:     0
    .vgpr_spill_count: 0
    .wavefront_size: 64
  - .agpr_count:     0
    .args:
      - .offset:         0
        .size:           152
        .value_kind:     by_value
    .group_segment_fixed_size: 0
    .kernarg_segment_align: 8
    .kernarg_segment_size: 152
    .language:       OpenCL C
    .language_version:
      - 2
      - 0
    .max_flat_workgroup_size: 512
    .name:           _ZN7rocprim17ROCPRIM_400000_NS6detail17trampoline_kernelINS0_14default_configENS1_25partition_config_selectorILNS1_17partition_subalgoE1EiNS0_10empty_typeEbEEZZNS1_14partition_implILS5_1ELb0ES3_jN6thrust23THRUST_200600_302600_NS6detail15normal_iteratorINSA_10device_ptrIiEEEEPS6_NSA_18transform_iteratorI7is_evenIiESF_NSA_11use_defaultESK_EENS0_5tupleIJSF_NSA_16discard_iteratorISK_EEEEENSM_IJSG_SG_EEES6_PlJS6_EEE10hipError_tPvRmT3_T4_T5_T6_T7_T9_mT8_P12ihipStream_tbDpT10_ENKUlT_T0_E_clISt17integral_constantIbLb1EES1B_EEDaS16_S17_EUlS16_E_NS1_11comp_targetILNS1_3genE5ELNS1_11target_archE942ELNS1_3gpuE9ELNS1_3repE0EEENS1_30default_config_static_selectorELNS0_4arch9wavefront6targetE1EEEvT1_
    .private_segment_fixed_size: 0
    .sgpr_count:     4
    .sgpr_spill_count: 0
    .symbol:         _ZN7rocprim17ROCPRIM_400000_NS6detail17trampoline_kernelINS0_14default_configENS1_25partition_config_selectorILNS1_17partition_subalgoE1EiNS0_10empty_typeEbEEZZNS1_14partition_implILS5_1ELb0ES3_jN6thrust23THRUST_200600_302600_NS6detail15normal_iteratorINSA_10device_ptrIiEEEEPS6_NSA_18transform_iteratorI7is_evenIiESF_NSA_11use_defaultESK_EENS0_5tupleIJSF_NSA_16discard_iteratorISK_EEEEENSM_IJSG_SG_EEES6_PlJS6_EEE10hipError_tPvRmT3_T4_T5_T6_T7_T9_mT8_P12ihipStream_tbDpT10_ENKUlT_T0_E_clISt17integral_constantIbLb1EES1B_EEDaS16_S17_EUlS16_E_NS1_11comp_targetILNS1_3genE5ELNS1_11target_archE942ELNS1_3gpuE9ELNS1_3repE0EEENS1_30default_config_static_selectorELNS0_4arch9wavefront6targetE1EEEvT1_.kd
    .uniform_work_group_size: 1
    .uses_dynamic_stack: false
    .vgpr_count:     0
    .vgpr_spill_count: 0
    .wavefront_size: 64
  - .agpr_count:     0
    .args:
      - .offset:         0
        .size:           152
        .value_kind:     by_value
    .group_segment_fixed_size: 7176
    .kernarg_segment_align: 8
    .kernarg_segment_size: 152
    .language:       OpenCL C
    .language_version:
      - 2
      - 0
    .max_flat_workgroup_size: 256
    .name:           _ZN7rocprim17ROCPRIM_400000_NS6detail17trampoline_kernelINS0_14default_configENS1_25partition_config_selectorILNS1_17partition_subalgoE1EiNS0_10empty_typeEbEEZZNS1_14partition_implILS5_1ELb0ES3_jN6thrust23THRUST_200600_302600_NS6detail15normal_iteratorINSA_10device_ptrIiEEEEPS6_NSA_18transform_iteratorI7is_evenIiESF_NSA_11use_defaultESK_EENS0_5tupleIJSF_NSA_16discard_iteratorISK_EEEEENSM_IJSG_SG_EEES6_PlJS6_EEE10hipError_tPvRmT3_T4_T5_T6_T7_T9_mT8_P12ihipStream_tbDpT10_ENKUlT_T0_E_clISt17integral_constantIbLb1EES1B_EEDaS16_S17_EUlS16_E_NS1_11comp_targetILNS1_3genE4ELNS1_11target_archE910ELNS1_3gpuE8ELNS1_3repE0EEENS1_30default_config_static_selectorELNS0_4arch9wavefront6targetE1EEEvT1_
    .private_segment_fixed_size: 0
    .sgpr_count:     44
    .sgpr_spill_count: 0
    .symbol:         _ZN7rocprim17ROCPRIM_400000_NS6detail17trampoline_kernelINS0_14default_configENS1_25partition_config_selectorILNS1_17partition_subalgoE1EiNS0_10empty_typeEbEEZZNS1_14partition_implILS5_1ELb0ES3_jN6thrust23THRUST_200600_302600_NS6detail15normal_iteratorINSA_10device_ptrIiEEEEPS6_NSA_18transform_iteratorI7is_evenIiESF_NSA_11use_defaultESK_EENS0_5tupleIJSF_NSA_16discard_iteratorISK_EEEEENSM_IJSG_SG_EEES6_PlJS6_EEE10hipError_tPvRmT3_T4_T5_T6_T7_T9_mT8_P12ihipStream_tbDpT10_ENKUlT_T0_E_clISt17integral_constantIbLb1EES1B_EEDaS16_S17_EUlS16_E_NS1_11comp_targetILNS1_3genE4ELNS1_11target_archE910ELNS1_3gpuE8ELNS1_3repE0EEENS1_30default_config_static_selectorELNS0_4arch9wavefront6targetE1EEEvT1_.kd
    .uniform_work_group_size: 1
    .uses_dynamic_stack: false
    .vgpr_count:     49
    .vgpr_spill_count: 0
    .wavefront_size: 64
  - .agpr_count:     0
    .args:
      - .offset:         0
        .size:           152
        .value_kind:     by_value
    .group_segment_fixed_size: 0
    .kernarg_segment_align: 8
    .kernarg_segment_size: 152
    .language:       OpenCL C
    .language_version:
      - 2
      - 0
    .max_flat_workgroup_size: 256
    .name:           _ZN7rocprim17ROCPRIM_400000_NS6detail17trampoline_kernelINS0_14default_configENS1_25partition_config_selectorILNS1_17partition_subalgoE1EiNS0_10empty_typeEbEEZZNS1_14partition_implILS5_1ELb0ES3_jN6thrust23THRUST_200600_302600_NS6detail15normal_iteratorINSA_10device_ptrIiEEEEPS6_NSA_18transform_iteratorI7is_evenIiESF_NSA_11use_defaultESK_EENS0_5tupleIJSF_NSA_16discard_iteratorISK_EEEEENSM_IJSG_SG_EEES6_PlJS6_EEE10hipError_tPvRmT3_T4_T5_T6_T7_T9_mT8_P12ihipStream_tbDpT10_ENKUlT_T0_E_clISt17integral_constantIbLb1EES1B_EEDaS16_S17_EUlS16_E_NS1_11comp_targetILNS1_3genE3ELNS1_11target_archE908ELNS1_3gpuE7ELNS1_3repE0EEENS1_30default_config_static_selectorELNS0_4arch9wavefront6targetE1EEEvT1_
    .private_segment_fixed_size: 0
    .sgpr_count:     4
    .sgpr_spill_count: 0
    .symbol:         _ZN7rocprim17ROCPRIM_400000_NS6detail17trampoline_kernelINS0_14default_configENS1_25partition_config_selectorILNS1_17partition_subalgoE1EiNS0_10empty_typeEbEEZZNS1_14partition_implILS5_1ELb0ES3_jN6thrust23THRUST_200600_302600_NS6detail15normal_iteratorINSA_10device_ptrIiEEEEPS6_NSA_18transform_iteratorI7is_evenIiESF_NSA_11use_defaultESK_EENS0_5tupleIJSF_NSA_16discard_iteratorISK_EEEEENSM_IJSG_SG_EEES6_PlJS6_EEE10hipError_tPvRmT3_T4_T5_T6_T7_T9_mT8_P12ihipStream_tbDpT10_ENKUlT_T0_E_clISt17integral_constantIbLb1EES1B_EEDaS16_S17_EUlS16_E_NS1_11comp_targetILNS1_3genE3ELNS1_11target_archE908ELNS1_3gpuE7ELNS1_3repE0EEENS1_30default_config_static_selectorELNS0_4arch9wavefront6targetE1EEEvT1_.kd
    .uniform_work_group_size: 1
    .uses_dynamic_stack: false
    .vgpr_count:     0
    .vgpr_spill_count: 0
    .wavefront_size: 64
  - .agpr_count:     0
    .args:
      - .offset:         0
        .size:           152
        .value_kind:     by_value
    .group_segment_fixed_size: 0
    .kernarg_segment_align: 8
    .kernarg_segment_size: 152
    .language:       OpenCL C
    .language_version:
      - 2
      - 0
    .max_flat_workgroup_size: 256
    .name:           _ZN7rocprim17ROCPRIM_400000_NS6detail17trampoline_kernelINS0_14default_configENS1_25partition_config_selectorILNS1_17partition_subalgoE1EiNS0_10empty_typeEbEEZZNS1_14partition_implILS5_1ELb0ES3_jN6thrust23THRUST_200600_302600_NS6detail15normal_iteratorINSA_10device_ptrIiEEEEPS6_NSA_18transform_iteratorI7is_evenIiESF_NSA_11use_defaultESK_EENS0_5tupleIJSF_NSA_16discard_iteratorISK_EEEEENSM_IJSG_SG_EEES6_PlJS6_EEE10hipError_tPvRmT3_T4_T5_T6_T7_T9_mT8_P12ihipStream_tbDpT10_ENKUlT_T0_E_clISt17integral_constantIbLb1EES1B_EEDaS16_S17_EUlS16_E_NS1_11comp_targetILNS1_3genE2ELNS1_11target_archE906ELNS1_3gpuE6ELNS1_3repE0EEENS1_30default_config_static_selectorELNS0_4arch9wavefront6targetE1EEEvT1_
    .private_segment_fixed_size: 0
    .sgpr_count:     4
    .sgpr_spill_count: 0
    .symbol:         _ZN7rocprim17ROCPRIM_400000_NS6detail17trampoline_kernelINS0_14default_configENS1_25partition_config_selectorILNS1_17partition_subalgoE1EiNS0_10empty_typeEbEEZZNS1_14partition_implILS5_1ELb0ES3_jN6thrust23THRUST_200600_302600_NS6detail15normal_iteratorINSA_10device_ptrIiEEEEPS6_NSA_18transform_iteratorI7is_evenIiESF_NSA_11use_defaultESK_EENS0_5tupleIJSF_NSA_16discard_iteratorISK_EEEEENSM_IJSG_SG_EEES6_PlJS6_EEE10hipError_tPvRmT3_T4_T5_T6_T7_T9_mT8_P12ihipStream_tbDpT10_ENKUlT_T0_E_clISt17integral_constantIbLb1EES1B_EEDaS16_S17_EUlS16_E_NS1_11comp_targetILNS1_3genE2ELNS1_11target_archE906ELNS1_3gpuE6ELNS1_3repE0EEENS1_30default_config_static_selectorELNS0_4arch9wavefront6targetE1EEEvT1_.kd
    .uniform_work_group_size: 1
    .uses_dynamic_stack: false
    .vgpr_count:     0
    .vgpr_spill_count: 0
    .wavefront_size: 64
  - .agpr_count:     0
    .args:
      - .offset:         0
        .size:           152
        .value_kind:     by_value
    .group_segment_fixed_size: 0
    .kernarg_segment_align: 8
    .kernarg_segment_size: 152
    .language:       OpenCL C
    .language_version:
      - 2
      - 0
    .max_flat_workgroup_size: 256
    .name:           _ZN7rocprim17ROCPRIM_400000_NS6detail17trampoline_kernelINS0_14default_configENS1_25partition_config_selectorILNS1_17partition_subalgoE1EiNS0_10empty_typeEbEEZZNS1_14partition_implILS5_1ELb0ES3_jN6thrust23THRUST_200600_302600_NS6detail15normal_iteratorINSA_10device_ptrIiEEEEPS6_NSA_18transform_iteratorI7is_evenIiESF_NSA_11use_defaultESK_EENS0_5tupleIJSF_NSA_16discard_iteratorISK_EEEEENSM_IJSG_SG_EEES6_PlJS6_EEE10hipError_tPvRmT3_T4_T5_T6_T7_T9_mT8_P12ihipStream_tbDpT10_ENKUlT_T0_E_clISt17integral_constantIbLb1EES1B_EEDaS16_S17_EUlS16_E_NS1_11comp_targetILNS1_3genE10ELNS1_11target_archE1200ELNS1_3gpuE4ELNS1_3repE0EEENS1_30default_config_static_selectorELNS0_4arch9wavefront6targetE1EEEvT1_
    .private_segment_fixed_size: 0
    .sgpr_count:     4
    .sgpr_spill_count: 0
    .symbol:         _ZN7rocprim17ROCPRIM_400000_NS6detail17trampoline_kernelINS0_14default_configENS1_25partition_config_selectorILNS1_17partition_subalgoE1EiNS0_10empty_typeEbEEZZNS1_14partition_implILS5_1ELb0ES3_jN6thrust23THRUST_200600_302600_NS6detail15normal_iteratorINSA_10device_ptrIiEEEEPS6_NSA_18transform_iteratorI7is_evenIiESF_NSA_11use_defaultESK_EENS0_5tupleIJSF_NSA_16discard_iteratorISK_EEEEENSM_IJSG_SG_EEES6_PlJS6_EEE10hipError_tPvRmT3_T4_T5_T6_T7_T9_mT8_P12ihipStream_tbDpT10_ENKUlT_T0_E_clISt17integral_constantIbLb1EES1B_EEDaS16_S17_EUlS16_E_NS1_11comp_targetILNS1_3genE10ELNS1_11target_archE1200ELNS1_3gpuE4ELNS1_3repE0EEENS1_30default_config_static_selectorELNS0_4arch9wavefront6targetE1EEEvT1_.kd
    .uniform_work_group_size: 1
    .uses_dynamic_stack: false
    .vgpr_count:     0
    .vgpr_spill_count: 0
    .wavefront_size: 64
  - .agpr_count:     0
    .args:
      - .offset:         0
        .size:           152
        .value_kind:     by_value
    .group_segment_fixed_size: 0
    .kernarg_segment_align: 8
    .kernarg_segment_size: 152
    .language:       OpenCL C
    .language_version:
      - 2
      - 0
    .max_flat_workgroup_size: 128
    .name:           _ZN7rocprim17ROCPRIM_400000_NS6detail17trampoline_kernelINS0_14default_configENS1_25partition_config_selectorILNS1_17partition_subalgoE1EiNS0_10empty_typeEbEEZZNS1_14partition_implILS5_1ELb0ES3_jN6thrust23THRUST_200600_302600_NS6detail15normal_iteratorINSA_10device_ptrIiEEEEPS6_NSA_18transform_iteratorI7is_evenIiESF_NSA_11use_defaultESK_EENS0_5tupleIJSF_NSA_16discard_iteratorISK_EEEEENSM_IJSG_SG_EEES6_PlJS6_EEE10hipError_tPvRmT3_T4_T5_T6_T7_T9_mT8_P12ihipStream_tbDpT10_ENKUlT_T0_E_clISt17integral_constantIbLb1EES1B_EEDaS16_S17_EUlS16_E_NS1_11comp_targetILNS1_3genE9ELNS1_11target_archE1100ELNS1_3gpuE3ELNS1_3repE0EEENS1_30default_config_static_selectorELNS0_4arch9wavefront6targetE1EEEvT1_
    .private_segment_fixed_size: 0
    .sgpr_count:     4
    .sgpr_spill_count: 0
    .symbol:         _ZN7rocprim17ROCPRIM_400000_NS6detail17trampoline_kernelINS0_14default_configENS1_25partition_config_selectorILNS1_17partition_subalgoE1EiNS0_10empty_typeEbEEZZNS1_14partition_implILS5_1ELb0ES3_jN6thrust23THRUST_200600_302600_NS6detail15normal_iteratorINSA_10device_ptrIiEEEEPS6_NSA_18transform_iteratorI7is_evenIiESF_NSA_11use_defaultESK_EENS0_5tupleIJSF_NSA_16discard_iteratorISK_EEEEENSM_IJSG_SG_EEES6_PlJS6_EEE10hipError_tPvRmT3_T4_T5_T6_T7_T9_mT8_P12ihipStream_tbDpT10_ENKUlT_T0_E_clISt17integral_constantIbLb1EES1B_EEDaS16_S17_EUlS16_E_NS1_11comp_targetILNS1_3genE9ELNS1_11target_archE1100ELNS1_3gpuE3ELNS1_3repE0EEENS1_30default_config_static_selectorELNS0_4arch9wavefront6targetE1EEEvT1_.kd
    .uniform_work_group_size: 1
    .uses_dynamic_stack: false
    .vgpr_count:     0
    .vgpr_spill_count: 0
    .wavefront_size: 64
  - .agpr_count:     0
    .args:
      - .offset:         0
        .size:           152
        .value_kind:     by_value
    .group_segment_fixed_size: 0
    .kernarg_segment_align: 8
    .kernarg_segment_size: 152
    .language:       OpenCL C
    .language_version:
      - 2
      - 0
    .max_flat_workgroup_size: 512
    .name:           _ZN7rocprim17ROCPRIM_400000_NS6detail17trampoline_kernelINS0_14default_configENS1_25partition_config_selectorILNS1_17partition_subalgoE1EiNS0_10empty_typeEbEEZZNS1_14partition_implILS5_1ELb0ES3_jN6thrust23THRUST_200600_302600_NS6detail15normal_iteratorINSA_10device_ptrIiEEEEPS6_NSA_18transform_iteratorI7is_evenIiESF_NSA_11use_defaultESK_EENS0_5tupleIJSF_NSA_16discard_iteratorISK_EEEEENSM_IJSG_SG_EEES6_PlJS6_EEE10hipError_tPvRmT3_T4_T5_T6_T7_T9_mT8_P12ihipStream_tbDpT10_ENKUlT_T0_E_clISt17integral_constantIbLb1EES1B_EEDaS16_S17_EUlS16_E_NS1_11comp_targetILNS1_3genE8ELNS1_11target_archE1030ELNS1_3gpuE2ELNS1_3repE0EEENS1_30default_config_static_selectorELNS0_4arch9wavefront6targetE1EEEvT1_
    .private_segment_fixed_size: 0
    .sgpr_count:     4
    .sgpr_spill_count: 0
    .symbol:         _ZN7rocprim17ROCPRIM_400000_NS6detail17trampoline_kernelINS0_14default_configENS1_25partition_config_selectorILNS1_17partition_subalgoE1EiNS0_10empty_typeEbEEZZNS1_14partition_implILS5_1ELb0ES3_jN6thrust23THRUST_200600_302600_NS6detail15normal_iteratorINSA_10device_ptrIiEEEEPS6_NSA_18transform_iteratorI7is_evenIiESF_NSA_11use_defaultESK_EENS0_5tupleIJSF_NSA_16discard_iteratorISK_EEEEENSM_IJSG_SG_EEES6_PlJS6_EEE10hipError_tPvRmT3_T4_T5_T6_T7_T9_mT8_P12ihipStream_tbDpT10_ENKUlT_T0_E_clISt17integral_constantIbLb1EES1B_EEDaS16_S17_EUlS16_E_NS1_11comp_targetILNS1_3genE8ELNS1_11target_archE1030ELNS1_3gpuE2ELNS1_3repE0EEENS1_30default_config_static_selectorELNS0_4arch9wavefront6targetE1EEEvT1_.kd
    .uniform_work_group_size: 1
    .uses_dynamic_stack: false
    .vgpr_count:     0
    .vgpr_spill_count: 0
    .wavefront_size: 64
  - .agpr_count:     0
    .args:
      - .offset:         0
        .size:           136
        .value_kind:     by_value
    .group_segment_fixed_size: 0
    .kernarg_segment_align: 8
    .kernarg_segment_size: 136
    .language:       OpenCL C
    .language_version:
      - 2
      - 0
    .max_flat_workgroup_size: 256
    .name:           _ZN7rocprim17ROCPRIM_400000_NS6detail17trampoline_kernelINS0_14default_configENS1_25partition_config_selectorILNS1_17partition_subalgoE1EiNS0_10empty_typeEbEEZZNS1_14partition_implILS5_1ELb0ES3_jN6thrust23THRUST_200600_302600_NS6detail15normal_iteratorINSA_10device_ptrIiEEEEPS6_NSA_18transform_iteratorI7is_evenIiESF_NSA_11use_defaultESK_EENS0_5tupleIJSF_NSA_16discard_iteratorISK_EEEEENSM_IJSG_SG_EEES6_PlJS6_EEE10hipError_tPvRmT3_T4_T5_T6_T7_T9_mT8_P12ihipStream_tbDpT10_ENKUlT_T0_E_clISt17integral_constantIbLb1EES1A_IbLb0EEEEDaS16_S17_EUlS16_E_NS1_11comp_targetILNS1_3genE0ELNS1_11target_archE4294967295ELNS1_3gpuE0ELNS1_3repE0EEENS1_30default_config_static_selectorELNS0_4arch9wavefront6targetE1EEEvT1_
    .private_segment_fixed_size: 0
    .sgpr_count:     4
    .sgpr_spill_count: 0
    .symbol:         _ZN7rocprim17ROCPRIM_400000_NS6detail17trampoline_kernelINS0_14default_configENS1_25partition_config_selectorILNS1_17partition_subalgoE1EiNS0_10empty_typeEbEEZZNS1_14partition_implILS5_1ELb0ES3_jN6thrust23THRUST_200600_302600_NS6detail15normal_iteratorINSA_10device_ptrIiEEEEPS6_NSA_18transform_iteratorI7is_evenIiESF_NSA_11use_defaultESK_EENS0_5tupleIJSF_NSA_16discard_iteratorISK_EEEEENSM_IJSG_SG_EEES6_PlJS6_EEE10hipError_tPvRmT3_T4_T5_T6_T7_T9_mT8_P12ihipStream_tbDpT10_ENKUlT_T0_E_clISt17integral_constantIbLb1EES1A_IbLb0EEEEDaS16_S17_EUlS16_E_NS1_11comp_targetILNS1_3genE0ELNS1_11target_archE4294967295ELNS1_3gpuE0ELNS1_3repE0EEENS1_30default_config_static_selectorELNS0_4arch9wavefront6targetE1EEEvT1_.kd
    .uniform_work_group_size: 1
    .uses_dynamic_stack: false
    .vgpr_count:     0
    .vgpr_spill_count: 0
    .wavefront_size: 64
  - .agpr_count:     0
    .args:
      - .offset:         0
        .size:           136
        .value_kind:     by_value
    .group_segment_fixed_size: 0
    .kernarg_segment_align: 8
    .kernarg_segment_size: 136
    .language:       OpenCL C
    .language_version:
      - 2
      - 0
    .max_flat_workgroup_size: 512
    .name:           _ZN7rocprim17ROCPRIM_400000_NS6detail17trampoline_kernelINS0_14default_configENS1_25partition_config_selectorILNS1_17partition_subalgoE1EiNS0_10empty_typeEbEEZZNS1_14partition_implILS5_1ELb0ES3_jN6thrust23THRUST_200600_302600_NS6detail15normal_iteratorINSA_10device_ptrIiEEEEPS6_NSA_18transform_iteratorI7is_evenIiESF_NSA_11use_defaultESK_EENS0_5tupleIJSF_NSA_16discard_iteratorISK_EEEEENSM_IJSG_SG_EEES6_PlJS6_EEE10hipError_tPvRmT3_T4_T5_T6_T7_T9_mT8_P12ihipStream_tbDpT10_ENKUlT_T0_E_clISt17integral_constantIbLb1EES1A_IbLb0EEEEDaS16_S17_EUlS16_E_NS1_11comp_targetILNS1_3genE5ELNS1_11target_archE942ELNS1_3gpuE9ELNS1_3repE0EEENS1_30default_config_static_selectorELNS0_4arch9wavefront6targetE1EEEvT1_
    .private_segment_fixed_size: 0
    .sgpr_count:     4
    .sgpr_spill_count: 0
    .symbol:         _ZN7rocprim17ROCPRIM_400000_NS6detail17trampoline_kernelINS0_14default_configENS1_25partition_config_selectorILNS1_17partition_subalgoE1EiNS0_10empty_typeEbEEZZNS1_14partition_implILS5_1ELb0ES3_jN6thrust23THRUST_200600_302600_NS6detail15normal_iteratorINSA_10device_ptrIiEEEEPS6_NSA_18transform_iteratorI7is_evenIiESF_NSA_11use_defaultESK_EENS0_5tupleIJSF_NSA_16discard_iteratorISK_EEEEENSM_IJSG_SG_EEES6_PlJS6_EEE10hipError_tPvRmT3_T4_T5_T6_T7_T9_mT8_P12ihipStream_tbDpT10_ENKUlT_T0_E_clISt17integral_constantIbLb1EES1A_IbLb0EEEEDaS16_S17_EUlS16_E_NS1_11comp_targetILNS1_3genE5ELNS1_11target_archE942ELNS1_3gpuE9ELNS1_3repE0EEENS1_30default_config_static_selectorELNS0_4arch9wavefront6targetE1EEEvT1_.kd
    .uniform_work_group_size: 1
    .uses_dynamic_stack: false
    .vgpr_count:     0
    .vgpr_spill_count: 0
    .wavefront_size: 64
  - .agpr_count:     0
    .args:
      - .offset:         0
        .size:           136
        .value_kind:     by_value
    .group_segment_fixed_size: 7176
    .kernarg_segment_align: 8
    .kernarg_segment_size: 136
    .language:       OpenCL C
    .language_version:
      - 2
      - 0
    .max_flat_workgroup_size: 256
    .name:           _ZN7rocprim17ROCPRIM_400000_NS6detail17trampoline_kernelINS0_14default_configENS1_25partition_config_selectorILNS1_17partition_subalgoE1EiNS0_10empty_typeEbEEZZNS1_14partition_implILS5_1ELb0ES3_jN6thrust23THRUST_200600_302600_NS6detail15normal_iteratorINSA_10device_ptrIiEEEEPS6_NSA_18transform_iteratorI7is_evenIiESF_NSA_11use_defaultESK_EENS0_5tupleIJSF_NSA_16discard_iteratorISK_EEEEENSM_IJSG_SG_EEES6_PlJS6_EEE10hipError_tPvRmT3_T4_T5_T6_T7_T9_mT8_P12ihipStream_tbDpT10_ENKUlT_T0_E_clISt17integral_constantIbLb1EES1A_IbLb0EEEEDaS16_S17_EUlS16_E_NS1_11comp_targetILNS1_3genE4ELNS1_11target_archE910ELNS1_3gpuE8ELNS1_3repE0EEENS1_30default_config_static_selectorELNS0_4arch9wavefront6targetE1EEEvT1_
    .private_segment_fixed_size: 0
    .sgpr_count:     44
    .sgpr_spill_count: 0
    .symbol:         _ZN7rocprim17ROCPRIM_400000_NS6detail17trampoline_kernelINS0_14default_configENS1_25partition_config_selectorILNS1_17partition_subalgoE1EiNS0_10empty_typeEbEEZZNS1_14partition_implILS5_1ELb0ES3_jN6thrust23THRUST_200600_302600_NS6detail15normal_iteratorINSA_10device_ptrIiEEEEPS6_NSA_18transform_iteratorI7is_evenIiESF_NSA_11use_defaultESK_EENS0_5tupleIJSF_NSA_16discard_iteratorISK_EEEEENSM_IJSG_SG_EEES6_PlJS6_EEE10hipError_tPvRmT3_T4_T5_T6_T7_T9_mT8_P12ihipStream_tbDpT10_ENKUlT_T0_E_clISt17integral_constantIbLb1EES1A_IbLb0EEEEDaS16_S17_EUlS16_E_NS1_11comp_targetILNS1_3genE4ELNS1_11target_archE910ELNS1_3gpuE8ELNS1_3repE0EEENS1_30default_config_static_selectorELNS0_4arch9wavefront6targetE1EEEvT1_.kd
    .uniform_work_group_size: 1
    .uses_dynamic_stack: false
    .vgpr_count:     47
    .vgpr_spill_count: 0
    .wavefront_size: 64
  - .agpr_count:     0
    .args:
      - .offset:         0
        .size:           136
        .value_kind:     by_value
    .group_segment_fixed_size: 0
    .kernarg_segment_align: 8
    .kernarg_segment_size: 136
    .language:       OpenCL C
    .language_version:
      - 2
      - 0
    .max_flat_workgroup_size: 256
    .name:           _ZN7rocprim17ROCPRIM_400000_NS6detail17trampoline_kernelINS0_14default_configENS1_25partition_config_selectorILNS1_17partition_subalgoE1EiNS0_10empty_typeEbEEZZNS1_14partition_implILS5_1ELb0ES3_jN6thrust23THRUST_200600_302600_NS6detail15normal_iteratorINSA_10device_ptrIiEEEEPS6_NSA_18transform_iteratorI7is_evenIiESF_NSA_11use_defaultESK_EENS0_5tupleIJSF_NSA_16discard_iteratorISK_EEEEENSM_IJSG_SG_EEES6_PlJS6_EEE10hipError_tPvRmT3_T4_T5_T6_T7_T9_mT8_P12ihipStream_tbDpT10_ENKUlT_T0_E_clISt17integral_constantIbLb1EES1A_IbLb0EEEEDaS16_S17_EUlS16_E_NS1_11comp_targetILNS1_3genE3ELNS1_11target_archE908ELNS1_3gpuE7ELNS1_3repE0EEENS1_30default_config_static_selectorELNS0_4arch9wavefront6targetE1EEEvT1_
    .private_segment_fixed_size: 0
    .sgpr_count:     4
    .sgpr_spill_count: 0
    .symbol:         _ZN7rocprim17ROCPRIM_400000_NS6detail17trampoline_kernelINS0_14default_configENS1_25partition_config_selectorILNS1_17partition_subalgoE1EiNS0_10empty_typeEbEEZZNS1_14partition_implILS5_1ELb0ES3_jN6thrust23THRUST_200600_302600_NS6detail15normal_iteratorINSA_10device_ptrIiEEEEPS6_NSA_18transform_iteratorI7is_evenIiESF_NSA_11use_defaultESK_EENS0_5tupleIJSF_NSA_16discard_iteratorISK_EEEEENSM_IJSG_SG_EEES6_PlJS6_EEE10hipError_tPvRmT3_T4_T5_T6_T7_T9_mT8_P12ihipStream_tbDpT10_ENKUlT_T0_E_clISt17integral_constantIbLb1EES1A_IbLb0EEEEDaS16_S17_EUlS16_E_NS1_11comp_targetILNS1_3genE3ELNS1_11target_archE908ELNS1_3gpuE7ELNS1_3repE0EEENS1_30default_config_static_selectorELNS0_4arch9wavefront6targetE1EEEvT1_.kd
    .uniform_work_group_size: 1
    .uses_dynamic_stack: false
    .vgpr_count:     0
    .vgpr_spill_count: 0
    .wavefront_size: 64
  - .agpr_count:     0
    .args:
      - .offset:         0
        .size:           136
        .value_kind:     by_value
    .group_segment_fixed_size: 0
    .kernarg_segment_align: 8
    .kernarg_segment_size: 136
    .language:       OpenCL C
    .language_version:
      - 2
      - 0
    .max_flat_workgroup_size: 256
    .name:           _ZN7rocprim17ROCPRIM_400000_NS6detail17trampoline_kernelINS0_14default_configENS1_25partition_config_selectorILNS1_17partition_subalgoE1EiNS0_10empty_typeEbEEZZNS1_14partition_implILS5_1ELb0ES3_jN6thrust23THRUST_200600_302600_NS6detail15normal_iteratorINSA_10device_ptrIiEEEEPS6_NSA_18transform_iteratorI7is_evenIiESF_NSA_11use_defaultESK_EENS0_5tupleIJSF_NSA_16discard_iteratorISK_EEEEENSM_IJSG_SG_EEES6_PlJS6_EEE10hipError_tPvRmT3_T4_T5_T6_T7_T9_mT8_P12ihipStream_tbDpT10_ENKUlT_T0_E_clISt17integral_constantIbLb1EES1A_IbLb0EEEEDaS16_S17_EUlS16_E_NS1_11comp_targetILNS1_3genE2ELNS1_11target_archE906ELNS1_3gpuE6ELNS1_3repE0EEENS1_30default_config_static_selectorELNS0_4arch9wavefront6targetE1EEEvT1_
    .private_segment_fixed_size: 0
    .sgpr_count:     4
    .sgpr_spill_count: 0
    .symbol:         _ZN7rocprim17ROCPRIM_400000_NS6detail17trampoline_kernelINS0_14default_configENS1_25partition_config_selectorILNS1_17partition_subalgoE1EiNS0_10empty_typeEbEEZZNS1_14partition_implILS5_1ELb0ES3_jN6thrust23THRUST_200600_302600_NS6detail15normal_iteratorINSA_10device_ptrIiEEEEPS6_NSA_18transform_iteratorI7is_evenIiESF_NSA_11use_defaultESK_EENS0_5tupleIJSF_NSA_16discard_iteratorISK_EEEEENSM_IJSG_SG_EEES6_PlJS6_EEE10hipError_tPvRmT3_T4_T5_T6_T7_T9_mT8_P12ihipStream_tbDpT10_ENKUlT_T0_E_clISt17integral_constantIbLb1EES1A_IbLb0EEEEDaS16_S17_EUlS16_E_NS1_11comp_targetILNS1_3genE2ELNS1_11target_archE906ELNS1_3gpuE6ELNS1_3repE0EEENS1_30default_config_static_selectorELNS0_4arch9wavefront6targetE1EEEvT1_.kd
    .uniform_work_group_size: 1
    .uses_dynamic_stack: false
    .vgpr_count:     0
    .vgpr_spill_count: 0
    .wavefront_size: 64
  - .agpr_count:     0
    .args:
      - .offset:         0
        .size:           136
        .value_kind:     by_value
    .group_segment_fixed_size: 0
    .kernarg_segment_align: 8
    .kernarg_segment_size: 136
    .language:       OpenCL C
    .language_version:
      - 2
      - 0
    .max_flat_workgroup_size: 256
    .name:           _ZN7rocprim17ROCPRIM_400000_NS6detail17trampoline_kernelINS0_14default_configENS1_25partition_config_selectorILNS1_17partition_subalgoE1EiNS0_10empty_typeEbEEZZNS1_14partition_implILS5_1ELb0ES3_jN6thrust23THRUST_200600_302600_NS6detail15normal_iteratorINSA_10device_ptrIiEEEEPS6_NSA_18transform_iteratorI7is_evenIiESF_NSA_11use_defaultESK_EENS0_5tupleIJSF_NSA_16discard_iteratorISK_EEEEENSM_IJSG_SG_EEES6_PlJS6_EEE10hipError_tPvRmT3_T4_T5_T6_T7_T9_mT8_P12ihipStream_tbDpT10_ENKUlT_T0_E_clISt17integral_constantIbLb1EES1A_IbLb0EEEEDaS16_S17_EUlS16_E_NS1_11comp_targetILNS1_3genE10ELNS1_11target_archE1200ELNS1_3gpuE4ELNS1_3repE0EEENS1_30default_config_static_selectorELNS0_4arch9wavefront6targetE1EEEvT1_
    .private_segment_fixed_size: 0
    .sgpr_count:     4
    .sgpr_spill_count: 0
    .symbol:         _ZN7rocprim17ROCPRIM_400000_NS6detail17trampoline_kernelINS0_14default_configENS1_25partition_config_selectorILNS1_17partition_subalgoE1EiNS0_10empty_typeEbEEZZNS1_14partition_implILS5_1ELb0ES3_jN6thrust23THRUST_200600_302600_NS6detail15normal_iteratorINSA_10device_ptrIiEEEEPS6_NSA_18transform_iteratorI7is_evenIiESF_NSA_11use_defaultESK_EENS0_5tupleIJSF_NSA_16discard_iteratorISK_EEEEENSM_IJSG_SG_EEES6_PlJS6_EEE10hipError_tPvRmT3_T4_T5_T6_T7_T9_mT8_P12ihipStream_tbDpT10_ENKUlT_T0_E_clISt17integral_constantIbLb1EES1A_IbLb0EEEEDaS16_S17_EUlS16_E_NS1_11comp_targetILNS1_3genE10ELNS1_11target_archE1200ELNS1_3gpuE4ELNS1_3repE0EEENS1_30default_config_static_selectorELNS0_4arch9wavefront6targetE1EEEvT1_.kd
    .uniform_work_group_size: 1
    .uses_dynamic_stack: false
    .vgpr_count:     0
    .vgpr_spill_count: 0
    .wavefront_size: 64
  - .agpr_count:     0
    .args:
      - .offset:         0
        .size:           136
        .value_kind:     by_value
    .group_segment_fixed_size: 0
    .kernarg_segment_align: 8
    .kernarg_segment_size: 136
    .language:       OpenCL C
    .language_version:
      - 2
      - 0
    .max_flat_workgroup_size: 128
    .name:           _ZN7rocprim17ROCPRIM_400000_NS6detail17trampoline_kernelINS0_14default_configENS1_25partition_config_selectorILNS1_17partition_subalgoE1EiNS0_10empty_typeEbEEZZNS1_14partition_implILS5_1ELb0ES3_jN6thrust23THRUST_200600_302600_NS6detail15normal_iteratorINSA_10device_ptrIiEEEEPS6_NSA_18transform_iteratorI7is_evenIiESF_NSA_11use_defaultESK_EENS0_5tupleIJSF_NSA_16discard_iteratorISK_EEEEENSM_IJSG_SG_EEES6_PlJS6_EEE10hipError_tPvRmT3_T4_T5_T6_T7_T9_mT8_P12ihipStream_tbDpT10_ENKUlT_T0_E_clISt17integral_constantIbLb1EES1A_IbLb0EEEEDaS16_S17_EUlS16_E_NS1_11comp_targetILNS1_3genE9ELNS1_11target_archE1100ELNS1_3gpuE3ELNS1_3repE0EEENS1_30default_config_static_selectorELNS0_4arch9wavefront6targetE1EEEvT1_
    .private_segment_fixed_size: 0
    .sgpr_count:     4
    .sgpr_spill_count: 0
    .symbol:         _ZN7rocprim17ROCPRIM_400000_NS6detail17trampoline_kernelINS0_14default_configENS1_25partition_config_selectorILNS1_17partition_subalgoE1EiNS0_10empty_typeEbEEZZNS1_14partition_implILS5_1ELb0ES3_jN6thrust23THRUST_200600_302600_NS6detail15normal_iteratorINSA_10device_ptrIiEEEEPS6_NSA_18transform_iteratorI7is_evenIiESF_NSA_11use_defaultESK_EENS0_5tupleIJSF_NSA_16discard_iteratorISK_EEEEENSM_IJSG_SG_EEES6_PlJS6_EEE10hipError_tPvRmT3_T4_T5_T6_T7_T9_mT8_P12ihipStream_tbDpT10_ENKUlT_T0_E_clISt17integral_constantIbLb1EES1A_IbLb0EEEEDaS16_S17_EUlS16_E_NS1_11comp_targetILNS1_3genE9ELNS1_11target_archE1100ELNS1_3gpuE3ELNS1_3repE0EEENS1_30default_config_static_selectorELNS0_4arch9wavefront6targetE1EEEvT1_.kd
    .uniform_work_group_size: 1
    .uses_dynamic_stack: false
    .vgpr_count:     0
    .vgpr_spill_count: 0
    .wavefront_size: 64
  - .agpr_count:     0
    .args:
      - .offset:         0
        .size:           136
        .value_kind:     by_value
    .group_segment_fixed_size: 0
    .kernarg_segment_align: 8
    .kernarg_segment_size: 136
    .language:       OpenCL C
    .language_version:
      - 2
      - 0
    .max_flat_workgroup_size: 512
    .name:           _ZN7rocprim17ROCPRIM_400000_NS6detail17trampoline_kernelINS0_14default_configENS1_25partition_config_selectorILNS1_17partition_subalgoE1EiNS0_10empty_typeEbEEZZNS1_14partition_implILS5_1ELb0ES3_jN6thrust23THRUST_200600_302600_NS6detail15normal_iteratorINSA_10device_ptrIiEEEEPS6_NSA_18transform_iteratorI7is_evenIiESF_NSA_11use_defaultESK_EENS0_5tupleIJSF_NSA_16discard_iteratorISK_EEEEENSM_IJSG_SG_EEES6_PlJS6_EEE10hipError_tPvRmT3_T4_T5_T6_T7_T9_mT8_P12ihipStream_tbDpT10_ENKUlT_T0_E_clISt17integral_constantIbLb1EES1A_IbLb0EEEEDaS16_S17_EUlS16_E_NS1_11comp_targetILNS1_3genE8ELNS1_11target_archE1030ELNS1_3gpuE2ELNS1_3repE0EEENS1_30default_config_static_selectorELNS0_4arch9wavefront6targetE1EEEvT1_
    .private_segment_fixed_size: 0
    .sgpr_count:     4
    .sgpr_spill_count: 0
    .symbol:         _ZN7rocprim17ROCPRIM_400000_NS6detail17trampoline_kernelINS0_14default_configENS1_25partition_config_selectorILNS1_17partition_subalgoE1EiNS0_10empty_typeEbEEZZNS1_14partition_implILS5_1ELb0ES3_jN6thrust23THRUST_200600_302600_NS6detail15normal_iteratorINSA_10device_ptrIiEEEEPS6_NSA_18transform_iteratorI7is_evenIiESF_NSA_11use_defaultESK_EENS0_5tupleIJSF_NSA_16discard_iteratorISK_EEEEENSM_IJSG_SG_EEES6_PlJS6_EEE10hipError_tPvRmT3_T4_T5_T6_T7_T9_mT8_P12ihipStream_tbDpT10_ENKUlT_T0_E_clISt17integral_constantIbLb1EES1A_IbLb0EEEEDaS16_S17_EUlS16_E_NS1_11comp_targetILNS1_3genE8ELNS1_11target_archE1030ELNS1_3gpuE2ELNS1_3repE0EEENS1_30default_config_static_selectorELNS0_4arch9wavefront6targetE1EEEvT1_.kd
    .uniform_work_group_size: 1
    .uses_dynamic_stack: false
    .vgpr_count:     0
    .vgpr_spill_count: 0
    .wavefront_size: 64
  - .agpr_count:     0
    .args:
      - .offset:         0
        .size:           152
        .value_kind:     by_value
    .group_segment_fixed_size: 0
    .kernarg_segment_align: 8
    .kernarg_segment_size: 152
    .language:       OpenCL C
    .language_version:
      - 2
      - 0
    .max_flat_workgroup_size: 256
    .name:           _ZN7rocprim17ROCPRIM_400000_NS6detail17trampoline_kernelINS0_14default_configENS1_25partition_config_selectorILNS1_17partition_subalgoE1EiNS0_10empty_typeEbEEZZNS1_14partition_implILS5_1ELb0ES3_jN6thrust23THRUST_200600_302600_NS6detail15normal_iteratorINSA_10device_ptrIiEEEEPS6_NSA_18transform_iteratorI7is_evenIiESF_NSA_11use_defaultESK_EENS0_5tupleIJSF_NSA_16discard_iteratorISK_EEEEENSM_IJSG_SG_EEES6_PlJS6_EEE10hipError_tPvRmT3_T4_T5_T6_T7_T9_mT8_P12ihipStream_tbDpT10_ENKUlT_T0_E_clISt17integral_constantIbLb0EES1A_IbLb1EEEEDaS16_S17_EUlS16_E_NS1_11comp_targetILNS1_3genE0ELNS1_11target_archE4294967295ELNS1_3gpuE0ELNS1_3repE0EEENS1_30default_config_static_selectorELNS0_4arch9wavefront6targetE1EEEvT1_
    .private_segment_fixed_size: 0
    .sgpr_count:     4
    .sgpr_spill_count: 0
    .symbol:         _ZN7rocprim17ROCPRIM_400000_NS6detail17trampoline_kernelINS0_14default_configENS1_25partition_config_selectorILNS1_17partition_subalgoE1EiNS0_10empty_typeEbEEZZNS1_14partition_implILS5_1ELb0ES3_jN6thrust23THRUST_200600_302600_NS6detail15normal_iteratorINSA_10device_ptrIiEEEEPS6_NSA_18transform_iteratorI7is_evenIiESF_NSA_11use_defaultESK_EENS0_5tupleIJSF_NSA_16discard_iteratorISK_EEEEENSM_IJSG_SG_EEES6_PlJS6_EEE10hipError_tPvRmT3_T4_T5_T6_T7_T9_mT8_P12ihipStream_tbDpT10_ENKUlT_T0_E_clISt17integral_constantIbLb0EES1A_IbLb1EEEEDaS16_S17_EUlS16_E_NS1_11comp_targetILNS1_3genE0ELNS1_11target_archE4294967295ELNS1_3gpuE0ELNS1_3repE0EEENS1_30default_config_static_selectorELNS0_4arch9wavefront6targetE1EEEvT1_.kd
    .uniform_work_group_size: 1
    .uses_dynamic_stack: false
    .vgpr_count:     0
    .vgpr_spill_count: 0
    .wavefront_size: 64
  - .agpr_count:     0
    .args:
      - .offset:         0
        .size:           152
        .value_kind:     by_value
    .group_segment_fixed_size: 0
    .kernarg_segment_align: 8
    .kernarg_segment_size: 152
    .language:       OpenCL C
    .language_version:
      - 2
      - 0
    .max_flat_workgroup_size: 512
    .name:           _ZN7rocprim17ROCPRIM_400000_NS6detail17trampoline_kernelINS0_14default_configENS1_25partition_config_selectorILNS1_17partition_subalgoE1EiNS0_10empty_typeEbEEZZNS1_14partition_implILS5_1ELb0ES3_jN6thrust23THRUST_200600_302600_NS6detail15normal_iteratorINSA_10device_ptrIiEEEEPS6_NSA_18transform_iteratorI7is_evenIiESF_NSA_11use_defaultESK_EENS0_5tupleIJSF_NSA_16discard_iteratorISK_EEEEENSM_IJSG_SG_EEES6_PlJS6_EEE10hipError_tPvRmT3_T4_T5_T6_T7_T9_mT8_P12ihipStream_tbDpT10_ENKUlT_T0_E_clISt17integral_constantIbLb0EES1A_IbLb1EEEEDaS16_S17_EUlS16_E_NS1_11comp_targetILNS1_3genE5ELNS1_11target_archE942ELNS1_3gpuE9ELNS1_3repE0EEENS1_30default_config_static_selectorELNS0_4arch9wavefront6targetE1EEEvT1_
    .private_segment_fixed_size: 0
    .sgpr_count:     4
    .sgpr_spill_count: 0
    .symbol:         _ZN7rocprim17ROCPRIM_400000_NS6detail17trampoline_kernelINS0_14default_configENS1_25partition_config_selectorILNS1_17partition_subalgoE1EiNS0_10empty_typeEbEEZZNS1_14partition_implILS5_1ELb0ES3_jN6thrust23THRUST_200600_302600_NS6detail15normal_iteratorINSA_10device_ptrIiEEEEPS6_NSA_18transform_iteratorI7is_evenIiESF_NSA_11use_defaultESK_EENS0_5tupleIJSF_NSA_16discard_iteratorISK_EEEEENSM_IJSG_SG_EEES6_PlJS6_EEE10hipError_tPvRmT3_T4_T5_T6_T7_T9_mT8_P12ihipStream_tbDpT10_ENKUlT_T0_E_clISt17integral_constantIbLb0EES1A_IbLb1EEEEDaS16_S17_EUlS16_E_NS1_11comp_targetILNS1_3genE5ELNS1_11target_archE942ELNS1_3gpuE9ELNS1_3repE0EEENS1_30default_config_static_selectorELNS0_4arch9wavefront6targetE1EEEvT1_.kd
    .uniform_work_group_size: 1
    .uses_dynamic_stack: false
    .vgpr_count:     0
    .vgpr_spill_count: 0
    .wavefront_size: 64
  - .agpr_count:     0
    .args:
      - .offset:         0
        .size:           152
        .value_kind:     by_value
    .group_segment_fixed_size: 7176
    .kernarg_segment_align: 8
    .kernarg_segment_size: 152
    .language:       OpenCL C
    .language_version:
      - 2
      - 0
    .max_flat_workgroup_size: 256
    .name:           _ZN7rocprim17ROCPRIM_400000_NS6detail17trampoline_kernelINS0_14default_configENS1_25partition_config_selectorILNS1_17partition_subalgoE1EiNS0_10empty_typeEbEEZZNS1_14partition_implILS5_1ELb0ES3_jN6thrust23THRUST_200600_302600_NS6detail15normal_iteratorINSA_10device_ptrIiEEEEPS6_NSA_18transform_iteratorI7is_evenIiESF_NSA_11use_defaultESK_EENS0_5tupleIJSF_NSA_16discard_iteratorISK_EEEEENSM_IJSG_SG_EEES6_PlJS6_EEE10hipError_tPvRmT3_T4_T5_T6_T7_T9_mT8_P12ihipStream_tbDpT10_ENKUlT_T0_E_clISt17integral_constantIbLb0EES1A_IbLb1EEEEDaS16_S17_EUlS16_E_NS1_11comp_targetILNS1_3genE4ELNS1_11target_archE910ELNS1_3gpuE8ELNS1_3repE0EEENS1_30default_config_static_selectorELNS0_4arch9wavefront6targetE1EEEvT1_
    .private_segment_fixed_size: 0
    .sgpr_count:     44
    .sgpr_spill_count: 0
    .symbol:         _ZN7rocprim17ROCPRIM_400000_NS6detail17trampoline_kernelINS0_14default_configENS1_25partition_config_selectorILNS1_17partition_subalgoE1EiNS0_10empty_typeEbEEZZNS1_14partition_implILS5_1ELb0ES3_jN6thrust23THRUST_200600_302600_NS6detail15normal_iteratorINSA_10device_ptrIiEEEEPS6_NSA_18transform_iteratorI7is_evenIiESF_NSA_11use_defaultESK_EENS0_5tupleIJSF_NSA_16discard_iteratorISK_EEEEENSM_IJSG_SG_EEES6_PlJS6_EEE10hipError_tPvRmT3_T4_T5_T6_T7_T9_mT8_P12ihipStream_tbDpT10_ENKUlT_T0_E_clISt17integral_constantIbLb0EES1A_IbLb1EEEEDaS16_S17_EUlS16_E_NS1_11comp_targetILNS1_3genE4ELNS1_11target_archE910ELNS1_3gpuE8ELNS1_3repE0EEENS1_30default_config_static_selectorELNS0_4arch9wavefront6targetE1EEEvT1_.kd
    .uniform_work_group_size: 1
    .uses_dynamic_stack: false
    .vgpr_count:     49
    .vgpr_spill_count: 0
    .wavefront_size: 64
  - .agpr_count:     0
    .args:
      - .offset:         0
        .size:           152
        .value_kind:     by_value
    .group_segment_fixed_size: 0
    .kernarg_segment_align: 8
    .kernarg_segment_size: 152
    .language:       OpenCL C
    .language_version:
      - 2
      - 0
    .max_flat_workgroup_size: 256
    .name:           _ZN7rocprim17ROCPRIM_400000_NS6detail17trampoline_kernelINS0_14default_configENS1_25partition_config_selectorILNS1_17partition_subalgoE1EiNS0_10empty_typeEbEEZZNS1_14partition_implILS5_1ELb0ES3_jN6thrust23THRUST_200600_302600_NS6detail15normal_iteratorINSA_10device_ptrIiEEEEPS6_NSA_18transform_iteratorI7is_evenIiESF_NSA_11use_defaultESK_EENS0_5tupleIJSF_NSA_16discard_iteratorISK_EEEEENSM_IJSG_SG_EEES6_PlJS6_EEE10hipError_tPvRmT3_T4_T5_T6_T7_T9_mT8_P12ihipStream_tbDpT10_ENKUlT_T0_E_clISt17integral_constantIbLb0EES1A_IbLb1EEEEDaS16_S17_EUlS16_E_NS1_11comp_targetILNS1_3genE3ELNS1_11target_archE908ELNS1_3gpuE7ELNS1_3repE0EEENS1_30default_config_static_selectorELNS0_4arch9wavefront6targetE1EEEvT1_
    .private_segment_fixed_size: 0
    .sgpr_count:     4
    .sgpr_spill_count: 0
    .symbol:         _ZN7rocprim17ROCPRIM_400000_NS6detail17trampoline_kernelINS0_14default_configENS1_25partition_config_selectorILNS1_17partition_subalgoE1EiNS0_10empty_typeEbEEZZNS1_14partition_implILS5_1ELb0ES3_jN6thrust23THRUST_200600_302600_NS6detail15normal_iteratorINSA_10device_ptrIiEEEEPS6_NSA_18transform_iteratorI7is_evenIiESF_NSA_11use_defaultESK_EENS0_5tupleIJSF_NSA_16discard_iteratorISK_EEEEENSM_IJSG_SG_EEES6_PlJS6_EEE10hipError_tPvRmT3_T4_T5_T6_T7_T9_mT8_P12ihipStream_tbDpT10_ENKUlT_T0_E_clISt17integral_constantIbLb0EES1A_IbLb1EEEEDaS16_S17_EUlS16_E_NS1_11comp_targetILNS1_3genE3ELNS1_11target_archE908ELNS1_3gpuE7ELNS1_3repE0EEENS1_30default_config_static_selectorELNS0_4arch9wavefront6targetE1EEEvT1_.kd
    .uniform_work_group_size: 1
    .uses_dynamic_stack: false
    .vgpr_count:     0
    .vgpr_spill_count: 0
    .wavefront_size: 64
  - .agpr_count:     0
    .args:
      - .offset:         0
        .size:           152
        .value_kind:     by_value
    .group_segment_fixed_size: 0
    .kernarg_segment_align: 8
    .kernarg_segment_size: 152
    .language:       OpenCL C
    .language_version:
      - 2
      - 0
    .max_flat_workgroup_size: 256
    .name:           _ZN7rocprim17ROCPRIM_400000_NS6detail17trampoline_kernelINS0_14default_configENS1_25partition_config_selectorILNS1_17partition_subalgoE1EiNS0_10empty_typeEbEEZZNS1_14partition_implILS5_1ELb0ES3_jN6thrust23THRUST_200600_302600_NS6detail15normal_iteratorINSA_10device_ptrIiEEEEPS6_NSA_18transform_iteratorI7is_evenIiESF_NSA_11use_defaultESK_EENS0_5tupleIJSF_NSA_16discard_iteratorISK_EEEEENSM_IJSG_SG_EEES6_PlJS6_EEE10hipError_tPvRmT3_T4_T5_T6_T7_T9_mT8_P12ihipStream_tbDpT10_ENKUlT_T0_E_clISt17integral_constantIbLb0EES1A_IbLb1EEEEDaS16_S17_EUlS16_E_NS1_11comp_targetILNS1_3genE2ELNS1_11target_archE906ELNS1_3gpuE6ELNS1_3repE0EEENS1_30default_config_static_selectorELNS0_4arch9wavefront6targetE1EEEvT1_
    .private_segment_fixed_size: 0
    .sgpr_count:     4
    .sgpr_spill_count: 0
    .symbol:         _ZN7rocprim17ROCPRIM_400000_NS6detail17trampoline_kernelINS0_14default_configENS1_25partition_config_selectorILNS1_17partition_subalgoE1EiNS0_10empty_typeEbEEZZNS1_14partition_implILS5_1ELb0ES3_jN6thrust23THRUST_200600_302600_NS6detail15normal_iteratorINSA_10device_ptrIiEEEEPS6_NSA_18transform_iteratorI7is_evenIiESF_NSA_11use_defaultESK_EENS0_5tupleIJSF_NSA_16discard_iteratorISK_EEEEENSM_IJSG_SG_EEES6_PlJS6_EEE10hipError_tPvRmT3_T4_T5_T6_T7_T9_mT8_P12ihipStream_tbDpT10_ENKUlT_T0_E_clISt17integral_constantIbLb0EES1A_IbLb1EEEEDaS16_S17_EUlS16_E_NS1_11comp_targetILNS1_3genE2ELNS1_11target_archE906ELNS1_3gpuE6ELNS1_3repE0EEENS1_30default_config_static_selectorELNS0_4arch9wavefront6targetE1EEEvT1_.kd
    .uniform_work_group_size: 1
    .uses_dynamic_stack: false
    .vgpr_count:     0
    .vgpr_spill_count: 0
    .wavefront_size: 64
  - .agpr_count:     0
    .args:
      - .offset:         0
        .size:           152
        .value_kind:     by_value
    .group_segment_fixed_size: 0
    .kernarg_segment_align: 8
    .kernarg_segment_size: 152
    .language:       OpenCL C
    .language_version:
      - 2
      - 0
    .max_flat_workgroup_size: 256
    .name:           _ZN7rocprim17ROCPRIM_400000_NS6detail17trampoline_kernelINS0_14default_configENS1_25partition_config_selectorILNS1_17partition_subalgoE1EiNS0_10empty_typeEbEEZZNS1_14partition_implILS5_1ELb0ES3_jN6thrust23THRUST_200600_302600_NS6detail15normal_iteratorINSA_10device_ptrIiEEEEPS6_NSA_18transform_iteratorI7is_evenIiESF_NSA_11use_defaultESK_EENS0_5tupleIJSF_NSA_16discard_iteratorISK_EEEEENSM_IJSG_SG_EEES6_PlJS6_EEE10hipError_tPvRmT3_T4_T5_T6_T7_T9_mT8_P12ihipStream_tbDpT10_ENKUlT_T0_E_clISt17integral_constantIbLb0EES1A_IbLb1EEEEDaS16_S17_EUlS16_E_NS1_11comp_targetILNS1_3genE10ELNS1_11target_archE1200ELNS1_3gpuE4ELNS1_3repE0EEENS1_30default_config_static_selectorELNS0_4arch9wavefront6targetE1EEEvT1_
    .private_segment_fixed_size: 0
    .sgpr_count:     4
    .sgpr_spill_count: 0
    .symbol:         _ZN7rocprim17ROCPRIM_400000_NS6detail17trampoline_kernelINS0_14default_configENS1_25partition_config_selectorILNS1_17partition_subalgoE1EiNS0_10empty_typeEbEEZZNS1_14partition_implILS5_1ELb0ES3_jN6thrust23THRUST_200600_302600_NS6detail15normal_iteratorINSA_10device_ptrIiEEEEPS6_NSA_18transform_iteratorI7is_evenIiESF_NSA_11use_defaultESK_EENS0_5tupleIJSF_NSA_16discard_iteratorISK_EEEEENSM_IJSG_SG_EEES6_PlJS6_EEE10hipError_tPvRmT3_T4_T5_T6_T7_T9_mT8_P12ihipStream_tbDpT10_ENKUlT_T0_E_clISt17integral_constantIbLb0EES1A_IbLb1EEEEDaS16_S17_EUlS16_E_NS1_11comp_targetILNS1_3genE10ELNS1_11target_archE1200ELNS1_3gpuE4ELNS1_3repE0EEENS1_30default_config_static_selectorELNS0_4arch9wavefront6targetE1EEEvT1_.kd
    .uniform_work_group_size: 1
    .uses_dynamic_stack: false
    .vgpr_count:     0
    .vgpr_spill_count: 0
    .wavefront_size: 64
  - .agpr_count:     0
    .args:
      - .offset:         0
        .size:           152
        .value_kind:     by_value
    .group_segment_fixed_size: 0
    .kernarg_segment_align: 8
    .kernarg_segment_size: 152
    .language:       OpenCL C
    .language_version:
      - 2
      - 0
    .max_flat_workgroup_size: 128
    .name:           _ZN7rocprim17ROCPRIM_400000_NS6detail17trampoline_kernelINS0_14default_configENS1_25partition_config_selectorILNS1_17partition_subalgoE1EiNS0_10empty_typeEbEEZZNS1_14partition_implILS5_1ELb0ES3_jN6thrust23THRUST_200600_302600_NS6detail15normal_iteratorINSA_10device_ptrIiEEEEPS6_NSA_18transform_iteratorI7is_evenIiESF_NSA_11use_defaultESK_EENS0_5tupleIJSF_NSA_16discard_iteratorISK_EEEEENSM_IJSG_SG_EEES6_PlJS6_EEE10hipError_tPvRmT3_T4_T5_T6_T7_T9_mT8_P12ihipStream_tbDpT10_ENKUlT_T0_E_clISt17integral_constantIbLb0EES1A_IbLb1EEEEDaS16_S17_EUlS16_E_NS1_11comp_targetILNS1_3genE9ELNS1_11target_archE1100ELNS1_3gpuE3ELNS1_3repE0EEENS1_30default_config_static_selectorELNS0_4arch9wavefront6targetE1EEEvT1_
    .private_segment_fixed_size: 0
    .sgpr_count:     4
    .sgpr_spill_count: 0
    .symbol:         _ZN7rocprim17ROCPRIM_400000_NS6detail17trampoline_kernelINS0_14default_configENS1_25partition_config_selectorILNS1_17partition_subalgoE1EiNS0_10empty_typeEbEEZZNS1_14partition_implILS5_1ELb0ES3_jN6thrust23THRUST_200600_302600_NS6detail15normal_iteratorINSA_10device_ptrIiEEEEPS6_NSA_18transform_iteratorI7is_evenIiESF_NSA_11use_defaultESK_EENS0_5tupleIJSF_NSA_16discard_iteratorISK_EEEEENSM_IJSG_SG_EEES6_PlJS6_EEE10hipError_tPvRmT3_T4_T5_T6_T7_T9_mT8_P12ihipStream_tbDpT10_ENKUlT_T0_E_clISt17integral_constantIbLb0EES1A_IbLb1EEEEDaS16_S17_EUlS16_E_NS1_11comp_targetILNS1_3genE9ELNS1_11target_archE1100ELNS1_3gpuE3ELNS1_3repE0EEENS1_30default_config_static_selectorELNS0_4arch9wavefront6targetE1EEEvT1_.kd
    .uniform_work_group_size: 1
    .uses_dynamic_stack: false
    .vgpr_count:     0
    .vgpr_spill_count: 0
    .wavefront_size: 64
  - .agpr_count:     0
    .args:
      - .offset:         0
        .size:           152
        .value_kind:     by_value
    .group_segment_fixed_size: 0
    .kernarg_segment_align: 8
    .kernarg_segment_size: 152
    .language:       OpenCL C
    .language_version:
      - 2
      - 0
    .max_flat_workgroup_size: 512
    .name:           _ZN7rocprim17ROCPRIM_400000_NS6detail17trampoline_kernelINS0_14default_configENS1_25partition_config_selectorILNS1_17partition_subalgoE1EiNS0_10empty_typeEbEEZZNS1_14partition_implILS5_1ELb0ES3_jN6thrust23THRUST_200600_302600_NS6detail15normal_iteratorINSA_10device_ptrIiEEEEPS6_NSA_18transform_iteratorI7is_evenIiESF_NSA_11use_defaultESK_EENS0_5tupleIJSF_NSA_16discard_iteratorISK_EEEEENSM_IJSG_SG_EEES6_PlJS6_EEE10hipError_tPvRmT3_T4_T5_T6_T7_T9_mT8_P12ihipStream_tbDpT10_ENKUlT_T0_E_clISt17integral_constantIbLb0EES1A_IbLb1EEEEDaS16_S17_EUlS16_E_NS1_11comp_targetILNS1_3genE8ELNS1_11target_archE1030ELNS1_3gpuE2ELNS1_3repE0EEENS1_30default_config_static_selectorELNS0_4arch9wavefront6targetE1EEEvT1_
    .private_segment_fixed_size: 0
    .sgpr_count:     4
    .sgpr_spill_count: 0
    .symbol:         _ZN7rocprim17ROCPRIM_400000_NS6detail17trampoline_kernelINS0_14default_configENS1_25partition_config_selectorILNS1_17partition_subalgoE1EiNS0_10empty_typeEbEEZZNS1_14partition_implILS5_1ELb0ES3_jN6thrust23THRUST_200600_302600_NS6detail15normal_iteratorINSA_10device_ptrIiEEEEPS6_NSA_18transform_iteratorI7is_evenIiESF_NSA_11use_defaultESK_EENS0_5tupleIJSF_NSA_16discard_iteratorISK_EEEEENSM_IJSG_SG_EEES6_PlJS6_EEE10hipError_tPvRmT3_T4_T5_T6_T7_T9_mT8_P12ihipStream_tbDpT10_ENKUlT_T0_E_clISt17integral_constantIbLb0EES1A_IbLb1EEEEDaS16_S17_EUlS16_E_NS1_11comp_targetILNS1_3genE8ELNS1_11target_archE1030ELNS1_3gpuE2ELNS1_3repE0EEENS1_30default_config_static_selectorELNS0_4arch9wavefront6targetE1EEEvT1_.kd
    .uniform_work_group_size: 1
    .uses_dynamic_stack: false
    .vgpr_count:     0
    .vgpr_spill_count: 0
    .wavefront_size: 64
  - .agpr_count:     0
    .args:
      - .offset:         0
        .size:           136
        .value_kind:     by_value
    .group_segment_fixed_size: 0
    .kernarg_segment_align: 8
    .kernarg_segment_size: 136
    .language:       OpenCL C
    .language_version:
      - 2
      - 0
    .max_flat_workgroup_size: 256
    .name:           _ZN7rocprim17ROCPRIM_400000_NS6detail17trampoline_kernelINS0_14default_configENS1_25partition_config_selectorILNS1_17partition_subalgoE1EiNS0_10empty_typeEbEEZZNS1_14partition_implILS5_1ELb0ES3_jN6thrust23THRUST_200600_302600_NS6detail15normal_iteratorINSA_10device_ptrIiEEEEPS6_NSA_18transform_iteratorI7is_evenIiESF_NSA_11use_defaultESK_EENS0_5tupleIJNSA_16discard_iteratorISK_EESF_EEENSM_IJSG_SG_EEES6_PlJS6_EEE10hipError_tPvRmT3_T4_T5_T6_T7_T9_mT8_P12ihipStream_tbDpT10_ENKUlT_T0_E_clISt17integral_constantIbLb0EES1B_EEDaS16_S17_EUlS16_E_NS1_11comp_targetILNS1_3genE0ELNS1_11target_archE4294967295ELNS1_3gpuE0ELNS1_3repE0EEENS1_30default_config_static_selectorELNS0_4arch9wavefront6targetE1EEEvT1_
    .private_segment_fixed_size: 0
    .sgpr_count:     4
    .sgpr_spill_count: 0
    .symbol:         _ZN7rocprim17ROCPRIM_400000_NS6detail17trampoline_kernelINS0_14default_configENS1_25partition_config_selectorILNS1_17partition_subalgoE1EiNS0_10empty_typeEbEEZZNS1_14partition_implILS5_1ELb0ES3_jN6thrust23THRUST_200600_302600_NS6detail15normal_iteratorINSA_10device_ptrIiEEEEPS6_NSA_18transform_iteratorI7is_evenIiESF_NSA_11use_defaultESK_EENS0_5tupleIJNSA_16discard_iteratorISK_EESF_EEENSM_IJSG_SG_EEES6_PlJS6_EEE10hipError_tPvRmT3_T4_T5_T6_T7_T9_mT8_P12ihipStream_tbDpT10_ENKUlT_T0_E_clISt17integral_constantIbLb0EES1B_EEDaS16_S17_EUlS16_E_NS1_11comp_targetILNS1_3genE0ELNS1_11target_archE4294967295ELNS1_3gpuE0ELNS1_3repE0EEENS1_30default_config_static_selectorELNS0_4arch9wavefront6targetE1EEEvT1_.kd
    .uniform_work_group_size: 1
    .uses_dynamic_stack: false
    .vgpr_count:     0
    .vgpr_spill_count: 0
    .wavefront_size: 64
  - .agpr_count:     0
    .args:
      - .offset:         0
        .size:           136
        .value_kind:     by_value
    .group_segment_fixed_size: 0
    .kernarg_segment_align: 8
    .kernarg_segment_size: 136
    .language:       OpenCL C
    .language_version:
      - 2
      - 0
    .max_flat_workgroup_size: 512
    .name:           _ZN7rocprim17ROCPRIM_400000_NS6detail17trampoline_kernelINS0_14default_configENS1_25partition_config_selectorILNS1_17partition_subalgoE1EiNS0_10empty_typeEbEEZZNS1_14partition_implILS5_1ELb0ES3_jN6thrust23THRUST_200600_302600_NS6detail15normal_iteratorINSA_10device_ptrIiEEEEPS6_NSA_18transform_iteratorI7is_evenIiESF_NSA_11use_defaultESK_EENS0_5tupleIJNSA_16discard_iteratorISK_EESF_EEENSM_IJSG_SG_EEES6_PlJS6_EEE10hipError_tPvRmT3_T4_T5_T6_T7_T9_mT8_P12ihipStream_tbDpT10_ENKUlT_T0_E_clISt17integral_constantIbLb0EES1B_EEDaS16_S17_EUlS16_E_NS1_11comp_targetILNS1_3genE5ELNS1_11target_archE942ELNS1_3gpuE9ELNS1_3repE0EEENS1_30default_config_static_selectorELNS0_4arch9wavefront6targetE1EEEvT1_
    .private_segment_fixed_size: 0
    .sgpr_count:     4
    .sgpr_spill_count: 0
    .symbol:         _ZN7rocprim17ROCPRIM_400000_NS6detail17trampoline_kernelINS0_14default_configENS1_25partition_config_selectorILNS1_17partition_subalgoE1EiNS0_10empty_typeEbEEZZNS1_14partition_implILS5_1ELb0ES3_jN6thrust23THRUST_200600_302600_NS6detail15normal_iteratorINSA_10device_ptrIiEEEEPS6_NSA_18transform_iteratorI7is_evenIiESF_NSA_11use_defaultESK_EENS0_5tupleIJNSA_16discard_iteratorISK_EESF_EEENSM_IJSG_SG_EEES6_PlJS6_EEE10hipError_tPvRmT3_T4_T5_T6_T7_T9_mT8_P12ihipStream_tbDpT10_ENKUlT_T0_E_clISt17integral_constantIbLb0EES1B_EEDaS16_S17_EUlS16_E_NS1_11comp_targetILNS1_3genE5ELNS1_11target_archE942ELNS1_3gpuE9ELNS1_3repE0EEENS1_30default_config_static_selectorELNS0_4arch9wavefront6targetE1EEEvT1_.kd
    .uniform_work_group_size: 1
    .uses_dynamic_stack: false
    .vgpr_count:     0
    .vgpr_spill_count: 0
    .wavefront_size: 64
  - .agpr_count:     0
    .args:
      - .offset:         0
        .size:           136
        .value_kind:     by_value
    .group_segment_fixed_size: 7176
    .kernarg_segment_align: 8
    .kernarg_segment_size: 136
    .language:       OpenCL C
    .language_version:
      - 2
      - 0
    .max_flat_workgroup_size: 256
    .name:           _ZN7rocprim17ROCPRIM_400000_NS6detail17trampoline_kernelINS0_14default_configENS1_25partition_config_selectorILNS1_17partition_subalgoE1EiNS0_10empty_typeEbEEZZNS1_14partition_implILS5_1ELb0ES3_jN6thrust23THRUST_200600_302600_NS6detail15normal_iteratorINSA_10device_ptrIiEEEEPS6_NSA_18transform_iteratorI7is_evenIiESF_NSA_11use_defaultESK_EENS0_5tupleIJNSA_16discard_iteratorISK_EESF_EEENSM_IJSG_SG_EEES6_PlJS6_EEE10hipError_tPvRmT3_T4_T5_T6_T7_T9_mT8_P12ihipStream_tbDpT10_ENKUlT_T0_E_clISt17integral_constantIbLb0EES1B_EEDaS16_S17_EUlS16_E_NS1_11comp_targetILNS1_3genE4ELNS1_11target_archE910ELNS1_3gpuE8ELNS1_3repE0EEENS1_30default_config_static_selectorELNS0_4arch9wavefront6targetE1EEEvT1_
    .private_segment_fixed_size: 0
    .sgpr_count:     48
    .sgpr_spill_count: 0
    .symbol:         _ZN7rocprim17ROCPRIM_400000_NS6detail17trampoline_kernelINS0_14default_configENS1_25partition_config_selectorILNS1_17partition_subalgoE1EiNS0_10empty_typeEbEEZZNS1_14partition_implILS5_1ELb0ES3_jN6thrust23THRUST_200600_302600_NS6detail15normal_iteratorINSA_10device_ptrIiEEEEPS6_NSA_18transform_iteratorI7is_evenIiESF_NSA_11use_defaultESK_EENS0_5tupleIJNSA_16discard_iteratorISK_EESF_EEENSM_IJSG_SG_EEES6_PlJS6_EEE10hipError_tPvRmT3_T4_T5_T6_T7_T9_mT8_P12ihipStream_tbDpT10_ENKUlT_T0_E_clISt17integral_constantIbLb0EES1B_EEDaS16_S17_EUlS16_E_NS1_11comp_targetILNS1_3genE4ELNS1_11target_archE910ELNS1_3gpuE8ELNS1_3repE0EEENS1_30default_config_static_selectorELNS0_4arch9wavefront6targetE1EEEvT1_.kd
    .uniform_work_group_size: 1
    .uses_dynamic_stack: false
    .vgpr_count:     47
    .vgpr_spill_count: 0
    .wavefront_size: 64
  - .agpr_count:     0
    .args:
      - .offset:         0
        .size:           136
        .value_kind:     by_value
    .group_segment_fixed_size: 0
    .kernarg_segment_align: 8
    .kernarg_segment_size: 136
    .language:       OpenCL C
    .language_version:
      - 2
      - 0
    .max_flat_workgroup_size: 256
    .name:           _ZN7rocprim17ROCPRIM_400000_NS6detail17trampoline_kernelINS0_14default_configENS1_25partition_config_selectorILNS1_17partition_subalgoE1EiNS0_10empty_typeEbEEZZNS1_14partition_implILS5_1ELb0ES3_jN6thrust23THRUST_200600_302600_NS6detail15normal_iteratorINSA_10device_ptrIiEEEEPS6_NSA_18transform_iteratorI7is_evenIiESF_NSA_11use_defaultESK_EENS0_5tupleIJNSA_16discard_iteratorISK_EESF_EEENSM_IJSG_SG_EEES6_PlJS6_EEE10hipError_tPvRmT3_T4_T5_T6_T7_T9_mT8_P12ihipStream_tbDpT10_ENKUlT_T0_E_clISt17integral_constantIbLb0EES1B_EEDaS16_S17_EUlS16_E_NS1_11comp_targetILNS1_3genE3ELNS1_11target_archE908ELNS1_3gpuE7ELNS1_3repE0EEENS1_30default_config_static_selectorELNS0_4arch9wavefront6targetE1EEEvT1_
    .private_segment_fixed_size: 0
    .sgpr_count:     4
    .sgpr_spill_count: 0
    .symbol:         _ZN7rocprim17ROCPRIM_400000_NS6detail17trampoline_kernelINS0_14default_configENS1_25partition_config_selectorILNS1_17partition_subalgoE1EiNS0_10empty_typeEbEEZZNS1_14partition_implILS5_1ELb0ES3_jN6thrust23THRUST_200600_302600_NS6detail15normal_iteratorINSA_10device_ptrIiEEEEPS6_NSA_18transform_iteratorI7is_evenIiESF_NSA_11use_defaultESK_EENS0_5tupleIJNSA_16discard_iteratorISK_EESF_EEENSM_IJSG_SG_EEES6_PlJS6_EEE10hipError_tPvRmT3_T4_T5_T6_T7_T9_mT8_P12ihipStream_tbDpT10_ENKUlT_T0_E_clISt17integral_constantIbLb0EES1B_EEDaS16_S17_EUlS16_E_NS1_11comp_targetILNS1_3genE3ELNS1_11target_archE908ELNS1_3gpuE7ELNS1_3repE0EEENS1_30default_config_static_selectorELNS0_4arch9wavefront6targetE1EEEvT1_.kd
    .uniform_work_group_size: 1
    .uses_dynamic_stack: false
    .vgpr_count:     0
    .vgpr_spill_count: 0
    .wavefront_size: 64
  - .agpr_count:     0
    .args:
      - .offset:         0
        .size:           136
        .value_kind:     by_value
    .group_segment_fixed_size: 0
    .kernarg_segment_align: 8
    .kernarg_segment_size: 136
    .language:       OpenCL C
    .language_version:
      - 2
      - 0
    .max_flat_workgroup_size: 256
    .name:           _ZN7rocprim17ROCPRIM_400000_NS6detail17trampoline_kernelINS0_14default_configENS1_25partition_config_selectorILNS1_17partition_subalgoE1EiNS0_10empty_typeEbEEZZNS1_14partition_implILS5_1ELb0ES3_jN6thrust23THRUST_200600_302600_NS6detail15normal_iteratorINSA_10device_ptrIiEEEEPS6_NSA_18transform_iteratorI7is_evenIiESF_NSA_11use_defaultESK_EENS0_5tupleIJNSA_16discard_iteratorISK_EESF_EEENSM_IJSG_SG_EEES6_PlJS6_EEE10hipError_tPvRmT3_T4_T5_T6_T7_T9_mT8_P12ihipStream_tbDpT10_ENKUlT_T0_E_clISt17integral_constantIbLb0EES1B_EEDaS16_S17_EUlS16_E_NS1_11comp_targetILNS1_3genE2ELNS1_11target_archE906ELNS1_3gpuE6ELNS1_3repE0EEENS1_30default_config_static_selectorELNS0_4arch9wavefront6targetE1EEEvT1_
    .private_segment_fixed_size: 0
    .sgpr_count:     4
    .sgpr_spill_count: 0
    .symbol:         _ZN7rocprim17ROCPRIM_400000_NS6detail17trampoline_kernelINS0_14default_configENS1_25partition_config_selectorILNS1_17partition_subalgoE1EiNS0_10empty_typeEbEEZZNS1_14partition_implILS5_1ELb0ES3_jN6thrust23THRUST_200600_302600_NS6detail15normal_iteratorINSA_10device_ptrIiEEEEPS6_NSA_18transform_iteratorI7is_evenIiESF_NSA_11use_defaultESK_EENS0_5tupleIJNSA_16discard_iteratorISK_EESF_EEENSM_IJSG_SG_EEES6_PlJS6_EEE10hipError_tPvRmT3_T4_T5_T6_T7_T9_mT8_P12ihipStream_tbDpT10_ENKUlT_T0_E_clISt17integral_constantIbLb0EES1B_EEDaS16_S17_EUlS16_E_NS1_11comp_targetILNS1_3genE2ELNS1_11target_archE906ELNS1_3gpuE6ELNS1_3repE0EEENS1_30default_config_static_selectorELNS0_4arch9wavefront6targetE1EEEvT1_.kd
    .uniform_work_group_size: 1
    .uses_dynamic_stack: false
    .vgpr_count:     0
    .vgpr_spill_count: 0
    .wavefront_size: 64
  - .agpr_count:     0
    .args:
      - .offset:         0
        .size:           136
        .value_kind:     by_value
    .group_segment_fixed_size: 0
    .kernarg_segment_align: 8
    .kernarg_segment_size: 136
    .language:       OpenCL C
    .language_version:
      - 2
      - 0
    .max_flat_workgroup_size: 256
    .name:           _ZN7rocprim17ROCPRIM_400000_NS6detail17trampoline_kernelINS0_14default_configENS1_25partition_config_selectorILNS1_17partition_subalgoE1EiNS0_10empty_typeEbEEZZNS1_14partition_implILS5_1ELb0ES3_jN6thrust23THRUST_200600_302600_NS6detail15normal_iteratorINSA_10device_ptrIiEEEEPS6_NSA_18transform_iteratorI7is_evenIiESF_NSA_11use_defaultESK_EENS0_5tupleIJNSA_16discard_iteratorISK_EESF_EEENSM_IJSG_SG_EEES6_PlJS6_EEE10hipError_tPvRmT3_T4_T5_T6_T7_T9_mT8_P12ihipStream_tbDpT10_ENKUlT_T0_E_clISt17integral_constantIbLb0EES1B_EEDaS16_S17_EUlS16_E_NS1_11comp_targetILNS1_3genE10ELNS1_11target_archE1200ELNS1_3gpuE4ELNS1_3repE0EEENS1_30default_config_static_selectorELNS0_4arch9wavefront6targetE1EEEvT1_
    .private_segment_fixed_size: 0
    .sgpr_count:     4
    .sgpr_spill_count: 0
    .symbol:         _ZN7rocprim17ROCPRIM_400000_NS6detail17trampoline_kernelINS0_14default_configENS1_25partition_config_selectorILNS1_17partition_subalgoE1EiNS0_10empty_typeEbEEZZNS1_14partition_implILS5_1ELb0ES3_jN6thrust23THRUST_200600_302600_NS6detail15normal_iteratorINSA_10device_ptrIiEEEEPS6_NSA_18transform_iteratorI7is_evenIiESF_NSA_11use_defaultESK_EENS0_5tupleIJNSA_16discard_iteratorISK_EESF_EEENSM_IJSG_SG_EEES6_PlJS6_EEE10hipError_tPvRmT3_T4_T5_T6_T7_T9_mT8_P12ihipStream_tbDpT10_ENKUlT_T0_E_clISt17integral_constantIbLb0EES1B_EEDaS16_S17_EUlS16_E_NS1_11comp_targetILNS1_3genE10ELNS1_11target_archE1200ELNS1_3gpuE4ELNS1_3repE0EEENS1_30default_config_static_selectorELNS0_4arch9wavefront6targetE1EEEvT1_.kd
    .uniform_work_group_size: 1
    .uses_dynamic_stack: false
    .vgpr_count:     0
    .vgpr_spill_count: 0
    .wavefront_size: 64
  - .agpr_count:     0
    .args:
      - .offset:         0
        .size:           136
        .value_kind:     by_value
    .group_segment_fixed_size: 0
    .kernarg_segment_align: 8
    .kernarg_segment_size: 136
    .language:       OpenCL C
    .language_version:
      - 2
      - 0
    .max_flat_workgroup_size: 128
    .name:           _ZN7rocprim17ROCPRIM_400000_NS6detail17trampoline_kernelINS0_14default_configENS1_25partition_config_selectorILNS1_17partition_subalgoE1EiNS0_10empty_typeEbEEZZNS1_14partition_implILS5_1ELb0ES3_jN6thrust23THRUST_200600_302600_NS6detail15normal_iteratorINSA_10device_ptrIiEEEEPS6_NSA_18transform_iteratorI7is_evenIiESF_NSA_11use_defaultESK_EENS0_5tupleIJNSA_16discard_iteratorISK_EESF_EEENSM_IJSG_SG_EEES6_PlJS6_EEE10hipError_tPvRmT3_T4_T5_T6_T7_T9_mT8_P12ihipStream_tbDpT10_ENKUlT_T0_E_clISt17integral_constantIbLb0EES1B_EEDaS16_S17_EUlS16_E_NS1_11comp_targetILNS1_3genE9ELNS1_11target_archE1100ELNS1_3gpuE3ELNS1_3repE0EEENS1_30default_config_static_selectorELNS0_4arch9wavefront6targetE1EEEvT1_
    .private_segment_fixed_size: 0
    .sgpr_count:     4
    .sgpr_spill_count: 0
    .symbol:         _ZN7rocprim17ROCPRIM_400000_NS6detail17trampoline_kernelINS0_14default_configENS1_25partition_config_selectorILNS1_17partition_subalgoE1EiNS0_10empty_typeEbEEZZNS1_14partition_implILS5_1ELb0ES3_jN6thrust23THRUST_200600_302600_NS6detail15normal_iteratorINSA_10device_ptrIiEEEEPS6_NSA_18transform_iteratorI7is_evenIiESF_NSA_11use_defaultESK_EENS0_5tupleIJNSA_16discard_iteratorISK_EESF_EEENSM_IJSG_SG_EEES6_PlJS6_EEE10hipError_tPvRmT3_T4_T5_T6_T7_T9_mT8_P12ihipStream_tbDpT10_ENKUlT_T0_E_clISt17integral_constantIbLb0EES1B_EEDaS16_S17_EUlS16_E_NS1_11comp_targetILNS1_3genE9ELNS1_11target_archE1100ELNS1_3gpuE3ELNS1_3repE0EEENS1_30default_config_static_selectorELNS0_4arch9wavefront6targetE1EEEvT1_.kd
    .uniform_work_group_size: 1
    .uses_dynamic_stack: false
    .vgpr_count:     0
    .vgpr_spill_count: 0
    .wavefront_size: 64
  - .agpr_count:     0
    .args:
      - .offset:         0
        .size:           136
        .value_kind:     by_value
    .group_segment_fixed_size: 0
    .kernarg_segment_align: 8
    .kernarg_segment_size: 136
    .language:       OpenCL C
    .language_version:
      - 2
      - 0
    .max_flat_workgroup_size: 512
    .name:           _ZN7rocprim17ROCPRIM_400000_NS6detail17trampoline_kernelINS0_14default_configENS1_25partition_config_selectorILNS1_17partition_subalgoE1EiNS0_10empty_typeEbEEZZNS1_14partition_implILS5_1ELb0ES3_jN6thrust23THRUST_200600_302600_NS6detail15normal_iteratorINSA_10device_ptrIiEEEEPS6_NSA_18transform_iteratorI7is_evenIiESF_NSA_11use_defaultESK_EENS0_5tupleIJNSA_16discard_iteratorISK_EESF_EEENSM_IJSG_SG_EEES6_PlJS6_EEE10hipError_tPvRmT3_T4_T5_T6_T7_T9_mT8_P12ihipStream_tbDpT10_ENKUlT_T0_E_clISt17integral_constantIbLb0EES1B_EEDaS16_S17_EUlS16_E_NS1_11comp_targetILNS1_3genE8ELNS1_11target_archE1030ELNS1_3gpuE2ELNS1_3repE0EEENS1_30default_config_static_selectorELNS0_4arch9wavefront6targetE1EEEvT1_
    .private_segment_fixed_size: 0
    .sgpr_count:     4
    .sgpr_spill_count: 0
    .symbol:         _ZN7rocprim17ROCPRIM_400000_NS6detail17trampoline_kernelINS0_14default_configENS1_25partition_config_selectorILNS1_17partition_subalgoE1EiNS0_10empty_typeEbEEZZNS1_14partition_implILS5_1ELb0ES3_jN6thrust23THRUST_200600_302600_NS6detail15normal_iteratorINSA_10device_ptrIiEEEEPS6_NSA_18transform_iteratorI7is_evenIiESF_NSA_11use_defaultESK_EENS0_5tupleIJNSA_16discard_iteratorISK_EESF_EEENSM_IJSG_SG_EEES6_PlJS6_EEE10hipError_tPvRmT3_T4_T5_T6_T7_T9_mT8_P12ihipStream_tbDpT10_ENKUlT_T0_E_clISt17integral_constantIbLb0EES1B_EEDaS16_S17_EUlS16_E_NS1_11comp_targetILNS1_3genE8ELNS1_11target_archE1030ELNS1_3gpuE2ELNS1_3repE0EEENS1_30default_config_static_selectorELNS0_4arch9wavefront6targetE1EEEvT1_.kd
    .uniform_work_group_size: 1
    .uses_dynamic_stack: false
    .vgpr_count:     0
    .vgpr_spill_count: 0
    .wavefront_size: 64
  - .agpr_count:     0
    .args:
      - .offset:         0
        .size:           152
        .value_kind:     by_value
    .group_segment_fixed_size: 0
    .kernarg_segment_align: 8
    .kernarg_segment_size: 152
    .language:       OpenCL C
    .language_version:
      - 2
      - 0
    .max_flat_workgroup_size: 256
    .name:           _ZN7rocprim17ROCPRIM_400000_NS6detail17trampoline_kernelINS0_14default_configENS1_25partition_config_selectorILNS1_17partition_subalgoE1EiNS0_10empty_typeEbEEZZNS1_14partition_implILS5_1ELb0ES3_jN6thrust23THRUST_200600_302600_NS6detail15normal_iteratorINSA_10device_ptrIiEEEEPS6_NSA_18transform_iteratorI7is_evenIiESF_NSA_11use_defaultESK_EENS0_5tupleIJNSA_16discard_iteratorISK_EESF_EEENSM_IJSG_SG_EEES6_PlJS6_EEE10hipError_tPvRmT3_T4_T5_T6_T7_T9_mT8_P12ihipStream_tbDpT10_ENKUlT_T0_E_clISt17integral_constantIbLb1EES1B_EEDaS16_S17_EUlS16_E_NS1_11comp_targetILNS1_3genE0ELNS1_11target_archE4294967295ELNS1_3gpuE0ELNS1_3repE0EEENS1_30default_config_static_selectorELNS0_4arch9wavefront6targetE1EEEvT1_
    .private_segment_fixed_size: 0
    .sgpr_count:     4
    .sgpr_spill_count: 0
    .symbol:         _ZN7rocprim17ROCPRIM_400000_NS6detail17trampoline_kernelINS0_14default_configENS1_25partition_config_selectorILNS1_17partition_subalgoE1EiNS0_10empty_typeEbEEZZNS1_14partition_implILS5_1ELb0ES3_jN6thrust23THRUST_200600_302600_NS6detail15normal_iteratorINSA_10device_ptrIiEEEEPS6_NSA_18transform_iteratorI7is_evenIiESF_NSA_11use_defaultESK_EENS0_5tupleIJNSA_16discard_iteratorISK_EESF_EEENSM_IJSG_SG_EEES6_PlJS6_EEE10hipError_tPvRmT3_T4_T5_T6_T7_T9_mT8_P12ihipStream_tbDpT10_ENKUlT_T0_E_clISt17integral_constantIbLb1EES1B_EEDaS16_S17_EUlS16_E_NS1_11comp_targetILNS1_3genE0ELNS1_11target_archE4294967295ELNS1_3gpuE0ELNS1_3repE0EEENS1_30default_config_static_selectorELNS0_4arch9wavefront6targetE1EEEvT1_.kd
    .uniform_work_group_size: 1
    .uses_dynamic_stack: false
    .vgpr_count:     0
    .vgpr_spill_count: 0
    .wavefront_size: 64
  - .agpr_count:     0
    .args:
      - .offset:         0
        .size:           152
        .value_kind:     by_value
    .group_segment_fixed_size: 0
    .kernarg_segment_align: 8
    .kernarg_segment_size: 152
    .language:       OpenCL C
    .language_version:
      - 2
      - 0
    .max_flat_workgroup_size: 512
    .name:           _ZN7rocprim17ROCPRIM_400000_NS6detail17trampoline_kernelINS0_14default_configENS1_25partition_config_selectorILNS1_17partition_subalgoE1EiNS0_10empty_typeEbEEZZNS1_14partition_implILS5_1ELb0ES3_jN6thrust23THRUST_200600_302600_NS6detail15normal_iteratorINSA_10device_ptrIiEEEEPS6_NSA_18transform_iteratorI7is_evenIiESF_NSA_11use_defaultESK_EENS0_5tupleIJNSA_16discard_iteratorISK_EESF_EEENSM_IJSG_SG_EEES6_PlJS6_EEE10hipError_tPvRmT3_T4_T5_T6_T7_T9_mT8_P12ihipStream_tbDpT10_ENKUlT_T0_E_clISt17integral_constantIbLb1EES1B_EEDaS16_S17_EUlS16_E_NS1_11comp_targetILNS1_3genE5ELNS1_11target_archE942ELNS1_3gpuE9ELNS1_3repE0EEENS1_30default_config_static_selectorELNS0_4arch9wavefront6targetE1EEEvT1_
    .private_segment_fixed_size: 0
    .sgpr_count:     4
    .sgpr_spill_count: 0
    .symbol:         _ZN7rocprim17ROCPRIM_400000_NS6detail17trampoline_kernelINS0_14default_configENS1_25partition_config_selectorILNS1_17partition_subalgoE1EiNS0_10empty_typeEbEEZZNS1_14partition_implILS5_1ELb0ES3_jN6thrust23THRUST_200600_302600_NS6detail15normal_iteratorINSA_10device_ptrIiEEEEPS6_NSA_18transform_iteratorI7is_evenIiESF_NSA_11use_defaultESK_EENS0_5tupleIJNSA_16discard_iteratorISK_EESF_EEENSM_IJSG_SG_EEES6_PlJS6_EEE10hipError_tPvRmT3_T4_T5_T6_T7_T9_mT8_P12ihipStream_tbDpT10_ENKUlT_T0_E_clISt17integral_constantIbLb1EES1B_EEDaS16_S17_EUlS16_E_NS1_11comp_targetILNS1_3genE5ELNS1_11target_archE942ELNS1_3gpuE9ELNS1_3repE0EEENS1_30default_config_static_selectorELNS0_4arch9wavefront6targetE1EEEvT1_.kd
    .uniform_work_group_size: 1
    .uses_dynamic_stack: false
    .vgpr_count:     0
    .vgpr_spill_count: 0
    .wavefront_size: 64
  - .agpr_count:     0
    .args:
      - .offset:         0
        .size:           152
        .value_kind:     by_value
    .group_segment_fixed_size: 7176
    .kernarg_segment_align: 8
    .kernarg_segment_size: 152
    .language:       OpenCL C
    .language_version:
      - 2
      - 0
    .max_flat_workgroup_size: 256
    .name:           _ZN7rocprim17ROCPRIM_400000_NS6detail17trampoline_kernelINS0_14default_configENS1_25partition_config_selectorILNS1_17partition_subalgoE1EiNS0_10empty_typeEbEEZZNS1_14partition_implILS5_1ELb0ES3_jN6thrust23THRUST_200600_302600_NS6detail15normal_iteratorINSA_10device_ptrIiEEEEPS6_NSA_18transform_iteratorI7is_evenIiESF_NSA_11use_defaultESK_EENS0_5tupleIJNSA_16discard_iteratorISK_EESF_EEENSM_IJSG_SG_EEES6_PlJS6_EEE10hipError_tPvRmT3_T4_T5_T6_T7_T9_mT8_P12ihipStream_tbDpT10_ENKUlT_T0_E_clISt17integral_constantIbLb1EES1B_EEDaS16_S17_EUlS16_E_NS1_11comp_targetILNS1_3genE4ELNS1_11target_archE910ELNS1_3gpuE8ELNS1_3repE0EEENS1_30default_config_static_selectorELNS0_4arch9wavefront6targetE1EEEvT1_
    .private_segment_fixed_size: 0
    .sgpr_count:     46
    .sgpr_spill_count: 0
    .symbol:         _ZN7rocprim17ROCPRIM_400000_NS6detail17trampoline_kernelINS0_14default_configENS1_25partition_config_selectorILNS1_17partition_subalgoE1EiNS0_10empty_typeEbEEZZNS1_14partition_implILS5_1ELb0ES3_jN6thrust23THRUST_200600_302600_NS6detail15normal_iteratorINSA_10device_ptrIiEEEEPS6_NSA_18transform_iteratorI7is_evenIiESF_NSA_11use_defaultESK_EENS0_5tupleIJNSA_16discard_iteratorISK_EESF_EEENSM_IJSG_SG_EEES6_PlJS6_EEE10hipError_tPvRmT3_T4_T5_T6_T7_T9_mT8_P12ihipStream_tbDpT10_ENKUlT_T0_E_clISt17integral_constantIbLb1EES1B_EEDaS16_S17_EUlS16_E_NS1_11comp_targetILNS1_3genE4ELNS1_11target_archE910ELNS1_3gpuE8ELNS1_3repE0EEENS1_30default_config_static_selectorELNS0_4arch9wavefront6targetE1EEEvT1_.kd
    .uniform_work_group_size: 1
    .uses_dynamic_stack: false
    .vgpr_count:     51
    .vgpr_spill_count: 0
    .wavefront_size: 64
  - .agpr_count:     0
    .args:
      - .offset:         0
        .size:           152
        .value_kind:     by_value
    .group_segment_fixed_size: 0
    .kernarg_segment_align: 8
    .kernarg_segment_size: 152
    .language:       OpenCL C
    .language_version:
      - 2
      - 0
    .max_flat_workgroup_size: 256
    .name:           _ZN7rocprim17ROCPRIM_400000_NS6detail17trampoline_kernelINS0_14default_configENS1_25partition_config_selectorILNS1_17partition_subalgoE1EiNS0_10empty_typeEbEEZZNS1_14partition_implILS5_1ELb0ES3_jN6thrust23THRUST_200600_302600_NS6detail15normal_iteratorINSA_10device_ptrIiEEEEPS6_NSA_18transform_iteratorI7is_evenIiESF_NSA_11use_defaultESK_EENS0_5tupleIJNSA_16discard_iteratorISK_EESF_EEENSM_IJSG_SG_EEES6_PlJS6_EEE10hipError_tPvRmT3_T4_T5_T6_T7_T9_mT8_P12ihipStream_tbDpT10_ENKUlT_T0_E_clISt17integral_constantIbLb1EES1B_EEDaS16_S17_EUlS16_E_NS1_11comp_targetILNS1_3genE3ELNS1_11target_archE908ELNS1_3gpuE7ELNS1_3repE0EEENS1_30default_config_static_selectorELNS0_4arch9wavefront6targetE1EEEvT1_
    .private_segment_fixed_size: 0
    .sgpr_count:     4
    .sgpr_spill_count: 0
    .symbol:         _ZN7rocprim17ROCPRIM_400000_NS6detail17trampoline_kernelINS0_14default_configENS1_25partition_config_selectorILNS1_17partition_subalgoE1EiNS0_10empty_typeEbEEZZNS1_14partition_implILS5_1ELb0ES3_jN6thrust23THRUST_200600_302600_NS6detail15normal_iteratorINSA_10device_ptrIiEEEEPS6_NSA_18transform_iteratorI7is_evenIiESF_NSA_11use_defaultESK_EENS0_5tupleIJNSA_16discard_iteratorISK_EESF_EEENSM_IJSG_SG_EEES6_PlJS6_EEE10hipError_tPvRmT3_T4_T5_T6_T7_T9_mT8_P12ihipStream_tbDpT10_ENKUlT_T0_E_clISt17integral_constantIbLb1EES1B_EEDaS16_S17_EUlS16_E_NS1_11comp_targetILNS1_3genE3ELNS1_11target_archE908ELNS1_3gpuE7ELNS1_3repE0EEENS1_30default_config_static_selectorELNS0_4arch9wavefront6targetE1EEEvT1_.kd
    .uniform_work_group_size: 1
    .uses_dynamic_stack: false
    .vgpr_count:     0
    .vgpr_spill_count: 0
    .wavefront_size: 64
  - .agpr_count:     0
    .args:
      - .offset:         0
        .size:           152
        .value_kind:     by_value
    .group_segment_fixed_size: 0
    .kernarg_segment_align: 8
    .kernarg_segment_size: 152
    .language:       OpenCL C
    .language_version:
      - 2
      - 0
    .max_flat_workgroup_size: 256
    .name:           _ZN7rocprim17ROCPRIM_400000_NS6detail17trampoline_kernelINS0_14default_configENS1_25partition_config_selectorILNS1_17partition_subalgoE1EiNS0_10empty_typeEbEEZZNS1_14partition_implILS5_1ELb0ES3_jN6thrust23THRUST_200600_302600_NS6detail15normal_iteratorINSA_10device_ptrIiEEEEPS6_NSA_18transform_iteratorI7is_evenIiESF_NSA_11use_defaultESK_EENS0_5tupleIJNSA_16discard_iteratorISK_EESF_EEENSM_IJSG_SG_EEES6_PlJS6_EEE10hipError_tPvRmT3_T4_T5_T6_T7_T9_mT8_P12ihipStream_tbDpT10_ENKUlT_T0_E_clISt17integral_constantIbLb1EES1B_EEDaS16_S17_EUlS16_E_NS1_11comp_targetILNS1_3genE2ELNS1_11target_archE906ELNS1_3gpuE6ELNS1_3repE0EEENS1_30default_config_static_selectorELNS0_4arch9wavefront6targetE1EEEvT1_
    .private_segment_fixed_size: 0
    .sgpr_count:     4
    .sgpr_spill_count: 0
    .symbol:         _ZN7rocprim17ROCPRIM_400000_NS6detail17trampoline_kernelINS0_14default_configENS1_25partition_config_selectorILNS1_17partition_subalgoE1EiNS0_10empty_typeEbEEZZNS1_14partition_implILS5_1ELb0ES3_jN6thrust23THRUST_200600_302600_NS6detail15normal_iteratorINSA_10device_ptrIiEEEEPS6_NSA_18transform_iteratorI7is_evenIiESF_NSA_11use_defaultESK_EENS0_5tupleIJNSA_16discard_iteratorISK_EESF_EEENSM_IJSG_SG_EEES6_PlJS6_EEE10hipError_tPvRmT3_T4_T5_T6_T7_T9_mT8_P12ihipStream_tbDpT10_ENKUlT_T0_E_clISt17integral_constantIbLb1EES1B_EEDaS16_S17_EUlS16_E_NS1_11comp_targetILNS1_3genE2ELNS1_11target_archE906ELNS1_3gpuE6ELNS1_3repE0EEENS1_30default_config_static_selectorELNS0_4arch9wavefront6targetE1EEEvT1_.kd
    .uniform_work_group_size: 1
    .uses_dynamic_stack: false
    .vgpr_count:     0
    .vgpr_spill_count: 0
    .wavefront_size: 64
  - .agpr_count:     0
    .args:
      - .offset:         0
        .size:           152
        .value_kind:     by_value
    .group_segment_fixed_size: 0
    .kernarg_segment_align: 8
    .kernarg_segment_size: 152
    .language:       OpenCL C
    .language_version:
      - 2
      - 0
    .max_flat_workgroup_size: 256
    .name:           _ZN7rocprim17ROCPRIM_400000_NS6detail17trampoline_kernelINS0_14default_configENS1_25partition_config_selectorILNS1_17partition_subalgoE1EiNS0_10empty_typeEbEEZZNS1_14partition_implILS5_1ELb0ES3_jN6thrust23THRUST_200600_302600_NS6detail15normal_iteratorINSA_10device_ptrIiEEEEPS6_NSA_18transform_iteratorI7is_evenIiESF_NSA_11use_defaultESK_EENS0_5tupleIJNSA_16discard_iteratorISK_EESF_EEENSM_IJSG_SG_EEES6_PlJS6_EEE10hipError_tPvRmT3_T4_T5_T6_T7_T9_mT8_P12ihipStream_tbDpT10_ENKUlT_T0_E_clISt17integral_constantIbLb1EES1B_EEDaS16_S17_EUlS16_E_NS1_11comp_targetILNS1_3genE10ELNS1_11target_archE1200ELNS1_3gpuE4ELNS1_3repE0EEENS1_30default_config_static_selectorELNS0_4arch9wavefront6targetE1EEEvT1_
    .private_segment_fixed_size: 0
    .sgpr_count:     4
    .sgpr_spill_count: 0
    .symbol:         _ZN7rocprim17ROCPRIM_400000_NS6detail17trampoline_kernelINS0_14default_configENS1_25partition_config_selectorILNS1_17partition_subalgoE1EiNS0_10empty_typeEbEEZZNS1_14partition_implILS5_1ELb0ES3_jN6thrust23THRUST_200600_302600_NS6detail15normal_iteratorINSA_10device_ptrIiEEEEPS6_NSA_18transform_iteratorI7is_evenIiESF_NSA_11use_defaultESK_EENS0_5tupleIJNSA_16discard_iteratorISK_EESF_EEENSM_IJSG_SG_EEES6_PlJS6_EEE10hipError_tPvRmT3_T4_T5_T6_T7_T9_mT8_P12ihipStream_tbDpT10_ENKUlT_T0_E_clISt17integral_constantIbLb1EES1B_EEDaS16_S17_EUlS16_E_NS1_11comp_targetILNS1_3genE10ELNS1_11target_archE1200ELNS1_3gpuE4ELNS1_3repE0EEENS1_30default_config_static_selectorELNS0_4arch9wavefront6targetE1EEEvT1_.kd
    .uniform_work_group_size: 1
    .uses_dynamic_stack: false
    .vgpr_count:     0
    .vgpr_spill_count: 0
    .wavefront_size: 64
  - .agpr_count:     0
    .args:
      - .offset:         0
        .size:           152
        .value_kind:     by_value
    .group_segment_fixed_size: 0
    .kernarg_segment_align: 8
    .kernarg_segment_size: 152
    .language:       OpenCL C
    .language_version:
      - 2
      - 0
    .max_flat_workgroup_size: 128
    .name:           _ZN7rocprim17ROCPRIM_400000_NS6detail17trampoline_kernelINS0_14default_configENS1_25partition_config_selectorILNS1_17partition_subalgoE1EiNS0_10empty_typeEbEEZZNS1_14partition_implILS5_1ELb0ES3_jN6thrust23THRUST_200600_302600_NS6detail15normal_iteratorINSA_10device_ptrIiEEEEPS6_NSA_18transform_iteratorI7is_evenIiESF_NSA_11use_defaultESK_EENS0_5tupleIJNSA_16discard_iteratorISK_EESF_EEENSM_IJSG_SG_EEES6_PlJS6_EEE10hipError_tPvRmT3_T4_T5_T6_T7_T9_mT8_P12ihipStream_tbDpT10_ENKUlT_T0_E_clISt17integral_constantIbLb1EES1B_EEDaS16_S17_EUlS16_E_NS1_11comp_targetILNS1_3genE9ELNS1_11target_archE1100ELNS1_3gpuE3ELNS1_3repE0EEENS1_30default_config_static_selectorELNS0_4arch9wavefront6targetE1EEEvT1_
    .private_segment_fixed_size: 0
    .sgpr_count:     4
    .sgpr_spill_count: 0
    .symbol:         _ZN7rocprim17ROCPRIM_400000_NS6detail17trampoline_kernelINS0_14default_configENS1_25partition_config_selectorILNS1_17partition_subalgoE1EiNS0_10empty_typeEbEEZZNS1_14partition_implILS5_1ELb0ES3_jN6thrust23THRUST_200600_302600_NS6detail15normal_iteratorINSA_10device_ptrIiEEEEPS6_NSA_18transform_iteratorI7is_evenIiESF_NSA_11use_defaultESK_EENS0_5tupleIJNSA_16discard_iteratorISK_EESF_EEENSM_IJSG_SG_EEES6_PlJS6_EEE10hipError_tPvRmT3_T4_T5_T6_T7_T9_mT8_P12ihipStream_tbDpT10_ENKUlT_T0_E_clISt17integral_constantIbLb1EES1B_EEDaS16_S17_EUlS16_E_NS1_11comp_targetILNS1_3genE9ELNS1_11target_archE1100ELNS1_3gpuE3ELNS1_3repE0EEENS1_30default_config_static_selectorELNS0_4arch9wavefront6targetE1EEEvT1_.kd
    .uniform_work_group_size: 1
    .uses_dynamic_stack: false
    .vgpr_count:     0
    .vgpr_spill_count: 0
    .wavefront_size: 64
  - .agpr_count:     0
    .args:
      - .offset:         0
        .size:           152
        .value_kind:     by_value
    .group_segment_fixed_size: 0
    .kernarg_segment_align: 8
    .kernarg_segment_size: 152
    .language:       OpenCL C
    .language_version:
      - 2
      - 0
    .max_flat_workgroup_size: 512
    .name:           _ZN7rocprim17ROCPRIM_400000_NS6detail17trampoline_kernelINS0_14default_configENS1_25partition_config_selectorILNS1_17partition_subalgoE1EiNS0_10empty_typeEbEEZZNS1_14partition_implILS5_1ELb0ES3_jN6thrust23THRUST_200600_302600_NS6detail15normal_iteratorINSA_10device_ptrIiEEEEPS6_NSA_18transform_iteratorI7is_evenIiESF_NSA_11use_defaultESK_EENS0_5tupleIJNSA_16discard_iteratorISK_EESF_EEENSM_IJSG_SG_EEES6_PlJS6_EEE10hipError_tPvRmT3_T4_T5_T6_T7_T9_mT8_P12ihipStream_tbDpT10_ENKUlT_T0_E_clISt17integral_constantIbLb1EES1B_EEDaS16_S17_EUlS16_E_NS1_11comp_targetILNS1_3genE8ELNS1_11target_archE1030ELNS1_3gpuE2ELNS1_3repE0EEENS1_30default_config_static_selectorELNS0_4arch9wavefront6targetE1EEEvT1_
    .private_segment_fixed_size: 0
    .sgpr_count:     4
    .sgpr_spill_count: 0
    .symbol:         _ZN7rocprim17ROCPRIM_400000_NS6detail17trampoline_kernelINS0_14default_configENS1_25partition_config_selectorILNS1_17partition_subalgoE1EiNS0_10empty_typeEbEEZZNS1_14partition_implILS5_1ELb0ES3_jN6thrust23THRUST_200600_302600_NS6detail15normal_iteratorINSA_10device_ptrIiEEEEPS6_NSA_18transform_iteratorI7is_evenIiESF_NSA_11use_defaultESK_EENS0_5tupleIJNSA_16discard_iteratorISK_EESF_EEENSM_IJSG_SG_EEES6_PlJS6_EEE10hipError_tPvRmT3_T4_T5_T6_T7_T9_mT8_P12ihipStream_tbDpT10_ENKUlT_T0_E_clISt17integral_constantIbLb1EES1B_EEDaS16_S17_EUlS16_E_NS1_11comp_targetILNS1_3genE8ELNS1_11target_archE1030ELNS1_3gpuE2ELNS1_3repE0EEENS1_30default_config_static_selectorELNS0_4arch9wavefront6targetE1EEEvT1_.kd
    .uniform_work_group_size: 1
    .uses_dynamic_stack: false
    .vgpr_count:     0
    .vgpr_spill_count: 0
    .wavefront_size: 64
  - .agpr_count:     0
    .args:
      - .offset:         0
        .size:           136
        .value_kind:     by_value
    .group_segment_fixed_size: 0
    .kernarg_segment_align: 8
    .kernarg_segment_size: 136
    .language:       OpenCL C
    .language_version:
      - 2
      - 0
    .max_flat_workgroup_size: 256
    .name:           _ZN7rocprim17ROCPRIM_400000_NS6detail17trampoline_kernelINS0_14default_configENS1_25partition_config_selectorILNS1_17partition_subalgoE1EiNS0_10empty_typeEbEEZZNS1_14partition_implILS5_1ELb0ES3_jN6thrust23THRUST_200600_302600_NS6detail15normal_iteratorINSA_10device_ptrIiEEEEPS6_NSA_18transform_iteratorI7is_evenIiESF_NSA_11use_defaultESK_EENS0_5tupleIJNSA_16discard_iteratorISK_EESF_EEENSM_IJSG_SG_EEES6_PlJS6_EEE10hipError_tPvRmT3_T4_T5_T6_T7_T9_mT8_P12ihipStream_tbDpT10_ENKUlT_T0_E_clISt17integral_constantIbLb1EES1A_IbLb0EEEEDaS16_S17_EUlS16_E_NS1_11comp_targetILNS1_3genE0ELNS1_11target_archE4294967295ELNS1_3gpuE0ELNS1_3repE0EEENS1_30default_config_static_selectorELNS0_4arch9wavefront6targetE1EEEvT1_
    .private_segment_fixed_size: 0
    .sgpr_count:     4
    .sgpr_spill_count: 0
    .symbol:         _ZN7rocprim17ROCPRIM_400000_NS6detail17trampoline_kernelINS0_14default_configENS1_25partition_config_selectorILNS1_17partition_subalgoE1EiNS0_10empty_typeEbEEZZNS1_14partition_implILS5_1ELb0ES3_jN6thrust23THRUST_200600_302600_NS6detail15normal_iteratorINSA_10device_ptrIiEEEEPS6_NSA_18transform_iteratorI7is_evenIiESF_NSA_11use_defaultESK_EENS0_5tupleIJNSA_16discard_iteratorISK_EESF_EEENSM_IJSG_SG_EEES6_PlJS6_EEE10hipError_tPvRmT3_T4_T5_T6_T7_T9_mT8_P12ihipStream_tbDpT10_ENKUlT_T0_E_clISt17integral_constantIbLb1EES1A_IbLb0EEEEDaS16_S17_EUlS16_E_NS1_11comp_targetILNS1_3genE0ELNS1_11target_archE4294967295ELNS1_3gpuE0ELNS1_3repE0EEENS1_30default_config_static_selectorELNS0_4arch9wavefront6targetE1EEEvT1_.kd
    .uniform_work_group_size: 1
    .uses_dynamic_stack: false
    .vgpr_count:     0
    .vgpr_spill_count: 0
    .wavefront_size: 64
  - .agpr_count:     0
    .args:
      - .offset:         0
        .size:           136
        .value_kind:     by_value
    .group_segment_fixed_size: 0
    .kernarg_segment_align: 8
    .kernarg_segment_size: 136
    .language:       OpenCL C
    .language_version:
      - 2
      - 0
    .max_flat_workgroup_size: 512
    .name:           _ZN7rocprim17ROCPRIM_400000_NS6detail17trampoline_kernelINS0_14default_configENS1_25partition_config_selectorILNS1_17partition_subalgoE1EiNS0_10empty_typeEbEEZZNS1_14partition_implILS5_1ELb0ES3_jN6thrust23THRUST_200600_302600_NS6detail15normal_iteratorINSA_10device_ptrIiEEEEPS6_NSA_18transform_iteratorI7is_evenIiESF_NSA_11use_defaultESK_EENS0_5tupleIJNSA_16discard_iteratorISK_EESF_EEENSM_IJSG_SG_EEES6_PlJS6_EEE10hipError_tPvRmT3_T4_T5_T6_T7_T9_mT8_P12ihipStream_tbDpT10_ENKUlT_T0_E_clISt17integral_constantIbLb1EES1A_IbLb0EEEEDaS16_S17_EUlS16_E_NS1_11comp_targetILNS1_3genE5ELNS1_11target_archE942ELNS1_3gpuE9ELNS1_3repE0EEENS1_30default_config_static_selectorELNS0_4arch9wavefront6targetE1EEEvT1_
    .private_segment_fixed_size: 0
    .sgpr_count:     4
    .sgpr_spill_count: 0
    .symbol:         _ZN7rocprim17ROCPRIM_400000_NS6detail17trampoline_kernelINS0_14default_configENS1_25partition_config_selectorILNS1_17partition_subalgoE1EiNS0_10empty_typeEbEEZZNS1_14partition_implILS5_1ELb0ES3_jN6thrust23THRUST_200600_302600_NS6detail15normal_iteratorINSA_10device_ptrIiEEEEPS6_NSA_18transform_iteratorI7is_evenIiESF_NSA_11use_defaultESK_EENS0_5tupleIJNSA_16discard_iteratorISK_EESF_EEENSM_IJSG_SG_EEES6_PlJS6_EEE10hipError_tPvRmT3_T4_T5_T6_T7_T9_mT8_P12ihipStream_tbDpT10_ENKUlT_T0_E_clISt17integral_constantIbLb1EES1A_IbLb0EEEEDaS16_S17_EUlS16_E_NS1_11comp_targetILNS1_3genE5ELNS1_11target_archE942ELNS1_3gpuE9ELNS1_3repE0EEENS1_30default_config_static_selectorELNS0_4arch9wavefront6targetE1EEEvT1_.kd
    .uniform_work_group_size: 1
    .uses_dynamic_stack: false
    .vgpr_count:     0
    .vgpr_spill_count: 0
    .wavefront_size: 64
  - .agpr_count:     0
    .args:
      - .offset:         0
        .size:           136
        .value_kind:     by_value
    .group_segment_fixed_size: 7176
    .kernarg_segment_align: 8
    .kernarg_segment_size: 136
    .language:       OpenCL C
    .language_version:
      - 2
      - 0
    .max_flat_workgroup_size: 256
    .name:           _ZN7rocprim17ROCPRIM_400000_NS6detail17trampoline_kernelINS0_14default_configENS1_25partition_config_selectorILNS1_17partition_subalgoE1EiNS0_10empty_typeEbEEZZNS1_14partition_implILS5_1ELb0ES3_jN6thrust23THRUST_200600_302600_NS6detail15normal_iteratorINSA_10device_ptrIiEEEEPS6_NSA_18transform_iteratorI7is_evenIiESF_NSA_11use_defaultESK_EENS0_5tupleIJNSA_16discard_iteratorISK_EESF_EEENSM_IJSG_SG_EEES6_PlJS6_EEE10hipError_tPvRmT3_T4_T5_T6_T7_T9_mT8_P12ihipStream_tbDpT10_ENKUlT_T0_E_clISt17integral_constantIbLb1EES1A_IbLb0EEEEDaS16_S17_EUlS16_E_NS1_11comp_targetILNS1_3genE4ELNS1_11target_archE910ELNS1_3gpuE8ELNS1_3repE0EEENS1_30default_config_static_selectorELNS0_4arch9wavefront6targetE1EEEvT1_
    .private_segment_fixed_size: 0
    .sgpr_count:     48
    .sgpr_spill_count: 0
    .symbol:         _ZN7rocprim17ROCPRIM_400000_NS6detail17trampoline_kernelINS0_14default_configENS1_25partition_config_selectorILNS1_17partition_subalgoE1EiNS0_10empty_typeEbEEZZNS1_14partition_implILS5_1ELb0ES3_jN6thrust23THRUST_200600_302600_NS6detail15normal_iteratorINSA_10device_ptrIiEEEEPS6_NSA_18transform_iteratorI7is_evenIiESF_NSA_11use_defaultESK_EENS0_5tupleIJNSA_16discard_iteratorISK_EESF_EEENSM_IJSG_SG_EEES6_PlJS6_EEE10hipError_tPvRmT3_T4_T5_T6_T7_T9_mT8_P12ihipStream_tbDpT10_ENKUlT_T0_E_clISt17integral_constantIbLb1EES1A_IbLb0EEEEDaS16_S17_EUlS16_E_NS1_11comp_targetILNS1_3genE4ELNS1_11target_archE910ELNS1_3gpuE8ELNS1_3repE0EEENS1_30default_config_static_selectorELNS0_4arch9wavefront6targetE1EEEvT1_.kd
    .uniform_work_group_size: 1
    .uses_dynamic_stack: false
    .vgpr_count:     47
    .vgpr_spill_count: 0
    .wavefront_size: 64
  - .agpr_count:     0
    .args:
      - .offset:         0
        .size:           136
        .value_kind:     by_value
    .group_segment_fixed_size: 0
    .kernarg_segment_align: 8
    .kernarg_segment_size: 136
    .language:       OpenCL C
    .language_version:
      - 2
      - 0
    .max_flat_workgroup_size: 256
    .name:           _ZN7rocprim17ROCPRIM_400000_NS6detail17trampoline_kernelINS0_14default_configENS1_25partition_config_selectorILNS1_17partition_subalgoE1EiNS0_10empty_typeEbEEZZNS1_14partition_implILS5_1ELb0ES3_jN6thrust23THRUST_200600_302600_NS6detail15normal_iteratorINSA_10device_ptrIiEEEEPS6_NSA_18transform_iteratorI7is_evenIiESF_NSA_11use_defaultESK_EENS0_5tupleIJNSA_16discard_iteratorISK_EESF_EEENSM_IJSG_SG_EEES6_PlJS6_EEE10hipError_tPvRmT3_T4_T5_T6_T7_T9_mT8_P12ihipStream_tbDpT10_ENKUlT_T0_E_clISt17integral_constantIbLb1EES1A_IbLb0EEEEDaS16_S17_EUlS16_E_NS1_11comp_targetILNS1_3genE3ELNS1_11target_archE908ELNS1_3gpuE7ELNS1_3repE0EEENS1_30default_config_static_selectorELNS0_4arch9wavefront6targetE1EEEvT1_
    .private_segment_fixed_size: 0
    .sgpr_count:     4
    .sgpr_spill_count: 0
    .symbol:         _ZN7rocprim17ROCPRIM_400000_NS6detail17trampoline_kernelINS0_14default_configENS1_25partition_config_selectorILNS1_17partition_subalgoE1EiNS0_10empty_typeEbEEZZNS1_14partition_implILS5_1ELb0ES3_jN6thrust23THRUST_200600_302600_NS6detail15normal_iteratorINSA_10device_ptrIiEEEEPS6_NSA_18transform_iteratorI7is_evenIiESF_NSA_11use_defaultESK_EENS0_5tupleIJNSA_16discard_iteratorISK_EESF_EEENSM_IJSG_SG_EEES6_PlJS6_EEE10hipError_tPvRmT3_T4_T5_T6_T7_T9_mT8_P12ihipStream_tbDpT10_ENKUlT_T0_E_clISt17integral_constantIbLb1EES1A_IbLb0EEEEDaS16_S17_EUlS16_E_NS1_11comp_targetILNS1_3genE3ELNS1_11target_archE908ELNS1_3gpuE7ELNS1_3repE0EEENS1_30default_config_static_selectorELNS0_4arch9wavefront6targetE1EEEvT1_.kd
    .uniform_work_group_size: 1
    .uses_dynamic_stack: false
    .vgpr_count:     0
    .vgpr_spill_count: 0
    .wavefront_size: 64
  - .agpr_count:     0
    .args:
      - .offset:         0
        .size:           136
        .value_kind:     by_value
    .group_segment_fixed_size: 0
    .kernarg_segment_align: 8
    .kernarg_segment_size: 136
    .language:       OpenCL C
    .language_version:
      - 2
      - 0
    .max_flat_workgroup_size: 256
    .name:           _ZN7rocprim17ROCPRIM_400000_NS6detail17trampoline_kernelINS0_14default_configENS1_25partition_config_selectorILNS1_17partition_subalgoE1EiNS0_10empty_typeEbEEZZNS1_14partition_implILS5_1ELb0ES3_jN6thrust23THRUST_200600_302600_NS6detail15normal_iteratorINSA_10device_ptrIiEEEEPS6_NSA_18transform_iteratorI7is_evenIiESF_NSA_11use_defaultESK_EENS0_5tupleIJNSA_16discard_iteratorISK_EESF_EEENSM_IJSG_SG_EEES6_PlJS6_EEE10hipError_tPvRmT3_T4_T5_T6_T7_T9_mT8_P12ihipStream_tbDpT10_ENKUlT_T0_E_clISt17integral_constantIbLb1EES1A_IbLb0EEEEDaS16_S17_EUlS16_E_NS1_11comp_targetILNS1_3genE2ELNS1_11target_archE906ELNS1_3gpuE6ELNS1_3repE0EEENS1_30default_config_static_selectorELNS0_4arch9wavefront6targetE1EEEvT1_
    .private_segment_fixed_size: 0
    .sgpr_count:     4
    .sgpr_spill_count: 0
    .symbol:         _ZN7rocprim17ROCPRIM_400000_NS6detail17trampoline_kernelINS0_14default_configENS1_25partition_config_selectorILNS1_17partition_subalgoE1EiNS0_10empty_typeEbEEZZNS1_14partition_implILS5_1ELb0ES3_jN6thrust23THRUST_200600_302600_NS6detail15normal_iteratorINSA_10device_ptrIiEEEEPS6_NSA_18transform_iteratorI7is_evenIiESF_NSA_11use_defaultESK_EENS0_5tupleIJNSA_16discard_iteratorISK_EESF_EEENSM_IJSG_SG_EEES6_PlJS6_EEE10hipError_tPvRmT3_T4_T5_T6_T7_T9_mT8_P12ihipStream_tbDpT10_ENKUlT_T0_E_clISt17integral_constantIbLb1EES1A_IbLb0EEEEDaS16_S17_EUlS16_E_NS1_11comp_targetILNS1_3genE2ELNS1_11target_archE906ELNS1_3gpuE6ELNS1_3repE0EEENS1_30default_config_static_selectorELNS0_4arch9wavefront6targetE1EEEvT1_.kd
    .uniform_work_group_size: 1
    .uses_dynamic_stack: false
    .vgpr_count:     0
    .vgpr_spill_count: 0
    .wavefront_size: 64
  - .agpr_count:     0
    .args:
      - .offset:         0
        .size:           136
        .value_kind:     by_value
    .group_segment_fixed_size: 0
    .kernarg_segment_align: 8
    .kernarg_segment_size: 136
    .language:       OpenCL C
    .language_version:
      - 2
      - 0
    .max_flat_workgroup_size: 256
    .name:           _ZN7rocprim17ROCPRIM_400000_NS6detail17trampoline_kernelINS0_14default_configENS1_25partition_config_selectorILNS1_17partition_subalgoE1EiNS0_10empty_typeEbEEZZNS1_14partition_implILS5_1ELb0ES3_jN6thrust23THRUST_200600_302600_NS6detail15normal_iteratorINSA_10device_ptrIiEEEEPS6_NSA_18transform_iteratorI7is_evenIiESF_NSA_11use_defaultESK_EENS0_5tupleIJNSA_16discard_iteratorISK_EESF_EEENSM_IJSG_SG_EEES6_PlJS6_EEE10hipError_tPvRmT3_T4_T5_T6_T7_T9_mT8_P12ihipStream_tbDpT10_ENKUlT_T0_E_clISt17integral_constantIbLb1EES1A_IbLb0EEEEDaS16_S17_EUlS16_E_NS1_11comp_targetILNS1_3genE10ELNS1_11target_archE1200ELNS1_3gpuE4ELNS1_3repE0EEENS1_30default_config_static_selectorELNS0_4arch9wavefront6targetE1EEEvT1_
    .private_segment_fixed_size: 0
    .sgpr_count:     4
    .sgpr_spill_count: 0
    .symbol:         _ZN7rocprim17ROCPRIM_400000_NS6detail17trampoline_kernelINS0_14default_configENS1_25partition_config_selectorILNS1_17partition_subalgoE1EiNS0_10empty_typeEbEEZZNS1_14partition_implILS5_1ELb0ES3_jN6thrust23THRUST_200600_302600_NS6detail15normal_iteratorINSA_10device_ptrIiEEEEPS6_NSA_18transform_iteratorI7is_evenIiESF_NSA_11use_defaultESK_EENS0_5tupleIJNSA_16discard_iteratorISK_EESF_EEENSM_IJSG_SG_EEES6_PlJS6_EEE10hipError_tPvRmT3_T4_T5_T6_T7_T9_mT8_P12ihipStream_tbDpT10_ENKUlT_T0_E_clISt17integral_constantIbLb1EES1A_IbLb0EEEEDaS16_S17_EUlS16_E_NS1_11comp_targetILNS1_3genE10ELNS1_11target_archE1200ELNS1_3gpuE4ELNS1_3repE0EEENS1_30default_config_static_selectorELNS0_4arch9wavefront6targetE1EEEvT1_.kd
    .uniform_work_group_size: 1
    .uses_dynamic_stack: false
    .vgpr_count:     0
    .vgpr_spill_count: 0
    .wavefront_size: 64
  - .agpr_count:     0
    .args:
      - .offset:         0
        .size:           136
        .value_kind:     by_value
    .group_segment_fixed_size: 0
    .kernarg_segment_align: 8
    .kernarg_segment_size: 136
    .language:       OpenCL C
    .language_version:
      - 2
      - 0
    .max_flat_workgroup_size: 128
    .name:           _ZN7rocprim17ROCPRIM_400000_NS6detail17trampoline_kernelINS0_14default_configENS1_25partition_config_selectorILNS1_17partition_subalgoE1EiNS0_10empty_typeEbEEZZNS1_14partition_implILS5_1ELb0ES3_jN6thrust23THRUST_200600_302600_NS6detail15normal_iteratorINSA_10device_ptrIiEEEEPS6_NSA_18transform_iteratorI7is_evenIiESF_NSA_11use_defaultESK_EENS0_5tupleIJNSA_16discard_iteratorISK_EESF_EEENSM_IJSG_SG_EEES6_PlJS6_EEE10hipError_tPvRmT3_T4_T5_T6_T7_T9_mT8_P12ihipStream_tbDpT10_ENKUlT_T0_E_clISt17integral_constantIbLb1EES1A_IbLb0EEEEDaS16_S17_EUlS16_E_NS1_11comp_targetILNS1_3genE9ELNS1_11target_archE1100ELNS1_3gpuE3ELNS1_3repE0EEENS1_30default_config_static_selectorELNS0_4arch9wavefront6targetE1EEEvT1_
    .private_segment_fixed_size: 0
    .sgpr_count:     4
    .sgpr_spill_count: 0
    .symbol:         _ZN7rocprim17ROCPRIM_400000_NS6detail17trampoline_kernelINS0_14default_configENS1_25partition_config_selectorILNS1_17partition_subalgoE1EiNS0_10empty_typeEbEEZZNS1_14partition_implILS5_1ELb0ES3_jN6thrust23THRUST_200600_302600_NS6detail15normal_iteratorINSA_10device_ptrIiEEEEPS6_NSA_18transform_iteratorI7is_evenIiESF_NSA_11use_defaultESK_EENS0_5tupleIJNSA_16discard_iteratorISK_EESF_EEENSM_IJSG_SG_EEES6_PlJS6_EEE10hipError_tPvRmT3_T4_T5_T6_T7_T9_mT8_P12ihipStream_tbDpT10_ENKUlT_T0_E_clISt17integral_constantIbLb1EES1A_IbLb0EEEEDaS16_S17_EUlS16_E_NS1_11comp_targetILNS1_3genE9ELNS1_11target_archE1100ELNS1_3gpuE3ELNS1_3repE0EEENS1_30default_config_static_selectorELNS0_4arch9wavefront6targetE1EEEvT1_.kd
    .uniform_work_group_size: 1
    .uses_dynamic_stack: false
    .vgpr_count:     0
    .vgpr_spill_count: 0
    .wavefront_size: 64
  - .agpr_count:     0
    .args:
      - .offset:         0
        .size:           136
        .value_kind:     by_value
    .group_segment_fixed_size: 0
    .kernarg_segment_align: 8
    .kernarg_segment_size: 136
    .language:       OpenCL C
    .language_version:
      - 2
      - 0
    .max_flat_workgroup_size: 512
    .name:           _ZN7rocprim17ROCPRIM_400000_NS6detail17trampoline_kernelINS0_14default_configENS1_25partition_config_selectorILNS1_17partition_subalgoE1EiNS0_10empty_typeEbEEZZNS1_14partition_implILS5_1ELb0ES3_jN6thrust23THRUST_200600_302600_NS6detail15normal_iteratorINSA_10device_ptrIiEEEEPS6_NSA_18transform_iteratorI7is_evenIiESF_NSA_11use_defaultESK_EENS0_5tupleIJNSA_16discard_iteratorISK_EESF_EEENSM_IJSG_SG_EEES6_PlJS6_EEE10hipError_tPvRmT3_T4_T5_T6_T7_T9_mT8_P12ihipStream_tbDpT10_ENKUlT_T0_E_clISt17integral_constantIbLb1EES1A_IbLb0EEEEDaS16_S17_EUlS16_E_NS1_11comp_targetILNS1_3genE8ELNS1_11target_archE1030ELNS1_3gpuE2ELNS1_3repE0EEENS1_30default_config_static_selectorELNS0_4arch9wavefront6targetE1EEEvT1_
    .private_segment_fixed_size: 0
    .sgpr_count:     4
    .sgpr_spill_count: 0
    .symbol:         _ZN7rocprim17ROCPRIM_400000_NS6detail17trampoline_kernelINS0_14default_configENS1_25partition_config_selectorILNS1_17partition_subalgoE1EiNS0_10empty_typeEbEEZZNS1_14partition_implILS5_1ELb0ES3_jN6thrust23THRUST_200600_302600_NS6detail15normal_iteratorINSA_10device_ptrIiEEEEPS6_NSA_18transform_iteratorI7is_evenIiESF_NSA_11use_defaultESK_EENS0_5tupleIJNSA_16discard_iteratorISK_EESF_EEENSM_IJSG_SG_EEES6_PlJS6_EEE10hipError_tPvRmT3_T4_T5_T6_T7_T9_mT8_P12ihipStream_tbDpT10_ENKUlT_T0_E_clISt17integral_constantIbLb1EES1A_IbLb0EEEEDaS16_S17_EUlS16_E_NS1_11comp_targetILNS1_3genE8ELNS1_11target_archE1030ELNS1_3gpuE2ELNS1_3repE0EEENS1_30default_config_static_selectorELNS0_4arch9wavefront6targetE1EEEvT1_.kd
    .uniform_work_group_size: 1
    .uses_dynamic_stack: false
    .vgpr_count:     0
    .vgpr_spill_count: 0
    .wavefront_size: 64
  - .agpr_count:     0
    .args:
      - .offset:         0
        .size:           152
        .value_kind:     by_value
    .group_segment_fixed_size: 0
    .kernarg_segment_align: 8
    .kernarg_segment_size: 152
    .language:       OpenCL C
    .language_version:
      - 2
      - 0
    .max_flat_workgroup_size: 256
    .name:           _ZN7rocprim17ROCPRIM_400000_NS6detail17trampoline_kernelINS0_14default_configENS1_25partition_config_selectorILNS1_17partition_subalgoE1EiNS0_10empty_typeEbEEZZNS1_14partition_implILS5_1ELb0ES3_jN6thrust23THRUST_200600_302600_NS6detail15normal_iteratorINSA_10device_ptrIiEEEEPS6_NSA_18transform_iteratorI7is_evenIiESF_NSA_11use_defaultESK_EENS0_5tupleIJNSA_16discard_iteratorISK_EESF_EEENSM_IJSG_SG_EEES6_PlJS6_EEE10hipError_tPvRmT3_T4_T5_T6_T7_T9_mT8_P12ihipStream_tbDpT10_ENKUlT_T0_E_clISt17integral_constantIbLb0EES1A_IbLb1EEEEDaS16_S17_EUlS16_E_NS1_11comp_targetILNS1_3genE0ELNS1_11target_archE4294967295ELNS1_3gpuE0ELNS1_3repE0EEENS1_30default_config_static_selectorELNS0_4arch9wavefront6targetE1EEEvT1_
    .private_segment_fixed_size: 0
    .sgpr_count:     4
    .sgpr_spill_count: 0
    .symbol:         _ZN7rocprim17ROCPRIM_400000_NS6detail17trampoline_kernelINS0_14default_configENS1_25partition_config_selectorILNS1_17partition_subalgoE1EiNS0_10empty_typeEbEEZZNS1_14partition_implILS5_1ELb0ES3_jN6thrust23THRUST_200600_302600_NS6detail15normal_iteratorINSA_10device_ptrIiEEEEPS6_NSA_18transform_iteratorI7is_evenIiESF_NSA_11use_defaultESK_EENS0_5tupleIJNSA_16discard_iteratorISK_EESF_EEENSM_IJSG_SG_EEES6_PlJS6_EEE10hipError_tPvRmT3_T4_T5_T6_T7_T9_mT8_P12ihipStream_tbDpT10_ENKUlT_T0_E_clISt17integral_constantIbLb0EES1A_IbLb1EEEEDaS16_S17_EUlS16_E_NS1_11comp_targetILNS1_3genE0ELNS1_11target_archE4294967295ELNS1_3gpuE0ELNS1_3repE0EEENS1_30default_config_static_selectorELNS0_4arch9wavefront6targetE1EEEvT1_.kd
    .uniform_work_group_size: 1
    .uses_dynamic_stack: false
    .vgpr_count:     0
    .vgpr_spill_count: 0
    .wavefront_size: 64
  - .agpr_count:     0
    .args:
      - .offset:         0
        .size:           152
        .value_kind:     by_value
    .group_segment_fixed_size: 0
    .kernarg_segment_align: 8
    .kernarg_segment_size: 152
    .language:       OpenCL C
    .language_version:
      - 2
      - 0
    .max_flat_workgroup_size: 512
    .name:           _ZN7rocprim17ROCPRIM_400000_NS6detail17trampoline_kernelINS0_14default_configENS1_25partition_config_selectorILNS1_17partition_subalgoE1EiNS0_10empty_typeEbEEZZNS1_14partition_implILS5_1ELb0ES3_jN6thrust23THRUST_200600_302600_NS6detail15normal_iteratorINSA_10device_ptrIiEEEEPS6_NSA_18transform_iteratorI7is_evenIiESF_NSA_11use_defaultESK_EENS0_5tupleIJNSA_16discard_iteratorISK_EESF_EEENSM_IJSG_SG_EEES6_PlJS6_EEE10hipError_tPvRmT3_T4_T5_T6_T7_T9_mT8_P12ihipStream_tbDpT10_ENKUlT_T0_E_clISt17integral_constantIbLb0EES1A_IbLb1EEEEDaS16_S17_EUlS16_E_NS1_11comp_targetILNS1_3genE5ELNS1_11target_archE942ELNS1_3gpuE9ELNS1_3repE0EEENS1_30default_config_static_selectorELNS0_4arch9wavefront6targetE1EEEvT1_
    .private_segment_fixed_size: 0
    .sgpr_count:     4
    .sgpr_spill_count: 0
    .symbol:         _ZN7rocprim17ROCPRIM_400000_NS6detail17trampoline_kernelINS0_14default_configENS1_25partition_config_selectorILNS1_17partition_subalgoE1EiNS0_10empty_typeEbEEZZNS1_14partition_implILS5_1ELb0ES3_jN6thrust23THRUST_200600_302600_NS6detail15normal_iteratorINSA_10device_ptrIiEEEEPS6_NSA_18transform_iteratorI7is_evenIiESF_NSA_11use_defaultESK_EENS0_5tupleIJNSA_16discard_iteratorISK_EESF_EEENSM_IJSG_SG_EEES6_PlJS6_EEE10hipError_tPvRmT3_T4_T5_T6_T7_T9_mT8_P12ihipStream_tbDpT10_ENKUlT_T0_E_clISt17integral_constantIbLb0EES1A_IbLb1EEEEDaS16_S17_EUlS16_E_NS1_11comp_targetILNS1_3genE5ELNS1_11target_archE942ELNS1_3gpuE9ELNS1_3repE0EEENS1_30default_config_static_selectorELNS0_4arch9wavefront6targetE1EEEvT1_.kd
    .uniform_work_group_size: 1
    .uses_dynamic_stack: false
    .vgpr_count:     0
    .vgpr_spill_count: 0
    .wavefront_size: 64
  - .agpr_count:     0
    .args:
      - .offset:         0
        .size:           152
        .value_kind:     by_value
    .group_segment_fixed_size: 7176
    .kernarg_segment_align: 8
    .kernarg_segment_size: 152
    .language:       OpenCL C
    .language_version:
      - 2
      - 0
    .max_flat_workgroup_size: 256
    .name:           _ZN7rocprim17ROCPRIM_400000_NS6detail17trampoline_kernelINS0_14default_configENS1_25partition_config_selectorILNS1_17partition_subalgoE1EiNS0_10empty_typeEbEEZZNS1_14partition_implILS5_1ELb0ES3_jN6thrust23THRUST_200600_302600_NS6detail15normal_iteratorINSA_10device_ptrIiEEEEPS6_NSA_18transform_iteratorI7is_evenIiESF_NSA_11use_defaultESK_EENS0_5tupleIJNSA_16discard_iteratorISK_EESF_EEENSM_IJSG_SG_EEES6_PlJS6_EEE10hipError_tPvRmT3_T4_T5_T6_T7_T9_mT8_P12ihipStream_tbDpT10_ENKUlT_T0_E_clISt17integral_constantIbLb0EES1A_IbLb1EEEEDaS16_S17_EUlS16_E_NS1_11comp_targetILNS1_3genE4ELNS1_11target_archE910ELNS1_3gpuE8ELNS1_3repE0EEENS1_30default_config_static_selectorELNS0_4arch9wavefront6targetE1EEEvT1_
    .private_segment_fixed_size: 0
    .sgpr_count:     46
    .sgpr_spill_count: 0
    .symbol:         _ZN7rocprim17ROCPRIM_400000_NS6detail17trampoline_kernelINS0_14default_configENS1_25partition_config_selectorILNS1_17partition_subalgoE1EiNS0_10empty_typeEbEEZZNS1_14partition_implILS5_1ELb0ES3_jN6thrust23THRUST_200600_302600_NS6detail15normal_iteratorINSA_10device_ptrIiEEEEPS6_NSA_18transform_iteratorI7is_evenIiESF_NSA_11use_defaultESK_EENS0_5tupleIJNSA_16discard_iteratorISK_EESF_EEENSM_IJSG_SG_EEES6_PlJS6_EEE10hipError_tPvRmT3_T4_T5_T6_T7_T9_mT8_P12ihipStream_tbDpT10_ENKUlT_T0_E_clISt17integral_constantIbLb0EES1A_IbLb1EEEEDaS16_S17_EUlS16_E_NS1_11comp_targetILNS1_3genE4ELNS1_11target_archE910ELNS1_3gpuE8ELNS1_3repE0EEENS1_30default_config_static_selectorELNS0_4arch9wavefront6targetE1EEEvT1_.kd
    .uniform_work_group_size: 1
    .uses_dynamic_stack: false
    .vgpr_count:     51
    .vgpr_spill_count: 0
    .wavefront_size: 64
  - .agpr_count:     0
    .args:
      - .offset:         0
        .size:           152
        .value_kind:     by_value
    .group_segment_fixed_size: 0
    .kernarg_segment_align: 8
    .kernarg_segment_size: 152
    .language:       OpenCL C
    .language_version:
      - 2
      - 0
    .max_flat_workgroup_size: 256
    .name:           _ZN7rocprim17ROCPRIM_400000_NS6detail17trampoline_kernelINS0_14default_configENS1_25partition_config_selectorILNS1_17partition_subalgoE1EiNS0_10empty_typeEbEEZZNS1_14partition_implILS5_1ELb0ES3_jN6thrust23THRUST_200600_302600_NS6detail15normal_iteratorINSA_10device_ptrIiEEEEPS6_NSA_18transform_iteratorI7is_evenIiESF_NSA_11use_defaultESK_EENS0_5tupleIJNSA_16discard_iteratorISK_EESF_EEENSM_IJSG_SG_EEES6_PlJS6_EEE10hipError_tPvRmT3_T4_T5_T6_T7_T9_mT8_P12ihipStream_tbDpT10_ENKUlT_T0_E_clISt17integral_constantIbLb0EES1A_IbLb1EEEEDaS16_S17_EUlS16_E_NS1_11comp_targetILNS1_3genE3ELNS1_11target_archE908ELNS1_3gpuE7ELNS1_3repE0EEENS1_30default_config_static_selectorELNS0_4arch9wavefront6targetE1EEEvT1_
    .private_segment_fixed_size: 0
    .sgpr_count:     4
    .sgpr_spill_count: 0
    .symbol:         _ZN7rocprim17ROCPRIM_400000_NS6detail17trampoline_kernelINS0_14default_configENS1_25partition_config_selectorILNS1_17partition_subalgoE1EiNS0_10empty_typeEbEEZZNS1_14partition_implILS5_1ELb0ES3_jN6thrust23THRUST_200600_302600_NS6detail15normal_iteratorINSA_10device_ptrIiEEEEPS6_NSA_18transform_iteratorI7is_evenIiESF_NSA_11use_defaultESK_EENS0_5tupleIJNSA_16discard_iteratorISK_EESF_EEENSM_IJSG_SG_EEES6_PlJS6_EEE10hipError_tPvRmT3_T4_T5_T6_T7_T9_mT8_P12ihipStream_tbDpT10_ENKUlT_T0_E_clISt17integral_constantIbLb0EES1A_IbLb1EEEEDaS16_S17_EUlS16_E_NS1_11comp_targetILNS1_3genE3ELNS1_11target_archE908ELNS1_3gpuE7ELNS1_3repE0EEENS1_30default_config_static_selectorELNS0_4arch9wavefront6targetE1EEEvT1_.kd
    .uniform_work_group_size: 1
    .uses_dynamic_stack: false
    .vgpr_count:     0
    .vgpr_spill_count: 0
    .wavefront_size: 64
  - .agpr_count:     0
    .args:
      - .offset:         0
        .size:           152
        .value_kind:     by_value
    .group_segment_fixed_size: 0
    .kernarg_segment_align: 8
    .kernarg_segment_size: 152
    .language:       OpenCL C
    .language_version:
      - 2
      - 0
    .max_flat_workgroup_size: 256
    .name:           _ZN7rocprim17ROCPRIM_400000_NS6detail17trampoline_kernelINS0_14default_configENS1_25partition_config_selectorILNS1_17partition_subalgoE1EiNS0_10empty_typeEbEEZZNS1_14partition_implILS5_1ELb0ES3_jN6thrust23THRUST_200600_302600_NS6detail15normal_iteratorINSA_10device_ptrIiEEEEPS6_NSA_18transform_iteratorI7is_evenIiESF_NSA_11use_defaultESK_EENS0_5tupleIJNSA_16discard_iteratorISK_EESF_EEENSM_IJSG_SG_EEES6_PlJS6_EEE10hipError_tPvRmT3_T4_T5_T6_T7_T9_mT8_P12ihipStream_tbDpT10_ENKUlT_T0_E_clISt17integral_constantIbLb0EES1A_IbLb1EEEEDaS16_S17_EUlS16_E_NS1_11comp_targetILNS1_3genE2ELNS1_11target_archE906ELNS1_3gpuE6ELNS1_3repE0EEENS1_30default_config_static_selectorELNS0_4arch9wavefront6targetE1EEEvT1_
    .private_segment_fixed_size: 0
    .sgpr_count:     4
    .sgpr_spill_count: 0
    .symbol:         _ZN7rocprim17ROCPRIM_400000_NS6detail17trampoline_kernelINS0_14default_configENS1_25partition_config_selectorILNS1_17partition_subalgoE1EiNS0_10empty_typeEbEEZZNS1_14partition_implILS5_1ELb0ES3_jN6thrust23THRUST_200600_302600_NS6detail15normal_iteratorINSA_10device_ptrIiEEEEPS6_NSA_18transform_iteratorI7is_evenIiESF_NSA_11use_defaultESK_EENS0_5tupleIJNSA_16discard_iteratorISK_EESF_EEENSM_IJSG_SG_EEES6_PlJS6_EEE10hipError_tPvRmT3_T4_T5_T6_T7_T9_mT8_P12ihipStream_tbDpT10_ENKUlT_T0_E_clISt17integral_constantIbLb0EES1A_IbLb1EEEEDaS16_S17_EUlS16_E_NS1_11comp_targetILNS1_3genE2ELNS1_11target_archE906ELNS1_3gpuE6ELNS1_3repE0EEENS1_30default_config_static_selectorELNS0_4arch9wavefront6targetE1EEEvT1_.kd
    .uniform_work_group_size: 1
    .uses_dynamic_stack: false
    .vgpr_count:     0
    .vgpr_spill_count: 0
    .wavefront_size: 64
  - .agpr_count:     0
    .args:
      - .offset:         0
        .size:           152
        .value_kind:     by_value
    .group_segment_fixed_size: 0
    .kernarg_segment_align: 8
    .kernarg_segment_size: 152
    .language:       OpenCL C
    .language_version:
      - 2
      - 0
    .max_flat_workgroup_size: 256
    .name:           _ZN7rocprim17ROCPRIM_400000_NS6detail17trampoline_kernelINS0_14default_configENS1_25partition_config_selectorILNS1_17partition_subalgoE1EiNS0_10empty_typeEbEEZZNS1_14partition_implILS5_1ELb0ES3_jN6thrust23THRUST_200600_302600_NS6detail15normal_iteratorINSA_10device_ptrIiEEEEPS6_NSA_18transform_iteratorI7is_evenIiESF_NSA_11use_defaultESK_EENS0_5tupleIJNSA_16discard_iteratorISK_EESF_EEENSM_IJSG_SG_EEES6_PlJS6_EEE10hipError_tPvRmT3_T4_T5_T6_T7_T9_mT8_P12ihipStream_tbDpT10_ENKUlT_T0_E_clISt17integral_constantIbLb0EES1A_IbLb1EEEEDaS16_S17_EUlS16_E_NS1_11comp_targetILNS1_3genE10ELNS1_11target_archE1200ELNS1_3gpuE4ELNS1_3repE0EEENS1_30default_config_static_selectorELNS0_4arch9wavefront6targetE1EEEvT1_
    .private_segment_fixed_size: 0
    .sgpr_count:     4
    .sgpr_spill_count: 0
    .symbol:         _ZN7rocprim17ROCPRIM_400000_NS6detail17trampoline_kernelINS0_14default_configENS1_25partition_config_selectorILNS1_17partition_subalgoE1EiNS0_10empty_typeEbEEZZNS1_14partition_implILS5_1ELb0ES3_jN6thrust23THRUST_200600_302600_NS6detail15normal_iteratorINSA_10device_ptrIiEEEEPS6_NSA_18transform_iteratorI7is_evenIiESF_NSA_11use_defaultESK_EENS0_5tupleIJNSA_16discard_iteratorISK_EESF_EEENSM_IJSG_SG_EEES6_PlJS6_EEE10hipError_tPvRmT3_T4_T5_T6_T7_T9_mT8_P12ihipStream_tbDpT10_ENKUlT_T0_E_clISt17integral_constantIbLb0EES1A_IbLb1EEEEDaS16_S17_EUlS16_E_NS1_11comp_targetILNS1_3genE10ELNS1_11target_archE1200ELNS1_3gpuE4ELNS1_3repE0EEENS1_30default_config_static_selectorELNS0_4arch9wavefront6targetE1EEEvT1_.kd
    .uniform_work_group_size: 1
    .uses_dynamic_stack: false
    .vgpr_count:     0
    .vgpr_spill_count: 0
    .wavefront_size: 64
  - .agpr_count:     0
    .args:
      - .offset:         0
        .size:           152
        .value_kind:     by_value
    .group_segment_fixed_size: 0
    .kernarg_segment_align: 8
    .kernarg_segment_size: 152
    .language:       OpenCL C
    .language_version:
      - 2
      - 0
    .max_flat_workgroup_size: 128
    .name:           _ZN7rocprim17ROCPRIM_400000_NS6detail17trampoline_kernelINS0_14default_configENS1_25partition_config_selectorILNS1_17partition_subalgoE1EiNS0_10empty_typeEbEEZZNS1_14partition_implILS5_1ELb0ES3_jN6thrust23THRUST_200600_302600_NS6detail15normal_iteratorINSA_10device_ptrIiEEEEPS6_NSA_18transform_iteratorI7is_evenIiESF_NSA_11use_defaultESK_EENS0_5tupleIJNSA_16discard_iteratorISK_EESF_EEENSM_IJSG_SG_EEES6_PlJS6_EEE10hipError_tPvRmT3_T4_T5_T6_T7_T9_mT8_P12ihipStream_tbDpT10_ENKUlT_T0_E_clISt17integral_constantIbLb0EES1A_IbLb1EEEEDaS16_S17_EUlS16_E_NS1_11comp_targetILNS1_3genE9ELNS1_11target_archE1100ELNS1_3gpuE3ELNS1_3repE0EEENS1_30default_config_static_selectorELNS0_4arch9wavefront6targetE1EEEvT1_
    .private_segment_fixed_size: 0
    .sgpr_count:     4
    .sgpr_spill_count: 0
    .symbol:         _ZN7rocprim17ROCPRIM_400000_NS6detail17trampoline_kernelINS0_14default_configENS1_25partition_config_selectorILNS1_17partition_subalgoE1EiNS0_10empty_typeEbEEZZNS1_14partition_implILS5_1ELb0ES3_jN6thrust23THRUST_200600_302600_NS6detail15normal_iteratorINSA_10device_ptrIiEEEEPS6_NSA_18transform_iteratorI7is_evenIiESF_NSA_11use_defaultESK_EENS0_5tupleIJNSA_16discard_iteratorISK_EESF_EEENSM_IJSG_SG_EEES6_PlJS6_EEE10hipError_tPvRmT3_T4_T5_T6_T7_T9_mT8_P12ihipStream_tbDpT10_ENKUlT_T0_E_clISt17integral_constantIbLb0EES1A_IbLb1EEEEDaS16_S17_EUlS16_E_NS1_11comp_targetILNS1_3genE9ELNS1_11target_archE1100ELNS1_3gpuE3ELNS1_3repE0EEENS1_30default_config_static_selectorELNS0_4arch9wavefront6targetE1EEEvT1_.kd
    .uniform_work_group_size: 1
    .uses_dynamic_stack: false
    .vgpr_count:     0
    .vgpr_spill_count: 0
    .wavefront_size: 64
  - .agpr_count:     0
    .args:
      - .offset:         0
        .size:           152
        .value_kind:     by_value
    .group_segment_fixed_size: 0
    .kernarg_segment_align: 8
    .kernarg_segment_size: 152
    .language:       OpenCL C
    .language_version:
      - 2
      - 0
    .max_flat_workgroup_size: 512
    .name:           _ZN7rocprim17ROCPRIM_400000_NS6detail17trampoline_kernelINS0_14default_configENS1_25partition_config_selectorILNS1_17partition_subalgoE1EiNS0_10empty_typeEbEEZZNS1_14partition_implILS5_1ELb0ES3_jN6thrust23THRUST_200600_302600_NS6detail15normal_iteratorINSA_10device_ptrIiEEEEPS6_NSA_18transform_iteratorI7is_evenIiESF_NSA_11use_defaultESK_EENS0_5tupleIJNSA_16discard_iteratorISK_EESF_EEENSM_IJSG_SG_EEES6_PlJS6_EEE10hipError_tPvRmT3_T4_T5_T6_T7_T9_mT8_P12ihipStream_tbDpT10_ENKUlT_T0_E_clISt17integral_constantIbLb0EES1A_IbLb1EEEEDaS16_S17_EUlS16_E_NS1_11comp_targetILNS1_3genE8ELNS1_11target_archE1030ELNS1_3gpuE2ELNS1_3repE0EEENS1_30default_config_static_selectorELNS0_4arch9wavefront6targetE1EEEvT1_
    .private_segment_fixed_size: 0
    .sgpr_count:     4
    .sgpr_spill_count: 0
    .symbol:         _ZN7rocprim17ROCPRIM_400000_NS6detail17trampoline_kernelINS0_14default_configENS1_25partition_config_selectorILNS1_17partition_subalgoE1EiNS0_10empty_typeEbEEZZNS1_14partition_implILS5_1ELb0ES3_jN6thrust23THRUST_200600_302600_NS6detail15normal_iteratorINSA_10device_ptrIiEEEEPS6_NSA_18transform_iteratorI7is_evenIiESF_NSA_11use_defaultESK_EENS0_5tupleIJNSA_16discard_iteratorISK_EESF_EEENSM_IJSG_SG_EEES6_PlJS6_EEE10hipError_tPvRmT3_T4_T5_T6_T7_T9_mT8_P12ihipStream_tbDpT10_ENKUlT_T0_E_clISt17integral_constantIbLb0EES1A_IbLb1EEEEDaS16_S17_EUlS16_E_NS1_11comp_targetILNS1_3genE8ELNS1_11target_archE1030ELNS1_3gpuE2ELNS1_3repE0EEENS1_30default_config_static_selectorELNS0_4arch9wavefront6targetE1EEEvT1_.kd
    .uniform_work_group_size: 1
    .uses_dynamic_stack: false
    .vgpr_count:     0
    .vgpr_spill_count: 0
    .wavefront_size: 64
  - .agpr_count:     0
    .args:
      - .offset:         0
        .size:           144
        .value_kind:     by_value
    .group_segment_fixed_size: 0
    .kernarg_segment_align: 8
    .kernarg_segment_size: 144
    .language:       OpenCL C
    .language_version:
      - 2
      - 0
    .max_flat_workgroup_size: 256
    .name:           _ZN7rocprim17ROCPRIM_400000_NS6detail17trampoline_kernelINS0_14default_configENS1_25partition_config_selectorILNS1_17partition_subalgoE1EsNS0_10empty_typeEbEEZZNS1_14partition_implILS5_1ELb0ES3_jN6thrust23THRUST_200600_302600_NS6detail15normal_iteratorINSA_10device_ptrIsEEEEPS6_NSA_18transform_iteratorI7is_evenIsESF_NSA_11use_defaultESK_EENS0_5tupleIJNSA_16discard_iteratorISK_EESO_EEENSM_IJSG_SG_EEES6_PlJS6_EEE10hipError_tPvRmT3_T4_T5_T6_T7_T9_mT8_P12ihipStream_tbDpT10_ENKUlT_T0_E_clISt17integral_constantIbLb0EES1B_EEDaS16_S17_EUlS16_E_NS1_11comp_targetILNS1_3genE0ELNS1_11target_archE4294967295ELNS1_3gpuE0ELNS1_3repE0EEENS1_30default_config_static_selectorELNS0_4arch9wavefront6targetE1EEEvT1_
    .private_segment_fixed_size: 0
    .sgpr_count:     4
    .sgpr_spill_count: 0
    .symbol:         _ZN7rocprim17ROCPRIM_400000_NS6detail17trampoline_kernelINS0_14default_configENS1_25partition_config_selectorILNS1_17partition_subalgoE1EsNS0_10empty_typeEbEEZZNS1_14partition_implILS5_1ELb0ES3_jN6thrust23THRUST_200600_302600_NS6detail15normal_iteratorINSA_10device_ptrIsEEEEPS6_NSA_18transform_iteratorI7is_evenIsESF_NSA_11use_defaultESK_EENS0_5tupleIJNSA_16discard_iteratorISK_EESO_EEENSM_IJSG_SG_EEES6_PlJS6_EEE10hipError_tPvRmT3_T4_T5_T6_T7_T9_mT8_P12ihipStream_tbDpT10_ENKUlT_T0_E_clISt17integral_constantIbLb0EES1B_EEDaS16_S17_EUlS16_E_NS1_11comp_targetILNS1_3genE0ELNS1_11target_archE4294967295ELNS1_3gpuE0ELNS1_3repE0EEENS1_30default_config_static_selectorELNS0_4arch9wavefront6targetE1EEEvT1_.kd
    .uniform_work_group_size: 1
    .uses_dynamic_stack: false
    .vgpr_count:     0
    .vgpr_spill_count: 0
    .wavefront_size: 64
  - .agpr_count:     0
    .args:
      - .offset:         0
        .size:           144
        .value_kind:     by_value
    .group_segment_fixed_size: 0
    .kernarg_segment_align: 8
    .kernarg_segment_size: 144
    .language:       OpenCL C
    .language_version:
      - 2
      - 0
    .max_flat_workgroup_size: 512
    .name:           _ZN7rocprim17ROCPRIM_400000_NS6detail17trampoline_kernelINS0_14default_configENS1_25partition_config_selectorILNS1_17partition_subalgoE1EsNS0_10empty_typeEbEEZZNS1_14partition_implILS5_1ELb0ES3_jN6thrust23THRUST_200600_302600_NS6detail15normal_iteratorINSA_10device_ptrIsEEEEPS6_NSA_18transform_iteratorI7is_evenIsESF_NSA_11use_defaultESK_EENS0_5tupleIJNSA_16discard_iteratorISK_EESO_EEENSM_IJSG_SG_EEES6_PlJS6_EEE10hipError_tPvRmT3_T4_T5_T6_T7_T9_mT8_P12ihipStream_tbDpT10_ENKUlT_T0_E_clISt17integral_constantIbLb0EES1B_EEDaS16_S17_EUlS16_E_NS1_11comp_targetILNS1_3genE5ELNS1_11target_archE942ELNS1_3gpuE9ELNS1_3repE0EEENS1_30default_config_static_selectorELNS0_4arch9wavefront6targetE1EEEvT1_
    .private_segment_fixed_size: 0
    .sgpr_count:     4
    .sgpr_spill_count: 0
    .symbol:         _ZN7rocprim17ROCPRIM_400000_NS6detail17trampoline_kernelINS0_14default_configENS1_25partition_config_selectorILNS1_17partition_subalgoE1EsNS0_10empty_typeEbEEZZNS1_14partition_implILS5_1ELb0ES3_jN6thrust23THRUST_200600_302600_NS6detail15normal_iteratorINSA_10device_ptrIsEEEEPS6_NSA_18transform_iteratorI7is_evenIsESF_NSA_11use_defaultESK_EENS0_5tupleIJNSA_16discard_iteratorISK_EESO_EEENSM_IJSG_SG_EEES6_PlJS6_EEE10hipError_tPvRmT3_T4_T5_T6_T7_T9_mT8_P12ihipStream_tbDpT10_ENKUlT_T0_E_clISt17integral_constantIbLb0EES1B_EEDaS16_S17_EUlS16_E_NS1_11comp_targetILNS1_3genE5ELNS1_11target_archE942ELNS1_3gpuE9ELNS1_3repE0EEENS1_30default_config_static_selectorELNS0_4arch9wavefront6targetE1EEEvT1_.kd
    .uniform_work_group_size: 1
    .uses_dynamic_stack: false
    .vgpr_count:     0
    .vgpr_spill_count: 0
    .wavefront_size: 64
  - .agpr_count:     0
    .args:
      - .offset:         0
        .size:           144
        .value_kind:     by_value
    .group_segment_fixed_size: 10248
    .kernarg_segment_align: 8
    .kernarg_segment_size: 144
    .language:       OpenCL C
    .language_version:
      - 2
      - 0
    .max_flat_workgroup_size: 256
    .name:           _ZN7rocprim17ROCPRIM_400000_NS6detail17trampoline_kernelINS0_14default_configENS1_25partition_config_selectorILNS1_17partition_subalgoE1EsNS0_10empty_typeEbEEZZNS1_14partition_implILS5_1ELb0ES3_jN6thrust23THRUST_200600_302600_NS6detail15normal_iteratorINSA_10device_ptrIsEEEEPS6_NSA_18transform_iteratorI7is_evenIsESF_NSA_11use_defaultESK_EENS0_5tupleIJNSA_16discard_iteratorISK_EESO_EEENSM_IJSG_SG_EEES6_PlJS6_EEE10hipError_tPvRmT3_T4_T5_T6_T7_T9_mT8_P12ihipStream_tbDpT10_ENKUlT_T0_E_clISt17integral_constantIbLb0EES1B_EEDaS16_S17_EUlS16_E_NS1_11comp_targetILNS1_3genE4ELNS1_11target_archE910ELNS1_3gpuE8ELNS1_3repE0EEENS1_30default_config_static_selectorELNS0_4arch9wavefront6targetE1EEEvT1_
    .private_segment_fixed_size: 0
    .sgpr_count:     40
    .sgpr_spill_count: 0
    .symbol:         _ZN7rocprim17ROCPRIM_400000_NS6detail17trampoline_kernelINS0_14default_configENS1_25partition_config_selectorILNS1_17partition_subalgoE1EsNS0_10empty_typeEbEEZZNS1_14partition_implILS5_1ELb0ES3_jN6thrust23THRUST_200600_302600_NS6detail15normal_iteratorINSA_10device_ptrIsEEEEPS6_NSA_18transform_iteratorI7is_evenIsESF_NSA_11use_defaultESK_EENS0_5tupleIJNSA_16discard_iteratorISK_EESO_EEENSM_IJSG_SG_EEES6_PlJS6_EEE10hipError_tPvRmT3_T4_T5_T6_T7_T9_mT8_P12ihipStream_tbDpT10_ENKUlT_T0_E_clISt17integral_constantIbLb0EES1B_EEDaS16_S17_EUlS16_E_NS1_11comp_targetILNS1_3genE4ELNS1_11target_archE910ELNS1_3gpuE8ELNS1_3repE0EEENS1_30default_config_static_selectorELNS0_4arch9wavefront6targetE1EEEvT1_.kd
    .uniform_work_group_size: 1
    .uses_dynamic_stack: false
    .vgpr_count:     64
    .vgpr_spill_count: 0
    .wavefront_size: 64
  - .agpr_count:     0
    .args:
      - .offset:         0
        .size:           144
        .value_kind:     by_value
    .group_segment_fixed_size: 0
    .kernarg_segment_align: 8
    .kernarg_segment_size: 144
    .language:       OpenCL C
    .language_version:
      - 2
      - 0
    .max_flat_workgroup_size: 256
    .name:           _ZN7rocprim17ROCPRIM_400000_NS6detail17trampoline_kernelINS0_14default_configENS1_25partition_config_selectorILNS1_17partition_subalgoE1EsNS0_10empty_typeEbEEZZNS1_14partition_implILS5_1ELb0ES3_jN6thrust23THRUST_200600_302600_NS6detail15normal_iteratorINSA_10device_ptrIsEEEEPS6_NSA_18transform_iteratorI7is_evenIsESF_NSA_11use_defaultESK_EENS0_5tupleIJNSA_16discard_iteratorISK_EESO_EEENSM_IJSG_SG_EEES6_PlJS6_EEE10hipError_tPvRmT3_T4_T5_T6_T7_T9_mT8_P12ihipStream_tbDpT10_ENKUlT_T0_E_clISt17integral_constantIbLb0EES1B_EEDaS16_S17_EUlS16_E_NS1_11comp_targetILNS1_3genE3ELNS1_11target_archE908ELNS1_3gpuE7ELNS1_3repE0EEENS1_30default_config_static_selectorELNS0_4arch9wavefront6targetE1EEEvT1_
    .private_segment_fixed_size: 0
    .sgpr_count:     4
    .sgpr_spill_count: 0
    .symbol:         _ZN7rocprim17ROCPRIM_400000_NS6detail17trampoline_kernelINS0_14default_configENS1_25partition_config_selectorILNS1_17partition_subalgoE1EsNS0_10empty_typeEbEEZZNS1_14partition_implILS5_1ELb0ES3_jN6thrust23THRUST_200600_302600_NS6detail15normal_iteratorINSA_10device_ptrIsEEEEPS6_NSA_18transform_iteratorI7is_evenIsESF_NSA_11use_defaultESK_EENS0_5tupleIJNSA_16discard_iteratorISK_EESO_EEENSM_IJSG_SG_EEES6_PlJS6_EEE10hipError_tPvRmT3_T4_T5_T6_T7_T9_mT8_P12ihipStream_tbDpT10_ENKUlT_T0_E_clISt17integral_constantIbLb0EES1B_EEDaS16_S17_EUlS16_E_NS1_11comp_targetILNS1_3genE3ELNS1_11target_archE908ELNS1_3gpuE7ELNS1_3repE0EEENS1_30default_config_static_selectorELNS0_4arch9wavefront6targetE1EEEvT1_.kd
    .uniform_work_group_size: 1
    .uses_dynamic_stack: false
    .vgpr_count:     0
    .vgpr_spill_count: 0
    .wavefront_size: 64
  - .agpr_count:     0
    .args:
      - .offset:         0
        .size:           144
        .value_kind:     by_value
    .group_segment_fixed_size: 0
    .kernarg_segment_align: 8
    .kernarg_segment_size: 144
    .language:       OpenCL C
    .language_version:
      - 2
      - 0
    .max_flat_workgroup_size: 256
    .name:           _ZN7rocprim17ROCPRIM_400000_NS6detail17trampoline_kernelINS0_14default_configENS1_25partition_config_selectorILNS1_17partition_subalgoE1EsNS0_10empty_typeEbEEZZNS1_14partition_implILS5_1ELb0ES3_jN6thrust23THRUST_200600_302600_NS6detail15normal_iteratorINSA_10device_ptrIsEEEEPS6_NSA_18transform_iteratorI7is_evenIsESF_NSA_11use_defaultESK_EENS0_5tupleIJNSA_16discard_iteratorISK_EESO_EEENSM_IJSG_SG_EEES6_PlJS6_EEE10hipError_tPvRmT3_T4_T5_T6_T7_T9_mT8_P12ihipStream_tbDpT10_ENKUlT_T0_E_clISt17integral_constantIbLb0EES1B_EEDaS16_S17_EUlS16_E_NS1_11comp_targetILNS1_3genE2ELNS1_11target_archE906ELNS1_3gpuE6ELNS1_3repE0EEENS1_30default_config_static_selectorELNS0_4arch9wavefront6targetE1EEEvT1_
    .private_segment_fixed_size: 0
    .sgpr_count:     4
    .sgpr_spill_count: 0
    .symbol:         _ZN7rocprim17ROCPRIM_400000_NS6detail17trampoline_kernelINS0_14default_configENS1_25partition_config_selectorILNS1_17partition_subalgoE1EsNS0_10empty_typeEbEEZZNS1_14partition_implILS5_1ELb0ES3_jN6thrust23THRUST_200600_302600_NS6detail15normal_iteratorINSA_10device_ptrIsEEEEPS6_NSA_18transform_iteratorI7is_evenIsESF_NSA_11use_defaultESK_EENS0_5tupleIJNSA_16discard_iteratorISK_EESO_EEENSM_IJSG_SG_EEES6_PlJS6_EEE10hipError_tPvRmT3_T4_T5_T6_T7_T9_mT8_P12ihipStream_tbDpT10_ENKUlT_T0_E_clISt17integral_constantIbLb0EES1B_EEDaS16_S17_EUlS16_E_NS1_11comp_targetILNS1_3genE2ELNS1_11target_archE906ELNS1_3gpuE6ELNS1_3repE0EEENS1_30default_config_static_selectorELNS0_4arch9wavefront6targetE1EEEvT1_.kd
    .uniform_work_group_size: 1
    .uses_dynamic_stack: false
    .vgpr_count:     0
    .vgpr_spill_count: 0
    .wavefront_size: 64
  - .agpr_count:     0
    .args:
      - .offset:         0
        .size:           144
        .value_kind:     by_value
    .group_segment_fixed_size: 0
    .kernarg_segment_align: 8
    .kernarg_segment_size: 144
    .language:       OpenCL C
    .language_version:
      - 2
      - 0
    .max_flat_workgroup_size: 384
    .name:           _ZN7rocprim17ROCPRIM_400000_NS6detail17trampoline_kernelINS0_14default_configENS1_25partition_config_selectorILNS1_17partition_subalgoE1EsNS0_10empty_typeEbEEZZNS1_14partition_implILS5_1ELb0ES3_jN6thrust23THRUST_200600_302600_NS6detail15normal_iteratorINSA_10device_ptrIsEEEEPS6_NSA_18transform_iteratorI7is_evenIsESF_NSA_11use_defaultESK_EENS0_5tupleIJNSA_16discard_iteratorISK_EESO_EEENSM_IJSG_SG_EEES6_PlJS6_EEE10hipError_tPvRmT3_T4_T5_T6_T7_T9_mT8_P12ihipStream_tbDpT10_ENKUlT_T0_E_clISt17integral_constantIbLb0EES1B_EEDaS16_S17_EUlS16_E_NS1_11comp_targetILNS1_3genE10ELNS1_11target_archE1200ELNS1_3gpuE4ELNS1_3repE0EEENS1_30default_config_static_selectorELNS0_4arch9wavefront6targetE1EEEvT1_
    .private_segment_fixed_size: 0
    .sgpr_count:     4
    .sgpr_spill_count: 0
    .symbol:         _ZN7rocprim17ROCPRIM_400000_NS6detail17trampoline_kernelINS0_14default_configENS1_25partition_config_selectorILNS1_17partition_subalgoE1EsNS0_10empty_typeEbEEZZNS1_14partition_implILS5_1ELb0ES3_jN6thrust23THRUST_200600_302600_NS6detail15normal_iteratorINSA_10device_ptrIsEEEEPS6_NSA_18transform_iteratorI7is_evenIsESF_NSA_11use_defaultESK_EENS0_5tupleIJNSA_16discard_iteratorISK_EESO_EEENSM_IJSG_SG_EEES6_PlJS6_EEE10hipError_tPvRmT3_T4_T5_T6_T7_T9_mT8_P12ihipStream_tbDpT10_ENKUlT_T0_E_clISt17integral_constantIbLb0EES1B_EEDaS16_S17_EUlS16_E_NS1_11comp_targetILNS1_3genE10ELNS1_11target_archE1200ELNS1_3gpuE4ELNS1_3repE0EEENS1_30default_config_static_selectorELNS0_4arch9wavefront6targetE1EEEvT1_.kd
    .uniform_work_group_size: 1
    .uses_dynamic_stack: false
    .vgpr_count:     0
    .vgpr_spill_count: 0
    .wavefront_size: 64
  - .agpr_count:     0
    .args:
      - .offset:         0
        .size:           144
        .value_kind:     by_value
    .group_segment_fixed_size: 0
    .kernarg_segment_align: 8
    .kernarg_segment_size: 144
    .language:       OpenCL C
    .language_version:
      - 2
      - 0
    .max_flat_workgroup_size: 128
    .name:           _ZN7rocprim17ROCPRIM_400000_NS6detail17trampoline_kernelINS0_14default_configENS1_25partition_config_selectorILNS1_17partition_subalgoE1EsNS0_10empty_typeEbEEZZNS1_14partition_implILS5_1ELb0ES3_jN6thrust23THRUST_200600_302600_NS6detail15normal_iteratorINSA_10device_ptrIsEEEEPS6_NSA_18transform_iteratorI7is_evenIsESF_NSA_11use_defaultESK_EENS0_5tupleIJNSA_16discard_iteratorISK_EESO_EEENSM_IJSG_SG_EEES6_PlJS6_EEE10hipError_tPvRmT3_T4_T5_T6_T7_T9_mT8_P12ihipStream_tbDpT10_ENKUlT_T0_E_clISt17integral_constantIbLb0EES1B_EEDaS16_S17_EUlS16_E_NS1_11comp_targetILNS1_3genE9ELNS1_11target_archE1100ELNS1_3gpuE3ELNS1_3repE0EEENS1_30default_config_static_selectorELNS0_4arch9wavefront6targetE1EEEvT1_
    .private_segment_fixed_size: 0
    .sgpr_count:     4
    .sgpr_spill_count: 0
    .symbol:         _ZN7rocprim17ROCPRIM_400000_NS6detail17trampoline_kernelINS0_14default_configENS1_25partition_config_selectorILNS1_17partition_subalgoE1EsNS0_10empty_typeEbEEZZNS1_14partition_implILS5_1ELb0ES3_jN6thrust23THRUST_200600_302600_NS6detail15normal_iteratorINSA_10device_ptrIsEEEEPS6_NSA_18transform_iteratorI7is_evenIsESF_NSA_11use_defaultESK_EENS0_5tupleIJNSA_16discard_iteratorISK_EESO_EEENSM_IJSG_SG_EEES6_PlJS6_EEE10hipError_tPvRmT3_T4_T5_T6_T7_T9_mT8_P12ihipStream_tbDpT10_ENKUlT_T0_E_clISt17integral_constantIbLb0EES1B_EEDaS16_S17_EUlS16_E_NS1_11comp_targetILNS1_3genE9ELNS1_11target_archE1100ELNS1_3gpuE3ELNS1_3repE0EEENS1_30default_config_static_selectorELNS0_4arch9wavefront6targetE1EEEvT1_.kd
    .uniform_work_group_size: 1
    .uses_dynamic_stack: false
    .vgpr_count:     0
    .vgpr_spill_count: 0
    .wavefront_size: 64
  - .agpr_count:     0
    .args:
      - .offset:         0
        .size:           144
        .value_kind:     by_value
    .group_segment_fixed_size: 0
    .kernarg_segment_align: 8
    .kernarg_segment_size: 144
    .language:       OpenCL C
    .language_version:
      - 2
      - 0
    .max_flat_workgroup_size: 512
    .name:           _ZN7rocprim17ROCPRIM_400000_NS6detail17trampoline_kernelINS0_14default_configENS1_25partition_config_selectorILNS1_17partition_subalgoE1EsNS0_10empty_typeEbEEZZNS1_14partition_implILS5_1ELb0ES3_jN6thrust23THRUST_200600_302600_NS6detail15normal_iteratorINSA_10device_ptrIsEEEEPS6_NSA_18transform_iteratorI7is_evenIsESF_NSA_11use_defaultESK_EENS0_5tupleIJNSA_16discard_iteratorISK_EESO_EEENSM_IJSG_SG_EEES6_PlJS6_EEE10hipError_tPvRmT3_T4_T5_T6_T7_T9_mT8_P12ihipStream_tbDpT10_ENKUlT_T0_E_clISt17integral_constantIbLb0EES1B_EEDaS16_S17_EUlS16_E_NS1_11comp_targetILNS1_3genE8ELNS1_11target_archE1030ELNS1_3gpuE2ELNS1_3repE0EEENS1_30default_config_static_selectorELNS0_4arch9wavefront6targetE1EEEvT1_
    .private_segment_fixed_size: 0
    .sgpr_count:     4
    .sgpr_spill_count: 0
    .symbol:         _ZN7rocprim17ROCPRIM_400000_NS6detail17trampoline_kernelINS0_14default_configENS1_25partition_config_selectorILNS1_17partition_subalgoE1EsNS0_10empty_typeEbEEZZNS1_14partition_implILS5_1ELb0ES3_jN6thrust23THRUST_200600_302600_NS6detail15normal_iteratorINSA_10device_ptrIsEEEEPS6_NSA_18transform_iteratorI7is_evenIsESF_NSA_11use_defaultESK_EENS0_5tupleIJNSA_16discard_iteratorISK_EESO_EEENSM_IJSG_SG_EEES6_PlJS6_EEE10hipError_tPvRmT3_T4_T5_T6_T7_T9_mT8_P12ihipStream_tbDpT10_ENKUlT_T0_E_clISt17integral_constantIbLb0EES1B_EEDaS16_S17_EUlS16_E_NS1_11comp_targetILNS1_3genE8ELNS1_11target_archE1030ELNS1_3gpuE2ELNS1_3repE0EEENS1_30default_config_static_selectorELNS0_4arch9wavefront6targetE1EEEvT1_.kd
    .uniform_work_group_size: 1
    .uses_dynamic_stack: false
    .vgpr_count:     0
    .vgpr_spill_count: 0
    .wavefront_size: 64
  - .agpr_count:     0
    .args:
      - .offset:         0
        .size:           160
        .value_kind:     by_value
    .group_segment_fixed_size: 0
    .kernarg_segment_align: 8
    .kernarg_segment_size: 160
    .language:       OpenCL C
    .language_version:
      - 2
      - 0
    .max_flat_workgroup_size: 256
    .name:           _ZN7rocprim17ROCPRIM_400000_NS6detail17trampoline_kernelINS0_14default_configENS1_25partition_config_selectorILNS1_17partition_subalgoE1EsNS0_10empty_typeEbEEZZNS1_14partition_implILS5_1ELb0ES3_jN6thrust23THRUST_200600_302600_NS6detail15normal_iteratorINSA_10device_ptrIsEEEEPS6_NSA_18transform_iteratorI7is_evenIsESF_NSA_11use_defaultESK_EENS0_5tupleIJNSA_16discard_iteratorISK_EESO_EEENSM_IJSG_SG_EEES6_PlJS6_EEE10hipError_tPvRmT3_T4_T5_T6_T7_T9_mT8_P12ihipStream_tbDpT10_ENKUlT_T0_E_clISt17integral_constantIbLb1EES1B_EEDaS16_S17_EUlS16_E_NS1_11comp_targetILNS1_3genE0ELNS1_11target_archE4294967295ELNS1_3gpuE0ELNS1_3repE0EEENS1_30default_config_static_selectorELNS0_4arch9wavefront6targetE1EEEvT1_
    .private_segment_fixed_size: 0
    .sgpr_count:     4
    .sgpr_spill_count: 0
    .symbol:         _ZN7rocprim17ROCPRIM_400000_NS6detail17trampoline_kernelINS0_14default_configENS1_25partition_config_selectorILNS1_17partition_subalgoE1EsNS0_10empty_typeEbEEZZNS1_14partition_implILS5_1ELb0ES3_jN6thrust23THRUST_200600_302600_NS6detail15normal_iteratorINSA_10device_ptrIsEEEEPS6_NSA_18transform_iteratorI7is_evenIsESF_NSA_11use_defaultESK_EENS0_5tupleIJNSA_16discard_iteratorISK_EESO_EEENSM_IJSG_SG_EEES6_PlJS6_EEE10hipError_tPvRmT3_T4_T5_T6_T7_T9_mT8_P12ihipStream_tbDpT10_ENKUlT_T0_E_clISt17integral_constantIbLb1EES1B_EEDaS16_S17_EUlS16_E_NS1_11comp_targetILNS1_3genE0ELNS1_11target_archE4294967295ELNS1_3gpuE0ELNS1_3repE0EEENS1_30default_config_static_selectorELNS0_4arch9wavefront6targetE1EEEvT1_.kd
    .uniform_work_group_size: 1
    .uses_dynamic_stack: false
    .vgpr_count:     0
    .vgpr_spill_count: 0
    .wavefront_size: 64
  - .agpr_count:     0
    .args:
      - .offset:         0
        .size:           160
        .value_kind:     by_value
    .group_segment_fixed_size: 0
    .kernarg_segment_align: 8
    .kernarg_segment_size: 160
    .language:       OpenCL C
    .language_version:
      - 2
      - 0
    .max_flat_workgroup_size: 512
    .name:           _ZN7rocprim17ROCPRIM_400000_NS6detail17trampoline_kernelINS0_14default_configENS1_25partition_config_selectorILNS1_17partition_subalgoE1EsNS0_10empty_typeEbEEZZNS1_14partition_implILS5_1ELb0ES3_jN6thrust23THRUST_200600_302600_NS6detail15normal_iteratorINSA_10device_ptrIsEEEEPS6_NSA_18transform_iteratorI7is_evenIsESF_NSA_11use_defaultESK_EENS0_5tupleIJNSA_16discard_iteratorISK_EESO_EEENSM_IJSG_SG_EEES6_PlJS6_EEE10hipError_tPvRmT3_T4_T5_T6_T7_T9_mT8_P12ihipStream_tbDpT10_ENKUlT_T0_E_clISt17integral_constantIbLb1EES1B_EEDaS16_S17_EUlS16_E_NS1_11comp_targetILNS1_3genE5ELNS1_11target_archE942ELNS1_3gpuE9ELNS1_3repE0EEENS1_30default_config_static_selectorELNS0_4arch9wavefront6targetE1EEEvT1_
    .private_segment_fixed_size: 0
    .sgpr_count:     4
    .sgpr_spill_count: 0
    .symbol:         _ZN7rocprim17ROCPRIM_400000_NS6detail17trampoline_kernelINS0_14default_configENS1_25partition_config_selectorILNS1_17partition_subalgoE1EsNS0_10empty_typeEbEEZZNS1_14partition_implILS5_1ELb0ES3_jN6thrust23THRUST_200600_302600_NS6detail15normal_iteratorINSA_10device_ptrIsEEEEPS6_NSA_18transform_iteratorI7is_evenIsESF_NSA_11use_defaultESK_EENS0_5tupleIJNSA_16discard_iteratorISK_EESO_EEENSM_IJSG_SG_EEES6_PlJS6_EEE10hipError_tPvRmT3_T4_T5_T6_T7_T9_mT8_P12ihipStream_tbDpT10_ENKUlT_T0_E_clISt17integral_constantIbLb1EES1B_EEDaS16_S17_EUlS16_E_NS1_11comp_targetILNS1_3genE5ELNS1_11target_archE942ELNS1_3gpuE9ELNS1_3repE0EEENS1_30default_config_static_selectorELNS0_4arch9wavefront6targetE1EEEvT1_.kd
    .uniform_work_group_size: 1
    .uses_dynamic_stack: false
    .vgpr_count:     0
    .vgpr_spill_count: 0
    .wavefront_size: 64
  - .agpr_count:     0
    .args:
      - .offset:         0
        .size:           160
        .value_kind:     by_value
    .group_segment_fixed_size: 10248
    .kernarg_segment_align: 8
    .kernarg_segment_size: 160
    .language:       OpenCL C
    .language_version:
      - 2
      - 0
    .max_flat_workgroup_size: 256
    .name:           _ZN7rocprim17ROCPRIM_400000_NS6detail17trampoline_kernelINS0_14default_configENS1_25partition_config_selectorILNS1_17partition_subalgoE1EsNS0_10empty_typeEbEEZZNS1_14partition_implILS5_1ELb0ES3_jN6thrust23THRUST_200600_302600_NS6detail15normal_iteratorINSA_10device_ptrIsEEEEPS6_NSA_18transform_iteratorI7is_evenIsESF_NSA_11use_defaultESK_EENS0_5tupleIJNSA_16discard_iteratorISK_EESO_EEENSM_IJSG_SG_EEES6_PlJS6_EEE10hipError_tPvRmT3_T4_T5_T6_T7_T9_mT8_P12ihipStream_tbDpT10_ENKUlT_T0_E_clISt17integral_constantIbLb1EES1B_EEDaS16_S17_EUlS16_E_NS1_11comp_targetILNS1_3genE4ELNS1_11target_archE910ELNS1_3gpuE8ELNS1_3repE0EEENS1_30default_config_static_selectorELNS0_4arch9wavefront6targetE1EEEvT1_
    .private_segment_fixed_size: 0
    .sgpr_count:     40
    .sgpr_spill_count: 0
    .symbol:         _ZN7rocprim17ROCPRIM_400000_NS6detail17trampoline_kernelINS0_14default_configENS1_25partition_config_selectorILNS1_17partition_subalgoE1EsNS0_10empty_typeEbEEZZNS1_14partition_implILS5_1ELb0ES3_jN6thrust23THRUST_200600_302600_NS6detail15normal_iteratorINSA_10device_ptrIsEEEEPS6_NSA_18transform_iteratorI7is_evenIsESF_NSA_11use_defaultESK_EENS0_5tupleIJNSA_16discard_iteratorISK_EESO_EEENSM_IJSG_SG_EEES6_PlJS6_EEE10hipError_tPvRmT3_T4_T5_T6_T7_T9_mT8_P12ihipStream_tbDpT10_ENKUlT_T0_E_clISt17integral_constantIbLb1EES1B_EEDaS16_S17_EUlS16_E_NS1_11comp_targetILNS1_3genE4ELNS1_11target_archE910ELNS1_3gpuE8ELNS1_3repE0EEENS1_30default_config_static_selectorELNS0_4arch9wavefront6targetE1EEEvT1_.kd
    .uniform_work_group_size: 1
    .uses_dynamic_stack: false
    .vgpr_count:     66
    .vgpr_spill_count: 0
    .wavefront_size: 64
  - .agpr_count:     0
    .args:
      - .offset:         0
        .size:           160
        .value_kind:     by_value
    .group_segment_fixed_size: 0
    .kernarg_segment_align: 8
    .kernarg_segment_size: 160
    .language:       OpenCL C
    .language_version:
      - 2
      - 0
    .max_flat_workgroup_size: 256
    .name:           _ZN7rocprim17ROCPRIM_400000_NS6detail17trampoline_kernelINS0_14default_configENS1_25partition_config_selectorILNS1_17partition_subalgoE1EsNS0_10empty_typeEbEEZZNS1_14partition_implILS5_1ELb0ES3_jN6thrust23THRUST_200600_302600_NS6detail15normal_iteratorINSA_10device_ptrIsEEEEPS6_NSA_18transform_iteratorI7is_evenIsESF_NSA_11use_defaultESK_EENS0_5tupleIJNSA_16discard_iteratorISK_EESO_EEENSM_IJSG_SG_EEES6_PlJS6_EEE10hipError_tPvRmT3_T4_T5_T6_T7_T9_mT8_P12ihipStream_tbDpT10_ENKUlT_T0_E_clISt17integral_constantIbLb1EES1B_EEDaS16_S17_EUlS16_E_NS1_11comp_targetILNS1_3genE3ELNS1_11target_archE908ELNS1_3gpuE7ELNS1_3repE0EEENS1_30default_config_static_selectorELNS0_4arch9wavefront6targetE1EEEvT1_
    .private_segment_fixed_size: 0
    .sgpr_count:     4
    .sgpr_spill_count: 0
    .symbol:         _ZN7rocprim17ROCPRIM_400000_NS6detail17trampoline_kernelINS0_14default_configENS1_25partition_config_selectorILNS1_17partition_subalgoE1EsNS0_10empty_typeEbEEZZNS1_14partition_implILS5_1ELb0ES3_jN6thrust23THRUST_200600_302600_NS6detail15normal_iteratorINSA_10device_ptrIsEEEEPS6_NSA_18transform_iteratorI7is_evenIsESF_NSA_11use_defaultESK_EENS0_5tupleIJNSA_16discard_iteratorISK_EESO_EEENSM_IJSG_SG_EEES6_PlJS6_EEE10hipError_tPvRmT3_T4_T5_T6_T7_T9_mT8_P12ihipStream_tbDpT10_ENKUlT_T0_E_clISt17integral_constantIbLb1EES1B_EEDaS16_S17_EUlS16_E_NS1_11comp_targetILNS1_3genE3ELNS1_11target_archE908ELNS1_3gpuE7ELNS1_3repE0EEENS1_30default_config_static_selectorELNS0_4arch9wavefront6targetE1EEEvT1_.kd
    .uniform_work_group_size: 1
    .uses_dynamic_stack: false
    .vgpr_count:     0
    .vgpr_spill_count: 0
    .wavefront_size: 64
  - .agpr_count:     0
    .args:
      - .offset:         0
        .size:           160
        .value_kind:     by_value
    .group_segment_fixed_size: 0
    .kernarg_segment_align: 8
    .kernarg_segment_size: 160
    .language:       OpenCL C
    .language_version:
      - 2
      - 0
    .max_flat_workgroup_size: 256
    .name:           _ZN7rocprim17ROCPRIM_400000_NS6detail17trampoline_kernelINS0_14default_configENS1_25partition_config_selectorILNS1_17partition_subalgoE1EsNS0_10empty_typeEbEEZZNS1_14partition_implILS5_1ELb0ES3_jN6thrust23THRUST_200600_302600_NS6detail15normal_iteratorINSA_10device_ptrIsEEEEPS6_NSA_18transform_iteratorI7is_evenIsESF_NSA_11use_defaultESK_EENS0_5tupleIJNSA_16discard_iteratorISK_EESO_EEENSM_IJSG_SG_EEES6_PlJS6_EEE10hipError_tPvRmT3_T4_T5_T6_T7_T9_mT8_P12ihipStream_tbDpT10_ENKUlT_T0_E_clISt17integral_constantIbLb1EES1B_EEDaS16_S17_EUlS16_E_NS1_11comp_targetILNS1_3genE2ELNS1_11target_archE906ELNS1_3gpuE6ELNS1_3repE0EEENS1_30default_config_static_selectorELNS0_4arch9wavefront6targetE1EEEvT1_
    .private_segment_fixed_size: 0
    .sgpr_count:     4
    .sgpr_spill_count: 0
    .symbol:         _ZN7rocprim17ROCPRIM_400000_NS6detail17trampoline_kernelINS0_14default_configENS1_25partition_config_selectorILNS1_17partition_subalgoE1EsNS0_10empty_typeEbEEZZNS1_14partition_implILS5_1ELb0ES3_jN6thrust23THRUST_200600_302600_NS6detail15normal_iteratorINSA_10device_ptrIsEEEEPS6_NSA_18transform_iteratorI7is_evenIsESF_NSA_11use_defaultESK_EENS0_5tupleIJNSA_16discard_iteratorISK_EESO_EEENSM_IJSG_SG_EEES6_PlJS6_EEE10hipError_tPvRmT3_T4_T5_T6_T7_T9_mT8_P12ihipStream_tbDpT10_ENKUlT_T0_E_clISt17integral_constantIbLb1EES1B_EEDaS16_S17_EUlS16_E_NS1_11comp_targetILNS1_3genE2ELNS1_11target_archE906ELNS1_3gpuE6ELNS1_3repE0EEENS1_30default_config_static_selectorELNS0_4arch9wavefront6targetE1EEEvT1_.kd
    .uniform_work_group_size: 1
    .uses_dynamic_stack: false
    .vgpr_count:     0
    .vgpr_spill_count: 0
    .wavefront_size: 64
  - .agpr_count:     0
    .args:
      - .offset:         0
        .size:           160
        .value_kind:     by_value
    .group_segment_fixed_size: 0
    .kernarg_segment_align: 8
    .kernarg_segment_size: 160
    .language:       OpenCL C
    .language_version:
      - 2
      - 0
    .max_flat_workgroup_size: 384
    .name:           _ZN7rocprim17ROCPRIM_400000_NS6detail17trampoline_kernelINS0_14default_configENS1_25partition_config_selectorILNS1_17partition_subalgoE1EsNS0_10empty_typeEbEEZZNS1_14partition_implILS5_1ELb0ES3_jN6thrust23THRUST_200600_302600_NS6detail15normal_iteratorINSA_10device_ptrIsEEEEPS6_NSA_18transform_iteratorI7is_evenIsESF_NSA_11use_defaultESK_EENS0_5tupleIJNSA_16discard_iteratorISK_EESO_EEENSM_IJSG_SG_EEES6_PlJS6_EEE10hipError_tPvRmT3_T4_T5_T6_T7_T9_mT8_P12ihipStream_tbDpT10_ENKUlT_T0_E_clISt17integral_constantIbLb1EES1B_EEDaS16_S17_EUlS16_E_NS1_11comp_targetILNS1_3genE10ELNS1_11target_archE1200ELNS1_3gpuE4ELNS1_3repE0EEENS1_30default_config_static_selectorELNS0_4arch9wavefront6targetE1EEEvT1_
    .private_segment_fixed_size: 0
    .sgpr_count:     4
    .sgpr_spill_count: 0
    .symbol:         _ZN7rocprim17ROCPRIM_400000_NS6detail17trampoline_kernelINS0_14default_configENS1_25partition_config_selectorILNS1_17partition_subalgoE1EsNS0_10empty_typeEbEEZZNS1_14partition_implILS5_1ELb0ES3_jN6thrust23THRUST_200600_302600_NS6detail15normal_iteratorINSA_10device_ptrIsEEEEPS6_NSA_18transform_iteratorI7is_evenIsESF_NSA_11use_defaultESK_EENS0_5tupleIJNSA_16discard_iteratorISK_EESO_EEENSM_IJSG_SG_EEES6_PlJS6_EEE10hipError_tPvRmT3_T4_T5_T6_T7_T9_mT8_P12ihipStream_tbDpT10_ENKUlT_T0_E_clISt17integral_constantIbLb1EES1B_EEDaS16_S17_EUlS16_E_NS1_11comp_targetILNS1_3genE10ELNS1_11target_archE1200ELNS1_3gpuE4ELNS1_3repE0EEENS1_30default_config_static_selectorELNS0_4arch9wavefront6targetE1EEEvT1_.kd
    .uniform_work_group_size: 1
    .uses_dynamic_stack: false
    .vgpr_count:     0
    .vgpr_spill_count: 0
    .wavefront_size: 64
  - .agpr_count:     0
    .args:
      - .offset:         0
        .size:           160
        .value_kind:     by_value
    .group_segment_fixed_size: 0
    .kernarg_segment_align: 8
    .kernarg_segment_size: 160
    .language:       OpenCL C
    .language_version:
      - 2
      - 0
    .max_flat_workgroup_size: 128
    .name:           _ZN7rocprim17ROCPRIM_400000_NS6detail17trampoline_kernelINS0_14default_configENS1_25partition_config_selectorILNS1_17partition_subalgoE1EsNS0_10empty_typeEbEEZZNS1_14partition_implILS5_1ELb0ES3_jN6thrust23THRUST_200600_302600_NS6detail15normal_iteratorINSA_10device_ptrIsEEEEPS6_NSA_18transform_iteratorI7is_evenIsESF_NSA_11use_defaultESK_EENS0_5tupleIJNSA_16discard_iteratorISK_EESO_EEENSM_IJSG_SG_EEES6_PlJS6_EEE10hipError_tPvRmT3_T4_T5_T6_T7_T9_mT8_P12ihipStream_tbDpT10_ENKUlT_T0_E_clISt17integral_constantIbLb1EES1B_EEDaS16_S17_EUlS16_E_NS1_11comp_targetILNS1_3genE9ELNS1_11target_archE1100ELNS1_3gpuE3ELNS1_3repE0EEENS1_30default_config_static_selectorELNS0_4arch9wavefront6targetE1EEEvT1_
    .private_segment_fixed_size: 0
    .sgpr_count:     4
    .sgpr_spill_count: 0
    .symbol:         _ZN7rocprim17ROCPRIM_400000_NS6detail17trampoline_kernelINS0_14default_configENS1_25partition_config_selectorILNS1_17partition_subalgoE1EsNS0_10empty_typeEbEEZZNS1_14partition_implILS5_1ELb0ES3_jN6thrust23THRUST_200600_302600_NS6detail15normal_iteratorINSA_10device_ptrIsEEEEPS6_NSA_18transform_iteratorI7is_evenIsESF_NSA_11use_defaultESK_EENS0_5tupleIJNSA_16discard_iteratorISK_EESO_EEENSM_IJSG_SG_EEES6_PlJS6_EEE10hipError_tPvRmT3_T4_T5_T6_T7_T9_mT8_P12ihipStream_tbDpT10_ENKUlT_T0_E_clISt17integral_constantIbLb1EES1B_EEDaS16_S17_EUlS16_E_NS1_11comp_targetILNS1_3genE9ELNS1_11target_archE1100ELNS1_3gpuE3ELNS1_3repE0EEENS1_30default_config_static_selectorELNS0_4arch9wavefront6targetE1EEEvT1_.kd
    .uniform_work_group_size: 1
    .uses_dynamic_stack: false
    .vgpr_count:     0
    .vgpr_spill_count: 0
    .wavefront_size: 64
  - .agpr_count:     0
    .args:
      - .offset:         0
        .size:           160
        .value_kind:     by_value
    .group_segment_fixed_size: 0
    .kernarg_segment_align: 8
    .kernarg_segment_size: 160
    .language:       OpenCL C
    .language_version:
      - 2
      - 0
    .max_flat_workgroup_size: 512
    .name:           _ZN7rocprim17ROCPRIM_400000_NS6detail17trampoline_kernelINS0_14default_configENS1_25partition_config_selectorILNS1_17partition_subalgoE1EsNS0_10empty_typeEbEEZZNS1_14partition_implILS5_1ELb0ES3_jN6thrust23THRUST_200600_302600_NS6detail15normal_iteratorINSA_10device_ptrIsEEEEPS6_NSA_18transform_iteratorI7is_evenIsESF_NSA_11use_defaultESK_EENS0_5tupleIJNSA_16discard_iteratorISK_EESO_EEENSM_IJSG_SG_EEES6_PlJS6_EEE10hipError_tPvRmT3_T4_T5_T6_T7_T9_mT8_P12ihipStream_tbDpT10_ENKUlT_T0_E_clISt17integral_constantIbLb1EES1B_EEDaS16_S17_EUlS16_E_NS1_11comp_targetILNS1_3genE8ELNS1_11target_archE1030ELNS1_3gpuE2ELNS1_3repE0EEENS1_30default_config_static_selectorELNS0_4arch9wavefront6targetE1EEEvT1_
    .private_segment_fixed_size: 0
    .sgpr_count:     4
    .sgpr_spill_count: 0
    .symbol:         _ZN7rocprim17ROCPRIM_400000_NS6detail17trampoline_kernelINS0_14default_configENS1_25partition_config_selectorILNS1_17partition_subalgoE1EsNS0_10empty_typeEbEEZZNS1_14partition_implILS5_1ELb0ES3_jN6thrust23THRUST_200600_302600_NS6detail15normal_iteratorINSA_10device_ptrIsEEEEPS6_NSA_18transform_iteratorI7is_evenIsESF_NSA_11use_defaultESK_EENS0_5tupleIJNSA_16discard_iteratorISK_EESO_EEENSM_IJSG_SG_EEES6_PlJS6_EEE10hipError_tPvRmT3_T4_T5_T6_T7_T9_mT8_P12ihipStream_tbDpT10_ENKUlT_T0_E_clISt17integral_constantIbLb1EES1B_EEDaS16_S17_EUlS16_E_NS1_11comp_targetILNS1_3genE8ELNS1_11target_archE1030ELNS1_3gpuE2ELNS1_3repE0EEENS1_30default_config_static_selectorELNS0_4arch9wavefront6targetE1EEEvT1_.kd
    .uniform_work_group_size: 1
    .uses_dynamic_stack: false
    .vgpr_count:     0
    .vgpr_spill_count: 0
    .wavefront_size: 64
  - .agpr_count:     0
    .args:
      - .offset:         0
        .size:           144
        .value_kind:     by_value
    .group_segment_fixed_size: 0
    .kernarg_segment_align: 8
    .kernarg_segment_size: 144
    .language:       OpenCL C
    .language_version:
      - 2
      - 0
    .max_flat_workgroup_size: 256
    .name:           _ZN7rocprim17ROCPRIM_400000_NS6detail17trampoline_kernelINS0_14default_configENS1_25partition_config_selectorILNS1_17partition_subalgoE1EsNS0_10empty_typeEbEEZZNS1_14partition_implILS5_1ELb0ES3_jN6thrust23THRUST_200600_302600_NS6detail15normal_iteratorINSA_10device_ptrIsEEEEPS6_NSA_18transform_iteratorI7is_evenIsESF_NSA_11use_defaultESK_EENS0_5tupleIJNSA_16discard_iteratorISK_EESO_EEENSM_IJSG_SG_EEES6_PlJS6_EEE10hipError_tPvRmT3_T4_T5_T6_T7_T9_mT8_P12ihipStream_tbDpT10_ENKUlT_T0_E_clISt17integral_constantIbLb1EES1A_IbLb0EEEEDaS16_S17_EUlS16_E_NS1_11comp_targetILNS1_3genE0ELNS1_11target_archE4294967295ELNS1_3gpuE0ELNS1_3repE0EEENS1_30default_config_static_selectorELNS0_4arch9wavefront6targetE1EEEvT1_
    .private_segment_fixed_size: 0
    .sgpr_count:     4
    .sgpr_spill_count: 0
    .symbol:         _ZN7rocprim17ROCPRIM_400000_NS6detail17trampoline_kernelINS0_14default_configENS1_25partition_config_selectorILNS1_17partition_subalgoE1EsNS0_10empty_typeEbEEZZNS1_14partition_implILS5_1ELb0ES3_jN6thrust23THRUST_200600_302600_NS6detail15normal_iteratorINSA_10device_ptrIsEEEEPS6_NSA_18transform_iteratorI7is_evenIsESF_NSA_11use_defaultESK_EENS0_5tupleIJNSA_16discard_iteratorISK_EESO_EEENSM_IJSG_SG_EEES6_PlJS6_EEE10hipError_tPvRmT3_T4_T5_T6_T7_T9_mT8_P12ihipStream_tbDpT10_ENKUlT_T0_E_clISt17integral_constantIbLb1EES1A_IbLb0EEEEDaS16_S17_EUlS16_E_NS1_11comp_targetILNS1_3genE0ELNS1_11target_archE4294967295ELNS1_3gpuE0ELNS1_3repE0EEENS1_30default_config_static_selectorELNS0_4arch9wavefront6targetE1EEEvT1_.kd
    .uniform_work_group_size: 1
    .uses_dynamic_stack: false
    .vgpr_count:     0
    .vgpr_spill_count: 0
    .wavefront_size: 64
  - .agpr_count:     0
    .args:
      - .offset:         0
        .size:           144
        .value_kind:     by_value
    .group_segment_fixed_size: 0
    .kernarg_segment_align: 8
    .kernarg_segment_size: 144
    .language:       OpenCL C
    .language_version:
      - 2
      - 0
    .max_flat_workgroup_size: 512
    .name:           _ZN7rocprim17ROCPRIM_400000_NS6detail17trampoline_kernelINS0_14default_configENS1_25partition_config_selectorILNS1_17partition_subalgoE1EsNS0_10empty_typeEbEEZZNS1_14partition_implILS5_1ELb0ES3_jN6thrust23THRUST_200600_302600_NS6detail15normal_iteratorINSA_10device_ptrIsEEEEPS6_NSA_18transform_iteratorI7is_evenIsESF_NSA_11use_defaultESK_EENS0_5tupleIJNSA_16discard_iteratorISK_EESO_EEENSM_IJSG_SG_EEES6_PlJS6_EEE10hipError_tPvRmT3_T4_T5_T6_T7_T9_mT8_P12ihipStream_tbDpT10_ENKUlT_T0_E_clISt17integral_constantIbLb1EES1A_IbLb0EEEEDaS16_S17_EUlS16_E_NS1_11comp_targetILNS1_3genE5ELNS1_11target_archE942ELNS1_3gpuE9ELNS1_3repE0EEENS1_30default_config_static_selectorELNS0_4arch9wavefront6targetE1EEEvT1_
    .private_segment_fixed_size: 0
    .sgpr_count:     4
    .sgpr_spill_count: 0
    .symbol:         _ZN7rocprim17ROCPRIM_400000_NS6detail17trampoline_kernelINS0_14default_configENS1_25partition_config_selectorILNS1_17partition_subalgoE1EsNS0_10empty_typeEbEEZZNS1_14partition_implILS5_1ELb0ES3_jN6thrust23THRUST_200600_302600_NS6detail15normal_iteratorINSA_10device_ptrIsEEEEPS6_NSA_18transform_iteratorI7is_evenIsESF_NSA_11use_defaultESK_EENS0_5tupleIJNSA_16discard_iteratorISK_EESO_EEENSM_IJSG_SG_EEES6_PlJS6_EEE10hipError_tPvRmT3_T4_T5_T6_T7_T9_mT8_P12ihipStream_tbDpT10_ENKUlT_T0_E_clISt17integral_constantIbLb1EES1A_IbLb0EEEEDaS16_S17_EUlS16_E_NS1_11comp_targetILNS1_3genE5ELNS1_11target_archE942ELNS1_3gpuE9ELNS1_3repE0EEENS1_30default_config_static_selectorELNS0_4arch9wavefront6targetE1EEEvT1_.kd
    .uniform_work_group_size: 1
    .uses_dynamic_stack: false
    .vgpr_count:     0
    .vgpr_spill_count: 0
    .wavefront_size: 64
  - .agpr_count:     0
    .args:
      - .offset:         0
        .size:           144
        .value_kind:     by_value
    .group_segment_fixed_size: 10248
    .kernarg_segment_align: 8
    .kernarg_segment_size: 144
    .language:       OpenCL C
    .language_version:
      - 2
      - 0
    .max_flat_workgroup_size: 256
    .name:           _ZN7rocprim17ROCPRIM_400000_NS6detail17trampoline_kernelINS0_14default_configENS1_25partition_config_selectorILNS1_17partition_subalgoE1EsNS0_10empty_typeEbEEZZNS1_14partition_implILS5_1ELb0ES3_jN6thrust23THRUST_200600_302600_NS6detail15normal_iteratorINSA_10device_ptrIsEEEEPS6_NSA_18transform_iteratorI7is_evenIsESF_NSA_11use_defaultESK_EENS0_5tupleIJNSA_16discard_iteratorISK_EESO_EEENSM_IJSG_SG_EEES6_PlJS6_EEE10hipError_tPvRmT3_T4_T5_T6_T7_T9_mT8_P12ihipStream_tbDpT10_ENKUlT_T0_E_clISt17integral_constantIbLb1EES1A_IbLb0EEEEDaS16_S17_EUlS16_E_NS1_11comp_targetILNS1_3genE4ELNS1_11target_archE910ELNS1_3gpuE8ELNS1_3repE0EEENS1_30default_config_static_selectorELNS0_4arch9wavefront6targetE1EEEvT1_
    .private_segment_fixed_size: 0
    .sgpr_count:     40
    .sgpr_spill_count: 0
    .symbol:         _ZN7rocprim17ROCPRIM_400000_NS6detail17trampoline_kernelINS0_14default_configENS1_25partition_config_selectorILNS1_17partition_subalgoE1EsNS0_10empty_typeEbEEZZNS1_14partition_implILS5_1ELb0ES3_jN6thrust23THRUST_200600_302600_NS6detail15normal_iteratorINSA_10device_ptrIsEEEEPS6_NSA_18transform_iteratorI7is_evenIsESF_NSA_11use_defaultESK_EENS0_5tupleIJNSA_16discard_iteratorISK_EESO_EEENSM_IJSG_SG_EEES6_PlJS6_EEE10hipError_tPvRmT3_T4_T5_T6_T7_T9_mT8_P12ihipStream_tbDpT10_ENKUlT_T0_E_clISt17integral_constantIbLb1EES1A_IbLb0EEEEDaS16_S17_EUlS16_E_NS1_11comp_targetILNS1_3genE4ELNS1_11target_archE910ELNS1_3gpuE8ELNS1_3repE0EEENS1_30default_config_static_selectorELNS0_4arch9wavefront6targetE1EEEvT1_.kd
    .uniform_work_group_size: 1
    .uses_dynamic_stack: false
    .vgpr_count:     64
    .vgpr_spill_count: 0
    .wavefront_size: 64
  - .agpr_count:     0
    .args:
      - .offset:         0
        .size:           144
        .value_kind:     by_value
    .group_segment_fixed_size: 0
    .kernarg_segment_align: 8
    .kernarg_segment_size: 144
    .language:       OpenCL C
    .language_version:
      - 2
      - 0
    .max_flat_workgroup_size: 256
    .name:           _ZN7rocprim17ROCPRIM_400000_NS6detail17trampoline_kernelINS0_14default_configENS1_25partition_config_selectorILNS1_17partition_subalgoE1EsNS0_10empty_typeEbEEZZNS1_14partition_implILS5_1ELb0ES3_jN6thrust23THRUST_200600_302600_NS6detail15normal_iteratorINSA_10device_ptrIsEEEEPS6_NSA_18transform_iteratorI7is_evenIsESF_NSA_11use_defaultESK_EENS0_5tupleIJNSA_16discard_iteratorISK_EESO_EEENSM_IJSG_SG_EEES6_PlJS6_EEE10hipError_tPvRmT3_T4_T5_T6_T7_T9_mT8_P12ihipStream_tbDpT10_ENKUlT_T0_E_clISt17integral_constantIbLb1EES1A_IbLb0EEEEDaS16_S17_EUlS16_E_NS1_11comp_targetILNS1_3genE3ELNS1_11target_archE908ELNS1_3gpuE7ELNS1_3repE0EEENS1_30default_config_static_selectorELNS0_4arch9wavefront6targetE1EEEvT1_
    .private_segment_fixed_size: 0
    .sgpr_count:     4
    .sgpr_spill_count: 0
    .symbol:         _ZN7rocprim17ROCPRIM_400000_NS6detail17trampoline_kernelINS0_14default_configENS1_25partition_config_selectorILNS1_17partition_subalgoE1EsNS0_10empty_typeEbEEZZNS1_14partition_implILS5_1ELb0ES3_jN6thrust23THRUST_200600_302600_NS6detail15normal_iteratorINSA_10device_ptrIsEEEEPS6_NSA_18transform_iteratorI7is_evenIsESF_NSA_11use_defaultESK_EENS0_5tupleIJNSA_16discard_iteratorISK_EESO_EEENSM_IJSG_SG_EEES6_PlJS6_EEE10hipError_tPvRmT3_T4_T5_T6_T7_T9_mT8_P12ihipStream_tbDpT10_ENKUlT_T0_E_clISt17integral_constantIbLb1EES1A_IbLb0EEEEDaS16_S17_EUlS16_E_NS1_11comp_targetILNS1_3genE3ELNS1_11target_archE908ELNS1_3gpuE7ELNS1_3repE0EEENS1_30default_config_static_selectorELNS0_4arch9wavefront6targetE1EEEvT1_.kd
    .uniform_work_group_size: 1
    .uses_dynamic_stack: false
    .vgpr_count:     0
    .vgpr_spill_count: 0
    .wavefront_size: 64
  - .agpr_count:     0
    .args:
      - .offset:         0
        .size:           144
        .value_kind:     by_value
    .group_segment_fixed_size: 0
    .kernarg_segment_align: 8
    .kernarg_segment_size: 144
    .language:       OpenCL C
    .language_version:
      - 2
      - 0
    .max_flat_workgroup_size: 256
    .name:           _ZN7rocprim17ROCPRIM_400000_NS6detail17trampoline_kernelINS0_14default_configENS1_25partition_config_selectorILNS1_17partition_subalgoE1EsNS0_10empty_typeEbEEZZNS1_14partition_implILS5_1ELb0ES3_jN6thrust23THRUST_200600_302600_NS6detail15normal_iteratorINSA_10device_ptrIsEEEEPS6_NSA_18transform_iteratorI7is_evenIsESF_NSA_11use_defaultESK_EENS0_5tupleIJNSA_16discard_iteratorISK_EESO_EEENSM_IJSG_SG_EEES6_PlJS6_EEE10hipError_tPvRmT3_T4_T5_T6_T7_T9_mT8_P12ihipStream_tbDpT10_ENKUlT_T0_E_clISt17integral_constantIbLb1EES1A_IbLb0EEEEDaS16_S17_EUlS16_E_NS1_11comp_targetILNS1_3genE2ELNS1_11target_archE906ELNS1_3gpuE6ELNS1_3repE0EEENS1_30default_config_static_selectorELNS0_4arch9wavefront6targetE1EEEvT1_
    .private_segment_fixed_size: 0
    .sgpr_count:     4
    .sgpr_spill_count: 0
    .symbol:         _ZN7rocprim17ROCPRIM_400000_NS6detail17trampoline_kernelINS0_14default_configENS1_25partition_config_selectorILNS1_17partition_subalgoE1EsNS0_10empty_typeEbEEZZNS1_14partition_implILS5_1ELb0ES3_jN6thrust23THRUST_200600_302600_NS6detail15normal_iteratorINSA_10device_ptrIsEEEEPS6_NSA_18transform_iteratorI7is_evenIsESF_NSA_11use_defaultESK_EENS0_5tupleIJNSA_16discard_iteratorISK_EESO_EEENSM_IJSG_SG_EEES6_PlJS6_EEE10hipError_tPvRmT3_T4_T5_T6_T7_T9_mT8_P12ihipStream_tbDpT10_ENKUlT_T0_E_clISt17integral_constantIbLb1EES1A_IbLb0EEEEDaS16_S17_EUlS16_E_NS1_11comp_targetILNS1_3genE2ELNS1_11target_archE906ELNS1_3gpuE6ELNS1_3repE0EEENS1_30default_config_static_selectorELNS0_4arch9wavefront6targetE1EEEvT1_.kd
    .uniform_work_group_size: 1
    .uses_dynamic_stack: false
    .vgpr_count:     0
    .vgpr_spill_count: 0
    .wavefront_size: 64
  - .agpr_count:     0
    .args:
      - .offset:         0
        .size:           144
        .value_kind:     by_value
    .group_segment_fixed_size: 0
    .kernarg_segment_align: 8
    .kernarg_segment_size: 144
    .language:       OpenCL C
    .language_version:
      - 2
      - 0
    .max_flat_workgroup_size: 384
    .name:           _ZN7rocprim17ROCPRIM_400000_NS6detail17trampoline_kernelINS0_14default_configENS1_25partition_config_selectorILNS1_17partition_subalgoE1EsNS0_10empty_typeEbEEZZNS1_14partition_implILS5_1ELb0ES3_jN6thrust23THRUST_200600_302600_NS6detail15normal_iteratorINSA_10device_ptrIsEEEEPS6_NSA_18transform_iteratorI7is_evenIsESF_NSA_11use_defaultESK_EENS0_5tupleIJNSA_16discard_iteratorISK_EESO_EEENSM_IJSG_SG_EEES6_PlJS6_EEE10hipError_tPvRmT3_T4_T5_T6_T7_T9_mT8_P12ihipStream_tbDpT10_ENKUlT_T0_E_clISt17integral_constantIbLb1EES1A_IbLb0EEEEDaS16_S17_EUlS16_E_NS1_11comp_targetILNS1_3genE10ELNS1_11target_archE1200ELNS1_3gpuE4ELNS1_3repE0EEENS1_30default_config_static_selectorELNS0_4arch9wavefront6targetE1EEEvT1_
    .private_segment_fixed_size: 0
    .sgpr_count:     4
    .sgpr_spill_count: 0
    .symbol:         _ZN7rocprim17ROCPRIM_400000_NS6detail17trampoline_kernelINS0_14default_configENS1_25partition_config_selectorILNS1_17partition_subalgoE1EsNS0_10empty_typeEbEEZZNS1_14partition_implILS5_1ELb0ES3_jN6thrust23THRUST_200600_302600_NS6detail15normal_iteratorINSA_10device_ptrIsEEEEPS6_NSA_18transform_iteratorI7is_evenIsESF_NSA_11use_defaultESK_EENS0_5tupleIJNSA_16discard_iteratorISK_EESO_EEENSM_IJSG_SG_EEES6_PlJS6_EEE10hipError_tPvRmT3_T4_T5_T6_T7_T9_mT8_P12ihipStream_tbDpT10_ENKUlT_T0_E_clISt17integral_constantIbLb1EES1A_IbLb0EEEEDaS16_S17_EUlS16_E_NS1_11comp_targetILNS1_3genE10ELNS1_11target_archE1200ELNS1_3gpuE4ELNS1_3repE0EEENS1_30default_config_static_selectorELNS0_4arch9wavefront6targetE1EEEvT1_.kd
    .uniform_work_group_size: 1
    .uses_dynamic_stack: false
    .vgpr_count:     0
    .vgpr_spill_count: 0
    .wavefront_size: 64
  - .agpr_count:     0
    .args:
      - .offset:         0
        .size:           144
        .value_kind:     by_value
    .group_segment_fixed_size: 0
    .kernarg_segment_align: 8
    .kernarg_segment_size: 144
    .language:       OpenCL C
    .language_version:
      - 2
      - 0
    .max_flat_workgroup_size: 128
    .name:           _ZN7rocprim17ROCPRIM_400000_NS6detail17trampoline_kernelINS0_14default_configENS1_25partition_config_selectorILNS1_17partition_subalgoE1EsNS0_10empty_typeEbEEZZNS1_14partition_implILS5_1ELb0ES3_jN6thrust23THRUST_200600_302600_NS6detail15normal_iteratorINSA_10device_ptrIsEEEEPS6_NSA_18transform_iteratorI7is_evenIsESF_NSA_11use_defaultESK_EENS0_5tupleIJNSA_16discard_iteratorISK_EESO_EEENSM_IJSG_SG_EEES6_PlJS6_EEE10hipError_tPvRmT3_T4_T5_T6_T7_T9_mT8_P12ihipStream_tbDpT10_ENKUlT_T0_E_clISt17integral_constantIbLb1EES1A_IbLb0EEEEDaS16_S17_EUlS16_E_NS1_11comp_targetILNS1_3genE9ELNS1_11target_archE1100ELNS1_3gpuE3ELNS1_3repE0EEENS1_30default_config_static_selectorELNS0_4arch9wavefront6targetE1EEEvT1_
    .private_segment_fixed_size: 0
    .sgpr_count:     4
    .sgpr_spill_count: 0
    .symbol:         _ZN7rocprim17ROCPRIM_400000_NS6detail17trampoline_kernelINS0_14default_configENS1_25partition_config_selectorILNS1_17partition_subalgoE1EsNS0_10empty_typeEbEEZZNS1_14partition_implILS5_1ELb0ES3_jN6thrust23THRUST_200600_302600_NS6detail15normal_iteratorINSA_10device_ptrIsEEEEPS6_NSA_18transform_iteratorI7is_evenIsESF_NSA_11use_defaultESK_EENS0_5tupleIJNSA_16discard_iteratorISK_EESO_EEENSM_IJSG_SG_EEES6_PlJS6_EEE10hipError_tPvRmT3_T4_T5_T6_T7_T9_mT8_P12ihipStream_tbDpT10_ENKUlT_T0_E_clISt17integral_constantIbLb1EES1A_IbLb0EEEEDaS16_S17_EUlS16_E_NS1_11comp_targetILNS1_3genE9ELNS1_11target_archE1100ELNS1_3gpuE3ELNS1_3repE0EEENS1_30default_config_static_selectorELNS0_4arch9wavefront6targetE1EEEvT1_.kd
    .uniform_work_group_size: 1
    .uses_dynamic_stack: false
    .vgpr_count:     0
    .vgpr_spill_count: 0
    .wavefront_size: 64
  - .agpr_count:     0
    .args:
      - .offset:         0
        .size:           144
        .value_kind:     by_value
    .group_segment_fixed_size: 0
    .kernarg_segment_align: 8
    .kernarg_segment_size: 144
    .language:       OpenCL C
    .language_version:
      - 2
      - 0
    .max_flat_workgroup_size: 512
    .name:           _ZN7rocprim17ROCPRIM_400000_NS6detail17trampoline_kernelINS0_14default_configENS1_25partition_config_selectorILNS1_17partition_subalgoE1EsNS0_10empty_typeEbEEZZNS1_14partition_implILS5_1ELb0ES3_jN6thrust23THRUST_200600_302600_NS6detail15normal_iteratorINSA_10device_ptrIsEEEEPS6_NSA_18transform_iteratorI7is_evenIsESF_NSA_11use_defaultESK_EENS0_5tupleIJNSA_16discard_iteratorISK_EESO_EEENSM_IJSG_SG_EEES6_PlJS6_EEE10hipError_tPvRmT3_T4_T5_T6_T7_T9_mT8_P12ihipStream_tbDpT10_ENKUlT_T0_E_clISt17integral_constantIbLb1EES1A_IbLb0EEEEDaS16_S17_EUlS16_E_NS1_11comp_targetILNS1_3genE8ELNS1_11target_archE1030ELNS1_3gpuE2ELNS1_3repE0EEENS1_30default_config_static_selectorELNS0_4arch9wavefront6targetE1EEEvT1_
    .private_segment_fixed_size: 0
    .sgpr_count:     4
    .sgpr_spill_count: 0
    .symbol:         _ZN7rocprim17ROCPRIM_400000_NS6detail17trampoline_kernelINS0_14default_configENS1_25partition_config_selectorILNS1_17partition_subalgoE1EsNS0_10empty_typeEbEEZZNS1_14partition_implILS5_1ELb0ES3_jN6thrust23THRUST_200600_302600_NS6detail15normal_iteratorINSA_10device_ptrIsEEEEPS6_NSA_18transform_iteratorI7is_evenIsESF_NSA_11use_defaultESK_EENS0_5tupleIJNSA_16discard_iteratorISK_EESO_EEENSM_IJSG_SG_EEES6_PlJS6_EEE10hipError_tPvRmT3_T4_T5_T6_T7_T9_mT8_P12ihipStream_tbDpT10_ENKUlT_T0_E_clISt17integral_constantIbLb1EES1A_IbLb0EEEEDaS16_S17_EUlS16_E_NS1_11comp_targetILNS1_3genE8ELNS1_11target_archE1030ELNS1_3gpuE2ELNS1_3repE0EEENS1_30default_config_static_selectorELNS0_4arch9wavefront6targetE1EEEvT1_.kd
    .uniform_work_group_size: 1
    .uses_dynamic_stack: false
    .vgpr_count:     0
    .vgpr_spill_count: 0
    .wavefront_size: 64
  - .agpr_count:     0
    .args:
      - .offset:         0
        .size:           160
        .value_kind:     by_value
    .group_segment_fixed_size: 0
    .kernarg_segment_align: 8
    .kernarg_segment_size: 160
    .language:       OpenCL C
    .language_version:
      - 2
      - 0
    .max_flat_workgroup_size: 256
    .name:           _ZN7rocprim17ROCPRIM_400000_NS6detail17trampoline_kernelINS0_14default_configENS1_25partition_config_selectorILNS1_17partition_subalgoE1EsNS0_10empty_typeEbEEZZNS1_14partition_implILS5_1ELb0ES3_jN6thrust23THRUST_200600_302600_NS6detail15normal_iteratorINSA_10device_ptrIsEEEEPS6_NSA_18transform_iteratorI7is_evenIsESF_NSA_11use_defaultESK_EENS0_5tupleIJNSA_16discard_iteratorISK_EESO_EEENSM_IJSG_SG_EEES6_PlJS6_EEE10hipError_tPvRmT3_T4_T5_T6_T7_T9_mT8_P12ihipStream_tbDpT10_ENKUlT_T0_E_clISt17integral_constantIbLb0EES1A_IbLb1EEEEDaS16_S17_EUlS16_E_NS1_11comp_targetILNS1_3genE0ELNS1_11target_archE4294967295ELNS1_3gpuE0ELNS1_3repE0EEENS1_30default_config_static_selectorELNS0_4arch9wavefront6targetE1EEEvT1_
    .private_segment_fixed_size: 0
    .sgpr_count:     4
    .sgpr_spill_count: 0
    .symbol:         _ZN7rocprim17ROCPRIM_400000_NS6detail17trampoline_kernelINS0_14default_configENS1_25partition_config_selectorILNS1_17partition_subalgoE1EsNS0_10empty_typeEbEEZZNS1_14partition_implILS5_1ELb0ES3_jN6thrust23THRUST_200600_302600_NS6detail15normal_iteratorINSA_10device_ptrIsEEEEPS6_NSA_18transform_iteratorI7is_evenIsESF_NSA_11use_defaultESK_EENS0_5tupleIJNSA_16discard_iteratorISK_EESO_EEENSM_IJSG_SG_EEES6_PlJS6_EEE10hipError_tPvRmT3_T4_T5_T6_T7_T9_mT8_P12ihipStream_tbDpT10_ENKUlT_T0_E_clISt17integral_constantIbLb0EES1A_IbLb1EEEEDaS16_S17_EUlS16_E_NS1_11comp_targetILNS1_3genE0ELNS1_11target_archE4294967295ELNS1_3gpuE0ELNS1_3repE0EEENS1_30default_config_static_selectorELNS0_4arch9wavefront6targetE1EEEvT1_.kd
    .uniform_work_group_size: 1
    .uses_dynamic_stack: false
    .vgpr_count:     0
    .vgpr_spill_count: 0
    .wavefront_size: 64
  - .agpr_count:     0
    .args:
      - .offset:         0
        .size:           160
        .value_kind:     by_value
    .group_segment_fixed_size: 0
    .kernarg_segment_align: 8
    .kernarg_segment_size: 160
    .language:       OpenCL C
    .language_version:
      - 2
      - 0
    .max_flat_workgroup_size: 512
    .name:           _ZN7rocprim17ROCPRIM_400000_NS6detail17trampoline_kernelINS0_14default_configENS1_25partition_config_selectorILNS1_17partition_subalgoE1EsNS0_10empty_typeEbEEZZNS1_14partition_implILS5_1ELb0ES3_jN6thrust23THRUST_200600_302600_NS6detail15normal_iteratorINSA_10device_ptrIsEEEEPS6_NSA_18transform_iteratorI7is_evenIsESF_NSA_11use_defaultESK_EENS0_5tupleIJNSA_16discard_iteratorISK_EESO_EEENSM_IJSG_SG_EEES6_PlJS6_EEE10hipError_tPvRmT3_T4_T5_T6_T7_T9_mT8_P12ihipStream_tbDpT10_ENKUlT_T0_E_clISt17integral_constantIbLb0EES1A_IbLb1EEEEDaS16_S17_EUlS16_E_NS1_11comp_targetILNS1_3genE5ELNS1_11target_archE942ELNS1_3gpuE9ELNS1_3repE0EEENS1_30default_config_static_selectorELNS0_4arch9wavefront6targetE1EEEvT1_
    .private_segment_fixed_size: 0
    .sgpr_count:     4
    .sgpr_spill_count: 0
    .symbol:         _ZN7rocprim17ROCPRIM_400000_NS6detail17trampoline_kernelINS0_14default_configENS1_25partition_config_selectorILNS1_17partition_subalgoE1EsNS0_10empty_typeEbEEZZNS1_14partition_implILS5_1ELb0ES3_jN6thrust23THRUST_200600_302600_NS6detail15normal_iteratorINSA_10device_ptrIsEEEEPS6_NSA_18transform_iteratorI7is_evenIsESF_NSA_11use_defaultESK_EENS0_5tupleIJNSA_16discard_iteratorISK_EESO_EEENSM_IJSG_SG_EEES6_PlJS6_EEE10hipError_tPvRmT3_T4_T5_T6_T7_T9_mT8_P12ihipStream_tbDpT10_ENKUlT_T0_E_clISt17integral_constantIbLb0EES1A_IbLb1EEEEDaS16_S17_EUlS16_E_NS1_11comp_targetILNS1_3genE5ELNS1_11target_archE942ELNS1_3gpuE9ELNS1_3repE0EEENS1_30default_config_static_selectorELNS0_4arch9wavefront6targetE1EEEvT1_.kd
    .uniform_work_group_size: 1
    .uses_dynamic_stack: false
    .vgpr_count:     0
    .vgpr_spill_count: 0
    .wavefront_size: 64
  - .agpr_count:     0
    .args:
      - .offset:         0
        .size:           160
        .value_kind:     by_value
    .group_segment_fixed_size: 10248
    .kernarg_segment_align: 8
    .kernarg_segment_size: 160
    .language:       OpenCL C
    .language_version:
      - 2
      - 0
    .max_flat_workgroup_size: 256
    .name:           _ZN7rocprim17ROCPRIM_400000_NS6detail17trampoline_kernelINS0_14default_configENS1_25partition_config_selectorILNS1_17partition_subalgoE1EsNS0_10empty_typeEbEEZZNS1_14partition_implILS5_1ELb0ES3_jN6thrust23THRUST_200600_302600_NS6detail15normal_iteratorINSA_10device_ptrIsEEEEPS6_NSA_18transform_iteratorI7is_evenIsESF_NSA_11use_defaultESK_EENS0_5tupleIJNSA_16discard_iteratorISK_EESO_EEENSM_IJSG_SG_EEES6_PlJS6_EEE10hipError_tPvRmT3_T4_T5_T6_T7_T9_mT8_P12ihipStream_tbDpT10_ENKUlT_T0_E_clISt17integral_constantIbLb0EES1A_IbLb1EEEEDaS16_S17_EUlS16_E_NS1_11comp_targetILNS1_3genE4ELNS1_11target_archE910ELNS1_3gpuE8ELNS1_3repE0EEENS1_30default_config_static_selectorELNS0_4arch9wavefront6targetE1EEEvT1_
    .private_segment_fixed_size: 0
    .sgpr_count:     40
    .sgpr_spill_count: 0
    .symbol:         _ZN7rocprim17ROCPRIM_400000_NS6detail17trampoline_kernelINS0_14default_configENS1_25partition_config_selectorILNS1_17partition_subalgoE1EsNS0_10empty_typeEbEEZZNS1_14partition_implILS5_1ELb0ES3_jN6thrust23THRUST_200600_302600_NS6detail15normal_iteratorINSA_10device_ptrIsEEEEPS6_NSA_18transform_iteratorI7is_evenIsESF_NSA_11use_defaultESK_EENS0_5tupleIJNSA_16discard_iteratorISK_EESO_EEENSM_IJSG_SG_EEES6_PlJS6_EEE10hipError_tPvRmT3_T4_T5_T6_T7_T9_mT8_P12ihipStream_tbDpT10_ENKUlT_T0_E_clISt17integral_constantIbLb0EES1A_IbLb1EEEEDaS16_S17_EUlS16_E_NS1_11comp_targetILNS1_3genE4ELNS1_11target_archE910ELNS1_3gpuE8ELNS1_3repE0EEENS1_30default_config_static_selectorELNS0_4arch9wavefront6targetE1EEEvT1_.kd
    .uniform_work_group_size: 1
    .uses_dynamic_stack: false
    .vgpr_count:     66
    .vgpr_spill_count: 0
    .wavefront_size: 64
  - .agpr_count:     0
    .args:
      - .offset:         0
        .size:           160
        .value_kind:     by_value
    .group_segment_fixed_size: 0
    .kernarg_segment_align: 8
    .kernarg_segment_size: 160
    .language:       OpenCL C
    .language_version:
      - 2
      - 0
    .max_flat_workgroup_size: 256
    .name:           _ZN7rocprim17ROCPRIM_400000_NS6detail17trampoline_kernelINS0_14default_configENS1_25partition_config_selectorILNS1_17partition_subalgoE1EsNS0_10empty_typeEbEEZZNS1_14partition_implILS5_1ELb0ES3_jN6thrust23THRUST_200600_302600_NS6detail15normal_iteratorINSA_10device_ptrIsEEEEPS6_NSA_18transform_iteratorI7is_evenIsESF_NSA_11use_defaultESK_EENS0_5tupleIJNSA_16discard_iteratorISK_EESO_EEENSM_IJSG_SG_EEES6_PlJS6_EEE10hipError_tPvRmT3_T4_T5_T6_T7_T9_mT8_P12ihipStream_tbDpT10_ENKUlT_T0_E_clISt17integral_constantIbLb0EES1A_IbLb1EEEEDaS16_S17_EUlS16_E_NS1_11comp_targetILNS1_3genE3ELNS1_11target_archE908ELNS1_3gpuE7ELNS1_3repE0EEENS1_30default_config_static_selectorELNS0_4arch9wavefront6targetE1EEEvT1_
    .private_segment_fixed_size: 0
    .sgpr_count:     4
    .sgpr_spill_count: 0
    .symbol:         _ZN7rocprim17ROCPRIM_400000_NS6detail17trampoline_kernelINS0_14default_configENS1_25partition_config_selectorILNS1_17partition_subalgoE1EsNS0_10empty_typeEbEEZZNS1_14partition_implILS5_1ELb0ES3_jN6thrust23THRUST_200600_302600_NS6detail15normal_iteratorINSA_10device_ptrIsEEEEPS6_NSA_18transform_iteratorI7is_evenIsESF_NSA_11use_defaultESK_EENS0_5tupleIJNSA_16discard_iteratorISK_EESO_EEENSM_IJSG_SG_EEES6_PlJS6_EEE10hipError_tPvRmT3_T4_T5_T6_T7_T9_mT8_P12ihipStream_tbDpT10_ENKUlT_T0_E_clISt17integral_constantIbLb0EES1A_IbLb1EEEEDaS16_S17_EUlS16_E_NS1_11comp_targetILNS1_3genE3ELNS1_11target_archE908ELNS1_3gpuE7ELNS1_3repE0EEENS1_30default_config_static_selectorELNS0_4arch9wavefront6targetE1EEEvT1_.kd
    .uniform_work_group_size: 1
    .uses_dynamic_stack: false
    .vgpr_count:     0
    .vgpr_spill_count: 0
    .wavefront_size: 64
  - .agpr_count:     0
    .args:
      - .offset:         0
        .size:           160
        .value_kind:     by_value
    .group_segment_fixed_size: 0
    .kernarg_segment_align: 8
    .kernarg_segment_size: 160
    .language:       OpenCL C
    .language_version:
      - 2
      - 0
    .max_flat_workgroup_size: 256
    .name:           _ZN7rocprim17ROCPRIM_400000_NS6detail17trampoline_kernelINS0_14default_configENS1_25partition_config_selectorILNS1_17partition_subalgoE1EsNS0_10empty_typeEbEEZZNS1_14partition_implILS5_1ELb0ES3_jN6thrust23THRUST_200600_302600_NS6detail15normal_iteratorINSA_10device_ptrIsEEEEPS6_NSA_18transform_iteratorI7is_evenIsESF_NSA_11use_defaultESK_EENS0_5tupleIJNSA_16discard_iteratorISK_EESO_EEENSM_IJSG_SG_EEES6_PlJS6_EEE10hipError_tPvRmT3_T4_T5_T6_T7_T9_mT8_P12ihipStream_tbDpT10_ENKUlT_T0_E_clISt17integral_constantIbLb0EES1A_IbLb1EEEEDaS16_S17_EUlS16_E_NS1_11comp_targetILNS1_3genE2ELNS1_11target_archE906ELNS1_3gpuE6ELNS1_3repE0EEENS1_30default_config_static_selectorELNS0_4arch9wavefront6targetE1EEEvT1_
    .private_segment_fixed_size: 0
    .sgpr_count:     4
    .sgpr_spill_count: 0
    .symbol:         _ZN7rocprim17ROCPRIM_400000_NS6detail17trampoline_kernelINS0_14default_configENS1_25partition_config_selectorILNS1_17partition_subalgoE1EsNS0_10empty_typeEbEEZZNS1_14partition_implILS5_1ELb0ES3_jN6thrust23THRUST_200600_302600_NS6detail15normal_iteratorINSA_10device_ptrIsEEEEPS6_NSA_18transform_iteratorI7is_evenIsESF_NSA_11use_defaultESK_EENS0_5tupleIJNSA_16discard_iteratorISK_EESO_EEENSM_IJSG_SG_EEES6_PlJS6_EEE10hipError_tPvRmT3_T4_T5_T6_T7_T9_mT8_P12ihipStream_tbDpT10_ENKUlT_T0_E_clISt17integral_constantIbLb0EES1A_IbLb1EEEEDaS16_S17_EUlS16_E_NS1_11comp_targetILNS1_3genE2ELNS1_11target_archE906ELNS1_3gpuE6ELNS1_3repE0EEENS1_30default_config_static_selectorELNS0_4arch9wavefront6targetE1EEEvT1_.kd
    .uniform_work_group_size: 1
    .uses_dynamic_stack: false
    .vgpr_count:     0
    .vgpr_spill_count: 0
    .wavefront_size: 64
  - .agpr_count:     0
    .args:
      - .offset:         0
        .size:           160
        .value_kind:     by_value
    .group_segment_fixed_size: 0
    .kernarg_segment_align: 8
    .kernarg_segment_size: 160
    .language:       OpenCL C
    .language_version:
      - 2
      - 0
    .max_flat_workgroup_size: 384
    .name:           _ZN7rocprim17ROCPRIM_400000_NS6detail17trampoline_kernelINS0_14default_configENS1_25partition_config_selectorILNS1_17partition_subalgoE1EsNS0_10empty_typeEbEEZZNS1_14partition_implILS5_1ELb0ES3_jN6thrust23THRUST_200600_302600_NS6detail15normal_iteratorINSA_10device_ptrIsEEEEPS6_NSA_18transform_iteratorI7is_evenIsESF_NSA_11use_defaultESK_EENS0_5tupleIJNSA_16discard_iteratorISK_EESO_EEENSM_IJSG_SG_EEES6_PlJS6_EEE10hipError_tPvRmT3_T4_T5_T6_T7_T9_mT8_P12ihipStream_tbDpT10_ENKUlT_T0_E_clISt17integral_constantIbLb0EES1A_IbLb1EEEEDaS16_S17_EUlS16_E_NS1_11comp_targetILNS1_3genE10ELNS1_11target_archE1200ELNS1_3gpuE4ELNS1_3repE0EEENS1_30default_config_static_selectorELNS0_4arch9wavefront6targetE1EEEvT1_
    .private_segment_fixed_size: 0
    .sgpr_count:     4
    .sgpr_spill_count: 0
    .symbol:         _ZN7rocprim17ROCPRIM_400000_NS6detail17trampoline_kernelINS0_14default_configENS1_25partition_config_selectorILNS1_17partition_subalgoE1EsNS0_10empty_typeEbEEZZNS1_14partition_implILS5_1ELb0ES3_jN6thrust23THRUST_200600_302600_NS6detail15normal_iteratorINSA_10device_ptrIsEEEEPS6_NSA_18transform_iteratorI7is_evenIsESF_NSA_11use_defaultESK_EENS0_5tupleIJNSA_16discard_iteratorISK_EESO_EEENSM_IJSG_SG_EEES6_PlJS6_EEE10hipError_tPvRmT3_T4_T5_T6_T7_T9_mT8_P12ihipStream_tbDpT10_ENKUlT_T0_E_clISt17integral_constantIbLb0EES1A_IbLb1EEEEDaS16_S17_EUlS16_E_NS1_11comp_targetILNS1_3genE10ELNS1_11target_archE1200ELNS1_3gpuE4ELNS1_3repE0EEENS1_30default_config_static_selectorELNS0_4arch9wavefront6targetE1EEEvT1_.kd
    .uniform_work_group_size: 1
    .uses_dynamic_stack: false
    .vgpr_count:     0
    .vgpr_spill_count: 0
    .wavefront_size: 64
  - .agpr_count:     0
    .args:
      - .offset:         0
        .size:           160
        .value_kind:     by_value
    .group_segment_fixed_size: 0
    .kernarg_segment_align: 8
    .kernarg_segment_size: 160
    .language:       OpenCL C
    .language_version:
      - 2
      - 0
    .max_flat_workgroup_size: 128
    .name:           _ZN7rocprim17ROCPRIM_400000_NS6detail17trampoline_kernelINS0_14default_configENS1_25partition_config_selectorILNS1_17partition_subalgoE1EsNS0_10empty_typeEbEEZZNS1_14partition_implILS5_1ELb0ES3_jN6thrust23THRUST_200600_302600_NS6detail15normal_iteratorINSA_10device_ptrIsEEEEPS6_NSA_18transform_iteratorI7is_evenIsESF_NSA_11use_defaultESK_EENS0_5tupleIJNSA_16discard_iteratorISK_EESO_EEENSM_IJSG_SG_EEES6_PlJS6_EEE10hipError_tPvRmT3_T4_T5_T6_T7_T9_mT8_P12ihipStream_tbDpT10_ENKUlT_T0_E_clISt17integral_constantIbLb0EES1A_IbLb1EEEEDaS16_S17_EUlS16_E_NS1_11comp_targetILNS1_3genE9ELNS1_11target_archE1100ELNS1_3gpuE3ELNS1_3repE0EEENS1_30default_config_static_selectorELNS0_4arch9wavefront6targetE1EEEvT1_
    .private_segment_fixed_size: 0
    .sgpr_count:     4
    .sgpr_spill_count: 0
    .symbol:         _ZN7rocprim17ROCPRIM_400000_NS6detail17trampoline_kernelINS0_14default_configENS1_25partition_config_selectorILNS1_17partition_subalgoE1EsNS0_10empty_typeEbEEZZNS1_14partition_implILS5_1ELb0ES3_jN6thrust23THRUST_200600_302600_NS6detail15normal_iteratorINSA_10device_ptrIsEEEEPS6_NSA_18transform_iteratorI7is_evenIsESF_NSA_11use_defaultESK_EENS0_5tupleIJNSA_16discard_iteratorISK_EESO_EEENSM_IJSG_SG_EEES6_PlJS6_EEE10hipError_tPvRmT3_T4_T5_T6_T7_T9_mT8_P12ihipStream_tbDpT10_ENKUlT_T0_E_clISt17integral_constantIbLb0EES1A_IbLb1EEEEDaS16_S17_EUlS16_E_NS1_11comp_targetILNS1_3genE9ELNS1_11target_archE1100ELNS1_3gpuE3ELNS1_3repE0EEENS1_30default_config_static_selectorELNS0_4arch9wavefront6targetE1EEEvT1_.kd
    .uniform_work_group_size: 1
    .uses_dynamic_stack: false
    .vgpr_count:     0
    .vgpr_spill_count: 0
    .wavefront_size: 64
  - .agpr_count:     0
    .args:
      - .offset:         0
        .size:           160
        .value_kind:     by_value
    .group_segment_fixed_size: 0
    .kernarg_segment_align: 8
    .kernarg_segment_size: 160
    .language:       OpenCL C
    .language_version:
      - 2
      - 0
    .max_flat_workgroup_size: 512
    .name:           _ZN7rocprim17ROCPRIM_400000_NS6detail17trampoline_kernelINS0_14default_configENS1_25partition_config_selectorILNS1_17partition_subalgoE1EsNS0_10empty_typeEbEEZZNS1_14partition_implILS5_1ELb0ES3_jN6thrust23THRUST_200600_302600_NS6detail15normal_iteratorINSA_10device_ptrIsEEEEPS6_NSA_18transform_iteratorI7is_evenIsESF_NSA_11use_defaultESK_EENS0_5tupleIJNSA_16discard_iteratorISK_EESO_EEENSM_IJSG_SG_EEES6_PlJS6_EEE10hipError_tPvRmT3_T4_T5_T6_T7_T9_mT8_P12ihipStream_tbDpT10_ENKUlT_T0_E_clISt17integral_constantIbLb0EES1A_IbLb1EEEEDaS16_S17_EUlS16_E_NS1_11comp_targetILNS1_3genE8ELNS1_11target_archE1030ELNS1_3gpuE2ELNS1_3repE0EEENS1_30default_config_static_selectorELNS0_4arch9wavefront6targetE1EEEvT1_
    .private_segment_fixed_size: 0
    .sgpr_count:     4
    .sgpr_spill_count: 0
    .symbol:         _ZN7rocprim17ROCPRIM_400000_NS6detail17trampoline_kernelINS0_14default_configENS1_25partition_config_selectorILNS1_17partition_subalgoE1EsNS0_10empty_typeEbEEZZNS1_14partition_implILS5_1ELb0ES3_jN6thrust23THRUST_200600_302600_NS6detail15normal_iteratorINSA_10device_ptrIsEEEEPS6_NSA_18transform_iteratorI7is_evenIsESF_NSA_11use_defaultESK_EENS0_5tupleIJNSA_16discard_iteratorISK_EESO_EEENSM_IJSG_SG_EEES6_PlJS6_EEE10hipError_tPvRmT3_T4_T5_T6_T7_T9_mT8_P12ihipStream_tbDpT10_ENKUlT_T0_E_clISt17integral_constantIbLb0EES1A_IbLb1EEEEDaS16_S17_EUlS16_E_NS1_11comp_targetILNS1_3genE8ELNS1_11target_archE1030ELNS1_3gpuE2ELNS1_3repE0EEENS1_30default_config_static_selectorELNS0_4arch9wavefront6targetE1EEEvT1_.kd
    .uniform_work_group_size: 1
    .uses_dynamic_stack: false
    .vgpr_count:     0
    .vgpr_spill_count: 0
    .wavefront_size: 64
  - .agpr_count:     0
    .args:
      - .offset:         0
        .size:           136
        .value_kind:     by_value
    .group_segment_fixed_size: 0
    .kernarg_segment_align: 8
    .kernarg_segment_size: 136
    .language:       OpenCL C
    .language_version:
      - 2
      - 0
    .max_flat_workgroup_size: 256
    .name:           _ZN7rocprim17ROCPRIM_400000_NS6detail17trampoline_kernelINS0_14default_configENS1_25partition_config_selectorILNS1_17partition_subalgoE1EsNS0_10empty_typeEbEEZZNS1_14partition_implILS5_1ELb0ES3_jN6thrust23THRUST_200600_302600_NS6detail15normal_iteratorINSA_10device_ptrIsEEEEPS6_NSA_18transform_iteratorI7is_evenIsESF_NSA_11use_defaultESK_EENS0_5tupleIJSF_NSA_16discard_iteratorISK_EEEEENSM_IJSG_SG_EEES6_PlJS6_EEE10hipError_tPvRmT3_T4_T5_T6_T7_T9_mT8_P12ihipStream_tbDpT10_ENKUlT_T0_E_clISt17integral_constantIbLb0EES1B_EEDaS16_S17_EUlS16_E_NS1_11comp_targetILNS1_3genE0ELNS1_11target_archE4294967295ELNS1_3gpuE0ELNS1_3repE0EEENS1_30default_config_static_selectorELNS0_4arch9wavefront6targetE1EEEvT1_
    .private_segment_fixed_size: 0
    .sgpr_count:     4
    .sgpr_spill_count: 0
    .symbol:         _ZN7rocprim17ROCPRIM_400000_NS6detail17trampoline_kernelINS0_14default_configENS1_25partition_config_selectorILNS1_17partition_subalgoE1EsNS0_10empty_typeEbEEZZNS1_14partition_implILS5_1ELb0ES3_jN6thrust23THRUST_200600_302600_NS6detail15normal_iteratorINSA_10device_ptrIsEEEEPS6_NSA_18transform_iteratorI7is_evenIsESF_NSA_11use_defaultESK_EENS0_5tupleIJSF_NSA_16discard_iteratorISK_EEEEENSM_IJSG_SG_EEES6_PlJS6_EEE10hipError_tPvRmT3_T4_T5_T6_T7_T9_mT8_P12ihipStream_tbDpT10_ENKUlT_T0_E_clISt17integral_constantIbLb0EES1B_EEDaS16_S17_EUlS16_E_NS1_11comp_targetILNS1_3genE0ELNS1_11target_archE4294967295ELNS1_3gpuE0ELNS1_3repE0EEENS1_30default_config_static_selectorELNS0_4arch9wavefront6targetE1EEEvT1_.kd
    .uniform_work_group_size: 1
    .uses_dynamic_stack: false
    .vgpr_count:     0
    .vgpr_spill_count: 0
    .wavefront_size: 64
  - .agpr_count:     0
    .args:
      - .offset:         0
        .size:           136
        .value_kind:     by_value
    .group_segment_fixed_size: 0
    .kernarg_segment_align: 8
    .kernarg_segment_size: 136
    .language:       OpenCL C
    .language_version:
      - 2
      - 0
    .max_flat_workgroup_size: 512
    .name:           _ZN7rocprim17ROCPRIM_400000_NS6detail17trampoline_kernelINS0_14default_configENS1_25partition_config_selectorILNS1_17partition_subalgoE1EsNS0_10empty_typeEbEEZZNS1_14partition_implILS5_1ELb0ES3_jN6thrust23THRUST_200600_302600_NS6detail15normal_iteratorINSA_10device_ptrIsEEEEPS6_NSA_18transform_iteratorI7is_evenIsESF_NSA_11use_defaultESK_EENS0_5tupleIJSF_NSA_16discard_iteratorISK_EEEEENSM_IJSG_SG_EEES6_PlJS6_EEE10hipError_tPvRmT3_T4_T5_T6_T7_T9_mT8_P12ihipStream_tbDpT10_ENKUlT_T0_E_clISt17integral_constantIbLb0EES1B_EEDaS16_S17_EUlS16_E_NS1_11comp_targetILNS1_3genE5ELNS1_11target_archE942ELNS1_3gpuE9ELNS1_3repE0EEENS1_30default_config_static_selectorELNS0_4arch9wavefront6targetE1EEEvT1_
    .private_segment_fixed_size: 0
    .sgpr_count:     4
    .sgpr_spill_count: 0
    .symbol:         _ZN7rocprim17ROCPRIM_400000_NS6detail17trampoline_kernelINS0_14default_configENS1_25partition_config_selectorILNS1_17partition_subalgoE1EsNS0_10empty_typeEbEEZZNS1_14partition_implILS5_1ELb0ES3_jN6thrust23THRUST_200600_302600_NS6detail15normal_iteratorINSA_10device_ptrIsEEEEPS6_NSA_18transform_iteratorI7is_evenIsESF_NSA_11use_defaultESK_EENS0_5tupleIJSF_NSA_16discard_iteratorISK_EEEEENSM_IJSG_SG_EEES6_PlJS6_EEE10hipError_tPvRmT3_T4_T5_T6_T7_T9_mT8_P12ihipStream_tbDpT10_ENKUlT_T0_E_clISt17integral_constantIbLb0EES1B_EEDaS16_S17_EUlS16_E_NS1_11comp_targetILNS1_3genE5ELNS1_11target_archE942ELNS1_3gpuE9ELNS1_3repE0EEENS1_30default_config_static_selectorELNS0_4arch9wavefront6targetE1EEEvT1_.kd
    .uniform_work_group_size: 1
    .uses_dynamic_stack: false
    .vgpr_count:     0
    .vgpr_spill_count: 0
    .wavefront_size: 64
  - .agpr_count:     0
    .args:
      - .offset:         0
        .size:           136
        .value_kind:     by_value
    .group_segment_fixed_size: 10248
    .kernarg_segment_align: 8
    .kernarg_segment_size: 136
    .language:       OpenCL C
    .language_version:
      - 2
      - 0
    .max_flat_workgroup_size: 256
    .name:           _ZN7rocprim17ROCPRIM_400000_NS6detail17trampoline_kernelINS0_14default_configENS1_25partition_config_selectorILNS1_17partition_subalgoE1EsNS0_10empty_typeEbEEZZNS1_14partition_implILS5_1ELb0ES3_jN6thrust23THRUST_200600_302600_NS6detail15normal_iteratorINSA_10device_ptrIsEEEEPS6_NSA_18transform_iteratorI7is_evenIsESF_NSA_11use_defaultESK_EENS0_5tupleIJSF_NSA_16discard_iteratorISK_EEEEENSM_IJSG_SG_EEES6_PlJS6_EEE10hipError_tPvRmT3_T4_T5_T6_T7_T9_mT8_P12ihipStream_tbDpT10_ENKUlT_T0_E_clISt17integral_constantIbLb0EES1B_EEDaS16_S17_EUlS16_E_NS1_11comp_targetILNS1_3genE4ELNS1_11target_archE910ELNS1_3gpuE8ELNS1_3repE0EEENS1_30default_config_static_selectorELNS0_4arch9wavefront6targetE1EEEvT1_
    .private_segment_fixed_size: 0
    .sgpr_count:     44
    .sgpr_spill_count: 0
    .symbol:         _ZN7rocprim17ROCPRIM_400000_NS6detail17trampoline_kernelINS0_14default_configENS1_25partition_config_selectorILNS1_17partition_subalgoE1EsNS0_10empty_typeEbEEZZNS1_14partition_implILS5_1ELb0ES3_jN6thrust23THRUST_200600_302600_NS6detail15normal_iteratorINSA_10device_ptrIsEEEEPS6_NSA_18transform_iteratorI7is_evenIsESF_NSA_11use_defaultESK_EENS0_5tupleIJSF_NSA_16discard_iteratorISK_EEEEENSM_IJSG_SG_EEES6_PlJS6_EEE10hipError_tPvRmT3_T4_T5_T6_T7_T9_mT8_P12ihipStream_tbDpT10_ENKUlT_T0_E_clISt17integral_constantIbLb0EES1B_EEDaS16_S17_EUlS16_E_NS1_11comp_targetILNS1_3genE4ELNS1_11target_archE910ELNS1_3gpuE8ELNS1_3repE0EEENS1_30default_config_static_selectorELNS0_4arch9wavefront6targetE1EEEvT1_.kd
    .uniform_work_group_size: 1
    .uses_dynamic_stack: false
    .vgpr_count:     65
    .vgpr_spill_count: 0
    .wavefront_size: 64
  - .agpr_count:     0
    .args:
      - .offset:         0
        .size:           136
        .value_kind:     by_value
    .group_segment_fixed_size: 0
    .kernarg_segment_align: 8
    .kernarg_segment_size: 136
    .language:       OpenCL C
    .language_version:
      - 2
      - 0
    .max_flat_workgroup_size: 256
    .name:           _ZN7rocprim17ROCPRIM_400000_NS6detail17trampoline_kernelINS0_14default_configENS1_25partition_config_selectorILNS1_17partition_subalgoE1EsNS0_10empty_typeEbEEZZNS1_14partition_implILS5_1ELb0ES3_jN6thrust23THRUST_200600_302600_NS6detail15normal_iteratorINSA_10device_ptrIsEEEEPS6_NSA_18transform_iteratorI7is_evenIsESF_NSA_11use_defaultESK_EENS0_5tupleIJSF_NSA_16discard_iteratorISK_EEEEENSM_IJSG_SG_EEES6_PlJS6_EEE10hipError_tPvRmT3_T4_T5_T6_T7_T9_mT8_P12ihipStream_tbDpT10_ENKUlT_T0_E_clISt17integral_constantIbLb0EES1B_EEDaS16_S17_EUlS16_E_NS1_11comp_targetILNS1_3genE3ELNS1_11target_archE908ELNS1_3gpuE7ELNS1_3repE0EEENS1_30default_config_static_selectorELNS0_4arch9wavefront6targetE1EEEvT1_
    .private_segment_fixed_size: 0
    .sgpr_count:     4
    .sgpr_spill_count: 0
    .symbol:         _ZN7rocprim17ROCPRIM_400000_NS6detail17trampoline_kernelINS0_14default_configENS1_25partition_config_selectorILNS1_17partition_subalgoE1EsNS0_10empty_typeEbEEZZNS1_14partition_implILS5_1ELb0ES3_jN6thrust23THRUST_200600_302600_NS6detail15normal_iteratorINSA_10device_ptrIsEEEEPS6_NSA_18transform_iteratorI7is_evenIsESF_NSA_11use_defaultESK_EENS0_5tupleIJSF_NSA_16discard_iteratorISK_EEEEENSM_IJSG_SG_EEES6_PlJS6_EEE10hipError_tPvRmT3_T4_T5_T6_T7_T9_mT8_P12ihipStream_tbDpT10_ENKUlT_T0_E_clISt17integral_constantIbLb0EES1B_EEDaS16_S17_EUlS16_E_NS1_11comp_targetILNS1_3genE3ELNS1_11target_archE908ELNS1_3gpuE7ELNS1_3repE0EEENS1_30default_config_static_selectorELNS0_4arch9wavefront6targetE1EEEvT1_.kd
    .uniform_work_group_size: 1
    .uses_dynamic_stack: false
    .vgpr_count:     0
    .vgpr_spill_count: 0
    .wavefront_size: 64
  - .agpr_count:     0
    .args:
      - .offset:         0
        .size:           136
        .value_kind:     by_value
    .group_segment_fixed_size: 0
    .kernarg_segment_align: 8
    .kernarg_segment_size: 136
    .language:       OpenCL C
    .language_version:
      - 2
      - 0
    .max_flat_workgroup_size: 256
    .name:           _ZN7rocprim17ROCPRIM_400000_NS6detail17trampoline_kernelINS0_14default_configENS1_25partition_config_selectorILNS1_17partition_subalgoE1EsNS0_10empty_typeEbEEZZNS1_14partition_implILS5_1ELb0ES3_jN6thrust23THRUST_200600_302600_NS6detail15normal_iteratorINSA_10device_ptrIsEEEEPS6_NSA_18transform_iteratorI7is_evenIsESF_NSA_11use_defaultESK_EENS0_5tupleIJSF_NSA_16discard_iteratorISK_EEEEENSM_IJSG_SG_EEES6_PlJS6_EEE10hipError_tPvRmT3_T4_T5_T6_T7_T9_mT8_P12ihipStream_tbDpT10_ENKUlT_T0_E_clISt17integral_constantIbLb0EES1B_EEDaS16_S17_EUlS16_E_NS1_11comp_targetILNS1_3genE2ELNS1_11target_archE906ELNS1_3gpuE6ELNS1_3repE0EEENS1_30default_config_static_selectorELNS0_4arch9wavefront6targetE1EEEvT1_
    .private_segment_fixed_size: 0
    .sgpr_count:     4
    .sgpr_spill_count: 0
    .symbol:         _ZN7rocprim17ROCPRIM_400000_NS6detail17trampoline_kernelINS0_14default_configENS1_25partition_config_selectorILNS1_17partition_subalgoE1EsNS0_10empty_typeEbEEZZNS1_14partition_implILS5_1ELb0ES3_jN6thrust23THRUST_200600_302600_NS6detail15normal_iteratorINSA_10device_ptrIsEEEEPS6_NSA_18transform_iteratorI7is_evenIsESF_NSA_11use_defaultESK_EENS0_5tupleIJSF_NSA_16discard_iteratorISK_EEEEENSM_IJSG_SG_EEES6_PlJS6_EEE10hipError_tPvRmT3_T4_T5_T6_T7_T9_mT8_P12ihipStream_tbDpT10_ENKUlT_T0_E_clISt17integral_constantIbLb0EES1B_EEDaS16_S17_EUlS16_E_NS1_11comp_targetILNS1_3genE2ELNS1_11target_archE906ELNS1_3gpuE6ELNS1_3repE0EEENS1_30default_config_static_selectorELNS0_4arch9wavefront6targetE1EEEvT1_.kd
    .uniform_work_group_size: 1
    .uses_dynamic_stack: false
    .vgpr_count:     0
    .vgpr_spill_count: 0
    .wavefront_size: 64
  - .agpr_count:     0
    .args:
      - .offset:         0
        .size:           136
        .value_kind:     by_value
    .group_segment_fixed_size: 0
    .kernarg_segment_align: 8
    .kernarg_segment_size: 136
    .language:       OpenCL C
    .language_version:
      - 2
      - 0
    .max_flat_workgroup_size: 384
    .name:           _ZN7rocprim17ROCPRIM_400000_NS6detail17trampoline_kernelINS0_14default_configENS1_25partition_config_selectorILNS1_17partition_subalgoE1EsNS0_10empty_typeEbEEZZNS1_14partition_implILS5_1ELb0ES3_jN6thrust23THRUST_200600_302600_NS6detail15normal_iteratorINSA_10device_ptrIsEEEEPS6_NSA_18transform_iteratorI7is_evenIsESF_NSA_11use_defaultESK_EENS0_5tupleIJSF_NSA_16discard_iteratorISK_EEEEENSM_IJSG_SG_EEES6_PlJS6_EEE10hipError_tPvRmT3_T4_T5_T6_T7_T9_mT8_P12ihipStream_tbDpT10_ENKUlT_T0_E_clISt17integral_constantIbLb0EES1B_EEDaS16_S17_EUlS16_E_NS1_11comp_targetILNS1_3genE10ELNS1_11target_archE1200ELNS1_3gpuE4ELNS1_3repE0EEENS1_30default_config_static_selectorELNS0_4arch9wavefront6targetE1EEEvT1_
    .private_segment_fixed_size: 0
    .sgpr_count:     4
    .sgpr_spill_count: 0
    .symbol:         _ZN7rocprim17ROCPRIM_400000_NS6detail17trampoline_kernelINS0_14default_configENS1_25partition_config_selectorILNS1_17partition_subalgoE1EsNS0_10empty_typeEbEEZZNS1_14partition_implILS5_1ELb0ES3_jN6thrust23THRUST_200600_302600_NS6detail15normal_iteratorINSA_10device_ptrIsEEEEPS6_NSA_18transform_iteratorI7is_evenIsESF_NSA_11use_defaultESK_EENS0_5tupleIJSF_NSA_16discard_iteratorISK_EEEEENSM_IJSG_SG_EEES6_PlJS6_EEE10hipError_tPvRmT3_T4_T5_T6_T7_T9_mT8_P12ihipStream_tbDpT10_ENKUlT_T0_E_clISt17integral_constantIbLb0EES1B_EEDaS16_S17_EUlS16_E_NS1_11comp_targetILNS1_3genE10ELNS1_11target_archE1200ELNS1_3gpuE4ELNS1_3repE0EEENS1_30default_config_static_selectorELNS0_4arch9wavefront6targetE1EEEvT1_.kd
    .uniform_work_group_size: 1
    .uses_dynamic_stack: false
    .vgpr_count:     0
    .vgpr_spill_count: 0
    .wavefront_size: 64
  - .agpr_count:     0
    .args:
      - .offset:         0
        .size:           136
        .value_kind:     by_value
    .group_segment_fixed_size: 0
    .kernarg_segment_align: 8
    .kernarg_segment_size: 136
    .language:       OpenCL C
    .language_version:
      - 2
      - 0
    .max_flat_workgroup_size: 128
    .name:           _ZN7rocprim17ROCPRIM_400000_NS6detail17trampoline_kernelINS0_14default_configENS1_25partition_config_selectorILNS1_17partition_subalgoE1EsNS0_10empty_typeEbEEZZNS1_14partition_implILS5_1ELb0ES3_jN6thrust23THRUST_200600_302600_NS6detail15normal_iteratorINSA_10device_ptrIsEEEEPS6_NSA_18transform_iteratorI7is_evenIsESF_NSA_11use_defaultESK_EENS0_5tupleIJSF_NSA_16discard_iteratorISK_EEEEENSM_IJSG_SG_EEES6_PlJS6_EEE10hipError_tPvRmT3_T4_T5_T6_T7_T9_mT8_P12ihipStream_tbDpT10_ENKUlT_T0_E_clISt17integral_constantIbLb0EES1B_EEDaS16_S17_EUlS16_E_NS1_11comp_targetILNS1_3genE9ELNS1_11target_archE1100ELNS1_3gpuE3ELNS1_3repE0EEENS1_30default_config_static_selectorELNS0_4arch9wavefront6targetE1EEEvT1_
    .private_segment_fixed_size: 0
    .sgpr_count:     4
    .sgpr_spill_count: 0
    .symbol:         _ZN7rocprim17ROCPRIM_400000_NS6detail17trampoline_kernelINS0_14default_configENS1_25partition_config_selectorILNS1_17partition_subalgoE1EsNS0_10empty_typeEbEEZZNS1_14partition_implILS5_1ELb0ES3_jN6thrust23THRUST_200600_302600_NS6detail15normal_iteratorINSA_10device_ptrIsEEEEPS6_NSA_18transform_iteratorI7is_evenIsESF_NSA_11use_defaultESK_EENS0_5tupleIJSF_NSA_16discard_iteratorISK_EEEEENSM_IJSG_SG_EEES6_PlJS6_EEE10hipError_tPvRmT3_T4_T5_T6_T7_T9_mT8_P12ihipStream_tbDpT10_ENKUlT_T0_E_clISt17integral_constantIbLb0EES1B_EEDaS16_S17_EUlS16_E_NS1_11comp_targetILNS1_3genE9ELNS1_11target_archE1100ELNS1_3gpuE3ELNS1_3repE0EEENS1_30default_config_static_selectorELNS0_4arch9wavefront6targetE1EEEvT1_.kd
    .uniform_work_group_size: 1
    .uses_dynamic_stack: false
    .vgpr_count:     0
    .vgpr_spill_count: 0
    .wavefront_size: 64
  - .agpr_count:     0
    .args:
      - .offset:         0
        .size:           136
        .value_kind:     by_value
    .group_segment_fixed_size: 0
    .kernarg_segment_align: 8
    .kernarg_segment_size: 136
    .language:       OpenCL C
    .language_version:
      - 2
      - 0
    .max_flat_workgroup_size: 512
    .name:           _ZN7rocprim17ROCPRIM_400000_NS6detail17trampoline_kernelINS0_14default_configENS1_25partition_config_selectorILNS1_17partition_subalgoE1EsNS0_10empty_typeEbEEZZNS1_14partition_implILS5_1ELb0ES3_jN6thrust23THRUST_200600_302600_NS6detail15normal_iteratorINSA_10device_ptrIsEEEEPS6_NSA_18transform_iteratorI7is_evenIsESF_NSA_11use_defaultESK_EENS0_5tupleIJSF_NSA_16discard_iteratorISK_EEEEENSM_IJSG_SG_EEES6_PlJS6_EEE10hipError_tPvRmT3_T4_T5_T6_T7_T9_mT8_P12ihipStream_tbDpT10_ENKUlT_T0_E_clISt17integral_constantIbLb0EES1B_EEDaS16_S17_EUlS16_E_NS1_11comp_targetILNS1_3genE8ELNS1_11target_archE1030ELNS1_3gpuE2ELNS1_3repE0EEENS1_30default_config_static_selectorELNS0_4arch9wavefront6targetE1EEEvT1_
    .private_segment_fixed_size: 0
    .sgpr_count:     4
    .sgpr_spill_count: 0
    .symbol:         _ZN7rocprim17ROCPRIM_400000_NS6detail17trampoline_kernelINS0_14default_configENS1_25partition_config_selectorILNS1_17partition_subalgoE1EsNS0_10empty_typeEbEEZZNS1_14partition_implILS5_1ELb0ES3_jN6thrust23THRUST_200600_302600_NS6detail15normal_iteratorINSA_10device_ptrIsEEEEPS6_NSA_18transform_iteratorI7is_evenIsESF_NSA_11use_defaultESK_EENS0_5tupleIJSF_NSA_16discard_iteratorISK_EEEEENSM_IJSG_SG_EEES6_PlJS6_EEE10hipError_tPvRmT3_T4_T5_T6_T7_T9_mT8_P12ihipStream_tbDpT10_ENKUlT_T0_E_clISt17integral_constantIbLb0EES1B_EEDaS16_S17_EUlS16_E_NS1_11comp_targetILNS1_3genE8ELNS1_11target_archE1030ELNS1_3gpuE2ELNS1_3repE0EEENS1_30default_config_static_selectorELNS0_4arch9wavefront6targetE1EEEvT1_.kd
    .uniform_work_group_size: 1
    .uses_dynamic_stack: false
    .vgpr_count:     0
    .vgpr_spill_count: 0
    .wavefront_size: 64
  - .agpr_count:     0
    .args:
      - .offset:         0
        .size:           152
        .value_kind:     by_value
    .group_segment_fixed_size: 0
    .kernarg_segment_align: 8
    .kernarg_segment_size: 152
    .language:       OpenCL C
    .language_version:
      - 2
      - 0
    .max_flat_workgroup_size: 256
    .name:           _ZN7rocprim17ROCPRIM_400000_NS6detail17trampoline_kernelINS0_14default_configENS1_25partition_config_selectorILNS1_17partition_subalgoE1EsNS0_10empty_typeEbEEZZNS1_14partition_implILS5_1ELb0ES3_jN6thrust23THRUST_200600_302600_NS6detail15normal_iteratorINSA_10device_ptrIsEEEEPS6_NSA_18transform_iteratorI7is_evenIsESF_NSA_11use_defaultESK_EENS0_5tupleIJSF_NSA_16discard_iteratorISK_EEEEENSM_IJSG_SG_EEES6_PlJS6_EEE10hipError_tPvRmT3_T4_T5_T6_T7_T9_mT8_P12ihipStream_tbDpT10_ENKUlT_T0_E_clISt17integral_constantIbLb1EES1B_EEDaS16_S17_EUlS16_E_NS1_11comp_targetILNS1_3genE0ELNS1_11target_archE4294967295ELNS1_3gpuE0ELNS1_3repE0EEENS1_30default_config_static_selectorELNS0_4arch9wavefront6targetE1EEEvT1_
    .private_segment_fixed_size: 0
    .sgpr_count:     4
    .sgpr_spill_count: 0
    .symbol:         _ZN7rocprim17ROCPRIM_400000_NS6detail17trampoline_kernelINS0_14default_configENS1_25partition_config_selectorILNS1_17partition_subalgoE1EsNS0_10empty_typeEbEEZZNS1_14partition_implILS5_1ELb0ES3_jN6thrust23THRUST_200600_302600_NS6detail15normal_iteratorINSA_10device_ptrIsEEEEPS6_NSA_18transform_iteratorI7is_evenIsESF_NSA_11use_defaultESK_EENS0_5tupleIJSF_NSA_16discard_iteratorISK_EEEEENSM_IJSG_SG_EEES6_PlJS6_EEE10hipError_tPvRmT3_T4_T5_T6_T7_T9_mT8_P12ihipStream_tbDpT10_ENKUlT_T0_E_clISt17integral_constantIbLb1EES1B_EEDaS16_S17_EUlS16_E_NS1_11comp_targetILNS1_3genE0ELNS1_11target_archE4294967295ELNS1_3gpuE0ELNS1_3repE0EEENS1_30default_config_static_selectorELNS0_4arch9wavefront6targetE1EEEvT1_.kd
    .uniform_work_group_size: 1
    .uses_dynamic_stack: false
    .vgpr_count:     0
    .vgpr_spill_count: 0
    .wavefront_size: 64
  - .agpr_count:     0
    .args:
      - .offset:         0
        .size:           152
        .value_kind:     by_value
    .group_segment_fixed_size: 0
    .kernarg_segment_align: 8
    .kernarg_segment_size: 152
    .language:       OpenCL C
    .language_version:
      - 2
      - 0
    .max_flat_workgroup_size: 512
    .name:           _ZN7rocprim17ROCPRIM_400000_NS6detail17trampoline_kernelINS0_14default_configENS1_25partition_config_selectorILNS1_17partition_subalgoE1EsNS0_10empty_typeEbEEZZNS1_14partition_implILS5_1ELb0ES3_jN6thrust23THRUST_200600_302600_NS6detail15normal_iteratorINSA_10device_ptrIsEEEEPS6_NSA_18transform_iteratorI7is_evenIsESF_NSA_11use_defaultESK_EENS0_5tupleIJSF_NSA_16discard_iteratorISK_EEEEENSM_IJSG_SG_EEES6_PlJS6_EEE10hipError_tPvRmT3_T4_T5_T6_T7_T9_mT8_P12ihipStream_tbDpT10_ENKUlT_T0_E_clISt17integral_constantIbLb1EES1B_EEDaS16_S17_EUlS16_E_NS1_11comp_targetILNS1_3genE5ELNS1_11target_archE942ELNS1_3gpuE9ELNS1_3repE0EEENS1_30default_config_static_selectorELNS0_4arch9wavefront6targetE1EEEvT1_
    .private_segment_fixed_size: 0
    .sgpr_count:     4
    .sgpr_spill_count: 0
    .symbol:         _ZN7rocprim17ROCPRIM_400000_NS6detail17trampoline_kernelINS0_14default_configENS1_25partition_config_selectorILNS1_17partition_subalgoE1EsNS0_10empty_typeEbEEZZNS1_14partition_implILS5_1ELb0ES3_jN6thrust23THRUST_200600_302600_NS6detail15normal_iteratorINSA_10device_ptrIsEEEEPS6_NSA_18transform_iteratorI7is_evenIsESF_NSA_11use_defaultESK_EENS0_5tupleIJSF_NSA_16discard_iteratorISK_EEEEENSM_IJSG_SG_EEES6_PlJS6_EEE10hipError_tPvRmT3_T4_T5_T6_T7_T9_mT8_P12ihipStream_tbDpT10_ENKUlT_T0_E_clISt17integral_constantIbLb1EES1B_EEDaS16_S17_EUlS16_E_NS1_11comp_targetILNS1_3genE5ELNS1_11target_archE942ELNS1_3gpuE9ELNS1_3repE0EEENS1_30default_config_static_selectorELNS0_4arch9wavefront6targetE1EEEvT1_.kd
    .uniform_work_group_size: 1
    .uses_dynamic_stack: false
    .vgpr_count:     0
    .vgpr_spill_count: 0
    .wavefront_size: 64
  - .agpr_count:     0
    .args:
      - .offset:         0
        .size:           152
        .value_kind:     by_value
    .group_segment_fixed_size: 10248
    .kernarg_segment_align: 8
    .kernarg_segment_size: 152
    .language:       OpenCL C
    .language_version:
      - 2
      - 0
    .max_flat_workgroup_size: 256
    .name:           _ZN7rocprim17ROCPRIM_400000_NS6detail17trampoline_kernelINS0_14default_configENS1_25partition_config_selectorILNS1_17partition_subalgoE1EsNS0_10empty_typeEbEEZZNS1_14partition_implILS5_1ELb0ES3_jN6thrust23THRUST_200600_302600_NS6detail15normal_iteratorINSA_10device_ptrIsEEEEPS6_NSA_18transform_iteratorI7is_evenIsESF_NSA_11use_defaultESK_EENS0_5tupleIJSF_NSA_16discard_iteratorISK_EEEEENSM_IJSG_SG_EEES6_PlJS6_EEE10hipError_tPvRmT3_T4_T5_T6_T7_T9_mT8_P12ihipStream_tbDpT10_ENKUlT_T0_E_clISt17integral_constantIbLb1EES1B_EEDaS16_S17_EUlS16_E_NS1_11comp_targetILNS1_3genE4ELNS1_11target_archE910ELNS1_3gpuE8ELNS1_3repE0EEENS1_30default_config_static_selectorELNS0_4arch9wavefront6targetE1EEEvT1_
    .private_segment_fixed_size: 0
    .sgpr_count:     44
    .sgpr_spill_count: 0
    .symbol:         _ZN7rocprim17ROCPRIM_400000_NS6detail17trampoline_kernelINS0_14default_configENS1_25partition_config_selectorILNS1_17partition_subalgoE1EsNS0_10empty_typeEbEEZZNS1_14partition_implILS5_1ELb0ES3_jN6thrust23THRUST_200600_302600_NS6detail15normal_iteratorINSA_10device_ptrIsEEEEPS6_NSA_18transform_iteratorI7is_evenIsESF_NSA_11use_defaultESK_EENS0_5tupleIJSF_NSA_16discard_iteratorISK_EEEEENSM_IJSG_SG_EEES6_PlJS6_EEE10hipError_tPvRmT3_T4_T5_T6_T7_T9_mT8_P12ihipStream_tbDpT10_ENKUlT_T0_E_clISt17integral_constantIbLb1EES1B_EEDaS16_S17_EUlS16_E_NS1_11comp_targetILNS1_3genE4ELNS1_11target_archE910ELNS1_3gpuE8ELNS1_3repE0EEENS1_30default_config_static_selectorELNS0_4arch9wavefront6targetE1EEEvT1_.kd
    .uniform_work_group_size: 1
    .uses_dynamic_stack: false
    .vgpr_count:     67
    .vgpr_spill_count: 0
    .wavefront_size: 64
  - .agpr_count:     0
    .args:
      - .offset:         0
        .size:           152
        .value_kind:     by_value
    .group_segment_fixed_size: 0
    .kernarg_segment_align: 8
    .kernarg_segment_size: 152
    .language:       OpenCL C
    .language_version:
      - 2
      - 0
    .max_flat_workgroup_size: 256
    .name:           _ZN7rocprim17ROCPRIM_400000_NS6detail17trampoline_kernelINS0_14default_configENS1_25partition_config_selectorILNS1_17partition_subalgoE1EsNS0_10empty_typeEbEEZZNS1_14partition_implILS5_1ELb0ES3_jN6thrust23THRUST_200600_302600_NS6detail15normal_iteratorINSA_10device_ptrIsEEEEPS6_NSA_18transform_iteratorI7is_evenIsESF_NSA_11use_defaultESK_EENS0_5tupleIJSF_NSA_16discard_iteratorISK_EEEEENSM_IJSG_SG_EEES6_PlJS6_EEE10hipError_tPvRmT3_T4_T5_T6_T7_T9_mT8_P12ihipStream_tbDpT10_ENKUlT_T0_E_clISt17integral_constantIbLb1EES1B_EEDaS16_S17_EUlS16_E_NS1_11comp_targetILNS1_3genE3ELNS1_11target_archE908ELNS1_3gpuE7ELNS1_3repE0EEENS1_30default_config_static_selectorELNS0_4arch9wavefront6targetE1EEEvT1_
    .private_segment_fixed_size: 0
    .sgpr_count:     4
    .sgpr_spill_count: 0
    .symbol:         _ZN7rocprim17ROCPRIM_400000_NS6detail17trampoline_kernelINS0_14default_configENS1_25partition_config_selectorILNS1_17partition_subalgoE1EsNS0_10empty_typeEbEEZZNS1_14partition_implILS5_1ELb0ES3_jN6thrust23THRUST_200600_302600_NS6detail15normal_iteratorINSA_10device_ptrIsEEEEPS6_NSA_18transform_iteratorI7is_evenIsESF_NSA_11use_defaultESK_EENS0_5tupleIJSF_NSA_16discard_iteratorISK_EEEEENSM_IJSG_SG_EEES6_PlJS6_EEE10hipError_tPvRmT3_T4_T5_T6_T7_T9_mT8_P12ihipStream_tbDpT10_ENKUlT_T0_E_clISt17integral_constantIbLb1EES1B_EEDaS16_S17_EUlS16_E_NS1_11comp_targetILNS1_3genE3ELNS1_11target_archE908ELNS1_3gpuE7ELNS1_3repE0EEENS1_30default_config_static_selectorELNS0_4arch9wavefront6targetE1EEEvT1_.kd
    .uniform_work_group_size: 1
    .uses_dynamic_stack: false
    .vgpr_count:     0
    .vgpr_spill_count: 0
    .wavefront_size: 64
  - .agpr_count:     0
    .args:
      - .offset:         0
        .size:           152
        .value_kind:     by_value
    .group_segment_fixed_size: 0
    .kernarg_segment_align: 8
    .kernarg_segment_size: 152
    .language:       OpenCL C
    .language_version:
      - 2
      - 0
    .max_flat_workgroup_size: 256
    .name:           _ZN7rocprim17ROCPRIM_400000_NS6detail17trampoline_kernelINS0_14default_configENS1_25partition_config_selectorILNS1_17partition_subalgoE1EsNS0_10empty_typeEbEEZZNS1_14partition_implILS5_1ELb0ES3_jN6thrust23THRUST_200600_302600_NS6detail15normal_iteratorINSA_10device_ptrIsEEEEPS6_NSA_18transform_iteratorI7is_evenIsESF_NSA_11use_defaultESK_EENS0_5tupleIJSF_NSA_16discard_iteratorISK_EEEEENSM_IJSG_SG_EEES6_PlJS6_EEE10hipError_tPvRmT3_T4_T5_T6_T7_T9_mT8_P12ihipStream_tbDpT10_ENKUlT_T0_E_clISt17integral_constantIbLb1EES1B_EEDaS16_S17_EUlS16_E_NS1_11comp_targetILNS1_3genE2ELNS1_11target_archE906ELNS1_3gpuE6ELNS1_3repE0EEENS1_30default_config_static_selectorELNS0_4arch9wavefront6targetE1EEEvT1_
    .private_segment_fixed_size: 0
    .sgpr_count:     4
    .sgpr_spill_count: 0
    .symbol:         _ZN7rocprim17ROCPRIM_400000_NS6detail17trampoline_kernelINS0_14default_configENS1_25partition_config_selectorILNS1_17partition_subalgoE1EsNS0_10empty_typeEbEEZZNS1_14partition_implILS5_1ELb0ES3_jN6thrust23THRUST_200600_302600_NS6detail15normal_iteratorINSA_10device_ptrIsEEEEPS6_NSA_18transform_iteratorI7is_evenIsESF_NSA_11use_defaultESK_EENS0_5tupleIJSF_NSA_16discard_iteratorISK_EEEEENSM_IJSG_SG_EEES6_PlJS6_EEE10hipError_tPvRmT3_T4_T5_T6_T7_T9_mT8_P12ihipStream_tbDpT10_ENKUlT_T0_E_clISt17integral_constantIbLb1EES1B_EEDaS16_S17_EUlS16_E_NS1_11comp_targetILNS1_3genE2ELNS1_11target_archE906ELNS1_3gpuE6ELNS1_3repE0EEENS1_30default_config_static_selectorELNS0_4arch9wavefront6targetE1EEEvT1_.kd
    .uniform_work_group_size: 1
    .uses_dynamic_stack: false
    .vgpr_count:     0
    .vgpr_spill_count: 0
    .wavefront_size: 64
  - .agpr_count:     0
    .args:
      - .offset:         0
        .size:           152
        .value_kind:     by_value
    .group_segment_fixed_size: 0
    .kernarg_segment_align: 8
    .kernarg_segment_size: 152
    .language:       OpenCL C
    .language_version:
      - 2
      - 0
    .max_flat_workgroup_size: 384
    .name:           _ZN7rocprim17ROCPRIM_400000_NS6detail17trampoline_kernelINS0_14default_configENS1_25partition_config_selectorILNS1_17partition_subalgoE1EsNS0_10empty_typeEbEEZZNS1_14partition_implILS5_1ELb0ES3_jN6thrust23THRUST_200600_302600_NS6detail15normal_iteratorINSA_10device_ptrIsEEEEPS6_NSA_18transform_iteratorI7is_evenIsESF_NSA_11use_defaultESK_EENS0_5tupleIJSF_NSA_16discard_iteratorISK_EEEEENSM_IJSG_SG_EEES6_PlJS6_EEE10hipError_tPvRmT3_T4_T5_T6_T7_T9_mT8_P12ihipStream_tbDpT10_ENKUlT_T0_E_clISt17integral_constantIbLb1EES1B_EEDaS16_S17_EUlS16_E_NS1_11comp_targetILNS1_3genE10ELNS1_11target_archE1200ELNS1_3gpuE4ELNS1_3repE0EEENS1_30default_config_static_selectorELNS0_4arch9wavefront6targetE1EEEvT1_
    .private_segment_fixed_size: 0
    .sgpr_count:     4
    .sgpr_spill_count: 0
    .symbol:         _ZN7rocprim17ROCPRIM_400000_NS6detail17trampoline_kernelINS0_14default_configENS1_25partition_config_selectorILNS1_17partition_subalgoE1EsNS0_10empty_typeEbEEZZNS1_14partition_implILS5_1ELb0ES3_jN6thrust23THRUST_200600_302600_NS6detail15normal_iteratorINSA_10device_ptrIsEEEEPS6_NSA_18transform_iteratorI7is_evenIsESF_NSA_11use_defaultESK_EENS0_5tupleIJSF_NSA_16discard_iteratorISK_EEEEENSM_IJSG_SG_EEES6_PlJS6_EEE10hipError_tPvRmT3_T4_T5_T6_T7_T9_mT8_P12ihipStream_tbDpT10_ENKUlT_T0_E_clISt17integral_constantIbLb1EES1B_EEDaS16_S17_EUlS16_E_NS1_11comp_targetILNS1_3genE10ELNS1_11target_archE1200ELNS1_3gpuE4ELNS1_3repE0EEENS1_30default_config_static_selectorELNS0_4arch9wavefront6targetE1EEEvT1_.kd
    .uniform_work_group_size: 1
    .uses_dynamic_stack: false
    .vgpr_count:     0
    .vgpr_spill_count: 0
    .wavefront_size: 64
  - .agpr_count:     0
    .args:
      - .offset:         0
        .size:           152
        .value_kind:     by_value
    .group_segment_fixed_size: 0
    .kernarg_segment_align: 8
    .kernarg_segment_size: 152
    .language:       OpenCL C
    .language_version:
      - 2
      - 0
    .max_flat_workgroup_size: 128
    .name:           _ZN7rocprim17ROCPRIM_400000_NS6detail17trampoline_kernelINS0_14default_configENS1_25partition_config_selectorILNS1_17partition_subalgoE1EsNS0_10empty_typeEbEEZZNS1_14partition_implILS5_1ELb0ES3_jN6thrust23THRUST_200600_302600_NS6detail15normal_iteratorINSA_10device_ptrIsEEEEPS6_NSA_18transform_iteratorI7is_evenIsESF_NSA_11use_defaultESK_EENS0_5tupleIJSF_NSA_16discard_iteratorISK_EEEEENSM_IJSG_SG_EEES6_PlJS6_EEE10hipError_tPvRmT3_T4_T5_T6_T7_T9_mT8_P12ihipStream_tbDpT10_ENKUlT_T0_E_clISt17integral_constantIbLb1EES1B_EEDaS16_S17_EUlS16_E_NS1_11comp_targetILNS1_3genE9ELNS1_11target_archE1100ELNS1_3gpuE3ELNS1_3repE0EEENS1_30default_config_static_selectorELNS0_4arch9wavefront6targetE1EEEvT1_
    .private_segment_fixed_size: 0
    .sgpr_count:     4
    .sgpr_spill_count: 0
    .symbol:         _ZN7rocprim17ROCPRIM_400000_NS6detail17trampoline_kernelINS0_14default_configENS1_25partition_config_selectorILNS1_17partition_subalgoE1EsNS0_10empty_typeEbEEZZNS1_14partition_implILS5_1ELb0ES3_jN6thrust23THRUST_200600_302600_NS6detail15normal_iteratorINSA_10device_ptrIsEEEEPS6_NSA_18transform_iteratorI7is_evenIsESF_NSA_11use_defaultESK_EENS0_5tupleIJSF_NSA_16discard_iteratorISK_EEEEENSM_IJSG_SG_EEES6_PlJS6_EEE10hipError_tPvRmT3_T4_T5_T6_T7_T9_mT8_P12ihipStream_tbDpT10_ENKUlT_T0_E_clISt17integral_constantIbLb1EES1B_EEDaS16_S17_EUlS16_E_NS1_11comp_targetILNS1_3genE9ELNS1_11target_archE1100ELNS1_3gpuE3ELNS1_3repE0EEENS1_30default_config_static_selectorELNS0_4arch9wavefront6targetE1EEEvT1_.kd
    .uniform_work_group_size: 1
    .uses_dynamic_stack: false
    .vgpr_count:     0
    .vgpr_spill_count: 0
    .wavefront_size: 64
  - .agpr_count:     0
    .args:
      - .offset:         0
        .size:           152
        .value_kind:     by_value
    .group_segment_fixed_size: 0
    .kernarg_segment_align: 8
    .kernarg_segment_size: 152
    .language:       OpenCL C
    .language_version:
      - 2
      - 0
    .max_flat_workgroup_size: 512
    .name:           _ZN7rocprim17ROCPRIM_400000_NS6detail17trampoline_kernelINS0_14default_configENS1_25partition_config_selectorILNS1_17partition_subalgoE1EsNS0_10empty_typeEbEEZZNS1_14partition_implILS5_1ELb0ES3_jN6thrust23THRUST_200600_302600_NS6detail15normal_iteratorINSA_10device_ptrIsEEEEPS6_NSA_18transform_iteratorI7is_evenIsESF_NSA_11use_defaultESK_EENS0_5tupleIJSF_NSA_16discard_iteratorISK_EEEEENSM_IJSG_SG_EEES6_PlJS6_EEE10hipError_tPvRmT3_T4_T5_T6_T7_T9_mT8_P12ihipStream_tbDpT10_ENKUlT_T0_E_clISt17integral_constantIbLb1EES1B_EEDaS16_S17_EUlS16_E_NS1_11comp_targetILNS1_3genE8ELNS1_11target_archE1030ELNS1_3gpuE2ELNS1_3repE0EEENS1_30default_config_static_selectorELNS0_4arch9wavefront6targetE1EEEvT1_
    .private_segment_fixed_size: 0
    .sgpr_count:     4
    .sgpr_spill_count: 0
    .symbol:         _ZN7rocprim17ROCPRIM_400000_NS6detail17trampoline_kernelINS0_14default_configENS1_25partition_config_selectorILNS1_17partition_subalgoE1EsNS0_10empty_typeEbEEZZNS1_14partition_implILS5_1ELb0ES3_jN6thrust23THRUST_200600_302600_NS6detail15normal_iteratorINSA_10device_ptrIsEEEEPS6_NSA_18transform_iteratorI7is_evenIsESF_NSA_11use_defaultESK_EENS0_5tupleIJSF_NSA_16discard_iteratorISK_EEEEENSM_IJSG_SG_EEES6_PlJS6_EEE10hipError_tPvRmT3_T4_T5_T6_T7_T9_mT8_P12ihipStream_tbDpT10_ENKUlT_T0_E_clISt17integral_constantIbLb1EES1B_EEDaS16_S17_EUlS16_E_NS1_11comp_targetILNS1_3genE8ELNS1_11target_archE1030ELNS1_3gpuE2ELNS1_3repE0EEENS1_30default_config_static_selectorELNS0_4arch9wavefront6targetE1EEEvT1_.kd
    .uniform_work_group_size: 1
    .uses_dynamic_stack: false
    .vgpr_count:     0
    .vgpr_spill_count: 0
    .wavefront_size: 64
  - .agpr_count:     0
    .args:
      - .offset:         0
        .size:           136
        .value_kind:     by_value
    .group_segment_fixed_size: 0
    .kernarg_segment_align: 8
    .kernarg_segment_size: 136
    .language:       OpenCL C
    .language_version:
      - 2
      - 0
    .max_flat_workgroup_size: 256
    .name:           _ZN7rocprim17ROCPRIM_400000_NS6detail17trampoline_kernelINS0_14default_configENS1_25partition_config_selectorILNS1_17partition_subalgoE1EsNS0_10empty_typeEbEEZZNS1_14partition_implILS5_1ELb0ES3_jN6thrust23THRUST_200600_302600_NS6detail15normal_iteratorINSA_10device_ptrIsEEEEPS6_NSA_18transform_iteratorI7is_evenIsESF_NSA_11use_defaultESK_EENS0_5tupleIJSF_NSA_16discard_iteratorISK_EEEEENSM_IJSG_SG_EEES6_PlJS6_EEE10hipError_tPvRmT3_T4_T5_T6_T7_T9_mT8_P12ihipStream_tbDpT10_ENKUlT_T0_E_clISt17integral_constantIbLb1EES1A_IbLb0EEEEDaS16_S17_EUlS16_E_NS1_11comp_targetILNS1_3genE0ELNS1_11target_archE4294967295ELNS1_3gpuE0ELNS1_3repE0EEENS1_30default_config_static_selectorELNS0_4arch9wavefront6targetE1EEEvT1_
    .private_segment_fixed_size: 0
    .sgpr_count:     4
    .sgpr_spill_count: 0
    .symbol:         _ZN7rocprim17ROCPRIM_400000_NS6detail17trampoline_kernelINS0_14default_configENS1_25partition_config_selectorILNS1_17partition_subalgoE1EsNS0_10empty_typeEbEEZZNS1_14partition_implILS5_1ELb0ES3_jN6thrust23THRUST_200600_302600_NS6detail15normal_iteratorINSA_10device_ptrIsEEEEPS6_NSA_18transform_iteratorI7is_evenIsESF_NSA_11use_defaultESK_EENS0_5tupleIJSF_NSA_16discard_iteratorISK_EEEEENSM_IJSG_SG_EEES6_PlJS6_EEE10hipError_tPvRmT3_T4_T5_T6_T7_T9_mT8_P12ihipStream_tbDpT10_ENKUlT_T0_E_clISt17integral_constantIbLb1EES1A_IbLb0EEEEDaS16_S17_EUlS16_E_NS1_11comp_targetILNS1_3genE0ELNS1_11target_archE4294967295ELNS1_3gpuE0ELNS1_3repE0EEENS1_30default_config_static_selectorELNS0_4arch9wavefront6targetE1EEEvT1_.kd
    .uniform_work_group_size: 1
    .uses_dynamic_stack: false
    .vgpr_count:     0
    .vgpr_spill_count: 0
    .wavefront_size: 64
  - .agpr_count:     0
    .args:
      - .offset:         0
        .size:           136
        .value_kind:     by_value
    .group_segment_fixed_size: 0
    .kernarg_segment_align: 8
    .kernarg_segment_size: 136
    .language:       OpenCL C
    .language_version:
      - 2
      - 0
    .max_flat_workgroup_size: 512
    .name:           _ZN7rocprim17ROCPRIM_400000_NS6detail17trampoline_kernelINS0_14default_configENS1_25partition_config_selectorILNS1_17partition_subalgoE1EsNS0_10empty_typeEbEEZZNS1_14partition_implILS5_1ELb0ES3_jN6thrust23THRUST_200600_302600_NS6detail15normal_iteratorINSA_10device_ptrIsEEEEPS6_NSA_18transform_iteratorI7is_evenIsESF_NSA_11use_defaultESK_EENS0_5tupleIJSF_NSA_16discard_iteratorISK_EEEEENSM_IJSG_SG_EEES6_PlJS6_EEE10hipError_tPvRmT3_T4_T5_T6_T7_T9_mT8_P12ihipStream_tbDpT10_ENKUlT_T0_E_clISt17integral_constantIbLb1EES1A_IbLb0EEEEDaS16_S17_EUlS16_E_NS1_11comp_targetILNS1_3genE5ELNS1_11target_archE942ELNS1_3gpuE9ELNS1_3repE0EEENS1_30default_config_static_selectorELNS0_4arch9wavefront6targetE1EEEvT1_
    .private_segment_fixed_size: 0
    .sgpr_count:     4
    .sgpr_spill_count: 0
    .symbol:         _ZN7rocprim17ROCPRIM_400000_NS6detail17trampoline_kernelINS0_14default_configENS1_25partition_config_selectorILNS1_17partition_subalgoE1EsNS0_10empty_typeEbEEZZNS1_14partition_implILS5_1ELb0ES3_jN6thrust23THRUST_200600_302600_NS6detail15normal_iteratorINSA_10device_ptrIsEEEEPS6_NSA_18transform_iteratorI7is_evenIsESF_NSA_11use_defaultESK_EENS0_5tupleIJSF_NSA_16discard_iteratorISK_EEEEENSM_IJSG_SG_EEES6_PlJS6_EEE10hipError_tPvRmT3_T4_T5_T6_T7_T9_mT8_P12ihipStream_tbDpT10_ENKUlT_T0_E_clISt17integral_constantIbLb1EES1A_IbLb0EEEEDaS16_S17_EUlS16_E_NS1_11comp_targetILNS1_3genE5ELNS1_11target_archE942ELNS1_3gpuE9ELNS1_3repE0EEENS1_30default_config_static_selectorELNS0_4arch9wavefront6targetE1EEEvT1_.kd
    .uniform_work_group_size: 1
    .uses_dynamic_stack: false
    .vgpr_count:     0
    .vgpr_spill_count: 0
    .wavefront_size: 64
  - .agpr_count:     0
    .args:
      - .offset:         0
        .size:           136
        .value_kind:     by_value
    .group_segment_fixed_size: 10248
    .kernarg_segment_align: 8
    .kernarg_segment_size: 136
    .language:       OpenCL C
    .language_version:
      - 2
      - 0
    .max_flat_workgroup_size: 256
    .name:           _ZN7rocprim17ROCPRIM_400000_NS6detail17trampoline_kernelINS0_14default_configENS1_25partition_config_selectorILNS1_17partition_subalgoE1EsNS0_10empty_typeEbEEZZNS1_14partition_implILS5_1ELb0ES3_jN6thrust23THRUST_200600_302600_NS6detail15normal_iteratorINSA_10device_ptrIsEEEEPS6_NSA_18transform_iteratorI7is_evenIsESF_NSA_11use_defaultESK_EENS0_5tupleIJSF_NSA_16discard_iteratorISK_EEEEENSM_IJSG_SG_EEES6_PlJS6_EEE10hipError_tPvRmT3_T4_T5_T6_T7_T9_mT8_P12ihipStream_tbDpT10_ENKUlT_T0_E_clISt17integral_constantIbLb1EES1A_IbLb0EEEEDaS16_S17_EUlS16_E_NS1_11comp_targetILNS1_3genE4ELNS1_11target_archE910ELNS1_3gpuE8ELNS1_3repE0EEENS1_30default_config_static_selectorELNS0_4arch9wavefront6targetE1EEEvT1_
    .private_segment_fixed_size: 0
    .sgpr_count:     44
    .sgpr_spill_count: 0
    .symbol:         _ZN7rocprim17ROCPRIM_400000_NS6detail17trampoline_kernelINS0_14default_configENS1_25partition_config_selectorILNS1_17partition_subalgoE1EsNS0_10empty_typeEbEEZZNS1_14partition_implILS5_1ELb0ES3_jN6thrust23THRUST_200600_302600_NS6detail15normal_iteratorINSA_10device_ptrIsEEEEPS6_NSA_18transform_iteratorI7is_evenIsESF_NSA_11use_defaultESK_EENS0_5tupleIJSF_NSA_16discard_iteratorISK_EEEEENSM_IJSG_SG_EEES6_PlJS6_EEE10hipError_tPvRmT3_T4_T5_T6_T7_T9_mT8_P12ihipStream_tbDpT10_ENKUlT_T0_E_clISt17integral_constantIbLb1EES1A_IbLb0EEEEDaS16_S17_EUlS16_E_NS1_11comp_targetILNS1_3genE4ELNS1_11target_archE910ELNS1_3gpuE8ELNS1_3repE0EEENS1_30default_config_static_selectorELNS0_4arch9wavefront6targetE1EEEvT1_.kd
    .uniform_work_group_size: 1
    .uses_dynamic_stack: false
    .vgpr_count:     65
    .vgpr_spill_count: 0
    .wavefront_size: 64
  - .agpr_count:     0
    .args:
      - .offset:         0
        .size:           136
        .value_kind:     by_value
    .group_segment_fixed_size: 0
    .kernarg_segment_align: 8
    .kernarg_segment_size: 136
    .language:       OpenCL C
    .language_version:
      - 2
      - 0
    .max_flat_workgroup_size: 256
    .name:           _ZN7rocprim17ROCPRIM_400000_NS6detail17trampoline_kernelINS0_14default_configENS1_25partition_config_selectorILNS1_17partition_subalgoE1EsNS0_10empty_typeEbEEZZNS1_14partition_implILS5_1ELb0ES3_jN6thrust23THRUST_200600_302600_NS6detail15normal_iteratorINSA_10device_ptrIsEEEEPS6_NSA_18transform_iteratorI7is_evenIsESF_NSA_11use_defaultESK_EENS0_5tupleIJSF_NSA_16discard_iteratorISK_EEEEENSM_IJSG_SG_EEES6_PlJS6_EEE10hipError_tPvRmT3_T4_T5_T6_T7_T9_mT8_P12ihipStream_tbDpT10_ENKUlT_T0_E_clISt17integral_constantIbLb1EES1A_IbLb0EEEEDaS16_S17_EUlS16_E_NS1_11comp_targetILNS1_3genE3ELNS1_11target_archE908ELNS1_3gpuE7ELNS1_3repE0EEENS1_30default_config_static_selectorELNS0_4arch9wavefront6targetE1EEEvT1_
    .private_segment_fixed_size: 0
    .sgpr_count:     4
    .sgpr_spill_count: 0
    .symbol:         _ZN7rocprim17ROCPRIM_400000_NS6detail17trampoline_kernelINS0_14default_configENS1_25partition_config_selectorILNS1_17partition_subalgoE1EsNS0_10empty_typeEbEEZZNS1_14partition_implILS5_1ELb0ES3_jN6thrust23THRUST_200600_302600_NS6detail15normal_iteratorINSA_10device_ptrIsEEEEPS6_NSA_18transform_iteratorI7is_evenIsESF_NSA_11use_defaultESK_EENS0_5tupleIJSF_NSA_16discard_iteratorISK_EEEEENSM_IJSG_SG_EEES6_PlJS6_EEE10hipError_tPvRmT3_T4_T5_T6_T7_T9_mT8_P12ihipStream_tbDpT10_ENKUlT_T0_E_clISt17integral_constantIbLb1EES1A_IbLb0EEEEDaS16_S17_EUlS16_E_NS1_11comp_targetILNS1_3genE3ELNS1_11target_archE908ELNS1_3gpuE7ELNS1_3repE0EEENS1_30default_config_static_selectorELNS0_4arch9wavefront6targetE1EEEvT1_.kd
    .uniform_work_group_size: 1
    .uses_dynamic_stack: false
    .vgpr_count:     0
    .vgpr_spill_count: 0
    .wavefront_size: 64
  - .agpr_count:     0
    .args:
      - .offset:         0
        .size:           136
        .value_kind:     by_value
    .group_segment_fixed_size: 0
    .kernarg_segment_align: 8
    .kernarg_segment_size: 136
    .language:       OpenCL C
    .language_version:
      - 2
      - 0
    .max_flat_workgroup_size: 256
    .name:           _ZN7rocprim17ROCPRIM_400000_NS6detail17trampoline_kernelINS0_14default_configENS1_25partition_config_selectorILNS1_17partition_subalgoE1EsNS0_10empty_typeEbEEZZNS1_14partition_implILS5_1ELb0ES3_jN6thrust23THRUST_200600_302600_NS6detail15normal_iteratorINSA_10device_ptrIsEEEEPS6_NSA_18transform_iteratorI7is_evenIsESF_NSA_11use_defaultESK_EENS0_5tupleIJSF_NSA_16discard_iteratorISK_EEEEENSM_IJSG_SG_EEES6_PlJS6_EEE10hipError_tPvRmT3_T4_T5_T6_T7_T9_mT8_P12ihipStream_tbDpT10_ENKUlT_T0_E_clISt17integral_constantIbLb1EES1A_IbLb0EEEEDaS16_S17_EUlS16_E_NS1_11comp_targetILNS1_3genE2ELNS1_11target_archE906ELNS1_3gpuE6ELNS1_3repE0EEENS1_30default_config_static_selectorELNS0_4arch9wavefront6targetE1EEEvT1_
    .private_segment_fixed_size: 0
    .sgpr_count:     4
    .sgpr_spill_count: 0
    .symbol:         _ZN7rocprim17ROCPRIM_400000_NS6detail17trampoline_kernelINS0_14default_configENS1_25partition_config_selectorILNS1_17partition_subalgoE1EsNS0_10empty_typeEbEEZZNS1_14partition_implILS5_1ELb0ES3_jN6thrust23THRUST_200600_302600_NS6detail15normal_iteratorINSA_10device_ptrIsEEEEPS6_NSA_18transform_iteratorI7is_evenIsESF_NSA_11use_defaultESK_EENS0_5tupleIJSF_NSA_16discard_iteratorISK_EEEEENSM_IJSG_SG_EEES6_PlJS6_EEE10hipError_tPvRmT3_T4_T5_T6_T7_T9_mT8_P12ihipStream_tbDpT10_ENKUlT_T0_E_clISt17integral_constantIbLb1EES1A_IbLb0EEEEDaS16_S17_EUlS16_E_NS1_11comp_targetILNS1_3genE2ELNS1_11target_archE906ELNS1_3gpuE6ELNS1_3repE0EEENS1_30default_config_static_selectorELNS0_4arch9wavefront6targetE1EEEvT1_.kd
    .uniform_work_group_size: 1
    .uses_dynamic_stack: false
    .vgpr_count:     0
    .vgpr_spill_count: 0
    .wavefront_size: 64
  - .agpr_count:     0
    .args:
      - .offset:         0
        .size:           136
        .value_kind:     by_value
    .group_segment_fixed_size: 0
    .kernarg_segment_align: 8
    .kernarg_segment_size: 136
    .language:       OpenCL C
    .language_version:
      - 2
      - 0
    .max_flat_workgroup_size: 384
    .name:           _ZN7rocprim17ROCPRIM_400000_NS6detail17trampoline_kernelINS0_14default_configENS1_25partition_config_selectorILNS1_17partition_subalgoE1EsNS0_10empty_typeEbEEZZNS1_14partition_implILS5_1ELb0ES3_jN6thrust23THRUST_200600_302600_NS6detail15normal_iteratorINSA_10device_ptrIsEEEEPS6_NSA_18transform_iteratorI7is_evenIsESF_NSA_11use_defaultESK_EENS0_5tupleIJSF_NSA_16discard_iteratorISK_EEEEENSM_IJSG_SG_EEES6_PlJS6_EEE10hipError_tPvRmT3_T4_T5_T6_T7_T9_mT8_P12ihipStream_tbDpT10_ENKUlT_T0_E_clISt17integral_constantIbLb1EES1A_IbLb0EEEEDaS16_S17_EUlS16_E_NS1_11comp_targetILNS1_3genE10ELNS1_11target_archE1200ELNS1_3gpuE4ELNS1_3repE0EEENS1_30default_config_static_selectorELNS0_4arch9wavefront6targetE1EEEvT1_
    .private_segment_fixed_size: 0
    .sgpr_count:     4
    .sgpr_spill_count: 0
    .symbol:         _ZN7rocprim17ROCPRIM_400000_NS6detail17trampoline_kernelINS0_14default_configENS1_25partition_config_selectorILNS1_17partition_subalgoE1EsNS0_10empty_typeEbEEZZNS1_14partition_implILS5_1ELb0ES3_jN6thrust23THRUST_200600_302600_NS6detail15normal_iteratorINSA_10device_ptrIsEEEEPS6_NSA_18transform_iteratorI7is_evenIsESF_NSA_11use_defaultESK_EENS0_5tupleIJSF_NSA_16discard_iteratorISK_EEEEENSM_IJSG_SG_EEES6_PlJS6_EEE10hipError_tPvRmT3_T4_T5_T6_T7_T9_mT8_P12ihipStream_tbDpT10_ENKUlT_T0_E_clISt17integral_constantIbLb1EES1A_IbLb0EEEEDaS16_S17_EUlS16_E_NS1_11comp_targetILNS1_3genE10ELNS1_11target_archE1200ELNS1_3gpuE4ELNS1_3repE0EEENS1_30default_config_static_selectorELNS0_4arch9wavefront6targetE1EEEvT1_.kd
    .uniform_work_group_size: 1
    .uses_dynamic_stack: false
    .vgpr_count:     0
    .vgpr_spill_count: 0
    .wavefront_size: 64
  - .agpr_count:     0
    .args:
      - .offset:         0
        .size:           136
        .value_kind:     by_value
    .group_segment_fixed_size: 0
    .kernarg_segment_align: 8
    .kernarg_segment_size: 136
    .language:       OpenCL C
    .language_version:
      - 2
      - 0
    .max_flat_workgroup_size: 128
    .name:           _ZN7rocprim17ROCPRIM_400000_NS6detail17trampoline_kernelINS0_14default_configENS1_25partition_config_selectorILNS1_17partition_subalgoE1EsNS0_10empty_typeEbEEZZNS1_14partition_implILS5_1ELb0ES3_jN6thrust23THRUST_200600_302600_NS6detail15normal_iteratorINSA_10device_ptrIsEEEEPS6_NSA_18transform_iteratorI7is_evenIsESF_NSA_11use_defaultESK_EENS0_5tupleIJSF_NSA_16discard_iteratorISK_EEEEENSM_IJSG_SG_EEES6_PlJS6_EEE10hipError_tPvRmT3_T4_T5_T6_T7_T9_mT8_P12ihipStream_tbDpT10_ENKUlT_T0_E_clISt17integral_constantIbLb1EES1A_IbLb0EEEEDaS16_S17_EUlS16_E_NS1_11comp_targetILNS1_3genE9ELNS1_11target_archE1100ELNS1_3gpuE3ELNS1_3repE0EEENS1_30default_config_static_selectorELNS0_4arch9wavefront6targetE1EEEvT1_
    .private_segment_fixed_size: 0
    .sgpr_count:     4
    .sgpr_spill_count: 0
    .symbol:         _ZN7rocprim17ROCPRIM_400000_NS6detail17trampoline_kernelINS0_14default_configENS1_25partition_config_selectorILNS1_17partition_subalgoE1EsNS0_10empty_typeEbEEZZNS1_14partition_implILS5_1ELb0ES3_jN6thrust23THRUST_200600_302600_NS6detail15normal_iteratorINSA_10device_ptrIsEEEEPS6_NSA_18transform_iteratorI7is_evenIsESF_NSA_11use_defaultESK_EENS0_5tupleIJSF_NSA_16discard_iteratorISK_EEEEENSM_IJSG_SG_EEES6_PlJS6_EEE10hipError_tPvRmT3_T4_T5_T6_T7_T9_mT8_P12ihipStream_tbDpT10_ENKUlT_T0_E_clISt17integral_constantIbLb1EES1A_IbLb0EEEEDaS16_S17_EUlS16_E_NS1_11comp_targetILNS1_3genE9ELNS1_11target_archE1100ELNS1_3gpuE3ELNS1_3repE0EEENS1_30default_config_static_selectorELNS0_4arch9wavefront6targetE1EEEvT1_.kd
    .uniform_work_group_size: 1
    .uses_dynamic_stack: false
    .vgpr_count:     0
    .vgpr_spill_count: 0
    .wavefront_size: 64
  - .agpr_count:     0
    .args:
      - .offset:         0
        .size:           136
        .value_kind:     by_value
    .group_segment_fixed_size: 0
    .kernarg_segment_align: 8
    .kernarg_segment_size: 136
    .language:       OpenCL C
    .language_version:
      - 2
      - 0
    .max_flat_workgroup_size: 512
    .name:           _ZN7rocprim17ROCPRIM_400000_NS6detail17trampoline_kernelINS0_14default_configENS1_25partition_config_selectorILNS1_17partition_subalgoE1EsNS0_10empty_typeEbEEZZNS1_14partition_implILS5_1ELb0ES3_jN6thrust23THRUST_200600_302600_NS6detail15normal_iteratorINSA_10device_ptrIsEEEEPS6_NSA_18transform_iteratorI7is_evenIsESF_NSA_11use_defaultESK_EENS0_5tupleIJSF_NSA_16discard_iteratorISK_EEEEENSM_IJSG_SG_EEES6_PlJS6_EEE10hipError_tPvRmT3_T4_T5_T6_T7_T9_mT8_P12ihipStream_tbDpT10_ENKUlT_T0_E_clISt17integral_constantIbLb1EES1A_IbLb0EEEEDaS16_S17_EUlS16_E_NS1_11comp_targetILNS1_3genE8ELNS1_11target_archE1030ELNS1_3gpuE2ELNS1_3repE0EEENS1_30default_config_static_selectorELNS0_4arch9wavefront6targetE1EEEvT1_
    .private_segment_fixed_size: 0
    .sgpr_count:     4
    .sgpr_spill_count: 0
    .symbol:         _ZN7rocprim17ROCPRIM_400000_NS6detail17trampoline_kernelINS0_14default_configENS1_25partition_config_selectorILNS1_17partition_subalgoE1EsNS0_10empty_typeEbEEZZNS1_14partition_implILS5_1ELb0ES3_jN6thrust23THRUST_200600_302600_NS6detail15normal_iteratorINSA_10device_ptrIsEEEEPS6_NSA_18transform_iteratorI7is_evenIsESF_NSA_11use_defaultESK_EENS0_5tupleIJSF_NSA_16discard_iteratorISK_EEEEENSM_IJSG_SG_EEES6_PlJS6_EEE10hipError_tPvRmT3_T4_T5_T6_T7_T9_mT8_P12ihipStream_tbDpT10_ENKUlT_T0_E_clISt17integral_constantIbLb1EES1A_IbLb0EEEEDaS16_S17_EUlS16_E_NS1_11comp_targetILNS1_3genE8ELNS1_11target_archE1030ELNS1_3gpuE2ELNS1_3repE0EEENS1_30default_config_static_selectorELNS0_4arch9wavefront6targetE1EEEvT1_.kd
    .uniform_work_group_size: 1
    .uses_dynamic_stack: false
    .vgpr_count:     0
    .vgpr_spill_count: 0
    .wavefront_size: 64
  - .agpr_count:     0
    .args:
      - .offset:         0
        .size:           152
        .value_kind:     by_value
    .group_segment_fixed_size: 0
    .kernarg_segment_align: 8
    .kernarg_segment_size: 152
    .language:       OpenCL C
    .language_version:
      - 2
      - 0
    .max_flat_workgroup_size: 256
    .name:           _ZN7rocprim17ROCPRIM_400000_NS6detail17trampoline_kernelINS0_14default_configENS1_25partition_config_selectorILNS1_17partition_subalgoE1EsNS0_10empty_typeEbEEZZNS1_14partition_implILS5_1ELb0ES3_jN6thrust23THRUST_200600_302600_NS6detail15normal_iteratorINSA_10device_ptrIsEEEEPS6_NSA_18transform_iteratorI7is_evenIsESF_NSA_11use_defaultESK_EENS0_5tupleIJSF_NSA_16discard_iteratorISK_EEEEENSM_IJSG_SG_EEES6_PlJS6_EEE10hipError_tPvRmT3_T4_T5_T6_T7_T9_mT8_P12ihipStream_tbDpT10_ENKUlT_T0_E_clISt17integral_constantIbLb0EES1A_IbLb1EEEEDaS16_S17_EUlS16_E_NS1_11comp_targetILNS1_3genE0ELNS1_11target_archE4294967295ELNS1_3gpuE0ELNS1_3repE0EEENS1_30default_config_static_selectorELNS0_4arch9wavefront6targetE1EEEvT1_
    .private_segment_fixed_size: 0
    .sgpr_count:     4
    .sgpr_spill_count: 0
    .symbol:         _ZN7rocprim17ROCPRIM_400000_NS6detail17trampoline_kernelINS0_14default_configENS1_25partition_config_selectorILNS1_17partition_subalgoE1EsNS0_10empty_typeEbEEZZNS1_14partition_implILS5_1ELb0ES3_jN6thrust23THRUST_200600_302600_NS6detail15normal_iteratorINSA_10device_ptrIsEEEEPS6_NSA_18transform_iteratorI7is_evenIsESF_NSA_11use_defaultESK_EENS0_5tupleIJSF_NSA_16discard_iteratorISK_EEEEENSM_IJSG_SG_EEES6_PlJS6_EEE10hipError_tPvRmT3_T4_T5_T6_T7_T9_mT8_P12ihipStream_tbDpT10_ENKUlT_T0_E_clISt17integral_constantIbLb0EES1A_IbLb1EEEEDaS16_S17_EUlS16_E_NS1_11comp_targetILNS1_3genE0ELNS1_11target_archE4294967295ELNS1_3gpuE0ELNS1_3repE0EEENS1_30default_config_static_selectorELNS0_4arch9wavefront6targetE1EEEvT1_.kd
    .uniform_work_group_size: 1
    .uses_dynamic_stack: false
    .vgpr_count:     0
    .vgpr_spill_count: 0
    .wavefront_size: 64
  - .agpr_count:     0
    .args:
      - .offset:         0
        .size:           152
        .value_kind:     by_value
    .group_segment_fixed_size: 0
    .kernarg_segment_align: 8
    .kernarg_segment_size: 152
    .language:       OpenCL C
    .language_version:
      - 2
      - 0
    .max_flat_workgroup_size: 512
    .name:           _ZN7rocprim17ROCPRIM_400000_NS6detail17trampoline_kernelINS0_14default_configENS1_25partition_config_selectorILNS1_17partition_subalgoE1EsNS0_10empty_typeEbEEZZNS1_14partition_implILS5_1ELb0ES3_jN6thrust23THRUST_200600_302600_NS6detail15normal_iteratorINSA_10device_ptrIsEEEEPS6_NSA_18transform_iteratorI7is_evenIsESF_NSA_11use_defaultESK_EENS0_5tupleIJSF_NSA_16discard_iteratorISK_EEEEENSM_IJSG_SG_EEES6_PlJS6_EEE10hipError_tPvRmT3_T4_T5_T6_T7_T9_mT8_P12ihipStream_tbDpT10_ENKUlT_T0_E_clISt17integral_constantIbLb0EES1A_IbLb1EEEEDaS16_S17_EUlS16_E_NS1_11comp_targetILNS1_3genE5ELNS1_11target_archE942ELNS1_3gpuE9ELNS1_3repE0EEENS1_30default_config_static_selectorELNS0_4arch9wavefront6targetE1EEEvT1_
    .private_segment_fixed_size: 0
    .sgpr_count:     4
    .sgpr_spill_count: 0
    .symbol:         _ZN7rocprim17ROCPRIM_400000_NS6detail17trampoline_kernelINS0_14default_configENS1_25partition_config_selectorILNS1_17partition_subalgoE1EsNS0_10empty_typeEbEEZZNS1_14partition_implILS5_1ELb0ES3_jN6thrust23THRUST_200600_302600_NS6detail15normal_iteratorINSA_10device_ptrIsEEEEPS6_NSA_18transform_iteratorI7is_evenIsESF_NSA_11use_defaultESK_EENS0_5tupleIJSF_NSA_16discard_iteratorISK_EEEEENSM_IJSG_SG_EEES6_PlJS6_EEE10hipError_tPvRmT3_T4_T5_T6_T7_T9_mT8_P12ihipStream_tbDpT10_ENKUlT_T0_E_clISt17integral_constantIbLb0EES1A_IbLb1EEEEDaS16_S17_EUlS16_E_NS1_11comp_targetILNS1_3genE5ELNS1_11target_archE942ELNS1_3gpuE9ELNS1_3repE0EEENS1_30default_config_static_selectorELNS0_4arch9wavefront6targetE1EEEvT1_.kd
    .uniform_work_group_size: 1
    .uses_dynamic_stack: false
    .vgpr_count:     0
    .vgpr_spill_count: 0
    .wavefront_size: 64
  - .agpr_count:     0
    .args:
      - .offset:         0
        .size:           152
        .value_kind:     by_value
    .group_segment_fixed_size: 10248
    .kernarg_segment_align: 8
    .kernarg_segment_size: 152
    .language:       OpenCL C
    .language_version:
      - 2
      - 0
    .max_flat_workgroup_size: 256
    .name:           _ZN7rocprim17ROCPRIM_400000_NS6detail17trampoline_kernelINS0_14default_configENS1_25partition_config_selectorILNS1_17partition_subalgoE1EsNS0_10empty_typeEbEEZZNS1_14partition_implILS5_1ELb0ES3_jN6thrust23THRUST_200600_302600_NS6detail15normal_iteratorINSA_10device_ptrIsEEEEPS6_NSA_18transform_iteratorI7is_evenIsESF_NSA_11use_defaultESK_EENS0_5tupleIJSF_NSA_16discard_iteratorISK_EEEEENSM_IJSG_SG_EEES6_PlJS6_EEE10hipError_tPvRmT3_T4_T5_T6_T7_T9_mT8_P12ihipStream_tbDpT10_ENKUlT_T0_E_clISt17integral_constantIbLb0EES1A_IbLb1EEEEDaS16_S17_EUlS16_E_NS1_11comp_targetILNS1_3genE4ELNS1_11target_archE910ELNS1_3gpuE8ELNS1_3repE0EEENS1_30default_config_static_selectorELNS0_4arch9wavefront6targetE1EEEvT1_
    .private_segment_fixed_size: 0
    .sgpr_count:     44
    .sgpr_spill_count: 0
    .symbol:         _ZN7rocprim17ROCPRIM_400000_NS6detail17trampoline_kernelINS0_14default_configENS1_25partition_config_selectorILNS1_17partition_subalgoE1EsNS0_10empty_typeEbEEZZNS1_14partition_implILS5_1ELb0ES3_jN6thrust23THRUST_200600_302600_NS6detail15normal_iteratorINSA_10device_ptrIsEEEEPS6_NSA_18transform_iteratorI7is_evenIsESF_NSA_11use_defaultESK_EENS0_5tupleIJSF_NSA_16discard_iteratorISK_EEEEENSM_IJSG_SG_EEES6_PlJS6_EEE10hipError_tPvRmT3_T4_T5_T6_T7_T9_mT8_P12ihipStream_tbDpT10_ENKUlT_T0_E_clISt17integral_constantIbLb0EES1A_IbLb1EEEEDaS16_S17_EUlS16_E_NS1_11comp_targetILNS1_3genE4ELNS1_11target_archE910ELNS1_3gpuE8ELNS1_3repE0EEENS1_30default_config_static_selectorELNS0_4arch9wavefront6targetE1EEEvT1_.kd
    .uniform_work_group_size: 1
    .uses_dynamic_stack: false
    .vgpr_count:     67
    .vgpr_spill_count: 0
    .wavefront_size: 64
  - .agpr_count:     0
    .args:
      - .offset:         0
        .size:           152
        .value_kind:     by_value
    .group_segment_fixed_size: 0
    .kernarg_segment_align: 8
    .kernarg_segment_size: 152
    .language:       OpenCL C
    .language_version:
      - 2
      - 0
    .max_flat_workgroup_size: 256
    .name:           _ZN7rocprim17ROCPRIM_400000_NS6detail17trampoline_kernelINS0_14default_configENS1_25partition_config_selectorILNS1_17partition_subalgoE1EsNS0_10empty_typeEbEEZZNS1_14partition_implILS5_1ELb0ES3_jN6thrust23THRUST_200600_302600_NS6detail15normal_iteratorINSA_10device_ptrIsEEEEPS6_NSA_18transform_iteratorI7is_evenIsESF_NSA_11use_defaultESK_EENS0_5tupleIJSF_NSA_16discard_iteratorISK_EEEEENSM_IJSG_SG_EEES6_PlJS6_EEE10hipError_tPvRmT3_T4_T5_T6_T7_T9_mT8_P12ihipStream_tbDpT10_ENKUlT_T0_E_clISt17integral_constantIbLb0EES1A_IbLb1EEEEDaS16_S17_EUlS16_E_NS1_11comp_targetILNS1_3genE3ELNS1_11target_archE908ELNS1_3gpuE7ELNS1_3repE0EEENS1_30default_config_static_selectorELNS0_4arch9wavefront6targetE1EEEvT1_
    .private_segment_fixed_size: 0
    .sgpr_count:     4
    .sgpr_spill_count: 0
    .symbol:         _ZN7rocprim17ROCPRIM_400000_NS6detail17trampoline_kernelINS0_14default_configENS1_25partition_config_selectorILNS1_17partition_subalgoE1EsNS0_10empty_typeEbEEZZNS1_14partition_implILS5_1ELb0ES3_jN6thrust23THRUST_200600_302600_NS6detail15normal_iteratorINSA_10device_ptrIsEEEEPS6_NSA_18transform_iteratorI7is_evenIsESF_NSA_11use_defaultESK_EENS0_5tupleIJSF_NSA_16discard_iteratorISK_EEEEENSM_IJSG_SG_EEES6_PlJS6_EEE10hipError_tPvRmT3_T4_T5_T6_T7_T9_mT8_P12ihipStream_tbDpT10_ENKUlT_T0_E_clISt17integral_constantIbLb0EES1A_IbLb1EEEEDaS16_S17_EUlS16_E_NS1_11comp_targetILNS1_3genE3ELNS1_11target_archE908ELNS1_3gpuE7ELNS1_3repE0EEENS1_30default_config_static_selectorELNS0_4arch9wavefront6targetE1EEEvT1_.kd
    .uniform_work_group_size: 1
    .uses_dynamic_stack: false
    .vgpr_count:     0
    .vgpr_spill_count: 0
    .wavefront_size: 64
  - .agpr_count:     0
    .args:
      - .offset:         0
        .size:           152
        .value_kind:     by_value
    .group_segment_fixed_size: 0
    .kernarg_segment_align: 8
    .kernarg_segment_size: 152
    .language:       OpenCL C
    .language_version:
      - 2
      - 0
    .max_flat_workgroup_size: 256
    .name:           _ZN7rocprim17ROCPRIM_400000_NS6detail17trampoline_kernelINS0_14default_configENS1_25partition_config_selectorILNS1_17partition_subalgoE1EsNS0_10empty_typeEbEEZZNS1_14partition_implILS5_1ELb0ES3_jN6thrust23THRUST_200600_302600_NS6detail15normal_iteratorINSA_10device_ptrIsEEEEPS6_NSA_18transform_iteratorI7is_evenIsESF_NSA_11use_defaultESK_EENS0_5tupleIJSF_NSA_16discard_iteratorISK_EEEEENSM_IJSG_SG_EEES6_PlJS6_EEE10hipError_tPvRmT3_T4_T5_T6_T7_T9_mT8_P12ihipStream_tbDpT10_ENKUlT_T0_E_clISt17integral_constantIbLb0EES1A_IbLb1EEEEDaS16_S17_EUlS16_E_NS1_11comp_targetILNS1_3genE2ELNS1_11target_archE906ELNS1_3gpuE6ELNS1_3repE0EEENS1_30default_config_static_selectorELNS0_4arch9wavefront6targetE1EEEvT1_
    .private_segment_fixed_size: 0
    .sgpr_count:     4
    .sgpr_spill_count: 0
    .symbol:         _ZN7rocprim17ROCPRIM_400000_NS6detail17trampoline_kernelINS0_14default_configENS1_25partition_config_selectorILNS1_17partition_subalgoE1EsNS0_10empty_typeEbEEZZNS1_14partition_implILS5_1ELb0ES3_jN6thrust23THRUST_200600_302600_NS6detail15normal_iteratorINSA_10device_ptrIsEEEEPS6_NSA_18transform_iteratorI7is_evenIsESF_NSA_11use_defaultESK_EENS0_5tupleIJSF_NSA_16discard_iteratorISK_EEEEENSM_IJSG_SG_EEES6_PlJS6_EEE10hipError_tPvRmT3_T4_T5_T6_T7_T9_mT8_P12ihipStream_tbDpT10_ENKUlT_T0_E_clISt17integral_constantIbLb0EES1A_IbLb1EEEEDaS16_S17_EUlS16_E_NS1_11comp_targetILNS1_3genE2ELNS1_11target_archE906ELNS1_3gpuE6ELNS1_3repE0EEENS1_30default_config_static_selectorELNS0_4arch9wavefront6targetE1EEEvT1_.kd
    .uniform_work_group_size: 1
    .uses_dynamic_stack: false
    .vgpr_count:     0
    .vgpr_spill_count: 0
    .wavefront_size: 64
  - .agpr_count:     0
    .args:
      - .offset:         0
        .size:           152
        .value_kind:     by_value
    .group_segment_fixed_size: 0
    .kernarg_segment_align: 8
    .kernarg_segment_size: 152
    .language:       OpenCL C
    .language_version:
      - 2
      - 0
    .max_flat_workgroup_size: 384
    .name:           _ZN7rocprim17ROCPRIM_400000_NS6detail17trampoline_kernelINS0_14default_configENS1_25partition_config_selectorILNS1_17partition_subalgoE1EsNS0_10empty_typeEbEEZZNS1_14partition_implILS5_1ELb0ES3_jN6thrust23THRUST_200600_302600_NS6detail15normal_iteratorINSA_10device_ptrIsEEEEPS6_NSA_18transform_iteratorI7is_evenIsESF_NSA_11use_defaultESK_EENS0_5tupleIJSF_NSA_16discard_iteratorISK_EEEEENSM_IJSG_SG_EEES6_PlJS6_EEE10hipError_tPvRmT3_T4_T5_T6_T7_T9_mT8_P12ihipStream_tbDpT10_ENKUlT_T0_E_clISt17integral_constantIbLb0EES1A_IbLb1EEEEDaS16_S17_EUlS16_E_NS1_11comp_targetILNS1_3genE10ELNS1_11target_archE1200ELNS1_3gpuE4ELNS1_3repE0EEENS1_30default_config_static_selectorELNS0_4arch9wavefront6targetE1EEEvT1_
    .private_segment_fixed_size: 0
    .sgpr_count:     4
    .sgpr_spill_count: 0
    .symbol:         _ZN7rocprim17ROCPRIM_400000_NS6detail17trampoline_kernelINS0_14default_configENS1_25partition_config_selectorILNS1_17partition_subalgoE1EsNS0_10empty_typeEbEEZZNS1_14partition_implILS5_1ELb0ES3_jN6thrust23THRUST_200600_302600_NS6detail15normal_iteratorINSA_10device_ptrIsEEEEPS6_NSA_18transform_iteratorI7is_evenIsESF_NSA_11use_defaultESK_EENS0_5tupleIJSF_NSA_16discard_iteratorISK_EEEEENSM_IJSG_SG_EEES6_PlJS6_EEE10hipError_tPvRmT3_T4_T5_T6_T7_T9_mT8_P12ihipStream_tbDpT10_ENKUlT_T0_E_clISt17integral_constantIbLb0EES1A_IbLb1EEEEDaS16_S17_EUlS16_E_NS1_11comp_targetILNS1_3genE10ELNS1_11target_archE1200ELNS1_3gpuE4ELNS1_3repE0EEENS1_30default_config_static_selectorELNS0_4arch9wavefront6targetE1EEEvT1_.kd
    .uniform_work_group_size: 1
    .uses_dynamic_stack: false
    .vgpr_count:     0
    .vgpr_spill_count: 0
    .wavefront_size: 64
  - .agpr_count:     0
    .args:
      - .offset:         0
        .size:           152
        .value_kind:     by_value
    .group_segment_fixed_size: 0
    .kernarg_segment_align: 8
    .kernarg_segment_size: 152
    .language:       OpenCL C
    .language_version:
      - 2
      - 0
    .max_flat_workgroup_size: 128
    .name:           _ZN7rocprim17ROCPRIM_400000_NS6detail17trampoline_kernelINS0_14default_configENS1_25partition_config_selectorILNS1_17partition_subalgoE1EsNS0_10empty_typeEbEEZZNS1_14partition_implILS5_1ELb0ES3_jN6thrust23THRUST_200600_302600_NS6detail15normal_iteratorINSA_10device_ptrIsEEEEPS6_NSA_18transform_iteratorI7is_evenIsESF_NSA_11use_defaultESK_EENS0_5tupleIJSF_NSA_16discard_iteratorISK_EEEEENSM_IJSG_SG_EEES6_PlJS6_EEE10hipError_tPvRmT3_T4_T5_T6_T7_T9_mT8_P12ihipStream_tbDpT10_ENKUlT_T0_E_clISt17integral_constantIbLb0EES1A_IbLb1EEEEDaS16_S17_EUlS16_E_NS1_11comp_targetILNS1_3genE9ELNS1_11target_archE1100ELNS1_3gpuE3ELNS1_3repE0EEENS1_30default_config_static_selectorELNS0_4arch9wavefront6targetE1EEEvT1_
    .private_segment_fixed_size: 0
    .sgpr_count:     4
    .sgpr_spill_count: 0
    .symbol:         _ZN7rocprim17ROCPRIM_400000_NS6detail17trampoline_kernelINS0_14default_configENS1_25partition_config_selectorILNS1_17partition_subalgoE1EsNS0_10empty_typeEbEEZZNS1_14partition_implILS5_1ELb0ES3_jN6thrust23THRUST_200600_302600_NS6detail15normal_iteratorINSA_10device_ptrIsEEEEPS6_NSA_18transform_iteratorI7is_evenIsESF_NSA_11use_defaultESK_EENS0_5tupleIJSF_NSA_16discard_iteratorISK_EEEEENSM_IJSG_SG_EEES6_PlJS6_EEE10hipError_tPvRmT3_T4_T5_T6_T7_T9_mT8_P12ihipStream_tbDpT10_ENKUlT_T0_E_clISt17integral_constantIbLb0EES1A_IbLb1EEEEDaS16_S17_EUlS16_E_NS1_11comp_targetILNS1_3genE9ELNS1_11target_archE1100ELNS1_3gpuE3ELNS1_3repE0EEENS1_30default_config_static_selectorELNS0_4arch9wavefront6targetE1EEEvT1_.kd
    .uniform_work_group_size: 1
    .uses_dynamic_stack: false
    .vgpr_count:     0
    .vgpr_spill_count: 0
    .wavefront_size: 64
  - .agpr_count:     0
    .args:
      - .offset:         0
        .size:           152
        .value_kind:     by_value
    .group_segment_fixed_size: 0
    .kernarg_segment_align: 8
    .kernarg_segment_size: 152
    .language:       OpenCL C
    .language_version:
      - 2
      - 0
    .max_flat_workgroup_size: 512
    .name:           _ZN7rocprim17ROCPRIM_400000_NS6detail17trampoline_kernelINS0_14default_configENS1_25partition_config_selectorILNS1_17partition_subalgoE1EsNS0_10empty_typeEbEEZZNS1_14partition_implILS5_1ELb0ES3_jN6thrust23THRUST_200600_302600_NS6detail15normal_iteratorINSA_10device_ptrIsEEEEPS6_NSA_18transform_iteratorI7is_evenIsESF_NSA_11use_defaultESK_EENS0_5tupleIJSF_NSA_16discard_iteratorISK_EEEEENSM_IJSG_SG_EEES6_PlJS6_EEE10hipError_tPvRmT3_T4_T5_T6_T7_T9_mT8_P12ihipStream_tbDpT10_ENKUlT_T0_E_clISt17integral_constantIbLb0EES1A_IbLb1EEEEDaS16_S17_EUlS16_E_NS1_11comp_targetILNS1_3genE8ELNS1_11target_archE1030ELNS1_3gpuE2ELNS1_3repE0EEENS1_30default_config_static_selectorELNS0_4arch9wavefront6targetE1EEEvT1_
    .private_segment_fixed_size: 0
    .sgpr_count:     4
    .sgpr_spill_count: 0
    .symbol:         _ZN7rocprim17ROCPRIM_400000_NS6detail17trampoline_kernelINS0_14default_configENS1_25partition_config_selectorILNS1_17partition_subalgoE1EsNS0_10empty_typeEbEEZZNS1_14partition_implILS5_1ELb0ES3_jN6thrust23THRUST_200600_302600_NS6detail15normal_iteratorINSA_10device_ptrIsEEEEPS6_NSA_18transform_iteratorI7is_evenIsESF_NSA_11use_defaultESK_EENS0_5tupleIJSF_NSA_16discard_iteratorISK_EEEEENSM_IJSG_SG_EEES6_PlJS6_EEE10hipError_tPvRmT3_T4_T5_T6_T7_T9_mT8_P12ihipStream_tbDpT10_ENKUlT_T0_E_clISt17integral_constantIbLb0EES1A_IbLb1EEEEDaS16_S17_EUlS16_E_NS1_11comp_targetILNS1_3genE8ELNS1_11target_archE1030ELNS1_3gpuE2ELNS1_3repE0EEENS1_30default_config_static_selectorELNS0_4arch9wavefront6targetE1EEEvT1_.kd
    .uniform_work_group_size: 1
    .uses_dynamic_stack: false
    .vgpr_count:     0
    .vgpr_spill_count: 0
    .wavefront_size: 64
  - .agpr_count:     0
    .args:
      - .offset:         0
        .size:           136
        .value_kind:     by_value
    .group_segment_fixed_size: 0
    .kernarg_segment_align: 8
    .kernarg_segment_size: 136
    .language:       OpenCL C
    .language_version:
      - 2
      - 0
    .max_flat_workgroup_size: 256
    .name:           _ZN7rocprim17ROCPRIM_400000_NS6detail17trampoline_kernelINS0_14default_configENS1_25partition_config_selectorILNS1_17partition_subalgoE1EsNS0_10empty_typeEbEEZZNS1_14partition_implILS5_1ELb0ES3_jN6thrust23THRUST_200600_302600_NS6detail15normal_iteratorINSA_10device_ptrIsEEEEPS6_NSA_18transform_iteratorI7is_evenIsESF_NSA_11use_defaultESK_EENS0_5tupleIJNSA_16discard_iteratorISK_EESF_EEENSM_IJSG_SG_EEES6_PlJS6_EEE10hipError_tPvRmT3_T4_T5_T6_T7_T9_mT8_P12ihipStream_tbDpT10_ENKUlT_T0_E_clISt17integral_constantIbLb0EES1B_EEDaS16_S17_EUlS16_E_NS1_11comp_targetILNS1_3genE0ELNS1_11target_archE4294967295ELNS1_3gpuE0ELNS1_3repE0EEENS1_30default_config_static_selectorELNS0_4arch9wavefront6targetE1EEEvT1_
    .private_segment_fixed_size: 0
    .sgpr_count:     4
    .sgpr_spill_count: 0
    .symbol:         _ZN7rocprim17ROCPRIM_400000_NS6detail17trampoline_kernelINS0_14default_configENS1_25partition_config_selectorILNS1_17partition_subalgoE1EsNS0_10empty_typeEbEEZZNS1_14partition_implILS5_1ELb0ES3_jN6thrust23THRUST_200600_302600_NS6detail15normal_iteratorINSA_10device_ptrIsEEEEPS6_NSA_18transform_iteratorI7is_evenIsESF_NSA_11use_defaultESK_EENS0_5tupleIJNSA_16discard_iteratorISK_EESF_EEENSM_IJSG_SG_EEES6_PlJS6_EEE10hipError_tPvRmT3_T4_T5_T6_T7_T9_mT8_P12ihipStream_tbDpT10_ENKUlT_T0_E_clISt17integral_constantIbLb0EES1B_EEDaS16_S17_EUlS16_E_NS1_11comp_targetILNS1_3genE0ELNS1_11target_archE4294967295ELNS1_3gpuE0ELNS1_3repE0EEENS1_30default_config_static_selectorELNS0_4arch9wavefront6targetE1EEEvT1_.kd
    .uniform_work_group_size: 1
    .uses_dynamic_stack: false
    .vgpr_count:     0
    .vgpr_spill_count: 0
    .wavefront_size: 64
  - .agpr_count:     0
    .args:
      - .offset:         0
        .size:           136
        .value_kind:     by_value
    .group_segment_fixed_size: 0
    .kernarg_segment_align: 8
    .kernarg_segment_size: 136
    .language:       OpenCL C
    .language_version:
      - 2
      - 0
    .max_flat_workgroup_size: 512
    .name:           _ZN7rocprim17ROCPRIM_400000_NS6detail17trampoline_kernelINS0_14default_configENS1_25partition_config_selectorILNS1_17partition_subalgoE1EsNS0_10empty_typeEbEEZZNS1_14partition_implILS5_1ELb0ES3_jN6thrust23THRUST_200600_302600_NS6detail15normal_iteratorINSA_10device_ptrIsEEEEPS6_NSA_18transform_iteratorI7is_evenIsESF_NSA_11use_defaultESK_EENS0_5tupleIJNSA_16discard_iteratorISK_EESF_EEENSM_IJSG_SG_EEES6_PlJS6_EEE10hipError_tPvRmT3_T4_T5_T6_T7_T9_mT8_P12ihipStream_tbDpT10_ENKUlT_T0_E_clISt17integral_constantIbLb0EES1B_EEDaS16_S17_EUlS16_E_NS1_11comp_targetILNS1_3genE5ELNS1_11target_archE942ELNS1_3gpuE9ELNS1_3repE0EEENS1_30default_config_static_selectorELNS0_4arch9wavefront6targetE1EEEvT1_
    .private_segment_fixed_size: 0
    .sgpr_count:     4
    .sgpr_spill_count: 0
    .symbol:         _ZN7rocprim17ROCPRIM_400000_NS6detail17trampoline_kernelINS0_14default_configENS1_25partition_config_selectorILNS1_17partition_subalgoE1EsNS0_10empty_typeEbEEZZNS1_14partition_implILS5_1ELb0ES3_jN6thrust23THRUST_200600_302600_NS6detail15normal_iteratorINSA_10device_ptrIsEEEEPS6_NSA_18transform_iteratorI7is_evenIsESF_NSA_11use_defaultESK_EENS0_5tupleIJNSA_16discard_iteratorISK_EESF_EEENSM_IJSG_SG_EEES6_PlJS6_EEE10hipError_tPvRmT3_T4_T5_T6_T7_T9_mT8_P12ihipStream_tbDpT10_ENKUlT_T0_E_clISt17integral_constantIbLb0EES1B_EEDaS16_S17_EUlS16_E_NS1_11comp_targetILNS1_3genE5ELNS1_11target_archE942ELNS1_3gpuE9ELNS1_3repE0EEENS1_30default_config_static_selectorELNS0_4arch9wavefront6targetE1EEEvT1_.kd
    .uniform_work_group_size: 1
    .uses_dynamic_stack: false
    .vgpr_count:     0
    .vgpr_spill_count: 0
    .wavefront_size: 64
  - .agpr_count:     0
    .args:
      - .offset:         0
        .size:           136
        .value_kind:     by_value
    .group_segment_fixed_size: 10248
    .kernarg_segment_align: 8
    .kernarg_segment_size: 136
    .language:       OpenCL C
    .language_version:
      - 2
      - 0
    .max_flat_workgroup_size: 256
    .name:           _ZN7rocprim17ROCPRIM_400000_NS6detail17trampoline_kernelINS0_14default_configENS1_25partition_config_selectorILNS1_17partition_subalgoE1EsNS0_10empty_typeEbEEZZNS1_14partition_implILS5_1ELb0ES3_jN6thrust23THRUST_200600_302600_NS6detail15normal_iteratorINSA_10device_ptrIsEEEEPS6_NSA_18transform_iteratorI7is_evenIsESF_NSA_11use_defaultESK_EENS0_5tupleIJNSA_16discard_iteratorISK_EESF_EEENSM_IJSG_SG_EEES6_PlJS6_EEE10hipError_tPvRmT3_T4_T5_T6_T7_T9_mT8_P12ihipStream_tbDpT10_ENKUlT_T0_E_clISt17integral_constantIbLb0EES1B_EEDaS16_S17_EUlS16_E_NS1_11comp_targetILNS1_3genE4ELNS1_11target_archE910ELNS1_3gpuE8ELNS1_3repE0EEENS1_30default_config_static_selectorELNS0_4arch9wavefront6targetE1EEEvT1_
    .private_segment_fixed_size: 0
    .sgpr_count:     48
    .sgpr_spill_count: 0
    .symbol:         _ZN7rocprim17ROCPRIM_400000_NS6detail17trampoline_kernelINS0_14default_configENS1_25partition_config_selectorILNS1_17partition_subalgoE1EsNS0_10empty_typeEbEEZZNS1_14partition_implILS5_1ELb0ES3_jN6thrust23THRUST_200600_302600_NS6detail15normal_iteratorINSA_10device_ptrIsEEEEPS6_NSA_18transform_iteratorI7is_evenIsESF_NSA_11use_defaultESK_EENS0_5tupleIJNSA_16discard_iteratorISK_EESF_EEENSM_IJSG_SG_EEES6_PlJS6_EEE10hipError_tPvRmT3_T4_T5_T6_T7_T9_mT8_P12ihipStream_tbDpT10_ENKUlT_T0_E_clISt17integral_constantIbLb0EES1B_EEDaS16_S17_EUlS16_E_NS1_11comp_targetILNS1_3genE4ELNS1_11target_archE910ELNS1_3gpuE8ELNS1_3repE0EEENS1_30default_config_static_selectorELNS0_4arch9wavefront6targetE1EEEvT1_.kd
    .uniform_work_group_size: 1
    .uses_dynamic_stack: false
    .vgpr_count:     65
    .vgpr_spill_count: 0
    .wavefront_size: 64
  - .agpr_count:     0
    .args:
      - .offset:         0
        .size:           136
        .value_kind:     by_value
    .group_segment_fixed_size: 0
    .kernarg_segment_align: 8
    .kernarg_segment_size: 136
    .language:       OpenCL C
    .language_version:
      - 2
      - 0
    .max_flat_workgroup_size: 256
    .name:           _ZN7rocprim17ROCPRIM_400000_NS6detail17trampoline_kernelINS0_14default_configENS1_25partition_config_selectorILNS1_17partition_subalgoE1EsNS0_10empty_typeEbEEZZNS1_14partition_implILS5_1ELb0ES3_jN6thrust23THRUST_200600_302600_NS6detail15normal_iteratorINSA_10device_ptrIsEEEEPS6_NSA_18transform_iteratorI7is_evenIsESF_NSA_11use_defaultESK_EENS0_5tupleIJNSA_16discard_iteratorISK_EESF_EEENSM_IJSG_SG_EEES6_PlJS6_EEE10hipError_tPvRmT3_T4_T5_T6_T7_T9_mT8_P12ihipStream_tbDpT10_ENKUlT_T0_E_clISt17integral_constantIbLb0EES1B_EEDaS16_S17_EUlS16_E_NS1_11comp_targetILNS1_3genE3ELNS1_11target_archE908ELNS1_3gpuE7ELNS1_3repE0EEENS1_30default_config_static_selectorELNS0_4arch9wavefront6targetE1EEEvT1_
    .private_segment_fixed_size: 0
    .sgpr_count:     4
    .sgpr_spill_count: 0
    .symbol:         _ZN7rocprim17ROCPRIM_400000_NS6detail17trampoline_kernelINS0_14default_configENS1_25partition_config_selectorILNS1_17partition_subalgoE1EsNS0_10empty_typeEbEEZZNS1_14partition_implILS5_1ELb0ES3_jN6thrust23THRUST_200600_302600_NS6detail15normal_iteratorINSA_10device_ptrIsEEEEPS6_NSA_18transform_iteratorI7is_evenIsESF_NSA_11use_defaultESK_EENS0_5tupleIJNSA_16discard_iteratorISK_EESF_EEENSM_IJSG_SG_EEES6_PlJS6_EEE10hipError_tPvRmT3_T4_T5_T6_T7_T9_mT8_P12ihipStream_tbDpT10_ENKUlT_T0_E_clISt17integral_constantIbLb0EES1B_EEDaS16_S17_EUlS16_E_NS1_11comp_targetILNS1_3genE3ELNS1_11target_archE908ELNS1_3gpuE7ELNS1_3repE0EEENS1_30default_config_static_selectorELNS0_4arch9wavefront6targetE1EEEvT1_.kd
    .uniform_work_group_size: 1
    .uses_dynamic_stack: false
    .vgpr_count:     0
    .vgpr_spill_count: 0
    .wavefront_size: 64
  - .agpr_count:     0
    .args:
      - .offset:         0
        .size:           136
        .value_kind:     by_value
    .group_segment_fixed_size: 0
    .kernarg_segment_align: 8
    .kernarg_segment_size: 136
    .language:       OpenCL C
    .language_version:
      - 2
      - 0
    .max_flat_workgroup_size: 256
    .name:           _ZN7rocprim17ROCPRIM_400000_NS6detail17trampoline_kernelINS0_14default_configENS1_25partition_config_selectorILNS1_17partition_subalgoE1EsNS0_10empty_typeEbEEZZNS1_14partition_implILS5_1ELb0ES3_jN6thrust23THRUST_200600_302600_NS6detail15normal_iteratorINSA_10device_ptrIsEEEEPS6_NSA_18transform_iteratorI7is_evenIsESF_NSA_11use_defaultESK_EENS0_5tupleIJNSA_16discard_iteratorISK_EESF_EEENSM_IJSG_SG_EEES6_PlJS6_EEE10hipError_tPvRmT3_T4_T5_T6_T7_T9_mT8_P12ihipStream_tbDpT10_ENKUlT_T0_E_clISt17integral_constantIbLb0EES1B_EEDaS16_S17_EUlS16_E_NS1_11comp_targetILNS1_3genE2ELNS1_11target_archE906ELNS1_3gpuE6ELNS1_3repE0EEENS1_30default_config_static_selectorELNS0_4arch9wavefront6targetE1EEEvT1_
    .private_segment_fixed_size: 0
    .sgpr_count:     4
    .sgpr_spill_count: 0
    .symbol:         _ZN7rocprim17ROCPRIM_400000_NS6detail17trampoline_kernelINS0_14default_configENS1_25partition_config_selectorILNS1_17partition_subalgoE1EsNS0_10empty_typeEbEEZZNS1_14partition_implILS5_1ELb0ES3_jN6thrust23THRUST_200600_302600_NS6detail15normal_iteratorINSA_10device_ptrIsEEEEPS6_NSA_18transform_iteratorI7is_evenIsESF_NSA_11use_defaultESK_EENS0_5tupleIJNSA_16discard_iteratorISK_EESF_EEENSM_IJSG_SG_EEES6_PlJS6_EEE10hipError_tPvRmT3_T4_T5_T6_T7_T9_mT8_P12ihipStream_tbDpT10_ENKUlT_T0_E_clISt17integral_constantIbLb0EES1B_EEDaS16_S17_EUlS16_E_NS1_11comp_targetILNS1_3genE2ELNS1_11target_archE906ELNS1_3gpuE6ELNS1_3repE0EEENS1_30default_config_static_selectorELNS0_4arch9wavefront6targetE1EEEvT1_.kd
    .uniform_work_group_size: 1
    .uses_dynamic_stack: false
    .vgpr_count:     0
    .vgpr_spill_count: 0
    .wavefront_size: 64
  - .agpr_count:     0
    .args:
      - .offset:         0
        .size:           136
        .value_kind:     by_value
    .group_segment_fixed_size: 0
    .kernarg_segment_align: 8
    .kernarg_segment_size: 136
    .language:       OpenCL C
    .language_version:
      - 2
      - 0
    .max_flat_workgroup_size: 384
    .name:           _ZN7rocprim17ROCPRIM_400000_NS6detail17trampoline_kernelINS0_14default_configENS1_25partition_config_selectorILNS1_17partition_subalgoE1EsNS0_10empty_typeEbEEZZNS1_14partition_implILS5_1ELb0ES3_jN6thrust23THRUST_200600_302600_NS6detail15normal_iteratorINSA_10device_ptrIsEEEEPS6_NSA_18transform_iteratorI7is_evenIsESF_NSA_11use_defaultESK_EENS0_5tupleIJNSA_16discard_iteratorISK_EESF_EEENSM_IJSG_SG_EEES6_PlJS6_EEE10hipError_tPvRmT3_T4_T5_T6_T7_T9_mT8_P12ihipStream_tbDpT10_ENKUlT_T0_E_clISt17integral_constantIbLb0EES1B_EEDaS16_S17_EUlS16_E_NS1_11comp_targetILNS1_3genE10ELNS1_11target_archE1200ELNS1_3gpuE4ELNS1_3repE0EEENS1_30default_config_static_selectorELNS0_4arch9wavefront6targetE1EEEvT1_
    .private_segment_fixed_size: 0
    .sgpr_count:     4
    .sgpr_spill_count: 0
    .symbol:         _ZN7rocprim17ROCPRIM_400000_NS6detail17trampoline_kernelINS0_14default_configENS1_25partition_config_selectorILNS1_17partition_subalgoE1EsNS0_10empty_typeEbEEZZNS1_14partition_implILS5_1ELb0ES3_jN6thrust23THRUST_200600_302600_NS6detail15normal_iteratorINSA_10device_ptrIsEEEEPS6_NSA_18transform_iteratorI7is_evenIsESF_NSA_11use_defaultESK_EENS0_5tupleIJNSA_16discard_iteratorISK_EESF_EEENSM_IJSG_SG_EEES6_PlJS6_EEE10hipError_tPvRmT3_T4_T5_T6_T7_T9_mT8_P12ihipStream_tbDpT10_ENKUlT_T0_E_clISt17integral_constantIbLb0EES1B_EEDaS16_S17_EUlS16_E_NS1_11comp_targetILNS1_3genE10ELNS1_11target_archE1200ELNS1_3gpuE4ELNS1_3repE0EEENS1_30default_config_static_selectorELNS0_4arch9wavefront6targetE1EEEvT1_.kd
    .uniform_work_group_size: 1
    .uses_dynamic_stack: false
    .vgpr_count:     0
    .vgpr_spill_count: 0
    .wavefront_size: 64
  - .agpr_count:     0
    .args:
      - .offset:         0
        .size:           136
        .value_kind:     by_value
    .group_segment_fixed_size: 0
    .kernarg_segment_align: 8
    .kernarg_segment_size: 136
    .language:       OpenCL C
    .language_version:
      - 2
      - 0
    .max_flat_workgroup_size: 128
    .name:           _ZN7rocprim17ROCPRIM_400000_NS6detail17trampoline_kernelINS0_14default_configENS1_25partition_config_selectorILNS1_17partition_subalgoE1EsNS0_10empty_typeEbEEZZNS1_14partition_implILS5_1ELb0ES3_jN6thrust23THRUST_200600_302600_NS6detail15normal_iteratorINSA_10device_ptrIsEEEEPS6_NSA_18transform_iteratorI7is_evenIsESF_NSA_11use_defaultESK_EENS0_5tupleIJNSA_16discard_iteratorISK_EESF_EEENSM_IJSG_SG_EEES6_PlJS6_EEE10hipError_tPvRmT3_T4_T5_T6_T7_T9_mT8_P12ihipStream_tbDpT10_ENKUlT_T0_E_clISt17integral_constantIbLb0EES1B_EEDaS16_S17_EUlS16_E_NS1_11comp_targetILNS1_3genE9ELNS1_11target_archE1100ELNS1_3gpuE3ELNS1_3repE0EEENS1_30default_config_static_selectorELNS0_4arch9wavefront6targetE1EEEvT1_
    .private_segment_fixed_size: 0
    .sgpr_count:     4
    .sgpr_spill_count: 0
    .symbol:         _ZN7rocprim17ROCPRIM_400000_NS6detail17trampoline_kernelINS0_14default_configENS1_25partition_config_selectorILNS1_17partition_subalgoE1EsNS0_10empty_typeEbEEZZNS1_14partition_implILS5_1ELb0ES3_jN6thrust23THRUST_200600_302600_NS6detail15normal_iteratorINSA_10device_ptrIsEEEEPS6_NSA_18transform_iteratorI7is_evenIsESF_NSA_11use_defaultESK_EENS0_5tupleIJNSA_16discard_iteratorISK_EESF_EEENSM_IJSG_SG_EEES6_PlJS6_EEE10hipError_tPvRmT3_T4_T5_T6_T7_T9_mT8_P12ihipStream_tbDpT10_ENKUlT_T0_E_clISt17integral_constantIbLb0EES1B_EEDaS16_S17_EUlS16_E_NS1_11comp_targetILNS1_3genE9ELNS1_11target_archE1100ELNS1_3gpuE3ELNS1_3repE0EEENS1_30default_config_static_selectorELNS0_4arch9wavefront6targetE1EEEvT1_.kd
    .uniform_work_group_size: 1
    .uses_dynamic_stack: false
    .vgpr_count:     0
    .vgpr_spill_count: 0
    .wavefront_size: 64
  - .agpr_count:     0
    .args:
      - .offset:         0
        .size:           136
        .value_kind:     by_value
    .group_segment_fixed_size: 0
    .kernarg_segment_align: 8
    .kernarg_segment_size: 136
    .language:       OpenCL C
    .language_version:
      - 2
      - 0
    .max_flat_workgroup_size: 512
    .name:           _ZN7rocprim17ROCPRIM_400000_NS6detail17trampoline_kernelINS0_14default_configENS1_25partition_config_selectorILNS1_17partition_subalgoE1EsNS0_10empty_typeEbEEZZNS1_14partition_implILS5_1ELb0ES3_jN6thrust23THRUST_200600_302600_NS6detail15normal_iteratorINSA_10device_ptrIsEEEEPS6_NSA_18transform_iteratorI7is_evenIsESF_NSA_11use_defaultESK_EENS0_5tupleIJNSA_16discard_iteratorISK_EESF_EEENSM_IJSG_SG_EEES6_PlJS6_EEE10hipError_tPvRmT3_T4_T5_T6_T7_T9_mT8_P12ihipStream_tbDpT10_ENKUlT_T0_E_clISt17integral_constantIbLb0EES1B_EEDaS16_S17_EUlS16_E_NS1_11comp_targetILNS1_3genE8ELNS1_11target_archE1030ELNS1_3gpuE2ELNS1_3repE0EEENS1_30default_config_static_selectorELNS0_4arch9wavefront6targetE1EEEvT1_
    .private_segment_fixed_size: 0
    .sgpr_count:     4
    .sgpr_spill_count: 0
    .symbol:         _ZN7rocprim17ROCPRIM_400000_NS6detail17trampoline_kernelINS0_14default_configENS1_25partition_config_selectorILNS1_17partition_subalgoE1EsNS0_10empty_typeEbEEZZNS1_14partition_implILS5_1ELb0ES3_jN6thrust23THRUST_200600_302600_NS6detail15normal_iteratorINSA_10device_ptrIsEEEEPS6_NSA_18transform_iteratorI7is_evenIsESF_NSA_11use_defaultESK_EENS0_5tupleIJNSA_16discard_iteratorISK_EESF_EEENSM_IJSG_SG_EEES6_PlJS6_EEE10hipError_tPvRmT3_T4_T5_T6_T7_T9_mT8_P12ihipStream_tbDpT10_ENKUlT_T0_E_clISt17integral_constantIbLb0EES1B_EEDaS16_S17_EUlS16_E_NS1_11comp_targetILNS1_3genE8ELNS1_11target_archE1030ELNS1_3gpuE2ELNS1_3repE0EEENS1_30default_config_static_selectorELNS0_4arch9wavefront6targetE1EEEvT1_.kd
    .uniform_work_group_size: 1
    .uses_dynamic_stack: false
    .vgpr_count:     0
    .vgpr_spill_count: 0
    .wavefront_size: 64
  - .agpr_count:     0
    .args:
      - .offset:         0
        .size:           152
        .value_kind:     by_value
    .group_segment_fixed_size: 0
    .kernarg_segment_align: 8
    .kernarg_segment_size: 152
    .language:       OpenCL C
    .language_version:
      - 2
      - 0
    .max_flat_workgroup_size: 256
    .name:           _ZN7rocprim17ROCPRIM_400000_NS6detail17trampoline_kernelINS0_14default_configENS1_25partition_config_selectorILNS1_17partition_subalgoE1EsNS0_10empty_typeEbEEZZNS1_14partition_implILS5_1ELb0ES3_jN6thrust23THRUST_200600_302600_NS6detail15normal_iteratorINSA_10device_ptrIsEEEEPS6_NSA_18transform_iteratorI7is_evenIsESF_NSA_11use_defaultESK_EENS0_5tupleIJNSA_16discard_iteratorISK_EESF_EEENSM_IJSG_SG_EEES6_PlJS6_EEE10hipError_tPvRmT3_T4_T5_T6_T7_T9_mT8_P12ihipStream_tbDpT10_ENKUlT_T0_E_clISt17integral_constantIbLb1EES1B_EEDaS16_S17_EUlS16_E_NS1_11comp_targetILNS1_3genE0ELNS1_11target_archE4294967295ELNS1_3gpuE0ELNS1_3repE0EEENS1_30default_config_static_selectorELNS0_4arch9wavefront6targetE1EEEvT1_
    .private_segment_fixed_size: 0
    .sgpr_count:     4
    .sgpr_spill_count: 0
    .symbol:         _ZN7rocprim17ROCPRIM_400000_NS6detail17trampoline_kernelINS0_14default_configENS1_25partition_config_selectorILNS1_17partition_subalgoE1EsNS0_10empty_typeEbEEZZNS1_14partition_implILS5_1ELb0ES3_jN6thrust23THRUST_200600_302600_NS6detail15normal_iteratorINSA_10device_ptrIsEEEEPS6_NSA_18transform_iteratorI7is_evenIsESF_NSA_11use_defaultESK_EENS0_5tupleIJNSA_16discard_iteratorISK_EESF_EEENSM_IJSG_SG_EEES6_PlJS6_EEE10hipError_tPvRmT3_T4_T5_T6_T7_T9_mT8_P12ihipStream_tbDpT10_ENKUlT_T0_E_clISt17integral_constantIbLb1EES1B_EEDaS16_S17_EUlS16_E_NS1_11comp_targetILNS1_3genE0ELNS1_11target_archE4294967295ELNS1_3gpuE0ELNS1_3repE0EEENS1_30default_config_static_selectorELNS0_4arch9wavefront6targetE1EEEvT1_.kd
    .uniform_work_group_size: 1
    .uses_dynamic_stack: false
    .vgpr_count:     0
    .vgpr_spill_count: 0
    .wavefront_size: 64
  - .agpr_count:     0
    .args:
      - .offset:         0
        .size:           152
        .value_kind:     by_value
    .group_segment_fixed_size: 0
    .kernarg_segment_align: 8
    .kernarg_segment_size: 152
    .language:       OpenCL C
    .language_version:
      - 2
      - 0
    .max_flat_workgroup_size: 512
    .name:           _ZN7rocprim17ROCPRIM_400000_NS6detail17trampoline_kernelINS0_14default_configENS1_25partition_config_selectorILNS1_17partition_subalgoE1EsNS0_10empty_typeEbEEZZNS1_14partition_implILS5_1ELb0ES3_jN6thrust23THRUST_200600_302600_NS6detail15normal_iteratorINSA_10device_ptrIsEEEEPS6_NSA_18transform_iteratorI7is_evenIsESF_NSA_11use_defaultESK_EENS0_5tupleIJNSA_16discard_iteratorISK_EESF_EEENSM_IJSG_SG_EEES6_PlJS6_EEE10hipError_tPvRmT3_T4_T5_T6_T7_T9_mT8_P12ihipStream_tbDpT10_ENKUlT_T0_E_clISt17integral_constantIbLb1EES1B_EEDaS16_S17_EUlS16_E_NS1_11comp_targetILNS1_3genE5ELNS1_11target_archE942ELNS1_3gpuE9ELNS1_3repE0EEENS1_30default_config_static_selectorELNS0_4arch9wavefront6targetE1EEEvT1_
    .private_segment_fixed_size: 0
    .sgpr_count:     4
    .sgpr_spill_count: 0
    .symbol:         _ZN7rocprim17ROCPRIM_400000_NS6detail17trampoline_kernelINS0_14default_configENS1_25partition_config_selectorILNS1_17partition_subalgoE1EsNS0_10empty_typeEbEEZZNS1_14partition_implILS5_1ELb0ES3_jN6thrust23THRUST_200600_302600_NS6detail15normal_iteratorINSA_10device_ptrIsEEEEPS6_NSA_18transform_iteratorI7is_evenIsESF_NSA_11use_defaultESK_EENS0_5tupleIJNSA_16discard_iteratorISK_EESF_EEENSM_IJSG_SG_EEES6_PlJS6_EEE10hipError_tPvRmT3_T4_T5_T6_T7_T9_mT8_P12ihipStream_tbDpT10_ENKUlT_T0_E_clISt17integral_constantIbLb1EES1B_EEDaS16_S17_EUlS16_E_NS1_11comp_targetILNS1_3genE5ELNS1_11target_archE942ELNS1_3gpuE9ELNS1_3repE0EEENS1_30default_config_static_selectorELNS0_4arch9wavefront6targetE1EEEvT1_.kd
    .uniform_work_group_size: 1
    .uses_dynamic_stack: false
    .vgpr_count:     0
    .vgpr_spill_count: 0
    .wavefront_size: 64
  - .agpr_count:     0
    .args:
      - .offset:         0
        .size:           152
        .value_kind:     by_value
    .group_segment_fixed_size: 10248
    .kernarg_segment_align: 8
    .kernarg_segment_size: 152
    .language:       OpenCL C
    .language_version:
      - 2
      - 0
    .max_flat_workgroup_size: 256
    .name:           _ZN7rocprim17ROCPRIM_400000_NS6detail17trampoline_kernelINS0_14default_configENS1_25partition_config_selectorILNS1_17partition_subalgoE1EsNS0_10empty_typeEbEEZZNS1_14partition_implILS5_1ELb0ES3_jN6thrust23THRUST_200600_302600_NS6detail15normal_iteratorINSA_10device_ptrIsEEEEPS6_NSA_18transform_iteratorI7is_evenIsESF_NSA_11use_defaultESK_EENS0_5tupleIJNSA_16discard_iteratorISK_EESF_EEENSM_IJSG_SG_EEES6_PlJS6_EEE10hipError_tPvRmT3_T4_T5_T6_T7_T9_mT8_P12ihipStream_tbDpT10_ENKUlT_T0_E_clISt17integral_constantIbLb1EES1B_EEDaS16_S17_EUlS16_E_NS1_11comp_targetILNS1_3genE4ELNS1_11target_archE910ELNS1_3gpuE8ELNS1_3repE0EEENS1_30default_config_static_selectorELNS0_4arch9wavefront6targetE1EEEvT1_
    .private_segment_fixed_size: 0
    .sgpr_count:     46
    .sgpr_spill_count: 0
    .symbol:         _ZN7rocprim17ROCPRIM_400000_NS6detail17trampoline_kernelINS0_14default_configENS1_25partition_config_selectorILNS1_17partition_subalgoE1EsNS0_10empty_typeEbEEZZNS1_14partition_implILS5_1ELb0ES3_jN6thrust23THRUST_200600_302600_NS6detail15normal_iteratorINSA_10device_ptrIsEEEEPS6_NSA_18transform_iteratorI7is_evenIsESF_NSA_11use_defaultESK_EENS0_5tupleIJNSA_16discard_iteratorISK_EESF_EEENSM_IJSG_SG_EEES6_PlJS6_EEE10hipError_tPvRmT3_T4_T5_T6_T7_T9_mT8_P12ihipStream_tbDpT10_ENKUlT_T0_E_clISt17integral_constantIbLb1EES1B_EEDaS16_S17_EUlS16_E_NS1_11comp_targetILNS1_3genE4ELNS1_11target_archE910ELNS1_3gpuE8ELNS1_3repE0EEENS1_30default_config_static_selectorELNS0_4arch9wavefront6targetE1EEEvT1_.kd
    .uniform_work_group_size: 1
    .uses_dynamic_stack: false
    .vgpr_count:     69
    .vgpr_spill_count: 0
    .wavefront_size: 64
  - .agpr_count:     0
    .args:
      - .offset:         0
        .size:           152
        .value_kind:     by_value
    .group_segment_fixed_size: 0
    .kernarg_segment_align: 8
    .kernarg_segment_size: 152
    .language:       OpenCL C
    .language_version:
      - 2
      - 0
    .max_flat_workgroup_size: 256
    .name:           _ZN7rocprim17ROCPRIM_400000_NS6detail17trampoline_kernelINS0_14default_configENS1_25partition_config_selectorILNS1_17partition_subalgoE1EsNS0_10empty_typeEbEEZZNS1_14partition_implILS5_1ELb0ES3_jN6thrust23THRUST_200600_302600_NS6detail15normal_iteratorINSA_10device_ptrIsEEEEPS6_NSA_18transform_iteratorI7is_evenIsESF_NSA_11use_defaultESK_EENS0_5tupleIJNSA_16discard_iteratorISK_EESF_EEENSM_IJSG_SG_EEES6_PlJS6_EEE10hipError_tPvRmT3_T4_T5_T6_T7_T9_mT8_P12ihipStream_tbDpT10_ENKUlT_T0_E_clISt17integral_constantIbLb1EES1B_EEDaS16_S17_EUlS16_E_NS1_11comp_targetILNS1_3genE3ELNS1_11target_archE908ELNS1_3gpuE7ELNS1_3repE0EEENS1_30default_config_static_selectorELNS0_4arch9wavefront6targetE1EEEvT1_
    .private_segment_fixed_size: 0
    .sgpr_count:     4
    .sgpr_spill_count: 0
    .symbol:         _ZN7rocprim17ROCPRIM_400000_NS6detail17trampoline_kernelINS0_14default_configENS1_25partition_config_selectorILNS1_17partition_subalgoE1EsNS0_10empty_typeEbEEZZNS1_14partition_implILS5_1ELb0ES3_jN6thrust23THRUST_200600_302600_NS6detail15normal_iteratorINSA_10device_ptrIsEEEEPS6_NSA_18transform_iteratorI7is_evenIsESF_NSA_11use_defaultESK_EENS0_5tupleIJNSA_16discard_iteratorISK_EESF_EEENSM_IJSG_SG_EEES6_PlJS6_EEE10hipError_tPvRmT3_T4_T5_T6_T7_T9_mT8_P12ihipStream_tbDpT10_ENKUlT_T0_E_clISt17integral_constantIbLb1EES1B_EEDaS16_S17_EUlS16_E_NS1_11comp_targetILNS1_3genE3ELNS1_11target_archE908ELNS1_3gpuE7ELNS1_3repE0EEENS1_30default_config_static_selectorELNS0_4arch9wavefront6targetE1EEEvT1_.kd
    .uniform_work_group_size: 1
    .uses_dynamic_stack: false
    .vgpr_count:     0
    .vgpr_spill_count: 0
    .wavefront_size: 64
  - .agpr_count:     0
    .args:
      - .offset:         0
        .size:           152
        .value_kind:     by_value
    .group_segment_fixed_size: 0
    .kernarg_segment_align: 8
    .kernarg_segment_size: 152
    .language:       OpenCL C
    .language_version:
      - 2
      - 0
    .max_flat_workgroup_size: 256
    .name:           _ZN7rocprim17ROCPRIM_400000_NS6detail17trampoline_kernelINS0_14default_configENS1_25partition_config_selectorILNS1_17partition_subalgoE1EsNS0_10empty_typeEbEEZZNS1_14partition_implILS5_1ELb0ES3_jN6thrust23THRUST_200600_302600_NS6detail15normal_iteratorINSA_10device_ptrIsEEEEPS6_NSA_18transform_iteratorI7is_evenIsESF_NSA_11use_defaultESK_EENS0_5tupleIJNSA_16discard_iteratorISK_EESF_EEENSM_IJSG_SG_EEES6_PlJS6_EEE10hipError_tPvRmT3_T4_T5_T6_T7_T9_mT8_P12ihipStream_tbDpT10_ENKUlT_T0_E_clISt17integral_constantIbLb1EES1B_EEDaS16_S17_EUlS16_E_NS1_11comp_targetILNS1_3genE2ELNS1_11target_archE906ELNS1_3gpuE6ELNS1_3repE0EEENS1_30default_config_static_selectorELNS0_4arch9wavefront6targetE1EEEvT1_
    .private_segment_fixed_size: 0
    .sgpr_count:     4
    .sgpr_spill_count: 0
    .symbol:         _ZN7rocprim17ROCPRIM_400000_NS6detail17trampoline_kernelINS0_14default_configENS1_25partition_config_selectorILNS1_17partition_subalgoE1EsNS0_10empty_typeEbEEZZNS1_14partition_implILS5_1ELb0ES3_jN6thrust23THRUST_200600_302600_NS6detail15normal_iteratorINSA_10device_ptrIsEEEEPS6_NSA_18transform_iteratorI7is_evenIsESF_NSA_11use_defaultESK_EENS0_5tupleIJNSA_16discard_iteratorISK_EESF_EEENSM_IJSG_SG_EEES6_PlJS6_EEE10hipError_tPvRmT3_T4_T5_T6_T7_T9_mT8_P12ihipStream_tbDpT10_ENKUlT_T0_E_clISt17integral_constantIbLb1EES1B_EEDaS16_S17_EUlS16_E_NS1_11comp_targetILNS1_3genE2ELNS1_11target_archE906ELNS1_3gpuE6ELNS1_3repE0EEENS1_30default_config_static_selectorELNS0_4arch9wavefront6targetE1EEEvT1_.kd
    .uniform_work_group_size: 1
    .uses_dynamic_stack: false
    .vgpr_count:     0
    .vgpr_spill_count: 0
    .wavefront_size: 64
  - .agpr_count:     0
    .args:
      - .offset:         0
        .size:           152
        .value_kind:     by_value
    .group_segment_fixed_size: 0
    .kernarg_segment_align: 8
    .kernarg_segment_size: 152
    .language:       OpenCL C
    .language_version:
      - 2
      - 0
    .max_flat_workgroup_size: 384
    .name:           _ZN7rocprim17ROCPRIM_400000_NS6detail17trampoline_kernelINS0_14default_configENS1_25partition_config_selectorILNS1_17partition_subalgoE1EsNS0_10empty_typeEbEEZZNS1_14partition_implILS5_1ELb0ES3_jN6thrust23THRUST_200600_302600_NS6detail15normal_iteratorINSA_10device_ptrIsEEEEPS6_NSA_18transform_iteratorI7is_evenIsESF_NSA_11use_defaultESK_EENS0_5tupleIJNSA_16discard_iteratorISK_EESF_EEENSM_IJSG_SG_EEES6_PlJS6_EEE10hipError_tPvRmT3_T4_T5_T6_T7_T9_mT8_P12ihipStream_tbDpT10_ENKUlT_T0_E_clISt17integral_constantIbLb1EES1B_EEDaS16_S17_EUlS16_E_NS1_11comp_targetILNS1_3genE10ELNS1_11target_archE1200ELNS1_3gpuE4ELNS1_3repE0EEENS1_30default_config_static_selectorELNS0_4arch9wavefront6targetE1EEEvT1_
    .private_segment_fixed_size: 0
    .sgpr_count:     4
    .sgpr_spill_count: 0
    .symbol:         _ZN7rocprim17ROCPRIM_400000_NS6detail17trampoline_kernelINS0_14default_configENS1_25partition_config_selectorILNS1_17partition_subalgoE1EsNS0_10empty_typeEbEEZZNS1_14partition_implILS5_1ELb0ES3_jN6thrust23THRUST_200600_302600_NS6detail15normal_iteratorINSA_10device_ptrIsEEEEPS6_NSA_18transform_iteratorI7is_evenIsESF_NSA_11use_defaultESK_EENS0_5tupleIJNSA_16discard_iteratorISK_EESF_EEENSM_IJSG_SG_EEES6_PlJS6_EEE10hipError_tPvRmT3_T4_T5_T6_T7_T9_mT8_P12ihipStream_tbDpT10_ENKUlT_T0_E_clISt17integral_constantIbLb1EES1B_EEDaS16_S17_EUlS16_E_NS1_11comp_targetILNS1_3genE10ELNS1_11target_archE1200ELNS1_3gpuE4ELNS1_3repE0EEENS1_30default_config_static_selectorELNS0_4arch9wavefront6targetE1EEEvT1_.kd
    .uniform_work_group_size: 1
    .uses_dynamic_stack: false
    .vgpr_count:     0
    .vgpr_spill_count: 0
    .wavefront_size: 64
  - .agpr_count:     0
    .args:
      - .offset:         0
        .size:           152
        .value_kind:     by_value
    .group_segment_fixed_size: 0
    .kernarg_segment_align: 8
    .kernarg_segment_size: 152
    .language:       OpenCL C
    .language_version:
      - 2
      - 0
    .max_flat_workgroup_size: 128
    .name:           _ZN7rocprim17ROCPRIM_400000_NS6detail17trampoline_kernelINS0_14default_configENS1_25partition_config_selectorILNS1_17partition_subalgoE1EsNS0_10empty_typeEbEEZZNS1_14partition_implILS5_1ELb0ES3_jN6thrust23THRUST_200600_302600_NS6detail15normal_iteratorINSA_10device_ptrIsEEEEPS6_NSA_18transform_iteratorI7is_evenIsESF_NSA_11use_defaultESK_EENS0_5tupleIJNSA_16discard_iteratorISK_EESF_EEENSM_IJSG_SG_EEES6_PlJS6_EEE10hipError_tPvRmT3_T4_T5_T6_T7_T9_mT8_P12ihipStream_tbDpT10_ENKUlT_T0_E_clISt17integral_constantIbLb1EES1B_EEDaS16_S17_EUlS16_E_NS1_11comp_targetILNS1_3genE9ELNS1_11target_archE1100ELNS1_3gpuE3ELNS1_3repE0EEENS1_30default_config_static_selectorELNS0_4arch9wavefront6targetE1EEEvT1_
    .private_segment_fixed_size: 0
    .sgpr_count:     4
    .sgpr_spill_count: 0
    .symbol:         _ZN7rocprim17ROCPRIM_400000_NS6detail17trampoline_kernelINS0_14default_configENS1_25partition_config_selectorILNS1_17partition_subalgoE1EsNS0_10empty_typeEbEEZZNS1_14partition_implILS5_1ELb0ES3_jN6thrust23THRUST_200600_302600_NS6detail15normal_iteratorINSA_10device_ptrIsEEEEPS6_NSA_18transform_iteratorI7is_evenIsESF_NSA_11use_defaultESK_EENS0_5tupleIJNSA_16discard_iteratorISK_EESF_EEENSM_IJSG_SG_EEES6_PlJS6_EEE10hipError_tPvRmT3_T4_T5_T6_T7_T9_mT8_P12ihipStream_tbDpT10_ENKUlT_T0_E_clISt17integral_constantIbLb1EES1B_EEDaS16_S17_EUlS16_E_NS1_11comp_targetILNS1_3genE9ELNS1_11target_archE1100ELNS1_3gpuE3ELNS1_3repE0EEENS1_30default_config_static_selectorELNS0_4arch9wavefront6targetE1EEEvT1_.kd
    .uniform_work_group_size: 1
    .uses_dynamic_stack: false
    .vgpr_count:     0
    .vgpr_spill_count: 0
    .wavefront_size: 64
  - .agpr_count:     0
    .args:
      - .offset:         0
        .size:           152
        .value_kind:     by_value
    .group_segment_fixed_size: 0
    .kernarg_segment_align: 8
    .kernarg_segment_size: 152
    .language:       OpenCL C
    .language_version:
      - 2
      - 0
    .max_flat_workgroup_size: 512
    .name:           _ZN7rocprim17ROCPRIM_400000_NS6detail17trampoline_kernelINS0_14default_configENS1_25partition_config_selectorILNS1_17partition_subalgoE1EsNS0_10empty_typeEbEEZZNS1_14partition_implILS5_1ELb0ES3_jN6thrust23THRUST_200600_302600_NS6detail15normal_iteratorINSA_10device_ptrIsEEEEPS6_NSA_18transform_iteratorI7is_evenIsESF_NSA_11use_defaultESK_EENS0_5tupleIJNSA_16discard_iteratorISK_EESF_EEENSM_IJSG_SG_EEES6_PlJS6_EEE10hipError_tPvRmT3_T4_T5_T6_T7_T9_mT8_P12ihipStream_tbDpT10_ENKUlT_T0_E_clISt17integral_constantIbLb1EES1B_EEDaS16_S17_EUlS16_E_NS1_11comp_targetILNS1_3genE8ELNS1_11target_archE1030ELNS1_3gpuE2ELNS1_3repE0EEENS1_30default_config_static_selectorELNS0_4arch9wavefront6targetE1EEEvT1_
    .private_segment_fixed_size: 0
    .sgpr_count:     4
    .sgpr_spill_count: 0
    .symbol:         _ZN7rocprim17ROCPRIM_400000_NS6detail17trampoline_kernelINS0_14default_configENS1_25partition_config_selectorILNS1_17partition_subalgoE1EsNS0_10empty_typeEbEEZZNS1_14partition_implILS5_1ELb0ES3_jN6thrust23THRUST_200600_302600_NS6detail15normal_iteratorINSA_10device_ptrIsEEEEPS6_NSA_18transform_iteratorI7is_evenIsESF_NSA_11use_defaultESK_EENS0_5tupleIJNSA_16discard_iteratorISK_EESF_EEENSM_IJSG_SG_EEES6_PlJS6_EEE10hipError_tPvRmT3_T4_T5_T6_T7_T9_mT8_P12ihipStream_tbDpT10_ENKUlT_T0_E_clISt17integral_constantIbLb1EES1B_EEDaS16_S17_EUlS16_E_NS1_11comp_targetILNS1_3genE8ELNS1_11target_archE1030ELNS1_3gpuE2ELNS1_3repE0EEENS1_30default_config_static_selectorELNS0_4arch9wavefront6targetE1EEEvT1_.kd
    .uniform_work_group_size: 1
    .uses_dynamic_stack: false
    .vgpr_count:     0
    .vgpr_spill_count: 0
    .wavefront_size: 64
  - .agpr_count:     0
    .args:
      - .offset:         0
        .size:           136
        .value_kind:     by_value
    .group_segment_fixed_size: 0
    .kernarg_segment_align: 8
    .kernarg_segment_size: 136
    .language:       OpenCL C
    .language_version:
      - 2
      - 0
    .max_flat_workgroup_size: 256
    .name:           _ZN7rocprim17ROCPRIM_400000_NS6detail17trampoline_kernelINS0_14default_configENS1_25partition_config_selectorILNS1_17partition_subalgoE1EsNS0_10empty_typeEbEEZZNS1_14partition_implILS5_1ELb0ES3_jN6thrust23THRUST_200600_302600_NS6detail15normal_iteratorINSA_10device_ptrIsEEEEPS6_NSA_18transform_iteratorI7is_evenIsESF_NSA_11use_defaultESK_EENS0_5tupleIJNSA_16discard_iteratorISK_EESF_EEENSM_IJSG_SG_EEES6_PlJS6_EEE10hipError_tPvRmT3_T4_T5_T6_T7_T9_mT8_P12ihipStream_tbDpT10_ENKUlT_T0_E_clISt17integral_constantIbLb1EES1A_IbLb0EEEEDaS16_S17_EUlS16_E_NS1_11comp_targetILNS1_3genE0ELNS1_11target_archE4294967295ELNS1_3gpuE0ELNS1_3repE0EEENS1_30default_config_static_selectorELNS0_4arch9wavefront6targetE1EEEvT1_
    .private_segment_fixed_size: 0
    .sgpr_count:     4
    .sgpr_spill_count: 0
    .symbol:         _ZN7rocprim17ROCPRIM_400000_NS6detail17trampoline_kernelINS0_14default_configENS1_25partition_config_selectorILNS1_17partition_subalgoE1EsNS0_10empty_typeEbEEZZNS1_14partition_implILS5_1ELb0ES3_jN6thrust23THRUST_200600_302600_NS6detail15normal_iteratorINSA_10device_ptrIsEEEEPS6_NSA_18transform_iteratorI7is_evenIsESF_NSA_11use_defaultESK_EENS0_5tupleIJNSA_16discard_iteratorISK_EESF_EEENSM_IJSG_SG_EEES6_PlJS6_EEE10hipError_tPvRmT3_T4_T5_T6_T7_T9_mT8_P12ihipStream_tbDpT10_ENKUlT_T0_E_clISt17integral_constantIbLb1EES1A_IbLb0EEEEDaS16_S17_EUlS16_E_NS1_11comp_targetILNS1_3genE0ELNS1_11target_archE4294967295ELNS1_3gpuE0ELNS1_3repE0EEENS1_30default_config_static_selectorELNS0_4arch9wavefront6targetE1EEEvT1_.kd
    .uniform_work_group_size: 1
    .uses_dynamic_stack: false
    .vgpr_count:     0
    .vgpr_spill_count: 0
    .wavefront_size: 64
  - .agpr_count:     0
    .args:
      - .offset:         0
        .size:           136
        .value_kind:     by_value
    .group_segment_fixed_size: 0
    .kernarg_segment_align: 8
    .kernarg_segment_size: 136
    .language:       OpenCL C
    .language_version:
      - 2
      - 0
    .max_flat_workgroup_size: 512
    .name:           _ZN7rocprim17ROCPRIM_400000_NS6detail17trampoline_kernelINS0_14default_configENS1_25partition_config_selectorILNS1_17partition_subalgoE1EsNS0_10empty_typeEbEEZZNS1_14partition_implILS5_1ELb0ES3_jN6thrust23THRUST_200600_302600_NS6detail15normal_iteratorINSA_10device_ptrIsEEEEPS6_NSA_18transform_iteratorI7is_evenIsESF_NSA_11use_defaultESK_EENS0_5tupleIJNSA_16discard_iteratorISK_EESF_EEENSM_IJSG_SG_EEES6_PlJS6_EEE10hipError_tPvRmT3_T4_T5_T6_T7_T9_mT8_P12ihipStream_tbDpT10_ENKUlT_T0_E_clISt17integral_constantIbLb1EES1A_IbLb0EEEEDaS16_S17_EUlS16_E_NS1_11comp_targetILNS1_3genE5ELNS1_11target_archE942ELNS1_3gpuE9ELNS1_3repE0EEENS1_30default_config_static_selectorELNS0_4arch9wavefront6targetE1EEEvT1_
    .private_segment_fixed_size: 0
    .sgpr_count:     4
    .sgpr_spill_count: 0
    .symbol:         _ZN7rocprim17ROCPRIM_400000_NS6detail17trampoline_kernelINS0_14default_configENS1_25partition_config_selectorILNS1_17partition_subalgoE1EsNS0_10empty_typeEbEEZZNS1_14partition_implILS5_1ELb0ES3_jN6thrust23THRUST_200600_302600_NS6detail15normal_iteratorINSA_10device_ptrIsEEEEPS6_NSA_18transform_iteratorI7is_evenIsESF_NSA_11use_defaultESK_EENS0_5tupleIJNSA_16discard_iteratorISK_EESF_EEENSM_IJSG_SG_EEES6_PlJS6_EEE10hipError_tPvRmT3_T4_T5_T6_T7_T9_mT8_P12ihipStream_tbDpT10_ENKUlT_T0_E_clISt17integral_constantIbLb1EES1A_IbLb0EEEEDaS16_S17_EUlS16_E_NS1_11comp_targetILNS1_3genE5ELNS1_11target_archE942ELNS1_3gpuE9ELNS1_3repE0EEENS1_30default_config_static_selectorELNS0_4arch9wavefront6targetE1EEEvT1_.kd
    .uniform_work_group_size: 1
    .uses_dynamic_stack: false
    .vgpr_count:     0
    .vgpr_spill_count: 0
    .wavefront_size: 64
  - .agpr_count:     0
    .args:
      - .offset:         0
        .size:           136
        .value_kind:     by_value
    .group_segment_fixed_size: 10248
    .kernarg_segment_align: 8
    .kernarg_segment_size: 136
    .language:       OpenCL C
    .language_version:
      - 2
      - 0
    .max_flat_workgroup_size: 256
    .name:           _ZN7rocprim17ROCPRIM_400000_NS6detail17trampoline_kernelINS0_14default_configENS1_25partition_config_selectorILNS1_17partition_subalgoE1EsNS0_10empty_typeEbEEZZNS1_14partition_implILS5_1ELb0ES3_jN6thrust23THRUST_200600_302600_NS6detail15normal_iteratorINSA_10device_ptrIsEEEEPS6_NSA_18transform_iteratorI7is_evenIsESF_NSA_11use_defaultESK_EENS0_5tupleIJNSA_16discard_iteratorISK_EESF_EEENSM_IJSG_SG_EEES6_PlJS6_EEE10hipError_tPvRmT3_T4_T5_T6_T7_T9_mT8_P12ihipStream_tbDpT10_ENKUlT_T0_E_clISt17integral_constantIbLb1EES1A_IbLb0EEEEDaS16_S17_EUlS16_E_NS1_11comp_targetILNS1_3genE4ELNS1_11target_archE910ELNS1_3gpuE8ELNS1_3repE0EEENS1_30default_config_static_selectorELNS0_4arch9wavefront6targetE1EEEvT1_
    .private_segment_fixed_size: 0
    .sgpr_count:     48
    .sgpr_spill_count: 0
    .symbol:         _ZN7rocprim17ROCPRIM_400000_NS6detail17trampoline_kernelINS0_14default_configENS1_25partition_config_selectorILNS1_17partition_subalgoE1EsNS0_10empty_typeEbEEZZNS1_14partition_implILS5_1ELb0ES3_jN6thrust23THRUST_200600_302600_NS6detail15normal_iteratorINSA_10device_ptrIsEEEEPS6_NSA_18transform_iteratorI7is_evenIsESF_NSA_11use_defaultESK_EENS0_5tupleIJNSA_16discard_iteratorISK_EESF_EEENSM_IJSG_SG_EEES6_PlJS6_EEE10hipError_tPvRmT3_T4_T5_T6_T7_T9_mT8_P12ihipStream_tbDpT10_ENKUlT_T0_E_clISt17integral_constantIbLb1EES1A_IbLb0EEEEDaS16_S17_EUlS16_E_NS1_11comp_targetILNS1_3genE4ELNS1_11target_archE910ELNS1_3gpuE8ELNS1_3repE0EEENS1_30default_config_static_selectorELNS0_4arch9wavefront6targetE1EEEvT1_.kd
    .uniform_work_group_size: 1
    .uses_dynamic_stack: false
    .vgpr_count:     65
    .vgpr_spill_count: 0
    .wavefront_size: 64
  - .agpr_count:     0
    .args:
      - .offset:         0
        .size:           136
        .value_kind:     by_value
    .group_segment_fixed_size: 0
    .kernarg_segment_align: 8
    .kernarg_segment_size: 136
    .language:       OpenCL C
    .language_version:
      - 2
      - 0
    .max_flat_workgroup_size: 256
    .name:           _ZN7rocprim17ROCPRIM_400000_NS6detail17trampoline_kernelINS0_14default_configENS1_25partition_config_selectorILNS1_17partition_subalgoE1EsNS0_10empty_typeEbEEZZNS1_14partition_implILS5_1ELb0ES3_jN6thrust23THRUST_200600_302600_NS6detail15normal_iteratorINSA_10device_ptrIsEEEEPS6_NSA_18transform_iteratorI7is_evenIsESF_NSA_11use_defaultESK_EENS0_5tupleIJNSA_16discard_iteratorISK_EESF_EEENSM_IJSG_SG_EEES6_PlJS6_EEE10hipError_tPvRmT3_T4_T5_T6_T7_T9_mT8_P12ihipStream_tbDpT10_ENKUlT_T0_E_clISt17integral_constantIbLb1EES1A_IbLb0EEEEDaS16_S17_EUlS16_E_NS1_11comp_targetILNS1_3genE3ELNS1_11target_archE908ELNS1_3gpuE7ELNS1_3repE0EEENS1_30default_config_static_selectorELNS0_4arch9wavefront6targetE1EEEvT1_
    .private_segment_fixed_size: 0
    .sgpr_count:     4
    .sgpr_spill_count: 0
    .symbol:         _ZN7rocprim17ROCPRIM_400000_NS6detail17trampoline_kernelINS0_14default_configENS1_25partition_config_selectorILNS1_17partition_subalgoE1EsNS0_10empty_typeEbEEZZNS1_14partition_implILS5_1ELb0ES3_jN6thrust23THRUST_200600_302600_NS6detail15normal_iteratorINSA_10device_ptrIsEEEEPS6_NSA_18transform_iteratorI7is_evenIsESF_NSA_11use_defaultESK_EENS0_5tupleIJNSA_16discard_iteratorISK_EESF_EEENSM_IJSG_SG_EEES6_PlJS6_EEE10hipError_tPvRmT3_T4_T5_T6_T7_T9_mT8_P12ihipStream_tbDpT10_ENKUlT_T0_E_clISt17integral_constantIbLb1EES1A_IbLb0EEEEDaS16_S17_EUlS16_E_NS1_11comp_targetILNS1_3genE3ELNS1_11target_archE908ELNS1_3gpuE7ELNS1_3repE0EEENS1_30default_config_static_selectorELNS0_4arch9wavefront6targetE1EEEvT1_.kd
    .uniform_work_group_size: 1
    .uses_dynamic_stack: false
    .vgpr_count:     0
    .vgpr_spill_count: 0
    .wavefront_size: 64
  - .agpr_count:     0
    .args:
      - .offset:         0
        .size:           136
        .value_kind:     by_value
    .group_segment_fixed_size: 0
    .kernarg_segment_align: 8
    .kernarg_segment_size: 136
    .language:       OpenCL C
    .language_version:
      - 2
      - 0
    .max_flat_workgroup_size: 256
    .name:           _ZN7rocprim17ROCPRIM_400000_NS6detail17trampoline_kernelINS0_14default_configENS1_25partition_config_selectorILNS1_17partition_subalgoE1EsNS0_10empty_typeEbEEZZNS1_14partition_implILS5_1ELb0ES3_jN6thrust23THRUST_200600_302600_NS6detail15normal_iteratorINSA_10device_ptrIsEEEEPS6_NSA_18transform_iteratorI7is_evenIsESF_NSA_11use_defaultESK_EENS0_5tupleIJNSA_16discard_iteratorISK_EESF_EEENSM_IJSG_SG_EEES6_PlJS6_EEE10hipError_tPvRmT3_T4_T5_T6_T7_T9_mT8_P12ihipStream_tbDpT10_ENKUlT_T0_E_clISt17integral_constantIbLb1EES1A_IbLb0EEEEDaS16_S17_EUlS16_E_NS1_11comp_targetILNS1_3genE2ELNS1_11target_archE906ELNS1_3gpuE6ELNS1_3repE0EEENS1_30default_config_static_selectorELNS0_4arch9wavefront6targetE1EEEvT1_
    .private_segment_fixed_size: 0
    .sgpr_count:     4
    .sgpr_spill_count: 0
    .symbol:         _ZN7rocprim17ROCPRIM_400000_NS6detail17trampoline_kernelINS0_14default_configENS1_25partition_config_selectorILNS1_17partition_subalgoE1EsNS0_10empty_typeEbEEZZNS1_14partition_implILS5_1ELb0ES3_jN6thrust23THRUST_200600_302600_NS6detail15normal_iteratorINSA_10device_ptrIsEEEEPS6_NSA_18transform_iteratorI7is_evenIsESF_NSA_11use_defaultESK_EENS0_5tupleIJNSA_16discard_iteratorISK_EESF_EEENSM_IJSG_SG_EEES6_PlJS6_EEE10hipError_tPvRmT3_T4_T5_T6_T7_T9_mT8_P12ihipStream_tbDpT10_ENKUlT_T0_E_clISt17integral_constantIbLb1EES1A_IbLb0EEEEDaS16_S17_EUlS16_E_NS1_11comp_targetILNS1_3genE2ELNS1_11target_archE906ELNS1_3gpuE6ELNS1_3repE0EEENS1_30default_config_static_selectorELNS0_4arch9wavefront6targetE1EEEvT1_.kd
    .uniform_work_group_size: 1
    .uses_dynamic_stack: false
    .vgpr_count:     0
    .vgpr_spill_count: 0
    .wavefront_size: 64
  - .agpr_count:     0
    .args:
      - .offset:         0
        .size:           136
        .value_kind:     by_value
    .group_segment_fixed_size: 0
    .kernarg_segment_align: 8
    .kernarg_segment_size: 136
    .language:       OpenCL C
    .language_version:
      - 2
      - 0
    .max_flat_workgroup_size: 384
    .name:           _ZN7rocprim17ROCPRIM_400000_NS6detail17trampoline_kernelINS0_14default_configENS1_25partition_config_selectorILNS1_17partition_subalgoE1EsNS0_10empty_typeEbEEZZNS1_14partition_implILS5_1ELb0ES3_jN6thrust23THRUST_200600_302600_NS6detail15normal_iteratorINSA_10device_ptrIsEEEEPS6_NSA_18transform_iteratorI7is_evenIsESF_NSA_11use_defaultESK_EENS0_5tupleIJNSA_16discard_iteratorISK_EESF_EEENSM_IJSG_SG_EEES6_PlJS6_EEE10hipError_tPvRmT3_T4_T5_T6_T7_T9_mT8_P12ihipStream_tbDpT10_ENKUlT_T0_E_clISt17integral_constantIbLb1EES1A_IbLb0EEEEDaS16_S17_EUlS16_E_NS1_11comp_targetILNS1_3genE10ELNS1_11target_archE1200ELNS1_3gpuE4ELNS1_3repE0EEENS1_30default_config_static_selectorELNS0_4arch9wavefront6targetE1EEEvT1_
    .private_segment_fixed_size: 0
    .sgpr_count:     4
    .sgpr_spill_count: 0
    .symbol:         _ZN7rocprim17ROCPRIM_400000_NS6detail17trampoline_kernelINS0_14default_configENS1_25partition_config_selectorILNS1_17partition_subalgoE1EsNS0_10empty_typeEbEEZZNS1_14partition_implILS5_1ELb0ES3_jN6thrust23THRUST_200600_302600_NS6detail15normal_iteratorINSA_10device_ptrIsEEEEPS6_NSA_18transform_iteratorI7is_evenIsESF_NSA_11use_defaultESK_EENS0_5tupleIJNSA_16discard_iteratorISK_EESF_EEENSM_IJSG_SG_EEES6_PlJS6_EEE10hipError_tPvRmT3_T4_T5_T6_T7_T9_mT8_P12ihipStream_tbDpT10_ENKUlT_T0_E_clISt17integral_constantIbLb1EES1A_IbLb0EEEEDaS16_S17_EUlS16_E_NS1_11comp_targetILNS1_3genE10ELNS1_11target_archE1200ELNS1_3gpuE4ELNS1_3repE0EEENS1_30default_config_static_selectorELNS0_4arch9wavefront6targetE1EEEvT1_.kd
    .uniform_work_group_size: 1
    .uses_dynamic_stack: false
    .vgpr_count:     0
    .vgpr_spill_count: 0
    .wavefront_size: 64
  - .agpr_count:     0
    .args:
      - .offset:         0
        .size:           136
        .value_kind:     by_value
    .group_segment_fixed_size: 0
    .kernarg_segment_align: 8
    .kernarg_segment_size: 136
    .language:       OpenCL C
    .language_version:
      - 2
      - 0
    .max_flat_workgroup_size: 128
    .name:           _ZN7rocprim17ROCPRIM_400000_NS6detail17trampoline_kernelINS0_14default_configENS1_25partition_config_selectorILNS1_17partition_subalgoE1EsNS0_10empty_typeEbEEZZNS1_14partition_implILS5_1ELb0ES3_jN6thrust23THRUST_200600_302600_NS6detail15normal_iteratorINSA_10device_ptrIsEEEEPS6_NSA_18transform_iteratorI7is_evenIsESF_NSA_11use_defaultESK_EENS0_5tupleIJNSA_16discard_iteratorISK_EESF_EEENSM_IJSG_SG_EEES6_PlJS6_EEE10hipError_tPvRmT3_T4_T5_T6_T7_T9_mT8_P12ihipStream_tbDpT10_ENKUlT_T0_E_clISt17integral_constantIbLb1EES1A_IbLb0EEEEDaS16_S17_EUlS16_E_NS1_11comp_targetILNS1_3genE9ELNS1_11target_archE1100ELNS1_3gpuE3ELNS1_3repE0EEENS1_30default_config_static_selectorELNS0_4arch9wavefront6targetE1EEEvT1_
    .private_segment_fixed_size: 0
    .sgpr_count:     4
    .sgpr_spill_count: 0
    .symbol:         _ZN7rocprim17ROCPRIM_400000_NS6detail17trampoline_kernelINS0_14default_configENS1_25partition_config_selectorILNS1_17partition_subalgoE1EsNS0_10empty_typeEbEEZZNS1_14partition_implILS5_1ELb0ES3_jN6thrust23THRUST_200600_302600_NS6detail15normal_iteratorINSA_10device_ptrIsEEEEPS6_NSA_18transform_iteratorI7is_evenIsESF_NSA_11use_defaultESK_EENS0_5tupleIJNSA_16discard_iteratorISK_EESF_EEENSM_IJSG_SG_EEES6_PlJS6_EEE10hipError_tPvRmT3_T4_T5_T6_T7_T9_mT8_P12ihipStream_tbDpT10_ENKUlT_T0_E_clISt17integral_constantIbLb1EES1A_IbLb0EEEEDaS16_S17_EUlS16_E_NS1_11comp_targetILNS1_3genE9ELNS1_11target_archE1100ELNS1_3gpuE3ELNS1_3repE0EEENS1_30default_config_static_selectorELNS0_4arch9wavefront6targetE1EEEvT1_.kd
    .uniform_work_group_size: 1
    .uses_dynamic_stack: false
    .vgpr_count:     0
    .vgpr_spill_count: 0
    .wavefront_size: 64
  - .agpr_count:     0
    .args:
      - .offset:         0
        .size:           136
        .value_kind:     by_value
    .group_segment_fixed_size: 0
    .kernarg_segment_align: 8
    .kernarg_segment_size: 136
    .language:       OpenCL C
    .language_version:
      - 2
      - 0
    .max_flat_workgroup_size: 512
    .name:           _ZN7rocprim17ROCPRIM_400000_NS6detail17trampoline_kernelINS0_14default_configENS1_25partition_config_selectorILNS1_17partition_subalgoE1EsNS0_10empty_typeEbEEZZNS1_14partition_implILS5_1ELb0ES3_jN6thrust23THRUST_200600_302600_NS6detail15normal_iteratorINSA_10device_ptrIsEEEEPS6_NSA_18transform_iteratorI7is_evenIsESF_NSA_11use_defaultESK_EENS0_5tupleIJNSA_16discard_iteratorISK_EESF_EEENSM_IJSG_SG_EEES6_PlJS6_EEE10hipError_tPvRmT3_T4_T5_T6_T7_T9_mT8_P12ihipStream_tbDpT10_ENKUlT_T0_E_clISt17integral_constantIbLb1EES1A_IbLb0EEEEDaS16_S17_EUlS16_E_NS1_11comp_targetILNS1_3genE8ELNS1_11target_archE1030ELNS1_3gpuE2ELNS1_3repE0EEENS1_30default_config_static_selectorELNS0_4arch9wavefront6targetE1EEEvT1_
    .private_segment_fixed_size: 0
    .sgpr_count:     4
    .sgpr_spill_count: 0
    .symbol:         _ZN7rocprim17ROCPRIM_400000_NS6detail17trampoline_kernelINS0_14default_configENS1_25partition_config_selectorILNS1_17partition_subalgoE1EsNS0_10empty_typeEbEEZZNS1_14partition_implILS5_1ELb0ES3_jN6thrust23THRUST_200600_302600_NS6detail15normal_iteratorINSA_10device_ptrIsEEEEPS6_NSA_18transform_iteratorI7is_evenIsESF_NSA_11use_defaultESK_EENS0_5tupleIJNSA_16discard_iteratorISK_EESF_EEENSM_IJSG_SG_EEES6_PlJS6_EEE10hipError_tPvRmT3_T4_T5_T6_T7_T9_mT8_P12ihipStream_tbDpT10_ENKUlT_T0_E_clISt17integral_constantIbLb1EES1A_IbLb0EEEEDaS16_S17_EUlS16_E_NS1_11comp_targetILNS1_3genE8ELNS1_11target_archE1030ELNS1_3gpuE2ELNS1_3repE0EEENS1_30default_config_static_selectorELNS0_4arch9wavefront6targetE1EEEvT1_.kd
    .uniform_work_group_size: 1
    .uses_dynamic_stack: false
    .vgpr_count:     0
    .vgpr_spill_count: 0
    .wavefront_size: 64
  - .agpr_count:     0
    .args:
      - .offset:         0
        .size:           152
        .value_kind:     by_value
    .group_segment_fixed_size: 0
    .kernarg_segment_align: 8
    .kernarg_segment_size: 152
    .language:       OpenCL C
    .language_version:
      - 2
      - 0
    .max_flat_workgroup_size: 256
    .name:           _ZN7rocprim17ROCPRIM_400000_NS6detail17trampoline_kernelINS0_14default_configENS1_25partition_config_selectorILNS1_17partition_subalgoE1EsNS0_10empty_typeEbEEZZNS1_14partition_implILS5_1ELb0ES3_jN6thrust23THRUST_200600_302600_NS6detail15normal_iteratorINSA_10device_ptrIsEEEEPS6_NSA_18transform_iteratorI7is_evenIsESF_NSA_11use_defaultESK_EENS0_5tupleIJNSA_16discard_iteratorISK_EESF_EEENSM_IJSG_SG_EEES6_PlJS6_EEE10hipError_tPvRmT3_T4_T5_T6_T7_T9_mT8_P12ihipStream_tbDpT10_ENKUlT_T0_E_clISt17integral_constantIbLb0EES1A_IbLb1EEEEDaS16_S17_EUlS16_E_NS1_11comp_targetILNS1_3genE0ELNS1_11target_archE4294967295ELNS1_3gpuE0ELNS1_3repE0EEENS1_30default_config_static_selectorELNS0_4arch9wavefront6targetE1EEEvT1_
    .private_segment_fixed_size: 0
    .sgpr_count:     4
    .sgpr_spill_count: 0
    .symbol:         _ZN7rocprim17ROCPRIM_400000_NS6detail17trampoline_kernelINS0_14default_configENS1_25partition_config_selectorILNS1_17partition_subalgoE1EsNS0_10empty_typeEbEEZZNS1_14partition_implILS5_1ELb0ES3_jN6thrust23THRUST_200600_302600_NS6detail15normal_iteratorINSA_10device_ptrIsEEEEPS6_NSA_18transform_iteratorI7is_evenIsESF_NSA_11use_defaultESK_EENS0_5tupleIJNSA_16discard_iteratorISK_EESF_EEENSM_IJSG_SG_EEES6_PlJS6_EEE10hipError_tPvRmT3_T4_T5_T6_T7_T9_mT8_P12ihipStream_tbDpT10_ENKUlT_T0_E_clISt17integral_constantIbLb0EES1A_IbLb1EEEEDaS16_S17_EUlS16_E_NS1_11comp_targetILNS1_3genE0ELNS1_11target_archE4294967295ELNS1_3gpuE0ELNS1_3repE0EEENS1_30default_config_static_selectorELNS0_4arch9wavefront6targetE1EEEvT1_.kd
    .uniform_work_group_size: 1
    .uses_dynamic_stack: false
    .vgpr_count:     0
    .vgpr_spill_count: 0
    .wavefront_size: 64
  - .agpr_count:     0
    .args:
      - .offset:         0
        .size:           152
        .value_kind:     by_value
    .group_segment_fixed_size: 0
    .kernarg_segment_align: 8
    .kernarg_segment_size: 152
    .language:       OpenCL C
    .language_version:
      - 2
      - 0
    .max_flat_workgroup_size: 512
    .name:           _ZN7rocprim17ROCPRIM_400000_NS6detail17trampoline_kernelINS0_14default_configENS1_25partition_config_selectorILNS1_17partition_subalgoE1EsNS0_10empty_typeEbEEZZNS1_14partition_implILS5_1ELb0ES3_jN6thrust23THRUST_200600_302600_NS6detail15normal_iteratorINSA_10device_ptrIsEEEEPS6_NSA_18transform_iteratorI7is_evenIsESF_NSA_11use_defaultESK_EENS0_5tupleIJNSA_16discard_iteratorISK_EESF_EEENSM_IJSG_SG_EEES6_PlJS6_EEE10hipError_tPvRmT3_T4_T5_T6_T7_T9_mT8_P12ihipStream_tbDpT10_ENKUlT_T0_E_clISt17integral_constantIbLb0EES1A_IbLb1EEEEDaS16_S17_EUlS16_E_NS1_11comp_targetILNS1_3genE5ELNS1_11target_archE942ELNS1_3gpuE9ELNS1_3repE0EEENS1_30default_config_static_selectorELNS0_4arch9wavefront6targetE1EEEvT1_
    .private_segment_fixed_size: 0
    .sgpr_count:     4
    .sgpr_spill_count: 0
    .symbol:         _ZN7rocprim17ROCPRIM_400000_NS6detail17trampoline_kernelINS0_14default_configENS1_25partition_config_selectorILNS1_17partition_subalgoE1EsNS0_10empty_typeEbEEZZNS1_14partition_implILS5_1ELb0ES3_jN6thrust23THRUST_200600_302600_NS6detail15normal_iteratorINSA_10device_ptrIsEEEEPS6_NSA_18transform_iteratorI7is_evenIsESF_NSA_11use_defaultESK_EENS0_5tupleIJNSA_16discard_iteratorISK_EESF_EEENSM_IJSG_SG_EEES6_PlJS6_EEE10hipError_tPvRmT3_T4_T5_T6_T7_T9_mT8_P12ihipStream_tbDpT10_ENKUlT_T0_E_clISt17integral_constantIbLb0EES1A_IbLb1EEEEDaS16_S17_EUlS16_E_NS1_11comp_targetILNS1_3genE5ELNS1_11target_archE942ELNS1_3gpuE9ELNS1_3repE0EEENS1_30default_config_static_selectorELNS0_4arch9wavefront6targetE1EEEvT1_.kd
    .uniform_work_group_size: 1
    .uses_dynamic_stack: false
    .vgpr_count:     0
    .vgpr_spill_count: 0
    .wavefront_size: 64
  - .agpr_count:     0
    .args:
      - .offset:         0
        .size:           152
        .value_kind:     by_value
    .group_segment_fixed_size: 10248
    .kernarg_segment_align: 8
    .kernarg_segment_size: 152
    .language:       OpenCL C
    .language_version:
      - 2
      - 0
    .max_flat_workgroup_size: 256
    .name:           _ZN7rocprim17ROCPRIM_400000_NS6detail17trampoline_kernelINS0_14default_configENS1_25partition_config_selectorILNS1_17partition_subalgoE1EsNS0_10empty_typeEbEEZZNS1_14partition_implILS5_1ELb0ES3_jN6thrust23THRUST_200600_302600_NS6detail15normal_iteratorINSA_10device_ptrIsEEEEPS6_NSA_18transform_iteratorI7is_evenIsESF_NSA_11use_defaultESK_EENS0_5tupleIJNSA_16discard_iteratorISK_EESF_EEENSM_IJSG_SG_EEES6_PlJS6_EEE10hipError_tPvRmT3_T4_T5_T6_T7_T9_mT8_P12ihipStream_tbDpT10_ENKUlT_T0_E_clISt17integral_constantIbLb0EES1A_IbLb1EEEEDaS16_S17_EUlS16_E_NS1_11comp_targetILNS1_3genE4ELNS1_11target_archE910ELNS1_3gpuE8ELNS1_3repE0EEENS1_30default_config_static_selectorELNS0_4arch9wavefront6targetE1EEEvT1_
    .private_segment_fixed_size: 0
    .sgpr_count:     46
    .sgpr_spill_count: 0
    .symbol:         _ZN7rocprim17ROCPRIM_400000_NS6detail17trampoline_kernelINS0_14default_configENS1_25partition_config_selectorILNS1_17partition_subalgoE1EsNS0_10empty_typeEbEEZZNS1_14partition_implILS5_1ELb0ES3_jN6thrust23THRUST_200600_302600_NS6detail15normal_iteratorINSA_10device_ptrIsEEEEPS6_NSA_18transform_iteratorI7is_evenIsESF_NSA_11use_defaultESK_EENS0_5tupleIJNSA_16discard_iteratorISK_EESF_EEENSM_IJSG_SG_EEES6_PlJS6_EEE10hipError_tPvRmT3_T4_T5_T6_T7_T9_mT8_P12ihipStream_tbDpT10_ENKUlT_T0_E_clISt17integral_constantIbLb0EES1A_IbLb1EEEEDaS16_S17_EUlS16_E_NS1_11comp_targetILNS1_3genE4ELNS1_11target_archE910ELNS1_3gpuE8ELNS1_3repE0EEENS1_30default_config_static_selectorELNS0_4arch9wavefront6targetE1EEEvT1_.kd
    .uniform_work_group_size: 1
    .uses_dynamic_stack: false
    .vgpr_count:     69
    .vgpr_spill_count: 0
    .wavefront_size: 64
  - .agpr_count:     0
    .args:
      - .offset:         0
        .size:           152
        .value_kind:     by_value
    .group_segment_fixed_size: 0
    .kernarg_segment_align: 8
    .kernarg_segment_size: 152
    .language:       OpenCL C
    .language_version:
      - 2
      - 0
    .max_flat_workgroup_size: 256
    .name:           _ZN7rocprim17ROCPRIM_400000_NS6detail17trampoline_kernelINS0_14default_configENS1_25partition_config_selectorILNS1_17partition_subalgoE1EsNS0_10empty_typeEbEEZZNS1_14partition_implILS5_1ELb0ES3_jN6thrust23THRUST_200600_302600_NS6detail15normal_iteratorINSA_10device_ptrIsEEEEPS6_NSA_18transform_iteratorI7is_evenIsESF_NSA_11use_defaultESK_EENS0_5tupleIJNSA_16discard_iteratorISK_EESF_EEENSM_IJSG_SG_EEES6_PlJS6_EEE10hipError_tPvRmT3_T4_T5_T6_T7_T9_mT8_P12ihipStream_tbDpT10_ENKUlT_T0_E_clISt17integral_constantIbLb0EES1A_IbLb1EEEEDaS16_S17_EUlS16_E_NS1_11comp_targetILNS1_3genE3ELNS1_11target_archE908ELNS1_3gpuE7ELNS1_3repE0EEENS1_30default_config_static_selectorELNS0_4arch9wavefront6targetE1EEEvT1_
    .private_segment_fixed_size: 0
    .sgpr_count:     4
    .sgpr_spill_count: 0
    .symbol:         _ZN7rocprim17ROCPRIM_400000_NS6detail17trampoline_kernelINS0_14default_configENS1_25partition_config_selectorILNS1_17partition_subalgoE1EsNS0_10empty_typeEbEEZZNS1_14partition_implILS5_1ELb0ES3_jN6thrust23THRUST_200600_302600_NS6detail15normal_iteratorINSA_10device_ptrIsEEEEPS6_NSA_18transform_iteratorI7is_evenIsESF_NSA_11use_defaultESK_EENS0_5tupleIJNSA_16discard_iteratorISK_EESF_EEENSM_IJSG_SG_EEES6_PlJS6_EEE10hipError_tPvRmT3_T4_T5_T6_T7_T9_mT8_P12ihipStream_tbDpT10_ENKUlT_T0_E_clISt17integral_constantIbLb0EES1A_IbLb1EEEEDaS16_S17_EUlS16_E_NS1_11comp_targetILNS1_3genE3ELNS1_11target_archE908ELNS1_3gpuE7ELNS1_3repE0EEENS1_30default_config_static_selectorELNS0_4arch9wavefront6targetE1EEEvT1_.kd
    .uniform_work_group_size: 1
    .uses_dynamic_stack: false
    .vgpr_count:     0
    .vgpr_spill_count: 0
    .wavefront_size: 64
  - .agpr_count:     0
    .args:
      - .offset:         0
        .size:           152
        .value_kind:     by_value
    .group_segment_fixed_size: 0
    .kernarg_segment_align: 8
    .kernarg_segment_size: 152
    .language:       OpenCL C
    .language_version:
      - 2
      - 0
    .max_flat_workgroup_size: 256
    .name:           _ZN7rocprim17ROCPRIM_400000_NS6detail17trampoline_kernelINS0_14default_configENS1_25partition_config_selectorILNS1_17partition_subalgoE1EsNS0_10empty_typeEbEEZZNS1_14partition_implILS5_1ELb0ES3_jN6thrust23THRUST_200600_302600_NS6detail15normal_iteratorINSA_10device_ptrIsEEEEPS6_NSA_18transform_iteratorI7is_evenIsESF_NSA_11use_defaultESK_EENS0_5tupleIJNSA_16discard_iteratorISK_EESF_EEENSM_IJSG_SG_EEES6_PlJS6_EEE10hipError_tPvRmT3_T4_T5_T6_T7_T9_mT8_P12ihipStream_tbDpT10_ENKUlT_T0_E_clISt17integral_constantIbLb0EES1A_IbLb1EEEEDaS16_S17_EUlS16_E_NS1_11comp_targetILNS1_3genE2ELNS1_11target_archE906ELNS1_3gpuE6ELNS1_3repE0EEENS1_30default_config_static_selectorELNS0_4arch9wavefront6targetE1EEEvT1_
    .private_segment_fixed_size: 0
    .sgpr_count:     4
    .sgpr_spill_count: 0
    .symbol:         _ZN7rocprim17ROCPRIM_400000_NS6detail17trampoline_kernelINS0_14default_configENS1_25partition_config_selectorILNS1_17partition_subalgoE1EsNS0_10empty_typeEbEEZZNS1_14partition_implILS5_1ELb0ES3_jN6thrust23THRUST_200600_302600_NS6detail15normal_iteratorINSA_10device_ptrIsEEEEPS6_NSA_18transform_iteratorI7is_evenIsESF_NSA_11use_defaultESK_EENS0_5tupleIJNSA_16discard_iteratorISK_EESF_EEENSM_IJSG_SG_EEES6_PlJS6_EEE10hipError_tPvRmT3_T4_T5_T6_T7_T9_mT8_P12ihipStream_tbDpT10_ENKUlT_T0_E_clISt17integral_constantIbLb0EES1A_IbLb1EEEEDaS16_S17_EUlS16_E_NS1_11comp_targetILNS1_3genE2ELNS1_11target_archE906ELNS1_3gpuE6ELNS1_3repE0EEENS1_30default_config_static_selectorELNS0_4arch9wavefront6targetE1EEEvT1_.kd
    .uniform_work_group_size: 1
    .uses_dynamic_stack: false
    .vgpr_count:     0
    .vgpr_spill_count: 0
    .wavefront_size: 64
  - .agpr_count:     0
    .args:
      - .offset:         0
        .size:           152
        .value_kind:     by_value
    .group_segment_fixed_size: 0
    .kernarg_segment_align: 8
    .kernarg_segment_size: 152
    .language:       OpenCL C
    .language_version:
      - 2
      - 0
    .max_flat_workgroup_size: 384
    .name:           _ZN7rocprim17ROCPRIM_400000_NS6detail17trampoline_kernelINS0_14default_configENS1_25partition_config_selectorILNS1_17partition_subalgoE1EsNS0_10empty_typeEbEEZZNS1_14partition_implILS5_1ELb0ES3_jN6thrust23THRUST_200600_302600_NS6detail15normal_iteratorINSA_10device_ptrIsEEEEPS6_NSA_18transform_iteratorI7is_evenIsESF_NSA_11use_defaultESK_EENS0_5tupleIJNSA_16discard_iteratorISK_EESF_EEENSM_IJSG_SG_EEES6_PlJS6_EEE10hipError_tPvRmT3_T4_T5_T6_T7_T9_mT8_P12ihipStream_tbDpT10_ENKUlT_T0_E_clISt17integral_constantIbLb0EES1A_IbLb1EEEEDaS16_S17_EUlS16_E_NS1_11comp_targetILNS1_3genE10ELNS1_11target_archE1200ELNS1_3gpuE4ELNS1_3repE0EEENS1_30default_config_static_selectorELNS0_4arch9wavefront6targetE1EEEvT1_
    .private_segment_fixed_size: 0
    .sgpr_count:     4
    .sgpr_spill_count: 0
    .symbol:         _ZN7rocprim17ROCPRIM_400000_NS6detail17trampoline_kernelINS0_14default_configENS1_25partition_config_selectorILNS1_17partition_subalgoE1EsNS0_10empty_typeEbEEZZNS1_14partition_implILS5_1ELb0ES3_jN6thrust23THRUST_200600_302600_NS6detail15normal_iteratorINSA_10device_ptrIsEEEEPS6_NSA_18transform_iteratorI7is_evenIsESF_NSA_11use_defaultESK_EENS0_5tupleIJNSA_16discard_iteratorISK_EESF_EEENSM_IJSG_SG_EEES6_PlJS6_EEE10hipError_tPvRmT3_T4_T5_T6_T7_T9_mT8_P12ihipStream_tbDpT10_ENKUlT_T0_E_clISt17integral_constantIbLb0EES1A_IbLb1EEEEDaS16_S17_EUlS16_E_NS1_11comp_targetILNS1_3genE10ELNS1_11target_archE1200ELNS1_3gpuE4ELNS1_3repE0EEENS1_30default_config_static_selectorELNS0_4arch9wavefront6targetE1EEEvT1_.kd
    .uniform_work_group_size: 1
    .uses_dynamic_stack: false
    .vgpr_count:     0
    .vgpr_spill_count: 0
    .wavefront_size: 64
  - .agpr_count:     0
    .args:
      - .offset:         0
        .size:           152
        .value_kind:     by_value
    .group_segment_fixed_size: 0
    .kernarg_segment_align: 8
    .kernarg_segment_size: 152
    .language:       OpenCL C
    .language_version:
      - 2
      - 0
    .max_flat_workgroup_size: 128
    .name:           _ZN7rocprim17ROCPRIM_400000_NS6detail17trampoline_kernelINS0_14default_configENS1_25partition_config_selectorILNS1_17partition_subalgoE1EsNS0_10empty_typeEbEEZZNS1_14partition_implILS5_1ELb0ES3_jN6thrust23THRUST_200600_302600_NS6detail15normal_iteratorINSA_10device_ptrIsEEEEPS6_NSA_18transform_iteratorI7is_evenIsESF_NSA_11use_defaultESK_EENS0_5tupleIJNSA_16discard_iteratorISK_EESF_EEENSM_IJSG_SG_EEES6_PlJS6_EEE10hipError_tPvRmT3_T4_T5_T6_T7_T9_mT8_P12ihipStream_tbDpT10_ENKUlT_T0_E_clISt17integral_constantIbLb0EES1A_IbLb1EEEEDaS16_S17_EUlS16_E_NS1_11comp_targetILNS1_3genE9ELNS1_11target_archE1100ELNS1_3gpuE3ELNS1_3repE0EEENS1_30default_config_static_selectorELNS0_4arch9wavefront6targetE1EEEvT1_
    .private_segment_fixed_size: 0
    .sgpr_count:     4
    .sgpr_spill_count: 0
    .symbol:         _ZN7rocprim17ROCPRIM_400000_NS6detail17trampoline_kernelINS0_14default_configENS1_25partition_config_selectorILNS1_17partition_subalgoE1EsNS0_10empty_typeEbEEZZNS1_14partition_implILS5_1ELb0ES3_jN6thrust23THRUST_200600_302600_NS6detail15normal_iteratorINSA_10device_ptrIsEEEEPS6_NSA_18transform_iteratorI7is_evenIsESF_NSA_11use_defaultESK_EENS0_5tupleIJNSA_16discard_iteratorISK_EESF_EEENSM_IJSG_SG_EEES6_PlJS6_EEE10hipError_tPvRmT3_T4_T5_T6_T7_T9_mT8_P12ihipStream_tbDpT10_ENKUlT_T0_E_clISt17integral_constantIbLb0EES1A_IbLb1EEEEDaS16_S17_EUlS16_E_NS1_11comp_targetILNS1_3genE9ELNS1_11target_archE1100ELNS1_3gpuE3ELNS1_3repE0EEENS1_30default_config_static_selectorELNS0_4arch9wavefront6targetE1EEEvT1_.kd
    .uniform_work_group_size: 1
    .uses_dynamic_stack: false
    .vgpr_count:     0
    .vgpr_spill_count: 0
    .wavefront_size: 64
  - .agpr_count:     0
    .args:
      - .offset:         0
        .size:           152
        .value_kind:     by_value
    .group_segment_fixed_size: 0
    .kernarg_segment_align: 8
    .kernarg_segment_size: 152
    .language:       OpenCL C
    .language_version:
      - 2
      - 0
    .max_flat_workgroup_size: 512
    .name:           _ZN7rocprim17ROCPRIM_400000_NS6detail17trampoline_kernelINS0_14default_configENS1_25partition_config_selectorILNS1_17partition_subalgoE1EsNS0_10empty_typeEbEEZZNS1_14partition_implILS5_1ELb0ES3_jN6thrust23THRUST_200600_302600_NS6detail15normal_iteratorINSA_10device_ptrIsEEEEPS6_NSA_18transform_iteratorI7is_evenIsESF_NSA_11use_defaultESK_EENS0_5tupleIJNSA_16discard_iteratorISK_EESF_EEENSM_IJSG_SG_EEES6_PlJS6_EEE10hipError_tPvRmT3_T4_T5_T6_T7_T9_mT8_P12ihipStream_tbDpT10_ENKUlT_T0_E_clISt17integral_constantIbLb0EES1A_IbLb1EEEEDaS16_S17_EUlS16_E_NS1_11comp_targetILNS1_3genE8ELNS1_11target_archE1030ELNS1_3gpuE2ELNS1_3repE0EEENS1_30default_config_static_selectorELNS0_4arch9wavefront6targetE1EEEvT1_
    .private_segment_fixed_size: 0
    .sgpr_count:     4
    .sgpr_spill_count: 0
    .symbol:         _ZN7rocprim17ROCPRIM_400000_NS6detail17trampoline_kernelINS0_14default_configENS1_25partition_config_selectorILNS1_17partition_subalgoE1EsNS0_10empty_typeEbEEZZNS1_14partition_implILS5_1ELb0ES3_jN6thrust23THRUST_200600_302600_NS6detail15normal_iteratorINSA_10device_ptrIsEEEEPS6_NSA_18transform_iteratorI7is_evenIsESF_NSA_11use_defaultESK_EENS0_5tupleIJNSA_16discard_iteratorISK_EESF_EEENSM_IJSG_SG_EEES6_PlJS6_EEE10hipError_tPvRmT3_T4_T5_T6_T7_T9_mT8_P12ihipStream_tbDpT10_ENKUlT_T0_E_clISt17integral_constantIbLb0EES1A_IbLb1EEEEDaS16_S17_EUlS16_E_NS1_11comp_targetILNS1_3genE8ELNS1_11target_archE1030ELNS1_3gpuE2ELNS1_3repE0EEENS1_30default_config_static_selectorELNS0_4arch9wavefront6targetE1EEEvT1_.kd
    .uniform_work_group_size: 1
    .uses_dynamic_stack: false
    .vgpr_count:     0
    .vgpr_spill_count: 0
    .wavefront_size: 64
  - .agpr_count:     0
    .args:
      - .offset:         0
        .size:           16
        .value_kind:     by_value
      - .offset:         16
        .size:           8
        .value_kind:     by_value
      - .offset:         24
        .size:           8
        .value_kind:     by_value
    .group_segment_fixed_size: 0
    .kernarg_segment_align: 8
    .kernarg_segment_size: 32
    .language:       OpenCL C
    .language_version:
      - 2
      - 0
    .max_flat_workgroup_size: 256
    .name:           _ZN6thrust23THRUST_200600_302600_NS11hip_rocprim14__parallel_for6kernelILj256ENS1_10for_each_fINS0_7pointerINS0_5tupleIxxNS0_9null_typeES7_S7_S7_S7_S7_S7_S7_EENS1_3tagENS0_11use_defaultESA_EENS0_6detail16wrapped_functionINSC_23allocator_traits_detail24construct1_via_allocatorINSC_18no_throw_allocatorINSC_19temporary_allocatorIS8_S9_EEEEEEvEEEEmLj1EEEvT0_T1_SO_
    .private_segment_fixed_size: 0
    .sgpr_count:     16
    .sgpr_spill_count: 0
    .symbol:         _ZN6thrust23THRUST_200600_302600_NS11hip_rocprim14__parallel_for6kernelILj256ENS1_10for_each_fINS0_7pointerINS0_5tupleIxxNS0_9null_typeES7_S7_S7_S7_S7_S7_S7_EENS1_3tagENS0_11use_defaultESA_EENS0_6detail16wrapped_functionINSC_23allocator_traits_detail24construct1_via_allocatorINSC_18no_throw_allocatorINSC_19temporary_allocatorIS8_S9_EEEEEEvEEEEmLj1EEEvT0_T1_SO_.kd
    .uniform_work_group_size: 1
    .uses_dynamic_stack: false
    .vgpr_count:     8
    .vgpr_spill_count: 0
    .wavefront_size: 64
  - .agpr_count:     0
    .args:
      - .offset:         0
        .size:           16
        .value_kind:     by_value
      - .offset:         16
        .size:           8
        .value_kind:     by_value
      - .offset:         24
        .size:           8
        .value_kind:     by_value
    .group_segment_fixed_size: 0
    .kernarg_segment_align: 8
    .kernarg_segment_size: 32
    .language:       OpenCL C
    .language_version:
      - 2
      - 0
    .max_flat_workgroup_size: 256
    .name:           _ZN6thrust23THRUST_200600_302600_NS11hip_rocprim14__parallel_for6kernelILj256ENS1_10for_each_fINS0_7pointerINS0_5tupleIxxNS0_9null_typeES7_S7_S7_S7_S7_S7_S7_EENS1_3tagENS0_11use_defaultESA_EENS0_6detail16wrapped_functionINSC_23allocator_traits_detail5gozerEvEEEElLj1EEEvT0_T1_SJ_
    .private_segment_fixed_size: 0
    .sgpr_count:     4
    .sgpr_spill_count: 0
    .symbol:         _ZN6thrust23THRUST_200600_302600_NS11hip_rocprim14__parallel_for6kernelILj256ENS1_10for_each_fINS0_7pointerINS0_5tupleIxxNS0_9null_typeES7_S7_S7_S7_S7_S7_S7_EENS1_3tagENS0_11use_defaultESA_EENS0_6detail16wrapped_functionINSC_23allocator_traits_detail5gozerEvEEEElLj1EEEvT0_T1_SJ_.kd
    .uniform_work_group_size: 1
    .uses_dynamic_stack: false
    .vgpr_count:     0
    .vgpr_spill_count: 0
    .wavefront_size: 64
  - .agpr_count:     0
    .args:
      - .offset:         0
        .size:           24
        .value_kind:     by_value
      - .offset:         24
        .size:           8
        .value_kind:     by_value
      - .offset:         32
        .size:           8
        .value_kind:     by_value
    .group_segment_fixed_size: 0
    .kernarg_segment_align: 8
    .kernarg_segment_size: 40
    .language:       OpenCL C
    .language_version:
      - 2
      - 0
    .max_flat_workgroup_size: 256
    .name:           _ZN6thrust23THRUST_200600_302600_NS11hip_rocprim14__parallel_for6kernelILj256ENS1_20__uninitialized_copy7functorINS0_12zip_iteratorINS0_5tupleINS0_6detail15normal_iteratorINS0_10device_ptrIxEEEESC_NS0_9null_typeESD_SD_SD_SD_SD_SD_SD_EEEENS9_INS0_7pointerINS7_IxxSD_SD_SD_SD_SD_SD_SD_SD_EENS1_3tagENS0_11use_defaultESJ_EEEEEElLj1EEEvT0_T1_SO_
    .private_segment_fixed_size: 0
    .sgpr_count:     20
    .sgpr_spill_count: 0
    .symbol:         _ZN6thrust23THRUST_200600_302600_NS11hip_rocprim14__parallel_for6kernelILj256ENS1_20__uninitialized_copy7functorINS0_12zip_iteratorINS0_5tupleINS0_6detail15normal_iteratorINS0_10device_ptrIxEEEESC_NS0_9null_typeESD_SD_SD_SD_SD_SD_SD_EEEENS9_INS0_7pointerINS7_IxxSD_SD_SD_SD_SD_SD_SD_SD_EENS1_3tagENS0_11use_defaultESJ_EEEEEElLj1EEEvT0_T1_SO_.kd
    .uniform_work_group_size: 1
    .uses_dynamic_stack: false
    .vgpr_count:     12
    .vgpr_spill_count: 0
    .wavefront_size: 64
  - .agpr_count:     0
    .args:
      - .offset:         0
        .size:           120
        .value_kind:     by_value
    .group_segment_fixed_size: 0
    .kernarg_segment_align: 8
    .kernarg_segment_size: 120
    .language:       OpenCL C
    .language_version:
      - 2
      - 0
    .max_flat_workgroup_size: 128
    .name:           _ZN7rocprim17ROCPRIM_400000_NS6detail17trampoline_kernelINS0_14default_configENS1_25partition_config_selectorILNS1_17partition_subalgoE3EN6thrust23THRUST_200600_302600_NS5tupleIxxNS7_9null_typeES9_S9_S9_S9_S9_S9_S9_EENS0_10empty_typeEbEEZZNS1_14partition_implILS5_3ELb0ES3_jNS7_6detail15normal_iteratorINS7_7pointerISA_NS7_11hip_rocprim3tagENS7_11use_defaultESJ_EEEEPSB_SM_NS0_5tupleIJPSA_SM_EEENSN_IJSM_SM_EEESB_PlJ10is_orderedEEE10hipError_tPvRmT3_T4_T5_T6_T7_T9_mT8_P12ihipStream_tbDpT10_ENKUlT_T0_E_clISt17integral_constantIbLb0EES1C_EEDaS17_S18_EUlS17_E_NS1_11comp_targetILNS1_3genE0ELNS1_11target_archE4294967295ELNS1_3gpuE0ELNS1_3repE0EEENS1_30default_config_static_selectorELNS0_4arch9wavefront6targetE1EEEvT1_
    .private_segment_fixed_size: 0
    .sgpr_count:     4
    .sgpr_spill_count: 0
    .symbol:         _ZN7rocprim17ROCPRIM_400000_NS6detail17trampoline_kernelINS0_14default_configENS1_25partition_config_selectorILNS1_17partition_subalgoE3EN6thrust23THRUST_200600_302600_NS5tupleIxxNS7_9null_typeES9_S9_S9_S9_S9_S9_S9_EENS0_10empty_typeEbEEZZNS1_14partition_implILS5_3ELb0ES3_jNS7_6detail15normal_iteratorINS7_7pointerISA_NS7_11hip_rocprim3tagENS7_11use_defaultESJ_EEEEPSB_SM_NS0_5tupleIJPSA_SM_EEENSN_IJSM_SM_EEESB_PlJ10is_orderedEEE10hipError_tPvRmT3_T4_T5_T6_T7_T9_mT8_P12ihipStream_tbDpT10_ENKUlT_T0_E_clISt17integral_constantIbLb0EES1C_EEDaS17_S18_EUlS17_E_NS1_11comp_targetILNS1_3genE0ELNS1_11target_archE4294967295ELNS1_3gpuE0ELNS1_3repE0EEENS1_30default_config_static_selectorELNS0_4arch9wavefront6targetE1EEEvT1_.kd
    .uniform_work_group_size: 1
    .uses_dynamic_stack: false
    .vgpr_count:     0
    .vgpr_spill_count: 0
    .wavefront_size: 64
  - .agpr_count:     0
    .args:
      - .offset:         0
        .size:           120
        .value_kind:     by_value
    .group_segment_fixed_size: 0
    .kernarg_segment_align: 8
    .kernarg_segment_size: 120
    .language:       OpenCL C
    .language_version:
      - 2
      - 0
    .max_flat_workgroup_size: 384
    .name:           _ZN7rocprim17ROCPRIM_400000_NS6detail17trampoline_kernelINS0_14default_configENS1_25partition_config_selectorILNS1_17partition_subalgoE3EN6thrust23THRUST_200600_302600_NS5tupleIxxNS7_9null_typeES9_S9_S9_S9_S9_S9_S9_EENS0_10empty_typeEbEEZZNS1_14partition_implILS5_3ELb0ES3_jNS7_6detail15normal_iteratorINS7_7pointerISA_NS7_11hip_rocprim3tagENS7_11use_defaultESJ_EEEEPSB_SM_NS0_5tupleIJPSA_SM_EEENSN_IJSM_SM_EEESB_PlJ10is_orderedEEE10hipError_tPvRmT3_T4_T5_T6_T7_T9_mT8_P12ihipStream_tbDpT10_ENKUlT_T0_E_clISt17integral_constantIbLb0EES1C_EEDaS17_S18_EUlS17_E_NS1_11comp_targetILNS1_3genE5ELNS1_11target_archE942ELNS1_3gpuE9ELNS1_3repE0EEENS1_30default_config_static_selectorELNS0_4arch9wavefront6targetE1EEEvT1_
    .private_segment_fixed_size: 0
    .sgpr_count:     4
    .sgpr_spill_count: 0
    .symbol:         _ZN7rocprim17ROCPRIM_400000_NS6detail17trampoline_kernelINS0_14default_configENS1_25partition_config_selectorILNS1_17partition_subalgoE3EN6thrust23THRUST_200600_302600_NS5tupleIxxNS7_9null_typeES9_S9_S9_S9_S9_S9_S9_EENS0_10empty_typeEbEEZZNS1_14partition_implILS5_3ELb0ES3_jNS7_6detail15normal_iteratorINS7_7pointerISA_NS7_11hip_rocprim3tagENS7_11use_defaultESJ_EEEEPSB_SM_NS0_5tupleIJPSA_SM_EEENSN_IJSM_SM_EEESB_PlJ10is_orderedEEE10hipError_tPvRmT3_T4_T5_T6_T7_T9_mT8_P12ihipStream_tbDpT10_ENKUlT_T0_E_clISt17integral_constantIbLb0EES1C_EEDaS17_S18_EUlS17_E_NS1_11comp_targetILNS1_3genE5ELNS1_11target_archE942ELNS1_3gpuE9ELNS1_3repE0EEENS1_30default_config_static_selectorELNS0_4arch9wavefront6targetE1EEEvT1_.kd
    .uniform_work_group_size: 1
    .uses_dynamic_stack: false
    .vgpr_count:     0
    .vgpr_spill_count: 0
    .wavefront_size: 64
  - .agpr_count:     0
    .args:
      - .offset:         0
        .size:           120
        .value_kind:     by_value
    .group_segment_fixed_size: 12296
    .kernarg_segment_align: 8
    .kernarg_segment_size: 120
    .language:       OpenCL C
    .language_version:
      - 2
      - 0
    .max_flat_workgroup_size: 256
    .name:           _ZN7rocprim17ROCPRIM_400000_NS6detail17trampoline_kernelINS0_14default_configENS1_25partition_config_selectorILNS1_17partition_subalgoE3EN6thrust23THRUST_200600_302600_NS5tupleIxxNS7_9null_typeES9_S9_S9_S9_S9_S9_S9_EENS0_10empty_typeEbEEZZNS1_14partition_implILS5_3ELb0ES3_jNS7_6detail15normal_iteratorINS7_7pointerISA_NS7_11hip_rocprim3tagENS7_11use_defaultESJ_EEEEPSB_SM_NS0_5tupleIJPSA_SM_EEENSN_IJSM_SM_EEESB_PlJ10is_orderedEEE10hipError_tPvRmT3_T4_T5_T6_T7_T9_mT8_P12ihipStream_tbDpT10_ENKUlT_T0_E_clISt17integral_constantIbLb0EES1C_EEDaS17_S18_EUlS17_E_NS1_11comp_targetILNS1_3genE4ELNS1_11target_archE910ELNS1_3gpuE8ELNS1_3repE0EEENS1_30default_config_static_selectorELNS0_4arch9wavefront6targetE1EEEvT1_
    .private_segment_fixed_size: 0
    .sgpr_count:     52
    .sgpr_spill_count: 0
    .symbol:         _ZN7rocprim17ROCPRIM_400000_NS6detail17trampoline_kernelINS0_14default_configENS1_25partition_config_selectorILNS1_17partition_subalgoE3EN6thrust23THRUST_200600_302600_NS5tupleIxxNS7_9null_typeES9_S9_S9_S9_S9_S9_S9_EENS0_10empty_typeEbEEZZNS1_14partition_implILS5_3ELb0ES3_jNS7_6detail15normal_iteratorINS7_7pointerISA_NS7_11hip_rocprim3tagENS7_11use_defaultESJ_EEEEPSB_SM_NS0_5tupleIJPSA_SM_EEENSN_IJSM_SM_EEESB_PlJ10is_orderedEEE10hipError_tPvRmT3_T4_T5_T6_T7_T9_mT8_P12ihipStream_tbDpT10_ENKUlT_T0_E_clISt17integral_constantIbLb0EES1C_EEDaS17_S18_EUlS17_E_NS1_11comp_targetILNS1_3genE4ELNS1_11target_archE910ELNS1_3gpuE8ELNS1_3repE0EEENS1_30default_config_static_selectorELNS0_4arch9wavefront6targetE1EEEvT1_.kd
    .uniform_work_group_size: 1
    .uses_dynamic_stack: false
    .vgpr_count:     48
    .vgpr_spill_count: 0
    .wavefront_size: 64
  - .agpr_count:     0
    .args:
      - .offset:         0
        .size:           16
        .value_kind:     by_value
      - .offset:         16
        .size:           8
        .value_kind:     by_value
      - .offset:         24
        .size:           8
        .value_kind:     by_value
    .group_segment_fixed_size: 0
    .kernarg_segment_align: 8
    .kernarg_segment_size: 32
    .language:       OpenCL C
    .language_version:
      - 2
      - 0
    .max_flat_workgroup_size: 256
    .name:           _ZN6thrust23THRUST_200600_302600_NS11hip_rocprim14__parallel_for6kernelILj256ENS1_20__uninitialized_copy7functorINS0_7pointerINS0_5tupleIxxNS0_9null_typeES8_S8_S8_S8_S8_S8_S8_EENS1_3tagENS0_11use_defaultESB_EESC_EEmLj1EEEvT0_T1_SF_
    .private_segment_fixed_size: 0
    .sgpr_count:     20
    .sgpr_spill_count: 0
    .symbol:         _ZN6thrust23THRUST_200600_302600_NS11hip_rocprim14__parallel_for6kernelILj256ENS1_20__uninitialized_copy7functorINS0_7pointerINS0_5tupleIxxNS0_9null_typeES8_S8_S8_S8_S8_S8_S8_EENS1_3tagENS0_11use_defaultESB_EESC_EEmLj1EEEvT0_T1_SF_.kd
    .uniform_work_group_size: 1
    .uses_dynamic_stack: false
    .vgpr_count:     8
    .vgpr_spill_count: 0
    .wavefront_size: 64
  - .agpr_count:     0
    .args:
      - .offset:         0
        .size:           120
        .value_kind:     by_value
    .group_segment_fixed_size: 0
    .kernarg_segment_align: 8
    .kernarg_segment_size: 120
    .language:       OpenCL C
    .language_version:
      - 2
      - 0
    .max_flat_workgroup_size: 128
    .name:           _ZN7rocprim17ROCPRIM_400000_NS6detail17trampoline_kernelINS0_14default_configENS1_25partition_config_selectorILNS1_17partition_subalgoE3EN6thrust23THRUST_200600_302600_NS5tupleIxxNS7_9null_typeES9_S9_S9_S9_S9_S9_S9_EENS0_10empty_typeEbEEZZNS1_14partition_implILS5_3ELb0ES3_jNS7_6detail15normal_iteratorINS7_7pointerISA_NS7_11hip_rocprim3tagENS7_11use_defaultESJ_EEEEPSB_SM_NS0_5tupleIJPSA_SM_EEENSN_IJSM_SM_EEESB_PlJ10is_orderedEEE10hipError_tPvRmT3_T4_T5_T6_T7_T9_mT8_P12ihipStream_tbDpT10_ENKUlT_T0_E_clISt17integral_constantIbLb0EES1C_EEDaS17_S18_EUlS17_E_NS1_11comp_targetILNS1_3genE3ELNS1_11target_archE908ELNS1_3gpuE7ELNS1_3repE0EEENS1_30default_config_static_selectorELNS0_4arch9wavefront6targetE1EEEvT1_
    .private_segment_fixed_size: 0
    .sgpr_count:     4
    .sgpr_spill_count: 0
    .symbol:         _ZN7rocprim17ROCPRIM_400000_NS6detail17trampoline_kernelINS0_14default_configENS1_25partition_config_selectorILNS1_17partition_subalgoE3EN6thrust23THRUST_200600_302600_NS5tupleIxxNS7_9null_typeES9_S9_S9_S9_S9_S9_S9_EENS0_10empty_typeEbEEZZNS1_14partition_implILS5_3ELb0ES3_jNS7_6detail15normal_iteratorINS7_7pointerISA_NS7_11hip_rocprim3tagENS7_11use_defaultESJ_EEEEPSB_SM_NS0_5tupleIJPSA_SM_EEENSN_IJSM_SM_EEESB_PlJ10is_orderedEEE10hipError_tPvRmT3_T4_T5_T6_T7_T9_mT8_P12ihipStream_tbDpT10_ENKUlT_T0_E_clISt17integral_constantIbLb0EES1C_EEDaS17_S18_EUlS17_E_NS1_11comp_targetILNS1_3genE3ELNS1_11target_archE908ELNS1_3gpuE7ELNS1_3repE0EEENS1_30default_config_static_selectorELNS0_4arch9wavefront6targetE1EEEvT1_.kd
    .uniform_work_group_size: 1
    .uses_dynamic_stack: false
    .vgpr_count:     0
    .vgpr_spill_count: 0
    .wavefront_size: 64
  - .agpr_count:     0
    .args:
      - .offset:         0
        .size:           120
        .value_kind:     by_value
    .group_segment_fixed_size: 0
    .kernarg_segment_align: 8
    .kernarg_segment_size: 120
    .language:       OpenCL C
    .language_version:
      - 2
      - 0
    .max_flat_workgroup_size: 256
    .name:           _ZN7rocprim17ROCPRIM_400000_NS6detail17trampoline_kernelINS0_14default_configENS1_25partition_config_selectorILNS1_17partition_subalgoE3EN6thrust23THRUST_200600_302600_NS5tupleIxxNS7_9null_typeES9_S9_S9_S9_S9_S9_S9_EENS0_10empty_typeEbEEZZNS1_14partition_implILS5_3ELb0ES3_jNS7_6detail15normal_iteratorINS7_7pointerISA_NS7_11hip_rocprim3tagENS7_11use_defaultESJ_EEEEPSB_SM_NS0_5tupleIJPSA_SM_EEENSN_IJSM_SM_EEESB_PlJ10is_orderedEEE10hipError_tPvRmT3_T4_T5_T6_T7_T9_mT8_P12ihipStream_tbDpT10_ENKUlT_T0_E_clISt17integral_constantIbLb0EES1C_EEDaS17_S18_EUlS17_E_NS1_11comp_targetILNS1_3genE2ELNS1_11target_archE906ELNS1_3gpuE6ELNS1_3repE0EEENS1_30default_config_static_selectorELNS0_4arch9wavefront6targetE1EEEvT1_
    .private_segment_fixed_size: 0
    .sgpr_count:     4
    .sgpr_spill_count: 0
    .symbol:         _ZN7rocprim17ROCPRIM_400000_NS6detail17trampoline_kernelINS0_14default_configENS1_25partition_config_selectorILNS1_17partition_subalgoE3EN6thrust23THRUST_200600_302600_NS5tupleIxxNS7_9null_typeES9_S9_S9_S9_S9_S9_S9_EENS0_10empty_typeEbEEZZNS1_14partition_implILS5_3ELb0ES3_jNS7_6detail15normal_iteratorINS7_7pointerISA_NS7_11hip_rocprim3tagENS7_11use_defaultESJ_EEEEPSB_SM_NS0_5tupleIJPSA_SM_EEENSN_IJSM_SM_EEESB_PlJ10is_orderedEEE10hipError_tPvRmT3_T4_T5_T6_T7_T9_mT8_P12ihipStream_tbDpT10_ENKUlT_T0_E_clISt17integral_constantIbLb0EES1C_EEDaS17_S18_EUlS17_E_NS1_11comp_targetILNS1_3genE2ELNS1_11target_archE906ELNS1_3gpuE6ELNS1_3repE0EEENS1_30default_config_static_selectorELNS0_4arch9wavefront6targetE1EEEvT1_.kd
    .uniform_work_group_size: 1
    .uses_dynamic_stack: false
    .vgpr_count:     0
    .vgpr_spill_count: 0
    .wavefront_size: 64
  - .agpr_count:     0
    .args:
      - .offset:         0
        .size:           120
        .value_kind:     by_value
    .group_segment_fixed_size: 0
    .kernarg_segment_align: 8
    .kernarg_segment_size: 120
    .language:       OpenCL C
    .language_version:
      - 2
      - 0
    .max_flat_workgroup_size: 256
    .name:           _ZN7rocprim17ROCPRIM_400000_NS6detail17trampoline_kernelINS0_14default_configENS1_25partition_config_selectorILNS1_17partition_subalgoE3EN6thrust23THRUST_200600_302600_NS5tupleIxxNS7_9null_typeES9_S9_S9_S9_S9_S9_S9_EENS0_10empty_typeEbEEZZNS1_14partition_implILS5_3ELb0ES3_jNS7_6detail15normal_iteratorINS7_7pointerISA_NS7_11hip_rocprim3tagENS7_11use_defaultESJ_EEEEPSB_SM_NS0_5tupleIJPSA_SM_EEENSN_IJSM_SM_EEESB_PlJ10is_orderedEEE10hipError_tPvRmT3_T4_T5_T6_T7_T9_mT8_P12ihipStream_tbDpT10_ENKUlT_T0_E_clISt17integral_constantIbLb0EES1C_EEDaS17_S18_EUlS17_E_NS1_11comp_targetILNS1_3genE10ELNS1_11target_archE1200ELNS1_3gpuE4ELNS1_3repE0EEENS1_30default_config_static_selectorELNS0_4arch9wavefront6targetE1EEEvT1_
    .private_segment_fixed_size: 0
    .sgpr_count:     4
    .sgpr_spill_count: 0
    .symbol:         _ZN7rocprim17ROCPRIM_400000_NS6detail17trampoline_kernelINS0_14default_configENS1_25partition_config_selectorILNS1_17partition_subalgoE3EN6thrust23THRUST_200600_302600_NS5tupleIxxNS7_9null_typeES9_S9_S9_S9_S9_S9_S9_EENS0_10empty_typeEbEEZZNS1_14partition_implILS5_3ELb0ES3_jNS7_6detail15normal_iteratorINS7_7pointerISA_NS7_11hip_rocprim3tagENS7_11use_defaultESJ_EEEEPSB_SM_NS0_5tupleIJPSA_SM_EEENSN_IJSM_SM_EEESB_PlJ10is_orderedEEE10hipError_tPvRmT3_T4_T5_T6_T7_T9_mT8_P12ihipStream_tbDpT10_ENKUlT_T0_E_clISt17integral_constantIbLb0EES1C_EEDaS17_S18_EUlS17_E_NS1_11comp_targetILNS1_3genE10ELNS1_11target_archE1200ELNS1_3gpuE4ELNS1_3repE0EEENS1_30default_config_static_selectorELNS0_4arch9wavefront6targetE1EEEvT1_.kd
    .uniform_work_group_size: 1
    .uses_dynamic_stack: false
    .vgpr_count:     0
    .vgpr_spill_count: 0
    .wavefront_size: 64
  - .agpr_count:     0
    .args:
      - .offset:         0
        .size:           120
        .value_kind:     by_value
    .group_segment_fixed_size: 0
    .kernarg_segment_align: 8
    .kernarg_segment_size: 120
    .language:       OpenCL C
    .language_version:
      - 2
      - 0
    .max_flat_workgroup_size: 512
    .name:           _ZN7rocprim17ROCPRIM_400000_NS6detail17trampoline_kernelINS0_14default_configENS1_25partition_config_selectorILNS1_17partition_subalgoE3EN6thrust23THRUST_200600_302600_NS5tupleIxxNS7_9null_typeES9_S9_S9_S9_S9_S9_S9_EENS0_10empty_typeEbEEZZNS1_14partition_implILS5_3ELb0ES3_jNS7_6detail15normal_iteratorINS7_7pointerISA_NS7_11hip_rocprim3tagENS7_11use_defaultESJ_EEEEPSB_SM_NS0_5tupleIJPSA_SM_EEENSN_IJSM_SM_EEESB_PlJ10is_orderedEEE10hipError_tPvRmT3_T4_T5_T6_T7_T9_mT8_P12ihipStream_tbDpT10_ENKUlT_T0_E_clISt17integral_constantIbLb0EES1C_EEDaS17_S18_EUlS17_E_NS1_11comp_targetILNS1_3genE9ELNS1_11target_archE1100ELNS1_3gpuE3ELNS1_3repE0EEENS1_30default_config_static_selectorELNS0_4arch9wavefront6targetE1EEEvT1_
    .private_segment_fixed_size: 0
    .sgpr_count:     4
    .sgpr_spill_count: 0
    .symbol:         _ZN7rocprim17ROCPRIM_400000_NS6detail17trampoline_kernelINS0_14default_configENS1_25partition_config_selectorILNS1_17partition_subalgoE3EN6thrust23THRUST_200600_302600_NS5tupleIxxNS7_9null_typeES9_S9_S9_S9_S9_S9_S9_EENS0_10empty_typeEbEEZZNS1_14partition_implILS5_3ELb0ES3_jNS7_6detail15normal_iteratorINS7_7pointerISA_NS7_11hip_rocprim3tagENS7_11use_defaultESJ_EEEEPSB_SM_NS0_5tupleIJPSA_SM_EEENSN_IJSM_SM_EEESB_PlJ10is_orderedEEE10hipError_tPvRmT3_T4_T5_T6_T7_T9_mT8_P12ihipStream_tbDpT10_ENKUlT_T0_E_clISt17integral_constantIbLb0EES1C_EEDaS17_S18_EUlS17_E_NS1_11comp_targetILNS1_3genE9ELNS1_11target_archE1100ELNS1_3gpuE3ELNS1_3repE0EEENS1_30default_config_static_selectorELNS0_4arch9wavefront6targetE1EEEvT1_.kd
    .uniform_work_group_size: 1
    .uses_dynamic_stack: false
    .vgpr_count:     0
    .vgpr_spill_count: 0
    .wavefront_size: 64
  - .agpr_count:     0
    .args:
      - .offset:         0
        .size:           120
        .value_kind:     by_value
    .group_segment_fixed_size: 0
    .kernarg_segment_align: 8
    .kernarg_segment_size: 120
    .language:       OpenCL C
    .language_version:
      - 2
      - 0
    .max_flat_workgroup_size: 256
    .name:           _ZN7rocprim17ROCPRIM_400000_NS6detail17trampoline_kernelINS0_14default_configENS1_25partition_config_selectorILNS1_17partition_subalgoE3EN6thrust23THRUST_200600_302600_NS5tupleIxxNS7_9null_typeES9_S9_S9_S9_S9_S9_S9_EENS0_10empty_typeEbEEZZNS1_14partition_implILS5_3ELb0ES3_jNS7_6detail15normal_iteratorINS7_7pointerISA_NS7_11hip_rocprim3tagENS7_11use_defaultESJ_EEEEPSB_SM_NS0_5tupleIJPSA_SM_EEENSN_IJSM_SM_EEESB_PlJ10is_orderedEEE10hipError_tPvRmT3_T4_T5_T6_T7_T9_mT8_P12ihipStream_tbDpT10_ENKUlT_T0_E_clISt17integral_constantIbLb0EES1C_EEDaS17_S18_EUlS17_E_NS1_11comp_targetILNS1_3genE8ELNS1_11target_archE1030ELNS1_3gpuE2ELNS1_3repE0EEENS1_30default_config_static_selectorELNS0_4arch9wavefront6targetE1EEEvT1_
    .private_segment_fixed_size: 0
    .sgpr_count:     4
    .sgpr_spill_count: 0
    .symbol:         _ZN7rocprim17ROCPRIM_400000_NS6detail17trampoline_kernelINS0_14default_configENS1_25partition_config_selectorILNS1_17partition_subalgoE3EN6thrust23THRUST_200600_302600_NS5tupleIxxNS7_9null_typeES9_S9_S9_S9_S9_S9_S9_EENS0_10empty_typeEbEEZZNS1_14partition_implILS5_3ELb0ES3_jNS7_6detail15normal_iteratorINS7_7pointerISA_NS7_11hip_rocprim3tagENS7_11use_defaultESJ_EEEEPSB_SM_NS0_5tupleIJPSA_SM_EEENSN_IJSM_SM_EEESB_PlJ10is_orderedEEE10hipError_tPvRmT3_T4_T5_T6_T7_T9_mT8_P12ihipStream_tbDpT10_ENKUlT_T0_E_clISt17integral_constantIbLb0EES1C_EEDaS17_S18_EUlS17_E_NS1_11comp_targetILNS1_3genE8ELNS1_11target_archE1030ELNS1_3gpuE2ELNS1_3repE0EEENS1_30default_config_static_selectorELNS0_4arch9wavefront6targetE1EEEvT1_.kd
    .uniform_work_group_size: 1
    .uses_dynamic_stack: false
    .vgpr_count:     0
    .vgpr_spill_count: 0
    .wavefront_size: 64
  - .agpr_count:     0
    .args:
      - .offset:         0
        .size:           136
        .value_kind:     by_value
    .group_segment_fixed_size: 0
    .kernarg_segment_align: 8
    .kernarg_segment_size: 136
    .language:       OpenCL C
    .language_version:
      - 2
      - 0
    .max_flat_workgroup_size: 128
    .name:           _ZN7rocprim17ROCPRIM_400000_NS6detail17trampoline_kernelINS0_14default_configENS1_25partition_config_selectorILNS1_17partition_subalgoE3EN6thrust23THRUST_200600_302600_NS5tupleIxxNS7_9null_typeES9_S9_S9_S9_S9_S9_S9_EENS0_10empty_typeEbEEZZNS1_14partition_implILS5_3ELb0ES3_jNS7_6detail15normal_iteratorINS7_7pointerISA_NS7_11hip_rocprim3tagENS7_11use_defaultESJ_EEEEPSB_SM_NS0_5tupleIJPSA_SM_EEENSN_IJSM_SM_EEESB_PlJ10is_orderedEEE10hipError_tPvRmT3_T4_T5_T6_T7_T9_mT8_P12ihipStream_tbDpT10_ENKUlT_T0_E_clISt17integral_constantIbLb1EES1C_EEDaS17_S18_EUlS17_E_NS1_11comp_targetILNS1_3genE0ELNS1_11target_archE4294967295ELNS1_3gpuE0ELNS1_3repE0EEENS1_30default_config_static_selectorELNS0_4arch9wavefront6targetE1EEEvT1_
    .private_segment_fixed_size: 0
    .sgpr_count:     4
    .sgpr_spill_count: 0
    .symbol:         _ZN7rocprim17ROCPRIM_400000_NS6detail17trampoline_kernelINS0_14default_configENS1_25partition_config_selectorILNS1_17partition_subalgoE3EN6thrust23THRUST_200600_302600_NS5tupleIxxNS7_9null_typeES9_S9_S9_S9_S9_S9_S9_EENS0_10empty_typeEbEEZZNS1_14partition_implILS5_3ELb0ES3_jNS7_6detail15normal_iteratorINS7_7pointerISA_NS7_11hip_rocprim3tagENS7_11use_defaultESJ_EEEEPSB_SM_NS0_5tupleIJPSA_SM_EEENSN_IJSM_SM_EEESB_PlJ10is_orderedEEE10hipError_tPvRmT3_T4_T5_T6_T7_T9_mT8_P12ihipStream_tbDpT10_ENKUlT_T0_E_clISt17integral_constantIbLb1EES1C_EEDaS17_S18_EUlS17_E_NS1_11comp_targetILNS1_3genE0ELNS1_11target_archE4294967295ELNS1_3gpuE0ELNS1_3repE0EEENS1_30default_config_static_selectorELNS0_4arch9wavefront6targetE1EEEvT1_.kd
    .uniform_work_group_size: 1
    .uses_dynamic_stack: false
    .vgpr_count:     0
    .vgpr_spill_count: 0
    .wavefront_size: 64
  - .agpr_count:     0
    .args:
      - .offset:         0
        .size:           136
        .value_kind:     by_value
    .group_segment_fixed_size: 0
    .kernarg_segment_align: 8
    .kernarg_segment_size: 136
    .language:       OpenCL C
    .language_version:
      - 2
      - 0
    .max_flat_workgroup_size: 384
    .name:           _ZN7rocprim17ROCPRIM_400000_NS6detail17trampoline_kernelINS0_14default_configENS1_25partition_config_selectorILNS1_17partition_subalgoE3EN6thrust23THRUST_200600_302600_NS5tupleIxxNS7_9null_typeES9_S9_S9_S9_S9_S9_S9_EENS0_10empty_typeEbEEZZNS1_14partition_implILS5_3ELb0ES3_jNS7_6detail15normal_iteratorINS7_7pointerISA_NS7_11hip_rocprim3tagENS7_11use_defaultESJ_EEEEPSB_SM_NS0_5tupleIJPSA_SM_EEENSN_IJSM_SM_EEESB_PlJ10is_orderedEEE10hipError_tPvRmT3_T4_T5_T6_T7_T9_mT8_P12ihipStream_tbDpT10_ENKUlT_T0_E_clISt17integral_constantIbLb1EES1C_EEDaS17_S18_EUlS17_E_NS1_11comp_targetILNS1_3genE5ELNS1_11target_archE942ELNS1_3gpuE9ELNS1_3repE0EEENS1_30default_config_static_selectorELNS0_4arch9wavefront6targetE1EEEvT1_
    .private_segment_fixed_size: 0
    .sgpr_count:     4
    .sgpr_spill_count: 0
    .symbol:         _ZN7rocprim17ROCPRIM_400000_NS6detail17trampoline_kernelINS0_14default_configENS1_25partition_config_selectorILNS1_17partition_subalgoE3EN6thrust23THRUST_200600_302600_NS5tupleIxxNS7_9null_typeES9_S9_S9_S9_S9_S9_S9_EENS0_10empty_typeEbEEZZNS1_14partition_implILS5_3ELb0ES3_jNS7_6detail15normal_iteratorINS7_7pointerISA_NS7_11hip_rocprim3tagENS7_11use_defaultESJ_EEEEPSB_SM_NS0_5tupleIJPSA_SM_EEENSN_IJSM_SM_EEESB_PlJ10is_orderedEEE10hipError_tPvRmT3_T4_T5_T6_T7_T9_mT8_P12ihipStream_tbDpT10_ENKUlT_T0_E_clISt17integral_constantIbLb1EES1C_EEDaS17_S18_EUlS17_E_NS1_11comp_targetILNS1_3genE5ELNS1_11target_archE942ELNS1_3gpuE9ELNS1_3repE0EEENS1_30default_config_static_selectorELNS0_4arch9wavefront6targetE1EEEvT1_.kd
    .uniform_work_group_size: 1
    .uses_dynamic_stack: false
    .vgpr_count:     0
    .vgpr_spill_count: 0
    .wavefront_size: 64
  - .agpr_count:     0
    .args:
      - .offset:         0
        .size:           136
        .value_kind:     by_value
    .group_segment_fixed_size: 12296
    .kernarg_segment_align: 8
    .kernarg_segment_size: 136
    .language:       OpenCL C
    .language_version:
      - 2
      - 0
    .max_flat_workgroup_size: 256
    .name:           _ZN7rocprim17ROCPRIM_400000_NS6detail17trampoline_kernelINS0_14default_configENS1_25partition_config_selectorILNS1_17partition_subalgoE3EN6thrust23THRUST_200600_302600_NS5tupleIxxNS7_9null_typeES9_S9_S9_S9_S9_S9_S9_EENS0_10empty_typeEbEEZZNS1_14partition_implILS5_3ELb0ES3_jNS7_6detail15normal_iteratorINS7_7pointerISA_NS7_11hip_rocprim3tagENS7_11use_defaultESJ_EEEEPSB_SM_NS0_5tupleIJPSA_SM_EEENSN_IJSM_SM_EEESB_PlJ10is_orderedEEE10hipError_tPvRmT3_T4_T5_T6_T7_T9_mT8_P12ihipStream_tbDpT10_ENKUlT_T0_E_clISt17integral_constantIbLb1EES1C_EEDaS17_S18_EUlS17_E_NS1_11comp_targetILNS1_3genE4ELNS1_11target_archE910ELNS1_3gpuE8ELNS1_3repE0EEENS1_30default_config_static_selectorELNS0_4arch9wavefront6targetE1EEEvT1_
    .private_segment_fixed_size: 0
    .sgpr_count:     50
    .sgpr_spill_count: 0
    .symbol:         _ZN7rocprim17ROCPRIM_400000_NS6detail17trampoline_kernelINS0_14default_configENS1_25partition_config_selectorILNS1_17partition_subalgoE3EN6thrust23THRUST_200600_302600_NS5tupleIxxNS7_9null_typeES9_S9_S9_S9_S9_S9_S9_EENS0_10empty_typeEbEEZZNS1_14partition_implILS5_3ELb0ES3_jNS7_6detail15normal_iteratorINS7_7pointerISA_NS7_11hip_rocprim3tagENS7_11use_defaultESJ_EEEEPSB_SM_NS0_5tupleIJPSA_SM_EEENSN_IJSM_SM_EEESB_PlJ10is_orderedEEE10hipError_tPvRmT3_T4_T5_T6_T7_T9_mT8_P12ihipStream_tbDpT10_ENKUlT_T0_E_clISt17integral_constantIbLb1EES1C_EEDaS17_S18_EUlS17_E_NS1_11comp_targetILNS1_3genE4ELNS1_11target_archE910ELNS1_3gpuE8ELNS1_3repE0EEENS1_30default_config_static_selectorELNS0_4arch9wavefront6targetE1EEEvT1_.kd
    .uniform_work_group_size: 1
    .uses_dynamic_stack: false
    .vgpr_count:     51
    .vgpr_spill_count: 0
    .wavefront_size: 64
  - .agpr_count:     0
    .args:
      - .offset:         0
        .size:           136
        .value_kind:     by_value
    .group_segment_fixed_size: 0
    .kernarg_segment_align: 8
    .kernarg_segment_size: 136
    .language:       OpenCL C
    .language_version:
      - 2
      - 0
    .max_flat_workgroup_size: 128
    .name:           _ZN7rocprim17ROCPRIM_400000_NS6detail17trampoline_kernelINS0_14default_configENS1_25partition_config_selectorILNS1_17partition_subalgoE3EN6thrust23THRUST_200600_302600_NS5tupleIxxNS7_9null_typeES9_S9_S9_S9_S9_S9_S9_EENS0_10empty_typeEbEEZZNS1_14partition_implILS5_3ELb0ES3_jNS7_6detail15normal_iteratorINS7_7pointerISA_NS7_11hip_rocprim3tagENS7_11use_defaultESJ_EEEEPSB_SM_NS0_5tupleIJPSA_SM_EEENSN_IJSM_SM_EEESB_PlJ10is_orderedEEE10hipError_tPvRmT3_T4_T5_T6_T7_T9_mT8_P12ihipStream_tbDpT10_ENKUlT_T0_E_clISt17integral_constantIbLb1EES1C_EEDaS17_S18_EUlS17_E_NS1_11comp_targetILNS1_3genE3ELNS1_11target_archE908ELNS1_3gpuE7ELNS1_3repE0EEENS1_30default_config_static_selectorELNS0_4arch9wavefront6targetE1EEEvT1_
    .private_segment_fixed_size: 0
    .sgpr_count:     4
    .sgpr_spill_count: 0
    .symbol:         _ZN7rocprim17ROCPRIM_400000_NS6detail17trampoline_kernelINS0_14default_configENS1_25partition_config_selectorILNS1_17partition_subalgoE3EN6thrust23THRUST_200600_302600_NS5tupleIxxNS7_9null_typeES9_S9_S9_S9_S9_S9_S9_EENS0_10empty_typeEbEEZZNS1_14partition_implILS5_3ELb0ES3_jNS7_6detail15normal_iteratorINS7_7pointerISA_NS7_11hip_rocprim3tagENS7_11use_defaultESJ_EEEEPSB_SM_NS0_5tupleIJPSA_SM_EEENSN_IJSM_SM_EEESB_PlJ10is_orderedEEE10hipError_tPvRmT3_T4_T5_T6_T7_T9_mT8_P12ihipStream_tbDpT10_ENKUlT_T0_E_clISt17integral_constantIbLb1EES1C_EEDaS17_S18_EUlS17_E_NS1_11comp_targetILNS1_3genE3ELNS1_11target_archE908ELNS1_3gpuE7ELNS1_3repE0EEENS1_30default_config_static_selectorELNS0_4arch9wavefront6targetE1EEEvT1_.kd
    .uniform_work_group_size: 1
    .uses_dynamic_stack: false
    .vgpr_count:     0
    .vgpr_spill_count: 0
    .wavefront_size: 64
  - .agpr_count:     0
    .args:
      - .offset:         0
        .size:           136
        .value_kind:     by_value
    .group_segment_fixed_size: 0
    .kernarg_segment_align: 8
    .kernarg_segment_size: 136
    .language:       OpenCL C
    .language_version:
      - 2
      - 0
    .max_flat_workgroup_size: 256
    .name:           _ZN7rocprim17ROCPRIM_400000_NS6detail17trampoline_kernelINS0_14default_configENS1_25partition_config_selectorILNS1_17partition_subalgoE3EN6thrust23THRUST_200600_302600_NS5tupleIxxNS7_9null_typeES9_S9_S9_S9_S9_S9_S9_EENS0_10empty_typeEbEEZZNS1_14partition_implILS5_3ELb0ES3_jNS7_6detail15normal_iteratorINS7_7pointerISA_NS7_11hip_rocprim3tagENS7_11use_defaultESJ_EEEEPSB_SM_NS0_5tupleIJPSA_SM_EEENSN_IJSM_SM_EEESB_PlJ10is_orderedEEE10hipError_tPvRmT3_T4_T5_T6_T7_T9_mT8_P12ihipStream_tbDpT10_ENKUlT_T0_E_clISt17integral_constantIbLb1EES1C_EEDaS17_S18_EUlS17_E_NS1_11comp_targetILNS1_3genE2ELNS1_11target_archE906ELNS1_3gpuE6ELNS1_3repE0EEENS1_30default_config_static_selectorELNS0_4arch9wavefront6targetE1EEEvT1_
    .private_segment_fixed_size: 0
    .sgpr_count:     4
    .sgpr_spill_count: 0
    .symbol:         _ZN7rocprim17ROCPRIM_400000_NS6detail17trampoline_kernelINS0_14default_configENS1_25partition_config_selectorILNS1_17partition_subalgoE3EN6thrust23THRUST_200600_302600_NS5tupleIxxNS7_9null_typeES9_S9_S9_S9_S9_S9_S9_EENS0_10empty_typeEbEEZZNS1_14partition_implILS5_3ELb0ES3_jNS7_6detail15normal_iteratorINS7_7pointerISA_NS7_11hip_rocprim3tagENS7_11use_defaultESJ_EEEEPSB_SM_NS0_5tupleIJPSA_SM_EEENSN_IJSM_SM_EEESB_PlJ10is_orderedEEE10hipError_tPvRmT3_T4_T5_T6_T7_T9_mT8_P12ihipStream_tbDpT10_ENKUlT_T0_E_clISt17integral_constantIbLb1EES1C_EEDaS17_S18_EUlS17_E_NS1_11comp_targetILNS1_3genE2ELNS1_11target_archE906ELNS1_3gpuE6ELNS1_3repE0EEENS1_30default_config_static_selectorELNS0_4arch9wavefront6targetE1EEEvT1_.kd
    .uniform_work_group_size: 1
    .uses_dynamic_stack: false
    .vgpr_count:     0
    .vgpr_spill_count: 0
    .wavefront_size: 64
  - .agpr_count:     0
    .args:
      - .offset:         0
        .size:           136
        .value_kind:     by_value
    .group_segment_fixed_size: 0
    .kernarg_segment_align: 8
    .kernarg_segment_size: 136
    .language:       OpenCL C
    .language_version:
      - 2
      - 0
    .max_flat_workgroup_size: 256
    .name:           _ZN7rocprim17ROCPRIM_400000_NS6detail17trampoline_kernelINS0_14default_configENS1_25partition_config_selectorILNS1_17partition_subalgoE3EN6thrust23THRUST_200600_302600_NS5tupleIxxNS7_9null_typeES9_S9_S9_S9_S9_S9_S9_EENS0_10empty_typeEbEEZZNS1_14partition_implILS5_3ELb0ES3_jNS7_6detail15normal_iteratorINS7_7pointerISA_NS7_11hip_rocprim3tagENS7_11use_defaultESJ_EEEEPSB_SM_NS0_5tupleIJPSA_SM_EEENSN_IJSM_SM_EEESB_PlJ10is_orderedEEE10hipError_tPvRmT3_T4_T5_T6_T7_T9_mT8_P12ihipStream_tbDpT10_ENKUlT_T0_E_clISt17integral_constantIbLb1EES1C_EEDaS17_S18_EUlS17_E_NS1_11comp_targetILNS1_3genE10ELNS1_11target_archE1200ELNS1_3gpuE4ELNS1_3repE0EEENS1_30default_config_static_selectorELNS0_4arch9wavefront6targetE1EEEvT1_
    .private_segment_fixed_size: 0
    .sgpr_count:     4
    .sgpr_spill_count: 0
    .symbol:         _ZN7rocprim17ROCPRIM_400000_NS6detail17trampoline_kernelINS0_14default_configENS1_25partition_config_selectorILNS1_17partition_subalgoE3EN6thrust23THRUST_200600_302600_NS5tupleIxxNS7_9null_typeES9_S9_S9_S9_S9_S9_S9_EENS0_10empty_typeEbEEZZNS1_14partition_implILS5_3ELb0ES3_jNS7_6detail15normal_iteratorINS7_7pointerISA_NS7_11hip_rocprim3tagENS7_11use_defaultESJ_EEEEPSB_SM_NS0_5tupleIJPSA_SM_EEENSN_IJSM_SM_EEESB_PlJ10is_orderedEEE10hipError_tPvRmT3_T4_T5_T6_T7_T9_mT8_P12ihipStream_tbDpT10_ENKUlT_T0_E_clISt17integral_constantIbLb1EES1C_EEDaS17_S18_EUlS17_E_NS1_11comp_targetILNS1_3genE10ELNS1_11target_archE1200ELNS1_3gpuE4ELNS1_3repE0EEENS1_30default_config_static_selectorELNS0_4arch9wavefront6targetE1EEEvT1_.kd
    .uniform_work_group_size: 1
    .uses_dynamic_stack: false
    .vgpr_count:     0
    .vgpr_spill_count: 0
    .wavefront_size: 64
  - .agpr_count:     0
    .args:
      - .offset:         0
        .size:           136
        .value_kind:     by_value
    .group_segment_fixed_size: 0
    .kernarg_segment_align: 8
    .kernarg_segment_size: 136
    .language:       OpenCL C
    .language_version:
      - 2
      - 0
    .max_flat_workgroup_size: 512
    .name:           _ZN7rocprim17ROCPRIM_400000_NS6detail17trampoline_kernelINS0_14default_configENS1_25partition_config_selectorILNS1_17partition_subalgoE3EN6thrust23THRUST_200600_302600_NS5tupleIxxNS7_9null_typeES9_S9_S9_S9_S9_S9_S9_EENS0_10empty_typeEbEEZZNS1_14partition_implILS5_3ELb0ES3_jNS7_6detail15normal_iteratorINS7_7pointerISA_NS7_11hip_rocprim3tagENS7_11use_defaultESJ_EEEEPSB_SM_NS0_5tupleIJPSA_SM_EEENSN_IJSM_SM_EEESB_PlJ10is_orderedEEE10hipError_tPvRmT3_T4_T5_T6_T7_T9_mT8_P12ihipStream_tbDpT10_ENKUlT_T0_E_clISt17integral_constantIbLb1EES1C_EEDaS17_S18_EUlS17_E_NS1_11comp_targetILNS1_3genE9ELNS1_11target_archE1100ELNS1_3gpuE3ELNS1_3repE0EEENS1_30default_config_static_selectorELNS0_4arch9wavefront6targetE1EEEvT1_
    .private_segment_fixed_size: 0
    .sgpr_count:     4
    .sgpr_spill_count: 0
    .symbol:         _ZN7rocprim17ROCPRIM_400000_NS6detail17trampoline_kernelINS0_14default_configENS1_25partition_config_selectorILNS1_17partition_subalgoE3EN6thrust23THRUST_200600_302600_NS5tupleIxxNS7_9null_typeES9_S9_S9_S9_S9_S9_S9_EENS0_10empty_typeEbEEZZNS1_14partition_implILS5_3ELb0ES3_jNS7_6detail15normal_iteratorINS7_7pointerISA_NS7_11hip_rocprim3tagENS7_11use_defaultESJ_EEEEPSB_SM_NS0_5tupleIJPSA_SM_EEENSN_IJSM_SM_EEESB_PlJ10is_orderedEEE10hipError_tPvRmT3_T4_T5_T6_T7_T9_mT8_P12ihipStream_tbDpT10_ENKUlT_T0_E_clISt17integral_constantIbLb1EES1C_EEDaS17_S18_EUlS17_E_NS1_11comp_targetILNS1_3genE9ELNS1_11target_archE1100ELNS1_3gpuE3ELNS1_3repE0EEENS1_30default_config_static_selectorELNS0_4arch9wavefront6targetE1EEEvT1_.kd
    .uniform_work_group_size: 1
    .uses_dynamic_stack: false
    .vgpr_count:     0
    .vgpr_spill_count: 0
    .wavefront_size: 64
  - .agpr_count:     0
    .args:
      - .offset:         0
        .size:           136
        .value_kind:     by_value
    .group_segment_fixed_size: 0
    .kernarg_segment_align: 8
    .kernarg_segment_size: 136
    .language:       OpenCL C
    .language_version:
      - 2
      - 0
    .max_flat_workgroup_size: 256
    .name:           _ZN7rocprim17ROCPRIM_400000_NS6detail17trampoline_kernelINS0_14default_configENS1_25partition_config_selectorILNS1_17partition_subalgoE3EN6thrust23THRUST_200600_302600_NS5tupleIxxNS7_9null_typeES9_S9_S9_S9_S9_S9_S9_EENS0_10empty_typeEbEEZZNS1_14partition_implILS5_3ELb0ES3_jNS7_6detail15normal_iteratorINS7_7pointerISA_NS7_11hip_rocprim3tagENS7_11use_defaultESJ_EEEEPSB_SM_NS0_5tupleIJPSA_SM_EEENSN_IJSM_SM_EEESB_PlJ10is_orderedEEE10hipError_tPvRmT3_T4_T5_T6_T7_T9_mT8_P12ihipStream_tbDpT10_ENKUlT_T0_E_clISt17integral_constantIbLb1EES1C_EEDaS17_S18_EUlS17_E_NS1_11comp_targetILNS1_3genE8ELNS1_11target_archE1030ELNS1_3gpuE2ELNS1_3repE0EEENS1_30default_config_static_selectorELNS0_4arch9wavefront6targetE1EEEvT1_
    .private_segment_fixed_size: 0
    .sgpr_count:     4
    .sgpr_spill_count: 0
    .symbol:         _ZN7rocprim17ROCPRIM_400000_NS6detail17trampoline_kernelINS0_14default_configENS1_25partition_config_selectorILNS1_17partition_subalgoE3EN6thrust23THRUST_200600_302600_NS5tupleIxxNS7_9null_typeES9_S9_S9_S9_S9_S9_S9_EENS0_10empty_typeEbEEZZNS1_14partition_implILS5_3ELb0ES3_jNS7_6detail15normal_iteratorINS7_7pointerISA_NS7_11hip_rocprim3tagENS7_11use_defaultESJ_EEEEPSB_SM_NS0_5tupleIJPSA_SM_EEENSN_IJSM_SM_EEESB_PlJ10is_orderedEEE10hipError_tPvRmT3_T4_T5_T6_T7_T9_mT8_P12ihipStream_tbDpT10_ENKUlT_T0_E_clISt17integral_constantIbLb1EES1C_EEDaS17_S18_EUlS17_E_NS1_11comp_targetILNS1_3genE8ELNS1_11target_archE1030ELNS1_3gpuE2ELNS1_3repE0EEENS1_30default_config_static_selectorELNS0_4arch9wavefront6targetE1EEEvT1_.kd
    .uniform_work_group_size: 1
    .uses_dynamic_stack: false
    .vgpr_count:     0
    .vgpr_spill_count: 0
    .wavefront_size: 64
  - .agpr_count:     0
    .args:
      - .offset:         0
        .size:           120
        .value_kind:     by_value
    .group_segment_fixed_size: 0
    .kernarg_segment_align: 8
    .kernarg_segment_size: 120
    .language:       OpenCL C
    .language_version:
      - 2
      - 0
    .max_flat_workgroup_size: 128
    .name:           _ZN7rocprim17ROCPRIM_400000_NS6detail17trampoline_kernelINS0_14default_configENS1_25partition_config_selectorILNS1_17partition_subalgoE3EN6thrust23THRUST_200600_302600_NS5tupleIxxNS7_9null_typeES9_S9_S9_S9_S9_S9_S9_EENS0_10empty_typeEbEEZZNS1_14partition_implILS5_3ELb0ES3_jNS7_6detail15normal_iteratorINS7_7pointerISA_NS7_11hip_rocprim3tagENS7_11use_defaultESJ_EEEEPSB_SM_NS0_5tupleIJPSA_SM_EEENSN_IJSM_SM_EEESB_PlJ10is_orderedEEE10hipError_tPvRmT3_T4_T5_T6_T7_T9_mT8_P12ihipStream_tbDpT10_ENKUlT_T0_E_clISt17integral_constantIbLb1EES1B_IbLb0EEEEDaS17_S18_EUlS17_E_NS1_11comp_targetILNS1_3genE0ELNS1_11target_archE4294967295ELNS1_3gpuE0ELNS1_3repE0EEENS1_30default_config_static_selectorELNS0_4arch9wavefront6targetE1EEEvT1_
    .private_segment_fixed_size: 0
    .sgpr_count:     4
    .sgpr_spill_count: 0
    .symbol:         _ZN7rocprim17ROCPRIM_400000_NS6detail17trampoline_kernelINS0_14default_configENS1_25partition_config_selectorILNS1_17partition_subalgoE3EN6thrust23THRUST_200600_302600_NS5tupleIxxNS7_9null_typeES9_S9_S9_S9_S9_S9_S9_EENS0_10empty_typeEbEEZZNS1_14partition_implILS5_3ELb0ES3_jNS7_6detail15normal_iteratorINS7_7pointerISA_NS7_11hip_rocprim3tagENS7_11use_defaultESJ_EEEEPSB_SM_NS0_5tupleIJPSA_SM_EEENSN_IJSM_SM_EEESB_PlJ10is_orderedEEE10hipError_tPvRmT3_T4_T5_T6_T7_T9_mT8_P12ihipStream_tbDpT10_ENKUlT_T0_E_clISt17integral_constantIbLb1EES1B_IbLb0EEEEDaS17_S18_EUlS17_E_NS1_11comp_targetILNS1_3genE0ELNS1_11target_archE4294967295ELNS1_3gpuE0ELNS1_3repE0EEENS1_30default_config_static_selectorELNS0_4arch9wavefront6targetE1EEEvT1_.kd
    .uniform_work_group_size: 1
    .uses_dynamic_stack: false
    .vgpr_count:     0
    .vgpr_spill_count: 0
    .wavefront_size: 64
  - .agpr_count:     0
    .args:
      - .offset:         0
        .size:           120
        .value_kind:     by_value
    .group_segment_fixed_size: 0
    .kernarg_segment_align: 8
    .kernarg_segment_size: 120
    .language:       OpenCL C
    .language_version:
      - 2
      - 0
    .max_flat_workgroup_size: 384
    .name:           _ZN7rocprim17ROCPRIM_400000_NS6detail17trampoline_kernelINS0_14default_configENS1_25partition_config_selectorILNS1_17partition_subalgoE3EN6thrust23THRUST_200600_302600_NS5tupleIxxNS7_9null_typeES9_S9_S9_S9_S9_S9_S9_EENS0_10empty_typeEbEEZZNS1_14partition_implILS5_3ELb0ES3_jNS7_6detail15normal_iteratorINS7_7pointerISA_NS7_11hip_rocprim3tagENS7_11use_defaultESJ_EEEEPSB_SM_NS0_5tupleIJPSA_SM_EEENSN_IJSM_SM_EEESB_PlJ10is_orderedEEE10hipError_tPvRmT3_T4_T5_T6_T7_T9_mT8_P12ihipStream_tbDpT10_ENKUlT_T0_E_clISt17integral_constantIbLb1EES1B_IbLb0EEEEDaS17_S18_EUlS17_E_NS1_11comp_targetILNS1_3genE5ELNS1_11target_archE942ELNS1_3gpuE9ELNS1_3repE0EEENS1_30default_config_static_selectorELNS0_4arch9wavefront6targetE1EEEvT1_
    .private_segment_fixed_size: 0
    .sgpr_count:     4
    .sgpr_spill_count: 0
    .symbol:         _ZN7rocprim17ROCPRIM_400000_NS6detail17trampoline_kernelINS0_14default_configENS1_25partition_config_selectorILNS1_17partition_subalgoE3EN6thrust23THRUST_200600_302600_NS5tupleIxxNS7_9null_typeES9_S9_S9_S9_S9_S9_S9_EENS0_10empty_typeEbEEZZNS1_14partition_implILS5_3ELb0ES3_jNS7_6detail15normal_iteratorINS7_7pointerISA_NS7_11hip_rocprim3tagENS7_11use_defaultESJ_EEEEPSB_SM_NS0_5tupleIJPSA_SM_EEENSN_IJSM_SM_EEESB_PlJ10is_orderedEEE10hipError_tPvRmT3_T4_T5_T6_T7_T9_mT8_P12ihipStream_tbDpT10_ENKUlT_T0_E_clISt17integral_constantIbLb1EES1B_IbLb0EEEEDaS17_S18_EUlS17_E_NS1_11comp_targetILNS1_3genE5ELNS1_11target_archE942ELNS1_3gpuE9ELNS1_3repE0EEENS1_30default_config_static_selectorELNS0_4arch9wavefront6targetE1EEEvT1_.kd
    .uniform_work_group_size: 1
    .uses_dynamic_stack: false
    .vgpr_count:     0
    .vgpr_spill_count: 0
    .wavefront_size: 64
  - .agpr_count:     0
    .args:
      - .offset:         0
        .size:           120
        .value_kind:     by_value
    .group_segment_fixed_size: 12296
    .kernarg_segment_align: 8
    .kernarg_segment_size: 120
    .language:       OpenCL C
    .language_version:
      - 2
      - 0
    .max_flat_workgroup_size: 256
    .name:           _ZN7rocprim17ROCPRIM_400000_NS6detail17trampoline_kernelINS0_14default_configENS1_25partition_config_selectorILNS1_17partition_subalgoE3EN6thrust23THRUST_200600_302600_NS5tupleIxxNS7_9null_typeES9_S9_S9_S9_S9_S9_S9_EENS0_10empty_typeEbEEZZNS1_14partition_implILS5_3ELb0ES3_jNS7_6detail15normal_iteratorINS7_7pointerISA_NS7_11hip_rocprim3tagENS7_11use_defaultESJ_EEEEPSB_SM_NS0_5tupleIJPSA_SM_EEENSN_IJSM_SM_EEESB_PlJ10is_orderedEEE10hipError_tPvRmT3_T4_T5_T6_T7_T9_mT8_P12ihipStream_tbDpT10_ENKUlT_T0_E_clISt17integral_constantIbLb1EES1B_IbLb0EEEEDaS17_S18_EUlS17_E_NS1_11comp_targetILNS1_3genE4ELNS1_11target_archE910ELNS1_3gpuE8ELNS1_3repE0EEENS1_30default_config_static_selectorELNS0_4arch9wavefront6targetE1EEEvT1_
    .private_segment_fixed_size: 0
    .sgpr_count:     52
    .sgpr_spill_count: 0
    .symbol:         _ZN7rocprim17ROCPRIM_400000_NS6detail17trampoline_kernelINS0_14default_configENS1_25partition_config_selectorILNS1_17partition_subalgoE3EN6thrust23THRUST_200600_302600_NS5tupleIxxNS7_9null_typeES9_S9_S9_S9_S9_S9_S9_EENS0_10empty_typeEbEEZZNS1_14partition_implILS5_3ELb0ES3_jNS7_6detail15normal_iteratorINS7_7pointerISA_NS7_11hip_rocprim3tagENS7_11use_defaultESJ_EEEEPSB_SM_NS0_5tupleIJPSA_SM_EEENSN_IJSM_SM_EEESB_PlJ10is_orderedEEE10hipError_tPvRmT3_T4_T5_T6_T7_T9_mT8_P12ihipStream_tbDpT10_ENKUlT_T0_E_clISt17integral_constantIbLb1EES1B_IbLb0EEEEDaS17_S18_EUlS17_E_NS1_11comp_targetILNS1_3genE4ELNS1_11target_archE910ELNS1_3gpuE8ELNS1_3repE0EEENS1_30default_config_static_selectorELNS0_4arch9wavefront6targetE1EEEvT1_.kd
    .uniform_work_group_size: 1
    .uses_dynamic_stack: false
    .vgpr_count:     48
    .vgpr_spill_count: 0
    .wavefront_size: 64
  - .agpr_count:     0
    .args:
      - .offset:         0
        .size:           120
        .value_kind:     by_value
    .group_segment_fixed_size: 0
    .kernarg_segment_align: 8
    .kernarg_segment_size: 120
    .language:       OpenCL C
    .language_version:
      - 2
      - 0
    .max_flat_workgroup_size: 128
    .name:           _ZN7rocprim17ROCPRIM_400000_NS6detail17trampoline_kernelINS0_14default_configENS1_25partition_config_selectorILNS1_17partition_subalgoE3EN6thrust23THRUST_200600_302600_NS5tupleIxxNS7_9null_typeES9_S9_S9_S9_S9_S9_S9_EENS0_10empty_typeEbEEZZNS1_14partition_implILS5_3ELb0ES3_jNS7_6detail15normal_iteratorINS7_7pointerISA_NS7_11hip_rocprim3tagENS7_11use_defaultESJ_EEEEPSB_SM_NS0_5tupleIJPSA_SM_EEENSN_IJSM_SM_EEESB_PlJ10is_orderedEEE10hipError_tPvRmT3_T4_T5_T6_T7_T9_mT8_P12ihipStream_tbDpT10_ENKUlT_T0_E_clISt17integral_constantIbLb1EES1B_IbLb0EEEEDaS17_S18_EUlS17_E_NS1_11comp_targetILNS1_3genE3ELNS1_11target_archE908ELNS1_3gpuE7ELNS1_3repE0EEENS1_30default_config_static_selectorELNS0_4arch9wavefront6targetE1EEEvT1_
    .private_segment_fixed_size: 0
    .sgpr_count:     4
    .sgpr_spill_count: 0
    .symbol:         _ZN7rocprim17ROCPRIM_400000_NS6detail17trampoline_kernelINS0_14default_configENS1_25partition_config_selectorILNS1_17partition_subalgoE3EN6thrust23THRUST_200600_302600_NS5tupleIxxNS7_9null_typeES9_S9_S9_S9_S9_S9_S9_EENS0_10empty_typeEbEEZZNS1_14partition_implILS5_3ELb0ES3_jNS7_6detail15normal_iteratorINS7_7pointerISA_NS7_11hip_rocprim3tagENS7_11use_defaultESJ_EEEEPSB_SM_NS0_5tupleIJPSA_SM_EEENSN_IJSM_SM_EEESB_PlJ10is_orderedEEE10hipError_tPvRmT3_T4_T5_T6_T7_T9_mT8_P12ihipStream_tbDpT10_ENKUlT_T0_E_clISt17integral_constantIbLb1EES1B_IbLb0EEEEDaS17_S18_EUlS17_E_NS1_11comp_targetILNS1_3genE3ELNS1_11target_archE908ELNS1_3gpuE7ELNS1_3repE0EEENS1_30default_config_static_selectorELNS0_4arch9wavefront6targetE1EEEvT1_.kd
    .uniform_work_group_size: 1
    .uses_dynamic_stack: false
    .vgpr_count:     0
    .vgpr_spill_count: 0
    .wavefront_size: 64
  - .agpr_count:     0
    .args:
      - .offset:         0
        .size:           120
        .value_kind:     by_value
    .group_segment_fixed_size: 0
    .kernarg_segment_align: 8
    .kernarg_segment_size: 120
    .language:       OpenCL C
    .language_version:
      - 2
      - 0
    .max_flat_workgroup_size: 256
    .name:           _ZN7rocprim17ROCPRIM_400000_NS6detail17trampoline_kernelINS0_14default_configENS1_25partition_config_selectorILNS1_17partition_subalgoE3EN6thrust23THRUST_200600_302600_NS5tupleIxxNS7_9null_typeES9_S9_S9_S9_S9_S9_S9_EENS0_10empty_typeEbEEZZNS1_14partition_implILS5_3ELb0ES3_jNS7_6detail15normal_iteratorINS7_7pointerISA_NS7_11hip_rocprim3tagENS7_11use_defaultESJ_EEEEPSB_SM_NS0_5tupleIJPSA_SM_EEENSN_IJSM_SM_EEESB_PlJ10is_orderedEEE10hipError_tPvRmT3_T4_T5_T6_T7_T9_mT8_P12ihipStream_tbDpT10_ENKUlT_T0_E_clISt17integral_constantIbLb1EES1B_IbLb0EEEEDaS17_S18_EUlS17_E_NS1_11comp_targetILNS1_3genE2ELNS1_11target_archE906ELNS1_3gpuE6ELNS1_3repE0EEENS1_30default_config_static_selectorELNS0_4arch9wavefront6targetE1EEEvT1_
    .private_segment_fixed_size: 0
    .sgpr_count:     4
    .sgpr_spill_count: 0
    .symbol:         _ZN7rocprim17ROCPRIM_400000_NS6detail17trampoline_kernelINS0_14default_configENS1_25partition_config_selectorILNS1_17partition_subalgoE3EN6thrust23THRUST_200600_302600_NS5tupleIxxNS7_9null_typeES9_S9_S9_S9_S9_S9_S9_EENS0_10empty_typeEbEEZZNS1_14partition_implILS5_3ELb0ES3_jNS7_6detail15normal_iteratorINS7_7pointerISA_NS7_11hip_rocprim3tagENS7_11use_defaultESJ_EEEEPSB_SM_NS0_5tupleIJPSA_SM_EEENSN_IJSM_SM_EEESB_PlJ10is_orderedEEE10hipError_tPvRmT3_T4_T5_T6_T7_T9_mT8_P12ihipStream_tbDpT10_ENKUlT_T0_E_clISt17integral_constantIbLb1EES1B_IbLb0EEEEDaS17_S18_EUlS17_E_NS1_11comp_targetILNS1_3genE2ELNS1_11target_archE906ELNS1_3gpuE6ELNS1_3repE0EEENS1_30default_config_static_selectorELNS0_4arch9wavefront6targetE1EEEvT1_.kd
    .uniform_work_group_size: 1
    .uses_dynamic_stack: false
    .vgpr_count:     0
    .vgpr_spill_count: 0
    .wavefront_size: 64
  - .agpr_count:     0
    .args:
      - .offset:         0
        .size:           120
        .value_kind:     by_value
    .group_segment_fixed_size: 0
    .kernarg_segment_align: 8
    .kernarg_segment_size: 120
    .language:       OpenCL C
    .language_version:
      - 2
      - 0
    .max_flat_workgroup_size: 256
    .name:           _ZN7rocprim17ROCPRIM_400000_NS6detail17trampoline_kernelINS0_14default_configENS1_25partition_config_selectorILNS1_17partition_subalgoE3EN6thrust23THRUST_200600_302600_NS5tupleIxxNS7_9null_typeES9_S9_S9_S9_S9_S9_S9_EENS0_10empty_typeEbEEZZNS1_14partition_implILS5_3ELb0ES3_jNS7_6detail15normal_iteratorINS7_7pointerISA_NS7_11hip_rocprim3tagENS7_11use_defaultESJ_EEEEPSB_SM_NS0_5tupleIJPSA_SM_EEENSN_IJSM_SM_EEESB_PlJ10is_orderedEEE10hipError_tPvRmT3_T4_T5_T6_T7_T9_mT8_P12ihipStream_tbDpT10_ENKUlT_T0_E_clISt17integral_constantIbLb1EES1B_IbLb0EEEEDaS17_S18_EUlS17_E_NS1_11comp_targetILNS1_3genE10ELNS1_11target_archE1200ELNS1_3gpuE4ELNS1_3repE0EEENS1_30default_config_static_selectorELNS0_4arch9wavefront6targetE1EEEvT1_
    .private_segment_fixed_size: 0
    .sgpr_count:     4
    .sgpr_spill_count: 0
    .symbol:         _ZN7rocprim17ROCPRIM_400000_NS6detail17trampoline_kernelINS0_14default_configENS1_25partition_config_selectorILNS1_17partition_subalgoE3EN6thrust23THRUST_200600_302600_NS5tupleIxxNS7_9null_typeES9_S9_S9_S9_S9_S9_S9_EENS0_10empty_typeEbEEZZNS1_14partition_implILS5_3ELb0ES3_jNS7_6detail15normal_iteratorINS7_7pointerISA_NS7_11hip_rocprim3tagENS7_11use_defaultESJ_EEEEPSB_SM_NS0_5tupleIJPSA_SM_EEENSN_IJSM_SM_EEESB_PlJ10is_orderedEEE10hipError_tPvRmT3_T4_T5_T6_T7_T9_mT8_P12ihipStream_tbDpT10_ENKUlT_T0_E_clISt17integral_constantIbLb1EES1B_IbLb0EEEEDaS17_S18_EUlS17_E_NS1_11comp_targetILNS1_3genE10ELNS1_11target_archE1200ELNS1_3gpuE4ELNS1_3repE0EEENS1_30default_config_static_selectorELNS0_4arch9wavefront6targetE1EEEvT1_.kd
    .uniform_work_group_size: 1
    .uses_dynamic_stack: false
    .vgpr_count:     0
    .vgpr_spill_count: 0
    .wavefront_size: 64
  - .agpr_count:     0
    .args:
      - .offset:         0
        .size:           120
        .value_kind:     by_value
    .group_segment_fixed_size: 0
    .kernarg_segment_align: 8
    .kernarg_segment_size: 120
    .language:       OpenCL C
    .language_version:
      - 2
      - 0
    .max_flat_workgroup_size: 512
    .name:           _ZN7rocprim17ROCPRIM_400000_NS6detail17trampoline_kernelINS0_14default_configENS1_25partition_config_selectorILNS1_17partition_subalgoE3EN6thrust23THRUST_200600_302600_NS5tupleIxxNS7_9null_typeES9_S9_S9_S9_S9_S9_S9_EENS0_10empty_typeEbEEZZNS1_14partition_implILS5_3ELb0ES3_jNS7_6detail15normal_iteratorINS7_7pointerISA_NS7_11hip_rocprim3tagENS7_11use_defaultESJ_EEEEPSB_SM_NS0_5tupleIJPSA_SM_EEENSN_IJSM_SM_EEESB_PlJ10is_orderedEEE10hipError_tPvRmT3_T4_T5_T6_T7_T9_mT8_P12ihipStream_tbDpT10_ENKUlT_T0_E_clISt17integral_constantIbLb1EES1B_IbLb0EEEEDaS17_S18_EUlS17_E_NS1_11comp_targetILNS1_3genE9ELNS1_11target_archE1100ELNS1_3gpuE3ELNS1_3repE0EEENS1_30default_config_static_selectorELNS0_4arch9wavefront6targetE1EEEvT1_
    .private_segment_fixed_size: 0
    .sgpr_count:     4
    .sgpr_spill_count: 0
    .symbol:         _ZN7rocprim17ROCPRIM_400000_NS6detail17trampoline_kernelINS0_14default_configENS1_25partition_config_selectorILNS1_17partition_subalgoE3EN6thrust23THRUST_200600_302600_NS5tupleIxxNS7_9null_typeES9_S9_S9_S9_S9_S9_S9_EENS0_10empty_typeEbEEZZNS1_14partition_implILS5_3ELb0ES3_jNS7_6detail15normal_iteratorINS7_7pointerISA_NS7_11hip_rocprim3tagENS7_11use_defaultESJ_EEEEPSB_SM_NS0_5tupleIJPSA_SM_EEENSN_IJSM_SM_EEESB_PlJ10is_orderedEEE10hipError_tPvRmT3_T4_T5_T6_T7_T9_mT8_P12ihipStream_tbDpT10_ENKUlT_T0_E_clISt17integral_constantIbLb1EES1B_IbLb0EEEEDaS17_S18_EUlS17_E_NS1_11comp_targetILNS1_3genE9ELNS1_11target_archE1100ELNS1_3gpuE3ELNS1_3repE0EEENS1_30default_config_static_selectorELNS0_4arch9wavefront6targetE1EEEvT1_.kd
    .uniform_work_group_size: 1
    .uses_dynamic_stack: false
    .vgpr_count:     0
    .vgpr_spill_count: 0
    .wavefront_size: 64
  - .agpr_count:     0
    .args:
      - .offset:         0
        .size:           120
        .value_kind:     by_value
    .group_segment_fixed_size: 0
    .kernarg_segment_align: 8
    .kernarg_segment_size: 120
    .language:       OpenCL C
    .language_version:
      - 2
      - 0
    .max_flat_workgroup_size: 256
    .name:           _ZN7rocprim17ROCPRIM_400000_NS6detail17trampoline_kernelINS0_14default_configENS1_25partition_config_selectorILNS1_17partition_subalgoE3EN6thrust23THRUST_200600_302600_NS5tupleIxxNS7_9null_typeES9_S9_S9_S9_S9_S9_S9_EENS0_10empty_typeEbEEZZNS1_14partition_implILS5_3ELb0ES3_jNS7_6detail15normal_iteratorINS7_7pointerISA_NS7_11hip_rocprim3tagENS7_11use_defaultESJ_EEEEPSB_SM_NS0_5tupleIJPSA_SM_EEENSN_IJSM_SM_EEESB_PlJ10is_orderedEEE10hipError_tPvRmT3_T4_T5_T6_T7_T9_mT8_P12ihipStream_tbDpT10_ENKUlT_T0_E_clISt17integral_constantIbLb1EES1B_IbLb0EEEEDaS17_S18_EUlS17_E_NS1_11comp_targetILNS1_3genE8ELNS1_11target_archE1030ELNS1_3gpuE2ELNS1_3repE0EEENS1_30default_config_static_selectorELNS0_4arch9wavefront6targetE1EEEvT1_
    .private_segment_fixed_size: 0
    .sgpr_count:     4
    .sgpr_spill_count: 0
    .symbol:         _ZN7rocprim17ROCPRIM_400000_NS6detail17trampoline_kernelINS0_14default_configENS1_25partition_config_selectorILNS1_17partition_subalgoE3EN6thrust23THRUST_200600_302600_NS5tupleIxxNS7_9null_typeES9_S9_S9_S9_S9_S9_S9_EENS0_10empty_typeEbEEZZNS1_14partition_implILS5_3ELb0ES3_jNS7_6detail15normal_iteratorINS7_7pointerISA_NS7_11hip_rocprim3tagENS7_11use_defaultESJ_EEEEPSB_SM_NS0_5tupleIJPSA_SM_EEENSN_IJSM_SM_EEESB_PlJ10is_orderedEEE10hipError_tPvRmT3_T4_T5_T6_T7_T9_mT8_P12ihipStream_tbDpT10_ENKUlT_T0_E_clISt17integral_constantIbLb1EES1B_IbLb0EEEEDaS17_S18_EUlS17_E_NS1_11comp_targetILNS1_3genE8ELNS1_11target_archE1030ELNS1_3gpuE2ELNS1_3repE0EEENS1_30default_config_static_selectorELNS0_4arch9wavefront6targetE1EEEvT1_.kd
    .uniform_work_group_size: 1
    .uses_dynamic_stack: false
    .vgpr_count:     0
    .vgpr_spill_count: 0
    .wavefront_size: 64
  - .agpr_count:     0
    .args:
      - .offset:         0
        .size:           136
        .value_kind:     by_value
    .group_segment_fixed_size: 0
    .kernarg_segment_align: 8
    .kernarg_segment_size: 136
    .language:       OpenCL C
    .language_version:
      - 2
      - 0
    .max_flat_workgroup_size: 128
    .name:           _ZN7rocprim17ROCPRIM_400000_NS6detail17trampoline_kernelINS0_14default_configENS1_25partition_config_selectorILNS1_17partition_subalgoE3EN6thrust23THRUST_200600_302600_NS5tupleIxxNS7_9null_typeES9_S9_S9_S9_S9_S9_S9_EENS0_10empty_typeEbEEZZNS1_14partition_implILS5_3ELb0ES3_jNS7_6detail15normal_iteratorINS7_7pointerISA_NS7_11hip_rocprim3tagENS7_11use_defaultESJ_EEEEPSB_SM_NS0_5tupleIJPSA_SM_EEENSN_IJSM_SM_EEESB_PlJ10is_orderedEEE10hipError_tPvRmT3_T4_T5_T6_T7_T9_mT8_P12ihipStream_tbDpT10_ENKUlT_T0_E_clISt17integral_constantIbLb0EES1B_IbLb1EEEEDaS17_S18_EUlS17_E_NS1_11comp_targetILNS1_3genE0ELNS1_11target_archE4294967295ELNS1_3gpuE0ELNS1_3repE0EEENS1_30default_config_static_selectorELNS0_4arch9wavefront6targetE1EEEvT1_
    .private_segment_fixed_size: 0
    .sgpr_count:     4
    .sgpr_spill_count: 0
    .symbol:         _ZN7rocprim17ROCPRIM_400000_NS6detail17trampoline_kernelINS0_14default_configENS1_25partition_config_selectorILNS1_17partition_subalgoE3EN6thrust23THRUST_200600_302600_NS5tupleIxxNS7_9null_typeES9_S9_S9_S9_S9_S9_S9_EENS0_10empty_typeEbEEZZNS1_14partition_implILS5_3ELb0ES3_jNS7_6detail15normal_iteratorINS7_7pointerISA_NS7_11hip_rocprim3tagENS7_11use_defaultESJ_EEEEPSB_SM_NS0_5tupleIJPSA_SM_EEENSN_IJSM_SM_EEESB_PlJ10is_orderedEEE10hipError_tPvRmT3_T4_T5_T6_T7_T9_mT8_P12ihipStream_tbDpT10_ENKUlT_T0_E_clISt17integral_constantIbLb0EES1B_IbLb1EEEEDaS17_S18_EUlS17_E_NS1_11comp_targetILNS1_3genE0ELNS1_11target_archE4294967295ELNS1_3gpuE0ELNS1_3repE0EEENS1_30default_config_static_selectorELNS0_4arch9wavefront6targetE1EEEvT1_.kd
    .uniform_work_group_size: 1
    .uses_dynamic_stack: false
    .vgpr_count:     0
    .vgpr_spill_count: 0
    .wavefront_size: 64
  - .agpr_count:     0
    .args:
      - .offset:         0
        .size:           136
        .value_kind:     by_value
    .group_segment_fixed_size: 0
    .kernarg_segment_align: 8
    .kernarg_segment_size: 136
    .language:       OpenCL C
    .language_version:
      - 2
      - 0
    .max_flat_workgroup_size: 384
    .name:           _ZN7rocprim17ROCPRIM_400000_NS6detail17trampoline_kernelINS0_14default_configENS1_25partition_config_selectorILNS1_17partition_subalgoE3EN6thrust23THRUST_200600_302600_NS5tupleIxxNS7_9null_typeES9_S9_S9_S9_S9_S9_S9_EENS0_10empty_typeEbEEZZNS1_14partition_implILS5_3ELb0ES3_jNS7_6detail15normal_iteratorINS7_7pointerISA_NS7_11hip_rocprim3tagENS7_11use_defaultESJ_EEEEPSB_SM_NS0_5tupleIJPSA_SM_EEENSN_IJSM_SM_EEESB_PlJ10is_orderedEEE10hipError_tPvRmT3_T4_T5_T6_T7_T9_mT8_P12ihipStream_tbDpT10_ENKUlT_T0_E_clISt17integral_constantIbLb0EES1B_IbLb1EEEEDaS17_S18_EUlS17_E_NS1_11comp_targetILNS1_3genE5ELNS1_11target_archE942ELNS1_3gpuE9ELNS1_3repE0EEENS1_30default_config_static_selectorELNS0_4arch9wavefront6targetE1EEEvT1_
    .private_segment_fixed_size: 0
    .sgpr_count:     4
    .sgpr_spill_count: 0
    .symbol:         _ZN7rocprim17ROCPRIM_400000_NS6detail17trampoline_kernelINS0_14default_configENS1_25partition_config_selectorILNS1_17partition_subalgoE3EN6thrust23THRUST_200600_302600_NS5tupleIxxNS7_9null_typeES9_S9_S9_S9_S9_S9_S9_EENS0_10empty_typeEbEEZZNS1_14partition_implILS5_3ELb0ES3_jNS7_6detail15normal_iteratorINS7_7pointerISA_NS7_11hip_rocprim3tagENS7_11use_defaultESJ_EEEEPSB_SM_NS0_5tupleIJPSA_SM_EEENSN_IJSM_SM_EEESB_PlJ10is_orderedEEE10hipError_tPvRmT3_T4_T5_T6_T7_T9_mT8_P12ihipStream_tbDpT10_ENKUlT_T0_E_clISt17integral_constantIbLb0EES1B_IbLb1EEEEDaS17_S18_EUlS17_E_NS1_11comp_targetILNS1_3genE5ELNS1_11target_archE942ELNS1_3gpuE9ELNS1_3repE0EEENS1_30default_config_static_selectorELNS0_4arch9wavefront6targetE1EEEvT1_.kd
    .uniform_work_group_size: 1
    .uses_dynamic_stack: false
    .vgpr_count:     0
    .vgpr_spill_count: 0
    .wavefront_size: 64
  - .agpr_count:     0
    .args:
      - .offset:         0
        .size:           136
        .value_kind:     by_value
    .group_segment_fixed_size: 12296
    .kernarg_segment_align: 8
    .kernarg_segment_size: 136
    .language:       OpenCL C
    .language_version:
      - 2
      - 0
    .max_flat_workgroup_size: 256
    .name:           _ZN7rocprim17ROCPRIM_400000_NS6detail17trampoline_kernelINS0_14default_configENS1_25partition_config_selectorILNS1_17partition_subalgoE3EN6thrust23THRUST_200600_302600_NS5tupleIxxNS7_9null_typeES9_S9_S9_S9_S9_S9_S9_EENS0_10empty_typeEbEEZZNS1_14partition_implILS5_3ELb0ES3_jNS7_6detail15normal_iteratorINS7_7pointerISA_NS7_11hip_rocprim3tagENS7_11use_defaultESJ_EEEEPSB_SM_NS0_5tupleIJPSA_SM_EEENSN_IJSM_SM_EEESB_PlJ10is_orderedEEE10hipError_tPvRmT3_T4_T5_T6_T7_T9_mT8_P12ihipStream_tbDpT10_ENKUlT_T0_E_clISt17integral_constantIbLb0EES1B_IbLb1EEEEDaS17_S18_EUlS17_E_NS1_11comp_targetILNS1_3genE4ELNS1_11target_archE910ELNS1_3gpuE8ELNS1_3repE0EEENS1_30default_config_static_selectorELNS0_4arch9wavefront6targetE1EEEvT1_
    .private_segment_fixed_size: 0
    .sgpr_count:     50
    .sgpr_spill_count: 0
    .symbol:         _ZN7rocprim17ROCPRIM_400000_NS6detail17trampoline_kernelINS0_14default_configENS1_25partition_config_selectorILNS1_17partition_subalgoE3EN6thrust23THRUST_200600_302600_NS5tupleIxxNS7_9null_typeES9_S9_S9_S9_S9_S9_S9_EENS0_10empty_typeEbEEZZNS1_14partition_implILS5_3ELb0ES3_jNS7_6detail15normal_iteratorINS7_7pointerISA_NS7_11hip_rocprim3tagENS7_11use_defaultESJ_EEEEPSB_SM_NS0_5tupleIJPSA_SM_EEENSN_IJSM_SM_EEESB_PlJ10is_orderedEEE10hipError_tPvRmT3_T4_T5_T6_T7_T9_mT8_P12ihipStream_tbDpT10_ENKUlT_T0_E_clISt17integral_constantIbLb0EES1B_IbLb1EEEEDaS17_S18_EUlS17_E_NS1_11comp_targetILNS1_3genE4ELNS1_11target_archE910ELNS1_3gpuE8ELNS1_3repE0EEENS1_30default_config_static_selectorELNS0_4arch9wavefront6targetE1EEEvT1_.kd
    .uniform_work_group_size: 1
    .uses_dynamic_stack: false
    .vgpr_count:     51
    .vgpr_spill_count: 0
    .wavefront_size: 64
  - .agpr_count:     0
    .args:
      - .offset:         0
        .size:           136
        .value_kind:     by_value
    .group_segment_fixed_size: 0
    .kernarg_segment_align: 8
    .kernarg_segment_size: 136
    .language:       OpenCL C
    .language_version:
      - 2
      - 0
    .max_flat_workgroup_size: 128
    .name:           _ZN7rocprim17ROCPRIM_400000_NS6detail17trampoline_kernelINS0_14default_configENS1_25partition_config_selectorILNS1_17partition_subalgoE3EN6thrust23THRUST_200600_302600_NS5tupleIxxNS7_9null_typeES9_S9_S9_S9_S9_S9_S9_EENS0_10empty_typeEbEEZZNS1_14partition_implILS5_3ELb0ES3_jNS7_6detail15normal_iteratorINS7_7pointerISA_NS7_11hip_rocprim3tagENS7_11use_defaultESJ_EEEEPSB_SM_NS0_5tupleIJPSA_SM_EEENSN_IJSM_SM_EEESB_PlJ10is_orderedEEE10hipError_tPvRmT3_T4_T5_T6_T7_T9_mT8_P12ihipStream_tbDpT10_ENKUlT_T0_E_clISt17integral_constantIbLb0EES1B_IbLb1EEEEDaS17_S18_EUlS17_E_NS1_11comp_targetILNS1_3genE3ELNS1_11target_archE908ELNS1_3gpuE7ELNS1_3repE0EEENS1_30default_config_static_selectorELNS0_4arch9wavefront6targetE1EEEvT1_
    .private_segment_fixed_size: 0
    .sgpr_count:     4
    .sgpr_spill_count: 0
    .symbol:         _ZN7rocprim17ROCPRIM_400000_NS6detail17trampoline_kernelINS0_14default_configENS1_25partition_config_selectorILNS1_17partition_subalgoE3EN6thrust23THRUST_200600_302600_NS5tupleIxxNS7_9null_typeES9_S9_S9_S9_S9_S9_S9_EENS0_10empty_typeEbEEZZNS1_14partition_implILS5_3ELb0ES3_jNS7_6detail15normal_iteratorINS7_7pointerISA_NS7_11hip_rocprim3tagENS7_11use_defaultESJ_EEEEPSB_SM_NS0_5tupleIJPSA_SM_EEENSN_IJSM_SM_EEESB_PlJ10is_orderedEEE10hipError_tPvRmT3_T4_T5_T6_T7_T9_mT8_P12ihipStream_tbDpT10_ENKUlT_T0_E_clISt17integral_constantIbLb0EES1B_IbLb1EEEEDaS17_S18_EUlS17_E_NS1_11comp_targetILNS1_3genE3ELNS1_11target_archE908ELNS1_3gpuE7ELNS1_3repE0EEENS1_30default_config_static_selectorELNS0_4arch9wavefront6targetE1EEEvT1_.kd
    .uniform_work_group_size: 1
    .uses_dynamic_stack: false
    .vgpr_count:     0
    .vgpr_spill_count: 0
    .wavefront_size: 64
  - .agpr_count:     0
    .args:
      - .offset:         0
        .size:           136
        .value_kind:     by_value
    .group_segment_fixed_size: 0
    .kernarg_segment_align: 8
    .kernarg_segment_size: 136
    .language:       OpenCL C
    .language_version:
      - 2
      - 0
    .max_flat_workgroup_size: 256
    .name:           _ZN7rocprim17ROCPRIM_400000_NS6detail17trampoline_kernelINS0_14default_configENS1_25partition_config_selectorILNS1_17partition_subalgoE3EN6thrust23THRUST_200600_302600_NS5tupleIxxNS7_9null_typeES9_S9_S9_S9_S9_S9_S9_EENS0_10empty_typeEbEEZZNS1_14partition_implILS5_3ELb0ES3_jNS7_6detail15normal_iteratorINS7_7pointerISA_NS7_11hip_rocprim3tagENS7_11use_defaultESJ_EEEEPSB_SM_NS0_5tupleIJPSA_SM_EEENSN_IJSM_SM_EEESB_PlJ10is_orderedEEE10hipError_tPvRmT3_T4_T5_T6_T7_T9_mT8_P12ihipStream_tbDpT10_ENKUlT_T0_E_clISt17integral_constantIbLb0EES1B_IbLb1EEEEDaS17_S18_EUlS17_E_NS1_11comp_targetILNS1_3genE2ELNS1_11target_archE906ELNS1_3gpuE6ELNS1_3repE0EEENS1_30default_config_static_selectorELNS0_4arch9wavefront6targetE1EEEvT1_
    .private_segment_fixed_size: 0
    .sgpr_count:     4
    .sgpr_spill_count: 0
    .symbol:         _ZN7rocprim17ROCPRIM_400000_NS6detail17trampoline_kernelINS0_14default_configENS1_25partition_config_selectorILNS1_17partition_subalgoE3EN6thrust23THRUST_200600_302600_NS5tupleIxxNS7_9null_typeES9_S9_S9_S9_S9_S9_S9_EENS0_10empty_typeEbEEZZNS1_14partition_implILS5_3ELb0ES3_jNS7_6detail15normal_iteratorINS7_7pointerISA_NS7_11hip_rocprim3tagENS7_11use_defaultESJ_EEEEPSB_SM_NS0_5tupleIJPSA_SM_EEENSN_IJSM_SM_EEESB_PlJ10is_orderedEEE10hipError_tPvRmT3_T4_T5_T6_T7_T9_mT8_P12ihipStream_tbDpT10_ENKUlT_T0_E_clISt17integral_constantIbLb0EES1B_IbLb1EEEEDaS17_S18_EUlS17_E_NS1_11comp_targetILNS1_3genE2ELNS1_11target_archE906ELNS1_3gpuE6ELNS1_3repE0EEENS1_30default_config_static_selectorELNS0_4arch9wavefront6targetE1EEEvT1_.kd
    .uniform_work_group_size: 1
    .uses_dynamic_stack: false
    .vgpr_count:     0
    .vgpr_spill_count: 0
    .wavefront_size: 64
  - .agpr_count:     0
    .args:
      - .offset:         0
        .size:           136
        .value_kind:     by_value
    .group_segment_fixed_size: 0
    .kernarg_segment_align: 8
    .kernarg_segment_size: 136
    .language:       OpenCL C
    .language_version:
      - 2
      - 0
    .max_flat_workgroup_size: 256
    .name:           _ZN7rocprim17ROCPRIM_400000_NS6detail17trampoline_kernelINS0_14default_configENS1_25partition_config_selectorILNS1_17partition_subalgoE3EN6thrust23THRUST_200600_302600_NS5tupleIxxNS7_9null_typeES9_S9_S9_S9_S9_S9_S9_EENS0_10empty_typeEbEEZZNS1_14partition_implILS5_3ELb0ES3_jNS7_6detail15normal_iteratorINS7_7pointerISA_NS7_11hip_rocprim3tagENS7_11use_defaultESJ_EEEEPSB_SM_NS0_5tupleIJPSA_SM_EEENSN_IJSM_SM_EEESB_PlJ10is_orderedEEE10hipError_tPvRmT3_T4_T5_T6_T7_T9_mT8_P12ihipStream_tbDpT10_ENKUlT_T0_E_clISt17integral_constantIbLb0EES1B_IbLb1EEEEDaS17_S18_EUlS17_E_NS1_11comp_targetILNS1_3genE10ELNS1_11target_archE1200ELNS1_3gpuE4ELNS1_3repE0EEENS1_30default_config_static_selectorELNS0_4arch9wavefront6targetE1EEEvT1_
    .private_segment_fixed_size: 0
    .sgpr_count:     4
    .sgpr_spill_count: 0
    .symbol:         _ZN7rocprim17ROCPRIM_400000_NS6detail17trampoline_kernelINS0_14default_configENS1_25partition_config_selectorILNS1_17partition_subalgoE3EN6thrust23THRUST_200600_302600_NS5tupleIxxNS7_9null_typeES9_S9_S9_S9_S9_S9_S9_EENS0_10empty_typeEbEEZZNS1_14partition_implILS5_3ELb0ES3_jNS7_6detail15normal_iteratorINS7_7pointerISA_NS7_11hip_rocprim3tagENS7_11use_defaultESJ_EEEEPSB_SM_NS0_5tupleIJPSA_SM_EEENSN_IJSM_SM_EEESB_PlJ10is_orderedEEE10hipError_tPvRmT3_T4_T5_T6_T7_T9_mT8_P12ihipStream_tbDpT10_ENKUlT_T0_E_clISt17integral_constantIbLb0EES1B_IbLb1EEEEDaS17_S18_EUlS17_E_NS1_11comp_targetILNS1_3genE10ELNS1_11target_archE1200ELNS1_3gpuE4ELNS1_3repE0EEENS1_30default_config_static_selectorELNS0_4arch9wavefront6targetE1EEEvT1_.kd
    .uniform_work_group_size: 1
    .uses_dynamic_stack: false
    .vgpr_count:     0
    .vgpr_spill_count: 0
    .wavefront_size: 64
  - .agpr_count:     0
    .args:
      - .offset:         0
        .size:           136
        .value_kind:     by_value
    .group_segment_fixed_size: 0
    .kernarg_segment_align: 8
    .kernarg_segment_size: 136
    .language:       OpenCL C
    .language_version:
      - 2
      - 0
    .max_flat_workgroup_size: 512
    .name:           _ZN7rocprim17ROCPRIM_400000_NS6detail17trampoline_kernelINS0_14default_configENS1_25partition_config_selectorILNS1_17partition_subalgoE3EN6thrust23THRUST_200600_302600_NS5tupleIxxNS7_9null_typeES9_S9_S9_S9_S9_S9_S9_EENS0_10empty_typeEbEEZZNS1_14partition_implILS5_3ELb0ES3_jNS7_6detail15normal_iteratorINS7_7pointerISA_NS7_11hip_rocprim3tagENS7_11use_defaultESJ_EEEEPSB_SM_NS0_5tupleIJPSA_SM_EEENSN_IJSM_SM_EEESB_PlJ10is_orderedEEE10hipError_tPvRmT3_T4_T5_T6_T7_T9_mT8_P12ihipStream_tbDpT10_ENKUlT_T0_E_clISt17integral_constantIbLb0EES1B_IbLb1EEEEDaS17_S18_EUlS17_E_NS1_11comp_targetILNS1_3genE9ELNS1_11target_archE1100ELNS1_3gpuE3ELNS1_3repE0EEENS1_30default_config_static_selectorELNS0_4arch9wavefront6targetE1EEEvT1_
    .private_segment_fixed_size: 0
    .sgpr_count:     4
    .sgpr_spill_count: 0
    .symbol:         _ZN7rocprim17ROCPRIM_400000_NS6detail17trampoline_kernelINS0_14default_configENS1_25partition_config_selectorILNS1_17partition_subalgoE3EN6thrust23THRUST_200600_302600_NS5tupleIxxNS7_9null_typeES9_S9_S9_S9_S9_S9_S9_EENS0_10empty_typeEbEEZZNS1_14partition_implILS5_3ELb0ES3_jNS7_6detail15normal_iteratorINS7_7pointerISA_NS7_11hip_rocprim3tagENS7_11use_defaultESJ_EEEEPSB_SM_NS0_5tupleIJPSA_SM_EEENSN_IJSM_SM_EEESB_PlJ10is_orderedEEE10hipError_tPvRmT3_T4_T5_T6_T7_T9_mT8_P12ihipStream_tbDpT10_ENKUlT_T0_E_clISt17integral_constantIbLb0EES1B_IbLb1EEEEDaS17_S18_EUlS17_E_NS1_11comp_targetILNS1_3genE9ELNS1_11target_archE1100ELNS1_3gpuE3ELNS1_3repE0EEENS1_30default_config_static_selectorELNS0_4arch9wavefront6targetE1EEEvT1_.kd
    .uniform_work_group_size: 1
    .uses_dynamic_stack: false
    .vgpr_count:     0
    .vgpr_spill_count: 0
    .wavefront_size: 64
  - .agpr_count:     0
    .args:
      - .offset:         0
        .size:           136
        .value_kind:     by_value
    .group_segment_fixed_size: 0
    .kernarg_segment_align: 8
    .kernarg_segment_size: 136
    .language:       OpenCL C
    .language_version:
      - 2
      - 0
    .max_flat_workgroup_size: 256
    .name:           _ZN7rocprim17ROCPRIM_400000_NS6detail17trampoline_kernelINS0_14default_configENS1_25partition_config_selectorILNS1_17partition_subalgoE3EN6thrust23THRUST_200600_302600_NS5tupleIxxNS7_9null_typeES9_S9_S9_S9_S9_S9_S9_EENS0_10empty_typeEbEEZZNS1_14partition_implILS5_3ELb0ES3_jNS7_6detail15normal_iteratorINS7_7pointerISA_NS7_11hip_rocprim3tagENS7_11use_defaultESJ_EEEEPSB_SM_NS0_5tupleIJPSA_SM_EEENSN_IJSM_SM_EEESB_PlJ10is_orderedEEE10hipError_tPvRmT3_T4_T5_T6_T7_T9_mT8_P12ihipStream_tbDpT10_ENKUlT_T0_E_clISt17integral_constantIbLb0EES1B_IbLb1EEEEDaS17_S18_EUlS17_E_NS1_11comp_targetILNS1_3genE8ELNS1_11target_archE1030ELNS1_3gpuE2ELNS1_3repE0EEENS1_30default_config_static_selectorELNS0_4arch9wavefront6targetE1EEEvT1_
    .private_segment_fixed_size: 0
    .sgpr_count:     4
    .sgpr_spill_count: 0
    .symbol:         _ZN7rocprim17ROCPRIM_400000_NS6detail17trampoline_kernelINS0_14default_configENS1_25partition_config_selectorILNS1_17partition_subalgoE3EN6thrust23THRUST_200600_302600_NS5tupleIxxNS7_9null_typeES9_S9_S9_S9_S9_S9_S9_EENS0_10empty_typeEbEEZZNS1_14partition_implILS5_3ELb0ES3_jNS7_6detail15normal_iteratorINS7_7pointerISA_NS7_11hip_rocprim3tagENS7_11use_defaultESJ_EEEEPSB_SM_NS0_5tupleIJPSA_SM_EEENSN_IJSM_SM_EEESB_PlJ10is_orderedEEE10hipError_tPvRmT3_T4_T5_T6_T7_T9_mT8_P12ihipStream_tbDpT10_ENKUlT_T0_E_clISt17integral_constantIbLb0EES1B_IbLb1EEEEDaS17_S18_EUlS17_E_NS1_11comp_targetILNS1_3genE8ELNS1_11target_archE1030ELNS1_3gpuE2ELNS1_3repE0EEENS1_30default_config_static_selectorELNS0_4arch9wavefront6targetE1EEEvT1_.kd
    .uniform_work_group_size: 1
    .uses_dynamic_stack: false
    .vgpr_count:     0
    .vgpr_spill_count: 0
    .wavefront_size: 64
  - .agpr_count:     0
    .args:
      - .offset:         0
        .size:           32
        .value_kind:     by_value
      - .offset:         32
        .size:           8
        .value_kind:     by_value
      - .offset:         40
        .size:           8
        .value_kind:     by_value
    .group_segment_fixed_size: 0
    .kernarg_segment_align: 8
    .kernarg_segment_size: 48
    .language:       OpenCL C
    .language_version:
      - 2
      - 0
    .max_flat_workgroup_size: 256
    .name:           _ZN6thrust23THRUST_200600_302600_NS11hip_rocprim14__parallel_for6kernelILj256ENS1_11__transform17unary_transform_fIPNS0_5tupleIxxNS0_9null_typeES7_S7_S7_S7_S7_S7_S7_EENS0_12zip_iteratorINS6_INS0_6detail15normal_iteratorINS0_10device_ptrIxEEEESF_S7_S7_S7_S7_S7_S7_S7_S7_EEEENS4_14no_stencil_tagENS0_8identityIS8_EENS4_21always_true_predicateEEElLj1EEEvT0_T1_SO_
    .private_segment_fixed_size: 0
    .sgpr_count:     16
    .sgpr_spill_count: 0
    .symbol:         _ZN6thrust23THRUST_200600_302600_NS11hip_rocprim14__parallel_for6kernelILj256ENS1_11__transform17unary_transform_fIPNS0_5tupleIxxNS0_9null_typeES7_S7_S7_S7_S7_S7_S7_EENS0_12zip_iteratorINS6_INS0_6detail15normal_iteratorINS0_10device_ptrIxEEEESF_S7_S7_S7_S7_S7_S7_S7_S7_EEEENS4_14no_stencil_tagENS0_8identityIS8_EENS4_21always_true_predicateEEElLj1EEEvT0_T1_SO_.kd
    .uniform_work_group_size: 1
    .uses_dynamic_stack: false
    .vgpr_count:     8
    .vgpr_spill_count: 0
    .wavefront_size: 64
  - .agpr_count:     0
    .args:
      - .offset:         0
        .size:           16
        .value_kind:     by_value
      - .offset:         16
        .size:           8
        .value_kind:     by_value
      - .offset:         24
        .size:           8
        .value_kind:     by_value
    .group_segment_fixed_size: 0
    .kernarg_segment_align: 8
    .kernarg_segment_size: 32
    .language:       OpenCL C
    .language_version:
      - 2
      - 0
    .max_flat_workgroup_size: 256
    .name:           _ZN6thrust23THRUST_200600_302600_NS11hip_rocprim14__parallel_for6kernelILj256ENS1_10for_each_fINS0_7pointerINS0_5tupleIiiNS0_9null_typeES7_S7_S7_S7_S7_S7_S7_EENS1_3tagENS0_11use_defaultESA_EENS0_6detail16wrapped_functionINSC_23allocator_traits_detail24construct1_via_allocatorINSC_18no_throw_allocatorINSC_19temporary_allocatorIS8_S9_EEEEEEvEEEEmLj1EEEvT0_T1_SO_
    .private_segment_fixed_size: 0
    .sgpr_count:     16
    .sgpr_spill_count: 0
    .symbol:         _ZN6thrust23THRUST_200600_302600_NS11hip_rocprim14__parallel_for6kernelILj256ENS1_10for_each_fINS0_7pointerINS0_5tupleIiiNS0_9null_typeES7_S7_S7_S7_S7_S7_S7_EENS1_3tagENS0_11use_defaultESA_EENS0_6detail16wrapped_functionINSC_23allocator_traits_detail24construct1_via_allocatorINSC_18no_throw_allocatorINSC_19temporary_allocatorIS8_S9_EEEEEEvEEEEmLj1EEEvT0_T1_SO_.kd
    .uniform_work_group_size: 1
    .uses_dynamic_stack: false
    .vgpr_count:     4
    .vgpr_spill_count: 0
    .wavefront_size: 64
  - .agpr_count:     0
    .args:
      - .offset:         0
        .size:           16
        .value_kind:     by_value
      - .offset:         16
        .size:           8
        .value_kind:     by_value
      - .offset:         24
        .size:           8
        .value_kind:     by_value
    .group_segment_fixed_size: 0
    .kernarg_segment_align: 8
    .kernarg_segment_size: 32
    .language:       OpenCL C
    .language_version:
      - 2
      - 0
    .max_flat_workgroup_size: 256
    .name:           _ZN6thrust23THRUST_200600_302600_NS11hip_rocprim14__parallel_for6kernelILj256ENS1_10for_each_fINS0_7pointerINS0_5tupleIiiNS0_9null_typeES7_S7_S7_S7_S7_S7_S7_EENS1_3tagENS0_11use_defaultESA_EENS0_6detail16wrapped_functionINSC_23allocator_traits_detail5gozerEvEEEElLj1EEEvT0_T1_SJ_
    .private_segment_fixed_size: 0
    .sgpr_count:     4
    .sgpr_spill_count: 0
    .symbol:         _ZN6thrust23THRUST_200600_302600_NS11hip_rocprim14__parallel_for6kernelILj256ENS1_10for_each_fINS0_7pointerINS0_5tupleIiiNS0_9null_typeES7_S7_S7_S7_S7_S7_S7_EENS1_3tagENS0_11use_defaultESA_EENS0_6detail16wrapped_functionINSC_23allocator_traits_detail5gozerEvEEEElLj1EEEvT0_T1_SJ_.kd
    .uniform_work_group_size: 1
    .uses_dynamic_stack: false
    .vgpr_count:     0
    .vgpr_spill_count: 0
    .wavefront_size: 64
  - .agpr_count:     0
    .args:
      - .offset:         0
        .size:           24
        .value_kind:     by_value
      - .offset:         24
        .size:           8
        .value_kind:     by_value
      - .offset:         32
        .size:           8
        .value_kind:     by_value
    .group_segment_fixed_size: 0
    .kernarg_segment_align: 8
    .kernarg_segment_size: 40
    .language:       OpenCL C
    .language_version:
      - 2
      - 0
    .max_flat_workgroup_size: 256
    .name:           _ZN6thrust23THRUST_200600_302600_NS11hip_rocprim14__parallel_for6kernelILj256ENS1_20__uninitialized_copy7functorINS0_12zip_iteratorINS0_5tupleINS0_6detail15normal_iteratorINS0_10device_ptrIiEEEESC_NS0_9null_typeESD_SD_SD_SD_SD_SD_SD_EEEENS9_INS0_7pointerINS7_IiiSD_SD_SD_SD_SD_SD_SD_SD_EENS1_3tagENS0_11use_defaultESJ_EEEEEElLj1EEEvT0_T1_SO_
    .private_segment_fixed_size: 0
    .sgpr_count:     16
    .sgpr_spill_count: 0
    .symbol:         _ZN6thrust23THRUST_200600_302600_NS11hip_rocprim14__parallel_for6kernelILj256ENS1_20__uninitialized_copy7functorINS0_12zip_iteratorINS0_5tupleINS0_6detail15normal_iteratorINS0_10device_ptrIiEEEESC_NS0_9null_typeESD_SD_SD_SD_SD_SD_SD_EEEENS9_INS0_7pointerINS7_IiiSD_SD_SD_SD_SD_SD_SD_SD_EENS1_3tagENS0_11use_defaultESJ_EEEEEElLj1EEEvT0_T1_SO_.kd
    .uniform_work_group_size: 1
    .uses_dynamic_stack: false
    .vgpr_count:     8
    .vgpr_spill_count: 0
    .wavefront_size: 64
  - .agpr_count:     0
    .args:
      - .offset:         0
        .size:           120
        .value_kind:     by_value
    .group_segment_fixed_size: 0
    .kernarg_segment_align: 8
    .kernarg_segment_size: 120
    .language:       OpenCL C
    .language_version:
      - 2
      - 0
    .max_flat_workgroup_size: 192
    .name:           _ZN7rocprim17ROCPRIM_400000_NS6detail17trampoline_kernelINS0_14default_configENS1_25partition_config_selectorILNS1_17partition_subalgoE3EN6thrust23THRUST_200600_302600_NS5tupleIiiNS7_9null_typeES9_S9_S9_S9_S9_S9_S9_EENS0_10empty_typeEbEEZZNS1_14partition_implILS5_3ELb0ES3_jNS7_6detail15normal_iteratorINS7_7pointerISA_NS7_11hip_rocprim3tagENS7_11use_defaultESJ_EEEEPSB_SM_NS0_5tupleIJPSA_SM_EEENSN_IJSM_SM_EEESB_PlJ10is_orderedEEE10hipError_tPvRmT3_T4_T5_T6_T7_T9_mT8_P12ihipStream_tbDpT10_ENKUlT_T0_E_clISt17integral_constantIbLb0EES1C_EEDaS17_S18_EUlS17_E_NS1_11comp_targetILNS1_3genE0ELNS1_11target_archE4294967295ELNS1_3gpuE0ELNS1_3repE0EEENS1_30default_config_static_selectorELNS0_4arch9wavefront6targetE1EEEvT1_
    .private_segment_fixed_size: 0
    .sgpr_count:     4
    .sgpr_spill_count: 0
    .symbol:         _ZN7rocprim17ROCPRIM_400000_NS6detail17trampoline_kernelINS0_14default_configENS1_25partition_config_selectorILNS1_17partition_subalgoE3EN6thrust23THRUST_200600_302600_NS5tupleIiiNS7_9null_typeES9_S9_S9_S9_S9_S9_S9_EENS0_10empty_typeEbEEZZNS1_14partition_implILS5_3ELb0ES3_jNS7_6detail15normal_iteratorINS7_7pointerISA_NS7_11hip_rocprim3tagENS7_11use_defaultESJ_EEEEPSB_SM_NS0_5tupleIJPSA_SM_EEENSN_IJSM_SM_EEESB_PlJ10is_orderedEEE10hipError_tPvRmT3_T4_T5_T6_T7_T9_mT8_P12ihipStream_tbDpT10_ENKUlT_T0_E_clISt17integral_constantIbLb0EES1C_EEDaS17_S18_EUlS17_E_NS1_11comp_targetILNS1_3genE0ELNS1_11target_archE4294967295ELNS1_3gpuE0ELNS1_3repE0EEENS1_30default_config_static_selectorELNS0_4arch9wavefront6targetE1EEEvT1_.kd
    .uniform_work_group_size: 1
    .uses_dynamic_stack: false
    .vgpr_count:     0
    .vgpr_spill_count: 0
    .wavefront_size: 64
  - .agpr_count:     0
    .args:
      - .offset:         0
        .size:           120
        .value_kind:     by_value
    .group_segment_fixed_size: 0
    .kernarg_segment_align: 8
    .kernarg_segment_size: 120
    .language:       OpenCL C
    .language_version:
      - 2
      - 0
    .max_flat_workgroup_size: 512
    .name:           _ZN7rocprim17ROCPRIM_400000_NS6detail17trampoline_kernelINS0_14default_configENS1_25partition_config_selectorILNS1_17partition_subalgoE3EN6thrust23THRUST_200600_302600_NS5tupleIiiNS7_9null_typeES9_S9_S9_S9_S9_S9_S9_EENS0_10empty_typeEbEEZZNS1_14partition_implILS5_3ELb0ES3_jNS7_6detail15normal_iteratorINS7_7pointerISA_NS7_11hip_rocprim3tagENS7_11use_defaultESJ_EEEEPSB_SM_NS0_5tupleIJPSA_SM_EEENSN_IJSM_SM_EEESB_PlJ10is_orderedEEE10hipError_tPvRmT3_T4_T5_T6_T7_T9_mT8_P12ihipStream_tbDpT10_ENKUlT_T0_E_clISt17integral_constantIbLb0EES1C_EEDaS17_S18_EUlS17_E_NS1_11comp_targetILNS1_3genE5ELNS1_11target_archE942ELNS1_3gpuE9ELNS1_3repE0EEENS1_30default_config_static_selectorELNS0_4arch9wavefront6targetE1EEEvT1_
    .private_segment_fixed_size: 0
    .sgpr_count:     4
    .sgpr_spill_count: 0
    .symbol:         _ZN7rocprim17ROCPRIM_400000_NS6detail17trampoline_kernelINS0_14default_configENS1_25partition_config_selectorILNS1_17partition_subalgoE3EN6thrust23THRUST_200600_302600_NS5tupleIiiNS7_9null_typeES9_S9_S9_S9_S9_S9_S9_EENS0_10empty_typeEbEEZZNS1_14partition_implILS5_3ELb0ES3_jNS7_6detail15normal_iteratorINS7_7pointerISA_NS7_11hip_rocprim3tagENS7_11use_defaultESJ_EEEEPSB_SM_NS0_5tupleIJPSA_SM_EEENSN_IJSM_SM_EEESB_PlJ10is_orderedEEE10hipError_tPvRmT3_T4_T5_T6_T7_T9_mT8_P12ihipStream_tbDpT10_ENKUlT_T0_E_clISt17integral_constantIbLb0EES1C_EEDaS17_S18_EUlS17_E_NS1_11comp_targetILNS1_3genE5ELNS1_11target_archE942ELNS1_3gpuE9ELNS1_3repE0EEENS1_30default_config_static_selectorELNS0_4arch9wavefront6targetE1EEEvT1_.kd
    .uniform_work_group_size: 1
    .uses_dynamic_stack: false
    .vgpr_count:     0
    .vgpr_spill_count: 0
    .wavefront_size: 64
  - .agpr_count:     0
    .args:
      - .offset:         0
        .size:           120
        .value_kind:     by_value
    .group_segment_fixed_size: 6344
    .kernarg_segment_align: 8
    .kernarg_segment_size: 120
    .language:       OpenCL C
    .language_version:
      - 2
      - 0
    .max_flat_workgroup_size: 192
    .name:           _ZN7rocprim17ROCPRIM_400000_NS6detail17trampoline_kernelINS0_14default_configENS1_25partition_config_selectorILNS1_17partition_subalgoE3EN6thrust23THRUST_200600_302600_NS5tupleIiiNS7_9null_typeES9_S9_S9_S9_S9_S9_S9_EENS0_10empty_typeEbEEZZNS1_14partition_implILS5_3ELb0ES3_jNS7_6detail15normal_iteratorINS7_7pointerISA_NS7_11hip_rocprim3tagENS7_11use_defaultESJ_EEEEPSB_SM_NS0_5tupleIJPSA_SM_EEENSN_IJSM_SM_EEESB_PlJ10is_orderedEEE10hipError_tPvRmT3_T4_T5_T6_T7_T9_mT8_P12ihipStream_tbDpT10_ENKUlT_T0_E_clISt17integral_constantIbLb0EES1C_EEDaS17_S18_EUlS17_E_NS1_11comp_targetILNS1_3genE4ELNS1_11target_archE910ELNS1_3gpuE8ELNS1_3repE0EEENS1_30default_config_static_selectorELNS0_4arch9wavefront6targetE1EEEvT1_
    .private_segment_fixed_size: 0
    .sgpr_count:     52
    .sgpr_spill_count: 0
    .symbol:         _ZN7rocprim17ROCPRIM_400000_NS6detail17trampoline_kernelINS0_14default_configENS1_25partition_config_selectorILNS1_17partition_subalgoE3EN6thrust23THRUST_200600_302600_NS5tupleIiiNS7_9null_typeES9_S9_S9_S9_S9_S9_S9_EENS0_10empty_typeEbEEZZNS1_14partition_implILS5_3ELb0ES3_jNS7_6detail15normal_iteratorINS7_7pointerISA_NS7_11hip_rocprim3tagENS7_11use_defaultESJ_EEEEPSB_SM_NS0_5tupleIJPSA_SM_EEENSN_IJSM_SM_EEESB_PlJ10is_orderedEEE10hipError_tPvRmT3_T4_T5_T6_T7_T9_mT8_P12ihipStream_tbDpT10_ENKUlT_T0_E_clISt17integral_constantIbLb0EES1C_EEDaS17_S18_EUlS17_E_NS1_11comp_targetILNS1_3genE4ELNS1_11target_archE910ELNS1_3gpuE8ELNS1_3repE0EEENS1_30default_config_static_selectorELNS0_4arch9wavefront6targetE1EEEvT1_.kd
    .uniform_work_group_size: 1
    .uses_dynamic_stack: false
    .vgpr_count:     43
    .vgpr_spill_count: 0
    .wavefront_size: 64
  - .agpr_count:     0
    .args:
      - .offset:         0
        .size:           16
        .value_kind:     by_value
      - .offset:         16
        .size:           8
        .value_kind:     by_value
      - .offset:         24
        .size:           8
        .value_kind:     by_value
    .group_segment_fixed_size: 0
    .kernarg_segment_align: 8
    .kernarg_segment_size: 32
    .language:       OpenCL C
    .language_version:
      - 2
      - 0
    .max_flat_workgroup_size: 256
    .name:           _ZN6thrust23THRUST_200600_302600_NS11hip_rocprim14__parallel_for6kernelILj256ENS1_20__uninitialized_copy7functorINS0_7pointerINS0_5tupleIiiNS0_9null_typeES8_S8_S8_S8_S8_S8_S8_EENS1_3tagENS0_11use_defaultESB_EESC_EEmLj1EEEvT0_T1_SF_
    .private_segment_fixed_size: 0
    .sgpr_count:     20
    .sgpr_spill_count: 0
    .symbol:         _ZN6thrust23THRUST_200600_302600_NS11hip_rocprim14__parallel_for6kernelILj256ENS1_20__uninitialized_copy7functorINS0_7pointerINS0_5tupleIiiNS0_9null_typeES8_S8_S8_S8_S8_S8_S8_EENS1_3tagENS0_11use_defaultESB_EESC_EEmLj1EEEvT0_T1_SF_.kd
    .uniform_work_group_size: 1
    .uses_dynamic_stack: false
    .vgpr_count:     6
    .vgpr_spill_count: 0
    .wavefront_size: 64
  - .agpr_count:     0
    .args:
      - .offset:         0
        .size:           120
        .value_kind:     by_value
    .group_segment_fixed_size: 0
    .kernarg_segment_align: 8
    .kernarg_segment_size: 120
    .language:       OpenCL C
    .language_version:
      - 2
      - 0
    .max_flat_workgroup_size: 192
    .name:           _ZN7rocprim17ROCPRIM_400000_NS6detail17trampoline_kernelINS0_14default_configENS1_25partition_config_selectorILNS1_17partition_subalgoE3EN6thrust23THRUST_200600_302600_NS5tupleIiiNS7_9null_typeES9_S9_S9_S9_S9_S9_S9_EENS0_10empty_typeEbEEZZNS1_14partition_implILS5_3ELb0ES3_jNS7_6detail15normal_iteratorINS7_7pointerISA_NS7_11hip_rocprim3tagENS7_11use_defaultESJ_EEEEPSB_SM_NS0_5tupleIJPSA_SM_EEENSN_IJSM_SM_EEESB_PlJ10is_orderedEEE10hipError_tPvRmT3_T4_T5_T6_T7_T9_mT8_P12ihipStream_tbDpT10_ENKUlT_T0_E_clISt17integral_constantIbLb0EES1C_EEDaS17_S18_EUlS17_E_NS1_11comp_targetILNS1_3genE3ELNS1_11target_archE908ELNS1_3gpuE7ELNS1_3repE0EEENS1_30default_config_static_selectorELNS0_4arch9wavefront6targetE1EEEvT1_
    .private_segment_fixed_size: 0
    .sgpr_count:     4
    .sgpr_spill_count: 0
    .symbol:         _ZN7rocprim17ROCPRIM_400000_NS6detail17trampoline_kernelINS0_14default_configENS1_25partition_config_selectorILNS1_17partition_subalgoE3EN6thrust23THRUST_200600_302600_NS5tupleIiiNS7_9null_typeES9_S9_S9_S9_S9_S9_S9_EENS0_10empty_typeEbEEZZNS1_14partition_implILS5_3ELb0ES3_jNS7_6detail15normal_iteratorINS7_7pointerISA_NS7_11hip_rocprim3tagENS7_11use_defaultESJ_EEEEPSB_SM_NS0_5tupleIJPSA_SM_EEENSN_IJSM_SM_EEESB_PlJ10is_orderedEEE10hipError_tPvRmT3_T4_T5_T6_T7_T9_mT8_P12ihipStream_tbDpT10_ENKUlT_T0_E_clISt17integral_constantIbLb0EES1C_EEDaS17_S18_EUlS17_E_NS1_11comp_targetILNS1_3genE3ELNS1_11target_archE908ELNS1_3gpuE7ELNS1_3repE0EEENS1_30default_config_static_selectorELNS0_4arch9wavefront6targetE1EEEvT1_.kd
    .uniform_work_group_size: 1
    .uses_dynamic_stack: false
    .vgpr_count:     0
    .vgpr_spill_count: 0
    .wavefront_size: 64
  - .agpr_count:     0
    .args:
      - .offset:         0
        .size:           120
        .value_kind:     by_value
    .group_segment_fixed_size: 0
    .kernarg_segment_align: 8
    .kernarg_segment_size: 120
    .language:       OpenCL C
    .language_version:
      - 2
      - 0
    .max_flat_workgroup_size: 256
    .name:           _ZN7rocprim17ROCPRIM_400000_NS6detail17trampoline_kernelINS0_14default_configENS1_25partition_config_selectorILNS1_17partition_subalgoE3EN6thrust23THRUST_200600_302600_NS5tupleIiiNS7_9null_typeES9_S9_S9_S9_S9_S9_S9_EENS0_10empty_typeEbEEZZNS1_14partition_implILS5_3ELb0ES3_jNS7_6detail15normal_iteratorINS7_7pointerISA_NS7_11hip_rocprim3tagENS7_11use_defaultESJ_EEEEPSB_SM_NS0_5tupleIJPSA_SM_EEENSN_IJSM_SM_EEESB_PlJ10is_orderedEEE10hipError_tPvRmT3_T4_T5_T6_T7_T9_mT8_P12ihipStream_tbDpT10_ENKUlT_T0_E_clISt17integral_constantIbLb0EES1C_EEDaS17_S18_EUlS17_E_NS1_11comp_targetILNS1_3genE2ELNS1_11target_archE906ELNS1_3gpuE6ELNS1_3repE0EEENS1_30default_config_static_selectorELNS0_4arch9wavefront6targetE1EEEvT1_
    .private_segment_fixed_size: 0
    .sgpr_count:     4
    .sgpr_spill_count: 0
    .symbol:         _ZN7rocprim17ROCPRIM_400000_NS6detail17trampoline_kernelINS0_14default_configENS1_25partition_config_selectorILNS1_17partition_subalgoE3EN6thrust23THRUST_200600_302600_NS5tupleIiiNS7_9null_typeES9_S9_S9_S9_S9_S9_S9_EENS0_10empty_typeEbEEZZNS1_14partition_implILS5_3ELb0ES3_jNS7_6detail15normal_iteratorINS7_7pointerISA_NS7_11hip_rocprim3tagENS7_11use_defaultESJ_EEEEPSB_SM_NS0_5tupleIJPSA_SM_EEENSN_IJSM_SM_EEESB_PlJ10is_orderedEEE10hipError_tPvRmT3_T4_T5_T6_T7_T9_mT8_P12ihipStream_tbDpT10_ENKUlT_T0_E_clISt17integral_constantIbLb0EES1C_EEDaS17_S18_EUlS17_E_NS1_11comp_targetILNS1_3genE2ELNS1_11target_archE906ELNS1_3gpuE6ELNS1_3repE0EEENS1_30default_config_static_selectorELNS0_4arch9wavefront6targetE1EEEvT1_.kd
    .uniform_work_group_size: 1
    .uses_dynamic_stack: false
    .vgpr_count:     0
    .vgpr_spill_count: 0
    .wavefront_size: 64
  - .agpr_count:     0
    .args:
      - .offset:         0
        .size:           120
        .value_kind:     by_value
    .group_segment_fixed_size: 0
    .kernarg_segment_align: 8
    .kernarg_segment_size: 120
    .language:       OpenCL C
    .language_version:
      - 2
      - 0
    .max_flat_workgroup_size: 512
    .name:           _ZN7rocprim17ROCPRIM_400000_NS6detail17trampoline_kernelINS0_14default_configENS1_25partition_config_selectorILNS1_17partition_subalgoE3EN6thrust23THRUST_200600_302600_NS5tupleIiiNS7_9null_typeES9_S9_S9_S9_S9_S9_S9_EENS0_10empty_typeEbEEZZNS1_14partition_implILS5_3ELb0ES3_jNS7_6detail15normal_iteratorINS7_7pointerISA_NS7_11hip_rocprim3tagENS7_11use_defaultESJ_EEEEPSB_SM_NS0_5tupleIJPSA_SM_EEENSN_IJSM_SM_EEESB_PlJ10is_orderedEEE10hipError_tPvRmT3_T4_T5_T6_T7_T9_mT8_P12ihipStream_tbDpT10_ENKUlT_T0_E_clISt17integral_constantIbLb0EES1C_EEDaS17_S18_EUlS17_E_NS1_11comp_targetILNS1_3genE10ELNS1_11target_archE1200ELNS1_3gpuE4ELNS1_3repE0EEENS1_30default_config_static_selectorELNS0_4arch9wavefront6targetE1EEEvT1_
    .private_segment_fixed_size: 0
    .sgpr_count:     4
    .sgpr_spill_count: 0
    .symbol:         _ZN7rocprim17ROCPRIM_400000_NS6detail17trampoline_kernelINS0_14default_configENS1_25partition_config_selectorILNS1_17partition_subalgoE3EN6thrust23THRUST_200600_302600_NS5tupleIiiNS7_9null_typeES9_S9_S9_S9_S9_S9_S9_EENS0_10empty_typeEbEEZZNS1_14partition_implILS5_3ELb0ES3_jNS7_6detail15normal_iteratorINS7_7pointerISA_NS7_11hip_rocprim3tagENS7_11use_defaultESJ_EEEEPSB_SM_NS0_5tupleIJPSA_SM_EEENSN_IJSM_SM_EEESB_PlJ10is_orderedEEE10hipError_tPvRmT3_T4_T5_T6_T7_T9_mT8_P12ihipStream_tbDpT10_ENKUlT_T0_E_clISt17integral_constantIbLb0EES1C_EEDaS17_S18_EUlS17_E_NS1_11comp_targetILNS1_3genE10ELNS1_11target_archE1200ELNS1_3gpuE4ELNS1_3repE0EEENS1_30default_config_static_selectorELNS0_4arch9wavefront6targetE1EEEvT1_.kd
    .uniform_work_group_size: 1
    .uses_dynamic_stack: false
    .vgpr_count:     0
    .vgpr_spill_count: 0
    .wavefront_size: 64
  - .agpr_count:     0
    .args:
      - .offset:         0
        .size:           120
        .value_kind:     by_value
    .group_segment_fixed_size: 0
    .kernarg_segment_align: 8
    .kernarg_segment_size: 120
    .language:       OpenCL C
    .language_version:
      - 2
      - 0
    .max_flat_workgroup_size: 512
    .name:           _ZN7rocprim17ROCPRIM_400000_NS6detail17trampoline_kernelINS0_14default_configENS1_25partition_config_selectorILNS1_17partition_subalgoE3EN6thrust23THRUST_200600_302600_NS5tupleIiiNS7_9null_typeES9_S9_S9_S9_S9_S9_S9_EENS0_10empty_typeEbEEZZNS1_14partition_implILS5_3ELb0ES3_jNS7_6detail15normal_iteratorINS7_7pointerISA_NS7_11hip_rocprim3tagENS7_11use_defaultESJ_EEEEPSB_SM_NS0_5tupleIJPSA_SM_EEENSN_IJSM_SM_EEESB_PlJ10is_orderedEEE10hipError_tPvRmT3_T4_T5_T6_T7_T9_mT8_P12ihipStream_tbDpT10_ENKUlT_T0_E_clISt17integral_constantIbLb0EES1C_EEDaS17_S18_EUlS17_E_NS1_11comp_targetILNS1_3genE9ELNS1_11target_archE1100ELNS1_3gpuE3ELNS1_3repE0EEENS1_30default_config_static_selectorELNS0_4arch9wavefront6targetE1EEEvT1_
    .private_segment_fixed_size: 0
    .sgpr_count:     4
    .sgpr_spill_count: 0
    .symbol:         _ZN7rocprim17ROCPRIM_400000_NS6detail17trampoline_kernelINS0_14default_configENS1_25partition_config_selectorILNS1_17partition_subalgoE3EN6thrust23THRUST_200600_302600_NS5tupleIiiNS7_9null_typeES9_S9_S9_S9_S9_S9_S9_EENS0_10empty_typeEbEEZZNS1_14partition_implILS5_3ELb0ES3_jNS7_6detail15normal_iteratorINS7_7pointerISA_NS7_11hip_rocprim3tagENS7_11use_defaultESJ_EEEEPSB_SM_NS0_5tupleIJPSA_SM_EEENSN_IJSM_SM_EEESB_PlJ10is_orderedEEE10hipError_tPvRmT3_T4_T5_T6_T7_T9_mT8_P12ihipStream_tbDpT10_ENKUlT_T0_E_clISt17integral_constantIbLb0EES1C_EEDaS17_S18_EUlS17_E_NS1_11comp_targetILNS1_3genE9ELNS1_11target_archE1100ELNS1_3gpuE3ELNS1_3repE0EEENS1_30default_config_static_selectorELNS0_4arch9wavefront6targetE1EEEvT1_.kd
    .uniform_work_group_size: 1
    .uses_dynamic_stack: false
    .vgpr_count:     0
    .vgpr_spill_count: 0
    .wavefront_size: 64
  - .agpr_count:     0
    .args:
      - .offset:         0
        .size:           120
        .value_kind:     by_value
    .group_segment_fixed_size: 0
    .kernarg_segment_align: 8
    .kernarg_segment_size: 120
    .language:       OpenCL C
    .language_version:
      - 2
      - 0
    .max_flat_workgroup_size: 512
    .name:           _ZN7rocprim17ROCPRIM_400000_NS6detail17trampoline_kernelINS0_14default_configENS1_25partition_config_selectorILNS1_17partition_subalgoE3EN6thrust23THRUST_200600_302600_NS5tupleIiiNS7_9null_typeES9_S9_S9_S9_S9_S9_S9_EENS0_10empty_typeEbEEZZNS1_14partition_implILS5_3ELb0ES3_jNS7_6detail15normal_iteratorINS7_7pointerISA_NS7_11hip_rocprim3tagENS7_11use_defaultESJ_EEEEPSB_SM_NS0_5tupleIJPSA_SM_EEENSN_IJSM_SM_EEESB_PlJ10is_orderedEEE10hipError_tPvRmT3_T4_T5_T6_T7_T9_mT8_P12ihipStream_tbDpT10_ENKUlT_T0_E_clISt17integral_constantIbLb0EES1C_EEDaS17_S18_EUlS17_E_NS1_11comp_targetILNS1_3genE8ELNS1_11target_archE1030ELNS1_3gpuE2ELNS1_3repE0EEENS1_30default_config_static_selectorELNS0_4arch9wavefront6targetE1EEEvT1_
    .private_segment_fixed_size: 0
    .sgpr_count:     4
    .sgpr_spill_count: 0
    .symbol:         _ZN7rocprim17ROCPRIM_400000_NS6detail17trampoline_kernelINS0_14default_configENS1_25partition_config_selectorILNS1_17partition_subalgoE3EN6thrust23THRUST_200600_302600_NS5tupleIiiNS7_9null_typeES9_S9_S9_S9_S9_S9_S9_EENS0_10empty_typeEbEEZZNS1_14partition_implILS5_3ELb0ES3_jNS7_6detail15normal_iteratorINS7_7pointerISA_NS7_11hip_rocprim3tagENS7_11use_defaultESJ_EEEEPSB_SM_NS0_5tupleIJPSA_SM_EEENSN_IJSM_SM_EEESB_PlJ10is_orderedEEE10hipError_tPvRmT3_T4_T5_T6_T7_T9_mT8_P12ihipStream_tbDpT10_ENKUlT_T0_E_clISt17integral_constantIbLb0EES1C_EEDaS17_S18_EUlS17_E_NS1_11comp_targetILNS1_3genE8ELNS1_11target_archE1030ELNS1_3gpuE2ELNS1_3repE0EEENS1_30default_config_static_selectorELNS0_4arch9wavefront6targetE1EEEvT1_.kd
    .uniform_work_group_size: 1
    .uses_dynamic_stack: false
    .vgpr_count:     0
    .vgpr_spill_count: 0
    .wavefront_size: 64
  - .agpr_count:     0
    .args:
      - .offset:         0
        .size:           136
        .value_kind:     by_value
    .group_segment_fixed_size: 0
    .kernarg_segment_align: 8
    .kernarg_segment_size: 136
    .language:       OpenCL C
    .language_version:
      - 2
      - 0
    .max_flat_workgroup_size: 192
    .name:           _ZN7rocprim17ROCPRIM_400000_NS6detail17trampoline_kernelINS0_14default_configENS1_25partition_config_selectorILNS1_17partition_subalgoE3EN6thrust23THRUST_200600_302600_NS5tupleIiiNS7_9null_typeES9_S9_S9_S9_S9_S9_S9_EENS0_10empty_typeEbEEZZNS1_14partition_implILS5_3ELb0ES3_jNS7_6detail15normal_iteratorINS7_7pointerISA_NS7_11hip_rocprim3tagENS7_11use_defaultESJ_EEEEPSB_SM_NS0_5tupleIJPSA_SM_EEENSN_IJSM_SM_EEESB_PlJ10is_orderedEEE10hipError_tPvRmT3_T4_T5_T6_T7_T9_mT8_P12ihipStream_tbDpT10_ENKUlT_T0_E_clISt17integral_constantIbLb1EES1C_EEDaS17_S18_EUlS17_E_NS1_11comp_targetILNS1_3genE0ELNS1_11target_archE4294967295ELNS1_3gpuE0ELNS1_3repE0EEENS1_30default_config_static_selectorELNS0_4arch9wavefront6targetE1EEEvT1_
    .private_segment_fixed_size: 0
    .sgpr_count:     4
    .sgpr_spill_count: 0
    .symbol:         _ZN7rocprim17ROCPRIM_400000_NS6detail17trampoline_kernelINS0_14default_configENS1_25partition_config_selectorILNS1_17partition_subalgoE3EN6thrust23THRUST_200600_302600_NS5tupleIiiNS7_9null_typeES9_S9_S9_S9_S9_S9_S9_EENS0_10empty_typeEbEEZZNS1_14partition_implILS5_3ELb0ES3_jNS7_6detail15normal_iteratorINS7_7pointerISA_NS7_11hip_rocprim3tagENS7_11use_defaultESJ_EEEEPSB_SM_NS0_5tupleIJPSA_SM_EEENSN_IJSM_SM_EEESB_PlJ10is_orderedEEE10hipError_tPvRmT3_T4_T5_T6_T7_T9_mT8_P12ihipStream_tbDpT10_ENKUlT_T0_E_clISt17integral_constantIbLb1EES1C_EEDaS17_S18_EUlS17_E_NS1_11comp_targetILNS1_3genE0ELNS1_11target_archE4294967295ELNS1_3gpuE0ELNS1_3repE0EEENS1_30default_config_static_selectorELNS0_4arch9wavefront6targetE1EEEvT1_.kd
    .uniform_work_group_size: 1
    .uses_dynamic_stack: false
    .vgpr_count:     0
    .vgpr_spill_count: 0
    .wavefront_size: 64
  - .agpr_count:     0
    .args:
      - .offset:         0
        .size:           136
        .value_kind:     by_value
    .group_segment_fixed_size: 0
    .kernarg_segment_align: 8
    .kernarg_segment_size: 136
    .language:       OpenCL C
    .language_version:
      - 2
      - 0
    .max_flat_workgroup_size: 512
    .name:           _ZN7rocprim17ROCPRIM_400000_NS6detail17trampoline_kernelINS0_14default_configENS1_25partition_config_selectorILNS1_17partition_subalgoE3EN6thrust23THRUST_200600_302600_NS5tupleIiiNS7_9null_typeES9_S9_S9_S9_S9_S9_S9_EENS0_10empty_typeEbEEZZNS1_14partition_implILS5_3ELb0ES3_jNS7_6detail15normal_iteratorINS7_7pointerISA_NS7_11hip_rocprim3tagENS7_11use_defaultESJ_EEEEPSB_SM_NS0_5tupleIJPSA_SM_EEENSN_IJSM_SM_EEESB_PlJ10is_orderedEEE10hipError_tPvRmT3_T4_T5_T6_T7_T9_mT8_P12ihipStream_tbDpT10_ENKUlT_T0_E_clISt17integral_constantIbLb1EES1C_EEDaS17_S18_EUlS17_E_NS1_11comp_targetILNS1_3genE5ELNS1_11target_archE942ELNS1_3gpuE9ELNS1_3repE0EEENS1_30default_config_static_selectorELNS0_4arch9wavefront6targetE1EEEvT1_
    .private_segment_fixed_size: 0
    .sgpr_count:     4
    .sgpr_spill_count: 0
    .symbol:         _ZN7rocprim17ROCPRIM_400000_NS6detail17trampoline_kernelINS0_14default_configENS1_25partition_config_selectorILNS1_17partition_subalgoE3EN6thrust23THRUST_200600_302600_NS5tupleIiiNS7_9null_typeES9_S9_S9_S9_S9_S9_S9_EENS0_10empty_typeEbEEZZNS1_14partition_implILS5_3ELb0ES3_jNS7_6detail15normal_iteratorINS7_7pointerISA_NS7_11hip_rocprim3tagENS7_11use_defaultESJ_EEEEPSB_SM_NS0_5tupleIJPSA_SM_EEENSN_IJSM_SM_EEESB_PlJ10is_orderedEEE10hipError_tPvRmT3_T4_T5_T6_T7_T9_mT8_P12ihipStream_tbDpT10_ENKUlT_T0_E_clISt17integral_constantIbLb1EES1C_EEDaS17_S18_EUlS17_E_NS1_11comp_targetILNS1_3genE5ELNS1_11target_archE942ELNS1_3gpuE9ELNS1_3repE0EEENS1_30default_config_static_selectorELNS0_4arch9wavefront6targetE1EEEvT1_.kd
    .uniform_work_group_size: 1
    .uses_dynamic_stack: false
    .vgpr_count:     0
    .vgpr_spill_count: 0
    .wavefront_size: 64
  - .agpr_count:     0
    .args:
      - .offset:         0
        .size:           136
        .value_kind:     by_value
    .group_segment_fixed_size: 6344
    .kernarg_segment_align: 8
    .kernarg_segment_size: 136
    .language:       OpenCL C
    .language_version:
      - 2
      - 0
    .max_flat_workgroup_size: 192
    .name:           _ZN7rocprim17ROCPRIM_400000_NS6detail17trampoline_kernelINS0_14default_configENS1_25partition_config_selectorILNS1_17partition_subalgoE3EN6thrust23THRUST_200600_302600_NS5tupleIiiNS7_9null_typeES9_S9_S9_S9_S9_S9_S9_EENS0_10empty_typeEbEEZZNS1_14partition_implILS5_3ELb0ES3_jNS7_6detail15normal_iteratorINS7_7pointerISA_NS7_11hip_rocprim3tagENS7_11use_defaultESJ_EEEEPSB_SM_NS0_5tupleIJPSA_SM_EEENSN_IJSM_SM_EEESB_PlJ10is_orderedEEE10hipError_tPvRmT3_T4_T5_T6_T7_T9_mT8_P12ihipStream_tbDpT10_ENKUlT_T0_E_clISt17integral_constantIbLb1EES1C_EEDaS17_S18_EUlS17_E_NS1_11comp_targetILNS1_3genE4ELNS1_11target_archE910ELNS1_3gpuE8ELNS1_3repE0EEENS1_30default_config_static_selectorELNS0_4arch9wavefront6targetE1EEEvT1_
    .private_segment_fixed_size: 0
    .sgpr_count:     50
    .sgpr_spill_count: 0
    .symbol:         _ZN7rocprim17ROCPRIM_400000_NS6detail17trampoline_kernelINS0_14default_configENS1_25partition_config_selectorILNS1_17partition_subalgoE3EN6thrust23THRUST_200600_302600_NS5tupleIiiNS7_9null_typeES9_S9_S9_S9_S9_S9_S9_EENS0_10empty_typeEbEEZZNS1_14partition_implILS5_3ELb0ES3_jNS7_6detail15normal_iteratorINS7_7pointerISA_NS7_11hip_rocprim3tagENS7_11use_defaultESJ_EEEEPSB_SM_NS0_5tupleIJPSA_SM_EEENSN_IJSM_SM_EEESB_PlJ10is_orderedEEE10hipError_tPvRmT3_T4_T5_T6_T7_T9_mT8_P12ihipStream_tbDpT10_ENKUlT_T0_E_clISt17integral_constantIbLb1EES1C_EEDaS17_S18_EUlS17_E_NS1_11comp_targetILNS1_3genE4ELNS1_11target_archE910ELNS1_3gpuE8ELNS1_3repE0EEENS1_30default_config_static_selectorELNS0_4arch9wavefront6targetE1EEEvT1_.kd
    .uniform_work_group_size: 1
    .uses_dynamic_stack: false
    .vgpr_count:     46
    .vgpr_spill_count: 0
    .wavefront_size: 64
  - .agpr_count:     0
    .args:
      - .offset:         0
        .size:           136
        .value_kind:     by_value
    .group_segment_fixed_size: 0
    .kernarg_segment_align: 8
    .kernarg_segment_size: 136
    .language:       OpenCL C
    .language_version:
      - 2
      - 0
    .max_flat_workgroup_size: 192
    .name:           _ZN7rocprim17ROCPRIM_400000_NS6detail17trampoline_kernelINS0_14default_configENS1_25partition_config_selectorILNS1_17partition_subalgoE3EN6thrust23THRUST_200600_302600_NS5tupleIiiNS7_9null_typeES9_S9_S9_S9_S9_S9_S9_EENS0_10empty_typeEbEEZZNS1_14partition_implILS5_3ELb0ES3_jNS7_6detail15normal_iteratorINS7_7pointerISA_NS7_11hip_rocprim3tagENS7_11use_defaultESJ_EEEEPSB_SM_NS0_5tupleIJPSA_SM_EEENSN_IJSM_SM_EEESB_PlJ10is_orderedEEE10hipError_tPvRmT3_T4_T5_T6_T7_T9_mT8_P12ihipStream_tbDpT10_ENKUlT_T0_E_clISt17integral_constantIbLb1EES1C_EEDaS17_S18_EUlS17_E_NS1_11comp_targetILNS1_3genE3ELNS1_11target_archE908ELNS1_3gpuE7ELNS1_3repE0EEENS1_30default_config_static_selectorELNS0_4arch9wavefront6targetE1EEEvT1_
    .private_segment_fixed_size: 0
    .sgpr_count:     4
    .sgpr_spill_count: 0
    .symbol:         _ZN7rocprim17ROCPRIM_400000_NS6detail17trampoline_kernelINS0_14default_configENS1_25partition_config_selectorILNS1_17partition_subalgoE3EN6thrust23THRUST_200600_302600_NS5tupleIiiNS7_9null_typeES9_S9_S9_S9_S9_S9_S9_EENS0_10empty_typeEbEEZZNS1_14partition_implILS5_3ELb0ES3_jNS7_6detail15normal_iteratorINS7_7pointerISA_NS7_11hip_rocprim3tagENS7_11use_defaultESJ_EEEEPSB_SM_NS0_5tupleIJPSA_SM_EEENSN_IJSM_SM_EEESB_PlJ10is_orderedEEE10hipError_tPvRmT3_T4_T5_T6_T7_T9_mT8_P12ihipStream_tbDpT10_ENKUlT_T0_E_clISt17integral_constantIbLb1EES1C_EEDaS17_S18_EUlS17_E_NS1_11comp_targetILNS1_3genE3ELNS1_11target_archE908ELNS1_3gpuE7ELNS1_3repE0EEENS1_30default_config_static_selectorELNS0_4arch9wavefront6targetE1EEEvT1_.kd
    .uniform_work_group_size: 1
    .uses_dynamic_stack: false
    .vgpr_count:     0
    .vgpr_spill_count: 0
    .wavefront_size: 64
  - .agpr_count:     0
    .args:
      - .offset:         0
        .size:           136
        .value_kind:     by_value
    .group_segment_fixed_size: 0
    .kernarg_segment_align: 8
    .kernarg_segment_size: 136
    .language:       OpenCL C
    .language_version:
      - 2
      - 0
    .max_flat_workgroup_size: 256
    .name:           _ZN7rocprim17ROCPRIM_400000_NS6detail17trampoline_kernelINS0_14default_configENS1_25partition_config_selectorILNS1_17partition_subalgoE3EN6thrust23THRUST_200600_302600_NS5tupleIiiNS7_9null_typeES9_S9_S9_S9_S9_S9_S9_EENS0_10empty_typeEbEEZZNS1_14partition_implILS5_3ELb0ES3_jNS7_6detail15normal_iteratorINS7_7pointerISA_NS7_11hip_rocprim3tagENS7_11use_defaultESJ_EEEEPSB_SM_NS0_5tupleIJPSA_SM_EEENSN_IJSM_SM_EEESB_PlJ10is_orderedEEE10hipError_tPvRmT3_T4_T5_T6_T7_T9_mT8_P12ihipStream_tbDpT10_ENKUlT_T0_E_clISt17integral_constantIbLb1EES1C_EEDaS17_S18_EUlS17_E_NS1_11comp_targetILNS1_3genE2ELNS1_11target_archE906ELNS1_3gpuE6ELNS1_3repE0EEENS1_30default_config_static_selectorELNS0_4arch9wavefront6targetE1EEEvT1_
    .private_segment_fixed_size: 0
    .sgpr_count:     4
    .sgpr_spill_count: 0
    .symbol:         _ZN7rocprim17ROCPRIM_400000_NS6detail17trampoline_kernelINS0_14default_configENS1_25partition_config_selectorILNS1_17partition_subalgoE3EN6thrust23THRUST_200600_302600_NS5tupleIiiNS7_9null_typeES9_S9_S9_S9_S9_S9_S9_EENS0_10empty_typeEbEEZZNS1_14partition_implILS5_3ELb0ES3_jNS7_6detail15normal_iteratorINS7_7pointerISA_NS7_11hip_rocprim3tagENS7_11use_defaultESJ_EEEEPSB_SM_NS0_5tupleIJPSA_SM_EEENSN_IJSM_SM_EEESB_PlJ10is_orderedEEE10hipError_tPvRmT3_T4_T5_T6_T7_T9_mT8_P12ihipStream_tbDpT10_ENKUlT_T0_E_clISt17integral_constantIbLb1EES1C_EEDaS17_S18_EUlS17_E_NS1_11comp_targetILNS1_3genE2ELNS1_11target_archE906ELNS1_3gpuE6ELNS1_3repE0EEENS1_30default_config_static_selectorELNS0_4arch9wavefront6targetE1EEEvT1_.kd
    .uniform_work_group_size: 1
    .uses_dynamic_stack: false
    .vgpr_count:     0
    .vgpr_spill_count: 0
    .wavefront_size: 64
  - .agpr_count:     0
    .args:
      - .offset:         0
        .size:           136
        .value_kind:     by_value
    .group_segment_fixed_size: 0
    .kernarg_segment_align: 8
    .kernarg_segment_size: 136
    .language:       OpenCL C
    .language_version:
      - 2
      - 0
    .max_flat_workgroup_size: 512
    .name:           _ZN7rocprim17ROCPRIM_400000_NS6detail17trampoline_kernelINS0_14default_configENS1_25partition_config_selectorILNS1_17partition_subalgoE3EN6thrust23THRUST_200600_302600_NS5tupleIiiNS7_9null_typeES9_S9_S9_S9_S9_S9_S9_EENS0_10empty_typeEbEEZZNS1_14partition_implILS5_3ELb0ES3_jNS7_6detail15normal_iteratorINS7_7pointerISA_NS7_11hip_rocprim3tagENS7_11use_defaultESJ_EEEEPSB_SM_NS0_5tupleIJPSA_SM_EEENSN_IJSM_SM_EEESB_PlJ10is_orderedEEE10hipError_tPvRmT3_T4_T5_T6_T7_T9_mT8_P12ihipStream_tbDpT10_ENKUlT_T0_E_clISt17integral_constantIbLb1EES1C_EEDaS17_S18_EUlS17_E_NS1_11comp_targetILNS1_3genE10ELNS1_11target_archE1200ELNS1_3gpuE4ELNS1_3repE0EEENS1_30default_config_static_selectorELNS0_4arch9wavefront6targetE1EEEvT1_
    .private_segment_fixed_size: 0
    .sgpr_count:     4
    .sgpr_spill_count: 0
    .symbol:         _ZN7rocprim17ROCPRIM_400000_NS6detail17trampoline_kernelINS0_14default_configENS1_25partition_config_selectorILNS1_17partition_subalgoE3EN6thrust23THRUST_200600_302600_NS5tupleIiiNS7_9null_typeES9_S9_S9_S9_S9_S9_S9_EENS0_10empty_typeEbEEZZNS1_14partition_implILS5_3ELb0ES3_jNS7_6detail15normal_iteratorINS7_7pointerISA_NS7_11hip_rocprim3tagENS7_11use_defaultESJ_EEEEPSB_SM_NS0_5tupleIJPSA_SM_EEENSN_IJSM_SM_EEESB_PlJ10is_orderedEEE10hipError_tPvRmT3_T4_T5_T6_T7_T9_mT8_P12ihipStream_tbDpT10_ENKUlT_T0_E_clISt17integral_constantIbLb1EES1C_EEDaS17_S18_EUlS17_E_NS1_11comp_targetILNS1_3genE10ELNS1_11target_archE1200ELNS1_3gpuE4ELNS1_3repE0EEENS1_30default_config_static_selectorELNS0_4arch9wavefront6targetE1EEEvT1_.kd
    .uniform_work_group_size: 1
    .uses_dynamic_stack: false
    .vgpr_count:     0
    .vgpr_spill_count: 0
    .wavefront_size: 64
  - .agpr_count:     0
    .args:
      - .offset:         0
        .size:           136
        .value_kind:     by_value
    .group_segment_fixed_size: 0
    .kernarg_segment_align: 8
    .kernarg_segment_size: 136
    .language:       OpenCL C
    .language_version:
      - 2
      - 0
    .max_flat_workgroup_size: 512
    .name:           _ZN7rocprim17ROCPRIM_400000_NS6detail17trampoline_kernelINS0_14default_configENS1_25partition_config_selectorILNS1_17partition_subalgoE3EN6thrust23THRUST_200600_302600_NS5tupleIiiNS7_9null_typeES9_S9_S9_S9_S9_S9_S9_EENS0_10empty_typeEbEEZZNS1_14partition_implILS5_3ELb0ES3_jNS7_6detail15normal_iteratorINS7_7pointerISA_NS7_11hip_rocprim3tagENS7_11use_defaultESJ_EEEEPSB_SM_NS0_5tupleIJPSA_SM_EEENSN_IJSM_SM_EEESB_PlJ10is_orderedEEE10hipError_tPvRmT3_T4_T5_T6_T7_T9_mT8_P12ihipStream_tbDpT10_ENKUlT_T0_E_clISt17integral_constantIbLb1EES1C_EEDaS17_S18_EUlS17_E_NS1_11comp_targetILNS1_3genE9ELNS1_11target_archE1100ELNS1_3gpuE3ELNS1_3repE0EEENS1_30default_config_static_selectorELNS0_4arch9wavefront6targetE1EEEvT1_
    .private_segment_fixed_size: 0
    .sgpr_count:     4
    .sgpr_spill_count: 0
    .symbol:         _ZN7rocprim17ROCPRIM_400000_NS6detail17trampoline_kernelINS0_14default_configENS1_25partition_config_selectorILNS1_17partition_subalgoE3EN6thrust23THRUST_200600_302600_NS5tupleIiiNS7_9null_typeES9_S9_S9_S9_S9_S9_S9_EENS0_10empty_typeEbEEZZNS1_14partition_implILS5_3ELb0ES3_jNS7_6detail15normal_iteratorINS7_7pointerISA_NS7_11hip_rocprim3tagENS7_11use_defaultESJ_EEEEPSB_SM_NS0_5tupleIJPSA_SM_EEENSN_IJSM_SM_EEESB_PlJ10is_orderedEEE10hipError_tPvRmT3_T4_T5_T6_T7_T9_mT8_P12ihipStream_tbDpT10_ENKUlT_T0_E_clISt17integral_constantIbLb1EES1C_EEDaS17_S18_EUlS17_E_NS1_11comp_targetILNS1_3genE9ELNS1_11target_archE1100ELNS1_3gpuE3ELNS1_3repE0EEENS1_30default_config_static_selectorELNS0_4arch9wavefront6targetE1EEEvT1_.kd
    .uniform_work_group_size: 1
    .uses_dynamic_stack: false
    .vgpr_count:     0
    .vgpr_spill_count: 0
    .wavefront_size: 64
  - .agpr_count:     0
    .args:
      - .offset:         0
        .size:           136
        .value_kind:     by_value
    .group_segment_fixed_size: 0
    .kernarg_segment_align: 8
    .kernarg_segment_size: 136
    .language:       OpenCL C
    .language_version:
      - 2
      - 0
    .max_flat_workgroup_size: 512
    .name:           _ZN7rocprim17ROCPRIM_400000_NS6detail17trampoline_kernelINS0_14default_configENS1_25partition_config_selectorILNS1_17partition_subalgoE3EN6thrust23THRUST_200600_302600_NS5tupleIiiNS7_9null_typeES9_S9_S9_S9_S9_S9_S9_EENS0_10empty_typeEbEEZZNS1_14partition_implILS5_3ELb0ES3_jNS7_6detail15normal_iteratorINS7_7pointerISA_NS7_11hip_rocprim3tagENS7_11use_defaultESJ_EEEEPSB_SM_NS0_5tupleIJPSA_SM_EEENSN_IJSM_SM_EEESB_PlJ10is_orderedEEE10hipError_tPvRmT3_T4_T5_T6_T7_T9_mT8_P12ihipStream_tbDpT10_ENKUlT_T0_E_clISt17integral_constantIbLb1EES1C_EEDaS17_S18_EUlS17_E_NS1_11comp_targetILNS1_3genE8ELNS1_11target_archE1030ELNS1_3gpuE2ELNS1_3repE0EEENS1_30default_config_static_selectorELNS0_4arch9wavefront6targetE1EEEvT1_
    .private_segment_fixed_size: 0
    .sgpr_count:     4
    .sgpr_spill_count: 0
    .symbol:         _ZN7rocprim17ROCPRIM_400000_NS6detail17trampoline_kernelINS0_14default_configENS1_25partition_config_selectorILNS1_17partition_subalgoE3EN6thrust23THRUST_200600_302600_NS5tupleIiiNS7_9null_typeES9_S9_S9_S9_S9_S9_S9_EENS0_10empty_typeEbEEZZNS1_14partition_implILS5_3ELb0ES3_jNS7_6detail15normal_iteratorINS7_7pointerISA_NS7_11hip_rocprim3tagENS7_11use_defaultESJ_EEEEPSB_SM_NS0_5tupleIJPSA_SM_EEENSN_IJSM_SM_EEESB_PlJ10is_orderedEEE10hipError_tPvRmT3_T4_T5_T6_T7_T9_mT8_P12ihipStream_tbDpT10_ENKUlT_T0_E_clISt17integral_constantIbLb1EES1C_EEDaS17_S18_EUlS17_E_NS1_11comp_targetILNS1_3genE8ELNS1_11target_archE1030ELNS1_3gpuE2ELNS1_3repE0EEENS1_30default_config_static_selectorELNS0_4arch9wavefront6targetE1EEEvT1_.kd
    .uniform_work_group_size: 1
    .uses_dynamic_stack: false
    .vgpr_count:     0
    .vgpr_spill_count: 0
    .wavefront_size: 64
  - .agpr_count:     0
    .args:
      - .offset:         0
        .size:           120
        .value_kind:     by_value
    .group_segment_fixed_size: 0
    .kernarg_segment_align: 8
    .kernarg_segment_size: 120
    .language:       OpenCL C
    .language_version:
      - 2
      - 0
    .max_flat_workgroup_size: 192
    .name:           _ZN7rocprim17ROCPRIM_400000_NS6detail17trampoline_kernelINS0_14default_configENS1_25partition_config_selectorILNS1_17partition_subalgoE3EN6thrust23THRUST_200600_302600_NS5tupleIiiNS7_9null_typeES9_S9_S9_S9_S9_S9_S9_EENS0_10empty_typeEbEEZZNS1_14partition_implILS5_3ELb0ES3_jNS7_6detail15normal_iteratorINS7_7pointerISA_NS7_11hip_rocprim3tagENS7_11use_defaultESJ_EEEEPSB_SM_NS0_5tupleIJPSA_SM_EEENSN_IJSM_SM_EEESB_PlJ10is_orderedEEE10hipError_tPvRmT3_T4_T5_T6_T7_T9_mT8_P12ihipStream_tbDpT10_ENKUlT_T0_E_clISt17integral_constantIbLb1EES1B_IbLb0EEEEDaS17_S18_EUlS17_E_NS1_11comp_targetILNS1_3genE0ELNS1_11target_archE4294967295ELNS1_3gpuE0ELNS1_3repE0EEENS1_30default_config_static_selectorELNS0_4arch9wavefront6targetE1EEEvT1_
    .private_segment_fixed_size: 0
    .sgpr_count:     4
    .sgpr_spill_count: 0
    .symbol:         _ZN7rocprim17ROCPRIM_400000_NS6detail17trampoline_kernelINS0_14default_configENS1_25partition_config_selectorILNS1_17partition_subalgoE3EN6thrust23THRUST_200600_302600_NS5tupleIiiNS7_9null_typeES9_S9_S9_S9_S9_S9_S9_EENS0_10empty_typeEbEEZZNS1_14partition_implILS5_3ELb0ES3_jNS7_6detail15normal_iteratorINS7_7pointerISA_NS7_11hip_rocprim3tagENS7_11use_defaultESJ_EEEEPSB_SM_NS0_5tupleIJPSA_SM_EEENSN_IJSM_SM_EEESB_PlJ10is_orderedEEE10hipError_tPvRmT3_T4_T5_T6_T7_T9_mT8_P12ihipStream_tbDpT10_ENKUlT_T0_E_clISt17integral_constantIbLb1EES1B_IbLb0EEEEDaS17_S18_EUlS17_E_NS1_11comp_targetILNS1_3genE0ELNS1_11target_archE4294967295ELNS1_3gpuE0ELNS1_3repE0EEENS1_30default_config_static_selectorELNS0_4arch9wavefront6targetE1EEEvT1_.kd
    .uniform_work_group_size: 1
    .uses_dynamic_stack: false
    .vgpr_count:     0
    .vgpr_spill_count: 0
    .wavefront_size: 64
  - .agpr_count:     0
    .args:
      - .offset:         0
        .size:           120
        .value_kind:     by_value
    .group_segment_fixed_size: 0
    .kernarg_segment_align: 8
    .kernarg_segment_size: 120
    .language:       OpenCL C
    .language_version:
      - 2
      - 0
    .max_flat_workgroup_size: 512
    .name:           _ZN7rocprim17ROCPRIM_400000_NS6detail17trampoline_kernelINS0_14default_configENS1_25partition_config_selectorILNS1_17partition_subalgoE3EN6thrust23THRUST_200600_302600_NS5tupleIiiNS7_9null_typeES9_S9_S9_S9_S9_S9_S9_EENS0_10empty_typeEbEEZZNS1_14partition_implILS5_3ELb0ES3_jNS7_6detail15normal_iteratorINS7_7pointerISA_NS7_11hip_rocprim3tagENS7_11use_defaultESJ_EEEEPSB_SM_NS0_5tupleIJPSA_SM_EEENSN_IJSM_SM_EEESB_PlJ10is_orderedEEE10hipError_tPvRmT3_T4_T5_T6_T7_T9_mT8_P12ihipStream_tbDpT10_ENKUlT_T0_E_clISt17integral_constantIbLb1EES1B_IbLb0EEEEDaS17_S18_EUlS17_E_NS1_11comp_targetILNS1_3genE5ELNS1_11target_archE942ELNS1_3gpuE9ELNS1_3repE0EEENS1_30default_config_static_selectorELNS0_4arch9wavefront6targetE1EEEvT1_
    .private_segment_fixed_size: 0
    .sgpr_count:     4
    .sgpr_spill_count: 0
    .symbol:         _ZN7rocprim17ROCPRIM_400000_NS6detail17trampoline_kernelINS0_14default_configENS1_25partition_config_selectorILNS1_17partition_subalgoE3EN6thrust23THRUST_200600_302600_NS5tupleIiiNS7_9null_typeES9_S9_S9_S9_S9_S9_S9_EENS0_10empty_typeEbEEZZNS1_14partition_implILS5_3ELb0ES3_jNS7_6detail15normal_iteratorINS7_7pointerISA_NS7_11hip_rocprim3tagENS7_11use_defaultESJ_EEEEPSB_SM_NS0_5tupleIJPSA_SM_EEENSN_IJSM_SM_EEESB_PlJ10is_orderedEEE10hipError_tPvRmT3_T4_T5_T6_T7_T9_mT8_P12ihipStream_tbDpT10_ENKUlT_T0_E_clISt17integral_constantIbLb1EES1B_IbLb0EEEEDaS17_S18_EUlS17_E_NS1_11comp_targetILNS1_3genE5ELNS1_11target_archE942ELNS1_3gpuE9ELNS1_3repE0EEENS1_30default_config_static_selectorELNS0_4arch9wavefront6targetE1EEEvT1_.kd
    .uniform_work_group_size: 1
    .uses_dynamic_stack: false
    .vgpr_count:     0
    .vgpr_spill_count: 0
    .wavefront_size: 64
  - .agpr_count:     0
    .args:
      - .offset:         0
        .size:           120
        .value_kind:     by_value
    .group_segment_fixed_size: 6344
    .kernarg_segment_align: 8
    .kernarg_segment_size: 120
    .language:       OpenCL C
    .language_version:
      - 2
      - 0
    .max_flat_workgroup_size: 192
    .name:           _ZN7rocprim17ROCPRIM_400000_NS6detail17trampoline_kernelINS0_14default_configENS1_25partition_config_selectorILNS1_17partition_subalgoE3EN6thrust23THRUST_200600_302600_NS5tupleIiiNS7_9null_typeES9_S9_S9_S9_S9_S9_S9_EENS0_10empty_typeEbEEZZNS1_14partition_implILS5_3ELb0ES3_jNS7_6detail15normal_iteratorINS7_7pointerISA_NS7_11hip_rocprim3tagENS7_11use_defaultESJ_EEEEPSB_SM_NS0_5tupleIJPSA_SM_EEENSN_IJSM_SM_EEESB_PlJ10is_orderedEEE10hipError_tPvRmT3_T4_T5_T6_T7_T9_mT8_P12ihipStream_tbDpT10_ENKUlT_T0_E_clISt17integral_constantIbLb1EES1B_IbLb0EEEEDaS17_S18_EUlS17_E_NS1_11comp_targetILNS1_3genE4ELNS1_11target_archE910ELNS1_3gpuE8ELNS1_3repE0EEENS1_30default_config_static_selectorELNS0_4arch9wavefront6targetE1EEEvT1_
    .private_segment_fixed_size: 0
    .sgpr_count:     52
    .sgpr_spill_count: 0
    .symbol:         _ZN7rocprim17ROCPRIM_400000_NS6detail17trampoline_kernelINS0_14default_configENS1_25partition_config_selectorILNS1_17partition_subalgoE3EN6thrust23THRUST_200600_302600_NS5tupleIiiNS7_9null_typeES9_S9_S9_S9_S9_S9_S9_EENS0_10empty_typeEbEEZZNS1_14partition_implILS5_3ELb0ES3_jNS7_6detail15normal_iteratorINS7_7pointerISA_NS7_11hip_rocprim3tagENS7_11use_defaultESJ_EEEEPSB_SM_NS0_5tupleIJPSA_SM_EEENSN_IJSM_SM_EEESB_PlJ10is_orderedEEE10hipError_tPvRmT3_T4_T5_T6_T7_T9_mT8_P12ihipStream_tbDpT10_ENKUlT_T0_E_clISt17integral_constantIbLb1EES1B_IbLb0EEEEDaS17_S18_EUlS17_E_NS1_11comp_targetILNS1_3genE4ELNS1_11target_archE910ELNS1_3gpuE8ELNS1_3repE0EEENS1_30default_config_static_selectorELNS0_4arch9wavefront6targetE1EEEvT1_.kd
    .uniform_work_group_size: 1
    .uses_dynamic_stack: false
    .vgpr_count:     43
    .vgpr_spill_count: 0
    .wavefront_size: 64
  - .agpr_count:     0
    .args:
      - .offset:         0
        .size:           120
        .value_kind:     by_value
    .group_segment_fixed_size: 0
    .kernarg_segment_align: 8
    .kernarg_segment_size: 120
    .language:       OpenCL C
    .language_version:
      - 2
      - 0
    .max_flat_workgroup_size: 192
    .name:           _ZN7rocprim17ROCPRIM_400000_NS6detail17trampoline_kernelINS0_14default_configENS1_25partition_config_selectorILNS1_17partition_subalgoE3EN6thrust23THRUST_200600_302600_NS5tupleIiiNS7_9null_typeES9_S9_S9_S9_S9_S9_S9_EENS0_10empty_typeEbEEZZNS1_14partition_implILS5_3ELb0ES3_jNS7_6detail15normal_iteratorINS7_7pointerISA_NS7_11hip_rocprim3tagENS7_11use_defaultESJ_EEEEPSB_SM_NS0_5tupleIJPSA_SM_EEENSN_IJSM_SM_EEESB_PlJ10is_orderedEEE10hipError_tPvRmT3_T4_T5_T6_T7_T9_mT8_P12ihipStream_tbDpT10_ENKUlT_T0_E_clISt17integral_constantIbLb1EES1B_IbLb0EEEEDaS17_S18_EUlS17_E_NS1_11comp_targetILNS1_3genE3ELNS1_11target_archE908ELNS1_3gpuE7ELNS1_3repE0EEENS1_30default_config_static_selectorELNS0_4arch9wavefront6targetE1EEEvT1_
    .private_segment_fixed_size: 0
    .sgpr_count:     4
    .sgpr_spill_count: 0
    .symbol:         _ZN7rocprim17ROCPRIM_400000_NS6detail17trampoline_kernelINS0_14default_configENS1_25partition_config_selectorILNS1_17partition_subalgoE3EN6thrust23THRUST_200600_302600_NS5tupleIiiNS7_9null_typeES9_S9_S9_S9_S9_S9_S9_EENS0_10empty_typeEbEEZZNS1_14partition_implILS5_3ELb0ES3_jNS7_6detail15normal_iteratorINS7_7pointerISA_NS7_11hip_rocprim3tagENS7_11use_defaultESJ_EEEEPSB_SM_NS0_5tupleIJPSA_SM_EEENSN_IJSM_SM_EEESB_PlJ10is_orderedEEE10hipError_tPvRmT3_T4_T5_T6_T7_T9_mT8_P12ihipStream_tbDpT10_ENKUlT_T0_E_clISt17integral_constantIbLb1EES1B_IbLb0EEEEDaS17_S18_EUlS17_E_NS1_11comp_targetILNS1_3genE3ELNS1_11target_archE908ELNS1_3gpuE7ELNS1_3repE0EEENS1_30default_config_static_selectorELNS0_4arch9wavefront6targetE1EEEvT1_.kd
    .uniform_work_group_size: 1
    .uses_dynamic_stack: false
    .vgpr_count:     0
    .vgpr_spill_count: 0
    .wavefront_size: 64
  - .agpr_count:     0
    .args:
      - .offset:         0
        .size:           120
        .value_kind:     by_value
    .group_segment_fixed_size: 0
    .kernarg_segment_align: 8
    .kernarg_segment_size: 120
    .language:       OpenCL C
    .language_version:
      - 2
      - 0
    .max_flat_workgroup_size: 256
    .name:           _ZN7rocprim17ROCPRIM_400000_NS6detail17trampoline_kernelINS0_14default_configENS1_25partition_config_selectorILNS1_17partition_subalgoE3EN6thrust23THRUST_200600_302600_NS5tupleIiiNS7_9null_typeES9_S9_S9_S9_S9_S9_S9_EENS0_10empty_typeEbEEZZNS1_14partition_implILS5_3ELb0ES3_jNS7_6detail15normal_iteratorINS7_7pointerISA_NS7_11hip_rocprim3tagENS7_11use_defaultESJ_EEEEPSB_SM_NS0_5tupleIJPSA_SM_EEENSN_IJSM_SM_EEESB_PlJ10is_orderedEEE10hipError_tPvRmT3_T4_T5_T6_T7_T9_mT8_P12ihipStream_tbDpT10_ENKUlT_T0_E_clISt17integral_constantIbLb1EES1B_IbLb0EEEEDaS17_S18_EUlS17_E_NS1_11comp_targetILNS1_3genE2ELNS1_11target_archE906ELNS1_3gpuE6ELNS1_3repE0EEENS1_30default_config_static_selectorELNS0_4arch9wavefront6targetE1EEEvT1_
    .private_segment_fixed_size: 0
    .sgpr_count:     4
    .sgpr_spill_count: 0
    .symbol:         _ZN7rocprim17ROCPRIM_400000_NS6detail17trampoline_kernelINS0_14default_configENS1_25partition_config_selectorILNS1_17partition_subalgoE3EN6thrust23THRUST_200600_302600_NS5tupleIiiNS7_9null_typeES9_S9_S9_S9_S9_S9_S9_EENS0_10empty_typeEbEEZZNS1_14partition_implILS5_3ELb0ES3_jNS7_6detail15normal_iteratorINS7_7pointerISA_NS7_11hip_rocprim3tagENS7_11use_defaultESJ_EEEEPSB_SM_NS0_5tupleIJPSA_SM_EEENSN_IJSM_SM_EEESB_PlJ10is_orderedEEE10hipError_tPvRmT3_T4_T5_T6_T7_T9_mT8_P12ihipStream_tbDpT10_ENKUlT_T0_E_clISt17integral_constantIbLb1EES1B_IbLb0EEEEDaS17_S18_EUlS17_E_NS1_11comp_targetILNS1_3genE2ELNS1_11target_archE906ELNS1_3gpuE6ELNS1_3repE0EEENS1_30default_config_static_selectorELNS0_4arch9wavefront6targetE1EEEvT1_.kd
    .uniform_work_group_size: 1
    .uses_dynamic_stack: false
    .vgpr_count:     0
    .vgpr_spill_count: 0
    .wavefront_size: 64
  - .agpr_count:     0
    .args:
      - .offset:         0
        .size:           120
        .value_kind:     by_value
    .group_segment_fixed_size: 0
    .kernarg_segment_align: 8
    .kernarg_segment_size: 120
    .language:       OpenCL C
    .language_version:
      - 2
      - 0
    .max_flat_workgroup_size: 512
    .name:           _ZN7rocprim17ROCPRIM_400000_NS6detail17trampoline_kernelINS0_14default_configENS1_25partition_config_selectorILNS1_17partition_subalgoE3EN6thrust23THRUST_200600_302600_NS5tupleIiiNS7_9null_typeES9_S9_S9_S9_S9_S9_S9_EENS0_10empty_typeEbEEZZNS1_14partition_implILS5_3ELb0ES3_jNS7_6detail15normal_iteratorINS7_7pointerISA_NS7_11hip_rocprim3tagENS7_11use_defaultESJ_EEEEPSB_SM_NS0_5tupleIJPSA_SM_EEENSN_IJSM_SM_EEESB_PlJ10is_orderedEEE10hipError_tPvRmT3_T4_T5_T6_T7_T9_mT8_P12ihipStream_tbDpT10_ENKUlT_T0_E_clISt17integral_constantIbLb1EES1B_IbLb0EEEEDaS17_S18_EUlS17_E_NS1_11comp_targetILNS1_3genE10ELNS1_11target_archE1200ELNS1_3gpuE4ELNS1_3repE0EEENS1_30default_config_static_selectorELNS0_4arch9wavefront6targetE1EEEvT1_
    .private_segment_fixed_size: 0
    .sgpr_count:     4
    .sgpr_spill_count: 0
    .symbol:         _ZN7rocprim17ROCPRIM_400000_NS6detail17trampoline_kernelINS0_14default_configENS1_25partition_config_selectorILNS1_17partition_subalgoE3EN6thrust23THRUST_200600_302600_NS5tupleIiiNS7_9null_typeES9_S9_S9_S9_S9_S9_S9_EENS0_10empty_typeEbEEZZNS1_14partition_implILS5_3ELb0ES3_jNS7_6detail15normal_iteratorINS7_7pointerISA_NS7_11hip_rocprim3tagENS7_11use_defaultESJ_EEEEPSB_SM_NS0_5tupleIJPSA_SM_EEENSN_IJSM_SM_EEESB_PlJ10is_orderedEEE10hipError_tPvRmT3_T4_T5_T6_T7_T9_mT8_P12ihipStream_tbDpT10_ENKUlT_T0_E_clISt17integral_constantIbLb1EES1B_IbLb0EEEEDaS17_S18_EUlS17_E_NS1_11comp_targetILNS1_3genE10ELNS1_11target_archE1200ELNS1_3gpuE4ELNS1_3repE0EEENS1_30default_config_static_selectorELNS0_4arch9wavefront6targetE1EEEvT1_.kd
    .uniform_work_group_size: 1
    .uses_dynamic_stack: false
    .vgpr_count:     0
    .vgpr_spill_count: 0
    .wavefront_size: 64
  - .agpr_count:     0
    .args:
      - .offset:         0
        .size:           120
        .value_kind:     by_value
    .group_segment_fixed_size: 0
    .kernarg_segment_align: 8
    .kernarg_segment_size: 120
    .language:       OpenCL C
    .language_version:
      - 2
      - 0
    .max_flat_workgroup_size: 512
    .name:           _ZN7rocprim17ROCPRIM_400000_NS6detail17trampoline_kernelINS0_14default_configENS1_25partition_config_selectorILNS1_17partition_subalgoE3EN6thrust23THRUST_200600_302600_NS5tupleIiiNS7_9null_typeES9_S9_S9_S9_S9_S9_S9_EENS0_10empty_typeEbEEZZNS1_14partition_implILS5_3ELb0ES3_jNS7_6detail15normal_iteratorINS7_7pointerISA_NS7_11hip_rocprim3tagENS7_11use_defaultESJ_EEEEPSB_SM_NS0_5tupleIJPSA_SM_EEENSN_IJSM_SM_EEESB_PlJ10is_orderedEEE10hipError_tPvRmT3_T4_T5_T6_T7_T9_mT8_P12ihipStream_tbDpT10_ENKUlT_T0_E_clISt17integral_constantIbLb1EES1B_IbLb0EEEEDaS17_S18_EUlS17_E_NS1_11comp_targetILNS1_3genE9ELNS1_11target_archE1100ELNS1_3gpuE3ELNS1_3repE0EEENS1_30default_config_static_selectorELNS0_4arch9wavefront6targetE1EEEvT1_
    .private_segment_fixed_size: 0
    .sgpr_count:     4
    .sgpr_spill_count: 0
    .symbol:         _ZN7rocprim17ROCPRIM_400000_NS6detail17trampoline_kernelINS0_14default_configENS1_25partition_config_selectorILNS1_17partition_subalgoE3EN6thrust23THRUST_200600_302600_NS5tupleIiiNS7_9null_typeES9_S9_S9_S9_S9_S9_S9_EENS0_10empty_typeEbEEZZNS1_14partition_implILS5_3ELb0ES3_jNS7_6detail15normal_iteratorINS7_7pointerISA_NS7_11hip_rocprim3tagENS7_11use_defaultESJ_EEEEPSB_SM_NS0_5tupleIJPSA_SM_EEENSN_IJSM_SM_EEESB_PlJ10is_orderedEEE10hipError_tPvRmT3_T4_T5_T6_T7_T9_mT8_P12ihipStream_tbDpT10_ENKUlT_T0_E_clISt17integral_constantIbLb1EES1B_IbLb0EEEEDaS17_S18_EUlS17_E_NS1_11comp_targetILNS1_3genE9ELNS1_11target_archE1100ELNS1_3gpuE3ELNS1_3repE0EEENS1_30default_config_static_selectorELNS0_4arch9wavefront6targetE1EEEvT1_.kd
    .uniform_work_group_size: 1
    .uses_dynamic_stack: false
    .vgpr_count:     0
    .vgpr_spill_count: 0
    .wavefront_size: 64
  - .agpr_count:     0
    .args:
      - .offset:         0
        .size:           120
        .value_kind:     by_value
    .group_segment_fixed_size: 0
    .kernarg_segment_align: 8
    .kernarg_segment_size: 120
    .language:       OpenCL C
    .language_version:
      - 2
      - 0
    .max_flat_workgroup_size: 512
    .name:           _ZN7rocprim17ROCPRIM_400000_NS6detail17trampoline_kernelINS0_14default_configENS1_25partition_config_selectorILNS1_17partition_subalgoE3EN6thrust23THRUST_200600_302600_NS5tupleIiiNS7_9null_typeES9_S9_S9_S9_S9_S9_S9_EENS0_10empty_typeEbEEZZNS1_14partition_implILS5_3ELb0ES3_jNS7_6detail15normal_iteratorINS7_7pointerISA_NS7_11hip_rocprim3tagENS7_11use_defaultESJ_EEEEPSB_SM_NS0_5tupleIJPSA_SM_EEENSN_IJSM_SM_EEESB_PlJ10is_orderedEEE10hipError_tPvRmT3_T4_T5_T6_T7_T9_mT8_P12ihipStream_tbDpT10_ENKUlT_T0_E_clISt17integral_constantIbLb1EES1B_IbLb0EEEEDaS17_S18_EUlS17_E_NS1_11comp_targetILNS1_3genE8ELNS1_11target_archE1030ELNS1_3gpuE2ELNS1_3repE0EEENS1_30default_config_static_selectorELNS0_4arch9wavefront6targetE1EEEvT1_
    .private_segment_fixed_size: 0
    .sgpr_count:     4
    .sgpr_spill_count: 0
    .symbol:         _ZN7rocprim17ROCPRIM_400000_NS6detail17trampoline_kernelINS0_14default_configENS1_25partition_config_selectorILNS1_17partition_subalgoE3EN6thrust23THRUST_200600_302600_NS5tupleIiiNS7_9null_typeES9_S9_S9_S9_S9_S9_S9_EENS0_10empty_typeEbEEZZNS1_14partition_implILS5_3ELb0ES3_jNS7_6detail15normal_iteratorINS7_7pointerISA_NS7_11hip_rocprim3tagENS7_11use_defaultESJ_EEEEPSB_SM_NS0_5tupleIJPSA_SM_EEENSN_IJSM_SM_EEESB_PlJ10is_orderedEEE10hipError_tPvRmT3_T4_T5_T6_T7_T9_mT8_P12ihipStream_tbDpT10_ENKUlT_T0_E_clISt17integral_constantIbLb1EES1B_IbLb0EEEEDaS17_S18_EUlS17_E_NS1_11comp_targetILNS1_3genE8ELNS1_11target_archE1030ELNS1_3gpuE2ELNS1_3repE0EEENS1_30default_config_static_selectorELNS0_4arch9wavefront6targetE1EEEvT1_.kd
    .uniform_work_group_size: 1
    .uses_dynamic_stack: false
    .vgpr_count:     0
    .vgpr_spill_count: 0
    .wavefront_size: 64
  - .agpr_count:     0
    .args:
      - .offset:         0
        .size:           136
        .value_kind:     by_value
    .group_segment_fixed_size: 0
    .kernarg_segment_align: 8
    .kernarg_segment_size: 136
    .language:       OpenCL C
    .language_version:
      - 2
      - 0
    .max_flat_workgroup_size: 192
    .name:           _ZN7rocprim17ROCPRIM_400000_NS6detail17trampoline_kernelINS0_14default_configENS1_25partition_config_selectorILNS1_17partition_subalgoE3EN6thrust23THRUST_200600_302600_NS5tupleIiiNS7_9null_typeES9_S9_S9_S9_S9_S9_S9_EENS0_10empty_typeEbEEZZNS1_14partition_implILS5_3ELb0ES3_jNS7_6detail15normal_iteratorINS7_7pointerISA_NS7_11hip_rocprim3tagENS7_11use_defaultESJ_EEEEPSB_SM_NS0_5tupleIJPSA_SM_EEENSN_IJSM_SM_EEESB_PlJ10is_orderedEEE10hipError_tPvRmT3_T4_T5_T6_T7_T9_mT8_P12ihipStream_tbDpT10_ENKUlT_T0_E_clISt17integral_constantIbLb0EES1B_IbLb1EEEEDaS17_S18_EUlS17_E_NS1_11comp_targetILNS1_3genE0ELNS1_11target_archE4294967295ELNS1_3gpuE0ELNS1_3repE0EEENS1_30default_config_static_selectorELNS0_4arch9wavefront6targetE1EEEvT1_
    .private_segment_fixed_size: 0
    .sgpr_count:     4
    .sgpr_spill_count: 0
    .symbol:         _ZN7rocprim17ROCPRIM_400000_NS6detail17trampoline_kernelINS0_14default_configENS1_25partition_config_selectorILNS1_17partition_subalgoE3EN6thrust23THRUST_200600_302600_NS5tupleIiiNS7_9null_typeES9_S9_S9_S9_S9_S9_S9_EENS0_10empty_typeEbEEZZNS1_14partition_implILS5_3ELb0ES3_jNS7_6detail15normal_iteratorINS7_7pointerISA_NS7_11hip_rocprim3tagENS7_11use_defaultESJ_EEEEPSB_SM_NS0_5tupleIJPSA_SM_EEENSN_IJSM_SM_EEESB_PlJ10is_orderedEEE10hipError_tPvRmT3_T4_T5_T6_T7_T9_mT8_P12ihipStream_tbDpT10_ENKUlT_T0_E_clISt17integral_constantIbLb0EES1B_IbLb1EEEEDaS17_S18_EUlS17_E_NS1_11comp_targetILNS1_3genE0ELNS1_11target_archE4294967295ELNS1_3gpuE0ELNS1_3repE0EEENS1_30default_config_static_selectorELNS0_4arch9wavefront6targetE1EEEvT1_.kd
    .uniform_work_group_size: 1
    .uses_dynamic_stack: false
    .vgpr_count:     0
    .vgpr_spill_count: 0
    .wavefront_size: 64
  - .agpr_count:     0
    .args:
      - .offset:         0
        .size:           136
        .value_kind:     by_value
    .group_segment_fixed_size: 0
    .kernarg_segment_align: 8
    .kernarg_segment_size: 136
    .language:       OpenCL C
    .language_version:
      - 2
      - 0
    .max_flat_workgroup_size: 512
    .name:           _ZN7rocprim17ROCPRIM_400000_NS6detail17trampoline_kernelINS0_14default_configENS1_25partition_config_selectorILNS1_17partition_subalgoE3EN6thrust23THRUST_200600_302600_NS5tupleIiiNS7_9null_typeES9_S9_S9_S9_S9_S9_S9_EENS0_10empty_typeEbEEZZNS1_14partition_implILS5_3ELb0ES3_jNS7_6detail15normal_iteratorINS7_7pointerISA_NS7_11hip_rocprim3tagENS7_11use_defaultESJ_EEEEPSB_SM_NS0_5tupleIJPSA_SM_EEENSN_IJSM_SM_EEESB_PlJ10is_orderedEEE10hipError_tPvRmT3_T4_T5_T6_T7_T9_mT8_P12ihipStream_tbDpT10_ENKUlT_T0_E_clISt17integral_constantIbLb0EES1B_IbLb1EEEEDaS17_S18_EUlS17_E_NS1_11comp_targetILNS1_3genE5ELNS1_11target_archE942ELNS1_3gpuE9ELNS1_3repE0EEENS1_30default_config_static_selectorELNS0_4arch9wavefront6targetE1EEEvT1_
    .private_segment_fixed_size: 0
    .sgpr_count:     4
    .sgpr_spill_count: 0
    .symbol:         _ZN7rocprim17ROCPRIM_400000_NS6detail17trampoline_kernelINS0_14default_configENS1_25partition_config_selectorILNS1_17partition_subalgoE3EN6thrust23THRUST_200600_302600_NS5tupleIiiNS7_9null_typeES9_S9_S9_S9_S9_S9_S9_EENS0_10empty_typeEbEEZZNS1_14partition_implILS5_3ELb0ES3_jNS7_6detail15normal_iteratorINS7_7pointerISA_NS7_11hip_rocprim3tagENS7_11use_defaultESJ_EEEEPSB_SM_NS0_5tupleIJPSA_SM_EEENSN_IJSM_SM_EEESB_PlJ10is_orderedEEE10hipError_tPvRmT3_T4_T5_T6_T7_T9_mT8_P12ihipStream_tbDpT10_ENKUlT_T0_E_clISt17integral_constantIbLb0EES1B_IbLb1EEEEDaS17_S18_EUlS17_E_NS1_11comp_targetILNS1_3genE5ELNS1_11target_archE942ELNS1_3gpuE9ELNS1_3repE0EEENS1_30default_config_static_selectorELNS0_4arch9wavefront6targetE1EEEvT1_.kd
    .uniform_work_group_size: 1
    .uses_dynamic_stack: false
    .vgpr_count:     0
    .vgpr_spill_count: 0
    .wavefront_size: 64
  - .agpr_count:     0
    .args:
      - .offset:         0
        .size:           136
        .value_kind:     by_value
    .group_segment_fixed_size: 6344
    .kernarg_segment_align: 8
    .kernarg_segment_size: 136
    .language:       OpenCL C
    .language_version:
      - 2
      - 0
    .max_flat_workgroup_size: 192
    .name:           _ZN7rocprim17ROCPRIM_400000_NS6detail17trampoline_kernelINS0_14default_configENS1_25partition_config_selectorILNS1_17partition_subalgoE3EN6thrust23THRUST_200600_302600_NS5tupleIiiNS7_9null_typeES9_S9_S9_S9_S9_S9_S9_EENS0_10empty_typeEbEEZZNS1_14partition_implILS5_3ELb0ES3_jNS7_6detail15normal_iteratorINS7_7pointerISA_NS7_11hip_rocprim3tagENS7_11use_defaultESJ_EEEEPSB_SM_NS0_5tupleIJPSA_SM_EEENSN_IJSM_SM_EEESB_PlJ10is_orderedEEE10hipError_tPvRmT3_T4_T5_T6_T7_T9_mT8_P12ihipStream_tbDpT10_ENKUlT_T0_E_clISt17integral_constantIbLb0EES1B_IbLb1EEEEDaS17_S18_EUlS17_E_NS1_11comp_targetILNS1_3genE4ELNS1_11target_archE910ELNS1_3gpuE8ELNS1_3repE0EEENS1_30default_config_static_selectorELNS0_4arch9wavefront6targetE1EEEvT1_
    .private_segment_fixed_size: 0
    .sgpr_count:     50
    .sgpr_spill_count: 0
    .symbol:         _ZN7rocprim17ROCPRIM_400000_NS6detail17trampoline_kernelINS0_14default_configENS1_25partition_config_selectorILNS1_17partition_subalgoE3EN6thrust23THRUST_200600_302600_NS5tupleIiiNS7_9null_typeES9_S9_S9_S9_S9_S9_S9_EENS0_10empty_typeEbEEZZNS1_14partition_implILS5_3ELb0ES3_jNS7_6detail15normal_iteratorINS7_7pointerISA_NS7_11hip_rocprim3tagENS7_11use_defaultESJ_EEEEPSB_SM_NS0_5tupleIJPSA_SM_EEENSN_IJSM_SM_EEESB_PlJ10is_orderedEEE10hipError_tPvRmT3_T4_T5_T6_T7_T9_mT8_P12ihipStream_tbDpT10_ENKUlT_T0_E_clISt17integral_constantIbLb0EES1B_IbLb1EEEEDaS17_S18_EUlS17_E_NS1_11comp_targetILNS1_3genE4ELNS1_11target_archE910ELNS1_3gpuE8ELNS1_3repE0EEENS1_30default_config_static_selectorELNS0_4arch9wavefront6targetE1EEEvT1_.kd
    .uniform_work_group_size: 1
    .uses_dynamic_stack: false
    .vgpr_count:     46
    .vgpr_spill_count: 0
    .wavefront_size: 64
  - .agpr_count:     0
    .args:
      - .offset:         0
        .size:           136
        .value_kind:     by_value
    .group_segment_fixed_size: 0
    .kernarg_segment_align: 8
    .kernarg_segment_size: 136
    .language:       OpenCL C
    .language_version:
      - 2
      - 0
    .max_flat_workgroup_size: 192
    .name:           _ZN7rocprim17ROCPRIM_400000_NS6detail17trampoline_kernelINS0_14default_configENS1_25partition_config_selectorILNS1_17partition_subalgoE3EN6thrust23THRUST_200600_302600_NS5tupleIiiNS7_9null_typeES9_S9_S9_S9_S9_S9_S9_EENS0_10empty_typeEbEEZZNS1_14partition_implILS5_3ELb0ES3_jNS7_6detail15normal_iteratorINS7_7pointerISA_NS7_11hip_rocprim3tagENS7_11use_defaultESJ_EEEEPSB_SM_NS0_5tupleIJPSA_SM_EEENSN_IJSM_SM_EEESB_PlJ10is_orderedEEE10hipError_tPvRmT3_T4_T5_T6_T7_T9_mT8_P12ihipStream_tbDpT10_ENKUlT_T0_E_clISt17integral_constantIbLb0EES1B_IbLb1EEEEDaS17_S18_EUlS17_E_NS1_11comp_targetILNS1_3genE3ELNS1_11target_archE908ELNS1_3gpuE7ELNS1_3repE0EEENS1_30default_config_static_selectorELNS0_4arch9wavefront6targetE1EEEvT1_
    .private_segment_fixed_size: 0
    .sgpr_count:     4
    .sgpr_spill_count: 0
    .symbol:         _ZN7rocprim17ROCPRIM_400000_NS6detail17trampoline_kernelINS0_14default_configENS1_25partition_config_selectorILNS1_17partition_subalgoE3EN6thrust23THRUST_200600_302600_NS5tupleIiiNS7_9null_typeES9_S9_S9_S9_S9_S9_S9_EENS0_10empty_typeEbEEZZNS1_14partition_implILS5_3ELb0ES3_jNS7_6detail15normal_iteratorINS7_7pointerISA_NS7_11hip_rocprim3tagENS7_11use_defaultESJ_EEEEPSB_SM_NS0_5tupleIJPSA_SM_EEENSN_IJSM_SM_EEESB_PlJ10is_orderedEEE10hipError_tPvRmT3_T4_T5_T6_T7_T9_mT8_P12ihipStream_tbDpT10_ENKUlT_T0_E_clISt17integral_constantIbLb0EES1B_IbLb1EEEEDaS17_S18_EUlS17_E_NS1_11comp_targetILNS1_3genE3ELNS1_11target_archE908ELNS1_3gpuE7ELNS1_3repE0EEENS1_30default_config_static_selectorELNS0_4arch9wavefront6targetE1EEEvT1_.kd
    .uniform_work_group_size: 1
    .uses_dynamic_stack: false
    .vgpr_count:     0
    .vgpr_spill_count: 0
    .wavefront_size: 64
  - .agpr_count:     0
    .args:
      - .offset:         0
        .size:           136
        .value_kind:     by_value
    .group_segment_fixed_size: 0
    .kernarg_segment_align: 8
    .kernarg_segment_size: 136
    .language:       OpenCL C
    .language_version:
      - 2
      - 0
    .max_flat_workgroup_size: 256
    .name:           _ZN7rocprim17ROCPRIM_400000_NS6detail17trampoline_kernelINS0_14default_configENS1_25partition_config_selectorILNS1_17partition_subalgoE3EN6thrust23THRUST_200600_302600_NS5tupleIiiNS7_9null_typeES9_S9_S9_S9_S9_S9_S9_EENS0_10empty_typeEbEEZZNS1_14partition_implILS5_3ELb0ES3_jNS7_6detail15normal_iteratorINS7_7pointerISA_NS7_11hip_rocprim3tagENS7_11use_defaultESJ_EEEEPSB_SM_NS0_5tupleIJPSA_SM_EEENSN_IJSM_SM_EEESB_PlJ10is_orderedEEE10hipError_tPvRmT3_T4_T5_T6_T7_T9_mT8_P12ihipStream_tbDpT10_ENKUlT_T0_E_clISt17integral_constantIbLb0EES1B_IbLb1EEEEDaS17_S18_EUlS17_E_NS1_11comp_targetILNS1_3genE2ELNS1_11target_archE906ELNS1_3gpuE6ELNS1_3repE0EEENS1_30default_config_static_selectorELNS0_4arch9wavefront6targetE1EEEvT1_
    .private_segment_fixed_size: 0
    .sgpr_count:     4
    .sgpr_spill_count: 0
    .symbol:         _ZN7rocprim17ROCPRIM_400000_NS6detail17trampoline_kernelINS0_14default_configENS1_25partition_config_selectorILNS1_17partition_subalgoE3EN6thrust23THRUST_200600_302600_NS5tupleIiiNS7_9null_typeES9_S9_S9_S9_S9_S9_S9_EENS0_10empty_typeEbEEZZNS1_14partition_implILS5_3ELb0ES3_jNS7_6detail15normal_iteratorINS7_7pointerISA_NS7_11hip_rocprim3tagENS7_11use_defaultESJ_EEEEPSB_SM_NS0_5tupleIJPSA_SM_EEENSN_IJSM_SM_EEESB_PlJ10is_orderedEEE10hipError_tPvRmT3_T4_T5_T6_T7_T9_mT8_P12ihipStream_tbDpT10_ENKUlT_T0_E_clISt17integral_constantIbLb0EES1B_IbLb1EEEEDaS17_S18_EUlS17_E_NS1_11comp_targetILNS1_3genE2ELNS1_11target_archE906ELNS1_3gpuE6ELNS1_3repE0EEENS1_30default_config_static_selectorELNS0_4arch9wavefront6targetE1EEEvT1_.kd
    .uniform_work_group_size: 1
    .uses_dynamic_stack: false
    .vgpr_count:     0
    .vgpr_spill_count: 0
    .wavefront_size: 64
  - .agpr_count:     0
    .args:
      - .offset:         0
        .size:           136
        .value_kind:     by_value
    .group_segment_fixed_size: 0
    .kernarg_segment_align: 8
    .kernarg_segment_size: 136
    .language:       OpenCL C
    .language_version:
      - 2
      - 0
    .max_flat_workgroup_size: 512
    .name:           _ZN7rocprim17ROCPRIM_400000_NS6detail17trampoline_kernelINS0_14default_configENS1_25partition_config_selectorILNS1_17partition_subalgoE3EN6thrust23THRUST_200600_302600_NS5tupleIiiNS7_9null_typeES9_S9_S9_S9_S9_S9_S9_EENS0_10empty_typeEbEEZZNS1_14partition_implILS5_3ELb0ES3_jNS7_6detail15normal_iteratorINS7_7pointerISA_NS7_11hip_rocprim3tagENS7_11use_defaultESJ_EEEEPSB_SM_NS0_5tupleIJPSA_SM_EEENSN_IJSM_SM_EEESB_PlJ10is_orderedEEE10hipError_tPvRmT3_T4_T5_T6_T7_T9_mT8_P12ihipStream_tbDpT10_ENKUlT_T0_E_clISt17integral_constantIbLb0EES1B_IbLb1EEEEDaS17_S18_EUlS17_E_NS1_11comp_targetILNS1_3genE10ELNS1_11target_archE1200ELNS1_3gpuE4ELNS1_3repE0EEENS1_30default_config_static_selectorELNS0_4arch9wavefront6targetE1EEEvT1_
    .private_segment_fixed_size: 0
    .sgpr_count:     4
    .sgpr_spill_count: 0
    .symbol:         _ZN7rocprim17ROCPRIM_400000_NS6detail17trampoline_kernelINS0_14default_configENS1_25partition_config_selectorILNS1_17partition_subalgoE3EN6thrust23THRUST_200600_302600_NS5tupleIiiNS7_9null_typeES9_S9_S9_S9_S9_S9_S9_EENS0_10empty_typeEbEEZZNS1_14partition_implILS5_3ELb0ES3_jNS7_6detail15normal_iteratorINS7_7pointerISA_NS7_11hip_rocprim3tagENS7_11use_defaultESJ_EEEEPSB_SM_NS0_5tupleIJPSA_SM_EEENSN_IJSM_SM_EEESB_PlJ10is_orderedEEE10hipError_tPvRmT3_T4_T5_T6_T7_T9_mT8_P12ihipStream_tbDpT10_ENKUlT_T0_E_clISt17integral_constantIbLb0EES1B_IbLb1EEEEDaS17_S18_EUlS17_E_NS1_11comp_targetILNS1_3genE10ELNS1_11target_archE1200ELNS1_3gpuE4ELNS1_3repE0EEENS1_30default_config_static_selectorELNS0_4arch9wavefront6targetE1EEEvT1_.kd
    .uniform_work_group_size: 1
    .uses_dynamic_stack: false
    .vgpr_count:     0
    .vgpr_spill_count: 0
    .wavefront_size: 64
  - .agpr_count:     0
    .args:
      - .offset:         0
        .size:           136
        .value_kind:     by_value
    .group_segment_fixed_size: 0
    .kernarg_segment_align: 8
    .kernarg_segment_size: 136
    .language:       OpenCL C
    .language_version:
      - 2
      - 0
    .max_flat_workgroup_size: 512
    .name:           _ZN7rocprim17ROCPRIM_400000_NS6detail17trampoline_kernelINS0_14default_configENS1_25partition_config_selectorILNS1_17partition_subalgoE3EN6thrust23THRUST_200600_302600_NS5tupleIiiNS7_9null_typeES9_S9_S9_S9_S9_S9_S9_EENS0_10empty_typeEbEEZZNS1_14partition_implILS5_3ELb0ES3_jNS7_6detail15normal_iteratorINS7_7pointerISA_NS7_11hip_rocprim3tagENS7_11use_defaultESJ_EEEEPSB_SM_NS0_5tupleIJPSA_SM_EEENSN_IJSM_SM_EEESB_PlJ10is_orderedEEE10hipError_tPvRmT3_T4_T5_T6_T7_T9_mT8_P12ihipStream_tbDpT10_ENKUlT_T0_E_clISt17integral_constantIbLb0EES1B_IbLb1EEEEDaS17_S18_EUlS17_E_NS1_11comp_targetILNS1_3genE9ELNS1_11target_archE1100ELNS1_3gpuE3ELNS1_3repE0EEENS1_30default_config_static_selectorELNS0_4arch9wavefront6targetE1EEEvT1_
    .private_segment_fixed_size: 0
    .sgpr_count:     4
    .sgpr_spill_count: 0
    .symbol:         _ZN7rocprim17ROCPRIM_400000_NS6detail17trampoline_kernelINS0_14default_configENS1_25partition_config_selectorILNS1_17partition_subalgoE3EN6thrust23THRUST_200600_302600_NS5tupleIiiNS7_9null_typeES9_S9_S9_S9_S9_S9_S9_EENS0_10empty_typeEbEEZZNS1_14partition_implILS5_3ELb0ES3_jNS7_6detail15normal_iteratorINS7_7pointerISA_NS7_11hip_rocprim3tagENS7_11use_defaultESJ_EEEEPSB_SM_NS0_5tupleIJPSA_SM_EEENSN_IJSM_SM_EEESB_PlJ10is_orderedEEE10hipError_tPvRmT3_T4_T5_T6_T7_T9_mT8_P12ihipStream_tbDpT10_ENKUlT_T0_E_clISt17integral_constantIbLb0EES1B_IbLb1EEEEDaS17_S18_EUlS17_E_NS1_11comp_targetILNS1_3genE9ELNS1_11target_archE1100ELNS1_3gpuE3ELNS1_3repE0EEENS1_30default_config_static_selectorELNS0_4arch9wavefront6targetE1EEEvT1_.kd
    .uniform_work_group_size: 1
    .uses_dynamic_stack: false
    .vgpr_count:     0
    .vgpr_spill_count: 0
    .wavefront_size: 64
  - .agpr_count:     0
    .args:
      - .offset:         0
        .size:           136
        .value_kind:     by_value
    .group_segment_fixed_size: 0
    .kernarg_segment_align: 8
    .kernarg_segment_size: 136
    .language:       OpenCL C
    .language_version:
      - 2
      - 0
    .max_flat_workgroup_size: 512
    .name:           _ZN7rocprim17ROCPRIM_400000_NS6detail17trampoline_kernelINS0_14default_configENS1_25partition_config_selectorILNS1_17partition_subalgoE3EN6thrust23THRUST_200600_302600_NS5tupleIiiNS7_9null_typeES9_S9_S9_S9_S9_S9_S9_EENS0_10empty_typeEbEEZZNS1_14partition_implILS5_3ELb0ES3_jNS7_6detail15normal_iteratorINS7_7pointerISA_NS7_11hip_rocprim3tagENS7_11use_defaultESJ_EEEEPSB_SM_NS0_5tupleIJPSA_SM_EEENSN_IJSM_SM_EEESB_PlJ10is_orderedEEE10hipError_tPvRmT3_T4_T5_T6_T7_T9_mT8_P12ihipStream_tbDpT10_ENKUlT_T0_E_clISt17integral_constantIbLb0EES1B_IbLb1EEEEDaS17_S18_EUlS17_E_NS1_11comp_targetILNS1_3genE8ELNS1_11target_archE1030ELNS1_3gpuE2ELNS1_3repE0EEENS1_30default_config_static_selectorELNS0_4arch9wavefront6targetE1EEEvT1_
    .private_segment_fixed_size: 0
    .sgpr_count:     4
    .sgpr_spill_count: 0
    .symbol:         _ZN7rocprim17ROCPRIM_400000_NS6detail17trampoline_kernelINS0_14default_configENS1_25partition_config_selectorILNS1_17partition_subalgoE3EN6thrust23THRUST_200600_302600_NS5tupleIiiNS7_9null_typeES9_S9_S9_S9_S9_S9_S9_EENS0_10empty_typeEbEEZZNS1_14partition_implILS5_3ELb0ES3_jNS7_6detail15normal_iteratorINS7_7pointerISA_NS7_11hip_rocprim3tagENS7_11use_defaultESJ_EEEEPSB_SM_NS0_5tupleIJPSA_SM_EEENSN_IJSM_SM_EEESB_PlJ10is_orderedEEE10hipError_tPvRmT3_T4_T5_T6_T7_T9_mT8_P12ihipStream_tbDpT10_ENKUlT_T0_E_clISt17integral_constantIbLb0EES1B_IbLb1EEEEDaS17_S18_EUlS17_E_NS1_11comp_targetILNS1_3genE8ELNS1_11target_archE1030ELNS1_3gpuE2ELNS1_3repE0EEENS1_30default_config_static_selectorELNS0_4arch9wavefront6targetE1EEEvT1_.kd
    .uniform_work_group_size: 1
    .uses_dynamic_stack: false
    .vgpr_count:     0
    .vgpr_spill_count: 0
    .wavefront_size: 64
  - .agpr_count:     0
    .args:
      - .offset:         0
        .size:           32
        .value_kind:     by_value
      - .offset:         32
        .size:           8
        .value_kind:     by_value
      - .offset:         40
        .size:           8
        .value_kind:     by_value
    .group_segment_fixed_size: 0
    .kernarg_segment_align: 8
    .kernarg_segment_size: 48
    .language:       OpenCL C
    .language_version:
      - 2
      - 0
    .max_flat_workgroup_size: 256
    .name:           _ZN6thrust23THRUST_200600_302600_NS11hip_rocprim14__parallel_for6kernelILj256ENS1_11__transform17unary_transform_fIPNS0_5tupleIiiNS0_9null_typeES7_S7_S7_S7_S7_S7_S7_EENS0_12zip_iteratorINS6_INS0_6detail15normal_iteratorINS0_10device_ptrIiEEEESF_S7_S7_S7_S7_S7_S7_S7_S7_EEEENS4_14no_stencil_tagENS0_8identityIS8_EENS4_21always_true_predicateEEElLj1EEEvT0_T1_SO_
    .private_segment_fixed_size: 0
    .sgpr_count:     16
    .sgpr_spill_count: 0
    .symbol:         _ZN6thrust23THRUST_200600_302600_NS11hip_rocprim14__parallel_for6kernelILj256ENS1_11__transform17unary_transform_fIPNS0_5tupleIiiNS0_9null_typeES7_S7_S7_S7_S7_S7_S7_EENS0_12zip_iteratorINS6_INS0_6detail15normal_iteratorINS0_10device_ptrIiEEEESF_S7_S7_S7_S7_S7_S7_S7_S7_EEEENS4_14no_stencil_tagENS0_8identityIS8_EENS4_21always_true_predicateEEElLj1EEEvT0_T1_SO_.kd
    .uniform_work_group_size: 1
    .uses_dynamic_stack: false
    .vgpr_count:     7
    .vgpr_spill_count: 0
    .wavefront_size: 64
  - .agpr_count:     0
    .args:
      - .offset:         0
        .size:           16
        .value_kind:     by_value
      - .offset:         16
        .size:           8
        .value_kind:     by_value
      - .offset:         24
        .size:           8
        .value_kind:     by_value
    .group_segment_fixed_size: 0
    .kernarg_segment_align: 8
    .kernarg_segment_size: 32
    .language:       OpenCL C
    .language_version:
      - 2
      - 0
    .max_flat_workgroup_size: 256
    .name:           _ZN6thrust23THRUST_200600_302600_NS11hip_rocprim14__parallel_for6kernelILj256ENS1_10for_each_fINS0_7pointerINS0_5tupleIssNS0_9null_typeES7_S7_S7_S7_S7_S7_S7_EENS1_3tagENS0_11use_defaultESA_EENS0_6detail16wrapped_functionINSC_23allocator_traits_detail24construct1_via_allocatorINSC_18no_throw_allocatorINSC_19temporary_allocatorIS8_S9_EEEEEEvEEEEmLj1EEEvT0_T1_SO_
    .private_segment_fixed_size: 0
    .sgpr_count:     16
    .sgpr_spill_count: 0
    .symbol:         _ZN6thrust23THRUST_200600_302600_NS11hip_rocprim14__parallel_for6kernelILj256ENS1_10for_each_fINS0_7pointerINS0_5tupleIssNS0_9null_typeES7_S7_S7_S7_S7_S7_S7_EENS1_3tagENS0_11use_defaultESA_EENS0_6detail16wrapped_functionINSC_23allocator_traits_detail24construct1_via_allocatorINSC_18no_throw_allocatorINSC_19temporary_allocatorIS8_S9_EEEEEEvEEEEmLj1EEEvT0_T1_SO_.kd
    .uniform_work_group_size: 1
    .uses_dynamic_stack: false
    .vgpr_count:     4
    .vgpr_spill_count: 0
    .wavefront_size: 64
  - .agpr_count:     0
    .args:
      - .offset:         0
        .size:           16
        .value_kind:     by_value
      - .offset:         16
        .size:           8
        .value_kind:     by_value
      - .offset:         24
        .size:           8
        .value_kind:     by_value
    .group_segment_fixed_size: 0
    .kernarg_segment_align: 8
    .kernarg_segment_size: 32
    .language:       OpenCL C
    .language_version:
      - 2
      - 0
    .max_flat_workgroup_size: 256
    .name:           _ZN6thrust23THRUST_200600_302600_NS11hip_rocprim14__parallel_for6kernelILj256ENS1_10for_each_fINS0_7pointerINS0_5tupleIssNS0_9null_typeES7_S7_S7_S7_S7_S7_S7_EENS1_3tagENS0_11use_defaultESA_EENS0_6detail16wrapped_functionINSC_23allocator_traits_detail5gozerEvEEEElLj1EEEvT0_T1_SJ_
    .private_segment_fixed_size: 0
    .sgpr_count:     4
    .sgpr_spill_count: 0
    .symbol:         _ZN6thrust23THRUST_200600_302600_NS11hip_rocprim14__parallel_for6kernelILj256ENS1_10for_each_fINS0_7pointerINS0_5tupleIssNS0_9null_typeES7_S7_S7_S7_S7_S7_S7_EENS1_3tagENS0_11use_defaultESA_EENS0_6detail16wrapped_functionINSC_23allocator_traits_detail5gozerEvEEEElLj1EEEvT0_T1_SJ_.kd
    .uniform_work_group_size: 1
    .uses_dynamic_stack: false
    .vgpr_count:     0
    .vgpr_spill_count: 0
    .wavefront_size: 64
  - .agpr_count:     0
    .args:
      - .offset:         0
        .size:           24
        .value_kind:     by_value
      - .offset:         24
        .size:           8
        .value_kind:     by_value
      - .offset:         32
        .size:           8
        .value_kind:     by_value
    .group_segment_fixed_size: 0
    .kernarg_segment_align: 8
    .kernarg_segment_size: 40
    .language:       OpenCL C
    .language_version:
      - 2
      - 0
    .max_flat_workgroup_size: 256
    .name:           _ZN6thrust23THRUST_200600_302600_NS11hip_rocprim14__parallel_for6kernelILj256ENS1_20__uninitialized_copy7functorINS0_12zip_iteratorINS0_5tupleINS0_6detail15normal_iteratorINS0_10device_ptrIsEEEESC_NS0_9null_typeESD_SD_SD_SD_SD_SD_SD_EEEENS9_INS0_7pointerINS7_IssSD_SD_SD_SD_SD_SD_SD_SD_EENS1_3tagENS0_11use_defaultESJ_EEEEEElLj1EEEvT0_T1_SO_
    .private_segment_fixed_size: 0
    .sgpr_count:     16
    .sgpr_spill_count: 0
    .symbol:         _ZN6thrust23THRUST_200600_302600_NS11hip_rocprim14__parallel_for6kernelILj256ENS1_20__uninitialized_copy7functorINS0_12zip_iteratorINS0_5tupleINS0_6detail15normal_iteratorINS0_10device_ptrIsEEEESC_NS0_9null_typeESD_SD_SD_SD_SD_SD_SD_EEEENS9_INS0_7pointerINS7_IssSD_SD_SD_SD_SD_SD_SD_SD_EENS1_3tagENS0_11use_defaultESJ_EEEEEElLj1EEEvT0_T1_SO_.kd
    .uniform_work_group_size: 1
    .uses_dynamic_stack: false
    .vgpr_count:     8
    .vgpr_spill_count: 0
    .wavefront_size: 64
  - .agpr_count:     0
    .args:
      - .offset:         0
        .size:           120
        .value_kind:     by_value
    .group_segment_fixed_size: 0
    .kernarg_segment_align: 8
    .kernarg_segment_size: 120
    .language:       OpenCL C
    .language_version:
      - 2
      - 0
    .max_flat_workgroup_size: 256
    .name:           _ZN7rocprim17ROCPRIM_400000_NS6detail17trampoline_kernelINS0_14default_configENS1_25partition_config_selectorILNS1_17partition_subalgoE3EN6thrust23THRUST_200600_302600_NS5tupleIssNS7_9null_typeES9_S9_S9_S9_S9_S9_S9_EENS0_10empty_typeEbEEZZNS1_14partition_implILS5_3ELb0ES3_jNS7_6detail15normal_iteratorINS7_7pointerISA_NS7_11hip_rocprim3tagENS7_11use_defaultESJ_EEEEPSB_SM_NS0_5tupleIJPSA_SM_EEENSN_IJSM_SM_EEESB_PlJ10is_orderedEEE10hipError_tPvRmT3_T4_T5_T6_T7_T9_mT8_P12ihipStream_tbDpT10_ENKUlT_T0_E_clISt17integral_constantIbLb0EES1C_EEDaS17_S18_EUlS17_E_NS1_11comp_targetILNS1_3genE0ELNS1_11target_archE4294967295ELNS1_3gpuE0ELNS1_3repE0EEENS1_30default_config_static_selectorELNS0_4arch9wavefront6targetE1EEEvT1_
    .private_segment_fixed_size: 0
    .sgpr_count:     4
    .sgpr_spill_count: 0
    .symbol:         _ZN7rocprim17ROCPRIM_400000_NS6detail17trampoline_kernelINS0_14default_configENS1_25partition_config_selectorILNS1_17partition_subalgoE3EN6thrust23THRUST_200600_302600_NS5tupleIssNS7_9null_typeES9_S9_S9_S9_S9_S9_S9_EENS0_10empty_typeEbEEZZNS1_14partition_implILS5_3ELb0ES3_jNS7_6detail15normal_iteratorINS7_7pointerISA_NS7_11hip_rocprim3tagENS7_11use_defaultESJ_EEEEPSB_SM_NS0_5tupleIJPSA_SM_EEENSN_IJSM_SM_EEESB_PlJ10is_orderedEEE10hipError_tPvRmT3_T4_T5_T6_T7_T9_mT8_P12ihipStream_tbDpT10_ENKUlT_T0_E_clISt17integral_constantIbLb0EES1C_EEDaS17_S18_EUlS17_E_NS1_11comp_targetILNS1_3genE0ELNS1_11target_archE4294967295ELNS1_3gpuE0ELNS1_3repE0EEENS1_30default_config_static_selectorELNS0_4arch9wavefront6targetE1EEEvT1_.kd
    .uniform_work_group_size: 1
    .uses_dynamic_stack: false
    .vgpr_count:     0
    .vgpr_spill_count: 0
    .wavefront_size: 64
  - .agpr_count:     0
    .args:
      - .offset:         0
        .size:           120
        .value_kind:     by_value
    .group_segment_fixed_size: 0
    .kernarg_segment_align: 8
    .kernarg_segment_size: 120
    .language:       OpenCL C
    .language_version:
      - 2
      - 0
    .max_flat_workgroup_size: 512
    .name:           _ZN7rocprim17ROCPRIM_400000_NS6detail17trampoline_kernelINS0_14default_configENS1_25partition_config_selectorILNS1_17partition_subalgoE3EN6thrust23THRUST_200600_302600_NS5tupleIssNS7_9null_typeES9_S9_S9_S9_S9_S9_S9_EENS0_10empty_typeEbEEZZNS1_14partition_implILS5_3ELb0ES3_jNS7_6detail15normal_iteratorINS7_7pointerISA_NS7_11hip_rocprim3tagENS7_11use_defaultESJ_EEEEPSB_SM_NS0_5tupleIJPSA_SM_EEENSN_IJSM_SM_EEESB_PlJ10is_orderedEEE10hipError_tPvRmT3_T4_T5_T6_T7_T9_mT8_P12ihipStream_tbDpT10_ENKUlT_T0_E_clISt17integral_constantIbLb0EES1C_EEDaS17_S18_EUlS17_E_NS1_11comp_targetILNS1_3genE5ELNS1_11target_archE942ELNS1_3gpuE9ELNS1_3repE0EEENS1_30default_config_static_selectorELNS0_4arch9wavefront6targetE1EEEvT1_
    .private_segment_fixed_size: 0
    .sgpr_count:     4
    .sgpr_spill_count: 0
    .symbol:         _ZN7rocprim17ROCPRIM_400000_NS6detail17trampoline_kernelINS0_14default_configENS1_25partition_config_selectorILNS1_17partition_subalgoE3EN6thrust23THRUST_200600_302600_NS5tupleIssNS7_9null_typeES9_S9_S9_S9_S9_S9_S9_EENS0_10empty_typeEbEEZZNS1_14partition_implILS5_3ELb0ES3_jNS7_6detail15normal_iteratorINS7_7pointerISA_NS7_11hip_rocprim3tagENS7_11use_defaultESJ_EEEEPSB_SM_NS0_5tupleIJPSA_SM_EEENSN_IJSM_SM_EEESB_PlJ10is_orderedEEE10hipError_tPvRmT3_T4_T5_T6_T7_T9_mT8_P12ihipStream_tbDpT10_ENKUlT_T0_E_clISt17integral_constantIbLb0EES1C_EEDaS17_S18_EUlS17_E_NS1_11comp_targetILNS1_3genE5ELNS1_11target_archE942ELNS1_3gpuE9ELNS1_3repE0EEENS1_30default_config_static_selectorELNS0_4arch9wavefront6targetE1EEEvT1_.kd
    .uniform_work_group_size: 1
    .uses_dynamic_stack: false
    .vgpr_count:     0
    .vgpr_spill_count: 0
    .wavefront_size: 64
  - .agpr_count:     0
    .args:
      - .offset:         0
        .size:           120
        .value_kind:     by_value
    .group_segment_fixed_size: 10248
    .kernarg_segment_align: 8
    .kernarg_segment_size: 120
    .language:       OpenCL C
    .language_version:
      - 2
      - 0
    .max_flat_workgroup_size: 256
    .name:           _ZN7rocprim17ROCPRIM_400000_NS6detail17trampoline_kernelINS0_14default_configENS1_25partition_config_selectorILNS1_17partition_subalgoE3EN6thrust23THRUST_200600_302600_NS5tupleIssNS7_9null_typeES9_S9_S9_S9_S9_S9_S9_EENS0_10empty_typeEbEEZZNS1_14partition_implILS5_3ELb0ES3_jNS7_6detail15normal_iteratorINS7_7pointerISA_NS7_11hip_rocprim3tagENS7_11use_defaultESJ_EEEEPSB_SM_NS0_5tupleIJPSA_SM_EEENSN_IJSM_SM_EEESB_PlJ10is_orderedEEE10hipError_tPvRmT3_T4_T5_T6_T7_T9_mT8_P12ihipStream_tbDpT10_ENKUlT_T0_E_clISt17integral_constantIbLb0EES1C_EEDaS17_S18_EUlS17_E_NS1_11comp_targetILNS1_3genE4ELNS1_11target_archE910ELNS1_3gpuE8ELNS1_3repE0EEENS1_30default_config_static_selectorELNS0_4arch9wavefront6targetE1EEEvT1_
    .private_segment_fixed_size: 0
    .sgpr_count:     52
    .sgpr_spill_count: 0
    .symbol:         _ZN7rocprim17ROCPRIM_400000_NS6detail17trampoline_kernelINS0_14default_configENS1_25partition_config_selectorILNS1_17partition_subalgoE3EN6thrust23THRUST_200600_302600_NS5tupleIssNS7_9null_typeES9_S9_S9_S9_S9_S9_S9_EENS0_10empty_typeEbEEZZNS1_14partition_implILS5_3ELb0ES3_jNS7_6detail15normal_iteratorINS7_7pointerISA_NS7_11hip_rocprim3tagENS7_11use_defaultESJ_EEEEPSB_SM_NS0_5tupleIJPSA_SM_EEENSN_IJSM_SM_EEESB_PlJ10is_orderedEEE10hipError_tPvRmT3_T4_T5_T6_T7_T9_mT8_P12ihipStream_tbDpT10_ENKUlT_T0_E_clISt17integral_constantIbLb0EES1C_EEDaS17_S18_EUlS17_E_NS1_11comp_targetILNS1_3genE4ELNS1_11target_archE910ELNS1_3gpuE8ELNS1_3repE0EEENS1_30default_config_static_selectorELNS0_4arch9wavefront6targetE1EEEvT1_.kd
    .uniform_work_group_size: 1
    .uses_dynamic_stack: false
    .vgpr_count:     54
    .vgpr_spill_count: 0
    .wavefront_size: 64
  - .agpr_count:     0
    .args:
      - .offset:         0
        .size:           16
        .value_kind:     by_value
      - .offset:         16
        .size:           8
        .value_kind:     by_value
      - .offset:         24
        .size:           8
        .value_kind:     by_value
    .group_segment_fixed_size: 0
    .kernarg_segment_align: 8
    .kernarg_segment_size: 32
    .language:       OpenCL C
    .language_version:
      - 2
      - 0
    .max_flat_workgroup_size: 256
    .name:           _ZN6thrust23THRUST_200600_302600_NS11hip_rocprim14__parallel_for6kernelILj256ENS1_20__uninitialized_copy7functorINS0_7pointerINS0_5tupleIssNS0_9null_typeES8_S8_S8_S8_S8_S8_S8_EENS1_3tagENS0_11use_defaultESB_EESC_EEmLj1EEEvT0_T1_SF_
    .private_segment_fixed_size: 0
    .sgpr_count:     20
    .sgpr_spill_count: 0
    .symbol:         _ZN6thrust23THRUST_200600_302600_NS11hip_rocprim14__parallel_for6kernelILj256ENS1_20__uninitialized_copy7functorINS0_7pointerINS0_5tupleIssNS0_9null_typeES8_S8_S8_S8_S8_S8_S8_EENS1_3tagENS0_11use_defaultESB_EESC_EEmLj1EEEvT0_T1_SF_.kd
    .uniform_work_group_size: 1
    .uses_dynamic_stack: false
    .vgpr_count:     6
    .vgpr_spill_count: 0
    .wavefront_size: 64
  - .agpr_count:     0
    .args:
      - .offset:         0
        .size:           120
        .value_kind:     by_value
    .group_segment_fixed_size: 0
    .kernarg_segment_align: 8
    .kernarg_segment_size: 120
    .language:       OpenCL C
    .language_version:
      - 2
      - 0
    .max_flat_workgroup_size: 256
    .name:           _ZN7rocprim17ROCPRIM_400000_NS6detail17trampoline_kernelINS0_14default_configENS1_25partition_config_selectorILNS1_17partition_subalgoE3EN6thrust23THRUST_200600_302600_NS5tupleIssNS7_9null_typeES9_S9_S9_S9_S9_S9_S9_EENS0_10empty_typeEbEEZZNS1_14partition_implILS5_3ELb0ES3_jNS7_6detail15normal_iteratorINS7_7pointerISA_NS7_11hip_rocprim3tagENS7_11use_defaultESJ_EEEEPSB_SM_NS0_5tupleIJPSA_SM_EEENSN_IJSM_SM_EEESB_PlJ10is_orderedEEE10hipError_tPvRmT3_T4_T5_T6_T7_T9_mT8_P12ihipStream_tbDpT10_ENKUlT_T0_E_clISt17integral_constantIbLb0EES1C_EEDaS17_S18_EUlS17_E_NS1_11comp_targetILNS1_3genE3ELNS1_11target_archE908ELNS1_3gpuE7ELNS1_3repE0EEENS1_30default_config_static_selectorELNS0_4arch9wavefront6targetE1EEEvT1_
    .private_segment_fixed_size: 0
    .sgpr_count:     4
    .sgpr_spill_count: 0
    .symbol:         _ZN7rocprim17ROCPRIM_400000_NS6detail17trampoline_kernelINS0_14default_configENS1_25partition_config_selectorILNS1_17partition_subalgoE3EN6thrust23THRUST_200600_302600_NS5tupleIssNS7_9null_typeES9_S9_S9_S9_S9_S9_S9_EENS0_10empty_typeEbEEZZNS1_14partition_implILS5_3ELb0ES3_jNS7_6detail15normal_iteratorINS7_7pointerISA_NS7_11hip_rocprim3tagENS7_11use_defaultESJ_EEEEPSB_SM_NS0_5tupleIJPSA_SM_EEENSN_IJSM_SM_EEESB_PlJ10is_orderedEEE10hipError_tPvRmT3_T4_T5_T6_T7_T9_mT8_P12ihipStream_tbDpT10_ENKUlT_T0_E_clISt17integral_constantIbLb0EES1C_EEDaS17_S18_EUlS17_E_NS1_11comp_targetILNS1_3genE3ELNS1_11target_archE908ELNS1_3gpuE7ELNS1_3repE0EEENS1_30default_config_static_selectorELNS0_4arch9wavefront6targetE1EEEvT1_.kd
    .uniform_work_group_size: 1
    .uses_dynamic_stack: false
    .vgpr_count:     0
    .vgpr_spill_count: 0
    .wavefront_size: 64
  - .agpr_count:     0
    .args:
      - .offset:         0
        .size:           120
        .value_kind:     by_value
    .group_segment_fixed_size: 0
    .kernarg_segment_align: 8
    .kernarg_segment_size: 120
    .language:       OpenCL C
    .language_version:
      - 2
      - 0
    .max_flat_workgroup_size: 192
    .name:           _ZN7rocprim17ROCPRIM_400000_NS6detail17trampoline_kernelINS0_14default_configENS1_25partition_config_selectorILNS1_17partition_subalgoE3EN6thrust23THRUST_200600_302600_NS5tupleIssNS7_9null_typeES9_S9_S9_S9_S9_S9_S9_EENS0_10empty_typeEbEEZZNS1_14partition_implILS5_3ELb0ES3_jNS7_6detail15normal_iteratorINS7_7pointerISA_NS7_11hip_rocprim3tagENS7_11use_defaultESJ_EEEEPSB_SM_NS0_5tupleIJPSA_SM_EEENSN_IJSM_SM_EEESB_PlJ10is_orderedEEE10hipError_tPvRmT3_T4_T5_T6_T7_T9_mT8_P12ihipStream_tbDpT10_ENKUlT_T0_E_clISt17integral_constantIbLb0EES1C_EEDaS17_S18_EUlS17_E_NS1_11comp_targetILNS1_3genE2ELNS1_11target_archE906ELNS1_3gpuE6ELNS1_3repE0EEENS1_30default_config_static_selectorELNS0_4arch9wavefront6targetE1EEEvT1_
    .private_segment_fixed_size: 0
    .sgpr_count:     4
    .sgpr_spill_count: 0
    .symbol:         _ZN7rocprim17ROCPRIM_400000_NS6detail17trampoline_kernelINS0_14default_configENS1_25partition_config_selectorILNS1_17partition_subalgoE3EN6thrust23THRUST_200600_302600_NS5tupleIssNS7_9null_typeES9_S9_S9_S9_S9_S9_S9_EENS0_10empty_typeEbEEZZNS1_14partition_implILS5_3ELb0ES3_jNS7_6detail15normal_iteratorINS7_7pointerISA_NS7_11hip_rocprim3tagENS7_11use_defaultESJ_EEEEPSB_SM_NS0_5tupleIJPSA_SM_EEENSN_IJSM_SM_EEESB_PlJ10is_orderedEEE10hipError_tPvRmT3_T4_T5_T6_T7_T9_mT8_P12ihipStream_tbDpT10_ENKUlT_T0_E_clISt17integral_constantIbLb0EES1C_EEDaS17_S18_EUlS17_E_NS1_11comp_targetILNS1_3genE2ELNS1_11target_archE906ELNS1_3gpuE6ELNS1_3repE0EEENS1_30default_config_static_selectorELNS0_4arch9wavefront6targetE1EEEvT1_.kd
    .uniform_work_group_size: 1
    .uses_dynamic_stack: false
    .vgpr_count:     0
    .vgpr_spill_count: 0
    .wavefront_size: 64
  - .agpr_count:     0
    .args:
      - .offset:         0
        .size:           120
        .value_kind:     by_value
    .group_segment_fixed_size: 0
    .kernarg_segment_align: 8
    .kernarg_segment_size: 120
    .language:       OpenCL C
    .language_version:
      - 2
      - 0
    .max_flat_workgroup_size: 384
    .name:           _ZN7rocprim17ROCPRIM_400000_NS6detail17trampoline_kernelINS0_14default_configENS1_25partition_config_selectorILNS1_17partition_subalgoE3EN6thrust23THRUST_200600_302600_NS5tupleIssNS7_9null_typeES9_S9_S9_S9_S9_S9_S9_EENS0_10empty_typeEbEEZZNS1_14partition_implILS5_3ELb0ES3_jNS7_6detail15normal_iteratorINS7_7pointerISA_NS7_11hip_rocprim3tagENS7_11use_defaultESJ_EEEEPSB_SM_NS0_5tupleIJPSA_SM_EEENSN_IJSM_SM_EEESB_PlJ10is_orderedEEE10hipError_tPvRmT3_T4_T5_T6_T7_T9_mT8_P12ihipStream_tbDpT10_ENKUlT_T0_E_clISt17integral_constantIbLb0EES1C_EEDaS17_S18_EUlS17_E_NS1_11comp_targetILNS1_3genE10ELNS1_11target_archE1200ELNS1_3gpuE4ELNS1_3repE0EEENS1_30default_config_static_selectorELNS0_4arch9wavefront6targetE1EEEvT1_
    .private_segment_fixed_size: 0
    .sgpr_count:     4
    .sgpr_spill_count: 0
    .symbol:         _ZN7rocprim17ROCPRIM_400000_NS6detail17trampoline_kernelINS0_14default_configENS1_25partition_config_selectorILNS1_17partition_subalgoE3EN6thrust23THRUST_200600_302600_NS5tupleIssNS7_9null_typeES9_S9_S9_S9_S9_S9_S9_EENS0_10empty_typeEbEEZZNS1_14partition_implILS5_3ELb0ES3_jNS7_6detail15normal_iteratorINS7_7pointerISA_NS7_11hip_rocprim3tagENS7_11use_defaultESJ_EEEEPSB_SM_NS0_5tupleIJPSA_SM_EEENSN_IJSM_SM_EEESB_PlJ10is_orderedEEE10hipError_tPvRmT3_T4_T5_T6_T7_T9_mT8_P12ihipStream_tbDpT10_ENKUlT_T0_E_clISt17integral_constantIbLb0EES1C_EEDaS17_S18_EUlS17_E_NS1_11comp_targetILNS1_3genE10ELNS1_11target_archE1200ELNS1_3gpuE4ELNS1_3repE0EEENS1_30default_config_static_selectorELNS0_4arch9wavefront6targetE1EEEvT1_.kd
    .uniform_work_group_size: 1
    .uses_dynamic_stack: false
    .vgpr_count:     0
    .vgpr_spill_count: 0
    .wavefront_size: 64
  - .agpr_count:     0
    .args:
      - .offset:         0
        .size:           120
        .value_kind:     by_value
    .group_segment_fixed_size: 0
    .kernarg_segment_align: 8
    .kernarg_segment_size: 120
    .language:       OpenCL C
    .language_version:
      - 2
      - 0
    .max_flat_workgroup_size: 384
    .name:           _ZN7rocprim17ROCPRIM_400000_NS6detail17trampoline_kernelINS0_14default_configENS1_25partition_config_selectorILNS1_17partition_subalgoE3EN6thrust23THRUST_200600_302600_NS5tupleIssNS7_9null_typeES9_S9_S9_S9_S9_S9_S9_EENS0_10empty_typeEbEEZZNS1_14partition_implILS5_3ELb0ES3_jNS7_6detail15normal_iteratorINS7_7pointerISA_NS7_11hip_rocprim3tagENS7_11use_defaultESJ_EEEEPSB_SM_NS0_5tupleIJPSA_SM_EEENSN_IJSM_SM_EEESB_PlJ10is_orderedEEE10hipError_tPvRmT3_T4_T5_T6_T7_T9_mT8_P12ihipStream_tbDpT10_ENKUlT_T0_E_clISt17integral_constantIbLb0EES1C_EEDaS17_S18_EUlS17_E_NS1_11comp_targetILNS1_3genE9ELNS1_11target_archE1100ELNS1_3gpuE3ELNS1_3repE0EEENS1_30default_config_static_selectorELNS0_4arch9wavefront6targetE1EEEvT1_
    .private_segment_fixed_size: 0
    .sgpr_count:     4
    .sgpr_spill_count: 0
    .symbol:         _ZN7rocprim17ROCPRIM_400000_NS6detail17trampoline_kernelINS0_14default_configENS1_25partition_config_selectorILNS1_17partition_subalgoE3EN6thrust23THRUST_200600_302600_NS5tupleIssNS7_9null_typeES9_S9_S9_S9_S9_S9_S9_EENS0_10empty_typeEbEEZZNS1_14partition_implILS5_3ELb0ES3_jNS7_6detail15normal_iteratorINS7_7pointerISA_NS7_11hip_rocprim3tagENS7_11use_defaultESJ_EEEEPSB_SM_NS0_5tupleIJPSA_SM_EEENSN_IJSM_SM_EEESB_PlJ10is_orderedEEE10hipError_tPvRmT3_T4_T5_T6_T7_T9_mT8_P12ihipStream_tbDpT10_ENKUlT_T0_E_clISt17integral_constantIbLb0EES1C_EEDaS17_S18_EUlS17_E_NS1_11comp_targetILNS1_3genE9ELNS1_11target_archE1100ELNS1_3gpuE3ELNS1_3repE0EEENS1_30default_config_static_selectorELNS0_4arch9wavefront6targetE1EEEvT1_.kd
    .uniform_work_group_size: 1
    .uses_dynamic_stack: false
    .vgpr_count:     0
    .vgpr_spill_count: 0
    .wavefront_size: 64
  - .agpr_count:     0
    .args:
      - .offset:         0
        .size:           120
        .value_kind:     by_value
    .group_segment_fixed_size: 0
    .kernarg_segment_align: 8
    .kernarg_segment_size: 120
    .language:       OpenCL C
    .language_version:
      - 2
      - 0
    .max_flat_workgroup_size: 512
    .name:           _ZN7rocprim17ROCPRIM_400000_NS6detail17trampoline_kernelINS0_14default_configENS1_25partition_config_selectorILNS1_17partition_subalgoE3EN6thrust23THRUST_200600_302600_NS5tupleIssNS7_9null_typeES9_S9_S9_S9_S9_S9_S9_EENS0_10empty_typeEbEEZZNS1_14partition_implILS5_3ELb0ES3_jNS7_6detail15normal_iteratorINS7_7pointerISA_NS7_11hip_rocprim3tagENS7_11use_defaultESJ_EEEEPSB_SM_NS0_5tupleIJPSA_SM_EEENSN_IJSM_SM_EEESB_PlJ10is_orderedEEE10hipError_tPvRmT3_T4_T5_T6_T7_T9_mT8_P12ihipStream_tbDpT10_ENKUlT_T0_E_clISt17integral_constantIbLb0EES1C_EEDaS17_S18_EUlS17_E_NS1_11comp_targetILNS1_3genE8ELNS1_11target_archE1030ELNS1_3gpuE2ELNS1_3repE0EEENS1_30default_config_static_selectorELNS0_4arch9wavefront6targetE1EEEvT1_
    .private_segment_fixed_size: 0
    .sgpr_count:     4
    .sgpr_spill_count: 0
    .symbol:         _ZN7rocprim17ROCPRIM_400000_NS6detail17trampoline_kernelINS0_14default_configENS1_25partition_config_selectorILNS1_17partition_subalgoE3EN6thrust23THRUST_200600_302600_NS5tupleIssNS7_9null_typeES9_S9_S9_S9_S9_S9_S9_EENS0_10empty_typeEbEEZZNS1_14partition_implILS5_3ELb0ES3_jNS7_6detail15normal_iteratorINS7_7pointerISA_NS7_11hip_rocprim3tagENS7_11use_defaultESJ_EEEEPSB_SM_NS0_5tupleIJPSA_SM_EEENSN_IJSM_SM_EEESB_PlJ10is_orderedEEE10hipError_tPvRmT3_T4_T5_T6_T7_T9_mT8_P12ihipStream_tbDpT10_ENKUlT_T0_E_clISt17integral_constantIbLb0EES1C_EEDaS17_S18_EUlS17_E_NS1_11comp_targetILNS1_3genE8ELNS1_11target_archE1030ELNS1_3gpuE2ELNS1_3repE0EEENS1_30default_config_static_selectorELNS0_4arch9wavefront6targetE1EEEvT1_.kd
    .uniform_work_group_size: 1
    .uses_dynamic_stack: false
    .vgpr_count:     0
    .vgpr_spill_count: 0
    .wavefront_size: 64
  - .agpr_count:     0
    .args:
      - .offset:         0
        .size:           136
        .value_kind:     by_value
    .group_segment_fixed_size: 0
    .kernarg_segment_align: 8
    .kernarg_segment_size: 136
    .language:       OpenCL C
    .language_version:
      - 2
      - 0
    .max_flat_workgroup_size: 256
    .name:           _ZN7rocprim17ROCPRIM_400000_NS6detail17trampoline_kernelINS0_14default_configENS1_25partition_config_selectorILNS1_17partition_subalgoE3EN6thrust23THRUST_200600_302600_NS5tupleIssNS7_9null_typeES9_S9_S9_S9_S9_S9_S9_EENS0_10empty_typeEbEEZZNS1_14partition_implILS5_3ELb0ES3_jNS7_6detail15normal_iteratorINS7_7pointerISA_NS7_11hip_rocprim3tagENS7_11use_defaultESJ_EEEEPSB_SM_NS0_5tupleIJPSA_SM_EEENSN_IJSM_SM_EEESB_PlJ10is_orderedEEE10hipError_tPvRmT3_T4_T5_T6_T7_T9_mT8_P12ihipStream_tbDpT10_ENKUlT_T0_E_clISt17integral_constantIbLb1EES1C_EEDaS17_S18_EUlS17_E_NS1_11comp_targetILNS1_3genE0ELNS1_11target_archE4294967295ELNS1_3gpuE0ELNS1_3repE0EEENS1_30default_config_static_selectorELNS0_4arch9wavefront6targetE1EEEvT1_
    .private_segment_fixed_size: 0
    .sgpr_count:     4
    .sgpr_spill_count: 0
    .symbol:         _ZN7rocprim17ROCPRIM_400000_NS6detail17trampoline_kernelINS0_14default_configENS1_25partition_config_selectorILNS1_17partition_subalgoE3EN6thrust23THRUST_200600_302600_NS5tupleIssNS7_9null_typeES9_S9_S9_S9_S9_S9_S9_EENS0_10empty_typeEbEEZZNS1_14partition_implILS5_3ELb0ES3_jNS7_6detail15normal_iteratorINS7_7pointerISA_NS7_11hip_rocprim3tagENS7_11use_defaultESJ_EEEEPSB_SM_NS0_5tupleIJPSA_SM_EEENSN_IJSM_SM_EEESB_PlJ10is_orderedEEE10hipError_tPvRmT3_T4_T5_T6_T7_T9_mT8_P12ihipStream_tbDpT10_ENKUlT_T0_E_clISt17integral_constantIbLb1EES1C_EEDaS17_S18_EUlS17_E_NS1_11comp_targetILNS1_3genE0ELNS1_11target_archE4294967295ELNS1_3gpuE0ELNS1_3repE0EEENS1_30default_config_static_selectorELNS0_4arch9wavefront6targetE1EEEvT1_.kd
    .uniform_work_group_size: 1
    .uses_dynamic_stack: false
    .vgpr_count:     0
    .vgpr_spill_count: 0
    .wavefront_size: 64
  - .agpr_count:     0
    .args:
      - .offset:         0
        .size:           136
        .value_kind:     by_value
    .group_segment_fixed_size: 0
    .kernarg_segment_align: 8
    .kernarg_segment_size: 136
    .language:       OpenCL C
    .language_version:
      - 2
      - 0
    .max_flat_workgroup_size: 512
    .name:           _ZN7rocprim17ROCPRIM_400000_NS6detail17trampoline_kernelINS0_14default_configENS1_25partition_config_selectorILNS1_17partition_subalgoE3EN6thrust23THRUST_200600_302600_NS5tupleIssNS7_9null_typeES9_S9_S9_S9_S9_S9_S9_EENS0_10empty_typeEbEEZZNS1_14partition_implILS5_3ELb0ES3_jNS7_6detail15normal_iteratorINS7_7pointerISA_NS7_11hip_rocprim3tagENS7_11use_defaultESJ_EEEEPSB_SM_NS0_5tupleIJPSA_SM_EEENSN_IJSM_SM_EEESB_PlJ10is_orderedEEE10hipError_tPvRmT3_T4_T5_T6_T7_T9_mT8_P12ihipStream_tbDpT10_ENKUlT_T0_E_clISt17integral_constantIbLb1EES1C_EEDaS17_S18_EUlS17_E_NS1_11comp_targetILNS1_3genE5ELNS1_11target_archE942ELNS1_3gpuE9ELNS1_3repE0EEENS1_30default_config_static_selectorELNS0_4arch9wavefront6targetE1EEEvT1_
    .private_segment_fixed_size: 0
    .sgpr_count:     4
    .sgpr_spill_count: 0
    .symbol:         _ZN7rocprim17ROCPRIM_400000_NS6detail17trampoline_kernelINS0_14default_configENS1_25partition_config_selectorILNS1_17partition_subalgoE3EN6thrust23THRUST_200600_302600_NS5tupleIssNS7_9null_typeES9_S9_S9_S9_S9_S9_S9_EENS0_10empty_typeEbEEZZNS1_14partition_implILS5_3ELb0ES3_jNS7_6detail15normal_iteratorINS7_7pointerISA_NS7_11hip_rocprim3tagENS7_11use_defaultESJ_EEEEPSB_SM_NS0_5tupleIJPSA_SM_EEENSN_IJSM_SM_EEESB_PlJ10is_orderedEEE10hipError_tPvRmT3_T4_T5_T6_T7_T9_mT8_P12ihipStream_tbDpT10_ENKUlT_T0_E_clISt17integral_constantIbLb1EES1C_EEDaS17_S18_EUlS17_E_NS1_11comp_targetILNS1_3genE5ELNS1_11target_archE942ELNS1_3gpuE9ELNS1_3repE0EEENS1_30default_config_static_selectorELNS0_4arch9wavefront6targetE1EEEvT1_.kd
    .uniform_work_group_size: 1
    .uses_dynamic_stack: false
    .vgpr_count:     0
    .vgpr_spill_count: 0
    .wavefront_size: 64
  - .agpr_count:     0
    .args:
      - .offset:         0
        .size:           136
        .value_kind:     by_value
    .group_segment_fixed_size: 10248
    .kernarg_segment_align: 8
    .kernarg_segment_size: 136
    .language:       OpenCL C
    .language_version:
      - 2
      - 0
    .max_flat_workgroup_size: 256
    .name:           _ZN7rocprim17ROCPRIM_400000_NS6detail17trampoline_kernelINS0_14default_configENS1_25partition_config_selectorILNS1_17partition_subalgoE3EN6thrust23THRUST_200600_302600_NS5tupleIssNS7_9null_typeES9_S9_S9_S9_S9_S9_S9_EENS0_10empty_typeEbEEZZNS1_14partition_implILS5_3ELb0ES3_jNS7_6detail15normal_iteratorINS7_7pointerISA_NS7_11hip_rocprim3tagENS7_11use_defaultESJ_EEEEPSB_SM_NS0_5tupleIJPSA_SM_EEENSN_IJSM_SM_EEESB_PlJ10is_orderedEEE10hipError_tPvRmT3_T4_T5_T6_T7_T9_mT8_P12ihipStream_tbDpT10_ENKUlT_T0_E_clISt17integral_constantIbLb1EES1C_EEDaS17_S18_EUlS17_E_NS1_11comp_targetILNS1_3genE4ELNS1_11target_archE910ELNS1_3gpuE8ELNS1_3repE0EEENS1_30default_config_static_selectorELNS0_4arch9wavefront6targetE1EEEvT1_
    .private_segment_fixed_size: 0
    .sgpr_count:     50
    .sgpr_spill_count: 0
    .symbol:         _ZN7rocprim17ROCPRIM_400000_NS6detail17trampoline_kernelINS0_14default_configENS1_25partition_config_selectorILNS1_17partition_subalgoE3EN6thrust23THRUST_200600_302600_NS5tupleIssNS7_9null_typeES9_S9_S9_S9_S9_S9_S9_EENS0_10empty_typeEbEEZZNS1_14partition_implILS5_3ELb0ES3_jNS7_6detail15normal_iteratorINS7_7pointerISA_NS7_11hip_rocprim3tagENS7_11use_defaultESJ_EEEEPSB_SM_NS0_5tupleIJPSA_SM_EEENSN_IJSM_SM_EEESB_PlJ10is_orderedEEE10hipError_tPvRmT3_T4_T5_T6_T7_T9_mT8_P12ihipStream_tbDpT10_ENKUlT_T0_E_clISt17integral_constantIbLb1EES1C_EEDaS17_S18_EUlS17_E_NS1_11comp_targetILNS1_3genE4ELNS1_11target_archE910ELNS1_3gpuE8ELNS1_3repE0EEENS1_30default_config_static_selectorELNS0_4arch9wavefront6targetE1EEEvT1_.kd
    .uniform_work_group_size: 1
    .uses_dynamic_stack: false
    .vgpr_count:     57
    .vgpr_spill_count: 0
    .wavefront_size: 64
  - .agpr_count:     0
    .args:
      - .offset:         0
        .size:           136
        .value_kind:     by_value
    .group_segment_fixed_size: 0
    .kernarg_segment_align: 8
    .kernarg_segment_size: 136
    .language:       OpenCL C
    .language_version:
      - 2
      - 0
    .max_flat_workgroup_size: 256
    .name:           _ZN7rocprim17ROCPRIM_400000_NS6detail17trampoline_kernelINS0_14default_configENS1_25partition_config_selectorILNS1_17partition_subalgoE3EN6thrust23THRUST_200600_302600_NS5tupleIssNS7_9null_typeES9_S9_S9_S9_S9_S9_S9_EENS0_10empty_typeEbEEZZNS1_14partition_implILS5_3ELb0ES3_jNS7_6detail15normal_iteratorINS7_7pointerISA_NS7_11hip_rocprim3tagENS7_11use_defaultESJ_EEEEPSB_SM_NS0_5tupleIJPSA_SM_EEENSN_IJSM_SM_EEESB_PlJ10is_orderedEEE10hipError_tPvRmT3_T4_T5_T6_T7_T9_mT8_P12ihipStream_tbDpT10_ENKUlT_T0_E_clISt17integral_constantIbLb1EES1C_EEDaS17_S18_EUlS17_E_NS1_11comp_targetILNS1_3genE3ELNS1_11target_archE908ELNS1_3gpuE7ELNS1_3repE0EEENS1_30default_config_static_selectorELNS0_4arch9wavefront6targetE1EEEvT1_
    .private_segment_fixed_size: 0
    .sgpr_count:     4
    .sgpr_spill_count: 0
    .symbol:         _ZN7rocprim17ROCPRIM_400000_NS6detail17trampoline_kernelINS0_14default_configENS1_25partition_config_selectorILNS1_17partition_subalgoE3EN6thrust23THRUST_200600_302600_NS5tupleIssNS7_9null_typeES9_S9_S9_S9_S9_S9_S9_EENS0_10empty_typeEbEEZZNS1_14partition_implILS5_3ELb0ES3_jNS7_6detail15normal_iteratorINS7_7pointerISA_NS7_11hip_rocprim3tagENS7_11use_defaultESJ_EEEEPSB_SM_NS0_5tupleIJPSA_SM_EEENSN_IJSM_SM_EEESB_PlJ10is_orderedEEE10hipError_tPvRmT3_T4_T5_T6_T7_T9_mT8_P12ihipStream_tbDpT10_ENKUlT_T0_E_clISt17integral_constantIbLb1EES1C_EEDaS17_S18_EUlS17_E_NS1_11comp_targetILNS1_3genE3ELNS1_11target_archE908ELNS1_3gpuE7ELNS1_3repE0EEENS1_30default_config_static_selectorELNS0_4arch9wavefront6targetE1EEEvT1_.kd
    .uniform_work_group_size: 1
    .uses_dynamic_stack: false
    .vgpr_count:     0
    .vgpr_spill_count: 0
    .wavefront_size: 64
  - .agpr_count:     0
    .args:
      - .offset:         0
        .size:           136
        .value_kind:     by_value
    .group_segment_fixed_size: 0
    .kernarg_segment_align: 8
    .kernarg_segment_size: 136
    .language:       OpenCL C
    .language_version:
      - 2
      - 0
    .max_flat_workgroup_size: 192
    .name:           _ZN7rocprim17ROCPRIM_400000_NS6detail17trampoline_kernelINS0_14default_configENS1_25partition_config_selectorILNS1_17partition_subalgoE3EN6thrust23THRUST_200600_302600_NS5tupleIssNS7_9null_typeES9_S9_S9_S9_S9_S9_S9_EENS0_10empty_typeEbEEZZNS1_14partition_implILS5_3ELb0ES3_jNS7_6detail15normal_iteratorINS7_7pointerISA_NS7_11hip_rocprim3tagENS7_11use_defaultESJ_EEEEPSB_SM_NS0_5tupleIJPSA_SM_EEENSN_IJSM_SM_EEESB_PlJ10is_orderedEEE10hipError_tPvRmT3_T4_T5_T6_T7_T9_mT8_P12ihipStream_tbDpT10_ENKUlT_T0_E_clISt17integral_constantIbLb1EES1C_EEDaS17_S18_EUlS17_E_NS1_11comp_targetILNS1_3genE2ELNS1_11target_archE906ELNS1_3gpuE6ELNS1_3repE0EEENS1_30default_config_static_selectorELNS0_4arch9wavefront6targetE1EEEvT1_
    .private_segment_fixed_size: 0
    .sgpr_count:     4
    .sgpr_spill_count: 0
    .symbol:         _ZN7rocprim17ROCPRIM_400000_NS6detail17trampoline_kernelINS0_14default_configENS1_25partition_config_selectorILNS1_17partition_subalgoE3EN6thrust23THRUST_200600_302600_NS5tupleIssNS7_9null_typeES9_S9_S9_S9_S9_S9_S9_EENS0_10empty_typeEbEEZZNS1_14partition_implILS5_3ELb0ES3_jNS7_6detail15normal_iteratorINS7_7pointerISA_NS7_11hip_rocprim3tagENS7_11use_defaultESJ_EEEEPSB_SM_NS0_5tupleIJPSA_SM_EEENSN_IJSM_SM_EEESB_PlJ10is_orderedEEE10hipError_tPvRmT3_T4_T5_T6_T7_T9_mT8_P12ihipStream_tbDpT10_ENKUlT_T0_E_clISt17integral_constantIbLb1EES1C_EEDaS17_S18_EUlS17_E_NS1_11comp_targetILNS1_3genE2ELNS1_11target_archE906ELNS1_3gpuE6ELNS1_3repE0EEENS1_30default_config_static_selectorELNS0_4arch9wavefront6targetE1EEEvT1_.kd
    .uniform_work_group_size: 1
    .uses_dynamic_stack: false
    .vgpr_count:     0
    .vgpr_spill_count: 0
    .wavefront_size: 64
  - .agpr_count:     0
    .args:
      - .offset:         0
        .size:           136
        .value_kind:     by_value
    .group_segment_fixed_size: 0
    .kernarg_segment_align: 8
    .kernarg_segment_size: 136
    .language:       OpenCL C
    .language_version:
      - 2
      - 0
    .max_flat_workgroup_size: 384
    .name:           _ZN7rocprim17ROCPRIM_400000_NS6detail17trampoline_kernelINS0_14default_configENS1_25partition_config_selectorILNS1_17partition_subalgoE3EN6thrust23THRUST_200600_302600_NS5tupleIssNS7_9null_typeES9_S9_S9_S9_S9_S9_S9_EENS0_10empty_typeEbEEZZNS1_14partition_implILS5_3ELb0ES3_jNS7_6detail15normal_iteratorINS7_7pointerISA_NS7_11hip_rocprim3tagENS7_11use_defaultESJ_EEEEPSB_SM_NS0_5tupleIJPSA_SM_EEENSN_IJSM_SM_EEESB_PlJ10is_orderedEEE10hipError_tPvRmT3_T4_T5_T6_T7_T9_mT8_P12ihipStream_tbDpT10_ENKUlT_T0_E_clISt17integral_constantIbLb1EES1C_EEDaS17_S18_EUlS17_E_NS1_11comp_targetILNS1_3genE10ELNS1_11target_archE1200ELNS1_3gpuE4ELNS1_3repE0EEENS1_30default_config_static_selectorELNS0_4arch9wavefront6targetE1EEEvT1_
    .private_segment_fixed_size: 0
    .sgpr_count:     4
    .sgpr_spill_count: 0
    .symbol:         _ZN7rocprim17ROCPRIM_400000_NS6detail17trampoline_kernelINS0_14default_configENS1_25partition_config_selectorILNS1_17partition_subalgoE3EN6thrust23THRUST_200600_302600_NS5tupleIssNS7_9null_typeES9_S9_S9_S9_S9_S9_S9_EENS0_10empty_typeEbEEZZNS1_14partition_implILS5_3ELb0ES3_jNS7_6detail15normal_iteratorINS7_7pointerISA_NS7_11hip_rocprim3tagENS7_11use_defaultESJ_EEEEPSB_SM_NS0_5tupleIJPSA_SM_EEENSN_IJSM_SM_EEESB_PlJ10is_orderedEEE10hipError_tPvRmT3_T4_T5_T6_T7_T9_mT8_P12ihipStream_tbDpT10_ENKUlT_T0_E_clISt17integral_constantIbLb1EES1C_EEDaS17_S18_EUlS17_E_NS1_11comp_targetILNS1_3genE10ELNS1_11target_archE1200ELNS1_3gpuE4ELNS1_3repE0EEENS1_30default_config_static_selectorELNS0_4arch9wavefront6targetE1EEEvT1_.kd
    .uniform_work_group_size: 1
    .uses_dynamic_stack: false
    .vgpr_count:     0
    .vgpr_spill_count: 0
    .wavefront_size: 64
  - .agpr_count:     0
    .args:
      - .offset:         0
        .size:           136
        .value_kind:     by_value
    .group_segment_fixed_size: 0
    .kernarg_segment_align: 8
    .kernarg_segment_size: 136
    .language:       OpenCL C
    .language_version:
      - 2
      - 0
    .max_flat_workgroup_size: 384
    .name:           _ZN7rocprim17ROCPRIM_400000_NS6detail17trampoline_kernelINS0_14default_configENS1_25partition_config_selectorILNS1_17partition_subalgoE3EN6thrust23THRUST_200600_302600_NS5tupleIssNS7_9null_typeES9_S9_S9_S9_S9_S9_S9_EENS0_10empty_typeEbEEZZNS1_14partition_implILS5_3ELb0ES3_jNS7_6detail15normal_iteratorINS7_7pointerISA_NS7_11hip_rocprim3tagENS7_11use_defaultESJ_EEEEPSB_SM_NS0_5tupleIJPSA_SM_EEENSN_IJSM_SM_EEESB_PlJ10is_orderedEEE10hipError_tPvRmT3_T4_T5_T6_T7_T9_mT8_P12ihipStream_tbDpT10_ENKUlT_T0_E_clISt17integral_constantIbLb1EES1C_EEDaS17_S18_EUlS17_E_NS1_11comp_targetILNS1_3genE9ELNS1_11target_archE1100ELNS1_3gpuE3ELNS1_3repE0EEENS1_30default_config_static_selectorELNS0_4arch9wavefront6targetE1EEEvT1_
    .private_segment_fixed_size: 0
    .sgpr_count:     4
    .sgpr_spill_count: 0
    .symbol:         _ZN7rocprim17ROCPRIM_400000_NS6detail17trampoline_kernelINS0_14default_configENS1_25partition_config_selectorILNS1_17partition_subalgoE3EN6thrust23THRUST_200600_302600_NS5tupleIssNS7_9null_typeES9_S9_S9_S9_S9_S9_S9_EENS0_10empty_typeEbEEZZNS1_14partition_implILS5_3ELb0ES3_jNS7_6detail15normal_iteratorINS7_7pointerISA_NS7_11hip_rocprim3tagENS7_11use_defaultESJ_EEEEPSB_SM_NS0_5tupleIJPSA_SM_EEENSN_IJSM_SM_EEESB_PlJ10is_orderedEEE10hipError_tPvRmT3_T4_T5_T6_T7_T9_mT8_P12ihipStream_tbDpT10_ENKUlT_T0_E_clISt17integral_constantIbLb1EES1C_EEDaS17_S18_EUlS17_E_NS1_11comp_targetILNS1_3genE9ELNS1_11target_archE1100ELNS1_3gpuE3ELNS1_3repE0EEENS1_30default_config_static_selectorELNS0_4arch9wavefront6targetE1EEEvT1_.kd
    .uniform_work_group_size: 1
    .uses_dynamic_stack: false
    .vgpr_count:     0
    .vgpr_spill_count: 0
    .wavefront_size: 64
  - .agpr_count:     0
    .args:
      - .offset:         0
        .size:           136
        .value_kind:     by_value
    .group_segment_fixed_size: 0
    .kernarg_segment_align: 8
    .kernarg_segment_size: 136
    .language:       OpenCL C
    .language_version:
      - 2
      - 0
    .max_flat_workgroup_size: 512
    .name:           _ZN7rocprim17ROCPRIM_400000_NS6detail17trampoline_kernelINS0_14default_configENS1_25partition_config_selectorILNS1_17partition_subalgoE3EN6thrust23THRUST_200600_302600_NS5tupleIssNS7_9null_typeES9_S9_S9_S9_S9_S9_S9_EENS0_10empty_typeEbEEZZNS1_14partition_implILS5_3ELb0ES3_jNS7_6detail15normal_iteratorINS7_7pointerISA_NS7_11hip_rocprim3tagENS7_11use_defaultESJ_EEEEPSB_SM_NS0_5tupleIJPSA_SM_EEENSN_IJSM_SM_EEESB_PlJ10is_orderedEEE10hipError_tPvRmT3_T4_T5_T6_T7_T9_mT8_P12ihipStream_tbDpT10_ENKUlT_T0_E_clISt17integral_constantIbLb1EES1C_EEDaS17_S18_EUlS17_E_NS1_11comp_targetILNS1_3genE8ELNS1_11target_archE1030ELNS1_3gpuE2ELNS1_3repE0EEENS1_30default_config_static_selectorELNS0_4arch9wavefront6targetE1EEEvT1_
    .private_segment_fixed_size: 0
    .sgpr_count:     4
    .sgpr_spill_count: 0
    .symbol:         _ZN7rocprim17ROCPRIM_400000_NS6detail17trampoline_kernelINS0_14default_configENS1_25partition_config_selectorILNS1_17partition_subalgoE3EN6thrust23THRUST_200600_302600_NS5tupleIssNS7_9null_typeES9_S9_S9_S9_S9_S9_S9_EENS0_10empty_typeEbEEZZNS1_14partition_implILS5_3ELb0ES3_jNS7_6detail15normal_iteratorINS7_7pointerISA_NS7_11hip_rocprim3tagENS7_11use_defaultESJ_EEEEPSB_SM_NS0_5tupleIJPSA_SM_EEENSN_IJSM_SM_EEESB_PlJ10is_orderedEEE10hipError_tPvRmT3_T4_T5_T6_T7_T9_mT8_P12ihipStream_tbDpT10_ENKUlT_T0_E_clISt17integral_constantIbLb1EES1C_EEDaS17_S18_EUlS17_E_NS1_11comp_targetILNS1_3genE8ELNS1_11target_archE1030ELNS1_3gpuE2ELNS1_3repE0EEENS1_30default_config_static_selectorELNS0_4arch9wavefront6targetE1EEEvT1_.kd
    .uniform_work_group_size: 1
    .uses_dynamic_stack: false
    .vgpr_count:     0
    .vgpr_spill_count: 0
    .wavefront_size: 64
  - .agpr_count:     0
    .args:
      - .offset:         0
        .size:           120
        .value_kind:     by_value
    .group_segment_fixed_size: 0
    .kernarg_segment_align: 8
    .kernarg_segment_size: 120
    .language:       OpenCL C
    .language_version:
      - 2
      - 0
    .max_flat_workgroup_size: 256
    .name:           _ZN7rocprim17ROCPRIM_400000_NS6detail17trampoline_kernelINS0_14default_configENS1_25partition_config_selectorILNS1_17partition_subalgoE3EN6thrust23THRUST_200600_302600_NS5tupleIssNS7_9null_typeES9_S9_S9_S9_S9_S9_S9_EENS0_10empty_typeEbEEZZNS1_14partition_implILS5_3ELb0ES3_jNS7_6detail15normal_iteratorINS7_7pointerISA_NS7_11hip_rocprim3tagENS7_11use_defaultESJ_EEEEPSB_SM_NS0_5tupleIJPSA_SM_EEENSN_IJSM_SM_EEESB_PlJ10is_orderedEEE10hipError_tPvRmT3_T4_T5_T6_T7_T9_mT8_P12ihipStream_tbDpT10_ENKUlT_T0_E_clISt17integral_constantIbLb1EES1B_IbLb0EEEEDaS17_S18_EUlS17_E_NS1_11comp_targetILNS1_3genE0ELNS1_11target_archE4294967295ELNS1_3gpuE0ELNS1_3repE0EEENS1_30default_config_static_selectorELNS0_4arch9wavefront6targetE1EEEvT1_
    .private_segment_fixed_size: 0
    .sgpr_count:     4
    .sgpr_spill_count: 0
    .symbol:         _ZN7rocprim17ROCPRIM_400000_NS6detail17trampoline_kernelINS0_14default_configENS1_25partition_config_selectorILNS1_17partition_subalgoE3EN6thrust23THRUST_200600_302600_NS5tupleIssNS7_9null_typeES9_S9_S9_S9_S9_S9_S9_EENS0_10empty_typeEbEEZZNS1_14partition_implILS5_3ELb0ES3_jNS7_6detail15normal_iteratorINS7_7pointerISA_NS7_11hip_rocprim3tagENS7_11use_defaultESJ_EEEEPSB_SM_NS0_5tupleIJPSA_SM_EEENSN_IJSM_SM_EEESB_PlJ10is_orderedEEE10hipError_tPvRmT3_T4_T5_T6_T7_T9_mT8_P12ihipStream_tbDpT10_ENKUlT_T0_E_clISt17integral_constantIbLb1EES1B_IbLb0EEEEDaS17_S18_EUlS17_E_NS1_11comp_targetILNS1_3genE0ELNS1_11target_archE4294967295ELNS1_3gpuE0ELNS1_3repE0EEENS1_30default_config_static_selectorELNS0_4arch9wavefront6targetE1EEEvT1_.kd
    .uniform_work_group_size: 1
    .uses_dynamic_stack: false
    .vgpr_count:     0
    .vgpr_spill_count: 0
    .wavefront_size: 64
  - .agpr_count:     0
    .args:
      - .offset:         0
        .size:           120
        .value_kind:     by_value
    .group_segment_fixed_size: 0
    .kernarg_segment_align: 8
    .kernarg_segment_size: 120
    .language:       OpenCL C
    .language_version:
      - 2
      - 0
    .max_flat_workgroup_size: 512
    .name:           _ZN7rocprim17ROCPRIM_400000_NS6detail17trampoline_kernelINS0_14default_configENS1_25partition_config_selectorILNS1_17partition_subalgoE3EN6thrust23THRUST_200600_302600_NS5tupleIssNS7_9null_typeES9_S9_S9_S9_S9_S9_S9_EENS0_10empty_typeEbEEZZNS1_14partition_implILS5_3ELb0ES3_jNS7_6detail15normal_iteratorINS7_7pointerISA_NS7_11hip_rocprim3tagENS7_11use_defaultESJ_EEEEPSB_SM_NS0_5tupleIJPSA_SM_EEENSN_IJSM_SM_EEESB_PlJ10is_orderedEEE10hipError_tPvRmT3_T4_T5_T6_T7_T9_mT8_P12ihipStream_tbDpT10_ENKUlT_T0_E_clISt17integral_constantIbLb1EES1B_IbLb0EEEEDaS17_S18_EUlS17_E_NS1_11comp_targetILNS1_3genE5ELNS1_11target_archE942ELNS1_3gpuE9ELNS1_3repE0EEENS1_30default_config_static_selectorELNS0_4arch9wavefront6targetE1EEEvT1_
    .private_segment_fixed_size: 0
    .sgpr_count:     4
    .sgpr_spill_count: 0
    .symbol:         _ZN7rocprim17ROCPRIM_400000_NS6detail17trampoline_kernelINS0_14default_configENS1_25partition_config_selectorILNS1_17partition_subalgoE3EN6thrust23THRUST_200600_302600_NS5tupleIssNS7_9null_typeES9_S9_S9_S9_S9_S9_S9_EENS0_10empty_typeEbEEZZNS1_14partition_implILS5_3ELb0ES3_jNS7_6detail15normal_iteratorINS7_7pointerISA_NS7_11hip_rocprim3tagENS7_11use_defaultESJ_EEEEPSB_SM_NS0_5tupleIJPSA_SM_EEENSN_IJSM_SM_EEESB_PlJ10is_orderedEEE10hipError_tPvRmT3_T4_T5_T6_T7_T9_mT8_P12ihipStream_tbDpT10_ENKUlT_T0_E_clISt17integral_constantIbLb1EES1B_IbLb0EEEEDaS17_S18_EUlS17_E_NS1_11comp_targetILNS1_3genE5ELNS1_11target_archE942ELNS1_3gpuE9ELNS1_3repE0EEENS1_30default_config_static_selectorELNS0_4arch9wavefront6targetE1EEEvT1_.kd
    .uniform_work_group_size: 1
    .uses_dynamic_stack: false
    .vgpr_count:     0
    .vgpr_spill_count: 0
    .wavefront_size: 64
  - .agpr_count:     0
    .args:
      - .offset:         0
        .size:           120
        .value_kind:     by_value
    .group_segment_fixed_size: 10248
    .kernarg_segment_align: 8
    .kernarg_segment_size: 120
    .language:       OpenCL C
    .language_version:
      - 2
      - 0
    .max_flat_workgroup_size: 256
    .name:           _ZN7rocprim17ROCPRIM_400000_NS6detail17trampoline_kernelINS0_14default_configENS1_25partition_config_selectorILNS1_17partition_subalgoE3EN6thrust23THRUST_200600_302600_NS5tupleIssNS7_9null_typeES9_S9_S9_S9_S9_S9_S9_EENS0_10empty_typeEbEEZZNS1_14partition_implILS5_3ELb0ES3_jNS7_6detail15normal_iteratorINS7_7pointerISA_NS7_11hip_rocprim3tagENS7_11use_defaultESJ_EEEEPSB_SM_NS0_5tupleIJPSA_SM_EEENSN_IJSM_SM_EEESB_PlJ10is_orderedEEE10hipError_tPvRmT3_T4_T5_T6_T7_T9_mT8_P12ihipStream_tbDpT10_ENKUlT_T0_E_clISt17integral_constantIbLb1EES1B_IbLb0EEEEDaS17_S18_EUlS17_E_NS1_11comp_targetILNS1_3genE4ELNS1_11target_archE910ELNS1_3gpuE8ELNS1_3repE0EEENS1_30default_config_static_selectorELNS0_4arch9wavefront6targetE1EEEvT1_
    .private_segment_fixed_size: 0
    .sgpr_count:     52
    .sgpr_spill_count: 0
    .symbol:         _ZN7rocprim17ROCPRIM_400000_NS6detail17trampoline_kernelINS0_14default_configENS1_25partition_config_selectorILNS1_17partition_subalgoE3EN6thrust23THRUST_200600_302600_NS5tupleIssNS7_9null_typeES9_S9_S9_S9_S9_S9_S9_EENS0_10empty_typeEbEEZZNS1_14partition_implILS5_3ELb0ES3_jNS7_6detail15normal_iteratorINS7_7pointerISA_NS7_11hip_rocprim3tagENS7_11use_defaultESJ_EEEEPSB_SM_NS0_5tupleIJPSA_SM_EEENSN_IJSM_SM_EEESB_PlJ10is_orderedEEE10hipError_tPvRmT3_T4_T5_T6_T7_T9_mT8_P12ihipStream_tbDpT10_ENKUlT_T0_E_clISt17integral_constantIbLb1EES1B_IbLb0EEEEDaS17_S18_EUlS17_E_NS1_11comp_targetILNS1_3genE4ELNS1_11target_archE910ELNS1_3gpuE8ELNS1_3repE0EEENS1_30default_config_static_selectorELNS0_4arch9wavefront6targetE1EEEvT1_.kd
    .uniform_work_group_size: 1
    .uses_dynamic_stack: false
    .vgpr_count:     54
    .vgpr_spill_count: 0
    .wavefront_size: 64
  - .agpr_count:     0
    .args:
      - .offset:         0
        .size:           120
        .value_kind:     by_value
    .group_segment_fixed_size: 0
    .kernarg_segment_align: 8
    .kernarg_segment_size: 120
    .language:       OpenCL C
    .language_version:
      - 2
      - 0
    .max_flat_workgroup_size: 256
    .name:           _ZN7rocprim17ROCPRIM_400000_NS6detail17trampoline_kernelINS0_14default_configENS1_25partition_config_selectorILNS1_17partition_subalgoE3EN6thrust23THRUST_200600_302600_NS5tupleIssNS7_9null_typeES9_S9_S9_S9_S9_S9_S9_EENS0_10empty_typeEbEEZZNS1_14partition_implILS5_3ELb0ES3_jNS7_6detail15normal_iteratorINS7_7pointerISA_NS7_11hip_rocprim3tagENS7_11use_defaultESJ_EEEEPSB_SM_NS0_5tupleIJPSA_SM_EEENSN_IJSM_SM_EEESB_PlJ10is_orderedEEE10hipError_tPvRmT3_T4_T5_T6_T7_T9_mT8_P12ihipStream_tbDpT10_ENKUlT_T0_E_clISt17integral_constantIbLb1EES1B_IbLb0EEEEDaS17_S18_EUlS17_E_NS1_11comp_targetILNS1_3genE3ELNS1_11target_archE908ELNS1_3gpuE7ELNS1_3repE0EEENS1_30default_config_static_selectorELNS0_4arch9wavefront6targetE1EEEvT1_
    .private_segment_fixed_size: 0
    .sgpr_count:     4
    .sgpr_spill_count: 0
    .symbol:         _ZN7rocprim17ROCPRIM_400000_NS6detail17trampoline_kernelINS0_14default_configENS1_25partition_config_selectorILNS1_17partition_subalgoE3EN6thrust23THRUST_200600_302600_NS5tupleIssNS7_9null_typeES9_S9_S9_S9_S9_S9_S9_EENS0_10empty_typeEbEEZZNS1_14partition_implILS5_3ELb0ES3_jNS7_6detail15normal_iteratorINS7_7pointerISA_NS7_11hip_rocprim3tagENS7_11use_defaultESJ_EEEEPSB_SM_NS0_5tupleIJPSA_SM_EEENSN_IJSM_SM_EEESB_PlJ10is_orderedEEE10hipError_tPvRmT3_T4_T5_T6_T7_T9_mT8_P12ihipStream_tbDpT10_ENKUlT_T0_E_clISt17integral_constantIbLb1EES1B_IbLb0EEEEDaS17_S18_EUlS17_E_NS1_11comp_targetILNS1_3genE3ELNS1_11target_archE908ELNS1_3gpuE7ELNS1_3repE0EEENS1_30default_config_static_selectorELNS0_4arch9wavefront6targetE1EEEvT1_.kd
    .uniform_work_group_size: 1
    .uses_dynamic_stack: false
    .vgpr_count:     0
    .vgpr_spill_count: 0
    .wavefront_size: 64
  - .agpr_count:     0
    .args:
      - .offset:         0
        .size:           120
        .value_kind:     by_value
    .group_segment_fixed_size: 0
    .kernarg_segment_align: 8
    .kernarg_segment_size: 120
    .language:       OpenCL C
    .language_version:
      - 2
      - 0
    .max_flat_workgroup_size: 192
    .name:           _ZN7rocprim17ROCPRIM_400000_NS6detail17trampoline_kernelINS0_14default_configENS1_25partition_config_selectorILNS1_17partition_subalgoE3EN6thrust23THRUST_200600_302600_NS5tupleIssNS7_9null_typeES9_S9_S9_S9_S9_S9_S9_EENS0_10empty_typeEbEEZZNS1_14partition_implILS5_3ELb0ES3_jNS7_6detail15normal_iteratorINS7_7pointerISA_NS7_11hip_rocprim3tagENS7_11use_defaultESJ_EEEEPSB_SM_NS0_5tupleIJPSA_SM_EEENSN_IJSM_SM_EEESB_PlJ10is_orderedEEE10hipError_tPvRmT3_T4_T5_T6_T7_T9_mT8_P12ihipStream_tbDpT10_ENKUlT_T0_E_clISt17integral_constantIbLb1EES1B_IbLb0EEEEDaS17_S18_EUlS17_E_NS1_11comp_targetILNS1_3genE2ELNS1_11target_archE906ELNS1_3gpuE6ELNS1_3repE0EEENS1_30default_config_static_selectorELNS0_4arch9wavefront6targetE1EEEvT1_
    .private_segment_fixed_size: 0
    .sgpr_count:     4
    .sgpr_spill_count: 0
    .symbol:         _ZN7rocprim17ROCPRIM_400000_NS6detail17trampoline_kernelINS0_14default_configENS1_25partition_config_selectorILNS1_17partition_subalgoE3EN6thrust23THRUST_200600_302600_NS5tupleIssNS7_9null_typeES9_S9_S9_S9_S9_S9_S9_EENS0_10empty_typeEbEEZZNS1_14partition_implILS5_3ELb0ES3_jNS7_6detail15normal_iteratorINS7_7pointerISA_NS7_11hip_rocprim3tagENS7_11use_defaultESJ_EEEEPSB_SM_NS0_5tupleIJPSA_SM_EEENSN_IJSM_SM_EEESB_PlJ10is_orderedEEE10hipError_tPvRmT3_T4_T5_T6_T7_T9_mT8_P12ihipStream_tbDpT10_ENKUlT_T0_E_clISt17integral_constantIbLb1EES1B_IbLb0EEEEDaS17_S18_EUlS17_E_NS1_11comp_targetILNS1_3genE2ELNS1_11target_archE906ELNS1_3gpuE6ELNS1_3repE0EEENS1_30default_config_static_selectorELNS0_4arch9wavefront6targetE1EEEvT1_.kd
    .uniform_work_group_size: 1
    .uses_dynamic_stack: false
    .vgpr_count:     0
    .vgpr_spill_count: 0
    .wavefront_size: 64
  - .agpr_count:     0
    .args:
      - .offset:         0
        .size:           120
        .value_kind:     by_value
    .group_segment_fixed_size: 0
    .kernarg_segment_align: 8
    .kernarg_segment_size: 120
    .language:       OpenCL C
    .language_version:
      - 2
      - 0
    .max_flat_workgroup_size: 384
    .name:           _ZN7rocprim17ROCPRIM_400000_NS6detail17trampoline_kernelINS0_14default_configENS1_25partition_config_selectorILNS1_17partition_subalgoE3EN6thrust23THRUST_200600_302600_NS5tupleIssNS7_9null_typeES9_S9_S9_S9_S9_S9_S9_EENS0_10empty_typeEbEEZZNS1_14partition_implILS5_3ELb0ES3_jNS7_6detail15normal_iteratorINS7_7pointerISA_NS7_11hip_rocprim3tagENS7_11use_defaultESJ_EEEEPSB_SM_NS0_5tupleIJPSA_SM_EEENSN_IJSM_SM_EEESB_PlJ10is_orderedEEE10hipError_tPvRmT3_T4_T5_T6_T7_T9_mT8_P12ihipStream_tbDpT10_ENKUlT_T0_E_clISt17integral_constantIbLb1EES1B_IbLb0EEEEDaS17_S18_EUlS17_E_NS1_11comp_targetILNS1_3genE10ELNS1_11target_archE1200ELNS1_3gpuE4ELNS1_3repE0EEENS1_30default_config_static_selectorELNS0_4arch9wavefront6targetE1EEEvT1_
    .private_segment_fixed_size: 0
    .sgpr_count:     4
    .sgpr_spill_count: 0
    .symbol:         _ZN7rocprim17ROCPRIM_400000_NS6detail17trampoline_kernelINS0_14default_configENS1_25partition_config_selectorILNS1_17partition_subalgoE3EN6thrust23THRUST_200600_302600_NS5tupleIssNS7_9null_typeES9_S9_S9_S9_S9_S9_S9_EENS0_10empty_typeEbEEZZNS1_14partition_implILS5_3ELb0ES3_jNS7_6detail15normal_iteratorINS7_7pointerISA_NS7_11hip_rocprim3tagENS7_11use_defaultESJ_EEEEPSB_SM_NS0_5tupleIJPSA_SM_EEENSN_IJSM_SM_EEESB_PlJ10is_orderedEEE10hipError_tPvRmT3_T4_T5_T6_T7_T9_mT8_P12ihipStream_tbDpT10_ENKUlT_T0_E_clISt17integral_constantIbLb1EES1B_IbLb0EEEEDaS17_S18_EUlS17_E_NS1_11comp_targetILNS1_3genE10ELNS1_11target_archE1200ELNS1_3gpuE4ELNS1_3repE0EEENS1_30default_config_static_selectorELNS0_4arch9wavefront6targetE1EEEvT1_.kd
    .uniform_work_group_size: 1
    .uses_dynamic_stack: false
    .vgpr_count:     0
    .vgpr_spill_count: 0
    .wavefront_size: 64
  - .agpr_count:     0
    .args:
      - .offset:         0
        .size:           120
        .value_kind:     by_value
    .group_segment_fixed_size: 0
    .kernarg_segment_align: 8
    .kernarg_segment_size: 120
    .language:       OpenCL C
    .language_version:
      - 2
      - 0
    .max_flat_workgroup_size: 384
    .name:           _ZN7rocprim17ROCPRIM_400000_NS6detail17trampoline_kernelINS0_14default_configENS1_25partition_config_selectorILNS1_17partition_subalgoE3EN6thrust23THRUST_200600_302600_NS5tupleIssNS7_9null_typeES9_S9_S9_S9_S9_S9_S9_EENS0_10empty_typeEbEEZZNS1_14partition_implILS5_3ELb0ES3_jNS7_6detail15normal_iteratorINS7_7pointerISA_NS7_11hip_rocprim3tagENS7_11use_defaultESJ_EEEEPSB_SM_NS0_5tupleIJPSA_SM_EEENSN_IJSM_SM_EEESB_PlJ10is_orderedEEE10hipError_tPvRmT3_T4_T5_T6_T7_T9_mT8_P12ihipStream_tbDpT10_ENKUlT_T0_E_clISt17integral_constantIbLb1EES1B_IbLb0EEEEDaS17_S18_EUlS17_E_NS1_11comp_targetILNS1_3genE9ELNS1_11target_archE1100ELNS1_3gpuE3ELNS1_3repE0EEENS1_30default_config_static_selectorELNS0_4arch9wavefront6targetE1EEEvT1_
    .private_segment_fixed_size: 0
    .sgpr_count:     4
    .sgpr_spill_count: 0
    .symbol:         _ZN7rocprim17ROCPRIM_400000_NS6detail17trampoline_kernelINS0_14default_configENS1_25partition_config_selectorILNS1_17partition_subalgoE3EN6thrust23THRUST_200600_302600_NS5tupleIssNS7_9null_typeES9_S9_S9_S9_S9_S9_S9_EENS0_10empty_typeEbEEZZNS1_14partition_implILS5_3ELb0ES3_jNS7_6detail15normal_iteratorINS7_7pointerISA_NS7_11hip_rocprim3tagENS7_11use_defaultESJ_EEEEPSB_SM_NS0_5tupleIJPSA_SM_EEENSN_IJSM_SM_EEESB_PlJ10is_orderedEEE10hipError_tPvRmT3_T4_T5_T6_T7_T9_mT8_P12ihipStream_tbDpT10_ENKUlT_T0_E_clISt17integral_constantIbLb1EES1B_IbLb0EEEEDaS17_S18_EUlS17_E_NS1_11comp_targetILNS1_3genE9ELNS1_11target_archE1100ELNS1_3gpuE3ELNS1_3repE0EEENS1_30default_config_static_selectorELNS0_4arch9wavefront6targetE1EEEvT1_.kd
    .uniform_work_group_size: 1
    .uses_dynamic_stack: false
    .vgpr_count:     0
    .vgpr_spill_count: 0
    .wavefront_size: 64
  - .agpr_count:     0
    .args:
      - .offset:         0
        .size:           120
        .value_kind:     by_value
    .group_segment_fixed_size: 0
    .kernarg_segment_align: 8
    .kernarg_segment_size: 120
    .language:       OpenCL C
    .language_version:
      - 2
      - 0
    .max_flat_workgroup_size: 512
    .name:           _ZN7rocprim17ROCPRIM_400000_NS6detail17trampoline_kernelINS0_14default_configENS1_25partition_config_selectorILNS1_17partition_subalgoE3EN6thrust23THRUST_200600_302600_NS5tupleIssNS7_9null_typeES9_S9_S9_S9_S9_S9_S9_EENS0_10empty_typeEbEEZZNS1_14partition_implILS5_3ELb0ES3_jNS7_6detail15normal_iteratorINS7_7pointerISA_NS7_11hip_rocprim3tagENS7_11use_defaultESJ_EEEEPSB_SM_NS0_5tupleIJPSA_SM_EEENSN_IJSM_SM_EEESB_PlJ10is_orderedEEE10hipError_tPvRmT3_T4_T5_T6_T7_T9_mT8_P12ihipStream_tbDpT10_ENKUlT_T0_E_clISt17integral_constantIbLb1EES1B_IbLb0EEEEDaS17_S18_EUlS17_E_NS1_11comp_targetILNS1_3genE8ELNS1_11target_archE1030ELNS1_3gpuE2ELNS1_3repE0EEENS1_30default_config_static_selectorELNS0_4arch9wavefront6targetE1EEEvT1_
    .private_segment_fixed_size: 0
    .sgpr_count:     4
    .sgpr_spill_count: 0
    .symbol:         _ZN7rocprim17ROCPRIM_400000_NS6detail17trampoline_kernelINS0_14default_configENS1_25partition_config_selectorILNS1_17partition_subalgoE3EN6thrust23THRUST_200600_302600_NS5tupleIssNS7_9null_typeES9_S9_S9_S9_S9_S9_S9_EENS0_10empty_typeEbEEZZNS1_14partition_implILS5_3ELb0ES3_jNS7_6detail15normal_iteratorINS7_7pointerISA_NS7_11hip_rocprim3tagENS7_11use_defaultESJ_EEEEPSB_SM_NS0_5tupleIJPSA_SM_EEENSN_IJSM_SM_EEESB_PlJ10is_orderedEEE10hipError_tPvRmT3_T4_T5_T6_T7_T9_mT8_P12ihipStream_tbDpT10_ENKUlT_T0_E_clISt17integral_constantIbLb1EES1B_IbLb0EEEEDaS17_S18_EUlS17_E_NS1_11comp_targetILNS1_3genE8ELNS1_11target_archE1030ELNS1_3gpuE2ELNS1_3repE0EEENS1_30default_config_static_selectorELNS0_4arch9wavefront6targetE1EEEvT1_.kd
    .uniform_work_group_size: 1
    .uses_dynamic_stack: false
    .vgpr_count:     0
    .vgpr_spill_count: 0
    .wavefront_size: 64
  - .agpr_count:     0
    .args:
      - .offset:         0
        .size:           136
        .value_kind:     by_value
    .group_segment_fixed_size: 0
    .kernarg_segment_align: 8
    .kernarg_segment_size: 136
    .language:       OpenCL C
    .language_version:
      - 2
      - 0
    .max_flat_workgroup_size: 256
    .name:           _ZN7rocprim17ROCPRIM_400000_NS6detail17trampoline_kernelINS0_14default_configENS1_25partition_config_selectorILNS1_17partition_subalgoE3EN6thrust23THRUST_200600_302600_NS5tupleIssNS7_9null_typeES9_S9_S9_S9_S9_S9_S9_EENS0_10empty_typeEbEEZZNS1_14partition_implILS5_3ELb0ES3_jNS7_6detail15normal_iteratorINS7_7pointerISA_NS7_11hip_rocprim3tagENS7_11use_defaultESJ_EEEEPSB_SM_NS0_5tupleIJPSA_SM_EEENSN_IJSM_SM_EEESB_PlJ10is_orderedEEE10hipError_tPvRmT3_T4_T5_T6_T7_T9_mT8_P12ihipStream_tbDpT10_ENKUlT_T0_E_clISt17integral_constantIbLb0EES1B_IbLb1EEEEDaS17_S18_EUlS17_E_NS1_11comp_targetILNS1_3genE0ELNS1_11target_archE4294967295ELNS1_3gpuE0ELNS1_3repE0EEENS1_30default_config_static_selectorELNS0_4arch9wavefront6targetE1EEEvT1_
    .private_segment_fixed_size: 0
    .sgpr_count:     4
    .sgpr_spill_count: 0
    .symbol:         _ZN7rocprim17ROCPRIM_400000_NS6detail17trampoline_kernelINS0_14default_configENS1_25partition_config_selectorILNS1_17partition_subalgoE3EN6thrust23THRUST_200600_302600_NS5tupleIssNS7_9null_typeES9_S9_S9_S9_S9_S9_S9_EENS0_10empty_typeEbEEZZNS1_14partition_implILS5_3ELb0ES3_jNS7_6detail15normal_iteratorINS7_7pointerISA_NS7_11hip_rocprim3tagENS7_11use_defaultESJ_EEEEPSB_SM_NS0_5tupleIJPSA_SM_EEENSN_IJSM_SM_EEESB_PlJ10is_orderedEEE10hipError_tPvRmT3_T4_T5_T6_T7_T9_mT8_P12ihipStream_tbDpT10_ENKUlT_T0_E_clISt17integral_constantIbLb0EES1B_IbLb1EEEEDaS17_S18_EUlS17_E_NS1_11comp_targetILNS1_3genE0ELNS1_11target_archE4294967295ELNS1_3gpuE0ELNS1_3repE0EEENS1_30default_config_static_selectorELNS0_4arch9wavefront6targetE1EEEvT1_.kd
    .uniform_work_group_size: 1
    .uses_dynamic_stack: false
    .vgpr_count:     0
    .vgpr_spill_count: 0
    .wavefront_size: 64
  - .agpr_count:     0
    .args:
      - .offset:         0
        .size:           136
        .value_kind:     by_value
    .group_segment_fixed_size: 0
    .kernarg_segment_align: 8
    .kernarg_segment_size: 136
    .language:       OpenCL C
    .language_version:
      - 2
      - 0
    .max_flat_workgroup_size: 512
    .name:           _ZN7rocprim17ROCPRIM_400000_NS6detail17trampoline_kernelINS0_14default_configENS1_25partition_config_selectorILNS1_17partition_subalgoE3EN6thrust23THRUST_200600_302600_NS5tupleIssNS7_9null_typeES9_S9_S9_S9_S9_S9_S9_EENS0_10empty_typeEbEEZZNS1_14partition_implILS5_3ELb0ES3_jNS7_6detail15normal_iteratorINS7_7pointerISA_NS7_11hip_rocprim3tagENS7_11use_defaultESJ_EEEEPSB_SM_NS0_5tupleIJPSA_SM_EEENSN_IJSM_SM_EEESB_PlJ10is_orderedEEE10hipError_tPvRmT3_T4_T5_T6_T7_T9_mT8_P12ihipStream_tbDpT10_ENKUlT_T0_E_clISt17integral_constantIbLb0EES1B_IbLb1EEEEDaS17_S18_EUlS17_E_NS1_11comp_targetILNS1_3genE5ELNS1_11target_archE942ELNS1_3gpuE9ELNS1_3repE0EEENS1_30default_config_static_selectorELNS0_4arch9wavefront6targetE1EEEvT1_
    .private_segment_fixed_size: 0
    .sgpr_count:     4
    .sgpr_spill_count: 0
    .symbol:         _ZN7rocprim17ROCPRIM_400000_NS6detail17trampoline_kernelINS0_14default_configENS1_25partition_config_selectorILNS1_17partition_subalgoE3EN6thrust23THRUST_200600_302600_NS5tupleIssNS7_9null_typeES9_S9_S9_S9_S9_S9_S9_EENS0_10empty_typeEbEEZZNS1_14partition_implILS5_3ELb0ES3_jNS7_6detail15normal_iteratorINS7_7pointerISA_NS7_11hip_rocprim3tagENS7_11use_defaultESJ_EEEEPSB_SM_NS0_5tupleIJPSA_SM_EEENSN_IJSM_SM_EEESB_PlJ10is_orderedEEE10hipError_tPvRmT3_T4_T5_T6_T7_T9_mT8_P12ihipStream_tbDpT10_ENKUlT_T0_E_clISt17integral_constantIbLb0EES1B_IbLb1EEEEDaS17_S18_EUlS17_E_NS1_11comp_targetILNS1_3genE5ELNS1_11target_archE942ELNS1_3gpuE9ELNS1_3repE0EEENS1_30default_config_static_selectorELNS0_4arch9wavefront6targetE1EEEvT1_.kd
    .uniform_work_group_size: 1
    .uses_dynamic_stack: false
    .vgpr_count:     0
    .vgpr_spill_count: 0
    .wavefront_size: 64
  - .agpr_count:     0
    .args:
      - .offset:         0
        .size:           136
        .value_kind:     by_value
    .group_segment_fixed_size: 10248
    .kernarg_segment_align: 8
    .kernarg_segment_size: 136
    .language:       OpenCL C
    .language_version:
      - 2
      - 0
    .max_flat_workgroup_size: 256
    .name:           _ZN7rocprim17ROCPRIM_400000_NS6detail17trampoline_kernelINS0_14default_configENS1_25partition_config_selectorILNS1_17partition_subalgoE3EN6thrust23THRUST_200600_302600_NS5tupleIssNS7_9null_typeES9_S9_S9_S9_S9_S9_S9_EENS0_10empty_typeEbEEZZNS1_14partition_implILS5_3ELb0ES3_jNS7_6detail15normal_iteratorINS7_7pointerISA_NS7_11hip_rocprim3tagENS7_11use_defaultESJ_EEEEPSB_SM_NS0_5tupleIJPSA_SM_EEENSN_IJSM_SM_EEESB_PlJ10is_orderedEEE10hipError_tPvRmT3_T4_T5_T6_T7_T9_mT8_P12ihipStream_tbDpT10_ENKUlT_T0_E_clISt17integral_constantIbLb0EES1B_IbLb1EEEEDaS17_S18_EUlS17_E_NS1_11comp_targetILNS1_3genE4ELNS1_11target_archE910ELNS1_3gpuE8ELNS1_3repE0EEENS1_30default_config_static_selectorELNS0_4arch9wavefront6targetE1EEEvT1_
    .private_segment_fixed_size: 0
    .sgpr_count:     50
    .sgpr_spill_count: 0
    .symbol:         _ZN7rocprim17ROCPRIM_400000_NS6detail17trampoline_kernelINS0_14default_configENS1_25partition_config_selectorILNS1_17partition_subalgoE3EN6thrust23THRUST_200600_302600_NS5tupleIssNS7_9null_typeES9_S9_S9_S9_S9_S9_S9_EENS0_10empty_typeEbEEZZNS1_14partition_implILS5_3ELb0ES3_jNS7_6detail15normal_iteratorINS7_7pointerISA_NS7_11hip_rocprim3tagENS7_11use_defaultESJ_EEEEPSB_SM_NS0_5tupleIJPSA_SM_EEENSN_IJSM_SM_EEESB_PlJ10is_orderedEEE10hipError_tPvRmT3_T4_T5_T6_T7_T9_mT8_P12ihipStream_tbDpT10_ENKUlT_T0_E_clISt17integral_constantIbLb0EES1B_IbLb1EEEEDaS17_S18_EUlS17_E_NS1_11comp_targetILNS1_3genE4ELNS1_11target_archE910ELNS1_3gpuE8ELNS1_3repE0EEENS1_30default_config_static_selectorELNS0_4arch9wavefront6targetE1EEEvT1_.kd
    .uniform_work_group_size: 1
    .uses_dynamic_stack: false
    .vgpr_count:     57
    .vgpr_spill_count: 0
    .wavefront_size: 64
  - .agpr_count:     0
    .args:
      - .offset:         0
        .size:           136
        .value_kind:     by_value
    .group_segment_fixed_size: 0
    .kernarg_segment_align: 8
    .kernarg_segment_size: 136
    .language:       OpenCL C
    .language_version:
      - 2
      - 0
    .max_flat_workgroup_size: 256
    .name:           _ZN7rocprim17ROCPRIM_400000_NS6detail17trampoline_kernelINS0_14default_configENS1_25partition_config_selectorILNS1_17partition_subalgoE3EN6thrust23THRUST_200600_302600_NS5tupleIssNS7_9null_typeES9_S9_S9_S9_S9_S9_S9_EENS0_10empty_typeEbEEZZNS1_14partition_implILS5_3ELb0ES3_jNS7_6detail15normal_iteratorINS7_7pointerISA_NS7_11hip_rocprim3tagENS7_11use_defaultESJ_EEEEPSB_SM_NS0_5tupleIJPSA_SM_EEENSN_IJSM_SM_EEESB_PlJ10is_orderedEEE10hipError_tPvRmT3_T4_T5_T6_T7_T9_mT8_P12ihipStream_tbDpT10_ENKUlT_T0_E_clISt17integral_constantIbLb0EES1B_IbLb1EEEEDaS17_S18_EUlS17_E_NS1_11comp_targetILNS1_3genE3ELNS1_11target_archE908ELNS1_3gpuE7ELNS1_3repE0EEENS1_30default_config_static_selectorELNS0_4arch9wavefront6targetE1EEEvT1_
    .private_segment_fixed_size: 0
    .sgpr_count:     4
    .sgpr_spill_count: 0
    .symbol:         _ZN7rocprim17ROCPRIM_400000_NS6detail17trampoline_kernelINS0_14default_configENS1_25partition_config_selectorILNS1_17partition_subalgoE3EN6thrust23THRUST_200600_302600_NS5tupleIssNS7_9null_typeES9_S9_S9_S9_S9_S9_S9_EENS0_10empty_typeEbEEZZNS1_14partition_implILS5_3ELb0ES3_jNS7_6detail15normal_iteratorINS7_7pointerISA_NS7_11hip_rocprim3tagENS7_11use_defaultESJ_EEEEPSB_SM_NS0_5tupleIJPSA_SM_EEENSN_IJSM_SM_EEESB_PlJ10is_orderedEEE10hipError_tPvRmT3_T4_T5_T6_T7_T9_mT8_P12ihipStream_tbDpT10_ENKUlT_T0_E_clISt17integral_constantIbLb0EES1B_IbLb1EEEEDaS17_S18_EUlS17_E_NS1_11comp_targetILNS1_3genE3ELNS1_11target_archE908ELNS1_3gpuE7ELNS1_3repE0EEENS1_30default_config_static_selectorELNS0_4arch9wavefront6targetE1EEEvT1_.kd
    .uniform_work_group_size: 1
    .uses_dynamic_stack: false
    .vgpr_count:     0
    .vgpr_spill_count: 0
    .wavefront_size: 64
  - .agpr_count:     0
    .args:
      - .offset:         0
        .size:           136
        .value_kind:     by_value
    .group_segment_fixed_size: 0
    .kernarg_segment_align: 8
    .kernarg_segment_size: 136
    .language:       OpenCL C
    .language_version:
      - 2
      - 0
    .max_flat_workgroup_size: 192
    .name:           _ZN7rocprim17ROCPRIM_400000_NS6detail17trampoline_kernelINS0_14default_configENS1_25partition_config_selectorILNS1_17partition_subalgoE3EN6thrust23THRUST_200600_302600_NS5tupleIssNS7_9null_typeES9_S9_S9_S9_S9_S9_S9_EENS0_10empty_typeEbEEZZNS1_14partition_implILS5_3ELb0ES3_jNS7_6detail15normal_iteratorINS7_7pointerISA_NS7_11hip_rocprim3tagENS7_11use_defaultESJ_EEEEPSB_SM_NS0_5tupleIJPSA_SM_EEENSN_IJSM_SM_EEESB_PlJ10is_orderedEEE10hipError_tPvRmT3_T4_T5_T6_T7_T9_mT8_P12ihipStream_tbDpT10_ENKUlT_T0_E_clISt17integral_constantIbLb0EES1B_IbLb1EEEEDaS17_S18_EUlS17_E_NS1_11comp_targetILNS1_3genE2ELNS1_11target_archE906ELNS1_3gpuE6ELNS1_3repE0EEENS1_30default_config_static_selectorELNS0_4arch9wavefront6targetE1EEEvT1_
    .private_segment_fixed_size: 0
    .sgpr_count:     4
    .sgpr_spill_count: 0
    .symbol:         _ZN7rocprim17ROCPRIM_400000_NS6detail17trampoline_kernelINS0_14default_configENS1_25partition_config_selectorILNS1_17partition_subalgoE3EN6thrust23THRUST_200600_302600_NS5tupleIssNS7_9null_typeES9_S9_S9_S9_S9_S9_S9_EENS0_10empty_typeEbEEZZNS1_14partition_implILS5_3ELb0ES3_jNS7_6detail15normal_iteratorINS7_7pointerISA_NS7_11hip_rocprim3tagENS7_11use_defaultESJ_EEEEPSB_SM_NS0_5tupleIJPSA_SM_EEENSN_IJSM_SM_EEESB_PlJ10is_orderedEEE10hipError_tPvRmT3_T4_T5_T6_T7_T9_mT8_P12ihipStream_tbDpT10_ENKUlT_T0_E_clISt17integral_constantIbLb0EES1B_IbLb1EEEEDaS17_S18_EUlS17_E_NS1_11comp_targetILNS1_3genE2ELNS1_11target_archE906ELNS1_3gpuE6ELNS1_3repE0EEENS1_30default_config_static_selectorELNS0_4arch9wavefront6targetE1EEEvT1_.kd
    .uniform_work_group_size: 1
    .uses_dynamic_stack: false
    .vgpr_count:     0
    .vgpr_spill_count: 0
    .wavefront_size: 64
  - .agpr_count:     0
    .args:
      - .offset:         0
        .size:           136
        .value_kind:     by_value
    .group_segment_fixed_size: 0
    .kernarg_segment_align: 8
    .kernarg_segment_size: 136
    .language:       OpenCL C
    .language_version:
      - 2
      - 0
    .max_flat_workgroup_size: 384
    .name:           _ZN7rocprim17ROCPRIM_400000_NS6detail17trampoline_kernelINS0_14default_configENS1_25partition_config_selectorILNS1_17partition_subalgoE3EN6thrust23THRUST_200600_302600_NS5tupleIssNS7_9null_typeES9_S9_S9_S9_S9_S9_S9_EENS0_10empty_typeEbEEZZNS1_14partition_implILS5_3ELb0ES3_jNS7_6detail15normal_iteratorINS7_7pointerISA_NS7_11hip_rocprim3tagENS7_11use_defaultESJ_EEEEPSB_SM_NS0_5tupleIJPSA_SM_EEENSN_IJSM_SM_EEESB_PlJ10is_orderedEEE10hipError_tPvRmT3_T4_T5_T6_T7_T9_mT8_P12ihipStream_tbDpT10_ENKUlT_T0_E_clISt17integral_constantIbLb0EES1B_IbLb1EEEEDaS17_S18_EUlS17_E_NS1_11comp_targetILNS1_3genE10ELNS1_11target_archE1200ELNS1_3gpuE4ELNS1_3repE0EEENS1_30default_config_static_selectorELNS0_4arch9wavefront6targetE1EEEvT1_
    .private_segment_fixed_size: 0
    .sgpr_count:     4
    .sgpr_spill_count: 0
    .symbol:         _ZN7rocprim17ROCPRIM_400000_NS6detail17trampoline_kernelINS0_14default_configENS1_25partition_config_selectorILNS1_17partition_subalgoE3EN6thrust23THRUST_200600_302600_NS5tupleIssNS7_9null_typeES9_S9_S9_S9_S9_S9_S9_EENS0_10empty_typeEbEEZZNS1_14partition_implILS5_3ELb0ES3_jNS7_6detail15normal_iteratorINS7_7pointerISA_NS7_11hip_rocprim3tagENS7_11use_defaultESJ_EEEEPSB_SM_NS0_5tupleIJPSA_SM_EEENSN_IJSM_SM_EEESB_PlJ10is_orderedEEE10hipError_tPvRmT3_T4_T5_T6_T7_T9_mT8_P12ihipStream_tbDpT10_ENKUlT_T0_E_clISt17integral_constantIbLb0EES1B_IbLb1EEEEDaS17_S18_EUlS17_E_NS1_11comp_targetILNS1_3genE10ELNS1_11target_archE1200ELNS1_3gpuE4ELNS1_3repE0EEENS1_30default_config_static_selectorELNS0_4arch9wavefront6targetE1EEEvT1_.kd
    .uniform_work_group_size: 1
    .uses_dynamic_stack: false
    .vgpr_count:     0
    .vgpr_spill_count: 0
    .wavefront_size: 64
  - .agpr_count:     0
    .args:
      - .offset:         0
        .size:           136
        .value_kind:     by_value
    .group_segment_fixed_size: 0
    .kernarg_segment_align: 8
    .kernarg_segment_size: 136
    .language:       OpenCL C
    .language_version:
      - 2
      - 0
    .max_flat_workgroup_size: 384
    .name:           _ZN7rocprim17ROCPRIM_400000_NS6detail17trampoline_kernelINS0_14default_configENS1_25partition_config_selectorILNS1_17partition_subalgoE3EN6thrust23THRUST_200600_302600_NS5tupleIssNS7_9null_typeES9_S9_S9_S9_S9_S9_S9_EENS0_10empty_typeEbEEZZNS1_14partition_implILS5_3ELb0ES3_jNS7_6detail15normal_iteratorINS7_7pointerISA_NS7_11hip_rocprim3tagENS7_11use_defaultESJ_EEEEPSB_SM_NS0_5tupleIJPSA_SM_EEENSN_IJSM_SM_EEESB_PlJ10is_orderedEEE10hipError_tPvRmT3_T4_T5_T6_T7_T9_mT8_P12ihipStream_tbDpT10_ENKUlT_T0_E_clISt17integral_constantIbLb0EES1B_IbLb1EEEEDaS17_S18_EUlS17_E_NS1_11comp_targetILNS1_3genE9ELNS1_11target_archE1100ELNS1_3gpuE3ELNS1_3repE0EEENS1_30default_config_static_selectorELNS0_4arch9wavefront6targetE1EEEvT1_
    .private_segment_fixed_size: 0
    .sgpr_count:     4
    .sgpr_spill_count: 0
    .symbol:         _ZN7rocprim17ROCPRIM_400000_NS6detail17trampoline_kernelINS0_14default_configENS1_25partition_config_selectorILNS1_17partition_subalgoE3EN6thrust23THRUST_200600_302600_NS5tupleIssNS7_9null_typeES9_S9_S9_S9_S9_S9_S9_EENS0_10empty_typeEbEEZZNS1_14partition_implILS5_3ELb0ES3_jNS7_6detail15normal_iteratorINS7_7pointerISA_NS7_11hip_rocprim3tagENS7_11use_defaultESJ_EEEEPSB_SM_NS0_5tupleIJPSA_SM_EEENSN_IJSM_SM_EEESB_PlJ10is_orderedEEE10hipError_tPvRmT3_T4_T5_T6_T7_T9_mT8_P12ihipStream_tbDpT10_ENKUlT_T0_E_clISt17integral_constantIbLb0EES1B_IbLb1EEEEDaS17_S18_EUlS17_E_NS1_11comp_targetILNS1_3genE9ELNS1_11target_archE1100ELNS1_3gpuE3ELNS1_3repE0EEENS1_30default_config_static_selectorELNS0_4arch9wavefront6targetE1EEEvT1_.kd
    .uniform_work_group_size: 1
    .uses_dynamic_stack: false
    .vgpr_count:     0
    .vgpr_spill_count: 0
    .wavefront_size: 64
  - .agpr_count:     0
    .args:
      - .offset:         0
        .size:           136
        .value_kind:     by_value
    .group_segment_fixed_size: 0
    .kernarg_segment_align: 8
    .kernarg_segment_size: 136
    .language:       OpenCL C
    .language_version:
      - 2
      - 0
    .max_flat_workgroup_size: 512
    .name:           _ZN7rocprim17ROCPRIM_400000_NS6detail17trampoline_kernelINS0_14default_configENS1_25partition_config_selectorILNS1_17partition_subalgoE3EN6thrust23THRUST_200600_302600_NS5tupleIssNS7_9null_typeES9_S9_S9_S9_S9_S9_S9_EENS0_10empty_typeEbEEZZNS1_14partition_implILS5_3ELb0ES3_jNS7_6detail15normal_iteratorINS7_7pointerISA_NS7_11hip_rocprim3tagENS7_11use_defaultESJ_EEEEPSB_SM_NS0_5tupleIJPSA_SM_EEENSN_IJSM_SM_EEESB_PlJ10is_orderedEEE10hipError_tPvRmT3_T4_T5_T6_T7_T9_mT8_P12ihipStream_tbDpT10_ENKUlT_T0_E_clISt17integral_constantIbLb0EES1B_IbLb1EEEEDaS17_S18_EUlS17_E_NS1_11comp_targetILNS1_3genE8ELNS1_11target_archE1030ELNS1_3gpuE2ELNS1_3repE0EEENS1_30default_config_static_selectorELNS0_4arch9wavefront6targetE1EEEvT1_
    .private_segment_fixed_size: 0
    .sgpr_count:     4
    .sgpr_spill_count: 0
    .symbol:         _ZN7rocprim17ROCPRIM_400000_NS6detail17trampoline_kernelINS0_14default_configENS1_25partition_config_selectorILNS1_17partition_subalgoE3EN6thrust23THRUST_200600_302600_NS5tupleIssNS7_9null_typeES9_S9_S9_S9_S9_S9_S9_EENS0_10empty_typeEbEEZZNS1_14partition_implILS5_3ELb0ES3_jNS7_6detail15normal_iteratorINS7_7pointerISA_NS7_11hip_rocprim3tagENS7_11use_defaultESJ_EEEEPSB_SM_NS0_5tupleIJPSA_SM_EEENSN_IJSM_SM_EEESB_PlJ10is_orderedEEE10hipError_tPvRmT3_T4_T5_T6_T7_T9_mT8_P12ihipStream_tbDpT10_ENKUlT_T0_E_clISt17integral_constantIbLb0EES1B_IbLb1EEEEDaS17_S18_EUlS17_E_NS1_11comp_targetILNS1_3genE8ELNS1_11target_archE1030ELNS1_3gpuE2ELNS1_3repE0EEENS1_30default_config_static_selectorELNS0_4arch9wavefront6targetE1EEEvT1_.kd
    .uniform_work_group_size: 1
    .uses_dynamic_stack: false
    .vgpr_count:     0
    .vgpr_spill_count: 0
    .wavefront_size: 64
  - .agpr_count:     0
    .args:
      - .offset:         0
        .size:           32
        .value_kind:     by_value
      - .offset:         32
        .size:           8
        .value_kind:     by_value
      - .offset:         40
        .size:           8
        .value_kind:     by_value
    .group_segment_fixed_size: 0
    .kernarg_segment_align: 8
    .kernarg_segment_size: 48
    .language:       OpenCL C
    .language_version:
      - 2
      - 0
    .max_flat_workgroup_size: 256
    .name:           _ZN6thrust23THRUST_200600_302600_NS11hip_rocprim14__parallel_for6kernelILj256ENS1_11__transform17unary_transform_fIPNS0_5tupleIssNS0_9null_typeES7_S7_S7_S7_S7_S7_S7_EENS0_12zip_iteratorINS6_INS0_6detail15normal_iteratorINS0_10device_ptrIsEEEESF_S7_S7_S7_S7_S7_S7_S7_S7_EEEENS4_14no_stencil_tagENS0_8identityIS8_EENS4_21always_true_predicateEEElLj1EEEvT0_T1_SO_
    .private_segment_fixed_size: 0
    .sgpr_count:     16
    .sgpr_spill_count: 0
    .symbol:         _ZN6thrust23THRUST_200600_302600_NS11hip_rocprim14__parallel_for6kernelILj256ENS1_11__transform17unary_transform_fIPNS0_5tupleIssNS0_9null_typeES7_S7_S7_S7_S7_S7_S7_EENS0_12zip_iteratorINS6_INS0_6detail15normal_iteratorINS0_10device_ptrIsEEEESF_S7_S7_S7_S7_S7_S7_S7_S7_EEEENS4_14no_stencil_tagENS0_8identityIS8_EENS4_21always_true_predicateEEElLj1EEEvT0_T1_SO_.kd
    .uniform_work_group_size: 1
    .uses_dynamic_stack: false
    .vgpr_count:     7
    .vgpr_spill_count: 0
    .wavefront_size: 64
  - .agpr_count:     0
    .args:
      - .offset:         0
        .size:           136
        .value_kind:     by_value
    .group_segment_fixed_size: 0
    .kernarg_segment_align: 8
    .kernarg_segment_size: 136
    .language:       OpenCL C
    .language_version:
      - 2
      - 0
    .max_flat_workgroup_size: 128
    .name:           _ZN7rocprim17ROCPRIM_400000_NS6detail17trampoline_kernelINS0_14default_configENS1_25partition_config_selectorILNS1_17partition_subalgoE2ExNS0_10empty_typeEbEEZZNS1_14partition_implILS5_2ELb0ES3_jN6thrust23THRUST_200600_302600_NS6detail15normal_iteratorINSA_7pointerIxNSA_11hip_rocprim3tagENSA_11use_defaultESG_EEEEPS6_NSA_18transform_iteratorI10is_orderedNSA_12zip_iteratorINSA_5tupleINSC_INSA_10device_ptrIxEEEESQ_NSA_9null_typeESR_SR_SR_SR_SR_SR_SR_EEEESG_SG_EENS0_5tupleIJPxSJ_EEENSV_IJSJ_SJ_EEES6_PlJS6_EEE10hipError_tPvRmT3_T4_T5_T6_T7_T9_mT8_P12ihipStream_tbDpT10_ENKUlT_T0_E_clISt17integral_constantIbLb0EES1J_EEDaS1E_S1F_EUlS1E_E_NS1_11comp_targetILNS1_3genE0ELNS1_11target_archE4294967295ELNS1_3gpuE0ELNS1_3repE0EEENS1_30default_config_static_selectorELNS0_4arch9wavefront6targetE1EEEvT1_
    .private_segment_fixed_size: 0
    .sgpr_count:     4
    .sgpr_spill_count: 0
    .symbol:         _ZN7rocprim17ROCPRIM_400000_NS6detail17trampoline_kernelINS0_14default_configENS1_25partition_config_selectorILNS1_17partition_subalgoE2ExNS0_10empty_typeEbEEZZNS1_14partition_implILS5_2ELb0ES3_jN6thrust23THRUST_200600_302600_NS6detail15normal_iteratorINSA_7pointerIxNSA_11hip_rocprim3tagENSA_11use_defaultESG_EEEEPS6_NSA_18transform_iteratorI10is_orderedNSA_12zip_iteratorINSA_5tupleINSC_INSA_10device_ptrIxEEEESQ_NSA_9null_typeESR_SR_SR_SR_SR_SR_SR_EEEESG_SG_EENS0_5tupleIJPxSJ_EEENSV_IJSJ_SJ_EEES6_PlJS6_EEE10hipError_tPvRmT3_T4_T5_T6_T7_T9_mT8_P12ihipStream_tbDpT10_ENKUlT_T0_E_clISt17integral_constantIbLb0EES1J_EEDaS1E_S1F_EUlS1E_E_NS1_11comp_targetILNS1_3genE0ELNS1_11target_archE4294967295ELNS1_3gpuE0ELNS1_3repE0EEENS1_30default_config_static_selectorELNS0_4arch9wavefront6targetE1EEEvT1_.kd
    .uniform_work_group_size: 1
    .uses_dynamic_stack: false
    .vgpr_count:     0
    .vgpr_spill_count: 0
    .wavefront_size: 64
  - .agpr_count:     0
    .args:
      - .offset:         0
        .size:           136
        .value_kind:     by_value
    .group_segment_fixed_size: 0
    .kernarg_segment_align: 8
    .kernarg_segment_size: 136
    .language:       OpenCL C
    .language_version:
      - 2
      - 0
    .max_flat_workgroup_size: 512
    .name:           _ZN7rocprim17ROCPRIM_400000_NS6detail17trampoline_kernelINS0_14default_configENS1_25partition_config_selectorILNS1_17partition_subalgoE2ExNS0_10empty_typeEbEEZZNS1_14partition_implILS5_2ELb0ES3_jN6thrust23THRUST_200600_302600_NS6detail15normal_iteratorINSA_7pointerIxNSA_11hip_rocprim3tagENSA_11use_defaultESG_EEEEPS6_NSA_18transform_iteratorI10is_orderedNSA_12zip_iteratorINSA_5tupleINSC_INSA_10device_ptrIxEEEESQ_NSA_9null_typeESR_SR_SR_SR_SR_SR_SR_EEEESG_SG_EENS0_5tupleIJPxSJ_EEENSV_IJSJ_SJ_EEES6_PlJS6_EEE10hipError_tPvRmT3_T4_T5_T6_T7_T9_mT8_P12ihipStream_tbDpT10_ENKUlT_T0_E_clISt17integral_constantIbLb0EES1J_EEDaS1E_S1F_EUlS1E_E_NS1_11comp_targetILNS1_3genE5ELNS1_11target_archE942ELNS1_3gpuE9ELNS1_3repE0EEENS1_30default_config_static_selectorELNS0_4arch9wavefront6targetE1EEEvT1_
    .private_segment_fixed_size: 0
    .sgpr_count:     4
    .sgpr_spill_count: 0
    .symbol:         _ZN7rocprim17ROCPRIM_400000_NS6detail17trampoline_kernelINS0_14default_configENS1_25partition_config_selectorILNS1_17partition_subalgoE2ExNS0_10empty_typeEbEEZZNS1_14partition_implILS5_2ELb0ES3_jN6thrust23THRUST_200600_302600_NS6detail15normal_iteratorINSA_7pointerIxNSA_11hip_rocprim3tagENSA_11use_defaultESG_EEEEPS6_NSA_18transform_iteratorI10is_orderedNSA_12zip_iteratorINSA_5tupleINSC_INSA_10device_ptrIxEEEESQ_NSA_9null_typeESR_SR_SR_SR_SR_SR_SR_EEEESG_SG_EENS0_5tupleIJPxSJ_EEENSV_IJSJ_SJ_EEES6_PlJS6_EEE10hipError_tPvRmT3_T4_T5_T6_T7_T9_mT8_P12ihipStream_tbDpT10_ENKUlT_T0_E_clISt17integral_constantIbLb0EES1J_EEDaS1E_S1F_EUlS1E_E_NS1_11comp_targetILNS1_3genE5ELNS1_11target_archE942ELNS1_3gpuE9ELNS1_3repE0EEENS1_30default_config_static_selectorELNS0_4arch9wavefront6targetE1EEEvT1_.kd
    .uniform_work_group_size: 1
    .uses_dynamic_stack: false
    .vgpr_count:     0
    .vgpr_spill_count: 0
    .wavefront_size: 64
  - .agpr_count:     0
    .args:
      - .offset:         0
        .size:           136
        .value_kind:     by_value
    .group_segment_fixed_size: 6344
    .kernarg_segment_align: 8
    .kernarg_segment_size: 136
    .language:       OpenCL C
    .language_version:
      - 2
      - 0
    .max_flat_workgroup_size: 192
    .name:           _ZN7rocprim17ROCPRIM_400000_NS6detail17trampoline_kernelINS0_14default_configENS1_25partition_config_selectorILNS1_17partition_subalgoE2ExNS0_10empty_typeEbEEZZNS1_14partition_implILS5_2ELb0ES3_jN6thrust23THRUST_200600_302600_NS6detail15normal_iteratorINSA_7pointerIxNSA_11hip_rocprim3tagENSA_11use_defaultESG_EEEEPS6_NSA_18transform_iteratorI10is_orderedNSA_12zip_iteratorINSA_5tupleINSC_INSA_10device_ptrIxEEEESQ_NSA_9null_typeESR_SR_SR_SR_SR_SR_SR_EEEESG_SG_EENS0_5tupleIJPxSJ_EEENSV_IJSJ_SJ_EEES6_PlJS6_EEE10hipError_tPvRmT3_T4_T5_T6_T7_T9_mT8_P12ihipStream_tbDpT10_ENKUlT_T0_E_clISt17integral_constantIbLb0EES1J_EEDaS1E_S1F_EUlS1E_E_NS1_11comp_targetILNS1_3genE4ELNS1_11target_archE910ELNS1_3gpuE8ELNS1_3repE0EEENS1_30default_config_static_selectorELNS0_4arch9wavefront6targetE1EEEvT1_
    .private_segment_fixed_size: 0
    .sgpr_count:     50
    .sgpr_spill_count: 0
    .symbol:         _ZN7rocprim17ROCPRIM_400000_NS6detail17trampoline_kernelINS0_14default_configENS1_25partition_config_selectorILNS1_17partition_subalgoE2ExNS0_10empty_typeEbEEZZNS1_14partition_implILS5_2ELb0ES3_jN6thrust23THRUST_200600_302600_NS6detail15normal_iteratorINSA_7pointerIxNSA_11hip_rocprim3tagENSA_11use_defaultESG_EEEEPS6_NSA_18transform_iteratorI10is_orderedNSA_12zip_iteratorINSA_5tupleINSC_INSA_10device_ptrIxEEEESQ_NSA_9null_typeESR_SR_SR_SR_SR_SR_SR_EEEESG_SG_EENS0_5tupleIJPxSJ_EEENSV_IJSJ_SJ_EEES6_PlJS6_EEE10hipError_tPvRmT3_T4_T5_T6_T7_T9_mT8_P12ihipStream_tbDpT10_ENKUlT_T0_E_clISt17integral_constantIbLb0EES1J_EEDaS1E_S1F_EUlS1E_E_NS1_11comp_targetILNS1_3genE4ELNS1_11target_archE910ELNS1_3gpuE8ELNS1_3repE0EEENS1_30default_config_static_selectorELNS0_4arch9wavefront6targetE1EEEvT1_.kd
    .uniform_work_group_size: 1
    .uses_dynamic_stack: false
    .vgpr_count:     43
    .vgpr_spill_count: 0
    .wavefront_size: 64
  - .agpr_count:     0
    .args:
      - .offset:         0
        .size:           136
        .value_kind:     by_value
    .group_segment_fixed_size: 0
    .kernarg_segment_align: 8
    .kernarg_segment_size: 136
    .language:       OpenCL C
    .language_version:
      - 2
      - 0
    .max_flat_workgroup_size: 128
    .name:           _ZN7rocprim17ROCPRIM_400000_NS6detail17trampoline_kernelINS0_14default_configENS1_25partition_config_selectorILNS1_17partition_subalgoE2ExNS0_10empty_typeEbEEZZNS1_14partition_implILS5_2ELb0ES3_jN6thrust23THRUST_200600_302600_NS6detail15normal_iteratorINSA_7pointerIxNSA_11hip_rocprim3tagENSA_11use_defaultESG_EEEEPS6_NSA_18transform_iteratorI10is_orderedNSA_12zip_iteratorINSA_5tupleINSC_INSA_10device_ptrIxEEEESQ_NSA_9null_typeESR_SR_SR_SR_SR_SR_SR_EEEESG_SG_EENS0_5tupleIJPxSJ_EEENSV_IJSJ_SJ_EEES6_PlJS6_EEE10hipError_tPvRmT3_T4_T5_T6_T7_T9_mT8_P12ihipStream_tbDpT10_ENKUlT_T0_E_clISt17integral_constantIbLb0EES1J_EEDaS1E_S1F_EUlS1E_E_NS1_11comp_targetILNS1_3genE3ELNS1_11target_archE908ELNS1_3gpuE7ELNS1_3repE0EEENS1_30default_config_static_selectorELNS0_4arch9wavefront6targetE1EEEvT1_
    .private_segment_fixed_size: 0
    .sgpr_count:     4
    .sgpr_spill_count: 0
    .symbol:         _ZN7rocprim17ROCPRIM_400000_NS6detail17trampoline_kernelINS0_14default_configENS1_25partition_config_selectorILNS1_17partition_subalgoE2ExNS0_10empty_typeEbEEZZNS1_14partition_implILS5_2ELb0ES3_jN6thrust23THRUST_200600_302600_NS6detail15normal_iteratorINSA_7pointerIxNSA_11hip_rocprim3tagENSA_11use_defaultESG_EEEEPS6_NSA_18transform_iteratorI10is_orderedNSA_12zip_iteratorINSA_5tupleINSC_INSA_10device_ptrIxEEEESQ_NSA_9null_typeESR_SR_SR_SR_SR_SR_SR_EEEESG_SG_EENS0_5tupleIJPxSJ_EEENSV_IJSJ_SJ_EEES6_PlJS6_EEE10hipError_tPvRmT3_T4_T5_T6_T7_T9_mT8_P12ihipStream_tbDpT10_ENKUlT_T0_E_clISt17integral_constantIbLb0EES1J_EEDaS1E_S1F_EUlS1E_E_NS1_11comp_targetILNS1_3genE3ELNS1_11target_archE908ELNS1_3gpuE7ELNS1_3repE0EEENS1_30default_config_static_selectorELNS0_4arch9wavefront6targetE1EEEvT1_.kd
    .uniform_work_group_size: 1
    .uses_dynamic_stack: false
    .vgpr_count:     0
    .vgpr_spill_count: 0
    .wavefront_size: 64
  - .agpr_count:     0
    .args:
      - .offset:         0
        .size:           136
        .value_kind:     by_value
    .group_segment_fixed_size: 0
    .kernarg_segment_align: 8
    .kernarg_segment_size: 136
    .language:       OpenCL C
    .language_version:
      - 2
      - 0
    .max_flat_workgroup_size: 256
    .name:           _ZN7rocprim17ROCPRIM_400000_NS6detail17trampoline_kernelINS0_14default_configENS1_25partition_config_selectorILNS1_17partition_subalgoE2ExNS0_10empty_typeEbEEZZNS1_14partition_implILS5_2ELb0ES3_jN6thrust23THRUST_200600_302600_NS6detail15normal_iteratorINSA_7pointerIxNSA_11hip_rocprim3tagENSA_11use_defaultESG_EEEEPS6_NSA_18transform_iteratorI10is_orderedNSA_12zip_iteratorINSA_5tupleINSC_INSA_10device_ptrIxEEEESQ_NSA_9null_typeESR_SR_SR_SR_SR_SR_SR_EEEESG_SG_EENS0_5tupleIJPxSJ_EEENSV_IJSJ_SJ_EEES6_PlJS6_EEE10hipError_tPvRmT3_T4_T5_T6_T7_T9_mT8_P12ihipStream_tbDpT10_ENKUlT_T0_E_clISt17integral_constantIbLb0EES1J_EEDaS1E_S1F_EUlS1E_E_NS1_11comp_targetILNS1_3genE2ELNS1_11target_archE906ELNS1_3gpuE6ELNS1_3repE0EEENS1_30default_config_static_selectorELNS0_4arch9wavefront6targetE1EEEvT1_
    .private_segment_fixed_size: 0
    .sgpr_count:     4
    .sgpr_spill_count: 0
    .symbol:         _ZN7rocprim17ROCPRIM_400000_NS6detail17trampoline_kernelINS0_14default_configENS1_25partition_config_selectorILNS1_17partition_subalgoE2ExNS0_10empty_typeEbEEZZNS1_14partition_implILS5_2ELb0ES3_jN6thrust23THRUST_200600_302600_NS6detail15normal_iteratorINSA_7pointerIxNSA_11hip_rocprim3tagENSA_11use_defaultESG_EEEEPS6_NSA_18transform_iteratorI10is_orderedNSA_12zip_iteratorINSA_5tupleINSC_INSA_10device_ptrIxEEEESQ_NSA_9null_typeESR_SR_SR_SR_SR_SR_SR_EEEESG_SG_EENS0_5tupleIJPxSJ_EEENSV_IJSJ_SJ_EEES6_PlJS6_EEE10hipError_tPvRmT3_T4_T5_T6_T7_T9_mT8_P12ihipStream_tbDpT10_ENKUlT_T0_E_clISt17integral_constantIbLb0EES1J_EEDaS1E_S1F_EUlS1E_E_NS1_11comp_targetILNS1_3genE2ELNS1_11target_archE906ELNS1_3gpuE6ELNS1_3repE0EEENS1_30default_config_static_selectorELNS0_4arch9wavefront6targetE1EEEvT1_.kd
    .uniform_work_group_size: 1
    .uses_dynamic_stack: false
    .vgpr_count:     0
    .vgpr_spill_count: 0
    .wavefront_size: 64
  - .agpr_count:     0
    .args:
      - .offset:         0
        .size:           136
        .value_kind:     by_value
    .group_segment_fixed_size: 0
    .kernarg_segment_align: 8
    .kernarg_segment_size: 136
    .language:       OpenCL C
    .language_version:
      - 2
      - 0
    .max_flat_workgroup_size: 256
    .name:           _ZN7rocprim17ROCPRIM_400000_NS6detail17trampoline_kernelINS0_14default_configENS1_25partition_config_selectorILNS1_17partition_subalgoE2ExNS0_10empty_typeEbEEZZNS1_14partition_implILS5_2ELb0ES3_jN6thrust23THRUST_200600_302600_NS6detail15normal_iteratorINSA_7pointerIxNSA_11hip_rocprim3tagENSA_11use_defaultESG_EEEEPS6_NSA_18transform_iteratorI10is_orderedNSA_12zip_iteratorINSA_5tupleINSC_INSA_10device_ptrIxEEEESQ_NSA_9null_typeESR_SR_SR_SR_SR_SR_SR_EEEESG_SG_EENS0_5tupleIJPxSJ_EEENSV_IJSJ_SJ_EEES6_PlJS6_EEE10hipError_tPvRmT3_T4_T5_T6_T7_T9_mT8_P12ihipStream_tbDpT10_ENKUlT_T0_E_clISt17integral_constantIbLb0EES1J_EEDaS1E_S1F_EUlS1E_E_NS1_11comp_targetILNS1_3genE10ELNS1_11target_archE1200ELNS1_3gpuE4ELNS1_3repE0EEENS1_30default_config_static_selectorELNS0_4arch9wavefront6targetE1EEEvT1_
    .private_segment_fixed_size: 0
    .sgpr_count:     4
    .sgpr_spill_count: 0
    .symbol:         _ZN7rocprim17ROCPRIM_400000_NS6detail17trampoline_kernelINS0_14default_configENS1_25partition_config_selectorILNS1_17partition_subalgoE2ExNS0_10empty_typeEbEEZZNS1_14partition_implILS5_2ELb0ES3_jN6thrust23THRUST_200600_302600_NS6detail15normal_iteratorINSA_7pointerIxNSA_11hip_rocprim3tagENSA_11use_defaultESG_EEEEPS6_NSA_18transform_iteratorI10is_orderedNSA_12zip_iteratorINSA_5tupleINSC_INSA_10device_ptrIxEEEESQ_NSA_9null_typeESR_SR_SR_SR_SR_SR_SR_EEEESG_SG_EENS0_5tupleIJPxSJ_EEENSV_IJSJ_SJ_EEES6_PlJS6_EEE10hipError_tPvRmT3_T4_T5_T6_T7_T9_mT8_P12ihipStream_tbDpT10_ENKUlT_T0_E_clISt17integral_constantIbLb0EES1J_EEDaS1E_S1F_EUlS1E_E_NS1_11comp_targetILNS1_3genE10ELNS1_11target_archE1200ELNS1_3gpuE4ELNS1_3repE0EEENS1_30default_config_static_selectorELNS0_4arch9wavefront6targetE1EEEvT1_.kd
    .uniform_work_group_size: 1
    .uses_dynamic_stack: false
    .vgpr_count:     0
    .vgpr_spill_count: 0
    .wavefront_size: 64
  - .agpr_count:     0
    .args:
      - .offset:         0
        .size:           136
        .value_kind:     by_value
    .group_segment_fixed_size: 0
    .kernarg_segment_align: 8
    .kernarg_segment_size: 136
    .language:       OpenCL C
    .language_version:
      - 2
      - 0
    .max_flat_workgroup_size: 512
    .name:           _ZN7rocprim17ROCPRIM_400000_NS6detail17trampoline_kernelINS0_14default_configENS1_25partition_config_selectorILNS1_17partition_subalgoE2ExNS0_10empty_typeEbEEZZNS1_14partition_implILS5_2ELb0ES3_jN6thrust23THRUST_200600_302600_NS6detail15normal_iteratorINSA_7pointerIxNSA_11hip_rocprim3tagENSA_11use_defaultESG_EEEEPS6_NSA_18transform_iteratorI10is_orderedNSA_12zip_iteratorINSA_5tupleINSC_INSA_10device_ptrIxEEEESQ_NSA_9null_typeESR_SR_SR_SR_SR_SR_SR_EEEESG_SG_EENS0_5tupleIJPxSJ_EEENSV_IJSJ_SJ_EEES6_PlJS6_EEE10hipError_tPvRmT3_T4_T5_T6_T7_T9_mT8_P12ihipStream_tbDpT10_ENKUlT_T0_E_clISt17integral_constantIbLb0EES1J_EEDaS1E_S1F_EUlS1E_E_NS1_11comp_targetILNS1_3genE9ELNS1_11target_archE1100ELNS1_3gpuE3ELNS1_3repE0EEENS1_30default_config_static_selectorELNS0_4arch9wavefront6targetE1EEEvT1_
    .private_segment_fixed_size: 0
    .sgpr_count:     4
    .sgpr_spill_count: 0
    .symbol:         _ZN7rocprim17ROCPRIM_400000_NS6detail17trampoline_kernelINS0_14default_configENS1_25partition_config_selectorILNS1_17partition_subalgoE2ExNS0_10empty_typeEbEEZZNS1_14partition_implILS5_2ELb0ES3_jN6thrust23THRUST_200600_302600_NS6detail15normal_iteratorINSA_7pointerIxNSA_11hip_rocprim3tagENSA_11use_defaultESG_EEEEPS6_NSA_18transform_iteratorI10is_orderedNSA_12zip_iteratorINSA_5tupleINSC_INSA_10device_ptrIxEEEESQ_NSA_9null_typeESR_SR_SR_SR_SR_SR_SR_EEEESG_SG_EENS0_5tupleIJPxSJ_EEENSV_IJSJ_SJ_EEES6_PlJS6_EEE10hipError_tPvRmT3_T4_T5_T6_T7_T9_mT8_P12ihipStream_tbDpT10_ENKUlT_T0_E_clISt17integral_constantIbLb0EES1J_EEDaS1E_S1F_EUlS1E_E_NS1_11comp_targetILNS1_3genE9ELNS1_11target_archE1100ELNS1_3gpuE3ELNS1_3repE0EEENS1_30default_config_static_selectorELNS0_4arch9wavefront6targetE1EEEvT1_.kd
    .uniform_work_group_size: 1
    .uses_dynamic_stack: false
    .vgpr_count:     0
    .vgpr_spill_count: 0
    .wavefront_size: 64
  - .agpr_count:     0
    .args:
      - .offset:         0
        .size:           136
        .value_kind:     by_value
    .group_segment_fixed_size: 0
    .kernarg_segment_align: 8
    .kernarg_segment_size: 136
    .language:       OpenCL C
    .language_version:
      - 2
      - 0
    .max_flat_workgroup_size: 512
    .name:           _ZN7rocprim17ROCPRIM_400000_NS6detail17trampoline_kernelINS0_14default_configENS1_25partition_config_selectorILNS1_17partition_subalgoE2ExNS0_10empty_typeEbEEZZNS1_14partition_implILS5_2ELb0ES3_jN6thrust23THRUST_200600_302600_NS6detail15normal_iteratorINSA_7pointerIxNSA_11hip_rocprim3tagENSA_11use_defaultESG_EEEEPS6_NSA_18transform_iteratorI10is_orderedNSA_12zip_iteratorINSA_5tupleINSC_INSA_10device_ptrIxEEEESQ_NSA_9null_typeESR_SR_SR_SR_SR_SR_SR_EEEESG_SG_EENS0_5tupleIJPxSJ_EEENSV_IJSJ_SJ_EEES6_PlJS6_EEE10hipError_tPvRmT3_T4_T5_T6_T7_T9_mT8_P12ihipStream_tbDpT10_ENKUlT_T0_E_clISt17integral_constantIbLb0EES1J_EEDaS1E_S1F_EUlS1E_E_NS1_11comp_targetILNS1_3genE8ELNS1_11target_archE1030ELNS1_3gpuE2ELNS1_3repE0EEENS1_30default_config_static_selectorELNS0_4arch9wavefront6targetE1EEEvT1_
    .private_segment_fixed_size: 0
    .sgpr_count:     4
    .sgpr_spill_count: 0
    .symbol:         _ZN7rocprim17ROCPRIM_400000_NS6detail17trampoline_kernelINS0_14default_configENS1_25partition_config_selectorILNS1_17partition_subalgoE2ExNS0_10empty_typeEbEEZZNS1_14partition_implILS5_2ELb0ES3_jN6thrust23THRUST_200600_302600_NS6detail15normal_iteratorINSA_7pointerIxNSA_11hip_rocprim3tagENSA_11use_defaultESG_EEEEPS6_NSA_18transform_iteratorI10is_orderedNSA_12zip_iteratorINSA_5tupleINSC_INSA_10device_ptrIxEEEESQ_NSA_9null_typeESR_SR_SR_SR_SR_SR_SR_EEEESG_SG_EENS0_5tupleIJPxSJ_EEENSV_IJSJ_SJ_EEES6_PlJS6_EEE10hipError_tPvRmT3_T4_T5_T6_T7_T9_mT8_P12ihipStream_tbDpT10_ENKUlT_T0_E_clISt17integral_constantIbLb0EES1J_EEDaS1E_S1F_EUlS1E_E_NS1_11comp_targetILNS1_3genE8ELNS1_11target_archE1030ELNS1_3gpuE2ELNS1_3repE0EEENS1_30default_config_static_selectorELNS0_4arch9wavefront6targetE1EEEvT1_.kd
    .uniform_work_group_size: 1
    .uses_dynamic_stack: false
    .vgpr_count:     0
    .vgpr_spill_count: 0
    .wavefront_size: 64
  - .agpr_count:     0
    .args:
      - .offset:         0
        .size:           152
        .value_kind:     by_value
    .group_segment_fixed_size: 0
    .kernarg_segment_align: 8
    .kernarg_segment_size: 152
    .language:       OpenCL C
    .language_version:
      - 2
      - 0
    .max_flat_workgroup_size: 128
    .name:           _ZN7rocprim17ROCPRIM_400000_NS6detail17trampoline_kernelINS0_14default_configENS1_25partition_config_selectorILNS1_17partition_subalgoE2ExNS0_10empty_typeEbEEZZNS1_14partition_implILS5_2ELb0ES3_jN6thrust23THRUST_200600_302600_NS6detail15normal_iteratorINSA_7pointerIxNSA_11hip_rocprim3tagENSA_11use_defaultESG_EEEEPS6_NSA_18transform_iteratorI10is_orderedNSA_12zip_iteratorINSA_5tupleINSC_INSA_10device_ptrIxEEEESQ_NSA_9null_typeESR_SR_SR_SR_SR_SR_SR_EEEESG_SG_EENS0_5tupleIJPxSJ_EEENSV_IJSJ_SJ_EEES6_PlJS6_EEE10hipError_tPvRmT3_T4_T5_T6_T7_T9_mT8_P12ihipStream_tbDpT10_ENKUlT_T0_E_clISt17integral_constantIbLb1EES1J_EEDaS1E_S1F_EUlS1E_E_NS1_11comp_targetILNS1_3genE0ELNS1_11target_archE4294967295ELNS1_3gpuE0ELNS1_3repE0EEENS1_30default_config_static_selectorELNS0_4arch9wavefront6targetE1EEEvT1_
    .private_segment_fixed_size: 0
    .sgpr_count:     4
    .sgpr_spill_count: 0
    .symbol:         _ZN7rocprim17ROCPRIM_400000_NS6detail17trampoline_kernelINS0_14default_configENS1_25partition_config_selectorILNS1_17partition_subalgoE2ExNS0_10empty_typeEbEEZZNS1_14partition_implILS5_2ELb0ES3_jN6thrust23THRUST_200600_302600_NS6detail15normal_iteratorINSA_7pointerIxNSA_11hip_rocprim3tagENSA_11use_defaultESG_EEEEPS6_NSA_18transform_iteratorI10is_orderedNSA_12zip_iteratorINSA_5tupleINSC_INSA_10device_ptrIxEEEESQ_NSA_9null_typeESR_SR_SR_SR_SR_SR_SR_EEEESG_SG_EENS0_5tupleIJPxSJ_EEENSV_IJSJ_SJ_EEES6_PlJS6_EEE10hipError_tPvRmT3_T4_T5_T6_T7_T9_mT8_P12ihipStream_tbDpT10_ENKUlT_T0_E_clISt17integral_constantIbLb1EES1J_EEDaS1E_S1F_EUlS1E_E_NS1_11comp_targetILNS1_3genE0ELNS1_11target_archE4294967295ELNS1_3gpuE0ELNS1_3repE0EEENS1_30default_config_static_selectorELNS0_4arch9wavefront6targetE1EEEvT1_.kd
    .uniform_work_group_size: 1
    .uses_dynamic_stack: false
    .vgpr_count:     0
    .vgpr_spill_count: 0
    .wavefront_size: 64
  - .agpr_count:     0
    .args:
      - .offset:         0
        .size:           152
        .value_kind:     by_value
    .group_segment_fixed_size: 0
    .kernarg_segment_align: 8
    .kernarg_segment_size: 152
    .language:       OpenCL C
    .language_version:
      - 2
      - 0
    .max_flat_workgroup_size: 512
    .name:           _ZN7rocprim17ROCPRIM_400000_NS6detail17trampoline_kernelINS0_14default_configENS1_25partition_config_selectorILNS1_17partition_subalgoE2ExNS0_10empty_typeEbEEZZNS1_14partition_implILS5_2ELb0ES3_jN6thrust23THRUST_200600_302600_NS6detail15normal_iteratorINSA_7pointerIxNSA_11hip_rocprim3tagENSA_11use_defaultESG_EEEEPS6_NSA_18transform_iteratorI10is_orderedNSA_12zip_iteratorINSA_5tupleINSC_INSA_10device_ptrIxEEEESQ_NSA_9null_typeESR_SR_SR_SR_SR_SR_SR_EEEESG_SG_EENS0_5tupleIJPxSJ_EEENSV_IJSJ_SJ_EEES6_PlJS6_EEE10hipError_tPvRmT3_T4_T5_T6_T7_T9_mT8_P12ihipStream_tbDpT10_ENKUlT_T0_E_clISt17integral_constantIbLb1EES1J_EEDaS1E_S1F_EUlS1E_E_NS1_11comp_targetILNS1_3genE5ELNS1_11target_archE942ELNS1_3gpuE9ELNS1_3repE0EEENS1_30default_config_static_selectorELNS0_4arch9wavefront6targetE1EEEvT1_
    .private_segment_fixed_size: 0
    .sgpr_count:     4
    .sgpr_spill_count: 0
    .symbol:         _ZN7rocprim17ROCPRIM_400000_NS6detail17trampoline_kernelINS0_14default_configENS1_25partition_config_selectorILNS1_17partition_subalgoE2ExNS0_10empty_typeEbEEZZNS1_14partition_implILS5_2ELb0ES3_jN6thrust23THRUST_200600_302600_NS6detail15normal_iteratorINSA_7pointerIxNSA_11hip_rocprim3tagENSA_11use_defaultESG_EEEEPS6_NSA_18transform_iteratorI10is_orderedNSA_12zip_iteratorINSA_5tupleINSC_INSA_10device_ptrIxEEEESQ_NSA_9null_typeESR_SR_SR_SR_SR_SR_SR_EEEESG_SG_EENS0_5tupleIJPxSJ_EEENSV_IJSJ_SJ_EEES6_PlJS6_EEE10hipError_tPvRmT3_T4_T5_T6_T7_T9_mT8_P12ihipStream_tbDpT10_ENKUlT_T0_E_clISt17integral_constantIbLb1EES1J_EEDaS1E_S1F_EUlS1E_E_NS1_11comp_targetILNS1_3genE5ELNS1_11target_archE942ELNS1_3gpuE9ELNS1_3repE0EEENS1_30default_config_static_selectorELNS0_4arch9wavefront6targetE1EEEvT1_.kd
    .uniform_work_group_size: 1
    .uses_dynamic_stack: false
    .vgpr_count:     0
    .vgpr_spill_count: 0
    .wavefront_size: 64
  - .agpr_count:     0
    .args:
      - .offset:         0
        .size:           152
        .value_kind:     by_value
    .group_segment_fixed_size: 6344
    .kernarg_segment_align: 8
    .kernarg_segment_size: 152
    .language:       OpenCL C
    .language_version:
      - 2
      - 0
    .max_flat_workgroup_size: 192
    .name:           _ZN7rocprim17ROCPRIM_400000_NS6detail17trampoline_kernelINS0_14default_configENS1_25partition_config_selectorILNS1_17partition_subalgoE2ExNS0_10empty_typeEbEEZZNS1_14partition_implILS5_2ELb0ES3_jN6thrust23THRUST_200600_302600_NS6detail15normal_iteratorINSA_7pointerIxNSA_11hip_rocprim3tagENSA_11use_defaultESG_EEEEPS6_NSA_18transform_iteratorI10is_orderedNSA_12zip_iteratorINSA_5tupleINSC_INSA_10device_ptrIxEEEESQ_NSA_9null_typeESR_SR_SR_SR_SR_SR_SR_EEEESG_SG_EENS0_5tupleIJPxSJ_EEENSV_IJSJ_SJ_EEES6_PlJS6_EEE10hipError_tPvRmT3_T4_T5_T6_T7_T9_mT8_P12ihipStream_tbDpT10_ENKUlT_T0_E_clISt17integral_constantIbLb1EES1J_EEDaS1E_S1F_EUlS1E_E_NS1_11comp_targetILNS1_3genE4ELNS1_11target_archE910ELNS1_3gpuE8ELNS1_3repE0EEENS1_30default_config_static_selectorELNS0_4arch9wavefront6targetE1EEEvT1_
    .private_segment_fixed_size: 0
    .sgpr_count:     50
    .sgpr_spill_count: 0
    .symbol:         _ZN7rocprim17ROCPRIM_400000_NS6detail17trampoline_kernelINS0_14default_configENS1_25partition_config_selectorILNS1_17partition_subalgoE2ExNS0_10empty_typeEbEEZZNS1_14partition_implILS5_2ELb0ES3_jN6thrust23THRUST_200600_302600_NS6detail15normal_iteratorINSA_7pointerIxNSA_11hip_rocprim3tagENSA_11use_defaultESG_EEEEPS6_NSA_18transform_iteratorI10is_orderedNSA_12zip_iteratorINSA_5tupleINSC_INSA_10device_ptrIxEEEESQ_NSA_9null_typeESR_SR_SR_SR_SR_SR_SR_EEEESG_SG_EENS0_5tupleIJPxSJ_EEENSV_IJSJ_SJ_EEES6_PlJS6_EEE10hipError_tPvRmT3_T4_T5_T6_T7_T9_mT8_P12ihipStream_tbDpT10_ENKUlT_T0_E_clISt17integral_constantIbLb1EES1J_EEDaS1E_S1F_EUlS1E_E_NS1_11comp_targetILNS1_3genE4ELNS1_11target_archE910ELNS1_3gpuE8ELNS1_3repE0EEENS1_30default_config_static_selectorELNS0_4arch9wavefront6targetE1EEEvT1_.kd
    .uniform_work_group_size: 1
    .uses_dynamic_stack: false
    .vgpr_count:     45
    .vgpr_spill_count: 0
    .wavefront_size: 64
  - .agpr_count:     0
    .args:
      - .offset:         0
        .size:           152
        .value_kind:     by_value
    .group_segment_fixed_size: 0
    .kernarg_segment_align: 8
    .kernarg_segment_size: 152
    .language:       OpenCL C
    .language_version:
      - 2
      - 0
    .max_flat_workgroup_size: 128
    .name:           _ZN7rocprim17ROCPRIM_400000_NS6detail17trampoline_kernelINS0_14default_configENS1_25partition_config_selectorILNS1_17partition_subalgoE2ExNS0_10empty_typeEbEEZZNS1_14partition_implILS5_2ELb0ES3_jN6thrust23THRUST_200600_302600_NS6detail15normal_iteratorINSA_7pointerIxNSA_11hip_rocprim3tagENSA_11use_defaultESG_EEEEPS6_NSA_18transform_iteratorI10is_orderedNSA_12zip_iteratorINSA_5tupleINSC_INSA_10device_ptrIxEEEESQ_NSA_9null_typeESR_SR_SR_SR_SR_SR_SR_EEEESG_SG_EENS0_5tupleIJPxSJ_EEENSV_IJSJ_SJ_EEES6_PlJS6_EEE10hipError_tPvRmT3_T4_T5_T6_T7_T9_mT8_P12ihipStream_tbDpT10_ENKUlT_T0_E_clISt17integral_constantIbLb1EES1J_EEDaS1E_S1F_EUlS1E_E_NS1_11comp_targetILNS1_3genE3ELNS1_11target_archE908ELNS1_3gpuE7ELNS1_3repE0EEENS1_30default_config_static_selectorELNS0_4arch9wavefront6targetE1EEEvT1_
    .private_segment_fixed_size: 0
    .sgpr_count:     4
    .sgpr_spill_count: 0
    .symbol:         _ZN7rocprim17ROCPRIM_400000_NS6detail17trampoline_kernelINS0_14default_configENS1_25partition_config_selectorILNS1_17partition_subalgoE2ExNS0_10empty_typeEbEEZZNS1_14partition_implILS5_2ELb0ES3_jN6thrust23THRUST_200600_302600_NS6detail15normal_iteratorINSA_7pointerIxNSA_11hip_rocprim3tagENSA_11use_defaultESG_EEEEPS6_NSA_18transform_iteratorI10is_orderedNSA_12zip_iteratorINSA_5tupleINSC_INSA_10device_ptrIxEEEESQ_NSA_9null_typeESR_SR_SR_SR_SR_SR_SR_EEEESG_SG_EENS0_5tupleIJPxSJ_EEENSV_IJSJ_SJ_EEES6_PlJS6_EEE10hipError_tPvRmT3_T4_T5_T6_T7_T9_mT8_P12ihipStream_tbDpT10_ENKUlT_T0_E_clISt17integral_constantIbLb1EES1J_EEDaS1E_S1F_EUlS1E_E_NS1_11comp_targetILNS1_3genE3ELNS1_11target_archE908ELNS1_3gpuE7ELNS1_3repE0EEENS1_30default_config_static_selectorELNS0_4arch9wavefront6targetE1EEEvT1_.kd
    .uniform_work_group_size: 1
    .uses_dynamic_stack: false
    .vgpr_count:     0
    .vgpr_spill_count: 0
    .wavefront_size: 64
  - .agpr_count:     0
    .args:
      - .offset:         0
        .size:           152
        .value_kind:     by_value
    .group_segment_fixed_size: 0
    .kernarg_segment_align: 8
    .kernarg_segment_size: 152
    .language:       OpenCL C
    .language_version:
      - 2
      - 0
    .max_flat_workgroup_size: 256
    .name:           _ZN7rocprim17ROCPRIM_400000_NS6detail17trampoline_kernelINS0_14default_configENS1_25partition_config_selectorILNS1_17partition_subalgoE2ExNS0_10empty_typeEbEEZZNS1_14partition_implILS5_2ELb0ES3_jN6thrust23THRUST_200600_302600_NS6detail15normal_iteratorINSA_7pointerIxNSA_11hip_rocprim3tagENSA_11use_defaultESG_EEEEPS6_NSA_18transform_iteratorI10is_orderedNSA_12zip_iteratorINSA_5tupleINSC_INSA_10device_ptrIxEEEESQ_NSA_9null_typeESR_SR_SR_SR_SR_SR_SR_EEEESG_SG_EENS0_5tupleIJPxSJ_EEENSV_IJSJ_SJ_EEES6_PlJS6_EEE10hipError_tPvRmT3_T4_T5_T6_T7_T9_mT8_P12ihipStream_tbDpT10_ENKUlT_T0_E_clISt17integral_constantIbLb1EES1J_EEDaS1E_S1F_EUlS1E_E_NS1_11comp_targetILNS1_3genE2ELNS1_11target_archE906ELNS1_3gpuE6ELNS1_3repE0EEENS1_30default_config_static_selectorELNS0_4arch9wavefront6targetE1EEEvT1_
    .private_segment_fixed_size: 0
    .sgpr_count:     4
    .sgpr_spill_count: 0
    .symbol:         _ZN7rocprim17ROCPRIM_400000_NS6detail17trampoline_kernelINS0_14default_configENS1_25partition_config_selectorILNS1_17partition_subalgoE2ExNS0_10empty_typeEbEEZZNS1_14partition_implILS5_2ELb0ES3_jN6thrust23THRUST_200600_302600_NS6detail15normal_iteratorINSA_7pointerIxNSA_11hip_rocprim3tagENSA_11use_defaultESG_EEEEPS6_NSA_18transform_iteratorI10is_orderedNSA_12zip_iteratorINSA_5tupleINSC_INSA_10device_ptrIxEEEESQ_NSA_9null_typeESR_SR_SR_SR_SR_SR_SR_EEEESG_SG_EENS0_5tupleIJPxSJ_EEENSV_IJSJ_SJ_EEES6_PlJS6_EEE10hipError_tPvRmT3_T4_T5_T6_T7_T9_mT8_P12ihipStream_tbDpT10_ENKUlT_T0_E_clISt17integral_constantIbLb1EES1J_EEDaS1E_S1F_EUlS1E_E_NS1_11comp_targetILNS1_3genE2ELNS1_11target_archE906ELNS1_3gpuE6ELNS1_3repE0EEENS1_30default_config_static_selectorELNS0_4arch9wavefront6targetE1EEEvT1_.kd
    .uniform_work_group_size: 1
    .uses_dynamic_stack: false
    .vgpr_count:     0
    .vgpr_spill_count: 0
    .wavefront_size: 64
  - .agpr_count:     0
    .args:
      - .offset:         0
        .size:           152
        .value_kind:     by_value
    .group_segment_fixed_size: 0
    .kernarg_segment_align: 8
    .kernarg_segment_size: 152
    .language:       OpenCL C
    .language_version:
      - 2
      - 0
    .max_flat_workgroup_size: 256
    .name:           _ZN7rocprim17ROCPRIM_400000_NS6detail17trampoline_kernelINS0_14default_configENS1_25partition_config_selectorILNS1_17partition_subalgoE2ExNS0_10empty_typeEbEEZZNS1_14partition_implILS5_2ELb0ES3_jN6thrust23THRUST_200600_302600_NS6detail15normal_iteratorINSA_7pointerIxNSA_11hip_rocprim3tagENSA_11use_defaultESG_EEEEPS6_NSA_18transform_iteratorI10is_orderedNSA_12zip_iteratorINSA_5tupleINSC_INSA_10device_ptrIxEEEESQ_NSA_9null_typeESR_SR_SR_SR_SR_SR_SR_EEEESG_SG_EENS0_5tupleIJPxSJ_EEENSV_IJSJ_SJ_EEES6_PlJS6_EEE10hipError_tPvRmT3_T4_T5_T6_T7_T9_mT8_P12ihipStream_tbDpT10_ENKUlT_T0_E_clISt17integral_constantIbLb1EES1J_EEDaS1E_S1F_EUlS1E_E_NS1_11comp_targetILNS1_3genE10ELNS1_11target_archE1200ELNS1_3gpuE4ELNS1_3repE0EEENS1_30default_config_static_selectorELNS0_4arch9wavefront6targetE1EEEvT1_
    .private_segment_fixed_size: 0
    .sgpr_count:     4
    .sgpr_spill_count: 0
    .symbol:         _ZN7rocprim17ROCPRIM_400000_NS6detail17trampoline_kernelINS0_14default_configENS1_25partition_config_selectorILNS1_17partition_subalgoE2ExNS0_10empty_typeEbEEZZNS1_14partition_implILS5_2ELb0ES3_jN6thrust23THRUST_200600_302600_NS6detail15normal_iteratorINSA_7pointerIxNSA_11hip_rocprim3tagENSA_11use_defaultESG_EEEEPS6_NSA_18transform_iteratorI10is_orderedNSA_12zip_iteratorINSA_5tupleINSC_INSA_10device_ptrIxEEEESQ_NSA_9null_typeESR_SR_SR_SR_SR_SR_SR_EEEESG_SG_EENS0_5tupleIJPxSJ_EEENSV_IJSJ_SJ_EEES6_PlJS6_EEE10hipError_tPvRmT3_T4_T5_T6_T7_T9_mT8_P12ihipStream_tbDpT10_ENKUlT_T0_E_clISt17integral_constantIbLb1EES1J_EEDaS1E_S1F_EUlS1E_E_NS1_11comp_targetILNS1_3genE10ELNS1_11target_archE1200ELNS1_3gpuE4ELNS1_3repE0EEENS1_30default_config_static_selectorELNS0_4arch9wavefront6targetE1EEEvT1_.kd
    .uniform_work_group_size: 1
    .uses_dynamic_stack: false
    .vgpr_count:     0
    .vgpr_spill_count: 0
    .wavefront_size: 64
  - .agpr_count:     0
    .args:
      - .offset:         0
        .size:           152
        .value_kind:     by_value
    .group_segment_fixed_size: 0
    .kernarg_segment_align: 8
    .kernarg_segment_size: 152
    .language:       OpenCL C
    .language_version:
      - 2
      - 0
    .max_flat_workgroup_size: 512
    .name:           _ZN7rocprim17ROCPRIM_400000_NS6detail17trampoline_kernelINS0_14default_configENS1_25partition_config_selectorILNS1_17partition_subalgoE2ExNS0_10empty_typeEbEEZZNS1_14partition_implILS5_2ELb0ES3_jN6thrust23THRUST_200600_302600_NS6detail15normal_iteratorINSA_7pointerIxNSA_11hip_rocprim3tagENSA_11use_defaultESG_EEEEPS6_NSA_18transform_iteratorI10is_orderedNSA_12zip_iteratorINSA_5tupleINSC_INSA_10device_ptrIxEEEESQ_NSA_9null_typeESR_SR_SR_SR_SR_SR_SR_EEEESG_SG_EENS0_5tupleIJPxSJ_EEENSV_IJSJ_SJ_EEES6_PlJS6_EEE10hipError_tPvRmT3_T4_T5_T6_T7_T9_mT8_P12ihipStream_tbDpT10_ENKUlT_T0_E_clISt17integral_constantIbLb1EES1J_EEDaS1E_S1F_EUlS1E_E_NS1_11comp_targetILNS1_3genE9ELNS1_11target_archE1100ELNS1_3gpuE3ELNS1_3repE0EEENS1_30default_config_static_selectorELNS0_4arch9wavefront6targetE1EEEvT1_
    .private_segment_fixed_size: 0
    .sgpr_count:     4
    .sgpr_spill_count: 0
    .symbol:         _ZN7rocprim17ROCPRIM_400000_NS6detail17trampoline_kernelINS0_14default_configENS1_25partition_config_selectorILNS1_17partition_subalgoE2ExNS0_10empty_typeEbEEZZNS1_14partition_implILS5_2ELb0ES3_jN6thrust23THRUST_200600_302600_NS6detail15normal_iteratorINSA_7pointerIxNSA_11hip_rocprim3tagENSA_11use_defaultESG_EEEEPS6_NSA_18transform_iteratorI10is_orderedNSA_12zip_iteratorINSA_5tupleINSC_INSA_10device_ptrIxEEEESQ_NSA_9null_typeESR_SR_SR_SR_SR_SR_SR_EEEESG_SG_EENS0_5tupleIJPxSJ_EEENSV_IJSJ_SJ_EEES6_PlJS6_EEE10hipError_tPvRmT3_T4_T5_T6_T7_T9_mT8_P12ihipStream_tbDpT10_ENKUlT_T0_E_clISt17integral_constantIbLb1EES1J_EEDaS1E_S1F_EUlS1E_E_NS1_11comp_targetILNS1_3genE9ELNS1_11target_archE1100ELNS1_3gpuE3ELNS1_3repE0EEENS1_30default_config_static_selectorELNS0_4arch9wavefront6targetE1EEEvT1_.kd
    .uniform_work_group_size: 1
    .uses_dynamic_stack: false
    .vgpr_count:     0
    .vgpr_spill_count: 0
    .wavefront_size: 64
  - .agpr_count:     0
    .args:
      - .offset:         0
        .size:           152
        .value_kind:     by_value
    .group_segment_fixed_size: 0
    .kernarg_segment_align: 8
    .kernarg_segment_size: 152
    .language:       OpenCL C
    .language_version:
      - 2
      - 0
    .max_flat_workgroup_size: 512
    .name:           _ZN7rocprim17ROCPRIM_400000_NS6detail17trampoline_kernelINS0_14default_configENS1_25partition_config_selectorILNS1_17partition_subalgoE2ExNS0_10empty_typeEbEEZZNS1_14partition_implILS5_2ELb0ES3_jN6thrust23THRUST_200600_302600_NS6detail15normal_iteratorINSA_7pointerIxNSA_11hip_rocprim3tagENSA_11use_defaultESG_EEEEPS6_NSA_18transform_iteratorI10is_orderedNSA_12zip_iteratorINSA_5tupleINSC_INSA_10device_ptrIxEEEESQ_NSA_9null_typeESR_SR_SR_SR_SR_SR_SR_EEEESG_SG_EENS0_5tupleIJPxSJ_EEENSV_IJSJ_SJ_EEES6_PlJS6_EEE10hipError_tPvRmT3_T4_T5_T6_T7_T9_mT8_P12ihipStream_tbDpT10_ENKUlT_T0_E_clISt17integral_constantIbLb1EES1J_EEDaS1E_S1F_EUlS1E_E_NS1_11comp_targetILNS1_3genE8ELNS1_11target_archE1030ELNS1_3gpuE2ELNS1_3repE0EEENS1_30default_config_static_selectorELNS0_4arch9wavefront6targetE1EEEvT1_
    .private_segment_fixed_size: 0
    .sgpr_count:     4
    .sgpr_spill_count: 0
    .symbol:         _ZN7rocprim17ROCPRIM_400000_NS6detail17trampoline_kernelINS0_14default_configENS1_25partition_config_selectorILNS1_17partition_subalgoE2ExNS0_10empty_typeEbEEZZNS1_14partition_implILS5_2ELb0ES3_jN6thrust23THRUST_200600_302600_NS6detail15normal_iteratorINSA_7pointerIxNSA_11hip_rocprim3tagENSA_11use_defaultESG_EEEEPS6_NSA_18transform_iteratorI10is_orderedNSA_12zip_iteratorINSA_5tupleINSC_INSA_10device_ptrIxEEEESQ_NSA_9null_typeESR_SR_SR_SR_SR_SR_SR_EEEESG_SG_EENS0_5tupleIJPxSJ_EEENSV_IJSJ_SJ_EEES6_PlJS6_EEE10hipError_tPvRmT3_T4_T5_T6_T7_T9_mT8_P12ihipStream_tbDpT10_ENKUlT_T0_E_clISt17integral_constantIbLb1EES1J_EEDaS1E_S1F_EUlS1E_E_NS1_11comp_targetILNS1_3genE8ELNS1_11target_archE1030ELNS1_3gpuE2ELNS1_3repE0EEENS1_30default_config_static_selectorELNS0_4arch9wavefront6targetE1EEEvT1_.kd
    .uniform_work_group_size: 1
    .uses_dynamic_stack: false
    .vgpr_count:     0
    .vgpr_spill_count: 0
    .wavefront_size: 64
  - .agpr_count:     0
    .args:
      - .offset:         0
        .size:           136
        .value_kind:     by_value
    .group_segment_fixed_size: 0
    .kernarg_segment_align: 8
    .kernarg_segment_size: 136
    .language:       OpenCL C
    .language_version:
      - 2
      - 0
    .max_flat_workgroup_size: 128
    .name:           _ZN7rocprim17ROCPRIM_400000_NS6detail17trampoline_kernelINS0_14default_configENS1_25partition_config_selectorILNS1_17partition_subalgoE2ExNS0_10empty_typeEbEEZZNS1_14partition_implILS5_2ELb0ES3_jN6thrust23THRUST_200600_302600_NS6detail15normal_iteratorINSA_7pointerIxNSA_11hip_rocprim3tagENSA_11use_defaultESG_EEEEPS6_NSA_18transform_iteratorI10is_orderedNSA_12zip_iteratorINSA_5tupleINSC_INSA_10device_ptrIxEEEESQ_NSA_9null_typeESR_SR_SR_SR_SR_SR_SR_EEEESG_SG_EENS0_5tupleIJPxSJ_EEENSV_IJSJ_SJ_EEES6_PlJS6_EEE10hipError_tPvRmT3_T4_T5_T6_T7_T9_mT8_P12ihipStream_tbDpT10_ENKUlT_T0_E_clISt17integral_constantIbLb1EES1I_IbLb0EEEEDaS1E_S1F_EUlS1E_E_NS1_11comp_targetILNS1_3genE0ELNS1_11target_archE4294967295ELNS1_3gpuE0ELNS1_3repE0EEENS1_30default_config_static_selectorELNS0_4arch9wavefront6targetE1EEEvT1_
    .private_segment_fixed_size: 0
    .sgpr_count:     4
    .sgpr_spill_count: 0
    .symbol:         _ZN7rocprim17ROCPRIM_400000_NS6detail17trampoline_kernelINS0_14default_configENS1_25partition_config_selectorILNS1_17partition_subalgoE2ExNS0_10empty_typeEbEEZZNS1_14partition_implILS5_2ELb0ES3_jN6thrust23THRUST_200600_302600_NS6detail15normal_iteratorINSA_7pointerIxNSA_11hip_rocprim3tagENSA_11use_defaultESG_EEEEPS6_NSA_18transform_iteratorI10is_orderedNSA_12zip_iteratorINSA_5tupleINSC_INSA_10device_ptrIxEEEESQ_NSA_9null_typeESR_SR_SR_SR_SR_SR_SR_EEEESG_SG_EENS0_5tupleIJPxSJ_EEENSV_IJSJ_SJ_EEES6_PlJS6_EEE10hipError_tPvRmT3_T4_T5_T6_T7_T9_mT8_P12ihipStream_tbDpT10_ENKUlT_T0_E_clISt17integral_constantIbLb1EES1I_IbLb0EEEEDaS1E_S1F_EUlS1E_E_NS1_11comp_targetILNS1_3genE0ELNS1_11target_archE4294967295ELNS1_3gpuE0ELNS1_3repE0EEENS1_30default_config_static_selectorELNS0_4arch9wavefront6targetE1EEEvT1_.kd
    .uniform_work_group_size: 1
    .uses_dynamic_stack: false
    .vgpr_count:     0
    .vgpr_spill_count: 0
    .wavefront_size: 64
  - .agpr_count:     0
    .args:
      - .offset:         0
        .size:           136
        .value_kind:     by_value
    .group_segment_fixed_size: 0
    .kernarg_segment_align: 8
    .kernarg_segment_size: 136
    .language:       OpenCL C
    .language_version:
      - 2
      - 0
    .max_flat_workgroup_size: 512
    .name:           _ZN7rocprim17ROCPRIM_400000_NS6detail17trampoline_kernelINS0_14default_configENS1_25partition_config_selectorILNS1_17partition_subalgoE2ExNS0_10empty_typeEbEEZZNS1_14partition_implILS5_2ELb0ES3_jN6thrust23THRUST_200600_302600_NS6detail15normal_iteratorINSA_7pointerIxNSA_11hip_rocprim3tagENSA_11use_defaultESG_EEEEPS6_NSA_18transform_iteratorI10is_orderedNSA_12zip_iteratorINSA_5tupleINSC_INSA_10device_ptrIxEEEESQ_NSA_9null_typeESR_SR_SR_SR_SR_SR_SR_EEEESG_SG_EENS0_5tupleIJPxSJ_EEENSV_IJSJ_SJ_EEES6_PlJS6_EEE10hipError_tPvRmT3_T4_T5_T6_T7_T9_mT8_P12ihipStream_tbDpT10_ENKUlT_T0_E_clISt17integral_constantIbLb1EES1I_IbLb0EEEEDaS1E_S1F_EUlS1E_E_NS1_11comp_targetILNS1_3genE5ELNS1_11target_archE942ELNS1_3gpuE9ELNS1_3repE0EEENS1_30default_config_static_selectorELNS0_4arch9wavefront6targetE1EEEvT1_
    .private_segment_fixed_size: 0
    .sgpr_count:     4
    .sgpr_spill_count: 0
    .symbol:         _ZN7rocprim17ROCPRIM_400000_NS6detail17trampoline_kernelINS0_14default_configENS1_25partition_config_selectorILNS1_17partition_subalgoE2ExNS0_10empty_typeEbEEZZNS1_14partition_implILS5_2ELb0ES3_jN6thrust23THRUST_200600_302600_NS6detail15normal_iteratorINSA_7pointerIxNSA_11hip_rocprim3tagENSA_11use_defaultESG_EEEEPS6_NSA_18transform_iteratorI10is_orderedNSA_12zip_iteratorINSA_5tupleINSC_INSA_10device_ptrIxEEEESQ_NSA_9null_typeESR_SR_SR_SR_SR_SR_SR_EEEESG_SG_EENS0_5tupleIJPxSJ_EEENSV_IJSJ_SJ_EEES6_PlJS6_EEE10hipError_tPvRmT3_T4_T5_T6_T7_T9_mT8_P12ihipStream_tbDpT10_ENKUlT_T0_E_clISt17integral_constantIbLb1EES1I_IbLb0EEEEDaS1E_S1F_EUlS1E_E_NS1_11comp_targetILNS1_3genE5ELNS1_11target_archE942ELNS1_3gpuE9ELNS1_3repE0EEENS1_30default_config_static_selectorELNS0_4arch9wavefront6targetE1EEEvT1_.kd
    .uniform_work_group_size: 1
    .uses_dynamic_stack: false
    .vgpr_count:     0
    .vgpr_spill_count: 0
    .wavefront_size: 64
  - .agpr_count:     0
    .args:
      - .offset:         0
        .size:           136
        .value_kind:     by_value
    .group_segment_fixed_size: 6344
    .kernarg_segment_align: 8
    .kernarg_segment_size: 136
    .language:       OpenCL C
    .language_version:
      - 2
      - 0
    .max_flat_workgroup_size: 192
    .name:           _ZN7rocprim17ROCPRIM_400000_NS6detail17trampoline_kernelINS0_14default_configENS1_25partition_config_selectorILNS1_17partition_subalgoE2ExNS0_10empty_typeEbEEZZNS1_14partition_implILS5_2ELb0ES3_jN6thrust23THRUST_200600_302600_NS6detail15normal_iteratorINSA_7pointerIxNSA_11hip_rocprim3tagENSA_11use_defaultESG_EEEEPS6_NSA_18transform_iteratorI10is_orderedNSA_12zip_iteratorINSA_5tupleINSC_INSA_10device_ptrIxEEEESQ_NSA_9null_typeESR_SR_SR_SR_SR_SR_SR_EEEESG_SG_EENS0_5tupleIJPxSJ_EEENSV_IJSJ_SJ_EEES6_PlJS6_EEE10hipError_tPvRmT3_T4_T5_T6_T7_T9_mT8_P12ihipStream_tbDpT10_ENKUlT_T0_E_clISt17integral_constantIbLb1EES1I_IbLb0EEEEDaS1E_S1F_EUlS1E_E_NS1_11comp_targetILNS1_3genE4ELNS1_11target_archE910ELNS1_3gpuE8ELNS1_3repE0EEENS1_30default_config_static_selectorELNS0_4arch9wavefront6targetE1EEEvT1_
    .private_segment_fixed_size: 0
    .sgpr_count:     50
    .sgpr_spill_count: 0
    .symbol:         _ZN7rocprim17ROCPRIM_400000_NS6detail17trampoline_kernelINS0_14default_configENS1_25partition_config_selectorILNS1_17partition_subalgoE2ExNS0_10empty_typeEbEEZZNS1_14partition_implILS5_2ELb0ES3_jN6thrust23THRUST_200600_302600_NS6detail15normal_iteratorINSA_7pointerIxNSA_11hip_rocprim3tagENSA_11use_defaultESG_EEEEPS6_NSA_18transform_iteratorI10is_orderedNSA_12zip_iteratorINSA_5tupleINSC_INSA_10device_ptrIxEEEESQ_NSA_9null_typeESR_SR_SR_SR_SR_SR_SR_EEEESG_SG_EENS0_5tupleIJPxSJ_EEENSV_IJSJ_SJ_EEES6_PlJS6_EEE10hipError_tPvRmT3_T4_T5_T6_T7_T9_mT8_P12ihipStream_tbDpT10_ENKUlT_T0_E_clISt17integral_constantIbLb1EES1I_IbLb0EEEEDaS1E_S1F_EUlS1E_E_NS1_11comp_targetILNS1_3genE4ELNS1_11target_archE910ELNS1_3gpuE8ELNS1_3repE0EEENS1_30default_config_static_selectorELNS0_4arch9wavefront6targetE1EEEvT1_.kd
    .uniform_work_group_size: 1
    .uses_dynamic_stack: false
    .vgpr_count:     43
    .vgpr_spill_count: 0
    .wavefront_size: 64
  - .agpr_count:     0
    .args:
      - .offset:         0
        .size:           136
        .value_kind:     by_value
    .group_segment_fixed_size: 0
    .kernarg_segment_align: 8
    .kernarg_segment_size: 136
    .language:       OpenCL C
    .language_version:
      - 2
      - 0
    .max_flat_workgroup_size: 128
    .name:           _ZN7rocprim17ROCPRIM_400000_NS6detail17trampoline_kernelINS0_14default_configENS1_25partition_config_selectorILNS1_17partition_subalgoE2ExNS0_10empty_typeEbEEZZNS1_14partition_implILS5_2ELb0ES3_jN6thrust23THRUST_200600_302600_NS6detail15normal_iteratorINSA_7pointerIxNSA_11hip_rocprim3tagENSA_11use_defaultESG_EEEEPS6_NSA_18transform_iteratorI10is_orderedNSA_12zip_iteratorINSA_5tupleINSC_INSA_10device_ptrIxEEEESQ_NSA_9null_typeESR_SR_SR_SR_SR_SR_SR_EEEESG_SG_EENS0_5tupleIJPxSJ_EEENSV_IJSJ_SJ_EEES6_PlJS6_EEE10hipError_tPvRmT3_T4_T5_T6_T7_T9_mT8_P12ihipStream_tbDpT10_ENKUlT_T0_E_clISt17integral_constantIbLb1EES1I_IbLb0EEEEDaS1E_S1F_EUlS1E_E_NS1_11comp_targetILNS1_3genE3ELNS1_11target_archE908ELNS1_3gpuE7ELNS1_3repE0EEENS1_30default_config_static_selectorELNS0_4arch9wavefront6targetE1EEEvT1_
    .private_segment_fixed_size: 0
    .sgpr_count:     4
    .sgpr_spill_count: 0
    .symbol:         _ZN7rocprim17ROCPRIM_400000_NS6detail17trampoline_kernelINS0_14default_configENS1_25partition_config_selectorILNS1_17partition_subalgoE2ExNS0_10empty_typeEbEEZZNS1_14partition_implILS5_2ELb0ES3_jN6thrust23THRUST_200600_302600_NS6detail15normal_iteratorINSA_7pointerIxNSA_11hip_rocprim3tagENSA_11use_defaultESG_EEEEPS6_NSA_18transform_iteratorI10is_orderedNSA_12zip_iteratorINSA_5tupleINSC_INSA_10device_ptrIxEEEESQ_NSA_9null_typeESR_SR_SR_SR_SR_SR_SR_EEEESG_SG_EENS0_5tupleIJPxSJ_EEENSV_IJSJ_SJ_EEES6_PlJS6_EEE10hipError_tPvRmT3_T4_T5_T6_T7_T9_mT8_P12ihipStream_tbDpT10_ENKUlT_T0_E_clISt17integral_constantIbLb1EES1I_IbLb0EEEEDaS1E_S1F_EUlS1E_E_NS1_11comp_targetILNS1_3genE3ELNS1_11target_archE908ELNS1_3gpuE7ELNS1_3repE0EEENS1_30default_config_static_selectorELNS0_4arch9wavefront6targetE1EEEvT1_.kd
    .uniform_work_group_size: 1
    .uses_dynamic_stack: false
    .vgpr_count:     0
    .vgpr_spill_count: 0
    .wavefront_size: 64
  - .agpr_count:     0
    .args:
      - .offset:         0
        .size:           136
        .value_kind:     by_value
    .group_segment_fixed_size: 0
    .kernarg_segment_align: 8
    .kernarg_segment_size: 136
    .language:       OpenCL C
    .language_version:
      - 2
      - 0
    .max_flat_workgroup_size: 256
    .name:           _ZN7rocprim17ROCPRIM_400000_NS6detail17trampoline_kernelINS0_14default_configENS1_25partition_config_selectorILNS1_17partition_subalgoE2ExNS0_10empty_typeEbEEZZNS1_14partition_implILS5_2ELb0ES3_jN6thrust23THRUST_200600_302600_NS6detail15normal_iteratorINSA_7pointerIxNSA_11hip_rocprim3tagENSA_11use_defaultESG_EEEEPS6_NSA_18transform_iteratorI10is_orderedNSA_12zip_iteratorINSA_5tupleINSC_INSA_10device_ptrIxEEEESQ_NSA_9null_typeESR_SR_SR_SR_SR_SR_SR_EEEESG_SG_EENS0_5tupleIJPxSJ_EEENSV_IJSJ_SJ_EEES6_PlJS6_EEE10hipError_tPvRmT3_T4_T5_T6_T7_T9_mT8_P12ihipStream_tbDpT10_ENKUlT_T0_E_clISt17integral_constantIbLb1EES1I_IbLb0EEEEDaS1E_S1F_EUlS1E_E_NS1_11comp_targetILNS1_3genE2ELNS1_11target_archE906ELNS1_3gpuE6ELNS1_3repE0EEENS1_30default_config_static_selectorELNS0_4arch9wavefront6targetE1EEEvT1_
    .private_segment_fixed_size: 0
    .sgpr_count:     4
    .sgpr_spill_count: 0
    .symbol:         _ZN7rocprim17ROCPRIM_400000_NS6detail17trampoline_kernelINS0_14default_configENS1_25partition_config_selectorILNS1_17partition_subalgoE2ExNS0_10empty_typeEbEEZZNS1_14partition_implILS5_2ELb0ES3_jN6thrust23THRUST_200600_302600_NS6detail15normal_iteratorINSA_7pointerIxNSA_11hip_rocprim3tagENSA_11use_defaultESG_EEEEPS6_NSA_18transform_iteratorI10is_orderedNSA_12zip_iteratorINSA_5tupleINSC_INSA_10device_ptrIxEEEESQ_NSA_9null_typeESR_SR_SR_SR_SR_SR_SR_EEEESG_SG_EENS0_5tupleIJPxSJ_EEENSV_IJSJ_SJ_EEES6_PlJS6_EEE10hipError_tPvRmT3_T4_T5_T6_T7_T9_mT8_P12ihipStream_tbDpT10_ENKUlT_T0_E_clISt17integral_constantIbLb1EES1I_IbLb0EEEEDaS1E_S1F_EUlS1E_E_NS1_11comp_targetILNS1_3genE2ELNS1_11target_archE906ELNS1_3gpuE6ELNS1_3repE0EEENS1_30default_config_static_selectorELNS0_4arch9wavefront6targetE1EEEvT1_.kd
    .uniform_work_group_size: 1
    .uses_dynamic_stack: false
    .vgpr_count:     0
    .vgpr_spill_count: 0
    .wavefront_size: 64
  - .agpr_count:     0
    .args:
      - .offset:         0
        .size:           136
        .value_kind:     by_value
    .group_segment_fixed_size: 0
    .kernarg_segment_align: 8
    .kernarg_segment_size: 136
    .language:       OpenCL C
    .language_version:
      - 2
      - 0
    .max_flat_workgroup_size: 256
    .name:           _ZN7rocprim17ROCPRIM_400000_NS6detail17trampoline_kernelINS0_14default_configENS1_25partition_config_selectorILNS1_17partition_subalgoE2ExNS0_10empty_typeEbEEZZNS1_14partition_implILS5_2ELb0ES3_jN6thrust23THRUST_200600_302600_NS6detail15normal_iteratorINSA_7pointerIxNSA_11hip_rocprim3tagENSA_11use_defaultESG_EEEEPS6_NSA_18transform_iteratorI10is_orderedNSA_12zip_iteratorINSA_5tupleINSC_INSA_10device_ptrIxEEEESQ_NSA_9null_typeESR_SR_SR_SR_SR_SR_SR_EEEESG_SG_EENS0_5tupleIJPxSJ_EEENSV_IJSJ_SJ_EEES6_PlJS6_EEE10hipError_tPvRmT3_T4_T5_T6_T7_T9_mT8_P12ihipStream_tbDpT10_ENKUlT_T0_E_clISt17integral_constantIbLb1EES1I_IbLb0EEEEDaS1E_S1F_EUlS1E_E_NS1_11comp_targetILNS1_3genE10ELNS1_11target_archE1200ELNS1_3gpuE4ELNS1_3repE0EEENS1_30default_config_static_selectorELNS0_4arch9wavefront6targetE1EEEvT1_
    .private_segment_fixed_size: 0
    .sgpr_count:     4
    .sgpr_spill_count: 0
    .symbol:         _ZN7rocprim17ROCPRIM_400000_NS6detail17trampoline_kernelINS0_14default_configENS1_25partition_config_selectorILNS1_17partition_subalgoE2ExNS0_10empty_typeEbEEZZNS1_14partition_implILS5_2ELb0ES3_jN6thrust23THRUST_200600_302600_NS6detail15normal_iteratorINSA_7pointerIxNSA_11hip_rocprim3tagENSA_11use_defaultESG_EEEEPS6_NSA_18transform_iteratorI10is_orderedNSA_12zip_iteratorINSA_5tupleINSC_INSA_10device_ptrIxEEEESQ_NSA_9null_typeESR_SR_SR_SR_SR_SR_SR_EEEESG_SG_EENS0_5tupleIJPxSJ_EEENSV_IJSJ_SJ_EEES6_PlJS6_EEE10hipError_tPvRmT3_T4_T5_T6_T7_T9_mT8_P12ihipStream_tbDpT10_ENKUlT_T0_E_clISt17integral_constantIbLb1EES1I_IbLb0EEEEDaS1E_S1F_EUlS1E_E_NS1_11comp_targetILNS1_3genE10ELNS1_11target_archE1200ELNS1_3gpuE4ELNS1_3repE0EEENS1_30default_config_static_selectorELNS0_4arch9wavefront6targetE1EEEvT1_.kd
    .uniform_work_group_size: 1
    .uses_dynamic_stack: false
    .vgpr_count:     0
    .vgpr_spill_count: 0
    .wavefront_size: 64
  - .agpr_count:     0
    .args:
      - .offset:         0
        .size:           136
        .value_kind:     by_value
    .group_segment_fixed_size: 0
    .kernarg_segment_align: 8
    .kernarg_segment_size: 136
    .language:       OpenCL C
    .language_version:
      - 2
      - 0
    .max_flat_workgroup_size: 512
    .name:           _ZN7rocprim17ROCPRIM_400000_NS6detail17trampoline_kernelINS0_14default_configENS1_25partition_config_selectorILNS1_17partition_subalgoE2ExNS0_10empty_typeEbEEZZNS1_14partition_implILS5_2ELb0ES3_jN6thrust23THRUST_200600_302600_NS6detail15normal_iteratorINSA_7pointerIxNSA_11hip_rocprim3tagENSA_11use_defaultESG_EEEEPS6_NSA_18transform_iteratorI10is_orderedNSA_12zip_iteratorINSA_5tupleINSC_INSA_10device_ptrIxEEEESQ_NSA_9null_typeESR_SR_SR_SR_SR_SR_SR_EEEESG_SG_EENS0_5tupleIJPxSJ_EEENSV_IJSJ_SJ_EEES6_PlJS6_EEE10hipError_tPvRmT3_T4_T5_T6_T7_T9_mT8_P12ihipStream_tbDpT10_ENKUlT_T0_E_clISt17integral_constantIbLb1EES1I_IbLb0EEEEDaS1E_S1F_EUlS1E_E_NS1_11comp_targetILNS1_3genE9ELNS1_11target_archE1100ELNS1_3gpuE3ELNS1_3repE0EEENS1_30default_config_static_selectorELNS0_4arch9wavefront6targetE1EEEvT1_
    .private_segment_fixed_size: 0
    .sgpr_count:     4
    .sgpr_spill_count: 0
    .symbol:         _ZN7rocprim17ROCPRIM_400000_NS6detail17trampoline_kernelINS0_14default_configENS1_25partition_config_selectorILNS1_17partition_subalgoE2ExNS0_10empty_typeEbEEZZNS1_14partition_implILS5_2ELb0ES3_jN6thrust23THRUST_200600_302600_NS6detail15normal_iteratorINSA_7pointerIxNSA_11hip_rocprim3tagENSA_11use_defaultESG_EEEEPS6_NSA_18transform_iteratorI10is_orderedNSA_12zip_iteratorINSA_5tupleINSC_INSA_10device_ptrIxEEEESQ_NSA_9null_typeESR_SR_SR_SR_SR_SR_SR_EEEESG_SG_EENS0_5tupleIJPxSJ_EEENSV_IJSJ_SJ_EEES6_PlJS6_EEE10hipError_tPvRmT3_T4_T5_T6_T7_T9_mT8_P12ihipStream_tbDpT10_ENKUlT_T0_E_clISt17integral_constantIbLb1EES1I_IbLb0EEEEDaS1E_S1F_EUlS1E_E_NS1_11comp_targetILNS1_3genE9ELNS1_11target_archE1100ELNS1_3gpuE3ELNS1_3repE0EEENS1_30default_config_static_selectorELNS0_4arch9wavefront6targetE1EEEvT1_.kd
    .uniform_work_group_size: 1
    .uses_dynamic_stack: false
    .vgpr_count:     0
    .vgpr_spill_count: 0
    .wavefront_size: 64
  - .agpr_count:     0
    .args:
      - .offset:         0
        .size:           136
        .value_kind:     by_value
    .group_segment_fixed_size: 0
    .kernarg_segment_align: 8
    .kernarg_segment_size: 136
    .language:       OpenCL C
    .language_version:
      - 2
      - 0
    .max_flat_workgroup_size: 512
    .name:           _ZN7rocprim17ROCPRIM_400000_NS6detail17trampoline_kernelINS0_14default_configENS1_25partition_config_selectorILNS1_17partition_subalgoE2ExNS0_10empty_typeEbEEZZNS1_14partition_implILS5_2ELb0ES3_jN6thrust23THRUST_200600_302600_NS6detail15normal_iteratorINSA_7pointerIxNSA_11hip_rocprim3tagENSA_11use_defaultESG_EEEEPS6_NSA_18transform_iteratorI10is_orderedNSA_12zip_iteratorINSA_5tupleINSC_INSA_10device_ptrIxEEEESQ_NSA_9null_typeESR_SR_SR_SR_SR_SR_SR_EEEESG_SG_EENS0_5tupleIJPxSJ_EEENSV_IJSJ_SJ_EEES6_PlJS6_EEE10hipError_tPvRmT3_T4_T5_T6_T7_T9_mT8_P12ihipStream_tbDpT10_ENKUlT_T0_E_clISt17integral_constantIbLb1EES1I_IbLb0EEEEDaS1E_S1F_EUlS1E_E_NS1_11comp_targetILNS1_3genE8ELNS1_11target_archE1030ELNS1_3gpuE2ELNS1_3repE0EEENS1_30default_config_static_selectorELNS0_4arch9wavefront6targetE1EEEvT1_
    .private_segment_fixed_size: 0
    .sgpr_count:     4
    .sgpr_spill_count: 0
    .symbol:         _ZN7rocprim17ROCPRIM_400000_NS6detail17trampoline_kernelINS0_14default_configENS1_25partition_config_selectorILNS1_17partition_subalgoE2ExNS0_10empty_typeEbEEZZNS1_14partition_implILS5_2ELb0ES3_jN6thrust23THRUST_200600_302600_NS6detail15normal_iteratorINSA_7pointerIxNSA_11hip_rocprim3tagENSA_11use_defaultESG_EEEEPS6_NSA_18transform_iteratorI10is_orderedNSA_12zip_iteratorINSA_5tupleINSC_INSA_10device_ptrIxEEEESQ_NSA_9null_typeESR_SR_SR_SR_SR_SR_SR_EEEESG_SG_EENS0_5tupleIJPxSJ_EEENSV_IJSJ_SJ_EEES6_PlJS6_EEE10hipError_tPvRmT3_T4_T5_T6_T7_T9_mT8_P12ihipStream_tbDpT10_ENKUlT_T0_E_clISt17integral_constantIbLb1EES1I_IbLb0EEEEDaS1E_S1F_EUlS1E_E_NS1_11comp_targetILNS1_3genE8ELNS1_11target_archE1030ELNS1_3gpuE2ELNS1_3repE0EEENS1_30default_config_static_selectorELNS0_4arch9wavefront6targetE1EEEvT1_.kd
    .uniform_work_group_size: 1
    .uses_dynamic_stack: false
    .vgpr_count:     0
    .vgpr_spill_count: 0
    .wavefront_size: 64
  - .agpr_count:     0
    .args:
      - .offset:         0
        .size:           152
        .value_kind:     by_value
    .group_segment_fixed_size: 0
    .kernarg_segment_align: 8
    .kernarg_segment_size: 152
    .language:       OpenCL C
    .language_version:
      - 2
      - 0
    .max_flat_workgroup_size: 128
    .name:           _ZN7rocprim17ROCPRIM_400000_NS6detail17trampoline_kernelINS0_14default_configENS1_25partition_config_selectorILNS1_17partition_subalgoE2ExNS0_10empty_typeEbEEZZNS1_14partition_implILS5_2ELb0ES3_jN6thrust23THRUST_200600_302600_NS6detail15normal_iteratorINSA_7pointerIxNSA_11hip_rocprim3tagENSA_11use_defaultESG_EEEEPS6_NSA_18transform_iteratorI10is_orderedNSA_12zip_iteratorINSA_5tupleINSC_INSA_10device_ptrIxEEEESQ_NSA_9null_typeESR_SR_SR_SR_SR_SR_SR_EEEESG_SG_EENS0_5tupleIJPxSJ_EEENSV_IJSJ_SJ_EEES6_PlJS6_EEE10hipError_tPvRmT3_T4_T5_T6_T7_T9_mT8_P12ihipStream_tbDpT10_ENKUlT_T0_E_clISt17integral_constantIbLb0EES1I_IbLb1EEEEDaS1E_S1F_EUlS1E_E_NS1_11comp_targetILNS1_3genE0ELNS1_11target_archE4294967295ELNS1_3gpuE0ELNS1_3repE0EEENS1_30default_config_static_selectorELNS0_4arch9wavefront6targetE1EEEvT1_
    .private_segment_fixed_size: 0
    .sgpr_count:     4
    .sgpr_spill_count: 0
    .symbol:         _ZN7rocprim17ROCPRIM_400000_NS6detail17trampoline_kernelINS0_14default_configENS1_25partition_config_selectorILNS1_17partition_subalgoE2ExNS0_10empty_typeEbEEZZNS1_14partition_implILS5_2ELb0ES3_jN6thrust23THRUST_200600_302600_NS6detail15normal_iteratorINSA_7pointerIxNSA_11hip_rocprim3tagENSA_11use_defaultESG_EEEEPS6_NSA_18transform_iteratorI10is_orderedNSA_12zip_iteratorINSA_5tupleINSC_INSA_10device_ptrIxEEEESQ_NSA_9null_typeESR_SR_SR_SR_SR_SR_SR_EEEESG_SG_EENS0_5tupleIJPxSJ_EEENSV_IJSJ_SJ_EEES6_PlJS6_EEE10hipError_tPvRmT3_T4_T5_T6_T7_T9_mT8_P12ihipStream_tbDpT10_ENKUlT_T0_E_clISt17integral_constantIbLb0EES1I_IbLb1EEEEDaS1E_S1F_EUlS1E_E_NS1_11comp_targetILNS1_3genE0ELNS1_11target_archE4294967295ELNS1_3gpuE0ELNS1_3repE0EEENS1_30default_config_static_selectorELNS0_4arch9wavefront6targetE1EEEvT1_.kd
    .uniform_work_group_size: 1
    .uses_dynamic_stack: false
    .vgpr_count:     0
    .vgpr_spill_count: 0
    .wavefront_size: 64
  - .agpr_count:     0
    .args:
      - .offset:         0
        .size:           152
        .value_kind:     by_value
    .group_segment_fixed_size: 0
    .kernarg_segment_align: 8
    .kernarg_segment_size: 152
    .language:       OpenCL C
    .language_version:
      - 2
      - 0
    .max_flat_workgroup_size: 512
    .name:           _ZN7rocprim17ROCPRIM_400000_NS6detail17trampoline_kernelINS0_14default_configENS1_25partition_config_selectorILNS1_17partition_subalgoE2ExNS0_10empty_typeEbEEZZNS1_14partition_implILS5_2ELb0ES3_jN6thrust23THRUST_200600_302600_NS6detail15normal_iteratorINSA_7pointerIxNSA_11hip_rocprim3tagENSA_11use_defaultESG_EEEEPS6_NSA_18transform_iteratorI10is_orderedNSA_12zip_iteratorINSA_5tupleINSC_INSA_10device_ptrIxEEEESQ_NSA_9null_typeESR_SR_SR_SR_SR_SR_SR_EEEESG_SG_EENS0_5tupleIJPxSJ_EEENSV_IJSJ_SJ_EEES6_PlJS6_EEE10hipError_tPvRmT3_T4_T5_T6_T7_T9_mT8_P12ihipStream_tbDpT10_ENKUlT_T0_E_clISt17integral_constantIbLb0EES1I_IbLb1EEEEDaS1E_S1F_EUlS1E_E_NS1_11comp_targetILNS1_3genE5ELNS1_11target_archE942ELNS1_3gpuE9ELNS1_3repE0EEENS1_30default_config_static_selectorELNS0_4arch9wavefront6targetE1EEEvT1_
    .private_segment_fixed_size: 0
    .sgpr_count:     4
    .sgpr_spill_count: 0
    .symbol:         _ZN7rocprim17ROCPRIM_400000_NS6detail17trampoline_kernelINS0_14default_configENS1_25partition_config_selectorILNS1_17partition_subalgoE2ExNS0_10empty_typeEbEEZZNS1_14partition_implILS5_2ELb0ES3_jN6thrust23THRUST_200600_302600_NS6detail15normal_iteratorINSA_7pointerIxNSA_11hip_rocprim3tagENSA_11use_defaultESG_EEEEPS6_NSA_18transform_iteratorI10is_orderedNSA_12zip_iteratorINSA_5tupleINSC_INSA_10device_ptrIxEEEESQ_NSA_9null_typeESR_SR_SR_SR_SR_SR_SR_EEEESG_SG_EENS0_5tupleIJPxSJ_EEENSV_IJSJ_SJ_EEES6_PlJS6_EEE10hipError_tPvRmT3_T4_T5_T6_T7_T9_mT8_P12ihipStream_tbDpT10_ENKUlT_T0_E_clISt17integral_constantIbLb0EES1I_IbLb1EEEEDaS1E_S1F_EUlS1E_E_NS1_11comp_targetILNS1_3genE5ELNS1_11target_archE942ELNS1_3gpuE9ELNS1_3repE0EEENS1_30default_config_static_selectorELNS0_4arch9wavefront6targetE1EEEvT1_.kd
    .uniform_work_group_size: 1
    .uses_dynamic_stack: false
    .vgpr_count:     0
    .vgpr_spill_count: 0
    .wavefront_size: 64
  - .agpr_count:     0
    .args:
      - .offset:         0
        .size:           152
        .value_kind:     by_value
    .group_segment_fixed_size: 6344
    .kernarg_segment_align: 8
    .kernarg_segment_size: 152
    .language:       OpenCL C
    .language_version:
      - 2
      - 0
    .max_flat_workgroup_size: 192
    .name:           _ZN7rocprim17ROCPRIM_400000_NS6detail17trampoline_kernelINS0_14default_configENS1_25partition_config_selectorILNS1_17partition_subalgoE2ExNS0_10empty_typeEbEEZZNS1_14partition_implILS5_2ELb0ES3_jN6thrust23THRUST_200600_302600_NS6detail15normal_iteratorINSA_7pointerIxNSA_11hip_rocprim3tagENSA_11use_defaultESG_EEEEPS6_NSA_18transform_iteratorI10is_orderedNSA_12zip_iteratorINSA_5tupleINSC_INSA_10device_ptrIxEEEESQ_NSA_9null_typeESR_SR_SR_SR_SR_SR_SR_EEEESG_SG_EENS0_5tupleIJPxSJ_EEENSV_IJSJ_SJ_EEES6_PlJS6_EEE10hipError_tPvRmT3_T4_T5_T6_T7_T9_mT8_P12ihipStream_tbDpT10_ENKUlT_T0_E_clISt17integral_constantIbLb0EES1I_IbLb1EEEEDaS1E_S1F_EUlS1E_E_NS1_11comp_targetILNS1_3genE4ELNS1_11target_archE910ELNS1_3gpuE8ELNS1_3repE0EEENS1_30default_config_static_selectorELNS0_4arch9wavefront6targetE1EEEvT1_
    .private_segment_fixed_size: 0
    .sgpr_count:     50
    .sgpr_spill_count: 0
    .symbol:         _ZN7rocprim17ROCPRIM_400000_NS6detail17trampoline_kernelINS0_14default_configENS1_25partition_config_selectorILNS1_17partition_subalgoE2ExNS0_10empty_typeEbEEZZNS1_14partition_implILS5_2ELb0ES3_jN6thrust23THRUST_200600_302600_NS6detail15normal_iteratorINSA_7pointerIxNSA_11hip_rocprim3tagENSA_11use_defaultESG_EEEEPS6_NSA_18transform_iteratorI10is_orderedNSA_12zip_iteratorINSA_5tupleINSC_INSA_10device_ptrIxEEEESQ_NSA_9null_typeESR_SR_SR_SR_SR_SR_SR_EEEESG_SG_EENS0_5tupleIJPxSJ_EEENSV_IJSJ_SJ_EEES6_PlJS6_EEE10hipError_tPvRmT3_T4_T5_T6_T7_T9_mT8_P12ihipStream_tbDpT10_ENKUlT_T0_E_clISt17integral_constantIbLb0EES1I_IbLb1EEEEDaS1E_S1F_EUlS1E_E_NS1_11comp_targetILNS1_3genE4ELNS1_11target_archE910ELNS1_3gpuE8ELNS1_3repE0EEENS1_30default_config_static_selectorELNS0_4arch9wavefront6targetE1EEEvT1_.kd
    .uniform_work_group_size: 1
    .uses_dynamic_stack: false
    .vgpr_count:     45
    .vgpr_spill_count: 0
    .wavefront_size: 64
  - .agpr_count:     0
    .args:
      - .offset:         0
        .size:           152
        .value_kind:     by_value
    .group_segment_fixed_size: 0
    .kernarg_segment_align: 8
    .kernarg_segment_size: 152
    .language:       OpenCL C
    .language_version:
      - 2
      - 0
    .max_flat_workgroup_size: 128
    .name:           _ZN7rocprim17ROCPRIM_400000_NS6detail17trampoline_kernelINS0_14default_configENS1_25partition_config_selectorILNS1_17partition_subalgoE2ExNS0_10empty_typeEbEEZZNS1_14partition_implILS5_2ELb0ES3_jN6thrust23THRUST_200600_302600_NS6detail15normal_iteratorINSA_7pointerIxNSA_11hip_rocprim3tagENSA_11use_defaultESG_EEEEPS6_NSA_18transform_iteratorI10is_orderedNSA_12zip_iteratorINSA_5tupleINSC_INSA_10device_ptrIxEEEESQ_NSA_9null_typeESR_SR_SR_SR_SR_SR_SR_EEEESG_SG_EENS0_5tupleIJPxSJ_EEENSV_IJSJ_SJ_EEES6_PlJS6_EEE10hipError_tPvRmT3_T4_T5_T6_T7_T9_mT8_P12ihipStream_tbDpT10_ENKUlT_T0_E_clISt17integral_constantIbLb0EES1I_IbLb1EEEEDaS1E_S1F_EUlS1E_E_NS1_11comp_targetILNS1_3genE3ELNS1_11target_archE908ELNS1_3gpuE7ELNS1_3repE0EEENS1_30default_config_static_selectorELNS0_4arch9wavefront6targetE1EEEvT1_
    .private_segment_fixed_size: 0
    .sgpr_count:     4
    .sgpr_spill_count: 0
    .symbol:         _ZN7rocprim17ROCPRIM_400000_NS6detail17trampoline_kernelINS0_14default_configENS1_25partition_config_selectorILNS1_17partition_subalgoE2ExNS0_10empty_typeEbEEZZNS1_14partition_implILS5_2ELb0ES3_jN6thrust23THRUST_200600_302600_NS6detail15normal_iteratorINSA_7pointerIxNSA_11hip_rocprim3tagENSA_11use_defaultESG_EEEEPS6_NSA_18transform_iteratorI10is_orderedNSA_12zip_iteratorINSA_5tupleINSC_INSA_10device_ptrIxEEEESQ_NSA_9null_typeESR_SR_SR_SR_SR_SR_SR_EEEESG_SG_EENS0_5tupleIJPxSJ_EEENSV_IJSJ_SJ_EEES6_PlJS6_EEE10hipError_tPvRmT3_T4_T5_T6_T7_T9_mT8_P12ihipStream_tbDpT10_ENKUlT_T0_E_clISt17integral_constantIbLb0EES1I_IbLb1EEEEDaS1E_S1F_EUlS1E_E_NS1_11comp_targetILNS1_3genE3ELNS1_11target_archE908ELNS1_3gpuE7ELNS1_3repE0EEENS1_30default_config_static_selectorELNS0_4arch9wavefront6targetE1EEEvT1_.kd
    .uniform_work_group_size: 1
    .uses_dynamic_stack: false
    .vgpr_count:     0
    .vgpr_spill_count: 0
    .wavefront_size: 64
  - .agpr_count:     0
    .args:
      - .offset:         0
        .size:           152
        .value_kind:     by_value
    .group_segment_fixed_size: 0
    .kernarg_segment_align: 8
    .kernarg_segment_size: 152
    .language:       OpenCL C
    .language_version:
      - 2
      - 0
    .max_flat_workgroup_size: 256
    .name:           _ZN7rocprim17ROCPRIM_400000_NS6detail17trampoline_kernelINS0_14default_configENS1_25partition_config_selectorILNS1_17partition_subalgoE2ExNS0_10empty_typeEbEEZZNS1_14partition_implILS5_2ELb0ES3_jN6thrust23THRUST_200600_302600_NS6detail15normal_iteratorINSA_7pointerIxNSA_11hip_rocprim3tagENSA_11use_defaultESG_EEEEPS6_NSA_18transform_iteratorI10is_orderedNSA_12zip_iteratorINSA_5tupleINSC_INSA_10device_ptrIxEEEESQ_NSA_9null_typeESR_SR_SR_SR_SR_SR_SR_EEEESG_SG_EENS0_5tupleIJPxSJ_EEENSV_IJSJ_SJ_EEES6_PlJS6_EEE10hipError_tPvRmT3_T4_T5_T6_T7_T9_mT8_P12ihipStream_tbDpT10_ENKUlT_T0_E_clISt17integral_constantIbLb0EES1I_IbLb1EEEEDaS1E_S1F_EUlS1E_E_NS1_11comp_targetILNS1_3genE2ELNS1_11target_archE906ELNS1_3gpuE6ELNS1_3repE0EEENS1_30default_config_static_selectorELNS0_4arch9wavefront6targetE1EEEvT1_
    .private_segment_fixed_size: 0
    .sgpr_count:     4
    .sgpr_spill_count: 0
    .symbol:         _ZN7rocprim17ROCPRIM_400000_NS6detail17trampoline_kernelINS0_14default_configENS1_25partition_config_selectorILNS1_17partition_subalgoE2ExNS0_10empty_typeEbEEZZNS1_14partition_implILS5_2ELb0ES3_jN6thrust23THRUST_200600_302600_NS6detail15normal_iteratorINSA_7pointerIxNSA_11hip_rocprim3tagENSA_11use_defaultESG_EEEEPS6_NSA_18transform_iteratorI10is_orderedNSA_12zip_iteratorINSA_5tupleINSC_INSA_10device_ptrIxEEEESQ_NSA_9null_typeESR_SR_SR_SR_SR_SR_SR_EEEESG_SG_EENS0_5tupleIJPxSJ_EEENSV_IJSJ_SJ_EEES6_PlJS6_EEE10hipError_tPvRmT3_T4_T5_T6_T7_T9_mT8_P12ihipStream_tbDpT10_ENKUlT_T0_E_clISt17integral_constantIbLb0EES1I_IbLb1EEEEDaS1E_S1F_EUlS1E_E_NS1_11comp_targetILNS1_3genE2ELNS1_11target_archE906ELNS1_3gpuE6ELNS1_3repE0EEENS1_30default_config_static_selectorELNS0_4arch9wavefront6targetE1EEEvT1_.kd
    .uniform_work_group_size: 1
    .uses_dynamic_stack: false
    .vgpr_count:     0
    .vgpr_spill_count: 0
    .wavefront_size: 64
  - .agpr_count:     0
    .args:
      - .offset:         0
        .size:           152
        .value_kind:     by_value
    .group_segment_fixed_size: 0
    .kernarg_segment_align: 8
    .kernarg_segment_size: 152
    .language:       OpenCL C
    .language_version:
      - 2
      - 0
    .max_flat_workgroup_size: 256
    .name:           _ZN7rocprim17ROCPRIM_400000_NS6detail17trampoline_kernelINS0_14default_configENS1_25partition_config_selectorILNS1_17partition_subalgoE2ExNS0_10empty_typeEbEEZZNS1_14partition_implILS5_2ELb0ES3_jN6thrust23THRUST_200600_302600_NS6detail15normal_iteratorINSA_7pointerIxNSA_11hip_rocprim3tagENSA_11use_defaultESG_EEEEPS6_NSA_18transform_iteratorI10is_orderedNSA_12zip_iteratorINSA_5tupleINSC_INSA_10device_ptrIxEEEESQ_NSA_9null_typeESR_SR_SR_SR_SR_SR_SR_EEEESG_SG_EENS0_5tupleIJPxSJ_EEENSV_IJSJ_SJ_EEES6_PlJS6_EEE10hipError_tPvRmT3_T4_T5_T6_T7_T9_mT8_P12ihipStream_tbDpT10_ENKUlT_T0_E_clISt17integral_constantIbLb0EES1I_IbLb1EEEEDaS1E_S1F_EUlS1E_E_NS1_11comp_targetILNS1_3genE10ELNS1_11target_archE1200ELNS1_3gpuE4ELNS1_3repE0EEENS1_30default_config_static_selectorELNS0_4arch9wavefront6targetE1EEEvT1_
    .private_segment_fixed_size: 0
    .sgpr_count:     4
    .sgpr_spill_count: 0
    .symbol:         _ZN7rocprim17ROCPRIM_400000_NS6detail17trampoline_kernelINS0_14default_configENS1_25partition_config_selectorILNS1_17partition_subalgoE2ExNS0_10empty_typeEbEEZZNS1_14partition_implILS5_2ELb0ES3_jN6thrust23THRUST_200600_302600_NS6detail15normal_iteratorINSA_7pointerIxNSA_11hip_rocprim3tagENSA_11use_defaultESG_EEEEPS6_NSA_18transform_iteratorI10is_orderedNSA_12zip_iteratorINSA_5tupleINSC_INSA_10device_ptrIxEEEESQ_NSA_9null_typeESR_SR_SR_SR_SR_SR_SR_EEEESG_SG_EENS0_5tupleIJPxSJ_EEENSV_IJSJ_SJ_EEES6_PlJS6_EEE10hipError_tPvRmT3_T4_T5_T6_T7_T9_mT8_P12ihipStream_tbDpT10_ENKUlT_T0_E_clISt17integral_constantIbLb0EES1I_IbLb1EEEEDaS1E_S1F_EUlS1E_E_NS1_11comp_targetILNS1_3genE10ELNS1_11target_archE1200ELNS1_3gpuE4ELNS1_3repE0EEENS1_30default_config_static_selectorELNS0_4arch9wavefront6targetE1EEEvT1_.kd
    .uniform_work_group_size: 1
    .uses_dynamic_stack: false
    .vgpr_count:     0
    .vgpr_spill_count: 0
    .wavefront_size: 64
  - .agpr_count:     0
    .args:
      - .offset:         0
        .size:           152
        .value_kind:     by_value
    .group_segment_fixed_size: 0
    .kernarg_segment_align: 8
    .kernarg_segment_size: 152
    .language:       OpenCL C
    .language_version:
      - 2
      - 0
    .max_flat_workgroup_size: 512
    .name:           _ZN7rocprim17ROCPRIM_400000_NS6detail17trampoline_kernelINS0_14default_configENS1_25partition_config_selectorILNS1_17partition_subalgoE2ExNS0_10empty_typeEbEEZZNS1_14partition_implILS5_2ELb0ES3_jN6thrust23THRUST_200600_302600_NS6detail15normal_iteratorINSA_7pointerIxNSA_11hip_rocprim3tagENSA_11use_defaultESG_EEEEPS6_NSA_18transform_iteratorI10is_orderedNSA_12zip_iteratorINSA_5tupleINSC_INSA_10device_ptrIxEEEESQ_NSA_9null_typeESR_SR_SR_SR_SR_SR_SR_EEEESG_SG_EENS0_5tupleIJPxSJ_EEENSV_IJSJ_SJ_EEES6_PlJS6_EEE10hipError_tPvRmT3_T4_T5_T6_T7_T9_mT8_P12ihipStream_tbDpT10_ENKUlT_T0_E_clISt17integral_constantIbLb0EES1I_IbLb1EEEEDaS1E_S1F_EUlS1E_E_NS1_11comp_targetILNS1_3genE9ELNS1_11target_archE1100ELNS1_3gpuE3ELNS1_3repE0EEENS1_30default_config_static_selectorELNS0_4arch9wavefront6targetE1EEEvT1_
    .private_segment_fixed_size: 0
    .sgpr_count:     4
    .sgpr_spill_count: 0
    .symbol:         _ZN7rocprim17ROCPRIM_400000_NS6detail17trampoline_kernelINS0_14default_configENS1_25partition_config_selectorILNS1_17partition_subalgoE2ExNS0_10empty_typeEbEEZZNS1_14partition_implILS5_2ELb0ES3_jN6thrust23THRUST_200600_302600_NS6detail15normal_iteratorINSA_7pointerIxNSA_11hip_rocprim3tagENSA_11use_defaultESG_EEEEPS6_NSA_18transform_iteratorI10is_orderedNSA_12zip_iteratorINSA_5tupleINSC_INSA_10device_ptrIxEEEESQ_NSA_9null_typeESR_SR_SR_SR_SR_SR_SR_EEEESG_SG_EENS0_5tupleIJPxSJ_EEENSV_IJSJ_SJ_EEES6_PlJS6_EEE10hipError_tPvRmT3_T4_T5_T6_T7_T9_mT8_P12ihipStream_tbDpT10_ENKUlT_T0_E_clISt17integral_constantIbLb0EES1I_IbLb1EEEEDaS1E_S1F_EUlS1E_E_NS1_11comp_targetILNS1_3genE9ELNS1_11target_archE1100ELNS1_3gpuE3ELNS1_3repE0EEENS1_30default_config_static_selectorELNS0_4arch9wavefront6targetE1EEEvT1_.kd
    .uniform_work_group_size: 1
    .uses_dynamic_stack: false
    .vgpr_count:     0
    .vgpr_spill_count: 0
    .wavefront_size: 64
  - .agpr_count:     0
    .args:
      - .offset:         0
        .size:           152
        .value_kind:     by_value
    .group_segment_fixed_size: 0
    .kernarg_segment_align: 8
    .kernarg_segment_size: 152
    .language:       OpenCL C
    .language_version:
      - 2
      - 0
    .max_flat_workgroup_size: 512
    .name:           _ZN7rocprim17ROCPRIM_400000_NS6detail17trampoline_kernelINS0_14default_configENS1_25partition_config_selectorILNS1_17partition_subalgoE2ExNS0_10empty_typeEbEEZZNS1_14partition_implILS5_2ELb0ES3_jN6thrust23THRUST_200600_302600_NS6detail15normal_iteratorINSA_7pointerIxNSA_11hip_rocprim3tagENSA_11use_defaultESG_EEEEPS6_NSA_18transform_iteratorI10is_orderedNSA_12zip_iteratorINSA_5tupleINSC_INSA_10device_ptrIxEEEESQ_NSA_9null_typeESR_SR_SR_SR_SR_SR_SR_EEEESG_SG_EENS0_5tupleIJPxSJ_EEENSV_IJSJ_SJ_EEES6_PlJS6_EEE10hipError_tPvRmT3_T4_T5_T6_T7_T9_mT8_P12ihipStream_tbDpT10_ENKUlT_T0_E_clISt17integral_constantIbLb0EES1I_IbLb1EEEEDaS1E_S1F_EUlS1E_E_NS1_11comp_targetILNS1_3genE8ELNS1_11target_archE1030ELNS1_3gpuE2ELNS1_3repE0EEENS1_30default_config_static_selectorELNS0_4arch9wavefront6targetE1EEEvT1_
    .private_segment_fixed_size: 0
    .sgpr_count:     4
    .sgpr_spill_count: 0
    .symbol:         _ZN7rocprim17ROCPRIM_400000_NS6detail17trampoline_kernelINS0_14default_configENS1_25partition_config_selectorILNS1_17partition_subalgoE2ExNS0_10empty_typeEbEEZZNS1_14partition_implILS5_2ELb0ES3_jN6thrust23THRUST_200600_302600_NS6detail15normal_iteratorINSA_7pointerIxNSA_11hip_rocprim3tagENSA_11use_defaultESG_EEEEPS6_NSA_18transform_iteratorI10is_orderedNSA_12zip_iteratorINSA_5tupleINSC_INSA_10device_ptrIxEEEESQ_NSA_9null_typeESR_SR_SR_SR_SR_SR_SR_EEEESG_SG_EENS0_5tupleIJPxSJ_EEENSV_IJSJ_SJ_EEES6_PlJS6_EEE10hipError_tPvRmT3_T4_T5_T6_T7_T9_mT8_P12ihipStream_tbDpT10_ENKUlT_T0_E_clISt17integral_constantIbLb0EES1I_IbLb1EEEEDaS1E_S1F_EUlS1E_E_NS1_11comp_targetILNS1_3genE8ELNS1_11target_archE1030ELNS1_3gpuE2ELNS1_3repE0EEENS1_30default_config_static_selectorELNS0_4arch9wavefront6targetE1EEEvT1_.kd
    .uniform_work_group_size: 1
    .uses_dynamic_stack: false
    .vgpr_count:     0
    .vgpr_spill_count: 0
    .wavefront_size: 64
  - .agpr_count:     0
    .args:
      - .offset:         0
        .size:           136
        .value_kind:     by_value
    .group_segment_fixed_size: 0
    .kernarg_segment_align: 8
    .kernarg_segment_size: 136
    .language:       OpenCL C
    .language_version:
      - 2
      - 0
    .max_flat_workgroup_size: 128
    .name:           _ZN7rocprim17ROCPRIM_400000_NS6detail17trampoline_kernelINS0_14default_configENS1_25partition_config_selectorILNS1_17partition_subalgoE2EiNS0_10empty_typeEbEEZZNS1_14partition_implILS5_2ELb0ES3_jN6thrust23THRUST_200600_302600_NS6detail15normal_iteratorINSA_7pointerIiNSA_11hip_rocprim3tagENSA_11use_defaultESG_EEEEPS6_NSA_18transform_iteratorI10is_orderedNSA_12zip_iteratorINSA_5tupleINSC_INSA_10device_ptrIiEEEESQ_NSA_9null_typeESR_SR_SR_SR_SR_SR_SR_EEEESG_SG_EENS0_5tupleIJPiSJ_EEENSV_IJSJ_SJ_EEES6_PlJS6_EEE10hipError_tPvRmT3_T4_T5_T6_T7_T9_mT8_P12ihipStream_tbDpT10_ENKUlT_T0_E_clISt17integral_constantIbLb0EES1J_EEDaS1E_S1F_EUlS1E_E_NS1_11comp_targetILNS1_3genE0ELNS1_11target_archE4294967295ELNS1_3gpuE0ELNS1_3repE0EEENS1_30default_config_static_selectorELNS0_4arch9wavefront6targetE1EEEvT1_
    .private_segment_fixed_size: 0
    .sgpr_count:     4
    .sgpr_spill_count: 0
    .symbol:         _ZN7rocprim17ROCPRIM_400000_NS6detail17trampoline_kernelINS0_14default_configENS1_25partition_config_selectorILNS1_17partition_subalgoE2EiNS0_10empty_typeEbEEZZNS1_14partition_implILS5_2ELb0ES3_jN6thrust23THRUST_200600_302600_NS6detail15normal_iteratorINSA_7pointerIiNSA_11hip_rocprim3tagENSA_11use_defaultESG_EEEEPS6_NSA_18transform_iteratorI10is_orderedNSA_12zip_iteratorINSA_5tupleINSC_INSA_10device_ptrIiEEEESQ_NSA_9null_typeESR_SR_SR_SR_SR_SR_SR_EEEESG_SG_EENS0_5tupleIJPiSJ_EEENSV_IJSJ_SJ_EEES6_PlJS6_EEE10hipError_tPvRmT3_T4_T5_T6_T7_T9_mT8_P12ihipStream_tbDpT10_ENKUlT_T0_E_clISt17integral_constantIbLb0EES1J_EEDaS1E_S1F_EUlS1E_E_NS1_11comp_targetILNS1_3genE0ELNS1_11target_archE4294967295ELNS1_3gpuE0ELNS1_3repE0EEENS1_30default_config_static_selectorELNS0_4arch9wavefront6targetE1EEEvT1_.kd
    .uniform_work_group_size: 1
    .uses_dynamic_stack: false
    .vgpr_count:     0
    .vgpr_spill_count: 0
    .wavefront_size: 64
  - .agpr_count:     0
    .args:
      - .offset:         0
        .size:           136
        .value_kind:     by_value
    .group_segment_fixed_size: 0
    .kernarg_segment_align: 8
    .kernarg_segment_size: 136
    .language:       OpenCL C
    .language_version:
      - 2
      - 0
    .max_flat_workgroup_size: 512
    .name:           _ZN7rocprim17ROCPRIM_400000_NS6detail17trampoline_kernelINS0_14default_configENS1_25partition_config_selectorILNS1_17partition_subalgoE2EiNS0_10empty_typeEbEEZZNS1_14partition_implILS5_2ELb0ES3_jN6thrust23THRUST_200600_302600_NS6detail15normal_iteratorINSA_7pointerIiNSA_11hip_rocprim3tagENSA_11use_defaultESG_EEEEPS6_NSA_18transform_iteratorI10is_orderedNSA_12zip_iteratorINSA_5tupleINSC_INSA_10device_ptrIiEEEESQ_NSA_9null_typeESR_SR_SR_SR_SR_SR_SR_EEEESG_SG_EENS0_5tupleIJPiSJ_EEENSV_IJSJ_SJ_EEES6_PlJS6_EEE10hipError_tPvRmT3_T4_T5_T6_T7_T9_mT8_P12ihipStream_tbDpT10_ENKUlT_T0_E_clISt17integral_constantIbLb0EES1J_EEDaS1E_S1F_EUlS1E_E_NS1_11comp_targetILNS1_3genE5ELNS1_11target_archE942ELNS1_3gpuE9ELNS1_3repE0EEENS1_30default_config_static_selectorELNS0_4arch9wavefront6targetE1EEEvT1_
    .private_segment_fixed_size: 0
    .sgpr_count:     4
    .sgpr_spill_count: 0
    .symbol:         _ZN7rocprim17ROCPRIM_400000_NS6detail17trampoline_kernelINS0_14default_configENS1_25partition_config_selectorILNS1_17partition_subalgoE2EiNS0_10empty_typeEbEEZZNS1_14partition_implILS5_2ELb0ES3_jN6thrust23THRUST_200600_302600_NS6detail15normal_iteratorINSA_7pointerIiNSA_11hip_rocprim3tagENSA_11use_defaultESG_EEEEPS6_NSA_18transform_iteratorI10is_orderedNSA_12zip_iteratorINSA_5tupleINSC_INSA_10device_ptrIiEEEESQ_NSA_9null_typeESR_SR_SR_SR_SR_SR_SR_EEEESG_SG_EENS0_5tupleIJPiSJ_EEENSV_IJSJ_SJ_EEES6_PlJS6_EEE10hipError_tPvRmT3_T4_T5_T6_T7_T9_mT8_P12ihipStream_tbDpT10_ENKUlT_T0_E_clISt17integral_constantIbLb0EES1J_EEDaS1E_S1F_EUlS1E_E_NS1_11comp_targetILNS1_3genE5ELNS1_11target_archE942ELNS1_3gpuE9ELNS1_3repE0EEENS1_30default_config_static_selectorELNS0_4arch9wavefront6targetE1EEEvT1_.kd
    .uniform_work_group_size: 1
    .uses_dynamic_stack: false
    .vgpr_count:     0
    .vgpr_spill_count: 0
    .wavefront_size: 64
  - .agpr_count:     0
    .args:
      - .offset:         0
        .size:           136
        .value_kind:     by_value
    .group_segment_fixed_size: 10248
    .kernarg_segment_align: 8
    .kernarg_segment_size: 136
    .language:       OpenCL C
    .language_version:
      - 2
      - 0
    .max_flat_workgroup_size: 256
    .name:           _ZN7rocprim17ROCPRIM_400000_NS6detail17trampoline_kernelINS0_14default_configENS1_25partition_config_selectorILNS1_17partition_subalgoE2EiNS0_10empty_typeEbEEZZNS1_14partition_implILS5_2ELb0ES3_jN6thrust23THRUST_200600_302600_NS6detail15normal_iteratorINSA_7pointerIiNSA_11hip_rocprim3tagENSA_11use_defaultESG_EEEEPS6_NSA_18transform_iteratorI10is_orderedNSA_12zip_iteratorINSA_5tupleINSC_INSA_10device_ptrIiEEEESQ_NSA_9null_typeESR_SR_SR_SR_SR_SR_SR_EEEESG_SG_EENS0_5tupleIJPiSJ_EEENSV_IJSJ_SJ_EEES6_PlJS6_EEE10hipError_tPvRmT3_T4_T5_T6_T7_T9_mT8_P12ihipStream_tbDpT10_ENKUlT_T0_E_clISt17integral_constantIbLb0EES1J_EEDaS1E_S1F_EUlS1E_E_NS1_11comp_targetILNS1_3genE4ELNS1_11target_archE910ELNS1_3gpuE8ELNS1_3repE0EEENS1_30default_config_static_selectorELNS0_4arch9wavefront6targetE1EEEvT1_
    .private_segment_fixed_size: 0
    .sgpr_count:     50
    .sgpr_spill_count: 0
    .symbol:         _ZN7rocprim17ROCPRIM_400000_NS6detail17trampoline_kernelINS0_14default_configENS1_25partition_config_selectorILNS1_17partition_subalgoE2EiNS0_10empty_typeEbEEZZNS1_14partition_implILS5_2ELb0ES3_jN6thrust23THRUST_200600_302600_NS6detail15normal_iteratorINSA_7pointerIiNSA_11hip_rocprim3tagENSA_11use_defaultESG_EEEEPS6_NSA_18transform_iteratorI10is_orderedNSA_12zip_iteratorINSA_5tupleINSC_INSA_10device_ptrIiEEEESQ_NSA_9null_typeESR_SR_SR_SR_SR_SR_SR_EEEESG_SG_EENS0_5tupleIJPiSJ_EEENSV_IJSJ_SJ_EEES6_PlJS6_EEE10hipError_tPvRmT3_T4_T5_T6_T7_T9_mT8_P12ihipStream_tbDpT10_ENKUlT_T0_E_clISt17integral_constantIbLb0EES1J_EEDaS1E_S1F_EUlS1E_E_NS1_11comp_targetILNS1_3genE4ELNS1_11target_archE910ELNS1_3gpuE8ELNS1_3repE0EEENS1_30default_config_static_selectorELNS0_4arch9wavefront6targetE1EEEvT1_.kd
    .uniform_work_group_size: 1
    .uses_dynamic_stack: false
    .vgpr_count:     53
    .vgpr_spill_count: 0
    .wavefront_size: 64
  - .agpr_count:     0
    .args:
      - .offset:         0
        .size:           136
        .value_kind:     by_value
    .group_segment_fixed_size: 0
    .kernarg_segment_align: 8
    .kernarg_segment_size: 136
    .language:       OpenCL C
    .language_version:
      - 2
      - 0
    .max_flat_workgroup_size: 128
    .name:           _ZN7rocprim17ROCPRIM_400000_NS6detail17trampoline_kernelINS0_14default_configENS1_25partition_config_selectorILNS1_17partition_subalgoE2EiNS0_10empty_typeEbEEZZNS1_14partition_implILS5_2ELb0ES3_jN6thrust23THRUST_200600_302600_NS6detail15normal_iteratorINSA_7pointerIiNSA_11hip_rocprim3tagENSA_11use_defaultESG_EEEEPS6_NSA_18transform_iteratorI10is_orderedNSA_12zip_iteratorINSA_5tupleINSC_INSA_10device_ptrIiEEEESQ_NSA_9null_typeESR_SR_SR_SR_SR_SR_SR_EEEESG_SG_EENS0_5tupleIJPiSJ_EEENSV_IJSJ_SJ_EEES6_PlJS6_EEE10hipError_tPvRmT3_T4_T5_T6_T7_T9_mT8_P12ihipStream_tbDpT10_ENKUlT_T0_E_clISt17integral_constantIbLb0EES1J_EEDaS1E_S1F_EUlS1E_E_NS1_11comp_targetILNS1_3genE3ELNS1_11target_archE908ELNS1_3gpuE7ELNS1_3repE0EEENS1_30default_config_static_selectorELNS0_4arch9wavefront6targetE1EEEvT1_
    .private_segment_fixed_size: 0
    .sgpr_count:     4
    .sgpr_spill_count: 0
    .symbol:         _ZN7rocprim17ROCPRIM_400000_NS6detail17trampoline_kernelINS0_14default_configENS1_25partition_config_selectorILNS1_17partition_subalgoE2EiNS0_10empty_typeEbEEZZNS1_14partition_implILS5_2ELb0ES3_jN6thrust23THRUST_200600_302600_NS6detail15normal_iteratorINSA_7pointerIiNSA_11hip_rocprim3tagENSA_11use_defaultESG_EEEEPS6_NSA_18transform_iteratorI10is_orderedNSA_12zip_iteratorINSA_5tupleINSC_INSA_10device_ptrIiEEEESQ_NSA_9null_typeESR_SR_SR_SR_SR_SR_SR_EEEESG_SG_EENS0_5tupleIJPiSJ_EEENSV_IJSJ_SJ_EEES6_PlJS6_EEE10hipError_tPvRmT3_T4_T5_T6_T7_T9_mT8_P12ihipStream_tbDpT10_ENKUlT_T0_E_clISt17integral_constantIbLb0EES1J_EEDaS1E_S1F_EUlS1E_E_NS1_11comp_targetILNS1_3genE3ELNS1_11target_archE908ELNS1_3gpuE7ELNS1_3repE0EEENS1_30default_config_static_selectorELNS0_4arch9wavefront6targetE1EEEvT1_.kd
    .uniform_work_group_size: 1
    .uses_dynamic_stack: false
    .vgpr_count:     0
    .vgpr_spill_count: 0
    .wavefront_size: 64
  - .agpr_count:     0
    .args:
      - .offset:         0
        .size:           136
        .value_kind:     by_value
    .group_segment_fixed_size: 0
    .kernarg_segment_align: 8
    .kernarg_segment_size: 136
    .language:       OpenCL C
    .language_version:
      - 2
      - 0
    .max_flat_workgroup_size: 256
    .name:           _ZN7rocprim17ROCPRIM_400000_NS6detail17trampoline_kernelINS0_14default_configENS1_25partition_config_selectorILNS1_17partition_subalgoE2EiNS0_10empty_typeEbEEZZNS1_14partition_implILS5_2ELb0ES3_jN6thrust23THRUST_200600_302600_NS6detail15normal_iteratorINSA_7pointerIiNSA_11hip_rocprim3tagENSA_11use_defaultESG_EEEEPS6_NSA_18transform_iteratorI10is_orderedNSA_12zip_iteratorINSA_5tupleINSC_INSA_10device_ptrIiEEEESQ_NSA_9null_typeESR_SR_SR_SR_SR_SR_SR_EEEESG_SG_EENS0_5tupleIJPiSJ_EEENSV_IJSJ_SJ_EEES6_PlJS6_EEE10hipError_tPvRmT3_T4_T5_T6_T7_T9_mT8_P12ihipStream_tbDpT10_ENKUlT_T0_E_clISt17integral_constantIbLb0EES1J_EEDaS1E_S1F_EUlS1E_E_NS1_11comp_targetILNS1_3genE2ELNS1_11target_archE906ELNS1_3gpuE6ELNS1_3repE0EEENS1_30default_config_static_selectorELNS0_4arch9wavefront6targetE1EEEvT1_
    .private_segment_fixed_size: 0
    .sgpr_count:     4
    .sgpr_spill_count: 0
    .symbol:         _ZN7rocprim17ROCPRIM_400000_NS6detail17trampoline_kernelINS0_14default_configENS1_25partition_config_selectorILNS1_17partition_subalgoE2EiNS0_10empty_typeEbEEZZNS1_14partition_implILS5_2ELb0ES3_jN6thrust23THRUST_200600_302600_NS6detail15normal_iteratorINSA_7pointerIiNSA_11hip_rocprim3tagENSA_11use_defaultESG_EEEEPS6_NSA_18transform_iteratorI10is_orderedNSA_12zip_iteratorINSA_5tupleINSC_INSA_10device_ptrIiEEEESQ_NSA_9null_typeESR_SR_SR_SR_SR_SR_SR_EEEESG_SG_EENS0_5tupleIJPiSJ_EEENSV_IJSJ_SJ_EEES6_PlJS6_EEE10hipError_tPvRmT3_T4_T5_T6_T7_T9_mT8_P12ihipStream_tbDpT10_ENKUlT_T0_E_clISt17integral_constantIbLb0EES1J_EEDaS1E_S1F_EUlS1E_E_NS1_11comp_targetILNS1_3genE2ELNS1_11target_archE906ELNS1_3gpuE6ELNS1_3repE0EEENS1_30default_config_static_selectorELNS0_4arch9wavefront6targetE1EEEvT1_.kd
    .uniform_work_group_size: 1
    .uses_dynamic_stack: false
    .vgpr_count:     0
    .vgpr_spill_count: 0
    .wavefront_size: 64
  - .agpr_count:     0
    .args:
      - .offset:         0
        .size:           136
        .value_kind:     by_value
    .group_segment_fixed_size: 0
    .kernarg_segment_align: 8
    .kernarg_segment_size: 136
    .language:       OpenCL C
    .language_version:
      - 2
      - 0
    .max_flat_workgroup_size: 384
    .name:           _ZN7rocprim17ROCPRIM_400000_NS6detail17trampoline_kernelINS0_14default_configENS1_25partition_config_selectorILNS1_17partition_subalgoE2EiNS0_10empty_typeEbEEZZNS1_14partition_implILS5_2ELb0ES3_jN6thrust23THRUST_200600_302600_NS6detail15normal_iteratorINSA_7pointerIiNSA_11hip_rocprim3tagENSA_11use_defaultESG_EEEEPS6_NSA_18transform_iteratorI10is_orderedNSA_12zip_iteratorINSA_5tupleINSC_INSA_10device_ptrIiEEEESQ_NSA_9null_typeESR_SR_SR_SR_SR_SR_SR_EEEESG_SG_EENS0_5tupleIJPiSJ_EEENSV_IJSJ_SJ_EEES6_PlJS6_EEE10hipError_tPvRmT3_T4_T5_T6_T7_T9_mT8_P12ihipStream_tbDpT10_ENKUlT_T0_E_clISt17integral_constantIbLb0EES1J_EEDaS1E_S1F_EUlS1E_E_NS1_11comp_targetILNS1_3genE10ELNS1_11target_archE1200ELNS1_3gpuE4ELNS1_3repE0EEENS1_30default_config_static_selectorELNS0_4arch9wavefront6targetE1EEEvT1_
    .private_segment_fixed_size: 0
    .sgpr_count:     4
    .sgpr_spill_count: 0
    .symbol:         _ZN7rocprim17ROCPRIM_400000_NS6detail17trampoline_kernelINS0_14default_configENS1_25partition_config_selectorILNS1_17partition_subalgoE2EiNS0_10empty_typeEbEEZZNS1_14partition_implILS5_2ELb0ES3_jN6thrust23THRUST_200600_302600_NS6detail15normal_iteratorINSA_7pointerIiNSA_11hip_rocprim3tagENSA_11use_defaultESG_EEEEPS6_NSA_18transform_iteratorI10is_orderedNSA_12zip_iteratorINSA_5tupleINSC_INSA_10device_ptrIiEEEESQ_NSA_9null_typeESR_SR_SR_SR_SR_SR_SR_EEEESG_SG_EENS0_5tupleIJPiSJ_EEENSV_IJSJ_SJ_EEES6_PlJS6_EEE10hipError_tPvRmT3_T4_T5_T6_T7_T9_mT8_P12ihipStream_tbDpT10_ENKUlT_T0_E_clISt17integral_constantIbLb0EES1J_EEDaS1E_S1F_EUlS1E_E_NS1_11comp_targetILNS1_3genE10ELNS1_11target_archE1200ELNS1_3gpuE4ELNS1_3repE0EEENS1_30default_config_static_selectorELNS0_4arch9wavefront6targetE1EEEvT1_.kd
    .uniform_work_group_size: 1
    .uses_dynamic_stack: false
    .vgpr_count:     0
    .vgpr_spill_count: 0
    .wavefront_size: 64
  - .agpr_count:     0
    .args:
      - .offset:         0
        .size:           136
        .value_kind:     by_value
    .group_segment_fixed_size: 0
    .kernarg_segment_align: 8
    .kernarg_segment_size: 136
    .language:       OpenCL C
    .language_version:
      - 2
      - 0
    .max_flat_workgroup_size: 128
    .name:           _ZN7rocprim17ROCPRIM_400000_NS6detail17trampoline_kernelINS0_14default_configENS1_25partition_config_selectorILNS1_17partition_subalgoE2EiNS0_10empty_typeEbEEZZNS1_14partition_implILS5_2ELb0ES3_jN6thrust23THRUST_200600_302600_NS6detail15normal_iteratorINSA_7pointerIiNSA_11hip_rocprim3tagENSA_11use_defaultESG_EEEEPS6_NSA_18transform_iteratorI10is_orderedNSA_12zip_iteratorINSA_5tupleINSC_INSA_10device_ptrIiEEEESQ_NSA_9null_typeESR_SR_SR_SR_SR_SR_SR_EEEESG_SG_EENS0_5tupleIJPiSJ_EEENSV_IJSJ_SJ_EEES6_PlJS6_EEE10hipError_tPvRmT3_T4_T5_T6_T7_T9_mT8_P12ihipStream_tbDpT10_ENKUlT_T0_E_clISt17integral_constantIbLb0EES1J_EEDaS1E_S1F_EUlS1E_E_NS1_11comp_targetILNS1_3genE9ELNS1_11target_archE1100ELNS1_3gpuE3ELNS1_3repE0EEENS1_30default_config_static_selectorELNS0_4arch9wavefront6targetE1EEEvT1_
    .private_segment_fixed_size: 0
    .sgpr_count:     4
    .sgpr_spill_count: 0
    .symbol:         _ZN7rocprim17ROCPRIM_400000_NS6detail17trampoline_kernelINS0_14default_configENS1_25partition_config_selectorILNS1_17partition_subalgoE2EiNS0_10empty_typeEbEEZZNS1_14partition_implILS5_2ELb0ES3_jN6thrust23THRUST_200600_302600_NS6detail15normal_iteratorINSA_7pointerIiNSA_11hip_rocprim3tagENSA_11use_defaultESG_EEEEPS6_NSA_18transform_iteratorI10is_orderedNSA_12zip_iteratorINSA_5tupleINSC_INSA_10device_ptrIiEEEESQ_NSA_9null_typeESR_SR_SR_SR_SR_SR_SR_EEEESG_SG_EENS0_5tupleIJPiSJ_EEENSV_IJSJ_SJ_EEES6_PlJS6_EEE10hipError_tPvRmT3_T4_T5_T6_T7_T9_mT8_P12ihipStream_tbDpT10_ENKUlT_T0_E_clISt17integral_constantIbLb0EES1J_EEDaS1E_S1F_EUlS1E_E_NS1_11comp_targetILNS1_3genE9ELNS1_11target_archE1100ELNS1_3gpuE3ELNS1_3repE0EEENS1_30default_config_static_selectorELNS0_4arch9wavefront6targetE1EEEvT1_.kd
    .uniform_work_group_size: 1
    .uses_dynamic_stack: false
    .vgpr_count:     0
    .vgpr_spill_count: 0
    .wavefront_size: 64
  - .agpr_count:     0
    .args:
      - .offset:         0
        .size:           136
        .value_kind:     by_value
    .group_segment_fixed_size: 0
    .kernarg_segment_align: 8
    .kernarg_segment_size: 136
    .language:       OpenCL C
    .language_version:
      - 2
      - 0
    .max_flat_workgroup_size: 512
    .name:           _ZN7rocprim17ROCPRIM_400000_NS6detail17trampoline_kernelINS0_14default_configENS1_25partition_config_selectorILNS1_17partition_subalgoE2EiNS0_10empty_typeEbEEZZNS1_14partition_implILS5_2ELb0ES3_jN6thrust23THRUST_200600_302600_NS6detail15normal_iteratorINSA_7pointerIiNSA_11hip_rocprim3tagENSA_11use_defaultESG_EEEEPS6_NSA_18transform_iteratorI10is_orderedNSA_12zip_iteratorINSA_5tupleINSC_INSA_10device_ptrIiEEEESQ_NSA_9null_typeESR_SR_SR_SR_SR_SR_SR_EEEESG_SG_EENS0_5tupleIJPiSJ_EEENSV_IJSJ_SJ_EEES6_PlJS6_EEE10hipError_tPvRmT3_T4_T5_T6_T7_T9_mT8_P12ihipStream_tbDpT10_ENKUlT_T0_E_clISt17integral_constantIbLb0EES1J_EEDaS1E_S1F_EUlS1E_E_NS1_11comp_targetILNS1_3genE8ELNS1_11target_archE1030ELNS1_3gpuE2ELNS1_3repE0EEENS1_30default_config_static_selectorELNS0_4arch9wavefront6targetE1EEEvT1_
    .private_segment_fixed_size: 0
    .sgpr_count:     4
    .sgpr_spill_count: 0
    .symbol:         _ZN7rocprim17ROCPRIM_400000_NS6detail17trampoline_kernelINS0_14default_configENS1_25partition_config_selectorILNS1_17partition_subalgoE2EiNS0_10empty_typeEbEEZZNS1_14partition_implILS5_2ELb0ES3_jN6thrust23THRUST_200600_302600_NS6detail15normal_iteratorINSA_7pointerIiNSA_11hip_rocprim3tagENSA_11use_defaultESG_EEEEPS6_NSA_18transform_iteratorI10is_orderedNSA_12zip_iteratorINSA_5tupleINSC_INSA_10device_ptrIiEEEESQ_NSA_9null_typeESR_SR_SR_SR_SR_SR_SR_EEEESG_SG_EENS0_5tupleIJPiSJ_EEENSV_IJSJ_SJ_EEES6_PlJS6_EEE10hipError_tPvRmT3_T4_T5_T6_T7_T9_mT8_P12ihipStream_tbDpT10_ENKUlT_T0_E_clISt17integral_constantIbLb0EES1J_EEDaS1E_S1F_EUlS1E_E_NS1_11comp_targetILNS1_3genE8ELNS1_11target_archE1030ELNS1_3gpuE2ELNS1_3repE0EEENS1_30default_config_static_selectorELNS0_4arch9wavefront6targetE1EEEvT1_.kd
    .uniform_work_group_size: 1
    .uses_dynamic_stack: false
    .vgpr_count:     0
    .vgpr_spill_count: 0
    .wavefront_size: 64
  - .agpr_count:     0
    .args:
      - .offset:         0
        .size:           152
        .value_kind:     by_value
    .group_segment_fixed_size: 0
    .kernarg_segment_align: 8
    .kernarg_segment_size: 152
    .language:       OpenCL C
    .language_version:
      - 2
      - 0
    .max_flat_workgroup_size: 128
    .name:           _ZN7rocprim17ROCPRIM_400000_NS6detail17trampoline_kernelINS0_14default_configENS1_25partition_config_selectorILNS1_17partition_subalgoE2EiNS0_10empty_typeEbEEZZNS1_14partition_implILS5_2ELb0ES3_jN6thrust23THRUST_200600_302600_NS6detail15normal_iteratorINSA_7pointerIiNSA_11hip_rocprim3tagENSA_11use_defaultESG_EEEEPS6_NSA_18transform_iteratorI10is_orderedNSA_12zip_iteratorINSA_5tupleINSC_INSA_10device_ptrIiEEEESQ_NSA_9null_typeESR_SR_SR_SR_SR_SR_SR_EEEESG_SG_EENS0_5tupleIJPiSJ_EEENSV_IJSJ_SJ_EEES6_PlJS6_EEE10hipError_tPvRmT3_T4_T5_T6_T7_T9_mT8_P12ihipStream_tbDpT10_ENKUlT_T0_E_clISt17integral_constantIbLb1EES1J_EEDaS1E_S1F_EUlS1E_E_NS1_11comp_targetILNS1_3genE0ELNS1_11target_archE4294967295ELNS1_3gpuE0ELNS1_3repE0EEENS1_30default_config_static_selectorELNS0_4arch9wavefront6targetE1EEEvT1_
    .private_segment_fixed_size: 0
    .sgpr_count:     4
    .sgpr_spill_count: 0
    .symbol:         _ZN7rocprim17ROCPRIM_400000_NS6detail17trampoline_kernelINS0_14default_configENS1_25partition_config_selectorILNS1_17partition_subalgoE2EiNS0_10empty_typeEbEEZZNS1_14partition_implILS5_2ELb0ES3_jN6thrust23THRUST_200600_302600_NS6detail15normal_iteratorINSA_7pointerIiNSA_11hip_rocprim3tagENSA_11use_defaultESG_EEEEPS6_NSA_18transform_iteratorI10is_orderedNSA_12zip_iteratorINSA_5tupleINSC_INSA_10device_ptrIiEEEESQ_NSA_9null_typeESR_SR_SR_SR_SR_SR_SR_EEEESG_SG_EENS0_5tupleIJPiSJ_EEENSV_IJSJ_SJ_EEES6_PlJS6_EEE10hipError_tPvRmT3_T4_T5_T6_T7_T9_mT8_P12ihipStream_tbDpT10_ENKUlT_T0_E_clISt17integral_constantIbLb1EES1J_EEDaS1E_S1F_EUlS1E_E_NS1_11comp_targetILNS1_3genE0ELNS1_11target_archE4294967295ELNS1_3gpuE0ELNS1_3repE0EEENS1_30default_config_static_selectorELNS0_4arch9wavefront6targetE1EEEvT1_.kd
    .uniform_work_group_size: 1
    .uses_dynamic_stack: false
    .vgpr_count:     0
    .vgpr_spill_count: 0
    .wavefront_size: 64
  - .agpr_count:     0
    .args:
      - .offset:         0
        .size:           152
        .value_kind:     by_value
    .group_segment_fixed_size: 0
    .kernarg_segment_align: 8
    .kernarg_segment_size: 152
    .language:       OpenCL C
    .language_version:
      - 2
      - 0
    .max_flat_workgroup_size: 512
    .name:           _ZN7rocprim17ROCPRIM_400000_NS6detail17trampoline_kernelINS0_14default_configENS1_25partition_config_selectorILNS1_17partition_subalgoE2EiNS0_10empty_typeEbEEZZNS1_14partition_implILS5_2ELb0ES3_jN6thrust23THRUST_200600_302600_NS6detail15normal_iteratorINSA_7pointerIiNSA_11hip_rocprim3tagENSA_11use_defaultESG_EEEEPS6_NSA_18transform_iteratorI10is_orderedNSA_12zip_iteratorINSA_5tupleINSC_INSA_10device_ptrIiEEEESQ_NSA_9null_typeESR_SR_SR_SR_SR_SR_SR_EEEESG_SG_EENS0_5tupleIJPiSJ_EEENSV_IJSJ_SJ_EEES6_PlJS6_EEE10hipError_tPvRmT3_T4_T5_T6_T7_T9_mT8_P12ihipStream_tbDpT10_ENKUlT_T0_E_clISt17integral_constantIbLb1EES1J_EEDaS1E_S1F_EUlS1E_E_NS1_11comp_targetILNS1_3genE5ELNS1_11target_archE942ELNS1_3gpuE9ELNS1_3repE0EEENS1_30default_config_static_selectorELNS0_4arch9wavefront6targetE1EEEvT1_
    .private_segment_fixed_size: 0
    .sgpr_count:     4
    .sgpr_spill_count: 0
    .symbol:         _ZN7rocprim17ROCPRIM_400000_NS6detail17trampoline_kernelINS0_14default_configENS1_25partition_config_selectorILNS1_17partition_subalgoE2EiNS0_10empty_typeEbEEZZNS1_14partition_implILS5_2ELb0ES3_jN6thrust23THRUST_200600_302600_NS6detail15normal_iteratorINSA_7pointerIiNSA_11hip_rocprim3tagENSA_11use_defaultESG_EEEEPS6_NSA_18transform_iteratorI10is_orderedNSA_12zip_iteratorINSA_5tupleINSC_INSA_10device_ptrIiEEEESQ_NSA_9null_typeESR_SR_SR_SR_SR_SR_SR_EEEESG_SG_EENS0_5tupleIJPiSJ_EEENSV_IJSJ_SJ_EEES6_PlJS6_EEE10hipError_tPvRmT3_T4_T5_T6_T7_T9_mT8_P12ihipStream_tbDpT10_ENKUlT_T0_E_clISt17integral_constantIbLb1EES1J_EEDaS1E_S1F_EUlS1E_E_NS1_11comp_targetILNS1_3genE5ELNS1_11target_archE942ELNS1_3gpuE9ELNS1_3repE0EEENS1_30default_config_static_selectorELNS0_4arch9wavefront6targetE1EEEvT1_.kd
    .uniform_work_group_size: 1
    .uses_dynamic_stack: false
    .vgpr_count:     0
    .vgpr_spill_count: 0
    .wavefront_size: 64
  - .agpr_count:     0
    .args:
      - .offset:         0
        .size:           152
        .value_kind:     by_value
    .group_segment_fixed_size: 10248
    .kernarg_segment_align: 8
    .kernarg_segment_size: 152
    .language:       OpenCL C
    .language_version:
      - 2
      - 0
    .max_flat_workgroup_size: 256
    .name:           _ZN7rocprim17ROCPRIM_400000_NS6detail17trampoline_kernelINS0_14default_configENS1_25partition_config_selectorILNS1_17partition_subalgoE2EiNS0_10empty_typeEbEEZZNS1_14partition_implILS5_2ELb0ES3_jN6thrust23THRUST_200600_302600_NS6detail15normal_iteratorINSA_7pointerIiNSA_11hip_rocprim3tagENSA_11use_defaultESG_EEEEPS6_NSA_18transform_iteratorI10is_orderedNSA_12zip_iteratorINSA_5tupleINSC_INSA_10device_ptrIiEEEESQ_NSA_9null_typeESR_SR_SR_SR_SR_SR_SR_EEEESG_SG_EENS0_5tupleIJPiSJ_EEENSV_IJSJ_SJ_EEES6_PlJS6_EEE10hipError_tPvRmT3_T4_T5_T6_T7_T9_mT8_P12ihipStream_tbDpT10_ENKUlT_T0_E_clISt17integral_constantIbLb1EES1J_EEDaS1E_S1F_EUlS1E_E_NS1_11comp_targetILNS1_3genE4ELNS1_11target_archE910ELNS1_3gpuE8ELNS1_3repE0EEENS1_30default_config_static_selectorELNS0_4arch9wavefront6targetE1EEEvT1_
    .private_segment_fixed_size: 0
    .sgpr_count:     50
    .sgpr_spill_count: 0
    .symbol:         _ZN7rocprim17ROCPRIM_400000_NS6detail17trampoline_kernelINS0_14default_configENS1_25partition_config_selectorILNS1_17partition_subalgoE2EiNS0_10empty_typeEbEEZZNS1_14partition_implILS5_2ELb0ES3_jN6thrust23THRUST_200600_302600_NS6detail15normal_iteratorINSA_7pointerIiNSA_11hip_rocprim3tagENSA_11use_defaultESG_EEEEPS6_NSA_18transform_iteratorI10is_orderedNSA_12zip_iteratorINSA_5tupleINSC_INSA_10device_ptrIiEEEESQ_NSA_9null_typeESR_SR_SR_SR_SR_SR_SR_EEEESG_SG_EENS0_5tupleIJPiSJ_EEENSV_IJSJ_SJ_EEES6_PlJS6_EEE10hipError_tPvRmT3_T4_T5_T6_T7_T9_mT8_P12ihipStream_tbDpT10_ENKUlT_T0_E_clISt17integral_constantIbLb1EES1J_EEDaS1E_S1F_EUlS1E_E_NS1_11comp_targetILNS1_3genE4ELNS1_11target_archE910ELNS1_3gpuE8ELNS1_3repE0EEENS1_30default_config_static_selectorELNS0_4arch9wavefront6targetE1EEEvT1_.kd
    .uniform_work_group_size: 1
    .uses_dynamic_stack: false
    .vgpr_count:     55
    .vgpr_spill_count: 0
    .wavefront_size: 64
  - .agpr_count:     0
    .args:
      - .offset:         0
        .size:           152
        .value_kind:     by_value
    .group_segment_fixed_size: 0
    .kernarg_segment_align: 8
    .kernarg_segment_size: 152
    .language:       OpenCL C
    .language_version:
      - 2
      - 0
    .max_flat_workgroup_size: 128
    .name:           _ZN7rocprim17ROCPRIM_400000_NS6detail17trampoline_kernelINS0_14default_configENS1_25partition_config_selectorILNS1_17partition_subalgoE2EiNS0_10empty_typeEbEEZZNS1_14partition_implILS5_2ELb0ES3_jN6thrust23THRUST_200600_302600_NS6detail15normal_iteratorINSA_7pointerIiNSA_11hip_rocprim3tagENSA_11use_defaultESG_EEEEPS6_NSA_18transform_iteratorI10is_orderedNSA_12zip_iteratorINSA_5tupleINSC_INSA_10device_ptrIiEEEESQ_NSA_9null_typeESR_SR_SR_SR_SR_SR_SR_EEEESG_SG_EENS0_5tupleIJPiSJ_EEENSV_IJSJ_SJ_EEES6_PlJS6_EEE10hipError_tPvRmT3_T4_T5_T6_T7_T9_mT8_P12ihipStream_tbDpT10_ENKUlT_T0_E_clISt17integral_constantIbLb1EES1J_EEDaS1E_S1F_EUlS1E_E_NS1_11comp_targetILNS1_3genE3ELNS1_11target_archE908ELNS1_3gpuE7ELNS1_3repE0EEENS1_30default_config_static_selectorELNS0_4arch9wavefront6targetE1EEEvT1_
    .private_segment_fixed_size: 0
    .sgpr_count:     4
    .sgpr_spill_count: 0
    .symbol:         _ZN7rocprim17ROCPRIM_400000_NS6detail17trampoline_kernelINS0_14default_configENS1_25partition_config_selectorILNS1_17partition_subalgoE2EiNS0_10empty_typeEbEEZZNS1_14partition_implILS5_2ELb0ES3_jN6thrust23THRUST_200600_302600_NS6detail15normal_iteratorINSA_7pointerIiNSA_11hip_rocprim3tagENSA_11use_defaultESG_EEEEPS6_NSA_18transform_iteratorI10is_orderedNSA_12zip_iteratorINSA_5tupleINSC_INSA_10device_ptrIiEEEESQ_NSA_9null_typeESR_SR_SR_SR_SR_SR_SR_EEEESG_SG_EENS0_5tupleIJPiSJ_EEENSV_IJSJ_SJ_EEES6_PlJS6_EEE10hipError_tPvRmT3_T4_T5_T6_T7_T9_mT8_P12ihipStream_tbDpT10_ENKUlT_T0_E_clISt17integral_constantIbLb1EES1J_EEDaS1E_S1F_EUlS1E_E_NS1_11comp_targetILNS1_3genE3ELNS1_11target_archE908ELNS1_3gpuE7ELNS1_3repE0EEENS1_30default_config_static_selectorELNS0_4arch9wavefront6targetE1EEEvT1_.kd
    .uniform_work_group_size: 1
    .uses_dynamic_stack: false
    .vgpr_count:     0
    .vgpr_spill_count: 0
    .wavefront_size: 64
  - .agpr_count:     0
    .args:
      - .offset:         0
        .size:           152
        .value_kind:     by_value
    .group_segment_fixed_size: 0
    .kernarg_segment_align: 8
    .kernarg_segment_size: 152
    .language:       OpenCL C
    .language_version:
      - 2
      - 0
    .max_flat_workgroup_size: 256
    .name:           _ZN7rocprim17ROCPRIM_400000_NS6detail17trampoline_kernelINS0_14default_configENS1_25partition_config_selectorILNS1_17partition_subalgoE2EiNS0_10empty_typeEbEEZZNS1_14partition_implILS5_2ELb0ES3_jN6thrust23THRUST_200600_302600_NS6detail15normal_iteratorINSA_7pointerIiNSA_11hip_rocprim3tagENSA_11use_defaultESG_EEEEPS6_NSA_18transform_iteratorI10is_orderedNSA_12zip_iteratorINSA_5tupleINSC_INSA_10device_ptrIiEEEESQ_NSA_9null_typeESR_SR_SR_SR_SR_SR_SR_EEEESG_SG_EENS0_5tupleIJPiSJ_EEENSV_IJSJ_SJ_EEES6_PlJS6_EEE10hipError_tPvRmT3_T4_T5_T6_T7_T9_mT8_P12ihipStream_tbDpT10_ENKUlT_T0_E_clISt17integral_constantIbLb1EES1J_EEDaS1E_S1F_EUlS1E_E_NS1_11comp_targetILNS1_3genE2ELNS1_11target_archE906ELNS1_3gpuE6ELNS1_3repE0EEENS1_30default_config_static_selectorELNS0_4arch9wavefront6targetE1EEEvT1_
    .private_segment_fixed_size: 0
    .sgpr_count:     4
    .sgpr_spill_count: 0
    .symbol:         _ZN7rocprim17ROCPRIM_400000_NS6detail17trampoline_kernelINS0_14default_configENS1_25partition_config_selectorILNS1_17partition_subalgoE2EiNS0_10empty_typeEbEEZZNS1_14partition_implILS5_2ELb0ES3_jN6thrust23THRUST_200600_302600_NS6detail15normal_iteratorINSA_7pointerIiNSA_11hip_rocprim3tagENSA_11use_defaultESG_EEEEPS6_NSA_18transform_iteratorI10is_orderedNSA_12zip_iteratorINSA_5tupleINSC_INSA_10device_ptrIiEEEESQ_NSA_9null_typeESR_SR_SR_SR_SR_SR_SR_EEEESG_SG_EENS0_5tupleIJPiSJ_EEENSV_IJSJ_SJ_EEES6_PlJS6_EEE10hipError_tPvRmT3_T4_T5_T6_T7_T9_mT8_P12ihipStream_tbDpT10_ENKUlT_T0_E_clISt17integral_constantIbLb1EES1J_EEDaS1E_S1F_EUlS1E_E_NS1_11comp_targetILNS1_3genE2ELNS1_11target_archE906ELNS1_3gpuE6ELNS1_3repE0EEENS1_30default_config_static_selectorELNS0_4arch9wavefront6targetE1EEEvT1_.kd
    .uniform_work_group_size: 1
    .uses_dynamic_stack: false
    .vgpr_count:     0
    .vgpr_spill_count: 0
    .wavefront_size: 64
  - .agpr_count:     0
    .args:
      - .offset:         0
        .size:           152
        .value_kind:     by_value
    .group_segment_fixed_size: 0
    .kernarg_segment_align: 8
    .kernarg_segment_size: 152
    .language:       OpenCL C
    .language_version:
      - 2
      - 0
    .max_flat_workgroup_size: 384
    .name:           _ZN7rocprim17ROCPRIM_400000_NS6detail17trampoline_kernelINS0_14default_configENS1_25partition_config_selectorILNS1_17partition_subalgoE2EiNS0_10empty_typeEbEEZZNS1_14partition_implILS5_2ELb0ES3_jN6thrust23THRUST_200600_302600_NS6detail15normal_iteratorINSA_7pointerIiNSA_11hip_rocprim3tagENSA_11use_defaultESG_EEEEPS6_NSA_18transform_iteratorI10is_orderedNSA_12zip_iteratorINSA_5tupleINSC_INSA_10device_ptrIiEEEESQ_NSA_9null_typeESR_SR_SR_SR_SR_SR_SR_EEEESG_SG_EENS0_5tupleIJPiSJ_EEENSV_IJSJ_SJ_EEES6_PlJS6_EEE10hipError_tPvRmT3_T4_T5_T6_T7_T9_mT8_P12ihipStream_tbDpT10_ENKUlT_T0_E_clISt17integral_constantIbLb1EES1J_EEDaS1E_S1F_EUlS1E_E_NS1_11comp_targetILNS1_3genE10ELNS1_11target_archE1200ELNS1_3gpuE4ELNS1_3repE0EEENS1_30default_config_static_selectorELNS0_4arch9wavefront6targetE1EEEvT1_
    .private_segment_fixed_size: 0
    .sgpr_count:     4
    .sgpr_spill_count: 0
    .symbol:         _ZN7rocprim17ROCPRIM_400000_NS6detail17trampoline_kernelINS0_14default_configENS1_25partition_config_selectorILNS1_17partition_subalgoE2EiNS0_10empty_typeEbEEZZNS1_14partition_implILS5_2ELb0ES3_jN6thrust23THRUST_200600_302600_NS6detail15normal_iteratorINSA_7pointerIiNSA_11hip_rocprim3tagENSA_11use_defaultESG_EEEEPS6_NSA_18transform_iteratorI10is_orderedNSA_12zip_iteratorINSA_5tupleINSC_INSA_10device_ptrIiEEEESQ_NSA_9null_typeESR_SR_SR_SR_SR_SR_SR_EEEESG_SG_EENS0_5tupleIJPiSJ_EEENSV_IJSJ_SJ_EEES6_PlJS6_EEE10hipError_tPvRmT3_T4_T5_T6_T7_T9_mT8_P12ihipStream_tbDpT10_ENKUlT_T0_E_clISt17integral_constantIbLb1EES1J_EEDaS1E_S1F_EUlS1E_E_NS1_11comp_targetILNS1_3genE10ELNS1_11target_archE1200ELNS1_3gpuE4ELNS1_3repE0EEENS1_30default_config_static_selectorELNS0_4arch9wavefront6targetE1EEEvT1_.kd
    .uniform_work_group_size: 1
    .uses_dynamic_stack: false
    .vgpr_count:     0
    .vgpr_spill_count: 0
    .wavefront_size: 64
  - .agpr_count:     0
    .args:
      - .offset:         0
        .size:           152
        .value_kind:     by_value
    .group_segment_fixed_size: 0
    .kernarg_segment_align: 8
    .kernarg_segment_size: 152
    .language:       OpenCL C
    .language_version:
      - 2
      - 0
    .max_flat_workgroup_size: 128
    .name:           _ZN7rocprim17ROCPRIM_400000_NS6detail17trampoline_kernelINS0_14default_configENS1_25partition_config_selectorILNS1_17partition_subalgoE2EiNS0_10empty_typeEbEEZZNS1_14partition_implILS5_2ELb0ES3_jN6thrust23THRUST_200600_302600_NS6detail15normal_iteratorINSA_7pointerIiNSA_11hip_rocprim3tagENSA_11use_defaultESG_EEEEPS6_NSA_18transform_iteratorI10is_orderedNSA_12zip_iteratorINSA_5tupleINSC_INSA_10device_ptrIiEEEESQ_NSA_9null_typeESR_SR_SR_SR_SR_SR_SR_EEEESG_SG_EENS0_5tupleIJPiSJ_EEENSV_IJSJ_SJ_EEES6_PlJS6_EEE10hipError_tPvRmT3_T4_T5_T6_T7_T9_mT8_P12ihipStream_tbDpT10_ENKUlT_T0_E_clISt17integral_constantIbLb1EES1J_EEDaS1E_S1F_EUlS1E_E_NS1_11comp_targetILNS1_3genE9ELNS1_11target_archE1100ELNS1_3gpuE3ELNS1_3repE0EEENS1_30default_config_static_selectorELNS0_4arch9wavefront6targetE1EEEvT1_
    .private_segment_fixed_size: 0
    .sgpr_count:     4
    .sgpr_spill_count: 0
    .symbol:         _ZN7rocprim17ROCPRIM_400000_NS6detail17trampoline_kernelINS0_14default_configENS1_25partition_config_selectorILNS1_17partition_subalgoE2EiNS0_10empty_typeEbEEZZNS1_14partition_implILS5_2ELb0ES3_jN6thrust23THRUST_200600_302600_NS6detail15normal_iteratorINSA_7pointerIiNSA_11hip_rocprim3tagENSA_11use_defaultESG_EEEEPS6_NSA_18transform_iteratorI10is_orderedNSA_12zip_iteratorINSA_5tupleINSC_INSA_10device_ptrIiEEEESQ_NSA_9null_typeESR_SR_SR_SR_SR_SR_SR_EEEESG_SG_EENS0_5tupleIJPiSJ_EEENSV_IJSJ_SJ_EEES6_PlJS6_EEE10hipError_tPvRmT3_T4_T5_T6_T7_T9_mT8_P12ihipStream_tbDpT10_ENKUlT_T0_E_clISt17integral_constantIbLb1EES1J_EEDaS1E_S1F_EUlS1E_E_NS1_11comp_targetILNS1_3genE9ELNS1_11target_archE1100ELNS1_3gpuE3ELNS1_3repE0EEENS1_30default_config_static_selectorELNS0_4arch9wavefront6targetE1EEEvT1_.kd
    .uniform_work_group_size: 1
    .uses_dynamic_stack: false
    .vgpr_count:     0
    .vgpr_spill_count: 0
    .wavefront_size: 64
  - .agpr_count:     0
    .args:
      - .offset:         0
        .size:           152
        .value_kind:     by_value
    .group_segment_fixed_size: 0
    .kernarg_segment_align: 8
    .kernarg_segment_size: 152
    .language:       OpenCL C
    .language_version:
      - 2
      - 0
    .max_flat_workgroup_size: 512
    .name:           _ZN7rocprim17ROCPRIM_400000_NS6detail17trampoline_kernelINS0_14default_configENS1_25partition_config_selectorILNS1_17partition_subalgoE2EiNS0_10empty_typeEbEEZZNS1_14partition_implILS5_2ELb0ES3_jN6thrust23THRUST_200600_302600_NS6detail15normal_iteratorINSA_7pointerIiNSA_11hip_rocprim3tagENSA_11use_defaultESG_EEEEPS6_NSA_18transform_iteratorI10is_orderedNSA_12zip_iteratorINSA_5tupleINSC_INSA_10device_ptrIiEEEESQ_NSA_9null_typeESR_SR_SR_SR_SR_SR_SR_EEEESG_SG_EENS0_5tupleIJPiSJ_EEENSV_IJSJ_SJ_EEES6_PlJS6_EEE10hipError_tPvRmT3_T4_T5_T6_T7_T9_mT8_P12ihipStream_tbDpT10_ENKUlT_T0_E_clISt17integral_constantIbLb1EES1J_EEDaS1E_S1F_EUlS1E_E_NS1_11comp_targetILNS1_3genE8ELNS1_11target_archE1030ELNS1_3gpuE2ELNS1_3repE0EEENS1_30default_config_static_selectorELNS0_4arch9wavefront6targetE1EEEvT1_
    .private_segment_fixed_size: 0
    .sgpr_count:     4
    .sgpr_spill_count: 0
    .symbol:         _ZN7rocprim17ROCPRIM_400000_NS6detail17trampoline_kernelINS0_14default_configENS1_25partition_config_selectorILNS1_17partition_subalgoE2EiNS0_10empty_typeEbEEZZNS1_14partition_implILS5_2ELb0ES3_jN6thrust23THRUST_200600_302600_NS6detail15normal_iteratorINSA_7pointerIiNSA_11hip_rocprim3tagENSA_11use_defaultESG_EEEEPS6_NSA_18transform_iteratorI10is_orderedNSA_12zip_iteratorINSA_5tupleINSC_INSA_10device_ptrIiEEEESQ_NSA_9null_typeESR_SR_SR_SR_SR_SR_SR_EEEESG_SG_EENS0_5tupleIJPiSJ_EEENSV_IJSJ_SJ_EEES6_PlJS6_EEE10hipError_tPvRmT3_T4_T5_T6_T7_T9_mT8_P12ihipStream_tbDpT10_ENKUlT_T0_E_clISt17integral_constantIbLb1EES1J_EEDaS1E_S1F_EUlS1E_E_NS1_11comp_targetILNS1_3genE8ELNS1_11target_archE1030ELNS1_3gpuE2ELNS1_3repE0EEENS1_30default_config_static_selectorELNS0_4arch9wavefront6targetE1EEEvT1_.kd
    .uniform_work_group_size: 1
    .uses_dynamic_stack: false
    .vgpr_count:     0
    .vgpr_spill_count: 0
    .wavefront_size: 64
  - .agpr_count:     0
    .args:
      - .offset:         0
        .size:           136
        .value_kind:     by_value
    .group_segment_fixed_size: 0
    .kernarg_segment_align: 8
    .kernarg_segment_size: 136
    .language:       OpenCL C
    .language_version:
      - 2
      - 0
    .max_flat_workgroup_size: 128
    .name:           _ZN7rocprim17ROCPRIM_400000_NS6detail17trampoline_kernelINS0_14default_configENS1_25partition_config_selectorILNS1_17partition_subalgoE2EiNS0_10empty_typeEbEEZZNS1_14partition_implILS5_2ELb0ES3_jN6thrust23THRUST_200600_302600_NS6detail15normal_iteratorINSA_7pointerIiNSA_11hip_rocprim3tagENSA_11use_defaultESG_EEEEPS6_NSA_18transform_iteratorI10is_orderedNSA_12zip_iteratorINSA_5tupleINSC_INSA_10device_ptrIiEEEESQ_NSA_9null_typeESR_SR_SR_SR_SR_SR_SR_EEEESG_SG_EENS0_5tupleIJPiSJ_EEENSV_IJSJ_SJ_EEES6_PlJS6_EEE10hipError_tPvRmT3_T4_T5_T6_T7_T9_mT8_P12ihipStream_tbDpT10_ENKUlT_T0_E_clISt17integral_constantIbLb1EES1I_IbLb0EEEEDaS1E_S1F_EUlS1E_E_NS1_11comp_targetILNS1_3genE0ELNS1_11target_archE4294967295ELNS1_3gpuE0ELNS1_3repE0EEENS1_30default_config_static_selectorELNS0_4arch9wavefront6targetE1EEEvT1_
    .private_segment_fixed_size: 0
    .sgpr_count:     4
    .sgpr_spill_count: 0
    .symbol:         _ZN7rocprim17ROCPRIM_400000_NS6detail17trampoline_kernelINS0_14default_configENS1_25partition_config_selectorILNS1_17partition_subalgoE2EiNS0_10empty_typeEbEEZZNS1_14partition_implILS5_2ELb0ES3_jN6thrust23THRUST_200600_302600_NS6detail15normal_iteratorINSA_7pointerIiNSA_11hip_rocprim3tagENSA_11use_defaultESG_EEEEPS6_NSA_18transform_iteratorI10is_orderedNSA_12zip_iteratorINSA_5tupleINSC_INSA_10device_ptrIiEEEESQ_NSA_9null_typeESR_SR_SR_SR_SR_SR_SR_EEEESG_SG_EENS0_5tupleIJPiSJ_EEENSV_IJSJ_SJ_EEES6_PlJS6_EEE10hipError_tPvRmT3_T4_T5_T6_T7_T9_mT8_P12ihipStream_tbDpT10_ENKUlT_T0_E_clISt17integral_constantIbLb1EES1I_IbLb0EEEEDaS1E_S1F_EUlS1E_E_NS1_11comp_targetILNS1_3genE0ELNS1_11target_archE4294967295ELNS1_3gpuE0ELNS1_3repE0EEENS1_30default_config_static_selectorELNS0_4arch9wavefront6targetE1EEEvT1_.kd
    .uniform_work_group_size: 1
    .uses_dynamic_stack: false
    .vgpr_count:     0
    .vgpr_spill_count: 0
    .wavefront_size: 64
  - .agpr_count:     0
    .args:
      - .offset:         0
        .size:           136
        .value_kind:     by_value
    .group_segment_fixed_size: 0
    .kernarg_segment_align: 8
    .kernarg_segment_size: 136
    .language:       OpenCL C
    .language_version:
      - 2
      - 0
    .max_flat_workgroup_size: 512
    .name:           _ZN7rocprim17ROCPRIM_400000_NS6detail17trampoline_kernelINS0_14default_configENS1_25partition_config_selectorILNS1_17partition_subalgoE2EiNS0_10empty_typeEbEEZZNS1_14partition_implILS5_2ELb0ES3_jN6thrust23THRUST_200600_302600_NS6detail15normal_iteratorINSA_7pointerIiNSA_11hip_rocprim3tagENSA_11use_defaultESG_EEEEPS6_NSA_18transform_iteratorI10is_orderedNSA_12zip_iteratorINSA_5tupleINSC_INSA_10device_ptrIiEEEESQ_NSA_9null_typeESR_SR_SR_SR_SR_SR_SR_EEEESG_SG_EENS0_5tupleIJPiSJ_EEENSV_IJSJ_SJ_EEES6_PlJS6_EEE10hipError_tPvRmT3_T4_T5_T6_T7_T9_mT8_P12ihipStream_tbDpT10_ENKUlT_T0_E_clISt17integral_constantIbLb1EES1I_IbLb0EEEEDaS1E_S1F_EUlS1E_E_NS1_11comp_targetILNS1_3genE5ELNS1_11target_archE942ELNS1_3gpuE9ELNS1_3repE0EEENS1_30default_config_static_selectorELNS0_4arch9wavefront6targetE1EEEvT1_
    .private_segment_fixed_size: 0
    .sgpr_count:     4
    .sgpr_spill_count: 0
    .symbol:         _ZN7rocprim17ROCPRIM_400000_NS6detail17trampoline_kernelINS0_14default_configENS1_25partition_config_selectorILNS1_17partition_subalgoE2EiNS0_10empty_typeEbEEZZNS1_14partition_implILS5_2ELb0ES3_jN6thrust23THRUST_200600_302600_NS6detail15normal_iteratorINSA_7pointerIiNSA_11hip_rocprim3tagENSA_11use_defaultESG_EEEEPS6_NSA_18transform_iteratorI10is_orderedNSA_12zip_iteratorINSA_5tupleINSC_INSA_10device_ptrIiEEEESQ_NSA_9null_typeESR_SR_SR_SR_SR_SR_SR_EEEESG_SG_EENS0_5tupleIJPiSJ_EEENSV_IJSJ_SJ_EEES6_PlJS6_EEE10hipError_tPvRmT3_T4_T5_T6_T7_T9_mT8_P12ihipStream_tbDpT10_ENKUlT_T0_E_clISt17integral_constantIbLb1EES1I_IbLb0EEEEDaS1E_S1F_EUlS1E_E_NS1_11comp_targetILNS1_3genE5ELNS1_11target_archE942ELNS1_3gpuE9ELNS1_3repE0EEENS1_30default_config_static_selectorELNS0_4arch9wavefront6targetE1EEEvT1_.kd
    .uniform_work_group_size: 1
    .uses_dynamic_stack: false
    .vgpr_count:     0
    .vgpr_spill_count: 0
    .wavefront_size: 64
  - .agpr_count:     0
    .args:
      - .offset:         0
        .size:           136
        .value_kind:     by_value
    .group_segment_fixed_size: 10248
    .kernarg_segment_align: 8
    .kernarg_segment_size: 136
    .language:       OpenCL C
    .language_version:
      - 2
      - 0
    .max_flat_workgroup_size: 256
    .name:           _ZN7rocprim17ROCPRIM_400000_NS6detail17trampoline_kernelINS0_14default_configENS1_25partition_config_selectorILNS1_17partition_subalgoE2EiNS0_10empty_typeEbEEZZNS1_14partition_implILS5_2ELb0ES3_jN6thrust23THRUST_200600_302600_NS6detail15normal_iteratorINSA_7pointerIiNSA_11hip_rocprim3tagENSA_11use_defaultESG_EEEEPS6_NSA_18transform_iteratorI10is_orderedNSA_12zip_iteratorINSA_5tupleINSC_INSA_10device_ptrIiEEEESQ_NSA_9null_typeESR_SR_SR_SR_SR_SR_SR_EEEESG_SG_EENS0_5tupleIJPiSJ_EEENSV_IJSJ_SJ_EEES6_PlJS6_EEE10hipError_tPvRmT3_T4_T5_T6_T7_T9_mT8_P12ihipStream_tbDpT10_ENKUlT_T0_E_clISt17integral_constantIbLb1EES1I_IbLb0EEEEDaS1E_S1F_EUlS1E_E_NS1_11comp_targetILNS1_3genE4ELNS1_11target_archE910ELNS1_3gpuE8ELNS1_3repE0EEENS1_30default_config_static_selectorELNS0_4arch9wavefront6targetE1EEEvT1_
    .private_segment_fixed_size: 0
    .sgpr_count:     50
    .sgpr_spill_count: 0
    .symbol:         _ZN7rocprim17ROCPRIM_400000_NS6detail17trampoline_kernelINS0_14default_configENS1_25partition_config_selectorILNS1_17partition_subalgoE2EiNS0_10empty_typeEbEEZZNS1_14partition_implILS5_2ELb0ES3_jN6thrust23THRUST_200600_302600_NS6detail15normal_iteratorINSA_7pointerIiNSA_11hip_rocprim3tagENSA_11use_defaultESG_EEEEPS6_NSA_18transform_iteratorI10is_orderedNSA_12zip_iteratorINSA_5tupleINSC_INSA_10device_ptrIiEEEESQ_NSA_9null_typeESR_SR_SR_SR_SR_SR_SR_EEEESG_SG_EENS0_5tupleIJPiSJ_EEENSV_IJSJ_SJ_EEES6_PlJS6_EEE10hipError_tPvRmT3_T4_T5_T6_T7_T9_mT8_P12ihipStream_tbDpT10_ENKUlT_T0_E_clISt17integral_constantIbLb1EES1I_IbLb0EEEEDaS1E_S1F_EUlS1E_E_NS1_11comp_targetILNS1_3genE4ELNS1_11target_archE910ELNS1_3gpuE8ELNS1_3repE0EEENS1_30default_config_static_selectorELNS0_4arch9wavefront6targetE1EEEvT1_.kd
    .uniform_work_group_size: 1
    .uses_dynamic_stack: false
    .vgpr_count:     53
    .vgpr_spill_count: 0
    .wavefront_size: 64
  - .agpr_count:     0
    .args:
      - .offset:         0
        .size:           136
        .value_kind:     by_value
    .group_segment_fixed_size: 0
    .kernarg_segment_align: 8
    .kernarg_segment_size: 136
    .language:       OpenCL C
    .language_version:
      - 2
      - 0
    .max_flat_workgroup_size: 128
    .name:           _ZN7rocprim17ROCPRIM_400000_NS6detail17trampoline_kernelINS0_14default_configENS1_25partition_config_selectorILNS1_17partition_subalgoE2EiNS0_10empty_typeEbEEZZNS1_14partition_implILS5_2ELb0ES3_jN6thrust23THRUST_200600_302600_NS6detail15normal_iteratorINSA_7pointerIiNSA_11hip_rocprim3tagENSA_11use_defaultESG_EEEEPS6_NSA_18transform_iteratorI10is_orderedNSA_12zip_iteratorINSA_5tupleINSC_INSA_10device_ptrIiEEEESQ_NSA_9null_typeESR_SR_SR_SR_SR_SR_SR_EEEESG_SG_EENS0_5tupleIJPiSJ_EEENSV_IJSJ_SJ_EEES6_PlJS6_EEE10hipError_tPvRmT3_T4_T5_T6_T7_T9_mT8_P12ihipStream_tbDpT10_ENKUlT_T0_E_clISt17integral_constantIbLb1EES1I_IbLb0EEEEDaS1E_S1F_EUlS1E_E_NS1_11comp_targetILNS1_3genE3ELNS1_11target_archE908ELNS1_3gpuE7ELNS1_3repE0EEENS1_30default_config_static_selectorELNS0_4arch9wavefront6targetE1EEEvT1_
    .private_segment_fixed_size: 0
    .sgpr_count:     4
    .sgpr_spill_count: 0
    .symbol:         _ZN7rocprim17ROCPRIM_400000_NS6detail17trampoline_kernelINS0_14default_configENS1_25partition_config_selectorILNS1_17partition_subalgoE2EiNS0_10empty_typeEbEEZZNS1_14partition_implILS5_2ELb0ES3_jN6thrust23THRUST_200600_302600_NS6detail15normal_iteratorINSA_7pointerIiNSA_11hip_rocprim3tagENSA_11use_defaultESG_EEEEPS6_NSA_18transform_iteratorI10is_orderedNSA_12zip_iteratorINSA_5tupleINSC_INSA_10device_ptrIiEEEESQ_NSA_9null_typeESR_SR_SR_SR_SR_SR_SR_EEEESG_SG_EENS0_5tupleIJPiSJ_EEENSV_IJSJ_SJ_EEES6_PlJS6_EEE10hipError_tPvRmT3_T4_T5_T6_T7_T9_mT8_P12ihipStream_tbDpT10_ENKUlT_T0_E_clISt17integral_constantIbLb1EES1I_IbLb0EEEEDaS1E_S1F_EUlS1E_E_NS1_11comp_targetILNS1_3genE3ELNS1_11target_archE908ELNS1_3gpuE7ELNS1_3repE0EEENS1_30default_config_static_selectorELNS0_4arch9wavefront6targetE1EEEvT1_.kd
    .uniform_work_group_size: 1
    .uses_dynamic_stack: false
    .vgpr_count:     0
    .vgpr_spill_count: 0
    .wavefront_size: 64
  - .agpr_count:     0
    .args:
      - .offset:         0
        .size:           136
        .value_kind:     by_value
    .group_segment_fixed_size: 0
    .kernarg_segment_align: 8
    .kernarg_segment_size: 136
    .language:       OpenCL C
    .language_version:
      - 2
      - 0
    .max_flat_workgroup_size: 256
    .name:           _ZN7rocprim17ROCPRIM_400000_NS6detail17trampoline_kernelINS0_14default_configENS1_25partition_config_selectorILNS1_17partition_subalgoE2EiNS0_10empty_typeEbEEZZNS1_14partition_implILS5_2ELb0ES3_jN6thrust23THRUST_200600_302600_NS6detail15normal_iteratorINSA_7pointerIiNSA_11hip_rocprim3tagENSA_11use_defaultESG_EEEEPS6_NSA_18transform_iteratorI10is_orderedNSA_12zip_iteratorINSA_5tupleINSC_INSA_10device_ptrIiEEEESQ_NSA_9null_typeESR_SR_SR_SR_SR_SR_SR_EEEESG_SG_EENS0_5tupleIJPiSJ_EEENSV_IJSJ_SJ_EEES6_PlJS6_EEE10hipError_tPvRmT3_T4_T5_T6_T7_T9_mT8_P12ihipStream_tbDpT10_ENKUlT_T0_E_clISt17integral_constantIbLb1EES1I_IbLb0EEEEDaS1E_S1F_EUlS1E_E_NS1_11comp_targetILNS1_3genE2ELNS1_11target_archE906ELNS1_3gpuE6ELNS1_3repE0EEENS1_30default_config_static_selectorELNS0_4arch9wavefront6targetE1EEEvT1_
    .private_segment_fixed_size: 0
    .sgpr_count:     4
    .sgpr_spill_count: 0
    .symbol:         _ZN7rocprim17ROCPRIM_400000_NS6detail17trampoline_kernelINS0_14default_configENS1_25partition_config_selectorILNS1_17partition_subalgoE2EiNS0_10empty_typeEbEEZZNS1_14partition_implILS5_2ELb0ES3_jN6thrust23THRUST_200600_302600_NS6detail15normal_iteratorINSA_7pointerIiNSA_11hip_rocprim3tagENSA_11use_defaultESG_EEEEPS6_NSA_18transform_iteratorI10is_orderedNSA_12zip_iteratorINSA_5tupleINSC_INSA_10device_ptrIiEEEESQ_NSA_9null_typeESR_SR_SR_SR_SR_SR_SR_EEEESG_SG_EENS0_5tupleIJPiSJ_EEENSV_IJSJ_SJ_EEES6_PlJS6_EEE10hipError_tPvRmT3_T4_T5_T6_T7_T9_mT8_P12ihipStream_tbDpT10_ENKUlT_T0_E_clISt17integral_constantIbLb1EES1I_IbLb0EEEEDaS1E_S1F_EUlS1E_E_NS1_11comp_targetILNS1_3genE2ELNS1_11target_archE906ELNS1_3gpuE6ELNS1_3repE0EEENS1_30default_config_static_selectorELNS0_4arch9wavefront6targetE1EEEvT1_.kd
    .uniform_work_group_size: 1
    .uses_dynamic_stack: false
    .vgpr_count:     0
    .vgpr_spill_count: 0
    .wavefront_size: 64
  - .agpr_count:     0
    .args:
      - .offset:         0
        .size:           136
        .value_kind:     by_value
    .group_segment_fixed_size: 0
    .kernarg_segment_align: 8
    .kernarg_segment_size: 136
    .language:       OpenCL C
    .language_version:
      - 2
      - 0
    .max_flat_workgroup_size: 384
    .name:           _ZN7rocprim17ROCPRIM_400000_NS6detail17trampoline_kernelINS0_14default_configENS1_25partition_config_selectorILNS1_17partition_subalgoE2EiNS0_10empty_typeEbEEZZNS1_14partition_implILS5_2ELb0ES3_jN6thrust23THRUST_200600_302600_NS6detail15normal_iteratorINSA_7pointerIiNSA_11hip_rocprim3tagENSA_11use_defaultESG_EEEEPS6_NSA_18transform_iteratorI10is_orderedNSA_12zip_iteratorINSA_5tupleINSC_INSA_10device_ptrIiEEEESQ_NSA_9null_typeESR_SR_SR_SR_SR_SR_SR_EEEESG_SG_EENS0_5tupleIJPiSJ_EEENSV_IJSJ_SJ_EEES6_PlJS6_EEE10hipError_tPvRmT3_T4_T5_T6_T7_T9_mT8_P12ihipStream_tbDpT10_ENKUlT_T0_E_clISt17integral_constantIbLb1EES1I_IbLb0EEEEDaS1E_S1F_EUlS1E_E_NS1_11comp_targetILNS1_3genE10ELNS1_11target_archE1200ELNS1_3gpuE4ELNS1_3repE0EEENS1_30default_config_static_selectorELNS0_4arch9wavefront6targetE1EEEvT1_
    .private_segment_fixed_size: 0
    .sgpr_count:     4
    .sgpr_spill_count: 0
    .symbol:         _ZN7rocprim17ROCPRIM_400000_NS6detail17trampoline_kernelINS0_14default_configENS1_25partition_config_selectorILNS1_17partition_subalgoE2EiNS0_10empty_typeEbEEZZNS1_14partition_implILS5_2ELb0ES3_jN6thrust23THRUST_200600_302600_NS6detail15normal_iteratorINSA_7pointerIiNSA_11hip_rocprim3tagENSA_11use_defaultESG_EEEEPS6_NSA_18transform_iteratorI10is_orderedNSA_12zip_iteratorINSA_5tupleINSC_INSA_10device_ptrIiEEEESQ_NSA_9null_typeESR_SR_SR_SR_SR_SR_SR_EEEESG_SG_EENS0_5tupleIJPiSJ_EEENSV_IJSJ_SJ_EEES6_PlJS6_EEE10hipError_tPvRmT3_T4_T5_T6_T7_T9_mT8_P12ihipStream_tbDpT10_ENKUlT_T0_E_clISt17integral_constantIbLb1EES1I_IbLb0EEEEDaS1E_S1F_EUlS1E_E_NS1_11comp_targetILNS1_3genE10ELNS1_11target_archE1200ELNS1_3gpuE4ELNS1_3repE0EEENS1_30default_config_static_selectorELNS0_4arch9wavefront6targetE1EEEvT1_.kd
    .uniform_work_group_size: 1
    .uses_dynamic_stack: false
    .vgpr_count:     0
    .vgpr_spill_count: 0
    .wavefront_size: 64
  - .agpr_count:     0
    .args:
      - .offset:         0
        .size:           136
        .value_kind:     by_value
    .group_segment_fixed_size: 0
    .kernarg_segment_align: 8
    .kernarg_segment_size: 136
    .language:       OpenCL C
    .language_version:
      - 2
      - 0
    .max_flat_workgroup_size: 128
    .name:           _ZN7rocprim17ROCPRIM_400000_NS6detail17trampoline_kernelINS0_14default_configENS1_25partition_config_selectorILNS1_17partition_subalgoE2EiNS0_10empty_typeEbEEZZNS1_14partition_implILS5_2ELb0ES3_jN6thrust23THRUST_200600_302600_NS6detail15normal_iteratorINSA_7pointerIiNSA_11hip_rocprim3tagENSA_11use_defaultESG_EEEEPS6_NSA_18transform_iteratorI10is_orderedNSA_12zip_iteratorINSA_5tupleINSC_INSA_10device_ptrIiEEEESQ_NSA_9null_typeESR_SR_SR_SR_SR_SR_SR_EEEESG_SG_EENS0_5tupleIJPiSJ_EEENSV_IJSJ_SJ_EEES6_PlJS6_EEE10hipError_tPvRmT3_T4_T5_T6_T7_T9_mT8_P12ihipStream_tbDpT10_ENKUlT_T0_E_clISt17integral_constantIbLb1EES1I_IbLb0EEEEDaS1E_S1F_EUlS1E_E_NS1_11comp_targetILNS1_3genE9ELNS1_11target_archE1100ELNS1_3gpuE3ELNS1_3repE0EEENS1_30default_config_static_selectorELNS0_4arch9wavefront6targetE1EEEvT1_
    .private_segment_fixed_size: 0
    .sgpr_count:     4
    .sgpr_spill_count: 0
    .symbol:         _ZN7rocprim17ROCPRIM_400000_NS6detail17trampoline_kernelINS0_14default_configENS1_25partition_config_selectorILNS1_17partition_subalgoE2EiNS0_10empty_typeEbEEZZNS1_14partition_implILS5_2ELb0ES3_jN6thrust23THRUST_200600_302600_NS6detail15normal_iteratorINSA_7pointerIiNSA_11hip_rocprim3tagENSA_11use_defaultESG_EEEEPS6_NSA_18transform_iteratorI10is_orderedNSA_12zip_iteratorINSA_5tupleINSC_INSA_10device_ptrIiEEEESQ_NSA_9null_typeESR_SR_SR_SR_SR_SR_SR_EEEESG_SG_EENS0_5tupleIJPiSJ_EEENSV_IJSJ_SJ_EEES6_PlJS6_EEE10hipError_tPvRmT3_T4_T5_T6_T7_T9_mT8_P12ihipStream_tbDpT10_ENKUlT_T0_E_clISt17integral_constantIbLb1EES1I_IbLb0EEEEDaS1E_S1F_EUlS1E_E_NS1_11comp_targetILNS1_3genE9ELNS1_11target_archE1100ELNS1_3gpuE3ELNS1_3repE0EEENS1_30default_config_static_selectorELNS0_4arch9wavefront6targetE1EEEvT1_.kd
    .uniform_work_group_size: 1
    .uses_dynamic_stack: false
    .vgpr_count:     0
    .vgpr_spill_count: 0
    .wavefront_size: 64
  - .agpr_count:     0
    .args:
      - .offset:         0
        .size:           136
        .value_kind:     by_value
    .group_segment_fixed_size: 0
    .kernarg_segment_align: 8
    .kernarg_segment_size: 136
    .language:       OpenCL C
    .language_version:
      - 2
      - 0
    .max_flat_workgroup_size: 512
    .name:           _ZN7rocprim17ROCPRIM_400000_NS6detail17trampoline_kernelINS0_14default_configENS1_25partition_config_selectorILNS1_17partition_subalgoE2EiNS0_10empty_typeEbEEZZNS1_14partition_implILS5_2ELb0ES3_jN6thrust23THRUST_200600_302600_NS6detail15normal_iteratorINSA_7pointerIiNSA_11hip_rocprim3tagENSA_11use_defaultESG_EEEEPS6_NSA_18transform_iteratorI10is_orderedNSA_12zip_iteratorINSA_5tupleINSC_INSA_10device_ptrIiEEEESQ_NSA_9null_typeESR_SR_SR_SR_SR_SR_SR_EEEESG_SG_EENS0_5tupleIJPiSJ_EEENSV_IJSJ_SJ_EEES6_PlJS6_EEE10hipError_tPvRmT3_T4_T5_T6_T7_T9_mT8_P12ihipStream_tbDpT10_ENKUlT_T0_E_clISt17integral_constantIbLb1EES1I_IbLb0EEEEDaS1E_S1F_EUlS1E_E_NS1_11comp_targetILNS1_3genE8ELNS1_11target_archE1030ELNS1_3gpuE2ELNS1_3repE0EEENS1_30default_config_static_selectorELNS0_4arch9wavefront6targetE1EEEvT1_
    .private_segment_fixed_size: 0
    .sgpr_count:     4
    .sgpr_spill_count: 0
    .symbol:         _ZN7rocprim17ROCPRIM_400000_NS6detail17trampoline_kernelINS0_14default_configENS1_25partition_config_selectorILNS1_17partition_subalgoE2EiNS0_10empty_typeEbEEZZNS1_14partition_implILS5_2ELb0ES3_jN6thrust23THRUST_200600_302600_NS6detail15normal_iteratorINSA_7pointerIiNSA_11hip_rocprim3tagENSA_11use_defaultESG_EEEEPS6_NSA_18transform_iteratorI10is_orderedNSA_12zip_iteratorINSA_5tupleINSC_INSA_10device_ptrIiEEEESQ_NSA_9null_typeESR_SR_SR_SR_SR_SR_SR_EEEESG_SG_EENS0_5tupleIJPiSJ_EEENSV_IJSJ_SJ_EEES6_PlJS6_EEE10hipError_tPvRmT3_T4_T5_T6_T7_T9_mT8_P12ihipStream_tbDpT10_ENKUlT_T0_E_clISt17integral_constantIbLb1EES1I_IbLb0EEEEDaS1E_S1F_EUlS1E_E_NS1_11comp_targetILNS1_3genE8ELNS1_11target_archE1030ELNS1_3gpuE2ELNS1_3repE0EEENS1_30default_config_static_selectorELNS0_4arch9wavefront6targetE1EEEvT1_.kd
    .uniform_work_group_size: 1
    .uses_dynamic_stack: false
    .vgpr_count:     0
    .vgpr_spill_count: 0
    .wavefront_size: 64
  - .agpr_count:     0
    .args:
      - .offset:         0
        .size:           152
        .value_kind:     by_value
    .group_segment_fixed_size: 0
    .kernarg_segment_align: 8
    .kernarg_segment_size: 152
    .language:       OpenCL C
    .language_version:
      - 2
      - 0
    .max_flat_workgroup_size: 128
    .name:           _ZN7rocprim17ROCPRIM_400000_NS6detail17trampoline_kernelINS0_14default_configENS1_25partition_config_selectorILNS1_17partition_subalgoE2EiNS0_10empty_typeEbEEZZNS1_14partition_implILS5_2ELb0ES3_jN6thrust23THRUST_200600_302600_NS6detail15normal_iteratorINSA_7pointerIiNSA_11hip_rocprim3tagENSA_11use_defaultESG_EEEEPS6_NSA_18transform_iteratorI10is_orderedNSA_12zip_iteratorINSA_5tupleINSC_INSA_10device_ptrIiEEEESQ_NSA_9null_typeESR_SR_SR_SR_SR_SR_SR_EEEESG_SG_EENS0_5tupleIJPiSJ_EEENSV_IJSJ_SJ_EEES6_PlJS6_EEE10hipError_tPvRmT3_T4_T5_T6_T7_T9_mT8_P12ihipStream_tbDpT10_ENKUlT_T0_E_clISt17integral_constantIbLb0EES1I_IbLb1EEEEDaS1E_S1F_EUlS1E_E_NS1_11comp_targetILNS1_3genE0ELNS1_11target_archE4294967295ELNS1_3gpuE0ELNS1_3repE0EEENS1_30default_config_static_selectorELNS0_4arch9wavefront6targetE1EEEvT1_
    .private_segment_fixed_size: 0
    .sgpr_count:     4
    .sgpr_spill_count: 0
    .symbol:         _ZN7rocprim17ROCPRIM_400000_NS6detail17trampoline_kernelINS0_14default_configENS1_25partition_config_selectorILNS1_17partition_subalgoE2EiNS0_10empty_typeEbEEZZNS1_14partition_implILS5_2ELb0ES3_jN6thrust23THRUST_200600_302600_NS6detail15normal_iteratorINSA_7pointerIiNSA_11hip_rocprim3tagENSA_11use_defaultESG_EEEEPS6_NSA_18transform_iteratorI10is_orderedNSA_12zip_iteratorINSA_5tupleINSC_INSA_10device_ptrIiEEEESQ_NSA_9null_typeESR_SR_SR_SR_SR_SR_SR_EEEESG_SG_EENS0_5tupleIJPiSJ_EEENSV_IJSJ_SJ_EEES6_PlJS6_EEE10hipError_tPvRmT3_T4_T5_T6_T7_T9_mT8_P12ihipStream_tbDpT10_ENKUlT_T0_E_clISt17integral_constantIbLb0EES1I_IbLb1EEEEDaS1E_S1F_EUlS1E_E_NS1_11comp_targetILNS1_3genE0ELNS1_11target_archE4294967295ELNS1_3gpuE0ELNS1_3repE0EEENS1_30default_config_static_selectorELNS0_4arch9wavefront6targetE1EEEvT1_.kd
    .uniform_work_group_size: 1
    .uses_dynamic_stack: false
    .vgpr_count:     0
    .vgpr_spill_count: 0
    .wavefront_size: 64
  - .agpr_count:     0
    .args:
      - .offset:         0
        .size:           152
        .value_kind:     by_value
    .group_segment_fixed_size: 0
    .kernarg_segment_align: 8
    .kernarg_segment_size: 152
    .language:       OpenCL C
    .language_version:
      - 2
      - 0
    .max_flat_workgroup_size: 512
    .name:           _ZN7rocprim17ROCPRIM_400000_NS6detail17trampoline_kernelINS0_14default_configENS1_25partition_config_selectorILNS1_17partition_subalgoE2EiNS0_10empty_typeEbEEZZNS1_14partition_implILS5_2ELb0ES3_jN6thrust23THRUST_200600_302600_NS6detail15normal_iteratorINSA_7pointerIiNSA_11hip_rocprim3tagENSA_11use_defaultESG_EEEEPS6_NSA_18transform_iteratorI10is_orderedNSA_12zip_iteratorINSA_5tupleINSC_INSA_10device_ptrIiEEEESQ_NSA_9null_typeESR_SR_SR_SR_SR_SR_SR_EEEESG_SG_EENS0_5tupleIJPiSJ_EEENSV_IJSJ_SJ_EEES6_PlJS6_EEE10hipError_tPvRmT3_T4_T5_T6_T7_T9_mT8_P12ihipStream_tbDpT10_ENKUlT_T0_E_clISt17integral_constantIbLb0EES1I_IbLb1EEEEDaS1E_S1F_EUlS1E_E_NS1_11comp_targetILNS1_3genE5ELNS1_11target_archE942ELNS1_3gpuE9ELNS1_3repE0EEENS1_30default_config_static_selectorELNS0_4arch9wavefront6targetE1EEEvT1_
    .private_segment_fixed_size: 0
    .sgpr_count:     4
    .sgpr_spill_count: 0
    .symbol:         _ZN7rocprim17ROCPRIM_400000_NS6detail17trampoline_kernelINS0_14default_configENS1_25partition_config_selectorILNS1_17partition_subalgoE2EiNS0_10empty_typeEbEEZZNS1_14partition_implILS5_2ELb0ES3_jN6thrust23THRUST_200600_302600_NS6detail15normal_iteratorINSA_7pointerIiNSA_11hip_rocprim3tagENSA_11use_defaultESG_EEEEPS6_NSA_18transform_iteratorI10is_orderedNSA_12zip_iteratorINSA_5tupleINSC_INSA_10device_ptrIiEEEESQ_NSA_9null_typeESR_SR_SR_SR_SR_SR_SR_EEEESG_SG_EENS0_5tupleIJPiSJ_EEENSV_IJSJ_SJ_EEES6_PlJS6_EEE10hipError_tPvRmT3_T4_T5_T6_T7_T9_mT8_P12ihipStream_tbDpT10_ENKUlT_T0_E_clISt17integral_constantIbLb0EES1I_IbLb1EEEEDaS1E_S1F_EUlS1E_E_NS1_11comp_targetILNS1_3genE5ELNS1_11target_archE942ELNS1_3gpuE9ELNS1_3repE0EEENS1_30default_config_static_selectorELNS0_4arch9wavefront6targetE1EEEvT1_.kd
    .uniform_work_group_size: 1
    .uses_dynamic_stack: false
    .vgpr_count:     0
    .vgpr_spill_count: 0
    .wavefront_size: 64
  - .agpr_count:     0
    .args:
      - .offset:         0
        .size:           152
        .value_kind:     by_value
    .group_segment_fixed_size: 10248
    .kernarg_segment_align: 8
    .kernarg_segment_size: 152
    .language:       OpenCL C
    .language_version:
      - 2
      - 0
    .max_flat_workgroup_size: 256
    .name:           _ZN7rocprim17ROCPRIM_400000_NS6detail17trampoline_kernelINS0_14default_configENS1_25partition_config_selectorILNS1_17partition_subalgoE2EiNS0_10empty_typeEbEEZZNS1_14partition_implILS5_2ELb0ES3_jN6thrust23THRUST_200600_302600_NS6detail15normal_iteratorINSA_7pointerIiNSA_11hip_rocprim3tagENSA_11use_defaultESG_EEEEPS6_NSA_18transform_iteratorI10is_orderedNSA_12zip_iteratorINSA_5tupleINSC_INSA_10device_ptrIiEEEESQ_NSA_9null_typeESR_SR_SR_SR_SR_SR_SR_EEEESG_SG_EENS0_5tupleIJPiSJ_EEENSV_IJSJ_SJ_EEES6_PlJS6_EEE10hipError_tPvRmT3_T4_T5_T6_T7_T9_mT8_P12ihipStream_tbDpT10_ENKUlT_T0_E_clISt17integral_constantIbLb0EES1I_IbLb1EEEEDaS1E_S1F_EUlS1E_E_NS1_11comp_targetILNS1_3genE4ELNS1_11target_archE910ELNS1_3gpuE8ELNS1_3repE0EEENS1_30default_config_static_selectorELNS0_4arch9wavefront6targetE1EEEvT1_
    .private_segment_fixed_size: 0
    .sgpr_count:     50
    .sgpr_spill_count: 0
    .symbol:         _ZN7rocprim17ROCPRIM_400000_NS6detail17trampoline_kernelINS0_14default_configENS1_25partition_config_selectorILNS1_17partition_subalgoE2EiNS0_10empty_typeEbEEZZNS1_14partition_implILS5_2ELb0ES3_jN6thrust23THRUST_200600_302600_NS6detail15normal_iteratorINSA_7pointerIiNSA_11hip_rocprim3tagENSA_11use_defaultESG_EEEEPS6_NSA_18transform_iteratorI10is_orderedNSA_12zip_iteratorINSA_5tupleINSC_INSA_10device_ptrIiEEEESQ_NSA_9null_typeESR_SR_SR_SR_SR_SR_SR_EEEESG_SG_EENS0_5tupleIJPiSJ_EEENSV_IJSJ_SJ_EEES6_PlJS6_EEE10hipError_tPvRmT3_T4_T5_T6_T7_T9_mT8_P12ihipStream_tbDpT10_ENKUlT_T0_E_clISt17integral_constantIbLb0EES1I_IbLb1EEEEDaS1E_S1F_EUlS1E_E_NS1_11comp_targetILNS1_3genE4ELNS1_11target_archE910ELNS1_3gpuE8ELNS1_3repE0EEENS1_30default_config_static_selectorELNS0_4arch9wavefront6targetE1EEEvT1_.kd
    .uniform_work_group_size: 1
    .uses_dynamic_stack: false
    .vgpr_count:     55
    .vgpr_spill_count: 0
    .wavefront_size: 64
  - .agpr_count:     0
    .args:
      - .offset:         0
        .size:           152
        .value_kind:     by_value
    .group_segment_fixed_size: 0
    .kernarg_segment_align: 8
    .kernarg_segment_size: 152
    .language:       OpenCL C
    .language_version:
      - 2
      - 0
    .max_flat_workgroup_size: 128
    .name:           _ZN7rocprim17ROCPRIM_400000_NS6detail17trampoline_kernelINS0_14default_configENS1_25partition_config_selectorILNS1_17partition_subalgoE2EiNS0_10empty_typeEbEEZZNS1_14partition_implILS5_2ELb0ES3_jN6thrust23THRUST_200600_302600_NS6detail15normal_iteratorINSA_7pointerIiNSA_11hip_rocprim3tagENSA_11use_defaultESG_EEEEPS6_NSA_18transform_iteratorI10is_orderedNSA_12zip_iteratorINSA_5tupleINSC_INSA_10device_ptrIiEEEESQ_NSA_9null_typeESR_SR_SR_SR_SR_SR_SR_EEEESG_SG_EENS0_5tupleIJPiSJ_EEENSV_IJSJ_SJ_EEES6_PlJS6_EEE10hipError_tPvRmT3_T4_T5_T6_T7_T9_mT8_P12ihipStream_tbDpT10_ENKUlT_T0_E_clISt17integral_constantIbLb0EES1I_IbLb1EEEEDaS1E_S1F_EUlS1E_E_NS1_11comp_targetILNS1_3genE3ELNS1_11target_archE908ELNS1_3gpuE7ELNS1_3repE0EEENS1_30default_config_static_selectorELNS0_4arch9wavefront6targetE1EEEvT1_
    .private_segment_fixed_size: 0
    .sgpr_count:     4
    .sgpr_spill_count: 0
    .symbol:         _ZN7rocprim17ROCPRIM_400000_NS6detail17trampoline_kernelINS0_14default_configENS1_25partition_config_selectorILNS1_17partition_subalgoE2EiNS0_10empty_typeEbEEZZNS1_14partition_implILS5_2ELb0ES3_jN6thrust23THRUST_200600_302600_NS6detail15normal_iteratorINSA_7pointerIiNSA_11hip_rocprim3tagENSA_11use_defaultESG_EEEEPS6_NSA_18transform_iteratorI10is_orderedNSA_12zip_iteratorINSA_5tupleINSC_INSA_10device_ptrIiEEEESQ_NSA_9null_typeESR_SR_SR_SR_SR_SR_SR_EEEESG_SG_EENS0_5tupleIJPiSJ_EEENSV_IJSJ_SJ_EEES6_PlJS6_EEE10hipError_tPvRmT3_T4_T5_T6_T7_T9_mT8_P12ihipStream_tbDpT10_ENKUlT_T0_E_clISt17integral_constantIbLb0EES1I_IbLb1EEEEDaS1E_S1F_EUlS1E_E_NS1_11comp_targetILNS1_3genE3ELNS1_11target_archE908ELNS1_3gpuE7ELNS1_3repE0EEENS1_30default_config_static_selectorELNS0_4arch9wavefront6targetE1EEEvT1_.kd
    .uniform_work_group_size: 1
    .uses_dynamic_stack: false
    .vgpr_count:     0
    .vgpr_spill_count: 0
    .wavefront_size: 64
  - .agpr_count:     0
    .args:
      - .offset:         0
        .size:           152
        .value_kind:     by_value
    .group_segment_fixed_size: 0
    .kernarg_segment_align: 8
    .kernarg_segment_size: 152
    .language:       OpenCL C
    .language_version:
      - 2
      - 0
    .max_flat_workgroup_size: 256
    .name:           _ZN7rocprim17ROCPRIM_400000_NS6detail17trampoline_kernelINS0_14default_configENS1_25partition_config_selectorILNS1_17partition_subalgoE2EiNS0_10empty_typeEbEEZZNS1_14partition_implILS5_2ELb0ES3_jN6thrust23THRUST_200600_302600_NS6detail15normal_iteratorINSA_7pointerIiNSA_11hip_rocprim3tagENSA_11use_defaultESG_EEEEPS6_NSA_18transform_iteratorI10is_orderedNSA_12zip_iteratorINSA_5tupleINSC_INSA_10device_ptrIiEEEESQ_NSA_9null_typeESR_SR_SR_SR_SR_SR_SR_EEEESG_SG_EENS0_5tupleIJPiSJ_EEENSV_IJSJ_SJ_EEES6_PlJS6_EEE10hipError_tPvRmT3_T4_T5_T6_T7_T9_mT8_P12ihipStream_tbDpT10_ENKUlT_T0_E_clISt17integral_constantIbLb0EES1I_IbLb1EEEEDaS1E_S1F_EUlS1E_E_NS1_11comp_targetILNS1_3genE2ELNS1_11target_archE906ELNS1_3gpuE6ELNS1_3repE0EEENS1_30default_config_static_selectorELNS0_4arch9wavefront6targetE1EEEvT1_
    .private_segment_fixed_size: 0
    .sgpr_count:     4
    .sgpr_spill_count: 0
    .symbol:         _ZN7rocprim17ROCPRIM_400000_NS6detail17trampoline_kernelINS0_14default_configENS1_25partition_config_selectorILNS1_17partition_subalgoE2EiNS0_10empty_typeEbEEZZNS1_14partition_implILS5_2ELb0ES3_jN6thrust23THRUST_200600_302600_NS6detail15normal_iteratorINSA_7pointerIiNSA_11hip_rocprim3tagENSA_11use_defaultESG_EEEEPS6_NSA_18transform_iteratorI10is_orderedNSA_12zip_iteratorINSA_5tupleINSC_INSA_10device_ptrIiEEEESQ_NSA_9null_typeESR_SR_SR_SR_SR_SR_SR_EEEESG_SG_EENS0_5tupleIJPiSJ_EEENSV_IJSJ_SJ_EEES6_PlJS6_EEE10hipError_tPvRmT3_T4_T5_T6_T7_T9_mT8_P12ihipStream_tbDpT10_ENKUlT_T0_E_clISt17integral_constantIbLb0EES1I_IbLb1EEEEDaS1E_S1F_EUlS1E_E_NS1_11comp_targetILNS1_3genE2ELNS1_11target_archE906ELNS1_3gpuE6ELNS1_3repE0EEENS1_30default_config_static_selectorELNS0_4arch9wavefront6targetE1EEEvT1_.kd
    .uniform_work_group_size: 1
    .uses_dynamic_stack: false
    .vgpr_count:     0
    .vgpr_spill_count: 0
    .wavefront_size: 64
  - .agpr_count:     0
    .args:
      - .offset:         0
        .size:           152
        .value_kind:     by_value
    .group_segment_fixed_size: 0
    .kernarg_segment_align: 8
    .kernarg_segment_size: 152
    .language:       OpenCL C
    .language_version:
      - 2
      - 0
    .max_flat_workgroup_size: 384
    .name:           _ZN7rocprim17ROCPRIM_400000_NS6detail17trampoline_kernelINS0_14default_configENS1_25partition_config_selectorILNS1_17partition_subalgoE2EiNS0_10empty_typeEbEEZZNS1_14partition_implILS5_2ELb0ES3_jN6thrust23THRUST_200600_302600_NS6detail15normal_iteratorINSA_7pointerIiNSA_11hip_rocprim3tagENSA_11use_defaultESG_EEEEPS6_NSA_18transform_iteratorI10is_orderedNSA_12zip_iteratorINSA_5tupleINSC_INSA_10device_ptrIiEEEESQ_NSA_9null_typeESR_SR_SR_SR_SR_SR_SR_EEEESG_SG_EENS0_5tupleIJPiSJ_EEENSV_IJSJ_SJ_EEES6_PlJS6_EEE10hipError_tPvRmT3_T4_T5_T6_T7_T9_mT8_P12ihipStream_tbDpT10_ENKUlT_T0_E_clISt17integral_constantIbLb0EES1I_IbLb1EEEEDaS1E_S1F_EUlS1E_E_NS1_11comp_targetILNS1_3genE10ELNS1_11target_archE1200ELNS1_3gpuE4ELNS1_3repE0EEENS1_30default_config_static_selectorELNS0_4arch9wavefront6targetE1EEEvT1_
    .private_segment_fixed_size: 0
    .sgpr_count:     4
    .sgpr_spill_count: 0
    .symbol:         _ZN7rocprim17ROCPRIM_400000_NS6detail17trampoline_kernelINS0_14default_configENS1_25partition_config_selectorILNS1_17partition_subalgoE2EiNS0_10empty_typeEbEEZZNS1_14partition_implILS5_2ELb0ES3_jN6thrust23THRUST_200600_302600_NS6detail15normal_iteratorINSA_7pointerIiNSA_11hip_rocprim3tagENSA_11use_defaultESG_EEEEPS6_NSA_18transform_iteratorI10is_orderedNSA_12zip_iteratorINSA_5tupleINSC_INSA_10device_ptrIiEEEESQ_NSA_9null_typeESR_SR_SR_SR_SR_SR_SR_EEEESG_SG_EENS0_5tupleIJPiSJ_EEENSV_IJSJ_SJ_EEES6_PlJS6_EEE10hipError_tPvRmT3_T4_T5_T6_T7_T9_mT8_P12ihipStream_tbDpT10_ENKUlT_T0_E_clISt17integral_constantIbLb0EES1I_IbLb1EEEEDaS1E_S1F_EUlS1E_E_NS1_11comp_targetILNS1_3genE10ELNS1_11target_archE1200ELNS1_3gpuE4ELNS1_3repE0EEENS1_30default_config_static_selectorELNS0_4arch9wavefront6targetE1EEEvT1_.kd
    .uniform_work_group_size: 1
    .uses_dynamic_stack: false
    .vgpr_count:     0
    .vgpr_spill_count: 0
    .wavefront_size: 64
  - .agpr_count:     0
    .args:
      - .offset:         0
        .size:           152
        .value_kind:     by_value
    .group_segment_fixed_size: 0
    .kernarg_segment_align: 8
    .kernarg_segment_size: 152
    .language:       OpenCL C
    .language_version:
      - 2
      - 0
    .max_flat_workgroup_size: 128
    .name:           _ZN7rocprim17ROCPRIM_400000_NS6detail17trampoline_kernelINS0_14default_configENS1_25partition_config_selectorILNS1_17partition_subalgoE2EiNS0_10empty_typeEbEEZZNS1_14partition_implILS5_2ELb0ES3_jN6thrust23THRUST_200600_302600_NS6detail15normal_iteratorINSA_7pointerIiNSA_11hip_rocprim3tagENSA_11use_defaultESG_EEEEPS6_NSA_18transform_iteratorI10is_orderedNSA_12zip_iteratorINSA_5tupleINSC_INSA_10device_ptrIiEEEESQ_NSA_9null_typeESR_SR_SR_SR_SR_SR_SR_EEEESG_SG_EENS0_5tupleIJPiSJ_EEENSV_IJSJ_SJ_EEES6_PlJS6_EEE10hipError_tPvRmT3_T4_T5_T6_T7_T9_mT8_P12ihipStream_tbDpT10_ENKUlT_T0_E_clISt17integral_constantIbLb0EES1I_IbLb1EEEEDaS1E_S1F_EUlS1E_E_NS1_11comp_targetILNS1_3genE9ELNS1_11target_archE1100ELNS1_3gpuE3ELNS1_3repE0EEENS1_30default_config_static_selectorELNS0_4arch9wavefront6targetE1EEEvT1_
    .private_segment_fixed_size: 0
    .sgpr_count:     4
    .sgpr_spill_count: 0
    .symbol:         _ZN7rocprim17ROCPRIM_400000_NS6detail17trampoline_kernelINS0_14default_configENS1_25partition_config_selectorILNS1_17partition_subalgoE2EiNS0_10empty_typeEbEEZZNS1_14partition_implILS5_2ELb0ES3_jN6thrust23THRUST_200600_302600_NS6detail15normal_iteratorINSA_7pointerIiNSA_11hip_rocprim3tagENSA_11use_defaultESG_EEEEPS6_NSA_18transform_iteratorI10is_orderedNSA_12zip_iteratorINSA_5tupleINSC_INSA_10device_ptrIiEEEESQ_NSA_9null_typeESR_SR_SR_SR_SR_SR_SR_EEEESG_SG_EENS0_5tupleIJPiSJ_EEENSV_IJSJ_SJ_EEES6_PlJS6_EEE10hipError_tPvRmT3_T4_T5_T6_T7_T9_mT8_P12ihipStream_tbDpT10_ENKUlT_T0_E_clISt17integral_constantIbLb0EES1I_IbLb1EEEEDaS1E_S1F_EUlS1E_E_NS1_11comp_targetILNS1_3genE9ELNS1_11target_archE1100ELNS1_3gpuE3ELNS1_3repE0EEENS1_30default_config_static_selectorELNS0_4arch9wavefront6targetE1EEEvT1_.kd
    .uniform_work_group_size: 1
    .uses_dynamic_stack: false
    .vgpr_count:     0
    .vgpr_spill_count: 0
    .wavefront_size: 64
  - .agpr_count:     0
    .args:
      - .offset:         0
        .size:           152
        .value_kind:     by_value
    .group_segment_fixed_size: 0
    .kernarg_segment_align: 8
    .kernarg_segment_size: 152
    .language:       OpenCL C
    .language_version:
      - 2
      - 0
    .max_flat_workgroup_size: 512
    .name:           _ZN7rocprim17ROCPRIM_400000_NS6detail17trampoline_kernelINS0_14default_configENS1_25partition_config_selectorILNS1_17partition_subalgoE2EiNS0_10empty_typeEbEEZZNS1_14partition_implILS5_2ELb0ES3_jN6thrust23THRUST_200600_302600_NS6detail15normal_iteratorINSA_7pointerIiNSA_11hip_rocprim3tagENSA_11use_defaultESG_EEEEPS6_NSA_18transform_iteratorI10is_orderedNSA_12zip_iteratorINSA_5tupleINSC_INSA_10device_ptrIiEEEESQ_NSA_9null_typeESR_SR_SR_SR_SR_SR_SR_EEEESG_SG_EENS0_5tupleIJPiSJ_EEENSV_IJSJ_SJ_EEES6_PlJS6_EEE10hipError_tPvRmT3_T4_T5_T6_T7_T9_mT8_P12ihipStream_tbDpT10_ENKUlT_T0_E_clISt17integral_constantIbLb0EES1I_IbLb1EEEEDaS1E_S1F_EUlS1E_E_NS1_11comp_targetILNS1_3genE8ELNS1_11target_archE1030ELNS1_3gpuE2ELNS1_3repE0EEENS1_30default_config_static_selectorELNS0_4arch9wavefront6targetE1EEEvT1_
    .private_segment_fixed_size: 0
    .sgpr_count:     4
    .sgpr_spill_count: 0
    .symbol:         _ZN7rocprim17ROCPRIM_400000_NS6detail17trampoline_kernelINS0_14default_configENS1_25partition_config_selectorILNS1_17partition_subalgoE2EiNS0_10empty_typeEbEEZZNS1_14partition_implILS5_2ELb0ES3_jN6thrust23THRUST_200600_302600_NS6detail15normal_iteratorINSA_7pointerIiNSA_11hip_rocprim3tagENSA_11use_defaultESG_EEEEPS6_NSA_18transform_iteratorI10is_orderedNSA_12zip_iteratorINSA_5tupleINSC_INSA_10device_ptrIiEEEESQ_NSA_9null_typeESR_SR_SR_SR_SR_SR_SR_EEEESG_SG_EENS0_5tupleIJPiSJ_EEENSV_IJSJ_SJ_EEES6_PlJS6_EEE10hipError_tPvRmT3_T4_T5_T6_T7_T9_mT8_P12ihipStream_tbDpT10_ENKUlT_T0_E_clISt17integral_constantIbLb0EES1I_IbLb1EEEEDaS1E_S1F_EUlS1E_E_NS1_11comp_targetILNS1_3genE8ELNS1_11target_archE1030ELNS1_3gpuE2ELNS1_3repE0EEENS1_30default_config_static_selectorELNS0_4arch9wavefront6targetE1EEEvT1_.kd
    .uniform_work_group_size: 1
    .uses_dynamic_stack: false
    .vgpr_count:     0
    .vgpr_spill_count: 0
    .wavefront_size: 64
  - .agpr_count:     0
    .args:
      - .offset:         0
        .size:           136
        .value_kind:     by_value
    .group_segment_fixed_size: 0
    .kernarg_segment_align: 8
    .kernarg_segment_size: 136
    .language:       OpenCL C
    .language_version:
      - 2
      - 0
    .max_flat_workgroup_size: 256
    .name:           _ZN7rocprim17ROCPRIM_400000_NS6detail17trampoline_kernelINS0_14default_configENS1_25partition_config_selectorILNS1_17partition_subalgoE2EsNS0_10empty_typeEbEEZZNS1_14partition_implILS5_2ELb0ES3_jN6thrust23THRUST_200600_302600_NS6detail15normal_iteratorINSA_7pointerIsNSA_11hip_rocprim3tagENSA_11use_defaultESG_EEEEPS6_NSA_18transform_iteratorI10is_orderedNSA_12zip_iteratorINSA_5tupleINSC_INSA_10device_ptrIsEEEESQ_NSA_9null_typeESR_SR_SR_SR_SR_SR_SR_EEEESG_SG_EENS0_5tupleIJPsSJ_EEENSV_IJSJ_SJ_EEES6_PlJS6_EEE10hipError_tPvRmT3_T4_T5_T6_T7_T9_mT8_P12ihipStream_tbDpT10_ENKUlT_T0_E_clISt17integral_constantIbLb0EES1J_EEDaS1E_S1F_EUlS1E_E_NS1_11comp_targetILNS1_3genE0ELNS1_11target_archE4294967295ELNS1_3gpuE0ELNS1_3repE0EEENS1_30default_config_static_selectorELNS0_4arch9wavefront6targetE1EEEvT1_
    .private_segment_fixed_size: 0
    .sgpr_count:     4
    .sgpr_spill_count: 0
    .symbol:         _ZN7rocprim17ROCPRIM_400000_NS6detail17trampoline_kernelINS0_14default_configENS1_25partition_config_selectorILNS1_17partition_subalgoE2EsNS0_10empty_typeEbEEZZNS1_14partition_implILS5_2ELb0ES3_jN6thrust23THRUST_200600_302600_NS6detail15normal_iteratorINSA_7pointerIsNSA_11hip_rocprim3tagENSA_11use_defaultESG_EEEEPS6_NSA_18transform_iteratorI10is_orderedNSA_12zip_iteratorINSA_5tupleINSC_INSA_10device_ptrIsEEEESQ_NSA_9null_typeESR_SR_SR_SR_SR_SR_SR_EEEESG_SG_EENS0_5tupleIJPsSJ_EEENSV_IJSJ_SJ_EEES6_PlJS6_EEE10hipError_tPvRmT3_T4_T5_T6_T7_T9_mT8_P12ihipStream_tbDpT10_ENKUlT_T0_E_clISt17integral_constantIbLb0EES1J_EEDaS1E_S1F_EUlS1E_E_NS1_11comp_targetILNS1_3genE0ELNS1_11target_archE4294967295ELNS1_3gpuE0ELNS1_3repE0EEENS1_30default_config_static_selectorELNS0_4arch9wavefront6targetE1EEEvT1_.kd
    .uniform_work_group_size: 1
    .uses_dynamic_stack: false
    .vgpr_count:     0
    .vgpr_spill_count: 0
    .wavefront_size: 64
  - .agpr_count:     0
    .args:
      - .offset:         0
        .size:           136
        .value_kind:     by_value
    .group_segment_fixed_size: 0
    .kernarg_segment_align: 8
    .kernarg_segment_size: 136
    .language:       OpenCL C
    .language_version:
      - 2
      - 0
    .max_flat_workgroup_size: 512
    .name:           _ZN7rocprim17ROCPRIM_400000_NS6detail17trampoline_kernelINS0_14default_configENS1_25partition_config_selectorILNS1_17partition_subalgoE2EsNS0_10empty_typeEbEEZZNS1_14partition_implILS5_2ELb0ES3_jN6thrust23THRUST_200600_302600_NS6detail15normal_iteratorINSA_7pointerIsNSA_11hip_rocprim3tagENSA_11use_defaultESG_EEEEPS6_NSA_18transform_iteratorI10is_orderedNSA_12zip_iteratorINSA_5tupleINSC_INSA_10device_ptrIsEEEESQ_NSA_9null_typeESR_SR_SR_SR_SR_SR_SR_EEEESG_SG_EENS0_5tupleIJPsSJ_EEENSV_IJSJ_SJ_EEES6_PlJS6_EEE10hipError_tPvRmT3_T4_T5_T6_T7_T9_mT8_P12ihipStream_tbDpT10_ENKUlT_T0_E_clISt17integral_constantIbLb0EES1J_EEDaS1E_S1F_EUlS1E_E_NS1_11comp_targetILNS1_3genE5ELNS1_11target_archE942ELNS1_3gpuE9ELNS1_3repE0EEENS1_30default_config_static_selectorELNS0_4arch9wavefront6targetE1EEEvT1_
    .private_segment_fixed_size: 0
    .sgpr_count:     4
    .sgpr_spill_count: 0
    .symbol:         _ZN7rocprim17ROCPRIM_400000_NS6detail17trampoline_kernelINS0_14default_configENS1_25partition_config_selectorILNS1_17partition_subalgoE2EsNS0_10empty_typeEbEEZZNS1_14partition_implILS5_2ELb0ES3_jN6thrust23THRUST_200600_302600_NS6detail15normal_iteratorINSA_7pointerIsNSA_11hip_rocprim3tagENSA_11use_defaultESG_EEEEPS6_NSA_18transform_iteratorI10is_orderedNSA_12zip_iteratorINSA_5tupleINSC_INSA_10device_ptrIsEEEESQ_NSA_9null_typeESR_SR_SR_SR_SR_SR_SR_EEEESG_SG_EENS0_5tupleIJPsSJ_EEENSV_IJSJ_SJ_EEES6_PlJS6_EEE10hipError_tPvRmT3_T4_T5_T6_T7_T9_mT8_P12ihipStream_tbDpT10_ENKUlT_T0_E_clISt17integral_constantIbLb0EES1J_EEDaS1E_S1F_EUlS1E_E_NS1_11comp_targetILNS1_3genE5ELNS1_11target_archE942ELNS1_3gpuE9ELNS1_3repE0EEENS1_30default_config_static_selectorELNS0_4arch9wavefront6targetE1EEEvT1_.kd
    .uniform_work_group_size: 1
    .uses_dynamic_stack: false
    .vgpr_count:     0
    .vgpr_spill_count: 0
    .wavefront_size: 64
  - .agpr_count:     0
    .args:
      - .offset:         0
        .size:           136
        .value_kind:     by_value
    .group_segment_fixed_size: 10248
    .kernarg_segment_align: 8
    .kernarg_segment_size: 136
    .language:       OpenCL C
    .language_version:
      - 2
      - 0
    .max_flat_workgroup_size: 256
    .name:           _ZN7rocprim17ROCPRIM_400000_NS6detail17trampoline_kernelINS0_14default_configENS1_25partition_config_selectorILNS1_17partition_subalgoE2EsNS0_10empty_typeEbEEZZNS1_14partition_implILS5_2ELb0ES3_jN6thrust23THRUST_200600_302600_NS6detail15normal_iteratorINSA_7pointerIsNSA_11hip_rocprim3tagENSA_11use_defaultESG_EEEEPS6_NSA_18transform_iteratorI10is_orderedNSA_12zip_iteratorINSA_5tupleINSC_INSA_10device_ptrIsEEEESQ_NSA_9null_typeESR_SR_SR_SR_SR_SR_SR_EEEESG_SG_EENS0_5tupleIJPsSJ_EEENSV_IJSJ_SJ_EEES6_PlJS6_EEE10hipError_tPvRmT3_T4_T5_T6_T7_T9_mT8_P12ihipStream_tbDpT10_ENKUlT_T0_E_clISt17integral_constantIbLb0EES1J_EEDaS1E_S1F_EUlS1E_E_NS1_11comp_targetILNS1_3genE4ELNS1_11target_archE910ELNS1_3gpuE8ELNS1_3repE0EEENS1_30default_config_static_selectorELNS0_4arch9wavefront6targetE1EEEvT1_
    .private_segment_fixed_size: 0
    .sgpr_count:     50
    .sgpr_spill_count: 0
    .symbol:         _ZN7rocprim17ROCPRIM_400000_NS6detail17trampoline_kernelINS0_14default_configENS1_25partition_config_selectorILNS1_17partition_subalgoE2EsNS0_10empty_typeEbEEZZNS1_14partition_implILS5_2ELb0ES3_jN6thrust23THRUST_200600_302600_NS6detail15normal_iteratorINSA_7pointerIsNSA_11hip_rocprim3tagENSA_11use_defaultESG_EEEEPS6_NSA_18transform_iteratorI10is_orderedNSA_12zip_iteratorINSA_5tupleINSC_INSA_10device_ptrIsEEEESQ_NSA_9null_typeESR_SR_SR_SR_SR_SR_SR_EEEESG_SG_EENS0_5tupleIJPsSJ_EEENSV_IJSJ_SJ_EEES6_PlJS6_EEE10hipError_tPvRmT3_T4_T5_T6_T7_T9_mT8_P12ihipStream_tbDpT10_ENKUlT_T0_E_clISt17integral_constantIbLb0EES1J_EEDaS1E_S1F_EUlS1E_E_NS1_11comp_targetILNS1_3genE4ELNS1_11target_archE910ELNS1_3gpuE8ELNS1_3repE0EEENS1_30default_config_static_selectorELNS0_4arch9wavefront6targetE1EEEvT1_.kd
    .uniform_work_group_size: 1
    .uses_dynamic_stack: false
    .vgpr_count:     65
    .vgpr_spill_count: 0
    .wavefront_size: 64
  - .agpr_count:     0
    .args:
      - .offset:         0
        .size:           136
        .value_kind:     by_value
    .group_segment_fixed_size: 0
    .kernarg_segment_align: 8
    .kernarg_segment_size: 136
    .language:       OpenCL C
    .language_version:
      - 2
      - 0
    .max_flat_workgroup_size: 256
    .name:           _ZN7rocprim17ROCPRIM_400000_NS6detail17trampoline_kernelINS0_14default_configENS1_25partition_config_selectorILNS1_17partition_subalgoE2EsNS0_10empty_typeEbEEZZNS1_14partition_implILS5_2ELb0ES3_jN6thrust23THRUST_200600_302600_NS6detail15normal_iteratorINSA_7pointerIsNSA_11hip_rocprim3tagENSA_11use_defaultESG_EEEEPS6_NSA_18transform_iteratorI10is_orderedNSA_12zip_iteratorINSA_5tupleINSC_INSA_10device_ptrIsEEEESQ_NSA_9null_typeESR_SR_SR_SR_SR_SR_SR_EEEESG_SG_EENS0_5tupleIJPsSJ_EEENSV_IJSJ_SJ_EEES6_PlJS6_EEE10hipError_tPvRmT3_T4_T5_T6_T7_T9_mT8_P12ihipStream_tbDpT10_ENKUlT_T0_E_clISt17integral_constantIbLb0EES1J_EEDaS1E_S1F_EUlS1E_E_NS1_11comp_targetILNS1_3genE3ELNS1_11target_archE908ELNS1_3gpuE7ELNS1_3repE0EEENS1_30default_config_static_selectorELNS0_4arch9wavefront6targetE1EEEvT1_
    .private_segment_fixed_size: 0
    .sgpr_count:     4
    .sgpr_spill_count: 0
    .symbol:         _ZN7rocprim17ROCPRIM_400000_NS6detail17trampoline_kernelINS0_14default_configENS1_25partition_config_selectorILNS1_17partition_subalgoE2EsNS0_10empty_typeEbEEZZNS1_14partition_implILS5_2ELb0ES3_jN6thrust23THRUST_200600_302600_NS6detail15normal_iteratorINSA_7pointerIsNSA_11hip_rocprim3tagENSA_11use_defaultESG_EEEEPS6_NSA_18transform_iteratorI10is_orderedNSA_12zip_iteratorINSA_5tupleINSC_INSA_10device_ptrIsEEEESQ_NSA_9null_typeESR_SR_SR_SR_SR_SR_SR_EEEESG_SG_EENS0_5tupleIJPsSJ_EEENSV_IJSJ_SJ_EEES6_PlJS6_EEE10hipError_tPvRmT3_T4_T5_T6_T7_T9_mT8_P12ihipStream_tbDpT10_ENKUlT_T0_E_clISt17integral_constantIbLb0EES1J_EEDaS1E_S1F_EUlS1E_E_NS1_11comp_targetILNS1_3genE3ELNS1_11target_archE908ELNS1_3gpuE7ELNS1_3repE0EEENS1_30default_config_static_selectorELNS0_4arch9wavefront6targetE1EEEvT1_.kd
    .uniform_work_group_size: 1
    .uses_dynamic_stack: false
    .vgpr_count:     0
    .vgpr_spill_count: 0
    .wavefront_size: 64
  - .agpr_count:     0
    .args:
      - .offset:         0
        .size:           136
        .value_kind:     by_value
    .group_segment_fixed_size: 0
    .kernarg_segment_align: 8
    .kernarg_segment_size: 136
    .language:       OpenCL C
    .language_version:
      - 2
      - 0
    .max_flat_workgroup_size: 256
    .name:           _ZN7rocprim17ROCPRIM_400000_NS6detail17trampoline_kernelINS0_14default_configENS1_25partition_config_selectorILNS1_17partition_subalgoE2EsNS0_10empty_typeEbEEZZNS1_14partition_implILS5_2ELb0ES3_jN6thrust23THRUST_200600_302600_NS6detail15normal_iteratorINSA_7pointerIsNSA_11hip_rocprim3tagENSA_11use_defaultESG_EEEEPS6_NSA_18transform_iteratorI10is_orderedNSA_12zip_iteratorINSA_5tupleINSC_INSA_10device_ptrIsEEEESQ_NSA_9null_typeESR_SR_SR_SR_SR_SR_SR_EEEESG_SG_EENS0_5tupleIJPsSJ_EEENSV_IJSJ_SJ_EEES6_PlJS6_EEE10hipError_tPvRmT3_T4_T5_T6_T7_T9_mT8_P12ihipStream_tbDpT10_ENKUlT_T0_E_clISt17integral_constantIbLb0EES1J_EEDaS1E_S1F_EUlS1E_E_NS1_11comp_targetILNS1_3genE2ELNS1_11target_archE906ELNS1_3gpuE6ELNS1_3repE0EEENS1_30default_config_static_selectorELNS0_4arch9wavefront6targetE1EEEvT1_
    .private_segment_fixed_size: 0
    .sgpr_count:     4
    .sgpr_spill_count: 0
    .symbol:         _ZN7rocprim17ROCPRIM_400000_NS6detail17trampoline_kernelINS0_14default_configENS1_25partition_config_selectorILNS1_17partition_subalgoE2EsNS0_10empty_typeEbEEZZNS1_14partition_implILS5_2ELb0ES3_jN6thrust23THRUST_200600_302600_NS6detail15normal_iteratorINSA_7pointerIsNSA_11hip_rocprim3tagENSA_11use_defaultESG_EEEEPS6_NSA_18transform_iteratorI10is_orderedNSA_12zip_iteratorINSA_5tupleINSC_INSA_10device_ptrIsEEEESQ_NSA_9null_typeESR_SR_SR_SR_SR_SR_SR_EEEESG_SG_EENS0_5tupleIJPsSJ_EEENSV_IJSJ_SJ_EEES6_PlJS6_EEE10hipError_tPvRmT3_T4_T5_T6_T7_T9_mT8_P12ihipStream_tbDpT10_ENKUlT_T0_E_clISt17integral_constantIbLb0EES1J_EEDaS1E_S1F_EUlS1E_E_NS1_11comp_targetILNS1_3genE2ELNS1_11target_archE906ELNS1_3gpuE6ELNS1_3repE0EEENS1_30default_config_static_selectorELNS0_4arch9wavefront6targetE1EEEvT1_.kd
    .uniform_work_group_size: 1
    .uses_dynamic_stack: false
    .vgpr_count:     0
    .vgpr_spill_count: 0
    .wavefront_size: 64
  - .agpr_count:     0
    .args:
      - .offset:         0
        .size:           136
        .value_kind:     by_value
    .group_segment_fixed_size: 0
    .kernarg_segment_align: 8
    .kernarg_segment_size: 136
    .language:       OpenCL C
    .language_version:
      - 2
      - 0
    .max_flat_workgroup_size: 256
    .name:           _ZN7rocprim17ROCPRIM_400000_NS6detail17trampoline_kernelINS0_14default_configENS1_25partition_config_selectorILNS1_17partition_subalgoE2EsNS0_10empty_typeEbEEZZNS1_14partition_implILS5_2ELb0ES3_jN6thrust23THRUST_200600_302600_NS6detail15normal_iteratorINSA_7pointerIsNSA_11hip_rocprim3tagENSA_11use_defaultESG_EEEEPS6_NSA_18transform_iteratorI10is_orderedNSA_12zip_iteratorINSA_5tupleINSC_INSA_10device_ptrIsEEEESQ_NSA_9null_typeESR_SR_SR_SR_SR_SR_SR_EEEESG_SG_EENS0_5tupleIJPsSJ_EEENSV_IJSJ_SJ_EEES6_PlJS6_EEE10hipError_tPvRmT3_T4_T5_T6_T7_T9_mT8_P12ihipStream_tbDpT10_ENKUlT_T0_E_clISt17integral_constantIbLb0EES1J_EEDaS1E_S1F_EUlS1E_E_NS1_11comp_targetILNS1_3genE10ELNS1_11target_archE1200ELNS1_3gpuE4ELNS1_3repE0EEENS1_30default_config_static_selectorELNS0_4arch9wavefront6targetE1EEEvT1_
    .private_segment_fixed_size: 0
    .sgpr_count:     4
    .sgpr_spill_count: 0
    .symbol:         _ZN7rocprim17ROCPRIM_400000_NS6detail17trampoline_kernelINS0_14default_configENS1_25partition_config_selectorILNS1_17partition_subalgoE2EsNS0_10empty_typeEbEEZZNS1_14partition_implILS5_2ELb0ES3_jN6thrust23THRUST_200600_302600_NS6detail15normal_iteratorINSA_7pointerIsNSA_11hip_rocprim3tagENSA_11use_defaultESG_EEEEPS6_NSA_18transform_iteratorI10is_orderedNSA_12zip_iteratorINSA_5tupleINSC_INSA_10device_ptrIsEEEESQ_NSA_9null_typeESR_SR_SR_SR_SR_SR_SR_EEEESG_SG_EENS0_5tupleIJPsSJ_EEENSV_IJSJ_SJ_EEES6_PlJS6_EEE10hipError_tPvRmT3_T4_T5_T6_T7_T9_mT8_P12ihipStream_tbDpT10_ENKUlT_T0_E_clISt17integral_constantIbLb0EES1J_EEDaS1E_S1F_EUlS1E_E_NS1_11comp_targetILNS1_3genE10ELNS1_11target_archE1200ELNS1_3gpuE4ELNS1_3repE0EEENS1_30default_config_static_selectorELNS0_4arch9wavefront6targetE1EEEvT1_.kd
    .uniform_work_group_size: 1
    .uses_dynamic_stack: false
    .vgpr_count:     0
    .vgpr_spill_count: 0
    .wavefront_size: 64
  - .agpr_count:     0
    .args:
      - .offset:         0
        .size:           136
        .value_kind:     by_value
    .group_segment_fixed_size: 0
    .kernarg_segment_align: 8
    .kernarg_segment_size: 136
    .language:       OpenCL C
    .language_version:
      - 2
      - 0
    .max_flat_workgroup_size: 128
    .name:           _ZN7rocprim17ROCPRIM_400000_NS6detail17trampoline_kernelINS0_14default_configENS1_25partition_config_selectorILNS1_17partition_subalgoE2EsNS0_10empty_typeEbEEZZNS1_14partition_implILS5_2ELb0ES3_jN6thrust23THRUST_200600_302600_NS6detail15normal_iteratorINSA_7pointerIsNSA_11hip_rocprim3tagENSA_11use_defaultESG_EEEEPS6_NSA_18transform_iteratorI10is_orderedNSA_12zip_iteratorINSA_5tupleINSC_INSA_10device_ptrIsEEEESQ_NSA_9null_typeESR_SR_SR_SR_SR_SR_SR_EEEESG_SG_EENS0_5tupleIJPsSJ_EEENSV_IJSJ_SJ_EEES6_PlJS6_EEE10hipError_tPvRmT3_T4_T5_T6_T7_T9_mT8_P12ihipStream_tbDpT10_ENKUlT_T0_E_clISt17integral_constantIbLb0EES1J_EEDaS1E_S1F_EUlS1E_E_NS1_11comp_targetILNS1_3genE9ELNS1_11target_archE1100ELNS1_3gpuE3ELNS1_3repE0EEENS1_30default_config_static_selectorELNS0_4arch9wavefront6targetE1EEEvT1_
    .private_segment_fixed_size: 0
    .sgpr_count:     4
    .sgpr_spill_count: 0
    .symbol:         _ZN7rocprim17ROCPRIM_400000_NS6detail17trampoline_kernelINS0_14default_configENS1_25partition_config_selectorILNS1_17partition_subalgoE2EsNS0_10empty_typeEbEEZZNS1_14partition_implILS5_2ELb0ES3_jN6thrust23THRUST_200600_302600_NS6detail15normal_iteratorINSA_7pointerIsNSA_11hip_rocprim3tagENSA_11use_defaultESG_EEEEPS6_NSA_18transform_iteratorI10is_orderedNSA_12zip_iteratorINSA_5tupleINSC_INSA_10device_ptrIsEEEESQ_NSA_9null_typeESR_SR_SR_SR_SR_SR_SR_EEEESG_SG_EENS0_5tupleIJPsSJ_EEENSV_IJSJ_SJ_EEES6_PlJS6_EEE10hipError_tPvRmT3_T4_T5_T6_T7_T9_mT8_P12ihipStream_tbDpT10_ENKUlT_T0_E_clISt17integral_constantIbLb0EES1J_EEDaS1E_S1F_EUlS1E_E_NS1_11comp_targetILNS1_3genE9ELNS1_11target_archE1100ELNS1_3gpuE3ELNS1_3repE0EEENS1_30default_config_static_selectorELNS0_4arch9wavefront6targetE1EEEvT1_.kd
    .uniform_work_group_size: 1
    .uses_dynamic_stack: false
    .vgpr_count:     0
    .vgpr_spill_count: 0
    .wavefront_size: 64
  - .agpr_count:     0
    .args:
      - .offset:         0
        .size:           136
        .value_kind:     by_value
    .group_segment_fixed_size: 0
    .kernarg_segment_align: 8
    .kernarg_segment_size: 136
    .language:       OpenCL C
    .language_version:
      - 2
      - 0
    .max_flat_workgroup_size: 512
    .name:           _ZN7rocprim17ROCPRIM_400000_NS6detail17trampoline_kernelINS0_14default_configENS1_25partition_config_selectorILNS1_17partition_subalgoE2EsNS0_10empty_typeEbEEZZNS1_14partition_implILS5_2ELb0ES3_jN6thrust23THRUST_200600_302600_NS6detail15normal_iteratorINSA_7pointerIsNSA_11hip_rocprim3tagENSA_11use_defaultESG_EEEEPS6_NSA_18transform_iteratorI10is_orderedNSA_12zip_iteratorINSA_5tupleINSC_INSA_10device_ptrIsEEEESQ_NSA_9null_typeESR_SR_SR_SR_SR_SR_SR_EEEESG_SG_EENS0_5tupleIJPsSJ_EEENSV_IJSJ_SJ_EEES6_PlJS6_EEE10hipError_tPvRmT3_T4_T5_T6_T7_T9_mT8_P12ihipStream_tbDpT10_ENKUlT_T0_E_clISt17integral_constantIbLb0EES1J_EEDaS1E_S1F_EUlS1E_E_NS1_11comp_targetILNS1_3genE8ELNS1_11target_archE1030ELNS1_3gpuE2ELNS1_3repE0EEENS1_30default_config_static_selectorELNS0_4arch9wavefront6targetE1EEEvT1_
    .private_segment_fixed_size: 0
    .sgpr_count:     4
    .sgpr_spill_count: 0
    .symbol:         _ZN7rocprim17ROCPRIM_400000_NS6detail17trampoline_kernelINS0_14default_configENS1_25partition_config_selectorILNS1_17partition_subalgoE2EsNS0_10empty_typeEbEEZZNS1_14partition_implILS5_2ELb0ES3_jN6thrust23THRUST_200600_302600_NS6detail15normal_iteratorINSA_7pointerIsNSA_11hip_rocprim3tagENSA_11use_defaultESG_EEEEPS6_NSA_18transform_iteratorI10is_orderedNSA_12zip_iteratorINSA_5tupleINSC_INSA_10device_ptrIsEEEESQ_NSA_9null_typeESR_SR_SR_SR_SR_SR_SR_EEEESG_SG_EENS0_5tupleIJPsSJ_EEENSV_IJSJ_SJ_EEES6_PlJS6_EEE10hipError_tPvRmT3_T4_T5_T6_T7_T9_mT8_P12ihipStream_tbDpT10_ENKUlT_T0_E_clISt17integral_constantIbLb0EES1J_EEDaS1E_S1F_EUlS1E_E_NS1_11comp_targetILNS1_3genE8ELNS1_11target_archE1030ELNS1_3gpuE2ELNS1_3repE0EEENS1_30default_config_static_selectorELNS0_4arch9wavefront6targetE1EEEvT1_.kd
    .uniform_work_group_size: 1
    .uses_dynamic_stack: false
    .vgpr_count:     0
    .vgpr_spill_count: 0
    .wavefront_size: 64
  - .agpr_count:     0
    .args:
      - .offset:         0
        .size:           152
        .value_kind:     by_value
    .group_segment_fixed_size: 0
    .kernarg_segment_align: 8
    .kernarg_segment_size: 152
    .language:       OpenCL C
    .language_version:
      - 2
      - 0
    .max_flat_workgroup_size: 256
    .name:           _ZN7rocprim17ROCPRIM_400000_NS6detail17trampoline_kernelINS0_14default_configENS1_25partition_config_selectorILNS1_17partition_subalgoE2EsNS0_10empty_typeEbEEZZNS1_14partition_implILS5_2ELb0ES3_jN6thrust23THRUST_200600_302600_NS6detail15normal_iteratorINSA_7pointerIsNSA_11hip_rocprim3tagENSA_11use_defaultESG_EEEEPS6_NSA_18transform_iteratorI10is_orderedNSA_12zip_iteratorINSA_5tupleINSC_INSA_10device_ptrIsEEEESQ_NSA_9null_typeESR_SR_SR_SR_SR_SR_SR_EEEESG_SG_EENS0_5tupleIJPsSJ_EEENSV_IJSJ_SJ_EEES6_PlJS6_EEE10hipError_tPvRmT3_T4_T5_T6_T7_T9_mT8_P12ihipStream_tbDpT10_ENKUlT_T0_E_clISt17integral_constantIbLb1EES1J_EEDaS1E_S1F_EUlS1E_E_NS1_11comp_targetILNS1_3genE0ELNS1_11target_archE4294967295ELNS1_3gpuE0ELNS1_3repE0EEENS1_30default_config_static_selectorELNS0_4arch9wavefront6targetE1EEEvT1_
    .private_segment_fixed_size: 0
    .sgpr_count:     4
    .sgpr_spill_count: 0
    .symbol:         _ZN7rocprim17ROCPRIM_400000_NS6detail17trampoline_kernelINS0_14default_configENS1_25partition_config_selectorILNS1_17partition_subalgoE2EsNS0_10empty_typeEbEEZZNS1_14partition_implILS5_2ELb0ES3_jN6thrust23THRUST_200600_302600_NS6detail15normal_iteratorINSA_7pointerIsNSA_11hip_rocprim3tagENSA_11use_defaultESG_EEEEPS6_NSA_18transform_iteratorI10is_orderedNSA_12zip_iteratorINSA_5tupleINSC_INSA_10device_ptrIsEEEESQ_NSA_9null_typeESR_SR_SR_SR_SR_SR_SR_EEEESG_SG_EENS0_5tupleIJPsSJ_EEENSV_IJSJ_SJ_EEES6_PlJS6_EEE10hipError_tPvRmT3_T4_T5_T6_T7_T9_mT8_P12ihipStream_tbDpT10_ENKUlT_T0_E_clISt17integral_constantIbLb1EES1J_EEDaS1E_S1F_EUlS1E_E_NS1_11comp_targetILNS1_3genE0ELNS1_11target_archE4294967295ELNS1_3gpuE0ELNS1_3repE0EEENS1_30default_config_static_selectorELNS0_4arch9wavefront6targetE1EEEvT1_.kd
    .uniform_work_group_size: 1
    .uses_dynamic_stack: false
    .vgpr_count:     0
    .vgpr_spill_count: 0
    .wavefront_size: 64
  - .agpr_count:     0
    .args:
      - .offset:         0
        .size:           152
        .value_kind:     by_value
    .group_segment_fixed_size: 0
    .kernarg_segment_align: 8
    .kernarg_segment_size: 152
    .language:       OpenCL C
    .language_version:
      - 2
      - 0
    .max_flat_workgroup_size: 512
    .name:           _ZN7rocprim17ROCPRIM_400000_NS6detail17trampoline_kernelINS0_14default_configENS1_25partition_config_selectorILNS1_17partition_subalgoE2EsNS0_10empty_typeEbEEZZNS1_14partition_implILS5_2ELb0ES3_jN6thrust23THRUST_200600_302600_NS6detail15normal_iteratorINSA_7pointerIsNSA_11hip_rocprim3tagENSA_11use_defaultESG_EEEEPS6_NSA_18transform_iteratorI10is_orderedNSA_12zip_iteratorINSA_5tupleINSC_INSA_10device_ptrIsEEEESQ_NSA_9null_typeESR_SR_SR_SR_SR_SR_SR_EEEESG_SG_EENS0_5tupleIJPsSJ_EEENSV_IJSJ_SJ_EEES6_PlJS6_EEE10hipError_tPvRmT3_T4_T5_T6_T7_T9_mT8_P12ihipStream_tbDpT10_ENKUlT_T0_E_clISt17integral_constantIbLb1EES1J_EEDaS1E_S1F_EUlS1E_E_NS1_11comp_targetILNS1_3genE5ELNS1_11target_archE942ELNS1_3gpuE9ELNS1_3repE0EEENS1_30default_config_static_selectorELNS0_4arch9wavefront6targetE1EEEvT1_
    .private_segment_fixed_size: 0
    .sgpr_count:     4
    .sgpr_spill_count: 0
    .symbol:         _ZN7rocprim17ROCPRIM_400000_NS6detail17trampoline_kernelINS0_14default_configENS1_25partition_config_selectorILNS1_17partition_subalgoE2EsNS0_10empty_typeEbEEZZNS1_14partition_implILS5_2ELb0ES3_jN6thrust23THRUST_200600_302600_NS6detail15normal_iteratorINSA_7pointerIsNSA_11hip_rocprim3tagENSA_11use_defaultESG_EEEEPS6_NSA_18transform_iteratorI10is_orderedNSA_12zip_iteratorINSA_5tupleINSC_INSA_10device_ptrIsEEEESQ_NSA_9null_typeESR_SR_SR_SR_SR_SR_SR_EEEESG_SG_EENS0_5tupleIJPsSJ_EEENSV_IJSJ_SJ_EEES6_PlJS6_EEE10hipError_tPvRmT3_T4_T5_T6_T7_T9_mT8_P12ihipStream_tbDpT10_ENKUlT_T0_E_clISt17integral_constantIbLb1EES1J_EEDaS1E_S1F_EUlS1E_E_NS1_11comp_targetILNS1_3genE5ELNS1_11target_archE942ELNS1_3gpuE9ELNS1_3repE0EEENS1_30default_config_static_selectorELNS0_4arch9wavefront6targetE1EEEvT1_.kd
    .uniform_work_group_size: 1
    .uses_dynamic_stack: false
    .vgpr_count:     0
    .vgpr_spill_count: 0
    .wavefront_size: 64
  - .agpr_count:     0
    .args:
      - .offset:         0
        .size:           152
        .value_kind:     by_value
    .group_segment_fixed_size: 10248
    .kernarg_segment_align: 8
    .kernarg_segment_size: 152
    .language:       OpenCL C
    .language_version:
      - 2
      - 0
    .max_flat_workgroup_size: 256
    .name:           _ZN7rocprim17ROCPRIM_400000_NS6detail17trampoline_kernelINS0_14default_configENS1_25partition_config_selectorILNS1_17partition_subalgoE2EsNS0_10empty_typeEbEEZZNS1_14partition_implILS5_2ELb0ES3_jN6thrust23THRUST_200600_302600_NS6detail15normal_iteratorINSA_7pointerIsNSA_11hip_rocprim3tagENSA_11use_defaultESG_EEEEPS6_NSA_18transform_iteratorI10is_orderedNSA_12zip_iteratorINSA_5tupleINSC_INSA_10device_ptrIsEEEESQ_NSA_9null_typeESR_SR_SR_SR_SR_SR_SR_EEEESG_SG_EENS0_5tupleIJPsSJ_EEENSV_IJSJ_SJ_EEES6_PlJS6_EEE10hipError_tPvRmT3_T4_T5_T6_T7_T9_mT8_P12ihipStream_tbDpT10_ENKUlT_T0_E_clISt17integral_constantIbLb1EES1J_EEDaS1E_S1F_EUlS1E_E_NS1_11comp_targetILNS1_3genE4ELNS1_11target_archE910ELNS1_3gpuE8ELNS1_3repE0EEENS1_30default_config_static_selectorELNS0_4arch9wavefront6targetE1EEEvT1_
    .private_segment_fixed_size: 0
    .sgpr_count:     50
    .sgpr_spill_count: 0
    .symbol:         _ZN7rocprim17ROCPRIM_400000_NS6detail17trampoline_kernelINS0_14default_configENS1_25partition_config_selectorILNS1_17partition_subalgoE2EsNS0_10empty_typeEbEEZZNS1_14partition_implILS5_2ELb0ES3_jN6thrust23THRUST_200600_302600_NS6detail15normal_iteratorINSA_7pointerIsNSA_11hip_rocprim3tagENSA_11use_defaultESG_EEEEPS6_NSA_18transform_iteratorI10is_orderedNSA_12zip_iteratorINSA_5tupleINSC_INSA_10device_ptrIsEEEESQ_NSA_9null_typeESR_SR_SR_SR_SR_SR_SR_EEEESG_SG_EENS0_5tupleIJPsSJ_EEENSV_IJSJ_SJ_EEES6_PlJS6_EEE10hipError_tPvRmT3_T4_T5_T6_T7_T9_mT8_P12ihipStream_tbDpT10_ENKUlT_T0_E_clISt17integral_constantIbLb1EES1J_EEDaS1E_S1F_EUlS1E_E_NS1_11comp_targetILNS1_3genE4ELNS1_11target_archE910ELNS1_3gpuE8ELNS1_3repE0EEENS1_30default_config_static_selectorELNS0_4arch9wavefront6targetE1EEEvT1_.kd
    .uniform_work_group_size: 1
    .uses_dynamic_stack: false
    .vgpr_count:     67
    .vgpr_spill_count: 0
    .wavefront_size: 64
  - .agpr_count:     0
    .args:
      - .offset:         0
        .size:           152
        .value_kind:     by_value
    .group_segment_fixed_size: 0
    .kernarg_segment_align: 8
    .kernarg_segment_size: 152
    .language:       OpenCL C
    .language_version:
      - 2
      - 0
    .max_flat_workgroup_size: 256
    .name:           _ZN7rocprim17ROCPRIM_400000_NS6detail17trampoline_kernelINS0_14default_configENS1_25partition_config_selectorILNS1_17partition_subalgoE2EsNS0_10empty_typeEbEEZZNS1_14partition_implILS5_2ELb0ES3_jN6thrust23THRUST_200600_302600_NS6detail15normal_iteratorINSA_7pointerIsNSA_11hip_rocprim3tagENSA_11use_defaultESG_EEEEPS6_NSA_18transform_iteratorI10is_orderedNSA_12zip_iteratorINSA_5tupleINSC_INSA_10device_ptrIsEEEESQ_NSA_9null_typeESR_SR_SR_SR_SR_SR_SR_EEEESG_SG_EENS0_5tupleIJPsSJ_EEENSV_IJSJ_SJ_EEES6_PlJS6_EEE10hipError_tPvRmT3_T4_T5_T6_T7_T9_mT8_P12ihipStream_tbDpT10_ENKUlT_T0_E_clISt17integral_constantIbLb1EES1J_EEDaS1E_S1F_EUlS1E_E_NS1_11comp_targetILNS1_3genE3ELNS1_11target_archE908ELNS1_3gpuE7ELNS1_3repE0EEENS1_30default_config_static_selectorELNS0_4arch9wavefront6targetE1EEEvT1_
    .private_segment_fixed_size: 0
    .sgpr_count:     4
    .sgpr_spill_count: 0
    .symbol:         _ZN7rocprim17ROCPRIM_400000_NS6detail17trampoline_kernelINS0_14default_configENS1_25partition_config_selectorILNS1_17partition_subalgoE2EsNS0_10empty_typeEbEEZZNS1_14partition_implILS5_2ELb0ES3_jN6thrust23THRUST_200600_302600_NS6detail15normal_iteratorINSA_7pointerIsNSA_11hip_rocprim3tagENSA_11use_defaultESG_EEEEPS6_NSA_18transform_iteratorI10is_orderedNSA_12zip_iteratorINSA_5tupleINSC_INSA_10device_ptrIsEEEESQ_NSA_9null_typeESR_SR_SR_SR_SR_SR_SR_EEEESG_SG_EENS0_5tupleIJPsSJ_EEENSV_IJSJ_SJ_EEES6_PlJS6_EEE10hipError_tPvRmT3_T4_T5_T6_T7_T9_mT8_P12ihipStream_tbDpT10_ENKUlT_T0_E_clISt17integral_constantIbLb1EES1J_EEDaS1E_S1F_EUlS1E_E_NS1_11comp_targetILNS1_3genE3ELNS1_11target_archE908ELNS1_3gpuE7ELNS1_3repE0EEENS1_30default_config_static_selectorELNS0_4arch9wavefront6targetE1EEEvT1_.kd
    .uniform_work_group_size: 1
    .uses_dynamic_stack: false
    .vgpr_count:     0
    .vgpr_spill_count: 0
    .wavefront_size: 64
  - .agpr_count:     0
    .args:
      - .offset:         0
        .size:           152
        .value_kind:     by_value
    .group_segment_fixed_size: 0
    .kernarg_segment_align: 8
    .kernarg_segment_size: 152
    .language:       OpenCL C
    .language_version:
      - 2
      - 0
    .max_flat_workgroup_size: 256
    .name:           _ZN7rocprim17ROCPRIM_400000_NS6detail17trampoline_kernelINS0_14default_configENS1_25partition_config_selectorILNS1_17partition_subalgoE2EsNS0_10empty_typeEbEEZZNS1_14partition_implILS5_2ELb0ES3_jN6thrust23THRUST_200600_302600_NS6detail15normal_iteratorINSA_7pointerIsNSA_11hip_rocprim3tagENSA_11use_defaultESG_EEEEPS6_NSA_18transform_iteratorI10is_orderedNSA_12zip_iteratorINSA_5tupleINSC_INSA_10device_ptrIsEEEESQ_NSA_9null_typeESR_SR_SR_SR_SR_SR_SR_EEEESG_SG_EENS0_5tupleIJPsSJ_EEENSV_IJSJ_SJ_EEES6_PlJS6_EEE10hipError_tPvRmT3_T4_T5_T6_T7_T9_mT8_P12ihipStream_tbDpT10_ENKUlT_T0_E_clISt17integral_constantIbLb1EES1J_EEDaS1E_S1F_EUlS1E_E_NS1_11comp_targetILNS1_3genE2ELNS1_11target_archE906ELNS1_3gpuE6ELNS1_3repE0EEENS1_30default_config_static_selectorELNS0_4arch9wavefront6targetE1EEEvT1_
    .private_segment_fixed_size: 0
    .sgpr_count:     4
    .sgpr_spill_count: 0
    .symbol:         _ZN7rocprim17ROCPRIM_400000_NS6detail17trampoline_kernelINS0_14default_configENS1_25partition_config_selectorILNS1_17partition_subalgoE2EsNS0_10empty_typeEbEEZZNS1_14partition_implILS5_2ELb0ES3_jN6thrust23THRUST_200600_302600_NS6detail15normal_iteratorINSA_7pointerIsNSA_11hip_rocprim3tagENSA_11use_defaultESG_EEEEPS6_NSA_18transform_iteratorI10is_orderedNSA_12zip_iteratorINSA_5tupleINSC_INSA_10device_ptrIsEEEESQ_NSA_9null_typeESR_SR_SR_SR_SR_SR_SR_EEEESG_SG_EENS0_5tupleIJPsSJ_EEENSV_IJSJ_SJ_EEES6_PlJS6_EEE10hipError_tPvRmT3_T4_T5_T6_T7_T9_mT8_P12ihipStream_tbDpT10_ENKUlT_T0_E_clISt17integral_constantIbLb1EES1J_EEDaS1E_S1F_EUlS1E_E_NS1_11comp_targetILNS1_3genE2ELNS1_11target_archE906ELNS1_3gpuE6ELNS1_3repE0EEENS1_30default_config_static_selectorELNS0_4arch9wavefront6targetE1EEEvT1_.kd
    .uniform_work_group_size: 1
    .uses_dynamic_stack: false
    .vgpr_count:     0
    .vgpr_spill_count: 0
    .wavefront_size: 64
  - .agpr_count:     0
    .args:
      - .offset:         0
        .size:           152
        .value_kind:     by_value
    .group_segment_fixed_size: 0
    .kernarg_segment_align: 8
    .kernarg_segment_size: 152
    .language:       OpenCL C
    .language_version:
      - 2
      - 0
    .max_flat_workgroup_size: 256
    .name:           _ZN7rocprim17ROCPRIM_400000_NS6detail17trampoline_kernelINS0_14default_configENS1_25partition_config_selectorILNS1_17partition_subalgoE2EsNS0_10empty_typeEbEEZZNS1_14partition_implILS5_2ELb0ES3_jN6thrust23THRUST_200600_302600_NS6detail15normal_iteratorINSA_7pointerIsNSA_11hip_rocprim3tagENSA_11use_defaultESG_EEEEPS6_NSA_18transform_iteratorI10is_orderedNSA_12zip_iteratorINSA_5tupleINSC_INSA_10device_ptrIsEEEESQ_NSA_9null_typeESR_SR_SR_SR_SR_SR_SR_EEEESG_SG_EENS0_5tupleIJPsSJ_EEENSV_IJSJ_SJ_EEES6_PlJS6_EEE10hipError_tPvRmT3_T4_T5_T6_T7_T9_mT8_P12ihipStream_tbDpT10_ENKUlT_T0_E_clISt17integral_constantIbLb1EES1J_EEDaS1E_S1F_EUlS1E_E_NS1_11comp_targetILNS1_3genE10ELNS1_11target_archE1200ELNS1_3gpuE4ELNS1_3repE0EEENS1_30default_config_static_selectorELNS0_4arch9wavefront6targetE1EEEvT1_
    .private_segment_fixed_size: 0
    .sgpr_count:     4
    .sgpr_spill_count: 0
    .symbol:         _ZN7rocprim17ROCPRIM_400000_NS6detail17trampoline_kernelINS0_14default_configENS1_25partition_config_selectorILNS1_17partition_subalgoE2EsNS0_10empty_typeEbEEZZNS1_14partition_implILS5_2ELb0ES3_jN6thrust23THRUST_200600_302600_NS6detail15normal_iteratorINSA_7pointerIsNSA_11hip_rocprim3tagENSA_11use_defaultESG_EEEEPS6_NSA_18transform_iteratorI10is_orderedNSA_12zip_iteratorINSA_5tupleINSC_INSA_10device_ptrIsEEEESQ_NSA_9null_typeESR_SR_SR_SR_SR_SR_SR_EEEESG_SG_EENS0_5tupleIJPsSJ_EEENSV_IJSJ_SJ_EEES6_PlJS6_EEE10hipError_tPvRmT3_T4_T5_T6_T7_T9_mT8_P12ihipStream_tbDpT10_ENKUlT_T0_E_clISt17integral_constantIbLb1EES1J_EEDaS1E_S1F_EUlS1E_E_NS1_11comp_targetILNS1_3genE10ELNS1_11target_archE1200ELNS1_3gpuE4ELNS1_3repE0EEENS1_30default_config_static_selectorELNS0_4arch9wavefront6targetE1EEEvT1_.kd
    .uniform_work_group_size: 1
    .uses_dynamic_stack: false
    .vgpr_count:     0
    .vgpr_spill_count: 0
    .wavefront_size: 64
  - .agpr_count:     0
    .args:
      - .offset:         0
        .size:           152
        .value_kind:     by_value
    .group_segment_fixed_size: 0
    .kernarg_segment_align: 8
    .kernarg_segment_size: 152
    .language:       OpenCL C
    .language_version:
      - 2
      - 0
    .max_flat_workgroup_size: 128
    .name:           _ZN7rocprim17ROCPRIM_400000_NS6detail17trampoline_kernelINS0_14default_configENS1_25partition_config_selectorILNS1_17partition_subalgoE2EsNS0_10empty_typeEbEEZZNS1_14partition_implILS5_2ELb0ES3_jN6thrust23THRUST_200600_302600_NS6detail15normal_iteratorINSA_7pointerIsNSA_11hip_rocprim3tagENSA_11use_defaultESG_EEEEPS6_NSA_18transform_iteratorI10is_orderedNSA_12zip_iteratorINSA_5tupleINSC_INSA_10device_ptrIsEEEESQ_NSA_9null_typeESR_SR_SR_SR_SR_SR_SR_EEEESG_SG_EENS0_5tupleIJPsSJ_EEENSV_IJSJ_SJ_EEES6_PlJS6_EEE10hipError_tPvRmT3_T4_T5_T6_T7_T9_mT8_P12ihipStream_tbDpT10_ENKUlT_T0_E_clISt17integral_constantIbLb1EES1J_EEDaS1E_S1F_EUlS1E_E_NS1_11comp_targetILNS1_3genE9ELNS1_11target_archE1100ELNS1_3gpuE3ELNS1_3repE0EEENS1_30default_config_static_selectorELNS0_4arch9wavefront6targetE1EEEvT1_
    .private_segment_fixed_size: 0
    .sgpr_count:     4
    .sgpr_spill_count: 0
    .symbol:         _ZN7rocprim17ROCPRIM_400000_NS6detail17trampoline_kernelINS0_14default_configENS1_25partition_config_selectorILNS1_17partition_subalgoE2EsNS0_10empty_typeEbEEZZNS1_14partition_implILS5_2ELb0ES3_jN6thrust23THRUST_200600_302600_NS6detail15normal_iteratorINSA_7pointerIsNSA_11hip_rocprim3tagENSA_11use_defaultESG_EEEEPS6_NSA_18transform_iteratorI10is_orderedNSA_12zip_iteratorINSA_5tupleINSC_INSA_10device_ptrIsEEEESQ_NSA_9null_typeESR_SR_SR_SR_SR_SR_SR_EEEESG_SG_EENS0_5tupleIJPsSJ_EEENSV_IJSJ_SJ_EEES6_PlJS6_EEE10hipError_tPvRmT3_T4_T5_T6_T7_T9_mT8_P12ihipStream_tbDpT10_ENKUlT_T0_E_clISt17integral_constantIbLb1EES1J_EEDaS1E_S1F_EUlS1E_E_NS1_11comp_targetILNS1_3genE9ELNS1_11target_archE1100ELNS1_3gpuE3ELNS1_3repE0EEENS1_30default_config_static_selectorELNS0_4arch9wavefront6targetE1EEEvT1_.kd
    .uniform_work_group_size: 1
    .uses_dynamic_stack: false
    .vgpr_count:     0
    .vgpr_spill_count: 0
    .wavefront_size: 64
  - .agpr_count:     0
    .args:
      - .offset:         0
        .size:           152
        .value_kind:     by_value
    .group_segment_fixed_size: 0
    .kernarg_segment_align: 8
    .kernarg_segment_size: 152
    .language:       OpenCL C
    .language_version:
      - 2
      - 0
    .max_flat_workgroup_size: 512
    .name:           _ZN7rocprim17ROCPRIM_400000_NS6detail17trampoline_kernelINS0_14default_configENS1_25partition_config_selectorILNS1_17partition_subalgoE2EsNS0_10empty_typeEbEEZZNS1_14partition_implILS5_2ELb0ES3_jN6thrust23THRUST_200600_302600_NS6detail15normal_iteratorINSA_7pointerIsNSA_11hip_rocprim3tagENSA_11use_defaultESG_EEEEPS6_NSA_18transform_iteratorI10is_orderedNSA_12zip_iteratorINSA_5tupleINSC_INSA_10device_ptrIsEEEESQ_NSA_9null_typeESR_SR_SR_SR_SR_SR_SR_EEEESG_SG_EENS0_5tupleIJPsSJ_EEENSV_IJSJ_SJ_EEES6_PlJS6_EEE10hipError_tPvRmT3_T4_T5_T6_T7_T9_mT8_P12ihipStream_tbDpT10_ENKUlT_T0_E_clISt17integral_constantIbLb1EES1J_EEDaS1E_S1F_EUlS1E_E_NS1_11comp_targetILNS1_3genE8ELNS1_11target_archE1030ELNS1_3gpuE2ELNS1_3repE0EEENS1_30default_config_static_selectorELNS0_4arch9wavefront6targetE1EEEvT1_
    .private_segment_fixed_size: 0
    .sgpr_count:     4
    .sgpr_spill_count: 0
    .symbol:         _ZN7rocprim17ROCPRIM_400000_NS6detail17trampoline_kernelINS0_14default_configENS1_25partition_config_selectorILNS1_17partition_subalgoE2EsNS0_10empty_typeEbEEZZNS1_14partition_implILS5_2ELb0ES3_jN6thrust23THRUST_200600_302600_NS6detail15normal_iteratorINSA_7pointerIsNSA_11hip_rocprim3tagENSA_11use_defaultESG_EEEEPS6_NSA_18transform_iteratorI10is_orderedNSA_12zip_iteratorINSA_5tupleINSC_INSA_10device_ptrIsEEEESQ_NSA_9null_typeESR_SR_SR_SR_SR_SR_SR_EEEESG_SG_EENS0_5tupleIJPsSJ_EEENSV_IJSJ_SJ_EEES6_PlJS6_EEE10hipError_tPvRmT3_T4_T5_T6_T7_T9_mT8_P12ihipStream_tbDpT10_ENKUlT_T0_E_clISt17integral_constantIbLb1EES1J_EEDaS1E_S1F_EUlS1E_E_NS1_11comp_targetILNS1_3genE8ELNS1_11target_archE1030ELNS1_3gpuE2ELNS1_3repE0EEENS1_30default_config_static_selectorELNS0_4arch9wavefront6targetE1EEEvT1_.kd
    .uniform_work_group_size: 1
    .uses_dynamic_stack: false
    .vgpr_count:     0
    .vgpr_spill_count: 0
    .wavefront_size: 64
  - .agpr_count:     0
    .args:
      - .offset:         0
        .size:           136
        .value_kind:     by_value
    .group_segment_fixed_size: 0
    .kernarg_segment_align: 8
    .kernarg_segment_size: 136
    .language:       OpenCL C
    .language_version:
      - 2
      - 0
    .max_flat_workgroup_size: 256
    .name:           _ZN7rocprim17ROCPRIM_400000_NS6detail17trampoline_kernelINS0_14default_configENS1_25partition_config_selectorILNS1_17partition_subalgoE2EsNS0_10empty_typeEbEEZZNS1_14partition_implILS5_2ELb0ES3_jN6thrust23THRUST_200600_302600_NS6detail15normal_iteratorINSA_7pointerIsNSA_11hip_rocprim3tagENSA_11use_defaultESG_EEEEPS6_NSA_18transform_iteratorI10is_orderedNSA_12zip_iteratorINSA_5tupleINSC_INSA_10device_ptrIsEEEESQ_NSA_9null_typeESR_SR_SR_SR_SR_SR_SR_EEEESG_SG_EENS0_5tupleIJPsSJ_EEENSV_IJSJ_SJ_EEES6_PlJS6_EEE10hipError_tPvRmT3_T4_T5_T6_T7_T9_mT8_P12ihipStream_tbDpT10_ENKUlT_T0_E_clISt17integral_constantIbLb1EES1I_IbLb0EEEEDaS1E_S1F_EUlS1E_E_NS1_11comp_targetILNS1_3genE0ELNS1_11target_archE4294967295ELNS1_3gpuE0ELNS1_3repE0EEENS1_30default_config_static_selectorELNS0_4arch9wavefront6targetE1EEEvT1_
    .private_segment_fixed_size: 0
    .sgpr_count:     4
    .sgpr_spill_count: 0
    .symbol:         _ZN7rocprim17ROCPRIM_400000_NS6detail17trampoline_kernelINS0_14default_configENS1_25partition_config_selectorILNS1_17partition_subalgoE2EsNS0_10empty_typeEbEEZZNS1_14partition_implILS5_2ELb0ES3_jN6thrust23THRUST_200600_302600_NS6detail15normal_iteratorINSA_7pointerIsNSA_11hip_rocprim3tagENSA_11use_defaultESG_EEEEPS6_NSA_18transform_iteratorI10is_orderedNSA_12zip_iteratorINSA_5tupleINSC_INSA_10device_ptrIsEEEESQ_NSA_9null_typeESR_SR_SR_SR_SR_SR_SR_EEEESG_SG_EENS0_5tupleIJPsSJ_EEENSV_IJSJ_SJ_EEES6_PlJS6_EEE10hipError_tPvRmT3_T4_T5_T6_T7_T9_mT8_P12ihipStream_tbDpT10_ENKUlT_T0_E_clISt17integral_constantIbLb1EES1I_IbLb0EEEEDaS1E_S1F_EUlS1E_E_NS1_11comp_targetILNS1_3genE0ELNS1_11target_archE4294967295ELNS1_3gpuE0ELNS1_3repE0EEENS1_30default_config_static_selectorELNS0_4arch9wavefront6targetE1EEEvT1_.kd
    .uniform_work_group_size: 1
    .uses_dynamic_stack: false
    .vgpr_count:     0
    .vgpr_spill_count: 0
    .wavefront_size: 64
  - .agpr_count:     0
    .args:
      - .offset:         0
        .size:           136
        .value_kind:     by_value
    .group_segment_fixed_size: 0
    .kernarg_segment_align: 8
    .kernarg_segment_size: 136
    .language:       OpenCL C
    .language_version:
      - 2
      - 0
    .max_flat_workgroup_size: 512
    .name:           _ZN7rocprim17ROCPRIM_400000_NS6detail17trampoline_kernelINS0_14default_configENS1_25partition_config_selectorILNS1_17partition_subalgoE2EsNS0_10empty_typeEbEEZZNS1_14partition_implILS5_2ELb0ES3_jN6thrust23THRUST_200600_302600_NS6detail15normal_iteratorINSA_7pointerIsNSA_11hip_rocprim3tagENSA_11use_defaultESG_EEEEPS6_NSA_18transform_iteratorI10is_orderedNSA_12zip_iteratorINSA_5tupleINSC_INSA_10device_ptrIsEEEESQ_NSA_9null_typeESR_SR_SR_SR_SR_SR_SR_EEEESG_SG_EENS0_5tupleIJPsSJ_EEENSV_IJSJ_SJ_EEES6_PlJS6_EEE10hipError_tPvRmT3_T4_T5_T6_T7_T9_mT8_P12ihipStream_tbDpT10_ENKUlT_T0_E_clISt17integral_constantIbLb1EES1I_IbLb0EEEEDaS1E_S1F_EUlS1E_E_NS1_11comp_targetILNS1_3genE5ELNS1_11target_archE942ELNS1_3gpuE9ELNS1_3repE0EEENS1_30default_config_static_selectorELNS0_4arch9wavefront6targetE1EEEvT1_
    .private_segment_fixed_size: 0
    .sgpr_count:     4
    .sgpr_spill_count: 0
    .symbol:         _ZN7rocprim17ROCPRIM_400000_NS6detail17trampoline_kernelINS0_14default_configENS1_25partition_config_selectorILNS1_17partition_subalgoE2EsNS0_10empty_typeEbEEZZNS1_14partition_implILS5_2ELb0ES3_jN6thrust23THRUST_200600_302600_NS6detail15normal_iteratorINSA_7pointerIsNSA_11hip_rocprim3tagENSA_11use_defaultESG_EEEEPS6_NSA_18transform_iteratorI10is_orderedNSA_12zip_iteratorINSA_5tupleINSC_INSA_10device_ptrIsEEEESQ_NSA_9null_typeESR_SR_SR_SR_SR_SR_SR_EEEESG_SG_EENS0_5tupleIJPsSJ_EEENSV_IJSJ_SJ_EEES6_PlJS6_EEE10hipError_tPvRmT3_T4_T5_T6_T7_T9_mT8_P12ihipStream_tbDpT10_ENKUlT_T0_E_clISt17integral_constantIbLb1EES1I_IbLb0EEEEDaS1E_S1F_EUlS1E_E_NS1_11comp_targetILNS1_3genE5ELNS1_11target_archE942ELNS1_3gpuE9ELNS1_3repE0EEENS1_30default_config_static_selectorELNS0_4arch9wavefront6targetE1EEEvT1_.kd
    .uniform_work_group_size: 1
    .uses_dynamic_stack: false
    .vgpr_count:     0
    .vgpr_spill_count: 0
    .wavefront_size: 64
  - .agpr_count:     0
    .args:
      - .offset:         0
        .size:           136
        .value_kind:     by_value
    .group_segment_fixed_size: 10248
    .kernarg_segment_align: 8
    .kernarg_segment_size: 136
    .language:       OpenCL C
    .language_version:
      - 2
      - 0
    .max_flat_workgroup_size: 256
    .name:           _ZN7rocprim17ROCPRIM_400000_NS6detail17trampoline_kernelINS0_14default_configENS1_25partition_config_selectorILNS1_17partition_subalgoE2EsNS0_10empty_typeEbEEZZNS1_14partition_implILS5_2ELb0ES3_jN6thrust23THRUST_200600_302600_NS6detail15normal_iteratorINSA_7pointerIsNSA_11hip_rocprim3tagENSA_11use_defaultESG_EEEEPS6_NSA_18transform_iteratorI10is_orderedNSA_12zip_iteratorINSA_5tupleINSC_INSA_10device_ptrIsEEEESQ_NSA_9null_typeESR_SR_SR_SR_SR_SR_SR_EEEESG_SG_EENS0_5tupleIJPsSJ_EEENSV_IJSJ_SJ_EEES6_PlJS6_EEE10hipError_tPvRmT3_T4_T5_T6_T7_T9_mT8_P12ihipStream_tbDpT10_ENKUlT_T0_E_clISt17integral_constantIbLb1EES1I_IbLb0EEEEDaS1E_S1F_EUlS1E_E_NS1_11comp_targetILNS1_3genE4ELNS1_11target_archE910ELNS1_3gpuE8ELNS1_3repE0EEENS1_30default_config_static_selectorELNS0_4arch9wavefront6targetE1EEEvT1_
    .private_segment_fixed_size: 0
    .sgpr_count:     50
    .sgpr_spill_count: 0
    .symbol:         _ZN7rocprim17ROCPRIM_400000_NS6detail17trampoline_kernelINS0_14default_configENS1_25partition_config_selectorILNS1_17partition_subalgoE2EsNS0_10empty_typeEbEEZZNS1_14partition_implILS5_2ELb0ES3_jN6thrust23THRUST_200600_302600_NS6detail15normal_iteratorINSA_7pointerIsNSA_11hip_rocprim3tagENSA_11use_defaultESG_EEEEPS6_NSA_18transform_iteratorI10is_orderedNSA_12zip_iteratorINSA_5tupleINSC_INSA_10device_ptrIsEEEESQ_NSA_9null_typeESR_SR_SR_SR_SR_SR_SR_EEEESG_SG_EENS0_5tupleIJPsSJ_EEENSV_IJSJ_SJ_EEES6_PlJS6_EEE10hipError_tPvRmT3_T4_T5_T6_T7_T9_mT8_P12ihipStream_tbDpT10_ENKUlT_T0_E_clISt17integral_constantIbLb1EES1I_IbLb0EEEEDaS1E_S1F_EUlS1E_E_NS1_11comp_targetILNS1_3genE4ELNS1_11target_archE910ELNS1_3gpuE8ELNS1_3repE0EEENS1_30default_config_static_selectorELNS0_4arch9wavefront6targetE1EEEvT1_.kd
    .uniform_work_group_size: 1
    .uses_dynamic_stack: false
    .vgpr_count:     65
    .vgpr_spill_count: 0
    .wavefront_size: 64
  - .agpr_count:     0
    .args:
      - .offset:         0
        .size:           136
        .value_kind:     by_value
    .group_segment_fixed_size: 0
    .kernarg_segment_align: 8
    .kernarg_segment_size: 136
    .language:       OpenCL C
    .language_version:
      - 2
      - 0
    .max_flat_workgroup_size: 256
    .name:           _ZN7rocprim17ROCPRIM_400000_NS6detail17trampoline_kernelINS0_14default_configENS1_25partition_config_selectorILNS1_17partition_subalgoE2EsNS0_10empty_typeEbEEZZNS1_14partition_implILS5_2ELb0ES3_jN6thrust23THRUST_200600_302600_NS6detail15normal_iteratorINSA_7pointerIsNSA_11hip_rocprim3tagENSA_11use_defaultESG_EEEEPS6_NSA_18transform_iteratorI10is_orderedNSA_12zip_iteratorINSA_5tupleINSC_INSA_10device_ptrIsEEEESQ_NSA_9null_typeESR_SR_SR_SR_SR_SR_SR_EEEESG_SG_EENS0_5tupleIJPsSJ_EEENSV_IJSJ_SJ_EEES6_PlJS6_EEE10hipError_tPvRmT3_T4_T5_T6_T7_T9_mT8_P12ihipStream_tbDpT10_ENKUlT_T0_E_clISt17integral_constantIbLb1EES1I_IbLb0EEEEDaS1E_S1F_EUlS1E_E_NS1_11comp_targetILNS1_3genE3ELNS1_11target_archE908ELNS1_3gpuE7ELNS1_3repE0EEENS1_30default_config_static_selectorELNS0_4arch9wavefront6targetE1EEEvT1_
    .private_segment_fixed_size: 0
    .sgpr_count:     4
    .sgpr_spill_count: 0
    .symbol:         _ZN7rocprim17ROCPRIM_400000_NS6detail17trampoline_kernelINS0_14default_configENS1_25partition_config_selectorILNS1_17partition_subalgoE2EsNS0_10empty_typeEbEEZZNS1_14partition_implILS5_2ELb0ES3_jN6thrust23THRUST_200600_302600_NS6detail15normal_iteratorINSA_7pointerIsNSA_11hip_rocprim3tagENSA_11use_defaultESG_EEEEPS6_NSA_18transform_iteratorI10is_orderedNSA_12zip_iteratorINSA_5tupleINSC_INSA_10device_ptrIsEEEESQ_NSA_9null_typeESR_SR_SR_SR_SR_SR_SR_EEEESG_SG_EENS0_5tupleIJPsSJ_EEENSV_IJSJ_SJ_EEES6_PlJS6_EEE10hipError_tPvRmT3_T4_T5_T6_T7_T9_mT8_P12ihipStream_tbDpT10_ENKUlT_T0_E_clISt17integral_constantIbLb1EES1I_IbLb0EEEEDaS1E_S1F_EUlS1E_E_NS1_11comp_targetILNS1_3genE3ELNS1_11target_archE908ELNS1_3gpuE7ELNS1_3repE0EEENS1_30default_config_static_selectorELNS0_4arch9wavefront6targetE1EEEvT1_.kd
    .uniform_work_group_size: 1
    .uses_dynamic_stack: false
    .vgpr_count:     0
    .vgpr_spill_count: 0
    .wavefront_size: 64
  - .agpr_count:     0
    .args:
      - .offset:         0
        .size:           136
        .value_kind:     by_value
    .group_segment_fixed_size: 0
    .kernarg_segment_align: 8
    .kernarg_segment_size: 136
    .language:       OpenCL C
    .language_version:
      - 2
      - 0
    .max_flat_workgroup_size: 256
    .name:           _ZN7rocprim17ROCPRIM_400000_NS6detail17trampoline_kernelINS0_14default_configENS1_25partition_config_selectorILNS1_17partition_subalgoE2EsNS0_10empty_typeEbEEZZNS1_14partition_implILS5_2ELb0ES3_jN6thrust23THRUST_200600_302600_NS6detail15normal_iteratorINSA_7pointerIsNSA_11hip_rocprim3tagENSA_11use_defaultESG_EEEEPS6_NSA_18transform_iteratorI10is_orderedNSA_12zip_iteratorINSA_5tupleINSC_INSA_10device_ptrIsEEEESQ_NSA_9null_typeESR_SR_SR_SR_SR_SR_SR_EEEESG_SG_EENS0_5tupleIJPsSJ_EEENSV_IJSJ_SJ_EEES6_PlJS6_EEE10hipError_tPvRmT3_T4_T5_T6_T7_T9_mT8_P12ihipStream_tbDpT10_ENKUlT_T0_E_clISt17integral_constantIbLb1EES1I_IbLb0EEEEDaS1E_S1F_EUlS1E_E_NS1_11comp_targetILNS1_3genE2ELNS1_11target_archE906ELNS1_3gpuE6ELNS1_3repE0EEENS1_30default_config_static_selectorELNS0_4arch9wavefront6targetE1EEEvT1_
    .private_segment_fixed_size: 0
    .sgpr_count:     4
    .sgpr_spill_count: 0
    .symbol:         _ZN7rocprim17ROCPRIM_400000_NS6detail17trampoline_kernelINS0_14default_configENS1_25partition_config_selectorILNS1_17partition_subalgoE2EsNS0_10empty_typeEbEEZZNS1_14partition_implILS5_2ELb0ES3_jN6thrust23THRUST_200600_302600_NS6detail15normal_iteratorINSA_7pointerIsNSA_11hip_rocprim3tagENSA_11use_defaultESG_EEEEPS6_NSA_18transform_iteratorI10is_orderedNSA_12zip_iteratorINSA_5tupleINSC_INSA_10device_ptrIsEEEESQ_NSA_9null_typeESR_SR_SR_SR_SR_SR_SR_EEEESG_SG_EENS0_5tupleIJPsSJ_EEENSV_IJSJ_SJ_EEES6_PlJS6_EEE10hipError_tPvRmT3_T4_T5_T6_T7_T9_mT8_P12ihipStream_tbDpT10_ENKUlT_T0_E_clISt17integral_constantIbLb1EES1I_IbLb0EEEEDaS1E_S1F_EUlS1E_E_NS1_11comp_targetILNS1_3genE2ELNS1_11target_archE906ELNS1_3gpuE6ELNS1_3repE0EEENS1_30default_config_static_selectorELNS0_4arch9wavefront6targetE1EEEvT1_.kd
    .uniform_work_group_size: 1
    .uses_dynamic_stack: false
    .vgpr_count:     0
    .vgpr_spill_count: 0
    .wavefront_size: 64
  - .agpr_count:     0
    .args:
      - .offset:         0
        .size:           136
        .value_kind:     by_value
    .group_segment_fixed_size: 0
    .kernarg_segment_align: 8
    .kernarg_segment_size: 136
    .language:       OpenCL C
    .language_version:
      - 2
      - 0
    .max_flat_workgroup_size: 256
    .name:           _ZN7rocprim17ROCPRIM_400000_NS6detail17trampoline_kernelINS0_14default_configENS1_25partition_config_selectorILNS1_17partition_subalgoE2EsNS0_10empty_typeEbEEZZNS1_14partition_implILS5_2ELb0ES3_jN6thrust23THRUST_200600_302600_NS6detail15normal_iteratorINSA_7pointerIsNSA_11hip_rocprim3tagENSA_11use_defaultESG_EEEEPS6_NSA_18transform_iteratorI10is_orderedNSA_12zip_iteratorINSA_5tupleINSC_INSA_10device_ptrIsEEEESQ_NSA_9null_typeESR_SR_SR_SR_SR_SR_SR_EEEESG_SG_EENS0_5tupleIJPsSJ_EEENSV_IJSJ_SJ_EEES6_PlJS6_EEE10hipError_tPvRmT3_T4_T5_T6_T7_T9_mT8_P12ihipStream_tbDpT10_ENKUlT_T0_E_clISt17integral_constantIbLb1EES1I_IbLb0EEEEDaS1E_S1F_EUlS1E_E_NS1_11comp_targetILNS1_3genE10ELNS1_11target_archE1200ELNS1_3gpuE4ELNS1_3repE0EEENS1_30default_config_static_selectorELNS0_4arch9wavefront6targetE1EEEvT1_
    .private_segment_fixed_size: 0
    .sgpr_count:     4
    .sgpr_spill_count: 0
    .symbol:         _ZN7rocprim17ROCPRIM_400000_NS6detail17trampoline_kernelINS0_14default_configENS1_25partition_config_selectorILNS1_17partition_subalgoE2EsNS0_10empty_typeEbEEZZNS1_14partition_implILS5_2ELb0ES3_jN6thrust23THRUST_200600_302600_NS6detail15normal_iteratorINSA_7pointerIsNSA_11hip_rocprim3tagENSA_11use_defaultESG_EEEEPS6_NSA_18transform_iteratorI10is_orderedNSA_12zip_iteratorINSA_5tupleINSC_INSA_10device_ptrIsEEEESQ_NSA_9null_typeESR_SR_SR_SR_SR_SR_SR_EEEESG_SG_EENS0_5tupleIJPsSJ_EEENSV_IJSJ_SJ_EEES6_PlJS6_EEE10hipError_tPvRmT3_T4_T5_T6_T7_T9_mT8_P12ihipStream_tbDpT10_ENKUlT_T0_E_clISt17integral_constantIbLb1EES1I_IbLb0EEEEDaS1E_S1F_EUlS1E_E_NS1_11comp_targetILNS1_3genE10ELNS1_11target_archE1200ELNS1_3gpuE4ELNS1_3repE0EEENS1_30default_config_static_selectorELNS0_4arch9wavefront6targetE1EEEvT1_.kd
    .uniform_work_group_size: 1
    .uses_dynamic_stack: false
    .vgpr_count:     0
    .vgpr_spill_count: 0
    .wavefront_size: 64
  - .agpr_count:     0
    .args:
      - .offset:         0
        .size:           136
        .value_kind:     by_value
    .group_segment_fixed_size: 0
    .kernarg_segment_align: 8
    .kernarg_segment_size: 136
    .language:       OpenCL C
    .language_version:
      - 2
      - 0
    .max_flat_workgroup_size: 128
    .name:           _ZN7rocprim17ROCPRIM_400000_NS6detail17trampoline_kernelINS0_14default_configENS1_25partition_config_selectorILNS1_17partition_subalgoE2EsNS0_10empty_typeEbEEZZNS1_14partition_implILS5_2ELb0ES3_jN6thrust23THRUST_200600_302600_NS6detail15normal_iteratorINSA_7pointerIsNSA_11hip_rocprim3tagENSA_11use_defaultESG_EEEEPS6_NSA_18transform_iteratorI10is_orderedNSA_12zip_iteratorINSA_5tupleINSC_INSA_10device_ptrIsEEEESQ_NSA_9null_typeESR_SR_SR_SR_SR_SR_SR_EEEESG_SG_EENS0_5tupleIJPsSJ_EEENSV_IJSJ_SJ_EEES6_PlJS6_EEE10hipError_tPvRmT3_T4_T5_T6_T7_T9_mT8_P12ihipStream_tbDpT10_ENKUlT_T0_E_clISt17integral_constantIbLb1EES1I_IbLb0EEEEDaS1E_S1F_EUlS1E_E_NS1_11comp_targetILNS1_3genE9ELNS1_11target_archE1100ELNS1_3gpuE3ELNS1_3repE0EEENS1_30default_config_static_selectorELNS0_4arch9wavefront6targetE1EEEvT1_
    .private_segment_fixed_size: 0
    .sgpr_count:     4
    .sgpr_spill_count: 0
    .symbol:         _ZN7rocprim17ROCPRIM_400000_NS6detail17trampoline_kernelINS0_14default_configENS1_25partition_config_selectorILNS1_17partition_subalgoE2EsNS0_10empty_typeEbEEZZNS1_14partition_implILS5_2ELb0ES3_jN6thrust23THRUST_200600_302600_NS6detail15normal_iteratorINSA_7pointerIsNSA_11hip_rocprim3tagENSA_11use_defaultESG_EEEEPS6_NSA_18transform_iteratorI10is_orderedNSA_12zip_iteratorINSA_5tupleINSC_INSA_10device_ptrIsEEEESQ_NSA_9null_typeESR_SR_SR_SR_SR_SR_SR_EEEESG_SG_EENS0_5tupleIJPsSJ_EEENSV_IJSJ_SJ_EEES6_PlJS6_EEE10hipError_tPvRmT3_T4_T5_T6_T7_T9_mT8_P12ihipStream_tbDpT10_ENKUlT_T0_E_clISt17integral_constantIbLb1EES1I_IbLb0EEEEDaS1E_S1F_EUlS1E_E_NS1_11comp_targetILNS1_3genE9ELNS1_11target_archE1100ELNS1_3gpuE3ELNS1_3repE0EEENS1_30default_config_static_selectorELNS0_4arch9wavefront6targetE1EEEvT1_.kd
    .uniform_work_group_size: 1
    .uses_dynamic_stack: false
    .vgpr_count:     0
    .vgpr_spill_count: 0
    .wavefront_size: 64
  - .agpr_count:     0
    .args:
      - .offset:         0
        .size:           136
        .value_kind:     by_value
    .group_segment_fixed_size: 0
    .kernarg_segment_align: 8
    .kernarg_segment_size: 136
    .language:       OpenCL C
    .language_version:
      - 2
      - 0
    .max_flat_workgroup_size: 512
    .name:           _ZN7rocprim17ROCPRIM_400000_NS6detail17trampoline_kernelINS0_14default_configENS1_25partition_config_selectorILNS1_17partition_subalgoE2EsNS0_10empty_typeEbEEZZNS1_14partition_implILS5_2ELb0ES3_jN6thrust23THRUST_200600_302600_NS6detail15normal_iteratorINSA_7pointerIsNSA_11hip_rocprim3tagENSA_11use_defaultESG_EEEEPS6_NSA_18transform_iteratorI10is_orderedNSA_12zip_iteratorINSA_5tupleINSC_INSA_10device_ptrIsEEEESQ_NSA_9null_typeESR_SR_SR_SR_SR_SR_SR_EEEESG_SG_EENS0_5tupleIJPsSJ_EEENSV_IJSJ_SJ_EEES6_PlJS6_EEE10hipError_tPvRmT3_T4_T5_T6_T7_T9_mT8_P12ihipStream_tbDpT10_ENKUlT_T0_E_clISt17integral_constantIbLb1EES1I_IbLb0EEEEDaS1E_S1F_EUlS1E_E_NS1_11comp_targetILNS1_3genE8ELNS1_11target_archE1030ELNS1_3gpuE2ELNS1_3repE0EEENS1_30default_config_static_selectorELNS0_4arch9wavefront6targetE1EEEvT1_
    .private_segment_fixed_size: 0
    .sgpr_count:     4
    .sgpr_spill_count: 0
    .symbol:         _ZN7rocprim17ROCPRIM_400000_NS6detail17trampoline_kernelINS0_14default_configENS1_25partition_config_selectorILNS1_17partition_subalgoE2EsNS0_10empty_typeEbEEZZNS1_14partition_implILS5_2ELb0ES3_jN6thrust23THRUST_200600_302600_NS6detail15normal_iteratorINSA_7pointerIsNSA_11hip_rocprim3tagENSA_11use_defaultESG_EEEEPS6_NSA_18transform_iteratorI10is_orderedNSA_12zip_iteratorINSA_5tupleINSC_INSA_10device_ptrIsEEEESQ_NSA_9null_typeESR_SR_SR_SR_SR_SR_SR_EEEESG_SG_EENS0_5tupleIJPsSJ_EEENSV_IJSJ_SJ_EEES6_PlJS6_EEE10hipError_tPvRmT3_T4_T5_T6_T7_T9_mT8_P12ihipStream_tbDpT10_ENKUlT_T0_E_clISt17integral_constantIbLb1EES1I_IbLb0EEEEDaS1E_S1F_EUlS1E_E_NS1_11comp_targetILNS1_3genE8ELNS1_11target_archE1030ELNS1_3gpuE2ELNS1_3repE0EEENS1_30default_config_static_selectorELNS0_4arch9wavefront6targetE1EEEvT1_.kd
    .uniform_work_group_size: 1
    .uses_dynamic_stack: false
    .vgpr_count:     0
    .vgpr_spill_count: 0
    .wavefront_size: 64
  - .agpr_count:     0
    .args:
      - .offset:         0
        .size:           152
        .value_kind:     by_value
    .group_segment_fixed_size: 0
    .kernarg_segment_align: 8
    .kernarg_segment_size: 152
    .language:       OpenCL C
    .language_version:
      - 2
      - 0
    .max_flat_workgroup_size: 256
    .name:           _ZN7rocprim17ROCPRIM_400000_NS6detail17trampoline_kernelINS0_14default_configENS1_25partition_config_selectorILNS1_17partition_subalgoE2EsNS0_10empty_typeEbEEZZNS1_14partition_implILS5_2ELb0ES3_jN6thrust23THRUST_200600_302600_NS6detail15normal_iteratorINSA_7pointerIsNSA_11hip_rocprim3tagENSA_11use_defaultESG_EEEEPS6_NSA_18transform_iteratorI10is_orderedNSA_12zip_iteratorINSA_5tupleINSC_INSA_10device_ptrIsEEEESQ_NSA_9null_typeESR_SR_SR_SR_SR_SR_SR_EEEESG_SG_EENS0_5tupleIJPsSJ_EEENSV_IJSJ_SJ_EEES6_PlJS6_EEE10hipError_tPvRmT3_T4_T5_T6_T7_T9_mT8_P12ihipStream_tbDpT10_ENKUlT_T0_E_clISt17integral_constantIbLb0EES1I_IbLb1EEEEDaS1E_S1F_EUlS1E_E_NS1_11comp_targetILNS1_3genE0ELNS1_11target_archE4294967295ELNS1_3gpuE0ELNS1_3repE0EEENS1_30default_config_static_selectorELNS0_4arch9wavefront6targetE1EEEvT1_
    .private_segment_fixed_size: 0
    .sgpr_count:     4
    .sgpr_spill_count: 0
    .symbol:         _ZN7rocprim17ROCPRIM_400000_NS6detail17trampoline_kernelINS0_14default_configENS1_25partition_config_selectorILNS1_17partition_subalgoE2EsNS0_10empty_typeEbEEZZNS1_14partition_implILS5_2ELb0ES3_jN6thrust23THRUST_200600_302600_NS6detail15normal_iteratorINSA_7pointerIsNSA_11hip_rocprim3tagENSA_11use_defaultESG_EEEEPS6_NSA_18transform_iteratorI10is_orderedNSA_12zip_iteratorINSA_5tupleINSC_INSA_10device_ptrIsEEEESQ_NSA_9null_typeESR_SR_SR_SR_SR_SR_SR_EEEESG_SG_EENS0_5tupleIJPsSJ_EEENSV_IJSJ_SJ_EEES6_PlJS6_EEE10hipError_tPvRmT3_T4_T5_T6_T7_T9_mT8_P12ihipStream_tbDpT10_ENKUlT_T0_E_clISt17integral_constantIbLb0EES1I_IbLb1EEEEDaS1E_S1F_EUlS1E_E_NS1_11comp_targetILNS1_3genE0ELNS1_11target_archE4294967295ELNS1_3gpuE0ELNS1_3repE0EEENS1_30default_config_static_selectorELNS0_4arch9wavefront6targetE1EEEvT1_.kd
    .uniform_work_group_size: 1
    .uses_dynamic_stack: false
    .vgpr_count:     0
    .vgpr_spill_count: 0
    .wavefront_size: 64
  - .agpr_count:     0
    .args:
      - .offset:         0
        .size:           152
        .value_kind:     by_value
    .group_segment_fixed_size: 0
    .kernarg_segment_align: 8
    .kernarg_segment_size: 152
    .language:       OpenCL C
    .language_version:
      - 2
      - 0
    .max_flat_workgroup_size: 512
    .name:           _ZN7rocprim17ROCPRIM_400000_NS6detail17trampoline_kernelINS0_14default_configENS1_25partition_config_selectorILNS1_17partition_subalgoE2EsNS0_10empty_typeEbEEZZNS1_14partition_implILS5_2ELb0ES3_jN6thrust23THRUST_200600_302600_NS6detail15normal_iteratorINSA_7pointerIsNSA_11hip_rocprim3tagENSA_11use_defaultESG_EEEEPS6_NSA_18transform_iteratorI10is_orderedNSA_12zip_iteratorINSA_5tupleINSC_INSA_10device_ptrIsEEEESQ_NSA_9null_typeESR_SR_SR_SR_SR_SR_SR_EEEESG_SG_EENS0_5tupleIJPsSJ_EEENSV_IJSJ_SJ_EEES6_PlJS6_EEE10hipError_tPvRmT3_T4_T5_T6_T7_T9_mT8_P12ihipStream_tbDpT10_ENKUlT_T0_E_clISt17integral_constantIbLb0EES1I_IbLb1EEEEDaS1E_S1F_EUlS1E_E_NS1_11comp_targetILNS1_3genE5ELNS1_11target_archE942ELNS1_3gpuE9ELNS1_3repE0EEENS1_30default_config_static_selectorELNS0_4arch9wavefront6targetE1EEEvT1_
    .private_segment_fixed_size: 0
    .sgpr_count:     4
    .sgpr_spill_count: 0
    .symbol:         _ZN7rocprim17ROCPRIM_400000_NS6detail17trampoline_kernelINS0_14default_configENS1_25partition_config_selectorILNS1_17partition_subalgoE2EsNS0_10empty_typeEbEEZZNS1_14partition_implILS5_2ELb0ES3_jN6thrust23THRUST_200600_302600_NS6detail15normal_iteratorINSA_7pointerIsNSA_11hip_rocprim3tagENSA_11use_defaultESG_EEEEPS6_NSA_18transform_iteratorI10is_orderedNSA_12zip_iteratorINSA_5tupleINSC_INSA_10device_ptrIsEEEESQ_NSA_9null_typeESR_SR_SR_SR_SR_SR_SR_EEEESG_SG_EENS0_5tupleIJPsSJ_EEENSV_IJSJ_SJ_EEES6_PlJS6_EEE10hipError_tPvRmT3_T4_T5_T6_T7_T9_mT8_P12ihipStream_tbDpT10_ENKUlT_T0_E_clISt17integral_constantIbLb0EES1I_IbLb1EEEEDaS1E_S1F_EUlS1E_E_NS1_11comp_targetILNS1_3genE5ELNS1_11target_archE942ELNS1_3gpuE9ELNS1_3repE0EEENS1_30default_config_static_selectorELNS0_4arch9wavefront6targetE1EEEvT1_.kd
    .uniform_work_group_size: 1
    .uses_dynamic_stack: false
    .vgpr_count:     0
    .vgpr_spill_count: 0
    .wavefront_size: 64
  - .agpr_count:     0
    .args:
      - .offset:         0
        .size:           152
        .value_kind:     by_value
    .group_segment_fixed_size: 10248
    .kernarg_segment_align: 8
    .kernarg_segment_size: 152
    .language:       OpenCL C
    .language_version:
      - 2
      - 0
    .max_flat_workgroup_size: 256
    .name:           _ZN7rocprim17ROCPRIM_400000_NS6detail17trampoline_kernelINS0_14default_configENS1_25partition_config_selectorILNS1_17partition_subalgoE2EsNS0_10empty_typeEbEEZZNS1_14partition_implILS5_2ELb0ES3_jN6thrust23THRUST_200600_302600_NS6detail15normal_iteratorINSA_7pointerIsNSA_11hip_rocprim3tagENSA_11use_defaultESG_EEEEPS6_NSA_18transform_iteratorI10is_orderedNSA_12zip_iteratorINSA_5tupleINSC_INSA_10device_ptrIsEEEESQ_NSA_9null_typeESR_SR_SR_SR_SR_SR_SR_EEEESG_SG_EENS0_5tupleIJPsSJ_EEENSV_IJSJ_SJ_EEES6_PlJS6_EEE10hipError_tPvRmT3_T4_T5_T6_T7_T9_mT8_P12ihipStream_tbDpT10_ENKUlT_T0_E_clISt17integral_constantIbLb0EES1I_IbLb1EEEEDaS1E_S1F_EUlS1E_E_NS1_11comp_targetILNS1_3genE4ELNS1_11target_archE910ELNS1_3gpuE8ELNS1_3repE0EEENS1_30default_config_static_selectorELNS0_4arch9wavefront6targetE1EEEvT1_
    .private_segment_fixed_size: 0
    .sgpr_count:     50
    .sgpr_spill_count: 0
    .symbol:         _ZN7rocprim17ROCPRIM_400000_NS6detail17trampoline_kernelINS0_14default_configENS1_25partition_config_selectorILNS1_17partition_subalgoE2EsNS0_10empty_typeEbEEZZNS1_14partition_implILS5_2ELb0ES3_jN6thrust23THRUST_200600_302600_NS6detail15normal_iteratorINSA_7pointerIsNSA_11hip_rocprim3tagENSA_11use_defaultESG_EEEEPS6_NSA_18transform_iteratorI10is_orderedNSA_12zip_iteratorINSA_5tupleINSC_INSA_10device_ptrIsEEEESQ_NSA_9null_typeESR_SR_SR_SR_SR_SR_SR_EEEESG_SG_EENS0_5tupleIJPsSJ_EEENSV_IJSJ_SJ_EEES6_PlJS6_EEE10hipError_tPvRmT3_T4_T5_T6_T7_T9_mT8_P12ihipStream_tbDpT10_ENKUlT_T0_E_clISt17integral_constantIbLb0EES1I_IbLb1EEEEDaS1E_S1F_EUlS1E_E_NS1_11comp_targetILNS1_3genE4ELNS1_11target_archE910ELNS1_3gpuE8ELNS1_3repE0EEENS1_30default_config_static_selectorELNS0_4arch9wavefront6targetE1EEEvT1_.kd
    .uniform_work_group_size: 1
    .uses_dynamic_stack: false
    .vgpr_count:     67
    .vgpr_spill_count: 0
    .wavefront_size: 64
  - .agpr_count:     0
    .args:
      - .offset:         0
        .size:           152
        .value_kind:     by_value
    .group_segment_fixed_size: 0
    .kernarg_segment_align: 8
    .kernarg_segment_size: 152
    .language:       OpenCL C
    .language_version:
      - 2
      - 0
    .max_flat_workgroup_size: 256
    .name:           _ZN7rocprim17ROCPRIM_400000_NS6detail17trampoline_kernelINS0_14default_configENS1_25partition_config_selectorILNS1_17partition_subalgoE2EsNS0_10empty_typeEbEEZZNS1_14partition_implILS5_2ELb0ES3_jN6thrust23THRUST_200600_302600_NS6detail15normal_iteratorINSA_7pointerIsNSA_11hip_rocprim3tagENSA_11use_defaultESG_EEEEPS6_NSA_18transform_iteratorI10is_orderedNSA_12zip_iteratorINSA_5tupleINSC_INSA_10device_ptrIsEEEESQ_NSA_9null_typeESR_SR_SR_SR_SR_SR_SR_EEEESG_SG_EENS0_5tupleIJPsSJ_EEENSV_IJSJ_SJ_EEES6_PlJS6_EEE10hipError_tPvRmT3_T4_T5_T6_T7_T9_mT8_P12ihipStream_tbDpT10_ENKUlT_T0_E_clISt17integral_constantIbLb0EES1I_IbLb1EEEEDaS1E_S1F_EUlS1E_E_NS1_11comp_targetILNS1_3genE3ELNS1_11target_archE908ELNS1_3gpuE7ELNS1_3repE0EEENS1_30default_config_static_selectorELNS0_4arch9wavefront6targetE1EEEvT1_
    .private_segment_fixed_size: 0
    .sgpr_count:     4
    .sgpr_spill_count: 0
    .symbol:         _ZN7rocprim17ROCPRIM_400000_NS6detail17trampoline_kernelINS0_14default_configENS1_25partition_config_selectorILNS1_17partition_subalgoE2EsNS0_10empty_typeEbEEZZNS1_14partition_implILS5_2ELb0ES3_jN6thrust23THRUST_200600_302600_NS6detail15normal_iteratorINSA_7pointerIsNSA_11hip_rocprim3tagENSA_11use_defaultESG_EEEEPS6_NSA_18transform_iteratorI10is_orderedNSA_12zip_iteratorINSA_5tupleINSC_INSA_10device_ptrIsEEEESQ_NSA_9null_typeESR_SR_SR_SR_SR_SR_SR_EEEESG_SG_EENS0_5tupleIJPsSJ_EEENSV_IJSJ_SJ_EEES6_PlJS6_EEE10hipError_tPvRmT3_T4_T5_T6_T7_T9_mT8_P12ihipStream_tbDpT10_ENKUlT_T0_E_clISt17integral_constantIbLb0EES1I_IbLb1EEEEDaS1E_S1F_EUlS1E_E_NS1_11comp_targetILNS1_3genE3ELNS1_11target_archE908ELNS1_3gpuE7ELNS1_3repE0EEENS1_30default_config_static_selectorELNS0_4arch9wavefront6targetE1EEEvT1_.kd
    .uniform_work_group_size: 1
    .uses_dynamic_stack: false
    .vgpr_count:     0
    .vgpr_spill_count: 0
    .wavefront_size: 64
  - .agpr_count:     0
    .args:
      - .offset:         0
        .size:           152
        .value_kind:     by_value
    .group_segment_fixed_size: 0
    .kernarg_segment_align: 8
    .kernarg_segment_size: 152
    .language:       OpenCL C
    .language_version:
      - 2
      - 0
    .max_flat_workgroup_size: 256
    .name:           _ZN7rocprim17ROCPRIM_400000_NS6detail17trampoline_kernelINS0_14default_configENS1_25partition_config_selectorILNS1_17partition_subalgoE2EsNS0_10empty_typeEbEEZZNS1_14partition_implILS5_2ELb0ES3_jN6thrust23THRUST_200600_302600_NS6detail15normal_iteratorINSA_7pointerIsNSA_11hip_rocprim3tagENSA_11use_defaultESG_EEEEPS6_NSA_18transform_iteratorI10is_orderedNSA_12zip_iteratorINSA_5tupleINSC_INSA_10device_ptrIsEEEESQ_NSA_9null_typeESR_SR_SR_SR_SR_SR_SR_EEEESG_SG_EENS0_5tupleIJPsSJ_EEENSV_IJSJ_SJ_EEES6_PlJS6_EEE10hipError_tPvRmT3_T4_T5_T6_T7_T9_mT8_P12ihipStream_tbDpT10_ENKUlT_T0_E_clISt17integral_constantIbLb0EES1I_IbLb1EEEEDaS1E_S1F_EUlS1E_E_NS1_11comp_targetILNS1_3genE2ELNS1_11target_archE906ELNS1_3gpuE6ELNS1_3repE0EEENS1_30default_config_static_selectorELNS0_4arch9wavefront6targetE1EEEvT1_
    .private_segment_fixed_size: 0
    .sgpr_count:     4
    .sgpr_spill_count: 0
    .symbol:         _ZN7rocprim17ROCPRIM_400000_NS6detail17trampoline_kernelINS0_14default_configENS1_25partition_config_selectorILNS1_17partition_subalgoE2EsNS0_10empty_typeEbEEZZNS1_14partition_implILS5_2ELb0ES3_jN6thrust23THRUST_200600_302600_NS6detail15normal_iteratorINSA_7pointerIsNSA_11hip_rocprim3tagENSA_11use_defaultESG_EEEEPS6_NSA_18transform_iteratorI10is_orderedNSA_12zip_iteratorINSA_5tupleINSC_INSA_10device_ptrIsEEEESQ_NSA_9null_typeESR_SR_SR_SR_SR_SR_SR_EEEESG_SG_EENS0_5tupleIJPsSJ_EEENSV_IJSJ_SJ_EEES6_PlJS6_EEE10hipError_tPvRmT3_T4_T5_T6_T7_T9_mT8_P12ihipStream_tbDpT10_ENKUlT_T0_E_clISt17integral_constantIbLb0EES1I_IbLb1EEEEDaS1E_S1F_EUlS1E_E_NS1_11comp_targetILNS1_3genE2ELNS1_11target_archE906ELNS1_3gpuE6ELNS1_3repE0EEENS1_30default_config_static_selectorELNS0_4arch9wavefront6targetE1EEEvT1_.kd
    .uniform_work_group_size: 1
    .uses_dynamic_stack: false
    .vgpr_count:     0
    .vgpr_spill_count: 0
    .wavefront_size: 64
  - .agpr_count:     0
    .args:
      - .offset:         0
        .size:           152
        .value_kind:     by_value
    .group_segment_fixed_size: 0
    .kernarg_segment_align: 8
    .kernarg_segment_size: 152
    .language:       OpenCL C
    .language_version:
      - 2
      - 0
    .max_flat_workgroup_size: 256
    .name:           _ZN7rocprim17ROCPRIM_400000_NS6detail17trampoline_kernelINS0_14default_configENS1_25partition_config_selectorILNS1_17partition_subalgoE2EsNS0_10empty_typeEbEEZZNS1_14partition_implILS5_2ELb0ES3_jN6thrust23THRUST_200600_302600_NS6detail15normal_iteratorINSA_7pointerIsNSA_11hip_rocprim3tagENSA_11use_defaultESG_EEEEPS6_NSA_18transform_iteratorI10is_orderedNSA_12zip_iteratorINSA_5tupleINSC_INSA_10device_ptrIsEEEESQ_NSA_9null_typeESR_SR_SR_SR_SR_SR_SR_EEEESG_SG_EENS0_5tupleIJPsSJ_EEENSV_IJSJ_SJ_EEES6_PlJS6_EEE10hipError_tPvRmT3_T4_T5_T6_T7_T9_mT8_P12ihipStream_tbDpT10_ENKUlT_T0_E_clISt17integral_constantIbLb0EES1I_IbLb1EEEEDaS1E_S1F_EUlS1E_E_NS1_11comp_targetILNS1_3genE10ELNS1_11target_archE1200ELNS1_3gpuE4ELNS1_3repE0EEENS1_30default_config_static_selectorELNS0_4arch9wavefront6targetE1EEEvT1_
    .private_segment_fixed_size: 0
    .sgpr_count:     4
    .sgpr_spill_count: 0
    .symbol:         _ZN7rocprim17ROCPRIM_400000_NS6detail17trampoline_kernelINS0_14default_configENS1_25partition_config_selectorILNS1_17partition_subalgoE2EsNS0_10empty_typeEbEEZZNS1_14partition_implILS5_2ELb0ES3_jN6thrust23THRUST_200600_302600_NS6detail15normal_iteratorINSA_7pointerIsNSA_11hip_rocprim3tagENSA_11use_defaultESG_EEEEPS6_NSA_18transform_iteratorI10is_orderedNSA_12zip_iteratorINSA_5tupleINSC_INSA_10device_ptrIsEEEESQ_NSA_9null_typeESR_SR_SR_SR_SR_SR_SR_EEEESG_SG_EENS0_5tupleIJPsSJ_EEENSV_IJSJ_SJ_EEES6_PlJS6_EEE10hipError_tPvRmT3_T4_T5_T6_T7_T9_mT8_P12ihipStream_tbDpT10_ENKUlT_T0_E_clISt17integral_constantIbLb0EES1I_IbLb1EEEEDaS1E_S1F_EUlS1E_E_NS1_11comp_targetILNS1_3genE10ELNS1_11target_archE1200ELNS1_3gpuE4ELNS1_3repE0EEENS1_30default_config_static_selectorELNS0_4arch9wavefront6targetE1EEEvT1_.kd
    .uniform_work_group_size: 1
    .uses_dynamic_stack: false
    .vgpr_count:     0
    .vgpr_spill_count: 0
    .wavefront_size: 64
  - .agpr_count:     0
    .args:
      - .offset:         0
        .size:           152
        .value_kind:     by_value
    .group_segment_fixed_size: 0
    .kernarg_segment_align: 8
    .kernarg_segment_size: 152
    .language:       OpenCL C
    .language_version:
      - 2
      - 0
    .max_flat_workgroup_size: 128
    .name:           _ZN7rocprim17ROCPRIM_400000_NS6detail17trampoline_kernelINS0_14default_configENS1_25partition_config_selectorILNS1_17partition_subalgoE2EsNS0_10empty_typeEbEEZZNS1_14partition_implILS5_2ELb0ES3_jN6thrust23THRUST_200600_302600_NS6detail15normal_iteratorINSA_7pointerIsNSA_11hip_rocprim3tagENSA_11use_defaultESG_EEEEPS6_NSA_18transform_iteratorI10is_orderedNSA_12zip_iteratorINSA_5tupleINSC_INSA_10device_ptrIsEEEESQ_NSA_9null_typeESR_SR_SR_SR_SR_SR_SR_EEEESG_SG_EENS0_5tupleIJPsSJ_EEENSV_IJSJ_SJ_EEES6_PlJS6_EEE10hipError_tPvRmT3_T4_T5_T6_T7_T9_mT8_P12ihipStream_tbDpT10_ENKUlT_T0_E_clISt17integral_constantIbLb0EES1I_IbLb1EEEEDaS1E_S1F_EUlS1E_E_NS1_11comp_targetILNS1_3genE9ELNS1_11target_archE1100ELNS1_3gpuE3ELNS1_3repE0EEENS1_30default_config_static_selectorELNS0_4arch9wavefront6targetE1EEEvT1_
    .private_segment_fixed_size: 0
    .sgpr_count:     4
    .sgpr_spill_count: 0
    .symbol:         _ZN7rocprim17ROCPRIM_400000_NS6detail17trampoline_kernelINS0_14default_configENS1_25partition_config_selectorILNS1_17partition_subalgoE2EsNS0_10empty_typeEbEEZZNS1_14partition_implILS5_2ELb0ES3_jN6thrust23THRUST_200600_302600_NS6detail15normal_iteratorINSA_7pointerIsNSA_11hip_rocprim3tagENSA_11use_defaultESG_EEEEPS6_NSA_18transform_iteratorI10is_orderedNSA_12zip_iteratorINSA_5tupleINSC_INSA_10device_ptrIsEEEESQ_NSA_9null_typeESR_SR_SR_SR_SR_SR_SR_EEEESG_SG_EENS0_5tupleIJPsSJ_EEENSV_IJSJ_SJ_EEES6_PlJS6_EEE10hipError_tPvRmT3_T4_T5_T6_T7_T9_mT8_P12ihipStream_tbDpT10_ENKUlT_T0_E_clISt17integral_constantIbLb0EES1I_IbLb1EEEEDaS1E_S1F_EUlS1E_E_NS1_11comp_targetILNS1_3genE9ELNS1_11target_archE1100ELNS1_3gpuE3ELNS1_3repE0EEENS1_30default_config_static_selectorELNS0_4arch9wavefront6targetE1EEEvT1_.kd
    .uniform_work_group_size: 1
    .uses_dynamic_stack: false
    .vgpr_count:     0
    .vgpr_spill_count: 0
    .wavefront_size: 64
  - .agpr_count:     0
    .args:
      - .offset:         0
        .size:           152
        .value_kind:     by_value
    .group_segment_fixed_size: 0
    .kernarg_segment_align: 8
    .kernarg_segment_size: 152
    .language:       OpenCL C
    .language_version:
      - 2
      - 0
    .max_flat_workgroup_size: 512
    .name:           _ZN7rocprim17ROCPRIM_400000_NS6detail17trampoline_kernelINS0_14default_configENS1_25partition_config_selectorILNS1_17partition_subalgoE2EsNS0_10empty_typeEbEEZZNS1_14partition_implILS5_2ELb0ES3_jN6thrust23THRUST_200600_302600_NS6detail15normal_iteratorINSA_7pointerIsNSA_11hip_rocprim3tagENSA_11use_defaultESG_EEEEPS6_NSA_18transform_iteratorI10is_orderedNSA_12zip_iteratorINSA_5tupleINSC_INSA_10device_ptrIsEEEESQ_NSA_9null_typeESR_SR_SR_SR_SR_SR_SR_EEEESG_SG_EENS0_5tupleIJPsSJ_EEENSV_IJSJ_SJ_EEES6_PlJS6_EEE10hipError_tPvRmT3_T4_T5_T6_T7_T9_mT8_P12ihipStream_tbDpT10_ENKUlT_T0_E_clISt17integral_constantIbLb0EES1I_IbLb1EEEEDaS1E_S1F_EUlS1E_E_NS1_11comp_targetILNS1_3genE8ELNS1_11target_archE1030ELNS1_3gpuE2ELNS1_3repE0EEENS1_30default_config_static_selectorELNS0_4arch9wavefront6targetE1EEEvT1_
    .private_segment_fixed_size: 0
    .sgpr_count:     4
    .sgpr_spill_count: 0
    .symbol:         _ZN7rocprim17ROCPRIM_400000_NS6detail17trampoline_kernelINS0_14default_configENS1_25partition_config_selectorILNS1_17partition_subalgoE2EsNS0_10empty_typeEbEEZZNS1_14partition_implILS5_2ELb0ES3_jN6thrust23THRUST_200600_302600_NS6detail15normal_iteratorINSA_7pointerIsNSA_11hip_rocprim3tagENSA_11use_defaultESG_EEEEPS6_NSA_18transform_iteratorI10is_orderedNSA_12zip_iteratorINSA_5tupleINSC_INSA_10device_ptrIsEEEESQ_NSA_9null_typeESR_SR_SR_SR_SR_SR_SR_EEEESG_SG_EENS0_5tupleIJPsSJ_EEENSV_IJSJ_SJ_EEES6_PlJS6_EEE10hipError_tPvRmT3_T4_T5_T6_T7_T9_mT8_P12ihipStream_tbDpT10_ENKUlT_T0_E_clISt17integral_constantIbLb0EES1I_IbLb1EEEEDaS1E_S1F_EUlS1E_E_NS1_11comp_targetILNS1_3genE8ELNS1_11target_archE1030ELNS1_3gpuE2ELNS1_3repE0EEENS1_30default_config_static_selectorELNS0_4arch9wavefront6targetE1EEEvT1_.kd
    .uniform_work_group_size: 1
    .uses_dynamic_stack: false
    .vgpr_count:     0
    .vgpr_spill_count: 0
    .wavefront_size: 64
  - .agpr_count:     0
    .args:
      - .offset:         0
        .size:           32
        .value_kind:     by_value
      - .offset:         32
        .size:           8
        .value_kind:     by_value
      - .offset:         40
        .size:           8
        .value_kind:     by_value
    .group_segment_fixed_size: 0
    .kernarg_segment_align: 8
    .kernarg_segment_size: 48
    .language:       OpenCL C
    .language_version:
      - 2
      - 0
    .max_flat_workgroup_size: 256
    .name:           _ZN6thrust23THRUST_200600_302600_NS11hip_rocprim14__parallel_for6kernelILj256ENS1_13__swap_ranges6swap_fINS0_12zip_iteratorINS0_5tupleINS0_6detail15normal_iteratorINS0_10device_ptrIxEEEESC_NS0_9null_typeESD_SD_SD_SD_SD_SD_SD_EEEENS0_16reverse_iteratorISF_EEEElLj1EEEvT0_T1_SK_
    .private_segment_fixed_size: 0
    .sgpr_count:     16
    .sgpr_spill_count: 0
    .symbol:         _ZN6thrust23THRUST_200600_302600_NS11hip_rocprim14__parallel_for6kernelILj256ENS1_13__swap_ranges6swap_fINS0_12zip_iteratorINS0_5tupleINS0_6detail15normal_iteratorINS0_10device_ptrIxEEEESC_NS0_9null_typeESD_SD_SD_SD_SD_SD_SD_EEEENS0_16reverse_iteratorISF_EEEElLj1EEEvT0_T1_SK_.kd
    .uniform_work_group_size: 1
    .uses_dynamic_stack: false
    .vgpr_count:     16
    .vgpr_spill_count: 0
    .wavefront_size: 64
  - .agpr_count:     0
    .args:
      - .offset:         0
        .size:           32
        .value_kind:     by_value
      - .offset:         32
        .size:           8
        .value_kind:     by_value
      - .offset:         40
        .size:           8
        .value_kind:     by_value
    .group_segment_fixed_size: 0
    .kernarg_segment_align: 8
    .kernarg_segment_size: 48
    .language:       OpenCL C
    .language_version:
      - 2
      - 0
    .max_flat_workgroup_size: 256
    .name:           _ZN6thrust23THRUST_200600_302600_NS11hip_rocprim14__parallel_for6kernelILj256ENS1_13__swap_ranges6swap_fINS0_12zip_iteratorINS0_5tupleINS0_6detail15normal_iteratorINS0_10device_ptrIiEEEESC_NS0_9null_typeESD_SD_SD_SD_SD_SD_SD_EEEENS0_16reverse_iteratorISF_EEEElLj1EEEvT0_T1_SK_
    .private_segment_fixed_size: 0
    .sgpr_count:     16
    .sgpr_spill_count: 0
    .symbol:         _ZN6thrust23THRUST_200600_302600_NS11hip_rocprim14__parallel_for6kernelILj256ENS1_13__swap_ranges6swap_fINS0_12zip_iteratorINS0_5tupleINS0_6detail15normal_iteratorINS0_10device_ptrIiEEEESC_NS0_9null_typeESD_SD_SD_SD_SD_SD_SD_EEEENS0_16reverse_iteratorISF_EEEElLj1EEEvT0_T1_SK_.kd
    .uniform_work_group_size: 1
    .uses_dynamic_stack: false
    .vgpr_count:     12
    .vgpr_spill_count: 0
    .wavefront_size: 64
  - .agpr_count:     0
    .args:
      - .offset:         0
        .size:           32
        .value_kind:     by_value
      - .offset:         32
        .size:           8
        .value_kind:     by_value
      - .offset:         40
        .size:           8
        .value_kind:     by_value
    .group_segment_fixed_size: 0
    .kernarg_segment_align: 8
    .kernarg_segment_size: 48
    .language:       OpenCL C
    .language_version:
      - 2
      - 0
    .max_flat_workgroup_size: 256
    .name:           _ZN6thrust23THRUST_200600_302600_NS11hip_rocprim14__parallel_for6kernelILj256ENS1_13__swap_ranges6swap_fINS0_12zip_iteratorINS0_5tupleINS0_6detail15normal_iteratorINS0_10device_ptrIsEEEESC_NS0_9null_typeESD_SD_SD_SD_SD_SD_SD_EEEENS0_16reverse_iteratorISF_EEEElLj1EEEvT0_T1_SK_
    .private_segment_fixed_size: 0
    .sgpr_count:     16
    .sgpr_spill_count: 0
    .symbol:         _ZN6thrust23THRUST_200600_302600_NS11hip_rocprim14__parallel_for6kernelILj256ENS1_13__swap_ranges6swap_fINS0_12zip_iteratorINS0_5tupleINS0_6detail15normal_iteratorINS0_10device_ptrIsEEEESC_NS0_9null_typeESD_SD_SD_SD_SD_SD_SD_EEEENS0_16reverse_iteratorISF_EEEElLj1EEEvT0_T1_SK_.kd
    .uniform_work_group_size: 1
    .uses_dynamic_stack: false
    .vgpr_count:     12
    .vgpr_spill_count: 0
    .wavefront_size: 64
  - .agpr_count:     0
    .args:
      - .offset:         0
        .size:           16
        .value_kind:     by_value
      - .offset:         16
        .size:           8
        .value_kind:     by_value
      - .offset:         24
        .size:           8
        .value_kind:     by_value
    .group_segment_fixed_size: 0
    .kernarg_segment_align: 8
    .kernarg_segment_size: 32
    .language:       OpenCL C
    .language_version:
      - 2
      - 0
    .max_flat_workgroup_size: 256
    .name:           _ZN6thrust23THRUST_200600_302600_NS11hip_rocprim14__parallel_for6kernelILj256ENS1_20__uninitialized_copy7functorINS0_10device_ptrIiEENS0_6detail15normal_iteratorINS0_7pointerIiNS1_5par_tENS0_11use_defaultESC_EEEEEElLj1EEEvT0_T1_SH_
    .private_segment_fixed_size: 0
    .sgpr_count:     20
    .sgpr_spill_count: 0
    .symbol:         _ZN6thrust23THRUST_200600_302600_NS11hip_rocprim14__parallel_for6kernelILj256ENS1_20__uninitialized_copy7functorINS0_10device_ptrIiEENS0_6detail15normal_iteratorINS0_7pointerIiNS1_5par_tENS0_11use_defaultESC_EEEEEElLj1EEEvT0_T1_SH_.kd
    .uniform_work_group_size: 1
    .uses_dynamic_stack: false
    .vgpr_count:     6
    .vgpr_spill_count: 0
    .wavefront_size: 64
  - .agpr_count:     0
    .args:
      - .offset:         0
        .size:           120
        .value_kind:     by_value
    .group_segment_fixed_size: 0
    .kernarg_segment_align: 8
    .kernarg_segment_size: 120
    .language:       OpenCL C
    .language_version:
      - 2
      - 0
    .max_flat_workgroup_size: 256
    .name:           _ZN7rocprim17ROCPRIM_400000_NS6detail17trampoline_kernelINS0_14default_configENS1_25partition_config_selectorILNS1_17partition_subalgoE3EiNS0_10empty_typeEbEEZZNS1_14partition_implILS5_3ELb0ES3_jN6thrust23THRUST_200600_302600_NS6detail15normal_iteratorINSA_7pointerIiNSA_11hip_rocprim5par_tENSA_11use_defaultESG_EEEEPS6_SJ_NS0_5tupleIJPiSJ_EEENSK_IJSJ_SJ_EEES6_PlJ7is_evenIiEEEE10hipError_tPvRmT3_T4_T5_T6_T7_T9_mT8_P12ihipStream_tbDpT10_ENKUlT_T0_E_clISt17integral_constantIbLb0EES1A_EEDaS15_S16_EUlS15_E_NS1_11comp_targetILNS1_3genE0ELNS1_11target_archE4294967295ELNS1_3gpuE0ELNS1_3repE0EEENS1_30default_config_static_selectorELNS0_4arch9wavefront6targetE1EEEvT1_
    .private_segment_fixed_size: 0
    .sgpr_count:     4
    .sgpr_spill_count: 0
    .symbol:         _ZN7rocprim17ROCPRIM_400000_NS6detail17trampoline_kernelINS0_14default_configENS1_25partition_config_selectorILNS1_17partition_subalgoE3EiNS0_10empty_typeEbEEZZNS1_14partition_implILS5_3ELb0ES3_jN6thrust23THRUST_200600_302600_NS6detail15normal_iteratorINSA_7pointerIiNSA_11hip_rocprim5par_tENSA_11use_defaultESG_EEEEPS6_SJ_NS0_5tupleIJPiSJ_EEENSK_IJSJ_SJ_EEES6_PlJ7is_evenIiEEEE10hipError_tPvRmT3_T4_T5_T6_T7_T9_mT8_P12ihipStream_tbDpT10_ENKUlT_T0_E_clISt17integral_constantIbLb0EES1A_EEDaS15_S16_EUlS15_E_NS1_11comp_targetILNS1_3genE0ELNS1_11target_archE4294967295ELNS1_3gpuE0ELNS1_3repE0EEENS1_30default_config_static_selectorELNS0_4arch9wavefront6targetE1EEEvT1_.kd
    .uniform_work_group_size: 1
    .uses_dynamic_stack: false
    .vgpr_count:     0
    .vgpr_spill_count: 0
    .wavefront_size: 64
  - .agpr_count:     0
    .args:
      - .offset:         0
        .size:           120
        .value_kind:     by_value
    .group_segment_fixed_size: 0
    .kernarg_segment_align: 8
    .kernarg_segment_size: 120
    .language:       OpenCL C
    .language_version:
      - 2
      - 0
    .max_flat_workgroup_size: 512
    .name:           _ZN7rocprim17ROCPRIM_400000_NS6detail17trampoline_kernelINS0_14default_configENS1_25partition_config_selectorILNS1_17partition_subalgoE3EiNS0_10empty_typeEbEEZZNS1_14partition_implILS5_3ELb0ES3_jN6thrust23THRUST_200600_302600_NS6detail15normal_iteratorINSA_7pointerIiNSA_11hip_rocprim5par_tENSA_11use_defaultESG_EEEEPS6_SJ_NS0_5tupleIJPiSJ_EEENSK_IJSJ_SJ_EEES6_PlJ7is_evenIiEEEE10hipError_tPvRmT3_T4_T5_T6_T7_T9_mT8_P12ihipStream_tbDpT10_ENKUlT_T0_E_clISt17integral_constantIbLb0EES1A_EEDaS15_S16_EUlS15_E_NS1_11comp_targetILNS1_3genE5ELNS1_11target_archE942ELNS1_3gpuE9ELNS1_3repE0EEENS1_30default_config_static_selectorELNS0_4arch9wavefront6targetE1EEEvT1_
    .private_segment_fixed_size: 0
    .sgpr_count:     4
    .sgpr_spill_count: 0
    .symbol:         _ZN7rocprim17ROCPRIM_400000_NS6detail17trampoline_kernelINS0_14default_configENS1_25partition_config_selectorILNS1_17partition_subalgoE3EiNS0_10empty_typeEbEEZZNS1_14partition_implILS5_3ELb0ES3_jN6thrust23THRUST_200600_302600_NS6detail15normal_iteratorINSA_7pointerIiNSA_11hip_rocprim5par_tENSA_11use_defaultESG_EEEEPS6_SJ_NS0_5tupleIJPiSJ_EEENSK_IJSJ_SJ_EEES6_PlJ7is_evenIiEEEE10hipError_tPvRmT3_T4_T5_T6_T7_T9_mT8_P12ihipStream_tbDpT10_ENKUlT_T0_E_clISt17integral_constantIbLb0EES1A_EEDaS15_S16_EUlS15_E_NS1_11comp_targetILNS1_3genE5ELNS1_11target_archE942ELNS1_3gpuE9ELNS1_3repE0EEENS1_30default_config_static_selectorELNS0_4arch9wavefront6targetE1EEEvT1_.kd
    .uniform_work_group_size: 1
    .uses_dynamic_stack: false
    .vgpr_count:     0
    .vgpr_spill_count: 0
    .wavefront_size: 64
  - .agpr_count:     0
    .args:
      - .offset:         0
        .size:           120
        .value_kind:     by_value
    .group_segment_fixed_size: 10248
    .kernarg_segment_align: 8
    .kernarg_segment_size: 120
    .language:       OpenCL C
    .language_version:
      - 2
      - 0
    .max_flat_workgroup_size: 256
    .name:           _ZN7rocprim17ROCPRIM_400000_NS6detail17trampoline_kernelINS0_14default_configENS1_25partition_config_selectorILNS1_17partition_subalgoE3EiNS0_10empty_typeEbEEZZNS1_14partition_implILS5_3ELb0ES3_jN6thrust23THRUST_200600_302600_NS6detail15normal_iteratorINSA_7pointerIiNSA_11hip_rocprim5par_tENSA_11use_defaultESG_EEEEPS6_SJ_NS0_5tupleIJPiSJ_EEENSK_IJSJ_SJ_EEES6_PlJ7is_evenIiEEEE10hipError_tPvRmT3_T4_T5_T6_T7_T9_mT8_P12ihipStream_tbDpT10_ENKUlT_T0_E_clISt17integral_constantIbLb0EES1A_EEDaS15_S16_EUlS15_E_NS1_11comp_targetILNS1_3genE4ELNS1_11target_archE910ELNS1_3gpuE8ELNS1_3repE0EEENS1_30default_config_static_selectorELNS0_4arch9wavefront6targetE1EEEvT1_
    .private_segment_fixed_size: 0
    .sgpr_count:     50
    .sgpr_spill_count: 0
    .symbol:         _ZN7rocprim17ROCPRIM_400000_NS6detail17trampoline_kernelINS0_14default_configENS1_25partition_config_selectorILNS1_17partition_subalgoE3EiNS0_10empty_typeEbEEZZNS1_14partition_implILS5_3ELb0ES3_jN6thrust23THRUST_200600_302600_NS6detail15normal_iteratorINSA_7pointerIiNSA_11hip_rocprim5par_tENSA_11use_defaultESG_EEEEPS6_SJ_NS0_5tupleIJPiSJ_EEENSK_IJSJ_SJ_EEES6_PlJ7is_evenIiEEEE10hipError_tPvRmT3_T4_T5_T6_T7_T9_mT8_P12ihipStream_tbDpT10_ENKUlT_T0_E_clISt17integral_constantIbLb0EES1A_EEDaS15_S16_EUlS15_E_NS1_11comp_targetILNS1_3genE4ELNS1_11target_archE910ELNS1_3gpuE8ELNS1_3repE0EEENS1_30default_config_static_selectorELNS0_4arch9wavefront6targetE1EEEvT1_.kd
    .uniform_work_group_size: 1
    .uses_dynamic_stack: false
    .vgpr_count:     54
    .vgpr_spill_count: 0
    .wavefront_size: 64
  - .agpr_count:     0
    .args:
      - .offset:         0
        .size:           120
        .value_kind:     by_value
    .group_segment_fixed_size: 0
    .kernarg_segment_align: 8
    .kernarg_segment_size: 120
    .language:       OpenCL C
    .language_version:
      - 2
      - 0
    .max_flat_workgroup_size: 256
    .name:           _ZN7rocprim17ROCPRIM_400000_NS6detail17trampoline_kernelINS0_14default_configENS1_25partition_config_selectorILNS1_17partition_subalgoE3EiNS0_10empty_typeEbEEZZNS1_14partition_implILS5_3ELb0ES3_jN6thrust23THRUST_200600_302600_NS6detail15normal_iteratorINSA_7pointerIiNSA_11hip_rocprim5par_tENSA_11use_defaultESG_EEEEPS6_SJ_NS0_5tupleIJPiSJ_EEENSK_IJSJ_SJ_EEES6_PlJ7is_evenIiEEEE10hipError_tPvRmT3_T4_T5_T6_T7_T9_mT8_P12ihipStream_tbDpT10_ENKUlT_T0_E_clISt17integral_constantIbLb0EES1A_EEDaS15_S16_EUlS15_E_NS1_11comp_targetILNS1_3genE3ELNS1_11target_archE908ELNS1_3gpuE7ELNS1_3repE0EEENS1_30default_config_static_selectorELNS0_4arch9wavefront6targetE1EEEvT1_
    .private_segment_fixed_size: 0
    .sgpr_count:     4
    .sgpr_spill_count: 0
    .symbol:         _ZN7rocprim17ROCPRIM_400000_NS6detail17trampoline_kernelINS0_14default_configENS1_25partition_config_selectorILNS1_17partition_subalgoE3EiNS0_10empty_typeEbEEZZNS1_14partition_implILS5_3ELb0ES3_jN6thrust23THRUST_200600_302600_NS6detail15normal_iteratorINSA_7pointerIiNSA_11hip_rocprim5par_tENSA_11use_defaultESG_EEEEPS6_SJ_NS0_5tupleIJPiSJ_EEENSK_IJSJ_SJ_EEES6_PlJ7is_evenIiEEEE10hipError_tPvRmT3_T4_T5_T6_T7_T9_mT8_P12ihipStream_tbDpT10_ENKUlT_T0_E_clISt17integral_constantIbLb0EES1A_EEDaS15_S16_EUlS15_E_NS1_11comp_targetILNS1_3genE3ELNS1_11target_archE908ELNS1_3gpuE7ELNS1_3repE0EEENS1_30default_config_static_selectorELNS0_4arch9wavefront6targetE1EEEvT1_.kd
    .uniform_work_group_size: 1
    .uses_dynamic_stack: false
    .vgpr_count:     0
    .vgpr_spill_count: 0
    .wavefront_size: 64
  - .agpr_count:     0
    .args:
      - .offset:         0
        .size:           120
        .value_kind:     by_value
    .group_segment_fixed_size: 0
    .kernarg_segment_align: 8
    .kernarg_segment_size: 120
    .language:       OpenCL C
    .language_version:
      - 2
      - 0
    .max_flat_workgroup_size: 192
    .name:           _ZN7rocprim17ROCPRIM_400000_NS6detail17trampoline_kernelINS0_14default_configENS1_25partition_config_selectorILNS1_17partition_subalgoE3EiNS0_10empty_typeEbEEZZNS1_14partition_implILS5_3ELb0ES3_jN6thrust23THRUST_200600_302600_NS6detail15normal_iteratorINSA_7pointerIiNSA_11hip_rocprim5par_tENSA_11use_defaultESG_EEEEPS6_SJ_NS0_5tupleIJPiSJ_EEENSK_IJSJ_SJ_EEES6_PlJ7is_evenIiEEEE10hipError_tPvRmT3_T4_T5_T6_T7_T9_mT8_P12ihipStream_tbDpT10_ENKUlT_T0_E_clISt17integral_constantIbLb0EES1A_EEDaS15_S16_EUlS15_E_NS1_11comp_targetILNS1_3genE2ELNS1_11target_archE906ELNS1_3gpuE6ELNS1_3repE0EEENS1_30default_config_static_selectorELNS0_4arch9wavefront6targetE1EEEvT1_
    .private_segment_fixed_size: 0
    .sgpr_count:     4
    .sgpr_spill_count: 0
    .symbol:         _ZN7rocprim17ROCPRIM_400000_NS6detail17trampoline_kernelINS0_14default_configENS1_25partition_config_selectorILNS1_17partition_subalgoE3EiNS0_10empty_typeEbEEZZNS1_14partition_implILS5_3ELb0ES3_jN6thrust23THRUST_200600_302600_NS6detail15normal_iteratorINSA_7pointerIiNSA_11hip_rocprim5par_tENSA_11use_defaultESG_EEEEPS6_SJ_NS0_5tupleIJPiSJ_EEENSK_IJSJ_SJ_EEES6_PlJ7is_evenIiEEEE10hipError_tPvRmT3_T4_T5_T6_T7_T9_mT8_P12ihipStream_tbDpT10_ENKUlT_T0_E_clISt17integral_constantIbLb0EES1A_EEDaS15_S16_EUlS15_E_NS1_11comp_targetILNS1_3genE2ELNS1_11target_archE906ELNS1_3gpuE6ELNS1_3repE0EEENS1_30default_config_static_selectorELNS0_4arch9wavefront6targetE1EEEvT1_.kd
    .uniform_work_group_size: 1
    .uses_dynamic_stack: false
    .vgpr_count:     0
    .vgpr_spill_count: 0
    .wavefront_size: 64
  - .agpr_count:     0
    .args:
      - .offset:         0
        .size:           120
        .value_kind:     by_value
    .group_segment_fixed_size: 0
    .kernarg_segment_align: 8
    .kernarg_segment_size: 120
    .language:       OpenCL C
    .language_version:
      - 2
      - 0
    .max_flat_workgroup_size: 384
    .name:           _ZN7rocprim17ROCPRIM_400000_NS6detail17trampoline_kernelINS0_14default_configENS1_25partition_config_selectorILNS1_17partition_subalgoE3EiNS0_10empty_typeEbEEZZNS1_14partition_implILS5_3ELb0ES3_jN6thrust23THRUST_200600_302600_NS6detail15normal_iteratorINSA_7pointerIiNSA_11hip_rocprim5par_tENSA_11use_defaultESG_EEEEPS6_SJ_NS0_5tupleIJPiSJ_EEENSK_IJSJ_SJ_EEES6_PlJ7is_evenIiEEEE10hipError_tPvRmT3_T4_T5_T6_T7_T9_mT8_P12ihipStream_tbDpT10_ENKUlT_T0_E_clISt17integral_constantIbLb0EES1A_EEDaS15_S16_EUlS15_E_NS1_11comp_targetILNS1_3genE10ELNS1_11target_archE1200ELNS1_3gpuE4ELNS1_3repE0EEENS1_30default_config_static_selectorELNS0_4arch9wavefront6targetE1EEEvT1_
    .private_segment_fixed_size: 0
    .sgpr_count:     4
    .sgpr_spill_count: 0
    .symbol:         _ZN7rocprim17ROCPRIM_400000_NS6detail17trampoline_kernelINS0_14default_configENS1_25partition_config_selectorILNS1_17partition_subalgoE3EiNS0_10empty_typeEbEEZZNS1_14partition_implILS5_3ELb0ES3_jN6thrust23THRUST_200600_302600_NS6detail15normal_iteratorINSA_7pointerIiNSA_11hip_rocprim5par_tENSA_11use_defaultESG_EEEEPS6_SJ_NS0_5tupleIJPiSJ_EEENSK_IJSJ_SJ_EEES6_PlJ7is_evenIiEEEE10hipError_tPvRmT3_T4_T5_T6_T7_T9_mT8_P12ihipStream_tbDpT10_ENKUlT_T0_E_clISt17integral_constantIbLb0EES1A_EEDaS15_S16_EUlS15_E_NS1_11comp_targetILNS1_3genE10ELNS1_11target_archE1200ELNS1_3gpuE4ELNS1_3repE0EEENS1_30default_config_static_selectorELNS0_4arch9wavefront6targetE1EEEvT1_.kd
    .uniform_work_group_size: 1
    .uses_dynamic_stack: false
    .vgpr_count:     0
    .vgpr_spill_count: 0
    .wavefront_size: 64
  - .agpr_count:     0
    .args:
      - .offset:         0
        .size:           120
        .value_kind:     by_value
    .group_segment_fixed_size: 0
    .kernarg_segment_align: 8
    .kernarg_segment_size: 120
    .language:       OpenCL C
    .language_version:
      - 2
      - 0
    .max_flat_workgroup_size: 384
    .name:           _ZN7rocprim17ROCPRIM_400000_NS6detail17trampoline_kernelINS0_14default_configENS1_25partition_config_selectorILNS1_17partition_subalgoE3EiNS0_10empty_typeEbEEZZNS1_14partition_implILS5_3ELb0ES3_jN6thrust23THRUST_200600_302600_NS6detail15normal_iteratorINSA_7pointerIiNSA_11hip_rocprim5par_tENSA_11use_defaultESG_EEEEPS6_SJ_NS0_5tupleIJPiSJ_EEENSK_IJSJ_SJ_EEES6_PlJ7is_evenIiEEEE10hipError_tPvRmT3_T4_T5_T6_T7_T9_mT8_P12ihipStream_tbDpT10_ENKUlT_T0_E_clISt17integral_constantIbLb0EES1A_EEDaS15_S16_EUlS15_E_NS1_11comp_targetILNS1_3genE9ELNS1_11target_archE1100ELNS1_3gpuE3ELNS1_3repE0EEENS1_30default_config_static_selectorELNS0_4arch9wavefront6targetE1EEEvT1_
    .private_segment_fixed_size: 0
    .sgpr_count:     4
    .sgpr_spill_count: 0
    .symbol:         _ZN7rocprim17ROCPRIM_400000_NS6detail17trampoline_kernelINS0_14default_configENS1_25partition_config_selectorILNS1_17partition_subalgoE3EiNS0_10empty_typeEbEEZZNS1_14partition_implILS5_3ELb0ES3_jN6thrust23THRUST_200600_302600_NS6detail15normal_iteratorINSA_7pointerIiNSA_11hip_rocprim5par_tENSA_11use_defaultESG_EEEEPS6_SJ_NS0_5tupleIJPiSJ_EEENSK_IJSJ_SJ_EEES6_PlJ7is_evenIiEEEE10hipError_tPvRmT3_T4_T5_T6_T7_T9_mT8_P12ihipStream_tbDpT10_ENKUlT_T0_E_clISt17integral_constantIbLb0EES1A_EEDaS15_S16_EUlS15_E_NS1_11comp_targetILNS1_3genE9ELNS1_11target_archE1100ELNS1_3gpuE3ELNS1_3repE0EEENS1_30default_config_static_selectorELNS0_4arch9wavefront6targetE1EEEvT1_.kd
    .uniform_work_group_size: 1
    .uses_dynamic_stack: false
    .vgpr_count:     0
    .vgpr_spill_count: 0
    .wavefront_size: 64
  - .agpr_count:     0
    .args:
      - .offset:         0
        .size:           120
        .value_kind:     by_value
    .group_segment_fixed_size: 0
    .kernarg_segment_align: 8
    .kernarg_segment_size: 120
    .language:       OpenCL C
    .language_version:
      - 2
      - 0
    .max_flat_workgroup_size: 512
    .name:           _ZN7rocprim17ROCPRIM_400000_NS6detail17trampoline_kernelINS0_14default_configENS1_25partition_config_selectorILNS1_17partition_subalgoE3EiNS0_10empty_typeEbEEZZNS1_14partition_implILS5_3ELb0ES3_jN6thrust23THRUST_200600_302600_NS6detail15normal_iteratorINSA_7pointerIiNSA_11hip_rocprim5par_tENSA_11use_defaultESG_EEEEPS6_SJ_NS0_5tupleIJPiSJ_EEENSK_IJSJ_SJ_EEES6_PlJ7is_evenIiEEEE10hipError_tPvRmT3_T4_T5_T6_T7_T9_mT8_P12ihipStream_tbDpT10_ENKUlT_T0_E_clISt17integral_constantIbLb0EES1A_EEDaS15_S16_EUlS15_E_NS1_11comp_targetILNS1_3genE8ELNS1_11target_archE1030ELNS1_3gpuE2ELNS1_3repE0EEENS1_30default_config_static_selectorELNS0_4arch9wavefront6targetE1EEEvT1_
    .private_segment_fixed_size: 0
    .sgpr_count:     4
    .sgpr_spill_count: 0
    .symbol:         _ZN7rocprim17ROCPRIM_400000_NS6detail17trampoline_kernelINS0_14default_configENS1_25partition_config_selectorILNS1_17partition_subalgoE3EiNS0_10empty_typeEbEEZZNS1_14partition_implILS5_3ELb0ES3_jN6thrust23THRUST_200600_302600_NS6detail15normal_iteratorINSA_7pointerIiNSA_11hip_rocprim5par_tENSA_11use_defaultESG_EEEEPS6_SJ_NS0_5tupleIJPiSJ_EEENSK_IJSJ_SJ_EEES6_PlJ7is_evenIiEEEE10hipError_tPvRmT3_T4_T5_T6_T7_T9_mT8_P12ihipStream_tbDpT10_ENKUlT_T0_E_clISt17integral_constantIbLb0EES1A_EEDaS15_S16_EUlS15_E_NS1_11comp_targetILNS1_3genE8ELNS1_11target_archE1030ELNS1_3gpuE2ELNS1_3repE0EEENS1_30default_config_static_selectorELNS0_4arch9wavefront6targetE1EEEvT1_.kd
    .uniform_work_group_size: 1
    .uses_dynamic_stack: false
    .vgpr_count:     0
    .vgpr_spill_count: 0
    .wavefront_size: 64
  - .agpr_count:     0
    .args:
      - .offset:         0
        .size:           136
        .value_kind:     by_value
    .group_segment_fixed_size: 0
    .kernarg_segment_align: 8
    .kernarg_segment_size: 136
    .language:       OpenCL C
    .language_version:
      - 2
      - 0
    .max_flat_workgroup_size: 256
    .name:           _ZN7rocprim17ROCPRIM_400000_NS6detail17trampoline_kernelINS0_14default_configENS1_25partition_config_selectorILNS1_17partition_subalgoE3EiNS0_10empty_typeEbEEZZNS1_14partition_implILS5_3ELb0ES3_jN6thrust23THRUST_200600_302600_NS6detail15normal_iteratorINSA_7pointerIiNSA_11hip_rocprim5par_tENSA_11use_defaultESG_EEEEPS6_SJ_NS0_5tupleIJPiSJ_EEENSK_IJSJ_SJ_EEES6_PlJ7is_evenIiEEEE10hipError_tPvRmT3_T4_T5_T6_T7_T9_mT8_P12ihipStream_tbDpT10_ENKUlT_T0_E_clISt17integral_constantIbLb1EES1A_EEDaS15_S16_EUlS15_E_NS1_11comp_targetILNS1_3genE0ELNS1_11target_archE4294967295ELNS1_3gpuE0ELNS1_3repE0EEENS1_30default_config_static_selectorELNS0_4arch9wavefront6targetE1EEEvT1_
    .private_segment_fixed_size: 0
    .sgpr_count:     4
    .sgpr_spill_count: 0
    .symbol:         _ZN7rocprim17ROCPRIM_400000_NS6detail17trampoline_kernelINS0_14default_configENS1_25partition_config_selectorILNS1_17partition_subalgoE3EiNS0_10empty_typeEbEEZZNS1_14partition_implILS5_3ELb0ES3_jN6thrust23THRUST_200600_302600_NS6detail15normal_iteratorINSA_7pointerIiNSA_11hip_rocprim5par_tENSA_11use_defaultESG_EEEEPS6_SJ_NS0_5tupleIJPiSJ_EEENSK_IJSJ_SJ_EEES6_PlJ7is_evenIiEEEE10hipError_tPvRmT3_T4_T5_T6_T7_T9_mT8_P12ihipStream_tbDpT10_ENKUlT_T0_E_clISt17integral_constantIbLb1EES1A_EEDaS15_S16_EUlS15_E_NS1_11comp_targetILNS1_3genE0ELNS1_11target_archE4294967295ELNS1_3gpuE0ELNS1_3repE0EEENS1_30default_config_static_selectorELNS0_4arch9wavefront6targetE1EEEvT1_.kd
    .uniform_work_group_size: 1
    .uses_dynamic_stack: false
    .vgpr_count:     0
    .vgpr_spill_count: 0
    .wavefront_size: 64
  - .agpr_count:     0
    .args:
      - .offset:         0
        .size:           136
        .value_kind:     by_value
    .group_segment_fixed_size: 0
    .kernarg_segment_align: 8
    .kernarg_segment_size: 136
    .language:       OpenCL C
    .language_version:
      - 2
      - 0
    .max_flat_workgroup_size: 512
    .name:           _ZN7rocprim17ROCPRIM_400000_NS6detail17trampoline_kernelINS0_14default_configENS1_25partition_config_selectorILNS1_17partition_subalgoE3EiNS0_10empty_typeEbEEZZNS1_14partition_implILS5_3ELb0ES3_jN6thrust23THRUST_200600_302600_NS6detail15normal_iteratorINSA_7pointerIiNSA_11hip_rocprim5par_tENSA_11use_defaultESG_EEEEPS6_SJ_NS0_5tupleIJPiSJ_EEENSK_IJSJ_SJ_EEES6_PlJ7is_evenIiEEEE10hipError_tPvRmT3_T4_T5_T6_T7_T9_mT8_P12ihipStream_tbDpT10_ENKUlT_T0_E_clISt17integral_constantIbLb1EES1A_EEDaS15_S16_EUlS15_E_NS1_11comp_targetILNS1_3genE5ELNS1_11target_archE942ELNS1_3gpuE9ELNS1_3repE0EEENS1_30default_config_static_selectorELNS0_4arch9wavefront6targetE1EEEvT1_
    .private_segment_fixed_size: 0
    .sgpr_count:     4
    .sgpr_spill_count: 0
    .symbol:         _ZN7rocprim17ROCPRIM_400000_NS6detail17trampoline_kernelINS0_14default_configENS1_25partition_config_selectorILNS1_17partition_subalgoE3EiNS0_10empty_typeEbEEZZNS1_14partition_implILS5_3ELb0ES3_jN6thrust23THRUST_200600_302600_NS6detail15normal_iteratorINSA_7pointerIiNSA_11hip_rocprim5par_tENSA_11use_defaultESG_EEEEPS6_SJ_NS0_5tupleIJPiSJ_EEENSK_IJSJ_SJ_EEES6_PlJ7is_evenIiEEEE10hipError_tPvRmT3_T4_T5_T6_T7_T9_mT8_P12ihipStream_tbDpT10_ENKUlT_T0_E_clISt17integral_constantIbLb1EES1A_EEDaS15_S16_EUlS15_E_NS1_11comp_targetILNS1_3genE5ELNS1_11target_archE942ELNS1_3gpuE9ELNS1_3repE0EEENS1_30default_config_static_selectorELNS0_4arch9wavefront6targetE1EEEvT1_.kd
    .uniform_work_group_size: 1
    .uses_dynamic_stack: false
    .vgpr_count:     0
    .vgpr_spill_count: 0
    .wavefront_size: 64
  - .agpr_count:     0
    .args:
      - .offset:         0
        .size:           136
        .value_kind:     by_value
    .group_segment_fixed_size: 10248
    .kernarg_segment_align: 8
    .kernarg_segment_size: 136
    .language:       OpenCL C
    .language_version:
      - 2
      - 0
    .max_flat_workgroup_size: 256
    .name:           _ZN7rocprim17ROCPRIM_400000_NS6detail17trampoline_kernelINS0_14default_configENS1_25partition_config_selectorILNS1_17partition_subalgoE3EiNS0_10empty_typeEbEEZZNS1_14partition_implILS5_3ELb0ES3_jN6thrust23THRUST_200600_302600_NS6detail15normal_iteratorINSA_7pointerIiNSA_11hip_rocprim5par_tENSA_11use_defaultESG_EEEEPS6_SJ_NS0_5tupleIJPiSJ_EEENSK_IJSJ_SJ_EEES6_PlJ7is_evenIiEEEE10hipError_tPvRmT3_T4_T5_T6_T7_T9_mT8_P12ihipStream_tbDpT10_ENKUlT_T0_E_clISt17integral_constantIbLb1EES1A_EEDaS15_S16_EUlS15_E_NS1_11comp_targetILNS1_3genE4ELNS1_11target_archE910ELNS1_3gpuE8ELNS1_3repE0EEENS1_30default_config_static_selectorELNS0_4arch9wavefront6targetE1EEEvT1_
    .private_segment_fixed_size: 0
    .sgpr_count:     48
    .sgpr_spill_count: 0
    .symbol:         _ZN7rocprim17ROCPRIM_400000_NS6detail17trampoline_kernelINS0_14default_configENS1_25partition_config_selectorILNS1_17partition_subalgoE3EiNS0_10empty_typeEbEEZZNS1_14partition_implILS5_3ELb0ES3_jN6thrust23THRUST_200600_302600_NS6detail15normal_iteratorINSA_7pointerIiNSA_11hip_rocprim5par_tENSA_11use_defaultESG_EEEEPS6_SJ_NS0_5tupleIJPiSJ_EEENSK_IJSJ_SJ_EEES6_PlJ7is_evenIiEEEE10hipError_tPvRmT3_T4_T5_T6_T7_T9_mT8_P12ihipStream_tbDpT10_ENKUlT_T0_E_clISt17integral_constantIbLb1EES1A_EEDaS15_S16_EUlS15_E_NS1_11comp_targetILNS1_3genE4ELNS1_11target_archE910ELNS1_3gpuE8ELNS1_3repE0EEENS1_30default_config_static_selectorELNS0_4arch9wavefront6targetE1EEEvT1_.kd
    .uniform_work_group_size: 1
    .uses_dynamic_stack: false
    .vgpr_count:     57
    .vgpr_spill_count: 0
    .wavefront_size: 64
  - .agpr_count:     0
    .args:
      - .offset:         0
        .size:           136
        .value_kind:     by_value
    .group_segment_fixed_size: 0
    .kernarg_segment_align: 8
    .kernarg_segment_size: 136
    .language:       OpenCL C
    .language_version:
      - 2
      - 0
    .max_flat_workgroup_size: 256
    .name:           _ZN7rocprim17ROCPRIM_400000_NS6detail17trampoline_kernelINS0_14default_configENS1_25partition_config_selectorILNS1_17partition_subalgoE3EiNS0_10empty_typeEbEEZZNS1_14partition_implILS5_3ELb0ES3_jN6thrust23THRUST_200600_302600_NS6detail15normal_iteratorINSA_7pointerIiNSA_11hip_rocprim5par_tENSA_11use_defaultESG_EEEEPS6_SJ_NS0_5tupleIJPiSJ_EEENSK_IJSJ_SJ_EEES6_PlJ7is_evenIiEEEE10hipError_tPvRmT3_T4_T5_T6_T7_T9_mT8_P12ihipStream_tbDpT10_ENKUlT_T0_E_clISt17integral_constantIbLb1EES1A_EEDaS15_S16_EUlS15_E_NS1_11comp_targetILNS1_3genE3ELNS1_11target_archE908ELNS1_3gpuE7ELNS1_3repE0EEENS1_30default_config_static_selectorELNS0_4arch9wavefront6targetE1EEEvT1_
    .private_segment_fixed_size: 0
    .sgpr_count:     4
    .sgpr_spill_count: 0
    .symbol:         _ZN7rocprim17ROCPRIM_400000_NS6detail17trampoline_kernelINS0_14default_configENS1_25partition_config_selectorILNS1_17partition_subalgoE3EiNS0_10empty_typeEbEEZZNS1_14partition_implILS5_3ELb0ES3_jN6thrust23THRUST_200600_302600_NS6detail15normal_iteratorINSA_7pointerIiNSA_11hip_rocprim5par_tENSA_11use_defaultESG_EEEEPS6_SJ_NS0_5tupleIJPiSJ_EEENSK_IJSJ_SJ_EEES6_PlJ7is_evenIiEEEE10hipError_tPvRmT3_T4_T5_T6_T7_T9_mT8_P12ihipStream_tbDpT10_ENKUlT_T0_E_clISt17integral_constantIbLb1EES1A_EEDaS15_S16_EUlS15_E_NS1_11comp_targetILNS1_3genE3ELNS1_11target_archE908ELNS1_3gpuE7ELNS1_3repE0EEENS1_30default_config_static_selectorELNS0_4arch9wavefront6targetE1EEEvT1_.kd
    .uniform_work_group_size: 1
    .uses_dynamic_stack: false
    .vgpr_count:     0
    .vgpr_spill_count: 0
    .wavefront_size: 64
  - .agpr_count:     0
    .args:
      - .offset:         0
        .size:           136
        .value_kind:     by_value
    .group_segment_fixed_size: 0
    .kernarg_segment_align: 8
    .kernarg_segment_size: 136
    .language:       OpenCL C
    .language_version:
      - 2
      - 0
    .max_flat_workgroup_size: 192
    .name:           _ZN7rocprim17ROCPRIM_400000_NS6detail17trampoline_kernelINS0_14default_configENS1_25partition_config_selectorILNS1_17partition_subalgoE3EiNS0_10empty_typeEbEEZZNS1_14partition_implILS5_3ELb0ES3_jN6thrust23THRUST_200600_302600_NS6detail15normal_iteratorINSA_7pointerIiNSA_11hip_rocprim5par_tENSA_11use_defaultESG_EEEEPS6_SJ_NS0_5tupleIJPiSJ_EEENSK_IJSJ_SJ_EEES6_PlJ7is_evenIiEEEE10hipError_tPvRmT3_T4_T5_T6_T7_T9_mT8_P12ihipStream_tbDpT10_ENKUlT_T0_E_clISt17integral_constantIbLb1EES1A_EEDaS15_S16_EUlS15_E_NS1_11comp_targetILNS1_3genE2ELNS1_11target_archE906ELNS1_3gpuE6ELNS1_3repE0EEENS1_30default_config_static_selectorELNS0_4arch9wavefront6targetE1EEEvT1_
    .private_segment_fixed_size: 0
    .sgpr_count:     4
    .sgpr_spill_count: 0
    .symbol:         _ZN7rocprim17ROCPRIM_400000_NS6detail17trampoline_kernelINS0_14default_configENS1_25partition_config_selectorILNS1_17partition_subalgoE3EiNS0_10empty_typeEbEEZZNS1_14partition_implILS5_3ELb0ES3_jN6thrust23THRUST_200600_302600_NS6detail15normal_iteratorINSA_7pointerIiNSA_11hip_rocprim5par_tENSA_11use_defaultESG_EEEEPS6_SJ_NS0_5tupleIJPiSJ_EEENSK_IJSJ_SJ_EEES6_PlJ7is_evenIiEEEE10hipError_tPvRmT3_T4_T5_T6_T7_T9_mT8_P12ihipStream_tbDpT10_ENKUlT_T0_E_clISt17integral_constantIbLb1EES1A_EEDaS15_S16_EUlS15_E_NS1_11comp_targetILNS1_3genE2ELNS1_11target_archE906ELNS1_3gpuE6ELNS1_3repE0EEENS1_30default_config_static_selectorELNS0_4arch9wavefront6targetE1EEEvT1_.kd
    .uniform_work_group_size: 1
    .uses_dynamic_stack: false
    .vgpr_count:     0
    .vgpr_spill_count: 0
    .wavefront_size: 64
  - .agpr_count:     0
    .args:
      - .offset:         0
        .size:           136
        .value_kind:     by_value
    .group_segment_fixed_size: 0
    .kernarg_segment_align: 8
    .kernarg_segment_size: 136
    .language:       OpenCL C
    .language_version:
      - 2
      - 0
    .max_flat_workgroup_size: 384
    .name:           _ZN7rocprim17ROCPRIM_400000_NS6detail17trampoline_kernelINS0_14default_configENS1_25partition_config_selectorILNS1_17partition_subalgoE3EiNS0_10empty_typeEbEEZZNS1_14partition_implILS5_3ELb0ES3_jN6thrust23THRUST_200600_302600_NS6detail15normal_iteratorINSA_7pointerIiNSA_11hip_rocprim5par_tENSA_11use_defaultESG_EEEEPS6_SJ_NS0_5tupleIJPiSJ_EEENSK_IJSJ_SJ_EEES6_PlJ7is_evenIiEEEE10hipError_tPvRmT3_T4_T5_T6_T7_T9_mT8_P12ihipStream_tbDpT10_ENKUlT_T0_E_clISt17integral_constantIbLb1EES1A_EEDaS15_S16_EUlS15_E_NS1_11comp_targetILNS1_3genE10ELNS1_11target_archE1200ELNS1_3gpuE4ELNS1_3repE0EEENS1_30default_config_static_selectorELNS0_4arch9wavefront6targetE1EEEvT1_
    .private_segment_fixed_size: 0
    .sgpr_count:     4
    .sgpr_spill_count: 0
    .symbol:         _ZN7rocprim17ROCPRIM_400000_NS6detail17trampoline_kernelINS0_14default_configENS1_25partition_config_selectorILNS1_17partition_subalgoE3EiNS0_10empty_typeEbEEZZNS1_14partition_implILS5_3ELb0ES3_jN6thrust23THRUST_200600_302600_NS6detail15normal_iteratorINSA_7pointerIiNSA_11hip_rocprim5par_tENSA_11use_defaultESG_EEEEPS6_SJ_NS0_5tupleIJPiSJ_EEENSK_IJSJ_SJ_EEES6_PlJ7is_evenIiEEEE10hipError_tPvRmT3_T4_T5_T6_T7_T9_mT8_P12ihipStream_tbDpT10_ENKUlT_T0_E_clISt17integral_constantIbLb1EES1A_EEDaS15_S16_EUlS15_E_NS1_11comp_targetILNS1_3genE10ELNS1_11target_archE1200ELNS1_3gpuE4ELNS1_3repE0EEENS1_30default_config_static_selectorELNS0_4arch9wavefront6targetE1EEEvT1_.kd
    .uniform_work_group_size: 1
    .uses_dynamic_stack: false
    .vgpr_count:     0
    .vgpr_spill_count: 0
    .wavefront_size: 64
  - .agpr_count:     0
    .args:
      - .offset:         0
        .size:           136
        .value_kind:     by_value
    .group_segment_fixed_size: 0
    .kernarg_segment_align: 8
    .kernarg_segment_size: 136
    .language:       OpenCL C
    .language_version:
      - 2
      - 0
    .max_flat_workgroup_size: 384
    .name:           _ZN7rocprim17ROCPRIM_400000_NS6detail17trampoline_kernelINS0_14default_configENS1_25partition_config_selectorILNS1_17partition_subalgoE3EiNS0_10empty_typeEbEEZZNS1_14partition_implILS5_3ELb0ES3_jN6thrust23THRUST_200600_302600_NS6detail15normal_iteratorINSA_7pointerIiNSA_11hip_rocprim5par_tENSA_11use_defaultESG_EEEEPS6_SJ_NS0_5tupleIJPiSJ_EEENSK_IJSJ_SJ_EEES6_PlJ7is_evenIiEEEE10hipError_tPvRmT3_T4_T5_T6_T7_T9_mT8_P12ihipStream_tbDpT10_ENKUlT_T0_E_clISt17integral_constantIbLb1EES1A_EEDaS15_S16_EUlS15_E_NS1_11comp_targetILNS1_3genE9ELNS1_11target_archE1100ELNS1_3gpuE3ELNS1_3repE0EEENS1_30default_config_static_selectorELNS0_4arch9wavefront6targetE1EEEvT1_
    .private_segment_fixed_size: 0
    .sgpr_count:     4
    .sgpr_spill_count: 0
    .symbol:         _ZN7rocprim17ROCPRIM_400000_NS6detail17trampoline_kernelINS0_14default_configENS1_25partition_config_selectorILNS1_17partition_subalgoE3EiNS0_10empty_typeEbEEZZNS1_14partition_implILS5_3ELb0ES3_jN6thrust23THRUST_200600_302600_NS6detail15normal_iteratorINSA_7pointerIiNSA_11hip_rocprim5par_tENSA_11use_defaultESG_EEEEPS6_SJ_NS0_5tupleIJPiSJ_EEENSK_IJSJ_SJ_EEES6_PlJ7is_evenIiEEEE10hipError_tPvRmT3_T4_T5_T6_T7_T9_mT8_P12ihipStream_tbDpT10_ENKUlT_T0_E_clISt17integral_constantIbLb1EES1A_EEDaS15_S16_EUlS15_E_NS1_11comp_targetILNS1_3genE9ELNS1_11target_archE1100ELNS1_3gpuE3ELNS1_3repE0EEENS1_30default_config_static_selectorELNS0_4arch9wavefront6targetE1EEEvT1_.kd
    .uniform_work_group_size: 1
    .uses_dynamic_stack: false
    .vgpr_count:     0
    .vgpr_spill_count: 0
    .wavefront_size: 64
  - .agpr_count:     0
    .args:
      - .offset:         0
        .size:           136
        .value_kind:     by_value
    .group_segment_fixed_size: 0
    .kernarg_segment_align: 8
    .kernarg_segment_size: 136
    .language:       OpenCL C
    .language_version:
      - 2
      - 0
    .max_flat_workgroup_size: 512
    .name:           _ZN7rocprim17ROCPRIM_400000_NS6detail17trampoline_kernelINS0_14default_configENS1_25partition_config_selectorILNS1_17partition_subalgoE3EiNS0_10empty_typeEbEEZZNS1_14partition_implILS5_3ELb0ES3_jN6thrust23THRUST_200600_302600_NS6detail15normal_iteratorINSA_7pointerIiNSA_11hip_rocprim5par_tENSA_11use_defaultESG_EEEEPS6_SJ_NS0_5tupleIJPiSJ_EEENSK_IJSJ_SJ_EEES6_PlJ7is_evenIiEEEE10hipError_tPvRmT3_T4_T5_T6_T7_T9_mT8_P12ihipStream_tbDpT10_ENKUlT_T0_E_clISt17integral_constantIbLb1EES1A_EEDaS15_S16_EUlS15_E_NS1_11comp_targetILNS1_3genE8ELNS1_11target_archE1030ELNS1_3gpuE2ELNS1_3repE0EEENS1_30default_config_static_selectorELNS0_4arch9wavefront6targetE1EEEvT1_
    .private_segment_fixed_size: 0
    .sgpr_count:     4
    .sgpr_spill_count: 0
    .symbol:         _ZN7rocprim17ROCPRIM_400000_NS6detail17trampoline_kernelINS0_14default_configENS1_25partition_config_selectorILNS1_17partition_subalgoE3EiNS0_10empty_typeEbEEZZNS1_14partition_implILS5_3ELb0ES3_jN6thrust23THRUST_200600_302600_NS6detail15normal_iteratorINSA_7pointerIiNSA_11hip_rocprim5par_tENSA_11use_defaultESG_EEEEPS6_SJ_NS0_5tupleIJPiSJ_EEENSK_IJSJ_SJ_EEES6_PlJ7is_evenIiEEEE10hipError_tPvRmT3_T4_T5_T6_T7_T9_mT8_P12ihipStream_tbDpT10_ENKUlT_T0_E_clISt17integral_constantIbLb1EES1A_EEDaS15_S16_EUlS15_E_NS1_11comp_targetILNS1_3genE8ELNS1_11target_archE1030ELNS1_3gpuE2ELNS1_3repE0EEENS1_30default_config_static_selectorELNS0_4arch9wavefront6targetE1EEEvT1_.kd
    .uniform_work_group_size: 1
    .uses_dynamic_stack: false
    .vgpr_count:     0
    .vgpr_spill_count: 0
    .wavefront_size: 64
  - .agpr_count:     0
    .args:
      - .offset:         0
        .size:           120
        .value_kind:     by_value
    .group_segment_fixed_size: 0
    .kernarg_segment_align: 8
    .kernarg_segment_size: 120
    .language:       OpenCL C
    .language_version:
      - 2
      - 0
    .max_flat_workgroup_size: 256
    .name:           _ZN7rocprim17ROCPRIM_400000_NS6detail17trampoline_kernelINS0_14default_configENS1_25partition_config_selectorILNS1_17partition_subalgoE3EiNS0_10empty_typeEbEEZZNS1_14partition_implILS5_3ELb0ES3_jN6thrust23THRUST_200600_302600_NS6detail15normal_iteratorINSA_7pointerIiNSA_11hip_rocprim5par_tENSA_11use_defaultESG_EEEEPS6_SJ_NS0_5tupleIJPiSJ_EEENSK_IJSJ_SJ_EEES6_PlJ7is_evenIiEEEE10hipError_tPvRmT3_T4_T5_T6_T7_T9_mT8_P12ihipStream_tbDpT10_ENKUlT_T0_E_clISt17integral_constantIbLb1EES19_IbLb0EEEEDaS15_S16_EUlS15_E_NS1_11comp_targetILNS1_3genE0ELNS1_11target_archE4294967295ELNS1_3gpuE0ELNS1_3repE0EEENS1_30default_config_static_selectorELNS0_4arch9wavefront6targetE1EEEvT1_
    .private_segment_fixed_size: 0
    .sgpr_count:     4
    .sgpr_spill_count: 0
    .symbol:         _ZN7rocprim17ROCPRIM_400000_NS6detail17trampoline_kernelINS0_14default_configENS1_25partition_config_selectorILNS1_17partition_subalgoE3EiNS0_10empty_typeEbEEZZNS1_14partition_implILS5_3ELb0ES3_jN6thrust23THRUST_200600_302600_NS6detail15normal_iteratorINSA_7pointerIiNSA_11hip_rocprim5par_tENSA_11use_defaultESG_EEEEPS6_SJ_NS0_5tupleIJPiSJ_EEENSK_IJSJ_SJ_EEES6_PlJ7is_evenIiEEEE10hipError_tPvRmT3_T4_T5_T6_T7_T9_mT8_P12ihipStream_tbDpT10_ENKUlT_T0_E_clISt17integral_constantIbLb1EES19_IbLb0EEEEDaS15_S16_EUlS15_E_NS1_11comp_targetILNS1_3genE0ELNS1_11target_archE4294967295ELNS1_3gpuE0ELNS1_3repE0EEENS1_30default_config_static_selectorELNS0_4arch9wavefront6targetE1EEEvT1_.kd
    .uniform_work_group_size: 1
    .uses_dynamic_stack: false
    .vgpr_count:     0
    .vgpr_spill_count: 0
    .wavefront_size: 64
  - .agpr_count:     0
    .args:
      - .offset:         0
        .size:           120
        .value_kind:     by_value
    .group_segment_fixed_size: 0
    .kernarg_segment_align: 8
    .kernarg_segment_size: 120
    .language:       OpenCL C
    .language_version:
      - 2
      - 0
    .max_flat_workgroup_size: 512
    .name:           _ZN7rocprim17ROCPRIM_400000_NS6detail17trampoline_kernelINS0_14default_configENS1_25partition_config_selectorILNS1_17partition_subalgoE3EiNS0_10empty_typeEbEEZZNS1_14partition_implILS5_3ELb0ES3_jN6thrust23THRUST_200600_302600_NS6detail15normal_iteratorINSA_7pointerIiNSA_11hip_rocprim5par_tENSA_11use_defaultESG_EEEEPS6_SJ_NS0_5tupleIJPiSJ_EEENSK_IJSJ_SJ_EEES6_PlJ7is_evenIiEEEE10hipError_tPvRmT3_T4_T5_T6_T7_T9_mT8_P12ihipStream_tbDpT10_ENKUlT_T0_E_clISt17integral_constantIbLb1EES19_IbLb0EEEEDaS15_S16_EUlS15_E_NS1_11comp_targetILNS1_3genE5ELNS1_11target_archE942ELNS1_3gpuE9ELNS1_3repE0EEENS1_30default_config_static_selectorELNS0_4arch9wavefront6targetE1EEEvT1_
    .private_segment_fixed_size: 0
    .sgpr_count:     4
    .sgpr_spill_count: 0
    .symbol:         _ZN7rocprim17ROCPRIM_400000_NS6detail17trampoline_kernelINS0_14default_configENS1_25partition_config_selectorILNS1_17partition_subalgoE3EiNS0_10empty_typeEbEEZZNS1_14partition_implILS5_3ELb0ES3_jN6thrust23THRUST_200600_302600_NS6detail15normal_iteratorINSA_7pointerIiNSA_11hip_rocprim5par_tENSA_11use_defaultESG_EEEEPS6_SJ_NS0_5tupleIJPiSJ_EEENSK_IJSJ_SJ_EEES6_PlJ7is_evenIiEEEE10hipError_tPvRmT3_T4_T5_T6_T7_T9_mT8_P12ihipStream_tbDpT10_ENKUlT_T0_E_clISt17integral_constantIbLb1EES19_IbLb0EEEEDaS15_S16_EUlS15_E_NS1_11comp_targetILNS1_3genE5ELNS1_11target_archE942ELNS1_3gpuE9ELNS1_3repE0EEENS1_30default_config_static_selectorELNS0_4arch9wavefront6targetE1EEEvT1_.kd
    .uniform_work_group_size: 1
    .uses_dynamic_stack: false
    .vgpr_count:     0
    .vgpr_spill_count: 0
    .wavefront_size: 64
  - .agpr_count:     0
    .args:
      - .offset:         0
        .size:           120
        .value_kind:     by_value
    .group_segment_fixed_size: 10248
    .kernarg_segment_align: 8
    .kernarg_segment_size: 120
    .language:       OpenCL C
    .language_version:
      - 2
      - 0
    .max_flat_workgroup_size: 256
    .name:           _ZN7rocprim17ROCPRIM_400000_NS6detail17trampoline_kernelINS0_14default_configENS1_25partition_config_selectorILNS1_17partition_subalgoE3EiNS0_10empty_typeEbEEZZNS1_14partition_implILS5_3ELb0ES3_jN6thrust23THRUST_200600_302600_NS6detail15normal_iteratorINSA_7pointerIiNSA_11hip_rocprim5par_tENSA_11use_defaultESG_EEEEPS6_SJ_NS0_5tupleIJPiSJ_EEENSK_IJSJ_SJ_EEES6_PlJ7is_evenIiEEEE10hipError_tPvRmT3_T4_T5_T6_T7_T9_mT8_P12ihipStream_tbDpT10_ENKUlT_T0_E_clISt17integral_constantIbLb1EES19_IbLb0EEEEDaS15_S16_EUlS15_E_NS1_11comp_targetILNS1_3genE4ELNS1_11target_archE910ELNS1_3gpuE8ELNS1_3repE0EEENS1_30default_config_static_selectorELNS0_4arch9wavefront6targetE1EEEvT1_
    .private_segment_fixed_size: 0
    .sgpr_count:     50
    .sgpr_spill_count: 0
    .symbol:         _ZN7rocprim17ROCPRIM_400000_NS6detail17trampoline_kernelINS0_14default_configENS1_25partition_config_selectorILNS1_17partition_subalgoE3EiNS0_10empty_typeEbEEZZNS1_14partition_implILS5_3ELb0ES3_jN6thrust23THRUST_200600_302600_NS6detail15normal_iteratorINSA_7pointerIiNSA_11hip_rocprim5par_tENSA_11use_defaultESG_EEEEPS6_SJ_NS0_5tupleIJPiSJ_EEENSK_IJSJ_SJ_EEES6_PlJ7is_evenIiEEEE10hipError_tPvRmT3_T4_T5_T6_T7_T9_mT8_P12ihipStream_tbDpT10_ENKUlT_T0_E_clISt17integral_constantIbLb1EES19_IbLb0EEEEDaS15_S16_EUlS15_E_NS1_11comp_targetILNS1_3genE4ELNS1_11target_archE910ELNS1_3gpuE8ELNS1_3repE0EEENS1_30default_config_static_selectorELNS0_4arch9wavefront6targetE1EEEvT1_.kd
    .uniform_work_group_size: 1
    .uses_dynamic_stack: false
    .vgpr_count:     54
    .vgpr_spill_count: 0
    .wavefront_size: 64
  - .agpr_count:     0
    .args:
      - .offset:         0
        .size:           120
        .value_kind:     by_value
    .group_segment_fixed_size: 0
    .kernarg_segment_align: 8
    .kernarg_segment_size: 120
    .language:       OpenCL C
    .language_version:
      - 2
      - 0
    .max_flat_workgroup_size: 256
    .name:           _ZN7rocprim17ROCPRIM_400000_NS6detail17trampoline_kernelINS0_14default_configENS1_25partition_config_selectorILNS1_17partition_subalgoE3EiNS0_10empty_typeEbEEZZNS1_14partition_implILS5_3ELb0ES3_jN6thrust23THRUST_200600_302600_NS6detail15normal_iteratorINSA_7pointerIiNSA_11hip_rocprim5par_tENSA_11use_defaultESG_EEEEPS6_SJ_NS0_5tupleIJPiSJ_EEENSK_IJSJ_SJ_EEES6_PlJ7is_evenIiEEEE10hipError_tPvRmT3_T4_T5_T6_T7_T9_mT8_P12ihipStream_tbDpT10_ENKUlT_T0_E_clISt17integral_constantIbLb1EES19_IbLb0EEEEDaS15_S16_EUlS15_E_NS1_11comp_targetILNS1_3genE3ELNS1_11target_archE908ELNS1_3gpuE7ELNS1_3repE0EEENS1_30default_config_static_selectorELNS0_4arch9wavefront6targetE1EEEvT1_
    .private_segment_fixed_size: 0
    .sgpr_count:     4
    .sgpr_spill_count: 0
    .symbol:         _ZN7rocprim17ROCPRIM_400000_NS6detail17trampoline_kernelINS0_14default_configENS1_25partition_config_selectorILNS1_17partition_subalgoE3EiNS0_10empty_typeEbEEZZNS1_14partition_implILS5_3ELb0ES3_jN6thrust23THRUST_200600_302600_NS6detail15normal_iteratorINSA_7pointerIiNSA_11hip_rocprim5par_tENSA_11use_defaultESG_EEEEPS6_SJ_NS0_5tupleIJPiSJ_EEENSK_IJSJ_SJ_EEES6_PlJ7is_evenIiEEEE10hipError_tPvRmT3_T4_T5_T6_T7_T9_mT8_P12ihipStream_tbDpT10_ENKUlT_T0_E_clISt17integral_constantIbLb1EES19_IbLb0EEEEDaS15_S16_EUlS15_E_NS1_11comp_targetILNS1_3genE3ELNS1_11target_archE908ELNS1_3gpuE7ELNS1_3repE0EEENS1_30default_config_static_selectorELNS0_4arch9wavefront6targetE1EEEvT1_.kd
    .uniform_work_group_size: 1
    .uses_dynamic_stack: false
    .vgpr_count:     0
    .vgpr_spill_count: 0
    .wavefront_size: 64
  - .agpr_count:     0
    .args:
      - .offset:         0
        .size:           120
        .value_kind:     by_value
    .group_segment_fixed_size: 0
    .kernarg_segment_align: 8
    .kernarg_segment_size: 120
    .language:       OpenCL C
    .language_version:
      - 2
      - 0
    .max_flat_workgroup_size: 192
    .name:           _ZN7rocprim17ROCPRIM_400000_NS6detail17trampoline_kernelINS0_14default_configENS1_25partition_config_selectorILNS1_17partition_subalgoE3EiNS0_10empty_typeEbEEZZNS1_14partition_implILS5_3ELb0ES3_jN6thrust23THRUST_200600_302600_NS6detail15normal_iteratorINSA_7pointerIiNSA_11hip_rocprim5par_tENSA_11use_defaultESG_EEEEPS6_SJ_NS0_5tupleIJPiSJ_EEENSK_IJSJ_SJ_EEES6_PlJ7is_evenIiEEEE10hipError_tPvRmT3_T4_T5_T6_T7_T9_mT8_P12ihipStream_tbDpT10_ENKUlT_T0_E_clISt17integral_constantIbLb1EES19_IbLb0EEEEDaS15_S16_EUlS15_E_NS1_11comp_targetILNS1_3genE2ELNS1_11target_archE906ELNS1_3gpuE6ELNS1_3repE0EEENS1_30default_config_static_selectorELNS0_4arch9wavefront6targetE1EEEvT1_
    .private_segment_fixed_size: 0
    .sgpr_count:     4
    .sgpr_spill_count: 0
    .symbol:         _ZN7rocprim17ROCPRIM_400000_NS6detail17trampoline_kernelINS0_14default_configENS1_25partition_config_selectorILNS1_17partition_subalgoE3EiNS0_10empty_typeEbEEZZNS1_14partition_implILS5_3ELb0ES3_jN6thrust23THRUST_200600_302600_NS6detail15normal_iteratorINSA_7pointerIiNSA_11hip_rocprim5par_tENSA_11use_defaultESG_EEEEPS6_SJ_NS0_5tupleIJPiSJ_EEENSK_IJSJ_SJ_EEES6_PlJ7is_evenIiEEEE10hipError_tPvRmT3_T4_T5_T6_T7_T9_mT8_P12ihipStream_tbDpT10_ENKUlT_T0_E_clISt17integral_constantIbLb1EES19_IbLb0EEEEDaS15_S16_EUlS15_E_NS1_11comp_targetILNS1_3genE2ELNS1_11target_archE906ELNS1_3gpuE6ELNS1_3repE0EEENS1_30default_config_static_selectorELNS0_4arch9wavefront6targetE1EEEvT1_.kd
    .uniform_work_group_size: 1
    .uses_dynamic_stack: false
    .vgpr_count:     0
    .vgpr_spill_count: 0
    .wavefront_size: 64
  - .agpr_count:     0
    .args:
      - .offset:         0
        .size:           120
        .value_kind:     by_value
    .group_segment_fixed_size: 0
    .kernarg_segment_align: 8
    .kernarg_segment_size: 120
    .language:       OpenCL C
    .language_version:
      - 2
      - 0
    .max_flat_workgroup_size: 384
    .name:           _ZN7rocprim17ROCPRIM_400000_NS6detail17trampoline_kernelINS0_14default_configENS1_25partition_config_selectorILNS1_17partition_subalgoE3EiNS0_10empty_typeEbEEZZNS1_14partition_implILS5_3ELb0ES3_jN6thrust23THRUST_200600_302600_NS6detail15normal_iteratorINSA_7pointerIiNSA_11hip_rocprim5par_tENSA_11use_defaultESG_EEEEPS6_SJ_NS0_5tupleIJPiSJ_EEENSK_IJSJ_SJ_EEES6_PlJ7is_evenIiEEEE10hipError_tPvRmT3_T4_T5_T6_T7_T9_mT8_P12ihipStream_tbDpT10_ENKUlT_T0_E_clISt17integral_constantIbLb1EES19_IbLb0EEEEDaS15_S16_EUlS15_E_NS1_11comp_targetILNS1_3genE10ELNS1_11target_archE1200ELNS1_3gpuE4ELNS1_3repE0EEENS1_30default_config_static_selectorELNS0_4arch9wavefront6targetE1EEEvT1_
    .private_segment_fixed_size: 0
    .sgpr_count:     4
    .sgpr_spill_count: 0
    .symbol:         _ZN7rocprim17ROCPRIM_400000_NS6detail17trampoline_kernelINS0_14default_configENS1_25partition_config_selectorILNS1_17partition_subalgoE3EiNS0_10empty_typeEbEEZZNS1_14partition_implILS5_3ELb0ES3_jN6thrust23THRUST_200600_302600_NS6detail15normal_iteratorINSA_7pointerIiNSA_11hip_rocprim5par_tENSA_11use_defaultESG_EEEEPS6_SJ_NS0_5tupleIJPiSJ_EEENSK_IJSJ_SJ_EEES6_PlJ7is_evenIiEEEE10hipError_tPvRmT3_T4_T5_T6_T7_T9_mT8_P12ihipStream_tbDpT10_ENKUlT_T0_E_clISt17integral_constantIbLb1EES19_IbLb0EEEEDaS15_S16_EUlS15_E_NS1_11comp_targetILNS1_3genE10ELNS1_11target_archE1200ELNS1_3gpuE4ELNS1_3repE0EEENS1_30default_config_static_selectorELNS0_4arch9wavefront6targetE1EEEvT1_.kd
    .uniform_work_group_size: 1
    .uses_dynamic_stack: false
    .vgpr_count:     0
    .vgpr_spill_count: 0
    .wavefront_size: 64
  - .agpr_count:     0
    .args:
      - .offset:         0
        .size:           120
        .value_kind:     by_value
    .group_segment_fixed_size: 0
    .kernarg_segment_align: 8
    .kernarg_segment_size: 120
    .language:       OpenCL C
    .language_version:
      - 2
      - 0
    .max_flat_workgroup_size: 384
    .name:           _ZN7rocprim17ROCPRIM_400000_NS6detail17trampoline_kernelINS0_14default_configENS1_25partition_config_selectorILNS1_17partition_subalgoE3EiNS0_10empty_typeEbEEZZNS1_14partition_implILS5_3ELb0ES3_jN6thrust23THRUST_200600_302600_NS6detail15normal_iteratorINSA_7pointerIiNSA_11hip_rocprim5par_tENSA_11use_defaultESG_EEEEPS6_SJ_NS0_5tupleIJPiSJ_EEENSK_IJSJ_SJ_EEES6_PlJ7is_evenIiEEEE10hipError_tPvRmT3_T4_T5_T6_T7_T9_mT8_P12ihipStream_tbDpT10_ENKUlT_T0_E_clISt17integral_constantIbLb1EES19_IbLb0EEEEDaS15_S16_EUlS15_E_NS1_11comp_targetILNS1_3genE9ELNS1_11target_archE1100ELNS1_3gpuE3ELNS1_3repE0EEENS1_30default_config_static_selectorELNS0_4arch9wavefront6targetE1EEEvT1_
    .private_segment_fixed_size: 0
    .sgpr_count:     4
    .sgpr_spill_count: 0
    .symbol:         _ZN7rocprim17ROCPRIM_400000_NS6detail17trampoline_kernelINS0_14default_configENS1_25partition_config_selectorILNS1_17partition_subalgoE3EiNS0_10empty_typeEbEEZZNS1_14partition_implILS5_3ELb0ES3_jN6thrust23THRUST_200600_302600_NS6detail15normal_iteratorINSA_7pointerIiNSA_11hip_rocprim5par_tENSA_11use_defaultESG_EEEEPS6_SJ_NS0_5tupleIJPiSJ_EEENSK_IJSJ_SJ_EEES6_PlJ7is_evenIiEEEE10hipError_tPvRmT3_T4_T5_T6_T7_T9_mT8_P12ihipStream_tbDpT10_ENKUlT_T0_E_clISt17integral_constantIbLb1EES19_IbLb0EEEEDaS15_S16_EUlS15_E_NS1_11comp_targetILNS1_3genE9ELNS1_11target_archE1100ELNS1_3gpuE3ELNS1_3repE0EEENS1_30default_config_static_selectorELNS0_4arch9wavefront6targetE1EEEvT1_.kd
    .uniform_work_group_size: 1
    .uses_dynamic_stack: false
    .vgpr_count:     0
    .vgpr_spill_count: 0
    .wavefront_size: 64
  - .agpr_count:     0
    .args:
      - .offset:         0
        .size:           120
        .value_kind:     by_value
    .group_segment_fixed_size: 0
    .kernarg_segment_align: 8
    .kernarg_segment_size: 120
    .language:       OpenCL C
    .language_version:
      - 2
      - 0
    .max_flat_workgroup_size: 512
    .name:           _ZN7rocprim17ROCPRIM_400000_NS6detail17trampoline_kernelINS0_14default_configENS1_25partition_config_selectorILNS1_17partition_subalgoE3EiNS0_10empty_typeEbEEZZNS1_14partition_implILS5_3ELb0ES3_jN6thrust23THRUST_200600_302600_NS6detail15normal_iteratorINSA_7pointerIiNSA_11hip_rocprim5par_tENSA_11use_defaultESG_EEEEPS6_SJ_NS0_5tupleIJPiSJ_EEENSK_IJSJ_SJ_EEES6_PlJ7is_evenIiEEEE10hipError_tPvRmT3_T4_T5_T6_T7_T9_mT8_P12ihipStream_tbDpT10_ENKUlT_T0_E_clISt17integral_constantIbLb1EES19_IbLb0EEEEDaS15_S16_EUlS15_E_NS1_11comp_targetILNS1_3genE8ELNS1_11target_archE1030ELNS1_3gpuE2ELNS1_3repE0EEENS1_30default_config_static_selectorELNS0_4arch9wavefront6targetE1EEEvT1_
    .private_segment_fixed_size: 0
    .sgpr_count:     4
    .sgpr_spill_count: 0
    .symbol:         _ZN7rocprim17ROCPRIM_400000_NS6detail17trampoline_kernelINS0_14default_configENS1_25partition_config_selectorILNS1_17partition_subalgoE3EiNS0_10empty_typeEbEEZZNS1_14partition_implILS5_3ELb0ES3_jN6thrust23THRUST_200600_302600_NS6detail15normal_iteratorINSA_7pointerIiNSA_11hip_rocprim5par_tENSA_11use_defaultESG_EEEEPS6_SJ_NS0_5tupleIJPiSJ_EEENSK_IJSJ_SJ_EEES6_PlJ7is_evenIiEEEE10hipError_tPvRmT3_T4_T5_T6_T7_T9_mT8_P12ihipStream_tbDpT10_ENKUlT_T0_E_clISt17integral_constantIbLb1EES19_IbLb0EEEEDaS15_S16_EUlS15_E_NS1_11comp_targetILNS1_3genE8ELNS1_11target_archE1030ELNS1_3gpuE2ELNS1_3repE0EEENS1_30default_config_static_selectorELNS0_4arch9wavefront6targetE1EEEvT1_.kd
    .uniform_work_group_size: 1
    .uses_dynamic_stack: false
    .vgpr_count:     0
    .vgpr_spill_count: 0
    .wavefront_size: 64
  - .agpr_count:     0
    .args:
      - .offset:         0
        .size:           136
        .value_kind:     by_value
    .group_segment_fixed_size: 0
    .kernarg_segment_align: 8
    .kernarg_segment_size: 136
    .language:       OpenCL C
    .language_version:
      - 2
      - 0
    .max_flat_workgroup_size: 256
    .name:           _ZN7rocprim17ROCPRIM_400000_NS6detail17trampoline_kernelINS0_14default_configENS1_25partition_config_selectorILNS1_17partition_subalgoE3EiNS0_10empty_typeEbEEZZNS1_14partition_implILS5_3ELb0ES3_jN6thrust23THRUST_200600_302600_NS6detail15normal_iteratorINSA_7pointerIiNSA_11hip_rocprim5par_tENSA_11use_defaultESG_EEEEPS6_SJ_NS0_5tupleIJPiSJ_EEENSK_IJSJ_SJ_EEES6_PlJ7is_evenIiEEEE10hipError_tPvRmT3_T4_T5_T6_T7_T9_mT8_P12ihipStream_tbDpT10_ENKUlT_T0_E_clISt17integral_constantIbLb0EES19_IbLb1EEEEDaS15_S16_EUlS15_E_NS1_11comp_targetILNS1_3genE0ELNS1_11target_archE4294967295ELNS1_3gpuE0ELNS1_3repE0EEENS1_30default_config_static_selectorELNS0_4arch9wavefront6targetE1EEEvT1_
    .private_segment_fixed_size: 0
    .sgpr_count:     4
    .sgpr_spill_count: 0
    .symbol:         _ZN7rocprim17ROCPRIM_400000_NS6detail17trampoline_kernelINS0_14default_configENS1_25partition_config_selectorILNS1_17partition_subalgoE3EiNS0_10empty_typeEbEEZZNS1_14partition_implILS5_3ELb0ES3_jN6thrust23THRUST_200600_302600_NS6detail15normal_iteratorINSA_7pointerIiNSA_11hip_rocprim5par_tENSA_11use_defaultESG_EEEEPS6_SJ_NS0_5tupleIJPiSJ_EEENSK_IJSJ_SJ_EEES6_PlJ7is_evenIiEEEE10hipError_tPvRmT3_T4_T5_T6_T7_T9_mT8_P12ihipStream_tbDpT10_ENKUlT_T0_E_clISt17integral_constantIbLb0EES19_IbLb1EEEEDaS15_S16_EUlS15_E_NS1_11comp_targetILNS1_3genE0ELNS1_11target_archE4294967295ELNS1_3gpuE0ELNS1_3repE0EEENS1_30default_config_static_selectorELNS0_4arch9wavefront6targetE1EEEvT1_.kd
    .uniform_work_group_size: 1
    .uses_dynamic_stack: false
    .vgpr_count:     0
    .vgpr_spill_count: 0
    .wavefront_size: 64
  - .agpr_count:     0
    .args:
      - .offset:         0
        .size:           136
        .value_kind:     by_value
    .group_segment_fixed_size: 0
    .kernarg_segment_align: 8
    .kernarg_segment_size: 136
    .language:       OpenCL C
    .language_version:
      - 2
      - 0
    .max_flat_workgroup_size: 512
    .name:           _ZN7rocprim17ROCPRIM_400000_NS6detail17trampoline_kernelINS0_14default_configENS1_25partition_config_selectorILNS1_17partition_subalgoE3EiNS0_10empty_typeEbEEZZNS1_14partition_implILS5_3ELb0ES3_jN6thrust23THRUST_200600_302600_NS6detail15normal_iteratorINSA_7pointerIiNSA_11hip_rocprim5par_tENSA_11use_defaultESG_EEEEPS6_SJ_NS0_5tupleIJPiSJ_EEENSK_IJSJ_SJ_EEES6_PlJ7is_evenIiEEEE10hipError_tPvRmT3_T4_T5_T6_T7_T9_mT8_P12ihipStream_tbDpT10_ENKUlT_T0_E_clISt17integral_constantIbLb0EES19_IbLb1EEEEDaS15_S16_EUlS15_E_NS1_11comp_targetILNS1_3genE5ELNS1_11target_archE942ELNS1_3gpuE9ELNS1_3repE0EEENS1_30default_config_static_selectorELNS0_4arch9wavefront6targetE1EEEvT1_
    .private_segment_fixed_size: 0
    .sgpr_count:     4
    .sgpr_spill_count: 0
    .symbol:         _ZN7rocprim17ROCPRIM_400000_NS6detail17trampoline_kernelINS0_14default_configENS1_25partition_config_selectorILNS1_17partition_subalgoE3EiNS0_10empty_typeEbEEZZNS1_14partition_implILS5_3ELb0ES3_jN6thrust23THRUST_200600_302600_NS6detail15normal_iteratorINSA_7pointerIiNSA_11hip_rocprim5par_tENSA_11use_defaultESG_EEEEPS6_SJ_NS0_5tupleIJPiSJ_EEENSK_IJSJ_SJ_EEES6_PlJ7is_evenIiEEEE10hipError_tPvRmT3_T4_T5_T6_T7_T9_mT8_P12ihipStream_tbDpT10_ENKUlT_T0_E_clISt17integral_constantIbLb0EES19_IbLb1EEEEDaS15_S16_EUlS15_E_NS1_11comp_targetILNS1_3genE5ELNS1_11target_archE942ELNS1_3gpuE9ELNS1_3repE0EEENS1_30default_config_static_selectorELNS0_4arch9wavefront6targetE1EEEvT1_.kd
    .uniform_work_group_size: 1
    .uses_dynamic_stack: false
    .vgpr_count:     0
    .vgpr_spill_count: 0
    .wavefront_size: 64
  - .agpr_count:     0
    .args:
      - .offset:         0
        .size:           136
        .value_kind:     by_value
    .group_segment_fixed_size: 10248
    .kernarg_segment_align: 8
    .kernarg_segment_size: 136
    .language:       OpenCL C
    .language_version:
      - 2
      - 0
    .max_flat_workgroup_size: 256
    .name:           _ZN7rocprim17ROCPRIM_400000_NS6detail17trampoline_kernelINS0_14default_configENS1_25partition_config_selectorILNS1_17partition_subalgoE3EiNS0_10empty_typeEbEEZZNS1_14partition_implILS5_3ELb0ES3_jN6thrust23THRUST_200600_302600_NS6detail15normal_iteratorINSA_7pointerIiNSA_11hip_rocprim5par_tENSA_11use_defaultESG_EEEEPS6_SJ_NS0_5tupleIJPiSJ_EEENSK_IJSJ_SJ_EEES6_PlJ7is_evenIiEEEE10hipError_tPvRmT3_T4_T5_T6_T7_T9_mT8_P12ihipStream_tbDpT10_ENKUlT_T0_E_clISt17integral_constantIbLb0EES19_IbLb1EEEEDaS15_S16_EUlS15_E_NS1_11comp_targetILNS1_3genE4ELNS1_11target_archE910ELNS1_3gpuE8ELNS1_3repE0EEENS1_30default_config_static_selectorELNS0_4arch9wavefront6targetE1EEEvT1_
    .private_segment_fixed_size: 0
    .sgpr_count:     48
    .sgpr_spill_count: 0
    .symbol:         _ZN7rocprim17ROCPRIM_400000_NS6detail17trampoline_kernelINS0_14default_configENS1_25partition_config_selectorILNS1_17partition_subalgoE3EiNS0_10empty_typeEbEEZZNS1_14partition_implILS5_3ELb0ES3_jN6thrust23THRUST_200600_302600_NS6detail15normal_iteratorINSA_7pointerIiNSA_11hip_rocprim5par_tENSA_11use_defaultESG_EEEEPS6_SJ_NS0_5tupleIJPiSJ_EEENSK_IJSJ_SJ_EEES6_PlJ7is_evenIiEEEE10hipError_tPvRmT3_T4_T5_T6_T7_T9_mT8_P12ihipStream_tbDpT10_ENKUlT_T0_E_clISt17integral_constantIbLb0EES19_IbLb1EEEEDaS15_S16_EUlS15_E_NS1_11comp_targetILNS1_3genE4ELNS1_11target_archE910ELNS1_3gpuE8ELNS1_3repE0EEENS1_30default_config_static_selectorELNS0_4arch9wavefront6targetE1EEEvT1_.kd
    .uniform_work_group_size: 1
    .uses_dynamic_stack: false
    .vgpr_count:     57
    .vgpr_spill_count: 0
    .wavefront_size: 64
  - .agpr_count:     0
    .args:
      - .offset:         0
        .size:           136
        .value_kind:     by_value
    .group_segment_fixed_size: 0
    .kernarg_segment_align: 8
    .kernarg_segment_size: 136
    .language:       OpenCL C
    .language_version:
      - 2
      - 0
    .max_flat_workgroup_size: 256
    .name:           _ZN7rocprim17ROCPRIM_400000_NS6detail17trampoline_kernelINS0_14default_configENS1_25partition_config_selectorILNS1_17partition_subalgoE3EiNS0_10empty_typeEbEEZZNS1_14partition_implILS5_3ELb0ES3_jN6thrust23THRUST_200600_302600_NS6detail15normal_iteratorINSA_7pointerIiNSA_11hip_rocprim5par_tENSA_11use_defaultESG_EEEEPS6_SJ_NS0_5tupleIJPiSJ_EEENSK_IJSJ_SJ_EEES6_PlJ7is_evenIiEEEE10hipError_tPvRmT3_T4_T5_T6_T7_T9_mT8_P12ihipStream_tbDpT10_ENKUlT_T0_E_clISt17integral_constantIbLb0EES19_IbLb1EEEEDaS15_S16_EUlS15_E_NS1_11comp_targetILNS1_3genE3ELNS1_11target_archE908ELNS1_3gpuE7ELNS1_3repE0EEENS1_30default_config_static_selectorELNS0_4arch9wavefront6targetE1EEEvT1_
    .private_segment_fixed_size: 0
    .sgpr_count:     4
    .sgpr_spill_count: 0
    .symbol:         _ZN7rocprim17ROCPRIM_400000_NS6detail17trampoline_kernelINS0_14default_configENS1_25partition_config_selectorILNS1_17partition_subalgoE3EiNS0_10empty_typeEbEEZZNS1_14partition_implILS5_3ELb0ES3_jN6thrust23THRUST_200600_302600_NS6detail15normal_iteratorINSA_7pointerIiNSA_11hip_rocprim5par_tENSA_11use_defaultESG_EEEEPS6_SJ_NS0_5tupleIJPiSJ_EEENSK_IJSJ_SJ_EEES6_PlJ7is_evenIiEEEE10hipError_tPvRmT3_T4_T5_T6_T7_T9_mT8_P12ihipStream_tbDpT10_ENKUlT_T0_E_clISt17integral_constantIbLb0EES19_IbLb1EEEEDaS15_S16_EUlS15_E_NS1_11comp_targetILNS1_3genE3ELNS1_11target_archE908ELNS1_3gpuE7ELNS1_3repE0EEENS1_30default_config_static_selectorELNS0_4arch9wavefront6targetE1EEEvT1_.kd
    .uniform_work_group_size: 1
    .uses_dynamic_stack: false
    .vgpr_count:     0
    .vgpr_spill_count: 0
    .wavefront_size: 64
  - .agpr_count:     0
    .args:
      - .offset:         0
        .size:           136
        .value_kind:     by_value
    .group_segment_fixed_size: 0
    .kernarg_segment_align: 8
    .kernarg_segment_size: 136
    .language:       OpenCL C
    .language_version:
      - 2
      - 0
    .max_flat_workgroup_size: 192
    .name:           _ZN7rocprim17ROCPRIM_400000_NS6detail17trampoline_kernelINS0_14default_configENS1_25partition_config_selectorILNS1_17partition_subalgoE3EiNS0_10empty_typeEbEEZZNS1_14partition_implILS5_3ELb0ES3_jN6thrust23THRUST_200600_302600_NS6detail15normal_iteratorINSA_7pointerIiNSA_11hip_rocprim5par_tENSA_11use_defaultESG_EEEEPS6_SJ_NS0_5tupleIJPiSJ_EEENSK_IJSJ_SJ_EEES6_PlJ7is_evenIiEEEE10hipError_tPvRmT3_T4_T5_T6_T7_T9_mT8_P12ihipStream_tbDpT10_ENKUlT_T0_E_clISt17integral_constantIbLb0EES19_IbLb1EEEEDaS15_S16_EUlS15_E_NS1_11comp_targetILNS1_3genE2ELNS1_11target_archE906ELNS1_3gpuE6ELNS1_3repE0EEENS1_30default_config_static_selectorELNS0_4arch9wavefront6targetE1EEEvT1_
    .private_segment_fixed_size: 0
    .sgpr_count:     4
    .sgpr_spill_count: 0
    .symbol:         _ZN7rocprim17ROCPRIM_400000_NS6detail17trampoline_kernelINS0_14default_configENS1_25partition_config_selectorILNS1_17partition_subalgoE3EiNS0_10empty_typeEbEEZZNS1_14partition_implILS5_3ELb0ES3_jN6thrust23THRUST_200600_302600_NS6detail15normal_iteratorINSA_7pointerIiNSA_11hip_rocprim5par_tENSA_11use_defaultESG_EEEEPS6_SJ_NS0_5tupleIJPiSJ_EEENSK_IJSJ_SJ_EEES6_PlJ7is_evenIiEEEE10hipError_tPvRmT3_T4_T5_T6_T7_T9_mT8_P12ihipStream_tbDpT10_ENKUlT_T0_E_clISt17integral_constantIbLb0EES19_IbLb1EEEEDaS15_S16_EUlS15_E_NS1_11comp_targetILNS1_3genE2ELNS1_11target_archE906ELNS1_3gpuE6ELNS1_3repE0EEENS1_30default_config_static_selectorELNS0_4arch9wavefront6targetE1EEEvT1_.kd
    .uniform_work_group_size: 1
    .uses_dynamic_stack: false
    .vgpr_count:     0
    .vgpr_spill_count: 0
    .wavefront_size: 64
  - .agpr_count:     0
    .args:
      - .offset:         0
        .size:           136
        .value_kind:     by_value
    .group_segment_fixed_size: 0
    .kernarg_segment_align: 8
    .kernarg_segment_size: 136
    .language:       OpenCL C
    .language_version:
      - 2
      - 0
    .max_flat_workgroup_size: 384
    .name:           _ZN7rocprim17ROCPRIM_400000_NS6detail17trampoline_kernelINS0_14default_configENS1_25partition_config_selectorILNS1_17partition_subalgoE3EiNS0_10empty_typeEbEEZZNS1_14partition_implILS5_3ELb0ES3_jN6thrust23THRUST_200600_302600_NS6detail15normal_iteratorINSA_7pointerIiNSA_11hip_rocprim5par_tENSA_11use_defaultESG_EEEEPS6_SJ_NS0_5tupleIJPiSJ_EEENSK_IJSJ_SJ_EEES6_PlJ7is_evenIiEEEE10hipError_tPvRmT3_T4_T5_T6_T7_T9_mT8_P12ihipStream_tbDpT10_ENKUlT_T0_E_clISt17integral_constantIbLb0EES19_IbLb1EEEEDaS15_S16_EUlS15_E_NS1_11comp_targetILNS1_3genE10ELNS1_11target_archE1200ELNS1_3gpuE4ELNS1_3repE0EEENS1_30default_config_static_selectorELNS0_4arch9wavefront6targetE1EEEvT1_
    .private_segment_fixed_size: 0
    .sgpr_count:     4
    .sgpr_spill_count: 0
    .symbol:         _ZN7rocprim17ROCPRIM_400000_NS6detail17trampoline_kernelINS0_14default_configENS1_25partition_config_selectorILNS1_17partition_subalgoE3EiNS0_10empty_typeEbEEZZNS1_14partition_implILS5_3ELb0ES3_jN6thrust23THRUST_200600_302600_NS6detail15normal_iteratorINSA_7pointerIiNSA_11hip_rocprim5par_tENSA_11use_defaultESG_EEEEPS6_SJ_NS0_5tupleIJPiSJ_EEENSK_IJSJ_SJ_EEES6_PlJ7is_evenIiEEEE10hipError_tPvRmT3_T4_T5_T6_T7_T9_mT8_P12ihipStream_tbDpT10_ENKUlT_T0_E_clISt17integral_constantIbLb0EES19_IbLb1EEEEDaS15_S16_EUlS15_E_NS1_11comp_targetILNS1_3genE10ELNS1_11target_archE1200ELNS1_3gpuE4ELNS1_3repE0EEENS1_30default_config_static_selectorELNS0_4arch9wavefront6targetE1EEEvT1_.kd
    .uniform_work_group_size: 1
    .uses_dynamic_stack: false
    .vgpr_count:     0
    .vgpr_spill_count: 0
    .wavefront_size: 64
  - .agpr_count:     0
    .args:
      - .offset:         0
        .size:           136
        .value_kind:     by_value
    .group_segment_fixed_size: 0
    .kernarg_segment_align: 8
    .kernarg_segment_size: 136
    .language:       OpenCL C
    .language_version:
      - 2
      - 0
    .max_flat_workgroup_size: 384
    .name:           _ZN7rocprim17ROCPRIM_400000_NS6detail17trampoline_kernelINS0_14default_configENS1_25partition_config_selectorILNS1_17partition_subalgoE3EiNS0_10empty_typeEbEEZZNS1_14partition_implILS5_3ELb0ES3_jN6thrust23THRUST_200600_302600_NS6detail15normal_iteratorINSA_7pointerIiNSA_11hip_rocprim5par_tENSA_11use_defaultESG_EEEEPS6_SJ_NS0_5tupleIJPiSJ_EEENSK_IJSJ_SJ_EEES6_PlJ7is_evenIiEEEE10hipError_tPvRmT3_T4_T5_T6_T7_T9_mT8_P12ihipStream_tbDpT10_ENKUlT_T0_E_clISt17integral_constantIbLb0EES19_IbLb1EEEEDaS15_S16_EUlS15_E_NS1_11comp_targetILNS1_3genE9ELNS1_11target_archE1100ELNS1_3gpuE3ELNS1_3repE0EEENS1_30default_config_static_selectorELNS0_4arch9wavefront6targetE1EEEvT1_
    .private_segment_fixed_size: 0
    .sgpr_count:     4
    .sgpr_spill_count: 0
    .symbol:         _ZN7rocprim17ROCPRIM_400000_NS6detail17trampoline_kernelINS0_14default_configENS1_25partition_config_selectorILNS1_17partition_subalgoE3EiNS0_10empty_typeEbEEZZNS1_14partition_implILS5_3ELb0ES3_jN6thrust23THRUST_200600_302600_NS6detail15normal_iteratorINSA_7pointerIiNSA_11hip_rocprim5par_tENSA_11use_defaultESG_EEEEPS6_SJ_NS0_5tupleIJPiSJ_EEENSK_IJSJ_SJ_EEES6_PlJ7is_evenIiEEEE10hipError_tPvRmT3_T4_T5_T6_T7_T9_mT8_P12ihipStream_tbDpT10_ENKUlT_T0_E_clISt17integral_constantIbLb0EES19_IbLb1EEEEDaS15_S16_EUlS15_E_NS1_11comp_targetILNS1_3genE9ELNS1_11target_archE1100ELNS1_3gpuE3ELNS1_3repE0EEENS1_30default_config_static_selectorELNS0_4arch9wavefront6targetE1EEEvT1_.kd
    .uniform_work_group_size: 1
    .uses_dynamic_stack: false
    .vgpr_count:     0
    .vgpr_spill_count: 0
    .wavefront_size: 64
  - .agpr_count:     0
    .args:
      - .offset:         0
        .size:           136
        .value_kind:     by_value
    .group_segment_fixed_size: 0
    .kernarg_segment_align: 8
    .kernarg_segment_size: 136
    .language:       OpenCL C
    .language_version:
      - 2
      - 0
    .max_flat_workgroup_size: 512
    .name:           _ZN7rocprim17ROCPRIM_400000_NS6detail17trampoline_kernelINS0_14default_configENS1_25partition_config_selectorILNS1_17partition_subalgoE3EiNS0_10empty_typeEbEEZZNS1_14partition_implILS5_3ELb0ES3_jN6thrust23THRUST_200600_302600_NS6detail15normal_iteratorINSA_7pointerIiNSA_11hip_rocprim5par_tENSA_11use_defaultESG_EEEEPS6_SJ_NS0_5tupleIJPiSJ_EEENSK_IJSJ_SJ_EEES6_PlJ7is_evenIiEEEE10hipError_tPvRmT3_T4_T5_T6_T7_T9_mT8_P12ihipStream_tbDpT10_ENKUlT_T0_E_clISt17integral_constantIbLb0EES19_IbLb1EEEEDaS15_S16_EUlS15_E_NS1_11comp_targetILNS1_3genE8ELNS1_11target_archE1030ELNS1_3gpuE2ELNS1_3repE0EEENS1_30default_config_static_selectorELNS0_4arch9wavefront6targetE1EEEvT1_
    .private_segment_fixed_size: 0
    .sgpr_count:     4
    .sgpr_spill_count: 0
    .symbol:         _ZN7rocprim17ROCPRIM_400000_NS6detail17trampoline_kernelINS0_14default_configENS1_25partition_config_selectorILNS1_17partition_subalgoE3EiNS0_10empty_typeEbEEZZNS1_14partition_implILS5_3ELb0ES3_jN6thrust23THRUST_200600_302600_NS6detail15normal_iteratorINSA_7pointerIiNSA_11hip_rocprim5par_tENSA_11use_defaultESG_EEEEPS6_SJ_NS0_5tupleIJPiSJ_EEENSK_IJSJ_SJ_EEES6_PlJ7is_evenIiEEEE10hipError_tPvRmT3_T4_T5_T6_T7_T9_mT8_P12ihipStream_tbDpT10_ENKUlT_T0_E_clISt17integral_constantIbLb0EES19_IbLb1EEEEDaS15_S16_EUlS15_E_NS1_11comp_targetILNS1_3genE8ELNS1_11target_archE1030ELNS1_3gpuE2ELNS1_3repE0EEENS1_30default_config_static_selectorELNS0_4arch9wavefront6targetE1EEEvT1_.kd
    .uniform_work_group_size: 1
    .uses_dynamic_stack: false
    .vgpr_count:     0
    .vgpr_spill_count: 0
    .wavefront_size: 64
  - .agpr_count:     0
    .args:
      - .offset:         0
        .size:           120
        .value_kind:     by_value
    .group_segment_fixed_size: 0
    .kernarg_segment_align: 8
    .kernarg_segment_size: 120
    .language:       OpenCL C
    .language_version:
      - 2
      - 0
    .max_flat_workgroup_size: 256
    .name:           _ZN7rocprim17ROCPRIM_400000_NS6detail17trampoline_kernelINS0_14default_configENS1_25partition_config_selectorILNS1_17partition_subalgoE0EiNS0_10empty_typeEbEEZZNS1_14partition_implILS5_0ELb0ES3_jN6thrust23THRUST_200600_302600_NS10device_ptrIiEEPS6_SD_NS0_5tupleIJSC_SC_EEENSE_IJSD_SD_EEES6_PlJ7is_evenIiEEEE10hipError_tPvRmT3_T4_T5_T6_T7_T9_mT8_P12ihipStream_tbDpT10_ENKUlT_T0_E_clISt17integral_constantIbLb0EES13_EEDaSY_SZ_EUlSY_E_NS1_11comp_targetILNS1_3genE0ELNS1_11target_archE4294967295ELNS1_3gpuE0ELNS1_3repE0EEENS1_30default_config_static_selectorELNS0_4arch9wavefront6targetE1EEEvT1_
    .private_segment_fixed_size: 0
    .sgpr_count:     4
    .sgpr_spill_count: 0
    .symbol:         _ZN7rocprim17ROCPRIM_400000_NS6detail17trampoline_kernelINS0_14default_configENS1_25partition_config_selectorILNS1_17partition_subalgoE0EiNS0_10empty_typeEbEEZZNS1_14partition_implILS5_0ELb0ES3_jN6thrust23THRUST_200600_302600_NS10device_ptrIiEEPS6_SD_NS0_5tupleIJSC_SC_EEENSE_IJSD_SD_EEES6_PlJ7is_evenIiEEEE10hipError_tPvRmT3_T4_T5_T6_T7_T9_mT8_P12ihipStream_tbDpT10_ENKUlT_T0_E_clISt17integral_constantIbLb0EES13_EEDaSY_SZ_EUlSY_E_NS1_11comp_targetILNS1_3genE0ELNS1_11target_archE4294967295ELNS1_3gpuE0ELNS1_3repE0EEENS1_30default_config_static_selectorELNS0_4arch9wavefront6targetE1EEEvT1_.kd
    .uniform_work_group_size: 1
    .uses_dynamic_stack: false
    .vgpr_count:     0
    .vgpr_spill_count: 0
    .wavefront_size: 64
  - .agpr_count:     0
    .args:
      - .offset:         0
        .size:           120
        .value_kind:     by_value
    .group_segment_fixed_size: 0
    .kernarg_segment_align: 8
    .kernarg_segment_size: 120
    .language:       OpenCL C
    .language_version:
      - 2
      - 0
    .max_flat_workgroup_size: 512
    .name:           _ZN7rocprim17ROCPRIM_400000_NS6detail17trampoline_kernelINS0_14default_configENS1_25partition_config_selectorILNS1_17partition_subalgoE0EiNS0_10empty_typeEbEEZZNS1_14partition_implILS5_0ELb0ES3_jN6thrust23THRUST_200600_302600_NS10device_ptrIiEEPS6_SD_NS0_5tupleIJSC_SC_EEENSE_IJSD_SD_EEES6_PlJ7is_evenIiEEEE10hipError_tPvRmT3_T4_T5_T6_T7_T9_mT8_P12ihipStream_tbDpT10_ENKUlT_T0_E_clISt17integral_constantIbLb0EES13_EEDaSY_SZ_EUlSY_E_NS1_11comp_targetILNS1_3genE5ELNS1_11target_archE942ELNS1_3gpuE9ELNS1_3repE0EEENS1_30default_config_static_selectorELNS0_4arch9wavefront6targetE1EEEvT1_
    .private_segment_fixed_size: 0
    .sgpr_count:     4
    .sgpr_spill_count: 0
    .symbol:         _ZN7rocprim17ROCPRIM_400000_NS6detail17trampoline_kernelINS0_14default_configENS1_25partition_config_selectorILNS1_17partition_subalgoE0EiNS0_10empty_typeEbEEZZNS1_14partition_implILS5_0ELb0ES3_jN6thrust23THRUST_200600_302600_NS10device_ptrIiEEPS6_SD_NS0_5tupleIJSC_SC_EEENSE_IJSD_SD_EEES6_PlJ7is_evenIiEEEE10hipError_tPvRmT3_T4_T5_T6_T7_T9_mT8_P12ihipStream_tbDpT10_ENKUlT_T0_E_clISt17integral_constantIbLb0EES13_EEDaSY_SZ_EUlSY_E_NS1_11comp_targetILNS1_3genE5ELNS1_11target_archE942ELNS1_3gpuE9ELNS1_3repE0EEENS1_30default_config_static_selectorELNS0_4arch9wavefront6targetE1EEEvT1_.kd
    .uniform_work_group_size: 1
    .uses_dynamic_stack: false
    .vgpr_count:     0
    .vgpr_spill_count: 0
    .wavefront_size: 64
  - .agpr_count:     0
    .args:
      - .offset:         0
        .size:           120
        .value_kind:     by_value
    .group_segment_fixed_size: 10248
    .kernarg_segment_align: 8
    .kernarg_segment_size: 120
    .language:       OpenCL C
    .language_version:
      - 2
      - 0
    .max_flat_workgroup_size: 256
    .name:           _ZN7rocprim17ROCPRIM_400000_NS6detail17trampoline_kernelINS0_14default_configENS1_25partition_config_selectorILNS1_17partition_subalgoE0EiNS0_10empty_typeEbEEZZNS1_14partition_implILS5_0ELb0ES3_jN6thrust23THRUST_200600_302600_NS10device_ptrIiEEPS6_SD_NS0_5tupleIJSC_SC_EEENSE_IJSD_SD_EEES6_PlJ7is_evenIiEEEE10hipError_tPvRmT3_T4_T5_T6_T7_T9_mT8_P12ihipStream_tbDpT10_ENKUlT_T0_E_clISt17integral_constantIbLb0EES13_EEDaSY_SZ_EUlSY_E_NS1_11comp_targetILNS1_3genE4ELNS1_11target_archE910ELNS1_3gpuE8ELNS1_3repE0EEENS1_30default_config_static_selectorELNS0_4arch9wavefront6targetE1EEEvT1_
    .private_segment_fixed_size: 0
    .sgpr_count:     48
    .sgpr_spill_count: 0
    .symbol:         _ZN7rocprim17ROCPRIM_400000_NS6detail17trampoline_kernelINS0_14default_configENS1_25partition_config_selectorILNS1_17partition_subalgoE0EiNS0_10empty_typeEbEEZZNS1_14partition_implILS5_0ELb0ES3_jN6thrust23THRUST_200600_302600_NS10device_ptrIiEEPS6_SD_NS0_5tupleIJSC_SC_EEENSE_IJSD_SD_EEES6_PlJ7is_evenIiEEEE10hipError_tPvRmT3_T4_T5_T6_T7_T9_mT8_P12ihipStream_tbDpT10_ENKUlT_T0_E_clISt17integral_constantIbLb0EES13_EEDaSY_SZ_EUlSY_E_NS1_11comp_targetILNS1_3genE4ELNS1_11target_archE910ELNS1_3gpuE8ELNS1_3repE0EEENS1_30default_config_static_selectorELNS0_4arch9wavefront6targetE1EEEvT1_.kd
    .uniform_work_group_size: 1
    .uses_dynamic_stack: false
    .vgpr_count:     54
    .vgpr_spill_count: 0
    .wavefront_size: 64
  - .agpr_count:     0
    .args:
      - .offset:         0
        .size:           120
        .value_kind:     by_value
    .group_segment_fixed_size: 0
    .kernarg_segment_align: 8
    .kernarg_segment_size: 120
    .language:       OpenCL C
    .language_version:
      - 2
      - 0
    .max_flat_workgroup_size: 256
    .name:           _ZN7rocprim17ROCPRIM_400000_NS6detail17trampoline_kernelINS0_14default_configENS1_25partition_config_selectorILNS1_17partition_subalgoE0EiNS0_10empty_typeEbEEZZNS1_14partition_implILS5_0ELb0ES3_jN6thrust23THRUST_200600_302600_NS10device_ptrIiEEPS6_SD_NS0_5tupleIJSC_SC_EEENSE_IJSD_SD_EEES6_PlJ7is_evenIiEEEE10hipError_tPvRmT3_T4_T5_T6_T7_T9_mT8_P12ihipStream_tbDpT10_ENKUlT_T0_E_clISt17integral_constantIbLb0EES13_EEDaSY_SZ_EUlSY_E_NS1_11comp_targetILNS1_3genE3ELNS1_11target_archE908ELNS1_3gpuE7ELNS1_3repE0EEENS1_30default_config_static_selectorELNS0_4arch9wavefront6targetE1EEEvT1_
    .private_segment_fixed_size: 0
    .sgpr_count:     4
    .sgpr_spill_count: 0
    .symbol:         _ZN7rocprim17ROCPRIM_400000_NS6detail17trampoline_kernelINS0_14default_configENS1_25partition_config_selectorILNS1_17partition_subalgoE0EiNS0_10empty_typeEbEEZZNS1_14partition_implILS5_0ELb0ES3_jN6thrust23THRUST_200600_302600_NS10device_ptrIiEEPS6_SD_NS0_5tupleIJSC_SC_EEENSE_IJSD_SD_EEES6_PlJ7is_evenIiEEEE10hipError_tPvRmT3_T4_T5_T6_T7_T9_mT8_P12ihipStream_tbDpT10_ENKUlT_T0_E_clISt17integral_constantIbLb0EES13_EEDaSY_SZ_EUlSY_E_NS1_11comp_targetILNS1_3genE3ELNS1_11target_archE908ELNS1_3gpuE7ELNS1_3repE0EEENS1_30default_config_static_selectorELNS0_4arch9wavefront6targetE1EEEvT1_.kd
    .uniform_work_group_size: 1
    .uses_dynamic_stack: false
    .vgpr_count:     0
    .vgpr_spill_count: 0
    .wavefront_size: 64
  - .agpr_count:     0
    .args:
      - .offset:         0
        .size:           120
        .value_kind:     by_value
    .group_segment_fixed_size: 0
    .kernarg_segment_align: 8
    .kernarg_segment_size: 120
    .language:       OpenCL C
    .language_version:
      - 2
      - 0
    .max_flat_workgroup_size: 192
    .name:           _ZN7rocprim17ROCPRIM_400000_NS6detail17trampoline_kernelINS0_14default_configENS1_25partition_config_selectorILNS1_17partition_subalgoE0EiNS0_10empty_typeEbEEZZNS1_14partition_implILS5_0ELb0ES3_jN6thrust23THRUST_200600_302600_NS10device_ptrIiEEPS6_SD_NS0_5tupleIJSC_SC_EEENSE_IJSD_SD_EEES6_PlJ7is_evenIiEEEE10hipError_tPvRmT3_T4_T5_T6_T7_T9_mT8_P12ihipStream_tbDpT10_ENKUlT_T0_E_clISt17integral_constantIbLb0EES13_EEDaSY_SZ_EUlSY_E_NS1_11comp_targetILNS1_3genE2ELNS1_11target_archE906ELNS1_3gpuE6ELNS1_3repE0EEENS1_30default_config_static_selectorELNS0_4arch9wavefront6targetE1EEEvT1_
    .private_segment_fixed_size: 0
    .sgpr_count:     4
    .sgpr_spill_count: 0
    .symbol:         _ZN7rocprim17ROCPRIM_400000_NS6detail17trampoline_kernelINS0_14default_configENS1_25partition_config_selectorILNS1_17partition_subalgoE0EiNS0_10empty_typeEbEEZZNS1_14partition_implILS5_0ELb0ES3_jN6thrust23THRUST_200600_302600_NS10device_ptrIiEEPS6_SD_NS0_5tupleIJSC_SC_EEENSE_IJSD_SD_EEES6_PlJ7is_evenIiEEEE10hipError_tPvRmT3_T4_T5_T6_T7_T9_mT8_P12ihipStream_tbDpT10_ENKUlT_T0_E_clISt17integral_constantIbLb0EES13_EEDaSY_SZ_EUlSY_E_NS1_11comp_targetILNS1_3genE2ELNS1_11target_archE906ELNS1_3gpuE6ELNS1_3repE0EEENS1_30default_config_static_selectorELNS0_4arch9wavefront6targetE1EEEvT1_.kd
    .uniform_work_group_size: 1
    .uses_dynamic_stack: false
    .vgpr_count:     0
    .vgpr_spill_count: 0
    .wavefront_size: 64
  - .agpr_count:     0
    .args:
      - .offset:         0
        .size:           120
        .value_kind:     by_value
    .group_segment_fixed_size: 0
    .kernarg_segment_align: 8
    .kernarg_segment_size: 120
    .language:       OpenCL C
    .language_version:
      - 2
      - 0
    .max_flat_workgroup_size: 512
    .name:           _ZN7rocprim17ROCPRIM_400000_NS6detail17trampoline_kernelINS0_14default_configENS1_25partition_config_selectorILNS1_17partition_subalgoE0EiNS0_10empty_typeEbEEZZNS1_14partition_implILS5_0ELb0ES3_jN6thrust23THRUST_200600_302600_NS10device_ptrIiEEPS6_SD_NS0_5tupleIJSC_SC_EEENSE_IJSD_SD_EEES6_PlJ7is_evenIiEEEE10hipError_tPvRmT3_T4_T5_T6_T7_T9_mT8_P12ihipStream_tbDpT10_ENKUlT_T0_E_clISt17integral_constantIbLb0EES13_EEDaSY_SZ_EUlSY_E_NS1_11comp_targetILNS1_3genE10ELNS1_11target_archE1200ELNS1_3gpuE4ELNS1_3repE0EEENS1_30default_config_static_selectorELNS0_4arch9wavefront6targetE1EEEvT1_
    .private_segment_fixed_size: 0
    .sgpr_count:     4
    .sgpr_spill_count: 0
    .symbol:         _ZN7rocprim17ROCPRIM_400000_NS6detail17trampoline_kernelINS0_14default_configENS1_25partition_config_selectorILNS1_17partition_subalgoE0EiNS0_10empty_typeEbEEZZNS1_14partition_implILS5_0ELb0ES3_jN6thrust23THRUST_200600_302600_NS10device_ptrIiEEPS6_SD_NS0_5tupleIJSC_SC_EEENSE_IJSD_SD_EEES6_PlJ7is_evenIiEEEE10hipError_tPvRmT3_T4_T5_T6_T7_T9_mT8_P12ihipStream_tbDpT10_ENKUlT_T0_E_clISt17integral_constantIbLb0EES13_EEDaSY_SZ_EUlSY_E_NS1_11comp_targetILNS1_3genE10ELNS1_11target_archE1200ELNS1_3gpuE4ELNS1_3repE0EEENS1_30default_config_static_selectorELNS0_4arch9wavefront6targetE1EEEvT1_.kd
    .uniform_work_group_size: 1
    .uses_dynamic_stack: false
    .vgpr_count:     0
    .vgpr_spill_count: 0
    .wavefront_size: 64
  - .agpr_count:     0
    .args:
      - .offset:         0
        .size:           120
        .value_kind:     by_value
    .group_segment_fixed_size: 0
    .kernarg_segment_align: 8
    .kernarg_segment_size: 120
    .language:       OpenCL C
    .language_version:
      - 2
      - 0
    .max_flat_workgroup_size: 128
    .name:           _ZN7rocprim17ROCPRIM_400000_NS6detail17trampoline_kernelINS0_14default_configENS1_25partition_config_selectorILNS1_17partition_subalgoE0EiNS0_10empty_typeEbEEZZNS1_14partition_implILS5_0ELb0ES3_jN6thrust23THRUST_200600_302600_NS10device_ptrIiEEPS6_SD_NS0_5tupleIJSC_SC_EEENSE_IJSD_SD_EEES6_PlJ7is_evenIiEEEE10hipError_tPvRmT3_T4_T5_T6_T7_T9_mT8_P12ihipStream_tbDpT10_ENKUlT_T0_E_clISt17integral_constantIbLb0EES13_EEDaSY_SZ_EUlSY_E_NS1_11comp_targetILNS1_3genE9ELNS1_11target_archE1100ELNS1_3gpuE3ELNS1_3repE0EEENS1_30default_config_static_selectorELNS0_4arch9wavefront6targetE1EEEvT1_
    .private_segment_fixed_size: 0
    .sgpr_count:     4
    .sgpr_spill_count: 0
    .symbol:         _ZN7rocprim17ROCPRIM_400000_NS6detail17trampoline_kernelINS0_14default_configENS1_25partition_config_selectorILNS1_17partition_subalgoE0EiNS0_10empty_typeEbEEZZNS1_14partition_implILS5_0ELb0ES3_jN6thrust23THRUST_200600_302600_NS10device_ptrIiEEPS6_SD_NS0_5tupleIJSC_SC_EEENSE_IJSD_SD_EEES6_PlJ7is_evenIiEEEE10hipError_tPvRmT3_T4_T5_T6_T7_T9_mT8_P12ihipStream_tbDpT10_ENKUlT_T0_E_clISt17integral_constantIbLb0EES13_EEDaSY_SZ_EUlSY_E_NS1_11comp_targetILNS1_3genE9ELNS1_11target_archE1100ELNS1_3gpuE3ELNS1_3repE0EEENS1_30default_config_static_selectorELNS0_4arch9wavefront6targetE1EEEvT1_.kd
    .uniform_work_group_size: 1
    .uses_dynamic_stack: false
    .vgpr_count:     0
    .vgpr_spill_count: 0
    .wavefront_size: 64
  - .agpr_count:     0
    .args:
      - .offset:         0
        .size:           120
        .value_kind:     by_value
    .group_segment_fixed_size: 0
    .kernarg_segment_align: 8
    .kernarg_segment_size: 120
    .language:       OpenCL C
    .language_version:
      - 2
      - 0
    .max_flat_workgroup_size: 512
    .name:           _ZN7rocprim17ROCPRIM_400000_NS6detail17trampoline_kernelINS0_14default_configENS1_25partition_config_selectorILNS1_17partition_subalgoE0EiNS0_10empty_typeEbEEZZNS1_14partition_implILS5_0ELb0ES3_jN6thrust23THRUST_200600_302600_NS10device_ptrIiEEPS6_SD_NS0_5tupleIJSC_SC_EEENSE_IJSD_SD_EEES6_PlJ7is_evenIiEEEE10hipError_tPvRmT3_T4_T5_T6_T7_T9_mT8_P12ihipStream_tbDpT10_ENKUlT_T0_E_clISt17integral_constantIbLb0EES13_EEDaSY_SZ_EUlSY_E_NS1_11comp_targetILNS1_3genE8ELNS1_11target_archE1030ELNS1_3gpuE2ELNS1_3repE0EEENS1_30default_config_static_selectorELNS0_4arch9wavefront6targetE1EEEvT1_
    .private_segment_fixed_size: 0
    .sgpr_count:     4
    .sgpr_spill_count: 0
    .symbol:         _ZN7rocprim17ROCPRIM_400000_NS6detail17trampoline_kernelINS0_14default_configENS1_25partition_config_selectorILNS1_17partition_subalgoE0EiNS0_10empty_typeEbEEZZNS1_14partition_implILS5_0ELb0ES3_jN6thrust23THRUST_200600_302600_NS10device_ptrIiEEPS6_SD_NS0_5tupleIJSC_SC_EEENSE_IJSD_SD_EEES6_PlJ7is_evenIiEEEE10hipError_tPvRmT3_T4_T5_T6_T7_T9_mT8_P12ihipStream_tbDpT10_ENKUlT_T0_E_clISt17integral_constantIbLb0EES13_EEDaSY_SZ_EUlSY_E_NS1_11comp_targetILNS1_3genE8ELNS1_11target_archE1030ELNS1_3gpuE2ELNS1_3repE0EEENS1_30default_config_static_selectorELNS0_4arch9wavefront6targetE1EEEvT1_.kd
    .uniform_work_group_size: 1
    .uses_dynamic_stack: false
    .vgpr_count:     0
    .vgpr_spill_count: 0
    .wavefront_size: 64
  - .agpr_count:     0
    .args:
      - .offset:         0
        .size:           136
        .value_kind:     by_value
    .group_segment_fixed_size: 0
    .kernarg_segment_align: 8
    .kernarg_segment_size: 136
    .language:       OpenCL C
    .language_version:
      - 2
      - 0
    .max_flat_workgroup_size: 256
    .name:           _ZN7rocprim17ROCPRIM_400000_NS6detail17trampoline_kernelINS0_14default_configENS1_25partition_config_selectorILNS1_17partition_subalgoE0EiNS0_10empty_typeEbEEZZNS1_14partition_implILS5_0ELb0ES3_jN6thrust23THRUST_200600_302600_NS10device_ptrIiEEPS6_SD_NS0_5tupleIJSC_SC_EEENSE_IJSD_SD_EEES6_PlJ7is_evenIiEEEE10hipError_tPvRmT3_T4_T5_T6_T7_T9_mT8_P12ihipStream_tbDpT10_ENKUlT_T0_E_clISt17integral_constantIbLb1EES13_EEDaSY_SZ_EUlSY_E_NS1_11comp_targetILNS1_3genE0ELNS1_11target_archE4294967295ELNS1_3gpuE0ELNS1_3repE0EEENS1_30default_config_static_selectorELNS0_4arch9wavefront6targetE1EEEvT1_
    .private_segment_fixed_size: 0
    .sgpr_count:     4
    .sgpr_spill_count: 0
    .symbol:         _ZN7rocprim17ROCPRIM_400000_NS6detail17trampoline_kernelINS0_14default_configENS1_25partition_config_selectorILNS1_17partition_subalgoE0EiNS0_10empty_typeEbEEZZNS1_14partition_implILS5_0ELb0ES3_jN6thrust23THRUST_200600_302600_NS10device_ptrIiEEPS6_SD_NS0_5tupleIJSC_SC_EEENSE_IJSD_SD_EEES6_PlJ7is_evenIiEEEE10hipError_tPvRmT3_T4_T5_T6_T7_T9_mT8_P12ihipStream_tbDpT10_ENKUlT_T0_E_clISt17integral_constantIbLb1EES13_EEDaSY_SZ_EUlSY_E_NS1_11comp_targetILNS1_3genE0ELNS1_11target_archE4294967295ELNS1_3gpuE0ELNS1_3repE0EEENS1_30default_config_static_selectorELNS0_4arch9wavefront6targetE1EEEvT1_.kd
    .uniform_work_group_size: 1
    .uses_dynamic_stack: false
    .vgpr_count:     0
    .vgpr_spill_count: 0
    .wavefront_size: 64
  - .agpr_count:     0
    .args:
      - .offset:         0
        .size:           136
        .value_kind:     by_value
    .group_segment_fixed_size: 0
    .kernarg_segment_align: 8
    .kernarg_segment_size: 136
    .language:       OpenCL C
    .language_version:
      - 2
      - 0
    .max_flat_workgroup_size: 512
    .name:           _ZN7rocprim17ROCPRIM_400000_NS6detail17trampoline_kernelINS0_14default_configENS1_25partition_config_selectorILNS1_17partition_subalgoE0EiNS0_10empty_typeEbEEZZNS1_14partition_implILS5_0ELb0ES3_jN6thrust23THRUST_200600_302600_NS10device_ptrIiEEPS6_SD_NS0_5tupleIJSC_SC_EEENSE_IJSD_SD_EEES6_PlJ7is_evenIiEEEE10hipError_tPvRmT3_T4_T5_T6_T7_T9_mT8_P12ihipStream_tbDpT10_ENKUlT_T0_E_clISt17integral_constantIbLb1EES13_EEDaSY_SZ_EUlSY_E_NS1_11comp_targetILNS1_3genE5ELNS1_11target_archE942ELNS1_3gpuE9ELNS1_3repE0EEENS1_30default_config_static_selectorELNS0_4arch9wavefront6targetE1EEEvT1_
    .private_segment_fixed_size: 0
    .sgpr_count:     4
    .sgpr_spill_count: 0
    .symbol:         _ZN7rocprim17ROCPRIM_400000_NS6detail17trampoline_kernelINS0_14default_configENS1_25partition_config_selectorILNS1_17partition_subalgoE0EiNS0_10empty_typeEbEEZZNS1_14partition_implILS5_0ELb0ES3_jN6thrust23THRUST_200600_302600_NS10device_ptrIiEEPS6_SD_NS0_5tupleIJSC_SC_EEENSE_IJSD_SD_EEES6_PlJ7is_evenIiEEEE10hipError_tPvRmT3_T4_T5_T6_T7_T9_mT8_P12ihipStream_tbDpT10_ENKUlT_T0_E_clISt17integral_constantIbLb1EES13_EEDaSY_SZ_EUlSY_E_NS1_11comp_targetILNS1_3genE5ELNS1_11target_archE942ELNS1_3gpuE9ELNS1_3repE0EEENS1_30default_config_static_selectorELNS0_4arch9wavefront6targetE1EEEvT1_.kd
    .uniform_work_group_size: 1
    .uses_dynamic_stack: false
    .vgpr_count:     0
    .vgpr_spill_count: 0
    .wavefront_size: 64
  - .agpr_count:     0
    .args:
      - .offset:         0
        .size:           136
        .value_kind:     by_value
    .group_segment_fixed_size: 10248
    .kernarg_segment_align: 8
    .kernarg_segment_size: 136
    .language:       OpenCL C
    .language_version:
      - 2
      - 0
    .max_flat_workgroup_size: 256
    .name:           _ZN7rocprim17ROCPRIM_400000_NS6detail17trampoline_kernelINS0_14default_configENS1_25partition_config_selectorILNS1_17partition_subalgoE0EiNS0_10empty_typeEbEEZZNS1_14partition_implILS5_0ELb0ES3_jN6thrust23THRUST_200600_302600_NS10device_ptrIiEEPS6_SD_NS0_5tupleIJSC_SC_EEENSE_IJSD_SD_EEES6_PlJ7is_evenIiEEEE10hipError_tPvRmT3_T4_T5_T6_T7_T9_mT8_P12ihipStream_tbDpT10_ENKUlT_T0_E_clISt17integral_constantIbLb1EES13_EEDaSY_SZ_EUlSY_E_NS1_11comp_targetILNS1_3genE4ELNS1_11target_archE910ELNS1_3gpuE8ELNS1_3repE0EEENS1_30default_config_static_selectorELNS0_4arch9wavefront6targetE1EEEvT1_
    .private_segment_fixed_size: 0
    .sgpr_count:     48
    .sgpr_spill_count: 0
    .symbol:         _ZN7rocprim17ROCPRIM_400000_NS6detail17trampoline_kernelINS0_14default_configENS1_25partition_config_selectorILNS1_17partition_subalgoE0EiNS0_10empty_typeEbEEZZNS1_14partition_implILS5_0ELb0ES3_jN6thrust23THRUST_200600_302600_NS10device_ptrIiEEPS6_SD_NS0_5tupleIJSC_SC_EEENSE_IJSD_SD_EEES6_PlJ7is_evenIiEEEE10hipError_tPvRmT3_T4_T5_T6_T7_T9_mT8_P12ihipStream_tbDpT10_ENKUlT_T0_E_clISt17integral_constantIbLb1EES13_EEDaSY_SZ_EUlSY_E_NS1_11comp_targetILNS1_3genE4ELNS1_11target_archE910ELNS1_3gpuE8ELNS1_3repE0EEENS1_30default_config_static_selectorELNS0_4arch9wavefront6targetE1EEEvT1_.kd
    .uniform_work_group_size: 1
    .uses_dynamic_stack: false
    .vgpr_count:     58
    .vgpr_spill_count: 0
    .wavefront_size: 64
  - .agpr_count:     0
    .args:
      - .offset:         0
        .size:           136
        .value_kind:     by_value
    .group_segment_fixed_size: 0
    .kernarg_segment_align: 8
    .kernarg_segment_size: 136
    .language:       OpenCL C
    .language_version:
      - 2
      - 0
    .max_flat_workgroup_size: 256
    .name:           _ZN7rocprim17ROCPRIM_400000_NS6detail17trampoline_kernelINS0_14default_configENS1_25partition_config_selectorILNS1_17partition_subalgoE0EiNS0_10empty_typeEbEEZZNS1_14partition_implILS5_0ELb0ES3_jN6thrust23THRUST_200600_302600_NS10device_ptrIiEEPS6_SD_NS0_5tupleIJSC_SC_EEENSE_IJSD_SD_EEES6_PlJ7is_evenIiEEEE10hipError_tPvRmT3_T4_T5_T6_T7_T9_mT8_P12ihipStream_tbDpT10_ENKUlT_T0_E_clISt17integral_constantIbLb1EES13_EEDaSY_SZ_EUlSY_E_NS1_11comp_targetILNS1_3genE3ELNS1_11target_archE908ELNS1_3gpuE7ELNS1_3repE0EEENS1_30default_config_static_selectorELNS0_4arch9wavefront6targetE1EEEvT1_
    .private_segment_fixed_size: 0
    .sgpr_count:     4
    .sgpr_spill_count: 0
    .symbol:         _ZN7rocprim17ROCPRIM_400000_NS6detail17trampoline_kernelINS0_14default_configENS1_25partition_config_selectorILNS1_17partition_subalgoE0EiNS0_10empty_typeEbEEZZNS1_14partition_implILS5_0ELb0ES3_jN6thrust23THRUST_200600_302600_NS10device_ptrIiEEPS6_SD_NS0_5tupleIJSC_SC_EEENSE_IJSD_SD_EEES6_PlJ7is_evenIiEEEE10hipError_tPvRmT3_T4_T5_T6_T7_T9_mT8_P12ihipStream_tbDpT10_ENKUlT_T0_E_clISt17integral_constantIbLb1EES13_EEDaSY_SZ_EUlSY_E_NS1_11comp_targetILNS1_3genE3ELNS1_11target_archE908ELNS1_3gpuE7ELNS1_3repE0EEENS1_30default_config_static_selectorELNS0_4arch9wavefront6targetE1EEEvT1_.kd
    .uniform_work_group_size: 1
    .uses_dynamic_stack: false
    .vgpr_count:     0
    .vgpr_spill_count: 0
    .wavefront_size: 64
  - .agpr_count:     0
    .args:
      - .offset:         0
        .size:           136
        .value_kind:     by_value
    .group_segment_fixed_size: 0
    .kernarg_segment_align: 8
    .kernarg_segment_size: 136
    .language:       OpenCL C
    .language_version:
      - 2
      - 0
    .max_flat_workgroup_size: 192
    .name:           _ZN7rocprim17ROCPRIM_400000_NS6detail17trampoline_kernelINS0_14default_configENS1_25partition_config_selectorILNS1_17partition_subalgoE0EiNS0_10empty_typeEbEEZZNS1_14partition_implILS5_0ELb0ES3_jN6thrust23THRUST_200600_302600_NS10device_ptrIiEEPS6_SD_NS0_5tupleIJSC_SC_EEENSE_IJSD_SD_EEES6_PlJ7is_evenIiEEEE10hipError_tPvRmT3_T4_T5_T6_T7_T9_mT8_P12ihipStream_tbDpT10_ENKUlT_T0_E_clISt17integral_constantIbLb1EES13_EEDaSY_SZ_EUlSY_E_NS1_11comp_targetILNS1_3genE2ELNS1_11target_archE906ELNS1_3gpuE6ELNS1_3repE0EEENS1_30default_config_static_selectorELNS0_4arch9wavefront6targetE1EEEvT1_
    .private_segment_fixed_size: 0
    .sgpr_count:     4
    .sgpr_spill_count: 0
    .symbol:         _ZN7rocprim17ROCPRIM_400000_NS6detail17trampoline_kernelINS0_14default_configENS1_25partition_config_selectorILNS1_17partition_subalgoE0EiNS0_10empty_typeEbEEZZNS1_14partition_implILS5_0ELb0ES3_jN6thrust23THRUST_200600_302600_NS10device_ptrIiEEPS6_SD_NS0_5tupleIJSC_SC_EEENSE_IJSD_SD_EEES6_PlJ7is_evenIiEEEE10hipError_tPvRmT3_T4_T5_T6_T7_T9_mT8_P12ihipStream_tbDpT10_ENKUlT_T0_E_clISt17integral_constantIbLb1EES13_EEDaSY_SZ_EUlSY_E_NS1_11comp_targetILNS1_3genE2ELNS1_11target_archE906ELNS1_3gpuE6ELNS1_3repE0EEENS1_30default_config_static_selectorELNS0_4arch9wavefront6targetE1EEEvT1_.kd
    .uniform_work_group_size: 1
    .uses_dynamic_stack: false
    .vgpr_count:     0
    .vgpr_spill_count: 0
    .wavefront_size: 64
  - .agpr_count:     0
    .args:
      - .offset:         0
        .size:           136
        .value_kind:     by_value
    .group_segment_fixed_size: 0
    .kernarg_segment_align: 8
    .kernarg_segment_size: 136
    .language:       OpenCL C
    .language_version:
      - 2
      - 0
    .max_flat_workgroup_size: 512
    .name:           _ZN7rocprim17ROCPRIM_400000_NS6detail17trampoline_kernelINS0_14default_configENS1_25partition_config_selectorILNS1_17partition_subalgoE0EiNS0_10empty_typeEbEEZZNS1_14partition_implILS5_0ELb0ES3_jN6thrust23THRUST_200600_302600_NS10device_ptrIiEEPS6_SD_NS0_5tupleIJSC_SC_EEENSE_IJSD_SD_EEES6_PlJ7is_evenIiEEEE10hipError_tPvRmT3_T4_T5_T6_T7_T9_mT8_P12ihipStream_tbDpT10_ENKUlT_T0_E_clISt17integral_constantIbLb1EES13_EEDaSY_SZ_EUlSY_E_NS1_11comp_targetILNS1_3genE10ELNS1_11target_archE1200ELNS1_3gpuE4ELNS1_3repE0EEENS1_30default_config_static_selectorELNS0_4arch9wavefront6targetE1EEEvT1_
    .private_segment_fixed_size: 0
    .sgpr_count:     4
    .sgpr_spill_count: 0
    .symbol:         _ZN7rocprim17ROCPRIM_400000_NS6detail17trampoline_kernelINS0_14default_configENS1_25partition_config_selectorILNS1_17partition_subalgoE0EiNS0_10empty_typeEbEEZZNS1_14partition_implILS5_0ELb0ES3_jN6thrust23THRUST_200600_302600_NS10device_ptrIiEEPS6_SD_NS0_5tupleIJSC_SC_EEENSE_IJSD_SD_EEES6_PlJ7is_evenIiEEEE10hipError_tPvRmT3_T4_T5_T6_T7_T9_mT8_P12ihipStream_tbDpT10_ENKUlT_T0_E_clISt17integral_constantIbLb1EES13_EEDaSY_SZ_EUlSY_E_NS1_11comp_targetILNS1_3genE10ELNS1_11target_archE1200ELNS1_3gpuE4ELNS1_3repE0EEENS1_30default_config_static_selectorELNS0_4arch9wavefront6targetE1EEEvT1_.kd
    .uniform_work_group_size: 1
    .uses_dynamic_stack: false
    .vgpr_count:     0
    .vgpr_spill_count: 0
    .wavefront_size: 64
  - .agpr_count:     0
    .args:
      - .offset:         0
        .size:           136
        .value_kind:     by_value
    .group_segment_fixed_size: 0
    .kernarg_segment_align: 8
    .kernarg_segment_size: 136
    .language:       OpenCL C
    .language_version:
      - 2
      - 0
    .max_flat_workgroup_size: 128
    .name:           _ZN7rocprim17ROCPRIM_400000_NS6detail17trampoline_kernelINS0_14default_configENS1_25partition_config_selectorILNS1_17partition_subalgoE0EiNS0_10empty_typeEbEEZZNS1_14partition_implILS5_0ELb0ES3_jN6thrust23THRUST_200600_302600_NS10device_ptrIiEEPS6_SD_NS0_5tupleIJSC_SC_EEENSE_IJSD_SD_EEES6_PlJ7is_evenIiEEEE10hipError_tPvRmT3_T4_T5_T6_T7_T9_mT8_P12ihipStream_tbDpT10_ENKUlT_T0_E_clISt17integral_constantIbLb1EES13_EEDaSY_SZ_EUlSY_E_NS1_11comp_targetILNS1_3genE9ELNS1_11target_archE1100ELNS1_3gpuE3ELNS1_3repE0EEENS1_30default_config_static_selectorELNS0_4arch9wavefront6targetE1EEEvT1_
    .private_segment_fixed_size: 0
    .sgpr_count:     4
    .sgpr_spill_count: 0
    .symbol:         _ZN7rocprim17ROCPRIM_400000_NS6detail17trampoline_kernelINS0_14default_configENS1_25partition_config_selectorILNS1_17partition_subalgoE0EiNS0_10empty_typeEbEEZZNS1_14partition_implILS5_0ELb0ES3_jN6thrust23THRUST_200600_302600_NS10device_ptrIiEEPS6_SD_NS0_5tupleIJSC_SC_EEENSE_IJSD_SD_EEES6_PlJ7is_evenIiEEEE10hipError_tPvRmT3_T4_T5_T6_T7_T9_mT8_P12ihipStream_tbDpT10_ENKUlT_T0_E_clISt17integral_constantIbLb1EES13_EEDaSY_SZ_EUlSY_E_NS1_11comp_targetILNS1_3genE9ELNS1_11target_archE1100ELNS1_3gpuE3ELNS1_3repE0EEENS1_30default_config_static_selectorELNS0_4arch9wavefront6targetE1EEEvT1_.kd
    .uniform_work_group_size: 1
    .uses_dynamic_stack: false
    .vgpr_count:     0
    .vgpr_spill_count: 0
    .wavefront_size: 64
  - .agpr_count:     0
    .args:
      - .offset:         0
        .size:           136
        .value_kind:     by_value
    .group_segment_fixed_size: 0
    .kernarg_segment_align: 8
    .kernarg_segment_size: 136
    .language:       OpenCL C
    .language_version:
      - 2
      - 0
    .max_flat_workgroup_size: 512
    .name:           _ZN7rocprim17ROCPRIM_400000_NS6detail17trampoline_kernelINS0_14default_configENS1_25partition_config_selectorILNS1_17partition_subalgoE0EiNS0_10empty_typeEbEEZZNS1_14partition_implILS5_0ELb0ES3_jN6thrust23THRUST_200600_302600_NS10device_ptrIiEEPS6_SD_NS0_5tupleIJSC_SC_EEENSE_IJSD_SD_EEES6_PlJ7is_evenIiEEEE10hipError_tPvRmT3_T4_T5_T6_T7_T9_mT8_P12ihipStream_tbDpT10_ENKUlT_T0_E_clISt17integral_constantIbLb1EES13_EEDaSY_SZ_EUlSY_E_NS1_11comp_targetILNS1_3genE8ELNS1_11target_archE1030ELNS1_3gpuE2ELNS1_3repE0EEENS1_30default_config_static_selectorELNS0_4arch9wavefront6targetE1EEEvT1_
    .private_segment_fixed_size: 0
    .sgpr_count:     4
    .sgpr_spill_count: 0
    .symbol:         _ZN7rocprim17ROCPRIM_400000_NS6detail17trampoline_kernelINS0_14default_configENS1_25partition_config_selectorILNS1_17partition_subalgoE0EiNS0_10empty_typeEbEEZZNS1_14partition_implILS5_0ELb0ES3_jN6thrust23THRUST_200600_302600_NS10device_ptrIiEEPS6_SD_NS0_5tupleIJSC_SC_EEENSE_IJSD_SD_EEES6_PlJ7is_evenIiEEEE10hipError_tPvRmT3_T4_T5_T6_T7_T9_mT8_P12ihipStream_tbDpT10_ENKUlT_T0_E_clISt17integral_constantIbLb1EES13_EEDaSY_SZ_EUlSY_E_NS1_11comp_targetILNS1_3genE8ELNS1_11target_archE1030ELNS1_3gpuE2ELNS1_3repE0EEENS1_30default_config_static_selectorELNS0_4arch9wavefront6targetE1EEEvT1_.kd
    .uniform_work_group_size: 1
    .uses_dynamic_stack: false
    .vgpr_count:     0
    .vgpr_spill_count: 0
    .wavefront_size: 64
  - .agpr_count:     0
    .args:
      - .offset:         0
        .size:           120
        .value_kind:     by_value
    .group_segment_fixed_size: 0
    .kernarg_segment_align: 8
    .kernarg_segment_size: 120
    .language:       OpenCL C
    .language_version:
      - 2
      - 0
    .max_flat_workgroup_size: 256
    .name:           _ZN7rocprim17ROCPRIM_400000_NS6detail17trampoline_kernelINS0_14default_configENS1_25partition_config_selectorILNS1_17partition_subalgoE0EiNS0_10empty_typeEbEEZZNS1_14partition_implILS5_0ELb0ES3_jN6thrust23THRUST_200600_302600_NS10device_ptrIiEEPS6_SD_NS0_5tupleIJSC_SC_EEENSE_IJSD_SD_EEES6_PlJ7is_evenIiEEEE10hipError_tPvRmT3_T4_T5_T6_T7_T9_mT8_P12ihipStream_tbDpT10_ENKUlT_T0_E_clISt17integral_constantIbLb1EES12_IbLb0EEEEDaSY_SZ_EUlSY_E_NS1_11comp_targetILNS1_3genE0ELNS1_11target_archE4294967295ELNS1_3gpuE0ELNS1_3repE0EEENS1_30default_config_static_selectorELNS0_4arch9wavefront6targetE1EEEvT1_
    .private_segment_fixed_size: 0
    .sgpr_count:     4
    .sgpr_spill_count: 0
    .symbol:         _ZN7rocprim17ROCPRIM_400000_NS6detail17trampoline_kernelINS0_14default_configENS1_25partition_config_selectorILNS1_17partition_subalgoE0EiNS0_10empty_typeEbEEZZNS1_14partition_implILS5_0ELb0ES3_jN6thrust23THRUST_200600_302600_NS10device_ptrIiEEPS6_SD_NS0_5tupleIJSC_SC_EEENSE_IJSD_SD_EEES6_PlJ7is_evenIiEEEE10hipError_tPvRmT3_T4_T5_T6_T7_T9_mT8_P12ihipStream_tbDpT10_ENKUlT_T0_E_clISt17integral_constantIbLb1EES12_IbLb0EEEEDaSY_SZ_EUlSY_E_NS1_11comp_targetILNS1_3genE0ELNS1_11target_archE4294967295ELNS1_3gpuE0ELNS1_3repE0EEENS1_30default_config_static_selectorELNS0_4arch9wavefront6targetE1EEEvT1_.kd
    .uniform_work_group_size: 1
    .uses_dynamic_stack: false
    .vgpr_count:     0
    .vgpr_spill_count: 0
    .wavefront_size: 64
  - .agpr_count:     0
    .args:
      - .offset:         0
        .size:           120
        .value_kind:     by_value
    .group_segment_fixed_size: 0
    .kernarg_segment_align: 8
    .kernarg_segment_size: 120
    .language:       OpenCL C
    .language_version:
      - 2
      - 0
    .max_flat_workgroup_size: 512
    .name:           _ZN7rocprim17ROCPRIM_400000_NS6detail17trampoline_kernelINS0_14default_configENS1_25partition_config_selectorILNS1_17partition_subalgoE0EiNS0_10empty_typeEbEEZZNS1_14partition_implILS5_0ELb0ES3_jN6thrust23THRUST_200600_302600_NS10device_ptrIiEEPS6_SD_NS0_5tupleIJSC_SC_EEENSE_IJSD_SD_EEES6_PlJ7is_evenIiEEEE10hipError_tPvRmT3_T4_T5_T6_T7_T9_mT8_P12ihipStream_tbDpT10_ENKUlT_T0_E_clISt17integral_constantIbLb1EES12_IbLb0EEEEDaSY_SZ_EUlSY_E_NS1_11comp_targetILNS1_3genE5ELNS1_11target_archE942ELNS1_3gpuE9ELNS1_3repE0EEENS1_30default_config_static_selectorELNS0_4arch9wavefront6targetE1EEEvT1_
    .private_segment_fixed_size: 0
    .sgpr_count:     4
    .sgpr_spill_count: 0
    .symbol:         _ZN7rocprim17ROCPRIM_400000_NS6detail17trampoline_kernelINS0_14default_configENS1_25partition_config_selectorILNS1_17partition_subalgoE0EiNS0_10empty_typeEbEEZZNS1_14partition_implILS5_0ELb0ES3_jN6thrust23THRUST_200600_302600_NS10device_ptrIiEEPS6_SD_NS0_5tupleIJSC_SC_EEENSE_IJSD_SD_EEES6_PlJ7is_evenIiEEEE10hipError_tPvRmT3_T4_T5_T6_T7_T9_mT8_P12ihipStream_tbDpT10_ENKUlT_T0_E_clISt17integral_constantIbLb1EES12_IbLb0EEEEDaSY_SZ_EUlSY_E_NS1_11comp_targetILNS1_3genE5ELNS1_11target_archE942ELNS1_3gpuE9ELNS1_3repE0EEENS1_30default_config_static_selectorELNS0_4arch9wavefront6targetE1EEEvT1_.kd
    .uniform_work_group_size: 1
    .uses_dynamic_stack: false
    .vgpr_count:     0
    .vgpr_spill_count: 0
    .wavefront_size: 64
  - .agpr_count:     0
    .args:
      - .offset:         0
        .size:           120
        .value_kind:     by_value
    .group_segment_fixed_size: 10248
    .kernarg_segment_align: 8
    .kernarg_segment_size: 120
    .language:       OpenCL C
    .language_version:
      - 2
      - 0
    .max_flat_workgroup_size: 256
    .name:           _ZN7rocprim17ROCPRIM_400000_NS6detail17trampoline_kernelINS0_14default_configENS1_25partition_config_selectorILNS1_17partition_subalgoE0EiNS0_10empty_typeEbEEZZNS1_14partition_implILS5_0ELb0ES3_jN6thrust23THRUST_200600_302600_NS10device_ptrIiEEPS6_SD_NS0_5tupleIJSC_SC_EEENSE_IJSD_SD_EEES6_PlJ7is_evenIiEEEE10hipError_tPvRmT3_T4_T5_T6_T7_T9_mT8_P12ihipStream_tbDpT10_ENKUlT_T0_E_clISt17integral_constantIbLb1EES12_IbLb0EEEEDaSY_SZ_EUlSY_E_NS1_11comp_targetILNS1_3genE4ELNS1_11target_archE910ELNS1_3gpuE8ELNS1_3repE0EEENS1_30default_config_static_selectorELNS0_4arch9wavefront6targetE1EEEvT1_
    .private_segment_fixed_size: 0
    .sgpr_count:     48
    .sgpr_spill_count: 0
    .symbol:         _ZN7rocprim17ROCPRIM_400000_NS6detail17trampoline_kernelINS0_14default_configENS1_25partition_config_selectorILNS1_17partition_subalgoE0EiNS0_10empty_typeEbEEZZNS1_14partition_implILS5_0ELb0ES3_jN6thrust23THRUST_200600_302600_NS10device_ptrIiEEPS6_SD_NS0_5tupleIJSC_SC_EEENSE_IJSD_SD_EEES6_PlJ7is_evenIiEEEE10hipError_tPvRmT3_T4_T5_T6_T7_T9_mT8_P12ihipStream_tbDpT10_ENKUlT_T0_E_clISt17integral_constantIbLb1EES12_IbLb0EEEEDaSY_SZ_EUlSY_E_NS1_11comp_targetILNS1_3genE4ELNS1_11target_archE910ELNS1_3gpuE8ELNS1_3repE0EEENS1_30default_config_static_selectorELNS0_4arch9wavefront6targetE1EEEvT1_.kd
    .uniform_work_group_size: 1
    .uses_dynamic_stack: false
    .vgpr_count:     54
    .vgpr_spill_count: 0
    .wavefront_size: 64
  - .agpr_count:     0
    .args:
      - .offset:         0
        .size:           120
        .value_kind:     by_value
    .group_segment_fixed_size: 0
    .kernarg_segment_align: 8
    .kernarg_segment_size: 120
    .language:       OpenCL C
    .language_version:
      - 2
      - 0
    .max_flat_workgroup_size: 256
    .name:           _ZN7rocprim17ROCPRIM_400000_NS6detail17trampoline_kernelINS0_14default_configENS1_25partition_config_selectorILNS1_17partition_subalgoE0EiNS0_10empty_typeEbEEZZNS1_14partition_implILS5_0ELb0ES3_jN6thrust23THRUST_200600_302600_NS10device_ptrIiEEPS6_SD_NS0_5tupleIJSC_SC_EEENSE_IJSD_SD_EEES6_PlJ7is_evenIiEEEE10hipError_tPvRmT3_T4_T5_T6_T7_T9_mT8_P12ihipStream_tbDpT10_ENKUlT_T0_E_clISt17integral_constantIbLb1EES12_IbLb0EEEEDaSY_SZ_EUlSY_E_NS1_11comp_targetILNS1_3genE3ELNS1_11target_archE908ELNS1_3gpuE7ELNS1_3repE0EEENS1_30default_config_static_selectorELNS0_4arch9wavefront6targetE1EEEvT1_
    .private_segment_fixed_size: 0
    .sgpr_count:     4
    .sgpr_spill_count: 0
    .symbol:         _ZN7rocprim17ROCPRIM_400000_NS6detail17trampoline_kernelINS0_14default_configENS1_25partition_config_selectorILNS1_17partition_subalgoE0EiNS0_10empty_typeEbEEZZNS1_14partition_implILS5_0ELb0ES3_jN6thrust23THRUST_200600_302600_NS10device_ptrIiEEPS6_SD_NS0_5tupleIJSC_SC_EEENSE_IJSD_SD_EEES6_PlJ7is_evenIiEEEE10hipError_tPvRmT3_T4_T5_T6_T7_T9_mT8_P12ihipStream_tbDpT10_ENKUlT_T0_E_clISt17integral_constantIbLb1EES12_IbLb0EEEEDaSY_SZ_EUlSY_E_NS1_11comp_targetILNS1_3genE3ELNS1_11target_archE908ELNS1_3gpuE7ELNS1_3repE0EEENS1_30default_config_static_selectorELNS0_4arch9wavefront6targetE1EEEvT1_.kd
    .uniform_work_group_size: 1
    .uses_dynamic_stack: false
    .vgpr_count:     0
    .vgpr_spill_count: 0
    .wavefront_size: 64
  - .agpr_count:     0
    .args:
      - .offset:         0
        .size:           120
        .value_kind:     by_value
    .group_segment_fixed_size: 0
    .kernarg_segment_align: 8
    .kernarg_segment_size: 120
    .language:       OpenCL C
    .language_version:
      - 2
      - 0
    .max_flat_workgroup_size: 192
    .name:           _ZN7rocprim17ROCPRIM_400000_NS6detail17trampoline_kernelINS0_14default_configENS1_25partition_config_selectorILNS1_17partition_subalgoE0EiNS0_10empty_typeEbEEZZNS1_14partition_implILS5_0ELb0ES3_jN6thrust23THRUST_200600_302600_NS10device_ptrIiEEPS6_SD_NS0_5tupleIJSC_SC_EEENSE_IJSD_SD_EEES6_PlJ7is_evenIiEEEE10hipError_tPvRmT3_T4_T5_T6_T7_T9_mT8_P12ihipStream_tbDpT10_ENKUlT_T0_E_clISt17integral_constantIbLb1EES12_IbLb0EEEEDaSY_SZ_EUlSY_E_NS1_11comp_targetILNS1_3genE2ELNS1_11target_archE906ELNS1_3gpuE6ELNS1_3repE0EEENS1_30default_config_static_selectorELNS0_4arch9wavefront6targetE1EEEvT1_
    .private_segment_fixed_size: 0
    .sgpr_count:     4
    .sgpr_spill_count: 0
    .symbol:         _ZN7rocprim17ROCPRIM_400000_NS6detail17trampoline_kernelINS0_14default_configENS1_25partition_config_selectorILNS1_17partition_subalgoE0EiNS0_10empty_typeEbEEZZNS1_14partition_implILS5_0ELb0ES3_jN6thrust23THRUST_200600_302600_NS10device_ptrIiEEPS6_SD_NS0_5tupleIJSC_SC_EEENSE_IJSD_SD_EEES6_PlJ7is_evenIiEEEE10hipError_tPvRmT3_T4_T5_T6_T7_T9_mT8_P12ihipStream_tbDpT10_ENKUlT_T0_E_clISt17integral_constantIbLb1EES12_IbLb0EEEEDaSY_SZ_EUlSY_E_NS1_11comp_targetILNS1_3genE2ELNS1_11target_archE906ELNS1_3gpuE6ELNS1_3repE0EEENS1_30default_config_static_selectorELNS0_4arch9wavefront6targetE1EEEvT1_.kd
    .uniform_work_group_size: 1
    .uses_dynamic_stack: false
    .vgpr_count:     0
    .vgpr_spill_count: 0
    .wavefront_size: 64
  - .agpr_count:     0
    .args:
      - .offset:         0
        .size:           120
        .value_kind:     by_value
    .group_segment_fixed_size: 0
    .kernarg_segment_align: 8
    .kernarg_segment_size: 120
    .language:       OpenCL C
    .language_version:
      - 2
      - 0
    .max_flat_workgroup_size: 512
    .name:           _ZN7rocprim17ROCPRIM_400000_NS6detail17trampoline_kernelINS0_14default_configENS1_25partition_config_selectorILNS1_17partition_subalgoE0EiNS0_10empty_typeEbEEZZNS1_14partition_implILS5_0ELb0ES3_jN6thrust23THRUST_200600_302600_NS10device_ptrIiEEPS6_SD_NS0_5tupleIJSC_SC_EEENSE_IJSD_SD_EEES6_PlJ7is_evenIiEEEE10hipError_tPvRmT3_T4_T5_T6_T7_T9_mT8_P12ihipStream_tbDpT10_ENKUlT_T0_E_clISt17integral_constantIbLb1EES12_IbLb0EEEEDaSY_SZ_EUlSY_E_NS1_11comp_targetILNS1_3genE10ELNS1_11target_archE1200ELNS1_3gpuE4ELNS1_3repE0EEENS1_30default_config_static_selectorELNS0_4arch9wavefront6targetE1EEEvT1_
    .private_segment_fixed_size: 0
    .sgpr_count:     4
    .sgpr_spill_count: 0
    .symbol:         _ZN7rocprim17ROCPRIM_400000_NS6detail17trampoline_kernelINS0_14default_configENS1_25partition_config_selectorILNS1_17partition_subalgoE0EiNS0_10empty_typeEbEEZZNS1_14partition_implILS5_0ELb0ES3_jN6thrust23THRUST_200600_302600_NS10device_ptrIiEEPS6_SD_NS0_5tupleIJSC_SC_EEENSE_IJSD_SD_EEES6_PlJ7is_evenIiEEEE10hipError_tPvRmT3_T4_T5_T6_T7_T9_mT8_P12ihipStream_tbDpT10_ENKUlT_T0_E_clISt17integral_constantIbLb1EES12_IbLb0EEEEDaSY_SZ_EUlSY_E_NS1_11comp_targetILNS1_3genE10ELNS1_11target_archE1200ELNS1_3gpuE4ELNS1_3repE0EEENS1_30default_config_static_selectorELNS0_4arch9wavefront6targetE1EEEvT1_.kd
    .uniform_work_group_size: 1
    .uses_dynamic_stack: false
    .vgpr_count:     0
    .vgpr_spill_count: 0
    .wavefront_size: 64
  - .agpr_count:     0
    .args:
      - .offset:         0
        .size:           120
        .value_kind:     by_value
    .group_segment_fixed_size: 0
    .kernarg_segment_align: 8
    .kernarg_segment_size: 120
    .language:       OpenCL C
    .language_version:
      - 2
      - 0
    .max_flat_workgroup_size: 128
    .name:           _ZN7rocprim17ROCPRIM_400000_NS6detail17trampoline_kernelINS0_14default_configENS1_25partition_config_selectorILNS1_17partition_subalgoE0EiNS0_10empty_typeEbEEZZNS1_14partition_implILS5_0ELb0ES3_jN6thrust23THRUST_200600_302600_NS10device_ptrIiEEPS6_SD_NS0_5tupleIJSC_SC_EEENSE_IJSD_SD_EEES6_PlJ7is_evenIiEEEE10hipError_tPvRmT3_T4_T5_T6_T7_T9_mT8_P12ihipStream_tbDpT10_ENKUlT_T0_E_clISt17integral_constantIbLb1EES12_IbLb0EEEEDaSY_SZ_EUlSY_E_NS1_11comp_targetILNS1_3genE9ELNS1_11target_archE1100ELNS1_3gpuE3ELNS1_3repE0EEENS1_30default_config_static_selectorELNS0_4arch9wavefront6targetE1EEEvT1_
    .private_segment_fixed_size: 0
    .sgpr_count:     4
    .sgpr_spill_count: 0
    .symbol:         _ZN7rocprim17ROCPRIM_400000_NS6detail17trampoline_kernelINS0_14default_configENS1_25partition_config_selectorILNS1_17partition_subalgoE0EiNS0_10empty_typeEbEEZZNS1_14partition_implILS5_0ELb0ES3_jN6thrust23THRUST_200600_302600_NS10device_ptrIiEEPS6_SD_NS0_5tupleIJSC_SC_EEENSE_IJSD_SD_EEES6_PlJ7is_evenIiEEEE10hipError_tPvRmT3_T4_T5_T6_T7_T9_mT8_P12ihipStream_tbDpT10_ENKUlT_T0_E_clISt17integral_constantIbLb1EES12_IbLb0EEEEDaSY_SZ_EUlSY_E_NS1_11comp_targetILNS1_3genE9ELNS1_11target_archE1100ELNS1_3gpuE3ELNS1_3repE0EEENS1_30default_config_static_selectorELNS0_4arch9wavefront6targetE1EEEvT1_.kd
    .uniform_work_group_size: 1
    .uses_dynamic_stack: false
    .vgpr_count:     0
    .vgpr_spill_count: 0
    .wavefront_size: 64
  - .agpr_count:     0
    .args:
      - .offset:         0
        .size:           120
        .value_kind:     by_value
    .group_segment_fixed_size: 0
    .kernarg_segment_align: 8
    .kernarg_segment_size: 120
    .language:       OpenCL C
    .language_version:
      - 2
      - 0
    .max_flat_workgroup_size: 512
    .name:           _ZN7rocprim17ROCPRIM_400000_NS6detail17trampoline_kernelINS0_14default_configENS1_25partition_config_selectorILNS1_17partition_subalgoE0EiNS0_10empty_typeEbEEZZNS1_14partition_implILS5_0ELb0ES3_jN6thrust23THRUST_200600_302600_NS10device_ptrIiEEPS6_SD_NS0_5tupleIJSC_SC_EEENSE_IJSD_SD_EEES6_PlJ7is_evenIiEEEE10hipError_tPvRmT3_T4_T5_T6_T7_T9_mT8_P12ihipStream_tbDpT10_ENKUlT_T0_E_clISt17integral_constantIbLb1EES12_IbLb0EEEEDaSY_SZ_EUlSY_E_NS1_11comp_targetILNS1_3genE8ELNS1_11target_archE1030ELNS1_3gpuE2ELNS1_3repE0EEENS1_30default_config_static_selectorELNS0_4arch9wavefront6targetE1EEEvT1_
    .private_segment_fixed_size: 0
    .sgpr_count:     4
    .sgpr_spill_count: 0
    .symbol:         _ZN7rocprim17ROCPRIM_400000_NS6detail17trampoline_kernelINS0_14default_configENS1_25partition_config_selectorILNS1_17partition_subalgoE0EiNS0_10empty_typeEbEEZZNS1_14partition_implILS5_0ELb0ES3_jN6thrust23THRUST_200600_302600_NS10device_ptrIiEEPS6_SD_NS0_5tupleIJSC_SC_EEENSE_IJSD_SD_EEES6_PlJ7is_evenIiEEEE10hipError_tPvRmT3_T4_T5_T6_T7_T9_mT8_P12ihipStream_tbDpT10_ENKUlT_T0_E_clISt17integral_constantIbLb1EES12_IbLb0EEEEDaSY_SZ_EUlSY_E_NS1_11comp_targetILNS1_3genE8ELNS1_11target_archE1030ELNS1_3gpuE2ELNS1_3repE0EEENS1_30default_config_static_selectorELNS0_4arch9wavefront6targetE1EEEvT1_.kd
    .uniform_work_group_size: 1
    .uses_dynamic_stack: false
    .vgpr_count:     0
    .vgpr_spill_count: 0
    .wavefront_size: 64
  - .agpr_count:     0
    .args:
      - .offset:         0
        .size:           136
        .value_kind:     by_value
    .group_segment_fixed_size: 0
    .kernarg_segment_align: 8
    .kernarg_segment_size: 136
    .language:       OpenCL C
    .language_version:
      - 2
      - 0
    .max_flat_workgroup_size: 256
    .name:           _ZN7rocprim17ROCPRIM_400000_NS6detail17trampoline_kernelINS0_14default_configENS1_25partition_config_selectorILNS1_17partition_subalgoE0EiNS0_10empty_typeEbEEZZNS1_14partition_implILS5_0ELb0ES3_jN6thrust23THRUST_200600_302600_NS10device_ptrIiEEPS6_SD_NS0_5tupleIJSC_SC_EEENSE_IJSD_SD_EEES6_PlJ7is_evenIiEEEE10hipError_tPvRmT3_T4_T5_T6_T7_T9_mT8_P12ihipStream_tbDpT10_ENKUlT_T0_E_clISt17integral_constantIbLb0EES12_IbLb1EEEEDaSY_SZ_EUlSY_E_NS1_11comp_targetILNS1_3genE0ELNS1_11target_archE4294967295ELNS1_3gpuE0ELNS1_3repE0EEENS1_30default_config_static_selectorELNS0_4arch9wavefront6targetE1EEEvT1_
    .private_segment_fixed_size: 0
    .sgpr_count:     4
    .sgpr_spill_count: 0
    .symbol:         _ZN7rocprim17ROCPRIM_400000_NS6detail17trampoline_kernelINS0_14default_configENS1_25partition_config_selectorILNS1_17partition_subalgoE0EiNS0_10empty_typeEbEEZZNS1_14partition_implILS5_0ELb0ES3_jN6thrust23THRUST_200600_302600_NS10device_ptrIiEEPS6_SD_NS0_5tupleIJSC_SC_EEENSE_IJSD_SD_EEES6_PlJ7is_evenIiEEEE10hipError_tPvRmT3_T4_T5_T6_T7_T9_mT8_P12ihipStream_tbDpT10_ENKUlT_T0_E_clISt17integral_constantIbLb0EES12_IbLb1EEEEDaSY_SZ_EUlSY_E_NS1_11comp_targetILNS1_3genE0ELNS1_11target_archE4294967295ELNS1_3gpuE0ELNS1_3repE0EEENS1_30default_config_static_selectorELNS0_4arch9wavefront6targetE1EEEvT1_.kd
    .uniform_work_group_size: 1
    .uses_dynamic_stack: false
    .vgpr_count:     0
    .vgpr_spill_count: 0
    .wavefront_size: 64
  - .agpr_count:     0
    .args:
      - .offset:         0
        .size:           136
        .value_kind:     by_value
    .group_segment_fixed_size: 0
    .kernarg_segment_align: 8
    .kernarg_segment_size: 136
    .language:       OpenCL C
    .language_version:
      - 2
      - 0
    .max_flat_workgroup_size: 512
    .name:           _ZN7rocprim17ROCPRIM_400000_NS6detail17trampoline_kernelINS0_14default_configENS1_25partition_config_selectorILNS1_17partition_subalgoE0EiNS0_10empty_typeEbEEZZNS1_14partition_implILS5_0ELb0ES3_jN6thrust23THRUST_200600_302600_NS10device_ptrIiEEPS6_SD_NS0_5tupleIJSC_SC_EEENSE_IJSD_SD_EEES6_PlJ7is_evenIiEEEE10hipError_tPvRmT3_T4_T5_T6_T7_T9_mT8_P12ihipStream_tbDpT10_ENKUlT_T0_E_clISt17integral_constantIbLb0EES12_IbLb1EEEEDaSY_SZ_EUlSY_E_NS1_11comp_targetILNS1_3genE5ELNS1_11target_archE942ELNS1_3gpuE9ELNS1_3repE0EEENS1_30default_config_static_selectorELNS0_4arch9wavefront6targetE1EEEvT1_
    .private_segment_fixed_size: 0
    .sgpr_count:     4
    .sgpr_spill_count: 0
    .symbol:         _ZN7rocprim17ROCPRIM_400000_NS6detail17trampoline_kernelINS0_14default_configENS1_25partition_config_selectorILNS1_17partition_subalgoE0EiNS0_10empty_typeEbEEZZNS1_14partition_implILS5_0ELb0ES3_jN6thrust23THRUST_200600_302600_NS10device_ptrIiEEPS6_SD_NS0_5tupleIJSC_SC_EEENSE_IJSD_SD_EEES6_PlJ7is_evenIiEEEE10hipError_tPvRmT3_T4_T5_T6_T7_T9_mT8_P12ihipStream_tbDpT10_ENKUlT_T0_E_clISt17integral_constantIbLb0EES12_IbLb1EEEEDaSY_SZ_EUlSY_E_NS1_11comp_targetILNS1_3genE5ELNS1_11target_archE942ELNS1_3gpuE9ELNS1_3repE0EEENS1_30default_config_static_selectorELNS0_4arch9wavefront6targetE1EEEvT1_.kd
    .uniform_work_group_size: 1
    .uses_dynamic_stack: false
    .vgpr_count:     0
    .vgpr_spill_count: 0
    .wavefront_size: 64
  - .agpr_count:     0
    .args:
      - .offset:         0
        .size:           136
        .value_kind:     by_value
    .group_segment_fixed_size: 10248
    .kernarg_segment_align: 8
    .kernarg_segment_size: 136
    .language:       OpenCL C
    .language_version:
      - 2
      - 0
    .max_flat_workgroup_size: 256
    .name:           _ZN7rocprim17ROCPRIM_400000_NS6detail17trampoline_kernelINS0_14default_configENS1_25partition_config_selectorILNS1_17partition_subalgoE0EiNS0_10empty_typeEbEEZZNS1_14partition_implILS5_0ELb0ES3_jN6thrust23THRUST_200600_302600_NS10device_ptrIiEEPS6_SD_NS0_5tupleIJSC_SC_EEENSE_IJSD_SD_EEES6_PlJ7is_evenIiEEEE10hipError_tPvRmT3_T4_T5_T6_T7_T9_mT8_P12ihipStream_tbDpT10_ENKUlT_T0_E_clISt17integral_constantIbLb0EES12_IbLb1EEEEDaSY_SZ_EUlSY_E_NS1_11comp_targetILNS1_3genE4ELNS1_11target_archE910ELNS1_3gpuE8ELNS1_3repE0EEENS1_30default_config_static_selectorELNS0_4arch9wavefront6targetE1EEEvT1_
    .private_segment_fixed_size: 0
    .sgpr_count:     48
    .sgpr_spill_count: 0
    .symbol:         _ZN7rocprim17ROCPRIM_400000_NS6detail17trampoline_kernelINS0_14default_configENS1_25partition_config_selectorILNS1_17partition_subalgoE0EiNS0_10empty_typeEbEEZZNS1_14partition_implILS5_0ELb0ES3_jN6thrust23THRUST_200600_302600_NS10device_ptrIiEEPS6_SD_NS0_5tupleIJSC_SC_EEENSE_IJSD_SD_EEES6_PlJ7is_evenIiEEEE10hipError_tPvRmT3_T4_T5_T6_T7_T9_mT8_P12ihipStream_tbDpT10_ENKUlT_T0_E_clISt17integral_constantIbLb0EES12_IbLb1EEEEDaSY_SZ_EUlSY_E_NS1_11comp_targetILNS1_3genE4ELNS1_11target_archE910ELNS1_3gpuE8ELNS1_3repE0EEENS1_30default_config_static_selectorELNS0_4arch9wavefront6targetE1EEEvT1_.kd
    .uniform_work_group_size: 1
    .uses_dynamic_stack: false
    .vgpr_count:     58
    .vgpr_spill_count: 0
    .wavefront_size: 64
  - .agpr_count:     0
    .args:
      - .offset:         0
        .size:           136
        .value_kind:     by_value
    .group_segment_fixed_size: 0
    .kernarg_segment_align: 8
    .kernarg_segment_size: 136
    .language:       OpenCL C
    .language_version:
      - 2
      - 0
    .max_flat_workgroup_size: 256
    .name:           _ZN7rocprim17ROCPRIM_400000_NS6detail17trampoline_kernelINS0_14default_configENS1_25partition_config_selectorILNS1_17partition_subalgoE0EiNS0_10empty_typeEbEEZZNS1_14partition_implILS5_0ELb0ES3_jN6thrust23THRUST_200600_302600_NS10device_ptrIiEEPS6_SD_NS0_5tupleIJSC_SC_EEENSE_IJSD_SD_EEES6_PlJ7is_evenIiEEEE10hipError_tPvRmT3_T4_T5_T6_T7_T9_mT8_P12ihipStream_tbDpT10_ENKUlT_T0_E_clISt17integral_constantIbLb0EES12_IbLb1EEEEDaSY_SZ_EUlSY_E_NS1_11comp_targetILNS1_3genE3ELNS1_11target_archE908ELNS1_3gpuE7ELNS1_3repE0EEENS1_30default_config_static_selectorELNS0_4arch9wavefront6targetE1EEEvT1_
    .private_segment_fixed_size: 0
    .sgpr_count:     4
    .sgpr_spill_count: 0
    .symbol:         _ZN7rocprim17ROCPRIM_400000_NS6detail17trampoline_kernelINS0_14default_configENS1_25partition_config_selectorILNS1_17partition_subalgoE0EiNS0_10empty_typeEbEEZZNS1_14partition_implILS5_0ELb0ES3_jN6thrust23THRUST_200600_302600_NS10device_ptrIiEEPS6_SD_NS0_5tupleIJSC_SC_EEENSE_IJSD_SD_EEES6_PlJ7is_evenIiEEEE10hipError_tPvRmT3_T4_T5_T6_T7_T9_mT8_P12ihipStream_tbDpT10_ENKUlT_T0_E_clISt17integral_constantIbLb0EES12_IbLb1EEEEDaSY_SZ_EUlSY_E_NS1_11comp_targetILNS1_3genE3ELNS1_11target_archE908ELNS1_3gpuE7ELNS1_3repE0EEENS1_30default_config_static_selectorELNS0_4arch9wavefront6targetE1EEEvT1_.kd
    .uniform_work_group_size: 1
    .uses_dynamic_stack: false
    .vgpr_count:     0
    .vgpr_spill_count: 0
    .wavefront_size: 64
  - .agpr_count:     0
    .args:
      - .offset:         0
        .size:           136
        .value_kind:     by_value
    .group_segment_fixed_size: 0
    .kernarg_segment_align: 8
    .kernarg_segment_size: 136
    .language:       OpenCL C
    .language_version:
      - 2
      - 0
    .max_flat_workgroup_size: 192
    .name:           _ZN7rocprim17ROCPRIM_400000_NS6detail17trampoline_kernelINS0_14default_configENS1_25partition_config_selectorILNS1_17partition_subalgoE0EiNS0_10empty_typeEbEEZZNS1_14partition_implILS5_0ELb0ES3_jN6thrust23THRUST_200600_302600_NS10device_ptrIiEEPS6_SD_NS0_5tupleIJSC_SC_EEENSE_IJSD_SD_EEES6_PlJ7is_evenIiEEEE10hipError_tPvRmT3_T4_T5_T6_T7_T9_mT8_P12ihipStream_tbDpT10_ENKUlT_T0_E_clISt17integral_constantIbLb0EES12_IbLb1EEEEDaSY_SZ_EUlSY_E_NS1_11comp_targetILNS1_3genE2ELNS1_11target_archE906ELNS1_3gpuE6ELNS1_3repE0EEENS1_30default_config_static_selectorELNS0_4arch9wavefront6targetE1EEEvT1_
    .private_segment_fixed_size: 0
    .sgpr_count:     4
    .sgpr_spill_count: 0
    .symbol:         _ZN7rocprim17ROCPRIM_400000_NS6detail17trampoline_kernelINS0_14default_configENS1_25partition_config_selectorILNS1_17partition_subalgoE0EiNS0_10empty_typeEbEEZZNS1_14partition_implILS5_0ELb0ES3_jN6thrust23THRUST_200600_302600_NS10device_ptrIiEEPS6_SD_NS0_5tupleIJSC_SC_EEENSE_IJSD_SD_EEES6_PlJ7is_evenIiEEEE10hipError_tPvRmT3_T4_T5_T6_T7_T9_mT8_P12ihipStream_tbDpT10_ENKUlT_T0_E_clISt17integral_constantIbLb0EES12_IbLb1EEEEDaSY_SZ_EUlSY_E_NS1_11comp_targetILNS1_3genE2ELNS1_11target_archE906ELNS1_3gpuE6ELNS1_3repE0EEENS1_30default_config_static_selectorELNS0_4arch9wavefront6targetE1EEEvT1_.kd
    .uniform_work_group_size: 1
    .uses_dynamic_stack: false
    .vgpr_count:     0
    .vgpr_spill_count: 0
    .wavefront_size: 64
  - .agpr_count:     0
    .args:
      - .offset:         0
        .size:           136
        .value_kind:     by_value
    .group_segment_fixed_size: 0
    .kernarg_segment_align: 8
    .kernarg_segment_size: 136
    .language:       OpenCL C
    .language_version:
      - 2
      - 0
    .max_flat_workgroup_size: 512
    .name:           _ZN7rocprim17ROCPRIM_400000_NS6detail17trampoline_kernelINS0_14default_configENS1_25partition_config_selectorILNS1_17partition_subalgoE0EiNS0_10empty_typeEbEEZZNS1_14partition_implILS5_0ELb0ES3_jN6thrust23THRUST_200600_302600_NS10device_ptrIiEEPS6_SD_NS0_5tupleIJSC_SC_EEENSE_IJSD_SD_EEES6_PlJ7is_evenIiEEEE10hipError_tPvRmT3_T4_T5_T6_T7_T9_mT8_P12ihipStream_tbDpT10_ENKUlT_T0_E_clISt17integral_constantIbLb0EES12_IbLb1EEEEDaSY_SZ_EUlSY_E_NS1_11comp_targetILNS1_3genE10ELNS1_11target_archE1200ELNS1_3gpuE4ELNS1_3repE0EEENS1_30default_config_static_selectorELNS0_4arch9wavefront6targetE1EEEvT1_
    .private_segment_fixed_size: 0
    .sgpr_count:     4
    .sgpr_spill_count: 0
    .symbol:         _ZN7rocprim17ROCPRIM_400000_NS6detail17trampoline_kernelINS0_14default_configENS1_25partition_config_selectorILNS1_17partition_subalgoE0EiNS0_10empty_typeEbEEZZNS1_14partition_implILS5_0ELb0ES3_jN6thrust23THRUST_200600_302600_NS10device_ptrIiEEPS6_SD_NS0_5tupleIJSC_SC_EEENSE_IJSD_SD_EEES6_PlJ7is_evenIiEEEE10hipError_tPvRmT3_T4_T5_T6_T7_T9_mT8_P12ihipStream_tbDpT10_ENKUlT_T0_E_clISt17integral_constantIbLb0EES12_IbLb1EEEEDaSY_SZ_EUlSY_E_NS1_11comp_targetILNS1_3genE10ELNS1_11target_archE1200ELNS1_3gpuE4ELNS1_3repE0EEENS1_30default_config_static_selectorELNS0_4arch9wavefront6targetE1EEEvT1_.kd
    .uniform_work_group_size: 1
    .uses_dynamic_stack: false
    .vgpr_count:     0
    .vgpr_spill_count: 0
    .wavefront_size: 64
  - .agpr_count:     0
    .args:
      - .offset:         0
        .size:           136
        .value_kind:     by_value
    .group_segment_fixed_size: 0
    .kernarg_segment_align: 8
    .kernarg_segment_size: 136
    .language:       OpenCL C
    .language_version:
      - 2
      - 0
    .max_flat_workgroup_size: 128
    .name:           _ZN7rocprim17ROCPRIM_400000_NS6detail17trampoline_kernelINS0_14default_configENS1_25partition_config_selectorILNS1_17partition_subalgoE0EiNS0_10empty_typeEbEEZZNS1_14partition_implILS5_0ELb0ES3_jN6thrust23THRUST_200600_302600_NS10device_ptrIiEEPS6_SD_NS0_5tupleIJSC_SC_EEENSE_IJSD_SD_EEES6_PlJ7is_evenIiEEEE10hipError_tPvRmT3_T4_T5_T6_T7_T9_mT8_P12ihipStream_tbDpT10_ENKUlT_T0_E_clISt17integral_constantIbLb0EES12_IbLb1EEEEDaSY_SZ_EUlSY_E_NS1_11comp_targetILNS1_3genE9ELNS1_11target_archE1100ELNS1_3gpuE3ELNS1_3repE0EEENS1_30default_config_static_selectorELNS0_4arch9wavefront6targetE1EEEvT1_
    .private_segment_fixed_size: 0
    .sgpr_count:     4
    .sgpr_spill_count: 0
    .symbol:         _ZN7rocprim17ROCPRIM_400000_NS6detail17trampoline_kernelINS0_14default_configENS1_25partition_config_selectorILNS1_17partition_subalgoE0EiNS0_10empty_typeEbEEZZNS1_14partition_implILS5_0ELb0ES3_jN6thrust23THRUST_200600_302600_NS10device_ptrIiEEPS6_SD_NS0_5tupleIJSC_SC_EEENSE_IJSD_SD_EEES6_PlJ7is_evenIiEEEE10hipError_tPvRmT3_T4_T5_T6_T7_T9_mT8_P12ihipStream_tbDpT10_ENKUlT_T0_E_clISt17integral_constantIbLb0EES12_IbLb1EEEEDaSY_SZ_EUlSY_E_NS1_11comp_targetILNS1_3genE9ELNS1_11target_archE1100ELNS1_3gpuE3ELNS1_3repE0EEENS1_30default_config_static_selectorELNS0_4arch9wavefront6targetE1EEEvT1_.kd
    .uniform_work_group_size: 1
    .uses_dynamic_stack: false
    .vgpr_count:     0
    .vgpr_spill_count: 0
    .wavefront_size: 64
  - .agpr_count:     0
    .args:
      - .offset:         0
        .size:           136
        .value_kind:     by_value
    .group_segment_fixed_size: 0
    .kernarg_segment_align: 8
    .kernarg_segment_size: 136
    .language:       OpenCL C
    .language_version:
      - 2
      - 0
    .max_flat_workgroup_size: 512
    .name:           _ZN7rocprim17ROCPRIM_400000_NS6detail17trampoline_kernelINS0_14default_configENS1_25partition_config_selectorILNS1_17partition_subalgoE0EiNS0_10empty_typeEbEEZZNS1_14partition_implILS5_0ELb0ES3_jN6thrust23THRUST_200600_302600_NS10device_ptrIiEEPS6_SD_NS0_5tupleIJSC_SC_EEENSE_IJSD_SD_EEES6_PlJ7is_evenIiEEEE10hipError_tPvRmT3_T4_T5_T6_T7_T9_mT8_P12ihipStream_tbDpT10_ENKUlT_T0_E_clISt17integral_constantIbLb0EES12_IbLb1EEEEDaSY_SZ_EUlSY_E_NS1_11comp_targetILNS1_3genE8ELNS1_11target_archE1030ELNS1_3gpuE2ELNS1_3repE0EEENS1_30default_config_static_selectorELNS0_4arch9wavefront6targetE1EEEvT1_
    .private_segment_fixed_size: 0
    .sgpr_count:     4
    .sgpr_spill_count: 0
    .symbol:         _ZN7rocprim17ROCPRIM_400000_NS6detail17trampoline_kernelINS0_14default_configENS1_25partition_config_selectorILNS1_17partition_subalgoE0EiNS0_10empty_typeEbEEZZNS1_14partition_implILS5_0ELb0ES3_jN6thrust23THRUST_200600_302600_NS10device_ptrIiEEPS6_SD_NS0_5tupleIJSC_SC_EEENSE_IJSD_SD_EEES6_PlJ7is_evenIiEEEE10hipError_tPvRmT3_T4_T5_T6_T7_T9_mT8_P12ihipStream_tbDpT10_ENKUlT_T0_E_clISt17integral_constantIbLb0EES12_IbLb1EEEEDaSY_SZ_EUlSY_E_NS1_11comp_targetILNS1_3genE8ELNS1_11target_archE1030ELNS1_3gpuE2ELNS1_3repE0EEENS1_30default_config_static_selectorELNS0_4arch9wavefront6targetE1EEEvT1_.kd
    .uniform_work_group_size: 1
    .uses_dynamic_stack: false
    .vgpr_count:     0
    .vgpr_spill_count: 0
    .wavefront_size: 64
amdhsa.target:   amdgcn-amd-amdhsa--gfx90a
amdhsa.version:
  - 1
  - 2
...

	.end_amdgpu_metadata
